;; amdgpu-corpus repo=ROCm/vllm kind=compiled arch=gfx1201 opt=O3
	.amdgcn_target "amdgcn-amd-amdhsa--gfx1201"
	.amdhsa_code_object_version 6
	.section	.text._ZN4vllm25paged_attention_v2_kernelIffLi32ELi8ELi128ELNS_18Fp8KVCacheDataTypeE0ELb1ELi512EEEvPfS2_PT_PKS3_PKT0_S9_ifPKiSB_iPKfiiiSD_SD_iiiii,"axG",@progbits,_ZN4vllm25paged_attention_v2_kernelIffLi32ELi8ELi128ELNS_18Fp8KVCacheDataTypeE0ELb1ELi512EEEvPfS2_PT_PKS3_PKT0_S9_ifPKiSB_iPKfiiiSD_SD_iiiii,comdat
	.protected	_ZN4vllm25paged_attention_v2_kernelIffLi32ELi8ELi128ELNS_18Fp8KVCacheDataTypeE0ELb1ELi512EEEvPfS2_PT_PKS3_PKT0_S9_ifPKiSB_iPKfiiiSD_SD_iiiii ; -- Begin function _ZN4vllm25paged_attention_v2_kernelIffLi32ELi8ELi128ELNS_18Fp8KVCacheDataTypeE0ELb1ELi512EEEvPfS2_PT_PKS3_PKT0_S9_ifPKiSB_iPKfiiiSD_SD_iiiii
	.globl	_ZN4vllm25paged_attention_v2_kernelIffLi32ELi8ELi128ELNS_18Fp8KVCacheDataTypeE0ELb1ELi512EEEvPfS2_PT_PKS3_PKT0_S9_ifPKiSB_iPKfiiiSD_SD_iiiii
	.p2align	8
	.type	_ZN4vllm25paged_attention_v2_kernelIffLi32ELi8ELi128ELNS_18Fp8KVCacheDataTypeE0ELb1ELi512EEEvPfS2_PT_PKS3_PKT0_S9_ifPKiSB_iPKfiiiSD_SD_iiiii,@function
_ZN4vllm25paged_attention_v2_kernelIffLi32ELi8ELi128ELNS_18Fp8KVCacheDataTypeE0ELb1ELi512EEEvPfS2_PT_PKS3_PKT0_S9_ifPKiSB_iPKfiiiSD_SD_iiiii: ; @_ZN4vllm25paged_attention_v2_kernelIffLi32ELi8ELi128ELNS_18Fp8KVCacheDataTypeE0ELb1ELi512EEEvPfS2_PT_PKS3_PKT0_S9_ifPKiSB_iPKfiiiSD_SD_iiiii
; %bb.0:
	s_load_b64 s[2:3], s[0:1], 0x40
	s_and_b32 s33, ttmp7, 0xffff
	s_lshr_b32 s30, ttmp7, 16
	s_lshl_b32 s4, s33, 2
	s_lshl_b32 s35, s30, 9
	s_wait_kmcnt 0x0
	s_load_b32 s31, s[2:3], s4 offset:0x0
	s_wait_kmcnt 0x0
	s_cmp_ge_i32 s35, s31
	s_cbranch_scc1 .LBB0_66
; %bb.1:
	s_clause 0x1
	s_load_b32 s34, s[0:1], 0x90
	s_load_b64 s[6:7], s[0:1], 0x30
	s_wait_kmcnt 0x0
	s_abs_i32 s5, s34
	s_abs_i32 s2, s6
	s_delay_alu instid0(SALU_CYCLE_1) | instskip(SKIP_1) | instid1(SALU_CYCLE_2)
	s_cvt_f32_u32 s3, s2
	s_sub_co_i32 s4, 0, s2
	v_rcp_iflag_f32_e32 v1, s3
	s_delay_alu instid0(TRANS32_DEP_1) | instskip(SKIP_2) | instid1(SALU_CYCLE_2)
	v_readfirstlane_b32 s3, v1
	s_mul_f32 s3, s3, 0x4f7ffffe
	s_wait_alu 0xfffe
	s_cvt_u32_f32 s3, s3
	s_wait_alu 0xfffe
	s_delay_alu instid0(SALU_CYCLE_2) | instskip(NEXT) | instid1(SALU_CYCLE_1)
	s_mul_i32 s4, s4, s3
	s_mul_hi_u32 s4, s3, s4
	s_delay_alu instid0(SALU_CYCLE_1)
	s_add_co_i32 s3, s3, s4
	s_xor_b32 s4, s34, s6
	s_wait_alu 0xfffe
	s_mul_hi_u32 s3, s5, s3
	s_ashr_i32 s4, s4, 31
	s_wait_alu 0xfffe
	s_mul_i32 s8, s3, s2
	s_delay_alu instid0(SALU_CYCLE_1)
	s_sub_co_i32 s5, s5, s8
	s_add_co_i32 s8, s3, 1
	s_sub_co_i32 s9, s5, s2
	s_cmp_ge_u32 s5, s2
	s_cselect_b32 s3, s8, s3
	s_cselect_b32 s5, s9, s5
	s_wait_alu 0xfffe
	s_add_co_i32 s8, s3, 1
	s_cmp_ge_u32 s5, s2
	s_mov_b32 s5, 0
	s_cselect_b32 s2, s8, s3
	s_load_b64 s[8:9], s[0:1], 0x50
	s_xor_b32 s2, s2, s4
	s_mov_b32 s14, s5
	s_wait_alu 0xfffe
	s_sub_co_i32 s10, s2, s4
	s_abs_i32 s4, ttmp9
	s_abs_i32 s12, s10
	s_delay_alu instid0(SALU_CYCLE_1) | instskip(SKIP_2) | instid1(SALU_CYCLE_1)
	s_cvt_f32_u32 s2, s12
	s_sub_co_i32 s3, 0, s12
	s_wait_alu 0xfffe
	v_rcp_iflag_f32_e32 v1, s2
	s_delay_alu instid0(TRANS32_DEP_1) | instskip(SKIP_2) | instid1(SALU_CYCLE_2)
	v_readfirstlane_b32 s2, v1
	s_mul_f32 s2, s2, 0x4f7ffffe
	s_wait_alu 0xfffe
	s_cvt_u32_f32 s2, s2
	s_wait_alu 0xfffe
	s_delay_alu instid0(SALU_CYCLE_2)
	s_mul_i32 s3, s3, s2
	s_wait_alu 0xfffe
	s_mul_hi_u32 s3, s2, s3
	s_wait_alu 0xfffe
	s_add_co_i32 s2, s2, s3
	s_mov_b32 s3, s5
	s_wait_kmcnt 0x0
	s_cmp_eq_u64 s[8:9], 0
	s_cbranch_scc1 .LBB0_3
; %bb.2:
	s_mov_b32 s14, ttmp9
	s_ashr_i32 s15, ttmp9, 31
	s_delay_alu instid0(SALU_CYCLE_1) | instskip(NEXT) | instid1(SALU_CYCLE_1)
	s_lshl_b64 s[14:15], s[14:15], 2
	s_add_nc_u64 s[8:9], s[8:9], s[14:15]
	s_load_b32 s14, s[8:9], 0x0
.LBB0_3:
	s_load_b96 s[16:18], s[0:1], 0x58
	s_mul_u64 s[2:3], s[4:5], s[2:3]
	v_and_b32_e32 v1, 3, v0
	v_cmp_gt_u32_e64 s2, 32, v0
	v_lshlrev_b32_e32 v3, 2, v0
	s_ashr_i32 s5, ttmp9, 31
	s_ashr_i32 s13, s10, 31
	s_lshl_b32 s20, ttmp9, 5
	s_wait_alu 0xfffe
	s_and_saveexec_b32 s8, s2
	s_cbranch_execz .LBB0_5
; %bb.4:
	s_load_b64 s[10:11], s[0:1], 0x18
	s_wait_kmcnt 0x0
	s_mul_i32 s22, s16, s33
	s_ashr_i32 s21, s20, 31
	s_ashr_i32 s23, s22, 31
	v_and_b32_e32 v4, 0x3fc, v0
	s_lshl_b64 s[22:23], s[22:23], 2
	s_delay_alu instid0(VALU_DEP_1) | instskip(SKIP_2) | instid1(SALU_CYCLE_1)
	v_lshl_add_u32 v4, v1, 5, v4
	s_add_nc_u64 s[10:11], s[10:11], s[22:23]
	s_lshl_b64 s[22:23], s[20:21], 2
	s_add_nc_u64 s[10:11], s[10:11], s[22:23]
	global_load_b32 v2, v3, s[10:11]
	s_wait_loadcnt 0x0
	ds_store_b32 v4, v2
.LBB0_5:
	s_or_b32 exec_lo, exec_lo, s8
	s_load_b128 s[8:11], s[0:1], 0x78
	s_mul_i32 s15, s3, s12
	s_xor_b32 s5, s5, s13
	s_sub_co_i32 s4, s4, s15
	s_add_co_i32 s13, s3, 1
	s_sub_co_i32 s15, s4, s12
	s_cmp_ge_u32 s4, s12
	s_mov_b32 s24, -1
	s_cselect_b32 s3, s13, s3
	s_cselect_b32 s4, s15, s4
	s_wait_alu 0xfffe
	s_add_co_i32 s13, s3, 1
	s_cmp_ge_u32 s4, s12
                                        ; implicit-def: $sgpr21
	s_cselect_b32 s4, s13, s3
	s_load_b32 s3, s[0:1], 0x88
	s_xor_b32 s4, s4, s5
	s_add_co_i32 s19, s31, -1
	s_sub_co_i32 s15, s4, s5
	s_wait_dscnt 0x0
	s_barrier_signal -1
	s_wait_kmcnt 0x0
	s_abs_i32 s16, s11
	s_barrier_wait -1
	s_cvt_f32_u32 s12, s16
	global_inv scope:SCOPE_SE
	v_rcp_iflag_f32_e32 v2, s12
	s_delay_alu instid0(TRANS32_DEP_1) | instskip(SKIP_1) | instid1(SALU_CYCLE_3)
	v_readfirstlane_b32 s12, v2
	s_mul_f32 s4, s12, 0x4f7ffffe
	s_cvt_u32_f32 s12, s4
	s_sub_co_i32 s4, 0, s16
	s_wait_alu 0xfffe
	s_delay_alu instid0(SALU_CYCLE_1)
	s_mul_i32 s5, s4, s12
	s_abs_i32 s4, s19
	s_mul_hi_u32 s13, s12, s5
	s_mov_b32 s5, 0
	s_wait_alu 0xfffe
	s_add_co_i32 s22, s12, s13
	s_cmp_lt_i32 s3, 0
	s_mov_b32 s23, s5
	s_cbranch_scc0 .LBB0_7
; %bb.6:
	s_mul_i32 s6, s8, s6
	s_mov_b32 s24, s5
	s_add_co_i32 s6, s15, s6
	s_delay_alu instid0(SALU_CYCLE_1) | instskip(NEXT) | instid1(SALU_CYCLE_1)
	s_mul_i32 s6, s6, s3
	s_sub_co_i32 s21, 1, s6
.LBB0_7:
	s_mul_u64 s[12:13], s[4:5], s[22:23]
	s_ashr_i32 s5, s19, 31
	s_and_not1_b32 vcc_lo, exec_lo, s24
	s_ashr_i32 s11, s11, 31
	s_cbranch_vccnz .LBB0_9
; %bb.8:
	s_mul_i32 s6, s34, s8
	s_delay_alu instid0(SALU_CYCLE_1) | instskip(NEXT) | instid1(SALU_CYCLE_1)
	s_add_co_i32 s6, s6, ttmp9
	s_mul_i32 s3, s6, s3
	s_wait_alu 0xfffe
	s_add_co_i32 s21, s3, 1
.LBB0_9:
	s_clause 0x2
	s_load_b32 s3, s[0:1], 0x48
	s_load_b64 s[24:25], s[0:1], 0x38
	s_load_b32 s8, s[0:1], 0x98
	s_mul_i32 s6, s13, s16
	s_xor_b32 s5, s5, s11
	s_sub_co_i32 s4, s4, s6
	s_add_co_i32 s12, s13, 1
	v_lshrrev_b32_e32 v15, 5, v0
	v_mbcnt_lo_u32_b32 v5, -1, 0
	s_mul_i32 s18, s15, s18
	s_delay_alu instid0(VALU_DEP_2)
	v_lshl_add_u32 v16, v15, 3, s35
	s_wait_kmcnt 0x0
	s_mul_i32 s26, s3, s33
	s_sub_co_i32 s3, s4, s16
	s_ashr_i32 s27, s26, 31
	s_cmp_ge_u32 s4, s16
	s_wait_alu 0xfffe
	s_cselect_b32 s6, s12, s13
	s_cselect_b32 s3, s3, s4
	s_add_co_i32 s4, s6, 1
	s_wait_alu 0xfffe
	s_cmp_ge_u32 s3, s16
	s_cselect_b32 s3, s4, s6
	s_add_co_i32 s4, s31, 7
	s_lshl_b32 s38, s30, 6
	s_ashr_i32 s6, s4, 31
	v_or_b32_e32 v17, s38, v15
	s_lshr_b32 s6, s6, 29
	v_mov_b32_e32 v7, 0xff7fffff
	s_add_co_i32 s4, s4, s6
	s_add_co_i32 s6, s38, 64
	s_ashr_i32 s36, s4, 3
	s_wait_alu 0xfffe
	s_xor_b32 s4, s3, s5
	s_min_i32 s23, s6, s36
	v_lshlrev_b32_e32 v4, 2, v17
	v_cmp_gt_i32_e64 s3, s23, v17
	s_sub_co_i32 s37, s4, s5
	s_and_saveexec_b32 s12, s3
	s_cbranch_execz .LBB0_21
; %bb.10:
	s_ashr_i32 s19, s18, 31
	s_sub_co_i32 s13, s37, s9
	s_lshl_b64 s[28:29], s[18:19], 2
	s_cmp_neq_f32 s14, 0
	s_load_b64 s[40:41], s[0:1], 0x20
	v_bfe_u32 v6, v0, 2, 3
	v_dual_mov_b32 v14, 0xff7fffff :: v_dual_lshlrev_b32 v7, 2, v1
	s_cselect_b32 vcc_lo, -1, 0
	s_abs_i32 s15, s10
	v_lshlrev_b32_e32 v8, 5, v1
	s_cvt_f32_u32 s4, s15
	v_dual_mov_b32 v20, v17 :: v_dual_lshlrev_b32 v9, 4, v6
	s_lshl_b64 s[42:43], s[26:27], 2
	s_delay_alu instid0(SALU_CYCLE_1)
	v_rcp_iflag_f32_e32 v2, s4
	v_cmp_eq_u32_e64 s4, 0, v1
	v_lshlrev_b32_e32 v1, 2, v6
	v_subrev_nc_u32_e32 v12, s31, v6
	s_add_nc_u64 s[42:43], s[24:25], s[42:43]
	s_sub_co_i32 s6, 0, s15
	v_lshl_add_u32 v11, v15, 3, s35
	v_lshl_or_b32 v13, v15, 5, v1
	v_add_nc_u32_e32 v12, 1, v12
	s_wait_kmcnt 0x0
	s_add_nc_u64 s[28:29], s[40:41], s[28:29]
	v_readfirstlane_b32 s5, v2
	v_add_co_u32 v1, s28, s28, v9
	s_wait_alu 0xf1ff
	v_add_co_ci_u32_e64 v2, null, s29, 0, s28
	s_mul_f32 s5, s5, 0x4f7ffffe
	v_add_nc_u32_e32 v13, 0xa0, v13
	v_xor_b32_e32 v18, 2, v5
	v_xor_b32_e32 v19, 1, v5
	s_wait_alu 0xfffe
	s_cvt_u32_f32 s29, s5
	v_add_co_u32 v9, s5, v1, v7
	s_wait_alu 0xf1ff
	v_add_co_ci_u32_e64 v10, null, 0, v2, s5
	v_add_co_u32 v1, s5, s42, v4
	s_wait_alu 0xfffe
	s_mul_i32 s6, s6, s29
	v_add_co_ci_u32_e64 v2, null, s43, 0, s5
	v_mov_b32_e32 v7, 0xff7fffff
	s_mul_hi_u32 s5, s29, s6
	s_mov_b32 s19, 0
	s_mov_b32 s28, s17
	s_wait_alu 0xfffe
	s_add_co_i32 s29, s29, s5
	s_branch .LBB0_13
.LBB0_11:                               ;   in Loop: Header=BB0_13 Depth=1
	s_wait_alu 0xfffe
	s_or_b32 exec_lo, exec_lo, s39
.LBB0_12:                               ;   in Loop: Header=BB0_13 Depth=1
	s_wait_alu 0xfffe
	s_or_b32 exec_lo, exec_lo, s6
	v_add_nc_u32_e32 v20, 4, v20
	v_add_co_u32 v1, s6, v1, 16
	s_wait_alu 0xf1ff
	v_add_co_ci_u32_e64 v2, null, 0, v2, s6
	s_delay_alu instid0(VALU_DEP_3) | instskip(SKIP_3) | instid1(SALU_CYCLE_1)
	v_cmp_le_i32_e64 s5, s23, v20
	v_add_nc_u32_e32 v11, 32, v11
	v_add_nc_u32_e32 v13, 0x80, v13
	s_or_b32 s19, s5, s19
	s_and_not1_b32 exec_lo, exec_lo, s19
	s_cbranch_execz .LBB0_20
.LBB0_13:                               ; =>This Inner Loop Header: Depth=1
	v_sub_nc_u32_e32 v21, 0, v11
	s_delay_alu instid0(VALU_DEP_1) | instskip(SKIP_1) | instid1(VALU_DEP_1)
	v_max_i32_e32 v21, v11, v21
	s_wait_dscnt 0x0
	v_mul_hi_u32 v22, v21, s22
	s_delay_alu instid0(VALU_DEP_1) | instskip(NEXT) | instid1(VALU_DEP_1)
	v_mul_lo_u32 v23, v22, s16
	v_sub_nc_u32_e32 v21, v21, v23
	v_add_nc_u32_e32 v23, 1, v22
	s_delay_alu instid0(VALU_DEP_2) | instskip(SKIP_2) | instid1(VALU_DEP_1)
	v_subrev_nc_u32_e32 v24, s16, v21
	v_cmp_le_u32_e64 s5, s16, v21
	s_wait_alu 0xf1ff
	v_cndmask_b32_e64 v22, v22, v23, s5
	s_delay_alu instid0(VALU_DEP_3) | instskip(SKIP_1) | instid1(VALU_DEP_3)
	v_cndmask_b32_e64 v21, v21, v24, s5
	v_ashrrev_i32_e32 v23, 31, v11
	v_add_nc_u32_e32 v24, 1, v22
	s_delay_alu instid0(VALU_DEP_3) | instskip(NEXT) | instid1(VALU_DEP_3)
	v_cmp_le_u32_e64 s5, s16, v21
	v_xor_b32_e32 v23, s11, v23
	s_wait_alu 0xf1ff
	s_delay_alu instid0(VALU_DEP_2) | instskip(NEXT) | instid1(VALU_DEP_1)
	v_cndmask_b32_e64 v21, v22, v24, s5
	v_xor_b32_e32 v21, v21, v23
	s_delay_alu instid0(VALU_DEP_1) | instskip(NEXT) | instid1(VALU_DEP_1)
	v_sub_nc_u32_e32 v21, v21, v23
	v_add_nc_u32_e32 v22, s21, v21
	v_cmp_ge_i32_e64 s6, s13, v21
	s_delay_alu instid0(VALU_DEP_2) | instskip(NEXT) | instid1(VALU_DEP_1)
	v_sub_nc_u32_e32 v23, 0, v22
	v_max_i32_e32 v23, v22, v23
	v_ashrrev_i32_e32 v22, 31, v22
	s_wait_alu 0xfffe
	s_delay_alu instid0(VALU_DEP_2) | instskip(NEXT) | instid1(VALU_DEP_1)
	v_mul_hi_u32 v24, v23, s29
	v_mul_lo_u32 v24, v24, s15
	s_delay_alu instid0(VALU_DEP_1) | instskip(NEXT) | instid1(VALU_DEP_1)
	v_sub_nc_u32_e32 v23, v23, v24
	v_subrev_nc_u32_e32 v24, s15, v23
	v_cmp_le_u32_e64 s5, s15, v23
	s_wait_alu 0xf1ff
	s_delay_alu instid0(VALU_DEP_1) | instskip(NEXT) | instid1(VALU_DEP_1)
	v_cndmask_b32_e64 v23, v23, v24, s5
	v_subrev_nc_u32_e32 v24, s15, v23
	v_cmp_le_u32_e64 s5, s15, v23
	s_wait_alu 0xf1ff
	s_delay_alu instid0(VALU_DEP_1) | instskip(NEXT) | instid1(VALU_DEP_1)
	v_cndmask_b32_e64 v23, v23, v24, s5
	v_xor_b32_e32 v23, v23, v22
	s_delay_alu instid0(VALU_DEP_1) | instskip(NEXT) | instid1(VALU_DEP_1)
	v_sub_nc_u32_e32 v22, v23, v22
	v_cmp_ne_u32_e64 s5, 0, v22
	s_and_b32 s5, s5, s6
	s_wait_alu 0xfffe
	s_and_saveexec_b32 s6, s5
	s_wait_alu 0xfffe
	s_xor_b32 s5, exec_lo, s6
	s_cbranch_execz .LBB0_17
; %bb.14:                               ;   in Loop: Header=BB0_13 Depth=1
	s_and_saveexec_b32 s6, s4
; %bb.15:                               ;   in Loop: Header=BB0_13 Depth=1
	ds_store_b32 v13, v14
; %bb.16:                               ;   in Loop: Header=BB0_13 Depth=1
	s_wait_alu 0xfffe
	s_or_b32 exec_lo, exec_lo, s6
.LBB0_17:                               ;   in Loop: Header=BB0_13 Depth=1
	s_wait_alu 0xfffe
	s_and_not1_saveexec_b32 s6, s5
	s_cbranch_execz .LBB0_12
; %bb.18:                               ;   in Loop: Header=BB0_13 Depth=1
	global_load_b32 v21, v[1:2], off
	s_wait_loadcnt 0x0
	v_mad_co_i64_i32 v[21:22], null, v21, s28, 0
	s_delay_alu instid0(VALU_DEP_1) | instskip(NEXT) | instid1(VALU_DEP_1)
	v_lshlrev_b64_e32 v[21:22], 2, v[21:22]
	v_add_co_u32 v21, s5, v9, v21
	s_wait_alu 0xf1ff
	s_delay_alu instid0(VALU_DEP_2)
	v_add_co_ci_u32_e64 v22, null, v10, v22, s5
	v_cmp_gt_i32_e64 s5, 32, v18
	s_clause 0x7
	global_load_b32 v29, v[21:22], off offset:128
	global_load_b32 v30, v[21:22], off
	global_load_b32 v31, v[21:22], off offset:256
	global_load_b32 v32, v[21:22], off offset:384
	;; [unrolled: 1-line block ×6, first 2 shown]
	ds_load_b128 v[21:24], v8
	ds_load_b128 v[25:28], v8 offset:16
	s_wait_loadcnt_dscnt 0x701
	v_mul_f32_e32 v22, v22, v29
	s_wait_loadcnt 0x6
	s_delay_alu instid0(VALU_DEP_1) | instskip(SKIP_4) | instid1(VALU_DEP_2)
	v_fmac_f32_e32 v22, v21, v30
	s_wait_alu 0xf1ff
	v_cndmask_b32_e64 v21, v5, v18, s5
	v_cmp_gt_i32_e64 s5, 32, v19
	s_wait_loadcnt 0x5
	v_dual_fmac_f32 v22, v23, v31 :: v_dual_lshlrev_b32 v21, 2, v21
	s_wait_alu 0xf1ff
	s_delay_alu instid0(VALU_DEP_2) | instskip(SKIP_1) | instid1(VALU_DEP_1)
	v_cndmask_b32_e64 v23, v5, v19, s5
	s_wait_loadcnt 0x4
	v_dual_fmac_f32 v22, v24, v32 :: v_dual_lshlrev_b32 v23, 2, v23
	s_wait_loadcnt_dscnt 0x300
	s_delay_alu instid0(VALU_DEP_1) | instskip(SKIP_1) | instid1(VALU_DEP_1)
	v_fmac_f32_e32 v22, v25, v33
	s_wait_loadcnt 0x2
	v_fmac_f32_e32 v22, v26, v34
	s_wait_loadcnt 0x1
	s_delay_alu instid0(VALU_DEP_1) | instskip(SKIP_1) | instid1(VALU_DEP_1)
	v_fmac_f32_e32 v22, v27, v35
	s_wait_loadcnt 0x0
	v_fmac_f32_e32 v22, v28, v36
	ds_bpermute_b32 v21, v21, v22
	s_wait_dscnt 0x0
	v_add_f32_e32 v21, v22, v21
	ds_bpermute_b32 v22, v23, v21
	s_and_saveexec_b32 s39, s4
	s_cbranch_execz .LBB0_11
; %bb.19:                               ;   in Loop: Header=BB0_13 Depth=1
	s_wait_dscnt 0x0
	v_add_f32_e32 v21, v21, v22
	v_add_nc_u32_e32 v23, v12, v11
	s_delay_alu instid0(VALU_DEP_1) | instskip(NEXT) | instid1(VALU_DEP_1)
	v_cvt_f32_i32_e32 v23, v23
	v_mul_f32_e32 v23, s14, v23
	s_delay_alu instid0(VALU_DEP_1) | instskip(NEXT) | instid1(VALU_DEP_1)
	v_cndmask_b32_e32 v22, 0, v23, vcc_lo
	v_dual_max_num_f32 v23, v7, v7 :: v_dual_fmac_f32 v22, s7, v21
	v_add_nc_u32_e32 v21, v6, v11
	s_delay_alu instid0(VALU_DEP_2) | instskip(NEXT) | instid1(VALU_DEP_2)
	v_max_num_f32_e32 v23, v23, v22
	v_cmp_gt_i32_e64 s5, s31, v21
	s_wait_alu 0xf1ff
	s_delay_alu instid0(VALU_DEP_1) | instskip(NEXT) | instid1(VALU_DEP_3)
	v_cndmask_b32_e64 v21, 0, v22, s5
	v_cndmask_b32_e64 v7, v7, v23, s5
	ds_store_b32 v13, v21
	s_branch .LBB0_11
.LBB0_20:
	s_or_b32 exec_lo, exec_lo, s19
.LBB0_21:
	s_wait_alu 0xfffe
	s_or_b32 exec_lo, exec_lo, s12
	v_xor_b32_e32 v1, 16, v5
	v_xor_b32_e32 v6, 8, v5
	;; [unrolled: 1-line block ×3, first 2 shown]
	s_clause 0x2
	s_load_b128 s[12:15], s[0:1], 0x0
	s_load_b64 s[6:7], s[0:1], 0x10
	s_load_b64 s[28:29], s[0:1], 0x28
	v_and_b32_e32 v18, 31, v0
	v_cmp_gt_i32_e32 vcc_lo, 32, v1
	s_wait_alu 0xfffd
	v_cndmask_b32_e32 v1, v5, v1, vcc_lo
	v_cmp_gt_i32_e32 vcc_lo, 32, v6
	s_wait_alu 0xfffd
	v_cndmask_b32_e32 v6, v5, v6, vcc_lo
	v_cmp_gt_i32_e32 vcc_lo, 32, v8
	s_delay_alu instid0(VALU_DEP_2)
	v_lshlrev_b32_e32 v6, 2, v6
	v_lshlrev_b32_e32 v2, 2, v1
	s_wait_alu 0xfffd
	v_cndmask_b32_e32 v8, v5, v8, vcc_lo
	v_cmp_eq_u32_e32 vcc_lo, 0, v18
	ds_bpermute_b32 v1, v2, v7
	v_max_num_f32_e32 v7, v7, v7
	v_lshlrev_b32_e32 v9, 2, v8
	s_wait_dscnt 0x0
	v_max_num_f32_e32 v1, v1, v1
	s_delay_alu instid0(VALU_DEP_1) | instskip(SKIP_3) | instid1(VALU_DEP_1)
	v_max_num_f32_e32 v1, v7, v1
	ds_bpermute_b32 v7, v6, v1
	s_wait_dscnt 0x0
	v_max_num_f32_e32 v7, v7, v7
	v_max_num_f32_e32 v1, v1, v7
	v_lshlrev_b32_e32 v7, 2, v15
	ds_bpermute_b32 v8, v9, v1
	s_and_saveexec_b32 s0, vcc_lo
	s_cbranch_execz .LBB0_23
; %bb.22:
	s_wait_dscnt 0x0
	v_dual_max_num_f32 v8, v8, v8 :: v_dual_max_num_f32 v1, v1, v1
	s_delay_alu instid0(VALU_DEP_1)
	v_max_num_f32_e32 v1, v1, v8
	ds_store_b32 v7, v1 offset:128
.LBB0_23:
	s_or_b32 exec_lo, exec_lo, s0
	v_cmp_gt_u32_e64 s0, 4, v18
	s_wait_dscnt 0x0
	v_dual_mov_b32 v1, 0xff7fffff :: v_dual_lshlrev_b32 v8, 2, v18
	s_wait_loadcnt 0x0
	s_barrier_signal -1
	s_barrier_wait -1
	global_inv scope:SCOPE_SE
	s_and_saveexec_b32 s1, s0
; %bb.24:
	ds_load_b32 v1, v8 offset:128
; %bb.25:
	s_or_b32 exec_lo, exec_lo, s1
	v_xor_b32_e32 v10, 2, v5
	v_xor_b32_e32 v12, 1, v5
	s_delay_alu instid0(VALU_DEP_2) | instskip(NEXT) | instid1(VALU_DEP_1)
	v_cmp_gt_i32_e64 s1, 32, v10
	v_cndmask_b32_e64 v10, v5, v10, s1
	s_delay_alu instid0(VALU_DEP_3) | instskip(NEXT) | instid1(VALU_DEP_2)
	v_cmp_gt_i32_e64 s1, 32, v12
	v_lshlrev_b32_e32 v10, 2, v10
	s_wait_alu 0xf1ff
	s_delay_alu instid0(VALU_DEP_2)
	v_cndmask_b32_e64 v5, v5, v12, s1
	s_sub_co_i32 s1, s23, s38
	s_wait_alu 0xfffe
	s_lshl_b32 s1, s1, 3
	s_wait_dscnt 0x0
	ds_bpermute_b32 v11, v10, v1
	v_max_num_f32_e32 v1, v1, v1
	v_lshlrev_b32_e32 v19, 2, v5
	s_wait_alu 0xfffe
	s_add_co_i32 s1, s1, s35
	s_wait_alu 0xfffe
	s_min_i32 s1, s1, s31
	s_wait_alu 0xfffe
	s_sub_co_i32 s5, s1, s35
	s_wait_alu 0xfffe
	v_cmp_gt_i32_e64 s1, s5, v0
	s_wait_dscnt 0x0
	v_max_num_f32_e32 v11, v11, v11
	s_delay_alu instid0(VALU_DEP_1) | instskip(SKIP_4) | instid1(VALU_DEP_1)
	v_max_num_f32_e32 v1, v1, v11
	v_mov_b32_e32 v11, 0
	ds_bpermute_b32 v5, v19, v1
	s_wait_dscnt 0x0
	v_max_num_f32_e32 v5, v5, v5
	v_max_num_f32_e32 v1, v1, v5
	v_lshl_add_u32 v5, v0, 2, 0xa0
	ds_bpermute_b32 v1, v11, v1
	s_and_saveexec_b32 s19, s1
	s_cbranch_execz .LBB0_29
; %bb.26:
	v_lshl_add_u32 v12, v0, 2, 0xa0
	v_mov_b32_e32 v11, 0
	v_mov_b32_e32 v13, v0
	s_mov_b32 s35, 0
.LBB0_27:                               ; =>This Inner Loop Header: Depth=1
	ds_load_b32 v14, v12
	v_add_nc_u32_e32 v13, 0x80, v13
	s_delay_alu instid0(VALU_DEP_1) | instskip(SKIP_4) | instid1(VALU_DEP_1)
	v_cmp_le_i32_e64 s4, s5, v13
	s_wait_alu 0xfffe
	s_or_b32 s35, s4, s35
	s_wait_dscnt 0x0
	v_sub_f32_e32 v14, v14, v1
	v_mul_f32_e32 v14, 0x3fb8aa3b, v14
	s_delay_alu instid0(VALU_DEP_1)
	v_exp_f32_e32 v14, v14
	ds_store_b32 v12, v14
	v_dual_add_f32 v11, v11, v14 :: v_dual_add_nc_u32 v12, 0x200, v12
	s_wait_alu 0xfffe
	s_and_not1_b32 exec_lo, exec_lo, s35
	s_cbranch_execnz .LBB0_27
; %bb.28:
	s_or_b32 exec_lo, exec_lo, s35
.LBB0_29:
	s_delay_alu instid0(SALU_CYCLE_1)
	s_or_b32 exec_lo, exec_lo, s19
	ds_bpermute_b32 v2, v2, v11
	s_wait_dscnt 0x0
	v_add_f32_e32 v2, v11, v2
	ds_bpermute_b32 v6, v6, v2
	s_wait_dscnt 0x0
	v_add_f32_e32 v2, v2, v6
	;; [unrolled: 3-line block ×5, first 2 shown]
	s_and_saveexec_b32 s4, vcc_lo
; %bb.30:
	ds_store_b32 v7, v2 offset:144
; %bb.31:
	s_wait_alu 0xfffe
	s_or_b32 exec_lo, exec_lo, s4
	s_wait_loadcnt_dscnt 0x0
	s_barrier_signal -1
	s_barrier_wait -1
	global_inv scope:SCOPE_SE
	s_and_saveexec_b32 s4, s0
; %bb.32:
	ds_load_b32 v2, v8 offset:144
; %bb.33:
	s_wait_alu 0xfffe
	s_or_b32 exec_lo, exec_lo, s4
	s_wait_dscnt 0x0
	ds_bpermute_b32 v6, v10, v2
	s_wait_dscnt 0x0
	v_add_f32_e32 v2, v2, v6
	ds_bpermute_b32 v6, v19, v2
	s_wait_dscnt 0x0
	v_add_f32_e32 v2, v2, v6
	v_mov_b32_e32 v6, 0
	ds_bpermute_b32 v2, v6, v2
	s_and_saveexec_b32 s0, s1
	s_cbranch_execz .LBB0_36
; %bb.34:
	s_wait_dscnt 0x0
	v_add_f32_e32 v6, 0x358637bd, v2
	s_mov_b32 s1, 0
	s_delay_alu instid0(VALU_DEP_1) | instskip(SKIP_1) | instid1(VALU_DEP_2)
	v_div_scale_f32 v7, null, v6, v6, 1.0
	v_div_scale_f32 v10, vcc_lo, 1.0, v6, 1.0
	v_rcp_f32_e32 v8, v7
	s_delay_alu instid0(TRANS32_DEP_1) | instskip(NEXT) | instid1(VALU_DEP_1)
	v_fma_f32 v9, -v7, v8, 1.0
	v_fmac_f32_e32 v8, v9, v8
	s_delay_alu instid0(VALU_DEP_1) | instskip(NEXT) | instid1(VALU_DEP_1)
	v_mul_f32_e32 v9, v10, v8
	v_fma_f32 v11, -v7, v9, v10
	s_delay_alu instid0(VALU_DEP_1) | instskip(NEXT) | instid1(VALU_DEP_1)
	v_fmac_f32_e32 v9, v11, v8
	v_fma_f32 v7, -v7, v9, v10
	s_wait_alu 0xfffd
	s_delay_alu instid0(VALU_DEP_1) | instskip(NEXT) | instid1(VALU_DEP_1)
	v_div_fmas_f32 v7, v7, v8, v9
	v_div_fixup_f32 v6, v7, v6, 1.0
	v_mov_b32_e32 v7, v0
.LBB0_35:                               ; =>This Inner Loop Header: Depth=1
	ds_load_b32 v8, v5
	s_wait_dscnt 0x0
	v_dual_mul_f32 v8, v6, v8 :: v_dual_add_nc_u32 v7, 0x80, v7
	s_delay_alu instid0(VALU_DEP_1)
	v_cmp_le_i32_e32 vcc_lo, s5, v7
	ds_store_b32 v5, v8
	v_add_nc_u32_e32 v5, 0x200, v5
	s_wait_alu 0xfffe
	s_or_b32 s1, vcc_lo, s1
	s_wait_alu 0xfffe
	s_and_not1_b32 exec_lo, exec_lo, s1
	s_cbranch_execnz .LBB0_35
.LBB0_36:
	s_wait_alu 0xfffe
	s_or_b32 exec_lo, exec_lo, s0
	s_mul_i32 s0, s8, s33
	s_wait_loadcnt_dscnt 0x0
	s_wait_alu 0xfffe
	s_mul_i32 s4, s0, s34
	s_mov_b32 s0, exec_lo
	s_barrier_signal -1
	s_barrier_wait -1
	global_inv scope:SCOPE_SE
	v_cmpx_eq_u32_e32 0, v0
	s_cbranch_execz .LBB0_38
; %bb.37:
	s_wait_alu 0xfffe
	s_ashr_i32 s5, s4, 31
	s_mul_i32 s34, s8, ttmp9
	s_lshl_b32 s1, s30, 2
	s_wait_alu 0xfffe
	s_lshl_b64 s[38:39], s[4:5], 2
	s_ashr_i32 s35, s34, 31
	v_mov_b32_e32 v5, s1
	s_wait_kmcnt 0x0
	s_wait_alu 0xfffe
	s_add_nc_u64 s[14:15], s[14:15], s[38:39]
	s_lshl_b64 s[34:35], s[34:35], 2
	s_add_nc_u64 s[12:13], s[12:13], s[38:39]
	s_wait_alu 0xfffe
	s_add_nc_u64 s[14:15], s[14:15], s[34:35]
	s_add_nc_u64 s[12:13], s[12:13], s[34:35]
	s_clause 0x1
	global_store_b32 v5, v1, s[14:15]
	global_store_b32 v5, v2, s[12:13]
.LBB0_38:
	s_wait_alu 0xfffe
	s_or_b32 exec_lo, exec_lo, s0
	v_dual_mov_b32 v23, 0 :: v_dual_and_b32 v20, 1, v0
	v_mov_b32_e32 v21, 0
	s_and_saveexec_b32 s1, s3
	s_cbranch_execz .LBB0_48
; %bb.39:
	s_abs_i32 s3, s10
	v_dual_mov_b32 v23, 0 :: v_dual_lshlrev_b32 v2, 4, v0
	s_wait_alu 0xfffe
	s_cvt_f32_u32 s0, s3
	v_dual_mov_b32 v21, 0 :: v_dual_and_b32 v22, 4, v3
	v_lshlrev_b32_e32 v3, 4, v20
	s_wait_alu 0xfffe
	v_rcp_iflag_f32_e32 v1, s0
	s_ashr_i32 s19, s18, 31
	s_wait_kmcnt 0x0
	s_lshl_b64 s[12:13], s[26:27], 2
	s_lshl_b64 s[14:15], s[18:19], 2
	s_wait_alu 0xfffe
	s_add_nc_u64 s[12:13], s[24:25], s[12:13]
	s_add_nc_u64 s[14:15], s[28:29], s[14:15]
	s_wait_alu 0xfffe
	v_add_co_u32 v13, s12, s12, v4
	s_sub_co_i32 s10, 0, s3
	v_add_co_ci_u32_e64 v14, null, s13, 0, s12
	v_readfirstlane_b32 s0, v1
	v_and_b32_e32 v1, 0x1f0, v2
	v_lshl_or_b32 v2, v15, 5, v3
	s_sub_co_i32 s5, s37, s9
	s_mov_b32 s9, s17
	s_mul_f32 s0, s0, 0x4f7ffffe
	v_add_co_u32 v24, s12, s14, v1
	s_wait_alu 0xf1ff
	v_add_co_ci_u32_e64 v25, null, s15, 0, s12
	s_wait_alu 0xfffe
	s_cvt_u32_f32 s0, s0
	v_add_nc_u32_e32 v26, 0xa0, v2
	s_add_co_i32 s36, s36, -1
	s_wait_alu 0xfffe
	s_mul_i32 s10, s10, s0
	s_wait_alu 0xfffe
	s_mul_hi_u32 s12, s0, s10
	s_mov_b32 s10, 0
	s_wait_alu 0xfffe
	s_add_co_i32 s12, s0, s12
	s_branch .LBB0_42
.LBB0_40:                               ;   in Loop: Header=BB0_42 Depth=1
	s_wait_alu 0xfffe
	s_or_b32 exec_lo, exec_lo, s0
	s_wait_loadcnt_dscnt 0x100
	v_mul_f32_e32 v5, v1, v5
	s_wait_loadcnt 0x0
	v_mul_f32_e32 v1, v1, v9
	s_delay_alu instid0(VALU_DEP_2) | instskip(NEXT) | instid1(VALU_DEP_2)
	v_fmac_f32_e32 v5, v2, v6
	v_fmac_f32_e32 v1, v2, v10
	s_delay_alu instid0(VALU_DEP_2) | instskip(NEXT) | instid1(VALU_DEP_2)
	v_fmac_f32_e32 v5, v3, v7
	v_fmac_f32_e32 v1, v3, v11
	s_delay_alu instid0(VALU_DEP_2) | instskip(NEXT) | instid1(VALU_DEP_2)
	v_fmac_f32_e32 v5, v4, v8
	v_fmac_f32_e32 v1, v4, v12
	s_delay_alu instid0(VALU_DEP_2) | instskip(NEXT) | instid1(VALU_DEP_2)
	v_add_f32_e32 v23, v23, v5
	v_add_f32_e32 v21, v21, v1
.LBB0_41:                               ;   in Loop: Header=BB0_42 Depth=1
	s_wait_alu 0xfffe
	s_or_b32 exec_lo, exec_lo, s13
	v_add_nc_u32_e32 v17, 4, v17
	v_add_co_u32 v13, s0, v13, 16
	s_wait_alu 0xf1ff
	v_add_co_ci_u32_e64 v14, null, 0, v14, s0
	s_delay_alu instid0(VALU_DEP_3)
	v_cmp_le_i32_e32 vcc_lo, s23, v17
	v_add_nc_u32_e32 v16, 32, v16
	v_add_nc_u32_e32 v26, 0x80, v26
	s_or_b32 s10, vcc_lo, s10
	s_wait_alu 0xfffe
	s_and_not1_b32 exec_lo, exec_lo, s10
	s_cbranch_execz .LBB0_47
.LBB0_42:                               ; =>This Inner Loop Header: Depth=1
	v_sub_nc_u32_e32 v1, 0, v16
	s_delay_alu instid0(VALU_DEP_1) | instskip(NEXT) | instid1(VALU_DEP_1)
	v_max_i32_e32 v1, v16, v1
	v_mul_hi_u32 v2, v1, s22
	s_delay_alu instid0(VALU_DEP_1) | instskip(NEXT) | instid1(VALU_DEP_1)
	v_mul_lo_u32 v3, v2, s16
	v_sub_nc_u32_e32 v1, v1, v3
	v_add_nc_u32_e32 v3, 1, v2
	s_delay_alu instid0(VALU_DEP_2) | instskip(SKIP_2) | instid1(VALU_DEP_2)
	v_subrev_nc_u32_e32 v4, s16, v1
	v_cmp_le_u32_e32 vcc_lo, s16, v1
	s_wait_alu 0xfffd
	v_dual_cndmask_b32 v2, v2, v3 :: v_dual_cndmask_b32 v1, v1, v4
	v_ashrrev_i32_e32 v3, 31, v16
	s_delay_alu instid0(VALU_DEP_2) | instskip(NEXT) | instid1(VALU_DEP_3)
	v_add_nc_u32_e32 v4, 1, v2
	v_cmp_le_u32_e32 vcc_lo, s16, v1
	s_delay_alu instid0(VALU_DEP_3) | instskip(SKIP_1) | instid1(VALU_DEP_3)
	v_xor_b32_e32 v3, s11, v3
	s_wait_alu 0xfffd
	v_cndmask_b32_e32 v1, v2, v4, vcc_lo
	s_delay_alu instid0(VALU_DEP_1) | instskip(NEXT) | instid1(VALU_DEP_1)
	v_xor_b32_e32 v1, v1, v3
	v_sub_nc_u32_e32 v1, v1, v3
	s_delay_alu instid0(VALU_DEP_1) | instskip(SKIP_1) | instid1(VALU_DEP_2)
	v_add_nc_u32_e32 v2, s21, v1
	v_cmp_lt_i32_e64 s0, s5, v1
	v_sub_nc_u32_e32 v3, 0, v2
	s_delay_alu instid0(VALU_DEP_1) | instskip(SKIP_1) | instid1(VALU_DEP_1)
	v_max_i32_e32 v3, v2, v3
	s_wait_alu 0xfffe
	v_mul_hi_u32 v4, v3, s12
	s_delay_alu instid0(VALU_DEP_1) | instskip(NEXT) | instid1(VALU_DEP_1)
	v_mul_lo_u32 v4, v4, s3
	v_sub_nc_u32_e32 v3, v3, v4
	s_delay_alu instid0(VALU_DEP_1) | instskip(SKIP_2) | instid1(VALU_DEP_2)
	v_subrev_nc_u32_e32 v4, s3, v3
	v_cmp_le_u32_e32 vcc_lo, s3, v3
	s_wait_alu 0xfffd
	v_cndmask_b32_e32 v3, v3, v4, vcc_lo
	v_ashrrev_i32_e32 v2, 31, v2
	s_delay_alu instid0(VALU_DEP_2) | instskip(SKIP_2) | instid1(VALU_DEP_2)
	v_subrev_nc_u32_e32 v4, s3, v3
	v_cmp_le_u32_e32 vcc_lo, s3, v3
	s_wait_alu 0xfffd
	v_cndmask_b32_e32 v3, v3, v4, vcc_lo
	s_delay_alu instid0(VALU_DEP_1) | instskip(NEXT) | instid1(VALU_DEP_1)
	v_xor_b32_e32 v3, v3, v2
	v_sub_nc_u32_e32 v2, v3, v2
	s_delay_alu instid0(VALU_DEP_1)
	v_cmp_eq_u32_e32 vcc_lo, 0, v2
	s_or_b32 s0, vcc_lo, s0
	s_wait_alu 0xfffe
	s_and_saveexec_b32 s13, s0
	s_cbranch_execz .LBB0_41
; %bb.43:                               ;   in Loop: Header=BB0_42 Depth=1
	global_load_b32 v1, v[13:14], off
	v_add_nc_u32_e32 v27, v22, v16
	s_delay_alu instid0(VALU_DEP_1) | instskip(SKIP_4) | instid1(VALU_DEP_1)
	v_add_nc_u32_e32 v30, 1, v27
	v_add_nc_u32_e32 v29, 2, v27
	;; [unrolled: 1-line block ×3, first 2 shown]
	s_wait_loadcnt 0x0
	v_mad_co_i64_i32 v[1:2], null, v1, s9, 0
	v_lshlrev_b64_e32 v[1:2], 2, v[1:2]
	s_delay_alu instid0(VALU_DEP_1) | instskip(SKIP_1) | instid1(VALU_DEP_2)
	v_add_co_u32 v9, vcc_lo, v24, v1
	s_wait_alu 0xfffd
	v_add_co_ci_u32_e64 v10, null, v25, v2, vcc_lo
	ds_load_b128 v[1:4], v26
	v_cmp_eq_u32_e32 vcc_lo, s36, v17
	global_load_b128 v[5:8], v[9:10], off
	s_and_saveexec_b32 s14, vcc_lo
	s_cbranch_execz .LBB0_45
; %bb.44:                               ;   in Loop: Header=BB0_42 Depth=1
	v_cmp_gt_i32_e64 s0, s31, v27
	s_wait_loadcnt 0x0
	s_wait_alu 0xf1ff
	s_delay_alu instid0(VALU_DEP_1) | instskip(SKIP_2) | instid1(VALU_DEP_1)
	v_cndmask_b32_e64 v5, 0, v5, s0
	v_cmp_gt_i32_e64 s0, s31, v30
	s_wait_alu 0xf1ff
	v_cndmask_b32_e64 v6, 0, v6, s0
	v_cmp_gt_i32_e64 s0, s31, v29
	s_wait_alu 0xf1ff
	s_delay_alu instid0(VALU_DEP_1) | instskip(SKIP_2) | instid1(VALU_DEP_1)
	v_cndmask_b32_e64 v7, 0, v7, s0
	v_cmp_gt_i32_e64 s0, s31, v28
	s_wait_alu 0xf1ff
	v_cndmask_b32_e64 v8, 0, v8, s0
.LBB0_45:                               ;   in Loop: Header=BB0_42 Depth=1
	s_wait_alu 0xfffe
	s_or_b32 exec_lo, exec_lo, s14
	global_load_b128 v[9:12], v[9:10], off offset:512
	s_and_saveexec_b32 s0, vcc_lo
	s_cbranch_execz .LBB0_40
; %bb.46:                               ;   in Loop: Header=BB0_42 Depth=1
	v_cmp_gt_i32_e32 vcc_lo, s31, v27
	s_wait_loadcnt 0x0
	s_wait_alu 0xfffd
	v_cndmask_b32_e32 v9, 0, v9, vcc_lo
	v_cmp_gt_i32_e32 vcc_lo, s31, v30
	s_wait_alu 0xfffd
	v_cndmask_b32_e32 v10, 0, v10, vcc_lo
	v_cmp_gt_i32_e32 vcc_lo, s31, v29
	;; [unrolled: 3-line block ×3, first 2 shown]
	s_wait_alu 0xfffd
	v_cndmask_b32_e32 v12, 0, v12, vcc_lo
	s_branch .LBB0_40
.LBB0_47:
	s_or_b32 exec_lo, exec_lo, s10
.LBB0_48:
	s_wait_alu 0xfffe
	s_or_b32 exec_lo, exec_lo, s1
	ds_bpermute_b32 v1, v19, v23
	ds_bpermute_b32 v2, v19, v21
	v_lshrrev_b32_e32 v3, 1, v18
	v_and_b32_e32 v5, 0x3c1, v0
	s_mov_b32 s0, exec_lo
	s_wait_storecnt 0x0
	s_wait_loadcnt_dscnt 0x0
	s_barrier_signal -1
	v_lshl_add_u32 v4, v3, 2, 0xa0
	s_barrier_wait -1
	global_inv scope:SCOPE_SE
	v_dual_add_f32 v1, v23, v1 :: v_dual_add_f32 v2, v21, v2
	v_cmpx_eq_u32_e32 64, v5
	s_cbranch_execz .LBB0_50
; %bb.49:
	v_lshl_add_u32 v5, v15, 7, v4
	s_delay_alu instid0(VALU_DEP_1)
	v_add_nc_u32_e32 v6, 0xffffff00, v5
	v_add_nc_u32_e32 v5, 0xffffff40, v5
	ds_store_b32 v6, v1
	ds_store_b32 v5, v2
.LBB0_50:
	s_wait_alu 0xfffe
	s_or_b32 exec_lo, exec_lo, s0
	v_and_b32_e32 v5, 0x3e0, v0
	v_lshlrev_b32_e32 v3, 2, v3
	s_mov_b32 s1, exec_lo
	v_cmp_eq_u32_e32 vcc_lo, 0, v20
	s_wait_loadcnt_dscnt 0x0
	v_lshlrev_b32_e32 v5, 2, v5
	s_barrier_signal -1
	s_barrier_wait -1
	global_inv scope:SCOPE_SE
	v_add3_u32 v3, 0xa0, v5, v3
	v_cmpx_gt_u32_e32 64, v0
	s_cbranch_execz .LBB0_56
; %bb.51:
	s_and_saveexec_b32 s0, vcc_lo
	s_cbranch_execz .LBB0_53
; %bb.52:
	ds_load_b32 v5, v3
	s_wait_dscnt 0x0
	v_add_f32_e32 v1, v1, v5
.LBB0_53:
	s_wait_alu 0xfffe
	s_or_b32 exec_lo, exec_lo, s0
	s_and_saveexec_b32 s0, vcc_lo
	s_cbranch_execz .LBB0_55
; %bb.54:
	ds_load_b32 v5, v3 offset:64
	s_wait_dscnt 0x0
	v_add_f32_e32 v2, v2, v5
.LBB0_55:
	s_wait_alu 0xfffe
	s_or_b32 exec_lo, exec_lo, s0
.LBB0_56:
	s_wait_alu 0xfffe
	s_or_b32 exec_lo, exec_lo, s1
	v_and_b32_e32 v5, 0x3e1, v0
	s_mov_b32 s1, exec_lo
	s_wait_loadcnt 0x0
	s_barrier_signal -1
	s_barrier_wait -1
	global_inv scope:SCOPE_SE
	v_cmpx_eq_u32_e32 32, v5
; %bb.57:
	ds_store_2addr_b32 v4, v1, v2 offset1:16
; %bb.58:
	s_wait_alu 0xfffe
	s_or_b32 exec_lo, exec_lo, s1
	s_wait_loadcnt_dscnt 0x0
	s_barrier_signal -1
	s_barrier_wait -1
	global_inv scope:SCOPE_SE
	s_and_saveexec_b32 s0, s2
	s_cbranch_execz .LBB0_64
; %bb.59:
	s_and_saveexec_b32 s1, vcc_lo
	s_cbranch_execz .LBB0_61
; %bb.60:
	ds_load_b32 v4, v3
	s_wait_dscnt 0x0
	v_add_f32_e32 v1, v1, v4
.LBB0_61:
	s_wait_alu 0xfffe
	s_or_b32 exec_lo, exec_lo, s1
	s_and_saveexec_b32 s1, vcc_lo
	s_cbranch_execz .LBB0_63
; %bb.62:
	ds_load_b32 v3, v3 offset:64
	s_wait_dscnt 0x0
	v_add_f32_e32 v2, v2, v3
.LBB0_63:
	s_wait_alu 0xfffe
	s_or_b32 exec_lo, exec_lo, s1
.LBB0_64:
	s_wait_alu 0xfffe
	s_or_b32 exec_lo, exec_lo, s0
	s_mov_b32 s1, 0
	s_wait_loadcnt 0x0
	s_barrier_signal -1
	s_barrier_wait -1
	global_inv scope:SCOPE_SE
	s_mov_b32 s0, exec_lo
	v_cmpx_eq_u32_e32 0, v5
	s_cbranch_execz .LBB0_66
; %bb.65:
	s_lshl_b32 s2, s4, 5
	s_mul_i32 s4, s8, s20
	s_wait_alu 0xfffe
	s_ashr_i32 s3, s2, 31
	s_ashr_i32 s5, s4, 31
	s_wait_alu 0xfffe
	s_lshl_b64 s[2:3], s[2:3], 2
	s_lshl_b64 s[4:5], s[4:5], 2
	s_wait_kmcnt 0x0
	s_wait_alu 0xfffe
	s_add_nc_u64 s[2:3], s[6:7], s[2:3]
	v_lshlrev_b32_e32 v0, 1, v0
	s_lshl_b32 s0, s30, 7
	s_wait_alu 0xfffe
	s_add_nc_u64 s[2:3], s[2:3], s[4:5]
	s_wait_alu 0xfffe
	s_add_nc_u64 s[0:1], s[2:3], s[0:1]
	s_clause 0x1
	global_store_b32 v0, v1, s[0:1]
	global_store_b32 v0, v2, s[0:1] offset:64
.LBB0_66:
	s_endpgm
	.section	.rodata,"a",@progbits
	.p2align	6, 0x0
	.amdhsa_kernel _ZN4vllm25paged_attention_v2_kernelIffLi32ELi8ELi128ELNS_18Fp8KVCacheDataTypeE0ELb1ELi512EEEvPfS2_PT_PKS3_PKT0_S9_ifPKiSB_iPKfiiiSD_SD_iiiii
		.amdhsa_group_segment_fixed_size 160
		.amdhsa_private_segment_fixed_size 0
		.amdhsa_kernarg_size 400
		.amdhsa_user_sgpr_count 2
		.amdhsa_user_sgpr_dispatch_ptr 0
		.amdhsa_user_sgpr_queue_ptr 0
		.amdhsa_user_sgpr_kernarg_segment_ptr 1
		.amdhsa_user_sgpr_dispatch_id 0
		.amdhsa_user_sgpr_private_segment_size 0
		.amdhsa_wavefront_size32 1
		.amdhsa_uses_dynamic_stack 0
		.amdhsa_enable_private_segment 0
		.amdhsa_system_sgpr_workgroup_id_x 1
		.amdhsa_system_sgpr_workgroup_id_y 1
		.amdhsa_system_sgpr_workgroup_id_z 1
		.amdhsa_system_sgpr_workgroup_info 0
		.amdhsa_system_vgpr_workitem_id 0
		.amdhsa_next_free_vgpr 37
		.amdhsa_next_free_sgpr 44
		.amdhsa_reserve_vcc 1
		.amdhsa_float_round_mode_32 0
		.amdhsa_float_round_mode_16_64 0
		.amdhsa_float_denorm_mode_32 3
		.amdhsa_float_denorm_mode_16_64 3
		.amdhsa_fp16_overflow 0
		.amdhsa_workgroup_processor_mode 1
		.amdhsa_memory_ordered 1
		.amdhsa_forward_progress 1
		.amdhsa_inst_pref_size 37
		.amdhsa_round_robin_scheduling 0
		.amdhsa_exception_fp_ieee_invalid_op 0
		.amdhsa_exception_fp_denorm_src 0
		.amdhsa_exception_fp_ieee_div_zero 0
		.amdhsa_exception_fp_ieee_overflow 0
		.amdhsa_exception_fp_ieee_underflow 0
		.amdhsa_exception_fp_ieee_inexact 0
		.amdhsa_exception_int_div_zero 0
	.end_amdhsa_kernel
	.section	.text._ZN4vllm25paged_attention_v2_kernelIffLi32ELi8ELi128ELNS_18Fp8KVCacheDataTypeE0ELb1ELi512EEEvPfS2_PT_PKS3_PKT0_S9_ifPKiSB_iPKfiiiSD_SD_iiiii,"axG",@progbits,_ZN4vllm25paged_attention_v2_kernelIffLi32ELi8ELi128ELNS_18Fp8KVCacheDataTypeE0ELb1ELi512EEEvPfS2_PT_PKS3_PKT0_S9_ifPKiSB_iPKfiiiSD_SD_iiiii,comdat
.Lfunc_end0:
	.size	_ZN4vllm25paged_attention_v2_kernelIffLi32ELi8ELi128ELNS_18Fp8KVCacheDataTypeE0ELb1ELi512EEEvPfS2_PT_PKS3_PKT0_S9_ifPKiSB_iPKfiiiSD_SD_iiiii, .Lfunc_end0-_ZN4vllm25paged_attention_v2_kernelIffLi32ELi8ELi128ELNS_18Fp8KVCacheDataTypeE0ELb1ELi512EEEvPfS2_PT_PKS3_PKT0_S9_ifPKiSB_iPKfiiiSD_SD_iiiii
                                        ; -- End function
	.set _ZN4vllm25paged_attention_v2_kernelIffLi32ELi8ELi128ELNS_18Fp8KVCacheDataTypeE0ELb1ELi512EEEvPfS2_PT_PKS3_PKT0_S9_ifPKiSB_iPKfiiiSD_SD_iiiii.num_vgpr, 37
	.set _ZN4vllm25paged_attention_v2_kernelIffLi32ELi8ELi128ELNS_18Fp8KVCacheDataTypeE0ELb1ELi512EEEvPfS2_PT_PKS3_PKT0_S9_ifPKiSB_iPKfiiiSD_SD_iiiii.num_agpr, 0
	.set _ZN4vllm25paged_attention_v2_kernelIffLi32ELi8ELi128ELNS_18Fp8KVCacheDataTypeE0ELb1ELi512EEEvPfS2_PT_PKS3_PKT0_S9_ifPKiSB_iPKfiiiSD_SD_iiiii.numbered_sgpr, 44
	.set _ZN4vllm25paged_attention_v2_kernelIffLi32ELi8ELi128ELNS_18Fp8KVCacheDataTypeE0ELb1ELi512EEEvPfS2_PT_PKS3_PKT0_S9_ifPKiSB_iPKfiiiSD_SD_iiiii.num_named_barrier, 0
	.set _ZN4vllm25paged_attention_v2_kernelIffLi32ELi8ELi128ELNS_18Fp8KVCacheDataTypeE0ELb1ELi512EEEvPfS2_PT_PKS3_PKT0_S9_ifPKiSB_iPKfiiiSD_SD_iiiii.private_seg_size, 0
	.set _ZN4vllm25paged_attention_v2_kernelIffLi32ELi8ELi128ELNS_18Fp8KVCacheDataTypeE0ELb1ELi512EEEvPfS2_PT_PKS3_PKT0_S9_ifPKiSB_iPKfiiiSD_SD_iiiii.uses_vcc, 1
	.set _ZN4vllm25paged_attention_v2_kernelIffLi32ELi8ELi128ELNS_18Fp8KVCacheDataTypeE0ELb1ELi512EEEvPfS2_PT_PKS3_PKT0_S9_ifPKiSB_iPKfiiiSD_SD_iiiii.uses_flat_scratch, 0
	.set _ZN4vllm25paged_attention_v2_kernelIffLi32ELi8ELi128ELNS_18Fp8KVCacheDataTypeE0ELb1ELi512EEEvPfS2_PT_PKS3_PKT0_S9_ifPKiSB_iPKfiiiSD_SD_iiiii.has_dyn_sized_stack, 0
	.set _ZN4vllm25paged_attention_v2_kernelIffLi32ELi8ELi128ELNS_18Fp8KVCacheDataTypeE0ELb1ELi512EEEvPfS2_PT_PKS3_PKT0_S9_ifPKiSB_iPKfiiiSD_SD_iiiii.has_recursion, 0
	.set _ZN4vllm25paged_attention_v2_kernelIffLi32ELi8ELi128ELNS_18Fp8KVCacheDataTypeE0ELb1ELi512EEEvPfS2_PT_PKS3_PKT0_S9_ifPKiSB_iPKfiiiSD_SD_iiiii.has_indirect_call, 0
	.section	.AMDGPU.csdata,"",@progbits
; Kernel info:
; codeLenInByte = 4672
; TotalNumSgprs: 46
; NumVgprs: 37
; ScratchSize: 0
; MemoryBound: 0
; FloatMode: 240
; IeeeMode: 1
; LDSByteSize: 160 bytes/workgroup (compile time only)
; SGPRBlocks: 0
; VGPRBlocks: 4
; NumSGPRsForWavesPerEU: 46
; NumVGPRsForWavesPerEU: 37
; Occupancy: 16
; WaveLimiterHint : 1
; COMPUTE_PGM_RSRC2:SCRATCH_EN: 0
; COMPUTE_PGM_RSRC2:USER_SGPR: 2
; COMPUTE_PGM_RSRC2:TRAP_HANDLER: 0
; COMPUTE_PGM_RSRC2:TGID_X_EN: 1
; COMPUTE_PGM_RSRC2:TGID_Y_EN: 1
; COMPUTE_PGM_RSRC2:TGID_Z_EN: 1
; COMPUTE_PGM_RSRC2:TIDIG_COMP_CNT: 0
	.section	.text._ZN4vllm32paged_attention_v2_reduce_kernelIfLi32ELi128ELi512EEEvPT_PKfS4_PKS1_PKii,"axG",@progbits,_ZN4vllm32paged_attention_v2_reduce_kernelIfLi32ELi128ELi512EEEvPT_PKfS4_PKS1_PKii,comdat
	.protected	_ZN4vllm32paged_attention_v2_reduce_kernelIfLi32ELi128ELi512EEEvPT_PKfS4_PKS1_PKii ; -- Begin function _ZN4vllm32paged_attention_v2_reduce_kernelIfLi32ELi128ELi512EEEvPT_PKfS4_PKS1_PKii
	.globl	_ZN4vllm32paged_attention_v2_reduce_kernelIfLi32ELi128ELi512EEEvPT_PKfS4_PKS1_PKii
	.p2align	8
	.type	_ZN4vllm32paged_attention_v2_reduce_kernelIfLi32ELi128ELi512EEEvPT_PKfS4_PKS1_PKii,@function
_ZN4vllm32paged_attention_v2_reduce_kernelIfLi32ELi128ELi512EEEvPT_PKfS4_PKS1_PKii: ; @_ZN4vllm32paged_attention_v2_reduce_kernelIfLi32ELi128ELi512EEEvPT_PKfS4_PKS1_PKii
; %bb.0:
	s_load_b128 s[4:7], s[0:1], 0x18
	s_mov_b32 s2, ttmp7
	s_ashr_i32 s3, ttmp7, 31
	s_add_nc_u64 s[8:9], s[0:1], 48
	s_lshl_b64 s[2:3], s[2:3], 2
	s_wait_kmcnt 0x0
	s_add_nc_u64 s[2:3], s[6:7], s[2:3]
	s_load_b32 s18, s[2:3], 0x0
	s_clause 0x2
	s_load_b64 s[6:7], s[0:1], 0x0
	s_load_b32 s14, s[0:1], 0x28
	s_load_b32 s15, s[0:1], 0x30
	s_wait_kmcnt 0x0
	s_add_co_i32 s2, s18, -1
	s_delay_alu instid0(SALU_CYCLE_1)
	s_cmp_gt_u32 s2, 0x1ff
	s_mov_b32 s2, -1
	s_cbranch_scc0 .LBB1_25
; %bb.1:
	s_add_co_i32 s2, s18, 0x1ff
	s_mul_i32 s16, s15, ttmp7
	s_ashr_i32 s3, s2, 31
	v_mov_b32_e32 v3, 0xff7fffff
	s_lshr_b32 s3, s3, 23
	s_mul_i32 s10, s16, s14
	s_add_co_i32 s2, s2, s3
	s_mul_i32 s12, s14, ttmp9
	s_ashr_i32 s17, s2, 9
	s_ashr_i32 s11, s10, 31
	v_cmp_gt_i32_e32 vcc_lo, s17, v0
	s_ashr_i32 s13, s12, 31
	s_and_saveexec_b32 s3, vcc_lo
	s_cbranch_execz .LBB1_5
; %bb.2:
	s_load_b64 s[20:21], s[0:1], 0x10
	s_load_b32 s2, s[8:9], 0xc
	s_lshl_b64 s[22:23], s[10:11], 2
	s_lshl_b64 s[24:25], s[12:13], 2
	v_lshlrev_b32_e32 v1, 2, v0
	s_add_nc_u64 s[22:23], s[22:23], s[24:25]
	v_mov_b32_e32 v3, 0xff7fffff
	s_delay_alu instid0(VALU_DEP_2) | instskip(SKIP_2) | instid1(SALU_CYCLE_1)
	v_dual_mov_b32 v5, v0 :: v_dual_add_nc_u32 v4, 32, v1
	s_wait_kmcnt 0x0
	s_add_nc_u64 s[20:21], s[20:21], s[22:23]
	v_add_co_u32 v1, s19, s20, v1
	s_delay_alu instid0(VALU_DEP_1)
	v_add_co_ci_u32_e64 v2, null, s21, 0, s19
	s_and_b32 s20, s2, 0xffff
	s_mov_b32 s19, 0
	s_wait_alu 0xfffe
	s_lshl_b32 s21, s20, 2
.LBB1_3:                                ; =>This Inner Loop Header: Depth=1
	global_load_b32 v6, v[1:2], off
	v_add_nc_u32_e32 v5, s20, v5
	v_max_num_f32_e32 v3, v3, v3
	s_wait_alu 0xfffe
	v_add_co_u32 v1, s2, v1, s21
	s_wait_alu 0xf1ff
	v_add_co_ci_u32_e64 v2, null, 0, v2, s2
	v_cmp_le_i32_e64 s2, s17, v5
	s_or_b32 s19, s2, s19
	s_wait_loadcnt 0x0
	v_max_num_f32_e32 v7, v6, v6
	ds_store_b32 v4, v6
	v_dual_max_num_f32 v3, v3, v7 :: v_dual_add_nc_u32 v4, s21, v4
	s_wait_alu 0xfffe
	s_and_not1_b32 exec_lo, exec_lo, s19
	s_cbranch_execnz .LBB1_3
; %bb.4:
	s_or_b32 exec_lo, exec_lo, s19
.LBB1_5:
	s_delay_alu instid0(SALU_CYCLE_1)
	s_or_b32 exec_lo, exec_lo, s3
	v_mbcnt_lo_u32_b32 v1, -1, 0
	s_load_b64 s[2:3], s[0:1], 0x8
	s_wait_dscnt 0x0
	s_barrier_signal -1
	s_barrier_wait -1
	v_xor_b32_e32 v2, 16, v1
	v_xor_b32_e32 v4, 8, v1
	global_inv scope:SCOPE_SE
	v_cmp_gt_i32_e64 s0, 32, v2
	s_delay_alu instid0(VALU_DEP_1) | instskip(SKIP_1) | instid1(VALU_DEP_2)
	v_cndmask_b32_e64 v2, v1, v2, s0
	v_cmp_gt_i32_e64 s0, 32, v4
	v_lshlrev_b32_e32 v5, 2, v2
	s_wait_alu 0xf1ff
	s_delay_alu instid0(VALU_DEP_2) | instskip(SKIP_4) | instid1(VALU_DEP_2)
	v_cndmask_b32_e64 v4, v1, v4, s0
	ds_bpermute_b32 v2, v5, v3
	v_lshlrev_b32_e32 v6, 2, v4
	v_xor_b32_e32 v4, 4, v1
	v_max_num_f32_e32 v3, v3, v3
	v_cmp_gt_i32_e64 s0, 32, v4
	s_wait_alu 0xf1ff
	s_delay_alu instid0(VALU_DEP_1) | instskip(NEXT) | instid1(VALU_DEP_1)
	v_cndmask_b32_e64 v4, v1, v4, s0
	v_lshlrev_b32_e32 v7, 2, v4
	v_xor_b32_e32 v4, 2, v1
	s_wait_dscnt 0x0
	v_max_num_f32_e32 v2, v2, v2
	s_delay_alu instid0(VALU_DEP_2) | instskip(NEXT) | instid1(VALU_DEP_2)
	v_cmp_gt_i32_e64 s0, 32, v4
	v_max_num_f32_e32 v2, v3, v2
	s_wait_alu 0xf1ff
	s_delay_alu instid0(VALU_DEP_2) | instskip(SKIP_3) | instid1(VALU_DEP_1)
	v_cndmask_b32_e64 v4, v1, v4, s0
	ds_bpermute_b32 v3, v6, v2
	s_wait_dscnt 0x0
	v_max_num_f32_e32 v3, v3, v3
	v_max_num_f32_e32 v2, v2, v3
	ds_bpermute_b32 v3, v7, v2
	s_wait_dscnt 0x0
	v_dual_max_num_f32 v8, v3, v3 :: v_dual_lshlrev_b32 v3, 2, v4
	s_delay_alu instid0(VALU_DEP_1) | instskip(SKIP_4) | instid1(VALU_DEP_1)
	v_max_num_f32_e32 v2, v2, v8
	v_xor_b32_e32 v8, 1, v1
	ds_bpermute_b32 v4, v3, v2
	v_cmp_gt_i32_e64 s0, 32, v8
	s_wait_alu 0xf1ff
	v_cndmask_b32_e64 v1, v1, v8, s0
	v_lshrrev_b32_e32 v8, 5, v0
	s_delay_alu instid0(VALU_DEP_1) | instskip(SKIP_2) | instid1(VALU_DEP_1)
	v_lshlrev_b32_e32 v8, 2, v8
	s_wait_dscnt 0x0
	v_max_num_f32_e32 v4, v4, v4
	v_max_num_f32_e32 v2, v2, v4
	v_lshlrev_b32_e32 v4, 2, v1
	v_and_b32_e32 v1, 31, v0
	ds_bpermute_b32 v9, v4, v2
	v_cmp_eq_u32_e64 s0, 0, v1
	s_and_saveexec_b32 s1, s0
	s_cbranch_execz .LBB1_7
; %bb.6:
	s_wait_dscnt 0x0
	v_dual_max_num_f32 v9, v9, v9 :: v_dual_max_num_f32 v2, v2, v2
	s_delay_alu instid0(VALU_DEP_1)
	v_max_num_f32_e32 v2, v2, v9
	ds_store_b32 v8, v2
.LBB1_7:
	s_wait_alu 0xfffe
	s_or_b32 exec_lo, exec_lo, s1
	v_cmp_gt_u32_e64 s1, 4, v1
	s_wait_dscnt 0x0
	v_dual_mov_b32 v2, 0xff7fffff :: v_dual_lshlrev_b32 v9, 2, v1
	s_wait_loadcnt 0x0
	s_barrier_signal -1
	s_barrier_wait -1
	global_inv scope:SCOPE_SE
	s_and_saveexec_b32 s19, s1
; %bb.8:
	ds_load_b32 v2, v9
; %bb.9:
	s_wait_alu 0xfffe
	s_or_b32 exec_lo, exec_lo, s19
	s_wait_dscnt 0x0
	ds_bpermute_b32 v1, v3, v2
	v_max_num_f32_e32 v2, v2, v2
	s_lshl_b32 s19, s17, 2
	s_wait_dscnt 0x0
	v_dual_mov_b32 v10, 0 :: v_dual_max_num_f32 v1, v1, v1
	s_delay_alu instid0(VALU_DEP_1) | instskip(SKIP_3) | instid1(VALU_DEP_1)
	v_max_num_f32_e32 v1, v2, v1
	ds_bpermute_b32 v2, v4, v1
	s_wait_dscnt 0x0
	v_max_num_f32_e32 v2, v2, v2
	v_max_num_f32_e32 v1, v1, v2
	ds_bpermute_b32 v11, v10, v1
	s_and_saveexec_b32 s20, vcc_lo
	s_cbranch_execz .LBB1_13
; %bb.10:
	s_load_b32 s21, s[8:9], 0xc
	s_lshl_b64 s[22:23], s[10:11], 2
	s_lshl_b64 s[24:25], s[12:13], 2
	v_dual_mov_b32 v13, v0 :: v_dual_lshlrev_b32 v12, 2, v0
	s_add_nc_u64 s[22:23], s[22:23], s[24:25]
	v_mov_b32_e32 v10, 0
	s_wait_kmcnt 0x0
	s_add_nc_u64 s[2:3], s[2:3], s[22:23]
	s_wait_alu 0xfffe
	v_add_co_u32 v1, s2, s2, v12
	s_wait_alu 0xf1ff
	v_add_co_ci_u32_e64 v2, null, s3, 0, s2
	v_add_nc_u32_e32 v12, 32, v12
	s_mov_b32 s3, 0
	s_and_b32 s11, s21, 0xffff
	s_delay_alu instid0(SALU_CYCLE_1)
	s_lshl_b32 s13, s11, 2
.LBB1_11:                               ; =>This Inner Loop Header: Depth=1
	global_load_b32 v14, v[1:2], off
	ds_load_b32 v15, v12
	s_wait_dscnt 0x0
	v_sub_f32_e32 v15, v15, v11
	s_delay_alu instid0(VALU_DEP_1) | instskip(NEXT) | instid1(VALU_DEP_1)
	v_mul_f32_e32 v16, 0x3fb8aa3b, v15
	v_fma_f32 v17, 0x3fb8aa3b, v15, -v16
	v_rndne_f32_e32 v18, v16
	s_delay_alu instid0(VALU_DEP_1) | instskip(SKIP_1) | instid1(VALU_DEP_4)
	v_sub_f32_e32 v16, v16, v18
	v_cmp_ngt_f32_e32 vcc_lo, 0xc2ce8ed0, v15
	v_fmac_f32_e32 v17, 0x32a5705f, v15
	v_cmp_nlt_f32_e64 s2, 0x42b17218, v15
	s_delay_alu instid0(VALU_DEP_2) | instskip(SKIP_1) | instid1(VALU_DEP_2)
	v_add_f32_e32 v16, v16, v17
	v_cvt_i32_f32_e32 v17, v18
	v_exp_f32_e32 v16, v16
	s_delay_alu instid0(TRANS32_DEP_1) | instskip(SKIP_3) | instid1(VALU_DEP_3)
	v_ldexp_f32 v16, v16, v17
	v_add_nc_u32_e32 v17, s19, v12
	v_add_nc_u32_e32 v12, s13, v12
	s_wait_alu 0xfffd
	v_cndmask_b32_e32 v16, 0, v16, vcc_lo
	v_add_co_u32 v1, vcc_lo, v1, s13
	s_wait_alu 0xfffd
	v_add_co_ci_u32_e64 v2, null, 0, v2, vcc_lo
	s_wait_alu 0xf1ff
	v_cndmask_b32_e64 v15, 0x7f800000, v16, s2
	s_wait_loadcnt 0x0
	s_delay_alu instid0(VALU_DEP_1) | instskip(NEXT) | instid1(VALU_DEP_1)
	v_dual_mul_f32 v16, v14, v15 :: v_dual_add_nc_u32 v13, s11, v13
	v_cmp_le_i32_e32 vcc_lo, s17, v13
	v_fmac_f32_e32 v10, v14, v15
	ds_store_b32 v17, v16
	s_wait_alu 0xfffe
	s_or_b32 s3, vcc_lo, s3
	s_wait_alu 0xfffe
	s_and_not1_b32 exec_lo, exec_lo, s3
	s_cbranch_execnz .LBB1_11
; %bb.12:
	s_or_b32 exec_lo, exec_lo, s3
.LBB1_13:
	s_wait_alu 0xfffe
	s_or_b32 exec_lo, exec_lo, s20
	ds_bpermute_b32 v1, v5, v10
	s_wait_loadcnt_dscnt 0x0
	s_barrier_signal -1
	s_barrier_wait -1
	global_inv scope:SCOPE_SE
	v_add_f32_e32 v1, v10, v1
	ds_bpermute_b32 v2, v6, v1
	s_wait_dscnt 0x0
	v_add_f32_e32 v1, v1, v2
	ds_bpermute_b32 v2, v7, v1
	s_wait_dscnt 0x0
	;; [unrolled: 3-line block ×4, first 2 shown]
	v_add_f32_e32 v1, v1, v2
	s_wait_kmcnt 0x0
	s_and_saveexec_b32 s2, s0
; %bb.14:
	ds_store_b32 v8, v1 offset:16
; %bb.15:
	s_wait_alu 0xfffe
	s_or_b32 exec_lo, exec_lo, s2
	s_wait_loadcnt_dscnt 0x0
	s_barrier_signal -1
	s_barrier_wait -1
	global_inv scope:SCOPE_SE
	s_and_saveexec_b32 s0, s1
; %bb.16:
	ds_load_b32 v1, v9 offset:16
; %bb.17:
	s_wait_alu 0xfffe
	s_or_b32 exec_lo, exec_lo, s0
	s_wait_dscnt 0x0
	ds_bpermute_b32 v2, v3, v1
	s_mov_b32 s0, exec_lo
	s_wait_dscnt 0x0
	v_add_f32_e32 v1, v1, v2
	ds_bpermute_b32 v2, v4, v1
	s_wait_dscnt 0x0
	v_dual_add_f32 v1, v1, v2 :: v_dual_mov_b32 v2, 0
	ds_bpermute_b32 v2, v2, v1
	v_cmpx_gt_u32_e32 32, v0
	s_cbranch_execz .LBB1_24
; %bb.18:
	s_cmp_gt_i32 s18, 0
	s_mov_b32 s1, 0
	s_cbranch_scc1 .LBB1_20
; %bb.19:
	v_dual_mov_b32 v1, 0 :: v_dual_mov_b32 v4, 0
	s_wait_alu 0xfffe
	s_and_not1_b32 vcc_lo, exec_lo, s1
	s_wait_alu 0xfffe
	s_cbranch_vccz .LBB1_21
	s_branch .LBB1_23
.LBB1_20:
	v_mov_b32_e32 v4, 0
.LBB1_21:
	s_wait_dscnt 0x0
	v_add_f32_e32 v4, 0x358637bd, v2
	s_lshl_b32 s2, s10, 5
	s_lshl_b32 s10, s12, 5
	s_wait_alu 0xfffe
	s_ashr_i32 s3, s2, 31
	s_ashr_i32 s11, s10, 31
	v_div_scale_f32 v2, null, v4, v4, 1.0
	s_wait_alu 0xfffe
	s_lshl_b64 s[2:3], s[2:3], 2
	s_lshl_b64 s[10:11], s[10:11], 2
	s_wait_alu 0xfffe
	s_add_nc_u64 s[2:3], s[2:3], s[10:11]
	v_rcp_f32_e32 v3, v2
	s_wait_alu 0xfffe
	s_add_nc_u64 s[2:3], s[4:5], s[2:3]
	s_delay_alu instid0(TRANS32_DEP_1) | instskip(NEXT) | instid1(VALU_DEP_1)
	v_fma_f32 v1, -v2, v3, 1.0
	v_fmac_f32_e32 v3, v1, v3
	v_div_scale_f32 v5, vcc_lo, 1.0, v4, 1.0
	s_delay_alu instid0(VALU_DEP_1) | instskip(NEXT) | instid1(VALU_DEP_1)
	v_mul_f32_e32 v6, v5, v3
	v_fma_f32 v1, -v2, v6, v5
	s_delay_alu instid0(VALU_DEP_1) | instskip(NEXT) | instid1(VALU_DEP_1)
	v_dual_fmac_f32 v6, v1, v3 :: v_dual_mov_b32 v1, 0
	v_fma_f32 v2, -v2, v6, v5
	v_lshlrev_b32_e32 v5, 2, v0
	s_wait_alu 0xfffd
	s_delay_alu instid0(VALU_DEP_2) | instskip(SKIP_1) | instid1(VALU_DEP_2)
	v_div_fmas_f32 v6, v2, v3, v6
	s_wait_alu 0xfffe
	v_add_co_u32 v2, s1, s2, v5
	s_wait_alu 0xf1ff
	v_add_co_ci_u32_e64 v3, null, s3, 0, s1
	v_div_fixup_f32 v5, v6, v4, 1.0
	v_mov_b32_e32 v4, v1
	s_max_i32 s1, s17, 1
	s_add_co_i32 s2, s19, 32
.LBB1_22:                               ; =>This Inner Loop Header: Depth=1
	global_load_b32 v6, v[2:3], off
	s_wait_alu 0xfffe
	v_mov_b32_e32 v7, s2
	v_add_co_u32 v2, vcc_lo, 0x80, v2
	s_wait_alu 0xfffd
	v_add_co_ci_u32_e64 v3, null, 0, v3, vcc_lo
	ds_load_b32 v7, v7
	s_add_co_i32 s1, s1, -1
	s_add_co_i32 s2, s2, 4
	s_wait_alu 0xfffe
	s_cmp_eq_u32 s1, 0
	s_wait_loadcnt_dscnt 0x0
	v_mul_f32_e32 v6, v6, v7
	s_delay_alu instid0(VALU_DEP_1)
	v_fmac_f32_e32 v4, v5, v6
	s_cbranch_scc0 .LBB1_22
.LBB1_23:
	s_lshl_b32 s2, s16, 5
	s_lshl_b32 s10, ttmp9, 5
	s_wait_alu 0xfffe
	s_ashr_i32 s3, s2, 31
	s_ashr_i32 s11, s10, 31
	s_wait_alu 0xfffe
	s_lshl_b64 s[2:3], s[2:3], 2
	s_wait_dscnt 0x0
	v_lshlrev_b64_e32 v[1:2], 2, v[0:1]
	s_lshl_b64 s[10:11], s[10:11], 2
	s_wait_alu 0xfffe
	s_add_nc_u64 s[2:3], s[6:7], s[2:3]
	s_wait_alu 0xfffe
	s_add_nc_u64 s[2:3], s[2:3], s[10:11]
	s_wait_alu 0xfffe
	v_add_co_u32 v1, vcc_lo, s2, v1
	s_wait_alu 0xfffd
	v_add_co_ci_u32_e64 v2, null, s3, v2, vcc_lo
	global_store_b32 v[1:2], v4, off
.LBB1_24:
	s_wait_alu 0xfffe
	s_or_b32 exec_lo, exec_lo, s0
	s_mov_b32 s2, 0
.LBB1_25:
	s_wait_alu 0xfffe
	s_and_b32 vcc_lo, exec_lo, s2
	s_wait_alu 0xfffe
	s_cbranch_vccz .LBB1_29
; %bb.26:
	s_mov_b32 s0, exec_lo
	v_cmpx_gt_u32_e32 32, v0
	s_cbranch_execz .LBB1_29
; %bb.27:
	s_load_b32 s10, s[8:9], 0xc
	s_mul_i32 s15, s15, ttmp7
	s_lshl_b32 s2, ttmp9, 5
	s_lshl_b32 s0, s15, 5
	s_mul_i32 s8, s14, s15
	s_wait_alu 0xfffe
	s_ashr_i32 s1, s0, 31
	s_mul_i32 s14, s14, ttmp9
	s_wait_alu 0xfffe
	s_lshl_b64 s[0:1], s[0:1], 2
	s_ashr_i32 s3, s2, 31
	s_wait_alu 0xfffe
	s_add_nc_u64 s[0:1], s[6:7], s[0:1]
	s_lshl_b32 s6, s8, 5
	s_lshl_b32 s8, s14, 5
	s_ashr_i32 s7, s6, 31
	s_lshl_b64 s[2:3], s[2:3], 2
	s_lshl_b64 s[6:7], s[6:7], 2
	s_ashr_i32 s9, s8, 31
	s_wait_dscnt 0x0
	v_dual_mov_b32 v2, 0 :: v_dual_lshlrev_b32 v1, 2, v0
	s_add_nc_u64 s[4:5], s[4:5], s[6:7]
	s_lshl_b64 s[6:7], s[8:9], 2
	s_wait_alu 0xfffe
	s_add_nc_u64 s[2:3], s[0:1], s[2:3]
	s_wait_kmcnt 0x0
	s_and_b32 s1, s10, 0xffff
	s_add_nc_u64 s[4:5], s[4:5], s[6:7]
	s_mov_b32 s6, 0
	s_wait_alu 0xfffe
	s_lshl_b32 s7, s1, 2
.LBB1_28:                               ; =>This Inner Loop Header: Depth=1
	v_add_co_u32 v3, vcc_lo, s4, v1
	s_wait_alu 0xfffd
	v_add_co_ci_u32_e64 v4, null, s5, v2, vcc_lo
	v_add_nc_u32_e32 v0, s1, v0
	global_load_b32 v5, v[3:4], off
	v_add_co_u32 v3, vcc_lo, s2, v1
	s_wait_alu 0xfffd
	v_add_co_ci_u32_e64 v4, null, s3, v2, vcc_lo
	v_cmp_lt_u32_e32 vcc_lo, 31, v0
	v_add_co_u32 v1, s0, v1, s7
	s_wait_alu 0xf1ff
	v_add_co_ci_u32_e64 v2, null, 0, v2, s0
	s_or_b32 s6, vcc_lo, s6
	s_wait_loadcnt 0x0
	global_store_b32 v[3:4], v5, off
	s_wait_alu 0xfffe
	s_and_not1_b32 exec_lo, exec_lo, s6
	s_cbranch_execnz .LBB1_28
.LBB1_29:
	s_endpgm
	.section	.rodata,"a",@progbits
	.p2align	6, 0x0
	.amdhsa_kernel _ZN4vllm32paged_attention_v2_reduce_kernelIfLi32ELi128ELi512EEEvPT_PKfS4_PKS1_PKii
		.amdhsa_group_segment_fixed_size 32
		.amdhsa_private_segment_fixed_size 0
		.amdhsa_kernarg_size 304
		.amdhsa_user_sgpr_count 2
		.amdhsa_user_sgpr_dispatch_ptr 0
		.amdhsa_user_sgpr_queue_ptr 0
		.amdhsa_user_sgpr_kernarg_segment_ptr 1
		.amdhsa_user_sgpr_dispatch_id 0
		.amdhsa_user_sgpr_private_segment_size 0
		.amdhsa_wavefront_size32 1
		.amdhsa_uses_dynamic_stack 0
		.amdhsa_enable_private_segment 0
		.amdhsa_system_sgpr_workgroup_id_x 1
		.amdhsa_system_sgpr_workgroup_id_y 1
		.amdhsa_system_sgpr_workgroup_id_z 0
		.amdhsa_system_sgpr_workgroup_info 0
		.amdhsa_system_vgpr_workitem_id 0
		.amdhsa_next_free_vgpr 19
		.amdhsa_next_free_sgpr 26
		.amdhsa_reserve_vcc 1
		.amdhsa_float_round_mode_32 0
		.amdhsa_float_round_mode_16_64 0
		.amdhsa_float_denorm_mode_32 3
		.amdhsa_float_denorm_mode_16_64 3
		.amdhsa_fp16_overflow 0
		.amdhsa_workgroup_processor_mode 1
		.amdhsa_memory_ordered 1
		.amdhsa_forward_progress 1
		.amdhsa_inst_pref_size 17
		.amdhsa_round_robin_scheduling 0
		.amdhsa_exception_fp_ieee_invalid_op 0
		.amdhsa_exception_fp_denorm_src 0
		.amdhsa_exception_fp_ieee_div_zero 0
		.amdhsa_exception_fp_ieee_overflow 0
		.amdhsa_exception_fp_ieee_underflow 0
		.amdhsa_exception_fp_ieee_inexact 0
		.amdhsa_exception_int_div_zero 0
	.end_amdhsa_kernel
	.section	.text._ZN4vllm32paged_attention_v2_reduce_kernelIfLi32ELi128ELi512EEEvPT_PKfS4_PKS1_PKii,"axG",@progbits,_ZN4vllm32paged_attention_v2_reduce_kernelIfLi32ELi128ELi512EEEvPT_PKfS4_PKS1_PKii,comdat
.Lfunc_end1:
	.size	_ZN4vllm32paged_attention_v2_reduce_kernelIfLi32ELi128ELi512EEEvPT_PKfS4_PKS1_PKii, .Lfunc_end1-_ZN4vllm32paged_attention_v2_reduce_kernelIfLi32ELi128ELi512EEEvPT_PKfS4_PKS1_PKii
                                        ; -- End function
	.set _ZN4vllm32paged_attention_v2_reduce_kernelIfLi32ELi128ELi512EEEvPT_PKfS4_PKS1_PKii.num_vgpr, 19
	.set _ZN4vllm32paged_attention_v2_reduce_kernelIfLi32ELi128ELi512EEEvPT_PKfS4_PKS1_PKii.num_agpr, 0
	.set _ZN4vllm32paged_attention_v2_reduce_kernelIfLi32ELi128ELi512EEEvPT_PKfS4_PKS1_PKii.numbered_sgpr, 26
	.set _ZN4vllm32paged_attention_v2_reduce_kernelIfLi32ELi128ELi512EEEvPT_PKfS4_PKS1_PKii.num_named_barrier, 0
	.set _ZN4vllm32paged_attention_v2_reduce_kernelIfLi32ELi128ELi512EEEvPT_PKfS4_PKS1_PKii.private_seg_size, 0
	.set _ZN4vllm32paged_attention_v2_reduce_kernelIfLi32ELi128ELi512EEEvPT_PKfS4_PKS1_PKii.uses_vcc, 1
	.set _ZN4vllm32paged_attention_v2_reduce_kernelIfLi32ELi128ELi512EEEvPT_PKfS4_PKS1_PKii.uses_flat_scratch, 0
	.set _ZN4vllm32paged_attention_v2_reduce_kernelIfLi32ELi128ELi512EEEvPT_PKfS4_PKS1_PKii.has_dyn_sized_stack, 0
	.set _ZN4vllm32paged_attention_v2_reduce_kernelIfLi32ELi128ELi512EEEvPT_PKfS4_PKS1_PKii.has_recursion, 0
	.set _ZN4vllm32paged_attention_v2_reduce_kernelIfLi32ELi128ELi512EEEvPT_PKfS4_PKS1_PKii.has_indirect_call, 0
	.section	.AMDGPU.csdata,"",@progbits
; Kernel info:
; codeLenInByte = 2132
; TotalNumSgprs: 28
; NumVgprs: 19
; ScratchSize: 0
; MemoryBound: 0
; FloatMode: 240
; IeeeMode: 1
; LDSByteSize: 32 bytes/workgroup (compile time only)
; SGPRBlocks: 0
; VGPRBlocks: 2
; NumSGPRsForWavesPerEU: 28
; NumVGPRsForWavesPerEU: 19
; Occupancy: 16
; WaveLimiterHint : 0
; COMPUTE_PGM_RSRC2:SCRATCH_EN: 0
; COMPUTE_PGM_RSRC2:USER_SGPR: 2
; COMPUTE_PGM_RSRC2:TRAP_HANDLER: 0
; COMPUTE_PGM_RSRC2:TGID_X_EN: 1
; COMPUTE_PGM_RSRC2:TGID_Y_EN: 1
; COMPUTE_PGM_RSRC2:TGID_Z_EN: 0
; COMPUTE_PGM_RSRC2:TIDIG_COMP_CNT: 0
	.section	.text._ZN4vllm25paged_attention_v2_kernelIffLi64ELi8ELi128ELNS_18Fp8KVCacheDataTypeE0ELb1ELi512EEEvPfS2_PT_PKS3_PKT0_S9_ifPKiSB_iPKfiiiSD_SD_iiiii,"axG",@progbits,_ZN4vllm25paged_attention_v2_kernelIffLi64ELi8ELi128ELNS_18Fp8KVCacheDataTypeE0ELb1ELi512EEEvPfS2_PT_PKS3_PKT0_S9_ifPKiSB_iPKfiiiSD_SD_iiiii,comdat
	.protected	_ZN4vllm25paged_attention_v2_kernelIffLi64ELi8ELi128ELNS_18Fp8KVCacheDataTypeE0ELb1ELi512EEEvPfS2_PT_PKS3_PKT0_S9_ifPKiSB_iPKfiiiSD_SD_iiiii ; -- Begin function _ZN4vllm25paged_attention_v2_kernelIffLi64ELi8ELi128ELNS_18Fp8KVCacheDataTypeE0ELb1ELi512EEEvPfS2_PT_PKS3_PKT0_S9_ifPKiSB_iPKfiiiSD_SD_iiiii
	.globl	_ZN4vllm25paged_attention_v2_kernelIffLi64ELi8ELi128ELNS_18Fp8KVCacheDataTypeE0ELb1ELi512EEEvPfS2_PT_PKS3_PKT0_S9_ifPKiSB_iPKfiiiSD_SD_iiiii
	.p2align	8
	.type	_ZN4vllm25paged_attention_v2_kernelIffLi64ELi8ELi128ELNS_18Fp8KVCacheDataTypeE0ELb1ELi512EEEvPfS2_PT_PKS3_PKT0_S9_ifPKiSB_iPKfiiiSD_SD_iiiii,@function
_ZN4vllm25paged_attention_v2_kernelIffLi64ELi8ELi128ELNS_18Fp8KVCacheDataTypeE0ELb1ELi512EEEvPfS2_PT_PKS3_PKT0_S9_ifPKiSB_iPKfiiiSD_SD_iiiii: ; @_ZN4vllm25paged_attention_v2_kernelIffLi64ELi8ELi128ELNS_18Fp8KVCacheDataTypeE0ELb1ELi512EEEvPfS2_PT_PKS3_PKT0_S9_ifPKiSB_iPKfiiiSD_SD_iiiii
; %bb.0:
	s_load_b64 s[2:3], s[0:1], 0x40
	s_and_b32 s34, ttmp7, 0xffff
	s_lshr_b32 s33, ttmp7, 16
	s_lshl_b32 s4, s34, 2
	s_lshl_b32 s36, s33, 9
	s_wait_kmcnt 0x0
	s_load_b32 s30, s[2:3], s4 offset:0x0
	s_wait_kmcnt 0x0
	s_cmp_ge_i32 s36, s30
	s_cbranch_scc1 .LBB2_72
; %bb.1:
	s_clause 0x1
	s_load_b32 s35, s[0:1], 0x90
	s_load_b64 s[6:7], s[0:1], 0x30
	s_wait_kmcnt 0x0
	s_abs_i32 s5, s35
	s_abs_i32 s2, s6
	s_delay_alu instid0(SALU_CYCLE_1) | instskip(SKIP_1) | instid1(SALU_CYCLE_2)
	s_cvt_f32_u32 s3, s2
	s_sub_co_i32 s4, 0, s2
	v_rcp_iflag_f32_e32 v1, s3
	s_delay_alu instid0(TRANS32_DEP_1) | instskip(SKIP_2) | instid1(SALU_CYCLE_2)
	v_readfirstlane_b32 s3, v1
	s_mul_f32 s3, s3, 0x4f7ffffe
	s_wait_alu 0xfffe
	s_cvt_u32_f32 s3, s3
	s_wait_alu 0xfffe
	s_delay_alu instid0(SALU_CYCLE_2) | instskip(NEXT) | instid1(SALU_CYCLE_1)
	s_mul_i32 s4, s4, s3
	s_mul_hi_u32 s4, s3, s4
	s_delay_alu instid0(SALU_CYCLE_1)
	s_add_co_i32 s3, s3, s4
	s_xor_b32 s4, s35, s6
	s_wait_alu 0xfffe
	s_mul_hi_u32 s3, s5, s3
	s_ashr_i32 s4, s4, 31
	s_wait_alu 0xfffe
	s_mul_i32 s8, s3, s2
	s_delay_alu instid0(SALU_CYCLE_1)
	s_sub_co_i32 s5, s5, s8
	s_add_co_i32 s8, s3, 1
	s_sub_co_i32 s9, s5, s2
	s_cmp_ge_u32 s5, s2
	s_cselect_b32 s3, s8, s3
	s_cselect_b32 s5, s9, s5
	s_wait_alu 0xfffe
	s_add_co_i32 s8, s3, 1
	s_cmp_ge_u32 s5, s2
	s_mov_b32 s5, 0
	s_cselect_b32 s2, s8, s3
	s_load_b64 s[8:9], s[0:1], 0x50
	s_xor_b32 s2, s2, s4
	s_mov_b32 s14, s5
	s_wait_alu 0xfffe
	s_sub_co_i32 s10, s2, s4
	s_abs_i32 s4, ttmp9
	s_abs_i32 s12, s10
	s_delay_alu instid0(SALU_CYCLE_1) | instskip(SKIP_2) | instid1(SALU_CYCLE_1)
	s_cvt_f32_u32 s2, s12
	s_sub_co_i32 s3, 0, s12
	s_wait_alu 0xfffe
	v_rcp_iflag_f32_e32 v1, s2
	s_delay_alu instid0(TRANS32_DEP_1) | instskip(SKIP_2) | instid1(SALU_CYCLE_2)
	v_readfirstlane_b32 s2, v1
	s_mul_f32 s2, s2, 0x4f7ffffe
	s_wait_alu 0xfffe
	s_cvt_u32_f32 s2, s2
	s_wait_alu 0xfffe
	s_delay_alu instid0(SALU_CYCLE_2)
	s_mul_i32 s3, s3, s2
	s_wait_alu 0xfffe
	s_mul_hi_u32 s3, s2, s3
	s_wait_alu 0xfffe
	s_add_co_i32 s2, s2, s3
	s_mov_b32 s3, s5
	s_wait_kmcnt 0x0
	s_cmp_eq_u64 s[8:9], 0
	s_cbranch_scc1 .LBB2_3
; %bb.2:
	s_mov_b32 s14, ttmp9
	s_ashr_i32 s15, ttmp9, 31
	s_delay_alu instid0(SALU_CYCLE_1) | instskip(NEXT) | instid1(SALU_CYCLE_1)
	s_lshl_b64 s[14:15], s[14:15], 2
	s_add_nc_u64 s[8:9], s[8:9], s[14:15]
	s_load_b32 s14, s[8:9], 0x0
.LBB2_3:
	s_load_b96 s[16:18], s[0:1], 0x58
	s_mul_u64 s[2:3], s[4:5], s[2:3]
	v_and_b32_e32 v1, 3, v0
	v_cmp_gt_u32_e64 s2, 64, v0
	v_lshlrev_b32_e32 v3, 2, v0
	s_ashr_i32 s5, ttmp9, 31
	s_ashr_i32 s13, s10, 31
	s_lshl_b32 s20, ttmp9, 6
	s_wait_alu 0xfffe
	s_and_saveexec_b32 s8, s2
	s_cbranch_execz .LBB2_5
; %bb.4:
	s_load_b64 s[10:11], s[0:1], 0x18
	s_wait_kmcnt 0x0
	s_mul_i32 s22, s16, s34
	s_ashr_i32 s21, s20, 31
	s_ashr_i32 s23, s22, 31
	v_and_b32_e32 v4, 0x3fc, v0
	s_lshl_b64 s[22:23], s[22:23], 2
	s_delay_alu instid0(VALU_DEP_1) | instskip(SKIP_2) | instid1(SALU_CYCLE_1)
	v_lshl_add_u32 v4, v1, 6, v4
	s_add_nc_u64 s[10:11], s[10:11], s[22:23]
	s_lshl_b64 s[22:23], s[20:21], 2
	s_add_nc_u64 s[10:11], s[10:11], s[22:23]
	global_load_b32 v2, v3, s[10:11]
	s_wait_loadcnt 0x0
	ds_store_b32 v4, v2
.LBB2_5:
	s_or_b32 exec_lo, exec_lo, s8
	s_load_b128 s[8:11], s[0:1], 0x78
	s_mul_i32 s15, s3, s12
	s_xor_b32 s5, s5, s13
	s_sub_co_i32 s4, s4, s15
	s_add_co_i32 s13, s3, 1
	s_sub_co_i32 s15, s4, s12
	s_cmp_ge_u32 s4, s12
	s_mov_b32 s24, -1
	s_cselect_b32 s3, s13, s3
	s_cselect_b32 s4, s15, s4
	s_wait_alu 0xfffe
	s_add_co_i32 s13, s3, 1
	s_cmp_ge_u32 s4, s12
                                        ; implicit-def: $sgpr21
	s_cselect_b32 s4, s13, s3
	s_load_b32 s3, s[0:1], 0x88
	s_xor_b32 s4, s4, s5
	s_add_co_i32 s19, s30, -1
	s_sub_co_i32 s15, s4, s5
	s_wait_dscnt 0x0
	s_barrier_signal -1
	s_wait_kmcnt 0x0
	s_abs_i32 s16, s11
	s_barrier_wait -1
	s_cvt_f32_u32 s12, s16
	global_inv scope:SCOPE_SE
	v_rcp_iflag_f32_e32 v2, s12
	s_delay_alu instid0(TRANS32_DEP_1) | instskip(SKIP_1) | instid1(SALU_CYCLE_3)
	v_readfirstlane_b32 s12, v2
	s_mul_f32 s4, s12, 0x4f7ffffe
	s_cvt_u32_f32 s12, s4
	s_sub_co_i32 s4, 0, s16
	s_wait_alu 0xfffe
	s_delay_alu instid0(SALU_CYCLE_1)
	s_mul_i32 s5, s4, s12
	s_abs_i32 s4, s19
	s_mul_hi_u32 s13, s12, s5
	s_mov_b32 s5, 0
	s_wait_alu 0xfffe
	s_add_co_i32 s22, s12, s13
	s_cmp_lt_i32 s3, 0
	s_mov_b32 s23, s5
	s_cbranch_scc0 .LBB2_7
; %bb.6:
	s_mul_i32 s6, s8, s6
	s_mov_b32 s24, s5
	s_add_co_i32 s6, s15, s6
	s_delay_alu instid0(SALU_CYCLE_1) | instskip(NEXT) | instid1(SALU_CYCLE_1)
	s_mul_i32 s6, s6, s3
	s_sub_co_i32 s21, 1, s6
.LBB2_7:
	s_mul_u64 s[12:13], s[4:5], s[22:23]
	s_ashr_i32 s5, s19, 31
	s_and_not1_b32 vcc_lo, exec_lo, s24
	s_ashr_i32 s23, s11, 31
	s_cbranch_vccnz .LBB2_9
; %bb.8:
	s_mul_i32 s6, s35, s8
	s_delay_alu instid0(SALU_CYCLE_1) | instskip(NEXT) | instid1(SALU_CYCLE_1)
	s_add_co_i32 s6, s6, ttmp9
	s_mul_i32 s3, s6, s3
	s_wait_alu 0xfffe
	s_add_co_i32 s21, s3, 1
.LBB2_9:
	s_clause 0x2
	s_load_b32 s3, s[0:1], 0x48
	s_load_b64 s[24:25], s[0:1], 0x38
	s_load_b32 s8, s[0:1], 0x98
	s_mul_i32 s6, s13, s16
	s_xor_b32 s5, s5, s23
	s_sub_co_i32 s4, s4, s6
	s_add_co_i32 s11, s13, 1
	v_lshrrev_b32_e32 v23, 5, v0
	v_mbcnt_lo_u32_b32 v5, -1, 0
	s_mul_i32 s18, s15, s18
	s_delay_alu instid0(VALU_DEP_2)
	v_lshl_add_u32 v24, v23, 3, s36
	s_wait_kmcnt 0x0
	s_mul_i32 s26, s3, s34
	s_sub_co_i32 s3, s4, s16
	s_ashr_i32 s27, s26, 31
	s_cmp_ge_u32 s4, s16
	s_cselect_b32 s6, s11, s13
	s_wait_alu 0xfffe
	s_cselect_b32 s3, s3, s4
	s_add_co_i32 s4, s6, 1
	s_wait_alu 0xfffe
	s_cmp_ge_u32 s3, s16
	s_cselect_b32 s3, s4, s6
	s_add_co_i32 s4, s30, 7
	s_lshl_b32 s11, s33, 6
	s_ashr_i32 s6, s4, 31
	v_or_b32_e32 v25, s11, v23
	s_lshr_b32 s6, s6, 29
	v_mov_b32_e32 v7, 0xff7fffff
	s_add_co_i32 s4, s4, s6
	s_add_co_i32 s6, s11, 64
	s_ashr_i32 s37, s4, 3
	s_wait_alu 0xfffe
	s_xor_b32 s4, s3, s5
	s_min_i32 s31, s6, s37
	v_lshlrev_b32_e32 v4, 2, v25
	v_cmp_gt_i32_e64 s3, s31, v25
	s_sub_co_i32 s38, s4, s5
	s_and_saveexec_b32 s12, s3
	s_cbranch_execz .LBB2_21
; %bb.10:
	s_ashr_i32 s19, s18, 31
	s_sub_co_i32 s13, s38, s9
	s_lshl_b64 s[28:29], s[18:19], 2
	s_cmp_neq_f32 s14, 0
	s_load_b64 s[40:41], s[0:1], 0x20
	v_bfe_u32 v6, v0, 2, 3
	v_dual_mov_b32 v14, 0xff7fffff :: v_dual_lshlrev_b32 v7, 2, v1
	s_cselect_b32 vcc_lo, -1, 0
	s_abs_i32 s15, s10
	v_lshlrev_b32_e32 v8, 6, v1
	s_cvt_f32_u32 s4, s15
	v_lshlrev_b32_e32 v9, 4, v6
	s_lshl_b64 s[42:43], s[26:27], 2
	v_subrev_nc_u32_e32 v12, s30, v6
	v_rcp_iflag_f32_e32 v2, s4
	v_cmp_eq_u32_e64 s4, 0, v1
	v_lshlrev_b32_e32 v1, 2, v6
	s_add_nc_u64 s[42:43], s[24:25], s[42:43]
	s_sub_co_i32 s6, 0, s15
	v_lshl_add_u32 v11, v23, 3, s36
	v_dual_mov_b32 v17, v25 :: v_dual_add_nc_u32 v12, 1, v12
	v_lshl_or_b32 v13, v23, 5, v1
	s_wait_kmcnt 0x0
	s_add_nc_u64 s[28:29], s[40:41], s[28:29]
	v_readfirstlane_b32 s5, v2
	v_add_co_u32 v1, s28, s28, v9
	s_wait_alu 0xf1ff
	v_add_co_ci_u32_e64 v2, null, s29, 0, s28
	s_mul_f32 s5, s5, 0x4f7ffffe
	v_add_nc_u32_e32 v13, 0x120, v13
	v_xor_b32_e32 v15, 2, v5
	v_xor_b32_e32 v16, 1, v5
	s_wait_alu 0xfffe
	s_cvt_u32_f32 s29, s5
	v_add_co_u32 v9, s5, v1, v7
	s_wait_alu 0xf1ff
	v_add_co_ci_u32_e64 v10, null, 0, v2, s5
	v_add_co_u32 v1, s5, s42, v4
	s_wait_alu 0xfffe
	s_mul_i32 s6, s6, s29
	v_add_co_ci_u32_e64 v2, null, s43, 0, s5
	v_mov_b32_e32 v7, 0xff7fffff
	s_mul_hi_u32 s5, s29, s6
	s_mov_b32 s19, 0
	s_mov_b32 s28, s17
	s_wait_alu 0xfffe
	s_add_co_i32 s29, s29, s5
	s_branch .LBB2_13
.LBB2_11:                               ;   in Loop: Header=BB2_13 Depth=1
	s_or_b32 exec_lo, exec_lo, s39
.LBB2_12:                               ;   in Loop: Header=BB2_13 Depth=1
	s_wait_alu 0xfffe
	s_or_b32 exec_lo, exec_lo, s6
	v_add_nc_u32_e32 v17, 4, v17
	v_add_co_u32 v1, s6, v1, 16
	s_wait_alu 0xf1ff
	v_add_co_ci_u32_e64 v2, null, 0, v2, s6
	s_delay_alu instid0(VALU_DEP_3) | instskip(SKIP_3) | instid1(SALU_CYCLE_1)
	v_cmp_le_i32_e64 s5, s31, v17
	v_add_nc_u32_e32 v11, 32, v11
	v_add_nc_u32_e32 v13, 0x80, v13
	s_or_b32 s19, s5, s19
	s_and_not1_b32 exec_lo, exec_lo, s19
	s_cbranch_execz .LBB2_20
.LBB2_13:                               ; =>This Inner Loop Header: Depth=1
	v_sub_nc_u32_e32 v18, 0, v11
	s_delay_alu instid0(VALU_DEP_1) | instskip(SKIP_1) | instid1(VALU_DEP_1)
	v_max_i32_e32 v18, v11, v18
	s_wait_dscnt 0x0
	v_mul_hi_u32 v19, v18, s22
	s_delay_alu instid0(VALU_DEP_1) | instskip(NEXT) | instid1(VALU_DEP_1)
	v_mul_lo_u32 v20, v19, s16
	v_sub_nc_u32_e32 v18, v18, v20
	v_add_nc_u32_e32 v20, 1, v19
	s_delay_alu instid0(VALU_DEP_2) | instskip(SKIP_2) | instid1(VALU_DEP_1)
	v_subrev_nc_u32_e32 v21, s16, v18
	v_cmp_le_u32_e64 s5, s16, v18
	s_wait_alu 0xf1ff
	v_cndmask_b32_e64 v19, v19, v20, s5
	s_delay_alu instid0(VALU_DEP_3) | instskip(SKIP_1) | instid1(VALU_DEP_3)
	v_cndmask_b32_e64 v18, v18, v21, s5
	v_ashrrev_i32_e32 v20, 31, v11
	v_add_nc_u32_e32 v21, 1, v19
	s_delay_alu instid0(VALU_DEP_3) | instskip(NEXT) | instid1(VALU_DEP_3)
	v_cmp_le_u32_e64 s5, s16, v18
	v_xor_b32_e32 v20, s23, v20
	s_wait_alu 0xf1ff
	s_delay_alu instid0(VALU_DEP_2) | instskip(NEXT) | instid1(VALU_DEP_1)
	v_cndmask_b32_e64 v18, v19, v21, s5
	v_xor_b32_e32 v18, v18, v20
	s_delay_alu instid0(VALU_DEP_1) | instskip(NEXT) | instid1(VALU_DEP_1)
	v_sub_nc_u32_e32 v18, v18, v20
	v_add_nc_u32_e32 v19, s21, v18
	v_cmp_ge_i32_e64 s6, s13, v18
	s_delay_alu instid0(VALU_DEP_2) | instskip(NEXT) | instid1(VALU_DEP_1)
	v_sub_nc_u32_e32 v20, 0, v19
	v_max_i32_e32 v20, v19, v20
	v_ashrrev_i32_e32 v19, 31, v19
	s_wait_alu 0xfffe
	s_delay_alu instid0(VALU_DEP_2) | instskip(NEXT) | instid1(VALU_DEP_1)
	v_mul_hi_u32 v21, v20, s29
	v_mul_lo_u32 v21, v21, s15
	s_delay_alu instid0(VALU_DEP_1) | instskip(NEXT) | instid1(VALU_DEP_1)
	v_sub_nc_u32_e32 v20, v20, v21
	v_subrev_nc_u32_e32 v21, s15, v20
	v_cmp_le_u32_e64 s5, s15, v20
	s_wait_alu 0xf1ff
	s_delay_alu instid0(VALU_DEP_1) | instskip(NEXT) | instid1(VALU_DEP_1)
	v_cndmask_b32_e64 v20, v20, v21, s5
	v_subrev_nc_u32_e32 v21, s15, v20
	v_cmp_le_u32_e64 s5, s15, v20
	s_wait_alu 0xf1ff
	s_delay_alu instid0(VALU_DEP_1) | instskip(NEXT) | instid1(VALU_DEP_1)
	v_cndmask_b32_e64 v20, v20, v21, s5
	v_xor_b32_e32 v20, v20, v19
	s_delay_alu instid0(VALU_DEP_1) | instskip(NEXT) | instid1(VALU_DEP_1)
	v_sub_nc_u32_e32 v19, v20, v19
	v_cmp_ne_u32_e64 s5, 0, v19
	s_and_b32 s5, s5, s6
	s_wait_alu 0xfffe
	s_and_saveexec_b32 s6, s5
	s_wait_alu 0xfffe
	s_xor_b32 s5, exec_lo, s6
	s_cbranch_execz .LBB2_17
; %bb.14:                               ;   in Loop: Header=BB2_13 Depth=1
	s_and_saveexec_b32 s6, s4
; %bb.15:                               ;   in Loop: Header=BB2_13 Depth=1
	ds_store_b32 v13, v14
; %bb.16:                               ;   in Loop: Header=BB2_13 Depth=1
	s_wait_alu 0xfffe
	s_or_b32 exec_lo, exec_lo, s6
.LBB2_17:                               ;   in Loop: Header=BB2_13 Depth=1
	s_wait_alu 0xfffe
	s_and_not1_saveexec_b32 s6, s5
	s_cbranch_execz .LBB2_12
; %bb.18:                               ;   in Loop: Header=BB2_13 Depth=1
	global_load_b32 v18, v[1:2], off
	s_wait_loadcnt 0x0
	v_mad_co_i64_i32 v[18:19], null, v18, s28, 0
	s_delay_alu instid0(VALU_DEP_1) | instskip(NEXT) | instid1(VALU_DEP_1)
	v_lshlrev_b64_e32 v[18:19], 2, v[18:19]
	v_add_co_u32 v18, s5, v9, v18
	s_wait_alu 0xf1ff
	s_delay_alu instid0(VALU_DEP_2)
	v_add_co_ci_u32_e64 v19, null, v10, v19, s5
	v_cmp_gt_i32_e64 s5, 32, v15
	s_clause 0xf
	global_load_b32 v22, v[18:19], off offset:128
	global_load_b32 v30, v[18:19], off
	global_load_b32 v31, v[18:19], off offset:256
	global_load_b32 v32, v[18:19], off offset:384
	global_load_b32 v33, v[18:19], off offset:512
	global_load_b32 v34, v[18:19], off offset:640
	global_load_b32 v35, v[18:19], off offset:768
	global_load_b32 v36, v[18:19], off offset:896
	global_load_b32 v37, v[18:19], off offset:1024
	global_load_b32 v38, v[18:19], off offset:1152
	global_load_b32 v39, v[18:19], off offset:1280
	global_load_b32 v40, v[18:19], off offset:1408
	global_load_b32 v41, v[18:19], off offset:1536
	global_load_b32 v42, v[18:19], off offset:1664
	global_load_b32 v43, v[18:19], off offset:1792
	global_load_b32 v44, v[18:19], off offset:1920
	ds_load_b128 v[18:21], v8
	ds_load_b128 v[26:29], v8 offset:16
	s_wait_loadcnt_dscnt 0xf01
	v_mul_f32_e32 v22, v19, v22
	s_wait_loadcnt 0xe
	s_delay_alu instid0(VALU_DEP_1) | instskip(SKIP_1) | instid1(VALU_DEP_1)
	v_fmac_f32_e32 v22, v18, v30
	s_wait_loadcnt 0xd
	v_fmac_f32_e32 v22, v20, v31
	s_wait_loadcnt 0xc
	s_delay_alu instid0(VALU_DEP_1) | instskip(SKIP_4) | instid1(VALU_DEP_1)
	v_fmac_f32_e32 v22, v21, v32
	ds_load_b128 v[18:21], v8 offset:32
	s_wait_loadcnt_dscnt 0xb01
	v_fmac_f32_e32 v22, v26, v33
	s_wait_loadcnt 0xa
	v_fmac_f32_e32 v22, v27, v34
	s_wait_loadcnt 0x9
	s_delay_alu instid0(VALU_DEP_1) | instskip(SKIP_1) | instid1(VALU_DEP_1)
	v_fmac_f32_e32 v22, v28, v35
	s_wait_loadcnt 0x8
	v_fmac_f32_e32 v22, v29, v36
	ds_load_b128 v[26:29], v8 offset:48
	s_wait_loadcnt_dscnt 0x701
	v_fmac_f32_e32 v22, v18, v37
	s_wait_alu 0xf1ff
	v_cndmask_b32_e64 v18, v5, v15, s5
	v_cmp_gt_i32_e64 s5, 32, v16
	s_wait_loadcnt 0x6
	v_fmac_f32_e32 v22, v19, v38
	s_delay_alu instid0(VALU_DEP_3)
	v_lshlrev_b32_e32 v18, 2, v18
	s_wait_alu 0xf1ff
	v_cndmask_b32_e64 v19, v5, v16, s5
	s_wait_loadcnt 0x5
	v_fmac_f32_e32 v22, v20, v39
	s_wait_loadcnt 0x4
	s_delay_alu instid0(VALU_DEP_1) | instskip(SKIP_1) | instid1(VALU_DEP_1)
	v_dual_fmac_f32 v22, v21, v40 :: v_dual_lshlrev_b32 v19, 2, v19
	s_wait_loadcnt_dscnt 0x300
	v_fmac_f32_e32 v22, v26, v41
	s_wait_loadcnt 0x2
	s_delay_alu instid0(VALU_DEP_1) | instskip(SKIP_1) | instid1(VALU_DEP_1)
	v_fmac_f32_e32 v22, v27, v42
	s_wait_loadcnt 0x1
	v_fmac_f32_e32 v22, v28, v43
	s_wait_loadcnt 0x0
	s_delay_alu instid0(VALU_DEP_1)
	v_fmac_f32_e32 v22, v29, v44
	ds_bpermute_b32 v18, v18, v22
	s_wait_dscnt 0x0
	v_add_f32_e32 v18, v22, v18
	ds_bpermute_b32 v19, v19, v18
	s_and_saveexec_b32 s39, s4
	s_cbranch_execz .LBB2_11
; %bb.19:                               ;   in Loop: Header=BB2_13 Depth=1
	s_wait_dscnt 0x0
	v_add_f32_e32 v18, v18, v19
	v_add_nc_u32_e32 v20, v12, v11
	s_delay_alu instid0(VALU_DEP_1) | instskip(NEXT) | instid1(VALU_DEP_1)
	v_cvt_f32_i32_e32 v20, v20
	v_mul_f32_e32 v20, s14, v20
	s_delay_alu instid0(VALU_DEP_1) | instskip(NEXT) | instid1(VALU_DEP_1)
	v_dual_cndmask_b32 v19, 0, v20 :: v_dual_max_num_f32 v20, v7, v7
	v_dual_fmac_f32 v19, s7, v18 :: v_dual_add_nc_u32 v18, v6, v11
	s_delay_alu instid0(VALU_DEP_1) | instskip(NEXT) | instid1(VALU_DEP_2)
	v_max_num_f32_e32 v20, v20, v19
	v_cmp_gt_i32_e64 s5, s30, v18
	s_wait_alu 0xf1ff
	s_delay_alu instid0(VALU_DEP_1) | instskip(NEXT) | instid1(VALU_DEP_3)
	v_cndmask_b32_e64 v18, 0, v19, s5
	v_cndmask_b32_e64 v7, v7, v20, s5
	ds_store_b32 v13, v18
	s_branch .LBB2_11
.LBB2_20:
	s_or_b32 exec_lo, exec_lo, s19
.LBB2_21:
	s_wait_alu 0xfffe
	s_or_b32 exec_lo, exec_lo, s12
	v_xor_b32_e32 v1, 16, v5
	v_xor_b32_e32 v6, 8, v5
	v_xor_b32_e32 v8, 4, v5
	s_clause 0x2
	s_load_b128 s[12:15], s[0:1], 0x0
	s_load_b64 s[6:7], s[0:1], 0x10
	s_load_b64 s[28:29], s[0:1], 0x28
	v_and_b32_e32 v26, 31, v0
	v_cmp_gt_i32_e32 vcc_lo, 32, v1
	s_wait_alu 0xfffd
	v_cndmask_b32_e32 v1, v5, v1, vcc_lo
	v_cmp_gt_i32_e32 vcc_lo, 32, v6
	s_wait_alu 0xfffd
	v_cndmask_b32_e32 v6, v5, v6, vcc_lo
	v_cmp_gt_i32_e32 vcc_lo, 32, v8
	s_delay_alu instid0(VALU_DEP_2)
	v_lshlrev_b32_e32 v6, 2, v6
	v_lshlrev_b32_e32 v2, 2, v1
	s_wait_alu 0xfffd
	v_cndmask_b32_e32 v8, v5, v8, vcc_lo
	v_cmp_eq_u32_e32 vcc_lo, 0, v26
	ds_bpermute_b32 v1, v2, v7
	v_max_num_f32_e32 v7, v7, v7
	v_lshlrev_b32_e32 v9, 2, v8
	s_wait_dscnt 0x0
	v_max_num_f32_e32 v1, v1, v1
	s_delay_alu instid0(VALU_DEP_1) | instskip(SKIP_3) | instid1(VALU_DEP_1)
	v_max_num_f32_e32 v1, v7, v1
	ds_bpermute_b32 v7, v6, v1
	s_wait_dscnt 0x0
	v_max_num_f32_e32 v7, v7, v7
	v_max_num_f32_e32 v1, v1, v7
	v_lshlrev_b32_e32 v7, 2, v23
	ds_bpermute_b32 v8, v9, v1
	s_and_saveexec_b32 s0, vcc_lo
	s_cbranch_execz .LBB2_23
; %bb.22:
	s_wait_dscnt 0x0
	v_dual_max_num_f32 v8, v8, v8 :: v_dual_max_num_f32 v1, v1, v1
	s_delay_alu instid0(VALU_DEP_1)
	v_max_num_f32_e32 v1, v1, v8
	ds_store_b32 v7, v1 offset:256
.LBB2_23:
	s_or_b32 exec_lo, exec_lo, s0
	v_cmp_gt_u32_e64 s0, 4, v26
	s_wait_dscnt 0x0
	v_dual_mov_b32 v1, 0xff7fffff :: v_dual_lshlrev_b32 v8, 2, v26
	s_wait_loadcnt 0x0
	s_barrier_signal -1
	s_barrier_wait -1
	global_inv scope:SCOPE_SE
	s_and_saveexec_b32 s1, s0
; %bb.24:
	ds_load_b32 v1, v8 offset:256
; %bb.25:
	s_or_b32 exec_lo, exec_lo, s1
	v_xor_b32_e32 v10, 2, v5
	v_xor_b32_e32 v12, 1, v5
	s_delay_alu instid0(VALU_DEP_2) | instskip(NEXT) | instid1(VALU_DEP_1)
	v_cmp_gt_i32_e64 s1, 32, v10
	v_cndmask_b32_e64 v10, v5, v10, s1
	s_delay_alu instid0(VALU_DEP_3) | instskip(NEXT) | instid1(VALU_DEP_2)
	v_cmp_gt_i32_e64 s1, 32, v12
	v_lshlrev_b32_e32 v10, 2, v10
	s_wait_alu 0xf1ff
	s_delay_alu instid0(VALU_DEP_2)
	v_cndmask_b32_e64 v5, v5, v12, s1
	s_sub_co_i32 s1, s31, s11
	s_wait_alu 0xfffe
	s_lshl_b32 s1, s1, 3
	s_wait_dscnt 0x0
	ds_bpermute_b32 v11, v10, v1
	v_max_num_f32_e32 v1, v1, v1
	v_lshlrev_b32_e32 v27, 2, v5
	s_wait_alu 0xfffe
	s_add_co_i32 s1, s1, s36
	s_wait_alu 0xfffe
	s_min_i32 s1, s1, s30
	s_wait_alu 0xfffe
	s_sub_co_i32 s5, s1, s36
	s_wait_alu 0xfffe
	v_cmp_gt_i32_e64 s1, s5, v0
	s_wait_dscnt 0x0
	v_max_num_f32_e32 v11, v11, v11
	s_delay_alu instid0(VALU_DEP_1) | instskip(SKIP_4) | instid1(VALU_DEP_1)
	v_max_num_f32_e32 v1, v1, v11
	v_mov_b32_e32 v11, 0
	ds_bpermute_b32 v5, v27, v1
	s_wait_dscnt 0x0
	v_max_num_f32_e32 v5, v5, v5
	v_max_num_f32_e32 v1, v1, v5
	v_lshl_add_u32 v5, v0, 2, 0x120
	ds_bpermute_b32 v1, v11, v1
	s_and_saveexec_b32 s19, s1
	s_cbranch_execz .LBB2_29
; %bb.26:
	v_lshl_add_u32 v12, v0, 2, 0x120
	v_mov_b32_e32 v11, 0
	v_mov_b32_e32 v13, v0
	s_mov_b32 s36, 0
.LBB2_27:                               ; =>This Inner Loop Header: Depth=1
	ds_load_b32 v14, v12
	v_add_nc_u32_e32 v13, 0x80, v13
	s_delay_alu instid0(VALU_DEP_1) | instskip(SKIP_4) | instid1(VALU_DEP_1)
	v_cmp_le_i32_e64 s4, s5, v13
	s_wait_alu 0xfffe
	s_or_b32 s36, s4, s36
	s_wait_dscnt 0x0
	v_sub_f32_e32 v14, v14, v1
	v_mul_f32_e32 v14, 0x3fb8aa3b, v14
	s_delay_alu instid0(VALU_DEP_1)
	v_exp_f32_e32 v14, v14
	ds_store_b32 v12, v14
	v_dual_add_f32 v11, v11, v14 :: v_dual_add_nc_u32 v12, 0x200, v12
	s_wait_alu 0xfffe
	s_and_not1_b32 exec_lo, exec_lo, s36
	s_cbranch_execnz .LBB2_27
; %bb.28:
	s_or_b32 exec_lo, exec_lo, s36
.LBB2_29:
	s_delay_alu instid0(SALU_CYCLE_1)
	s_or_b32 exec_lo, exec_lo, s19
	ds_bpermute_b32 v2, v2, v11
	s_wait_dscnt 0x0
	v_add_f32_e32 v2, v11, v2
	ds_bpermute_b32 v6, v6, v2
	s_wait_dscnt 0x0
	v_add_f32_e32 v2, v2, v6
	;; [unrolled: 3-line block ×5, first 2 shown]
	s_and_saveexec_b32 s4, vcc_lo
; %bb.30:
	ds_store_b32 v7, v2 offset:272
; %bb.31:
	s_wait_alu 0xfffe
	s_or_b32 exec_lo, exec_lo, s4
	s_wait_loadcnt_dscnt 0x0
	s_barrier_signal -1
	s_barrier_wait -1
	global_inv scope:SCOPE_SE
	s_and_saveexec_b32 s4, s0
; %bb.32:
	ds_load_b32 v2, v8 offset:272
; %bb.33:
	s_wait_alu 0xfffe
	s_or_b32 exec_lo, exec_lo, s4
	s_wait_dscnt 0x0
	ds_bpermute_b32 v6, v10, v2
	s_wait_dscnt 0x0
	v_add_f32_e32 v2, v2, v6
	ds_bpermute_b32 v6, v27, v2
	s_wait_dscnt 0x0
	v_add_f32_e32 v2, v2, v6
	v_mov_b32_e32 v6, 0
	ds_bpermute_b32 v2, v6, v2
	s_and_saveexec_b32 s0, s1
	s_cbranch_execz .LBB2_36
; %bb.34:
	s_wait_dscnt 0x0
	v_add_f32_e32 v6, 0x358637bd, v2
	s_mov_b32 s1, 0
	s_delay_alu instid0(VALU_DEP_1) | instskip(SKIP_1) | instid1(VALU_DEP_2)
	v_div_scale_f32 v7, null, v6, v6, 1.0
	v_div_scale_f32 v10, vcc_lo, 1.0, v6, 1.0
	v_rcp_f32_e32 v8, v7
	s_delay_alu instid0(TRANS32_DEP_1) | instskip(NEXT) | instid1(VALU_DEP_1)
	v_fma_f32 v9, -v7, v8, 1.0
	v_fmac_f32_e32 v8, v9, v8
	s_delay_alu instid0(VALU_DEP_1) | instskip(NEXT) | instid1(VALU_DEP_1)
	v_mul_f32_e32 v9, v10, v8
	v_fma_f32 v11, -v7, v9, v10
	s_delay_alu instid0(VALU_DEP_1) | instskip(NEXT) | instid1(VALU_DEP_1)
	v_fmac_f32_e32 v9, v11, v8
	v_fma_f32 v7, -v7, v9, v10
	s_wait_alu 0xfffd
	s_delay_alu instid0(VALU_DEP_1) | instskip(NEXT) | instid1(VALU_DEP_1)
	v_div_fmas_f32 v7, v7, v8, v9
	v_div_fixup_f32 v6, v7, v6, 1.0
	v_mov_b32_e32 v7, v0
.LBB2_35:                               ; =>This Inner Loop Header: Depth=1
	ds_load_b32 v8, v5
	s_wait_dscnt 0x0
	v_dual_mul_f32 v8, v6, v8 :: v_dual_add_nc_u32 v7, 0x80, v7
	s_delay_alu instid0(VALU_DEP_1)
	v_cmp_le_i32_e32 vcc_lo, s5, v7
	ds_store_b32 v5, v8
	v_add_nc_u32_e32 v5, 0x200, v5
	s_wait_alu 0xfffe
	s_or_b32 s1, vcc_lo, s1
	s_wait_alu 0xfffe
	s_and_not1_b32 exec_lo, exec_lo, s1
	s_cbranch_execnz .LBB2_35
.LBB2_36:
	s_wait_alu 0xfffe
	s_or_b32 exec_lo, exec_lo, s0
	s_mul_i32 s0, s8, s34
	s_wait_loadcnt_dscnt 0x0
	s_wait_alu 0xfffe
	s_mul_i32 s4, s0, s35
	s_mov_b32 s0, exec_lo
	s_barrier_signal -1
	s_barrier_wait -1
	global_inv scope:SCOPE_SE
	v_cmpx_eq_u32_e32 0, v0
	s_cbranch_execz .LBB2_38
; %bb.37:
	s_wait_alu 0xfffe
	s_ashr_i32 s5, s4, 31
	s_mul_i32 s34, s8, ttmp9
	s_lshl_b32 s1, s33, 2
	s_wait_alu 0xfffe
	s_lshl_b64 s[40:41], s[4:5], 2
	s_ashr_i32 s35, s34, 31
	v_mov_b32_e32 v5, s1
	s_wait_kmcnt 0x0
	s_add_nc_u64 s[14:15], s[14:15], s[40:41]
	s_lshl_b64 s[34:35], s[34:35], 2
	s_add_nc_u64 s[12:13], s[12:13], s[40:41]
	s_wait_alu 0xfffe
	s_add_nc_u64 s[14:15], s[14:15], s[34:35]
	s_add_nc_u64 s[12:13], s[12:13], s[34:35]
	s_clause 0x1
	global_store_b32 v5, v1, s[14:15]
	global_store_b32 v5, v2, s[12:13]
.LBB2_38:
	s_wait_alu 0xfffe
	s_or_b32 exec_lo, exec_lo, s0
	v_dual_mov_b32 v32, 0 :: v_dual_mov_b32 v33, 0
	v_dual_mov_b32 v31, 0 :: v_dual_and_b32 v28, 1, v0
	v_mov_b32_e32 v29, 0
	s_and_saveexec_b32 s1, s3
	s_cbranch_execz .LBB2_52
; %bb.39:
	s_abs_i32 s3, s10
	v_dual_mov_b32 v31, 0 :: v_dual_lshlrev_b32 v2, 4, v0
	s_wait_alu 0xfffe
	s_cvt_f32_u32 s0, s3
	v_dual_mov_b32 v29, 0 :: v_dual_and_b32 v30, 4, v3
	v_dual_mov_b32 v32, 0 :: v_dual_lshlrev_b32 v3, 4, v28
	s_wait_alu 0xfffe
	v_rcp_iflag_f32_e32 v1, s0
	s_ashr_i32 s19, s18, 31
	s_wait_kmcnt 0x0
	s_lshl_b64 s[12:13], s[26:27], 2
	s_lshl_b64 s[14:15], s[18:19], 2
	s_wait_alu 0xfffe
	s_add_nc_u64 s[12:13], s[24:25], s[12:13]
	s_add_nc_u64 s[14:15], s[28:29], s[14:15]
	s_wait_alu 0xfffe
	v_add_co_u32 v21, s12, s12, v4
	s_sub_co_i32 s10, 0, s3
	v_add_co_ci_u32_e64 v22, null, s13, 0, s12
	v_readfirstlane_b32 s0, v1
	v_and_b32_e32 v1, 0x1f0, v2
	v_lshl_or_b32 v2, v23, 5, v3
	v_mov_b32_e32 v33, 0
	s_sub_co_i32 s5, s38, s9
	s_mul_f32 s0, s0, 0x4f7ffffe
	v_add_co_u32 v34, s12, s14, v1
	s_wait_alu 0xf1ff
	v_add_co_ci_u32_e64 v35, null, s15, 0, s12
	s_wait_alu 0xfffe
	s_cvt_u32_f32 s0, s0
	v_add_nc_u32_e32 v36, 0x120, v2
	s_mov_b32 s9, s17
	s_add_co_i32 s37, s37, -1
	s_wait_alu 0xfffe
	s_mul_i32 s10, s10, s0
	s_wait_alu 0xfffe
	s_mul_hi_u32 s12, s0, s10
	s_mov_b32 s10, 0
	s_wait_alu 0xfffe
	s_add_co_i32 s12, s0, s12
	s_branch .LBB2_42
.LBB2_40:                               ;   in Loop: Header=BB2_42 Depth=1
	s_wait_alu 0xfffe
	s_or_b32 exec_lo, exec_lo, s0
	s_wait_loadcnt_dscnt 0x300
	v_mul_f32_e32 v5, v1, v5
	s_wait_loadcnt 0x1
	v_mul_f32_e32 v13, v1, v13
	v_mul_f32_e32 v9, v1, v9
	s_wait_loadcnt 0x0
	v_mul_f32_e32 v1, v1, v17
	v_fmac_f32_e32 v5, v2, v6
	s_delay_alu instid0(VALU_DEP_3) | instskip(NEXT) | instid1(VALU_DEP_3)
	v_fmac_f32_e32 v9, v2, v10
	v_fmac_f32_e32 v1, v2, v18
	s_delay_alu instid0(VALU_DEP_3) | instskip(NEXT) | instid1(VALU_DEP_3)
	v_fmac_f32_e32 v5, v3, v7
	;; [unrolled: 3-line block ×3, first 2 shown]
	v_fmac_f32_e32 v5, v4, v8
	v_fmac_f32_e32 v13, v2, v14
	s_delay_alu instid0(VALU_DEP_4) | instskip(NEXT) | instid1(VALU_DEP_4)
	v_fmac_f32_e32 v9, v4, v12
	v_fmac_f32_e32 v1, v4, v20
	s_delay_alu instid0(VALU_DEP_3) | instskip(NEXT) | instid1(VALU_DEP_3)
	v_dual_add_f32 v32, v32, v5 :: v_dual_fmac_f32 v13, v3, v15
	v_add_f32_e32 v33, v33, v9
	s_delay_alu instid0(VALU_DEP_3) | instskip(NEXT) | instid1(VALU_DEP_3)
	v_add_f32_e32 v29, v29, v1
	v_fmac_f32_e32 v13, v4, v16
	s_delay_alu instid0(VALU_DEP_1)
	v_add_f32_e32 v31, v31, v13
.LBB2_41:                               ;   in Loop: Header=BB2_42 Depth=1
	s_wait_alu 0xfffe
	s_or_b32 exec_lo, exec_lo, s13
	v_add_nc_u32_e32 v25, 4, v25
	v_add_co_u32 v21, s0, v21, 16
	s_wait_alu 0xf1ff
	v_add_co_ci_u32_e64 v22, null, 0, v22, s0
	s_delay_alu instid0(VALU_DEP_3)
	v_cmp_le_i32_e32 vcc_lo, s31, v25
	v_add_nc_u32_e32 v24, 32, v24
	v_add_nc_u32_e32 v36, 0x80, v36
	s_or_b32 s10, vcc_lo, s10
	s_wait_alu 0xfffe
	s_and_not1_b32 exec_lo, exec_lo, s10
	s_cbranch_execz .LBB2_51
.LBB2_42:                               ; =>This Inner Loop Header: Depth=1
	v_sub_nc_u32_e32 v1, 0, v24
	s_delay_alu instid0(VALU_DEP_1) | instskip(NEXT) | instid1(VALU_DEP_1)
	v_max_i32_e32 v1, v24, v1
	v_mul_hi_u32 v2, v1, s22
	s_delay_alu instid0(VALU_DEP_1) | instskip(NEXT) | instid1(VALU_DEP_1)
	v_mul_lo_u32 v3, v2, s16
	v_sub_nc_u32_e32 v1, v1, v3
	v_add_nc_u32_e32 v3, 1, v2
	s_delay_alu instid0(VALU_DEP_2) | instskip(SKIP_2) | instid1(VALU_DEP_2)
	v_subrev_nc_u32_e32 v4, s16, v1
	v_cmp_le_u32_e32 vcc_lo, s16, v1
	s_wait_alu 0xfffd
	v_dual_cndmask_b32 v2, v2, v3 :: v_dual_cndmask_b32 v1, v1, v4
	v_ashrrev_i32_e32 v3, 31, v24
	s_delay_alu instid0(VALU_DEP_2) | instskip(NEXT) | instid1(VALU_DEP_3)
	v_add_nc_u32_e32 v4, 1, v2
	v_cmp_le_u32_e32 vcc_lo, s16, v1
	s_delay_alu instid0(VALU_DEP_3) | instskip(SKIP_1) | instid1(VALU_DEP_3)
	v_xor_b32_e32 v3, s23, v3
	s_wait_alu 0xfffd
	v_cndmask_b32_e32 v1, v2, v4, vcc_lo
	s_delay_alu instid0(VALU_DEP_1) | instskip(NEXT) | instid1(VALU_DEP_1)
	v_xor_b32_e32 v1, v1, v3
	v_sub_nc_u32_e32 v1, v1, v3
	s_delay_alu instid0(VALU_DEP_1) | instskip(SKIP_1) | instid1(VALU_DEP_2)
	v_add_nc_u32_e32 v2, s21, v1
	v_cmp_lt_i32_e64 s0, s5, v1
	v_sub_nc_u32_e32 v3, 0, v2
	s_delay_alu instid0(VALU_DEP_1) | instskip(SKIP_1) | instid1(VALU_DEP_1)
	v_max_i32_e32 v3, v2, v3
	s_wait_alu 0xfffe
	v_mul_hi_u32 v4, v3, s12
	s_delay_alu instid0(VALU_DEP_1) | instskip(NEXT) | instid1(VALU_DEP_1)
	v_mul_lo_u32 v4, v4, s3
	v_sub_nc_u32_e32 v3, v3, v4
	s_delay_alu instid0(VALU_DEP_1) | instskip(SKIP_2) | instid1(VALU_DEP_2)
	v_subrev_nc_u32_e32 v4, s3, v3
	v_cmp_le_u32_e32 vcc_lo, s3, v3
	s_wait_alu 0xfffd
	v_cndmask_b32_e32 v3, v3, v4, vcc_lo
	v_ashrrev_i32_e32 v2, 31, v2
	s_delay_alu instid0(VALU_DEP_2) | instskip(SKIP_2) | instid1(VALU_DEP_2)
	v_subrev_nc_u32_e32 v4, s3, v3
	v_cmp_le_u32_e32 vcc_lo, s3, v3
	s_wait_alu 0xfffd
	v_cndmask_b32_e32 v3, v3, v4, vcc_lo
	s_delay_alu instid0(VALU_DEP_1) | instskip(NEXT) | instid1(VALU_DEP_1)
	v_xor_b32_e32 v3, v3, v2
	v_sub_nc_u32_e32 v2, v3, v2
	s_delay_alu instid0(VALU_DEP_1)
	v_cmp_eq_u32_e32 vcc_lo, 0, v2
	s_or_b32 s0, vcc_lo, s0
	s_wait_alu 0xfffe
	s_and_saveexec_b32 s13, s0
	s_cbranch_execz .LBB2_41
; %bb.43:                               ;   in Loop: Header=BB2_42 Depth=1
	global_load_b32 v1, v[21:22], off
	v_add_nc_u32_e32 v37, v30, v24
	s_delay_alu instid0(VALU_DEP_1) | instskip(SKIP_4) | instid1(VALU_DEP_1)
	v_add_nc_u32_e32 v40, 1, v37
	v_add_nc_u32_e32 v39, 2, v37
	;; [unrolled: 1-line block ×3, first 2 shown]
	s_wait_loadcnt 0x0
	v_mad_co_i64_i32 v[1:2], null, v1, s9, 0
	v_lshlrev_b64_e32 v[1:2], 2, v[1:2]
	s_delay_alu instid0(VALU_DEP_1) | instskip(SKIP_1) | instid1(VALU_DEP_2)
	v_add_co_u32 v17, vcc_lo, v34, v1
	s_wait_alu 0xfffd
	v_add_co_ci_u32_e64 v18, null, v35, v2, vcc_lo
	ds_load_b128 v[1:4], v36
	v_cmp_eq_u32_e32 vcc_lo, s37, v25
	global_load_b128 v[5:8], v[17:18], off
	s_and_saveexec_b32 s14, vcc_lo
	s_cbranch_execnz .LBB2_47
; %bb.44:                               ;   in Loop: Header=BB2_42 Depth=1
	s_wait_alu 0xfffe
	s_or_b32 exec_lo, exec_lo, s14
	global_load_b128 v[9:12], v[17:18], off offset:512
	s_and_saveexec_b32 s14, vcc_lo
	s_cbranch_execnz .LBB2_48
.LBB2_45:                               ;   in Loop: Header=BB2_42 Depth=1
	s_wait_alu 0xfffe
	s_or_b32 exec_lo, exec_lo, s14
	global_load_b128 v[13:16], v[17:18], off offset:1024
	s_and_saveexec_b32 s14, vcc_lo
	s_cbranch_execnz .LBB2_49
.LBB2_46:                               ;   in Loop: Header=BB2_42 Depth=1
	s_wait_alu 0xfffe
	s_or_b32 exec_lo, exec_lo, s14
	global_load_b128 v[17:20], v[17:18], off offset:1536
	s_and_saveexec_b32 s0, vcc_lo
	s_cbranch_execz .LBB2_40
	s_branch .LBB2_50
.LBB2_47:                               ;   in Loop: Header=BB2_42 Depth=1
	v_cmp_gt_i32_e64 s0, s30, v37
	s_wait_loadcnt 0x0
	s_wait_alu 0xf1ff
	s_delay_alu instid0(VALU_DEP_1) | instskip(SKIP_2) | instid1(VALU_DEP_1)
	v_cndmask_b32_e64 v5, 0, v5, s0
	v_cmp_gt_i32_e64 s0, s30, v40
	s_wait_alu 0xf1ff
	v_cndmask_b32_e64 v6, 0, v6, s0
	v_cmp_gt_i32_e64 s0, s30, v39
	s_wait_alu 0xf1ff
	s_delay_alu instid0(VALU_DEP_1) | instskip(SKIP_2) | instid1(VALU_DEP_1)
	v_cndmask_b32_e64 v7, 0, v7, s0
	v_cmp_gt_i32_e64 s0, s30, v38
	s_wait_alu 0xf1ff
	v_cndmask_b32_e64 v8, 0, v8, s0
	s_wait_alu 0xfffe
	s_or_b32 exec_lo, exec_lo, s14
	global_load_b128 v[9:12], v[17:18], off offset:512
	s_and_saveexec_b32 s14, vcc_lo
	s_cbranch_execz .LBB2_45
.LBB2_48:                               ;   in Loop: Header=BB2_42 Depth=1
	v_cmp_gt_i32_e64 s0, s30, v37
	s_wait_loadcnt 0x0
	s_wait_alu 0xf1ff
	s_delay_alu instid0(VALU_DEP_1) | instskip(SKIP_2) | instid1(VALU_DEP_1)
	v_cndmask_b32_e64 v9, 0, v9, s0
	v_cmp_gt_i32_e64 s0, s30, v40
	s_wait_alu 0xf1ff
	v_cndmask_b32_e64 v10, 0, v10, s0
	v_cmp_gt_i32_e64 s0, s30, v39
	s_wait_alu 0xf1ff
	s_delay_alu instid0(VALU_DEP_1) | instskip(SKIP_2) | instid1(VALU_DEP_1)
	v_cndmask_b32_e64 v11, 0, v11, s0
	v_cmp_gt_i32_e64 s0, s30, v38
	s_wait_alu 0xf1ff
	v_cndmask_b32_e64 v12, 0, v12, s0
	s_wait_alu 0xfffe
	s_or_b32 exec_lo, exec_lo, s14
	global_load_b128 v[13:16], v[17:18], off offset:1024
	s_and_saveexec_b32 s14, vcc_lo
	s_cbranch_execz .LBB2_46
.LBB2_49:                               ;   in Loop: Header=BB2_42 Depth=1
	v_cmp_gt_i32_e64 s0, s30, v37
	s_wait_loadcnt 0x0
	s_wait_alu 0xf1ff
	s_delay_alu instid0(VALU_DEP_1) | instskip(SKIP_2) | instid1(VALU_DEP_1)
	v_cndmask_b32_e64 v13, 0, v13, s0
	v_cmp_gt_i32_e64 s0, s30, v40
	s_wait_alu 0xf1ff
	v_cndmask_b32_e64 v14, 0, v14, s0
	v_cmp_gt_i32_e64 s0, s30, v39
	s_wait_alu 0xf1ff
	s_delay_alu instid0(VALU_DEP_1) | instskip(SKIP_2) | instid1(VALU_DEP_1)
	v_cndmask_b32_e64 v15, 0, v15, s0
	v_cmp_gt_i32_e64 s0, s30, v38
	s_wait_alu 0xf1ff
	v_cndmask_b32_e64 v16, 0, v16, s0
	s_wait_alu 0xfffe
	s_or_b32 exec_lo, exec_lo, s14
	global_load_b128 v[17:20], v[17:18], off offset:1536
	s_and_saveexec_b32 s0, vcc_lo
	s_cbranch_execz .LBB2_40
.LBB2_50:                               ;   in Loop: Header=BB2_42 Depth=1
	v_cmp_gt_i32_e32 vcc_lo, s30, v37
	s_wait_loadcnt 0x0
	s_wait_alu 0xfffd
	v_cndmask_b32_e32 v17, 0, v17, vcc_lo
	v_cmp_gt_i32_e32 vcc_lo, s30, v40
	s_wait_alu 0xfffd
	v_cndmask_b32_e32 v18, 0, v18, vcc_lo
	v_cmp_gt_i32_e32 vcc_lo, s30, v39
	;; [unrolled: 3-line block ×3, first 2 shown]
	s_wait_alu 0xfffd
	v_cndmask_b32_e32 v20, 0, v20, vcc_lo
	s_branch .LBB2_40
.LBB2_51:
	s_or_b32 exec_lo, exec_lo, s10
.LBB2_52:
	s_wait_alu 0xfffe
	s_or_b32 exec_lo, exec_lo, s1
	ds_bpermute_b32 v1, v27, v32
	ds_bpermute_b32 v2, v27, v33
	;; [unrolled: 1-line block ×4, first 2 shown]
	v_lshrrev_b32_e32 v5, 1, v26
	v_lshlrev_b32_e32 v7, 8, v23
	v_and_b32_e32 v8, 0x3c1, v0
	s_mov_b32 s0, exec_lo
	s_wait_storecnt 0x0
	s_wait_loadcnt_dscnt 0x0
	v_lshl_add_u32 v6, v5, 2, 0x120
	s_barrier_signal -1
	s_barrier_wait -1
	global_inv scope:SCOPE_SE
	v_dual_add_f32 v1, v32, v1 :: v_dual_add_f32 v2, v33, v2
	v_dual_add_f32 v3, v31, v3 :: v_dual_add_f32 v4, v29, v4
	v_cmpx_eq_u32_e32 64, v8
	s_cbranch_execz .LBB2_54
; %bb.53:
	v_add_nc_u32_e32 v8, v6, v7
	s_delay_alu instid0(VALU_DEP_1)
	v_add_nc_u32_e32 v9, 0xfffffe00, v8
	v_add_nc_u32_e32 v10, 0xfffffe40, v8
	;; [unrolled: 1-line block ×4, first 2 shown]
	ds_store_b32 v9, v1
	ds_store_b32 v10, v2
	;; [unrolled: 1-line block ×4, first 2 shown]
.LBB2_54:
	s_wait_alu 0xfffe
	s_or_b32 exec_lo, exec_lo, s0
	v_lshlrev_b32_e32 v5, 2, v5
	v_cmp_eq_u32_e32 vcc_lo, 0, v28
	s_wait_loadcnt_dscnt 0x0
	s_barrier_signal -1
	s_barrier_wait -1
	v_add3_u32 v5, 0x120, v7, v5
	global_inv scope:SCOPE_SE
	s_and_saveexec_b32 s0, s2
	s_cbranch_execz .LBB2_61
; %bb.55:
	s_and_saveexec_b32 s1, vcc_lo
	s_cbranch_execnz .LBB2_73
; %bb.56:
	s_wait_alu 0xfffe
	s_or_b32 exec_lo, exec_lo, s1
	s_and_saveexec_b32 s1, vcc_lo
	s_cbranch_execnz .LBB2_74
.LBB2_57:
	s_wait_alu 0xfffe
	s_or_b32 exec_lo, exec_lo, s1
	s_and_saveexec_b32 s1, vcc_lo
	s_cbranch_execnz .LBB2_75
.LBB2_58:
	s_wait_alu 0xfffe
	s_or_b32 exec_lo, exec_lo, s1
	s_and_saveexec_b32 s1, vcc_lo
	s_cbranch_execz .LBB2_60
.LBB2_59:
	ds_load_b32 v7, v5 offset:192
	s_wait_dscnt 0x0
	v_add_f32_e32 v4, v4, v7
.LBB2_60:
	s_wait_alu 0xfffe
	s_or_b32 exec_lo, exec_lo, s1
.LBB2_61:
	s_wait_alu 0xfffe
	s_or_b32 exec_lo, exec_lo, s0
	v_and_b32_e32 v7, 0x3e1, v0
	s_mov_b32 s1, exec_lo
	s_wait_loadcnt 0x0
	s_barrier_signal -1
	s_barrier_wait -1
	global_inv scope:SCOPE_SE
	v_cmpx_eq_u32_e32 32, v7
	s_cbranch_execz .LBB2_63
; %bb.62:
	ds_store_2addr_b32 v6, v1, v2 offset1:16
	ds_store_2addr_b32 v6, v3, v4 offset0:32 offset1:48
.LBB2_63:
	s_wait_alu 0xfffe
	s_or_b32 exec_lo, exec_lo, s1
	s_delay_alu instid0(SALU_CYCLE_1)
	s_mov_b32 s1, exec_lo
	s_wait_loadcnt_dscnt 0x0
	s_barrier_signal -1
	s_barrier_wait -1
	global_inv scope:SCOPE_SE
	v_cmpx_gt_u32_e32 32, v0
	s_cbranch_execz .LBB2_70
; %bb.64:
	s_and_saveexec_b32 s0, vcc_lo
	s_cbranch_execnz .LBB2_76
; %bb.65:
	s_wait_alu 0xfffe
	s_or_b32 exec_lo, exec_lo, s0
	s_and_saveexec_b32 s0, vcc_lo
	s_cbranch_execnz .LBB2_77
.LBB2_66:
	s_wait_alu 0xfffe
	s_or_b32 exec_lo, exec_lo, s0
	s_and_saveexec_b32 s0, vcc_lo
	s_cbranch_execnz .LBB2_78
.LBB2_67:
	s_wait_alu 0xfffe
	s_or_b32 exec_lo, exec_lo, s0
	s_and_saveexec_b32 s0, vcc_lo
	s_cbranch_execz .LBB2_69
.LBB2_68:
	ds_load_b32 v5, v5 offset:192
	s_wait_dscnt 0x0
	v_add_f32_e32 v4, v4, v5
.LBB2_69:
	s_wait_alu 0xfffe
	s_or_b32 exec_lo, exec_lo, s0
.LBB2_70:
	s_wait_alu 0xfffe
	s_or_b32 exec_lo, exec_lo, s1
	s_mov_b32 s1, 0
	s_wait_loadcnt 0x0
	s_barrier_signal -1
	s_barrier_wait -1
	global_inv scope:SCOPE_SE
	s_mov_b32 s0, exec_lo
	v_cmpx_eq_u32_e32 0, v7
	s_cbranch_execz .LBB2_72
; %bb.71:
	s_lshl_b32 s2, s4, 6
	s_mul_i32 s4, s8, s20
	s_wait_alu 0xfffe
	s_ashr_i32 s3, s2, 31
	s_ashr_i32 s5, s4, 31
	s_wait_alu 0xfffe
	s_lshl_b64 s[2:3], s[2:3], 2
	s_lshl_b64 s[4:5], s[4:5], 2
	s_wait_kmcnt 0x0
	s_wait_alu 0xfffe
	s_add_nc_u64 s[2:3], s[6:7], s[2:3]
	v_lshlrev_b32_e32 v0, 1, v0
	s_lshl_b32 s0, s11, 2
	s_wait_alu 0xfffe
	s_add_nc_u64 s[2:3], s[2:3], s[4:5]
	s_wait_alu 0xfffe
	s_add_nc_u64 s[0:1], s[2:3], s[0:1]
	s_clause 0x3
	global_store_b32 v0, v1, s[0:1]
	global_store_b32 v0, v2, s[0:1] offset:64
	global_store_b32 v0, v3, s[0:1] offset:128
	;; [unrolled: 1-line block ×3, first 2 shown]
.LBB2_72:
	s_endpgm
.LBB2_73:
	ds_load_b32 v7, v5
	s_wait_dscnt 0x0
	v_add_f32_e32 v1, v1, v7
	s_wait_alu 0xfffe
	s_or_b32 exec_lo, exec_lo, s1
	s_and_saveexec_b32 s1, vcc_lo
	s_cbranch_execz .LBB2_57
.LBB2_74:
	ds_load_b32 v7, v5 offset:64
	s_wait_dscnt 0x0
	v_add_f32_e32 v2, v2, v7
	s_wait_alu 0xfffe
	s_or_b32 exec_lo, exec_lo, s1
	s_and_saveexec_b32 s1, vcc_lo
	s_cbranch_execz .LBB2_58
.LBB2_75:
	ds_load_b32 v7, v5 offset:128
	s_wait_dscnt 0x0
	v_add_f32_e32 v3, v3, v7
	s_wait_alu 0xfffe
	s_or_b32 exec_lo, exec_lo, s1
	s_and_saveexec_b32 s1, vcc_lo
	s_cbranch_execnz .LBB2_59
	s_branch .LBB2_60
.LBB2_76:
	ds_load_b32 v6, v5
	s_wait_dscnt 0x0
	v_add_f32_e32 v1, v1, v6
	s_wait_alu 0xfffe
	s_or_b32 exec_lo, exec_lo, s0
	s_and_saveexec_b32 s0, vcc_lo
	s_cbranch_execz .LBB2_66
.LBB2_77:
	ds_load_b32 v6, v5 offset:64
	s_wait_dscnt 0x0
	v_add_f32_e32 v2, v2, v6
	s_wait_alu 0xfffe
	s_or_b32 exec_lo, exec_lo, s0
	s_and_saveexec_b32 s0, vcc_lo
	s_cbranch_execz .LBB2_67
.LBB2_78:
	ds_load_b32 v6, v5 offset:128
	s_wait_dscnt 0x0
	v_add_f32_e32 v3, v3, v6
	s_wait_alu 0xfffe
	s_or_b32 exec_lo, exec_lo, s0
	s_and_saveexec_b32 s0, vcc_lo
	s_cbranch_execnz .LBB2_68
	s_branch .LBB2_69
	.section	.rodata,"a",@progbits
	.p2align	6, 0x0
	.amdhsa_kernel _ZN4vllm25paged_attention_v2_kernelIffLi64ELi8ELi128ELNS_18Fp8KVCacheDataTypeE0ELb1ELi512EEEvPfS2_PT_PKS3_PKT0_S9_ifPKiSB_iPKfiiiSD_SD_iiiii
		.amdhsa_group_segment_fixed_size 288
		.amdhsa_private_segment_fixed_size 0
		.amdhsa_kernarg_size 400
		.amdhsa_user_sgpr_count 2
		.amdhsa_user_sgpr_dispatch_ptr 0
		.amdhsa_user_sgpr_queue_ptr 0
		.amdhsa_user_sgpr_kernarg_segment_ptr 1
		.amdhsa_user_sgpr_dispatch_id 0
		.amdhsa_user_sgpr_private_segment_size 0
		.amdhsa_wavefront_size32 1
		.amdhsa_uses_dynamic_stack 0
		.amdhsa_enable_private_segment 0
		.amdhsa_system_sgpr_workgroup_id_x 1
		.amdhsa_system_sgpr_workgroup_id_y 1
		.amdhsa_system_sgpr_workgroup_id_z 1
		.amdhsa_system_sgpr_workgroup_info 0
		.amdhsa_system_vgpr_workitem_id 0
		.amdhsa_next_free_vgpr 45
		.amdhsa_next_free_sgpr 44
		.amdhsa_reserve_vcc 1
		.amdhsa_float_round_mode_32 0
		.amdhsa_float_round_mode_16_64 0
		.amdhsa_float_denorm_mode_32 3
		.amdhsa_float_denorm_mode_16_64 3
		.amdhsa_fp16_overflow 0
		.amdhsa_workgroup_processor_mode 1
		.amdhsa_memory_ordered 1
		.amdhsa_forward_progress 1
		.amdhsa_inst_pref_size 44
		.amdhsa_round_robin_scheduling 0
		.amdhsa_exception_fp_ieee_invalid_op 0
		.amdhsa_exception_fp_denorm_src 0
		.amdhsa_exception_fp_ieee_div_zero 0
		.amdhsa_exception_fp_ieee_overflow 0
		.amdhsa_exception_fp_ieee_underflow 0
		.amdhsa_exception_fp_ieee_inexact 0
		.amdhsa_exception_int_div_zero 0
	.end_amdhsa_kernel
	.section	.text._ZN4vllm25paged_attention_v2_kernelIffLi64ELi8ELi128ELNS_18Fp8KVCacheDataTypeE0ELb1ELi512EEEvPfS2_PT_PKS3_PKT0_S9_ifPKiSB_iPKfiiiSD_SD_iiiii,"axG",@progbits,_ZN4vllm25paged_attention_v2_kernelIffLi64ELi8ELi128ELNS_18Fp8KVCacheDataTypeE0ELb1ELi512EEEvPfS2_PT_PKS3_PKT0_S9_ifPKiSB_iPKfiiiSD_SD_iiiii,comdat
.Lfunc_end2:
	.size	_ZN4vllm25paged_attention_v2_kernelIffLi64ELi8ELi128ELNS_18Fp8KVCacheDataTypeE0ELb1ELi512EEEvPfS2_PT_PKS3_PKT0_S9_ifPKiSB_iPKfiiiSD_SD_iiiii, .Lfunc_end2-_ZN4vllm25paged_attention_v2_kernelIffLi64ELi8ELi128ELNS_18Fp8KVCacheDataTypeE0ELb1ELi512EEEvPfS2_PT_PKS3_PKT0_S9_ifPKiSB_iPKfiiiSD_SD_iiiii
                                        ; -- End function
	.set _ZN4vllm25paged_attention_v2_kernelIffLi64ELi8ELi128ELNS_18Fp8KVCacheDataTypeE0ELb1ELi512EEEvPfS2_PT_PKS3_PKT0_S9_ifPKiSB_iPKfiiiSD_SD_iiiii.num_vgpr, 45
	.set _ZN4vllm25paged_attention_v2_kernelIffLi64ELi8ELi128ELNS_18Fp8KVCacheDataTypeE0ELb1ELi512EEEvPfS2_PT_PKS3_PKT0_S9_ifPKiSB_iPKfiiiSD_SD_iiiii.num_agpr, 0
	.set _ZN4vllm25paged_attention_v2_kernelIffLi64ELi8ELi128ELNS_18Fp8KVCacheDataTypeE0ELb1ELi512EEEvPfS2_PT_PKS3_PKT0_S9_ifPKiSB_iPKfiiiSD_SD_iiiii.numbered_sgpr, 44
	.set _ZN4vllm25paged_attention_v2_kernelIffLi64ELi8ELi128ELNS_18Fp8KVCacheDataTypeE0ELb1ELi512EEEvPfS2_PT_PKS3_PKT0_S9_ifPKiSB_iPKfiiiSD_SD_iiiii.num_named_barrier, 0
	.set _ZN4vllm25paged_attention_v2_kernelIffLi64ELi8ELi128ELNS_18Fp8KVCacheDataTypeE0ELb1ELi512EEEvPfS2_PT_PKS3_PKT0_S9_ifPKiSB_iPKfiiiSD_SD_iiiii.private_seg_size, 0
	.set _ZN4vllm25paged_attention_v2_kernelIffLi64ELi8ELi128ELNS_18Fp8KVCacheDataTypeE0ELb1ELi512EEEvPfS2_PT_PKS3_PKT0_S9_ifPKiSB_iPKfiiiSD_SD_iiiii.uses_vcc, 1
	.set _ZN4vllm25paged_attention_v2_kernelIffLi64ELi8ELi128ELNS_18Fp8KVCacheDataTypeE0ELb1ELi512EEEvPfS2_PT_PKS3_PKT0_S9_ifPKiSB_iPKfiiiSD_SD_iiiii.uses_flat_scratch, 0
	.set _ZN4vllm25paged_attention_v2_kernelIffLi64ELi8ELi128ELNS_18Fp8KVCacheDataTypeE0ELb1ELi512EEEvPfS2_PT_PKS3_PKT0_S9_ifPKiSB_iPKfiiiSD_SD_iiiii.has_dyn_sized_stack, 0
	.set _ZN4vllm25paged_attention_v2_kernelIffLi64ELi8ELi128ELNS_18Fp8KVCacheDataTypeE0ELb1ELi512EEEvPfS2_PT_PKS3_PKT0_S9_ifPKiSB_iPKfiiiSD_SD_iiiii.has_recursion, 0
	.set _ZN4vllm25paged_attention_v2_kernelIffLi64ELi8ELi128ELNS_18Fp8KVCacheDataTypeE0ELb1ELi512EEEvPfS2_PT_PKS3_PKT0_S9_ifPKiSB_iPKfiiiSD_SD_iiiii.has_indirect_call, 0
	.section	.AMDGPU.csdata,"",@progbits
; Kernel info:
; codeLenInByte = 5564
; TotalNumSgprs: 46
; NumVgprs: 45
; ScratchSize: 0
; MemoryBound: 0
; FloatMode: 240
; IeeeMode: 1
; LDSByteSize: 288 bytes/workgroup (compile time only)
; SGPRBlocks: 0
; VGPRBlocks: 5
; NumSGPRsForWavesPerEU: 46
; NumVGPRsForWavesPerEU: 45
; Occupancy: 16
; WaveLimiterHint : 1
; COMPUTE_PGM_RSRC2:SCRATCH_EN: 0
; COMPUTE_PGM_RSRC2:USER_SGPR: 2
; COMPUTE_PGM_RSRC2:TRAP_HANDLER: 0
; COMPUTE_PGM_RSRC2:TGID_X_EN: 1
; COMPUTE_PGM_RSRC2:TGID_Y_EN: 1
; COMPUTE_PGM_RSRC2:TGID_Z_EN: 1
; COMPUTE_PGM_RSRC2:TIDIG_COMP_CNT: 0
	.section	.text._ZN4vllm32paged_attention_v2_reduce_kernelIfLi64ELi128ELi512EEEvPT_PKfS4_PKS1_PKii,"axG",@progbits,_ZN4vllm32paged_attention_v2_reduce_kernelIfLi64ELi128ELi512EEEvPT_PKfS4_PKS1_PKii,comdat
	.protected	_ZN4vllm32paged_attention_v2_reduce_kernelIfLi64ELi128ELi512EEEvPT_PKfS4_PKS1_PKii ; -- Begin function _ZN4vllm32paged_attention_v2_reduce_kernelIfLi64ELi128ELi512EEEvPT_PKfS4_PKS1_PKii
	.globl	_ZN4vllm32paged_attention_v2_reduce_kernelIfLi64ELi128ELi512EEEvPT_PKfS4_PKS1_PKii
	.p2align	8
	.type	_ZN4vllm32paged_attention_v2_reduce_kernelIfLi64ELi128ELi512EEEvPT_PKfS4_PKS1_PKii,@function
_ZN4vllm32paged_attention_v2_reduce_kernelIfLi64ELi128ELi512EEEvPT_PKfS4_PKS1_PKii: ; @_ZN4vllm32paged_attention_v2_reduce_kernelIfLi64ELi128ELi512EEEvPT_PKfS4_PKS1_PKii
; %bb.0:
	s_load_b128 s[4:7], s[0:1], 0x18
	s_mov_b32 s2, ttmp7
	s_ashr_i32 s3, ttmp7, 31
	s_add_nc_u64 s[8:9], s[0:1], 48
	s_lshl_b64 s[2:3], s[2:3], 2
	s_wait_kmcnt 0x0
	s_add_nc_u64 s[2:3], s[6:7], s[2:3]
	s_load_b32 s18, s[2:3], 0x0
	s_clause 0x2
	s_load_b64 s[6:7], s[0:1], 0x0
	s_load_b32 s14, s[0:1], 0x28
	s_load_b32 s15, s[0:1], 0x30
	s_wait_kmcnt 0x0
	s_add_co_i32 s2, s18, -1
	s_delay_alu instid0(SALU_CYCLE_1)
	s_cmp_gt_u32 s2, 0x1ff
	s_mov_b32 s2, -1
	s_cbranch_scc0 .LBB3_25
; %bb.1:
	s_add_co_i32 s2, s18, 0x1ff
	s_mul_i32 s16, s15, ttmp7
	s_ashr_i32 s3, s2, 31
	v_mov_b32_e32 v3, 0xff7fffff
	s_lshr_b32 s3, s3, 23
	s_mul_i32 s10, s16, s14
	s_add_co_i32 s2, s2, s3
	s_mul_i32 s12, s14, ttmp9
	s_ashr_i32 s17, s2, 9
	s_ashr_i32 s11, s10, 31
	v_cmp_gt_i32_e32 vcc_lo, s17, v0
	s_ashr_i32 s13, s12, 31
	s_and_saveexec_b32 s3, vcc_lo
	s_cbranch_execz .LBB3_5
; %bb.2:
	s_load_b64 s[20:21], s[0:1], 0x10
	s_load_b32 s2, s[8:9], 0xc
	s_lshl_b64 s[22:23], s[10:11], 2
	s_lshl_b64 s[24:25], s[12:13], 2
	v_lshlrev_b32_e32 v1, 2, v0
	s_add_nc_u64 s[22:23], s[22:23], s[24:25]
	v_mov_b32_e32 v3, 0xff7fffff
	s_delay_alu instid0(VALU_DEP_2) | instskip(SKIP_2) | instid1(SALU_CYCLE_1)
	v_dual_mov_b32 v5, v0 :: v_dual_add_nc_u32 v4, 32, v1
	s_wait_kmcnt 0x0
	s_add_nc_u64 s[20:21], s[20:21], s[22:23]
	v_add_co_u32 v1, s19, s20, v1
	s_delay_alu instid0(VALU_DEP_1)
	v_add_co_ci_u32_e64 v2, null, s21, 0, s19
	s_and_b32 s20, s2, 0xffff
	s_mov_b32 s19, 0
	s_wait_alu 0xfffe
	s_lshl_b32 s21, s20, 2
.LBB3_3:                                ; =>This Inner Loop Header: Depth=1
	global_load_b32 v6, v[1:2], off
	v_add_nc_u32_e32 v5, s20, v5
	v_max_num_f32_e32 v3, v3, v3
	s_wait_alu 0xfffe
	v_add_co_u32 v1, s2, v1, s21
	s_wait_alu 0xf1ff
	v_add_co_ci_u32_e64 v2, null, 0, v2, s2
	v_cmp_le_i32_e64 s2, s17, v5
	s_or_b32 s19, s2, s19
	s_wait_loadcnt 0x0
	v_max_num_f32_e32 v7, v6, v6
	ds_store_b32 v4, v6
	v_dual_max_num_f32 v3, v3, v7 :: v_dual_add_nc_u32 v4, s21, v4
	s_wait_alu 0xfffe
	s_and_not1_b32 exec_lo, exec_lo, s19
	s_cbranch_execnz .LBB3_3
; %bb.4:
	s_or_b32 exec_lo, exec_lo, s19
.LBB3_5:
	s_delay_alu instid0(SALU_CYCLE_1)
	s_or_b32 exec_lo, exec_lo, s3
	v_mbcnt_lo_u32_b32 v1, -1, 0
	s_load_b64 s[2:3], s[0:1], 0x8
	s_wait_dscnt 0x0
	s_barrier_signal -1
	s_barrier_wait -1
	v_xor_b32_e32 v2, 16, v1
	v_xor_b32_e32 v4, 8, v1
	global_inv scope:SCOPE_SE
	v_cmp_gt_i32_e64 s0, 32, v2
	s_delay_alu instid0(VALU_DEP_1) | instskip(SKIP_1) | instid1(VALU_DEP_2)
	v_cndmask_b32_e64 v2, v1, v2, s0
	v_cmp_gt_i32_e64 s0, 32, v4
	v_lshlrev_b32_e32 v5, 2, v2
	s_wait_alu 0xf1ff
	s_delay_alu instid0(VALU_DEP_2) | instskip(SKIP_4) | instid1(VALU_DEP_2)
	v_cndmask_b32_e64 v4, v1, v4, s0
	ds_bpermute_b32 v2, v5, v3
	v_lshlrev_b32_e32 v6, 2, v4
	v_xor_b32_e32 v4, 4, v1
	v_max_num_f32_e32 v3, v3, v3
	v_cmp_gt_i32_e64 s0, 32, v4
	s_wait_alu 0xf1ff
	s_delay_alu instid0(VALU_DEP_1) | instskip(NEXT) | instid1(VALU_DEP_1)
	v_cndmask_b32_e64 v4, v1, v4, s0
	v_lshlrev_b32_e32 v7, 2, v4
	v_xor_b32_e32 v4, 2, v1
	s_wait_dscnt 0x0
	v_max_num_f32_e32 v2, v2, v2
	s_delay_alu instid0(VALU_DEP_2) | instskip(NEXT) | instid1(VALU_DEP_2)
	v_cmp_gt_i32_e64 s0, 32, v4
	v_max_num_f32_e32 v2, v3, v2
	s_wait_alu 0xf1ff
	s_delay_alu instid0(VALU_DEP_2) | instskip(SKIP_3) | instid1(VALU_DEP_1)
	v_cndmask_b32_e64 v4, v1, v4, s0
	ds_bpermute_b32 v3, v6, v2
	s_wait_dscnt 0x0
	v_max_num_f32_e32 v3, v3, v3
	v_max_num_f32_e32 v2, v2, v3
	ds_bpermute_b32 v3, v7, v2
	s_wait_dscnt 0x0
	v_dual_max_num_f32 v8, v3, v3 :: v_dual_lshlrev_b32 v3, 2, v4
	s_delay_alu instid0(VALU_DEP_1) | instskip(SKIP_4) | instid1(VALU_DEP_1)
	v_max_num_f32_e32 v2, v2, v8
	v_xor_b32_e32 v8, 1, v1
	ds_bpermute_b32 v4, v3, v2
	v_cmp_gt_i32_e64 s0, 32, v8
	s_wait_alu 0xf1ff
	v_cndmask_b32_e64 v1, v1, v8, s0
	v_lshrrev_b32_e32 v8, 5, v0
	s_delay_alu instid0(VALU_DEP_1) | instskip(SKIP_2) | instid1(VALU_DEP_1)
	v_lshlrev_b32_e32 v8, 2, v8
	s_wait_dscnt 0x0
	v_max_num_f32_e32 v4, v4, v4
	v_max_num_f32_e32 v2, v2, v4
	v_lshlrev_b32_e32 v4, 2, v1
	v_and_b32_e32 v1, 31, v0
	ds_bpermute_b32 v9, v4, v2
	v_cmp_eq_u32_e64 s0, 0, v1
	s_and_saveexec_b32 s1, s0
	s_cbranch_execz .LBB3_7
; %bb.6:
	s_wait_dscnt 0x0
	v_dual_max_num_f32 v9, v9, v9 :: v_dual_max_num_f32 v2, v2, v2
	s_delay_alu instid0(VALU_DEP_1)
	v_max_num_f32_e32 v2, v2, v9
	ds_store_b32 v8, v2
.LBB3_7:
	s_wait_alu 0xfffe
	s_or_b32 exec_lo, exec_lo, s1
	v_cmp_gt_u32_e64 s1, 4, v1
	s_wait_dscnt 0x0
	v_dual_mov_b32 v2, 0xff7fffff :: v_dual_lshlrev_b32 v9, 2, v1
	s_wait_loadcnt 0x0
	s_barrier_signal -1
	s_barrier_wait -1
	global_inv scope:SCOPE_SE
	s_and_saveexec_b32 s19, s1
; %bb.8:
	ds_load_b32 v2, v9
; %bb.9:
	s_wait_alu 0xfffe
	s_or_b32 exec_lo, exec_lo, s19
	s_wait_dscnt 0x0
	ds_bpermute_b32 v1, v3, v2
	v_max_num_f32_e32 v2, v2, v2
	s_lshl_b32 s19, s17, 2
	s_wait_dscnt 0x0
	v_dual_mov_b32 v10, 0 :: v_dual_max_num_f32 v1, v1, v1
	s_delay_alu instid0(VALU_DEP_1) | instskip(SKIP_3) | instid1(VALU_DEP_1)
	v_max_num_f32_e32 v1, v2, v1
	ds_bpermute_b32 v2, v4, v1
	s_wait_dscnt 0x0
	v_max_num_f32_e32 v2, v2, v2
	v_max_num_f32_e32 v1, v1, v2
	ds_bpermute_b32 v11, v10, v1
	s_and_saveexec_b32 s20, vcc_lo
	s_cbranch_execz .LBB3_13
; %bb.10:
	s_load_b32 s21, s[8:9], 0xc
	s_lshl_b64 s[22:23], s[10:11], 2
	s_lshl_b64 s[24:25], s[12:13], 2
	v_dual_mov_b32 v13, v0 :: v_dual_lshlrev_b32 v12, 2, v0
	s_add_nc_u64 s[22:23], s[22:23], s[24:25]
	v_mov_b32_e32 v10, 0
	s_wait_kmcnt 0x0
	s_add_nc_u64 s[2:3], s[2:3], s[22:23]
	s_wait_alu 0xfffe
	v_add_co_u32 v1, s2, s2, v12
	s_wait_alu 0xf1ff
	v_add_co_ci_u32_e64 v2, null, s3, 0, s2
	v_add_nc_u32_e32 v12, 32, v12
	s_mov_b32 s3, 0
	s_and_b32 s11, s21, 0xffff
	s_delay_alu instid0(SALU_CYCLE_1)
	s_lshl_b32 s13, s11, 2
.LBB3_11:                               ; =>This Inner Loop Header: Depth=1
	global_load_b32 v14, v[1:2], off
	ds_load_b32 v15, v12
	s_wait_dscnt 0x0
	v_sub_f32_e32 v15, v15, v11
	s_delay_alu instid0(VALU_DEP_1) | instskip(NEXT) | instid1(VALU_DEP_1)
	v_mul_f32_e32 v16, 0x3fb8aa3b, v15
	v_fma_f32 v17, 0x3fb8aa3b, v15, -v16
	v_rndne_f32_e32 v18, v16
	s_delay_alu instid0(VALU_DEP_1) | instskip(SKIP_1) | instid1(VALU_DEP_4)
	v_sub_f32_e32 v16, v16, v18
	v_cmp_ngt_f32_e32 vcc_lo, 0xc2ce8ed0, v15
	v_fmac_f32_e32 v17, 0x32a5705f, v15
	v_cmp_nlt_f32_e64 s2, 0x42b17218, v15
	s_delay_alu instid0(VALU_DEP_2) | instskip(SKIP_1) | instid1(VALU_DEP_2)
	v_add_f32_e32 v16, v16, v17
	v_cvt_i32_f32_e32 v17, v18
	v_exp_f32_e32 v16, v16
	s_delay_alu instid0(TRANS32_DEP_1) | instskip(SKIP_3) | instid1(VALU_DEP_3)
	v_ldexp_f32 v16, v16, v17
	v_add_nc_u32_e32 v17, s19, v12
	v_add_nc_u32_e32 v12, s13, v12
	s_wait_alu 0xfffd
	v_cndmask_b32_e32 v16, 0, v16, vcc_lo
	v_add_co_u32 v1, vcc_lo, v1, s13
	s_wait_alu 0xfffd
	v_add_co_ci_u32_e64 v2, null, 0, v2, vcc_lo
	s_wait_alu 0xf1ff
	v_cndmask_b32_e64 v15, 0x7f800000, v16, s2
	s_wait_loadcnt 0x0
	s_delay_alu instid0(VALU_DEP_1) | instskip(NEXT) | instid1(VALU_DEP_1)
	v_dual_mul_f32 v16, v14, v15 :: v_dual_add_nc_u32 v13, s11, v13
	v_cmp_le_i32_e32 vcc_lo, s17, v13
	v_fmac_f32_e32 v10, v14, v15
	ds_store_b32 v17, v16
	s_wait_alu 0xfffe
	s_or_b32 s3, vcc_lo, s3
	s_wait_alu 0xfffe
	s_and_not1_b32 exec_lo, exec_lo, s3
	s_cbranch_execnz .LBB3_11
; %bb.12:
	s_or_b32 exec_lo, exec_lo, s3
.LBB3_13:
	s_wait_alu 0xfffe
	s_or_b32 exec_lo, exec_lo, s20
	ds_bpermute_b32 v1, v5, v10
	s_wait_loadcnt_dscnt 0x0
	s_barrier_signal -1
	s_barrier_wait -1
	global_inv scope:SCOPE_SE
	v_add_f32_e32 v1, v10, v1
	ds_bpermute_b32 v2, v6, v1
	s_wait_dscnt 0x0
	v_add_f32_e32 v1, v1, v2
	ds_bpermute_b32 v2, v7, v1
	s_wait_dscnt 0x0
	;; [unrolled: 3-line block ×4, first 2 shown]
	v_add_f32_e32 v1, v1, v2
	s_wait_kmcnt 0x0
	s_and_saveexec_b32 s2, s0
; %bb.14:
	ds_store_b32 v8, v1 offset:16
; %bb.15:
	s_wait_alu 0xfffe
	s_or_b32 exec_lo, exec_lo, s2
	s_wait_loadcnt_dscnt 0x0
	s_barrier_signal -1
	s_barrier_wait -1
	global_inv scope:SCOPE_SE
	s_and_saveexec_b32 s0, s1
; %bb.16:
	ds_load_b32 v1, v9 offset:16
; %bb.17:
	s_wait_alu 0xfffe
	s_or_b32 exec_lo, exec_lo, s0
	s_wait_dscnt 0x0
	ds_bpermute_b32 v2, v3, v1
	s_mov_b32 s0, exec_lo
	s_wait_dscnt 0x0
	v_add_f32_e32 v1, v1, v2
	ds_bpermute_b32 v2, v4, v1
	s_wait_dscnt 0x0
	v_dual_add_f32 v1, v1, v2 :: v_dual_mov_b32 v2, 0
	ds_bpermute_b32 v2, v2, v1
	v_cmpx_gt_u32_e32 64, v0
	s_cbranch_execz .LBB3_24
; %bb.18:
	s_cmp_gt_i32 s18, 0
	s_mov_b32 s1, 0
	s_cbranch_scc1 .LBB3_20
; %bb.19:
	v_dual_mov_b32 v1, 0 :: v_dual_mov_b32 v4, 0
	s_wait_alu 0xfffe
	s_and_not1_b32 vcc_lo, exec_lo, s1
	s_wait_alu 0xfffe
	s_cbranch_vccz .LBB3_21
	s_branch .LBB3_23
.LBB3_20:
	v_mov_b32_e32 v4, 0
.LBB3_21:
	s_wait_dscnt 0x0
	v_add_f32_e32 v4, 0x358637bd, v2
	s_lshl_b32 s2, s10, 6
	s_lshl_b32 s10, s12, 6
	s_wait_alu 0xfffe
	s_ashr_i32 s3, s2, 31
	s_ashr_i32 s11, s10, 31
	v_div_scale_f32 v2, null, v4, v4, 1.0
	s_wait_alu 0xfffe
	s_lshl_b64 s[2:3], s[2:3], 2
	s_lshl_b64 s[10:11], s[10:11], 2
	s_wait_alu 0xfffe
	s_add_nc_u64 s[2:3], s[2:3], s[10:11]
	v_rcp_f32_e32 v3, v2
	s_wait_alu 0xfffe
	s_add_nc_u64 s[2:3], s[4:5], s[2:3]
	s_delay_alu instid0(TRANS32_DEP_1) | instskip(NEXT) | instid1(VALU_DEP_1)
	v_fma_f32 v1, -v2, v3, 1.0
	v_fmac_f32_e32 v3, v1, v3
	v_div_scale_f32 v5, vcc_lo, 1.0, v4, 1.0
	s_delay_alu instid0(VALU_DEP_1) | instskip(NEXT) | instid1(VALU_DEP_1)
	v_mul_f32_e32 v6, v5, v3
	v_fma_f32 v1, -v2, v6, v5
	s_delay_alu instid0(VALU_DEP_1) | instskip(NEXT) | instid1(VALU_DEP_1)
	v_dual_fmac_f32 v6, v1, v3 :: v_dual_mov_b32 v1, 0
	v_fma_f32 v2, -v2, v6, v5
	v_lshlrev_b32_e32 v5, 2, v0
	s_wait_alu 0xfffd
	s_delay_alu instid0(VALU_DEP_2) | instskip(SKIP_1) | instid1(VALU_DEP_2)
	v_div_fmas_f32 v6, v2, v3, v6
	s_wait_alu 0xfffe
	v_add_co_u32 v2, s1, s2, v5
	s_wait_alu 0xf1ff
	v_add_co_ci_u32_e64 v3, null, s3, 0, s1
	v_div_fixup_f32 v5, v6, v4, 1.0
	v_mov_b32_e32 v4, v1
	s_max_i32 s1, s17, 1
	s_add_co_i32 s2, s19, 32
.LBB3_22:                               ; =>This Inner Loop Header: Depth=1
	global_load_b32 v6, v[2:3], off
	s_wait_alu 0xfffe
	v_mov_b32_e32 v7, s2
	v_add_co_u32 v2, vcc_lo, 0x100, v2
	s_wait_alu 0xfffd
	v_add_co_ci_u32_e64 v3, null, 0, v3, vcc_lo
	ds_load_b32 v7, v7
	s_add_co_i32 s1, s1, -1
	s_add_co_i32 s2, s2, 4
	s_wait_alu 0xfffe
	s_cmp_eq_u32 s1, 0
	s_wait_loadcnt_dscnt 0x0
	v_mul_f32_e32 v6, v6, v7
	s_delay_alu instid0(VALU_DEP_1)
	v_fmac_f32_e32 v4, v5, v6
	s_cbranch_scc0 .LBB3_22
.LBB3_23:
	s_lshl_b32 s2, s16, 6
	s_lshl_b32 s10, ttmp9, 6
	s_wait_alu 0xfffe
	s_ashr_i32 s3, s2, 31
	s_ashr_i32 s11, s10, 31
	s_wait_alu 0xfffe
	s_lshl_b64 s[2:3], s[2:3], 2
	s_wait_dscnt 0x0
	v_lshlrev_b64_e32 v[1:2], 2, v[0:1]
	s_lshl_b64 s[10:11], s[10:11], 2
	s_wait_alu 0xfffe
	s_add_nc_u64 s[2:3], s[6:7], s[2:3]
	s_wait_alu 0xfffe
	s_add_nc_u64 s[2:3], s[2:3], s[10:11]
	s_wait_alu 0xfffe
	v_add_co_u32 v1, vcc_lo, s2, v1
	s_wait_alu 0xfffd
	v_add_co_ci_u32_e64 v2, null, s3, v2, vcc_lo
	global_store_b32 v[1:2], v4, off
.LBB3_24:
	s_wait_alu 0xfffe
	s_or_b32 exec_lo, exec_lo, s0
	s_mov_b32 s2, 0
.LBB3_25:
	s_wait_alu 0xfffe
	s_and_b32 vcc_lo, exec_lo, s2
	s_wait_alu 0xfffe
	s_cbranch_vccz .LBB3_29
; %bb.26:
	s_mov_b32 s0, exec_lo
	v_cmpx_gt_u32_e32 64, v0
	s_cbranch_execz .LBB3_29
; %bb.27:
	s_load_b32 s10, s[8:9], 0xc
	s_mul_i32 s15, s15, ttmp7
	s_lshl_b32 s2, ttmp9, 6
	s_lshl_b32 s0, s15, 6
	s_mul_i32 s8, s14, s15
	s_wait_alu 0xfffe
	s_ashr_i32 s1, s0, 31
	s_mul_i32 s14, s14, ttmp9
	s_wait_alu 0xfffe
	s_lshl_b64 s[0:1], s[0:1], 2
	s_ashr_i32 s3, s2, 31
	s_wait_alu 0xfffe
	s_add_nc_u64 s[0:1], s[6:7], s[0:1]
	s_lshl_b32 s6, s8, 6
	s_lshl_b32 s8, s14, 6
	s_ashr_i32 s7, s6, 31
	s_lshl_b64 s[2:3], s[2:3], 2
	s_lshl_b64 s[6:7], s[6:7], 2
	s_ashr_i32 s9, s8, 31
	s_wait_dscnt 0x0
	v_dual_mov_b32 v2, 0 :: v_dual_lshlrev_b32 v1, 2, v0
	s_add_nc_u64 s[4:5], s[4:5], s[6:7]
	s_lshl_b64 s[6:7], s[8:9], 2
	s_wait_alu 0xfffe
	s_add_nc_u64 s[2:3], s[0:1], s[2:3]
	s_wait_kmcnt 0x0
	s_and_b32 s1, s10, 0xffff
	s_add_nc_u64 s[4:5], s[4:5], s[6:7]
	s_mov_b32 s6, 0
	s_wait_alu 0xfffe
	s_lshl_b32 s7, s1, 2
.LBB3_28:                               ; =>This Inner Loop Header: Depth=1
	v_add_co_u32 v3, vcc_lo, s4, v1
	s_wait_alu 0xfffd
	v_add_co_ci_u32_e64 v4, null, s5, v2, vcc_lo
	v_add_nc_u32_e32 v0, s1, v0
	global_load_b32 v5, v[3:4], off
	v_add_co_u32 v3, vcc_lo, s2, v1
	s_wait_alu 0xfffd
	v_add_co_ci_u32_e64 v4, null, s3, v2, vcc_lo
	v_cmp_lt_u32_e32 vcc_lo, 63, v0
	v_add_co_u32 v1, s0, v1, s7
	s_wait_alu 0xf1ff
	v_add_co_ci_u32_e64 v2, null, 0, v2, s0
	s_or_b32 s6, vcc_lo, s6
	s_wait_loadcnt 0x0
	global_store_b32 v[3:4], v5, off
	s_wait_alu 0xfffe
	s_and_not1_b32 exec_lo, exec_lo, s6
	s_cbranch_execnz .LBB3_28
.LBB3_29:
	s_endpgm
	.section	.rodata,"a",@progbits
	.p2align	6, 0x0
	.amdhsa_kernel _ZN4vllm32paged_attention_v2_reduce_kernelIfLi64ELi128ELi512EEEvPT_PKfS4_PKS1_PKii
		.amdhsa_group_segment_fixed_size 32
		.amdhsa_private_segment_fixed_size 0
		.amdhsa_kernarg_size 304
		.amdhsa_user_sgpr_count 2
		.amdhsa_user_sgpr_dispatch_ptr 0
		.amdhsa_user_sgpr_queue_ptr 0
		.amdhsa_user_sgpr_kernarg_segment_ptr 1
		.amdhsa_user_sgpr_dispatch_id 0
		.amdhsa_user_sgpr_private_segment_size 0
		.amdhsa_wavefront_size32 1
		.amdhsa_uses_dynamic_stack 0
		.amdhsa_enable_private_segment 0
		.amdhsa_system_sgpr_workgroup_id_x 1
		.amdhsa_system_sgpr_workgroup_id_y 1
		.amdhsa_system_sgpr_workgroup_id_z 0
		.amdhsa_system_sgpr_workgroup_info 0
		.amdhsa_system_vgpr_workitem_id 0
		.amdhsa_next_free_vgpr 19
		.amdhsa_next_free_sgpr 26
		.amdhsa_reserve_vcc 1
		.amdhsa_float_round_mode_32 0
		.amdhsa_float_round_mode_16_64 0
		.amdhsa_float_denorm_mode_32 3
		.amdhsa_float_denorm_mode_16_64 3
		.amdhsa_fp16_overflow 0
		.amdhsa_workgroup_processor_mode 1
		.amdhsa_memory_ordered 1
		.amdhsa_forward_progress 1
		.amdhsa_inst_pref_size 17
		.amdhsa_round_robin_scheduling 0
		.amdhsa_exception_fp_ieee_invalid_op 0
		.amdhsa_exception_fp_denorm_src 0
		.amdhsa_exception_fp_ieee_div_zero 0
		.amdhsa_exception_fp_ieee_overflow 0
		.amdhsa_exception_fp_ieee_underflow 0
		.amdhsa_exception_fp_ieee_inexact 0
		.amdhsa_exception_int_div_zero 0
	.end_amdhsa_kernel
	.section	.text._ZN4vllm32paged_attention_v2_reduce_kernelIfLi64ELi128ELi512EEEvPT_PKfS4_PKS1_PKii,"axG",@progbits,_ZN4vllm32paged_attention_v2_reduce_kernelIfLi64ELi128ELi512EEEvPT_PKfS4_PKS1_PKii,comdat
.Lfunc_end3:
	.size	_ZN4vllm32paged_attention_v2_reduce_kernelIfLi64ELi128ELi512EEEvPT_PKfS4_PKS1_PKii, .Lfunc_end3-_ZN4vllm32paged_attention_v2_reduce_kernelIfLi64ELi128ELi512EEEvPT_PKfS4_PKS1_PKii
                                        ; -- End function
	.set _ZN4vllm32paged_attention_v2_reduce_kernelIfLi64ELi128ELi512EEEvPT_PKfS4_PKS1_PKii.num_vgpr, 19
	.set _ZN4vllm32paged_attention_v2_reduce_kernelIfLi64ELi128ELi512EEEvPT_PKfS4_PKS1_PKii.num_agpr, 0
	.set _ZN4vllm32paged_attention_v2_reduce_kernelIfLi64ELi128ELi512EEEvPT_PKfS4_PKS1_PKii.numbered_sgpr, 26
	.set _ZN4vllm32paged_attention_v2_reduce_kernelIfLi64ELi128ELi512EEEvPT_PKfS4_PKS1_PKii.num_named_barrier, 0
	.set _ZN4vllm32paged_attention_v2_reduce_kernelIfLi64ELi128ELi512EEEvPT_PKfS4_PKS1_PKii.private_seg_size, 0
	.set _ZN4vllm32paged_attention_v2_reduce_kernelIfLi64ELi128ELi512EEEvPT_PKfS4_PKS1_PKii.uses_vcc, 1
	.set _ZN4vllm32paged_attention_v2_reduce_kernelIfLi64ELi128ELi512EEEvPT_PKfS4_PKS1_PKii.uses_flat_scratch, 0
	.set _ZN4vllm32paged_attention_v2_reduce_kernelIfLi64ELi128ELi512EEEvPT_PKfS4_PKS1_PKii.has_dyn_sized_stack, 0
	.set _ZN4vllm32paged_attention_v2_reduce_kernelIfLi64ELi128ELi512EEEvPT_PKfS4_PKS1_PKii.has_recursion, 0
	.set _ZN4vllm32paged_attention_v2_reduce_kernelIfLi64ELi128ELi512EEEvPT_PKfS4_PKS1_PKii.has_indirect_call, 0
	.section	.AMDGPU.csdata,"",@progbits
; Kernel info:
; codeLenInByte = 2132
; TotalNumSgprs: 28
; NumVgprs: 19
; ScratchSize: 0
; MemoryBound: 0
; FloatMode: 240
; IeeeMode: 1
; LDSByteSize: 32 bytes/workgroup (compile time only)
; SGPRBlocks: 0
; VGPRBlocks: 2
; NumSGPRsForWavesPerEU: 28
; NumVGPRsForWavesPerEU: 19
; Occupancy: 16
; WaveLimiterHint : 0
; COMPUTE_PGM_RSRC2:SCRATCH_EN: 0
; COMPUTE_PGM_RSRC2:USER_SGPR: 2
; COMPUTE_PGM_RSRC2:TRAP_HANDLER: 0
; COMPUTE_PGM_RSRC2:TGID_X_EN: 1
; COMPUTE_PGM_RSRC2:TGID_Y_EN: 1
; COMPUTE_PGM_RSRC2:TGID_Z_EN: 0
; COMPUTE_PGM_RSRC2:TIDIG_COMP_CNT: 0
	.section	.text._ZN4vllm25paged_attention_v2_kernelIffLi80ELi8ELi128ELNS_18Fp8KVCacheDataTypeE0ELb1ELi512EEEvPfS2_PT_PKS3_PKT0_S9_ifPKiSB_iPKfiiiSD_SD_iiiii,"axG",@progbits,_ZN4vllm25paged_attention_v2_kernelIffLi80ELi8ELi128ELNS_18Fp8KVCacheDataTypeE0ELb1ELi512EEEvPfS2_PT_PKS3_PKT0_S9_ifPKiSB_iPKfiiiSD_SD_iiiii,comdat
	.protected	_ZN4vllm25paged_attention_v2_kernelIffLi80ELi8ELi128ELNS_18Fp8KVCacheDataTypeE0ELb1ELi512EEEvPfS2_PT_PKS3_PKT0_S9_ifPKiSB_iPKfiiiSD_SD_iiiii ; -- Begin function _ZN4vllm25paged_attention_v2_kernelIffLi80ELi8ELi128ELNS_18Fp8KVCacheDataTypeE0ELb1ELi512EEEvPfS2_PT_PKS3_PKT0_S9_ifPKiSB_iPKfiiiSD_SD_iiiii
	.globl	_ZN4vllm25paged_attention_v2_kernelIffLi80ELi8ELi128ELNS_18Fp8KVCacheDataTypeE0ELb1ELi512EEEvPfS2_PT_PKS3_PKT0_S9_ifPKiSB_iPKfiiiSD_SD_iiiii
	.p2align	8
	.type	_ZN4vllm25paged_attention_v2_kernelIffLi80ELi8ELi128ELNS_18Fp8KVCacheDataTypeE0ELb1ELi512EEEvPfS2_PT_PKS3_PKT0_S9_ifPKiSB_iPKfiiiSD_SD_iiiii,@function
_ZN4vllm25paged_attention_v2_kernelIffLi80ELi8ELi128ELNS_18Fp8KVCacheDataTypeE0ELb1ELi512EEEvPfS2_PT_PKS3_PKT0_S9_ifPKiSB_iPKfiiiSD_SD_iiiii: ; @_ZN4vllm25paged_attention_v2_kernelIffLi80ELi8ELi128ELNS_18Fp8KVCacheDataTypeE0ELb1ELi512EEEvPfS2_PT_PKS3_PKT0_S9_ifPKiSB_iPKfiiiSD_SD_iiiii
; %bb.0:
	s_load_b64 s[2:3], s[0:1], 0x40
	s_and_b32 s20, ttmp7, 0xffff
	s_lshr_b32 s30, ttmp7, 16
	s_lshl_b32 s4, s20, 2
	s_lshl_b32 s33, s30, 9
	s_wait_kmcnt 0x0
	s_load_b32 s31, s[2:3], s4 offset:0x0
	s_wait_kmcnt 0x0
	s_cmp_ge_i32 s33, s31
	s_cbranch_scc1 .LBB4_76
; %bb.1:
	s_clause 0x1
	s_load_b32 s21, s[0:1], 0x90
	s_load_b64 s[6:7], s[0:1], 0x30
	s_wait_kmcnt 0x0
	s_abs_i32 s5, s21
	s_abs_i32 s2, s6
	s_delay_alu instid0(SALU_CYCLE_1) | instskip(SKIP_1) | instid1(SALU_CYCLE_2)
	s_cvt_f32_u32 s3, s2
	s_sub_co_i32 s4, 0, s2
	v_rcp_iflag_f32_e32 v1, s3
	s_delay_alu instid0(TRANS32_DEP_1) | instskip(SKIP_2) | instid1(SALU_CYCLE_2)
	v_readfirstlane_b32 s3, v1
	s_mul_f32 s3, s3, 0x4f7ffffe
	s_wait_alu 0xfffe
	s_cvt_u32_f32 s3, s3
	s_wait_alu 0xfffe
	s_delay_alu instid0(SALU_CYCLE_2) | instskip(NEXT) | instid1(SALU_CYCLE_1)
	s_mul_i32 s4, s4, s3
	s_mul_hi_u32 s4, s3, s4
	s_delay_alu instid0(SALU_CYCLE_1)
	s_add_co_i32 s3, s3, s4
	s_xor_b32 s4, s21, s6
	s_wait_alu 0xfffe
	s_mul_hi_u32 s3, s5, s3
	s_ashr_i32 s4, s4, 31
	s_wait_alu 0xfffe
	s_mul_i32 s8, s3, s2
	s_delay_alu instid0(SALU_CYCLE_1)
	s_sub_co_i32 s5, s5, s8
	s_add_co_i32 s8, s3, 1
	s_sub_co_i32 s9, s5, s2
	s_cmp_ge_u32 s5, s2
	s_cselect_b32 s3, s8, s3
	s_cselect_b32 s5, s9, s5
	s_wait_alu 0xfffe
	s_add_co_i32 s8, s3, 1
	s_cmp_ge_u32 s5, s2
	s_cselect_b32 s2, s8, s3
	s_load_b64 s[8:9], s[0:1], 0x50
	s_xor_b32 s2, s2, s4
	s_mov_b32 s3, 0
	s_wait_alu 0xfffe
	s_sub_co_i32 s10, s2, s4
	s_mov_b32 s15, s3
	s_abs_i32 s18, s10
	s_delay_alu instid0(SALU_CYCLE_1) | instskip(SKIP_1) | instid1(SALU_CYCLE_2)
	s_cvt_f32_u32 s2, s18
	s_wait_alu 0xfffe
	v_rcp_iflag_f32_e32 v1, s2
	s_delay_alu instid0(TRANS32_DEP_1) | instskip(SKIP_2) | instid1(SALU_CYCLE_2)
	v_readfirstlane_b32 s2, v1
	s_mul_f32 s2, s2, 0x4f7ffffe
	s_wait_alu 0xfffe
	s_cvt_u32_f32 s4, s2
	s_sub_co_i32 s2, 0, s18
	s_wait_alu 0xfffe
	s_delay_alu instid0(SALU_CYCLE_1)
	s_mul_i32 s2, s2, s4
	s_wait_alu 0xfffe
	s_mul_hi_u32 s5, s4, s2
	s_abs_i32 s2, ttmp9
	s_add_co_i32 s4, s4, s5
	s_mov_b32 s5, s3
	s_wait_kmcnt 0x0
	s_cmp_eq_u64 s[8:9], 0
	s_cbranch_scc1 .LBB4_3
; %bb.2:
	s_mov_b32 s12, ttmp9
	s_ashr_i32 s13, ttmp9, 31
	s_delay_alu instid0(SALU_CYCLE_1) | instskip(NEXT) | instid1(SALU_CYCLE_1)
	s_lshl_b64 s[12:13], s[12:13], 2
	s_add_nc_u64 s[8:9], s[8:9], s[12:13]
	s_load_b32 s15, s[8:9], 0x0
.LBB4_3:
	s_load_b96 s[12:14], s[0:1], 0x58
	v_and_b32_e32 v1, 3, v0
	v_lshlrev_b32_e32 v3, 2, v0
	s_mul_u64 s[4:5], s[2:3], s[4:5]
	s_ashr_i32 s3, ttmp9, 31
	s_ashr_i32 s4, s10, 31
	s_mul_i32 s16, ttmp9, 0x50
	s_mov_b32 s8, exec_lo
	v_cmpx_gt_u32_e32 0x50, v0
	s_cbranch_execz .LBB4_5
; %bb.4:
	s_load_b64 s[10:11], s[0:1], 0x18
	s_wait_kmcnt 0x0
	s_mul_i32 s22, s12, s20
	s_ashr_i32 s17, s16, 31
	s_ashr_i32 s23, s22, 31
	v_and_b32_e32 v4, 0x3fc, v0
	s_lshl_b64 s[22:23], s[22:23], 2
	s_delay_alu instid0(VALU_DEP_1) | instskip(SKIP_2) | instid1(SALU_CYCLE_1)
	v_mad_u32_u24 v4, 0x50, v1, v4
	s_add_nc_u64 s[10:11], s[10:11], s[22:23]
	s_lshl_b64 s[22:23], s[16:17], 2
	s_add_nc_u64 s[10:11], s[10:11], s[22:23]
	global_load_b32 v2, v3, s[10:11]
	s_wait_loadcnt 0x0
	ds_store_b32 v4, v2
.LBB4_5:
	s_or_b32 exec_lo, exec_lo, s8
	s_clause 0x1
	s_load_b128 s[8:11], s[0:1], 0x78
	s_load_b32 s22, s[0:1], 0x88
	s_wait_kmcnt 0x0
	s_mul_i32 s12, s5, s18
	s_xor_b32 s3, s3, s4
	s_sub_co_i32 s2, s2, s12
	s_add_co_i32 s4, s5, 1
	s_wait_alu 0xfffe
	s_sub_co_i32 s12, s2, s18
	s_cmp_ge_u32 s2, s18
	s_mov_b32 s24, -1
	s_cselect_b32 s4, s4, s5
	s_cselect_b32 s2, s12, s2
	s_add_co_i32 s5, s4, 1
	s_wait_alu 0xfffe
	s_cmp_ge_u32 s2, s18
	s_wait_dscnt 0x0
	s_cselect_b32 s2, s5, s4
	s_add_co_i32 s23, s31, -1
	s_wait_alu 0xfffe
	s_xor_b32 s2, s2, s3
	s_barrier_signal -1
	s_wait_alu 0xfffe
	s_sub_co_i32 s26, s2, s3
	s_barrier_wait -1
	s_abs_i32 s12, s11
	global_inv scope:SCOPE_SE
	s_cvt_f32_u32 s4, s12
                                        ; implicit-def: $sgpr17
	s_delay_alu instid0(SALU_CYCLE_3) | instskip(NEXT) | instid1(TRANS32_DEP_1)
	v_rcp_iflag_f32_e32 v2, s4
	v_readfirstlane_b32 s4, v2
	s_mul_f32 s2, s4, 0x4f7ffffe
	s_wait_alu 0xfffe
	s_delay_alu instid0(SALU_CYCLE_2) | instskip(SKIP_2) | instid1(SALU_CYCLE_1)
	s_cvt_u32_f32 s4, s2
	s_sub_co_i32 s2, 0, s12
	s_wait_alu 0xfffe
	s_mul_i32 s3, s2, s4
	s_abs_i32 s2, s23
	s_wait_alu 0xfffe
	s_mul_hi_u32 s5, s4, s3
	s_mov_b32 s3, 0
	s_wait_alu 0xfffe
	s_add_co_i32 s18, s4, s5
	s_cmp_lt_i32 s22, 0
	s_mov_b32 s19, s3
	s_cbranch_scc0 .LBB4_7
; %bb.6:
	s_mul_i32 s4, s8, s6
	s_mov_b32 s24, s3
	s_wait_alu 0xfffe
	s_add_co_i32 s4, s26, s4
	s_wait_alu 0xfffe
	s_mul_i32 s4, s4, s22
	s_wait_alu 0xfffe
	s_sub_co_i32 s17, 1, s4
.LBB4_7:
	s_mul_u64 s[4:5], s[2:3], s[18:19]
	s_ashr_i32 s3, s23, 31
	s_and_not1_b32 vcc_lo, exec_lo, s24
	s_ashr_i32 s11, s11, 31
	s_cbranch_vccnz .LBB4_9
; %bb.8:
	s_mul_i32 s4, s21, s8
	s_wait_alu 0xfffe
	s_add_co_i32 s4, s4, ttmp9
	s_wait_alu 0xfffe
	s_mul_i32 s4, s4, s22
	s_wait_alu 0xfffe
	s_add_co_i32 s17, s4, 1
.LBB4_9:
	s_clause 0x2
	s_load_b32 s4, s[0:1], 0x48
	s_load_b64 s[22:23], s[0:1], 0x38
	s_load_b32 s8, s[0:1], 0x98
	s_mul_i32 s6, s5, s12
	s_xor_b32 s3, s3, s11
	s_sub_co_i32 s2, s2, s6
	s_add_co_i32 s19, s5, 1
	v_lshrrev_b32_e32 v27, 5, v0
	v_mbcnt_lo_u32_b32 v5, -1, 0
	s_mul_i32 s26, s26, s14
	s_delay_alu instid0(VALU_DEP_2)
	v_lshl_add_u32 v28, v27, 3, s33
	s_wait_kmcnt 0x0
	s_mul_i32 s24, s4, s20
	s_wait_alu 0xfffe
	s_sub_co_i32 s4, s2, s12
	s_ashr_i32 s25, s24, 31
	s_cmp_ge_u32 s2, s12
	s_cselect_b32 s5, s19, s5
	s_wait_alu 0xfffe
	s_cselect_b32 s2, s4, s2
	s_add_co_i32 s4, s5, 1
	s_wait_alu 0xfffe
	s_cmp_ge_u32 s2, s12
	s_cselect_b32 s2, s4, s5
	s_add_co_i32 s4, s31, 7
	s_lshl_b32 s36, s30, 6
	s_wait_alu 0xfffe
	s_ashr_i32 s5, s4, 31
	v_or_b32_e32 v29, s36, v27
	s_wait_alu 0xfffe
	s_lshr_b32 s5, s5, 29
	v_mov_b32_e32 v7, 0xff7fffff
	s_wait_alu 0xfffe
	s_add_co_i32 s4, s4, s5
	s_add_co_i32 s5, s36, 64
	s_wait_alu 0xfffe
	s_ashr_i32 s34, s4, 3
	s_xor_b32 s4, s2, s3
	s_min_i32 s19, s5, s34
	v_lshlrev_b32_e32 v4, 2, v29
	v_cmp_gt_i32_e64 s2, s19, v29
	s_wait_alu 0xfffe
	s_sub_co_i32 s35, s4, s3
	s_and_saveexec_b32 s6, s2
	s_cbranch_execz .LBB4_21
; %bb.10:
	s_ashr_i32 s27, s26, 31
	s_sub_co_i32 s14, s35, s9
	s_lshl_b64 s[4:5], s[26:27], 2
	s_cmp_neq_f32 s15, 0
	s_load_b64 s[38:39], s[0:1], 0x20
	v_bfe_u32 v6, v0, 2, 3
	v_dual_mov_b32 v14, 0xff7fffff :: v_dual_lshlrev_b32 v7, 2, v1
	s_cselect_b32 vcc_lo, -1, 0
	s_abs_i32 s27, s10
	v_mul_u32_u24_e32 v8, 0x50, v1
	s_cvt_f32_u32 s3, s27
	v_lshlrev_b32_e32 v9, 4, v6
	s_lshl_b64 s[40:41], s[24:25], 2
	v_subrev_nc_u32_e32 v12, s31, v6
	s_wait_alu 0xfffe
	v_rcp_iflag_f32_e32 v2, s3
	v_cmp_eq_u32_e64 s3, 0, v1
	v_lshlrev_b32_e32 v1, 2, v6
	s_add_nc_u64 s[40:41], s[22:23], s[40:41]
	s_sub_co_i32 s37, 0, s27
	v_lshl_add_u32 v11, v27, 3, s33
	v_add_nc_u32_e32 v12, 1, v12
	v_lshl_or_b32 v13, v27, 5, v1
	v_xor_b32_e32 v15, 2, v5
	s_wait_kmcnt 0x0
	s_add_nc_u64 s[4:5], s[38:39], s[4:5]
	v_readfirstlane_b32 s29, v2
	s_wait_alu 0xfffe
	v_add_co_u32 v1, s4, s4, v9
	s_wait_alu 0xf1ff
	v_add_co_ci_u32_e64 v2, null, s5, 0, s4
	s_mul_f32 s29, s29, 0x4f7ffffe
	v_add_co_u32 v9, s4, v1, v7
	s_wait_alu 0xf1ff
	v_add_co_ci_u32_e64 v10, null, 0, v2, s4
	s_cvt_u32_f32 s5, s29
	v_add_co_u32 v1, s4, s40, v4
	s_wait_alu 0xf1ff
	v_add_co_ci_u32_e64 v2, null, s41, 0, s4
	s_wait_alu 0xfffe
	s_mul_i32 s37, s37, s5
	v_add_nc_u32_e32 v13, 0x160, v13
	v_xor_b32_e32 v16, 1, v5
	v_mov_b32_e32 v7, 0xff7fffff
	v_mov_b32_e32 v17, v29
	s_wait_alu 0xfffe
	s_mul_hi_u32 s4, s5, s37
	s_mov_b32 s28, 0
	s_mov_b32 s29, s13
	s_wait_alu 0xfffe
	s_add_co_i32 s37, s5, s4
	s_branch .LBB4_13
.LBB4_11:                               ;   in Loop: Header=BB4_13 Depth=1
	s_or_b32 exec_lo, exec_lo, s38
.LBB4_12:                               ;   in Loop: Header=BB4_13 Depth=1
	s_wait_alu 0xfffe
	s_or_b32 exec_lo, exec_lo, s5
	v_add_nc_u32_e32 v17, 4, v17
	v_add_co_u32 v1, s5, v1, 16
	s_wait_alu 0xf1ff
	v_add_co_ci_u32_e64 v2, null, 0, v2, s5
	s_delay_alu instid0(VALU_DEP_3)
	v_cmp_le_i32_e64 s4, s19, v17
	v_add_nc_u32_e32 v11, 32, v11
	v_add_nc_u32_e32 v13, 0x80, v13
	s_or_b32 s28, s4, s28
	s_wait_alu 0xfffe
	s_and_not1_b32 exec_lo, exec_lo, s28
	s_cbranch_execz .LBB4_20
.LBB4_13:                               ; =>This Inner Loop Header: Depth=1
	v_sub_nc_u32_e32 v18, 0, v11
	s_delay_alu instid0(VALU_DEP_1) | instskip(SKIP_1) | instid1(VALU_DEP_1)
	v_max_i32_e32 v18, v11, v18
	s_wait_dscnt 0x0
	v_mul_hi_u32 v19, v18, s18
	s_delay_alu instid0(VALU_DEP_1) | instskip(NEXT) | instid1(VALU_DEP_1)
	v_mul_lo_u32 v20, v19, s12
	v_sub_nc_u32_e32 v18, v18, v20
	v_add_nc_u32_e32 v20, 1, v19
	s_delay_alu instid0(VALU_DEP_2) | instskip(SKIP_2) | instid1(VALU_DEP_1)
	v_subrev_nc_u32_e32 v21, s12, v18
	v_cmp_le_u32_e64 s4, s12, v18
	s_wait_alu 0xf1ff
	v_cndmask_b32_e64 v19, v19, v20, s4
	s_delay_alu instid0(VALU_DEP_3) | instskip(SKIP_1) | instid1(VALU_DEP_3)
	v_cndmask_b32_e64 v18, v18, v21, s4
	v_ashrrev_i32_e32 v20, 31, v11
	v_add_nc_u32_e32 v21, 1, v19
	s_delay_alu instid0(VALU_DEP_3) | instskip(NEXT) | instid1(VALU_DEP_3)
	v_cmp_le_u32_e64 s4, s12, v18
	v_xor_b32_e32 v20, s11, v20
	s_wait_alu 0xf1ff
	s_delay_alu instid0(VALU_DEP_2) | instskip(NEXT) | instid1(VALU_DEP_1)
	v_cndmask_b32_e64 v18, v19, v21, s4
	v_xor_b32_e32 v18, v18, v20
	s_delay_alu instid0(VALU_DEP_1) | instskip(NEXT) | instid1(VALU_DEP_1)
	v_sub_nc_u32_e32 v18, v18, v20
	v_add_nc_u32_e32 v19, s17, v18
	v_cmp_ge_i32_e64 s5, s14, v18
	s_delay_alu instid0(VALU_DEP_2) | instskip(NEXT) | instid1(VALU_DEP_1)
	v_sub_nc_u32_e32 v20, 0, v19
	v_max_i32_e32 v20, v19, v20
	v_ashrrev_i32_e32 v19, 31, v19
	s_wait_alu 0xfffe
	s_delay_alu instid0(VALU_DEP_2) | instskip(NEXT) | instid1(VALU_DEP_1)
	v_mul_hi_u32 v21, v20, s37
	v_mul_lo_u32 v21, v21, s27
	s_delay_alu instid0(VALU_DEP_1) | instskip(NEXT) | instid1(VALU_DEP_1)
	v_sub_nc_u32_e32 v20, v20, v21
	v_subrev_nc_u32_e32 v21, s27, v20
	v_cmp_le_u32_e64 s4, s27, v20
	s_wait_alu 0xf1ff
	s_delay_alu instid0(VALU_DEP_1) | instskip(NEXT) | instid1(VALU_DEP_1)
	v_cndmask_b32_e64 v20, v20, v21, s4
	v_subrev_nc_u32_e32 v21, s27, v20
	v_cmp_le_u32_e64 s4, s27, v20
	s_wait_alu 0xf1ff
	s_delay_alu instid0(VALU_DEP_1) | instskip(NEXT) | instid1(VALU_DEP_1)
	v_cndmask_b32_e64 v20, v20, v21, s4
	v_xor_b32_e32 v20, v20, v19
	s_delay_alu instid0(VALU_DEP_1) | instskip(NEXT) | instid1(VALU_DEP_1)
	v_sub_nc_u32_e32 v19, v20, v19
	v_cmp_ne_u32_e64 s4, 0, v19
	s_and_b32 s4, s4, s5
	s_wait_alu 0xfffe
	s_and_saveexec_b32 s5, s4
	s_wait_alu 0xfffe
	s_xor_b32 s4, exec_lo, s5
	s_cbranch_execz .LBB4_17
; %bb.14:                               ;   in Loop: Header=BB4_13 Depth=1
	s_and_saveexec_b32 s5, s3
; %bb.15:                               ;   in Loop: Header=BB4_13 Depth=1
	ds_store_b32 v13, v14
; %bb.16:                               ;   in Loop: Header=BB4_13 Depth=1
	s_wait_alu 0xfffe
	s_or_b32 exec_lo, exec_lo, s5
.LBB4_17:                               ;   in Loop: Header=BB4_13 Depth=1
	s_wait_alu 0xfffe
	s_and_not1_saveexec_b32 s5, s4
	s_cbranch_execz .LBB4_12
; %bb.18:                               ;   in Loop: Header=BB4_13 Depth=1
	global_load_b32 v18, v[1:2], off
	s_wait_loadcnt 0x0
	v_mad_co_i64_i32 v[18:19], null, v18, s29, 0
	s_delay_alu instid0(VALU_DEP_1) | instskip(NEXT) | instid1(VALU_DEP_1)
	v_lshlrev_b64_e32 v[18:19], 2, v[18:19]
	v_add_co_u32 v18, s4, v9, v18
	s_wait_alu 0xf1ff
	s_delay_alu instid0(VALU_DEP_2)
	v_add_co_ci_u32_e64 v19, null, v10, v19, s4
	v_cmp_gt_i32_e64 s4, 32, v15
	s_clause 0x13
	global_load_b32 v26, v[18:19], off offset:128
	global_load_b32 v30, v[18:19], off
	global_load_b32 v31, v[18:19], off offset:256
	global_load_b32 v32, v[18:19], off offset:384
	;; [unrolled: 1-line block ×18, first 2 shown]
	ds_load_b128 v[18:21], v8
	ds_load_b128 v[22:25], v8 offset:16
	s_wait_loadcnt_dscnt 0x1301
	v_mul_f32_e32 v26, v19, v26
	s_wait_loadcnt 0x12
	s_delay_alu instid0(VALU_DEP_1) | instskip(SKIP_1) | instid1(VALU_DEP_1)
	v_fmac_f32_e32 v26, v18, v30
	s_wait_loadcnt 0x11
	v_fmac_f32_e32 v26, v20, v31
	s_wait_loadcnt 0x10
	s_delay_alu instid0(VALU_DEP_1) | instskip(SKIP_4) | instid1(VALU_DEP_1)
	v_fmac_f32_e32 v26, v21, v32
	ds_load_b128 v[18:21], v8 offset:32
	s_wait_loadcnt_dscnt 0xf01
	v_fmac_f32_e32 v26, v22, v33
	s_wait_loadcnt 0xe
	v_fmac_f32_e32 v26, v23, v34
	s_wait_loadcnt 0xd
	s_delay_alu instid0(VALU_DEP_1) | instskip(SKIP_1) | instid1(VALU_DEP_1)
	v_fmac_f32_e32 v26, v24, v35
	s_wait_loadcnt 0xc
	v_fmac_f32_e32 v26, v25, v36
	ds_load_b128 v[22:25], v8 offset:48
	s_wait_loadcnt_dscnt 0xb01
	v_fmac_f32_e32 v26, v18, v37
	s_wait_loadcnt 0xa
	s_delay_alu instid0(VALU_DEP_1) | instskip(SKIP_1) | instid1(VALU_DEP_1)
	v_fmac_f32_e32 v26, v19, v38
	s_wait_loadcnt 0x9
	v_fmac_f32_e32 v26, v20, v39
	s_wait_loadcnt 0x8
	s_delay_alu instid0(VALU_DEP_1) | instskip(SKIP_4) | instid1(VALU_DEP_1)
	v_fmac_f32_e32 v26, v21, v40
	ds_load_b128 v[18:21], v8 offset:64
	s_wait_loadcnt_dscnt 0x701
	v_fmac_f32_e32 v26, v22, v41
	s_wait_loadcnt 0x6
	v_fmac_f32_e32 v26, v23, v42
	s_wait_loadcnt 0x5
	s_delay_alu instid0(VALU_DEP_1) | instskip(SKIP_1) | instid1(VALU_DEP_1)
	v_fmac_f32_e32 v26, v24, v43
	s_wait_loadcnt 0x4
	v_fmac_f32_e32 v26, v25, v44
	s_wait_loadcnt_dscnt 0x300
	s_delay_alu instid0(VALU_DEP_1)
	v_fmac_f32_e32 v26, v18, v45
	s_wait_alu 0xf1ff
	v_cndmask_b32_e64 v18, v5, v15, s4
	v_cmp_gt_i32_e64 s4, 32, v16
	s_wait_loadcnt 0x2
	v_fmac_f32_e32 v26, v19, v46
	s_delay_alu instid0(VALU_DEP_3)
	v_lshlrev_b32_e32 v18, 2, v18
	s_wait_alu 0xf1ff
	v_cndmask_b32_e64 v19, v5, v16, s4
	s_wait_loadcnt 0x1
	v_fmac_f32_e32 v26, v20, v47
	s_wait_loadcnt 0x0
	s_delay_alu instid0(VALU_DEP_1)
	v_dual_fmac_f32 v26, v21, v48 :: v_dual_lshlrev_b32 v19, 2, v19
	ds_bpermute_b32 v18, v18, v26
	s_wait_dscnt 0x0
	v_add_f32_e32 v18, v26, v18
	ds_bpermute_b32 v19, v19, v18
	s_and_saveexec_b32 s38, s3
	s_cbranch_execz .LBB4_11
; %bb.19:                               ;   in Loop: Header=BB4_13 Depth=1
	s_wait_dscnt 0x0
	v_add_f32_e32 v18, v18, v19
	v_add_nc_u32_e32 v20, v12, v11
	s_delay_alu instid0(VALU_DEP_1) | instskip(NEXT) | instid1(VALU_DEP_1)
	v_cvt_f32_i32_e32 v20, v20
	v_mul_f32_e32 v20, s15, v20
	s_delay_alu instid0(VALU_DEP_1) | instskip(NEXT) | instid1(VALU_DEP_1)
	v_dual_cndmask_b32 v19, 0, v20 :: v_dual_max_num_f32 v20, v7, v7
	v_dual_fmac_f32 v19, s7, v18 :: v_dual_add_nc_u32 v18, v6, v11
	s_delay_alu instid0(VALU_DEP_1) | instskip(NEXT) | instid1(VALU_DEP_2)
	v_max_num_f32_e32 v20, v20, v19
	v_cmp_gt_i32_e64 s4, s31, v18
	s_wait_alu 0xf1ff
	s_delay_alu instid0(VALU_DEP_1) | instskip(NEXT) | instid1(VALU_DEP_3)
	v_cndmask_b32_e64 v18, 0, v19, s4
	v_cndmask_b32_e64 v7, v7, v20, s4
	ds_store_b32 v13, v18
	s_branch .LBB4_11
.LBB4_20:
	s_or_b32 exec_lo, exec_lo, s28
.LBB4_21:
	s_delay_alu instid0(SALU_CYCLE_1)
	s_or_b32 exec_lo, exec_lo, s6
	v_xor_b32_e32 v1, 16, v5
	v_xor_b32_e32 v6, 8, v5
	v_xor_b32_e32 v8, 4, v5
	s_clause 0x2
	s_load_b128 s[4:7], s[0:1], 0x0
	s_load_b64 s[14:15], s[0:1], 0x10
	s_load_b64 s[28:29], s[0:1], 0x28
	v_and_b32_e32 v30, 31, v0
	v_cmp_gt_i32_e32 vcc_lo, 32, v1
	s_wait_alu 0xfffd
	v_cndmask_b32_e32 v1, v5, v1, vcc_lo
	v_cmp_gt_i32_e32 vcc_lo, 32, v6
	s_wait_alu 0xfffd
	v_cndmask_b32_e32 v6, v5, v6, vcc_lo
	v_cmp_gt_i32_e32 vcc_lo, 32, v8
	s_delay_alu instid0(VALU_DEP_2)
	v_lshlrev_b32_e32 v6, 2, v6
	v_lshlrev_b32_e32 v2, 2, v1
	s_wait_alu 0xfffd
	v_cndmask_b32_e32 v8, v5, v8, vcc_lo
	v_cmp_eq_u32_e32 vcc_lo, 0, v30
	ds_bpermute_b32 v1, v2, v7
	v_max_num_f32_e32 v7, v7, v7
	v_lshlrev_b32_e32 v9, 2, v8
	s_wait_dscnt 0x0
	v_max_num_f32_e32 v1, v1, v1
	s_delay_alu instid0(VALU_DEP_1) | instskip(SKIP_3) | instid1(VALU_DEP_1)
	v_max_num_f32_e32 v1, v7, v1
	ds_bpermute_b32 v7, v6, v1
	s_wait_dscnt 0x0
	v_max_num_f32_e32 v7, v7, v7
	v_max_num_f32_e32 v1, v1, v7
	v_lshlrev_b32_e32 v7, 2, v27
	ds_bpermute_b32 v8, v9, v1
	s_and_saveexec_b32 s0, vcc_lo
	s_cbranch_execz .LBB4_23
; %bb.22:
	s_wait_dscnt 0x0
	v_dual_max_num_f32 v8, v8, v8 :: v_dual_max_num_f32 v1, v1, v1
	s_delay_alu instid0(VALU_DEP_1)
	v_max_num_f32_e32 v1, v1, v8
	ds_store_b32 v7, v1 offset:320
.LBB4_23:
	s_or_b32 exec_lo, exec_lo, s0
	v_cmp_gt_u32_e64 s0, 4, v30
	s_wait_dscnt 0x0
	v_dual_mov_b32 v1, 0xff7fffff :: v_dual_lshlrev_b32 v8, 2, v30
	s_wait_loadcnt 0x0
	s_barrier_signal -1
	s_barrier_wait -1
	global_inv scope:SCOPE_SE
	s_and_saveexec_b32 s1, s0
; %bb.24:
	ds_load_b32 v1, v8 offset:320
; %bb.25:
	s_or_b32 exec_lo, exec_lo, s1
	v_xor_b32_e32 v10, 2, v5
	v_xor_b32_e32 v12, 1, v5
	s_delay_alu instid0(VALU_DEP_2) | instskip(NEXT) | instid1(VALU_DEP_1)
	v_cmp_gt_i32_e64 s1, 32, v10
	v_cndmask_b32_e64 v10, v5, v10, s1
	s_delay_alu instid0(VALU_DEP_3) | instskip(NEXT) | instid1(VALU_DEP_2)
	v_cmp_gt_i32_e64 s1, 32, v12
	v_lshlrev_b32_e32 v10, 2, v10
	s_wait_alu 0xf1ff
	s_delay_alu instid0(VALU_DEP_2)
	v_cndmask_b32_e64 v5, v5, v12, s1
	s_sub_co_i32 s1, s19, s36
	s_wait_alu 0xfffe
	s_lshl_b32 s1, s1, 3
	s_wait_dscnt 0x0
	ds_bpermute_b32 v11, v10, v1
	v_max_num_f32_e32 v1, v1, v1
	v_lshlrev_b32_e32 v31, 2, v5
	s_wait_alu 0xfffe
	s_add_co_i32 s1, s1, s33
	s_wait_alu 0xfffe
	s_min_i32 s1, s1, s31
	s_wait_alu 0xfffe
	s_sub_co_i32 s27, s1, s33
	s_wait_alu 0xfffe
	v_cmp_gt_i32_e64 s1, s27, v0
	s_wait_dscnt 0x0
	v_max_num_f32_e32 v11, v11, v11
	s_delay_alu instid0(VALU_DEP_1) | instskip(SKIP_4) | instid1(VALU_DEP_1)
	v_max_num_f32_e32 v1, v1, v11
	v_mov_b32_e32 v11, 0
	ds_bpermute_b32 v5, v31, v1
	s_wait_dscnt 0x0
	v_max_num_f32_e32 v5, v5, v5
	v_max_num_f32_e32 v1, v1, v5
	v_lshl_add_u32 v5, v0, 2, 0x160
	ds_bpermute_b32 v1, v11, v1
	s_and_saveexec_b32 s33, s1
	s_cbranch_execz .LBB4_29
; %bb.26:
	v_lshl_add_u32 v12, v0, 2, 0x160
	v_mov_b32_e32 v11, 0
	v_mov_b32_e32 v13, v0
	s_mov_b32 s36, 0
.LBB4_27:                               ; =>This Inner Loop Header: Depth=1
	ds_load_b32 v14, v12
	v_add_nc_u32_e32 v13, 0x80, v13
	s_delay_alu instid0(VALU_DEP_1) | instskip(SKIP_4) | instid1(VALU_DEP_1)
	v_cmp_le_i32_e64 s3, s27, v13
	s_wait_alu 0xfffe
	s_or_b32 s36, s3, s36
	s_wait_dscnt 0x0
	v_sub_f32_e32 v14, v14, v1
	v_mul_f32_e32 v14, 0x3fb8aa3b, v14
	s_delay_alu instid0(VALU_DEP_1)
	v_exp_f32_e32 v14, v14
	ds_store_b32 v12, v14
	v_dual_add_f32 v11, v11, v14 :: v_dual_add_nc_u32 v12, 0x200, v12
	s_wait_alu 0xfffe
	s_and_not1_b32 exec_lo, exec_lo, s36
	s_cbranch_execnz .LBB4_27
; %bb.28:
	s_or_b32 exec_lo, exec_lo, s36
.LBB4_29:
	s_wait_alu 0xfffe
	s_or_b32 exec_lo, exec_lo, s33
	ds_bpermute_b32 v2, v2, v11
	s_wait_dscnt 0x0
	v_add_f32_e32 v2, v11, v2
	ds_bpermute_b32 v6, v6, v2
	s_wait_dscnt 0x0
	v_add_f32_e32 v2, v2, v6
	;; [unrolled: 3-line block ×5, first 2 shown]
	s_and_saveexec_b32 s3, vcc_lo
; %bb.30:
	ds_store_b32 v7, v2 offset:336
; %bb.31:
	s_wait_alu 0xfffe
	s_or_b32 exec_lo, exec_lo, s3
	s_wait_loadcnt_dscnt 0x0
	s_barrier_signal -1
	s_barrier_wait -1
	global_inv scope:SCOPE_SE
	s_and_saveexec_b32 s3, s0
; %bb.32:
	ds_load_b32 v2, v8 offset:336
; %bb.33:
	s_wait_alu 0xfffe
	s_or_b32 exec_lo, exec_lo, s3
	s_wait_dscnt 0x0
	ds_bpermute_b32 v6, v10, v2
	s_wait_dscnt 0x0
	v_add_f32_e32 v2, v2, v6
	ds_bpermute_b32 v6, v31, v2
	s_wait_dscnt 0x0
	v_add_f32_e32 v2, v2, v6
	v_mov_b32_e32 v6, 0
	ds_bpermute_b32 v2, v6, v2
	s_and_saveexec_b32 s0, s1
	s_cbranch_execz .LBB4_36
; %bb.34:
	s_wait_dscnt 0x0
	v_add_f32_e32 v6, 0x358637bd, v2
	s_mov_b32 s1, 0
	s_delay_alu instid0(VALU_DEP_1) | instskip(SKIP_1) | instid1(VALU_DEP_2)
	v_div_scale_f32 v7, null, v6, v6, 1.0
	v_div_scale_f32 v10, vcc_lo, 1.0, v6, 1.0
	v_rcp_f32_e32 v8, v7
	s_delay_alu instid0(TRANS32_DEP_1) | instskip(NEXT) | instid1(VALU_DEP_1)
	v_fma_f32 v9, -v7, v8, 1.0
	v_fmac_f32_e32 v8, v9, v8
	s_delay_alu instid0(VALU_DEP_1) | instskip(NEXT) | instid1(VALU_DEP_1)
	v_mul_f32_e32 v9, v10, v8
	v_fma_f32 v11, -v7, v9, v10
	s_delay_alu instid0(VALU_DEP_1) | instskip(NEXT) | instid1(VALU_DEP_1)
	v_fmac_f32_e32 v9, v11, v8
	v_fma_f32 v7, -v7, v9, v10
	s_wait_alu 0xfffd
	s_delay_alu instid0(VALU_DEP_1) | instskip(NEXT) | instid1(VALU_DEP_1)
	v_div_fmas_f32 v7, v7, v8, v9
	v_div_fixup_f32 v6, v7, v6, 1.0
	v_mov_b32_e32 v7, v0
.LBB4_35:                               ; =>This Inner Loop Header: Depth=1
	ds_load_b32 v8, v5
	s_wait_dscnt 0x0
	v_dual_mul_f32 v8, v6, v8 :: v_dual_add_nc_u32 v7, 0x80, v7
	s_delay_alu instid0(VALU_DEP_1)
	v_cmp_le_i32_e32 vcc_lo, s27, v7
	ds_store_b32 v5, v8
	v_add_nc_u32_e32 v5, 0x200, v5
	s_wait_alu 0xfffe
	s_or_b32 s1, vcc_lo, s1
	s_wait_alu 0xfffe
	s_and_not1_b32 exec_lo, exec_lo, s1
	s_cbranch_execnz .LBB4_35
.LBB4_36:
	s_wait_alu 0xfffe
	s_or_b32 exec_lo, exec_lo, s0
	s_mul_i32 s0, s8, s20
	s_wait_loadcnt_dscnt 0x0
	s_wait_alu 0xfffe
	s_mul_i32 s20, s0, s21
	s_mov_b32 s0, exec_lo
	s_barrier_signal -1
	s_barrier_wait -1
	global_inv scope:SCOPE_SE
	v_cmpx_eq_u32_e32 0, v0
	s_cbranch_execz .LBB4_38
; %bb.37:
	s_ashr_i32 s21, s20, 31
	s_wait_alu 0xfffe
	s_mul_i32 s36, s8, ttmp9
	s_lshl_b32 s1, s30, 2
	s_lshl_b64 s[38:39], s[20:21], 2
	s_wait_alu 0xfffe
	s_ashr_i32 s37, s36, 31
	v_mov_b32_e32 v5, s1
	s_wait_kmcnt 0x0
	s_add_nc_u64 s[6:7], s[6:7], s[38:39]
	s_wait_alu 0xfffe
	s_lshl_b64 s[36:37], s[36:37], 2
	s_add_nc_u64 s[4:5], s[4:5], s[38:39]
	s_wait_alu 0xfffe
	s_add_nc_u64 s[6:7], s[6:7], s[36:37]
	s_add_nc_u64 s[4:5], s[4:5], s[36:37]
	s_clause 0x1
	global_store_b32 v5, v1, s[6:7]
	global_store_b32 v5, v2, s[4:5]
.LBB4_38:
	s_wait_alu 0xfffe
	s_or_b32 exec_lo, exec_lo, s0
	v_dual_mov_b32 v36, 0 :: v_dual_mov_b32 v37, 0
	v_dual_mov_b32 v35, 0 :: v_dual_and_b32 v32, 1, v0
	v_dual_mov_b32 v34, 0 :: v_dual_mov_b32 v33, 0
	s_and_saveexec_b32 s1, s2
	s_cbranch_execz .LBB4_54
; %bb.39:
	s_abs_i32 s2, s10
	v_dual_mov_b32 v35, 0 :: v_dual_lshlrev_b32 v2, 4, v0
	s_wait_alu 0xfffe
	s_cvt_f32_u32 s0, s2
	v_dual_mov_b32 v33, 0 :: v_dual_and_b32 v38, 4, v3
	v_dual_mov_b32 v34, 0 :: v_dual_lshlrev_b32 v3, 4, v32
	s_wait_alu 0xfffe
	v_rcp_iflag_f32_e32 v1, s0
	s_ashr_i32 s27, s26, 31
	s_wait_kmcnt 0x0
	s_lshl_b64 s[6:7], s[24:25], 2
	s_wait_alu 0xfffe
	s_lshl_b64 s[24:25], s[26:27], 2
	s_add_nc_u64 s[6:7], s[22:23], s[6:7]
	s_add_nc_u64 s[22:23], s[28:29], s[24:25]
	s_wait_alu 0xfffe
	v_add_co_u32 v25, s6, s6, v4
	s_sub_co_i32 s5, 0, s2
	v_add_co_ci_u32_e64 v26, null, s7, 0, s6
	v_readfirstlane_b32 s0, v1
	v_dual_mov_b32 v36, 0 :: v_dual_and_b32 v1, 0x1f0, v2
	v_lshl_or_b32 v2, v27, 5, v3
	v_mov_b32_e32 v37, 0
	s_mul_f32 s0, s0, 0x4f7ffffe
	s_delay_alu instid0(VALU_DEP_3)
	v_add_co_u32 v39, s6, s22, v1
	s_wait_alu 0xf1ff
	v_add_co_ci_u32_e64 v40, null, s23, 0, s6
	s_wait_alu 0xfffe
	s_cvt_u32_f32 s0, s0
	v_add_nc_u32_e32 v41, 0x160, v2
	s_sub_co_i32 s3, s35, s9
	s_mov_b32 s4, s13
	s_wait_alu 0xfffe
	s_mul_i32 s5, s5, s0
	s_add_co_i32 s34, s34, -1
	s_wait_alu 0xfffe
	s_mul_hi_u32 s6, s0, s5
	s_mov_b32 s5, 0
	s_wait_alu 0xfffe
	s_add_co_i32 s6, s0, s6
	s_branch .LBB4_42
.LBB4_40:                               ;   in Loop: Header=BB4_42 Depth=1
	s_wait_alu 0xfffe
	s_or_b32 exec_lo, exec_lo, s0
	s_wait_loadcnt_dscnt 0x400
	v_mul_f32_e32 v5, v1, v5
	s_wait_loadcnt 0x1
	v_mul_f32_e32 v17, v1, v17
	v_mul_f32_e32 v13, v1, v13
	;; [unrolled: 1-line block ×3, first 2 shown]
	s_wait_loadcnt 0x0
	v_mul_f32_e32 v1, v1, v21
	v_fmac_f32_e32 v5, v2, v6
	v_fmac_f32_e32 v13, v2, v14
	;; [unrolled: 1-line block ×3, first 2 shown]
	s_delay_alu instid0(VALU_DEP_4) | instskip(NEXT) | instid1(VALU_DEP_4)
	v_fmac_f32_e32 v1, v2, v22
	v_fmac_f32_e32 v5, v3, v7
	s_delay_alu instid0(VALU_DEP_3) | instskip(NEXT) | instid1(VALU_DEP_3)
	v_fmac_f32_e32 v9, v3, v11
	v_fmac_f32_e32 v1, v3, v23
	s_delay_alu instid0(VALU_DEP_3) | instskip(SKIP_1) | instid1(VALU_DEP_4)
	v_fmac_f32_e32 v5, v4, v8
	v_fmac_f32_e32 v17, v2, v18
	;; [unrolled: 1-line block ×3, first 2 shown]
	s_delay_alu instid0(VALU_DEP_4) | instskip(NEXT) | instid1(VALU_DEP_3)
	v_fmac_f32_e32 v1, v4, v24
	v_dual_add_f32 v36, v36, v5 :: v_dual_fmac_f32 v17, v3, v19
	s_delay_alu instid0(VALU_DEP_3) | instskip(NEXT) | instid1(VALU_DEP_3)
	v_add_f32_e32 v37, v37, v9
	v_add_f32_e32 v33, v33, v1
	s_delay_alu instid0(VALU_DEP_3) | instskip(NEXT) | instid1(VALU_DEP_1)
	v_fmac_f32_e32 v17, v4, v20
	v_dual_fmac_f32 v13, v3, v15 :: v_dual_add_f32 v34, v34, v17
	s_delay_alu instid0(VALU_DEP_1) | instskip(NEXT) | instid1(VALU_DEP_1)
	v_fmac_f32_e32 v13, v4, v16
	v_add_f32_e32 v35, v35, v13
.LBB4_41:                               ;   in Loop: Header=BB4_42 Depth=1
	s_wait_alu 0xfffe
	s_or_b32 exec_lo, exec_lo, s7
	v_add_nc_u32_e32 v29, 4, v29
	v_add_co_u32 v25, s0, v25, 16
	s_wait_alu 0xf1ff
	v_add_co_ci_u32_e64 v26, null, 0, v26, s0
	s_delay_alu instid0(VALU_DEP_3)
	v_cmp_le_i32_e32 vcc_lo, s19, v29
	v_add_nc_u32_e32 v28, 32, v28
	v_add_nc_u32_e32 v41, 0x80, v41
	s_or_b32 s5, vcc_lo, s5
	s_wait_alu 0xfffe
	s_and_not1_b32 exec_lo, exec_lo, s5
	s_cbranch_execz .LBB4_53
.LBB4_42:                               ; =>This Inner Loop Header: Depth=1
	v_sub_nc_u32_e32 v1, 0, v28
	s_delay_alu instid0(VALU_DEP_1) | instskip(NEXT) | instid1(VALU_DEP_1)
	v_max_i32_e32 v1, v28, v1
	v_mul_hi_u32 v2, v1, s18
	s_delay_alu instid0(VALU_DEP_1) | instskip(NEXT) | instid1(VALU_DEP_1)
	v_mul_lo_u32 v3, v2, s12
	v_sub_nc_u32_e32 v1, v1, v3
	v_add_nc_u32_e32 v3, 1, v2
	s_delay_alu instid0(VALU_DEP_2) | instskip(SKIP_2) | instid1(VALU_DEP_2)
	v_subrev_nc_u32_e32 v4, s12, v1
	v_cmp_le_u32_e32 vcc_lo, s12, v1
	s_wait_alu 0xfffd
	v_dual_cndmask_b32 v2, v2, v3 :: v_dual_cndmask_b32 v1, v1, v4
	v_ashrrev_i32_e32 v3, 31, v28
	s_delay_alu instid0(VALU_DEP_2) | instskip(NEXT) | instid1(VALU_DEP_3)
	v_add_nc_u32_e32 v4, 1, v2
	v_cmp_le_u32_e32 vcc_lo, s12, v1
	s_delay_alu instid0(VALU_DEP_3) | instskip(SKIP_1) | instid1(VALU_DEP_3)
	v_xor_b32_e32 v3, s11, v3
	s_wait_alu 0xfffd
	v_cndmask_b32_e32 v1, v2, v4, vcc_lo
	s_delay_alu instid0(VALU_DEP_1) | instskip(NEXT) | instid1(VALU_DEP_1)
	v_xor_b32_e32 v1, v1, v3
	v_sub_nc_u32_e32 v1, v1, v3
	s_delay_alu instid0(VALU_DEP_1) | instskip(SKIP_1) | instid1(VALU_DEP_2)
	v_add_nc_u32_e32 v2, s17, v1
	v_cmp_lt_i32_e64 s0, s3, v1
	v_sub_nc_u32_e32 v3, 0, v2
	s_delay_alu instid0(VALU_DEP_1) | instskip(SKIP_1) | instid1(VALU_DEP_1)
	v_max_i32_e32 v3, v2, v3
	s_wait_alu 0xfffe
	v_mul_hi_u32 v4, v3, s6
	s_delay_alu instid0(VALU_DEP_1) | instskip(NEXT) | instid1(VALU_DEP_1)
	v_mul_lo_u32 v4, v4, s2
	v_sub_nc_u32_e32 v3, v3, v4
	s_delay_alu instid0(VALU_DEP_1) | instskip(SKIP_2) | instid1(VALU_DEP_2)
	v_subrev_nc_u32_e32 v4, s2, v3
	v_cmp_le_u32_e32 vcc_lo, s2, v3
	s_wait_alu 0xfffd
	v_cndmask_b32_e32 v3, v3, v4, vcc_lo
	v_ashrrev_i32_e32 v2, 31, v2
	s_delay_alu instid0(VALU_DEP_2) | instskip(SKIP_2) | instid1(VALU_DEP_2)
	v_subrev_nc_u32_e32 v4, s2, v3
	v_cmp_le_u32_e32 vcc_lo, s2, v3
	s_wait_alu 0xfffd
	v_cndmask_b32_e32 v3, v3, v4, vcc_lo
	s_delay_alu instid0(VALU_DEP_1) | instskip(NEXT) | instid1(VALU_DEP_1)
	v_xor_b32_e32 v3, v3, v2
	v_sub_nc_u32_e32 v2, v3, v2
	s_delay_alu instid0(VALU_DEP_1)
	v_cmp_eq_u32_e32 vcc_lo, 0, v2
	s_or_b32 s0, vcc_lo, s0
	s_wait_alu 0xfffe
	s_and_saveexec_b32 s7, s0
	s_cbranch_execz .LBB4_41
; %bb.43:                               ;   in Loop: Header=BB4_42 Depth=1
	global_load_b32 v1, v[25:26], off
	v_add_nc_u32_e32 v42, v38, v28
	s_delay_alu instid0(VALU_DEP_1) | instskip(SKIP_4) | instid1(VALU_DEP_1)
	v_add_nc_u32_e32 v45, 1, v42
	v_add_nc_u32_e32 v44, 2, v42
	;; [unrolled: 1-line block ×3, first 2 shown]
	s_wait_loadcnt 0x0
	v_mad_co_i64_i32 v[1:2], null, v1, s4, 0
	v_lshlrev_b64_e32 v[1:2], 2, v[1:2]
	s_delay_alu instid0(VALU_DEP_1) | instskip(SKIP_1) | instid1(VALU_DEP_2)
	v_add_co_u32 v21, vcc_lo, v39, v1
	s_wait_alu 0xfffd
	v_add_co_ci_u32_e64 v22, null, v40, v2, vcc_lo
	ds_load_b128 v[1:4], v41
	v_cmp_eq_u32_e32 vcc_lo, s34, v29
	global_load_b128 v[5:8], v[21:22], off
	s_and_saveexec_b32 s9, vcc_lo
	s_cbranch_execnz .LBB4_48
; %bb.44:                               ;   in Loop: Header=BB4_42 Depth=1
	s_or_b32 exec_lo, exec_lo, s9
	global_load_b128 v[9:12], v[21:22], off offset:512
	s_and_saveexec_b32 s9, vcc_lo
	s_cbranch_execnz .LBB4_49
.LBB4_45:                               ;   in Loop: Header=BB4_42 Depth=1
	s_or_b32 exec_lo, exec_lo, s9
	global_load_b128 v[13:16], v[21:22], off offset:1024
	s_and_saveexec_b32 s9, vcc_lo
	s_cbranch_execnz .LBB4_50
.LBB4_46:                               ;   in Loop: Header=BB4_42 Depth=1
	s_or_b32 exec_lo, exec_lo, s9
	global_load_b128 v[17:20], v[21:22], off offset:1536
	s_and_saveexec_b32 s9, vcc_lo
	s_cbranch_execnz .LBB4_51
.LBB4_47:                               ;   in Loop: Header=BB4_42 Depth=1
	s_or_b32 exec_lo, exec_lo, s9
	global_load_b128 v[21:24], v[21:22], off offset:2048
	s_and_saveexec_b32 s0, vcc_lo
	s_cbranch_execz .LBB4_40
	s_branch .LBB4_52
.LBB4_48:                               ;   in Loop: Header=BB4_42 Depth=1
	v_cmp_gt_i32_e64 s0, s31, v42
	s_wait_loadcnt 0x0
	s_wait_alu 0xf1ff
	s_delay_alu instid0(VALU_DEP_1) | instskip(SKIP_2) | instid1(VALU_DEP_1)
	v_cndmask_b32_e64 v5, 0, v5, s0
	v_cmp_gt_i32_e64 s0, s31, v45
	s_wait_alu 0xf1ff
	v_cndmask_b32_e64 v6, 0, v6, s0
	v_cmp_gt_i32_e64 s0, s31, v44
	s_wait_alu 0xf1ff
	s_delay_alu instid0(VALU_DEP_1) | instskip(SKIP_2) | instid1(VALU_DEP_1)
	v_cndmask_b32_e64 v7, 0, v7, s0
	v_cmp_gt_i32_e64 s0, s31, v43
	s_wait_alu 0xf1ff
	v_cndmask_b32_e64 v8, 0, v8, s0
	s_or_b32 exec_lo, exec_lo, s9
	global_load_b128 v[9:12], v[21:22], off offset:512
	s_and_saveexec_b32 s9, vcc_lo
	s_cbranch_execz .LBB4_45
.LBB4_49:                               ;   in Loop: Header=BB4_42 Depth=1
	v_cmp_gt_i32_e64 s0, s31, v42
	s_wait_loadcnt 0x0
	s_wait_alu 0xf1ff
	s_delay_alu instid0(VALU_DEP_1) | instskip(SKIP_2) | instid1(VALU_DEP_1)
	v_cndmask_b32_e64 v9, 0, v9, s0
	v_cmp_gt_i32_e64 s0, s31, v45
	s_wait_alu 0xf1ff
	v_cndmask_b32_e64 v10, 0, v10, s0
	v_cmp_gt_i32_e64 s0, s31, v44
	s_wait_alu 0xf1ff
	s_delay_alu instid0(VALU_DEP_1) | instskip(SKIP_2) | instid1(VALU_DEP_1)
	v_cndmask_b32_e64 v11, 0, v11, s0
	v_cmp_gt_i32_e64 s0, s31, v43
	s_wait_alu 0xf1ff
	v_cndmask_b32_e64 v12, 0, v12, s0
	s_or_b32 exec_lo, exec_lo, s9
	global_load_b128 v[13:16], v[21:22], off offset:1024
	s_and_saveexec_b32 s9, vcc_lo
	s_cbranch_execz .LBB4_46
.LBB4_50:                               ;   in Loop: Header=BB4_42 Depth=1
	v_cmp_gt_i32_e64 s0, s31, v42
	s_wait_loadcnt 0x0
	s_wait_alu 0xf1ff
	s_delay_alu instid0(VALU_DEP_1) | instskip(SKIP_2) | instid1(VALU_DEP_1)
	v_cndmask_b32_e64 v13, 0, v13, s0
	v_cmp_gt_i32_e64 s0, s31, v45
	s_wait_alu 0xf1ff
	v_cndmask_b32_e64 v14, 0, v14, s0
	v_cmp_gt_i32_e64 s0, s31, v44
	s_wait_alu 0xf1ff
	s_delay_alu instid0(VALU_DEP_1) | instskip(SKIP_2) | instid1(VALU_DEP_1)
	v_cndmask_b32_e64 v15, 0, v15, s0
	v_cmp_gt_i32_e64 s0, s31, v43
	s_wait_alu 0xf1ff
	v_cndmask_b32_e64 v16, 0, v16, s0
	s_or_b32 exec_lo, exec_lo, s9
	global_load_b128 v[17:20], v[21:22], off offset:1536
	s_and_saveexec_b32 s9, vcc_lo
	s_cbranch_execz .LBB4_47
.LBB4_51:                               ;   in Loop: Header=BB4_42 Depth=1
	v_cmp_gt_i32_e64 s0, s31, v42
	s_wait_loadcnt 0x0
	s_wait_alu 0xf1ff
	s_delay_alu instid0(VALU_DEP_1) | instskip(SKIP_2) | instid1(VALU_DEP_1)
	v_cndmask_b32_e64 v17, 0, v17, s0
	v_cmp_gt_i32_e64 s0, s31, v45
	s_wait_alu 0xf1ff
	v_cndmask_b32_e64 v18, 0, v18, s0
	v_cmp_gt_i32_e64 s0, s31, v44
	s_wait_alu 0xf1ff
	s_delay_alu instid0(VALU_DEP_1) | instskip(SKIP_2) | instid1(VALU_DEP_1)
	v_cndmask_b32_e64 v19, 0, v19, s0
	v_cmp_gt_i32_e64 s0, s31, v43
	s_wait_alu 0xf1ff
	v_cndmask_b32_e64 v20, 0, v20, s0
	s_or_b32 exec_lo, exec_lo, s9
	global_load_b128 v[21:24], v[21:22], off offset:2048
	s_and_saveexec_b32 s0, vcc_lo
	s_cbranch_execz .LBB4_40
.LBB4_52:                               ;   in Loop: Header=BB4_42 Depth=1
	v_cmp_gt_i32_e32 vcc_lo, s31, v42
	s_wait_loadcnt 0x0
	s_wait_alu 0xfffd
	v_cndmask_b32_e32 v21, 0, v21, vcc_lo
	v_cmp_gt_i32_e32 vcc_lo, s31, v45
	s_wait_alu 0xfffd
	v_cndmask_b32_e32 v22, 0, v22, vcc_lo
	v_cmp_gt_i32_e32 vcc_lo, s31, v44
	;; [unrolled: 3-line block ×3, first 2 shown]
	s_wait_alu 0xfffd
	v_cndmask_b32_e32 v24, 0, v24, vcc_lo
	s_branch .LBB4_40
.LBB4_53:
	s_or_b32 exec_lo, exec_lo, s5
.LBB4_54:
	s_wait_alu 0xfffe
	s_or_b32 exec_lo, exec_lo, s1
	ds_bpermute_b32 v1, v31, v36
	ds_bpermute_b32 v2, v31, v37
	;; [unrolled: 1-line block ×5, first 2 shown]
	v_lshrrev_b32_e32 v6, 1, v30
	v_mul_u32_u24_e32 v8, 0x140, v27
	v_and_b32_e32 v9, 0x3c1, v0
	s_mov_b32 s0, exec_lo
	s_wait_storecnt 0x0
	s_wait_loadcnt_dscnt 0x0
	v_lshl_add_u32 v7, v6, 2, 0x160
	s_barrier_signal -1
	s_barrier_wait -1
	global_inv scope:SCOPE_SE
	v_dual_add_f32 v1, v36, v1 :: v_dual_add_f32 v2, v37, v2
	v_dual_add_f32 v3, v35, v3 :: v_dual_add_f32 v4, v34, v4
	v_add_f32_e32 v5, v33, v5
	v_cmpx_eq_u32_e32 64, v9
	s_cbranch_execz .LBB4_56
; %bb.55:
	v_add_nc_u32_e32 v9, v7, v8
	s_delay_alu instid0(VALU_DEP_1)
	v_add_nc_u32_e32 v10, 0xfffffd80, v9
	v_add_nc_u32_e32 v11, 0xfffffdc0, v9
	;; [unrolled: 1-line block ×5, first 2 shown]
	ds_store_b32 v10, v1
	ds_store_b32 v11, v2
	;; [unrolled: 1-line block ×5, first 2 shown]
.LBB4_56:
	s_wait_alu 0xfffe
	s_or_b32 exec_lo, exec_lo, s0
	v_lshlrev_b32_e32 v6, 2, v6
	s_mov_b32 s1, exec_lo
	v_cmp_eq_u32_e32 vcc_lo, 0, v32
	s_wait_loadcnt_dscnt 0x0
	s_barrier_signal -1
	v_add3_u32 v6, 0x160, v8, v6
	s_barrier_wait -1
	global_inv scope:SCOPE_SE
	v_cmpx_gt_u32_e32 64, v0
	s_cbranch_execz .LBB4_64
; %bb.57:
	s_and_saveexec_b32 s0, vcc_lo
	s_cbranch_execnz .LBB4_77
; %bb.58:
	s_wait_alu 0xfffe
	s_or_b32 exec_lo, exec_lo, s0
	s_and_saveexec_b32 s0, vcc_lo
	s_cbranch_execnz .LBB4_78
.LBB4_59:
	s_wait_alu 0xfffe
	s_or_b32 exec_lo, exec_lo, s0
	s_and_saveexec_b32 s0, vcc_lo
	s_cbranch_execnz .LBB4_79
.LBB4_60:
	s_wait_alu 0xfffe
	s_or_b32 exec_lo, exec_lo, s0
	s_and_saveexec_b32 s0, vcc_lo
	s_cbranch_execnz .LBB4_80
.LBB4_61:
	s_wait_alu 0xfffe
	s_or_b32 exec_lo, exec_lo, s0
	s_and_saveexec_b32 s0, vcc_lo
	s_cbranch_execz .LBB4_63
.LBB4_62:
	ds_load_b32 v8, v6 offset:256
	s_wait_dscnt 0x0
	v_add_f32_e32 v5, v5, v8
.LBB4_63:
	s_wait_alu 0xfffe
	s_or_b32 exec_lo, exec_lo, s0
.LBB4_64:
	s_wait_alu 0xfffe
	s_or_b32 exec_lo, exec_lo, s1
	v_and_b32_e32 v8, 0x3e1, v0
	s_mov_b32 s1, exec_lo
	s_wait_loadcnt 0x0
	s_barrier_signal -1
	s_barrier_wait -1
	global_inv scope:SCOPE_SE
	v_cmpx_eq_u32_e32 32, v8
	s_cbranch_execz .LBB4_66
; %bb.65:
	ds_store_2addr_b32 v7, v1, v2 offset1:16
	ds_store_2addr_b32 v7, v3, v4 offset0:32 offset1:48
	ds_store_b32 v7, v5 offset:256
.LBB4_66:
	s_wait_alu 0xfffe
	s_or_b32 exec_lo, exec_lo, s1
	s_delay_alu instid0(SALU_CYCLE_1)
	s_mov_b32 s1, exec_lo
	s_wait_loadcnt_dscnt 0x0
	s_barrier_signal -1
	s_barrier_wait -1
	global_inv scope:SCOPE_SE
	v_cmpx_gt_u32_e32 32, v0
	s_cbranch_execz .LBB4_74
; %bb.67:
	s_and_saveexec_b32 s0, vcc_lo
	s_cbranch_execnz .LBB4_81
; %bb.68:
	s_wait_alu 0xfffe
	s_or_b32 exec_lo, exec_lo, s0
	s_and_saveexec_b32 s0, vcc_lo
	s_cbranch_execnz .LBB4_82
.LBB4_69:
	s_wait_alu 0xfffe
	s_or_b32 exec_lo, exec_lo, s0
	s_and_saveexec_b32 s0, vcc_lo
	s_cbranch_execnz .LBB4_83
.LBB4_70:
	s_wait_alu 0xfffe
	s_or_b32 exec_lo, exec_lo, s0
	s_and_saveexec_b32 s0, vcc_lo
	s_cbranch_execnz .LBB4_84
.LBB4_71:
	s_wait_alu 0xfffe
	s_or_b32 exec_lo, exec_lo, s0
	s_and_saveexec_b32 s0, vcc_lo
	s_cbranch_execz .LBB4_73
.LBB4_72:
	ds_load_b32 v6, v6 offset:256
	s_wait_dscnt 0x0
	v_add_f32_e32 v5, v5, v6
.LBB4_73:
	s_wait_alu 0xfffe
	s_or_b32 exec_lo, exec_lo, s0
.LBB4_74:
	s_wait_alu 0xfffe
	s_or_b32 exec_lo, exec_lo, s1
	s_mov_b32 s1, 0
	s_wait_loadcnt 0x0
	s_barrier_signal -1
	s_barrier_wait -1
	global_inv scope:SCOPE_SE
	s_mov_b32 s0, exec_lo
	v_cmpx_eq_u32_e32 0, v8
	s_cbranch_execz .LBB4_76
; %bb.75:
	s_mul_i32 s2, s20, 0x50
	s_wait_kmcnt 0x0
	s_mul_i32 s4, s8, s16
	s_wait_alu 0xfffe
	s_ashr_i32 s3, s2, 31
	s_ashr_i32 s5, s4, 31
	s_wait_alu 0xfffe
	s_lshl_b64 s[2:3], s[2:3], 2
	s_lshl_b64 s[4:5], s[4:5], 2
	s_wait_alu 0xfffe
	s_add_nc_u64 s[2:3], s[14:15], s[2:3]
	v_lshlrev_b32_e32 v0, 1, v0
	s_mul_i32 s0, s30, 0x140
	s_wait_alu 0xfffe
	s_add_nc_u64 s[2:3], s[2:3], s[4:5]
	s_wait_alu 0xfffe
	s_add_nc_u64 s[0:1], s[2:3], s[0:1]
	s_clause 0x4
	global_store_b32 v0, v1, s[0:1]
	global_store_b32 v0, v2, s[0:1] offset:64
	global_store_b32 v0, v3, s[0:1] offset:128
	;; [unrolled: 1-line block ×4, first 2 shown]
.LBB4_76:
	s_endpgm
.LBB4_77:
	ds_load_b32 v8, v6
	s_wait_dscnt 0x0
	v_add_f32_e32 v1, v1, v8
	s_wait_alu 0xfffe
	s_or_b32 exec_lo, exec_lo, s0
	s_and_saveexec_b32 s0, vcc_lo
	s_cbranch_execz .LBB4_59
.LBB4_78:
	ds_load_b32 v8, v6 offset:64
	s_wait_dscnt 0x0
	v_add_f32_e32 v2, v2, v8
	s_wait_alu 0xfffe
	s_or_b32 exec_lo, exec_lo, s0
	s_and_saveexec_b32 s0, vcc_lo
	s_cbranch_execz .LBB4_60
.LBB4_79:
	ds_load_b32 v8, v6 offset:128
	s_wait_dscnt 0x0
	v_add_f32_e32 v3, v3, v8
	s_wait_alu 0xfffe
	s_or_b32 exec_lo, exec_lo, s0
	s_and_saveexec_b32 s0, vcc_lo
	s_cbranch_execz .LBB4_61
.LBB4_80:
	ds_load_b32 v8, v6 offset:192
	s_wait_dscnt 0x0
	v_add_f32_e32 v4, v4, v8
	s_wait_alu 0xfffe
	s_or_b32 exec_lo, exec_lo, s0
	s_and_saveexec_b32 s0, vcc_lo
	s_cbranch_execnz .LBB4_62
	s_branch .LBB4_63
.LBB4_81:
	ds_load_b32 v7, v6
	s_wait_dscnt 0x0
	v_add_f32_e32 v1, v1, v7
	s_wait_alu 0xfffe
	s_or_b32 exec_lo, exec_lo, s0
	s_and_saveexec_b32 s0, vcc_lo
	s_cbranch_execz .LBB4_69
.LBB4_82:
	ds_load_b32 v7, v6 offset:64
	s_wait_dscnt 0x0
	v_add_f32_e32 v2, v2, v7
	s_wait_alu 0xfffe
	s_or_b32 exec_lo, exec_lo, s0
	s_and_saveexec_b32 s0, vcc_lo
	s_cbranch_execz .LBB4_70
.LBB4_83:
	ds_load_b32 v7, v6 offset:128
	s_wait_dscnt 0x0
	v_add_f32_e32 v3, v3, v7
	s_wait_alu 0xfffe
	s_or_b32 exec_lo, exec_lo, s0
	s_and_saveexec_b32 s0, vcc_lo
	s_cbranch_execz .LBB4_71
.LBB4_84:
	ds_load_b32 v7, v6 offset:192
	s_wait_dscnt 0x0
	v_add_f32_e32 v4, v4, v7
	s_wait_alu 0xfffe
	s_or_b32 exec_lo, exec_lo, s0
	s_and_saveexec_b32 s0, vcc_lo
	s_cbranch_execnz .LBB4_72
	s_branch .LBB4_73
	.section	.rodata,"a",@progbits
	.p2align	6, 0x0
	.amdhsa_kernel _ZN4vllm25paged_attention_v2_kernelIffLi80ELi8ELi128ELNS_18Fp8KVCacheDataTypeE0ELb1ELi512EEEvPfS2_PT_PKS3_PKT0_S9_ifPKiSB_iPKfiiiSD_SD_iiiii
		.amdhsa_group_segment_fixed_size 352
		.amdhsa_private_segment_fixed_size 0
		.amdhsa_kernarg_size 400
		.amdhsa_user_sgpr_count 2
		.amdhsa_user_sgpr_dispatch_ptr 0
		.amdhsa_user_sgpr_queue_ptr 0
		.amdhsa_user_sgpr_kernarg_segment_ptr 1
		.amdhsa_user_sgpr_dispatch_id 0
		.amdhsa_user_sgpr_private_segment_size 0
		.amdhsa_wavefront_size32 1
		.amdhsa_uses_dynamic_stack 0
		.amdhsa_enable_private_segment 0
		.amdhsa_system_sgpr_workgroup_id_x 1
		.amdhsa_system_sgpr_workgroup_id_y 1
		.amdhsa_system_sgpr_workgroup_id_z 1
		.amdhsa_system_sgpr_workgroup_info 0
		.amdhsa_system_vgpr_workitem_id 0
		.amdhsa_next_free_vgpr 49
		.amdhsa_next_free_sgpr 42
		.amdhsa_reserve_vcc 1
		.amdhsa_float_round_mode_32 0
		.amdhsa_float_round_mode_16_64 0
		.amdhsa_float_denorm_mode_32 3
		.amdhsa_float_denorm_mode_16_64 3
		.amdhsa_fp16_overflow 0
		.amdhsa_workgroup_processor_mode 1
		.amdhsa_memory_ordered 1
		.amdhsa_forward_progress 1
		.amdhsa_inst_pref_size 48
		.amdhsa_round_robin_scheduling 0
		.amdhsa_exception_fp_ieee_invalid_op 0
		.amdhsa_exception_fp_denorm_src 0
		.amdhsa_exception_fp_ieee_div_zero 0
		.amdhsa_exception_fp_ieee_overflow 0
		.amdhsa_exception_fp_ieee_underflow 0
		.amdhsa_exception_fp_ieee_inexact 0
		.amdhsa_exception_int_div_zero 0
	.end_amdhsa_kernel
	.section	.text._ZN4vllm25paged_attention_v2_kernelIffLi80ELi8ELi128ELNS_18Fp8KVCacheDataTypeE0ELb1ELi512EEEvPfS2_PT_PKS3_PKT0_S9_ifPKiSB_iPKfiiiSD_SD_iiiii,"axG",@progbits,_ZN4vllm25paged_attention_v2_kernelIffLi80ELi8ELi128ELNS_18Fp8KVCacheDataTypeE0ELb1ELi512EEEvPfS2_PT_PKS3_PKT0_S9_ifPKiSB_iPKfiiiSD_SD_iiiii,comdat
.Lfunc_end4:
	.size	_ZN4vllm25paged_attention_v2_kernelIffLi80ELi8ELi128ELNS_18Fp8KVCacheDataTypeE0ELb1ELi512EEEvPfS2_PT_PKS3_PKT0_S9_ifPKiSB_iPKfiiiSD_SD_iiiii, .Lfunc_end4-_ZN4vllm25paged_attention_v2_kernelIffLi80ELi8ELi128ELNS_18Fp8KVCacheDataTypeE0ELb1ELi512EEEvPfS2_PT_PKS3_PKT0_S9_ifPKiSB_iPKfiiiSD_SD_iiiii
                                        ; -- End function
	.set _ZN4vllm25paged_attention_v2_kernelIffLi80ELi8ELi128ELNS_18Fp8KVCacheDataTypeE0ELb1ELi512EEEvPfS2_PT_PKS3_PKT0_S9_ifPKiSB_iPKfiiiSD_SD_iiiii.num_vgpr, 49
	.set _ZN4vllm25paged_attention_v2_kernelIffLi80ELi8ELi128ELNS_18Fp8KVCacheDataTypeE0ELb1ELi512EEEvPfS2_PT_PKS3_PKT0_S9_ifPKiSB_iPKfiiiSD_SD_iiiii.num_agpr, 0
	.set _ZN4vllm25paged_attention_v2_kernelIffLi80ELi8ELi128ELNS_18Fp8KVCacheDataTypeE0ELb1ELi512EEEvPfS2_PT_PKS3_PKT0_S9_ifPKiSB_iPKfiiiSD_SD_iiiii.numbered_sgpr, 42
	.set _ZN4vllm25paged_attention_v2_kernelIffLi80ELi8ELi128ELNS_18Fp8KVCacheDataTypeE0ELb1ELi512EEEvPfS2_PT_PKS3_PKT0_S9_ifPKiSB_iPKfiiiSD_SD_iiiii.num_named_barrier, 0
	.set _ZN4vllm25paged_attention_v2_kernelIffLi80ELi8ELi128ELNS_18Fp8KVCacheDataTypeE0ELb1ELi512EEEvPfS2_PT_PKS3_PKT0_S9_ifPKiSB_iPKfiiiSD_SD_iiiii.private_seg_size, 0
	.set _ZN4vllm25paged_attention_v2_kernelIffLi80ELi8ELi128ELNS_18Fp8KVCacheDataTypeE0ELb1ELi512EEEvPfS2_PT_PKS3_PKT0_S9_ifPKiSB_iPKfiiiSD_SD_iiiii.uses_vcc, 1
	.set _ZN4vllm25paged_attention_v2_kernelIffLi80ELi8ELi128ELNS_18Fp8KVCacheDataTypeE0ELb1ELi512EEEvPfS2_PT_PKS3_PKT0_S9_ifPKiSB_iPKfiiiSD_SD_iiiii.uses_flat_scratch, 0
	.set _ZN4vllm25paged_attention_v2_kernelIffLi80ELi8ELi128ELNS_18Fp8KVCacheDataTypeE0ELb1ELi512EEEvPfS2_PT_PKS3_PKT0_S9_ifPKiSB_iPKfiiiSD_SD_iiiii.has_dyn_sized_stack, 0
	.set _ZN4vllm25paged_attention_v2_kernelIffLi80ELi8ELi128ELNS_18Fp8KVCacheDataTypeE0ELb1ELi512EEEvPfS2_PT_PKS3_PKT0_S9_ifPKiSB_iPKfiiiSD_SD_iiiii.has_recursion, 0
	.set _ZN4vllm25paged_attention_v2_kernelIffLi80ELi8ELi128ELNS_18Fp8KVCacheDataTypeE0ELb1ELi512EEEvPfS2_PT_PKS3_PKT0_S9_ifPKiSB_iPKfiiiSD_SD_iiiii.has_indirect_call, 0
	.section	.AMDGPU.csdata,"",@progbits
; Kernel info:
; codeLenInByte = 6048
; TotalNumSgprs: 44
; NumVgprs: 49
; ScratchSize: 0
; MemoryBound: 0
; FloatMode: 240
; IeeeMode: 1
; LDSByteSize: 352 bytes/workgroup (compile time only)
; SGPRBlocks: 0
; VGPRBlocks: 6
; NumSGPRsForWavesPerEU: 44
; NumVGPRsForWavesPerEU: 49
; Occupancy: 16
; WaveLimiterHint : 1
; COMPUTE_PGM_RSRC2:SCRATCH_EN: 0
; COMPUTE_PGM_RSRC2:USER_SGPR: 2
; COMPUTE_PGM_RSRC2:TRAP_HANDLER: 0
; COMPUTE_PGM_RSRC2:TGID_X_EN: 1
; COMPUTE_PGM_RSRC2:TGID_Y_EN: 1
; COMPUTE_PGM_RSRC2:TGID_Z_EN: 1
; COMPUTE_PGM_RSRC2:TIDIG_COMP_CNT: 0
	.section	.text._ZN4vllm32paged_attention_v2_reduce_kernelIfLi80ELi128ELi512EEEvPT_PKfS4_PKS1_PKii,"axG",@progbits,_ZN4vllm32paged_attention_v2_reduce_kernelIfLi80ELi128ELi512EEEvPT_PKfS4_PKS1_PKii,comdat
	.protected	_ZN4vllm32paged_attention_v2_reduce_kernelIfLi80ELi128ELi512EEEvPT_PKfS4_PKS1_PKii ; -- Begin function _ZN4vllm32paged_attention_v2_reduce_kernelIfLi80ELi128ELi512EEEvPT_PKfS4_PKS1_PKii
	.globl	_ZN4vllm32paged_attention_v2_reduce_kernelIfLi80ELi128ELi512EEEvPT_PKfS4_PKS1_PKii
	.p2align	8
	.type	_ZN4vllm32paged_attention_v2_reduce_kernelIfLi80ELi128ELi512EEEvPT_PKfS4_PKS1_PKii,@function
_ZN4vllm32paged_attention_v2_reduce_kernelIfLi80ELi128ELi512EEEvPT_PKfS4_PKS1_PKii: ; @_ZN4vllm32paged_attention_v2_reduce_kernelIfLi80ELi128ELi512EEEvPT_PKfS4_PKS1_PKii
; %bb.0:
	s_load_b128 s[4:7], s[0:1], 0x18
	s_mov_b32 s2, ttmp7
	s_ashr_i32 s3, ttmp7, 31
	s_add_nc_u64 s[8:9], s[0:1], 48
	s_lshl_b64 s[2:3], s[2:3], 2
	s_wait_kmcnt 0x0
	s_add_nc_u64 s[2:3], s[6:7], s[2:3]
	s_load_b32 s18, s[2:3], 0x0
	s_clause 0x2
	s_load_b64 s[6:7], s[0:1], 0x0
	s_load_b32 s14, s[0:1], 0x28
	s_load_b32 s15, s[0:1], 0x30
	s_wait_kmcnt 0x0
	s_add_co_i32 s2, s18, -1
	s_delay_alu instid0(SALU_CYCLE_1)
	s_cmp_gt_u32 s2, 0x1ff
	s_mov_b32 s2, -1
	s_cbranch_scc0 .LBB5_25
; %bb.1:
	s_add_co_i32 s2, s18, 0x1ff
	s_mul_i32 s16, s15, ttmp7
	s_ashr_i32 s3, s2, 31
	v_mov_b32_e32 v3, 0xff7fffff
	s_lshr_b32 s3, s3, 23
	s_mul_i32 s10, s16, s14
	s_add_co_i32 s2, s2, s3
	s_mul_i32 s12, s14, ttmp9
	s_ashr_i32 s17, s2, 9
	s_ashr_i32 s11, s10, 31
	v_cmp_gt_i32_e32 vcc_lo, s17, v0
	s_ashr_i32 s13, s12, 31
	s_and_saveexec_b32 s3, vcc_lo
	s_cbranch_execz .LBB5_5
; %bb.2:
	s_load_b64 s[20:21], s[0:1], 0x10
	s_load_b32 s2, s[8:9], 0xc
	s_lshl_b64 s[22:23], s[10:11], 2
	s_lshl_b64 s[24:25], s[12:13], 2
	v_lshlrev_b32_e32 v1, 2, v0
	s_add_nc_u64 s[22:23], s[22:23], s[24:25]
	v_mov_b32_e32 v3, 0xff7fffff
	s_delay_alu instid0(VALU_DEP_2) | instskip(SKIP_2) | instid1(SALU_CYCLE_1)
	v_dual_mov_b32 v5, v0 :: v_dual_add_nc_u32 v4, 32, v1
	s_wait_kmcnt 0x0
	s_add_nc_u64 s[20:21], s[20:21], s[22:23]
	v_add_co_u32 v1, s19, s20, v1
	s_delay_alu instid0(VALU_DEP_1)
	v_add_co_ci_u32_e64 v2, null, s21, 0, s19
	s_and_b32 s20, s2, 0xffff
	s_mov_b32 s19, 0
	s_wait_alu 0xfffe
	s_lshl_b32 s21, s20, 2
.LBB5_3:                                ; =>This Inner Loop Header: Depth=1
	global_load_b32 v6, v[1:2], off
	v_add_nc_u32_e32 v5, s20, v5
	v_max_num_f32_e32 v3, v3, v3
	s_wait_alu 0xfffe
	v_add_co_u32 v1, s2, v1, s21
	s_wait_alu 0xf1ff
	v_add_co_ci_u32_e64 v2, null, 0, v2, s2
	v_cmp_le_i32_e64 s2, s17, v5
	s_or_b32 s19, s2, s19
	s_wait_loadcnt 0x0
	v_max_num_f32_e32 v7, v6, v6
	ds_store_b32 v4, v6
	v_dual_max_num_f32 v3, v3, v7 :: v_dual_add_nc_u32 v4, s21, v4
	s_wait_alu 0xfffe
	s_and_not1_b32 exec_lo, exec_lo, s19
	s_cbranch_execnz .LBB5_3
; %bb.4:
	s_or_b32 exec_lo, exec_lo, s19
.LBB5_5:
	s_delay_alu instid0(SALU_CYCLE_1)
	s_or_b32 exec_lo, exec_lo, s3
	v_mbcnt_lo_u32_b32 v1, -1, 0
	s_load_b64 s[2:3], s[0:1], 0x8
	s_wait_dscnt 0x0
	s_barrier_signal -1
	s_barrier_wait -1
	v_xor_b32_e32 v2, 16, v1
	v_xor_b32_e32 v4, 8, v1
	global_inv scope:SCOPE_SE
	v_cmp_gt_i32_e64 s0, 32, v2
	s_delay_alu instid0(VALU_DEP_1) | instskip(SKIP_1) | instid1(VALU_DEP_2)
	v_cndmask_b32_e64 v2, v1, v2, s0
	v_cmp_gt_i32_e64 s0, 32, v4
	v_lshlrev_b32_e32 v5, 2, v2
	s_wait_alu 0xf1ff
	s_delay_alu instid0(VALU_DEP_2) | instskip(SKIP_4) | instid1(VALU_DEP_2)
	v_cndmask_b32_e64 v4, v1, v4, s0
	ds_bpermute_b32 v2, v5, v3
	v_lshlrev_b32_e32 v6, 2, v4
	v_xor_b32_e32 v4, 4, v1
	v_max_num_f32_e32 v3, v3, v3
	v_cmp_gt_i32_e64 s0, 32, v4
	s_wait_alu 0xf1ff
	s_delay_alu instid0(VALU_DEP_1) | instskip(NEXT) | instid1(VALU_DEP_1)
	v_cndmask_b32_e64 v4, v1, v4, s0
	v_lshlrev_b32_e32 v7, 2, v4
	v_xor_b32_e32 v4, 2, v1
	s_wait_dscnt 0x0
	v_max_num_f32_e32 v2, v2, v2
	s_delay_alu instid0(VALU_DEP_2) | instskip(NEXT) | instid1(VALU_DEP_2)
	v_cmp_gt_i32_e64 s0, 32, v4
	v_max_num_f32_e32 v2, v3, v2
	s_wait_alu 0xf1ff
	s_delay_alu instid0(VALU_DEP_2) | instskip(SKIP_3) | instid1(VALU_DEP_1)
	v_cndmask_b32_e64 v4, v1, v4, s0
	ds_bpermute_b32 v3, v6, v2
	s_wait_dscnt 0x0
	v_max_num_f32_e32 v3, v3, v3
	v_max_num_f32_e32 v2, v2, v3
	ds_bpermute_b32 v3, v7, v2
	s_wait_dscnt 0x0
	v_dual_max_num_f32 v8, v3, v3 :: v_dual_lshlrev_b32 v3, 2, v4
	s_delay_alu instid0(VALU_DEP_1) | instskip(SKIP_4) | instid1(VALU_DEP_1)
	v_max_num_f32_e32 v2, v2, v8
	v_xor_b32_e32 v8, 1, v1
	ds_bpermute_b32 v4, v3, v2
	v_cmp_gt_i32_e64 s0, 32, v8
	s_wait_alu 0xf1ff
	v_cndmask_b32_e64 v1, v1, v8, s0
	v_lshrrev_b32_e32 v8, 5, v0
	s_delay_alu instid0(VALU_DEP_1) | instskip(SKIP_2) | instid1(VALU_DEP_1)
	v_lshlrev_b32_e32 v8, 2, v8
	s_wait_dscnt 0x0
	v_max_num_f32_e32 v4, v4, v4
	v_max_num_f32_e32 v2, v2, v4
	v_lshlrev_b32_e32 v4, 2, v1
	v_and_b32_e32 v1, 31, v0
	ds_bpermute_b32 v9, v4, v2
	v_cmp_eq_u32_e64 s0, 0, v1
	s_and_saveexec_b32 s1, s0
	s_cbranch_execz .LBB5_7
; %bb.6:
	s_wait_dscnt 0x0
	v_dual_max_num_f32 v9, v9, v9 :: v_dual_max_num_f32 v2, v2, v2
	s_delay_alu instid0(VALU_DEP_1)
	v_max_num_f32_e32 v2, v2, v9
	ds_store_b32 v8, v2
.LBB5_7:
	s_wait_alu 0xfffe
	s_or_b32 exec_lo, exec_lo, s1
	v_cmp_gt_u32_e64 s1, 4, v1
	s_wait_dscnt 0x0
	v_dual_mov_b32 v2, 0xff7fffff :: v_dual_lshlrev_b32 v9, 2, v1
	s_wait_loadcnt 0x0
	s_barrier_signal -1
	s_barrier_wait -1
	global_inv scope:SCOPE_SE
	s_and_saveexec_b32 s19, s1
; %bb.8:
	ds_load_b32 v2, v9
; %bb.9:
	s_wait_alu 0xfffe
	s_or_b32 exec_lo, exec_lo, s19
	s_wait_dscnt 0x0
	ds_bpermute_b32 v1, v3, v2
	v_max_num_f32_e32 v2, v2, v2
	s_lshl_b32 s19, s17, 2
	s_wait_dscnt 0x0
	v_dual_mov_b32 v10, 0 :: v_dual_max_num_f32 v1, v1, v1
	s_delay_alu instid0(VALU_DEP_1) | instskip(SKIP_3) | instid1(VALU_DEP_1)
	v_max_num_f32_e32 v1, v2, v1
	ds_bpermute_b32 v2, v4, v1
	s_wait_dscnt 0x0
	v_max_num_f32_e32 v2, v2, v2
	v_max_num_f32_e32 v1, v1, v2
	ds_bpermute_b32 v11, v10, v1
	s_and_saveexec_b32 s20, vcc_lo
	s_cbranch_execz .LBB5_13
; %bb.10:
	s_load_b32 s21, s[8:9], 0xc
	s_lshl_b64 s[22:23], s[10:11], 2
	s_lshl_b64 s[24:25], s[12:13], 2
	v_dual_mov_b32 v13, v0 :: v_dual_lshlrev_b32 v12, 2, v0
	s_add_nc_u64 s[22:23], s[22:23], s[24:25]
	v_mov_b32_e32 v10, 0
	s_wait_kmcnt 0x0
	s_add_nc_u64 s[2:3], s[2:3], s[22:23]
	s_wait_alu 0xfffe
	v_add_co_u32 v1, s2, s2, v12
	s_wait_alu 0xf1ff
	v_add_co_ci_u32_e64 v2, null, s3, 0, s2
	v_add_nc_u32_e32 v12, 32, v12
	s_mov_b32 s3, 0
	s_and_b32 s11, s21, 0xffff
	s_delay_alu instid0(SALU_CYCLE_1)
	s_lshl_b32 s13, s11, 2
.LBB5_11:                               ; =>This Inner Loop Header: Depth=1
	global_load_b32 v14, v[1:2], off
	ds_load_b32 v15, v12
	s_wait_dscnt 0x0
	v_sub_f32_e32 v15, v15, v11
	s_delay_alu instid0(VALU_DEP_1) | instskip(NEXT) | instid1(VALU_DEP_1)
	v_mul_f32_e32 v16, 0x3fb8aa3b, v15
	v_fma_f32 v17, 0x3fb8aa3b, v15, -v16
	v_rndne_f32_e32 v18, v16
	s_delay_alu instid0(VALU_DEP_1) | instskip(SKIP_1) | instid1(VALU_DEP_4)
	v_sub_f32_e32 v16, v16, v18
	v_cmp_ngt_f32_e32 vcc_lo, 0xc2ce8ed0, v15
	v_fmac_f32_e32 v17, 0x32a5705f, v15
	v_cmp_nlt_f32_e64 s2, 0x42b17218, v15
	s_delay_alu instid0(VALU_DEP_2) | instskip(SKIP_1) | instid1(VALU_DEP_2)
	v_add_f32_e32 v16, v16, v17
	v_cvt_i32_f32_e32 v17, v18
	v_exp_f32_e32 v16, v16
	s_delay_alu instid0(TRANS32_DEP_1) | instskip(SKIP_3) | instid1(VALU_DEP_3)
	v_ldexp_f32 v16, v16, v17
	v_add_nc_u32_e32 v17, s19, v12
	v_add_nc_u32_e32 v12, s13, v12
	s_wait_alu 0xfffd
	v_cndmask_b32_e32 v16, 0, v16, vcc_lo
	v_add_co_u32 v1, vcc_lo, v1, s13
	s_wait_alu 0xfffd
	v_add_co_ci_u32_e64 v2, null, 0, v2, vcc_lo
	s_wait_alu 0xf1ff
	v_cndmask_b32_e64 v15, 0x7f800000, v16, s2
	s_wait_loadcnt 0x0
	s_delay_alu instid0(VALU_DEP_1) | instskip(NEXT) | instid1(VALU_DEP_1)
	v_dual_mul_f32 v16, v14, v15 :: v_dual_add_nc_u32 v13, s11, v13
	v_cmp_le_i32_e32 vcc_lo, s17, v13
	v_fmac_f32_e32 v10, v14, v15
	ds_store_b32 v17, v16
	s_wait_alu 0xfffe
	s_or_b32 s3, vcc_lo, s3
	s_wait_alu 0xfffe
	s_and_not1_b32 exec_lo, exec_lo, s3
	s_cbranch_execnz .LBB5_11
; %bb.12:
	s_or_b32 exec_lo, exec_lo, s3
.LBB5_13:
	s_wait_alu 0xfffe
	s_or_b32 exec_lo, exec_lo, s20
	ds_bpermute_b32 v1, v5, v10
	s_wait_loadcnt_dscnt 0x0
	s_barrier_signal -1
	s_barrier_wait -1
	global_inv scope:SCOPE_SE
	v_add_f32_e32 v1, v10, v1
	ds_bpermute_b32 v2, v6, v1
	s_wait_dscnt 0x0
	v_add_f32_e32 v1, v1, v2
	ds_bpermute_b32 v2, v7, v1
	s_wait_dscnt 0x0
	;; [unrolled: 3-line block ×4, first 2 shown]
	v_add_f32_e32 v1, v1, v2
	s_wait_kmcnt 0x0
	s_and_saveexec_b32 s2, s0
; %bb.14:
	ds_store_b32 v8, v1 offset:16
; %bb.15:
	s_wait_alu 0xfffe
	s_or_b32 exec_lo, exec_lo, s2
	s_wait_loadcnt_dscnt 0x0
	s_barrier_signal -1
	s_barrier_wait -1
	global_inv scope:SCOPE_SE
	s_and_saveexec_b32 s0, s1
; %bb.16:
	ds_load_b32 v1, v9 offset:16
; %bb.17:
	s_wait_alu 0xfffe
	s_or_b32 exec_lo, exec_lo, s0
	s_wait_dscnt 0x0
	ds_bpermute_b32 v2, v3, v1
	s_mov_b32 s0, exec_lo
	s_wait_dscnt 0x0
	v_add_f32_e32 v1, v1, v2
	ds_bpermute_b32 v2, v4, v1
	s_wait_dscnt 0x0
	v_dual_add_f32 v1, v1, v2 :: v_dual_mov_b32 v2, 0
	ds_bpermute_b32 v2, v2, v1
	v_cmpx_gt_u32_e32 0x50, v0
	s_cbranch_execz .LBB5_24
; %bb.18:
	s_cmp_gt_i32 s18, 0
	s_mov_b32 s1, 0
	s_cbranch_scc1 .LBB5_20
; %bb.19:
	v_dual_mov_b32 v1, 0 :: v_dual_mov_b32 v4, 0
	s_wait_alu 0xfffe
	s_and_not1_b32 vcc_lo, exec_lo, s1
	s_wait_alu 0xfffe
	s_cbranch_vccz .LBB5_21
	s_branch .LBB5_23
.LBB5_20:
	v_mov_b32_e32 v4, 0
.LBB5_21:
	s_wait_dscnt 0x0
	v_add_f32_e32 v4, 0x358637bd, v2
	s_mul_i32 s2, s10, 0x50
	s_mul_i32 s10, s12, 0x50
	s_wait_alu 0xfffe
	s_ashr_i32 s3, s2, 31
	s_ashr_i32 s11, s10, 31
	v_div_scale_f32 v2, null, v4, v4, 1.0
	s_wait_alu 0xfffe
	s_lshl_b64 s[2:3], s[2:3], 2
	s_lshl_b64 s[10:11], s[10:11], 2
	s_wait_alu 0xfffe
	s_add_nc_u64 s[2:3], s[2:3], s[10:11]
	v_rcp_f32_e32 v3, v2
	s_wait_alu 0xfffe
	s_add_nc_u64 s[2:3], s[4:5], s[2:3]
	s_delay_alu instid0(TRANS32_DEP_1) | instskip(NEXT) | instid1(VALU_DEP_1)
	v_fma_f32 v1, -v2, v3, 1.0
	v_fmac_f32_e32 v3, v1, v3
	v_div_scale_f32 v5, vcc_lo, 1.0, v4, 1.0
	s_delay_alu instid0(VALU_DEP_1) | instskip(NEXT) | instid1(VALU_DEP_1)
	v_mul_f32_e32 v6, v5, v3
	v_fma_f32 v1, -v2, v6, v5
	s_delay_alu instid0(VALU_DEP_1) | instskip(NEXT) | instid1(VALU_DEP_1)
	v_dual_fmac_f32 v6, v1, v3 :: v_dual_mov_b32 v1, 0
	v_fma_f32 v2, -v2, v6, v5
	v_lshlrev_b32_e32 v5, 2, v0
	s_wait_alu 0xfffd
	s_delay_alu instid0(VALU_DEP_2) | instskip(SKIP_1) | instid1(VALU_DEP_2)
	v_div_fmas_f32 v6, v2, v3, v6
	s_wait_alu 0xfffe
	v_add_co_u32 v2, s1, s2, v5
	s_wait_alu 0xf1ff
	v_add_co_ci_u32_e64 v3, null, s3, 0, s1
	v_div_fixup_f32 v5, v6, v4, 1.0
	v_mov_b32_e32 v4, v1
	s_max_i32 s1, s17, 1
	s_add_co_i32 s2, s19, 32
.LBB5_22:                               ; =>This Inner Loop Header: Depth=1
	global_load_b32 v6, v[2:3], off
	s_wait_alu 0xfffe
	v_mov_b32_e32 v7, s2
	v_add_co_u32 v2, vcc_lo, 0x140, v2
	s_wait_alu 0xfffd
	v_add_co_ci_u32_e64 v3, null, 0, v3, vcc_lo
	ds_load_b32 v7, v7
	s_add_co_i32 s1, s1, -1
	s_add_co_i32 s2, s2, 4
	s_wait_alu 0xfffe
	s_cmp_eq_u32 s1, 0
	s_wait_loadcnt_dscnt 0x0
	v_mul_f32_e32 v6, v6, v7
	s_delay_alu instid0(VALU_DEP_1)
	v_fmac_f32_e32 v4, v5, v6
	s_cbranch_scc0 .LBB5_22
.LBB5_23:
	s_mul_i32 s2, s16, 0x50
	s_mul_i32 s10, ttmp9, 0x50
	s_wait_alu 0xfffe
	s_ashr_i32 s3, s2, 31
	s_ashr_i32 s11, s10, 31
	s_wait_alu 0xfffe
	s_lshl_b64 s[2:3], s[2:3], 2
	s_wait_dscnt 0x0
	v_lshlrev_b64_e32 v[1:2], 2, v[0:1]
	s_lshl_b64 s[10:11], s[10:11], 2
	s_wait_alu 0xfffe
	s_add_nc_u64 s[2:3], s[6:7], s[2:3]
	s_wait_alu 0xfffe
	s_add_nc_u64 s[2:3], s[2:3], s[10:11]
	s_wait_alu 0xfffe
	v_add_co_u32 v1, vcc_lo, s2, v1
	s_wait_alu 0xfffd
	v_add_co_ci_u32_e64 v2, null, s3, v2, vcc_lo
	global_store_b32 v[1:2], v4, off
.LBB5_24:
	s_wait_alu 0xfffe
	s_or_b32 exec_lo, exec_lo, s0
	s_mov_b32 s2, 0
.LBB5_25:
	s_wait_alu 0xfffe
	s_and_b32 vcc_lo, exec_lo, s2
	s_wait_alu 0xfffe
	s_cbranch_vccz .LBB5_29
; %bb.26:
	s_mov_b32 s0, exec_lo
	v_cmpx_gt_u32_e32 0x50, v0
	s_cbranch_execz .LBB5_29
; %bb.27:
	s_load_b32 s10, s[8:9], 0xc
	s_mul_i32 s0, s15, ttmp7
	s_wait_alu 0xfffe
	s_mul_i32 s2, ttmp9, 0x50
	s_mulk_i32 s0, 0x50
	s_wait_alu 0xfffe
	s_ashr_i32 s3, s2, 31
	s_ashr_i32 s1, s0, 31
	s_wait_dscnt 0x0
	v_dual_mov_b32 v2, 0 :: v_dual_lshlrev_b32 v1, 2, v0
	s_wait_alu 0xfffe
	s_lshl_b64 s[8:9], s[0:1], 2
	s_mul_i32 s0, s0, s14
	s_add_nc_u64 s[6:7], s[6:7], s[8:9]
	s_lshl_b64 s[8:9], s[2:3], 2
	s_wait_alu 0xfffe
	s_ashr_i32 s1, s0, 31
	s_mul_i32 s2, s2, s14
	s_wait_alu 0xfffe
	s_lshl_b64 s[0:1], s[0:1], 2
	s_ashr_i32 s3, s2, 31
	s_wait_alu 0xfffe
	s_add_nc_u64 s[0:1], s[4:5], s[0:1]
	s_lshl_b64 s[4:5], s[2:3], 2
	s_add_nc_u64 s[2:3], s[6:7], s[8:9]
	s_wait_alu 0xfffe
	s_add_nc_u64 s[4:5], s[0:1], s[4:5]
	s_wait_kmcnt 0x0
	s_and_b32 s1, s10, 0xffff
	s_mov_b32 s6, 0
	s_wait_alu 0xfffe
	s_lshl_b32 s7, s1, 2
.LBB5_28:                               ; =>This Inner Loop Header: Depth=1
	v_add_co_u32 v3, vcc_lo, s4, v1
	s_wait_alu 0xfffd
	v_add_co_ci_u32_e64 v4, null, s5, v2, vcc_lo
	v_add_nc_u32_e32 v0, s1, v0
	global_load_b32 v5, v[3:4], off
	v_add_co_u32 v3, vcc_lo, s2, v1
	s_wait_alu 0xfffd
	v_add_co_ci_u32_e64 v4, null, s3, v2, vcc_lo
	v_cmp_lt_u32_e32 vcc_lo, 0x4f, v0
	v_add_co_u32 v1, s0, v1, s7
	s_wait_alu 0xf1ff
	v_add_co_ci_u32_e64 v2, null, 0, v2, s0
	s_or_b32 s6, vcc_lo, s6
	s_wait_loadcnt 0x0
	global_store_b32 v[3:4], v5, off
	s_wait_alu 0xfffe
	s_and_not1_b32 exec_lo, exec_lo, s6
	s_cbranch_execnz .LBB5_28
.LBB5_29:
	s_endpgm
	.section	.rodata,"a",@progbits
	.p2align	6, 0x0
	.amdhsa_kernel _ZN4vllm32paged_attention_v2_reduce_kernelIfLi80ELi128ELi512EEEvPT_PKfS4_PKS1_PKii
		.amdhsa_group_segment_fixed_size 32
		.amdhsa_private_segment_fixed_size 0
		.amdhsa_kernarg_size 304
		.amdhsa_user_sgpr_count 2
		.amdhsa_user_sgpr_dispatch_ptr 0
		.amdhsa_user_sgpr_queue_ptr 0
		.amdhsa_user_sgpr_kernarg_segment_ptr 1
		.amdhsa_user_sgpr_dispatch_id 0
		.amdhsa_user_sgpr_private_segment_size 0
		.amdhsa_wavefront_size32 1
		.amdhsa_uses_dynamic_stack 0
		.amdhsa_enable_private_segment 0
		.amdhsa_system_sgpr_workgroup_id_x 1
		.amdhsa_system_sgpr_workgroup_id_y 1
		.amdhsa_system_sgpr_workgroup_id_z 0
		.amdhsa_system_sgpr_workgroup_info 0
		.amdhsa_system_vgpr_workitem_id 0
		.amdhsa_next_free_vgpr 19
		.amdhsa_next_free_sgpr 26
		.amdhsa_reserve_vcc 1
		.amdhsa_float_round_mode_32 0
		.amdhsa_float_round_mode_16_64 0
		.amdhsa_float_denorm_mode_32 3
		.amdhsa_float_denorm_mode_16_64 3
		.amdhsa_fp16_overflow 0
		.amdhsa_workgroup_processor_mode 1
		.amdhsa_memory_ordered 1
		.amdhsa_forward_progress 1
		.amdhsa_inst_pref_size 17
		.amdhsa_round_robin_scheduling 0
		.amdhsa_exception_fp_ieee_invalid_op 0
		.amdhsa_exception_fp_denorm_src 0
		.amdhsa_exception_fp_ieee_div_zero 0
		.amdhsa_exception_fp_ieee_overflow 0
		.amdhsa_exception_fp_ieee_underflow 0
		.amdhsa_exception_fp_ieee_inexact 0
		.amdhsa_exception_int_div_zero 0
	.end_amdhsa_kernel
	.section	.text._ZN4vllm32paged_attention_v2_reduce_kernelIfLi80ELi128ELi512EEEvPT_PKfS4_PKS1_PKii,"axG",@progbits,_ZN4vllm32paged_attention_v2_reduce_kernelIfLi80ELi128ELi512EEEvPT_PKfS4_PKS1_PKii,comdat
.Lfunc_end5:
	.size	_ZN4vllm32paged_attention_v2_reduce_kernelIfLi80ELi128ELi512EEEvPT_PKfS4_PKS1_PKii, .Lfunc_end5-_ZN4vllm32paged_attention_v2_reduce_kernelIfLi80ELi128ELi512EEEvPT_PKfS4_PKS1_PKii
                                        ; -- End function
	.set _ZN4vllm32paged_attention_v2_reduce_kernelIfLi80ELi128ELi512EEEvPT_PKfS4_PKS1_PKii.num_vgpr, 19
	.set _ZN4vllm32paged_attention_v2_reduce_kernelIfLi80ELi128ELi512EEEvPT_PKfS4_PKS1_PKii.num_agpr, 0
	.set _ZN4vllm32paged_attention_v2_reduce_kernelIfLi80ELi128ELi512EEEvPT_PKfS4_PKS1_PKii.numbered_sgpr, 26
	.set _ZN4vllm32paged_attention_v2_reduce_kernelIfLi80ELi128ELi512EEEvPT_PKfS4_PKS1_PKii.num_named_barrier, 0
	.set _ZN4vllm32paged_attention_v2_reduce_kernelIfLi80ELi128ELi512EEEvPT_PKfS4_PKS1_PKii.private_seg_size, 0
	.set _ZN4vllm32paged_attention_v2_reduce_kernelIfLi80ELi128ELi512EEEvPT_PKfS4_PKS1_PKii.uses_vcc, 1
	.set _ZN4vllm32paged_attention_v2_reduce_kernelIfLi80ELi128ELi512EEEvPT_PKfS4_PKS1_PKii.uses_flat_scratch, 0
	.set _ZN4vllm32paged_attention_v2_reduce_kernelIfLi80ELi128ELi512EEEvPT_PKfS4_PKS1_PKii.has_dyn_sized_stack, 0
	.set _ZN4vllm32paged_attention_v2_reduce_kernelIfLi80ELi128ELi512EEEvPT_PKfS4_PKS1_PKii.has_recursion, 0
	.set _ZN4vllm32paged_attention_v2_reduce_kernelIfLi80ELi128ELi512EEEvPT_PKfS4_PKS1_PKii.has_indirect_call, 0
	.section	.AMDGPU.csdata,"",@progbits
; Kernel info:
; codeLenInByte = 2168
; TotalNumSgprs: 28
; NumVgprs: 19
; ScratchSize: 0
; MemoryBound: 0
; FloatMode: 240
; IeeeMode: 1
; LDSByteSize: 32 bytes/workgroup (compile time only)
; SGPRBlocks: 0
; VGPRBlocks: 2
; NumSGPRsForWavesPerEU: 28
; NumVGPRsForWavesPerEU: 19
; Occupancy: 16
; WaveLimiterHint : 0
; COMPUTE_PGM_RSRC2:SCRATCH_EN: 0
; COMPUTE_PGM_RSRC2:USER_SGPR: 2
; COMPUTE_PGM_RSRC2:TRAP_HANDLER: 0
; COMPUTE_PGM_RSRC2:TGID_X_EN: 1
; COMPUTE_PGM_RSRC2:TGID_Y_EN: 1
; COMPUTE_PGM_RSRC2:TGID_Z_EN: 0
; COMPUTE_PGM_RSRC2:TIDIG_COMP_CNT: 0
	.section	.text._ZN4vllm25paged_attention_v2_kernelIffLi96ELi8ELi128ELNS_18Fp8KVCacheDataTypeE0ELb1ELi512EEEvPfS2_PT_PKS3_PKT0_S9_ifPKiSB_iPKfiiiSD_SD_iiiii,"axG",@progbits,_ZN4vllm25paged_attention_v2_kernelIffLi96ELi8ELi128ELNS_18Fp8KVCacheDataTypeE0ELb1ELi512EEEvPfS2_PT_PKS3_PKT0_S9_ifPKiSB_iPKfiiiSD_SD_iiiii,comdat
	.protected	_ZN4vllm25paged_attention_v2_kernelIffLi96ELi8ELi128ELNS_18Fp8KVCacheDataTypeE0ELb1ELi512EEEvPfS2_PT_PKS3_PKT0_S9_ifPKiSB_iPKfiiiSD_SD_iiiii ; -- Begin function _ZN4vllm25paged_attention_v2_kernelIffLi96ELi8ELi128ELNS_18Fp8KVCacheDataTypeE0ELb1ELi512EEEvPfS2_PT_PKS3_PKT0_S9_ifPKiSB_iPKfiiiSD_SD_iiiii
	.globl	_ZN4vllm25paged_attention_v2_kernelIffLi96ELi8ELi128ELNS_18Fp8KVCacheDataTypeE0ELb1ELi512EEEvPfS2_PT_PKS3_PKT0_S9_ifPKiSB_iPKfiiiSD_SD_iiiii
	.p2align	8
	.type	_ZN4vllm25paged_attention_v2_kernelIffLi96ELi8ELi128ELNS_18Fp8KVCacheDataTypeE0ELb1ELi512EEEvPfS2_PT_PKS3_PKT0_S9_ifPKiSB_iPKfiiiSD_SD_iiiii,@function
_ZN4vllm25paged_attention_v2_kernelIffLi96ELi8ELi128ELNS_18Fp8KVCacheDataTypeE0ELb1ELi512EEEvPfS2_PT_PKS3_PKT0_S9_ifPKiSB_iPKfiiiSD_SD_iiiii: ; @_ZN4vllm25paged_attention_v2_kernelIffLi96ELi8ELi128ELNS_18Fp8KVCacheDataTypeE0ELb1ELi512EEEvPfS2_PT_PKS3_PKT0_S9_ifPKiSB_iPKfiiiSD_SD_iiiii
; %bb.0:
	s_load_b64 s[2:3], s[0:1], 0x40
	s_and_b32 s20, ttmp7, 0xffff
	s_lshr_b32 s30, ttmp7, 16
	s_lshl_b32 s4, s20, 2
	s_lshl_b32 s33, s30, 9
	s_wait_kmcnt 0x0
	s_load_b32 s31, s[2:3], s4 offset:0x0
	s_wait_kmcnt 0x0
	s_cmp_ge_i32 s33, s31
	s_cbranch_scc1 .LBB6_80
; %bb.1:
	s_clause 0x1
	s_load_b32 s21, s[0:1], 0x90
	s_load_b64 s[6:7], s[0:1], 0x30
	s_wait_kmcnt 0x0
	s_abs_i32 s5, s21
	s_abs_i32 s2, s6
	s_delay_alu instid0(SALU_CYCLE_1) | instskip(SKIP_1) | instid1(SALU_CYCLE_2)
	s_cvt_f32_u32 s3, s2
	s_sub_co_i32 s4, 0, s2
	v_rcp_iflag_f32_e32 v1, s3
	s_delay_alu instid0(TRANS32_DEP_1) | instskip(SKIP_2) | instid1(SALU_CYCLE_2)
	v_readfirstlane_b32 s3, v1
	s_mul_f32 s3, s3, 0x4f7ffffe
	s_wait_alu 0xfffe
	s_cvt_u32_f32 s3, s3
	s_wait_alu 0xfffe
	s_delay_alu instid0(SALU_CYCLE_2) | instskip(NEXT) | instid1(SALU_CYCLE_1)
	s_mul_i32 s4, s4, s3
	s_mul_hi_u32 s4, s3, s4
	s_delay_alu instid0(SALU_CYCLE_1)
	s_add_co_i32 s3, s3, s4
	s_xor_b32 s4, s21, s6
	s_wait_alu 0xfffe
	s_mul_hi_u32 s3, s5, s3
	s_ashr_i32 s4, s4, 31
	s_wait_alu 0xfffe
	s_mul_i32 s8, s3, s2
	s_delay_alu instid0(SALU_CYCLE_1)
	s_sub_co_i32 s5, s5, s8
	s_add_co_i32 s8, s3, 1
	s_sub_co_i32 s9, s5, s2
	s_cmp_ge_u32 s5, s2
	s_cselect_b32 s3, s8, s3
	s_cselect_b32 s5, s9, s5
	s_wait_alu 0xfffe
	s_add_co_i32 s8, s3, 1
	s_cmp_ge_u32 s5, s2
	s_cselect_b32 s2, s8, s3
	s_load_b64 s[8:9], s[0:1], 0x50
	s_xor_b32 s2, s2, s4
	s_mov_b32 s3, 0
	s_wait_alu 0xfffe
	s_sub_co_i32 s10, s2, s4
	s_mov_b32 s15, s3
	s_abs_i32 s18, s10
	s_delay_alu instid0(SALU_CYCLE_1) | instskip(SKIP_1) | instid1(SALU_CYCLE_2)
	s_cvt_f32_u32 s2, s18
	s_wait_alu 0xfffe
	v_rcp_iflag_f32_e32 v1, s2
	s_delay_alu instid0(TRANS32_DEP_1) | instskip(SKIP_2) | instid1(SALU_CYCLE_2)
	v_readfirstlane_b32 s2, v1
	s_mul_f32 s2, s2, 0x4f7ffffe
	s_wait_alu 0xfffe
	s_cvt_u32_f32 s4, s2
	s_sub_co_i32 s2, 0, s18
	s_wait_alu 0xfffe
	s_delay_alu instid0(SALU_CYCLE_1)
	s_mul_i32 s2, s2, s4
	s_wait_alu 0xfffe
	s_mul_hi_u32 s5, s4, s2
	s_abs_i32 s2, ttmp9
	s_add_co_i32 s4, s4, s5
	s_mov_b32 s5, s3
	s_wait_kmcnt 0x0
	s_cmp_eq_u64 s[8:9], 0
	s_cbranch_scc1 .LBB6_3
; %bb.2:
	s_mov_b32 s12, ttmp9
	s_ashr_i32 s13, ttmp9, 31
	s_delay_alu instid0(SALU_CYCLE_1) | instskip(NEXT) | instid1(SALU_CYCLE_1)
	s_lshl_b64 s[12:13], s[12:13], 2
	s_add_nc_u64 s[8:9], s[8:9], s[12:13]
	s_load_b32 s15, s[8:9], 0x0
.LBB6_3:
	s_load_b96 s[12:14], s[0:1], 0x58
	v_and_b32_e32 v1, 3, v0
	v_lshlrev_b32_e32 v3, 2, v0
	s_mul_u64 s[4:5], s[2:3], s[4:5]
	s_ashr_i32 s3, ttmp9, 31
	s_ashr_i32 s4, s10, 31
	s_mul_i32 s16, ttmp9, 0x60
	s_mov_b32 s8, exec_lo
	v_cmpx_gt_u32_e32 0x60, v0
	s_cbranch_execz .LBB6_5
; %bb.4:
	s_load_b64 s[10:11], s[0:1], 0x18
	s_wait_kmcnt 0x0
	s_mul_i32 s22, s12, s20
	s_ashr_i32 s17, s16, 31
	s_ashr_i32 s23, s22, 31
	v_and_b32_e32 v4, 0x3fc, v0
	s_lshl_b64 s[22:23], s[22:23], 2
	s_delay_alu instid0(VALU_DEP_1) | instskip(SKIP_2) | instid1(SALU_CYCLE_1)
	v_mad_u32_u24 v4, 0x60, v1, v4
	s_add_nc_u64 s[10:11], s[10:11], s[22:23]
	s_lshl_b64 s[22:23], s[16:17], 2
	s_add_nc_u64 s[10:11], s[10:11], s[22:23]
	global_load_b32 v2, v3, s[10:11]
	s_wait_loadcnt 0x0
	ds_store_b32 v4, v2
.LBB6_5:
	s_or_b32 exec_lo, exec_lo, s8
	s_clause 0x1
	s_load_b128 s[8:11], s[0:1], 0x78
	s_load_b32 s22, s[0:1], 0x88
	s_wait_kmcnt 0x0
	s_mul_i32 s12, s5, s18
	s_xor_b32 s3, s3, s4
	s_sub_co_i32 s2, s2, s12
	s_add_co_i32 s4, s5, 1
	s_wait_alu 0xfffe
	s_sub_co_i32 s12, s2, s18
	s_cmp_ge_u32 s2, s18
	s_mov_b32 s24, -1
	s_cselect_b32 s4, s4, s5
	s_cselect_b32 s2, s12, s2
	s_add_co_i32 s5, s4, 1
	s_wait_alu 0xfffe
	s_cmp_ge_u32 s2, s18
	s_wait_dscnt 0x0
	s_cselect_b32 s2, s5, s4
	s_add_co_i32 s23, s31, -1
	s_wait_alu 0xfffe
	s_xor_b32 s2, s2, s3
	s_barrier_signal -1
	s_wait_alu 0xfffe
	s_sub_co_i32 s26, s2, s3
	s_barrier_wait -1
	s_abs_i32 s12, s11
	global_inv scope:SCOPE_SE
	s_cvt_f32_u32 s4, s12
                                        ; implicit-def: $sgpr17
	s_delay_alu instid0(SALU_CYCLE_3) | instskip(NEXT) | instid1(TRANS32_DEP_1)
	v_rcp_iflag_f32_e32 v2, s4
	v_readfirstlane_b32 s4, v2
	s_mul_f32 s2, s4, 0x4f7ffffe
	s_wait_alu 0xfffe
	s_delay_alu instid0(SALU_CYCLE_2) | instskip(SKIP_2) | instid1(SALU_CYCLE_1)
	s_cvt_u32_f32 s4, s2
	s_sub_co_i32 s2, 0, s12
	s_wait_alu 0xfffe
	s_mul_i32 s3, s2, s4
	s_abs_i32 s2, s23
	s_wait_alu 0xfffe
	s_mul_hi_u32 s5, s4, s3
	s_mov_b32 s3, 0
	s_wait_alu 0xfffe
	s_add_co_i32 s18, s4, s5
	s_cmp_lt_i32 s22, 0
	s_mov_b32 s19, s3
	s_cbranch_scc0 .LBB6_7
; %bb.6:
	s_mul_i32 s4, s8, s6
	s_mov_b32 s24, s3
	s_wait_alu 0xfffe
	s_add_co_i32 s4, s26, s4
	s_wait_alu 0xfffe
	s_mul_i32 s4, s4, s22
	s_wait_alu 0xfffe
	s_sub_co_i32 s17, 1, s4
.LBB6_7:
	s_mul_u64 s[4:5], s[2:3], s[18:19]
	s_ashr_i32 s3, s23, 31
	s_and_not1_b32 vcc_lo, exec_lo, s24
	s_ashr_i32 s11, s11, 31
	s_cbranch_vccnz .LBB6_9
; %bb.8:
	s_mul_i32 s4, s21, s8
	s_wait_alu 0xfffe
	s_add_co_i32 s4, s4, ttmp9
	s_wait_alu 0xfffe
	s_mul_i32 s4, s4, s22
	s_wait_alu 0xfffe
	s_add_co_i32 s17, s4, 1
.LBB6_9:
	s_clause 0x2
	s_load_b32 s4, s[0:1], 0x48
	s_load_b64 s[22:23], s[0:1], 0x38
	s_load_b32 s8, s[0:1], 0x98
	s_mul_i32 s6, s5, s12
	s_xor_b32 s3, s3, s11
	s_sub_co_i32 s2, s2, s6
	s_add_co_i32 s19, s5, 1
	v_lshrrev_b32_e32 v31, 5, v0
	v_mbcnt_lo_u32_b32 v5, -1, 0
	s_mul_i32 s26, s26, s14
	s_delay_alu instid0(VALU_DEP_2)
	v_lshl_add_u32 v32, v31, 3, s33
	s_wait_kmcnt 0x0
	s_mul_i32 s24, s4, s20
	s_wait_alu 0xfffe
	s_sub_co_i32 s4, s2, s12
	s_ashr_i32 s25, s24, 31
	s_cmp_ge_u32 s2, s12
	s_cselect_b32 s5, s19, s5
	s_wait_alu 0xfffe
	s_cselect_b32 s2, s4, s2
	s_add_co_i32 s4, s5, 1
	s_wait_alu 0xfffe
	s_cmp_ge_u32 s2, s12
	s_cselect_b32 s2, s4, s5
	s_add_co_i32 s4, s31, 7
	s_lshl_b32 s36, s30, 6
	s_wait_alu 0xfffe
	s_ashr_i32 s5, s4, 31
	v_or_b32_e32 v33, s36, v31
	s_wait_alu 0xfffe
	s_lshr_b32 s5, s5, 29
	v_mov_b32_e32 v7, 0xff7fffff
	s_wait_alu 0xfffe
	s_add_co_i32 s4, s4, s5
	s_add_co_i32 s5, s36, 64
	s_wait_alu 0xfffe
	s_ashr_i32 s34, s4, 3
	s_xor_b32 s4, s2, s3
	s_min_i32 s19, s5, s34
	v_lshlrev_b32_e32 v4, 2, v33
	v_cmp_gt_i32_e64 s2, s19, v33
	s_wait_alu 0xfffe
	s_sub_co_i32 s35, s4, s3
	s_and_saveexec_b32 s6, s2
	s_cbranch_execz .LBB6_21
; %bb.10:
	s_ashr_i32 s27, s26, 31
	s_sub_co_i32 s14, s35, s9
	s_lshl_b64 s[4:5], s[26:27], 2
	s_cmp_neq_f32 s15, 0
	s_load_b64 s[38:39], s[0:1], 0x20
	v_bfe_u32 v6, v0, 2, 3
	v_dual_mov_b32 v14, 0xff7fffff :: v_dual_lshlrev_b32 v7, 2, v1
	s_cselect_b32 vcc_lo, -1, 0
	s_abs_i32 s27, s10
	v_mul_u32_u24_e32 v8, 0x60, v1
	s_cvt_f32_u32 s3, s27
	v_lshlrev_b32_e32 v9, 4, v6
	s_lshl_b64 s[40:41], s[24:25], 2
	v_subrev_nc_u32_e32 v12, s31, v6
	s_wait_alu 0xfffe
	v_rcp_iflag_f32_e32 v2, s3
	v_cmp_eq_u32_e64 s3, 0, v1
	v_lshlrev_b32_e32 v1, 2, v6
	s_add_nc_u64 s[40:41], s[22:23], s[40:41]
	s_sub_co_i32 s37, 0, s27
	v_lshl_add_u32 v11, v31, 3, s33
	v_add_nc_u32_e32 v12, 1, v12
	v_lshl_or_b32 v13, v31, 5, v1
	v_xor_b32_e32 v15, 2, v5
	s_wait_kmcnt 0x0
	s_add_nc_u64 s[4:5], s[38:39], s[4:5]
	v_readfirstlane_b32 s29, v2
	s_wait_alu 0xfffe
	v_add_co_u32 v1, s4, s4, v9
	s_wait_alu 0xf1ff
	v_add_co_ci_u32_e64 v2, null, s5, 0, s4
	s_mul_f32 s29, s29, 0x4f7ffffe
	v_add_co_u32 v9, s4, v1, v7
	s_wait_alu 0xf1ff
	v_add_co_ci_u32_e64 v10, null, 0, v2, s4
	s_cvt_u32_f32 s5, s29
	v_add_co_u32 v1, s4, s40, v4
	s_wait_alu 0xf1ff
	v_add_co_ci_u32_e64 v2, null, s41, 0, s4
	s_wait_alu 0xfffe
	s_mul_i32 s37, s37, s5
	v_add_nc_u32_e32 v13, 0x1a0, v13
	v_xor_b32_e32 v16, 1, v5
	v_mov_b32_e32 v7, 0xff7fffff
	v_mov_b32_e32 v17, v33
	s_wait_alu 0xfffe
	s_mul_hi_u32 s4, s5, s37
	s_mov_b32 s28, 0
	s_mov_b32 s29, s13
	s_wait_alu 0xfffe
	s_add_co_i32 s37, s5, s4
	s_branch .LBB6_13
.LBB6_11:                               ;   in Loop: Header=BB6_13 Depth=1
	s_or_b32 exec_lo, exec_lo, s38
.LBB6_12:                               ;   in Loop: Header=BB6_13 Depth=1
	s_wait_alu 0xfffe
	s_or_b32 exec_lo, exec_lo, s5
	v_add_nc_u32_e32 v17, 4, v17
	v_add_co_u32 v1, s5, v1, 16
	s_wait_alu 0xf1ff
	v_add_co_ci_u32_e64 v2, null, 0, v2, s5
	s_delay_alu instid0(VALU_DEP_3)
	v_cmp_le_i32_e64 s4, s19, v17
	v_add_nc_u32_e32 v11, 32, v11
	v_add_nc_u32_e32 v13, 0x80, v13
	s_or_b32 s28, s4, s28
	s_wait_alu 0xfffe
	s_and_not1_b32 exec_lo, exec_lo, s28
	s_cbranch_execz .LBB6_20
.LBB6_13:                               ; =>This Inner Loop Header: Depth=1
	v_sub_nc_u32_e32 v18, 0, v11
	s_delay_alu instid0(VALU_DEP_1) | instskip(SKIP_1) | instid1(VALU_DEP_1)
	v_max_i32_e32 v18, v11, v18
	s_wait_dscnt 0x0
	v_mul_hi_u32 v19, v18, s18
	s_delay_alu instid0(VALU_DEP_1) | instskip(NEXT) | instid1(VALU_DEP_1)
	v_mul_lo_u32 v20, v19, s12
	v_sub_nc_u32_e32 v18, v18, v20
	v_add_nc_u32_e32 v20, 1, v19
	s_delay_alu instid0(VALU_DEP_2) | instskip(SKIP_2) | instid1(VALU_DEP_1)
	v_subrev_nc_u32_e32 v21, s12, v18
	v_cmp_le_u32_e64 s4, s12, v18
	s_wait_alu 0xf1ff
	v_cndmask_b32_e64 v19, v19, v20, s4
	s_delay_alu instid0(VALU_DEP_3) | instskip(SKIP_1) | instid1(VALU_DEP_3)
	v_cndmask_b32_e64 v18, v18, v21, s4
	v_ashrrev_i32_e32 v20, 31, v11
	v_add_nc_u32_e32 v21, 1, v19
	s_delay_alu instid0(VALU_DEP_3) | instskip(NEXT) | instid1(VALU_DEP_3)
	v_cmp_le_u32_e64 s4, s12, v18
	v_xor_b32_e32 v20, s11, v20
	s_wait_alu 0xf1ff
	s_delay_alu instid0(VALU_DEP_2) | instskip(NEXT) | instid1(VALU_DEP_1)
	v_cndmask_b32_e64 v18, v19, v21, s4
	v_xor_b32_e32 v18, v18, v20
	s_delay_alu instid0(VALU_DEP_1) | instskip(NEXT) | instid1(VALU_DEP_1)
	v_sub_nc_u32_e32 v18, v18, v20
	v_add_nc_u32_e32 v19, s17, v18
	v_cmp_ge_i32_e64 s5, s14, v18
	s_delay_alu instid0(VALU_DEP_2) | instskip(NEXT) | instid1(VALU_DEP_1)
	v_sub_nc_u32_e32 v20, 0, v19
	v_max_i32_e32 v20, v19, v20
	v_ashrrev_i32_e32 v19, 31, v19
	s_wait_alu 0xfffe
	s_delay_alu instid0(VALU_DEP_2) | instskip(NEXT) | instid1(VALU_DEP_1)
	v_mul_hi_u32 v21, v20, s37
	v_mul_lo_u32 v21, v21, s27
	s_delay_alu instid0(VALU_DEP_1) | instskip(NEXT) | instid1(VALU_DEP_1)
	v_sub_nc_u32_e32 v20, v20, v21
	v_subrev_nc_u32_e32 v21, s27, v20
	v_cmp_le_u32_e64 s4, s27, v20
	s_wait_alu 0xf1ff
	s_delay_alu instid0(VALU_DEP_1) | instskip(NEXT) | instid1(VALU_DEP_1)
	v_cndmask_b32_e64 v20, v20, v21, s4
	v_subrev_nc_u32_e32 v21, s27, v20
	v_cmp_le_u32_e64 s4, s27, v20
	s_wait_alu 0xf1ff
	s_delay_alu instid0(VALU_DEP_1) | instskip(NEXT) | instid1(VALU_DEP_1)
	v_cndmask_b32_e64 v20, v20, v21, s4
	v_xor_b32_e32 v20, v20, v19
	s_delay_alu instid0(VALU_DEP_1) | instskip(NEXT) | instid1(VALU_DEP_1)
	v_sub_nc_u32_e32 v19, v20, v19
	v_cmp_ne_u32_e64 s4, 0, v19
	s_and_b32 s4, s4, s5
	s_wait_alu 0xfffe
	s_and_saveexec_b32 s5, s4
	s_wait_alu 0xfffe
	s_xor_b32 s4, exec_lo, s5
	s_cbranch_execz .LBB6_17
; %bb.14:                               ;   in Loop: Header=BB6_13 Depth=1
	s_and_saveexec_b32 s5, s3
; %bb.15:                               ;   in Loop: Header=BB6_13 Depth=1
	ds_store_b32 v13, v14
; %bb.16:                               ;   in Loop: Header=BB6_13 Depth=1
	s_wait_alu 0xfffe
	s_or_b32 exec_lo, exec_lo, s5
.LBB6_17:                               ;   in Loop: Header=BB6_13 Depth=1
	s_wait_alu 0xfffe
	s_and_not1_saveexec_b32 s5, s4
	s_cbranch_execz .LBB6_12
; %bb.18:                               ;   in Loop: Header=BB6_13 Depth=1
	global_load_b32 v18, v[1:2], off
	s_wait_loadcnt 0x0
	v_mad_co_i64_i32 v[18:19], null, v18, s29, 0
	s_delay_alu instid0(VALU_DEP_1) | instskip(NEXT) | instid1(VALU_DEP_1)
	v_lshlrev_b64_e32 v[18:19], 2, v[18:19]
	v_add_co_u32 v18, s4, v9, v18
	s_wait_alu 0xf1ff
	s_delay_alu instid0(VALU_DEP_2)
	v_add_co_ci_u32_e64 v19, null, v10, v19, s4
	v_cmp_gt_i32_e64 s4, 32, v15
	s_clause 0x17
	global_load_b32 v26, v[18:19], off offset:128
	global_load_b32 v27, v[18:19], off
	global_load_b32 v28, v[18:19], off offset:256
	global_load_b32 v29, v[18:19], off offset:384
	;; [unrolled: 1-line block ×22, first 2 shown]
	ds_load_b128 v[18:21], v8
	ds_load_b128 v[22:25], v8 offset:16
	s_wait_loadcnt_dscnt 0x1701
	v_mul_f32_e32 v26, v19, v26
	s_wait_loadcnt 0x16
	s_delay_alu instid0(VALU_DEP_1) | instskip(SKIP_1) | instid1(VALU_DEP_1)
	v_fmac_f32_e32 v26, v18, v27
	s_wait_loadcnt 0x15
	v_fmac_f32_e32 v26, v20, v28
	s_wait_loadcnt 0x14
	s_delay_alu instid0(VALU_DEP_1) | instskip(SKIP_4) | instid1(VALU_DEP_1)
	v_fmac_f32_e32 v26, v21, v29
	ds_load_b128 v[18:21], v8 offset:32
	s_wait_loadcnt_dscnt 0x1301
	v_fmac_f32_e32 v26, v22, v30
	s_wait_loadcnt 0x12
	v_fmac_f32_e32 v26, v23, v34
	s_wait_loadcnt 0x11
	s_delay_alu instid0(VALU_DEP_1) | instskip(SKIP_1) | instid1(VALU_DEP_1)
	v_fmac_f32_e32 v26, v24, v35
	s_wait_loadcnt 0x10
	v_fmac_f32_e32 v26, v25, v36
	ds_load_b128 v[22:25], v8 offset:48
	s_wait_loadcnt_dscnt 0xf01
	v_fmac_f32_e32 v26, v18, v37
	s_wait_loadcnt 0xe
	s_delay_alu instid0(VALU_DEP_1) | instskip(SKIP_1) | instid1(VALU_DEP_1)
	v_fmac_f32_e32 v26, v19, v38
	s_wait_loadcnt 0xd
	v_fmac_f32_e32 v26, v20, v39
	s_wait_loadcnt 0xc
	s_delay_alu instid0(VALU_DEP_1) | instskip(SKIP_4) | instid1(VALU_DEP_1)
	v_fmac_f32_e32 v26, v21, v40
	ds_load_b128 v[18:21], v8 offset:64
	s_wait_loadcnt_dscnt 0xb01
	v_fmac_f32_e32 v26, v22, v41
	s_wait_loadcnt 0xa
	v_fmac_f32_e32 v26, v23, v42
	s_wait_loadcnt 0x9
	s_delay_alu instid0(VALU_DEP_1) | instskip(SKIP_1) | instid1(VALU_DEP_1)
	v_fmac_f32_e32 v26, v24, v43
	s_wait_loadcnt 0x8
	v_fmac_f32_e32 v26, v25, v44
	ds_load_b128 v[22:25], v8 offset:80
	s_wait_loadcnt_dscnt 0x701
	v_fmac_f32_e32 v26, v18, v45
	s_wait_alu 0xf1ff
	v_cndmask_b32_e64 v18, v5, v15, s4
	v_cmp_gt_i32_e64 s4, 32, v16
	s_wait_loadcnt 0x6
	v_fmac_f32_e32 v26, v19, v46
	s_delay_alu instid0(VALU_DEP_3)
	v_lshlrev_b32_e32 v18, 2, v18
	s_wait_alu 0xf1ff
	v_cndmask_b32_e64 v19, v5, v16, s4
	s_wait_loadcnt 0x5
	v_fmac_f32_e32 v26, v20, v47
	s_wait_loadcnt 0x4
	s_delay_alu instid0(VALU_DEP_1) | instskip(SKIP_1) | instid1(VALU_DEP_1)
	v_dual_fmac_f32 v26, v21, v48 :: v_dual_lshlrev_b32 v19, 2, v19
	s_wait_loadcnt_dscnt 0x300
	v_fmac_f32_e32 v26, v22, v49
	s_wait_loadcnt 0x2
	s_delay_alu instid0(VALU_DEP_1) | instskip(SKIP_1) | instid1(VALU_DEP_1)
	v_fmac_f32_e32 v26, v23, v50
	s_wait_loadcnt 0x1
	v_fmac_f32_e32 v26, v24, v51
	s_wait_loadcnt 0x0
	s_delay_alu instid0(VALU_DEP_1)
	v_fmac_f32_e32 v26, v25, v52
	ds_bpermute_b32 v18, v18, v26
	s_wait_dscnt 0x0
	v_add_f32_e32 v18, v26, v18
	ds_bpermute_b32 v19, v19, v18
	s_and_saveexec_b32 s38, s3
	s_cbranch_execz .LBB6_11
; %bb.19:                               ;   in Loop: Header=BB6_13 Depth=1
	s_wait_dscnt 0x0
	v_add_f32_e32 v18, v18, v19
	v_add_nc_u32_e32 v20, v12, v11
	s_delay_alu instid0(VALU_DEP_1) | instskip(NEXT) | instid1(VALU_DEP_1)
	v_cvt_f32_i32_e32 v20, v20
	v_mul_f32_e32 v20, s15, v20
	s_delay_alu instid0(VALU_DEP_1) | instskip(NEXT) | instid1(VALU_DEP_1)
	v_dual_cndmask_b32 v19, 0, v20 :: v_dual_max_num_f32 v20, v7, v7
	v_dual_fmac_f32 v19, s7, v18 :: v_dual_add_nc_u32 v18, v6, v11
	s_delay_alu instid0(VALU_DEP_1) | instskip(NEXT) | instid1(VALU_DEP_2)
	v_max_num_f32_e32 v20, v20, v19
	v_cmp_gt_i32_e64 s4, s31, v18
	s_wait_alu 0xf1ff
	s_delay_alu instid0(VALU_DEP_1) | instskip(NEXT) | instid1(VALU_DEP_3)
	v_cndmask_b32_e64 v18, 0, v19, s4
	v_cndmask_b32_e64 v7, v7, v20, s4
	ds_store_b32 v13, v18
	s_branch .LBB6_11
.LBB6_20:
	s_or_b32 exec_lo, exec_lo, s28
.LBB6_21:
	s_delay_alu instid0(SALU_CYCLE_1)
	s_or_b32 exec_lo, exec_lo, s6
	v_xor_b32_e32 v1, 16, v5
	v_xor_b32_e32 v6, 8, v5
	;; [unrolled: 1-line block ×3, first 2 shown]
	s_clause 0x2
	s_load_b128 s[4:7], s[0:1], 0x0
	s_load_b64 s[14:15], s[0:1], 0x10
	s_load_b64 s[28:29], s[0:1], 0x28
	v_and_b32_e32 v34, 31, v0
	v_cmp_gt_i32_e32 vcc_lo, 32, v1
	s_wait_alu 0xfffd
	v_cndmask_b32_e32 v1, v5, v1, vcc_lo
	v_cmp_gt_i32_e32 vcc_lo, 32, v6
	s_wait_alu 0xfffd
	v_cndmask_b32_e32 v6, v5, v6, vcc_lo
	v_cmp_gt_i32_e32 vcc_lo, 32, v8
	s_delay_alu instid0(VALU_DEP_2)
	v_lshlrev_b32_e32 v6, 2, v6
	v_lshlrev_b32_e32 v2, 2, v1
	s_wait_alu 0xfffd
	v_cndmask_b32_e32 v8, v5, v8, vcc_lo
	v_cmp_eq_u32_e32 vcc_lo, 0, v34
	ds_bpermute_b32 v1, v2, v7
	v_max_num_f32_e32 v7, v7, v7
	v_lshlrev_b32_e32 v9, 2, v8
	s_wait_dscnt 0x0
	v_max_num_f32_e32 v1, v1, v1
	s_delay_alu instid0(VALU_DEP_1) | instskip(SKIP_3) | instid1(VALU_DEP_1)
	v_max_num_f32_e32 v1, v7, v1
	ds_bpermute_b32 v7, v6, v1
	s_wait_dscnt 0x0
	v_max_num_f32_e32 v7, v7, v7
	v_max_num_f32_e32 v1, v1, v7
	v_lshlrev_b32_e32 v7, 2, v31
	ds_bpermute_b32 v8, v9, v1
	s_and_saveexec_b32 s0, vcc_lo
	s_cbranch_execz .LBB6_23
; %bb.22:
	s_wait_dscnt 0x0
	v_dual_max_num_f32 v8, v8, v8 :: v_dual_max_num_f32 v1, v1, v1
	s_delay_alu instid0(VALU_DEP_1)
	v_max_num_f32_e32 v1, v1, v8
	ds_store_b32 v7, v1 offset:384
.LBB6_23:
	s_or_b32 exec_lo, exec_lo, s0
	v_cmp_gt_u32_e64 s0, 4, v34
	s_wait_dscnt 0x0
	v_dual_mov_b32 v1, 0xff7fffff :: v_dual_lshlrev_b32 v8, 2, v34
	s_wait_loadcnt 0x0
	s_barrier_signal -1
	s_barrier_wait -1
	global_inv scope:SCOPE_SE
	s_and_saveexec_b32 s1, s0
; %bb.24:
	ds_load_b32 v1, v8 offset:384
; %bb.25:
	s_or_b32 exec_lo, exec_lo, s1
	v_xor_b32_e32 v10, 2, v5
	v_xor_b32_e32 v12, 1, v5
	s_delay_alu instid0(VALU_DEP_2) | instskip(NEXT) | instid1(VALU_DEP_1)
	v_cmp_gt_i32_e64 s1, 32, v10
	v_cndmask_b32_e64 v10, v5, v10, s1
	s_delay_alu instid0(VALU_DEP_3) | instskip(NEXT) | instid1(VALU_DEP_2)
	v_cmp_gt_i32_e64 s1, 32, v12
	v_lshlrev_b32_e32 v10, 2, v10
	s_wait_alu 0xf1ff
	s_delay_alu instid0(VALU_DEP_2)
	v_cndmask_b32_e64 v5, v5, v12, s1
	s_sub_co_i32 s1, s19, s36
	s_wait_alu 0xfffe
	s_lshl_b32 s1, s1, 3
	s_wait_dscnt 0x0
	ds_bpermute_b32 v11, v10, v1
	v_max_num_f32_e32 v1, v1, v1
	v_lshlrev_b32_e32 v35, 2, v5
	s_wait_alu 0xfffe
	s_add_co_i32 s1, s1, s33
	s_wait_alu 0xfffe
	s_min_i32 s1, s1, s31
	s_wait_alu 0xfffe
	s_sub_co_i32 s27, s1, s33
	s_wait_alu 0xfffe
	v_cmp_gt_i32_e64 s1, s27, v0
	s_wait_dscnt 0x0
	v_max_num_f32_e32 v11, v11, v11
	s_delay_alu instid0(VALU_DEP_1) | instskip(SKIP_4) | instid1(VALU_DEP_1)
	v_max_num_f32_e32 v1, v1, v11
	v_mov_b32_e32 v11, 0
	ds_bpermute_b32 v5, v35, v1
	s_wait_dscnt 0x0
	v_max_num_f32_e32 v5, v5, v5
	v_max_num_f32_e32 v1, v1, v5
	v_lshl_add_u32 v5, v0, 2, 0x1a0
	ds_bpermute_b32 v1, v11, v1
	s_and_saveexec_b32 s33, s1
	s_cbranch_execz .LBB6_29
; %bb.26:
	v_lshl_add_u32 v12, v0, 2, 0x1a0
	v_mov_b32_e32 v11, 0
	v_mov_b32_e32 v13, v0
	s_mov_b32 s36, 0
.LBB6_27:                               ; =>This Inner Loop Header: Depth=1
	ds_load_b32 v14, v12
	v_add_nc_u32_e32 v13, 0x80, v13
	s_delay_alu instid0(VALU_DEP_1) | instskip(SKIP_4) | instid1(VALU_DEP_1)
	v_cmp_le_i32_e64 s3, s27, v13
	s_wait_alu 0xfffe
	s_or_b32 s36, s3, s36
	s_wait_dscnt 0x0
	v_sub_f32_e32 v14, v14, v1
	v_mul_f32_e32 v14, 0x3fb8aa3b, v14
	s_delay_alu instid0(VALU_DEP_1)
	v_exp_f32_e32 v14, v14
	ds_store_b32 v12, v14
	v_dual_add_f32 v11, v11, v14 :: v_dual_add_nc_u32 v12, 0x200, v12
	s_wait_alu 0xfffe
	s_and_not1_b32 exec_lo, exec_lo, s36
	s_cbranch_execnz .LBB6_27
; %bb.28:
	s_or_b32 exec_lo, exec_lo, s36
.LBB6_29:
	s_wait_alu 0xfffe
	s_or_b32 exec_lo, exec_lo, s33
	ds_bpermute_b32 v2, v2, v11
	s_wait_dscnt 0x0
	v_add_f32_e32 v2, v11, v2
	ds_bpermute_b32 v6, v6, v2
	s_wait_dscnt 0x0
	v_add_f32_e32 v2, v2, v6
	;; [unrolled: 3-line block ×5, first 2 shown]
	s_and_saveexec_b32 s3, vcc_lo
; %bb.30:
	ds_store_b32 v7, v2 offset:400
; %bb.31:
	s_wait_alu 0xfffe
	s_or_b32 exec_lo, exec_lo, s3
	s_wait_loadcnt_dscnt 0x0
	s_barrier_signal -1
	s_barrier_wait -1
	global_inv scope:SCOPE_SE
	s_and_saveexec_b32 s3, s0
; %bb.32:
	ds_load_b32 v2, v8 offset:400
; %bb.33:
	s_wait_alu 0xfffe
	s_or_b32 exec_lo, exec_lo, s3
	s_wait_dscnt 0x0
	ds_bpermute_b32 v6, v10, v2
	s_wait_dscnt 0x0
	v_add_f32_e32 v2, v2, v6
	ds_bpermute_b32 v6, v35, v2
	s_wait_dscnt 0x0
	v_add_f32_e32 v2, v2, v6
	v_mov_b32_e32 v6, 0
	ds_bpermute_b32 v2, v6, v2
	s_and_saveexec_b32 s0, s1
	s_cbranch_execz .LBB6_36
; %bb.34:
	s_wait_dscnt 0x0
	v_add_f32_e32 v6, 0x358637bd, v2
	s_mov_b32 s1, 0
	s_delay_alu instid0(VALU_DEP_1) | instskip(SKIP_1) | instid1(VALU_DEP_2)
	v_div_scale_f32 v7, null, v6, v6, 1.0
	v_div_scale_f32 v10, vcc_lo, 1.0, v6, 1.0
	v_rcp_f32_e32 v8, v7
	s_delay_alu instid0(TRANS32_DEP_1) | instskip(NEXT) | instid1(VALU_DEP_1)
	v_fma_f32 v9, -v7, v8, 1.0
	v_fmac_f32_e32 v8, v9, v8
	s_delay_alu instid0(VALU_DEP_1) | instskip(NEXT) | instid1(VALU_DEP_1)
	v_mul_f32_e32 v9, v10, v8
	v_fma_f32 v11, -v7, v9, v10
	s_delay_alu instid0(VALU_DEP_1) | instskip(NEXT) | instid1(VALU_DEP_1)
	v_fmac_f32_e32 v9, v11, v8
	v_fma_f32 v7, -v7, v9, v10
	s_wait_alu 0xfffd
	s_delay_alu instid0(VALU_DEP_1) | instskip(NEXT) | instid1(VALU_DEP_1)
	v_div_fmas_f32 v7, v7, v8, v9
	v_div_fixup_f32 v6, v7, v6, 1.0
	v_mov_b32_e32 v7, v0
.LBB6_35:                               ; =>This Inner Loop Header: Depth=1
	ds_load_b32 v8, v5
	s_wait_dscnt 0x0
	v_dual_mul_f32 v8, v6, v8 :: v_dual_add_nc_u32 v7, 0x80, v7
	s_delay_alu instid0(VALU_DEP_1)
	v_cmp_le_i32_e32 vcc_lo, s27, v7
	ds_store_b32 v5, v8
	v_add_nc_u32_e32 v5, 0x200, v5
	s_wait_alu 0xfffe
	s_or_b32 s1, vcc_lo, s1
	s_wait_alu 0xfffe
	s_and_not1_b32 exec_lo, exec_lo, s1
	s_cbranch_execnz .LBB6_35
.LBB6_36:
	s_wait_alu 0xfffe
	s_or_b32 exec_lo, exec_lo, s0
	s_mul_i32 s0, s8, s20
	s_wait_loadcnt_dscnt 0x0
	s_wait_alu 0xfffe
	s_mul_i32 s20, s0, s21
	s_mov_b32 s0, exec_lo
	s_barrier_signal -1
	s_barrier_wait -1
	global_inv scope:SCOPE_SE
	v_cmpx_eq_u32_e32 0, v0
	s_cbranch_execz .LBB6_38
; %bb.37:
	s_ashr_i32 s21, s20, 31
	s_wait_alu 0xfffe
	s_mul_i32 s36, s8, ttmp9
	s_lshl_b32 s1, s30, 2
	s_lshl_b64 s[38:39], s[20:21], 2
	s_wait_alu 0xfffe
	s_ashr_i32 s37, s36, 31
	v_mov_b32_e32 v5, s1
	s_wait_kmcnt 0x0
	s_add_nc_u64 s[6:7], s[6:7], s[38:39]
	s_wait_alu 0xfffe
	s_lshl_b64 s[36:37], s[36:37], 2
	s_add_nc_u64 s[4:5], s[4:5], s[38:39]
	s_wait_alu 0xfffe
	s_add_nc_u64 s[6:7], s[6:7], s[36:37]
	s_add_nc_u64 s[4:5], s[4:5], s[36:37]
	s_clause 0x1
	global_store_b32 v5, v1, s[6:7]
	global_store_b32 v5, v2, s[4:5]
.LBB6_38:
	s_wait_alu 0xfffe
	s_or_b32 exec_lo, exec_lo, s0
	v_dual_mov_b32 v41, 0 :: v_dual_and_b32 v36, 1, v0
	v_dual_mov_b32 v42, 0 :: v_dual_mov_b32 v39, 0
	v_dual_mov_b32 v40, 0 :: v_dual_mov_b32 v37, 0
	v_mov_b32_e32 v38, 0
	s_and_saveexec_b32 s1, s2
	s_cbranch_execz .LBB6_56
; %bb.39:
	s_abs_i32 s2, s10
	v_dual_mov_b32 v37, 0 :: v_dual_lshlrev_b32 v2, 4, v0
	s_wait_alu 0xfffe
	s_cvt_f32_u32 s0, s2
	v_dual_mov_b32 v38, 0 :: v_dual_and_b32 v43, 4, v3
	v_dual_mov_b32 v40, 0 :: v_dual_lshlrev_b32 v3, 4, v36
	s_wait_alu 0xfffe
	v_rcp_iflag_f32_e32 v1, s0
	s_ashr_i32 s27, s26, 31
	s_wait_kmcnt 0x0
	s_lshl_b64 s[6:7], s[24:25], 2
	s_wait_alu 0xfffe
	s_lshl_b64 s[24:25], s[26:27], 2
	s_add_nc_u64 s[6:7], s[22:23], s[6:7]
	s_add_nc_u64 s[22:23], s[28:29], s[24:25]
	s_wait_alu 0xfffe
	v_add_co_u32 v29, s6, s6, v4
	s_sub_co_i32 s5, 0, s2
	v_add_co_ci_u32_e64 v30, null, s7, 0, s6
	v_readfirstlane_b32 s0, v1
	v_dual_mov_b32 v42, 0 :: v_dual_and_b32 v1, 0x1f0, v2
	v_lshl_or_b32 v2, v31, 5, v3
	v_mov_b32_e32 v39, 0
	s_mul_f32 s0, s0, 0x4f7ffffe
	s_delay_alu instid0(VALU_DEP_3)
	v_add_co_u32 v44, s6, s22, v1
	s_wait_alu 0xf1ff
	v_add_co_ci_u32_e64 v45, null, s23, 0, s6
	s_wait_alu 0xfffe
	s_cvt_u32_f32 s0, s0
	v_dual_mov_b32 v41, 0 :: v_dual_add_nc_u32 v46, 0x1a0, v2
	s_sub_co_i32 s3, s35, s9
	s_wait_alu 0xfffe
	s_mul_i32 s5, s5, s0
	s_mov_b32 s4, s13
	s_wait_alu 0xfffe
	s_mul_hi_u32 s6, s0, s5
	s_add_co_i32 s34, s34, -1
	s_mov_b32 s5, 0
	s_wait_alu 0xfffe
	s_add_co_i32 s6, s0, s6
	s_branch .LBB6_42
.LBB6_40:                               ;   in Loop: Header=BB6_42 Depth=1
	s_wait_alu 0xfffe
	s_or_b32 exec_lo, exec_lo, s0
	s_wait_loadcnt_dscnt 0x300
	v_mul_f32_e32 v13, v1, v13
	v_mul_f32_e32 v9, v1, v9
	s_wait_loadcnt 0x1
	v_mul_f32_e32 v21, v1, v21
	v_mul_f32_e32 v17, v1, v17
	;; [unrolled: 1-line block ×3, first 2 shown]
	v_fmac_f32_e32 v13, v2, v14
	v_fmac_f32_e32 v9, v2, v10
	s_wait_loadcnt 0x0
	v_mul_f32_e32 v1, v1, v25
	v_fmac_f32_e32 v17, v2, v18
	v_fmac_f32_e32 v5, v2, v6
	;; [unrolled: 1-line block ×5, first 2 shown]
	s_delay_alu instid0(VALU_DEP_4) | instskip(NEXT) | instid1(VALU_DEP_4)
	v_fmac_f32_e32 v5, v3, v7
	v_fmac_f32_e32 v13, v4, v16
	;; [unrolled: 1-line block ×6, first 2 shown]
	s_delay_alu instid0(VALU_DEP_4) | instskip(NEXT) | instid1(VALU_DEP_3)
	v_dual_add_f32 v40, v40, v13 :: v_dual_fmac_f32 v21, v3, v23
	v_dual_add_f32 v42, v42, v9 :: v_dual_fmac_f32 v1, v4, v28
	s_delay_alu instid0(VALU_DEP_3) | instskip(NEXT) | instid1(VALU_DEP_3)
	v_add_f32_e32 v41, v41, v5
	v_fmac_f32_e32 v21, v4, v24
	v_fmac_f32_e32 v17, v3, v19
	s_delay_alu instid0(VALU_DEP_4) | instskip(NEXT) | instid1(VALU_DEP_2)
	v_add_f32_e32 v37, v37, v1
	v_dual_add_f32 v38, v38, v21 :: v_dual_fmac_f32 v17, v4, v20
	s_delay_alu instid0(VALU_DEP_1)
	v_add_f32_e32 v39, v39, v17
.LBB6_41:                               ;   in Loop: Header=BB6_42 Depth=1
	s_wait_alu 0xfffe
	s_or_b32 exec_lo, exec_lo, s7
	v_add_nc_u32_e32 v33, 4, v33
	v_add_co_u32 v29, s0, v29, 16
	s_wait_alu 0xf1ff
	v_add_co_ci_u32_e64 v30, null, 0, v30, s0
	s_delay_alu instid0(VALU_DEP_3)
	v_cmp_le_i32_e32 vcc_lo, s19, v33
	v_add_nc_u32_e32 v32, 32, v32
	v_add_nc_u32_e32 v46, 0x80, v46
	s_or_b32 s5, vcc_lo, s5
	s_wait_alu 0xfffe
	s_and_not1_b32 exec_lo, exec_lo, s5
	s_cbranch_execz .LBB6_55
.LBB6_42:                               ; =>This Inner Loop Header: Depth=1
	v_sub_nc_u32_e32 v1, 0, v32
	s_delay_alu instid0(VALU_DEP_1) | instskip(NEXT) | instid1(VALU_DEP_1)
	v_max_i32_e32 v1, v32, v1
	v_mul_hi_u32 v2, v1, s18
	s_delay_alu instid0(VALU_DEP_1) | instskip(NEXT) | instid1(VALU_DEP_1)
	v_mul_lo_u32 v3, v2, s12
	v_sub_nc_u32_e32 v1, v1, v3
	v_add_nc_u32_e32 v3, 1, v2
	s_delay_alu instid0(VALU_DEP_2) | instskip(SKIP_2) | instid1(VALU_DEP_2)
	v_subrev_nc_u32_e32 v4, s12, v1
	v_cmp_le_u32_e32 vcc_lo, s12, v1
	s_wait_alu 0xfffd
	v_dual_cndmask_b32 v2, v2, v3 :: v_dual_cndmask_b32 v1, v1, v4
	v_ashrrev_i32_e32 v3, 31, v32
	s_delay_alu instid0(VALU_DEP_2) | instskip(NEXT) | instid1(VALU_DEP_3)
	v_add_nc_u32_e32 v4, 1, v2
	v_cmp_le_u32_e32 vcc_lo, s12, v1
	s_delay_alu instid0(VALU_DEP_3) | instskip(SKIP_1) | instid1(VALU_DEP_3)
	v_xor_b32_e32 v3, s11, v3
	s_wait_alu 0xfffd
	v_cndmask_b32_e32 v1, v2, v4, vcc_lo
	s_delay_alu instid0(VALU_DEP_1) | instskip(NEXT) | instid1(VALU_DEP_1)
	v_xor_b32_e32 v1, v1, v3
	v_sub_nc_u32_e32 v1, v1, v3
	s_delay_alu instid0(VALU_DEP_1) | instskip(SKIP_1) | instid1(VALU_DEP_2)
	v_add_nc_u32_e32 v2, s17, v1
	v_cmp_lt_i32_e64 s0, s3, v1
	v_sub_nc_u32_e32 v3, 0, v2
	s_delay_alu instid0(VALU_DEP_1) | instskip(SKIP_1) | instid1(VALU_DEP_1)
	v_max_i32_e32 v3, v2, v3
	s_wait_alu 0xfffe
	v_mul_hi_u32 v4, v3, s6
	s_delay_alu instid0(VALU_DEP_1) | instskip(NEXT) | instid1(VALU_DEP_1)
	v_mul_lo_u32 v4, v4, s2
	v_sub_nc_u32_e32 v3, v3, v4
	s_delay_alu instid0(VALU_DEP_1) | instskip(SKIP_2) | instid1(VALU_DEP_2)
	v_subrev_nc_u32_e32 v4, s2, v3
	v_cmp_le_u32_e32 vcc_lo, s2, v3
	s_wait_alu 0xfffd
	v_cndmask_b32_e32 v3, v3, v4, vcc_lo
	v_ashrrev_i32_e32 v2, 31, v2
	s_delay_alu instid0(VALU_DEP_2) | instskip(SKIP_2) | instid1(VALU_DEP_2)
	v_subrev_nc_u32_e32 v4, s2, v3
	v_cmp_le_u32_e32 vcc_lo, s2, v3
	s_wait_alu 0xfffd
	v_cndmask_b32_e32 v3, v3, v4, vcc_lo
	s_delay_alu instid0(VALU_DEP_1) | instskip(NEXT) | instid1(VALU_DEP_1)
	v_xor_b32_e32 v3, v3, v2
	v_sub_nc_u32_e32 v2, v3, v2
	s_delay_alu instid0(VALU_DEP_1)
	v_cmp_eq_u32_e32 vcc_lo, 0, v2
	s_or_b32 s0, vcc_lo, s0
	s_wait_alu 0xfffe
	s_and_saveexec_b32 s7, s0
	s_cbranch_execz .LBB6_41
; %bb.43:                               ;   in Loop: Header=BB6_42 Depth=1
	global_load_b32 v1, v[29:30], off
	v_add_nc_u32_e32 v47, v43, v32
	s_delay_alu instid0(VALU_DEP_1) | instskip(SKIP_4) | instid1(VALU_DEP_1)
	v_add_nc_u32_e32 v50, 1, v47
	v_add_nc_u32_e32 v49, 2, v47
	;; [unrolled: 1-line block ×3, first 2 shown]
	s_wait_loadcnt 0x0
	v_mad_co_i64_i32 v[1:2], null, v1, s4, 0
	v_lshlrev_b64_e32 v[1:2], 2, v[1:2]
	s_delay_alu instid0(VALU_DEP_1) | instskip(SKIP_1) | instid1(VALU_DEP_2)
	v_add_co_u32 v25, vcc_lo, v44, v1
	s_wait_alu 0xfffd
	v_add_co_ci_u32_e64 v26, null, v45, v2, vcc_lo
	ds_load_b128 v[1:4], v46
	v_cmp_eq_u32_e32 vcc_lo, s34, v33
	global_load_b128 v[5:8], v[25:26], off
	s_and_saveexec_b32 s9, vcc_lo
	s_cbranch_execnz .LBB6_49
; %bb.44:                               ;   in Loop: Header=BB6_42 Depth=1
	s_or_b32 exec_lo, exec_lo, s9
	global_load_b128 v[9:12], v[25:26], off offset:512
	s_and_saveexec_b32 s9, vcc_lo
	s_cbranch_execnz .LBB6_50
.LBB6_45:                               ;   in Loop: Header=BB6_42 Depth=1
	s_or_b32 exec_lo, exec_lo, s9
	global_load_b128 v[13:16], v[25:26], off offset:1024
	s_and_saveexec_b32 s9, vcc_lo
	s_cbranch_execnz .LBB6_51
.LBB6_46:                               ;   in Loop: Header=BB6_42 Depth=1
	s_or_b32 exec_lo, exec_lo, s9
	global_load_b128 v[17:20], v[25:26], off offset:1536
	s_and_saveexec_b32 s9, vcc_lo
	s_cbranch_execnz .LBB6_52
.LBB6_47:                               ;   in Loop: Header=BB6_42 Depth=1
	s_or_b32 exec_lo, exec_lo, s9
	global_load_b128 v[21:24], v[25:26], off offset:2048
	s_and_saveexec_b32 s9, vcc_lo
	s_cbranch_execnz .LBB6_53
.LBB6_48:                               ;   in Loop: Header=BB6_42 Depth=1
	s_or_b32 exec_lo, exec_lo, s9
	global_load_b128 v[25:28], v[25:26], off offset:2560
	s_and_saveexec_b32 s0, vcc_lo
	s_cbranch_execz .LBB6_40
	s_branch .LBB6_54
.LBB6_49:                               ;   in Loop: Header=BB6_42 Depth=1
	v_cmp_gt_i32_e64 s0, s31, v47
	s_wait_loadcnt 0x0
	s_wait_alu 0xf1ff
	s_delay_alu instid0(VALU_DEP_1) | instskip(SKIP_2) | instid1(VALU_DEP_1)
	v_cndmask_b32_e64 v5, 0, v5, s0
	v_cmp_gt_i32_e64 s0, s31, v50
	s_wait_alu 0xf1ff
	v_cndmask_b32_e64 v6, 0, v6, s0
	v_cmp_gt_i32_e64 s0, s31, v49
	s_wait_alu 0xf1ff
	s_delay_alu instid0(VALU_DEP_1) | instskip(SKIP_2) | instid1(VALU_DEP_1)
	v_cndmask_b32_e64 v7, 0, v7, s0
	v_cmp_gt_i32_e64 s0, s31, v48
	s_wait_alu 0xf1ff
	v_cndmask_b32_e64 v8, 0, v8, s0
	s_or_b32 exec_lo, exec_lo, s9
	global_load_b128 v[9:12], v[25:26], off offset:512
	s_and_saveexec_b32 s9, vcc_lo
	s_cbranch_execz .LBB6_45
.LBB6_50:                               ;   in Loop: Header=BB6_42 Depth=1
	v_cmp_gt_i32_e64 s0, s31, v47
	s_wait_loadcnt 0x0
	s_wait_alu 0xf1ff
	s_delay_alu instid0(VALU_DEP_1) | instskip(SKIP_2) | instid1(VALU_DEP_1)
	v_cndmask_b32_e64 v9, 0, v9, s0
	v_cmp_gt_i32_e64 s0, s31, v50
	s_wait_alu 0xf1ff
	v_cndmask_b32_e64 v10, 0, v10, s0
	v_cmp_gt_i32_e64 s0, s31, v49
	s_wait_alu 0xf1ff
	s_delay_alu instid0(VALU_DEP_1) | instskip(SKIP_2) | instid1(VALU_DEP_1)
	v_cndmask_b32_e64 v11, 0, v11, s0
	v_cmp_gt_i32_e64 s0, s31, v48
	s_wait_alu 0xf1ff
	v_cndmask_b32_e64 v12, 0, v12, s0
	s_or_b32 exec_lo, exec_lo, s9
	global_load_b128 v[13:16], v[25:26], off offset:1024
	s_and_saveexec_b32 s9, vcc_lo
	s_cbranch_execz .LBB6_46
.LBB6_51:                               ;   in Loop: Header=BB6_42 Depth=1
	v_cmp_gt_i32_e64 s0, s31, v47
	s_wait_loadcnt 0x0
	s_wait_alu 0xf1ff
	s_delay_alu instid0(VALU_DEP_1) | instskip(SKIP_2) | instid1(VALU_DEP_1)
	v_cndmask_b32_e64 v13, 0, v13, s0
	v_cmp_gt_i32_e64 s0, s31, v50
	s_wait_alu 0xf1ff
	v_cndmask_b32_e64 v14, 0, v14, s0
	v_cmp_gt_i32_e64 s0, s31, v49
	s_wait_alu 0xf1ff
	s_delay_alu instid0(VALU_DEP_1) | instskip(SKIP_2) | instid1(VALU_DEP_1)
	v_cndmask_b32_e64 v15, 0, v15, s0
	v_cmp_gt_i32_e64 s0, s31, v48
	s_wait_alu 0xf1ff
	v_cndmask_b32_e64 v16, 0, v16, s0
	s_or_b32 exec_lo, exec_lo, s9
	global_load_b128 v[17:20], v[25:26], off offset:1536
	s_and_saveexec_b32 s9, vcc_lo
	s_cbranch_execz .LBB6_47
.LBB6_52:                               ;   in Loop: Header=BB6_42 Depth=1
	v_cmp_gt_i32_e64 s0, s31, v47
	s_wait_loadcnt 0x0
	s_wait_alu 0xf1ff
	s_delay_alu instid0(VALU_DEP_1) | instskip(SKIP_2) | instid1(VALU_DEP_1)
	v_cndmask_b32_e64 v17, 0, v17, s0
	v_cmp_gt_i32_e64 s0, s31, v50
	s_wait_alu 0xf1ff
	v_cndmask_b32_e64 v18, 0, v18, s0
	v_cmp_gt_i32_e64 s0, s31, v49
	s_wait_alu 0xf1ff
	s_delay_alu instid0(VALU_DEP_1) | instskip(SKIP_2) | instid1(VALU_DEP_1)
	v_cndmask_b32_e64 v19, 0, v19, s0
	v_cmp_gt_i32_e64 s0, s31, v48
	s_wait_alu 0xf1ff
	v_cndmask_b32_e64 v20, 0, v20, s0
	s_or_b32 exec_lo, exec_lo, s9
	global_load_b128 v[21:24], v[25:26], off offset:2048
	s_and_saveexec_b32 s9, vcc_lo
	s_cbranch_execz .LBB6_48
.LBB6_53:                               ;   in Loop: Header=BB6_42 Depth=1
	v_cmp_gt_i32_e64 s0, s31, v47
	s_wait_loadcnt 0x0
	s_wait_alu 0xf1ff
	s_delay_alu instid0(VALU_DEP_1) | instskip(SKIP_2) | instid1(VALU_DEP_1)
	v_cndmask_b32_e64 v21, 0, v21, s0
	v_cmp_gt_i32_e64 s0, s31, v50
	s_wait_alu 0xf1ff
	v_cndmask_b32_e64 v22, 0, v22, s0
	v_cmp_gt_i32_e64 s0, s31, v49
	s_wait_alu 0xf1ff
	s_delay_alu instid0(VALU_DEP_1) | instskip(SKIP_2) | instid1(VALU_DEP_1)
	v_cndmask_b32_e64 v23, 0, v23, s0
	v_cmp_gt_i32_e64 s0, s31, v48
	s_wait_alu 0xf1ff
	v_cndmask_b32_e64 v24, 0, v24, s0
	s_or_b32 exec_lo, exec_lo, s9
	global_load_b128 v[25:28], v[25:26], off offset:2560
	s_and_saveexec_b32 s0, vcc_lo
	s_cbranch_execz .LBB6_40
.LBB6_54:                               ;   in Loop: Header=BB6_42 Depth=1
	v_cmp_gt_i32_e32 vcc_lo, s31, v47
	s_wait_loadcnt 0x0
	s_wait_alu 0xfffd
	v_cndmask_b32_e32 v25, 0, v25, vcc_lo
	v_cmp_gt_i32_e32 vcc_lo, s31, v50
	s_wait_alu 0xfffd
	v_cndmask_b32_e32 v26, 0, v26, vcc_lo
	v_cmp_gt_i32_e32 vcc_lo, s31, v49
	s_wait_alu 0xfffd
	v_cndmask_b32_e32 v27, 0, v27, vcc_lo
	v_cmp_gt_i32_e32 vcc_lo, s31, v48
	s_wait_alu 0xfffd
	v_cndmask_b32_e32 v28, 0, v28, vcc_lo
	s_branch .LBB6_40
.LBB6_55:
	s_or_b32 exec_lo, exec_lo, s5
.LBB6_56:
	s_wait_alu 0xfffe
	s_or_b32 exec_lo, exec_lo, s1
	ds_bpermute_b32 v1, v35, v41
	ds_bpermute_b32 v2, v35, v42
	;; [unrolled: 1-line block ×6, first 2 shown]
	v_lshrrev_b32_e32 v7, 1, v34
	v_mul_u32_u24_e32 v9, 0x180, v31
	v_and_b32_e32 v10, 0x3c1, v0
	s_mov_b32 s0, exec_lo
	s_wait_storecnt 0x0
	s_wait_loadcnt_dscnt 0x0
	v_lshl_add_u32 v8, v7, 2, 0x1a0
	s_barrier_signal -1
	s_barrier_wait -1
	global_inv scope:SCOPE_SE
	v_dual_add_f32 v1, v41, v1 :: v_dual_add_f32 v2, v42, v2
	v_dual_add_f32 v3, v40, v3 :: v_dual_add_f32 v4, v39, v4
	;; [unrolled: 1-line block ×3, first 2 shown]
	v_cmpx_eq_u32_e32 64, v10
	s_cbranch_execz .LBB6_58
; %bb.57:
	v_add_nc_u32_e32 v10, v8, v9
	s_delay_alu instid0(VALU_DEP_1)
	v_add_nc_u32_e32 v11, 0xfffffd00, v10
	v_add_nc_u32_e32 v12, 0xfffffd40, v10
	;; [unrolled: 1-line block ×6, first 2 shown]
	ds_store_b32 v11, v1
	ds_store_b32 v12, v2
	;; [unrolled: 1-line block ×6, first 2 shown]
.LBB6_58:
	s_wait_alu 0xfffe
	s_or_b32 exec_lo, exec_lo, s0
	v_lshlrev_b32_e32 v7, 2, v7
	s_mov_b32 s1, exec_lo
	v_cmp_eq_u32_e32 vcc_lo, 0, v36
	s_wait_loadcnt_dscnt 0x0
	s_barrier_signal -1
	v_add3_u32 v7, 0x1a0, v9, v7
	s_barrier_wait -1
	global_inv scope:SCOPE_SE
	v_cmpx_gt_u32_e32 64, v0
	s_cbranch_execz .LBB6_67
; %bb.59:
	s_and_saveexec_b32 s0, vcc_lo
	s_cbranch_execnz .LBB6_81
; %bb.60:
	s_wait_alu 0xfffe
	s_or_b32 exec_lo, exec_lo, s0
	s_and_saveexec_b32 s0, vcc_lo
	s_cbranch_execnz .LBB6_82
.LBB6_61:
	s_wait_alu 0xfffe
	s_or_b32 exec_lo, exec_lo, s0
	s_and_saveexec_b32 s0, vcc_lo
	s_cbranch_execnz .LBB6_83
.LBB6_62:
	s_wait_alu 0xfffe
	s_or_b32 exec_lo, exec_lo, s0
	s_and_saveexec_b32 s0, vcc_lo
	s_cbranch_execnz .LBB6_84
.LBB6_63:
	s_wait_alu 0xfffe
	s_or_b32 exec_lo, exec_lo, s0
	s_and_saveexec_b32 s0, vcc_lo
	s_cbranch_execnz .LBB6_85
.LBB6_64:
	s_wait_alu 0xfffe
	s_or_b32 exec_lo, exec_lo, s0
	s_and_saveexec_b32 s0, vcc_lo
	s_cbranch_execz .LBB6_66
.LBB6_65:
	ds_load_b32 v9, v7 offset:320
	s_wait_dscnt 0x0
	v_add_f32_e32 v6, v6, v9
.LBB6_66:
	s_wait_alu 0xfffe
	s_or_b32 exec_lo, exec_lo, s0
.LBB6_67:
	s_wait_alu 0xfffe
	s_or_b32 exec_lo, exec_lo, s1
	v_and_b32_e32 v9, 0x3e1, v0
	s_mov_b32 s1, exec_lo
	s_wait_loadcnt 0x0
	s_barrier_signal -1
	s_barrier_wait -1
	global_inv scope:SCOPE_SE
	v_cmpx_eq_u32_e32 32, v9
	s_cbranch_execz .LBB6_69
; %bb.68:
	ds_store_2addr_b32 v8, v1, v2 offset1:16
	ds_store_2addr_b32 v8, v3, v4 offset0:32 offset1:48
	ds_store_2addr_b32 v8, v5, v6 offset0:64 offset1:80
.LBB6_69:
	s_wait_alu 0xfffe
	s_or_b32 exec_lo, exec_lo, s1
	s_delay_alu instid0(SALU_CYCLE_1)
	s_mov_b32 s1, exec_lo
	s_wait_loadcnt_dscnt 0x0
	s_barrier_signal -1
	s_barrier_wait -1
	global_inv scope:SCOPE_SE
	v_cmpx_gt_u32_e32 32, v0
	s_cbranch_execz .LBB6_78
; %bb.70:
	s_and_saveexec_b32 s0, vcc_lo
	s_cbranch_execnz .LBB6_86
; %bb.71:
	s_wait_alu 0xfffe
	s_or_b32 exec_lo, exec_lo, s0
	s_and_saveexec_b32 s0, vcc_lo
	s_cbranch_execnz .LBB6_87
.LBB6_72:
	s_wait_alu 0xfffe
	s_or_b32 exec_lo, exec_lo, s0
	s_and_saveexec_b32 s0, vcc_lo
	s_cbranch_execnz .LBB6_88
.LBB6_73:
	s_wait_alu 0xfffe
	s_or_b32 exec_lo, exec_lo, s0
	s_and_saveexec_b32 s0, vcc_lo
	s_cbranch_execnz .LBB6_89
.LBB6_74:
	s_wait_alu 0xfffe
	s_or_b32 exec_lo, exec_lo, s0
	s_and_saveexec_b32 s0, vcc_lo
	s_cbranch_execnz .LBB6_90
.LBB6_75:
	s_wait_alu 0xfffe
	s_or_b32 exec_lo, exec_lo, s0
	s_and_saveexec_b32 s0, vcc_lo
	s_cbranch_execz .LBB6_77
.LBB6_76:
	ds_load_b32 v7, v7 offset:320
	s_wait_dscnt 0x0
	v_add_f32_e32 v6, v6, v7
.LBB6_77:
	s_wait_alu 0xfffe
	s_or_b32 exec_lo, exec_lo, s0
.LBB6_78:
	s_wait_alu 0xfffe
	s_or_b32 exec_lo, exec_lo, s1
	s_mov_b32 s1, 0
	s_wait_loadcnt 0x0
	s_barrier_signal -1
	s_barrier_wait -1
	global_inv scope:SCOPE_SE
	s_mov_b32 s0, exec_lo
	v_cmpx_eq_u32_e32 0, v9
	s_cbranch_execz .LBB6_80
; %bb.79:
	s_mul_i32 s2, s20, 0x60
	s_wait_kmcnt 0x0
	s_mul_i32 s4, s8, s16
	s_wait_alu 0xfffe
	s_ashr_i32 s3, s2, 31
	s_ashr_i32 s5, s4, 31
	s_wait_alu 0xfffe
	s_lshl_b64 s[2:3], s[2:3], 2
	s_lshl_b64 s[4:5], s[4:5], 2
	s_wait_alu 0xfffe
	s_add_nc_u64 s[2:3], s[14:15], s[2:3]
	v_lshlrev_b32_e32 v0, 1, v0
	s_mul_i32 s0, s30, 0x180
	s_wait_alu 0xfffe
	s_add_nc_u64 s[2:3], s[2:3], s[4:5]
	s_wait_alu 0xfffe
	s_add_nc_u64 s[0:1], s[2:3], s[0:1]
	s_clause 0x5
	global_store_b32 v0, v1, s[0:1]
	global_store_b32 v0, v2, s[0:1] offset:64
	global_store_b32 v0, v3, s[0:1] offset:128
	;; [unrolled: 1-line block ×5, first 2 shown]
.LBB6_80:
	s_endpgm
.LBB6_81:
	ds_load_b32 v9, v7
	s_wait_dscnt 0x0
	v_add_f32_e32 v1, v1, v9
	s_wait_alu 0xfffe
	s_or_b32 exec_lo, exec_lo, s0
	s_and_saveexec_b32 s0, vcc_lo
	s_cbranch_execz .LBB6_61
.LBB6_82:
	ds_load_b32 v9, v7 offset:64
	s_wait_dscnt 0x0
	v_add_f32_e32 v2, v2, v9
	s_wait_alu 0xfffe
	s_or_b32 exec_lo, exec_lo, s0
	s_and_saveexec_b32 s0, vcc_lo
	s_cbranch_execz .LBB6_62
.LBB6_83:
	ds_load_b32 v9, v7 offset:128
	s_wait_dscnt 0x0
	v_add_f32_e32 v3, v3, v9
	s_wait_alu 0xfffe
	s_or_b32 exec_lo, exec_lo, s0
	s_and_saveexec_b32 s0, vcc_lo
	s_cbranch_execz .LBB6_63
.LBB6_84:
	ds_load_b32 v9, v7 offset:192
	s_wait_dscnt 0x0
	v_add_f32_e32 v4, v4, v9
	s_wait_alu 0xfffe
	s_or_b32 exec_lo, exec_lo, s0
	s_and_saveexec_b32 s0, vcc_lo
	s_cbranch_execz .LBB6_64
.LBB6_85:
	ds_load_b32 v9, v7 offset:256
	s_wait_dscnt 0x0
	v_add_f32_e32 v5, v5, v9
	s_wait_alu 0xfffe
	s_or_b32 exec_lo, exec_lo, s0
	s_and_saveexec_b32 s0, vcc_lo
	s_cbranch_execnz .LBB6_65
	s_branch .LBB6_66
.LBB6_86:
	ds_load_b32 v8, v7
	s_wait_dscnt 0x0
	v_add_f32_e32 v1, v1, v8
	s_wait_alu 0xfffe
	s_or_b32 exec_lo, exec_lo, s0
	s_and_saveexec_b32 s0, vcc_lo
	s_cbranch_execz .LBB6_72
.LBB6_87:
	ds_load_b32 v8, v7 offset:64
	s_wait_dscnt 0x0
	v_add_f32_e32 v2, v2, v8
	s_wait_alu 0xfffe
	s_or_b32 exec_lo, exec_lo, s0
	s_and_saveexec_b32 s0, vcc_lo
	s_cbranch_execz .LBB6_73
.LBB6_88:
	ds_load_b32 v8, v7 offset:128
	s_wait_dscnt 0x0
	v_add_f32_e32 v3, v3, v8
	s_wait_alu 0xfffe
	s_or_b32 exec_lo, exec_lo, s0
	s_and_saveexec_b32 s0, vcc_lo
	s_cbranch_execz .LBB6_74
.LBB6_89:
	ds_load_b32 v8, v7 offset:192
	s_wait_dscnt 0x0
	v_add_f32_e32 v4, v4, v8
	s_wait_alu 0xfffe
	s_or_b32 exec_lo, exec_lo, s0
	s_and_saveexec_b32 s0, vcc_lo
	s_cbranch_execz .LBB6_75
.LBB6_90:
	ds_load_b32 v8, v7 offset:256
	s_wait_dscnt 0x0
	v_add_f32_e32 v5, v5, v8
	s_wait_alu 0xfffe
	s_or_b32 exec_lo, exec_lo, s0
	s_and_saveexec_b32 s0, vcc_lo
	s_cbranch_execnz .LBB6_76
	s_branch .LBB6_77
	.section	.rodata,"a",@progbits
	.p2align	6, 0x0
	.amdhsa_kernel _ZN4vllm25paged_attention_v2_kernelIffLi96ELi8ELi128ELNS_18Fp8KVCacheDataTypeE0ELb1ELi512EEEvPfS2_PT_PKS3_PKT0_S9_ifPKiSB_iPKfiiiSD_SD_iiiii
		.amdhsa_group_segment_fixed_size 416
		.amdhsa_private_segment_fixed_size 0
		.amdhsa_kernarg_size 400
		.amdhsa_user_sgpr_count 2
		.amdhsa_user_sgpr_dispatch_ptr 0
		.amdhsa_user_sgpr_queue_ptr 0
		.amdhsa_user_sgpr_kernarg_segment_ptr 1
		.amdhsa_user_sgpr_dispatch_id 0
		.amdhsa_user_sgpr_private_segment_size 0
		.amdhsa_wavefront_size32 1
		.amdhsa_uses_dynamic_stack 0
		.amdhsa_enable_private_segment 0
		.amdhsa_system_sgpr_workgroup_id_x 1
		.amdhsa_system_sgpr_workgroup_id_y 1
		.amdhsa_system_sgpr_workgroup_id_z 1
		.amdhsa_system_sgpr_workgroup_info 0
		.amdhsa_system_vgpr_workitem_id 0
		.amdhsa_next_free_vgpr 53
		.amdhsa_next_free_sgpr 42
		.amdhsa_reserve_vcc 1
		.amdhsa_float_round_mode_32 0
		.amdhsa_float_round_mode_16_64 0
		.amdhsa_float_denorm_mode_32 3
		.amdhsa_float_denorm_mode_16_64 3
		.amdhsa_fp16_overflow 0
		.amdhsa_workgroup_processor_mode 1
		.amdhsa_memory_ordered 1
		.amdhsa_forward_progress 1
		.amdhsa_inst_pref_size 51
		.amdhsa_round_robin_scheduling 0
		.amdhsa_exception_fp_ieee_invalid_op 0
		.amdhsa_exception_fp_denorm_src 0
		.amdhsa_exception_fp_ieee_div_zero 0
		.amdhsa_exception_fp_ieee_overflow 0
		.amdhsa_exception_fp_ieee_underflow 0
		.amdhsa_exception_fp_ieee_inexact 0
		.amdhsa_exception_int_div_zero 0
	.end_amdhsa_kernel
	.section	.text._ZN4vllm25paged_attention_v2_kernelIffLi96ELi8ELi128ELNS_18Fp8KVCacheDataTypeE0ELb1ELi512EEEvPfS2_PT_PKS3_PKT0_S9_ifPKiSB_iPKfiiiSD_SD_iiiii,"axG",@progbits,_ZN4vllm25paged_attention_v2_kernelIffLi96ELi8ELi128ELNS_18Fp8KVCacheDataTypeE0ELb1ELi512EEEvPfS2_PT_PKS3_PKT0_S9_ifPKiSB_iPKfiiiSD_SD_iiiii,comdat
.Lfunc_end6:
	.size	_ZN4vllm25paged_attention_v2_kernelIffLi96ELi8ELi128ELNS_18Fp8KVCacheDataTypeE0ELb1ELi512EEEvPfS2_PT_PKS3_PKT0_S9_ifPKiSB_iPKfiiiSD_SD_iiiii, .Lfunc_end6-_ZN4vllm25paged_attention_v2_kernelIffLi96ELi8ELi128ELNS_18Fp8KVCacheDataTypeE0ELb1ELi512EEEvPfS2_PT_PKS3_PKT0_S9_ifPKiSB_iPKfiiiSD_SD_iiiii
                                        ; -- End function
	.set _ZN4vllm25paged_attention_v2_kernelIffLi96ELi8ELi128ELNS_18Fp8KVCacheDataTypeE0ELb1ELi512EEEvPfS2_PT_PKS3_PKT0_S9_ifPKiSB_iPKfiiiSD_SD_iiiii.num_vgpr, 53
	.set _ZN4vllm25paged_attention_v2_kernelIffLi96ELi8ELi128ELNS_18Fp8KVCacheDataTypeE0ELb1ELi512EEEvPfS2_PT_PKS3_PKT0_S9_ifPKiSB_iPKfiiiSD_SD_iiiii.num_agpr, 0
	.set _ZN4vllm25paged_attention_v2_kernelIffLi96ELi8ELi128ELNS_18Fp8KVCacheDataTypeE0ELb1ELi512EEEvPfS2_PT_PKS3_PKT0_S9_ifPKiSB_iPKfiiiSD_SD_iiiii.numbered_sgpr, 42
	.set _ZN4vllm25paged_attention_v2_kernelIffLi96ELi8ELi128ELNS_18Fp8KVCacheDataTypeE0ELb1ELi512EEEvPfS2_PT_PKS3_PKT0_S9_ifPKiSB_iPKfiiiSD_SD_iiiii.num_named_barrier, 0
	.set _ZN4vllm25paged_attention_v2_kernelIffLi96ELi8ELi128ELNS_18Fp8KVCacheDataTypeE0ELb1ELi512EEEvPfS2_PT_PKS3_PKT0_S9_ifPKiSB_iPKfiiiSD_SD_iiiii.private_seg_size, 0
	.set _ZN4vllm25paged_attention_v2_kernelIffLi96ELi8ELi128ELNS_18Fp8KVCacheDataTypeE0ELb1ELi512EEEvPfS2_PT_PKS3_PKT0_S9_ifPKiSB_iPKfiiiSD_SD_iiiii.uses_vcc, 1
	.set _ZN4vllm25paged_attention_v2_kernelIffLi96ELi8ELi128ELNS_18Fp8KVCacheDataTypeE0ELb1ELi512EEEvPfS2_PT_PKS3_PKT0_S9_ifPKiSB_iPKfiiiSD_SD_iiiii.uses_flat_scratch, 0
	.set _ZN4vllm25paged_attention_v2_kernelIffLi96ELi8ELi128ELNS_18Fp8KVCacheDataTypeE0ELb1ELi512EEEvPfS2_PT_PKS3_PKT0_S9_ifPKiSB_iPKfiiiSD_SD_iiiii.has_dyn_sized_stack, 0
	.set _ZN4vllm25paged_attention_v2_kernelIffLi96ELi8ELi128ELNS_18Fp8KVCacheDataTypeE0ELb1ELi512EEEvPfS2_PT_PKS3_PKT0_S9_ifPKiSB_iPKfiiiSD_SD_iiiii.has_recursion, 0
	.set _ZN4vllm25paged_attention_v2_kernelIffLi96ELi8ELi128ELNS_18Fp8KVCacheDataTypeE0ELb1ELi512EEEvPfS2_PT_PKS3_PKT0_S9_ifPKiSB_iPKfiiiSD_SD_iiiii.has_indirect_call, 0
	.section	.AMDGPU.csdata,"",@progbits
; Kernel info:
; codeLenInByte = 6436
; TotalNumSgprs: 44
; NumVgprs: 53
; ScratchSize: 0
; MemoryBound: 0
; FloatMode: 240
; IeeeMode: 1
; LDSByteSize: 416 bytes/workgroup (compile time only)
; SGPRBlocks: 0
; VGPRBlocks: 6
; NumSGPRsForWavesPerEU: 44
; NumVGPRsForWavesPerEU: 53
; Occupancy: 16
; WaveLimiterHint : 1
; COMPUTE_PGM_RSRC2:SCRATCH_EN: 0
; COMPUTE_PGM_RSRC2:USER_SGPR: 2
; COMPUTE_PGM_RSRC2:TRAP_HANDLER: 0
; COMPUTE_PGM_RSRC2:TGID_X_EN: 1
; COMPUTE_PGM_RSRC2:TGID_Y_EN: 1
; COMPUTE_PGM_RSRC2:TGID_Z_EN: 1
; COMPUTE_PGM_RSRC2:TIDIG_COMP_CNT: 0
	.section	.text._ZN4vllm32paged_attention_v2_reduce_kernelIfLi96ELi128ELi512EEEvPT_PKfS4_PKS1_PKii,"axG",@progbits,_ZN4vllm32paged_attention_v2_reduce_kernelIfLi96ELi128ELi512EEEvPT_PKfS4_PKS1_PKii,comdat
	.protected	_ZN4vllm32paged_attention_v2_reduce_kernelIfLi96ELi128ELi512EEEvPT_PKfS4_PKS1_PKii ; -- Begin function _ZN4vllm32paged_attention_v2_reduce_kernelIfLi96ELi128ELi512EEEvPT_PKfS4_PKS1_PKii
	.globl	_ZN4vllm32paged_attention_v2_reduce_kernelIfLi96ELi128ELi512EEEvPT_PKfS4_PKS1_PKii
	.p2align	8
	.type	_ZN4vllm32paged_attention_v2_reduce_kernelIfLi96ELi128ELi512EEEvPT_PKfS4_PKS1_PKii,@function
_ZN4vllm32paged_attention_v2_reduce_kernelIfLi96ELi128ELi512EEEvPT_PKfS4_PKS1_PKii: ; @_ZN4vllm32paged_attention_v2_reduce_kernelIfLi96ELi128ELi512EEEvPT_PKfS4_PKS1_PKii
; %bb.0:
	s_load_b128 s[4:7], s[0:1], 0x18
	s_mov_b32 s2, ttmp7
	s_ashr_i32 s3, ttmp7, 31
	s_add_nc_u64 s[8:9], s[0:1], 48
	s_lshl_b64 s[2:3], s[2:3], 2
	s_wait_kmcnt 0x0
	s_add_nc_u64 s[2:3], s[6:7], s[2:3]
	s_load_b32 s18, s[2:3], 0x0
	s_clause 0x2
	s_load_b64 s[6:7], s[0:1], 0x0
	s_load_b32 s14, s[0:1], 0x28
	s_load_b32 s15, s[0:1], 0x30
	s_wait_kmcnt 0x0
	s_add_co_i32 s2, s18, -1
	s_delay_alu instid0(SALU_CYCLE_1)
	s_cmp_gt_u32 s2, 0x1ff
	s_mov_b32 s2, -1
	s_cbranch_scc0 .LBB7_25
; %bb.1:
	s_add_co_i32 s2, s18, 0x1ff
	s_mul_i32 s16, s15, ttmp7
	s_ashr_i32 s3, s2, 31
	v_mov_b32_e32 v3, 0xff7fffff
	s_lshr_b32 s3, s3, 23
	s_mul_i32 s10, s16, s14
	s_add_co_i32 s2, s2, s3
	s_mul_i32 s12, s14, ttmp9
	s_ashr_i32 s17, s2, 9
	s_ashr_i32 s11, s10, 31
	v_cmp_gt_i32_e32 vcc_lo, s17, v0
	s_ashr_i32 s13, s12, 31
	s_and_saveexec_b32 s3, vcc_lo
	s_cbranch_execz .LBB7_5
; %bb.2:
	s_load_b64 s[20:21], s[0:1], 0x10
	s_load_b32 s2, s[8:9], 0xc
	s_lshl_b64 s[22:23], s[10:11], 2
	s_lshl_b64 s[24:25], s[12:13], 2
	v_lshlrev_b32_e32 v1, 2, v0
	s_add_nc_u64 s[22:23], s[22:23], s[24:25]
	v_mov_b32_e32 v3, 0xff7fffff
	s_delay_alu instid0(VALU_DEP_2) | instskip(SKIP_2) | instid1(SALU_CYCLE_1)
	v_dual_mov_b32 v5, v0 :: v_dual_add_nc_u32 v4, 32, v1
	s_wait_kmcnt 0x0
	s_add_nc_u64 s[20:21], s[20:21], s[22:23]
	v_add_co_u32 v1, s19, s20, v1
	s_delay_alu instid0(VALU_DEP_1)
	v_add_co_ci_u32_e64 v2, null, s21, 0, s19
	s_and_b32 s20, s2, 0xffff
	s_mov_b32 s19, 0
	s_wait_alu 0xfffe
	s_lshl_b32 s21, s20, 2
.LBB7_3:                                ; =>This Inner Loop Header: Depth=1
	global_load_b32 v6, v[1:2], off
	v_add_nc_u32_e32 v5, s20, v5
	v_max_num_f32_e32 v3, v3, v3
	s_wait_alu 0xfffe
	v_add_co_u32 v1, s2, v1, s21
	s_wait_alu 0xf1ff
	v_add_co_ci_u32_e64 v2, null, 0, v2, s2
	v_cmp_le_i32_e64 s2, s17, v5
	s_or_b32 s19, s2, s19
	s_wait_loadcnt 0x0
	v_max_num_f32_e32 v7, v6, v6
	ds_store_b32 v4, v6
	v_dual_max_num_f32 v3, v3, v7 :: v_dual_add_nc_u32 v4, s21, v4
	s_wait_alu 0xfffe
	s_and_not1_b32 exec_lo, exec_lo, s19
	s_cbranch_execnz .LBB7_3
; %bb.4:
	s_or_b32 exec_lo, exec_lo, s19
.LBB7_5:
	s_delay_alu instid0(SALU_CYCLE_1)
	s_or_b32 exec_lo, exec_lo, s3
	v_mbcnt_lo_u32_b32 v1, -1, 0
	s_load_b64 s[2:3], s[0:1], 0x8
	s_wait_dscnt 0x0
	s_barrier_signal -1
	s_barrier_wait -1
	v_xor_b32_e32 v2, 16, v1
	v_xor_b32_e32 v4, 8, v1
	global_inv scope:SCOPE_SE
	v_cmp_gt_i32_e64 s0, 32, v2
	s_delay_alu instid0(VALU_DEP_1) | instskip(SKIP_1) | instid1(VALU_DEP_2)
	v_cndmask_b32_e64 v2, v1, v2, s0
	v_cmp_gt_i32_e64 s0, 32, v4
	v_lshlrev_b32_e32 v5, 2, v2
	s_wait_alu 0xf1ff
	s_delay_alu instid0(VALU_DEP_2) | instskip(SKIP_4) | instid1(VALU_DEP_2)
	v_cndmask_b32_e64 v4, v1, v4, s0
	ds_bpermute_b32 v2, v5, v3
	v_lshlrev_b32_e32 v6, 2, v4
	v_xor_b32_e32 v4, 4, v1
	v_max_num_f32_e32 v3, v3, v3
	v_cmp_gt_i32_e64 s0, 32, v4
	s_wait_alu 0xf1ff
	s_delay_alu instid0(VALU_DEP_1) | instskip(NEXT) | instid1(VALU_DEP_1)
	v_cndmask_b32_e64 v4, v1, v4, s0
	v_lshlrev_b32_e32 v7, 2, v4
	v_xor_b32_e32 v4, 2, v1
	s_wait_dscnt 0x0
	v_max_num_f32_e32 v2, v2, v2
	s_delay_alu instid0(VALU_DEP_2) | instskip(NEXT) | instid1(VALU_DEP_2)
	v_cmp_gt_i32_e64 s0, 32, v4
	v_max_num_f32_e32 v2, v3, v2
	s_wait_alu 0xf1ff
	s_delay_alu instid0(VALU_DEP_2) | instskip(SKIP_3) | instid1(VALU_DEP_1)
	v_cndmask_b32_e64 v4, v1, v4, s0
	ds_bpermute_b32 v3, v6, v2
	s_wait_dscnt 0x0
	v_max_num_f32_e32 v3, v3, v3
	v_max_num_f32_e32 v2, v2, v3
	ds_bpermute_b32 v3, v7, v2
	s_wait_dscnt 0x0
	v_dual_max_num_f32 v8, v3, v3 :: v_dual_lshlrev_b32 v3, 2, v4
	s_delay_alu instid0(VALU_DEP_1) | instskip(SKIP_4) | instid1(VALU_DEP_1)
	v_max_num_f32_e32 v2, v2, v8
	v_xor_b32_e32 v8, 1, v1
	ds_bpermute_b32 v4, v3, v2
	v_cmp_gt_i32_e64 s0, 32, v8
	s_wait_alu 0xf1ff
	v_cndmask_b32_e64 v1, v1, v8, s0
	v_lshrrev_b32_e32 v8, 5, v0
	s_delay_alu instid0(VALU_DEP_1) | instskip(SKIP_2) | instid1(VALU_DEP_1)
	v_lshlrev_b32_e32 v8, 2, v8
	s_wait_dscnt 0x0
	v_max_num_f32_e32 v4, v4, v4
	v_max_num_f32_e32 v2, v2, v4
	v_lshlrev_b32_e32 v4, 2, v1
	v_and_b32_e32 v1, 31, v0
	ds_bpermute_b32 v9, v4, v2
	v_cmp_eq_u32_e64 s0, 0, v1
	s_and_saveexec_b32 s1, s0
	s_cbranch_execz .LBB7_7
; %bb.6:
	s_wait_dscnt 0x0
	v_dual_max_num_f32 v9, v9, v9 :: v_dual_max_num_f32 v2, v2, v2
	s_delay_alu instid0(VALU_DEP_1)
	v_max_num_f32_e32 v2, v2, v9
	ds_store_b32 v8, v2
.LBB7_7:
	s_wait_alu 0xfffe
	s_or_b32 exec_lo, exec_lo, s1
	v_cmp_gt_u32_e64 s1, 4, v1
	s_wait_dscnt 0x0
	v_dual_mov_b32 v2, 0xff7fffff :: v_dual_lshlrev_b32 v9, 2, v1
	s_wait_loadcnt 0x0
	s_barrier_signal -1
	s_barrier_wait -1
	global_inv scope:SCOPE_SE
	s_and_saveexec_b32 s19, s1
; %bb.8:
	ds_load_b32 v2, v9
; %bb.9:
	s_wait_alu 0xfffe
	s_or_b32 exec_lo, exec_lo, s19
	s_wait_dscnt 0x0
	ds_bpermute_b32 v1, v3, v2
	v_max_num_f32_e32 v2, v2, v2
	s_lshl_b32 s19, s17, 2
	s_wait_dscnt 0x0
	v_dual_mov_b32 v10, 0 :: v_dual_max_num_f32 v1, v1, v1
	s_delay_alu instid0(VALU_DEP_1) | instskip(SKIP_3) | instid1(VALU_DEP_1)
	v_max_num_f32_e32 v1, v2, v1
	ds_bpermute_b32 v2, v4, v1
	s_wait_dscnt 0x0
	v_max_num_f32_e32 v2, v2, v2
	v_max_num_f32_e32 v1, v1, v2
	ds_bpermute_b32 v11, v10, v1
	s_and_saveexec_b32 s20, vcc_lo
	s_cbranch_execz .LBB7_13
; %bb.10:
	s_load_b32 s21, s[8:9], 0xc
	s_lshl_b64 s[22:23], s[10:11], 2
	s_lshl_b64 s[24:25], s[12:13], 2
	v_dual_mov_b32 v13, v0 :: v_dual_lshlrev_b32 v12, 2, v0
	s_add_nc_u64 s[22:23], s[22:23], s[24:25]
	v_mov_b32_e32 v10, 0
	s_wait_kmcnt 0x0
	s_add_nc_u64 s[2:3], s[2:3], s[22:23]
	s_wait_alu 0xfffe
	v_add_co_u32 v1, s2, s2, v12
	s_wait_alu 0xf1ff
	v_add_co_ci_u32_e64 v2, null, s3, 0, s2
	v_add_nc_u32_e32 v12, 32, v12
	s_mov_b32 s3, 0
	s_and_b32 s11, s21, 0xffff
	s_delay_alu instid0(SALU_CYCLE_1)
	s_lshl_b32 s13, s11, 2
.LBB7_11:                               ; =>This Inner Loop Header: Depth=1
	global_load_b32 v14, v[1:2], off
	ds_load_b32 v15, v12
	s_wait_dscnt 0x0
	v_sub_f32_e32 v15, v15, v11
	s_delay_alu instid0(VALU_DEP_1) | instskip(NEXT) | instid1(VALU_DEP_1)
	v_mul_f32_e32 v16, 0x3fb8aa3b, v15
	v_fma_f32 v17, 0x3fb8aa3b, v15, -v16
	v_rndne_f32_e32 v18, v16
	s_delay_alu instid0(VALU_DEP_1) | instskip(SKIP_1) | instid1(VALU_DEP_4)
	v_sub_f32_e32 v16, v16, v18
	v_cmp_ngt_f32_e32 vcc_lo, 0xc2ce8ed0, v15
	v_fmac_f32_e32 v17, 0x32a5705f, v15
	v_cmp_nlt_f32_e64 s2, 0x42b17218, v15
	s_delay_alu instid0(VALU_DEP_2) | instskip(SKIP_1) | instid1(VALU_DEP_2)
	v_add_f32_e32 v16, v16, v17
	v_cvt_i32_f32_e32 v17, v18
	v_exp_f32_e32 v16, v16
	s_delay_alu instid0(TRANS32_DEP_1) | instskip(SKIP_3) | instid1(VALU_DEP_3)
	v_ldexp_f32 v16, v16, v17
	v_add_nc_u32_e32 v17, s19, v12
	v_add_nc_u32_e32 v12, s13, v12
	s_wait_alu 0xfffd
	v_cndmask_b32_e32 v16, 0, v16, vcc_lo
	v_add_co_u32 v1, vcc_lo, v1, s13
	s_wait_alu 0xfffd
	v_add_co_ci_u32_e64 v2, null, 0, v2, vcc_lo
	s_wait_alu 0xf1ff
	v_cndmask_b32_e64 v15, 0x7f800000, v16, s2
	s_wait_loadcnt 0x0
	s_delay_alu instid0(VALU_DEP_1) | instskip(NEXT) | instid1(VALU_DEP_1)
	v_dual_mul_f32 v16, v14, v15 :: v_dual_add_nc_u32 v13, s11, v13
	v_cmp_le_i32_e32 vcc_lo, s17, v13
	v_fmac_f32_e32 v10, v14, v15
	ds_store_b32 v17, v16
	s_wait_alu 0xfffe
	s_or_b32 s3, vcc_lo, s3
	s_wait_alu 0xfffe
	s_and_not1_b32 exec_lo, exec_lo, s3
	s_cbranch_execnz .LBB7_11
; %bb.12:
	s_or_b32 exec_lo, exec_lo, s3
.LBB7_13:
	s_wait_alu 0xfffe
	s_or_b32 exec_lo, exec_lo, s20
	ds_bpermute_b32 v1, v5, v10
	s_wait_loadcnt_dscnt 0x0
	s_barrier_signal -1
	s_barrier_wait -1
	global_inv scope:SCOPE_SE
	v_add_f32_e32 v1, v10, v1
	ds_bpermute_b32 v2, v6, v1
	s_wait_dscnt 0x0
	v_add_f32_e32 v1, v1, v2
	ds_bpermute_b32 v2, v7, v1
	s_wait_dscnt 0x0
	;; [unrolled: 3-line block ×4, first 2 shown]
	v_add_f32_e32 v1, v1, v2
	s_wait_kmcnt 0x0
	s_and_saveexec_b32 s2, s0
; %bb.14:
	ds_store_b32 v8, v1 offset:16
; %bb.15:
	s_wait_alu 0xfffe
	s_or_b32 exec_lo, exec_lo, s2
	s_wait_loadcnt_dscnt 0x0
	s_barrier_signal -1
	s_barrier_wait -1
	global_inv scope:SCOPE_SE
	s_and_saveexec_b32 s0, s1
; %bb.16:
	ds_load_b32 v1, v9 offset:16
; %bb.17:
	s_wait_alu 0xfffe
	s_or_b32 exec_lo, exec_lo, s0
	s_wait_dscnt 0x0
	ds_bpermute_b32 v2, v3, v1
	s_mov_b32 s0, exec_lo
	s_wait_dscnt 0x0
	v_add_f32_e32 v1, v1, v2
	ds_bpermute_b32 v2, v4, v1
	s_wait_dscnt 0x0
	v_dual_add_f32 v1, v1, v2 :: v_dual_mov_b32 v2, 0
	ds_bpermute_b32 v2, v2, v1
	v_cmpx_gt_u32_e32 0x60, v0
	s_cbranch_execz .LBB7_24
; %bb.18:
	s_cmp_gt_i32 s18, 0
	s_mov_b32 s1, 0
	s_cbranch_scc1 .LBB7_20
; %bb.19:
	v_dual_mov_b32 v1, 0 :: v_dual_mov_b32 v4, 0
	s_wait_alu 0xfffe
	s_and_not1_b32 vcc_lo, exec_lo, s1
	s_wait_alu 0xfffe
	s_cbranch_vccz .LBB7_21
	s_branch .LBB7_23
.LBB7_20:
	v_mov_b32_e32 v4, 0
.LBB7_21:
	s_wait_dscnt 0x0
	v_add_f32_e32 v4, 0x358637bd, v2
	s_mul_i32 s2, s10, 0x60
	s_mul_i32 s10, s12, 0x60
	s_wait_alu 0xfffe
	s_ashr_i32 s3, s2, 31
	s_ashr_i32 s11, s10, 31
	v_div_scale_f32 v2, null, v4, v4, 1.0
	s_wait_alu 0xfffe
	s_lshl_b64 s[2:3], s[2:3], 2
	s_lshl_b64 s[10:11], s[10:11], 2
	s_wait_alu 0xfffe
	s_add_nc_u64 s[2:3], s[2:3], s[10:11]
	v_rcp_f32_e32 v3, v2
	s_wait_alu 0xfffe
	s_add_nc_u64 s[2:3], s[4:5], s[2:3]
	s_delay_alu instid0(TRANS32_DEP_1) | instskip(NEXT) | instid1(VALU_DEP_1)
	v_fma_f32 v1, -v2, v3, 1.0
	v_fmac_f32_e32 v3, v1, v3
	v_div_scale_f32 v5, vcc_lo, 1.0, v4, 1.0
	s_delay_alu instid0(VALU_DEP_1) | instskip(NEXT) | instid1(VALU_DEP_1)
	v_mul_f32_e32 v6, v5, v3
	v_fma_f32 v1, -v2, v6, v5
	s_delay_alu instid0(VALU_DEP_1) | instskip(NEXT) | instid1(VALU_DEP_1)
	v_dual_fmac_f32 v6, v1, v3 :: v_dual_mov_b32 v1, 0
	v_fma_f32 v2, -v2, v6, v5
	v_lshlrev_b32_e32 v5, 2, v0
	s_wait_alu 0xfffd
	s_delay_alu instid0(VALU_DEP_2) | instskip(SKIP_1) | instid1(VALU_DEP_2)
	v_div_fmas_f32 v6, v2, v3, v6
	s_wait_alu 0xfffe
	v_add_co_u32 v2, s1, s2, v5
	s_wait_alu 0xf1ff
	v_add_co_ci_u32_e64 v3, null, s3, 0, s1
	v_div_fixup_f32 v5, v6, v4, 1.0
	v_mov_b32_e32 v4, v1
	s_max_i32 s1, s17, 1
	s_add_co_i32 s2, s19, 32
.LBB7_22:                               ; =>This Inner Loop Header: Depth=1
	global_load_b32 v6, v[2:3], off
	s_wait_alu 0xfffe
	v_mov_b32_e32 v7, s2
	v_add_co_u32 v2, vcc_lo, 0x180, v2
	s_wait_alu 0xfffd
	v_add_co_ci_u32_e64 v3, null, 0, v3, vcc_lo
	ds_load_b32 v7, v7
	s_add_co_i32 s1, s1, -1
	s_add_co_i32 s2, s2, 4
	s_wait_alu 0xfffe
	s_cmp_eq_u32 s1, 0
	s_wait_loadcnt_dscnt 0x0
	v_mul_f32_e32 v6, v6, v7
	s_delay_alu instid0(VALU_DEP_1)
	v_fmac_f32_e32 v4, v5, v6
	s_cbranch_scc0 .LBB7_22
.LBB7_23:
	s_mul_i32 s2, s16, 0x60
	s_mul_i32 s10, ttmp9, 0x60
	s_wait_alu 0xfffe
	s_ashr_i32 s3, s2, 31
	s_ashr_i32 s11, s10, 31
	s_wait_alu 0xfffe
	s_lshl_b64 s[2:3], s[2:3], 2
	s_wait_dscnt 0x0
	v_lshlrev_b64_e32 v[1:2], 2, v[0:1]
	s_lshl_b64 s[10:11], s[10:11], 2
	s_wait_alu 0xfffe
	s_add_nc_u64 s[2:3], s[6:7], s[2:3]
	s_wait_alu 0xfffe
	s_add_nc_u64 s[2:3], s[2:3], s[10:11]
	s_wait_alu 0xfffe
	v_add_co_u32 v1, vcc_lo, s2, v1
	s_wait_alu 0xfffd
	v_add_co_ci_u32_e64 v2, null, s3, v2, vcc_lo
	global_store_b32 v[1:2], v4, off
.LBB7_24:
	s_wait_alu 0xfffe
	s_or_b32 exec_lo, exec_lo, s0
	s_mov_b32 s2, 0
.LBB7_25:
	s_wait_alu 0xfffe
	s_and_b32 vcc_lo, exec_lo, s2
	s_wait_alu 0xfffe
	s_cbranch_vccz .LBB7_29
; %bb.26:
	s_mov_b32 s0, exec_lo
	v_cmpx_gt_u32_e32 0x60, v0
	s_cbranch_execz .LBB7_29
; %bb.27:
	s_load_b32 s10, s[8:9], 0xc
	s_mul_i32 s0, s15, ttmp7
	s_wait_alu 0xfffe
	s_mul_i32 s2, ttmp9, 0x60
	s_mulk_i32 s0, 0x60
	s_wait_alu 0xfffe
	s_ashr_i32 s3, s2, 31
	s_ashr_i32 s1, s0, 31
	s_wait_dscnt 0x0
	v_dual_mov_b32 v2, 0 :: v_dual_lshlrev_b32 v1, 2, v0
	s_wait_alu 0xfffe
	s_lshl_b64 s[8:9], s[0:1], 2
	s_mul_i32 s0, s0, s14
	s_add_nc_u64 s[6:7], s[6:7], s[8:9]
	s_lshl_b64 s[8:9], s[2:3], 2
	s_wait_alu 0xfffe
	s_ashr_i32 s1, s0, 31
	s_mul_i32 s2, s2, s14
	s_wait_alu 0xfffe
	s_lshl_b64 s[0:1], s[0:1], 2
	s_ashr_i32 s3, s2, 31
	s_wait_alu 0xfffe
	s_add_nc_u64 s[0:1], s[4:5], s[0:1]
	s_lshl_b64 s[4:5], s[2:3], 2
	s_add_nc_u64 s[2:3], s[6:7], s[8:9]
	s_wait_alu 0xfffe
	s_add_nc_u64 s[4:5], s[0:1], s[4:5]
	s_wait_kmcnt 0x0
	s_and_b32 s1, s10, 0xffff
	s_mov_b32 s6, 0
	s_wait_alu 0xfffe
	s_lshl_b32 s7, s1, 2
.LBB7_28:                               ; =>This Inner Loop Header: Depth=1
	v_add_co_u32 v3, vcc_lo, s4, v1
	s_wait_alu 0xfffd
	v_add_co_ci_u32_e64 v4, null, s5, v2, vcc_lo
	v_add_nc_u32_e32 v0, s1, v0
	global_load_b32 v5, v[3:4], off
	v_add_co_u32 v3, vcc_lo, s2, v1
	s_wait_alu 0xfffd
	v_add_co_ci_u32_e64 v4, null, s3, v2, vcc_lo
	v_cmp_lt_u32_e32 vcc_lo, 0x5f, v0
	v_add_co_u32 v1, s0, v1, s7
	s_wait_alu 0xf1ff
	v_add_co_ci_u32_e64 v2, null, 0, v2, s0
	s_or_b32 s6, vcc_lo, s6
	s_wait_loadcnt 0x0
	global_store_b32 v[3:4], v5, off
	s_wait_alu 0xfffe
	s_and_not1_b32 exec_lo, exec_lo, s6
	s_cbranch_execnz .LBB7_28
.LBB7_29:
	s_endpgm
	.section	.rodata,"a",@progbits
	.p2align	6, 0x0
	.amdhsa_kernel _ZN4vllm32paged_attention_v2_reduce_kernelIfLi96ELi128ELi512EEEvPT_PKfS4_PKS1_PKii
		.amdhsa_group_segment_fixed_size 32
		.amdhsa_private_segment_fixed_size 0
		.amdhsa_kernarg_size 304
		.amdhsa_user_sgpr_count 2
		.amdhsa_user_sgpr_dispatch_ptr 0
		.amdhsa_user_sgpr_queue_ptr 0
		.amdhsa_user_sgpr_kernarg_segment_ptr 1
		.amdhsa_user_sgpr_dispatch_id 0
		.amdhsa_user_sgpr_private_segment_size 0
		.amdhsa_wavefront_size32 1
		.amdhsa_uses_dynamic_stack 0
		.amdhsa_enable_private_segment 0
		.amdhsa_system_sgpr_workgroup_id_x 1
		.amdhsa_system_sgpr_workgroup_id_y 1
		.amdhsa_system_sgpr_workgroup_id_z 0
		.amdhsa_system_sgpr_workgroup_info 0
		.amdhsa_system_vgpr_workitem_id 0
		.amdhsa_next_free_vgpr 19
		.amdhsa_next_free_sgpr 26
		.amdhsa_reserve_vcc 1
		.amdhsa_float_round_mode_32 0
		.amdhsa_float_round_mode_16_64 0
		.amdhsa_float_denorm_mode_32 3
		.amdhsa_float_denorm_mode_16_64 3
		.amdhsa_fp16_overflow 0
		.amdhsa_workgroup_processor_mode 1
		.amdhsa_memory_ordered 1
		.amdhsa_forward_progress 1
		.amdhsa_inst_pref_size 17
		.amdhsa_round_robin_scheduling 0
		.amdhsa_exception_fp_ieee_invalid_op 0
		.amdhsa_exception_fp_denorm_src 0
		.amdhsa_exception_fp_ieee_div_zero 0
		.amdhsa_exception_fp_ieee_overflow 0
		.amdhsa_exception_fp_ieee_underflow 0
		.amdhsa_exception_fp_ieee_inexact 0
		.amdhsa_exception_int_div_zero 0
	.end_amdhsa_kernel
	.section	.text._ZN4vllm32paged_attention_v2_reduce_kernelIfLi96ELi128ELi512EEEvPT_PKfS4_PKS1_PKii,"axG",@progbits,_ZN4vllm32paged_attention_v2_reduce_kernelIfLi96ELi128ELi512EEEvPT_PKfS4_PKS1_PKii,comdat
.Lfunc_end7:
	.size	_ZN4vllm32paged_attention_v2_reduce_kernelIfLi96ELi128ELi512EEEvPT_PKfS4_PKS1_PKii, .Lfunc_end7-_ZN4vllm32paged_attention_v2_reduce_kernelIfLi96ELi128ELi512EEEvPT_PKfS4_PKS1_PKii
                                        ; -- End function
	.set _ZN4vllm32paged_attention_v2_reduce_kernelIfLi96ELi128ELi512EEEvPT_PKfS4_PKS1_PKii.num_vgpr, 19
	.set _ZN4vllm32paged_attention_v2_reduce_kernelIfLi96ELi128ELi512EEEvPT_PKfS4_PKS1_PKii.num_agpr, 0
	.set _ZN4vllm32paged_attention_v2_reduce_kernelIfLi96ELi128ELi512EEEvPT_PKfS4_PKS1_PKii.numbered_sgpr, 26
	.set _ZN4vllm32paged_attention_v2_reduce_kernelIfLi96ELi128ELi512EEEvPT_PKfS4_PKS1_PKii.num_named_barrier, 0
	.set _ZN4vllm32paged_attention_v2_reduce_kernelIfLi96ELi128ELi512EEEvPT_PKfS4_PKS1_PKii.private_seg_size, 0
	.set _ZN4vllm32paged_attention_v2_reduce_kernelIfLi96ELi128ELi512EEEvPT_PKfS4_PKS1_PKii.uses_vcc, 1
	.set _ZN4vllm32paged_attention_v2_reduce_kernelIfLi96ELi128ELi512EEEvPT_PKfS4_PKS1_PKii.uses_flat_scratch, 0
	.set _ZN4vllm32paged_attention_v2_reduce_kernelIfLi96ELi128ELi512EEEvPT_PKfS4_PKS1_PKii.has_dyn_sized_stack, 0
	.set _ZN4vllm32paged_attention_v2_reduce_kernelIfLi96ELi128ELi512EEEvPT_PKfS4_PKS1_PKii.has_recursion, 0
	.set _ZN4vllm32paged_attention_v2_reduce_kernelIfLi96ELi128ELi512EEEvPT_PKfS4_PKS1_PKii.has_indirect_call, 0
	.section	.AMDGPU.csdata,"",@progbits
; Kernel info:
; codeLenInByte = 2168
; TotalNumSgprs: 28
; NumVgprs: 19
; ScratchSize: 0
; MemoryBound: 0
; FloatMode: 240
; IeeeMode: 1
; LDSByteSize: 32 bytes/workgroup (compile time only)
; SGPRBlocks: 0
; VGPRBlocks: 2
; NumSGPRsForWavesPerEU: 28
; NumVGPRsForWavesPerEU: 19
; Occupancy: 16
; WaveLimiterHint : 0
; COMPUTE_PGM_RSRC2:SCRATCH_EN: 0
; COMPUTE_PGM_RSRC2:USER_SGPR: 2
; COMPUTE_PGM_RSRC2:TRAP_HANDLER: 0
; COMPUTE_PGM_RSRC2:TGID_X_EN: 1
; COMPUTE_PGM_RSRC2:TGID_Y_EN: 1
; COMPUTE_PGM_RSRC2:TGID_Z_EN: 0
; COMPUTE_PGM_RSRC2:TIDIG_COMP_CNT: 0
	.section	.text._ZN4vllm25paged_attention_v2_kernelIffLi112ELi8ELi128ELNS_18Fp8KVCacheDataTypeE0ELb1ELi512EEEvPfS2_PT_PKS3_PKT0_S9_ifPKiSB_iPKfiiiSD_SD_iiiii,"axG",@progbits,_ZN4vllm25paged_attention_v2_kernelIffLi112ELi8ELi128ELNS_18Fp8KVCacheDataTypeE0ELb1ELi512EEEvPfS2_PT_PKS3_PKT0_S9_ifPKiSB_iPKfiiiSD_SD_iiiii,comdat
	.protected	_ZN4vllm25paged_attention_v2_kernelIffLi112ELi8ELi128ELNS_18Fp8KVCacheDataTypeE0ELb1ELi512EEEvPfS2_PT_PKS3_PKT0_S9_ifPKiSB_iPKfiiiSD_SD_iiiii ; -- Begin function _ZN4vllm25paged_attention_v2_kernelIffLi112ELi8ELi128ELNS_18Fp8KVCacheDataTypeE0ELb1ELi512EEEvPfS2_PT_PKS3_PKT0_S9_ifPKiSB_iPKfiiiSD_SD_iiiii
	.globl	_ZN4vllm25paged_attention_v2_kernelIffLi112ELi8ELi128ELNS_18Fp8KVCacheDataTypeE0ELb1ELi512EEEvPfS2_PT_PKS3_PKT0_S9_ifPKiSB_iPKfiiiSD_SD_iiiii
	.p2align	8
	.type	_ZN4vllm25paged_attention_v2_kernelIffLi112ELi8ELi128ELNS_18Fp8KVCacheDataTypeE0ELb1ELi512EEEvPfS2_PT_PKS3_PKT0_S9_ifPKiSB_iPKfiiiSD_SD_iiiii,@function
_ZN4vllm25paged_attention_v2_kernelIffLi112ELi8ELi128ELNS_18Fp8KVCacheDataTypeE0ELb1ELi512EEEvPfS2_PT_PKS3_PKT0_S9_ifPKiSB_iPKfiiiSD_SD_iiiii: ; @_ZN4vllm25paged_attention_v2_kernelIffLi112ELi8ELi128ELNS_18Fp8KVCacheDataTypeE0ELb1ELi512EEEvPfS2_PT_PKS3_PKT0_S9_ifPKiSB_iPKfiiiSD_SD_iiiii
; %bb.0:
	s_load_b64 s[2:3], s[0:1], 0x40
	s_and_b32 s20, ttmp7, 0xffff
	s_lshr_b32 s30, ttmp7, 16
	s_lshl_b32 s4, s20, 2
	s_lshl_b32 s33, s30, 9
	s_wait_kmcnt 0x0
	s_load_b32 s31, s[2:3], s4 offset:0x0
	s_wait_kmcnt 0x0
	s_cmp_ge_i32 s33, s31
	s_cbranch_scc1 .LBB8_84
; %bb.1:
	s_clause 0x1
	s_load_b32 s21, s[0:1], 0x90
	s_load_b64 s[6:7], s[0:1], 0x30
	s_wait_kmcnt 0x0
	s_abs_i32 s5, s21
	s_abs_i32 s2, s6
	s_delay_alu instid0(SALU_CYCLE_1) | instskip(SKIP_1) | instid1(SALU_CYCLE_2)
	s_cvt_f32_u32 s3, s2
	s_sub_co_i32 s4, 0, s2
	v_rcp_iflag_f32_e32 v1, s3
	s_delay_alu instid0(TRANS32_DEP_1) | instskip(SKIP_2) | instid1(SALU_CYCLE_2)
	v_readfirstlane_b32 s3, v1
	s_mul_f32 s3, s3, 0x4f7ffffe
	s_wait_alu 0xfffe
	s_cvt_u32_f32 s3, s3
	s_wait_alu 0xfffe
	s_delay_alu instid0(SALU_CYCLE_2) | instskip(NEXT) | instid1(SALU_CYCLE_1)
	s_mul_i32 s4, s4, s3
	s_mul_hi_u32 s4, s3, s4
	s_delay_alu instid0(SALU_CYCLE_1)
	s_add_co_i32 s3, s3, s4
	s_xor_b32 s4, s21, s6
	s_wait_alu 0xfffe
	s_mul_hi_u32 s3, s5, s3
	s_ashr_i32 s4, s4, 31
	s_wait_alu 0xfffe
	s_mul_i32 s8, s3, s2
	s_delay_alu instid0(SALU_CYCLE_1)
	s_sub_co_i32 s5, s5, s8
	s_add_co_i32 s8, s3, 1
	s_sub_co_i32 s9, s5, s2
	s_cmp_ge_u32 s5, s2
	s_cselect_b32 s3, s8, s3
	s_cselect_b32 s5, s9, s5
	s_wait_alu 0xfffe
	s_add_co_i32 s8, s3, 1
	s_cmp_ge_u32 s5, s2
	s_cselect_b32 s2, s8, s3
	s_load_b64 s[8:9], s[0:1], 0x50
	s_xor_b32 s2, s2, s4
	s_mov_b32 s3, 0
	s_wait_alu 0xfffe
	s_sub_co_i32 s10, s2, s4
	s_mov_b32 s15, s3
	s_abs_i32 s18, s10
	s_delay_alu instid0(SALU_CYCLE_1) | instskip(SKIP_1) | instid1(SALU_CYCLE_2)
	s_cvt_f32_u32 s2, s18
	s_wait_alu 0xfffe
	v_rcp_iflag_f32_e32 v1, s2
	s_delay_alu instid0(TRANS32_DEP_1) | instskip(SKIP_2) | instid1(SALU_CYCLE_2)
	v_readfirstlane_b32 s2, v1
	s_mul_f32 s2, s2, 0x4f7ffffe
	s_wait_alu 0xfffe
	s_cvt_u32_f32 s4, s2
	s_sub_co_i32 s2, 0, s18
	s_wait_alu 0xfffe
	s_delay_alu instid0(SALU_CYCLE_1)
	s_mul_i32 s2, s2, s4
	s_wait_alu 0xfffe
	s_mul_hi_u32 s5, s4, s2
	s_abs_i32 s2, ttmp9
	s_add_co_i32 s4, s4, s5
	s_mov_b32 s5, s3
	s_wait_kmcnt 0x0
	s_cmp_eq_u64 s[8:9], 0
	s_cbranch_scc1 .LBB8_3
; %bb.2:
	s_mov_b32 s12, ttmp9
	s_ashr_i32 s13, ttmp9, 31
	s_delay_alu instid0(SALU_CYCLE_1) | instskip(NEXT) | instid1(SALU_CYCLE_1)
	s_lshl_b64 s[12:13], s[12:13], 2
	s_add_nc_u64 s[8:9], s[8:9], s[12:13]
	s_load_b32 s15, s[8:9], 0x0
.LBB8_3:
	s_load_b96 s[12:14], s[0:1], 0x58
	v_and_b32_e32 v1, 3, v0
	v_lshlrev_b32_e32 v3, 2, v0
	s_mul_u64 s[4:5], s[2:3], s[4:5]
	s_ashr_i32 s3, ttmp9, 31
	s_ashr_i32 s4, s10, 31
	s_mul_i32 s16, ttmp9, 0x70
	s_mov_b32 s8, exec_lo
	v_cmpx_gt_u32_e32 0x70, v0
	s_cbranch_execz .LBB8_5
; %bb.4:
	s_load_b64 s[10:11], s[0:1], 0x18
	s_wait_kmcnt 0x0
	s_mul_i32 s22, s12, s20
	s_ashr_i32 s17, s16, 31
	s_ashr_i32 s23, s22, 31
	v_and_b32_e32 v4, 0x3fc, v0
	s_lshl_b64 s[22:23], s[22:23], 2
	s_delay_alu instid0(VALU_DEP_1) | instskip(SKIP_2) | instid1(SALU_CYCLE_1)
	v_mad_u32_u24 v4, 0x70, v1, v4
	s_add_nc_u64 s[10:11], s[10:11], s[22:23]
	s_lshl_b64 s[22:23], s[16:17], 2
	s_add_nc_u64 s[10:11], s[10:11], s[22:23]
	global_load_b32 v2, v3, s[10:11]
	s_wait_loadcnt 0x0
	ds_store_b32 v4, v2
.LBB8_5:
	s_or_b32 exec_lo, exec_lo, s8
	s_clause 0x1
	s_load_b128 s[8:11], s[0:1], 0x78
	s_load_b32 s22, s[0:1], 0x88
	s_wait_kmcnt 0x0
	s_mul_i32 s12, s5, s18
	s_xor_b32 s3, s3, s4
	s_sub_co_i32 s2, s2, s12
	s_add_co_i32 s4, s5, 1
	s_wait_alu 0xfffe
	s_sub_co_i32 s12, s2, s18
	s_cmp_ge_u32 s2, s18
	s_mov_b32 s24, -1
	s_cselect_b32 s4, s4, s5
	s_cselect_b32 s2, s12, s2
	s_add_co_i32 s5, s4, 1
	s_wait_alu 0xfffe
	s_cmp_ge_u32 s2, s18
	s_wait_dscnt 0x0
	s_cselect_b32 s2, s5, s4
	s_add_co_i32 s23, s31, -1
	s_wait_alu 0xfffe
	s_xor_b32 s2, s2, s3
	s_barrier_signal -1
	s_wait_alu 0xfffe
	s_sub_co_i32 s26, s2, s3
	s_barrier_wait -1
	s_abs_i32 s12, s11
	global_inv scope:SCOPE_SE
	s_cvt_f32_u32 s4, s12
                                        ; implicit-def: $sgpr17
	s_delay_alu instid0(SALU_CYCLE_3) | instskip(NEXT) | instid1(TRANS32_DEP_1)
	v_rcp_iflag_f32_e32 v2, s4
	v_readfirstlane_b32 s4, v2
	s_mul_f32 s2, s4, 0x4f7ffffe
	s_wait_alu 0xfffe
	s_delay_alu instid0(SALU_CYCLE_2) | instskip(SKIP_2) | instid1(SALU_CYCLE_1)
	s_cvt_u32_f32 s4, s2
	s_sub_co_i32 s2, 0, s12
	s_wait_alu 0xfffe
	s_mul_i32 s3, s2, s4
	s_abs_i32 s2, s23
	s_wait_alu 0xfffe
	s_mul_hi_u32 s5, s4, s3
	s_mov_b32 s3, 0
	s_wait_alu 0xfffe
	s_add_co_i32 s18, s4, s5
	s_cmp_lt_i32 s22, 0
	s_mov_b32 s19, s3
	s_cbranch_scc0 .LBB8_7
; %bb.6:
	s_mul_i32 s4, s8, s6
	s_mov_b32 s24, s3
	s_wait_alu 0xfffe
	s_add_co_i32 s4, s26, s4
	s_wait_alu 0xfffe
	s_mul_i32 s4, s4, s22
	s_wait_alu 0xfffe
	s_sub_co_i32 s17, 1, s4
.LBB8_7:
	s_mul_u64 s[4:5], s[2:3], s[18:19]
	s_ashr_i32 s3, s23, 31
	s_and_not1_b32 vcc_lo, exec_lo, s24
	s_ashr_i32 s11, s11, 31
	s_cbranch_vccnz .LBB8_9
; %bb.8:
	s_mul_i32 s4, s21, s8
	s_wait_alu 0xfffe
	s_add_co_i32 s4, s4, ttmp9
	s_wait_alu 0xfffe
	s_mul_i32 s4, s4, s22
	s_wait_alu 0xfffe
	s_add_co_i32 s17, s4, 1
.LBB8_9:
	s_clause 0x2
	s_load_b32 s4, s[0:1], 0x48
	s_load_b64 s[22:23], s[0:1], 0x38
	s_load_b32 s8, s[0:1], 0x98
	s_mul_i32 s6, s5, s12
	s_xor_b32 s3, s3, s11
	s_sub_co_i32 s2, s2, s6
	s_add_co_i32 s19, s5, 1
	v_lshrrev_b32_e32 v35, 5, v0
	v_mbcnt_lo_u32_b32 v5, -1, 0
	s_mul_i32 s26, s26, s14
	s_delay_alu instid0(VALU_DEP_2)
	v_lshl_add_u32 v36, v35, 3, s33
	s_wait_kmcnt 0x0
	s_mul_i32 s24, s4, s20
	s_wait_alu 0xfffe
	s_sub_co_i32 s4, s2, s12
	s_ashr_i32 s25, s24, 31
	s_cmp_ge_u32 s2, s12
	s_cselect_b32 s5, s19, s5
	s_wait_alu 0xfffe
	s_cselect_b32 s2, s4, s2
	s_add_co_i32 s4, s5, 1
	s_wait_alu 0xfffe
	s_cmp_ge_u32 s2, s12
	s_cselect_b32 s2, s4, s5
	s_add_co_i32 s4, s31, 7
	s_lshl_b32 s36, s30, 6
	s_wait_alu 0xfffe
	s_ashr_i32 s5, s4, 31
	v_or_b32_e32 v37, s36, v35
	s_wait_alu 0xfffe
	s_lshr_b32 s5, s5, 29
	v_mov_b32_e32 v7, 0xff7fffff
	s_wait_alu 0xfffe
	s_add_co_i32 s4, s4, s5
	s_add_co_i32 s5, s36, 64
	s_wait_alu 0xfffe
	s_ashr_i32 s34, s4, 3
	s_xor_b32 s4, s2, s3
	s_min_i32 s19, s5, s34
	v_lshlrev_b32_e32 v4, 2, v37
	v_cmp_gt_i32_e64 s2, s19, v37
	s_wait_alu 0xfffe
	s_sub_co_i32 s35, s4, s3
	s_and_saveexec_b32 s6, s2
	s_cbranch_execz .LBB8_21
; %bb.10:
	s_ashr_i32 s27, s26, 31
	s_sub_co_i32 s14, s35, s9
	s_lshl_b64 s[4:5], s[26:27], 2
	s_cmp_neq_f32 s15, 0
	s_load_b64 s[38:39], s[0:1], 0x20
	v_bfe_u32 v6, v0, 2, 3
	v_dual_mov_b32 v14, 0xff7fffff :: v_dual_lshlrev_b32 v7, 2, v1
	s_cselect_b32 vcc_lo, -1, 0
	s_abs_i32 s27, s10
	v_mul_u32_u24_e32 v8, 0x70, v1
	s_cvt_f32_u32 s3, s27
	v_lshlrev_b32_e32 v9, 4, v6
	s_lshl_b64 s[40:41], s[24:25], 2
	v_subrev_nc_u32_e32 v12, s31, v6
	s_wait_alu 0xfffe
	v_rcp_iflag_f32_e32 v2, s3
	v_cmp_eq_u32_e64 s3, 0, v1
	v_lshlrev_b32_e32 v1, 2, v6
	s_add_nc_u64 s[40:41], s[22:23], s[40:41]
	s_sub_co_i32 s37, 0, s27
	v_lshl_add_u32 v11, v35, 3, s33
	v_add_nc_u32_e32 v12, 1, v12
	v_lshl_or_b32 v13, v35, 5, v1
	v_xor_b32_e32 v15, 2, v5
	s_wait_kmcnt 0x0
	s_add_nc_u64 s[4:5], s[38:39], s[4:5]
	v_readfirstlane_b32 s29, v2
	s_wait_alu 0xfffe
	v_add_co_u32 v1, s4, s4, v9
	s_wait_alu 0xf1ff
	v_add_co_ci_u32_e64 v2, null, s5, 0, s4
	s_mul_f32 s29, s29, 0x4f7ffffe
	v_add_co_u32 v9, s4, v1, v7
	s_wait_alu 0xf1ff
	v_add_co_ci_u32_e64 v10, null, 0, v2, s4
	s_cvt_u32_f32 s5, s29
	v_add_co_u32 v1, s4, s40, v4
	s_wait_alu 0xf1ff
	v_add_co_ci_u32_e64 v2, null, s41, 0, s4
	s_wait_alu 0xfffe
	s_mul_i32 s37, s37, s5
	v_add_nc_u32_e32 v13, 0x1e0, v13
	v_xor_b32_e32 v16, 1, v5
	v_mov_b32_e32 v7, 0xff7fffff
	v_mov_b32_e32 v17, v37
	s_wait_alu 0xfffe
	s_mul_hi_u32 s4, s5, s37
	s_mov_b32 s28, 0
	s_mov_b32 s29, s13
	s_wait_alu 0xfffe
	s_add_co_i32 s37, s5, s4
	s_branch .LBB8_13
.LBB8_11:                               ;   in Loop: Header=BB8_13 Depth=1
	s_or_b32 exec_lo, exec_lo, s38
.LBB8_12:                               ;   in Loop: Header=BB8_13 Depth=1
	s_wait_alu 0xfffe
	s_or_b32 exec_lo, exec_lo, s5
	v_add_nc_u32_e32 v17, 4, v17
	v_add_co_u32 v1, s5, v1, 16
	s_wait_alu 0xf1ff
	v_add_co_ci_u32_e64 v2, null, 0, v2, s5
	s_delay_alu instid0(VALU_DEP_3)
	v_cmp_le_i32_e64 s4, s19, v17
	v_add_nc_u32_e32 v11, 32, v11
	v_add_nc_u32_e32 v13, 0x80, v13
	s_or_b32 s28, s4, s28
	s_wait_alu 0xfffe
	s_and_not1_b32 exec_lo, exec_lo, s28
	s_cbranch_execz .LBB8_20
.LBB8_13:                               ; =>This Inner Loop Header: Depth=1
	v_sub_nc_u32_e32 v18, 0, v11
	s_delay_alu instid0(VALU_DEP_1) | instskip(SKIP_1) | instid1(VALU_DEP_1)
	v_max_i32_e32 v18, v11, v18
	s_wait_dscnt 0x0
	v_mul_hi_u32 v19, v18, s18
	s_delay_alu instid0(VALU_DEP_1) | instskip(NEXT) | instid1(VALU_DEP_1)
	v_mul_lo_u32 v20, v19, s12
	v_sub_nc_u32_e32 v18, v18, v20
	v_add_nc_u32_e32 v20, 1, v19
	s_delay_alu instid0(VALU_DEP_2) | instskip(SKIP_2) | instid1(VALU_DEP_1)
	v_subrev_nc_u32_e32 v21, s12, v18
	v_cmp_le_u32_e64 s4, s12, v18
	s_wait_alu 0xf1ff
	v_cndmask_b32_e64 v19, v19, v20, s4
	s_delay_alu instid0(VALU_DEP_3) | instskip(SKIP_1) | instid1(VALU_DEP_3)
	v_cndmask_b32_e64 v18, v18, v21, s4
	v_ashrrev_i32_e32 v20, 31, v11
	v_add_nc_u32_e32 v21, 1, v19
	s_delay_alu instid0(VALU_DEP_3) | instskip(NEXT) | instid1(VALU_DEP_3)
	v_cmp_le_u32_e64 s4, s12, v18
	v_xor_b32_e32 v20, s11, v20
	s_wait_alu 0xf1ff
	s_delay_alu instid0(VALU_DEP_2) | instskip(NEXT) | instid1(VALU_DEP_1)
	v_cndmask_b32_e64 v18, v19, v21, s4
	v_xor_b32_e32 v18, v18, v20
	s_delay_alu instid0(VALU_DEP_1) | instskip(NEXT) | instid1(VALU_DEP_1)
	v_sub_nc_u32_e32 v18, v18, v20
	v_add_nc_u32_e32 v19, s17, v18
	v_cmp_ge_i32_e64 s5, s14, v18
	s_delay_alu instid0(VALU_DEP_2) | instskip(NEXT) | instid1(VALU_DEP_1)
	v_sub_nc_u32_e32 v20, 0, v19
	v_max_i32_e32 v20, v19, v20
	v_ashrrev_i32_e32 v19, 31, v19
	s_wait_alu 0xfffe
	s_delay_alu instid0(VALU_DEP_2) | instskip(NEXT) | instid1(VALU_DEP_1)
	v_mul_hi_u32 v21, v20, s37
	v_mul_lo_u32 v21, v21, s27
	s_delay_alu instid0(VALU_DEP_1) | instskip(NEXT) | instid1(VALU_DEP_1)
	v_sub_nc_u32_e32 v20, v20, v21
	v_subrev_nc_u32_e32 v21, s27, v20
	v_cmp_le_u32_e64 s4, s27, v20
	s_wait_alu 0xf1ff
	s_delay_alu instid0(VALU_DEP_1) | instskip(NEXT) | instid1(VALU_DEP_1)
	v_cndmask_b32_e64 v20, v20, v21, s4
	v_subrev_nc_u32_e32 v21, s27, v20
	v_cmp_le_u32_e64 s4, s27, v20
	s_wait_alu 0xf1ff
	s_delay_alu instid0(VALU_DEP_1) | instskip(NEXT) | instid1(VALU_DEP_1)
	v_cndmask_b32_e64 v20, v20, v21, s4
	v_xor_b32_e32 v20, v20, v19
	s_delay_alu instid0(VALU_DEP_1) | instskip(NEXT) | instid1(VALU_DEP_1)
	v_sub_nc_u32_e32 v19, v20, v19
	v_cmp_ne_u32_e64 s4, 0, v19
	s_and_b32 s4, s4, s5
	s_wait_alu 0xfffe
	s_and_saveexec_b32 s5, s4
	s_wait_alu 0xfffe
	s_xor_b32 s4, exec_lo, s5
	s_cbranch_execz .LBB8_17
; %bb.14:                               ;   in Loop: Header=BB8_13 Depth=1
	s_and_saveexec_b32 s5, s3
; %bb.15:                               ;   in Loop: Header=BB8_13 Depth=1
	ds_store_b32 v13, v14
; %bb.16:                               ;   in Loop: Header=BB8_13 Depth=1
	s_wait_alu 0xfffe
	s_or_b32 exec_lo, exec_lo, s5
.LBB8_17:                               ;   in Loop: Header=BB8_13 Depth=1
	s_wait_alu 0xfffe
	s_and_not1_saveexec_b32 s5, s4
	s_cbranch_execz .LBB8_12
; %bb.18:                               ;   in Loop: Header=BB8_13 Depth=1
	global_load_b32 v18, v[1:2], off
	s_wait_loadcnt 0x0
	v_mad_co_i64_i32 v[18:19], null, v18, s29, 0
	s_delay_alu instid0(VALU_DEP_1) | instskip(NEXT) | instid1(VALU_DEP_1)
	v_lshlrev_b64_e32 v[18:19], 2, v[18:19]
	v_add_co_u32 v18, s4, v9, v18
	s_wait_alu 0xf1ff
	s_delay_alu instid0(VALU_DEP_2)
	v_add_co_ci_u32_e64 v19, null, v10, v19, s4
	v_cmp_gt_i32_e64 s4, 32, v15
	s_clause 0x1b
	global_load_b32 v26, v[18:19], off offset:128
	global_load_b32 v27, v[18:19], off
	global_load_b32 v28, v[18:19], off offset:256
	global_load_b32 v29, v[18:19], off offset:384
	;; [unrolled: 1-line block ×26, first 2 shown]
	ds_load_b128 v[18:21], v8
	ds_load_b128 v[22:25], v8 offset:16
	s_wait_loadcnt_dscnt 0x1b01
	v_mul_f32_e32 v26, v19, v26
	s_wait_loadcnt 0x1a
	s_delay_alu instid0(VALU_DEP_1) | instskip(SKIP_1) | instid1(VALU_DEP_1)
	v_fmac_f32_e32 v26, v18, v27
	s_wait_loadcnt 0x19
	v_fmac_f32_e32 v26, v20, v28
	s_wait_loadcnt 0x18
	s_delay_alu instid0(VALU_DEP_1) | instskip(SKIP_4) | instid1(VALU_DEP_1)
	v_fmac_f32_e32 v26, v21, v29
	ds_load_b128 v[18:21], v8 offset:32
	s_wait_loadcnt_dscnt 0x1701
	v_fmac_f32_e32 v26, v22, v30
	s_wait_loadcnt 0x16
	v_fmac_f32_e32 v26, v23, v31
	s_wait_loadcnt 0x15
	s_delay_alu instid0(VALU_DEP_1) | instskip(SKIP_1) | instid1(VALU_DEP_1)
	v_fmac_f32_e32 v26, v24, v32
	s_wait_loadcnt 0x14
	v_fmac_f32_e32 v26, v25, v33
	ds_load_b128 v[22:25], v8 offset:48
	s_wait_loadcnt_dscnt 0x1301
	v_fmac_f32_e32 v26, v18, v34
	s_wait_loadcnt 0x12
	s_delay_alu instid0(VALU_DEP_1) | instskip(SKIP_1) | instid1(VALU_DEP_1)
	v_fmac_f32_e32 v26, v19, v38
	s_wait_loadcnt 0x11
	v_fmac_f32_e32 v26, v20, v39
	s_wait_loadcnt 0x10
	s_delay_alu instid0(VALU_DEP_1) | instskip(SKIP_4) | instid1(VALU_DEP_1)
	v_fmac_f32_e32 v26, v21, v40
	ds_load_b128 v[18:21], v8 offset:64
	s_wait_loadcnt_dscnt 0xf01
	v_fmac_f32_e32 v26, v22, v41
	s_wait_loadcnt 0xe
	v_fmac_f32_e32 v26, v23, v42
	s_wait_loadcnt 0xd
	s_delay_alu instid0(VALU_DEP_1) | instskip(SKIP_1) | instid1(VALU_DEP_1)
	v_fmac_f32_e32 v26, v24, v43
	s_wait_loadcnt 0xc
	v_fmac_f32_e32 v26, v25, v44
	ds_load_b128 v[22:25], v8 offset:80
	s_wait_loadcnt_dscnt 0xb01
	v_fmac_f32_e32 v26, v18, v45
	s_wait_loadcnt 0xa
	s_delay_alu instid0(VALU_DEP_1) | instskip(SKIP_1) | instid1(VALU_DEP_1)
	v_fmac_f32_e32 v26, v19, v46
	s_wait_loadcnt 0x9
	v_fmac_f32_e32 v26, v20, v47
	s_wait_loadcnt 0x8
	s_delay_alu instid0(VALU_DEP_1) | instskip(SKIP_4) | instid1(VALU_DEP_1)
	v_fmac_f32_e32 v26, v21, v48
	ds_load_b128 v[18:21], v8 offset:96
	s_wait_loadcnt_dscnt 0x701
	v_fmac_f32_e32 v26, v22, v49
	s_wait_loadcnt 0x6
	v_fmac_f32_e32 v26, v23, v50
	s_wait_loadcnt 0x5
	s_delay_alu instid0(VALU_DEP_1) | instskip(SKIP_1) | instid1(VALU_DEP_1)
	v_fmac_f32_e32 v26, v24, v51
	s_wait_loadcnt 0x4
	v_fmac_f32_e32 v26, v25, v52
	s_wait_loadcnt_dscnt 0x300
	s_delay_alu instid0(VALU_DEP_1)
	v_fmac_f32_e32 v26, v18, v53
	s_wait_alu 0xf1ff
	v_cndmask_b32_e64 v18, v5, v15, s4
	v_cmp_gt_i32_e64 s4, 32, v16
	s_wait_loadcnt 0x2
	v_fmac_f32_e32 v26, v19, v54
	s_delay_alu instid0(VALU_DEP_3)
	v_lshlrev_b32_e32 v18, 2, v18
	s_wait_alu 0xf1ff
	v_cndmask_b32_e64 v19, v5, v16, s4
	s_wait_loadcnt 0x1
	v_fmac_f32_e32 v26, v20, v55
	s_wait_loadcnt 0x0
	s_delay_alu instid0(VALU_DEP_1)
	v_dual_fmac_f32 v26, v21, v56 :: v_dual_lshlrev_b32 v19, 2, v19
	ds_bpermute_b32 v18, v18, v26
	s_wait_dscnt 0x0
	v_add_f32_e32 v18, v26, v18
	ds_bpermute_b32 v19, v19, v18
	s_and_saveexec_b32 s38, s3
	s_cbranch_execz .LBB8_11
; %bb.19:                               ;   in Loop: Header=BB8_13 Depth=1
	s_wait_dscnt 0x0
	v_add_f32_e32 v18, v18, v19
	v_add_nc_u32_e32 v20, v12, v11
	s_delay_alu instid0(VALU_DEP_1) | instskip(NEXT) | instid1(VALU_DEP_1)
	v_cvt_f32_i32_e32 v20, v20
	v_mul_f32_e32 v20, s15, v20
	s_delay_alu instid0(VALU_DEP_1) | instskip(NEXT) | instid1(VALU_DEP_1)
	v_dual_cndmask_b32 v19, 0, v20 :: v_dual_max_num_f32 v20, v7, v7
	v_dual_fmac_f32 v19, s7, v18 :: v_dual_add_nc_u32 v18, v6, v11
	s_delay_alu instid0(VALU_DEP_1) | instskip(NEXT) | instid1(VALU_DEP_2)
	v_max_num_f32_e32 v20, v20, v19
	v_cmp_gt_i32_e64 s4, s31, v18
	s_wait_alu 0xf1ff
	s_delay_alu instid0(VALU_DEP_1) | instskip(NEXT) | instid1(VALU_DEP_3)
	v_cndmask_b32_e64 v18, 0, v19, s4
	v_cndmask_b32_e64 v7, v7, v20, s4
	ds_store_b32 v13, v18
	s_branch .LBB8_11
.LBB8_20:
	s_or_b32 exec_lo, exec_lo, s28
.LBB8_21:
	s_delay_alu instid0(SALU_CYCLE_1)
	s_or_b32 exec_lo, exec_lo, s6
	v_xor_b32_e32 v1, 16, v5
	v_xor_b32_e32 v6, 8, v5
	;; [unrolled: 1-line block ×3, first 2 shown]
	s_clause 0x2
	s_load_b128 s[4:7], s[0:1], 0x0
	s_load_b64 s[14:15], s[0:1], 0x10
	s_load_b64 s[28:29], s[0:1], 0x28
	v_and_b32_e32 v38, 31, v0
	v_cmp_gt_i32_e32 vcc_lo, 32, v1
	s_wait_alu 0xfffd
	v_cndmask_b32_e32 v1, v5, v1, vcc_lo
	v_cmp_gt_i32_e32 vcc_lo, 32, v6
	s_wait_alu 0xfffd
	v_cndmask_b32_e32 v6, v5, v6, vcc_lo
	v_cmp_gt_i32_e32 vcc_lo, 32, v8
	s_delay_alu instid0(VALU_DEP_2)
	v_lshlrev_b32_e32 v6, 2, v6
	v_lshlrev_b32_e32 v2, 2, v1
	s_wait_alu 0xfffd
	v_cndmask_b32_e32 v8, v5, v8, vcc_lo
	v_cmp_eq_u32_e32 vcc_lo, 0, v38
	ds_bpermute_b32 v1, v2, v7
	v_max_num_f32_e32 v7, v7, v7
	v_lshlrev_b32_e32 v9, 2, v8
	s_wait_dscnt 0x0
	v_max_num_f32_e32 v1, v1, v1
	s_delay_alu instid0(VALU_DEP_1) | instskip(SKIP_3) | instid1(VALU_DEP_1)
	v_max_num_f32_e32 v1, v7, v1
	ds_bpermute_b32 v7, v6, v1
	s_wait_dscnt 0x0
	v_max_num_f32_e32 v7, v7, v7
	v_max_num_f32_e32 v1, v1, v7
	v_lshlrev_b32_e32 v7, 2, v35
	ds_bpermute_b32 v8, v9, v1
	s_and_saveexec_b32 s0, vcc_lo
	s_cbranch_execz .LBB8_23
; %bb.22:
	s_wait_dscnt 0x0
	v_dual_max_num_f32 v8, v8, v8 :: v_dual_max_num_f32 v1, v1, v1
	s_delay_alu instid0(VALU_DEP_1)
	v_max_num_f32_e32 v1, v1, v8
	ds_store_b32 v7, v1 offset:448
.LBB8_23:
	s_or_b32 exec_lo, exec_lo, s0
	v_cmp_gt_u32_e64 s0, 4, v38
	s_wait_dscnt 0x0
	v_dual_mov_b32 v1, 0xff7fffff :: v_dual_lshlrev_b32 v8, 2, v38
	s_wait_loadcnt 0x0
	s_barrier_signal -1
	s_barrier_wait -1
	global_inv scope:SCOPE_SE
	s_and_saveexec_b32 s1, s0
; %bb.24:
	ds_load_b32 v1, v8 offset:448
; %bb.25:
	s_or_b32 exec_lo, exec_lo, s1
	v_xor_b32_e32 v10, 2, v5
	v_xor_b32_e32 v12, 1, v5
	s_delay_alu instid0(VALU_DEP_2) | instskip(NEXT) | instid1(VALU_DEP_1)
	v_cmp_gt_i32_e64 s1, 32, v10
	v_cndmask_b32_e64 v10, v5, v10, s1
	s_delay_alu instid0(VALU_DEP_3) | instskip(NEXT) | instid1(VALU_DEP_2)
	v_cmp_gt_i32_e64 s1, 32, v12
	v_lshlrev_b32_e32 v10, 2, v10
	s_wait_alu 0xf1ff
	s_delay_alu instid0(VALU_DEP_2)
	v_cndmask_b32_e64 v5, v5, v12, s1
	s_sub_co_i32 s1, s19, s36
	s_wait_alu 0xfffe
	s_lshl_b32 s1, s1, 3
	s_wait_dscnt 0x0
	ds_bpermute_b32 v11, v10, v1
	v_max_num_f32_e32 v1, v1, v1
	v_lshlrev_b32_e32 v39, 2, v5
	s_wait_alu 0xfffe
	s_add_co_i32 s1, s1, s33
	s_wait_alu 0xfffe
	s_min_i32 s1, s1, s31
	s_wait_alu 0xfffe
	s_sub_co_i32 s27, s1, s33
	s_wait_alu 0xfffe
	v_cmp_gt_i32_e64 s1, s27, v0
	s_wait_dscnt 0x0
	v_max_num_f32_e32 v11, v11, v11
	s_delay_alu instid0(VALU_DEP_1) | instskip(SKIP_4) | instid1(VALU_DEP_1)
	v_max_num_f32_e32 v1, v1, v11
	v_mov_b32_e32 v11, 0
	ds_bpermute_b32 v5, v39, v1
	s_wait_dscnt 0x0
	v_max_num_f32_e32 v5, v5, v5
	v_max_num_f32_e32 v1, v1, v5
	v_lshl_add_u32 v5, v0, 2, 0x1e0
	ds_bpermute_b32 v1, v11, v1
	s_and_saveexec_b32 s33, s1
	s_cbranch_execz .LBB8_29
; %bb.26:
	v_lshl_add_u32 v12, v0, 2, 0x1e0
	v_mov_b32_e32 v11, 0
	v_mov_b32_e32 v13, v0
	s_mov_b32 s36, 0
.LBB8_27:                               ; =>This Inner Loop Header: Depth=1
	ds_load_b32 v14, v12
	v_add_nc_u32_e32 v13, 0x80, v13
	s_delay_alu instid0(VALU_DEP_1) | instskip(SKIP_4) | instid1(VALU_DEP_1)
	v_cmp_le_i32_e64 s3, s27, v13
	s_wait_alu 0xfffe
	s_or_b32 s36, s3, s36
	s_wait_dscnt 0x0
	v_sub_f32_e32 v14, v14, v1
	v_mul_f32_e32 v14, 0x3fb8aa3b, v14
	s_delay_alu instid0(VALU_DEP_1)
	v_exp_f32_e32 v14, v14
	ds_store_b32 v12, v14
	v_dual_add_f32 v11, v11, v14 :: v_dual_add_nc_u32 v12, 0x200, v12
	s_wait_alu 0xfffe
	s_and_not1_b32 exec_lo, exec_lo, s36
	s_cbranch_execnz .LBB8_27
; %bb.28:
	s_or_b32 exec_lo, exec_lo, s36
.LBB8_29:
	s_wait_alu 0xfffe
	s_or_b32 exec_lo, exec_lo, s33
	ds_bpermute_b32 v2, v2, v11
	s_wait_dscnt 0x0
	v_add_f32_e32 v2, v11, v2
	ds_bpermute_b32 v6, v6, v2
	s_wait_dscnt 0x0
	v_add_f32_e32 v2, v2, v6
	;; [unrolled: 3-line block ×5, first 2 shown]
	s_and_saveexec_b32 s3, vcc_lo
; %bb.30:
	ds_store_b32 v7, v2 offset:464
; %bb.31:
	s_wait_alu 0xfffe
	s_or_b32 exec_lo, exec_lo, s3
	s_wait_loadcnt_dscnt 0x0
	s_barrier_signal -1
	s_barrier_wait -1
	global_inv scope:SCOPE_SE
	s_and_saveexec_b32 s3, s0
; %bb.32:
	ds_load_b32 v2, v8 offset:464
; %bb.33:
	s_wait_alu 0xfffe
	s_or_b32 exec_lo, exec_lo, s3
	s_wait_dscnt 0x0
	ds_bpermute_b32 v6, v10, v2
	s_wait_dscnt 0x0
	v_add_f32_e32 v2, v2, v6
	ds_bpermute_b32 v6, v39, v2
	s_wait_dscnt 0x0
	v_add_f32_e32 v2, v2, v6
	v_mov_b32_e32 v6, 0
	ds_bpermute_b32 v2, v6, v2
	s_and_saveexec_b32 s0, s1
	s_cbranch_execz .LBB8_36
; %bb.34:
	s_wait_dscnt 0x0
	v_add_f32_e32 v6, 0x358637bd, v2
	s_mov_b32 s1, 0
	s_delay_alu instid0(VALU_DEP_1) | instskip(SKIP_1) | instid1(VALU_DEP_2)
	v_div_scale_f32 v7, null, v6, v6, 1.0
	v_div_scale_f32 v10, vcc_lo, 1.0, v6, 1.0
	v_rcp_f32_e32 v8, v7
	s_delay_alu instid0(TRANS32_DEP_1) | instskip(NEXT) | instid1(VALU_DEP_1)
	v_fma_f32 v9, -v7, v8, 1.0
	v_fmac_f32_e32 v8, v9, v8
	s_delay_alu instid0(VALU_DEP_1) | instskip(NEXT) | instid1(VALU_DEP_1)
	v_mul_f32_e32 v9, v10, v8
	v_fma_f32 v11, -v7, v9, v10
	s_delay_alu instid0(VALU_DEP_1) | instskip(NEXT) | instid1(VALU_DEP_1)
	v_fmac_f32_e32 v9, v11, v8
	v_fma_f32 v7, -v7, v9, v10
	s_wait_alu 0xfffd
	s_delay_alu instid0(VALU_DEP_1) | instskip(NEXT) | instid1(VALU_DEP_1)
	v_div_fmas_f32 v7, v7, v8, v9
	v_div_fixup_f32 v6, v7, v6, 1.0
	v_mov_b32_e32 v7, v0
.LBB8_35:                               ; =>This Inner Loop Header: Depth=1
	ds_load_b32 v8, v5
	s_wait_dscnt 0x0
	v_dual_mul_f32 v8, v6, v8 :: v_dual_add_nc_u32 v7, 0x80, v7
	s_delay_alu instid0(VALU_DEP_1)
	v_cmp_le_i32_e32 vcc_lo, s27, v7
	ds_store_b32 v5, v8
	v_add_nc_u32_e32 v5, 0x200, v5
	s_wait_alu 0xfffe
	s_or_b32 s1, vcc_lo, s1
	s_wait_alu 0xfffe
	s_and_not1_b32 exec_lo, exec_lo, s1
	s_cbranch_execnz .LBB8_35
.LBB8_36:
	s_wait_alu 0xfffe
	s_or_b32 exec_lo, exec_lo, s0
	s_mul_i32 s0, s8, s20
	s_wait_loadcnt_dscnt 0x0
	s_wait_alu 0xfffe
	s_mul_i32 s20, s0, s21
	s_mov_b32 s0, exec_lo
	s_barrier_signal -1
	s_barrier_wait -1
	global_inv scope:SCOPE_SE
	v_cmpx_eq_u32_e32 0, v0
	s_cbranch_execz .LBB8_38
; %bb.37:
	s_ashr_i32 s21, s20, 31
	s_wait_alu 0xfffe
	s_mul_i32 s36, s8, ttmp9
	s_lshl_b32 s1, s30, 2
	s_lshl_b64 s[38:39], s[20:21], 2
	s_wait_alu 0xfffe
	s_ashr_i32 s37, s36, 31
	v_mov_b32_e32 v5, s1
	s_wait_kmcnt 0x0
	s_add_nc_u64 s[6:7], s[6:7], s[38:39]
	s_wait_alu 0xfffe
	s_lshl_b64 s[36:37], s[36:37], 2
	s_add_nc_u64 s[4:5], s[4:5], s[38:39]
	s_wait_alu 0xfffe
	s_add_nc_u64 s[6:7], s[6:7], s[36:37]
	s_add_nc_u64 s[4:5], s[4:5], s[36:37]
	s_clause 0x1
	global_store_b32 v5, v1, s[6:7]
	global_store_b32 v5, v2, s[4:5]
.LBB8_38:
	s_wait_alu 0xfffe
	s_or_b32 exec_lo, exec_lo, s0
	v_dual_mov_b32 v46, 0 :: v_dual_mov_b32 v47, 0
	v_dual_mov_b32 v45, 0 :: v_dual_and_b32 v40, 1, v0
	v_dual_mov_b32 v44, 0 :: v_dual_mov_b32 v43, 0
	v_dual_mov_b32 v42, 0 :: v_dual_mov_b32 v41, 0
	s_and_saveexec_b32 s1, s2
	s_cbranch_execz .LBB8_58
; %bb.39:
	s_abs_i32 s2, s10
	v_dual_mov_b32 v43, 0 :: v_dual_lshlrev_b32 v2, 4, v0
	s_wait_alu 0xfffe
	s_cvt_f32_u32 s0, s2
	v_dual_mov_b32 v41, 0 :: v_dual_and_b32 v48, 4, v3
	v_dual_mov_b32 v42, 0 :: v_dual_lshlrev_b32 v3, 4, v40
	s_wait_alu 0xfffe
	v_rcp_iflag_f32_e32 v1, s0
	s_ashr_i32 s27, s26, 31
	s_wait_kmcnt 0x0
	s_lshl_b64 s[6:7], s[24:25], 2
	s_wait_alu 0xfffe
	s_lshl_b64 s[24:25], s[26:27], 2
	s_add_nc_u64 s[6:7], s[22:23], s[6:7]
	s_add_nc_u64 s[22:23], s[28:29], s[24:25]
	s_wait_alu 0xfffe
	v_add_co_u32 v33, s6, s6, v4
	s_sub_co_i32 s5, 0, s2
	v_add_co_ci_u32_e64 v34, null, s7, 0, s6
	v_readfirstlane_b32 s0, v1
	v_dual_mov_b32 v44, 0 :: v_dual_and_b32 v1, 0x1f0, v2
	v_lshl_or_b32 v2, v35, 5, v3
	v_mov_b32_e32 v45, 0
	s_mul_f32 s0, s0, 0x4f7ffffe
	s_delay_alu instid0(VALU_DEP_3)
	v_add_co_u32 v49, s6, s22, v1
	s_wait_alu 0xf1ff
	v_add_co_ci_u32_e64 v50, null, s23, 0, s6
	s_wait_alu 0xfffe
	s_cvt_u32_f32 s0, s0
	v_dual_mov_b32 v46, 0 :: v_dual_add_nc_u32 v51, 0x1e0, v2
	v_mov_b32_e32 v47, 0
	s_wait_alu 0xfffe
	s_mul_i32 s5, s5, s0
	s_sub_co_i32 s3, s35, s9
	s_wait_alu 0xfffe
	s_mul_hi_u32 s6, s0, s5
	s_mov_b32 s4, s13
	s_add_co_i32 s34, s34, -1
	s_mov_b32 s5, 0
	s_wait_alu 0xfffe
	s_add_co_i32 s6, s0, s6
	s_branch .LBB8_42
.LBB8_40:                               ;   in Loop: Header=BB8_42 Depth=1
	s_wait_alu 0xfffe
	s_or_b32 exec_lo, exec_lo, s0
	s_wait_loadcnt_dscnt 0x300
	v_mul_f32_e32 v17, v1, v17
	v_mul_f32_e32 v5, v1, v5
	s_wait_loadcnt 0x1
	v_mul_f32_e32 v25, v1, v25
	v_mul_f32_e32 v21, v1, v21
	;; [unrolled: 1-line block ×3, first 2 shown]
	v_fmac_f32_e32 v17, v2, v18
	v_fmac_f32_e32 v5, v2, v6
	v_mul_f32_e32 v9, v1, v9
	s_wait_loadcnt 0x0
	v_mul_f32_e32 v1, v1, v29
	v_fmac_f32_e32 v21, v2, v22
	v_fmac_f32_e32 v17, v3, v19
	v_fmac_f32_e32 v5, v3, v7
	v_fmac_f32_e32 v13, v2, v14
	v_fmac_f32_e32 v9, v2, v10
	v_fmac_f32_e32 v1, v2, v30
	v_fmac_f32_e32 v17, v4, v20
	v_fmac_f32_e32 v25, v2, v26
	v_fmac_f32_e32 v5, v4, v8
	v_fmac_f32_e32 v13, v3, v15
	s_delay_alu instid0(VALU_DEP_4) | instskip(NEXT) | instid1(VALU_DEP_3)
	v_dual_fmac_f32 v9, v3, v11 :: v_dual_add_f32 v44, v44, v17
	v_dual_fmac_f32 v25, v3, v27 :: v_dual_add_f32 v46, v46, v5
	v_fmac_f32_e32 v1, v3, v31
	s_delay_alu instid0(VALU_DEP_4) | instskip(NEXT) | instid1(VALU_DEP_4)
	v_fmac_f32_e32 v13, v4, v16
	v_fmac_f32_e32 v9, v4, v12
	s_delay_alu instid0(VALU_DEP_4) | instskip(SKIP_4) | instid1(VALU_DEP_4)
	v_fmac_f32_e32 v25, v4, v28
	v_fmac_f32_e32 v21, v3, v23
	;; [unrolled: 1-line block ×3, first 2 shown]
	v_add_f32_e32 v45, v45, v13
	v_add_f32_e32 v47, v47, v9
	v_dual_add_f32 v42, v42, v25 :: v_dual_fmac_f32 v21, v4, v24
	s_delay_alu instid0(VALU_DEP_4) | instskip(NEXT) | instid1(VALU_DEP_2)
	v_add_f32_e32 v41, v41, v1
	v_add_f32_e32 v43, v43, v21
.LBB8_41:                               ;   in Loop: Header=BB8_42 Depth=1
	s_wait_alu 0xfffe
	s_or_b32 exec_lo, exec_lo, s7
	v_add_nc_u32_e32 v37, 4, v37
	v_add_co_u32 v33, s0, v33, 16
	s_wait_alu 0xf1ff
	v_add_co_ci_u32_e64 v34, null, 0, v34, s0
	s_delay_alu instid0(VALU_DEP_3)
	v_cmp_le_i32_e32 vcc_lo, s19, v37
	v_add_nc_u32_e32 v36, 32, v36
	v_add_nc_u32_e32 v51, 0x80, v51
	s_or_b32 s5, vcc_lo, s5
	s_wait_alu 0xfffe
	s_and_not1_b32 exec_lo, exec_lo, s5
	s_cbranch_execz .LBB8_57
.LBB8_42:                               ; =>This Inner Loop Header: Depth=1
	v_sub_nc_u32_e32 v1, 0, v36
	s_delay_alu instid0(VALU_DEP_1) | instskip(NEXT) | instid1(VALU_DEP_1)
	v_max_i32_e32 v1, v36, v1
	v_mul_hi_u32 v2, v1, s18
	s_delay_alu instid0(VALU_DEP_1) | instskip(NEXT) | instid1(VALU_DEP_1)
	v_mul_lo_u32 v3, v2, s12
	v_sub_nc_u32_e32 v1, v1, v3
	v_add_nc_u32_e32 v3, 1, v2
	s_delay_alu instid0(VALU_DEP_2) | instskip(SKIP_2) | instid1(VALU_DEP_2)
	v_subrev_nc_u32_e32 v4, s12, v1
	v_cmp_le_u32_e32 vcc_lo, s12, v1
	s_wait_alu 0xfffd
	v_dual_cndmask_b32 v2, v2, v3 :: v_dual_cndmask_b32 v1, v1, v4
	v_ashrrev_i32_e32 v3, 31, v36
	s_delay_alu instid0(VALU_DEP_2) | instskip(NEXT) | instid1(VALU_DEP_3)
	v_add_nc_u32_e32 v4, 1, v2
	v_cmp_le_u32_e32 vcc_lo, s12, v1
	s_delay_alu instid0(VALU_DEP_3) | instskip(SKIP_1) | instid1(VALU_DEP_3)
	v_xor_b32_e32 v3, s11, v3
	s_wait_alu 0xfffd
	v_cndmask_b32_e32 v1, v2, v4, vcc_lo
	s_delay_alu instid0(VALU_DEP_1) | instskip(NEXT) | instid1(VALU_DEP_1)
	v_xor_b32_e32 v1, v1, v3
	v_sub_nc_u32_e32 v1, v1, v3
	s_delay_alu instid0(VALU_DEP_1) | instskip(SKIP_1) | instid1(VALU_DEP_2)
	v_add_nc_u32_e32 v2, s17, v1
	v_cmp_lt_i32_e64 s0, s3, v1
	v_sub_nc_u32_e32 v3, 0, v2
	s_delay_alu instid0(VALU_DEP_1) | instskip(SKIP_1) | instid1(VALU_DEP_1)
	v_max_i32_e32 v3, v2, v3
	s_wait_alu 0xfffe
	v_mul_hi_u32 v4, v3, s6
	s_delay_alu instid0(VALU_DEP_1) | instskip(NEXT) | instid1(VALU_DEP_1)
	v_mul_lo_u32 v4, v4, s2
	v_sub_nc_u32_e32 v3, v3, v4
	s_delay_alu instid0(VALU_DEP_1) | instskip(SKIP_2) | instid1(VALU_DEP_2)
	v_subrev_nc_u32_e32 v4, s2, v3
	v_cmp_le_u32_e32 vcc_lo, s2, v3
	s_wait_alu 0xfffd
	v_cndmask_b32_e32 v3, v3, v4, vcc_lo
	v_ashrrev_i32_e32 v2, 31, v2
	s_delay_alu instid0(VALU_DEP_2) | instskip(SKIP_2) | instid1(VALU_DEP_2)
	v_subrev_nc_u32_e32 v4, s2, v3
	v_cmp_le_u32_e32 vcc_lo, s2, v3
	s_wait_alu 0xfffd
	v_cndmask_b32_e32 v3, v3, v4, vcc_lo
	s_delay_alu instid0(VALU_DEP_1) | instskip(NEXT) | instid1(VALU_DEP_1)
	v_xor_b32_e32 v3, v3, v2
	v_sub_nc_u32_e32 v2, v3, v2
	s_delay_alu instid0(VALU_DEP_1)
	v_cmp_eq_u32_e32 vcc_lo, 0, v2
	s_or_b32 s0, vcc_lo, s0
	s_wait_alu 0xfffe
	s_and_saveexec_b32 s7, s0
	s_cbranch_execz .LBB8_41
; %bb.43:                               ;   in Loop: Header=BB8_42 Depth=1
	global_load_b32 v1, v[33:34], off
	v_add_nc_u32_e32 v52, v48, v36
	s_delay_alu instid0(VALU_DEP_1) | instskip(SKIP_4) | instid1(VALU_DEP_1)
	v_add_nc_u32_e32 v55, 1, v52
	v_add_nc_u32_e32 v54, 2, v52
	;; [unrolled: 1-line block ×3, first 2 shown]
	s_wait_loadcnt 0x0
	v_mad_co_i64_i32 v[1:2], null, v1, s4, 0
	v_lshlrev_b64_e32 v[1:2], 2, v[1:2]
	s_delay_alu instid0(VALU_DEP_1) | instskip(SKIP_1) | instid1(VALU_DEP_2)
	v_add_co_u32 v29, vcc_lo, v49, v1
	s_wait_alu 0xfffd
	v_add_co_ci_u32_e64 v30, null, v50, v2, vcc_lo
	ds_load_b128 v[1:4], v51
	v_cmp_eq_u32_e32 vcc_lo, s34, v37
	global_load_b128 v[5:8], v[29:30], off
	s_and_saveexec_b32 s9, vcc_lo
	s_cbranch_execnz .LBB8_50
; %bb.44:                               ;   in Loop: Header=BB8_42 Depth=1
	s_or_b32 exec_lo, exec_lo, s9
	global_load_b128 v[9:12], v[29:30], off offset:512
	s_and_saveexec_b32 s9, vcc_lo
	s_cbranch_execnz .LBB8_51
.LBB8_45:                               ;   in Loop: Header=BB8_42 Depth=1
	s_or_b32 exec_lo, exec_lo, s9
	global_load_b128 v[13:16], v[29:30], off offset:1024
	s_and_saveexec_b32 s9, vcc_lo
	s_cbranch_execnz .LBB8_52
.LBB8_46:                               ;   in Loop: Header=BB8_42 Depth=1
	s_or_b32 exec_lo, exec_lo, s9
	global_load_b128 v[17:20], v[29:30], off offset:1536
	s_and_saveexec_b32 s9, vcc_lo
	s_cbranch_execnz .LBB8_53
.LBB8_47:                               ;   in Loop: Header=BB8_42 Depth=1
	s_or_b32 exec_lo, exec_lo, s9
	global_load_b128 v[21:24], v[29:30], off offset:2048
	s_and_saveexec_b32 s9, vcc_lo
	s_cbranch_execnz .LBB8_54
.LBB8_48:                               ;   in Loop: Header=BB8_42 Depth=1
	s_or_b32 exec_lo, exec_lo, s9
	global_load_b128 v[25:28], v[29:30], off offset:2560
	s_and_saveexec_b32 s9, vcc_lo
	s_cbranch_execnz .LBB8_55
.LBB8_49:                               ;   in Loop: Header=BB8_42 Depth=1
	s_or_b32 exec_lo, exec_lo, s9
	global_load_b128 v[29:32], v[29:30], off offset:3072
	s_and_saveexec_b32 s0, vcc_lo
	s_cbranch_execz .LBB8_40
	s_branch .LBB8_56
.LBB8_50:                               ;   in Loop: Header=BB8_42 Depth=1
	v_cmp_gt_i32_e64 s0, s31, v52
	s_wait_loadcnt 0x0
	s_wait_alu 0xf1ff
	s_delay_alu instid0(VALU_DEP_1) | instskip(SKIP_2) | instid1(VALU_DEP_1)
	v_cndmask_b32_e64 v5, 0, v5, s0
	v_cmp_gt_i32_e64 s0, s31, v55
	s_wait_alu 0xf1ff
	v_cndmask_b32_e64 v6, 0, v6, s0
	v_cmp_gt_i32_e64 s0, s31, v54
	s_wait_alu 0xf1ff
	s_delay_alu instid0(VALU_DEP_1) | instskip(SKIP_2) | instid1(VALU_DEP_1)
	v_cndmask_b32_e64 v7, 0, v7, s0
	v_cmp_gt_i32_e64 s0, s31, v53
	s_wait_alu 0xf1ff
	v_cndmask_b32_e64 v8, 0, v8, s0
	s_or_b32 exec_lo, exec_lo, s9
	global_load_b128 v[9:12], v[29:30], off offset:512
	s_and_saveexec_b32 s9, vcc_lo
	s_cbranch_execz .LBB8_45
.LBB8_51:                               ;   in Loop: Header=BB8_42 Depth=1
	v_cmp_gt_i32_e64 s0, s31, v52
	s_wait_loadcnt 0x0
	s_wait_alu 0xf1ff
	s_delay_alu instid0(VALU_DEP_1) | instskip(SKIP_2) | instid1(VALU_DEP_1)
	v_cndmask_b32_e64 v9, 0, v9, s0
	v_cmp_gt_i32_e64 s0, s31, v55
	s_wait_alu 0xf1ff
	v_cndmask_b32_e64 v10, 0, v10, s0
	v_cmp_gt_i32_e64 s0, s31, v54
	s_wait_alu 0xf1ff
	s_delay_alu instid0(VALU_DEP_1) | instskip(SKIP_2) | instid1(VALU_DEP_1)
	v_cndmask_b32_e64 v11, 0, v11, s0
	v_cmp_gt_i32_e64 s0, s31, v53
	s_wait_alu 0xf1ff
	v_cndmask_b32_e64 v12, 0, v12, s0
	s_or_b32 exec_lo, exec_lo, s9
	global_load_b128 v[13:16], v[29:30], off offset:1024
	s_and_saveexec_b32 s9, vcc_lo
	s_cbranch_execz .LBB8_46
.LBB8_52:                               ;   in Loop: Header=BB8_42 Depth=1
	v_cmp_gt_i32_e64 s0, s31, v52
	s_wait_loadcnt 0x0
	s_wait_alu 0xf1ff
	s_delay_alu instid0(VALU_DEP_1) | instskip(SKIP_2) | instid1(VALU_DEP_1)
	v_cndmask_b32_e64 v13, 0, v13, s0
	v_cmp_gt_i32_e64 s0, s31, v55
	s_wait_alu 0xf1ff
	v_cndmask_b32_e64 v14, 0, v14, s0
	v_cmp_gt_i32_e64 s0, s31, v54
	s_wait_alu 0xf1ff
	s_delay_alu instid0(VALU_DEP_1) | instskip(SKIP_2) | instid1(VALU_DEP_1)
	v_cndmask_b32_e64 v15, 0, v15, s0
	v_cmp_gt_i32_e64 s0, s31, v53
	s_wait_alu 0xf1ff
	v_cndmask_b32_e64 v16, 0, v16, s0
	s_or_b32 exec_lo, exec_lo, s9
	global_load_b128 v[17:20], v[29:30], off offset:1536
	s_and_saveexec_b32 s9, vcc_lo
	s_cbranch_execz .LBB8_47
.LBB8_53:                               ;   in Loop: Header=BB8_42 Depth=1
	v_cmp_gt_i32_e64 s0, s31, v52
	s_wait_loadcnt 0x0
	s_wait_alu 0xf1ff
	s_delay_alu instid0(VALU_DEP_1) | instskip(SKIP_2) | instid1(VALU_DEP_1)
	v_cndmask_b32_e64 v17, 0, v17, s0
	v_cmp_gt_i32_e64 s0, s31, v55
	s_wait_alu 0xf1ff
	v_cndmask_b32_e64 v18, 0, v18, s0
	v_cmp_gt_i32_e64 s0, s31, v54
	s_wait_alu 0xf1ff
	s_delay_alu instid0(VALU_DEP_1) | instskip(SKIP_2) | instid1(VALU_DEP_1)
	v_cndmask_b32_e64 v19, 0, v19, s0
	v_cmp_gt_i32_e64 s0, s31, v53
	s_wait_alu 0xf1ff
	v_cndmask_b32_e64 v20, 0, v20, s0
	s_or_b32 exec_lo, exec_lo, s9
	global_load_b128 v[21:24], v[29:30], off offset:2048
	s_and_saveexec_b32 s9, vcc_lo
	s_cbranch_execz .LBB8_48
.LBB8_54:                               ;   in Loop: Header=BB8_42 Depth=1
	v_cmp_gt_i32_e64 s0, s31, v52
	s_wait_loadcnt 0x0
	s_wait_alu 0xf1ff
	s_delay_alu instid0(VALU_DEP_1) | instskip(SKIP_2) | instid1(VALU_DEP_1)
	v_cndmask_b32_e64 v21, 0, v21, s0
	v_cmp_gt_i32_e64 s0, s31, v55
	s_wait_alu 0xf1ff
	v_cndmask_b32_e64 v22, 0, v22, s0
	v_cmp_gt_i32_e64 s0, s31, v54
	s_wait_alu 0xf1ff
	s_delay_alu instid0(VALU_DEP_1) | instskip(SKIP_2) | instid1(VALU_DEP_1)
	v_cndmask_b32_e64 v23, 0, v23, s0
	v_cmp_gt_i32_e64 s0, s31, v53
	s_wait_alu 0xf1ff
	v_cndmask_b32_e64 v24, 0, v24, s0
	s_or_b32 exec_lo, exec_lo, s9
	global_load_b128 v[25:28], v[29:30], off offset:2560
	s_and_saveexec_b32 s9, vcc_lo
	s_cbranch_execz .LBB8_49
.LBB8_55:                               ;   in Loop: Header=BB8_42 Depth=1
	v_cmp_gt_i32_e64 s0, s31, v52
	s_wait_loadcnt 0x0
	s_wait_alu 0xf1ff
	s_delay_alu instid0(VALU_DEP_1) | instskip(SKIP_2) | instid1(VALU_DEP_1)
	v_cndmask_b32_e64 v25, 0, v25, s0
	v_cmp_gt_i32_e64 s0, s31, v55
	s_wait_alu 0xf1ff
	v_cndmask_b32_e64 v26, 0, v26, s0
	v_cmp_gt_i32_e64 s0, s31, v54
	s_wait_alu 0xf1ff
	s_delay_alu instid0(VALU_DEP_1) | instskip(SKIP_2) | instid1(VALU_DEP_1)
	v_cndmask_b32_e64 v27, 0, v27, s0
	v_cmp_gt_i32_e64 s0, s31, v53
	s_wait_alu 0xf1ff
	v_cndmask_b32_e64 v28, 0, v28, s0
	s_or_b32 exec_lo, exec_lo, s9
	global_load_b128 v[29:32], v[29:30], off offset:3072
	s_and_saveexec_b32 s0, vcc_lo
	s_cbranch_execz .LBB8_40
.LBB8_56:                               ;   in Loop: Header=BB8_42 Depth=1
	v_cmp_gt_i32_e32 vcc_lo, s31, v52
	s_wait_loadcnt 0x0
	s_wait_alu 0xfffd
	v_cndmask_b32_e32 v29, 0, v29, vcc_lo
	v_cmp_gt_i32_e32 vcc_lo, s31, v55
	s_wait_alu 0xfffd
	v_cndmask_b32_e32 v30, 0, v30, vcc_lo
	v_cmp_gt_i32_e32 vcc_lo, s31, v54
	;; [unrolled: 3-line block ×3, first 2 shown]
	s_wait_alu 0xfffd
	v_cndmask_b32_e32 v32, 0, v32, vcc_lo
	s_branch .LBB8_40
.LBB8_57:
	s_or_b32 exec_lo, exec_lo, s5
.LBB8_58:
	s_wait_alu 0xfffe
	s_or_b32 exec_lo, exec_lo, s1
	ds_bpermute_b32 v1, v39, v46
	ds_bpermute_b32 v2, v39, v47
	;; [unrolled: 1-line block ×7, first 2 shown]
	v_lshrrev_b32_e32 v8, 1, v38
	v_mul_u32_u24_e32 v10, 0x1c0, v35
	v_and_b32_e32 v11, 0x3c1, v0
	s_mov_b32 s0, exec_lo
	s_wait_storecnt 0x0
	s_wait_loadcnt_dscnt 0x0
	v_lshl_add_u32 v9, v8, 2, 0x1e0
	s_barrier_signal -1
	s_barrier_wait -1
	global_inv scope:SCOPE_SE
	v_dual_add_f32 v1, v46, v1 :: v_dual_add_f32 v2, v47, v2
	v_dual_add_f32 v3, v45, v3 :: v_dual_add_f32 v4, v44, v4
	;; [unrolled: 1-line block ×3, first 2 shown]
	v_add_f32_e32 v7, v41, v7
	v_cmpx_eq_u32_e32 64, v11
	s_cbranch_execz .LBB8_60
; %bb.59:
	v_add_nc_u32_e32 v11, v9, v10
	s_delay_alu instid0(VALU_DEP_1)
	v_add_nc_u32_e32 v12, 0xfffffc80, v11
	v_add_nc_u32_e32 v13, 0xfffffcc0, v11
	;; [unrolled: 1-line block ×7, first 2 shown]
	ds_store_b32 v12, v1
	ds_store_b32 v13, v2
	ds_store_b32 v14, v3
	ds_store_b32 v15, v4
	ds_store_b32 v16, v5
	ds_store_b32 v17, v6
	ds_store_b32 v11, v7
.LBB8_60:
	s_wait_alu 0xfffe
	s_or_b32 exec_lo, exec_lo, s0
	v_lshlrev_b32_e32 v8, 2, v8
	s_mov_b32 s1, exec_lo
	v_cmp_eq_u32_e32 vcc_lo, 0, v40
	s_wait_loadcnt_dscnt 0x0
	s_barrier_signal -1
	v_add3_u32 v8, 0x1e0, v10, v8
	s_barrier_wait -1
	global_inv scope:SCOPE_SE
	v_cmpx_gt_u32_e32 64, v0
	s_cbranch_execz .LBB8_70
; %bb.61:
	s_and_saveexec_b32 s0, vcc_lo
	s_cbranch_execnz .LBB8_85
; %bb.62:
	s_wait_alu 0xfffe
	s_or_b32 exec_lo, exec_lo, s0
	s_and_saveexec_b32 s0, vcc_lo
	s_cbranch_execnz .LBB8_86
.LBB8_63:
	s_wait_alu 0xfffe
	s_or_b32 exec_lo, exec_lo, s0
	s_and_saveexec_b32 s0, vcc_lo
	s_cbranch_execnz .LBB8_87
.LBB8_64:
	s_wait_alu 0xfffe
	s_or_b32 exec_lo, exec_lo, s0
	s_and_saveexec_b32 s0, vcc_lo
	s_cbranch_execnz .LBB8_88
.LBB8_65:
	s_wait_alu 0xfffe
	s_or_b32 exec_lo, exec_lo, s0
	s_and_saveexec_b32 s0, vcc_lo
	s_cbranch_execnz .LBB8_89
.LBB8_66:
	s_wait_alu 0xfffe
	s_or_b32 exec_lo, exec_lo, s0
	s_and_saveexec_b32 s0, vcc_lo
	s_cbranch_execnz .LBB8_90
.LBB8_67:
	s_wait_alu 0xfffe
	s_or_b32 exec_lo, exec_lo, s0
	s_and_saveexec_b32 s0, vcc_lo
	s_cbranch_execz .LBB8_69
.LBB8_68:
	ds_load_b32 v10, v8 offset:384
	s_wait_dscnt 0x0
	v_add_f32_e32 v7, v7, v10
.LBB8_69:
	s_wait_alu 0xfffe
	s_or_b32 exec_lo, exec_lo, s0
.LBB8_70:
	s_wait_alu 0xfffe
	s_or_b32 exec_lo, exec_lo, s1
	v_and_b32_e32 v10, 0x3e1, v0
	s_mov_b32 s1, exec_lo
	s_wait_loadcnt 0x0
	s_barrier_signal -1
	s_barrier_wait -1
	global_inv scope:SCOPE_SE
	v_cmpx_eq_u32_e32 32, v10
	s_cbranch_execz .LBB8_72
; %bb.71:
	ds_store_2addr_b32 v9, v1, v2 offset1:16
	ds_store_2addr_b32 v9, v3, v4 offset0:32 offset1:48
	ds_store_2addr_b32 v9, v5, v6 offset0:64 offset1:80
	ds_store_b32 v9, v7 offset:384
.LBB8_72:
	s_wait_alu 0xfffe
	s_or_b32 exec_lo, exec_lo, s1
	s_delay_alu instid0(SALU_CYCLE_1)
	s_mov_b32 s1, exec_lo
	s_wait_loadcnt_dscnt 0x0
	s_barrier_signal -1
	s_barrier_wait -1
	global_inv scope:SCOPE_SE
	v_cmpx_gt_u32_e32 32, v0
	s_cbranch_execz .LBB8_82
; %bb.73:
	s_and_saveexec_b32 s0, vcc_lo
	s_cbranch_execnz .LBB8_91
; %bb.74:
	s_wait_alu 0xfffe
	s_or_b32 exec_lo, exec_lo, s0
	s_and_saveexec_b32 s0, vcc_lo
	s_cbranch_execnz .LBB8_92
.LBB8_75:
	s_wait_alu 0xfffe
	s_or_b32 exec_lo, exec_lo, s0
	s_and_saveexec_b32 s0, vcc_lo
	s_cbranch_execnz .LBB8_93
.LBB8_76:
	s_wait_alu 0xfffe
	s_or_b32 exec_lo, exec_lo, s0
	s_and_saveexec_b32 s0, vcc_lo
	s_cbranch_execnz .LBB8_94
.LBB8_77:
	s_wait_alu 0xfffe
	s_or_b32 exec_lo, exec_lo, s0
	s_and_saveexec_b32 s0, vcc_lo
	s_cbranch_execnz .LBB8_95
.LBB8_78:
	s_wait_alu 0xfffe
	s_or_b32 exec_lo, exec_lo, s0
	s_and_saveexec_b32 s0, vcc_lo
	s_cbranch_execnz .LBB8_96
.LBB8_79:
	s_wait_alu 0xfffe
	s_or_b32 exec_lo, exec_lo, s0
	s_and_saveexec_b32 s0, vcc_lo
	s_cbranch_execz .LBB8_81
.LBB8_80:
	ds_load_b32 v8, v8 offset:384
	s_wait_dscnt 0x0
	v_add_f32_e32 v7, v7, v8
.LBB8_81:
	s_wait_alu 0xfffe
	s_or_b32 exec_lo, exec_lo, s0
.LBB8_82:
	s_wait_alu 0xfffe
	s_or_b32 exec_lo, exec_lo, s1
	s_mov_b32 s1, 0
	s_wait_loadcnt 0x0
	s_barrier_signal -1
	s_barrier_wait -1
	global_inv scope:SCOPE_SE
	s_mov_b32 s0, exec_lo
	v_cmpx_eq_u32_e32 0, v10
	s_cbranch_execz .LBB8_84
; %bb.83:
	s_mul_i32 s2, s20, 0x70
	s_wait_kmcnt 0x0
	s_mul_i32 s4, s8, s16
	s_wait_alu 0xfffe
	s_ashr_i32 s3, s2, 31
	s_ashr_i32 s5, s4, 31
	s_wait_alu 0xfffe
	s_lshl_b64 s[2:3], s[2:3], 2
	s_lshl_b64 s[4:5], s[4:5], 2
	s_wait_alu 0xfffe
	s_add_nc_u64 s[2:3], s[14:15], s[2:3]
	v_lshlrev_b32_e32 v0, 1, v0
	s_mul_i32 s0, s30, 0x1c0
	s_wait_alu 0xfffe
	s_add_nc_u64 s[2:3], s[2:3], s[4:5]
	s_wait_alu 0xfffe
	s_add_nc_u64 s[0:1], s[2:3], s[0:1]
	s_clause 0x6
	global_store_b32 v0, v1, s[0:1]
	global_store_b32 v0, v2, s[0:1] offset:64
	global_store_b32 v0, v3, s[0:1] offset:128
	;; [unrolled: 1-line block ×6, first 2 shown]
.LBB8_84:
	s_endpgm
.LBB8_85:
	ds_load_b32 v10, v8
	s_wait_dscnt 0x0
	v_add_f32_e32 v1, v1, v10
	s_wait_alu 0xfffe
	s_or_b32 exec_lo, exec_lo, s0
	s_and_saveexec_b32 s0, vcc_lo
	s_cbranch_execz .LBB8_63
.LBB8_86:
	ds_load_b32 v10, v8 offset:64
	s_wait_dscnt 0x0
	v_add_f32_e32 v2, v2, v10
	s_wait_alu 0xfffe
	s_or_b32 exec_lo, exec_lo, s0
	s_and_saveexec_b32 s0, vcc_lo
	s_cbranch_execz .LBB8_64
.LBB8_87:
	ds_load_b32 v10, v8 offset:128
	s_wait_dscnt 0x0
	v_add_f32_e32 v3, v3, v10
	s_wait_alu 0xfffe
	s_or_b32 exec_lo, exec_lo, s0
	s_and_saveexec_b32 s0, vcc_lo
	s_cbranch_execz .LBB8_65
.LBB8_88:
	ds_load_b32 v10, v8 offset:192
	s_wait_dscnt 0x0
	v_add_f32_e32 v4, v4, v10
	s_wait_alu 0xfffe
	s_or_b32 exec_lo, exec_lo, s0
	s_and_saveexec_b32 s0, vcc_lo
	s_cbranch_execz .LBB8_66
.LBB8_89:
	ds_load_b32 v10, v8 offset:256
	s_wait_dscnt 0x0
	v_add_f32_e32 v5, v5, v10
	s_wait_alu 0xfffe
	s_or_b32 exec_lo, exec_lo, s0
	s_and_saveexec_b32 s0, vcc_lo
	s_cbranch_execz .LBB8_67
.LBB8_90:
	ds_load_b32 v10, v8 offset:320
	s_wait_dscnt 0x0
	v_add_f32_e32 v6, v6, v10
	s_wait_alu 0xfffe
	s_or_b32 exec_lo, exec_lo, s0
	s_and_saveexec_b32 s0, vcc_lo
	s_cbranch_execnz .LBB8_68
	s_branch .LBB8_69
.LBB8_91:
	ds_load_b32 v9, v8
	s_wait_dscnt 0x0
	v_add_f32_e32 v1, v1, v9
	s_wait_alu 0xfffe
	s_or_b32 exec_lo, exec_lo, s0
	s_and_saveexec_b32 s0, vcc_lo
	s_cbranch_execz .LBB8_75
.LBB8_92:
	ds_load_b32 v9, v8 offset:64
	s_wait_dscnt 0x0
	v_add_f32_e32 v2, v2, v9
	s_wait_alu 0xfffe
	s_or_b32 exec_lo, exec_lo, s0
	s_and_saveexec_b32 s0, vcc_lo
	s_cbranch_execz .LBB8_76
.LBB8_93:
	ds_load_b32 v9, v8 offset:128
	s_wait_dscnt 0x0
	v_add_f32_e32 v3, v3, v9
	s_wait_alu 0xfffe
	s_or_b32 exec_lo, exec_lo, s0
	s_and_saveexec_b32 s0, vcc_lo
	s_cbranch_execz .LBB8_77
.LBB8_94:
	ds_load_b32 v9, v8 offset:192
	s_wait_dscnt 0x0
	v_add_f32_e32 v4, v4, v9
	s_wait_alu 0xfffe
	s_or_b32 exec_lo, exec_lo, s0
	s_and_saveexec_b32 s0, vcc_lo
	s_cbranch_execz .LBB8_78
.LBB8_95:
	ds_load_b32 v9, v8 offset:256
	s_wait_dscnt 0x0
	v_add_f32_e32 v5, v5, v9
	s_wait_alu 0xfffe
	s_or_b32 exec_lo, exec_lo, s0
	s_and_saveexec_b32 s0, vcc_lo
	s_cbranch_execz .LBB8_79
.LBB8_96:
	ds_load_b32 v9, v8 offset:320
	s_wait_dscnt 0x0
	v_add_f32_e32 v6, v6, v9
	s_wait_alu 0xfffe
	s_or_b32 exec_lo, exec_lo, s0
	s_and_saveexec_b32 s0, vcc_lo
	s_cbranch_execnz .LBB8_80
	s_branch .LBB8_81
	.section	.rodata,"a",@progbits
	.p2align	6, 0x0
	.amdhsa_kernel _ZN4vllm25paged_attention_v2_kernelIffLi112ELi8ELi128ELNS_18Fp8KVCacheDataTypeE0ELb1ELi512EEEvPfS2_PT_PKS3_PKT0_S9_ifPKiSB_iPKfiiiSD_SD_iiiii
		.amdhsa_group_segment_fixed_size 480
		.amdhsa_private_segment_fixed_size 0
		.amdhsa_kernarg_size 400
		.amdhsa_user_sgpr_count 2
		.amdhsa_user_sgpr_dispatch_ptr 0
		.amdhsa_user_sgpr_queue_ptr 0
		.amdhsa_user_sgpr_kernarg_segment_ptr 1
		.amdhsa_user_sgpr_dispatch_id 0
		.amdhsa_user_sgpr_private_segment_size 0
		.amdhsa_wavefront_size32 1
		.amdhsa_uses_dynamic_stack 0
		.amdhsa_enable_private_segment 0
		.amdhsa_system_sgpr_workgroup_id_x 1
		.amdhsa_system_sgpr_workgroup_id_y 1
		.amdhsa_system_sgpr_workgroup_id_z 1
		.amdhsa_system_sgpr_workgroup_info 0
		.amdhsa_system_vgpr_workitem_id 0
		.amdhsa_next_free_vgpr 57
		.amdhsa_next_free_sgpr 42
		.amdhsa_reserve_vcc 1
		.amdhsa_float_round_mode_32 0
		.amdhsa_float_round_mode_16_64 0
		.amdhsa_float_denorm_mode_32 3
		.amdhsa_float_denorm_mode_16_64 3
		.amdhsa_fp16_overflow 0
		.amdhsa_workgroup_processor_mode 1
		.amdhsa_memory_ordered 1
		.amdhsa_forward_progress 1
		.amdhsa_inst_pref_size 54
		.amdhsa_round_robin_scheduling 0
		.amdhsa_exception_fp_ieee_invalid_op 0
		.amdhsa_exception_fp_denorm_src 0
		.amdhsa_exception_fp_ieee_div_zero 0
		.amdhsa_exception_fp_ieee_overflow 0
		.amdhsa_exception_fp_ieee_underflow 0
		.amdhsa_exception_fp_ieee_inexact 0
		.amdhsa_exception_int_div_zero 0
	.end_amdhsa_kernel
	.section	.text._ZN4vllm25paged_attention_v2_kernelIffLi112ELi8ELi128ELNS_18Fp8KVCacheDataTypeE0ELb1ELi512EEEvPfS2_PT_PKS3_PKT0_S9_ifPKiSB_iPKfiiiSD_SD_iiiii,"axG",@progbits,_ZN4vllm25paged_attention_v2_kernelIffLi112ELi8ELi128ELNS_18Fp8KVCacheDataTypeE0ELb1ELi512EEEvPfS2_PT_PKS3_PKT0_S9_ifPKiSB_iPKfiiiSD_SD_iiiii,comdat
.Lfunc_end8:
	.size	_ZN4vllm25paged_attention_v2_kernelIffLi112ELi8ELi128ELNS_18Fp8KVCacheDataTypeE0ELb1ELi512EEEvPfS2_PT_PKS3_PKT0_S9_ifPKiSB_iPKfiiiSD_SD_iiiii, .Lfunc_end8-_ZN4vllm25paged_attention_v2_kernelIffLi112ELi8ELi128ELNS_18Fp8KVCacheDataTypeE0ELb1ELi512EEEvPfS2_PT_PKS3_PKT0_S9_ifPKiSB_iPKfiiiSD_SD_iiiii
                                        ; -- End function
	.set _ZN4vllm25paged_attention_v2_kernelIffLi112ELi8ELi128ELNS_18Fp8KVCacheDataTypeE0ELb1ELi512EEEvPfS2_PT_PKS3_PKT0_S9_ifPKiSB_iPKfiiiSD_SD_iiiii.num_vgpr, 57
	.set _ZN4vllm25paged_attention_v2_kernelIffLi112ELi8ELi128ELNS_18Fp8KVCacheDataTypeE0ELb1ELi512EEEvPfS2_PT_PKS3_PKT0_S9_ifPKiSB_iPKfiiiSD_SD_iiiii.num_agpr, 0
	.set _ZN4vllm25paged_attention_v2_kernelIffLi112ELi8ELi128ELNS_18Fp8KVCacheDataTypeE0ELb1ELi512EEEvPfS2_PT_PKS3_PKT0_S9_ifPKiSB_iPKfiiiSD_SD_iiiii.numbered_sgpr, 42
	.set _ZN4vllm25paged_attention_v2_kernelIffLi112ELi8ELi128ELNS_18Fp8KVCacheDataTypeE0ELb1ELi512EEEvPfS2_PT_PKS3_PKT0_S9_ifPKiSB_iPKfiiiSD_SD_iiiii.num_named_barrier, 0
	.set _ZN4vllm25paged_attention_v2_kernelIffLi112ELi8ELi128ELNS_18Fp8KVCacheDataTypeE0ELb1ELi512EEEvPfS2_PT_PKS3_PKT0_S9_ifPKiSB_iPKfiiiSD_SD_iiiii.private_seg_size, 0
	.set _ZN4vllm25paged_attention_v2_kernelIffLi112ELi8ELi128ELNS_18Fp8KVCacheDataTypeE0ELb1ELi512EEEvPfS2_PT_PKS3_PKT0_S9_ifPKiSB_iPKfiiiSD_SD_iiiii.uses_vcc, 1
	.set _ZN4vllm25paged_attention_v2_kernelIffLi112ELi8ELi128ELNS_18Fp8KVCacheDataTypeE0ELb1ELi512EEEvPfS2_PT_PKS3_PKT0_S9_ifPKiSB_iPKfiiiSD_SD_iiiii.uses_flat_scratch, 0
	.set _ZN4vllm25paged_attention_v2_kernelIffLi112ELi8ELi128ELNS_18Fp8KVCacheDataTypeE0ELb1ELi512EEEvPfS2_PT_PKS3_PKT0_S9_ifPKiSB_iPKfiiiSD_SD_iiiii.has_dyn_sized_stack, 0
	.set _ZN4vllm25paged_attention_v2_kernelIffLi112ELi8ELi128ELNS_18Fp8KVCacheDataTypeE0ELb1ELi512EEEvPfS2_PT_PKS3_PKT0_S9_ifPKiSB_iPKfiiiSD_SD_iiiii.has_recursion, 0
	.set _ZN4vllm25paged_attention_v2_kernelIffLi112ELi8ELi128ELNS_18Fp8KVCacheDataTypeE0ELb1ELi512EEEvPfS2_PT_PKS3_PKT0_S9_ifPKiSB_iPKfiiiSD_SD_iiiii.has_indirect_call, 0
	.section	.AMDGPU.csdata,"",@progbits
; Kernel info:
; codeLenInByte = 6840
; TotalNumSgprs: 44
; NumVgprs: 57
; ScratchSize: 0
; MemoryBound: 0
; FloatMode: 240
; IeeeMode: 1
; LDSByteSize: 480 bytes/workgroup (compile time only)
; SGPRBlocks: 0
; VGPRBlocks: 7
; NumSGPRsForWavesPerEU: 44
; NumVGPRsForWavesPerEU: 57
; Occupancy: 16
; WaveLimiterHint : 1
; COMPUTE_PGM_RSRC2:SCRATCH_EN: 0
; COMPUTE_PGM_RSRC2:USER_SGPR: 2
; COMPUTE_PGM_RSRC2:TRAP_HANDLER: 0
; COMPUTE_PGM_RSRC2:TGID_X_EN: 1
; COMPUTE_PGM_RSRC2:TGID_Y_EN: 1
; COMPUTE_PGM_RSRC2:TGID_Z_EN: 1
; COMPUTE_PGM_RSRC2:TIDIG_COMP_CNT: 0
	.section	.text._ZN4vllm32paged_attention_v2_reduce_kernelIfLi112ELi128ELi512EEEvPT_PKfS4_PKS1_PKii,"axG",@progbits,_ZN4vllm32paged_attention_v2_reduce_kernelIfLi112ELi128ELi512EEEvPT_PKfS4_PKS1_PKii,comdat
	.protected	_ZN4vllm32paged_attention_v2_reduce_kernelIfLi112ELi128ELi512EEEvPT_PKfS4_PKS1_PKii ; -- Begin function _ZN4vllm32paged_attention_v2_reduce_kernelIfLi112ELi128ELi512EEEvPT_PKfS4_PKS1_PKii
	.globl	_ZN4vllm32paged_attention_v2_reduce_kernelIfLi112ELi128ELi512EEEvPT_PKfS4_PKS1_PKii
	.p2align	8
	.type	_ZN4vllm32paged_attention_v2_reduce_kernelIfLi112ELi128ELi512EEEvPT_PKfS4_PKS1_PKii,@function
_ZN4vllm32paged_attention_v2_reduce_kernelIfLi112ELi128ELi512EEEvPT_PKfS4_PKS1_PKii: ; @_ZN4vllm32paged_attention_v2_reduce_kernelIfLi112ELi128ELi512EEEvPT_PKfS4_PKS1_PKii
; %bb.0:
	s_load_b128 s[4:7], s[0:1], 0x18
	s_mov_b32 s2, ttmp7
	s_ashr_i32 s3, ttmp7, 31
	s_add_nc_u64 s[8:9], s[0:1], 48
	s_lshl_b64 s[2:3], s[2:3], 2
	s_wait_kmcnt 0x0
	s_add_nc_u64 s[2:3], s[6:7], s[2:3]
	s_load_b32 s18, s[2:3], 0x0
	s_clause 0x2
	s_load_b64 s[6:7], s[0:1], 0x0
	s_load_b32 s14, s[0:1], 0x28
	s_load_b32 s15, s[0:1], 0x30
	s_wait_kmcnt 0x0
	s_add_co_i32 s2, s18, -1
	s_delay_alu instid0(SALU_CYCLE_1)
	s_cmp_gt_u32 s2, 0x1ff
	s_mov_b32 s2, -1
	s_cbranch_scc0 .LBB9_25
; %bb.1:
	s_add_co_i32 s2, s18, 0x1ff
	s_mul_i32 s16, s15, ttmp7
	s_ashr_i32 s3, s2, 31
	v_mov_b32_e32 v3, 0xff7fffff
	s_lshr_b32 s3, s3, 23
	s_mul_i32 s10, s16, s14
	s_add_co_i32 s2, s2, s3
	s_mul_i32 s12, s14, ttmp9
	s_ashr_i32 s17, s2, 9
	s_ashr_i32 s11, s10, 31
	v_cmp_gt_i32_e32 vcc_lo, s17, v0
	s_ashr_i32 s13, s12, 31
	s_and_saveexec_b32 s3, vcc_lo
	s_cbranch_execz .LBB9_5
; %bb.2:
	s_load_b64 s[20:21], s[0:1], 0x10
	s_load_b32 s2, s[8:9], 0xc
	s_lshl_b64 s[22:23], s[10:11], 2
	s_lshl_b64 s[24:25], s[12:13], 2
	v_lshlrev_b32_e32 v1, 2, v0
	s_add_nc_u64 s[22:23], s[22:23], s[24:25]
	v_mov_b32_e32 v3, 0xff7fffff
	s_delay_alu instid0(VALU_DEP_2) | instskip(SKIP_2) | instid1(SALU_CYCLE_1)
	v_dual_mov_b32 v5, v0 :: v_dual_add_nc_u32 v4, 32, v1
	s_wait_kmcnt 0x0
	s_add_nc_u64 s[20:21], s[20:21], s[22:23]
	v_add_co_u32 v1, s19, s20, v1
	s_delay_alu instid0(VALU_DEP_1)
	v_add_co_ci_u32_e64 v2, null, s21, 0, s19
	s_and_b32 s20, s2, 0xffff
	s_mov_b32 s19, 0
	s_wait_alu 0xfffe
	s_lshl_b32 s21, s20, 2
.LBB9_3:                                ; =>This Inner Loop Header: Depth=1
	global_load_b32 v6, v[1:2], off
	v_add_nc_u32_e32 v5, s20, v5
	v_max_num_f32_e32 v3, v3, v3
	s_wait_alu 0xfffe
	v_add_co_u32 v1, s2, v1, s21
	s_wait_alu 0xf1ff
	v_add_co_ci_u32_e64 v2, null, 0, v2, s2
	v_cmp_le_i32_e64 s2, s17, v5
	s_or_b32 s19, s2, s19
	s_wait_loadcnt 0x0
	v_max_num_f32_e32 v7, v6, v6
	ds_store_b32 v4, v6
	v_dual_max_num_f32 v3, v3, v7 :: v_dual_add_nc_u32 v4, s21, v4
	s_wait_alu 0xfffe
	s_and_not1_b32 exec_lo, exec_lo, s19
	s_cbranch_execnz .LBB9_3
; %bb.4:
	s_or_b32 exec_lo, exec_lo, s19
.LBB9_5:
	s_delay_alu instid0(SALU_CYCLE_1)
	s_or_b32 exec_lo, exec_lo, s3
	v_mbcnt_lo_u32_b32 v1, -1, 0
	s_load_b64 s[2:3], s[0:1], 0x8
	s_wait_dscnt 0x0
	s_barrier_signal -1
	s_barrier_wait -1
	v_xor_b32_e32 v2, 16, v1
	v_xor_b32_e32 v4, 8, v1
	global_inv scope:SCOPE_SE
	v_cmp_gt_i32_e64 s0, 32, v2
	s_delay_alu instid0(VALU_DEP_1) | instskip(SKIP_1) | instid1(VALU_DEP_2)
	v_cndmask_b32_e64 v2, v1, v2, s0
	v_cmp_gt_i32_e64 s0, 32, v4
	v_lshlrev_b32_e32 v5, 2, v2
	s_wait_alu 0xf1ff
	s_delay_alu instid0(VALU_DEP_2) | instskip(SKIP_4) | instid1(VALU_DEP_2)
	v_cndmask_b32_e64 v4, v1, v4, s0
	ds_bpermute_b32 v2, v5, v3
	v_lshlrev_b32_e32 v6, 2, v4
	v_xor_b32_e32 v4, 4, v1
	v_max_num_f32_e32 v3, v3, v3
	v_cmp_gt_i32_e64 s0, 32, v4
	s_wait_alu 0xf1ff
	s_delay_alu instid0(VALU_DEP_1) | instskip(NEXT) | instid1(VALU_DEP_1)
	v_cndmask_b32_e64 v4, v1, v4, s0
	v_lshlrev_b32_e32 v7, 2, v4
	v_xor_b32_e32 v4, 2, v1
	s_wait_dscnt 0x0
	v_max_num_f32_e32 v2, v2, v2
	s_delay_alu instid0(VALU_DEP_2) | instskip(NEXT) | instid1(VALU_DEP_2)
	v_cmp_gt_i32_e64 s0, 32, v4
	v_max_num_f32_e32 v2, v3, v2
	s_wait_alu 0xf1ff
	s_delay_alu instid0(VALU_DEP_2) | instskip(SKIP_3) | instid1(VALU_DEP_1)
	v_cndmask_b32_e64 v4, v1, v4, s0
	ds_bpermute_b32 v3, v6, v2
	s_wait_dscnt 0x0
	v_max_num_f32_e32 v3, v3, v3
	v_max_num_f32_e32 v2, v2, v3
	ds_bpermute_b32 v3, v7, v2
	s_wait_dscnt 0x0
	v_dual_max_num_f32 v8, v3, v3 :: v_dual_lshlrev_b32 v3, 2, v4
	s_delay_alu instid0(VALU_DEP_1) | instskip(SKIP_4) | instid1(VALU_DEP_1)
	v_max_num_f32_e32 v2, v2, v8
	v_xor_b32_e32 v8, 1, v1
	ds_bpermute_b32 v4, v3, v2
	v_cmp_gt_i32_e64 s0, 32, v8
	s_wait_alu 0xf1ff
	v_cndmask_b32_e64 v1, v1, v8, s0
	v_lshrrev_b32_e32 v8, 5, v0
	s_delay_alu instid0(VALU_DEP_1) | instskip(SKIP_2) | instid1(VALU_DEP_1)
	v_lshlrev_b32_e32 v8, 2, v8
	s_wait_dscnt 0x0
	v_max_num_f32_e32 v4, v4, v4
	v_max_num_f32_e32 v2, v2, v4
	v_lshlrev_b32_e32 v4, 2, v1
	v_and_b32_e32 v1, 31, v0
	ds_bpermute_b32 v9, v4, v2
	v_cmp_eq_u32_e64 s0, 0, v1
	s_and_saveexec_b32 s1, s0
	s_cbranch_execz .LBB9_7
; %bb.6:
	s_wait_dscnt 0x0
	v_dual_max_num_f32 v9, v9, v9 :: v_dual_max_num_f32 v2, v2, v2
	s_delay_alu instid0(VALU_DEP_1)
	v_max_num_f32_e32 v2, v2, v9
	ds_store_b32 v8, v2
.LBB9_7:
	s_wait_alu 0xfffe
	s_or_b32 exec_lo, exec_lo, s1
	v_cmp_gt_u32_e64 s1, 4, v1
	s_wait_dscnt 0x0
	v_dual_mov_b32 v2, 0xff7fffff :: v_dual_lshlrev_b32 v9, 2, v1
	s_wait_loadcnt 0x0
	s_barrier_signal -1
	s_barrier_wait -1
	global_inv scope:SCOPE_SE
	s_and_saveexec_b32 s19, s1
; %bb.8:
	ds_load_b32 v2, v9
; %bb.9:
	s_wait_alu 0xfffe
	s_or_b32 exec_lo, exec_lo, s19
	s_wait_dscnt 0x0
	ds_bpermute_b32 v1, v3, v2
	v_max_num_f32_e32 v2, v2, v2
	s_lshl_b32 s19, s17, 2
	s_wait_dscnt 0x0
	v_dual_mov_b32 v10, 0 :: v_dual_max_num_f32 v1, v1, v1
	s_delay_alu instid0(VALU_DEP_1) | instskip(SKIP_3) | instid1(VALU_DEP_1)
	v_max_num_f32_e32 v1, v2, v1
	ds_bpermute_b32 v2, v4, v1
	s_wait_dscnt 0x0
	v_max_num_f32_e32 v2, v2, v2
	v_max_num_f32_e32 v1, v1, v2
	ds_bpermute_b32 v11, v10, v1
	s_and_saveexec_b32 s20, vcc_lo
	s_cbranch_execz .LBB9_13
; %bb.10:
	s_load_b32 s21, s[8:9], 0xc
	s_lshl_b64 s[22:23], s[10:11], 2
	s_lshl_b64 s[24:25], s[12:13], 2
	v_dual_mov_b32 v13, v0 :: v_dual_lshlrev_b32 v12, 2, v0
	s_add_nc_u64 s[22:23], s[22:23], s[24:25]
	v_mov_b32_e32 v10, 0
	s_wait_kmcnt 0x0
	s_add_nc_u64 s[2:3], s[2:3], s[22:23]
	s_wait_alu 0xfffe
	v_add_co_u32 v1, s2, s2, v12
	s_wait_alu 0xf1ff
	v_add_co_ci_u32_e64 v2, null, s3, 0, s2
	v_add_nc_u32_e32 v12, 32, v12
	s_mov_b32 s3, 0
	s_and_b32 s11, s21, 0xffff
	s_delay_alu instid0(SALU_CYCLE_1)
	s_lshl_b32 s13, s11, 2
.LBB9_11:                               ; =>This Inner Loop Header: Depth=1
	global_load_b32 v14, v[1:2], off
	ds_load_b32 v15, v12
	s_wait_dscnt 0x0
	v_sub_f32_e32 v15, v15, v11
	s_delay_alu instid0(VALU_DEP_1) | instskip(NEXT) | instid1(VALU_DEP_1)
	v_mul_f32_e32 v16, 0x3fb8aa3b, v15
	v_fma_f32 v17, 0x3fb8aa3b, v15, -v16
	v_rndne_f32_e32 v18, v16
	s_delay_alu instid0(VALU_DEP_1) | instskip(SKIP_1) | instid1(VALU_DEP_4)
	v_sub_f32_e32 v16, v16, v18
	v_cmp_ngt_f32_e32 vcc_lo, 0xc2ce8ed0, v15
	v_fmac_f32_e32 v17, 0x32a5705f, v15
	v_cmp_nlt_f32_e64 s2, 0x42b17218, v15
	s_delay_alu instid0(VALU_DEP_2) | instskip(SKIP_1) | instid1(VALU_DEP_2)
	v_add_f32_e32 v16, v16, v17
	v_cvt_i32_f32_e32 v17, v18
	v_exp_f32_e32 v16, v16
	s_delay_alu instid0(TRANS32_DEP_1) | instskip(SKIP_3) | instid1(VALU_DEP_3)
	v_ldexp_f32 v16, v16, v17
	v_add_nc_u32_e32 v17, s19, v12
	v_add_nc_u32_e32 v12, s13, v12
	s_wait_alu 0xfffd
	v_cndmask_b32_e32 v16, 0, v16, vcc_lo
	v_add_co_u32 v1, vcc_lo, v1, s13
	s_wait_alu 0xfffd
	v_add_co_ci_u32_e64 v2, null, 0, v2, vcc_lo
	s_wait_alu 0xf1ff
	v_cndmask_b32_e64 v15, 0x7f800000, v16, s2
	s_wait_loadcnt 0x0
	s_delay_alu instid0(VALU_DEP_1) | instskip(NEXT) | instid1(VALU_DEP_1)
	v_dual_mul_f32 v16, v14, v15 :: v_dual_add_nc_u32 v13, s11, v13
	v_cmp_le_i32_e32 vcc_lo, s17, v13
	v_fmac_f32_e32 v10, v14, v15
	ds_store_b32 v17, v16
	s_wait_alu 0xfffe
	s_or_b32 s3, vcc_lo, s3
	s_wait_alu 0xfffe
	s_and_not1_b32 exec_lo, exec_lo, s3
	s_cbranch_execnz .LBB9_11
; %bb.12:
	s_or_b32 exec_lo, exec_lo, s3
.LBB9_13:
	s_wait_alu 0xfffe
	s_or_b32 exec_lo, exec_lo, s20
	ds_bpermute_b32 v1, v5, v10
	s_wait_loadcnt_dscnt 0x0
	s_barrier_signal -1
	s_barrier_wait -1
	global_inv scope:SCOPE_SE
	v_add_f32_e32 v1, v10, v1
	ds_bpermute_b32 v2, v6, v1
	s_wait_dscnt 0x0
	v_add_f32_e32 v1, v1, v2
	ds_bpermute_b32 v2, v7, v1
	s_wait_dscnt 0x0
	;; [unrolled: 3-line block ×4, first 2 shown]
	v_add_f32_e32 v1, v1, v2
	s_wait_kmcnt 0x0
	s_and_saveexec_b32 s2, s0
; %bb.14:
	ds_store_b32 v8, v1 offset:16
; %bb.15:
	s_wait_alu 0xfffe
	s_or_b32 exec_lo, exec_lo, s2
	s_wait_loadcnt_dscnt 0x0
	s_barrier_signal -1
	s_barrier_wait -1
	global_inv scope:SCOPE_SE
	s_and_saveexec_b32 s0, s1
; %bb.16:
	ds_load_b32 v1, v9 offset:16
; %bb.17:
	s_wait_alu 0xfffe
	s_or_b32 exec_lo, exec_lo, s0
	s_wait_dscnt 0x0
	ds_bpermute_b32 v2, v3, v1
	s_mov_b32 s0, exec_lo
	s_wait_dscnt 0x0
	v_add_f32_e32 v1, v1, v2
	ds_bpermute_b32 v2, v4, v1
	s_wait_dscnt 0x0
	v_dual_add_f32 v1, v1, v2 :: v_dual_mov_b32 v2, 0
	ds_bpermute_b32 v2, v2, v1
	v_cmpx_gt_u32_e32 0x70, v0
	s_cbranch_execz .LBB9_24
; %bb.18:
	s_cmp_gt_i32 s18, 0
	s_mov_b32 s1, 0
	s_cbranch_scc1 .LBB9_20
; %bb.19:
	v_dual_mov_b32 v1, 0 :: v_dual_mov_b32 v4, 0
	s_wait_alu 0xfffe
	s_and_not1_b32 vcc_lo, exec_lo, s1
	s_wait_alu 0xfffe
	s_cbranch_vccz .LBB9_21
	s_branch .LBB9_23
.LBB9_20:
	v_mov_b32_e32 v4, 0
.LBB9_21:
	s_wait_dscnt 0x0
	v_add_f32_e32 v4, 0x358637bd, v2
	s_mul_i32 s2, s10, 0x70
	s_mul_i32 s10, s12, 0x70
	s_wait_alu 0xfffe
	s_ashr_i32 s3, s2, 31
	s_ashr_i32 s11, s10, 31
	v_div_scale_f32 v2, null, v4, v4, 1.0
	s_wait_alu 0xfffe
	s_lshl_b64 s[2:3], s[2:3], 2
	s_lshl_b64 s[10:11], s[10:11], 2
	s_wait_alu 0xfffe
	s_add_nc_u64 s[2:3], s[2:3], s[10:11]
	v_rcp_f32_e32 v3, v2
	s_wait_alu 0xfffe
	s_add_nc_u64 s[2:3], s[4:5], s[2:3]
	s_delay_alu instid0(TRANS32_DEP_1) | instskip(NEXT) | instid1(VALU_DEP_1)
	v_fma_f32 v1, -v2, v3, 1.0
	v_fmac_f32_e32 v3, v1, v3
	v_div_scale_f32 v5, vcc_lo, 1.0, v4, 1.0
	s_delay_alu instid0(VALU_DEP_1) | instskip(NEXT) | instid1(VALU_DEP_1)
	v_mul_f32_e32 v6, v5, v3
	v_fma_f32 v1, -v2, v6, v5
	s_delay_alu instid0(VALU_DEP_1) | instskip(NEXT) | instid1(VALU_DEP_1)
	v_dual_fmac_f32 v6, v1, v3 :: v_dual_mov_b32 v1, 0
	v_fma_f32 v2, -v2, v6, v5
	v_lshlrev_b32_e32 v5, 2, v0
	s_wait_alu 0xfffd
	s_delay_alu instid0(VALU_DEP_2) | instskip(SKIP_1) | instid1(VALU_DEP_2)
	v_div_fmas_f32 v6, v2, v3, v6
	s_wait_alu 0xfffe
	v_add_co_u32 v2, s1, s2, v5
	s_wait_alu 0xf1ff
	v_add_co_ci_u32_e64 v3, null, s3, 0, s1
	v_div_fixup_f32 v5, v6, v4, 1.0
	v_mov_b32_e32 v4, v1
	s_max_i32 s1, s17, 1
	s_add_co_i32 s2, s19, 32
.LBB9_22:                               ; =>This Inner Loop Header: Depth=1
	global_load_b32 v6, v[2:3], off
	s_wait_alu 0xfffe
	v_mov_b32_e32 v7, s2
	v_add_co_u32 v2, vcc_lo, 0x1c0, v2
	s_wait_alu 0xfffd
	v_add_co_ci_u32_e64 v3, null, 0, v3, vcc_lo
	ds_load_b32 v7, v7
	s_add_co_i32 s1, s1, -1
	s_add_co_i32 s2, s2, 4
	s_wait_alu 0xfffe
	s_cmp_eq_u32 s1, 0
	s_wait_loadcnt_dscnt 0x0
	v_mul_f32_e32 v6, v6, v7
	s_delay_alu instid0(VALU_DEP_1)
	v_fmac_f32_e32 v4, v5, v6
	s_cbranch_scc0 .LBB9_22
.LBB9_23:
	s_mul_i32 s2, s16, 0x70
	s_mul_i32 s10, ttmp9, 0x70
	s_wait_alu 0xfffe
	s_ashr_i32 s3, s2, 31
	s_ashr_i32 s11, s10, 31
	s_wait_alu 0xfffe
	s_lshl_b64 s[2:3], s[2:3], 2
	s_wait_dscnt 0x0
	v_lshlrev_b64_e32 v[1:2], 2, v[0:1]
	s_lshl_b64 s[10:11], s[10:11], 2
	s_wait_alu 0xfffe
	s_add_nc_u64 s[2:3], s[6:7], s[2:3]
	s_wait_alu 0xfffe
	s_add_nc_u64 s[2:3], s[2:3], s[10:11]
	s_wait_alu 0xfffe
	v_add_co_u32 v1, vcc_lo, s2, v1
	s_wait_alu 0xfffd
	v_add_co_ci_u32_e64 v2, null, s3, v2, vcc_lo
	global_store_b32 v[1:2], v4, off
.LBB9_24:
	s_wait_alu 0xfffe
	s_or_b32 exec_lo, exec_lo, s0
	s_mov_b32 s2, 0
.LBB9_25:
	s_wait_alu 0xfffe
	s_and_b32 vcc_lo, exec_lo, s2
	s_wait_alu 0xfffe
	s_cbranch_vccz .LBB9_29
; %bb.26:
	s_mov_b32 s0, exec_lo
	v_cmpx_gt_u32_e32 0x70, v0
	s_cbranch_execz .LBB9_29
; %bb.27:
	s_load_b32 s10, s[8:9], 0xc
	s_mul_i32 s0, s15, ttmp7
	s_wait_alu 0xfffe
	s_mul_i32 s2, ttmp9, 0x70
	s_mulk_i32 s0, 0x70
	s_wait_alu 0xfffe
	s_ashr_i32 s3, s2, 31
	s_ashr_i32 s1, s0, 31
	s_wait_dscnt 0x0
	v_dual_mov_b32 v2, 0 :: v_dual_lshlrev_b32 v1, 2, v0
	s_wait_alu 0xfffe
	s_lshl_b64 s[8:9], s[0:1], 2
	s_mul_i32 s0, s0, s14
	s_add_nc_u64 s[6:7], s[6:7], s[8:9]
	s_lshl_b64 s[8:9], s[2:3], 2
	s_wait_alu 0xfffe
	s_ashr_i32 s1, s0, 31
	s_mul_i32 s2, s2, s14
	s_wait_alu 0xfffe
	s_lshl_b64 s[0:1], s[0:1], 2
	s_ashr_i32 s3, s2, 31
	s_wait_alu 0xfffe
	s_add_nc_u64 s[0:1], s[4:5], s[0:1]
	s_lshl_b64 s[4:5], s[2:3], 2
	s_add_nc_u64 s[2:3], s[6:7], s[8:9]
	s_wait_alu 0xfffe
	s_add_nc_u64 s[4:5], s[0:1], s[4:5]
	s_wait_kmcnt 0x0
	s_and_b32 s1, s10, 0xffff
	s_mov_b32 s6, 0
	s_wait_alu 0xfffe
	s_lshl_b32 s7, s1, 2
.LBB9_28:                               ; =>This Inner Loop Header: Depth=1
	v_add_co_u32 v3, vcc_lo, s4, v1
	s_wait_alu 0xfffd
	v_add_co_ci_u32_e64 v4, null, s5, v2, vcc_lo
	v_add_nc_u32_e32 v0, s1, v0
	global_load_b32 v5, v[3:4], off
	v_add_co_u32 v3, vcc_lo, s2, v1
	s_wait_alu 0xfffd
	v_add_co_ci_u32_e64 v4, null, s3, v2, vcc_lo
	v_cmp_lt_u32_e32 vcc_lo, 0x6f, v0
	v_add_co_u32 v1, s0, v1, s7
	s_wait_alu 0xf1ff
	v_add_co_ci_u32_e64 v2, null, 0, v2, s0
	s_or_b32 s6, vcc_lo, s6
	s_wait_loadcnt 0x0
	global_store_b32 v[3:4], v5, off
	s_wait_alu 0xfffe
	s_and_not1_b32 exec_lo, exec_lo, s6
	s_cbranch_execnz .LBB9_28
.LBB9_29:
	s_endpgm
	.section	.rodata,"a",@progbits
	.p2align	6, 0x0
	.amdhsa_kernel _ZN4vllm32paged_attention_v2_reduce_kernelIfLi112ELi128ELi512EEEvPT_PKfS4_PKS1_PKii
		.amdhsa_group_segment_fixed_size 32
		.amdhsa_private_segment_fixed_size 0
		.amdhsa_kernarg_size 304
		.amdhsa_user_sgpr_count 2
		.amdhsa_user_sgpr_dispatch_ptr 0
		.amdhsa_user_sgpr_queue_ptr 0
		.amdhsa_user_sgpr_kernarg_segment_ptr 1
		.amdhsa_user_sgpr_dispatch_id 0
		.amdhsa_user_sgpr_private_segment_size 0
		.amdhsa_wavefront_size32 1
		.amdhsa_uses_dynamic_stack 0
		.amdhsa_enable_private_segment 0
		.amdhsa_system_sgpr_workgroup_id_x 1
		.amdhsa_system_sgpr_workgroup_id_y 1
		.amdhsa_system_sgpr_workgroup_id_z 0
		.amdhsa_system_sgpr_workgroup_info 0
		.amdhsa_system_vgpr_workitem_id 0
		.amdhsa_next_free_vgpr 19
		.amdhsa_next_free_sgpr 26
		.amdhsa_reserve_vcc 1
		.amdhsa_float_round_mode_32 0
		.amdhsa_float_round_mode_16_64 0
		.amdhsa_float_denorm_mode_32 3
		.amdhsa_float_denorm_mode_16_64 3
		.amdhsa_fp16_overflow 0
		.amdhsa_workgroup_processor_mode 1
		.amdhsa_memory_ordered 1
		.amdhsa_forward_progress 1
		.amdhsa_inst_pref_size 17
		.amdhsa_round_robin_scheduling 0
		.amdhsa_exception_fp_ieee_invalid_op 0
		.amdhsa_exception_fp_denorm_src 0
		.amdhsa_exception_fp_ieee_div_zero 0
		.amdhsa_exception_fp_ieee_overflow 0
		.amdhsa_exception_fp_ieee_underflow 0
		.amdhsa_exception_fp_ieee_inexact 0
		.amdhsa_exception_int_div_zero 0
	.end_amdhsa_kernel
	.section	.text._ZN4vllm32paged_attention_v2_reduce_kernelIfLi112ELi128ELi512EEEvPT_PKfS4_PKS1_PKii,"axG",@progbits,_ZN4vllm32paged_attention_v2_reduce_kernelIfLi112ELi128ELi512EEEvPT_PKfS4_PKS1_PKii,comdat
.Lfunc_end9:
	.size	_ZN4vllm32paged_attention_v2_reduce_kernelIfLi112ELi128ELi512EEEvPT_PKfS4_PKS1_PKii, .Lfunc_end9-_ZN4vllm32paged_attention_v2_reduce_kernelIfLi112ELi128ELi512EEEvPT_PKfS4_PKS1_PKii
                                        ; -- End function
	.set _ZN4vllm32paged_attention_v2_reduce_kernelIfLi112ELi128ELi512EEEvPT_PKfS4_PKS1_PKii.num_vgpr, 19
	.set _ZN4vllm32paged_attention_v2_reduce_kernelIfLi112ELi128ELi512EEEvPT_PKfS4_PKS1_PKii.num_agpr, 0
	.set _ZN4vllm32paged_attention_v2_reduce_kernelIfLi112ELi128ELi512EEEvPT_PKfS4_PKS1_PKii.numbered_sgpr, 26
	.set _ZN4vllm32paged_attention_v2_reduce_kernelIfLi112ELi128ELi512EEEvPT_PKfS4_PKS1_PKii.num_named_barrier, 0
	.set _ZN4vllm32paged_attention_v2_reduce_kernelIfLi112ELi128ELi512EEEvPT_PKfS4_PKS1_PKii.private_seg_size, 0
	.set _ZN4vllm32paged_attention_v2_reduce_kernelIfLi112ELi128ELi512EEEvPT_PKfS4_PKS1_PKii.uses_vcc, 1
	.set _ZN4vllm32paged_attention_v2_reduce_kernelIfLi112ELi128ELi512EEEvPT_PKfS4_PKS1_PKii.uses_flat_scratch, 0
	.set _ZN4vllm32paged_attention_v2_reduce_kernelIfLi112ELi128ELi512EEEvPT_PKfS4_PKS1_PKii.has_dyn_sized_stack, 0
	.set _ZN4vllm32paged_attention_v2_reduce_kernelIfLi112ELi128ELi512EEEvPT_PKfS4_PKS1_PKii.has_recursion, 0
	.set _ZN4vllm32paged_attention_v2_reduce_kernelIfLi112ELi128ELi512EEEvPT_PKfS4_PKS1_PKii.has_indirect_call, 0
	.section	.AMDGPU.csdata,"",@progbits
; Kernel info:
; codeLenInByte = 2168
; TotalNumSgprs: 28
; NumVgprs: 19
; ScratchSize: 0
; MemoryBound: 0
; FloatMode: 240
; IeeeMode: 1
; LDSByteSize: 32 bytes/workgroup (compile time only)
; SGPRBlocks: 0
; VGPRBlocks: 2
; NumSGPRsForWavesPerEU: 28
; NumVGPRsForWavesPerEU: 19
; Occupancy: 16
; WaveLimiterHint : 0
; COMPUTE_PGM_RSRC2:SCRATCH_EN: 0
; COMPUTE_PGM_RSRC2:USER_SGPR: 2
; COMPUTE_PGM_RSRC2:TRAP_HANDLER: 0
; COMPUTE_PGM_RSRC2:TGID_X_EN: 1
; COMPUTE_PGM_RSRC2:TGID_Y_EN: 1
; COMPUTE_PGM_RSRC2:TGID_Z_EN: 0
; COMPUTE_PGM_RSRC2:TIDIG_COMP_CNT: 0
	.section	.text._ZN4vllm25paged_attention_v2_kernelIffLi120ELi8ELi128ELNS_18Fp8KVCacheDataTypeE0ELb1ELi512EEEvPfS2_PT_PKS3_PKT0_S9_ifPKiSB_iPKfiiiSD_SD_iiiii,"axG",@progbits,_ZN4vllm25paged_attention_v2_kernelIffLi120ELi8ELi128ELNS_18Fp8KVCacheDataTypeE0ELb1ELi512EEEvPfS2_PT_PKS3_PKT0_S9_ifPKiSB_iPKfiiiSD_SD_iiiii,comdat
	.protected	_ZN4vllm25paged_attention_v2_kernelIffLi120ELi8ELi128ELNS_18Fp8KVCacheDataTypeE0ELb1ELi512EEEvPfS2_PT_PKS3_PKT0_S9_ifPKiSB_iPKfiiiSD_SD_iiiii ; -- Begin function _ZN4vllm25paged_attention_v2_kernelIffLi120ELi8ELi128ELNS_18Fp8KVCacheDataTypeE0ELb1ELi512EEEvPfS2_PT_PKS3_PKT0_S9_ifPKiSB_iPKfiiiSD_SD_iiiii
	.globl	_ZN4vllm25paged_attention_v2_kernelIffLi120ELi8ELi128ELNS_18Fp8KVCacheDataTypeE0ELb1ELi512EEEvPfS2_PT_PKS3_PKT0_S9_ifPKiSB_iPKfiiiSD_SD_iiiii
	.p2align	8
	.type	_ZN4vllm25paged_attention_v2_kernelIffLi120ELi8ELi128ELNS_18Fp8KVCacheDataTypeE0ELb1ELi512EEEvPfS2_PT_PKS3_PKT0_S9_ifPKiSB_iPKfiiiSD_SD_iiiii,@function
_ZN4vllm25paged_attention_v2_kernelIffLi120ELi8ELi128ELNS_18Fp8KVCacheDataTypeE0ELb1ELi512EEEvPfS2_PT_PKS3_PKT0_S9_ifPKiSB_iPKfiiiSD_SD_iiiii: ; @_ZN4vllm25paged_attention_v2_kernelIffLi120ELi8ELi128ELNS_18Fp8KVCacheDataTypeE0ELb1ELi512EEEvPfS2_PT_PKS3_PKT0_S9_ifPKiSB_iPKfiiiSD_SD_iiiii
; %bb.0:
	s_load_b64 s[2:3], s[0:1], 0x40
	s_and_b32 s20, ttmp7, 0xffff
	s_lshr_b32 s30, ttmp7, 16
	s_lshl_b32 s4, s20, 2
	s_lshl_b32 s33, s30, 9
	s_wait_kmcnt 0x0
	s_load_b32 s31, s[2:3], s4 offset:0x0
	s_wait_kmcnt 0x0
	s_cmp_ge_i32 s33, s31
	s_cbranch_scc1 .LBB10_103
; %bb.1:
	s_clause 0x1
	s_load_b32 s21, s[0:1], 0x90
	s_load_b64 s[6:7], s[0:1], 0x30
	s_wait_kmcnt 0x0
	s_abs_i32 s5, s21
	s_abs_i32 s2, s6
	s_delay_alu instid0(SALU_CYCLE_1) | instskip(SKIP_1) | instid1(SALU_CYCLE_2)
	s_cvt_f32_u32 s3, s2
	s_sub_co_i32 s4, 0, s2
	v_rcp_iflag_f32_e32 v1, s3
	s_delay_alu instid0(TRANS32_DEP_1) | instskip(SKIP_2) | instid1(SALU_CYCLE_2)
	v_readfirstlane_b32 s3, v1
	s_mul_f32 s3, s3, 0x4f7ffffe
	s_wait_alu 0xfffe
	s_cvt_u32_f32 s3, s3
	s_wait_alu 0xfffe
	s_delay_alu instid0(SALU_CYCLE_2) | instskip(NEXT) | instid1(SALU_CYCLE_1)
	s_mul_i32 s4, s4, s3
	s_mul_hi_u32 s4, s3, s4
	s_delay_alu instid0(SALU_CYCLE_1)
	s_add_co_i32 s3, s3, s4
	s_xor_b32 s4, s21, s6
	s_wait_alu 0xfffe
	s_mul_hi_u32 s3, s5, s3
	s_ashr_i32 s4, s4, 31
	s_wait_alu 0xfffe
	s_mul_i32 s8, s3, s2
	s_delay_alu instid0(SALU_CYCLE_1)
	s_sub_co_i32 s5, s5, s8
	s_add_co_i32 s8, s3, 1
	s_sub_co_i32 s9, s5, s2
	s_cmp_ge_u32 s5, s2
	s_cselect_b32 s3, s8, s3
	s_cselect_b32 s5, s9, s5
	s_wait_alu 0xfffe
	s_add_co_i32 s8, s3, 1
	s_cmp_ge_u32 s5, s2
	s_cselect_b32 s2, s8, s3
	s_load_b64 s[8:9], s[0:1], 0x50
	s_xor_b32 s2, s2, s4
	s_mov_b32 s3, 0
	s_wait_alu 0xfffe
	s_sub_co_i32 s10, s2, s4
	s_mov_b32 s15, s3
	s_abs_i32 s18, s10
	s_delay_alu instid0(SALU_CYCLE_1) | instskip(SKIP_1) | instid1(SALU_CYCLE_2)
	s_cvt_f32_u32 s2, s18
	s_wait_alu 0xfffe
	v_rcp_iflag_f32_e32 v1, s2
	s_delay_alu instid0(TRANS32_DEP_1) | instskip(SKIP_2) | instid1(SALU_CYCLE_2)
	v_readfirstlane_b32 s2, v1
	s_mul_f32 s2, s2, 0x4f7ffffe
	s_wait_alu 0xfffe
	s_cvt_u32_f32 s4, s2
	s_sub_co_i32 s2, 0, s18
	s_wait_alu 0xfffe
	s_delay_alu instid0(SALU_CYCLE_1)
	s_mul_i32 s2, s2, s4
	s_wait_alu 0xfffe
	s_mul_hi_u32 s5, s4, s2
	s_abs_i32 s2, ttmp9
	s_add_co_i32 s4, s4, s5
	s_mov_b32 s5, s3
	s_wait_kmcnt 0x0
	s_cmp_eq_u64 s[8:9], 0
	s_cbranch_scc1 .LBB10_3
; %bb.2:
	s_mov_b32 s12, ttmp9
	s_ashr_i32 s13, ttmp9, 31
	s_delay_alu instid0(SALU_CYCLE_1) | instskip(NEXT) | instid1(SALU_CYCLE_1)
	s_lshl_b64 s[12:13], s[12:13], 2
	s_add_nc_u64 s[8:9], s[8:9], s[12:13]
	s_load_b32 s15, s[8:9], 0x0
.LBB10_3:
	s_load_b96 s[12:14], s[0:1], 0x58
	v_and_b32_e32 v1, 3, v0
	v_lshlrev_b32_e32 v3, 2, v0
	s_mul_u64 s[4:5], s[2:3], s[4:5]
	s_ashr_i32 s3, ttmp9, 31
	s_ashr_i32 s4, s10, 31
	s_mul_i32 s16, ttmp9, 0x78
	s_mov_b32 s8, exec_lo
	v_cmpx_gt_u32_e32 0x78, v0
	s_cbranch_execz .LBB10_5
; %bb.4:
	s_load_b64 s[10:11], s[0:1], 0x18
	s_wait_kmcnt 0x0
	s_mul_i32 s22, s12, s20
	s_ashr_i32 s17, s16, 31
	s_ashr_i32 s23, s22, 31
	v_and_b32_e32 v4, 0x3fc, v0
	s_lshl_b64 s[22:23], s[22:23], 2
	s_delay_alu instid0(VALU_DEP_1) | instskip(SKIP_2) | instid1(SALU_CYCLE_1)
	v_mad_u32_u24 v4, 0x78, v1, v4
	s_add_nc_u64 s[10:11], s[10:11], s[22:23]
	s_lshl_b64 s[22:23], s[16:17], 2
	s_add_nc_u64 s[10:11], s[10:11], s[22:23]
	global_load_b32 v2, v3, s[10:11]
	s_wait_loadcnt 0x0
	ds_store_b32 v4, v2
.LBB10_5:
	s_or_b32 exec_lo, exec_lo, s8
	s_clause 0x1
	s_load_b128 s[8:11], s[0:1], 0x78
	s_load_b32 s22, s[0:1], 0x88
	s_wait_kmcnt 0x0
	s_mul_i32 s12, s5, s18
	s_xor_b32 s3, s3, s4
	s_sub_co_i32 s2, s2, s12
	s_add_co_i32 s4, s5, 1
	s_wait_alu 0xfffe
	s_sub_co_i32 s12, s2, s18
	s_cmp_ge_u32 s2, s18
	s_mov_b32 s24, -1
	s_cselect_b32 s4, s4, s5
	s_cselect_b32 s2, s12, s2
	s_add_co_i32 s5, s4, 1
	s_wait_alu 0xfffe
	s_cmp_ge_u32 s2, s18
	s_wait_dscnt 0x0
	s_cselect_b32 s2, s5, s4
	s_add_co_i32 s23, s31, -1
	s_wait_alu 0xfffe
	s_xor_b32 s2, s2, s3
	s_barrier_signal -1
	s_wait_alu 0xfffe
	s_sub_co_i32 s26, s2, s3
	s_barrier_wait -1
	s_abs_i32 s12, s11
	global_inv scope:SCOPE_SE
	s_cvt_f32_u32 s4, s12
                                        ; implicit-def: $sgpr17
	s_delay_alu instid0(SALU_CYCLE_3) | instskip(NEXT) | instid1(TRANS32_DEP_1)
	v_rcp_iflag_f32_e32 v2, s4
	v_readfirstlane_b32 s4, v2
	s_mul_f32 s2, s4, 0x4f7ffffe
	s_wait_alu 0xfffe
	s_delay_alu instid0(SALU_CYCLE_2) | instskip(SKIP_2) | instid1(SALU_CYCLE_1)
	s_cvt_u32_f32 s4, s2
	s_sub_co_i32 s2, 0, s12
	s_wait_alu 0xfffe
	s_mul_i32 s3, s2, s4
	s_abs_i32 s2, s23
	s_wait_alu 0xfffe
	s_mul_hi_u32 s5, s4, s3
	s_mov_b32 s3, 0
	s_wait_alu 0xfffe
	s_add_co_i32 s18, s4, s5
	s_cmp_lt_i32 s22, 0
	s_mov_b32 s19, s3
	s_cbranch_scc0 .LBB10_7
; %bb.6:
	s_mul_i32 s4, s8, s6
	s_mov_b32 s24, s3
	s_wait_alu 0xfffe
	s_add_co_i32 s4, s26, s4
	s_wait_alu 0xfffe
	s_mul_i32 s4, s4, s22
	s_wait_alu 0xfffe
	s_sub_co_i32 s17, 1, s4
.LBB10_7:
	s_mul_u64 s[4:5], s[2:3], s[18:19]
	s_ashr_i32 s3, s23, 31
	s_and_not1_b32 vcc_lo, exec_lo, s24
	s_ashr_i32 s11, s11, 31
	s_cbranch_vccnz .LBB10_9
; %bb.8:
	s_mul_i32 s4, s21, s8
	s_wait_alu 0xfffe
	s_add_co_i32 s4, s4, ttmp9
	s_wait_alu 0xfffe
	s_mul_i32 s4, s4, s22
	s_wait_alu 0xfffe
	s_add_co_i32 s17, s4, 1
.LBB10_9:
	s_clause 0x2
	s_load_b32 s4, s[0:1], 0x48
	s_load_b64 s[22:23], s[0:1], 0x38
	s_load_b32 s8, s[0:1], 0x98
	s_mul_i32 s6, s5, s12
	s_xor_b32 s3, s3, s11
	s_sub_co_i32 s2, s2, s6
	s_add_co_i32 s19, s5, 1
	v_lshrrev_b32_e32 v39, 5, v0
	v_mov_b32_e32 v6, 0xff7fffff
	v_mbcnt_lo_u32_b32 v5, -1, 0
	s_mul_i32 s26, s26, s14
	s_mov_b32 s6, exec_lo
	v_lshl_add_u32 v40, v39, 3, s33
	s_wait_kmcnt 0x0
	s_mul_i32 s24, s4, s20
	s_wait_alu 0xfffe
	s_sub_co_i32 s4, s2, s12
	s_ashr_i32 s25, s24, 31
	s_cmp_ge_u32 s2, s12
	s_cselect_b32 s5, s19, s5
	s_wait_alu 0xfffe
	s_cselect_b32 s2, s4, s2
	s_add_co_i32 s4, s5, 1
	s_wait_alu 0xfffe
	s_cmp_ge_u32 s2, s12
	s_cselect_b32 s2, s4, s5
	s_add_co_i32 s4, s31, 7
	s_lshl_b32 s36, s30, 6
	s_wait_alu 0xfffe
	s_ashr_i32 s5, s4, 31
	v_or_b32_e32 v41, s36, v39
	s_wait_alu 0xfffe
	s_lshr_b32 s5, s5, 29
	s_wait_alu 0xfffe
	s_add_co_i32 s4, s4, s5
	s_add_co_i32 s5, s36, 64
	s_wait_alu 0xfffe
	s_ashr_i32 s34, s4, 3
	s_xor_b32 s4, s2, s3
	s_min_i32 s19, s5, s34
	v_lshlrev_b32_e32 v4, 2, v41
	v_cmp_le_i32_e64 s2, s19, v41
	s_wait_alu 0xfffe
	s_sub_co_i32 s35, s4, s3
	v_cmpx_gt_i32_e64 s19, v41
	s_cbranch_execz .LBB10_21
; %bb.10:
	s_ashr_i32 s27, s26, 31
	s_sub_co_i32 s14, s35, s9
	s_lshl_b64 s[4:5], s[26:27], 2
	s_cmp_neq_f32 s15, 0
	s_load_b64 s[38:39], s[0:1], 0x20
	v_bfe_u32 v7, v0, 2, 3
	v_dual_mov_b32 v17, v41 :: v_dual_lshlrev_b32 v6, 2, v1
	s_cselect_b32 vcc_lo, -1, 0
	s_abs_i32 s27, s10
	v_mul_u32_u24_e32 v8, 0x78, v1
	s_cvt_f32_u32 s3, s27
	v_dual_mov_b32 v14, 0xff7fffff :: v_dual_lshlrev_b32 v9, 4, v7
	s_lshl_b64 s[40:41], s[24:25], 2
	s_wait_alu 0xfffe
	v_rcp_iflag_f32_e32 v2, s3
	v_cmp_eq_u32_e64 s3, 0, v1
	v_lshlrev_b32_e32 v1, 2, v7
	v_subrev_nc_u32_e32 v12, s31, v7
	s_add_nc_u64 s[40:41], s[22:23], s[40:41]
	s_sub_co_i32 s37, 0, s27
	v_lshl_add_u32 v11, v39, 3, s33
	v_lshl_or_b32 v13, v39, 5, v1
	v_add_nc_u32_e32 v12, 1, v12
	s_wait_kmcnt 0x0
	s_add_nc_u64 s[4:5], s[38:39], s[4:5]
	v_readfirstlane_b32 s29, v2
	s_wait_alu 0xfffe
	v_add_co_u32 v1, s4, s4, v9
	s_wait_alu 0xf1ff
	v_add_co_ci_u32_e64 v2, null, s5, 0, s4
	s_mul_f32 s29, s29, 0x4f7ffffe
	v_add_co_u32 v9, s4, v1, v6
	s_wait_alu 0xf1ff
	v_add_co_ci_u32_e64 v10, null, 0, v2, s4
	s_cvt_u32_f32 s5, s29
	v_add_co_u32 v1, s4, s40, v4
	s_wait_alu 0xf1ff
	v_add_co_ci_u32_e64 v2, null, s41, 0, s4
	s_wait_alu 0xfffe
	s_mul_i32 s37, s37, s5
	v_add_nc_u32_e32 v13, 0x200, v13
	v_xor_b32_e32 v15, 2, v5
	v_xor_b32_e32 v16, 1, v5
	v_mov_b32_e32 v6, 0xff7fffff
	s_wait_alu 0xfffe
	s_mul_hi_u32 s4, s5, s37
	s_mov_b32 s28, 0
	s_mov_b32 s29, s13
	s_wait_alu 0xfffe
	s_add_co_i32 s37, s5, s4
	s_branch .LBB10_13
.LBB10_11:                              ;   in Loop: Header=BB10_13 Depth=1
	s_or_b32 exec_lo, exec_lo, s38
.LBB10_12:                              ;   in Loop: Header=BB10_13 Depth=1
	s_wait_alu 0xfffe
	s_or_b32 exec_lo, exec_lo, s5
	v_add_nc_u32_e32 v17, 4, v17
	v_add_co_u32 v1, s5, v1, 16
	s_wait_alu 0xf1ff
	v_add_co_ci_u32_e64 v2, null, 0, v2, s5
	s_delay_alu instid0(VALU_DEP_3)
	v_cmp_le_i32_e64 s4, s19, v17
	v_add_nc_u32_e32 v11, 32, v11
	v_add_nc_u32_e32 v13, 0x80, v13
	s_or_b32 s28, s4, s28
	s_wait_alu 0xfffe
	s_and_not1_b32 exec_lo, exec_lo, s28
	s_cbranch_execz .LBB10_20
.LBB10_13:                              ; =>This Inner Loop Header: Depth=1
	v_sub_nc_u32_e32 v18, 0, v11
	s_delay_alu instid0(VALU_DEP_1) | instskip(SKIP_1) | instid1(VALU_DEP_1)
	v_max_i32_e32 v18, v11, v18
	s_wait_dscnt 0x0
	v_mul_hi_u32 v19, v18, s18
	s_delay_alu instid0(VALU_DEP_1) | instskip(NEXT) | instid1(VALU_DEP_1)
	v_mul_lo_u32 v20, v19, s12
	v_sub_nc_u32_e32 v18, v18, v20
	v_add_nc_u32_e32 v20, 1, v19
	s_delay_alu instid0(VALU_DEP_2) | instskip(SKIP_2) | instid1(VALU_DEP_1)
	v_subrev_nc_u32_e32 v21, s12, v18
	v_cmp_le_u32_e64 s4, s12, v18
	s_wait_alu 0xf1ff
	v_cndmask_b32_e64 v19, v19, v20, s4
	s_delay_alu instid0(VALU_DEP_3) | instskip(SKIP_1) | instid1(VALU_DEP_3)
	v_cndmask_b32_e64 v18, v18, v21, s4
	v_ashrrev_i32_e32 v20, 31, v11
	v_add_nc_u32_e32 v21, 1, v19
	s_delay_alu instid0(VALU_DEP_3) | instskip(NEXT) | instid1(VALU_DEP_3)
	v_cmp_le_u32_e64 s4, s12, v18
	v_xor_b32_e32 v20, s11, v20
	s_wait_alu 0xf1ff
	s_delay_alu instid0(VALU_DEP_2) | instskip(NEXT) | instid1(VALU_DEP_1)
	v_cndmask_b32_e64 v18, v19, v21, s4
	v_xor_b32_e32 v18, v18, v20
	s_delay_alu instid0(VALU_DEP_1) | instskip(NEXT) | instid1(VALU_DEP_1)
	v_sub_nc_u32_e32 v18, v18, v20
	v_add_nc_u32_e32 v19, s17, v18
	v_cmp_ge_i32_e64 s5, s14, v18
	s_delay_alu instid0(VALU_DEP_2) | instskip(NEXT) | instid1(VALU_DEP_1)
	v_sub_nc_u32_e32 v20, 0, v19
	v_max_i32_e32 v20, v19, v20
	v_ashrrev_i32_e32 v19, 31, v19
	s_wait_alu 0xfffe
	s_delay_alu instid0(VALU_DEP_2) | instskip(NEXT) | instid1(VALU_DEP_1)
	v_mul_hi_u32 v21, v20, s37
	v_mul_lo_u32 v21, v21, s27
	s_delay_alu instid0(VALU_DEP_1) | instskip(NEXT) | instid1(VALU_DEP_1)
	v_sub_nc_u32_e32 v20, v20, v21
	v_subrev_nc_u32_e32 v21, s27, v20
	v_cmp_le_u32_e64 s4, s27, v20
	s_wait_alu 0xf1ff
	s_delay_alu instid0(VALU_DEP_1) | instskip(NEXT) | instid1(VALU_DEP_1)
	v_cndmask_b32_e64 v20, v20, v21, s4
	v_subrev_nc_u32_e32 v21, s27, v20
	v_cmp_le_u32_e64 s4, s27, v20
	s_wait_alu 0xf1ff
	s_delay_alu instid0(VALU_DEP_1) | instskip(NEXT) | instid1(VALU_DEP_1)
	v_cndmask_b32_e64 v20, v20, v21, s4
	v_xor_b32_e32 v20, v20, v19
	s_delay_alu instid0(VALU_DEP_1) | instskip(NEXT) | instid1(VALU_DEP_1)
	v_sub_nc_u32_e32 v19, v20, v19
	v_cmp_ne_u32_e64 s4, 0, v19
	s_and_b32 s4, s4, s5
	s_wait_alu 0xfffe
	s_and_saveexec_b32 s5, s4
	s_wait_alu 0xfffe
	s_xor_b32 s4, exec_lo, s5
	s_cbranch_execz .LBB10_17
; %bb.14:                               ;   in Loop: Header=BB10_13 Depth=1
	s_and_saveexec_b32 s5, s3
; %bb.15:                               ;   in Loop: Header=BB10_13 Depth=1
	ds_store_b32 v13, v14
; %bb.16:                               ;   in Loop: Header=BB10_13 Depth=1
	s_wait_alu 0xfffe
	s_or_b32 exec_lo, exec_lo, s5
.LBB10_17:                              ;   in Loop: Header=BB10_13 Depth=1
	s_wait_alu 0xfffe
	s_and_not1_saveexec_b32 s5, s4
	s_cbranch_execz .LBB10_12
; %bb.18:                               ;   in Loop: Header=BB10_13 Depth=1
	global_load_b32 v18, v[1:2], off
	s_wait_loadcnt 0x0
	v_mad_co_i64_i32 v[18:19], null, v18, s29, 0
	s_delay_alu instid0(VALU_DEP_1) | instskip(NEXT) | instid1(VALU_DEP_1)
	v_lshlrev_b64_e32 v[18:19], 2, v[18:19]
	v_add_co_u32 v18, s4, v9, v18
	s_wait_alu 0xf1ff
	s_delay_alu instid0(VALU_DEP_2)
	v_add_co_ci_u32_e64 v19, null, v10, v19, s4
	v_cmp_gt_i32_e64 s4, 32, v15
	s_clause 0x1d
	global_load_b32 v26, v[18:19], off offset:128
	global_load_b32 v27, v[18:19], off
	global_load_b32 v28, v[18:19], off offset:256
	global_load_b32 v29, v[18:19], off offset:384
	;; [unrolled: 1-line block ×28, first 2 shown]
	ds_load_2addr_b64 v[18:21], v8 offset1:1
	ds_load_2addr_b64 v[22:25], v8 offset0:2 offset1:3
	s_wait_loadcnt_dscnt 0x1d01
	v_mul_f32_e32 v26, v19, v26
	s_wait_loadcnt 0x1c
	s_delay_alu instid0(VALU_DEP_1) | instskip(SKIP_1) | instid1(VALU_DEP_1)
	v_fmac_f32_e32 v26, v18, v27
	s_wait_loadcnt 0x1b
	v_fmac_f32_e32 v26, v20, v28
	s_wait_loadcnt 0x1a
	s_delay_alu instid0(VALU_DEP_1) | instskip(SKIP_4) | instid1(VALU_DEP_1)
	v_fmac_f32_e32 v26, v21, v29
	ds_load_2addr_b64 v[18:21], v8 offset0:4 offset1:5
	s_wait_loadcnt_dscnt 0x1901
	v_fmac_f32_e32 v26, v22, v30
	s_wait_loadcnt 0x18
	v_fmac_f32_e32 v26, v23, v31
	s_wait_loadcnt 0x17
	s_delay_alu instid0(VALU_DEP_1) | instskip(SKIP_1) | instid1(VALU_DEP_1)
	v_fmac_f32_e32 v26, v24, v32
	s_wait_loadcnt 0x16
	v_fmac_f32_e32 v26, v25, v33
	ds_load_2addr_b64 v[22:25], v8 offset0:6 offset1:7
	s_wait_loadcnt_dscnt 0x1501
	v_fmac_f32_e32 v26, v18, v34
	s_wait_loadcnt 0x14
	s_delay_alu instid0(VALU_DEP_1) | instskip(SKIP_1) | instid1(VALU_DEP_1)
	v_fmac_f32_e32 v26, v19, v35
	s_wait_loadcnt 0x13
	v_fmac_f32_e32 v26, v20, v36
	s_wait_loadcnt 0x12
	s_delay_alu instid0(VALU_DEP_1) | instskip(SKIP_4) | instid1(VALU_DEP_1)
	v_fmac_f32_e32 v26, v21, v37
	ds_load_2addr_b64 v[18:21], v8 offset0:8 offset1:9
	s_wait_loadcnt_dscnt 0x1101
	v_fmac_f32_e32 v26, v22, v38
	s_wait_loadcnt 0x10
	v_fmac_f32_e32 v26, v23, v42
	s_wait_loadcnt 0xf
	s_delay_alu instid0(VALU_DEP_1) | instskip(SKIP_1) | instid1(VALU_DEP_1)
	v_fmac_f32_e32 v26, v24, v43
	s_wait_loadcnt 0xe
	v_fmac_f32_e32 v26, v25, v44
	ds_load_2addr_b64 v[22:25], v8 offset0:10 offset1:11
	s_wait_loadcnt_dscnt 0xd01
	v_fmac_f32_e32 v26, v18, v45
	s_wait_loadcnt 0xc
	s_delay_alu instid0(VALU_DEP_1) | instskip(SKIP_1) | instid1(VALU_DEP_1)
	v_fmac_f32_e32 v26, v19, v46
	s_wait_loadcnt 0xb
	v_fmac_f32_e32 v26, v20, v47
	s_wait_loadcnt 0xa
	s_delay_alu instid0(VALU_DEP_1) | instskip(SKIP_4) | instid1(VALU_DEP_1)
	v_fmac_f32_e32 v26, v21, v48
	ds_load_2addr_b64 v[18:21], v8 offset0:12 offset1:13
	s_wait_loadcnt_dscnt 0x901
	v_fmac_f32_e32 v26, v22, v49
	s_wait_loadcnt 0x8
	v_fmac_f32_e32 v26, v23, v50
	ds_load_b64 v[22:23], v8 offset:112
	s_wait_loadcnt 0x7
	v_fmac_f32_e32 v26, v24, v51
	s_wait_loadcnt 0x6
	s_delay_alu instid0(VALU_DEP_1) | instskip(SKIP_1) | instid1(VALU_DEP_1)
	v_fmac_f32_e32 v26, v25, v52
	s_wait_loadcnt_dscnt 0x501
	v_fmac_f32_e32 v26, v18, v53
	s_wait_alu 0xf1ff
	v_cndmask_b32_e64 v18, v5, v15, s4
	v_cmp_gt_i32_e64 s4, 32, v16
	s_wait_loadcnt 0x4
	v_fmac_f32_e32 v26, v19, v54
	s_delay_alu instid0(VALU_DEP_3)
	v_lshlrev_b32_e32 v18, 2, v18
	s_wait_alu 0xf1ff
	v_cndmask_b32_e64 v19, v5, v16, s4
	s_wait_loadcnt 0x3
	v_fmac_f32_e32 v26, v20, v55
	s_wait_loadcnt 0x2
	s_delay_alu instid0(VALU_DEP_1) | instskip(SKIP_1) | instid1(VALU_DEP_1)
	v_dual_fmac_f32 v26, v21, v56 :: v_dual_lshlrev_b32 v19, 2, v19
	s_wait_loadcnt_dscnt 0x100
	v_fmac_f32_e32 v26, v22, v57
	s_wait_loadcnt 0x0
	s_delay_alu instid0(VALU_DEP_1)
	v_fmac_f32_e32 v26, v23, v58
	ds_bpermute_b32 v18, v18, v26
	s_wait_dscnt 0x0
	v_add_f32_e32 v18, v26, v18
	ds_bpermute_b32 v19, v19, v18
	s_and_saveexec_b32 s38, s3
	s_cbranch_execz .LBB10_11
; %bb.19:                               ;   in Loop: Header=BB10_13 Depth=1
	s_wait_dscnt 0x0
	v_add_f32_e32 v18, v18, v19
	v_add_nc_u32_e32 v20, v12, v11
	s_delay_alu instid0(VALU_DEP_1) | instskip(NEXT) | instid1(VALU_DEP_1)
	v_cvt_f32_i32_e32 v20, v20
	v_mul_f32_e32 v20, s15, v20
	s_delay_alu instid0(VALU_DEP_1) | instskip(NEXT) | instid1(VALU_DEP_1)
	v_dual_cndmask_b32 v19, 0, v20 :: v_dual_max_num_f32 v20, v6, v6
	v_dual_fmac_f32 v19, s7, v18 :: v_dual_add_nc_u32 v18, v7, v11
	s_delay_alu instid0(VALU_DEP_1) | instskip(NEXT) | instid1(VALU_DEP_2)
	v_max_num_f32_e32 v20, v20, v19
	v_cmp_gt_i32_e64 s4, s31, v18
	s_wait_alu 0xf1ff
	s_delay_alu instid0(VALU_DEP_1) | instskip(NEXT) | instid1(VALU_DEP_3)
	v_cndmask_b32_e64 v18, 0, v19, s4
	v_cndmask_b32_e64 v6, v6, v20, s4
	ds_store_b32 v13, v18
	s_branch .LBB10_11
.LBB10_20:
	s_or_b32 exec_lo, exec_lo, s28
.LBB10_21:
	s_delay_alu instid0(SALU_CYCLE_1)
	s_or_b32 exec_lo, exec_lo, s6
	v_xor_b32_e32 v1, 16, v5
	v_xor_b32_e32 v2, 8, v5
	s_clause 0x2
	s_load_b128 s[4:7], s[0:1], 0x0
	s_load_b64 s[14:15], s[0:1], 0x10
	s_load_b64 s[28:29], s[0:1], 0x28
	v_max_num_f32_e32 v8, v6, v6
	v_cmp_gt_i32_e32 vcc_lo, 32, v1
	s_wait_alu 0xfffd
	v_cndmask_b32_e32 v1, v5, v1, vcc_lo
	v_cmp_gt_i32_e32 vcc_lo, 32, v2
	s_wait_alu 0xfffd
	s_delay_alu instid0(VALU_DEP_2) | instskip(SKIP_3) | instid1(VALU_DEP_1)
	v_dual_cndmask_b32 v2, v5, v2 :: v_dual_lshlrev_b32 v7, 2, v1
	ds_bpermute_b32 v1, v7, v6
	s_wait_dscnt 0x0
	v_dual_max_num_f32 v1, v1, v1 :: v_dual_lshlrev_b32 v6, 2, v2
	v_max_num_f32_e32 v1, v8, v1
	v_xor_b32_e32 v8, 4, v5
	ds_bpermute_b32 v2, v6, v1
	v_cmp_gt_i32_e32 vcc_lo, 32, v8
	s_wait_alu 0xfffd
	v_cndmask_b32_e32 v8, v5, v8, vcc_lo
	s_delay_alu instid0(VALU_DEP_1) | instskip(SKIP_3) | instid1(VALU_DEP_1)
	v_lshlrev_b32_e32 v10, 2, v8
	v_lshlrev_b32_e32 v8, 2, v39
	s_wait_dscnt 0x0
	v_max_num_f32_e32 v2, v2, v2
	v_dual_max_num_f32 v2, v1, v2 :: v_dual_and_b32 v1, 31, v0
	ds_bpermute_b32 v9, v10, v2
	v_cmp_eq_u32_e32 vcc_lo, 0, v1
	s_and_saveexec_b32 s0, vcc_lo
	s_cbranch_execz .LBB10_23
; %bb.22:
	s_wait_dscnt 0x0
	v_dual_max_num_f32 v9, v9, v9 :: v_dual_max_num_f32 v2, v2, v2
	s_delay_alu instid0(VALU_DEP_1)
	v_max_num_f32_e32 v2, v2, v9
	ds_store_b32 v8, v2 offset:480
.LBB10_23:
	s_or_b32 exec_lo, exec_lo, s0
	v_cmp_gt_u32_e64 s0, 4, v1
	s_wait_dscnt 0x0
	v_dual_mov_b32 v2, 0xff7fffff :: v_dual_lshlrev_b32 v9, 2, v1
	s_wait_loadcnt 0x0
	s_barrier_signal -1
	s_barrier_wait -1
	global_inv scope:SCOPE_SE
	s_and_saveexec_b32 s1, s0
; %bb.24:
	ds_load_b32 v2, v9 offset:480
; %bb.25:
	s_or_b32 exec_lo, exec_lo, s1
	v_xor_b32_e32 v11, 2, v5
	v_xor_b32_e32 v13, 1, v5
	s_delay_alu instid0(VALU_DEP_2) | instskip(NEXT) | instid1(VALU_DEP_1)
	v_cmp_gt_i32_e64 s1, 32, v11
	v_cndmask_b32_e64 v11, v5, v11, s1
	s_delay_alu instid0(VALU_DEP_3) | instskip(NEXT) | instid1(VALU_DEP_2)
	v_cmp_gt_i32_e64 s1, 32, v13
	v_lshlrev_b32_e32 v11, 2, v11
	s_wait_alu 0xf1ff
	s_delay_alu instid0(VALU_DEP_2)
	v_cndmask_b32_e64 v5, v5, v13, s1
	s_sub_co_i32 s1, s19, s36
	s_wait_alu 0xfffe
	s_lshl_b32 s1, s1, 3
	s_wait_dscnt 0x0
	ds_bpermute_b32 v12, v11, v2
	v_max_num_f32_e32 v2, v2, v2
	s_wait_alu 0xfffe
	s_add_co_i32 s1, s1, s33
	v_lshlrev_b32_e32 v43, 2, v5
	s_wait_alu 0xfffe
	s_min_i32 s1, s1, s31
	s_wait_alu 0xfffe
	s_sub_co_i32 s27, s1, s33
	s_wait_alu 0xfffe
	v_cmp_gt_i32_e64 s1, s27, v0
	s_wait_dscnt 0x0
	v_max_num_f32_e32 v12, v12, v12
	s_delay_alu instid0(VALU_DEP_1) | instskip(SKIP_4) | instid1(VALU_DEP_1)
	v_max_num_f32_e32 v2, v2, v12
	v_mov_b32_e32 v12, 0
	ds_bpermute_b32 v5, v43, v2
	s_wait_dscnt 0x0
	v_max_num_f32_e32 v5, v5, v5
	v_max_num_f32_e32 v2, v2, v5
	v_lshl_add_u32 v5, v0, 2, 0x200
	ds_bpermute_b32 v2, v12, v2
	s_and_saveexec_b32 s33, s1
	s_cbranch_execz .LBB10_29
; %bb.26:
	v_lshl_add_u32 v13, v0, 2, 0x200
	v_mov_b32_e32 v12, 0
	v_mov_b32_e32 v14, v0
	s_mov_b32 s36, 0
.LBB10_27:                              ; =>This Inner Loop Header: Depth=1
	ds_load_b32 v15, v13
	v_add_nc_u32_e32 v14, 0x80, v14
	s_delay_alu instid0(VALU_DEP_1) | instskip(SKIP_4) | instid1(VALU_DEP_1)
	v_cmp_le_i32_e64 s3, s27, v14
	s_wait_alu 0xfffe
	s_or_b32 s36, s3, s36
	s_wait_dscnt 0x0
	v_sub_f32_e32 v15, v15, v2
	v_mul_f32_e32 v15, 0x3fb8aa3b, v15
	s_delay_alu instid0(VALU_DEP_1)
	v_exp_f32_e32 v15, v15
	ds_store_b32 v13, v15
	v_dual_add_f32 v12, v12, v15 :: v_dual_add_nc_u32 v13, 0x200, v13
	s_wait_alu 0xfffe
	s_and_not1_b32 exec_lo, exec_lo, s36
	s_cbranch_execnz .LBB10_27
; %bb.28:
	s_or_b32 exec_lo, exec_lo, s36
.LBB10_29:
	s_wait_alu 0xfffe
	s_or_b32 exec_lo, exec_lo, s33
	ds_bpermute_b32 v7, v7, v12
	s_wait_dscnt 0x0
	v_add_f32_e32 v7, v12, v7
	ds_bpermute_b32 v6, v6, v7
	s_wait_dscnt 0x0
	v_add_f32_e32 v6, v7, v6
	;; [unrolled: 3-line block ×5, first 2 shown]
	s_and_saveexec_b32 s3, vcc_lo
; %bb.30:
	ds_store_b32 v8, v6 offset:496
; %bb.31:
	s_wait_alu 0xfffe
	s_or_b32 exec_lo, exec_lo, s3
	s_wait_loadcnt_dscnt 0x0
	s_barrier_signal -1
	s_barrier_wait -1
	global_inv scope:SCOPE_SE
	s_and_saveexec_b32 s3, s0
; %bb.32:
	ds_load_b32 v6, v9 offset:496
; %bb.33:
	s_wait_alu 0xfffe
	s_or_b32 exec_lo, exec_lo, s3
	s_wait_dscnt 0x0
	ds_bpermute_b32 v7, v11, v6
	s_wait_dscnt 0x0
	v_add_f32_e32 v6, v6, v7
	ds_bpermute_b32 v7, v43, v6
	s_wait_dscnt 0x0
	v_dual_add_f32 v6, v6, v7 :: v_dual_mov_b32 v7, 0
	ds_bpermute_b32 v6, v7, v6
	s_and_saveexec_b32 s0, s1
	s_cbranch_execz .LBB10_36
; %bb.34:
	s_wait_dscnt 0x0
	v_add_f32_e32 v7, 0x358637bd, v6
	s_mov_b32 s1, 0
	s_delay_alu instid0(VALU_DEP_1) | instskip(SKIP_1) | instid1(VALU_DEP_2)
	v_div_scale_f32 v8, null, v7, v7, 1.0
	v_div_scale_f32 v11, vcc_lo, 1.0, v7, 1.0
	v_rcp_f32_e32 v9, v8
	s_delay_alu instid0(TRANS32_DEP_1) | instskip(NEXT) | instid1(VALU_DEP_1)
	v_fma_f32 v10, -v8, v9, 1.0
	v_fmac_f32_e32 v9, v10, v9
	s_delay_alu instid0(VALU_DEP_1) | instskip(NEXT) | instid1(VALU_DEP_1)
	v_mul_f32_e32 v10, v11, v9
	v_fma_f32 v12, -v8, v10, v11
	s_delay_alu instid0(VALU_DEP_1) | instskip(NEXT) | instid1(VALU_DEP_1)
	v_fmac_f32_e32 v10, v12, v9
	v_fma_f32 v8, -v8, v10, v11
	s_wait_alu 0xfffd
	s_delay_alu instid0(VALU_DEP_1) | instskip(NEXT) | instid1(VALU_DEP_1)
	v_div_fmas_f32 v8, v8, v9, v10
	v_div_fixup_f32 v7, v8, v7, 1.0
	v_mov_b32_e32 v8, v0
.LBB10_35:                              ; =>This Inner Loop Header: Depth=1
	ds_load_b32 v9, v5
	s_wait_dscnt 0x0
	v_dual_mul_f32 v9, v7, v9 :: v_dual_add_nc_u32 v8, 0x80, v8
	s_delay_alu instid0(VALU_DEP_1)
	v_cmp_le_i32_e32 vcc_lo, s27, v8
	ds_store_b32 v5, v9
	v_add_nc_u32_e32 v5, 0x200, v5
	s_wait_alu 0xfffe
	s_or_b32 s1, vcc_lo, s1
	s_wait_alu 0xfffe
	s_and_not1_b32 exec_lo, exec_lo, s1
	s_cbranch_execnz .LBB10_35
.LBB10_36:
	s_wait_alu 0xfffe
	s_or_b32 exec_lo, exec_lo, s0
	s_mul_i32 s0, s8, s20
	s_wait_loadcnt_dscnt 0x0
	s_wait_alu 0xfffe
	s_mul_i32 s20, s0, s21
	s_mov_b32 s0, exec_lo
	s_barrier_signal -1
	s_barrier_wait -1
	global_inv scope:SCOPE_SE
	v_cmpx_eq_u32_e32 0, v0
	s_cbranch_execz .LBB10_38
; %bb.37:
	s_ashr_i32 s21, s20, 31
	s_wait_alu 0xfffe
	s_mul_i32 s36, s8, ttmp9
	s_lshl_b32 s1, s30, 2
	s_lshl_b64 s[38:39], s[20:21], 2
	s_wait_alu 0xfffe
	s_ashr_i32 s37, s36, 31
	v_mov_b32_e32 v5, s1
	s_wait_kmcnt 0x0
	s_add_nc_u64 s[6:7], s[6:7], s[38:39]
	s_wait_alu 0xfffe
	s_lshl_b64 s[36:37], s[36:37], 2
	s_add_nc_u64 s[4:5], s[4:5], s[38:39]
	s_wait_alu 0xfffe
	s_add_nc_u64 s[6:7], s[6:7], s[36:37]
	s_add_nc_u64 s[4:5], s[4:5], s[36:37]
	s_clause 0x1
	global_store_b32 v5, v2, s[6:7]
	global_store_b32 v5, v6, s[4:5]
.LBB10_38:
	s_wait_alu 0xfffe
	s_or_b32 exec_lo, exec_lo, s0
	v_lshrrev_b32_e32 v42, 1, v1
	s_and_saveexec_b32 s0, s2
	s_wait_alu 0xfffe
	s_xor_b32 s0, exec_lo, s0
; %bb.39:
	v_lshrrev_b32_e32 v42, 1, v1
                                        ; implicit-def: $vgpr40
                                        ; implicit-def: $vgpr41
                                        ; implicit-def: $vgpr3
                                        ; implicit-def: $vgpr4
; %bb.40:
	s_wait_kmcnt 0x0
	s_wait_alu 0xfffe
	s_or_saveexec_b32 s4, s0
	v_dual_mov_b32 v51, 0 :: v_dual_and_b32 v44, 1, v0
	v_dual_mov_b32 v52, 0 :: v_dual_mov_b32 v49, 0
	v_dual_mov_b32 v50, 0 :: v_dual_mov_b32 v47, 0
	;; [unrolled: 1-line block ×3, first 2 shown]
	v_mov_b32_e32 v46, 0
	s_wait_alu 0xfffe
	s_xor_b32 exec_lo, exec_lo, s4
	s_cbranch_execz .LBB10_64
; %bb.41:
	s_abs_i32 s5, s10
	v_dual_mov_b32 v46, 0 :: v_dual_and_b32 v53, 4, v3
	s_wait_alu 0xfffe
	s_cvt_f32_u32 s0, s5
	v_or_b32_e32 v2, 0x70, v42
	v_dual_mov_b32 v48, 0 :: v_dual_lshlrev_b32 v3, 4, v44
	s_wait_alu 0xfffe
	v_rcp_iflag_f32_e32 v1, s0
	s_lshl_b64 s[0:1], s[24:25], 2
	s_sub_co_i32 s6, s35, s9
	s_wait_alu 0xfffe
	s_add_nc_u64 s[0:1], s[22:23], s[0:1]
	s_sub_co_i32 s9, 0, s5
	s_wait_alu 0xfffe
	v_add_co_u32 v37, s0, s0, v4
	s_wait_alu 0xf1ff
	v_add_co_ci_u32_e64 v38, null, s1, 0, s0
	v_lshl_or_b32 v4, v2, 3, v53
	v_readfirstlane_b32 s10, v1
	v_lshl_or_b32 v1, v39, 5, v3
	v_lshl_or_b32 v3, v42, 3, v53
	s_ashr_i32 s27, s26, 31
	v_mov_b32_e32 v45, 0
	s_mul_f32 s0, s10, 0x4f7ffffe
	v_add_nc_u32_e32 v54, 0x200, v1
	v_dual_mov_b32 v50, 0 :: v_dual_lshlrev_b32 v55, 2, v3
	s_wait_alu 0xfffe
	s_cvt_u32_f32 s0, s0
	v_dual_mov_b32 v47, 0 :: v_dual_lshlrev_b32 v56, 2, v4
	v_dual_mov_b32 v49, 0 :: v_dual_mov_b32 v52, 0
	s_wait_alu 0xfffe
	s_mul_i32 s9, s9, s0
	v_mov_b32_e32 v51, 0
	s_lshl_b64 s[2:3], s[26:27], 2
	s_mul_hi_u32 s1, s0, s9
	s_mov_b32 s7, s13
	s_add_co_i32 s34, s34, -1
	s_wait_alu 0xfffe
	s_add_nc_u64 s[2:3], s[28:29], s[2:3]
	s_mov_b32 s9, 0
	s_add_co_i32 s10, s0, s1
	v_cmp_gt_u32_e32 vcc_lo, 0x78, v2
	s_branch .LBB10_45
.LBB10_42:                              ;   in Loop: Header=BB10_45 Depth=1
	s_wait_alu 0xfffe
	s_or_b32 exec_lo, exec_lo, s1
	s_wait_loadcnt_dscnt 0x0
	v_mul_f32_e32 v33, v5, v33
	s_delay_alu instid0(VALU_DEP_1) | instskip(NEXT) | instid1(VALU_DEP_1)
	v_fmac_f32_e32 v33, v6, v34
	v_fmac_f32_e32 v33, v7, v35
	s_delay_alu instid0(VALU_DEP_1) | instskip(NEXT) | instid1(VALU_DEP_1)
	v_fmac_f32_e32 v33, v8, v36
	v_add_f32_e32 v45, v45, v33
.LBB10_43:                              ;   in Loop: Header=BB10_45 Depth=1
	s_or_b32 exec_lo, exec_lo, s21
	s_wait_loadcnt_dscnt 0x200
	v_mul_f32_e32 v21, v5, v21
	v_mul_f32_e32 v13, v5, v13
	v_mul_f32_e32 v9, v5, v9
	s_wait_loadcnt 0x0
	v_mul_f32_e32 v29, v5, v29
	v_mul_f32_e32 v25, v5, v25
	v_fmac_f32_e32 v21, v6, v22
	v_fmac_f32_e32 v13, v6, v14
	;; [unrolled: 1-line block ×3, first 2 shown]
	v_mul_f32_e32 v17, v5, v17
	v_mul_f32_e32 v1, v5, v1
	v_fmac_f32_e32 v21, v7, v23
	v_fmac_f32_e32 v13, v7, v15
	;; [unrolled: 1-line block ×9, first 2 shown]
	s_delay_alu instid0(VALU_DEP_4) | instskip(NEXT) | instid1(VALU_DEP_3)
	v_dual_fmac_f32 v25, v6, v26 :: v_dual_add_f32 v48, v48, v21
	v_dual_fmac_f32 v29, v7, v31 :: v_dual_add_f32 v50, v50, v13
	v_fmac_f32_e32 v17, v7, v19
	s_delay_alu instid0(VALU_DEP_4) | instskip(NEXT) | instid1(VALU_DEP_3)
	v_dual_fmac_f32 v1, v7, v3 :: v_dual_add_f32 v52, v52, v9
	v_fmac_f32_e32 v29, v8, v32
	v_fmac_f32_e32 v25, v7, v27
	s_delay_alu instid0(VALU_DEP_4) | instskip(NEXT) | instid1(VALU_DEP_3)
	v_fmac_f32_e32 v17, v8, v20
	v_dual_fmac_f32 v1, v8, v4 :: v_dual_add_f32 v46, v46, v29
	s_delay_alu instid0(VALU_DEP_3) | instskip(NEXT) | instid1(VALU_DEP_3)
	v_fmac_f32_e32 v25, v8, v28
	v_add_f32_e32 v49, v49, v17
	s_delay_alu instid0(VALU_DEP_3) | instskip(NEXT) | instid1(VALU_DEP_3)
	v_add_f32_e32 v51, v51, v1
	v_add_f32_e32 v47, v47, v25
.LBB10_44:                              ;   in Loop: Header=BB10_45 Depth=1
	s_wait_alu 0xfffe
	s_or_b32 exec_lo, exec_lo, s13
	v_add_nc_u32_e32 v41, 4, v41
	v_add_co_u32 v37, s1, v37, 16
	s_wait_alu 0xf1ff
	v_add_co_ci_u32_e64 v38, null, 0, v38, s1
	s_delay_alu instid0(VALU_DEP_3) | instskip(SKIP_3) | instid1(SALU_CYCLE_1)
	v_cmp_le_i32_e64 s0, s19, v41
	v_add_nc_u32_e32 v40, 32, v40
	v_add_nc_u32_e32 v54, 0x80, v54
	s_or_b32 s9, s0, s9
	s_and_not1_b32 exec_lo, exec_lo, s9
	s_cbranch_execz .LBB10_63
.LBB10_45:                              ; =>This Inner Loop Header: Depth=1
	v_sub_nc_u32_e32 v1, 0, v40
	s_delay_alu instid0(VALU_DEP_1) | instskip(NEXT) | instid1(VALU_DEP_1)
	v_max_i32_e32 v1, v40, v1
	v_mul_hi_u32 v2, v1, s18
	s_delay_alu instid0(VALU_DEP_1) | instskip(NEXT) | instid1(VALU_DEP_1)
	v_mul_lo_u32 v3, v2, s12
	v_sub_nc_u32_e32 v1, v1, v3
	v_add_nc_u32_e32 v3, 1, v2
	s_delay_alu instid0(VALU_DEP_2) | instskip(SKIP_2) | instid1(VALU_DEP_1)
	v_subrev_nc_u32_e32 v4, s12, v1
	v_cmp_le_u32_e64 s0, s12, v1
	s_wait_alu 0xf1ff
	v_cndmask_b32_e64 v2, v2, v3, s0
	s_delay_alu instid0(VALU_DEP_3) | instskip(SKIP_1) | instid1(VALU_DEP_3)
	v_cndmask_b32_e64 v1, v1, v4, s0
	v_ashrrev_i32_e32 v3, 31, v40
	v_add_nc_u32_e32 v4, 1, v2
	s_delay_alu instid0(VALU_DEP_3) | instskip(NEXT) | instid1(VALU_DEP_3)
	v_cmp_le_u32_e64 s0, s12, v1
	v_xor_b32_e32 v3, s11, v3
	s_wait_alu 0xf1ff
	s_delay_alu instid0(VALU_DEP_2) | instskip(NEXT) | instid1(VALU_DEP_1)
	v_cndmask_b32_e64 v1, v2, v4, s0
	v_xor_b32_e32 v1, v1, v3
	s_delay_alu instid0(VALU_DEP_1) | instskip(NEXT) | instid1(VALU_DEP_1)
	v_sub_nc_u32_e32 v1, v1, v3
	v_add_nc_u32_e32 v2, s17, v1
	v_cmp_lt_i32_e64 s1, s6, v1
	s_delay_alu instid0(VALU_DEP_2) | instskip(NEXT) | instid1(VALU_DEP_1)
	v_sub_nc_u32_e32 v3, 0, v2
	v_max_i32_e32 v3, v2, v3
	v_ashrrev_i32_e32 v2, 31, v2
	s_wait_alu 0xfffe
	s_delay_alu instid0(VALU_DEP_2) | instskip(NEXT) | instid1(VALU_DEP_1)
	v_mul_hi_u32 v4, v3, s10
	v_mul_lo_u32 v4, v4, s5
	s_delay_alu instid0(VALU_DEP_1) | instskip(NEXT) | instid1(VALU_DEP_1)
	v_sub_nc_u32_e32 v3, v3, v4
	v_subrev_nc_u32_e32 v4, s5, v3
	v_cmp_le_u32_e64 s0, s5, v3
	s_wait_alu 0xf1ff
	s_delay_alu instid0(VALU_DEP_1) | instskip(NEXT) | instid1(VALU_DEP_1)
	v_cndmask_b32_e64 v3, v3, v4, s0
	v_subrev_nc_u32_e32 v4, s5, v3
	v_cmp_le_u32_e64 s0, s5, v3
	s_wait_alu 0xf1ff
	s_delay_alu instid0(VALU_DEP_1) | instskip(NEXT) | instid1(VALU_DEP_1)
	v_cndmask_b32_e64 v3, v3, v4, s0
	v_xor_b32_e32 v3, v3, v2
	s_delay_alu instid0(VALU_DEP_1) | instskip(NEXT) | instid1(VALU_DEP_1)
	v_sub_nc_u32_e32 v2, v3, v2
	v_cmp_eq_u32_e64 s0, 0, v2
	s_or_b32 s0, s0, s1
	s_wait_alu 0xfffe
	s_and_saveexec_b32 s13, s0
	s_cbranch_execz .LBB10_44
; %bb.46:                               ;   in Loop: Header=BB10_45 Depth=1
	global_load_b32 v1, v[37:38], off
	ds_load_b128 v[5:8], v54
	v_add_nc_u32_e32 v57, v53, v40
	s_wait_loadcnt 0x0
	v_mad_co_i64_i32 v[1:2], null, v1, s7, 0
	s_delay_alu instid0(VALU_DEP_1) | instskip(NEXT) | instid1(VALU_DEP_1)
	v_lshlrev_b64_e32 v[1:2], 2, v[1:2]
	v_add_co_u32 v33, s0, s2, v1
	s_wait_alu 0xf1ff
	s_delay_alu instid0(VALU_DEP_2) | instskip(NEXT) | instid1(VALU_DEP_2)
	v_add_co_ci_u32_e64 v34, null, s3, v2, s0
	v_add_co_u32 v29, s0, v33, v55
	s_wait_alu 0xf1ff
	s_delay_alu instid0(VALU_DEP_2)
	v_add_co_ci_u32_e64 v30, null, 0, v34, s0
	v_cmp_eq_u32_e64 s0, s34, v41
	global_load_b128 v[1:4], v[29:30], off
	s_and_saveexec_b32 s21, s0
	s_cbranch_execnz .LBB10_54
; %bb.47:                               ;   in Loop: Header=BB10_45 Depth=1
	s_or_b32 exec_lo, exec_lo, s21
	global_load_b128 v[9:12], v[29:30], off offset:512
	s_and_saveexec_b32 s21, s0
	s_cbranch_execnz .LBB10_55
.LBB10_48:                              ;   in Loop: Header=BB10_45 Depth=1
	s_or_b32 exec_lo, exec_lo, s21
	global_load_b128 v[13:16], v[29:30], off offset:1024
	s_and_saveexec_b32 s21, s0
	s_cbranch_execnz .LBB10_56
.LBB10_49:                              ;   in Loop: Header=BB10_45 Depth=1
	s_or_b32 exec_lo, exec_lo, s21
	global_load_b128 v[17:20], v[29:30], off offset:1536
	s_and_saveexec_b32 s21, s0
	s_cbranch_execnz .LBB10_57
.LBB10_50:                              ;   in Loop: Header=BB10_45 Depth=1
	s_or_b32 exec_lo, exec_lo, s21
	global_load_b128 v[21:24], v[29:30], off offset:2048
	s_and_saveexec_b32 s21, s0
	s_cbranch_execnz .LBB10_58
.LBB10_51:                              ;   in Loop: Header=BB10_45 Depth=1
	s_or_b32 exec_lo, exec_lo, s21
	global_load_b128 v[25:28], v[29:30], off offset:2560
	s_and_saveexec_b32 s21, s0
	s_cbranch_execnz .LBB10_59
.LBB10_52:                              ;   in Loop: Header=BB10_45 Depth=1
	s_or_b32 exec_lo, exec_lo, s21
	global_load_b128 v[29:32], v[29:30], off offset:3072
	s_and_saveexec_b32 s21, s0
	s_cbranch_execnz .LBB10_60
.LBB10_53:                              ;   in Loop: Header=BB10_45 Depth=1
	s_or_b32 exec_lo, exec_lo, s21
	s_and_saveexec_b32 s21, vcc_lo
	s_cbranch_execz .LBB10_43
	s_branch .LBB10_61
.LBB10_54:                              ;   in Loop: Header=BB10_45 Depth=1
	v_add_nc_u32_e32 v9, 1, v57
	v_cmp_gt_i32_e64 s1, s31, v57
	v_add_nc_u32_e32 v10, 2, v57
	v_add_nc_u32_e32 v11, 3, v57
	s_wait_loadcnt 0x0
	s_wait_alu 0xf1ff
	v_cndmask_b32_e64 v1, 0, v1, s1
	v_cmp_gt_i32_e64 s1, s31, v9
	s_wait_alu 0xf1ff
	s_delay_alu instid0(VALU_DEP_1) | instskip(SKIP_2) | instid1(VALU_DEP_1)
	v_cndmask_b32_e64 v2, 0, v2, s1
	v_cmp_gt_i32_e64 s1, s31, v10
	s_wait_alu 0xf1ff
	v_cndmask_b32_e64 v3, 0, v3, s1
	v_cmp_gt_i32_e64 s1, s31, v11
	s_wait_alu 0xf1ff
	s_delay_alu instid0(VALU_DEP_1)
	v_cndmask_b32_e64 v4, 0, v4, s1
	s_or_b32 exec_lo, exec_lo, s21
	global_load_b128 v[9:12], v[29:30], off offset:512
	s_and_saveexec_b32 s21, s0
	s_cbranch_execz .LBB10_48
.LBB10_55:                              ;   in Loop: Header=BB10_45 Depth=1
	v_add_nc_u32_e32 v13, 1, v57
	v_cmp_gt_i32_e64 s1, s31, v57
	v_add_nc_u32_e32 v14, 2, v57
	v_add_nc_u32_e32 v15, 3, v57
	s_wait_loadcnt 0x0
	s_wait_alu 0xf1ff
	v_cndmask_b32_e64 v9, 0, v9, s1
	v_cmp_gt_i32_e64 s1, s31, v13
	s_wait_alu 0xf1ff
	s_delay_alu instid0(VALU_DEP_1) | instskip(SKIP_2) | instid1(VALU_DEP_1)
	v_cndmask_b32_e64 v10, 0, v10, s1
	v_cmp_gt_i32_e64 s1, s31, v14
	s_wait_alu 0xf1ff
	v_cndmask_b32_e64 v11, 0, v11, s1
	v_cmp_gt_i32_e64 s1, s31, v15
	s_wait_alu 0xf1ff
	s_delay_alu instid0(VALU_DEP_1)
	v_cndmask_b32_e64 v12, 0, v12, s1
	s_or_b32 exec_lo, exec_lo, s21
	global_load_b128 v[13:16], v[29:30], off offset:1024
	s_and_saveexec_b32 s21, s0
	s_cbranch_execz .LBB10_49
.LBB10_56:                              ;   in Loop: Header=BB10_45 Depth=1
	v_add_nc_u32_e32 v17, 1, v57
	v_cmp_gt_i32_e64 s1, s31, v57
	v_add_nc_u32_e32 v18, 2, v57
	v_add_nc_u32_e32 v19, 3, v57
	s_wait_loadcnt 0x0
	s_wait_alu 0xf1ff
	v_cndmask_b32_e64 v13, 0, v13, s1
	v_cmp_gt_i32_e64 s1, s31, v17
	s_wait_alu 0xf1ff
	s_delay_alu instid0(VALU_DEP_1) | instskip(SKIP_2) | instid1(VALU_DEP_1)
	v_cndmask_b32_e64 v14, 0, v14, s1
	v_cmp_gt_i32_e64 s1, s31, v18
	s_wait_alu 0xf1ff
	v_cndmask_b32_e64 v15, 0, v15, s1
	v_cmp_gt_i32_e64 s1, s31, v19
	s_wait_alu 0xf1ff
	s_delay_alu instid0(VALU_DEP_1)
	v_cndmask_b32_e64 v16, 0, v16, s1
	s_or_b32 exec_lo, exec_lo, s21
	global_load_b128 v[17:20], v[29:30], off offset:1536
	s_and_saveexec_b32 s21, s0
	s_cbranch_execz .LBB10_50
.LBB10_57:                              ;   in Loop: Header=BB10_45 Depth=1
	v_add_nc_u32_e32 v21, 1, v57
	v_cmp_gt_i32_e64 s1, s31, v57
	v_add_nc_u32_e32 v22, 2, v57
	v_add_nc_u32_e32 v23, 3, v57
	s_wait_loadcnt 0x0
	s_wait_alu 0xf1ff
	v_cndmask_b32_e64 v17, 0, v17, s1
	v_cmp_gt_i32_e64 s1, s31, v21
	s_wait_alu 0xf1ff
	s_delay_alu instid0(VALU_DEP_1) | instskip(SKIP_2) | instid1(VALU_DEP_1)
	v_cndmask_b32_e64 v18, 0, v18, s1
	v_cmp_gt_i32_e64 s1, s31, v22
	s_wait_alu 0xf1ff
	v_cndmask_b32_e64 v19, 0, v19, s1
	v_cmp_gt_i32_e64 s1, s31, v23
	s_wait_alu 0xf1ff
	s_delay_alu instid0(VALU_DEP_1)
	v_cndmask_b32_e64 v20, 0, v20, s1
	s_or_b32 exec_lo, exec_lo, s21
	global_load_b128 v[21:24], v[29:30], off offset:2048
	s_and_saveexec_b32 s21, s0
	s_cbranch_execz .LBB10_51
.LBB10_58:                              ;   in Loop: Header=BB10_45 Depth=1
	v_add_nc_u32_e32 v25, 1, v57
	v_cmp_gt_i32_e64 s1, s31, v57
	v_add_nc_u32_e32 v26, 2, v57
	v_add_nc_u32_e32 v27, 3, v57
	s_wait_loadcnt 0x0
	s_wait_alu 0xf1ff
	v_cndmask_b32_e64 v21, 0, v21, s1
	v_cmp_gt_i32_e64 s1, s31, v25
	s_wait_alu 0xf1ff
	s_delay_alu instid0(VALU_DEP_1) | instskip(SKIP_2) | instid1(VALU_DEP_1)
	v_cndmask_b32_e64 v22, 0, v22, s1
	v_cmp_gt_i32_e64 s1, s31, v26
	s_wait_alu 0xf1ff
	v_cndmask_b32_e64 v23, 0, v23, s1
	v_cmp_gt_i32_e64 s1, s31, v27
	s_wait_alu 0xf1ff
	s_delay_alu instid0(VALU_DEP_1)
	v_cndmask_b32_e64 v24, 0, v24, s1
	s_or_b32 exec_lo, exec_lo, s21
	global_load_b128 v[25:28], v[29:30], off offset:2560
	s_and_saveexec_b32 s21, s0
	s_cbranch_execz .LBB10_52
.LBB10_59:                              ;   in Loop: Header=BB10_45 Depth=1
	v_add_nc_u32_e32 v31, 1, v57
	v_cmp_gt_i32_e64 s1, s31, v57
	v_add_nc_u32_e32 v32, 2, v57
	v_add_nc_u32_e32 v35, 3, v57
	s_wait_loadcnt 0x0
	s_wait_alu 0xf1ff
	v_cndmask_b32_e64 v25, 0, v25, s1
	v_cmp_gt_i32_e64 s1, s31, v31
	s_wait_alu 0xf1ff
	s_delay_alu instid0(VALU_DEP_1) | instskip(SKIP_2) | instid1(VALU_DEP_1)
	v_cndmask_b32_e64 v26, 0, v26, s1
	v_cmp_gt_i32_e64 s1, s31, v32
	s_wait_alu 0xf1ff
	v_cndmask_b32_e64 v27, 0, v27, s1
	v_cmp_gt_i32_e64 s1, s31, v35
	s_wait_alu 0xf1ff
	s_delay_alu instid0(VALU_DEP_1)
	v_cndmask_b32_e64 v28, 0, v28, s1
	s_or_b32 exec_lo, exec_lo, s21
	global_load_b128 v[29:32], v[29:30], off offset:3072
	s_and_saveexec_b32 s21, s0
	s_cbranch_execz .LBB10_53
.LBB10_60:                              ;   in Loop: Header=BB10_45 Depth=1
	v_add_nc_u32_e32 v35, 1, v57
	v_cmp_gt_i32_e64 s1, s31, v57
	v_add_nc_u32_e32 v36, 2, v57
	v_add_nc_u32_e32 v58, 3, v57
	s_wait_loadcnt 0x0
	s_wait_alu 0xf1ff
	v_cndmask_b32_e64 v29, 0, v29, s1
	v_cmp_gt_i32_e64 s1, s31, v35
	s_wait_alu 0xf1ff
	s_delay_alu instid0(VALU_DEP_1) | instskip(SKIP_2) | instid1(VALU_DEP_1)
	v_cndmask_b32_e64 v30, 0, v30, s1
	v_cmp_gt_i32_e64 s1, s31, v36
	s_wait_alu 0xf1ff
	v_cndmask_b32_e64 v31, 0, v31, s1
	v_cmp_gt_i32_e64 s1, s31, v58
	s_wait_alu 0xf1ff
	s_delay_alu instid0(VALU_DEP_1)
	v_cndmask_b32_e64 v32, 0, v32, s1
	s_or_b32 exec_lo, exec_lo, s21
	s_and_saveexec_b32 s21, vcc_lo
	s_cbranch_execz .LBB10_43
.LBB10_61:                              ;   in Loop: Header=BB10_45 Depth=1
	v_add_co_u32 v33, s1, v33, v56
	s_wait_alu 0xf1ff
	v_add_co_ci_u32_e64 v34, null, 0, v34, s1
	global_load_b128 v[33:36], v[33:34], off
	s_and_saveexec_b32 s1, s0
	s_cbranch_execz .LBB10_42
; %bb.62:                               ;   in Loop: Header=BB10_45 Depth=1
	v_add_nc_u32_e32 v58, 1, v57
	v_cmp_gt_i32_e64 s0, s31, v57
	v_add_nc_u32_e32 v59, 2, v57
	v_add_nc_u32_e32 v57, 3, v57
	s_wait_loadcnt 0x0
	s_wait_alu 0xf1ff
	v_cndmask_b32_e64 v33, 0, v33, s0
	v_cmp_gt_i32_e64 s0, s31, v58
	s_wait_alu 0xf1ff
	s_delay_alu instid0(VALU_DEP_1) | instskip(SKIP_2) | instid1(VALU_DEP_1)
	v_cndmask_b32_e64 v34, 0, v34, s0
	v_cmp_gt_i32_e64 s0, s31, v59
	s_wait_alu 0xf1ff
	v_cndmask_b32_e64 v35, 0, v35, s0
	v_cmp_gt_i32_e64 s0, s31, v57
	s_wait_alu 0xf1ff
	s_delay_alu instid0(VALU_DEP_1)
	v_cndmask_b32_e64 v36, 0, v36, s0
	s_branch .LBB10_42
.LBB10_63:
	s_or_b32 exec_lo, exec_lo, s9
.LBB10_64:
	s_delay_alu instid0(SALU_CYCLE_1)
	s_or_b32 exec_lo, exec_lo, s4
	ds_bpermute_b32 v1, v43, v51
	ds_bpermute_b32 v3, v43, v52
	;; [unrolled: 1-line block ×8, first 2 shown]
	s_movk_i32 s0, 0x1e0
	v_and_b32_e32 v11, 0x3c0, v0
	s_wait_alu 0xfffe
	v_mad_u32_u24 v9, v39, s0, 0x200
	s_mov_b32 s1, exec_lo
	v_cmp_eq_u32_e32 vcc_lo, 0, v44
	s_wait_storecnt 0x0
	s_wait_loadcnt_dscnt 0x0
	s_barrier_signal -1
	s_barrier_wait -1
	global_inv scope:SCOPE_SE
	v_dual_add_f32 v2, v51, v1 :: v_dual_add_f32 v3, v52, v3
	v_dual_add_f32 v4, v50, v4 :: v_dual_add_f32 v5, v49, v5
	;; [unrolled: 1-line block ×4, first 2 shown]
	v_cmpx_eq_u32_e32 64, v11
	s_cbranch_execz .LBB10_69
; %bb.65:
	v_add_nc_u32_e32 v10, 0xfffffc40, v9
	s_and_saveexec_b32 s0, vcc_lo
	s_cbranch_execz .LBB10_67
; %bb.66:
	s_delay_alu instid0(VALU_DEP_1)
	v_lshl_add_u32 v11, v42, 2, v10
	ds_store_2addr_b32 v11, v2, v3 offset1:16
	ds_store_2addr_b32 v11, v4, v5 offset0:32 offset1:48
	ds_store_2addr_b32 v11, v6, v7 offset0:64 offset1:80
	ds_store_b32 v11, v8 offset:384
.LBB10_67:
	s_wait_alu 0xfffe
	s_or_b32 exec_lo, exec_lo, s0
	v_or_b32_e32 v11, 0x70, v42
	s_delay_alu instid0(VALU_DEP_1)
	v_cmp_gt_u32_e64 s0, 0x78, v11
	s_and_b32 s0, vcc_lo, s0
	s_wait_alu 0xfffe
	s_and_b32 exec_lo, exec_lo, s0
; %bb.68:
	v_lshl_add_u32 v10, v11, 2, v10
	ds_store_b32 v10, v1
.LBB10_69:
	s_wait_alu 0xfffe
	s_or_b32 exec_lo, exec_lo, s1
	s_delay_alu instid0(SALU_CYCLE_1)
	s_mov_b32 s1, exec_lo
	s_wait_loadcnt_dscnt 0x0
	s_barrier_signal -1
	s_barrier_wait -1
	global_inv scope:SCOPE_SE
	v_cmpx_gt_u32_e32 64, v0
	s_cbranch_execz .LBB10_81
; %bb.70:
	s_and_saveexec_b32 s0, vcc_lo
	s_cbranch_execnz .LBB10_104
; %bb.71:
	s_wait_alu 0xfffe
	s_or_b32 exec_lo, exec_lo, s0
	s_and_saveexec_b32 s0, vcc_lo
	s_cbranch_execnz .LBB10_105
.LBB10_72:
	s_wait_alu 0xfffe
	s_or_b32 exec_lo, exec_lo, s0
	s_and_saveexec_b32 s0, vcc_lo
	s_cbranch_execnz .LBB10_106
.LBB10_73:
	s_wait_alu 0xfffe
	s_or_b32 exec_lo, exec_lo, s0
	s_and_saveexec_b32 s0, vcc_lo
	s_cbranch_execnz .LBB10_107
.LBB10_74:
	s_wait_alu 0xfffe
	s_or_b32 exec_lo, exec_lo, s0
	s_and_saveexec_b32 s0, vcc_lo
	s_cbranch_execnz .LBB10_108
.LBB10_75:
	s_wait_alu 0xfffe
	s_or_b32 exec_lo, exec_lo, s0
	s_and_saveexec_b32 s0, vcc_lo
	s_cbranch_execnz .LBB10_109
.LBB10_76:
	s_wait_alu 0xfffe
	s_or_b32 exec_lo, exec_lo, s0
	s_and_saveexec_b32 s0, vcc_lo
	s_cbranch_execz .LBB10_78
.LBB10_77:
	v_lshl_add_u32 v10, v42, 2, v9
	ds_load_b32 v10, v10 offset:384
	s_wait_dscnt 0x0
	v_add_f32_e32 v8, v8, v10
.LBB10_78:
	s_wait_alu 0xfffe
	s_or_b32 exec_lo, exec_lo, s0
	v_or_b32_e32 v10, 0x70, v42
	s_delay_alu instid0(VALU_DEP_1)
	v_cmp_gt_u32_e64 s0, 0x78, v10
	s_and_b32 s2, vcc_lo, s0
	s_wait_alu 0xfffe
	s_and_saveexec_b32 s0, s2
	s_cbranch_execz .LBB10_80
; %bb.79:
	v_lshl_add_u32 v10, v42, 2, v9
	ds_load_b32 v10, v10 offset:448
	s_wait_dscnt 0x0
	v_add_f32_e32 v1, v1, v10
.LBB10_80:
	s_wait_alu 0xfffe
	s_or_b32 exec_lo, exec_lo, s0
.LBB10_81:
	s_wait_alu 0xfffe
	s_or_b32 exec_lo, exec_lo, s1
	v_and_b32_e32 v10, 0x3e0, v0
	s_mov_b32 s1, exec_lo
	s_wait_loadcnt 0x0
	s_barrier_signal -1
	s_barrier_wait -1
	global_inv scope:SCOPE_SE
	v_cmpx_eq_u32_e32 32, v10
	s_cbranch_execz .LBB10_86
; %bb.82:
	v_lshl_add_u32 v10, v42, 2, 0x200
	s_and_saveexec_b32 s0, vcc_lo
	s_cbranch_execz .LBB10_84
; %bb.83:
	ds_store_2addr_b32 v10, v2, v3 offset1:16
	ds_store_2addr_b32 v10, v4, v5 offset0:32 offset1:48
	ds_store_2addr_b32 v10, v6, v7 offset0:64 offset1:80
	ds_store_b32 v10, v8 offset:384
.LBB10_84:
	s_wait_alu 0xfffe
	s_or_b32 exec_lo, exec_lo, s0
	v_or_b32_e32 v11, 0x70, v42
	s_delay_alu instid0(VALU_DEP_1)
	v_cmp_gt_u32_e64 s0, 0x78, v11
	s_and_b32 s0, vcc_lo, s0
	s_wait_alu 0xfffe
	s_and_b32 exec_lo, exec_lo, s0
; %bb.85:
	ds_store_b32 v10, v1 offset:448
.LBB10_86:
	s_wait_alu 0xfffe
	s_or_b32 exec_lo, exec_lo, s1
	v_cmp_gt_u32_e64 s0, 32, v0
	s_wait_loadcnt_dscnt 0x0
	s_barrier_signal -1
	s_barrier_wait -1
	global_inv scope:SCOPE_SE
	s_and_saveexec_b32 s2, s0
	s_cbranch_execz .LBB10_98
; %bb.87:
	v_lshl_add_u32 v9, v42, 2, v9
	s_and_saveexec_b32 s1, vcc_lo
	s_cbranch_execnz .LBB10_110
; %bb.88:
	s_wait_alu 0xfffe
	s_or_b32 exec_lo, exec_lo, s1
	s_and_saveexec_b32 s1, vcc_lo
	s_cbranch_execnz .LBB10_111
.LBB10_89:
	s_wait_alu 0xfffe
	s_or_b32 exec_lo, exec_lo, s1
	s_and_saveexec_b32 s1, vcc_lo
	s_cbranch_execnz .LBB10_112
.LBB10_90:
	s_wait_alu 0xfffe
	s_or_b32 exec_lo, exec_lo, s1
	s_and_saveexec_b32 s1, vcc_lo
	s_cbranch_execnz .LBB10_113
.LBB10_91:
	s_wait_alu 0xfffe
	s_or_b32 exec_lo, exec_lo, s1
	s_and_saveexec_b32 s1, vcc_lo
	s_cbranch_execnz .LBB10_114
.LBB10_92:
	s_wait_alu 0xfffe
	s_or_b32 exec_lo, exec_lo, s1
	s_and_saveexec_b32 s1, vcc_lo
	s_cbranch_execnz .LBB10_115
.LBB10_93:
	s_wait_alu 0xfffe
	s_or_b32 exec_lo, exec_lo, s1
	s_and_saveexec_b32 s1, vcc_lo
	s_cbranch_execz .LBB10_95
.LBB10_94:
	ds_load_b32 v10, v9 offset:384
	s_wait_dscnt 0x0
	v_add_f32_e32 v8, v8, v10
.LBB10_95:
	s_wait_alu 0xfffe
	s_or_b32 exec_lo, exec_lo, s1
	v_or_b32_e32 v10, 0x70, v42
	s_delay_alu instid0(VALU_DEP_1)
	v_cmp_gt_u32_e64 s1, 0x78, v10
	s_and_b32 s3, vcc_lo, s1
	s_wait_alu 0xfffe
	s_and_saveexec_b32 s1, s3
	s_cbranch_execz .LBB10_97
; %bb.96:
	ds_load_b32 v9, v9 offset:448
	s_wait_dscnt 0x0
	v_add_f32_e32 v1, v1, v9
.LBB10_97:
	s_wait_alu 0xfffe
	s_or_b32 exec_lo, exec_lo, s1
.LBB10_98:
	s_wait_alu 0xfffe
	s_or_b32 exec_lo, exec_lo, s2
	s_wait_loadcnt 0x0
	s_barrier_signal -1
	s_barrier_wait -1
	global_inv scope:SCOPE_SE
	s_and_saveexec_b32 s1, s0
	s_cbranch_execz .LBB10_103
; %bb.99:
	s_mul_i32 s0, s20, 0x78
	s_mul_i32 s2, s8, s16
	s_wait_alu 0xfffe
	s_ashr_i32 s1, s0, 31
	v_lshrrev_b32_e32 v9, 1, v0
	s_ashr_i32 s3, s2, 31
	s_wait_alu 0xfffe
	s_lshl_b64 s[0:1], s[0:1], 2
	s_lshl_b64 s[2:3], s[2:3], 2
	s_wait_alu 0xfffe
	s_add_nc_u64 s[0:1], s[14:15], s[0:1]
	v_lshlrev_b32_e32 v0, 2, v9
	s_wait_alu 0xfffe
	s_add_nc_u64 s[0:1], s[0:1], s[2:3]
	s_mul_i32 s2, s30, 0x1e0
	s_mov_b32 s3, 0
	s_wait_alu 0xfffe
	s_add_nc_u64 s[2:3], s[0:1], s[2:3]
	s_and_saveexec_b32 s0, vcc_lo
	s_cbranch_execz .LBB10_101
; %bb.100:
	s_clause 0x6
	global_store_b32 v0, v2, s[2:3]
	global_store_b32 v0, v3, s[2:3] offset:64
	global_store_b32 v0, v4, s[2:3] offset:128
	;; [unrolled: 1-line block ×6, first 2 shown]
.LBB10_101:
	s_wait_alu 0xfffe
	s_or_b32 exec_lo, exec_lo, s0
	v_or_b32_e32 v2, 0x70, v9
	s_delay_alu instid0(VALU_DEP_1)
	v_cmp_gt_u32_e64 s0, 0x78, v2
	s_and_b32 s0, vcc_lo, s0
	s_wait_alu 0xfffe
	s_and_b32 exec_lo, exec_lo, s0
	s_cbranch_execz .LBB10_103
; %bb.102:
	global_store_b32 v0, v1, s[2:3] offset:448
.LBB10_103:
	s_endpgm
.LBB10_104:
	v_lshl_add_u32 v10, v42, 2, v9
	ds_load_b32 v10, v10
	s_wait_dscnt 0x0
	v_add_f32_e32 v2, v2, v10
	s_wait_alu 0xfffe
	s_or_b32 exec_lo, exec_lo, s0
	s_and_saveexec_b32 s0, vcc_lo
	s_cbranch_execz .LBB10_72
.LBB10_105:
	v_lshl_add_u32 v10, v42, 2, v9
	ds_load_b32 v10, v10 offset:64
	s_wait_dscnt 0x0
	v_add_f32_e32 v3, v3, v10
	s_wait_alu 0xfffe
	s_or_b32 exec_lo, exec_lo, s0
	s_and_saveexec_b32 s0, vcc_lo
	s_cbranch_execz .LBB10_73
.LBB10_106:
	v_lshl_add_u32 v10, v42, 2, v9
	ds_load_b32 v10, v10 offset:128
	s_wait_dscnt 0x0
	v_add_f32_e32 v4, v4, v10
	s_wait_alu 0xfffe
	s_or_b32 exec_lo, exec_lo, s0
	s_and_saveexec_b32 s0, vcc_lo
	s_cbranch_execz .LBB10_74
.LBB10_107:
	v_lshl_add_u32 v10, v42, 2, v9
	ds_load_b32 v10, v10 offset:192
	s_wait_dscnt 0x0
	v_add_f32_e32 v5, v5, v10
	s_wait_alu 0xfffe
	s_or_b32 exec_lo, exec_lo, s0
	s_and_saveexec_b32 s0, vcc_lo
	s_cbranch_execz .LBB10_75
.LBB10_108:
	v_lshl_add_u32 v10, v42, 2, v9
	ds_load_b32 v10, v10 offset:256
	s_wait_dscnt 0x0
	v_add_f32_e32 v6, v6, v10
	s_wait_alu 0xfffe
	s_or_b32 exec_lo, exec_lo, s0
	s_and_saveexec_b32 s0, vcc_lo
	s_cbranch_execz .LBB10_76
.LBB10_109:
	v_lshl_add_u32 v10, v42, 2, v9
	ds_load_b32 v10, v10 offset:320
	s_wait_dscnt 0x0
	v_add_f32_e32 v7, v7, v10
	s_wait_alu 0xfffe
	s_or_b32 exec_lo, exec_lo, s0
	s_and_saveexec_b32 s0, vcc_lo
	s_cbranch_execnz .LBB10_77
	s_branch .LBB10_78
.LBB10_110:
	ds_load_b32 v10, v9
	s_wait_dscnt 0x0
	v_add_f32_e32 v2, v2, v10
	s_wait_alu 0xfffe
	s_or_b32 exec_lo, exec_lo, s1
	s_and_saveexec_b32 s1, vcc_lo
	s_cbranch_execz .LBB10_89
.LBB10_111:
	ds_load_b32 v10, v9 offset:64
	s_wait_dscnt 0x0
	v_add_f32_e32 v3, v3, v10
	s_wait_alu 0xfffe
	s_or_b32 exec_lo, exec_lo, s1
	s_and_saveexec_b32 s1, vcc_lo
	s_cbranch_execz .LBB10_90
.LBB10_112:
	ds_load_b32 v10, v9 offset:128
	s_wait_dscnt 0x0
	v_add_f32_e32 v4, v4, v10
	s_wait_alu 0xfffe
	s_or_b32 exec_lo, exec_lo, s1
	s_and_saveexec_b32 s1, vcc_lo
	s_cbranch_execz .LBB10_91
.LBB10_113:
	ds_load_b32 v10, v9 offset:192
	s_wait_dscnt 0x0
	v_add_f32_e32 v5, v5, v10
	s_wait_alu 0xfffe
	s_or_b32 exec_lo, exec_lo, s1
	s_and_saveexec_b32 s1, vcc_lo
	s_cbranch_execz .LBB10_92
.LBB10_114:
	ds_load_b32 v10, v9 offset:256
	s_wait_dscnt 0x0
	v_add_f32_e32 v6, v6, v10
	s_wait_alu 0xfffe
	s_or_b32 exec_lo, exec_lo, s1
	s_and_saveexec_b32 s1, vcc_lo
	s_cbranch_execz .LBB10_93
.LBB10_115:
	ds_load_b32 v10, v9 offset:320
	s_wait_dscnt 0x0
	v_add_f32_e32 v7, v7, v10
	s_wait_alu 0xfffe
	s_or_b32 exec_lo, exec_lo, s1
	s_and_saveexec_b32 s1, vcc_lo
	s_cbranch_execnz .LBB10_94
	s_branch .LBB10_95
	.section	.rodata,"a",@progbits
	.p2align	6, 0x0
	.amdhsa_kernel _ZN4vllm25paged_attention_v2_kernelIffLi120ELi8ELi128ELNS_18Fp8KVCacheDataTypeE0ELb1ELi512EEEvPfS2_PT_PKS3_PKT0_S9_ifPKiSB_iPKfiiiSD_SD_iiiii
		.amdhsa_group_segment_fixed_size 512
		.amdhsa_private_segment_fixed_size 0
		.amdhsa_kernarg_size 400
		.amdhsa_user_sgpr_count 2
		.amdhsa_user_sgpr_dispatch_ptr 0
		.amdhsa_user_sgpr_queue_ptr 0
		.amdhsa_user_sgpr_kernarg_segment_ptr 1
		.amdhsa_user_sgpr_dispatch_id 0
		.amdhsa_user_sgpr_private_segment_size 0
		.amdhsa_wavefront_size32 1
		.amdhsa_uses_dynamic_stack 0
		.amdhsa_enable_private_segment 0
		.amdhsa_system_sgpr_workgroup_id_x 1
		.amdhsa_system_sgpr_workgroup_id_y 1
		.amdhsa_system_sgpr_workgroup_id_z 1
		.amdhsa_system_sgpr_workgroup_info 0
		.amdhsa_system_vgpr_workitem_id 0
		.amdhsa_next_free_vgpr 60
		.amdhsa_next_free_sgpr 42
		.amdhsa_reserve_vcc 1
		.amdhsa_float_round_mode_32 0
		.amdhsa_float_round_mode_16_64 0
		.amdhsa_float_denorm_mode_32 3
		.amdhsa_float_denorm_mode_16_64 3
		.amdhsa_fp16_overflow 0
		.amdhsa_workgroup_processor_mode 1
		.amdhsa_memory_ordered 1
		.amdhsa_forward_progress 1
		.amdhsa_inst_pref_size 60
		.amdhsa_round_robin_scheduling 0
		.amdhsa_exception_fp_ieee_invalid_op 0
		.amdhsa_exception_fp_denorm_src 0
		.amdhsa_exception_fp_ieee_div_zero 0
		.amdhsa_exception_fp_ieee_overflow 0
		.amdhsa_exception_fp_ieee_underflow 0
		.amdhsa_exception_fp_ieee_inexact 0
		.amdhsa_exception_int_div_zero 0
	.end_amdhsa_kernel
	.section	.text._ZN4vllm25paged_attention_v2_kernelIffLi120ELi8ELi128ELNS_18Fp8KVCacheDataTypeE0ELb1ELi512EEEvPfS2_PT_PKS3_PKT0_S9_ifPKiSB_iPKfiiiSD_SD_iiiii,"axG",@progbits,_ZN4vllm25paged_attention_v2_kernelIffLi120ELi8ELi128ELNS_18Fp8KVCacheDataTypeE0ELb1ELi512EEEvPfS2_PT_PKS3_PKT0_S9_ifPKiSB_iPKfiiiSD_SD_iiiii,comdat
.Lfunc_end10:
	.size	_ZN4vllm25paged_attention_v2_kernelIffLi120ELi8ELi128ELNS_18Fp8KVCacheDataTypeE0ELb1ELi512EEEvPfS2_PT_PKS3_PKT0_S9_ifPKiSB_iPKfiiiSD_SD_iiiii, .Lfunc_end10-_ZN4vllm25paged_attention_v2_kernelIffLi120ELi8ELi128ELNS_18Fp8KVCacheDataTypeE0ELb1ELi512EEEvPfS2_PT_PKS3_PKT0_S9_ifPKiSB_iPKfiiiSD_SD_iiiii
                                        ; -- End function
	.set _ZN4vllm25paged_attention_v2_kernelIffLi120ELi8ELi128ELNS_18Fp8KVCacheDataTypeE0ELb1ELi512EEEvPfS2_PT_PKS3_PKT0_S9_ifPKiSB_iPKfiiiSD_SD_iiiii.num_vgpr, 60
	.set _ZN4vllm25paged_attention_v2_kernelIffLi120ELi8ELi128ELNS_18Fp8KVCacheDataTypeE0ELb1ELi512EEEvPfS2_PT_PKS3_PKT0_S9_ifPKiSB_iPKfiiiSD_SD_iiiii.num_agpr, 0
	.set _ZN4vllm25paged_attention_v2_kernelIffLi120ELi8ELi128ELNS_18Fp8KVCacheDataTypeE0ELb1ELi512EEEvPfS2_PT_PKS3_PKT0_S9_ifPKiSB_iPKfiiiSD_SD_iiiii.numbered_sgpr, 42
	.set _ZN4vllm25paged_attention_v2_kernelIffLi120ELi8ELi128ELNS_18Fp8KVCacheDataTypeE0ELb1ELi512EEEvPfS2_PT_PKS3_PKT0_S9_ifPKiSB_iPKfiiiSD_SD_iiiii.num_named_barrier, 0
	.set _ZN4vllm25paged_attention_v2_kernelIffLi120ELi8ELi128ELNS_18Fp8KVCacheDataTypeE0ELb1ELi512EEEvPfS2_PT_PKS3_PKT0_S9_ifPKiSB_iPKfiiiSD_SD_iiiii.private_seg_size, 0
	.set _ZN4vllm25paged_attention_v2_kernelIffLi120ELi8ELi128ELNS_18Fp8KVCacheDataTypeE0ELb1ELi512EEEvPfS2_PT_PKS3_PKT0_S9_ifPKiSB_iPKfiiiSD_SD_iiiii.uses_vcc, 1
	.set _ZN4vllm25paged_attention_v2_kernelIffLi120ELi8ELi128ELNS_18Fp8KVCacheDataTypeE0ELb1ELi512EEEvPfS2_PT_PKS3_PKT0_S9_ifPKiSB_iPKfiiiSD_SD_iiiii.uses_flat_scratch, 0
	.set _ZN4vllm25paged_attention_v2_kernelIffLi120ELi8ELi128ELNS_18Fp8KVCacheDataTypeE0ELb1ELi512EEEvPfS2_PT_PKS3_PKT0_S9_ifPKiSB_iPKfiiiSD_SD_iiiii.has_dyn_sized_stack, 0
	.set _ZN4vllm25paged_attention_v2_kernelIffLi120ELi8ELi128ELNS_18Fp8KVCacheDataTypeE0ELb1ELi512EEEvPfS2_PT_PKS3_PKT0_S9_ifPKiSB_iPKfiiiSD_SD_iiiii.has_recursion, 0
	.set _ZN4vllm25paged_attention_v2_kernelIffLi120ELi8ELi128ELNS_18Fp8KVCacheDataTypeE0ELb1ELi512EEEvPfS2_PT_PKS3_PKT0_S9_ifPKiSB_iPKfiiiSD_SD_iiiii.has_indirect_call, 0
	.section	.AMDGPU.csdata,"",@progbits
; Kernel info:
; codeLenInByte = 7652
; TotalNumSgprs: 44
; NumVgprs: 60
; ScratchSize: 0
; MemoryBound: 0
; FloatMode: 240
; IeeeMode: 1
; LDSByteSize: 512 bytes/workgroup (compile time only)
; SGPRBlocks: 0
; VGPRBlocks: 7
; NumSGPRsForWavesPerEU: 44
; NumVGPRsForWavesPerEU: 60
; Occupancy: 16
; WaveLimiterHint : 1
; COMPUTE_PGM_RSRC2:SCRATCH_EN: 0
; COMPUTE_PGM_RSRC2:USER_SGPR: 2
; COMPUTE_PGM_RSRC2:TRAP_HANDLER: 0
; COMPUTE_PGM_RSRC2:TGID_X_EN: 1
; COMPUTE_PGM_RSRC2:TGID_Y_EN: 1
; COMPUTE_PGM_RSRC2:TGID_Z_EN: 1
; COMPUTE_PGM_RSRC2:TIDIG_COMP_CNT: 0
	.section	.text._ZN4vllm32paged_attention_v2_reduce_kernelIfLi120ELi128ELi512EEEvPT_PKfS4_PKS1_PKii,"axG",@progbits,_ZN4vllm32paged_attention_v2_reduce_kernelIfLi120ELi128ELi512EEEvPT_PKfS4_PKS1_PKii,comdat
	.protected	_ZN4vllm32paged_attention_v2_reduce_kernelIfLi120ELi128ELi512EEEvPT_PKfS4_PKS1_PKii ; -- Begin function _ZN4vllm32paged_attention_v2_reduce_kernelIfLi120ELi128ELi512EEEvPT_PKfS4_PKS1_PKii
	.globl	_ZN4vllm32paged_attention_v2_reduce_kernelIfLi120ELi128ELi512EEEvPT_PKfS4_PKS1_PKii
	.p2align	8
	.type	_ZN4vllm32paged_attention_v2_reduce_kernelIfLi120ELi128ELi512EEEvPT_PKfS4_PKS1_PKii,@function
_ZN4vllm32paged_attention_v2_reduce_kernelIfLi120ELi128ELi512EEEvPT_PKfS4_PKS1_PKii: ; @_ZN4vllm32paged_attention_v2_reduce_kernelIfLi120ELi128ELi512EEEvPT_PKfS4_PKS1_PKii
; %bb.0:
	s_load_b128 s[4:7], s[0:1], 0x18
	s_mov_b32 s2, ttmp7
	s_ashr_i32 s3, ttmp7, 31
	s_add_nc_u64 s[8:9], s[0:1], 48
	s_lshl_b64 s[2:3], s[2:3], 2
	s_wait_kmcnt 0x0
	s_add_nc_u64 s[2:3], s[6:7], s[2:3]
	s_load_b32 s18, s[2:3], 0x0
	s_clause 0x2
	s_load_b64 s[6:7], s[0:1], 0x0
	s_load_b32 s14, s[0:1], 0x28
	s_load_b32 s15, s[0:1], 0x30
	s_wait_kmcnt 0x0
	s_add_co_i32 s2, s18, -1
	s_delay_alu instid0(SALU_CYCLE_1)
	s_cmp_gt_u32 s2, 0x1ff
	s_mov_b32 s2, -1
	s_cbranch_scc0 .LBB11_25
; %bb.1:
	s_add_co_i32 s2, s18, 0x1ff
	s_mul_i32 s16, s15, ttmp7
	s_ashr_i32 s3, s2, 31
	v_mov_b32_e32 v3, 0xff7fffff
	s_lshr_b32 s3, s3, 23
	s_mul_i32 s10, s16, s14
	s_add_co_i32 s2, s2, s3
	s_mul_i32 s12, s14, ttmp9
	s_ashr_i32 s17, s2, 9
	s_ashr_i32 s11, s10, 31
	v_cmp_gt_i32_e32 vcc_lo, s17, v0
	s_ashr_i32 s13, s12, 31
	s_and_saveexec_b32 s3, vcc_lo
	s_cbranch_execz .LBB11_5
; %bb.2:
	s_load_b64 s[20:21], s[0:1], 0x10
	s_load_b32 s2, s[8:9], 0xc
	s_lshl_b64 s[22:23], s[10:11], 2
	s_lshl_b64 s[24:25], s[12:13], 2
	v_lshlrev_b32_e32 v1, 2, v0
	s_add_nc_u64 s[22:23], s[22:23], s[24:25]
	v_mov_b32_e32 v3, 0xff7fffff
	s_delay_alu instid0(VALU_DEP_2) | instskip(SKIP_2) | instid1(SALU_CYCLE_1)
	v_dual_mov_b32 v5, v0 :: v_dual_add_nc_u32 v4, 32, v1
	s_wait_kmcnt 0x0
	s_add_nc_u64 s[20:21], s[20:21], s[22:23]
	v_add_co_u32 v1, s19, s20, v1
	s_delay_alu instid0(VALU_DEP_1)
	v_add_co_ci_u32_e64 v2, null, s21, 0, s19
	s_and_b32 s20, s2, 0xffff
	s_mov_b32 s19, 0
	s_wait_alu 0xfffe
	s_lshl_b32 s21, s20, 2
.LBB11_3:                               ; =>This Inner Loop Header: Depth=1
	global_load_b32 v6, v[1:2], off
	v_add_nc_u32_e32 v5, s20, v5
	v_max_num_f32_e32 v3, v3, v3
	s_wait_alu 0xfffe
	v_add_co_u32 v1, s2, v1, s21
	s_wait_alu 0xf1ff
	v_add_co_ci_u32_e64 v2, null, 0, v2, s2
	v_cmp_le_i32_e64 s2, s17, v5
	s_or_b32 s19, s2, s19
	s_wait_loadcnt 0x0
	v_max_num_f32_e32 v7, v6, v6
	ds_store_b32 v4, v6
	v_dual_max_num_f32 v3, v3, v7 :: v_dual_add_nc_u32 v4, s21, v4
	s_wait_alu 0xfffe
	s_and_not1_b32 exec_lo, exec_lo, s19
	s_cbranch_execnz .LBB11_3
; %bb.4:
	s_or_b32 exec_lo, exec_lo, s19
.LBB11_5:
	s_delay_alu instid0(SALU_CYCLE_1)
	s_or_b32 exec_lo, exec_lo, s3
	v_mbcnt_lo_u32_b32 v1, -1, 0
	s_load_b64 s[2:3], s[0:1], 0x8
	s_wait_dscnt 0x0
	s_barrier_signal -1
	s_barrier_wait -1
	v_xor_b32_e32 v2, 16, v1
	v_xor_b32_e32 v4, 8, v1
	global_inv scope:SCOPE_SE
	v_cmp_gt_i32_e64 s0, 32, v2
	s_delay_alu instid0(VALU_DEP_1) | instskip(SKIP_1) | instid1(VALU_DEP_2)
	v_cndmask_b32_e64 v2, v1, v2, s0
	v_cmp_gt_i32_e64 s0, 32, v4
	v_lshlrev_b32_e32 v5, 2, v2
	s_wait_alu 0xf1ff
	s_delay_alu instid0(VALU_DEP_2) | instskip(SKIP_4) | instid1(VALU_DEP_2)
	v_cndmask_b32_e64 v4, v1, v4, s0
	ds_bpermute_b32 v2, v5, v3
	v_lshlrev_b32_e32 v6, 2, v4
	v_xor_b32_e32 v4, 4, v1
	v_max_num_f32_e32 v3, v3, v3
	v_cmp_gt_i32_e64 s0, 32, v4
	s_wait_alu 0xf1ff
	s_delay_alu instid0(VALU_DEP_1) | instskip(NEXT) | instid1(VALU_DEP_1)
	v_cndmask_b32_e64 v4, v1, v4, s0
	v_lshlrev_b32_e32 v7, 2, v4
	v_xor_b32_e32 v4, 2, v1
	s_wait_dscnt 0x0
	v_max_num_f32_e32 v2, v2, v2
	s_delay_alu instid0(VALU_DEP_2) | instskip(NEXT) | instid1(VALU_DEP_2)
	v_cmp_gt_i32_e64 s0, 32, v4
	v_max_num_f32_e32 v2, v3, v2
	s_wait_alu 0xf1ff
	s_delay_alu instid0(VALU_DEP_2) | instskip(SKIP_3) | instid1(VALU_DEP_1)
	v_cndmask_b32_e64 v4, v1, v4, s0
	ds_bpermute_b32 v3, v6, v2
	s_wait_dscnt 0x0
	v_max_num_f32_e32 v3, v3, v3
	v_max_num_f32_e32 v2, v2, v3
	ds_bpermute_b32 v3, v7, v2
	s_wait_dscnt 0x0
	v_dual_max_num_f32 v8, v3, v3 :: v_dual_lshlrev_b32 v3, 2, v4
	s_delay_alu instid0(VALU_DEP_1) | instskip(SKIP_4) | instid1(VALU_DEP_1)
	v_max_num_f32_e32 v2, v2, v8
	v_xor_b32_e32 v8, 1, v1
	ds_bpermute_b32 v4, v3, v2
	v_cmp_gt_i32_e64 s0, 32, v8
	s_wait_alu 0xf1ff
	v_cndmask_b32_e64 v1, v1, v8, s0
	v_lshrrev_b32_e32 v8, 5, v0
	s_delay_alu instid0(VALU_DEP_1) | instskip(SKIP_2) | instid1(VALU_DEP_1)
	v_lshlrev_b32_e32 v8, 2, v8
	s_wait_dscnt 0x0
	v_max_num_f32_e32 v4, v4, v4
	v_max_num_f32_e32 v2, v2, v4
	v_lshlrev_b32_e32 v4, 2, v1
	v_and_b32_e32 v1, 31, v0
	ds_bpermute_b32 v9, v4, v2
	v_cmp_eq_u32_e64 s0, 0, v1
	s_and_saveexec_b32 s1, s0
	s_cbranch_execz .LBB11_7
; %bb.6:
	s_wait_dscnt 0x0
	v_dual_max_num_f32 v9, v9, v9 :: v_dual_max_num_f32 v2, v2, v2
	s_delay_alu instid0(VALU_DEP_1)
	v_max_num_f32_e32 v2, v2, v9
	ds_store_b32 v8, v2
.LBB11_7:
	s_wait_alu 0xfffe
	s_or_b32 exec_lo, exec_lo, s1
	v_cmp_gt_u32_e64 s1, 4, v1
	s_wait_dscnt 0x0
	v_dual_mov_b32 v2, 0xff7fffff :: v_dual_lshlrev_b32 v9, 2, v1
	s_wait_loadcnt 0x0
	s_barrier_signal -1
	s_barrier_wait -1
	global_inv scope:SCOPE_SE
	s_and_saveexec_b32 s19, s1
; %bb.8:
	ds_load_b32 v2, v9
; %bb.9:
	s_wait_alu 0xfffe
	s_or_b32 exec_lo, exec_lo, s19
	s_wait_dscnt 0x0
	ds_bpermute_b32 v1, v3, v2
	v_max_num_f32_e32 v2, v2, v2
	s_lshl_b32 s19, s17, 2
	s_wait_dscnt 0x0
	v_dual_mov_b32 v10, 0 :: v_dual_max_num_f32 v1, v1, v1
	s_delay_alu instid0(VALU_DEP_1) | instskip(SKIP_3) | instid1(VALU_DEP_1)
	v_max_num_f32_e32 v1, v2, v1
	ds_bpermute_b32 v2, v4, v1
	s_wait_dscnt 0x0
	v_max_num_f32_e32 v2, v2, v2
	v_max_num_f32_e32 v1, v1, v2
	ds_bpermute_b32 v11, v10, v1
	s_and_saveexec_b32 s20, vcc_lo
	s_cbranch_execz .LBB11_13
; %bb.10:
	s_load_b32 s21, s[8:9], 0xc
	s_lshl_b64 s[22:23], s[10:11], 2
	s_lshl_b64 s[24:25], s[12:13], 2
	v_dual_mov_b32 v13, v0 :: v_dual_lshlrev_b32 v12, 2, v0
	s_add_nc_u64 s[22:23], s[22:23], s[24:25]
	v_mov_b32_e32 v10, 0
	s_wait_kmcnt 0x0
	s_add_nc_u64 s[2:3], s[2:3], s[22:23]
	s_wait_alu 0xfffe
	v_add_co_u32 v1, s2, s2, v12
	s_wait_alu 0xf1ff
	v_add_co_ci_u32_e64 v2, null, s3, 0, s2
	v_add_nc_u32_e32 v12, 32, v12
	s_mov_b32 s3, 0
	s_and_b32 s11, s21, 0xffff
	s_delay_alu instid0(SALU_CYCLE_1)
	s_lshl_b32 s13, s11, 2
.LBB11_11:                              ; =>This Inner Loop Header: Depth=1
	global_load_b32 v14, v[1:2], off
	ds_load_b32 v15, v12
	s_wait_dscnt 0x0
	v_sub_f32_e32 v15, v15, v11
	s_delay_alu instid0(VALU_DEP_1) | instskip(NEXT) | instid1(VALU_DEP_1)
	v_mul_f32_e32 v16, 0x3fb8aa3b, v15
	v_fma_f32 v17, 0x3fb8aa3b, v15, -v16
	v_rndne_f32_e32 v18, v16
	s_delay_alu instid0(VALU_DEP_1) | instskip(SKIP_1) | instid1(VALU_DEP_4)
	v_sub_f32_e32 v16, v16, v18
	v_cmp_ngt_f32_e32 vcc_lo, 0xc2ce8ed0, v15
	v_fmac_f32_e32 v17, 0x32a5705f, v15
	v_cmp_nlt_f32_e64 s2, 0x42b17218, v15
	s_delay_alu instid0(VALU_DEP_2) | instskip(SKIP_1) | instid1(VALU_DEP_2)
	v_add_f32_e32 v16, v16, v17
	v_cvt_i32_f32_e32 v17, v18
	v_exp_f32_e32 v16, v16
	s_delay_alu instid0(TRANS32_DEP_1) | instskip(SKIP_3) | instid1(VALU_DEP_3)
	v_ldexp_f32 v16, v16, v17
	v_add_nc_u32_e32 v17, s19, v12
	v_add_nc_u32_e32 v12, s13, v12
	s_wait_alu 0xfffd
	v_cndmask_b32_e32 v16, 0, v16, vcc_lo
	v_add_co_u32 v1, vcc_lo, v1, s13
	s_wait_alu 0xfffd
	v_add_co_ci_u32_e64 v2, null, 0, v2, vcc_lo
	s_wait_alu 0xf1ff
	v_cndmask_b32_e64 v15, 0x7f800000, v16, s2
	s_wait_loadcnt 0x0
	s_delay_alu instid0(VALU_DEP_1) | instskip(NEXT) | instid1(VALU_DEP_1)
	v_dual_mul_f32 v16, v14, v15 :: v_dual_add_nc_u32 v13, s11, v13
	v_cmp_le_i32_e32 vcc_lo, s17, v13
	v_fmac_f32_e32 v10, v14, v15
	ds_store_b32 v17, v16
	s_wait_alu 0xfffe
	s_or_b32 s3, vcc_lo, s3
	s_wait_alu 0xfffe
	s_and_not1_b32 exec_lo, exec_lo, s3
	s_cbranch_execnz .LBB11_11
; %bb.12:
	s_or_b32 exec_lo, exec_lo, s3
.LBB11_13:
	s_wait_alu 0xfffe
	s_or_b32 exec_lo, exec_lo, s20
	ds_bpermute_b32 v1, v5, v10
	s_wait_loadcnt_dscnt 0x0
	s_barrier_signal -1
	s_barrier_wait -1
	global_inv scope:SCOPE_SE
	v_add_f32_e32 v1, v10, v1
	ds_bpermute_b32 v2, v6, v1
	s_wait_dscnt 0x0
	v_add_f32_e32 v1, v1, v2
	ds_bpermute_b32 v2, v7, v1
	s_wait_dscnt 0x0
	;; [unrolled: 3-line block ×4, first 2 shown]
	v_add_f32_e32 v1, v1, v2
	s_wait_kmcnt 0x0
	s_and_saveexec_b32 s2, s0
; %bb.14:
	ds_store_b32 v8, v1 offset:16
; %bb.15:
	s_wait_alu 0xfffe
	s_or_b32 exec_lo, exec_lo, s2
	s_wait_loadcnt_dscnt 0x0
	s_barrier_signal -1
	s_barrier_wait -1
	global_inv scope:SCOPE_SE
	s_and_saveexec_b32 s0, s1
; %bb.16:
	ds_load_b32 v1, v9 offset:16
; %bb.17:
	s_wait_alu 0xfffe
	s_or_b32 exec_lo, exec_lo, s0
	s_wait_dscnt 0x0
	ds_bpermute_b32 v2, v3, v1
	s_mov_b32 s0, exec_lo
	s_wait_dscnt 0x0
	v_add_f32_e32 v1, v1, v2
	ds_bpermute_b32 v2, v4, v1
	s_wait_dscnt 0x0
	v_dual_add_f32 v1, v1, v2 :: v_dual_mov_b32 v2, 0
	ds_bpermute_b32 v2, v2, v1
	v_cmpx_gt_u32_e32 0x78, v0
	s_cbranch_execz .LBB11_24
; %bb.18:
	s_cmp_gt_i32 s18, 0
	s_mov_b32 s1, 0
	s_cbranch_scc1 .LBB11_20
; %bb.19:
	v_dual_mov_b32 v1, 0 :: v_dual_mov_b32 v4, 0
	s_wait_alu 0xfffe
	s_and_not1_b32 vcc_lo, exec_lo, s1
	s_wait_alu 0xfffe
	s_cbranch_vccz .LBB11_21
	s_branch .LBB11_23
.LBB11_20:
	v_mov_b32_e32 v4, 0
.LBB11_21:
	s_wait_dscnt 0x0
	v_add_f32_e32 v4, 0x358637bd, v2
	s_mul_i32 s2, s10, 0x78
	s_mul_i32 s10, s12, 0x78
	s_wait_alu 0xfffe
	s_ashr_i32 s3, s2, 31
	s_ashr_i32 s11, s10, 31
	v_div_scale_f32 v2, null, v4, v4, 1.0
	s_wait_alu 0xfffe
	s_lshl_b64 s[2:3], s[2:3], 2
	s_lshl_b64 s[10:11], s[10:11], 2
	s_wait_alu 0xfffe
	s_add_nc_u64 s[2:3], s[2:3], s[10:11]
	v_rcp_f32_e32 v3, v2
	s_wait_alu 0xfffe
	s_add_nc_u64 s[2:3], s[4:5], s[2:3]
	s_delay_alu instid0(TRANS32_DEP_1) | instskip(NEXT) | instid1(VALU_DEP_1)
	v_fma_f32 v1, -v2, v3, 1.0
	v_fmac_f32_e32 v3, v1, v3
	v_div_scale_f32 v5, vcc_lo, 1.0, v4, 1.0
	s_delay_alu instid0(VALU_DEP_1) | instskip(NEXT) | instid1(VALU_DEP_1)
	v_mul_f32_e32 v6, v5, v3
	v_fma_f32 v1, -v2, v6, v5
	s_delay_alu instid0(VALU_DEP_1) | instskip(NEXT) | instid1(VALU_DEP_1)
	v_dual_fmac_f32 v6, v1, v3 :: v_dual_mov_b32 v1, 0
	v_fma_f32 v2, -v2, v6, v5
	v_lshlrev_b32_e32 v5, 2, v0
	s_wait_alu 0xfffd
	s_delay_alu instid0(VALU_DEP_2) | instskip(SKIP_1) | instid1(VALU_DEP_2)
	v_div_fmas_f32 v6, v2, v3, v6
	s_wait_alu 0xfffe
	v_add_co_u32 v2, s1, s2, v5
	s_wait_alu 0xf1ff
	v_add_co_ci_u32_e64 v3, null, s3, 0, s1
	v_div_fixup_f32 v5, v6, v4, 1.0
	v_mov_b32_e32 v4, v1
	s_max_i32 s1, s17, 1
	s_add_co_i32 s2, s19, 32
.LBB11_22:                              ; =>This Inner Loop Header: Depth=1
	global_load_b32 v6, v[2:3], off
	s_wait_alu 0xfffe
	v_mov_b32_e32 v7, s2
	v_add_co_u32 v2, vcc_lo, 0x1e0, v2
	s_wait_alu 0xfffd
	v_add_co_ci_u32_e64 v3, null, 0, v3, vcc_lo
	ds_load_b32 v7, v7
	s_add_co_i32 s1, s1, -1
	s_add_co_i32 s2, s2, 4
	s_wait_alu 0xfffe
	s_cmp_eq_u32 s1, 0
	s_wait_loadcnt_dscnt 0x0
	v_mul_f32_e32 v6, v6, v7
	s_delay_alu instid0(VALU_DEP_1)
	v_fmac_f32_e32 v4, v5, v6
	s_cbranch_scc0 .LBB11_22
.LBB11_23:
	s_mul_i32 s2, s16, 0x78
	s_mul_i32 s10, ttmp9, 0x78
	s_wait_alu 0xfffe
	s_ashr_i32 s3, s2, 31
	s_ashr_i32 s11, s10, 31
	s_wait_alu 0xfffe
	s_lshl_b64 s[2:3], s[2:3], 2
	s_wait_dscnt 0x0
	v_lshlrev_b64_e32 v[1:2], 2, v[0:1]
	s_lshl_b64 s[10:11], s[10:11], 2
	s_wait_alu 0xfffe
	s_add_nc_u64 s[2:3], s[6:7], s[2:3]
	s_wait_alu 0xfffe
	s_add_nc_u64 s[2:3], s[2:3], s[10:11]
	s_wait_alu 0xfffe
	v_add_co_u32 v1, vcc_lo, s2, v1
	s_wait_alu 0xfffd
	v_add_co_ci_u32_e64 v2, null, s3, v2, vcc_lo
	global_store_b32 v[1:2], v4, off
.LBB11_24:
	s_wait_alu 0xfffe
	s_or_b32 exec_lo, exec_lo, s0
	s_mov_b32 s2, 0
.LBB11_25:
	s_wait_alu 0xfffe
	s_and_b32 vcc_lo, exec_lo, s2
	s_wait_alu 0xfffe
	s_cbranch_vccz .LBB11_29
; %bb.26:
	s_mov_b32 s0, exec_lo
	v_cmpx_gt_u32_e32 0x78, v0
	s_cbranch_execz .LBB11_29
; %bb.27:
	s_load_b32 s10, s[8:9], 0xc
	s_mul_i32 s0, s15, ttmp7
	s_wait_alu 0xfffe
	s_mul_i32 s2, ttmp9, 0x78
	s_mulk_i32 s0, 0x78
	s_wait_alu 0xfffe
	s_ashr_i32 s3, s2, 31
	s_ashr_i32 s1, s0, 31
	s_wait_dscnt 0x0
	v_dual_mov_b32 v2, 0 :: v_dual_lshlrev_b32 v1, 2, v0
	s_wait_alu 0xfffe
	s_lshl_b64 s[8:9], s[0:1], 2
	s_mul_i32 s0, s0, s14
	s_add_nc_u64 s[6:7], s[6:7], s[8:9]
	s_lshl_b64 s[8:9], s[2:3], 2
	s_wait_alu 0xfffe
	s_ashr_i32 s1, s0, 31
	s_mul_i32 s2, s2, s14
	s_wait_alu 0xfffe
	s_lshl_b64 s[0:1], s[0:1], 2
	s_ashr_i32 s3, s2, 31
	s_wait_alu 0xfffe
	s_add_nc_u64 s[0:1], s[4:5], s[0:1]
	s_lshl_b64 s[4:5], s[2:3], 2
	s_add_nc_u64 s[2:3], s[6:7], s[8:9]
	s_wait_alu 0xfffe
	s_add_nc_u64 s[4:5], s[0:1], s[4:5]
	s_wait_kmcnt 0x0
	s_and_b32 s1, s10, 0xffff
	s_mov_b32 s6, 0
	s_wait_alu 0xfffe
	s_lshl_b32 s7, s1, 2
.LBB11_28:                              ; =>This Inner Loop Header: Depth=1
	v_add_co_u32 v3, vcc_lo, s4, v1
	s_wait_alu 0xfffd
	v_add_co_ci_u32_e64 v4, null, s5, v2, vcc_lo
	v_add_nc_u32_e32 v0, s1, v0
	global_load_b32 v5, v[3:4], off
	v_add_co_u32 v3, vcc_lo, s2, v1
	s_wait_alu 0xfffd
	v_add_co_ci_u32_e64 v4, null, s3, v2, vcc_lo
	v_cmp_lt_u32_e32 vcc_lo, 0x77, v0
	v_add_co_u32 v1, s0, v1, s7
	s_wait_alu 0xf1ff
	v_add_co_ci_u32_e64 v2, null, 0, v2, s0
	s_or_b32 s6, vcc_lo, s6
	s_wait_loadcnt 0x0
	global_store_b32 v[3:4], v5, off
	s_wait_alu 0xfffe
	s_and_not1_b32 exec_lo, exec_lo, s6
	s_cbranch_execnz .LBB11_28
.LBB11_29:
	s_endpgm
	.section	.rodata,"a",@progbits
	.p2align	6, 0x0
	.amdhsa_kernel _ZN4vllm32paged_attention_v2_reduce_kernelIfLi120ELi128ELi512EEEvPT_PKfS4_PKS1_PKii
		.amdhsa_group_segment_fixed_size 32
		.amdhsa_private_segment_fixed_size 0
		.amdhsa_kernarg_size 304
		.amdhsa_user_sgpr_count 2
		.amdhsa_user_sgpr_dispatch_ptr 0
		.amdhsa_user_sgpr_queue_ptr 0
		.amdhsa_user_sgpr_kernarg_segment_ptr 1
		.amdhsa_user_sgpr_dispatch_id 0
		.amdhsa_user_sgpr_private_segment_size 0
		.amdhsa_wavefront_size32 1
		.amdhsa_uses_dynamic_stack 0
		.amdhsa_enable_private_segment 0
		.amdhsa_system_sgpr_workgroup_id_x 1
		.amdhsa_system_sgpr_workgroup_id_y 1
		.amdhsa_system_sgpr_workgroup_id_z 0
		.amdhsa_system_sgpr_workgroup_info 0
		.amdhsa_system_vgpr_workitem_id 0
		.amdhsa_next_free_vgpr 19
		.amdhsa_next_free_sgpr 26
		.amdhsa_reserve_vcc 1
		.amdhsa_float_round_mode_32 0
		.amdhsa_float_round_mode_16_64 0
		.amdhsa_float_denorm_mode_32 3
		.amdhsa_float_denorm_mode_16_64 3
		.amdhsa_fp16_overflow 0
		.amdhsa_workgroup_processor_mode 1
		.amdhsa_memory_ordered 1
		.amdhsa_forward_progress 1
		.amdhsa_inst_pref_size 17
		.amdhsa_round_robin_scheduling 0
		.amdhsa_exception_fp_ieee_invalid_op 0
		.amdhsa_exception_fp_denorm_src 0
		.amdhsa_exception_fp_ieee_div_zero 0
		.amdhsa_exception_fp_ieee_overflow 0
		.amdhsa_exception_fp_ieee_underflow 0
		.amdhsa_exception_fp_ieee_inexact 0
		.amdhsa_exception_int_div_zero 0
	.end_amdhsa_kernel
	.section	.text._ZN4vllm32paged_attention_v2_reduce_kernelIfLi120ELi128ELi512EEEvPT_PKfS4_PKS1_PKii,"axG",@progbits,_ZN4vllm32paged_attention_v2_reduce_kernelIfLi120ELi128ELi512EEEvPT_PKfS4_PKS1_PKii,comdat
.Lfunc_end11:
	.size	_ZN4vllm32paged_attention_v2_reduce_kernelIfLi120ELi128ELi512EEEvPT_PKfS4_PKS1_PKii, .Lfunc_end11-_ZN4vllm32paged_attention_v2_reduce_kernelIfLi120ELi128ELi512EEEvPT_PKfS4_PKS1_PKii
                                        ; -- End function
	.set _ZN4vllm32paged_attention_v2_reduce_kernelIfLi120ELi128ELi512EEEvPT_PKfS4_PKS1_PKii.num_vgpr, 19
	.set _ZN4vllm32paged_attention_v2_reduce_kernelIfLi120ELi128ELi512EEEvPT_PKfS4_PKS1_PKii.num_agpr, 0
	.set _ZN4vllm32paged_attention_v2_reduce_kernelIfLi120ELi128ELi512EEEvPT_PKfS4_PKS1_PKii.numbered_sgpr, 26
	.set _ZN4vllm32paged_attention_v2_reduce_kernelIfLi120ELi128ELi512EEEvPT_PKfS4_PKS1_PKii.num_named_barrier, 0
	.set _ZN4vllm32paged_attention_v2_reduce_kernelIfLi120ELi128ELi512EEEvPT_PKfS4_PKS1_PKii.private_seg_size, 0
	.set _ZN4vllm32paged_attention_v2_reduce_kernelIfLi120ELi128ELi512EEEvPT_PKfS4_PKS1_PKii.uses_vcc, 1
	.set _ZN4vllm32paged_attention_v2_reduce_kernelIfLi120ELi128ELi512EEEvPT_PKfS4_PKS1_PKii.uses_flat_scratch, 0
	.set _ZN4vllm32paged_attention_v2_reduce_kernelIfLi120ELi128ELi512EEEvPT_PKfS4_PKS1_PKii.has_dyn_sized_stack, 0
	.set _ZN4vllm32paged_attention_v2_reduce_kernelIfLi120ELi128ELi512EEEvPT_PKfS4_PKS1_PKii.has_recursion, 0
	.set _ZN4vllm32paged_attention_v2_reduce_kernelIfLi120ELi128ELi512EEEvPT_PKfS4_PKS1_PKii.has_indirect_call, 0
	.section	.AMDGPU.csdata,"",@progbits
; Kernel info:
; codeLenInByte = 2168
; TotalNumSgprs: 28
; NumVgprs: 19
; ScratchSize: 0
; MemoryBound: 0
; FloatMode: 240
; IeeeMode: 1
; LDSByteSize: 32 bytes/workgroup (compile time only)
; SGPRBlocks: 0
; VGPRBlocks: 2
; NumSGPRsForWavesPerEU: 28
; NumVGPRsForWavesPerEU: 19
; Occupancy: 16
; WaveLimiterHint : 0
; COMPUTE_PGM_RSRC2:SCRATCH_EN: 0
; COMPUTE_PGM_RSRC2:USER_SGPR: 2
; COMPUTE_PGM_RSRC2:TRAP_HANDLER: 0
; COMPUTE_PGM_RSRC2:TGID_X_EN: 1
; COMPUTE_PGM_RSRC2:TGID_Y_EN: 1
; COMPUTE_PGM_RSRC2:TGID_Z_EN: 0
; COMPUTE_PGM_RSRC2:TIDIG_COMP_CNT: 0
	.section	.text._ZN4vllm25paged_attention_v2_kernelIffLi128ELi8ELi128ELNS_18Fp8KVCacheDataTypeE0ELb1ELi512EEEvPfS2_PT_PKS3_PKT0_S9_ifPKiSB_iPKfiiiSD_SD_iiiii,"axG",@progbits,_ZN4vllm25paged_attention_v2_kernelIffLi128ELi8ELi128ELNS_18Fp8KVCacheDataTypeE0ELb1ELi512EEEvPfS2_PT_PKS3_PKT0_S9_ifPKiSB_iPKfiiiSD_SD_iiiii,comdat
	.protected	_ZN4vllm25paged_attention_v2_kernelIffLi128ELi8ELi128ELNS_18Fp8KVCacheDataTypeE0ELb1ELi512EEEvPfS2_PT_PKS3_PKT0_S9_ifPKiSB_iPKfiiiSD_SD_iiiii ; -- Begin function _ZN4vllm25paged_attention_v2_kernelIffLi128ELi8ELi128ELNS_18Fp8KVCacheDataTypeE0ELb1ELi512EEEvPfS2_PT_PKS3_PKT0_S9_ifPKiSB_iPKfiiiSD_SD_iiiii
	.globl	_ZN4vllm25paged_attention_v2_kernelIffLi128ELi8ELi128ELNS_18Fp8KVCacheDataTypeE0ELb1ELi512EEEvPfS2_PT_PKS3_PKT0_S9_ifPKiSB_iPKfiiiSD_SD_iiiii
	.p2align	8
	.type	_ZN4vllm25paged_attention_v2_kernelIffLi128ELi8ELi128ELNS_18Fp8KVCacheDataTypeE0ELb1ELi512EEEvPfS2_PT_PKS3_PKT0_S9_ifPKiSB_iPKfiiiSD_SD_iiiii,@function
_ZN4vllm25paged_attention_v2_kernelIffLi128ELi8ELi128ELNS_18Fp8KVCacheDataTypeE0ELb1ELi512EEEvPfS2_PT_PKS3_PKT0_S9_ifPKiSB_iPKfiiiSD_SD_iiiii: ; @_ZN4vllm25paged_attention_v2_kernelIffLi128ELi8ELi128ELNS_18Fp8KVCacheDataTypeE0ELb1ELi512EEEvPfS2_PT_PKS3_PKT0_S9_ifPKiSB_iPKfiiiSD_SD_iiiii
; %bb.0:
	s_load_b64 s[2:3], s[0:1], 0x40
	s_and_b32 s22, ttmp7, 0xffff
	s_lshr_b32 s33, ttmp7, 16
	s_lshl_b32 s4, s22, 2
	s_lshl_b32 s16, s33, 9
	s_wait_kmcnt 0x0
	s_load_b32 s17, s[2:3], s4 offset:0x0
	s_wait_kmcnt 0x0
	s_cmp_ge_i32 s16, s17
	s_cbranch_scc1 .LBB12_88
; %bb.1:
	s_clause 0x1
	s_load_b32 s23, s[0:1], 0x90
	s_load_b64 s[6:7], s[0:1], 0x30
	s_wait_kmcnt 0x0
	s_abs_i32 s5, s23
	s_abs_i32 s2, s6
	s_delay_alu instid0(SALU_CYCLE_1) | instskip(SKIP_1) | instid1(SALU_CYCLE_2)
	s_cvt_f32_u32 s3, s2
	s_sub_co_i32 s4, 0, s2
	v_rcp_iflag_f32_e32 v1, s3
	s_delay_alu instid0(TRANS32_DEP_1) | instskip(SKIP_2) | instid1(SALU_CYCLE_2)
	v_readfirstlane_b32 s3, v1
	s_mul_f32 s3, s3, 0x4f7ffffe
	s_wait_alu 0xfffe
	s_cvt_u32_f32 s3, s3
	s_wait_alu 0xfffe
	s_delay_alu instid0(SALU_CYCLE_2) | instskip(NEXT) | instid1(SALU_CYCLE_1)
	s_mul_i32 s4, s4, s3
	s_mul_hi_u32 s4, s3, s4
	s_delay_alu instid0(SALU_CYCLE_1)
	s_add_co_i32 s3, s3, s4
	s_xor_b32 s4, s23, s6
	s_wait_alu 0xfffe
	s_mul_hi_u32 s3, s5, s3
	s_ashr_i32 s4, s4, 31
	s_wait_alu 0xfffe
	s_mul_i32 s8, s3, s2
	s_delay_alu instid0(SALU_CYCLE_1)
	s_sub_co_i32 s5, s5, s8
	s_add_co_i32 s8, s3, 1
	s_sub_co_i32 s9, s5, s2
	s_cmp_ge_u32 s5, s2
	s_cselect_b32 s3, s8, s3
	s_cselect_b32 s5, s9, s5
	s_wait_alu 0xfffe
	s_add_co_i32 s8, s3, 1
	s_cmp_ge_u32 s5, s2
	s_cselect_b32 s2, s8, s3
	s_load_b64 s[8:9], s[0:1], 0x50
	s_xor_b32 s2, s2, s4
	s_mov_b32 s3, 0
	s_wait_alu 0xfffe
	s_sub_co_i32 s10, s2, s4
	s_mov_b32 s15, s3
	s_abs_i32 s20, s10
	s_delay_alu instid0(SALU_CYCLE_1) | instskip(SKIP_1) | instid1(SALU_CYCLE_2)
	s_cvt_f32_u32 s2, s20
	s_wait_alu 0xfffe
	v_rcp_iflag_f32_e32 v1, s2
	s_delay_alu instid0(TRANS32_DEP_1) | instskip(SKIP_2) | instid1(SALU_CYCLE_2)
	v_readfirstlane_b32 s2, v1
	s_mul_f32 s2, s2, 0x4f7ffffe
	s_wait_alu 0xfffe
	s_cvt_u32_f32 s4, s2
	s_sub_co_i32 s2, 0, s20
	s_wait_alu 0xfffe
	s_delay_alu instid0(SALU_CYCLE_1)
	s_mul_i32 s2, s2, s4
	s_wait_alu 0xfffe
	s_mul_hi_u32 s5, s4, s2
	s_abs_i32 s2, ttmp9
	s_add_co_i32 s4, s4, s5
	s_mov_b32 s5, s3
	s_wait_kmcnt 0x0
	s_cmp_eq_u64 s[8:9], 0
	s_cbranch_scc1 .LBB12_3
; %bb.2:
	s_mov_b32 s12, ttmp9
	s_ashr_i32 s13, ttmp9, 31
	s_delay_alu instid0(SALU_CYCLE_1) | instskip(NEXT) | instid1(SALU_CYCLE_1)
	s_lshl_b64 s[12:13], s[12:13], 2
	s_add_nc_u64 s[8:9], s[8:9], s[12:13]
	s_load_b32 s15, s[8:9], 0x0
.LBB12_3:
	s_load_b96 s[12:14], s[0:1], 0x58
	v_and_b32_e32 v1, 3, v0
	v_lshlrev_b32_e32 v3, 2, v0
	s_mul_u64 s[4:5], s[2:3], s[4:5]
	s_ashr_i32 s3, ttmp9, 31
	s_ashr_i32 s4, s10, 31
	s_lshl_b32 s18, ttmp9, 7
	s_mov_b32 s8, exec_lo
	v_cmpx_gt_u32_e32 0x80, v0
	s_cbranch_execz .LBB12_5
; %bb.4:
	s_load_b64 s[10:11], s[0:1], 0x18
	s_wait_kmcnt 0x0
	s_mul_i32 s24, s12, s22
	s_ashr_i32 s19, s18, 31
	s_ashr_i32 s25, s24, 31
	v_and_b32_e32 v4, 0x3fc, v0
	s_lshl_b64 s[24:25], s[24:25], 2
	s_delay_alu instid0(VALU_DEP_1) | instskip(SKIP_2) | instid1(SALU_CYCLE_1)
	v_lshl_add_u32 v4, v1, 7, v4
	s_add_nc_u64 s[10:11], s[10:11], s[24:25]
	s_lshl_b64 s[24:25], s[18:19], 2
	s_add_nc_u64 s[10:11], s[10:11], s[24:25]
	global_load_b32 v2, v3, s[10:11]
	s_wait_loadcnt 0x0
	ds_store_b32 v4, v2
.LBB12_5:
	s_or_b32 exec_lo, exec_lo, s8
	s_clause 0x1
	s_load_b128 s[8:11], s[0:1], 0x78
	s_load_b32 s24, s[0:1], 0x88
	s_wait_kmcnt 0x0
	s_mul_i32 s12, s5, s20
	s_xor_b32 s3, s3, s4
	s_sub_co_i32 s2, s2, s12
	s_add_co_i32 s4, s5, 1
	s_wait_alu 0xfffe
	s_sub_co_i32 s12, s2, s20
	s_cmp_ge_u32 s2, s20
	s_mov_b32 s26, -1
	s_cselect_b32 s4, s4, s5
	s_cselect_b32 s2, s12, s2
	s_add_co_i32 s5, s4, 1
	s_wait_alu 0xfffe
	s_cmp_ge_u32 s2, s20
	s_wait_dscnt 0x0
	s_cselect_b32 s2, s5, s4
	s_add_co_i32 s25, s17, -1
	s_wait_alu 0xfffe
	s_xor_b32 s2, s2, s3
	s_barrier_signal -1
	s_wait_alu 0xfffe
	s_sub_co_i32 s28, s2, s3
	s_barrier_wait -1
	s_abs_i32 s12, s11
	global_inv scope:SCOPE_SE
	s_cvt_f32_u32 s4, s12
                                        ; implicit-def: $sgpr19
	s_delay_alu instid0(SALU_CYCLE_3) | instskip(NEXT) | instid1(TRANS32_DEP_1)
	v_rcp_iflag_f32_e32 v2, s4
	v_readfirstlane_b32 s4, v2
	s_mul_f32 s2, s4, 0x4f7ffffe
	s_wait_alu 0xfffe
	s_delay_alu instid0(SALU_CYCLE_2) | instskip(SKIP_2) | instid1(SALU_CYCLE_1)
	s_cvt_u32_f32 s4, s2
	s_sub_co_i32 s2, 0, s12
	s_wait_alu 0xfffe
	s_mul_i32 s3, s2, s4
	s_abs_i32 s2, s25
	s_wait_alu 0xfffe
	s_mul_hi_u32 s5, s4, s3
	s_mov_b32 s3, 0
	s_wait_alu 0xfffe
	s_add_co_i32 s20, s4, s5
	s_cmp_lt_i32 s24, 0
	s_mov_b32 s21, s3
	s_cbranch_scc0 .LBB12_7
; %bb.6:
	s_mul_i32 s4, s8, s6
	s_mov_b32 s26, s3
	s_wait_alu 0xfffe
	s_add_co_i32 s4, s28, s4
	s_wait_alu 0xfffe
	s_mul_i32 s4, s4, s24
	s_wait_alu 0xfffe
	s_sub_co_i32 s19, 1, s4
.LBB12_7:
	s_mul_u64 s[4:5], s[2:3], s[20:21]
	s_ashr_i32 s3, s25, 31
	s_and_not1_b32 vcc_lo, exec_lo, s26
	s_ashr_i32 s11, s11, 31
	s_cbranch_vccnz .LBB12_9
; %bb.8:
	s_mul_i32 s4, s23, s8
	s_wait_alu 0xfffe
	s_add_co_i32 s4, s4, ttmp9
	s_wait_alu 0xfffe
	s_mul_i32 s4, s4, s24
	s_wait_alu 0xfffe
	s_add_co_i32 s19, s4, 1
.LBB12_9:
	s_clause 0x2
	s_load_b32 s4, s[0:1], 0x48
	s_load_b64 s[24:25], s[0:1], 0x38
	s_load_b32 s8, s[0:1], 0x98
	s_mul_i32 s6, s5, s12
	s_xor_b32 s3, s3, s11
	s_sub_co_i32 s2, s2, s6
	s_add_co_i32 s21, s5, 1
	v_lshrrev_b32_e32 v39, 5, v0
	v_mbcnt_lo_u32_b32 v5, -1, 0
	s_mul_i32 s28, s28, s14
	s_delay_alu instid0(VALU_DEP_2)
	v_lshl_add_u32 v40, v39, 3, s16
	s_wait_kmcnt 0x0
	s_mul_i32 s26, s4, s22
	s_wait_alu 0xfffe
	s_sub_co_i32 s4, s2, s12
	s_ashr_i32 s27, s26, 31
	s_cmp_ge_u32 s2, s12
	s_cselect_b32 s5, s21, s5
	s_wait_alu 0xfffe
	s_cselect_b32 s2, s4, s2
	s_add_co_i32 s4, s5, 1
	s_wait_alu 0xfffe
	s_cmp_ge_u32 s2, s12
	s_cselect_b32 s2, s4, s5
	s_add_co_i32 s4, s17, 7
	s_lshl_b32 s36, s33, 6
	s_wait_alu 0xfffe
	s_ashr_i32 s5, s4, 31
	v_or_b32_e32 v41, s36, v39
	s_wait_alu 0xfffe
	s_lshr_b32 s5, s5, 29
	v_mov_b32_e32 v7, 0xff7fffff
	s_wait_alu 0xfffe
	s_add_co_i32 s4, s4, s5
	s_add_co_i32 s5, s36, 64
	s_wait_alu 0xfffe
	s_ashr_i32 s34, s4, 3
	s_xor_b32 s4, s2, s3
	s_min_i32 s21, s5, s34
	v_lshlrev_b32_e32 v4, 2, v41
	v_cmp_gt_i32_e64 s2, s21, v41
	s_wait_alu 0xfffe
	s_sub_co_i32 s35, s4, s3
	s_and_saveexec_b32 s6, s2
	s_cbranch_execz .LBB12_21
; %bb.10:
	s_ashr_i32 s29, s28, 31
	s_sub_co_i32 s14, s35, s9
	s_lshl_b64 s[4:5], s[28:29], 2
	s_cmp_neq_f32 s15, 0
	s_load_b64 s[38:39], s[0:1], 0x20
	v_bfe_u32 v6, v0, 2, 3
	v_dual_mov_b32 v14, 0xff7fffff :: v_dual_lshlrev_b32 v7, 2, v1
	s_cselect_b32 vcc_lo, -1, 0
	s_abs_i32 s29, s10
	v_lshlrev_b32_e32 v8, 7, v1
	s_cvt_f32_u32 s3, s29
	v_lshlrev_b32_e32 v9, 4, v6
	s_lshl_b64 s[40:41], s[26:27], 2
	v_subrev_nc_u32_e32 v12, s17, v6
	s_wait_alu 0xfffe
	v_rcp_iflag_f32_e32 v2, s3
	v_cmp_eq_u32_e64 s3, 0, v1
	v_lshlrev_b32_e32 v1, 2, v6
	s_add_nc_u64 s[40:41], s[24:25], s[40:41]
	s_sub_co_i32 s37, 0, s29
	v_lshl_add_u32 v11, v39, 3, s16
	v_dual_mov_b32 v17, v41 :: v_dual_add_nc_u32 v12, 1, v12
	v_lshl_or_b32 v13, v39, 5, v1
	s_wait_kmcnt 0x0
	s_add_nc_u64 s[4:5], s[38:39], s[4:5]
	v_readfirstlane_b32 s31, v2
	s_wait_alu 0xfffe
	v_add_co_u32 v1, s4, s4, v9
	s_wait_alu 0xf1ff
	v_add_co_ci_u32_e64 v2, null, s5, 0, s4
	s_mul_f32 s31, s31, 0x4f7ffffe
	v_add_co_u32 v9, s4, v1, v7
	s_wait_alu 0xf1ff
	v_add_co_ci_u32_e64 v10, null, 0, v2, s4
	s_cvt_u32_f32 s5, s31
	v_add_co_u32 v1, s4, s40, v4
	s_wait_alu 0xf1ff
	v_add_co_ci_u32_e64 v2, null, s41, 0, s4
	s_wait_alu 0xfffe
	s_mul_i32 s37, s37, s5
	v_add_nc_u32_e32 v13, 0x220, v13
	v_xor_b32_e32 v15, 2, v5
	v_xor_b32_e32 v16, 1, v5
	v_mov_b32_e32 v7, 0xff7fffff
	s_wait_alu 0xfffe
	s_mul_hi_u32 s4, s5, s37
	s_mov_b32 s30, 0
	s_mov_b32 s31, s13
	s_wait_alu 0xfffe
	s_add_co_i32 s37, s5, s4
	s_branch .LBB12_13
.LBB12_11:                              ;   in Loop: Header=BB12_13 Depth=1
	s_or_b32 exec_lo, exec_lo, s38
.LBB12_12:                              ;   in Loop: Header=BB12_13 Depth=1
	s_wait_alu 0xfffe
	s_or_b32 exec_lo, exec_lo, s5
	v_add_nc_u32_e32 v17, 4, v17
	v_add_co_u32 v1, s5, v1, 16
	s_wait_alu 0xf1ff
	v_add_co_ci_u32_e64 v2, null, 0, v2, s5
	s_delay_alu instid0(VALU_DEP_3)
	v_cmp_le_i32_e64 s4, s21, v17
	v_add_nc_u32_e32 v11, 32, v11
	v_add_nc_u32_e32 v13, 0x80, v13
	s_or_b32 s30, s4, s30
	s_wait_alu 0xfffe
	s_and_not1_b32 exec_lo, exec_lo, s30
	s_cbranch_execz .LBB12_20
.LBB12_13:                              ; =>This Inner Loop Header: Depth=1
	v_sub_nc_u32_e32 v18, 0, v11
	s_delay_alu instid0(VALU_DEP_1) | instskip(SKIP_1) | instid1(VALU_DEP_1)
	v_max_i32_e32 v18, v11, v18
	s_wait_dscnt 0x0
	v_mul_hi_u32 v19, v18, s20
	s_delay_alu instid0(VALU_DEP_1) | instskip(NEXT) | instid1(VALU_DEP_1)
	v_mul_lo_u32 v20, v19, s12
	v_sub_nc_u32_e32 v18, v18, v20
	v_add_nc_u32_e32 v20, 1, v19
	s_delay_alu instid0(VALU_DEP_2) | instskip(SKIP_2) | instid1(VALU_DEP_1)
	v_subrev_nc_u32_e32 v21, s12, v18
	v_cmp_le_u32_e64 s4, s12, v18
	s_wait_alu 0xf1ff
	v_cndmask_b32_e64 v19, v19, v20, s4
	s_delay_alu instid0(VALU_DEP_3) | instskip(SKIP_1) | instid1(VALU_DEP_3)
	v_cndmask_b32_e64 v18, v18, v21, s4
	v_ashrrev_i32_e32 v20, 31, v11
	v_add_nc_u32_e32 v21, 1, v19
	s_delay_alu instid0(VALU_DEP_3) | instskip(NEXT) | instid1(VALU_DEP_3)
	v_cmp_le_u32_e64 s4, s12, v18
	v_xor_b32_e32 v20, s11, v20
	s_wait_alu 0xf1ff
	s_delay_alu instid0(VALU_DEP_2) | instskip(NEXT) | instid1(VALU_DEP_1)
	v_cndmask_b32_e64 v18, v19, v21, s4
	v_xor_b32_e32 v18, v18, v20
	s_delay_alu instid0(VALU_DEP_1) | instskip(NEXT) | instid1(VALU_DEP_1)
	v_sub_nc_u32_e32 v18, v18, v20
	v_add_nc_u32_e32 v19, s19, v18
	v_cmp_ge_i32_e64 s5, s14, v18
	s_delay_alu instid0(VALU_DEP_2) | instskip(NEXT) | instid1(VALU_DEP_1)
	v_sub_nc_u32_e32 v20, 0, v19
	v_max_i32_e32 v20, v19, v20
	v_ashrrev_i32_e32 v19, 31, v19
	s_wait_alu 0xfffe
	s_delay_alu instid0(VALU_DEP_2) | instskip(NEXT) | instid1(VALU_DEP_1)
	v_mul_hi_u32 v21, v20, s37
	v_mul_lo_u32 v21, v21, s29
	s_delay_alu instid0(VALU_DEP_1) | instskip(NEXT) | instid1(VALU_DEP_1)
	v_sub_nc_u32_e32 v20, v20, v21
	v_subrev_nc_u32_e32 v21, s29, v20
	v_cmp_le_u32_e64 s4, s29, v20
	s_wait_alu 0xf1ff
	s_delay_alu instid0(VALU_DEP_1) | instskip(NEXT) | instid1(VALU_DEP_1)
	v_cndmask_b32_e64 v20, v20, v21, s4
	v_subrev_nc_u32_e32 v21, s29, v20
	v_cmp_le_u32_e64 s4, s29, v20
	s_wait_alu 0xf1ff
	s_delay_alu instid0(VALU_DEP_1) | instskip(NEXT) | instid1(VALU_DEP_1)
	v_cndmask_b32_e64 v20, v20, v21, s4
	v_xor_b32_e32 v20, v20, v19
	s_delay_alu instid0(VALU_DEP_1) | instskip(NEXT) | instid1(VALU_DEP_1)
	v_sub_nc_u32_e32 v19, v20, v19
	v_cmp_ne_u32_e64 s4, 0, v19
	s_and_b32 s4, s4, s5
	s_wait_alu 0xfffe
	s_and_saveexec_b32 s5, s4
	s_wait_alu 0xfffe
	s_xor_b32 s4, exec_lo, s5
	s_cbranch_execz .LBB12_17
; %bb.14:                               ;   in Loop: Header=BB12_13 Depth=1
	s_and_saveexec_b32 s5, s3
; %bb.15:                               ;   in Loop: Header=BB12_13 Depth=1
	ds_store_b32 v13, v14
; %bb.16:                               ;   in Loop: Header=BB12_13 Depth=1
	s_wait_alu 0xfffe
	s_or_b32 exec_lo, exec_lo, s5
.LBB12_17:                              ;   in Loop: Header=BB12_13 Depth=1
	s_wait_alu 0xfffe
	s_and_not1_saveexec_b32 s5, s4
	s_cbranch_execz .LBB12_12
; %bb.18:                               ;   in Loop: Header=BB12_13 Depth=1
	global_load_b32 v18, v[1:2], off
	s_wait_loadcnt 0x0
	v_mad_co_i64_i32 v[18:19], null, v18, s31, 0
	s_delay_alu instid0(VALU_DEP_1) | instskip(NEXT) | instid1(VALU_DEP_1)
	v_lshlrev_b64_e32 v[18:19], 2, v[18:19]
	v_add_co_u32 v18, s4, v9, v18
	s_wait_alu 0xf1ff
	s_delay_alu instid0(VALU_DEP_2)
	v_add_co_ci_u32_e64 v19, null, v10, v19, s4
	v_cmp_gt_i32_e64 s4, 32, v15
	s_clause 0x1f
	global_load_b32 v26, v[18:19], off offset:128
	global_load_b32 v27, v[18:19], off
	global_load_b32 v28, v[18:19], off offset:256
	global_load_b32 v29, v[18:19], off offset:384
	;; [unrolled: 1-line block ×30, first 2 shown]
	ds_load_b128 v[18:21], v8
	ds_load_b128 v[22:25], v8 offset:16
	s_wait_loadcnt_dscnt 0x1f01
	v_mul_f32_e32 v26, v19, v26
	s_wait_loadcnt 0x1e
	s_delay_alu instid0(VALU_DEP_1) | instskip(SKIP_1) | instid1(VALU_DEP_1)
	v_fmac_f32_e32 v26, v18, v27
	s_wait_loadcnt 0x1d
	v_fmac_f32_e32 v26, v20, v28
	s_wait_loadcnt 0x1c
	s_delay_alu instid0(VALU_DEP_1) | instskip(SKIP_4) | instid1(VALU_DEP_1)
	v_fmac_f32_e32 v26, v21, v29
	ds_load_b128 v[18:21], v8 offset:32
	s_wait_loadcnt_dscnt 0x1b01
	v_fmac_f32_e32 v26, v22, v30
	s_wait_loadcnt 0x1a
	v_fmac_f32_e32 v26, v23, v31
	s_wait_loadcnt 0x19
	s_delay_alu instid0(VALU_DEP_1) | instskip(SKIP_1) | instid1(VALU_DEP_1)
	v_fmac_f32_e32 v26, v24, v32
	s_wait_loadcnt 0x18
	v_fmac_f32_e32 v26, v25, v33
	ds_load_b128 v[22:25], v8 offset:48
	s_wait_loadcnt_dscnt 0x1701
	v_fmac_f32_e32 v26, v18, v34
	s_wait_loadcnt 0x16
	s_delay_alu instid0(VALU_DEP_1) | instskip(SKIP_1) | instid1(VALU_DEP_1)
	v_fmac_f32_e32 v26, v19, v35
	s_wait_loadcnt 0x15
	v_fmac_f32_e32 v26, v20, v36
	s_wait_loadcnt 0x14
	s_delay_alu instid0(VALU_DEP_1) | instskip(SKIP_4) | instid1(VALU_DEP_1)
	v_fmac_f32_e32 v26, v21, v37
	ds_load_b128 v[18:21], v8 offset:64
	s_wait_loadcnt_dscnt 0x1301
	v_fmac_f32_e32 v26, v22, v38
	s_wait_loadcnt 0x12
	v_fmac_f32_e32 v26, v23, v42
	s_wait_loadcnt 0x11
	s_delay_alu instid0(VALU_DEP_1) | instskip(SKIP_1) | instid1(VALU_DEP_1)
	v_fmac_f32_e32 v26, v24, v43
	s_wait_loadcnt 0x10
	v_fmac_f32_e32 v26, v25, v44
	ds_load_b128 v[22:25], v8 offset:80
	s_wait_loadcnt_dscnt 0xf01
	v_fmac_f32_e32 v26, v18, v45
	;; [unrolled: 21-line block ×3, first 2 shown]
	s_wait_alu 0xf1ff
	v_cndmask_b32_e64 v18, v5, v15, s4
	v_cmp_gt_i32_e64 s4, 32, v16
	s_wait_loadcnt 0x6
	v_fmac_f32_e32 v26, v19, v54
	s_delay_alu instid0(VALU_DEP_3)
	v_lshlrev_b32_e32 v18, 2, v18
	s_wait_alu 0xf1ff
	v_cndmask_b32_e64 v19, v5, v16, s4
	s_wait_loadcnt 0x5
	v_fmac_f32_e32 v26, v20, v55
	s_wait_loadcnt 0x4
	s_delay_alu instid0(VALU_DEP_1) | instskip(SKIP_1) | instid1(VALU_DEP_1)
	v_dual_fmac_f32 v26, v21, v56 :: v_dual_lshlrev_b32 v19, 2, v19
	s_wait_loadcnt_dscnt 0x300
	v_fmac_f32_e32 v26, v22, v57
	s_wait_loadcnt 0x2
	s_delay_alu instid0(VALU_DEP_1) | instskip(SKIP_1) | instid1(VALU_DEP_1)
	v_fmac_f32_e32 v26, v23, v58
	s_wait_loadcnt 0x1
	v_fmac_f32_e32 v26, v24, v59
	s_wait_loadcnt 0x0
	s_delay_alu instid0(VALU_DEP_1)
	v_fmac_f32_e32 v26, v25, v60
	ds_bpermute_b32 v18, v18, v26
	s_wait_dscnt 0x0
	v_add_f32_e32 v18, v26, v18
	ds_bpermute_b32 v19, v19, v18
	s_and_saveexec_b32 s38, s3
	s_cbranch_execz .LBB12_11
; %bb.19:                               ;   in Loop: Header=BB12_13 Depth=1
	s_wait_dscnt 0x0
	v_add_f32_e32 v18, v18, v19
	v_add_nc_u32_e32 v20, v12, v11
	s_delay_alu instid0(VALU_DEP_1) | instskip(NEXT) | instid1(VALU_DEP_1)
	v_cvt_f32_i32_e32 v20, v20
	v_mul_f32_e32 v20, s15, v20
	s_delay_alu instid0(VALU_DEP_1) | instskip(NEXT) | instid1(VALU_DEP_1)
	v_dual_cndmask_b32 v19, 0, v20 :: v_dual_max_num_f32 v20, v7, v7
	v_dual_fmac_f32 v19, s7, v18 :: v_dual_add_nc_u32 v18, v6, v11
	s_delay_alu instid0(VALU_DEP_1) | instskip(NEXT) | instid1(VALU_DEP_2)
	v_max_num_f32_e32 v20, v20, v19
	v_cmp_gt_i32_e64 s4, s17, v18
	s_wait_alu 0xf1ff
	s_delay_alu instid0(VALU_DEP_1) | instskip(NEXT) | instid1(VALU_DEP_3)
	v_cndmask_b32_e64 v18, 0, v19, s4
	v_cndmask_b32_e64 v7, v7, v20, s4
	ds_store_b32 v13, v18
	s_branch .LBB12_11
.LBB12_20:
	s_or_b32 exec_lo, exec_lo, s30
.LBB12_21:
	s_delay_alu instid0(SALU_CYCLE_1)
	s_or_b32 exec_lo, exec_lo, s6
	v_xor_b32_e32 v1, 16, v5
	v_xor_b32_e32 v6, 8, v5
	;; [unrolled: 1-line block ×3, first 2 shown]
	s_clause 0x2
	s_load_b128 s[4:7], s[0:1], 0x0
	s_load_b64 s[14:15], s[0:1], 0x10
	s_load_b64 s[30:31], s[0:1], 0x28
	v_and_b32_e32 v42, 31, v0
	v_cmp_gt_i32_e32 vcc_lo, 32, v1
	s_wait_alu 0xfffd
	v_cndmask_b32_e32 v1, v5, v1, vcc_lo
	v_cmp_gt_i32_e32 vcc_lo, 32, v6
	s_wait_alu 0xfffd
	v_cndmask_b32_e32 v6, v5, v6, vcc_lo
	v_cmp_gt_i32_e32 vcc_lo, 32, v8
	s_delay_alu instid0(VALU_DEP_2)
	v_lshlrev_b32_e32 v6, 2, v6
	v_lshlrev_b32_e32 v2, 2, v1
	s_wait_alu 0xfffd
	v_cndmask_b32_e32 v8, v5, v8, vcc_lo
	v_cmp_eq_u32_e32 vcc_lo, 0, v42
	ds_bpermute_b32 v1, v2, v7
	v_max_num_f32_e32 v7, v7, v7
	v_lshlrev_b32_e32 v9, 2, v8
	s_wait_dscnt 0x0
	v_max_num_f32_e32 v1, v1, v1
	s_delay_alu instid0(VALU_DEP_1) | instskip(SKIP_3) | instid1(VALU_DEP_1)
	v_max_num_f32_e32 v1, v7, v1
	ds_bpermute_b32 v7, v6, v1
	s_wait_dscnt 0x0
	v_max_num_f32_e32 v7, v7, v7
	v_max_num_f32_e32 v1, v1, v7
	v_lshlrev_b32_e32 v7, 2, v39
	ds_bpermute_b32 v8, v9, v1
	s_and_saveexec_b32 s0, vcc_lo
	s_cbranch_execz .LBB12_23
; %bb.22:
	s_wait_dscnt 0x0
	v_dual_max_num_f32 v8, v8, v8 :: v_dual_max_num_f32 v1, v1, v1
	s_delay_alu instid0(VALU_DEP_1)
	v_max_num_f32_e32 v1, v1, v8
	ds_store_b32 v7, v1 offset:512
.LBB12_23:
	s_or_b32 exec_lo, exec_lo, s0
	v_cmp_gt_u32_e64 s0, 4, v42
	s_wait_dscnt 0x0
	v_dual_mov_b32 v1, 0xff7fffff :: v_dual_lshlrev_b32 v8, 2, v42
	s_wait_loadcnt 0x0
	s_barrier_signal -1
	s_barrier_wait -1
	global_inv scope:SCOPE_SE
	s_and_saveexec_b32 s1, s0
; %bb.24:
	ds_load_b32 v1, v8 offset:512
; %bb.25:
	s_or_b32 exec_lo, exec_lo, s1
	v_xor_b32_e32 v10, 2, v5
	v_xor_b32_e32 v12, 1, v5
	s_delay_alu instid0(VALU_DEP_2) | instskip(NEXT) | instid1(VALU_DEP_1)
	v_cmp_gt_i32_e64 s1, 32, v10
	v_cndmask_b32_e64 v10, v5, v10, s1
	s_delay_alu instid0(VALU_DEP_3) | instskip(NEXT) | instid1(VALU_DEP_2)
	v_cmp_gt_i32_e64 s1, 32, v12
	v_lshlrev_b32_e32 v10, 2, v10
	s_wait_alu 0xf1ff
	s_delay_alu instid0(VALU_DEP_2)
	v_cndmask_b32_e64 v5, v5, v12, s1
	s_sub_co_i32 s1, s21, s36
	s_wait_alu 0xfffe
	s_lshl_b32 s1, s1, 3
	s_wait_dscnt 0x0
	ds_bpermute_b32 v11, v10, v1
	v_max_num_f32_e32 v1, v1, v1
	v_lshlrev_b32_e32 v43, 2, v5
	s_wait_alu 0xfffe
	s_add_co_i32 s1, s1, s16
	s_wait_alu 0xfffe
	s_min_i32 s1, s1, s17
	s_wait_alu 0xfffe
	s_sub_co_i32 s29, s1, s16
	s_wait_alu 0xfffe
	v_cmp_gt_i32_e64 s1, s29, v0
	s_wait_dscnt 0x0
	v_max_num_f32_e32 v11, v11, v11
	s_delay_alu instid0(VALU_DEP_1) | instskip(SKIP_4) | instid1(VALU_DEP_1)
	v_max_num_f32_e32 v1, v1, v11
	v_mov_b32_e32 v11, 0
	ds_bpermute_b32 v5, v43, v1
	s_wait_dscnt 0x0
	v_max_num_f32_e32 v5, v5, v5
	v_max_num_f32_e32 v1, v1, v5
	v_lshl_add_u32 v5, v0, 2, 0x220
	ds_bpermute_b32 v1, v11, v1
	s_and_saveexec_b32 s36, s1
	s_cbranch_execz .LBB12_29
; %bb.26:
	v_lshl_add_u32 v12, v0, 2, 0x220
	v_mov_b32_e32 v11, 0
	v_mov_b32_e32 v13, v0
	s_mov_b32 s37, 0
.LBB12_27:                              ; =>This Inner Loop Header: Depth=1
	ds_load_b32 v14, v12
	v_add_nc_u32_e32 v13, 0x80, v13
	s_delay_alu instid0(VALU_DEP_1) | instskip(SKIP_4) | instid1(VALU_DEP_1)
	v_cmp_le_i32_e64 s3, s29, v13
	s_wait_alu 0xfffe
	s_or_b32 s37, s3, s37
	s_wait_dscnt 0x0
	v_sub_f32_e32 v14, v14, v1
	v_mul_f32_e32 v14, 0x3fb8aa3b, v14
	s_delay_alu instid0(VALU_DEP_1)
	v_exp_f32_e32 v14, v14
	ds_store_b32 v12, v14
	v_dual_add_f32 v11, v11, v14 :: v_dual_add_nc_u32 v12, 0x200, v12
	s_wait_alu 0xfffe
	s_and_not1_b32 exec_lo, exec_lo, s37
	s_cbranch_execnz .LBB12_27
; %bb.28:
	s_or_b32 exec_lo, exec_lo, s37
.LBB12_29:
	s_wait_alu 0xfffe
	s_or_b32 exec_lo, exec_lo, s36
	ds_bpermute_b32 v2, v2, v11
	s_wait_dscnt 0x0
	v_add_f32_e32 v2, v11, v2
	ds_bpermute_b32 v6, v6, v2
	s_wait_dscnt 0x0
	v_add_f32_e32 v2, v2, v6
	;; [unrolled: 3-line block ×5, first 2 shown]
	s_and_saveexec_b32 s3, vcc_lo
; %bb.30:
	ds_store_b32 v7, v2 offset:528
; %bb.31:
	s_wait_alu 0xfffe
	s_or_b32 exec_lo, exec_lo, s3
	s_wait_loadcnt_dscnt 0x0
	s_barrier_signal -1
	s_barrier_wait -1
	global_inv scope:SCOPE_SE
	s_and_saveexec_b32 s3, s0
; %bb.32:
	ds_load_b32 v2, v8 offset:528
; %bb.33:
	s_wait_alu 0xfffe
	s_or_b32 exec_lo, exec_lo, s3
	s_wait_dscnt 0x0
	ds_bpermute_b32 v6, v10, v2
	s_wait_dscnt 0x0
	v_add_f32_e32 v2, v2, v6
	ds_bpermute_b32 v6, v43, v2
	s_wait_dscnt 0x0
	v_add_f32_e32 v2, v2, v6
	v_mov_b32_e32 v6, 0
	ds_bpermute_b32 v2, v6, v2
	s_and_saveexec_b32 s0, s1
	s_cbranch_execz .LBB12_36
; %bb.34:
	s_wait_dscnt 0x0
	v_add_f32_e32 v6, 0x358637bd, v2
	s_mov_b32 s1, 0
	s_delay_alu instid0(VALU_DEP_1) | instskip(SKIP_1) | instid1(VALU_DEP_2)
	v_div_scale_f32 v7, null, v6, v6, 1.0
	v_div_scale_f32 v10, vcc_lo, 1.0, v6, 1.0
	v_rcp_f32_e32 v8, v7
	s_delay_alu instid0(TRANS32_DEP_1) | instskip(NEXT) | instid1(VALU_DEP_1)
	v_fma_f32 v9, -v7, v8, 1.0
	v_fmac_f32_e32 v8, v9, v8
	s_delay_alu instid0(VALU_DEP_1) | instskip(NEXT) | instid1(VALU_DEP_1)
	v_mul_f32_e32 v9, v10, v8
	v_fma_f32 v11, -v7, v9, v10
	s_delay_alu instid0(VALU_DEP_1) | instskip(NEXT) | instid1(VALU_DEP_1)
	v_fmac_f32_e32 v9, v11, v8
	v_fma_f32 v7, -v7, v9, v10
	s_wait_alu 0xfffd
	s_delay_alu instid0(VALU_DEP_1) | instskip(NEXT) | instid1(VALU_DEP_1)
	v_div_fmas_f32 v7, v7, v8, v9
	v_div_fixup_f32 v6, v7, v6, 1.0
	v_mov_b32_e32 v7, v0
.LBB12_35:                              ; =>This Inner Loop Header: Depth=1
	ds_load_b32 v8, v5
	s_wait_dscnt 0x0
	v_dual_mul_f32 v8, v6, v8 :: v_dual_add_nc_u32 v7, 0x80, v7
	s_delay_alu instid0(VALU_DEP_1)
	v_cmp_le_i32_e32 vcc_lo, s29, v7
	ds_store_b32 v5, v8
	v_add_nc_u32_e32 v5, 0x200, v5
	s_wait_alu 0xfffe
	s_or_b32 s1, vcc_lo, s1
	s_wait_alu 0xfffe
	s_and_not1_b32 exec_lo, exec_lo, s1
	s_cbranch_execnz .LBB12_35
.LBB12_36:
	s_wait_alu 0xfffe
	s_or_b32 exec_lo, exec_lo, s0
	s_mul_i32 s0, s8, s22
	s_wait_loadcnt_dscnt 0x0
	s_wait_alu 0xfffe
	s_mul_i32 s22, s0, s23
	s_mov_b32 s0, exec_lo
	s_barrier_signal -1
	s_barrier_wait -1
	global_inv scope:SCOPE_SE
	v_cmpx_eq_u32_e32 0, v0
	s_cbranch_execz .LBB12_38
; %bb.37:
	s_ashr_i32 s23, s22, 31
	s_wait_alu 0xfffe
	s_mul_i32 s36, s8, ttmp9
	s_lshl_b32 s1, s33, 2
	s_lshl_b64 s[38:39], s[22:23], 2
	s_wait_alu 0xfffe
	s_ashr_i32 s37, s36, 31
	v_mov_b32_e32 v5, s1
	s_wait_kmcnt 0x0
	s_add_nc_u64 s[6:7], s[6:7], s[38:39]
	s_wait_alu 0xfffe
	s_lshl_b64 s[36:37], s[36:37], 2
	s_add_nc_u64 s[4:5], s[4:5], s[38:39]
	s_wait_alu 0xfffe
	s_add_nc_u64 s[6:7], s[6:7], s[36:37]
	s_add_nc_u64 s[4:5], s[4:5], s[36:37]
	s_clause 0x1
	global_store_b32 v5, v1, s[6:7]
	global_store_b32 v5, v2, s[4:5]
.LBB12_38:
	s_wait_alu 0xfffe
	s_or_b32 exec_lo, exec_lo, s0
	v_dual_mov_b32 v51, 0 :: v_dual_and_b32 v44, 1, v0
	v_dual_mov_b32 v52, 0 :: v_dual_mov_b32 v49, 0
	v_dual_mov_b32 v50, 0 :: v_dual_mov_b32 v47, 0
	;; [unrolled: 1-line block ×3, first 2 shown]
	v_mov_b32_e32 v46, 0
	s_and_saveexec_b32 s1, s2
	s_cbranch_execz .LBB12_60
; %bb.39:
	s_abs_i32 s2, s10
	v_dual_mov_b32 v45, 0 :: v_dual_lshlrev_b32 v2, 4, v0
	s_wait_alu 0xfffe
	s_cvt_f32_u32 s0, s2
	v_dual_mov_b32 v46, 0 :: v_dual_and_b32 v53, 4, v3
	v_dual_mov_b32 v48, 0 :: v_dual_lshlrev_b32 v3, 4, v44
	s_wait_alu 0xfffe
	v_rcp_iflag_f32_e32 v1, s0
	s_ashr_i32 s29, s28, 31
	s_wait_kmcnt 0x0
	s_lshl_b64 s[6:7], s[26:27], 2
	s_wait_alu 0xfffe
	s_lshl_b64 s[26:27], s[28:29], 2
	s_add_nc_u64 s[6:7], s[24:25], s[6:7]
	s_add_nc_u64 s[24:25], s[30:31], s[26:27]
	s_wait_alu 0xfffe
	v_add_co_u32 v37, s6, s6, v4
	s_sub_co_i32 s5, 0, s2
	v_add_co_ci_u32_e64 v38, null, s7, 0, s6
	v_readfirstlane_b32 s0, v1
	v_dual_mov_b32 v50, 0 :: v_dual_and_b32 v1, 0x1f0, v2
	v_lshl_or_b32 v2, v39, 5, v3
	v_mov_b32_e32 v47, 0
	s_mul_f32 s0, s0, 0x4f7ffffe
	s_delay_alu instid0(VALU_DEP_3)
	v_add_co_u32 v54, s6, s24, v1
	s_wait_alu 0xf1ff
	v_add_co_ci_u32_e64 v55, null, s25, 0, s6
	s_wait_alu 0xfffe
	s_cvt_u32_f32 s0, s0
	v_dual_mov_b32 v49, 0 :: v_dual_add_nc_u32 v56, 0x220, v2
	v_mov_b32_e32 v52, 0
	s_wait_alu 0xfffe
	s_mul_i32 s5, s5, s0
	v_mov_b32_e32 v51, 0
	s_wait_alu 0xfffe
	s_mul_hi_u32 s6, s0, s5
	s_sub_co_i32 s3, s35, s9
	s_mov_b32 s4, s13
	s_add_co_i32 s34, s34, -1
	s_mov_b32 s5, 0
	s_wait_alu 0xfffe
	s_add_co_i32 s6, s0, s6
	s_branch .LBB12_42
.LBB12_40:                              ;   in Loop: Header=BB12_42 Depth=1
	s_wait_alu 0xfffe
	s_or_b32 exec_lo, exec_lo, s0
	s_wait_loadcnt_dscnt 0x300
	v_mul_f32_e32 v21, v1, v21
	v_mul_f32_e32 v13, v1, v13
	;; [unrolled: 1-line block ×3, first 2 shown]
	s_wait_loadcnt 0x1
	v_mul_f32_e32 v29, v1, v29
	v_mul_f32_e32 v25, v1, v25
	v_fmac_f32_e32 v21, v2, v22
	v_fmac_f32_e32 v13, v2, v14
	;; [unrolled: 1-line block ×3, first 2 shown]
	v_mul_f32_e32 v17, v1, v17
	v_mul_f32_e32 v5, v1, v5
	v_fmac_f32_e32 v21, v3, v23
	s_wait_loadcnt 0x0
	v_mul_f32_e32 v1, v1, v33
	v_fmac_f32_e32 v13, v3, v15
	v_fmac_f32_e32 v9, v3, v11
	;; [unrolled: 1-line block ×8, first 2 shown]
	s_delay_alu instid0(VALU_DEP_4)
	v_dual_add_f32 v48, v48, v21 :: v_dual_fmac_f32 v29, v3, v31
	v_fmac_f32_e32 v9, v4, v12
	v_fmac_f32_e32 v25, v2, v26
	v_fmac_f32_e32 v17, v3, v19
	v_fmac_f32_e32 v5, v3, v7
	v_dual_fmac_f32 v1, v3, v35 :: v_dual_add_f32 v50, v50, v13
	v_fmac_f32_e32 v29, v4, v32
	v_dual_add_f32 v52, v52, v9 :: v_dual_fmac_f32 v25, v3, v27
	v_fmac_f32_e32 v17, v4, v20
	s_delay_alu instid0(VALU_DEP_3) | instskip(SKIP_1) | instid1(VALU_DEP_4)
	v_dual_fmac_f32 v5, v4, v8 :: v_dual_add_f32 v46, v46, v29
	v_fmac_f32_e32 v1, v4, v36
	v_fmac_f32_e32 v25, v4, v28
	s_delay_alu instid0(VALU_DEP_4) | instskip(NEXT) | instid1(VALU_DEP_4)
	v_add_f32_e32 v49, v49, v17
	v_add_f32_e32 v51, v51, v5
	s_delay_alu instid0(VALU_DEP_4) | instskip(NEXT) | instid1(VALU_DEP_4)
	v_add_f32_e32 v45, v45, v1
	v_add_f32_e32 v47, v47, v25
.LBB12_41:                              ;   in Loop: Header=BB12_42 Depth=1
	s_wait_alu 0xfffe
	s_or_b32 exec_lo, exec_lo, s7
	v_add_nc_u32_e32 v41, 4, v41
	v_add_co_u32 v37, s0, v37, 16
	s_wait_alu 0xf1ff
	v_add_co_ci_u32_e64 v38, null, 0, v38, s0
	s_delay_alu instid0(VALU_DEP_3)
	v_cmp_le_i32_e32 vcc_lo, s21, v41
	v_add_nc_u32_e32 v40, 32, v40
	v_add_nc_u32_e32 v56, 0x80, v56
	s_or_b32 s5, vcc_lo, s5
	s_wait_alu 0xfffe
	s_and_not1_b32 exec_lo, exec_lo, s5
	s_cbranch_execz .LBB12_59
.LBB12_42:                              ; =>This Inner Loop Header: Depth=1
	v_sub_nc_u32_e32 v1, 0, v40
	s_delay_alu instid0(VALU_DEP_1) | instskip(NEXT) | instid1(VALU_DEP_1)
	v_max_i32_e32 v1, v40, v1
	v_mul_hi_u32 v2, v1, s20
	s_delay_alu instid0(VALU_DEP_1) | instskip(NEXT) | instid1(VALU_DEP_1)
	v_mul_lo_u32 v3, v2, s12
	v_sub_nc_u32_e32 v1, v1, v3
	v_add_nc_u32_e32 v3, 1, v2
	s_delay_alu instid0(VALU_DEP_2) | instskip(SKIP_2) | instid1(VALU_DEP_2)
	v_subrev_nc_u32_e32 v4, s12, v1
	v_cmp_le_u32_e32 vcc_lo, s12, v1
	s_wait_alu 0xfffd
	v_dual_cndmask_b32 v2, v2, v3 :: v_dual_cndmask_b32 v1, v1, v4
	v_ashrrev_i32_e32 v3, 31, v40
	s_delay_alu instid0(VALU_DEP_2) | instskip(NEXT) | instid1(VALU_DEP_3)
	v_add_nc_u32_e32 v4, 1, v2
	v_cmp_le_u32_e32 vcc_lo, s12, v1
	s_delay_alu instid0(VALU_DEP_3) | instskip(SKIP_1) | instid1(VALU_DEP_3)
	v_xor_b32_e32 v3, s11, v3
	s_wait_alu 0xfffd
	v_cndmask_b32_e32 v1, v2, v4, vcc_lo
	s_delay_alu instid0(VALU_DEP_1) | instskip(NEXT) | instid1(VALU_DEP_1)
	v_xor_b32_e32 v1, v1, v3
	v_sub_nc_u32_e32 v1, v1, v3
	s_delay_alu instid0(VALU_DEP_1) | instskip(SKIP_1) | instid1(VALU_DEP_2)
	v_add_nc_u32_e32 v2, s19, v1
	v_cmp_lt_i32_e64 s0, s3, v1
	v_sub_nc_u32_e32 v3, 0, v2
	s_delay_alu instid0(VALU_DEP_1) | instskip(SKIP_1) | instid1(VALU_DEP_1)
	v_max_i32_e32 v3, v2, v3
	s_wait_alu 0xfffe
	v_mul_hi_u32 v4, v3, s6
	s_delay_alu instid0(VALU_DEP_1) | instskip(NEXT) | instid1(VALU_DEP_1)
	v_mul_lo_u32 v4, v4, s2
	v_sub_nc_u32_e32 v3, v3, v4
	s_delay_alu instid0(VALU_DEP_1) | instskip(SKIP_2) | instid1(VALU_DEP_2)
	v_subrev_nc_u32_e32 v4, s2, v3
	v_cmp_le_u32_e32 vcc_lo, s2, v3
	s_wait_alu 0xfffd
	v_cndmask_b32_e32 v3, v3, v4, vcc_lo
	v_ashrrev_i32_e32 v2, 31, v2
	s_delay_alu instid0(VALU_DEP_2) | instskip(SKIP_2) | instid1(VALU_DEP_2)
	v_subrev_nc_u32_e32 v4, s2, v3
	v_cmp_le_u32_e32 vcc_lo, s2, v3
	s_wait_alu 0xfffd
	v_cndmask_b32_e32 v3, v3, v4, vcc_lo
	s_delay_alu instid0(VALU_DEP_1) | instskip(NEXT) | instid1(VALU_DEP_1)
	v_xor_b32_e32 v3, v3, v2
	v_sub_nc_u32_e32 v2, v3, v2
	s_delay_alu instid0(VALU_DEP_1)
	v_cmp_eq_u32_e32 vcc_lo, 0, v2
	s_or_b32 s0, vcc_lo, s0
	s_wait_alu 0xfffe
	s_and_saveexec_b32 s7, s0
	s_cbranch_execz .LBB12_41
; %bb.43:                               ;   in Loop: Header=BB12_42 Depth=1
	global_load_b32 v1, v[37:38], off
	v_add_nc_u32_e32 v57, v53, v40
	s_delay_alu instid0(VALU_DEP_1) | instskip(SKIP_4) | instid1(VALU_DEP_1)
	v_add_nc_u32_e32 v60, 1, v57
	v_add_nc_u32_e32 v59, 2, v57
	;; [unrolled: 1-line block ×3, first 2 shown]
	s_wait_loadcnt 0x0
	v_mad_co_i64_i32 v[1:2], null, v1, s4, 0
	v_lshlrev_b64_e32 v[1:2], 2, v[1:2]
	s_delay_alu instid0(VALU_DEP_1) | instskip(SKIP_1) | instid1(VALU_DEP_2)
	v_add_co_u32 v33, vcc_lo, v54, v1
	s_wait_alu 0xfffd
	v_add_co_ci_u32_e64 v34, null, v55, v2, vcc_lo
	ds_load_b128 v[1:4], v56
	v_cmp_eq_u32_e32 vcc_lo, s34, v41
	global_load_b128 v[5:8], v[33:34], off
	s_and_saveexec_b32 s9, vcc_lo
	s_cbranch_execnz .LBB12_51
; %bb.44:                               ;   in Loop: Header=BB12_42 Depth=1
	s_or_b32 exec_lo, exec_lo, s9
	global_load_b128 v[9:12], v[33:34], off offset:512
	s_and_saveexec_b32 s9, vcc_lo
	s_cbranch_execnz .LBB12_52
.LBB12_45:                              ;   in Loop: Header=BB12_42 Depth=1
	s_or_b32 exec_lo, exec_lo, s9
	global_load_b128 v[13:16], v[33:34], off offset:1024
	s_and_saveexec_b32 s9, vcc_lo
	s_cbranch_execnz .LBB12_53
.LBB12_46:                              ;   in Loop: Header=BB12_42 Depth=1
	s_or_b32 exec_lo, exec_lo, s9
	global_load_b128 v[17:20], v[33:34], off offset:1536
	s_and_saveexec_b32 s9, vcc_lo
	s_cbranch_execnz .LBB12_54
.LBB12_47:                              ;   in Loop: Header=BB12_42 Depth=1
	s_or_b32 exec_lo, exec_lo, s9
	global_load_b128 v[21:24], v[33:34], off offset:2048
	s_and_saveexec_b32 s9, vcc_lo
	s_cbranch_execnz .LBB12_55
.LBB12_48:                              ;   in Loop: Header=BB12_42 Depth=1
	s_or_b32 exec_lo, exec_lo, s9
	global_load_b128 v[25:28], v[33:34], off offset:2560
	s_and_saveexec_b32 s9, vcc_lo
	s_cbranch_execnz .LBB12_56
.LBB12_49:                              ;   in Loop: Header=BB12_42 Depth=1
	s_or_b32 exec_lo, exec_lo, s9
	global_load_b128 v[29:32], v[33:34], off offset:3072
	s_and_saveexec_b32 s9, vcc_lo
	s_cbranch_execnz .LBB12_57
.LBB12_50:                              ;   in Loop: Header=BB12_42 Depth=1
	s_or_b32 exec_lo, exec_lo, s9
	global_load_b128 v[33:36], v[33:34], off offset:3584
	s_and_saveexec_b32 s0, vcc_lo
	s_cbranch_execz .LBB12_40
	s_branch .LBB12_58
.LBB12_51:                              ;   in Loop: Header=BB12_42 Depth=1
	v_cmp_gt_i32_e64 s0, s17, v57
	s_wait_loadcnt 0x0
	s_wait_alu 0xf1ff
	s_delay_alu instid0(VALU_DEP_1) | instskip(SKIP_2) | instid1(VALU_DEP_1)
	v_cndmask_b32_e64 v5, 0, v5, s0
	v_cmp_gt_i32_e64 s0, s17, v60
	s_wait_alu 0xf1ff
	v_cndmask_b32_e64 v6, 0, v6, s0
	v_cmp_gt_i32_e64 s0, s17, v59
	s_wait_alu 0xf1ff
	s_delay_alu instid0(VALU_DEP_1) | instskip(SKIP_2) | instid1(VALU_DEP_1)
	v_cndmask_b32_e64 v7, 0, v7, s0
	v_cmp_gt_i32_e64 s0, s17, v58
	s_wait_alu 0xf1ff
	v_cndmask_b32_e64 v8, 0, v8, s0
	s_or_b32 exec_lo, exec_lo, s9
	global_load_b128 v[9:12], v[33:34], off offset:512
	s_and_saveexec_b32 s9, vcc_lo
	s_cbranch_execz .LBB12_45
.LBB12_52:                              ;   in Loop: Header=BB12_42 Depth=1
	v_cmp_gt_i32_e64 s0, s17, v57
	s_wait_loadcnt 0x0
	s_wait_alu 0xf1ff
	s_delay_alu instid0(VALU_DEP_1) | instskip(SKIP_2) | instid1(VALU_DEP_1)
	v_cndmask_b32_e64 v9, 0, v9, s0
	v_cmp_gt_i32_e64 s0, s17, v60
	s_wait_alu 0xf1ff
	v_cndmask_b32_e64 v10, 0, v10, s0
	v_cmp_gt_i32_e64 s0, s17, v59
	s_wait_alu 0xf1ff
	s_delay_alu instid0(VALU_DEP_1) | instskip(SKIP_2) | instid1(VALU_DEP_1)
	v_cndmask_b32_e64 v11, 0, v11, s0
	v_cmp_gt_i32_e64 s0, s17, v58
	s_wait_alu 0xf1ff
	v_cndmask_b32_e64 v12, 0, v12, s0
	s_or_b32 exec_lo, exec_lo, s9
	global_load_b128 v[13:16], v[33:34], off offset:1024
	s_and_saveexec_b32 s9, vcc_lo
	s_cbranch_execz .LBB12_46
.LBB12_53:                              ;   in Loop: Header=BB12_42 Depth=1
	v_cmp_gt_i32_e64 s0, s17, v57
	s_wait_loadcnt 0x0
	s_wait_alu 0xf1ff
	s_delay_alu instid0(VALU_DEP_1) | instskip(SKIP_2) | instid1(VALU_DEP_1)
	v_cndmask_b32_e64 v13, 0, v13, s0
	v_cmp_gt_i32_e64 s0, s17, v60
	s_wait_alu 0xf1ff
	v_cndmask_b32_e64 v14, 0, v14, s0
	v_cmp_gt_i32_e64 s0, s17, v59
	s_wait_alu 0xf1ff
	s_delay_alu instid0(VALU_DEP_1) | instskip(SKIP_2) | instid1(VALU_DEP_1)
	v_cndmask_b32_e64 v15, 0, v15, s0
	v_cmp_gt_i32_e64 s0, s17, v58
	s_wait_alu 0xf1ff
	v_cndmask_b32_e64 v16, 0, v16, s0
	s_or_b32 exec_lo, exec_lo, s9
	global_load_b128 v[17:20], v[33:34], off offset:1536
	s_and_saveexec_b32 s9, vcc_lo
	s_cbranch_execz .LBB12_47
.LBB12_54:                              ;   in Loop: Header=BB12_42 Depth=1
	v_cmp_gt_i32_e64 s0, s17, v57
	s_wait_loadcnt 0x0
	s_wait_alu 0xf1ff
	s_delay_alu instid0(VALU_DEP_1) | instskip(SKIP_2) | instid1(VALU_DEP_1)
	v_cndmask_b32_e64 v17, 0, v17, s0
	v_cmp_gt_i32_e64 s0, s17, v60
	s_wait_alu 0xf1ff
	v_cndmask_b32_e64 v18, 0, v18, s0
	v_cmp_gt_i32_e64 s0, s17, v59
	s_wait_alu 0xf1ff
	s_delay_alu instid0(VALU_DEP_1) | instskip(SKIP_2) | instid1(VALU_DEP_1)
	v_cndmask_b32_e64 v19, 0, v19, s0
	v_cmp_gt_i32_e64 s0, s17, v58
	s_wait_alu 0xf1ff
	v_cndmask_b32_e64 v20, 0, v20, s0
	s_or_b32 exec_lo, exec_lo, s9
	global_load_b128 v[21:24], v[33:34], off offset:2048
	s_and_saveexec_b32 s9, vcc_lo
	s_cbranch_execz .LBB12_48
.LBB12_55:                              ;   in Loop: Header=BB12_42 Depth=1
	v_cmp_gt_i32_e64 s0, s17, v57
	s_wait_loadcnt 0x0
	s_wait_alu 0xf1ff
	s_delay_alu instid0(VALU_DEP_1) | instskip(SKIP_2) | instid1(VALU_DEP_1)
	v_cndmask_b32_e64 v21, 0, v21, s0
	v_cmp_gt_i32_e64 s0, s17, v60
	s_wait_alu 0xf1ff
	v_cndmask_b32_e64 v22, 0, v22, s0
	v_cmp_gt_i32_e64 s0, s17, v59
	s_wait_alu 0xf1ff
	s_delay_alu instid0(VALU_DEP_1) | instskip(SKIP_2) | instid1(VALU_DEP_1)
	v_cndmask_b32_e64 v23, 0, v23, s0
	v_cmp_gt_i32_e64 s0, s17, v58
	s_wait_alu 0xf1ff
	v_cndmask_b32_e64 v24, 0, v24, s0
	s_or_b32 exec_lo, exec_lo, s9
	global_load_b128 v[25:28], v[33:34], off offset:2560
	s_and_saveexec_b32 s9, vcc_lo
	s_cbranch_execz .LBB12_49
.LBB12_56:                              ;   in Loop: Header=BB12_42 Depth=1
	v_cmp_gt_i32_e64 s0, s17, v57
	s_wait_loadcnt 0x0
	s_wait_alu 0xf1ff
	s_delay_alu instid0(VALU_DEP_1) | instskip(SKIP_2) | instid1(VALU_DEP_1)
	v_cndmask_b32_e64 v25, 0, v25, s0
	v_cmp_gt_i32_e64 s0, s17, v60
	s_wait_alu 0xf1ff
	v_cndmask_b32_e64 v26, 0, v26, s0
	v_cmp_gt_i32_e64 s0, s17, v59
	s_wait_alu 0xf1ff
	s_delay_alu instid0(VALU_DEP_1) | instskip(SKIP_2) | instid1(VALU_DEP_1)
	v_cndmask_b32_e64 v27, 0, v27, s0
	v_cmp_gt_i32_e64 s0, s17, v58
	s_wait_alu 0xf1ff
	v_cndmask_b32_e64 v28, 0, v28, s0
	s_or_b32 exec_lo, exec_lo, s9
	global_load_b128 v[29:32], v[33:34], off offset:3072
	s_and_saveexec_b32 s9, vcc_lo
	s_cbranch_execz .LBB12_50
.LBB12_57:                              ;   in Loop: Header=BB12_42 Depth=1
	v_cmp_gt_i32_e64 s0, s17, v57
	s_wait_loadcnt 0x0
	s_wait_alu 0xf1ff
	s_delay_alu instid0(VALU_DEP_1) | instskip(SKIP_2) | instid1(VALU_DEP_1)
	v_cndmask_b32_e64 v29, 0, v29, s0
	v_cmp_gt_i32_e64 s0, s17, v60
	s_wait_alu 0xf1ff
	v_cndmask_b32_e64 v30, 0, v30, s0
	v_cmp_gt_i32_e64 s0, s17, v59
	s_wait_alu 0xf1ff
	s_delay_alu instid0(VALU_DEP_1) | instskip(SKIP_2) | instid1(VALU_DEP_1)
	v_cndmask_b32_e64 v31, 0, v31, s0
	v_cmp_gt_i32_e64 s0, s17, v58
	s_wait_alu 0xf1ff
	v_cndmask_b32_e64 v32, 0, v32, s0
	s_or_b32 exec_lo, exec_lo, s9
	global_load_b128 v[33:36], v[33:34], off offset:3584
	s_and_saveexec_b32 s0, vcc_lo
	s_cbranch_execz .LBB12_40
.LBB12_58:                              ;   in Loop: Header=BB12_42 Depth=1
	v_cmp_gt_i32_e32 vcc_lo, s17, v57
	s_wait_loadcnt 0x0
	s_wait_alu 0xfffd
	v_cndmask_b32_e32 v33, 0, v33, vcc_lo
	v_cmp_gt_i32_e32 vcc_lo, s17, v60
	s_wait_alu 0xfffd
	v_cndmask_b32_e32 v34, 0, v34, vcc_lo
	v_cmp_gt_i32_e32 vcc_lo, s17, v59
	;; [unrolled: 3-line block ×3, first 2 shown]
	s_wait_alu 0xfffd
	v_cndmask_b32_e32 v36, 0, v36, vcc_lo
	s_branch .LBB12_40
.LBB12_59:
	s_or_b32 exec_lo, exec_lo, s5
.LBB12_60:
	s_wait_alu 0xfffe
	s_or_b32 exec_lo, exec_lo, s1
	ds_bpermute_b32 v1, v43, v51
	ds_bpermute_b32 v2, v43, v52
	;; [unrolled: 1-line block ×8, first 2 shown]
	v_lshrrev_b32_e32 v9, 1, v42
	v_lshlrev_b32_e32 v11, 9, v39
	v_and_b32_e32 v12, 0x3c1, v0
	s_mov_b32 s0, exec_lo
	s_wait_storecnt 0x0
	s_wait_loadcnt_dscnt 0x0
	v_lshl_add_u32 v10, v9, 2, 0x220
	s_barrier_signal -1
	s_barrier_wait -1
	global_inv scope:SCOPE_SE
	v_dual_add_f32 v1, v51, v1 :: v_dual_add_f32 v2, v52, v2
	v_dual_add_f32 v3, v50, v3 :: v_dual_add_f32 v4, v49, v4
	;; [unrolled: 1-line block ×4, first 2 shown]
	v_cmpx_eq_u32_e32 64, v12
	s_cbranch_execz .LBB12_62
; %bb.61:
	v_add_nc_u32_e32 v12, v10, v11
	s_delay_alu instid0(VALU_DEP_1)
	v_add_nc_u32_e32 v13, 0xfffffc00, v12
	v_add_nc_u32_e32 v14, 0xfffffc40, v12
	;; [unrolled: 1-line block ×8, first 2 shown]
	ds_store_b32 v13, v1
	ds_store_b32 v14, v2
	;; [unrolled: 1-line block ×8, first 2 shown]
.LBB12_62:
	s_wait_alu 0xfffe
	s_or_b32 exec_lo, exec_lo, s0
	v_lshlrev_b32_e32 v9, 2, v9
	s_mov_b32 s1, exec_lo
	v_cmp_eq_u32_e32 vcc_lo, 0, v44
	s_wait_loadcnt_dscnt 0x0
	s_barrier_signal -1
	v_add3_u32 v9, 0x220, v11, v9
	s_barrier_wait -1
	global_inv scope:SCOPE_SE
	v_cmpx_gt_u32_e32 64, v0
	s_cbranch_execz .LBB12_73
; %bb.63:
	s_and_saveexec_b32 s0, vcc_lo
	s_cbranch_execnz .LBB12_89
; %bb.64:
	s_wait_alu 0xfffe
	s_or_b32 exec_lo, exec_lo, s0
	s_and_saveexec_b32 s0, vcc_lo
	s_cbranch_execnz .LBB12_90
.LBB12_65:
	s_wait_alu 0xfffe
	s_or_b32 exec_lo, exec_lo, s0
	s_and_saveexec_b32 s0, vcc_lo
	s_cbranch_execnz .LBB12_91
.LBB12_66:
	s_wait_alu 0xfffe
	s_or_b32 exec_lo, exec_lo, s0
	s_and_saveexec_b32 s0, vcc_lo
	s_cbranch_execnz .LBB12_92
.LBB12_67:
	s_wait_alu 0xfffe
	s_or_b32 exec_lo, exec_lo, s0
	s_and_saveexec_b32 s0, vcc_lo
	s_cbranch_execnz .LBB12_93
.LBB12_68:
	s_wait_alu 0xfffe
	s_or_b32 exec_lo, exec_lo, s0
	s_and_saveexec_b32 s0, vcc_lo
	s_cbranch_execnz .LBB12_94
.LBB12_69:
	s_wait_alu 0xfffe
	s_or_b32 exec_lo, exec_lo, s0
	s_and_saveexec_b32 s0, vcc_lo
	s_cbranch_execnz .LBB12_95
.LBB12_70:
	s_wait_alu 0xfffe
	s_or_b32 exec_lo, exec_lo, s0
	s_and_saveexec_b32 s0, vcc_lo
	s_cbranch_execz .LBB12_72
.LBB12_71:
	ds_load_b32 v11, v9 offset:448
	s_wait_dscnt 0x0
	v_add_f32_e32 v8, v8, v11
.LBB12_72:
	s_wait_alu 0xfffe
	s_or_b32 exec_lo, exec_lo, s0
.LBB12_73:
	s_wait_alu 0xfffe
	s_or_b32 exec_lo, exec_lo, s1
	v_and_b32_e32 v11, 0x3e1, v0
	s_mov_b32 s1, exec_lo
	s_wait_loadcnt 0x0
	s_barrier_signal -1
	s_barrier_wait -1
	global_inv scope:SCOPE_SE
	v_cmpx_eq_u32_e32 32, v11
	s_cbranch_execz .LBB12_75
; %bb.74:
	ds_store_2addr_b32 v10, v1, v2 offset1:16
	ds_store_2addr_b32 v10, v3, v4 offset0:32 offset1:48
	ds_store_2addr_b32 v10, v5, v6 offset0:64 offset1:80
	;; [unrolled: 1-line block ×3, first 2 shown]
.LBB12_75:
	s_wait_alu 0xfffe
	s_or_b32 exec_lo, exec_lo, s1
	s_delay_alu instid0(SALU_CYCLE_1)
	s_mov_b32 s1, exec_lo
	s_wait_loadcnt_dscnt 0x0
	s_barrier_signal -1
	s_barrier_wait -1
	global_inv scope:SCOPE_SE
	v_cmpx_gt_u32_e32 32, v0
	s_cbranch_execz .LBB12_86
; %bb.76:
	s_and_saveexec_b32 s0, vcc_lo
	s_cbranch_execnz .LBB12_96
; %bb.77:
	s_wait_alu 0xfffe
	s_or_b32 exec_lo, exec_lo, s0
	s_and_saveexec_b32 s0, vcc_lo
	s_cbranch_execnz .LBB12_97
.LBB12_78:
	s_wait_alu 0xfffe
	s_or_b32 exec_lo, exec_lo, s0
	s_and_saveexec_b32 s0, vcc_lo
	s_cbranch_execnz .LBB12_98
.LBB12_79:
	s_wait_alu 0xfffe
	s_or_b32 exec_lo, exec_lo, s0
	s_and_saveexec_b32 s0, vcc_lo
	s_cbranch_execnz .LBB12_99
.LBB12_80:
	s_wait_alu 0xfffe
	s_or_b32 exec_lo, exec_lo, s0
	s_and_saveexec_b32 s0, vcc_lo
	s_cbranch_execnz .LBB12_100
.LBB12_81:
	s_wait_alu 0xfffe
	s_or_b32 exec_lo, exec_lo, s0
	s_and_saveexec_b32 s0, vcc_lo
	s_cbranch_execnz .LBB12_101
.LBB12_82:
	s_wait_alu 0xfffe
	s_or_b32 exec_lo, exec_lo, s0
	s_and_saveexec_b32 s0, vcc_lo
	s_cbranch_execnz .LBB12_102
.LBB12_83:
	s_wait_alu 0xfffe
	s_or_b32 exec_lo, exec_lo, s0
	s_and_saveexec_b32 s0, vcc_lo
	s_cbranch_execz .LBB12_85
.LBB12_84:
	ds_load_b32 v9, v9 offset:448
	s_wait_dscnt 0x0
	v_add_f32_e32 v8, v8, v9
.LBB12_85:
	s_wait_alu 0xfffe
	s_or_b32 exec_lo, exec_lo, s0
.LBB12_86:
	s_wait_alu 0xfffe
	s_or_b32 exec_lo, exec_lo, s1
	s_mov_b32 s17, 0
	s_wait_loadcnt 0x0
	s_barrier_signal -1
	s_barrier_wait -1
	global_inv scope:SCOPE_SE
	s_mov_b32 s0, exec_lo
	v_cmpx_eq_u32_e32 0, v11
	s_cbranch_execz .LBB12_88
; %bb.87:
	s_lshl_b32 s0, s22, 7
	s_mul_i32 s2, s8, s18
	s_wait_alu 0xfffe
	s_ashr_i32 s1, s0, 31
	s_ashr_i32 s3, s2, 31
	s_wait_alu 0xfffe
	s_lshl_b64 s[0:1], s[0:1], 2
	s_lshl_b64 s[2:3], s[2:3], 2
	s_wait_kmcnt 0x0
	s_wait_alu 0xfffe
	s_add_nc_u64 s[0:1], s[14:15], s[0:1]
	v_lshlrev_b32_e32 v0, 1, v0
	s_wait_alu 0xfffe
	s_add_nc_u64 s[0:1], s[0:1], s[2:3]
	s_wait_alu 0xfffe
	s_add_nc_u64 s[0:1], s[0:1], s[16:17]
	s_clause 0x7
	global_store_b32 v0, v1, s[0:1]
	global_store_b32 v0, v2, s[0:1] offset:64
	global_store_b32 v0, v3, s[0:1] offset:128
	global_store_b32 v0, v4, s[0:1] offset:192
	global_store_b32 v0, v5, s[0:1] offset:256
	global_store_b32 v0, v6, s[0:1] offset:320
	global_store_b32 v0, v7, s[0:1] offset:384
	global_store_b32 v0, v8, s[0:1] offset:448
.LBB12_88:
	s_endpgm
.LBB12_89:
	ds_load_b32 v11, v9
	s_wait_dscnt 0x0
	v_add_f32_e32 v1, v1, v11
	s_wait_alu 0xfffe
	s_or_b32 exec_lo, exec_lo, s0
	s_and_saveexec_b32 s0, vcc_lo
	s_cbranch_execz .LBB12_65
.LBB12_90:
	ds_load_b32 v11, v9 offset:64
	s_wait_dscnt 0x0
	v_add_f32_e32 v2, v2, v11
	s_wait_alu 0xfffe
	s_or_b32 exec_lo, exec_lo, s0
	s_and_saveexec_b32 s0, vcc_lo
	s_cbranch_execz .LBB12_66
.LBB12_91:
	ds_load_b32 v11, v9 offset:128
	s_wait_dscnt 0x0
	v_add_f32_e32 v3, v3, v11
	s_wait_alu 0xfffe
	s_or_b32 exec_lo, exec_lo, s0
	s_and_saveexec_b32 s0, vcc_lo
	s_cbranch_execz .LBB12_67
.LBB12_92:
	ds_load_b32 v11, v9 offset:192
	s_wait_dscnt 0x0
	v_add_f32_e32 v4, v4, v11
	s_wait_alu 0xfffe
	s_or_b32 exec_lo, exec_lo, s0
	s_and_saveexec_b32 s0, vcc_lo
	s_cbranch_execz .LBB12_68
.LBB12_93:
	ds_load_b32 v11, v9 offset:256
	s_wait_dscnt 0x0
	v_add_f32_e32 v5, v5, v11
	s_wait_alu 0xfffe
	s_or_b32 exec_lo, exec_lo, s0
	s_and_saveexec_b32 s0, vcc_lo
	s_cbranch_execz .LBB12_69
.LBB12_94:
	ds_load_b32 v11, v9 offset:320
	s_wait_dscnt 0x0
	v_add_f32_e32 v6, v6, v11
	s_wait_alu 0xfffe
	s_or_b32 exec_lo, exec_lo, s0
	s_and_saveexec_b32 s0, vcc_lo
	s_cbranch_execz .LBB12_70
.LBB12_95:
	ds_load_b32 v11, v9 offset:384
	s_wait_dscnt 0x0
	v_add_f32_e32 v7, v7, v11
	s_wait_alu 0xfffe
	s_or_b32 exec_lo, exec_lo, s0
	s_and_saveexec_b32 s0, vcc_lo
	s_cbranch_execnz .LBB12_71
	s_branch .LBB12_72
.LBB12_96:
	ds_load_b32 v10, v9
	s_wait_dscnt 0x0
	v_add_f32_e32 v1, v1, v10
	s_wait_alu 0xfffe
	s_or_b32 exec_lo, exec_lo, s0
	s_and_saveexec_b32 s0, vcc_lo
	s_cbranch_execz .LBB12_78
.LBB12_97:
	ds_load_b32 v10, v9 offset:64
	s_wait_dscnt 0x0
	v_add_f32_e32 v2, v2, v10
	s_wait_alu 0xfffe
	s_or_b32 exec_lo, exec_lo, s0
	s_and_saveexec_b32 s0, vcc_lo
	s_cbranch_execz .LBB12_79
.LBB12_98:
	ds_load_b32 v10, v9 offset:128
	s_wait_dscnt 0x0
	v_add_f32_e32 v3, v3, v10
	s_wait_alu 0xfffe
	s_or_b32 exec_lo, exec_lo, s0
	s_and_saveexec_b32 s0, vcc_lo
	s_cbranch_execz .LBB12_80
.LBB12_99:
	ds_load_b32 v10, v9 offset:192
	s_wait_dscnt 0x0
	v_add_f32_e32 v4, v4, v10
	s_wait_alu 0xfffe
	s_or_b32 exec_lo, exec_lo, s0
	s_and_saveexec_b32 s0, vcc_lo
	s_cbranch_execz .LBB12_81
.LBB12_100:
	ds_load_b32 v10, v9 offset:256
	s_wait_dscnt 0x0
	v_add_f32_e32 v5, v5, v10
	s_wait_alu 0xfffe
	s_or_b32 exec_lo, exec_lo, s0
	s_and_saveexec_b32 s0, vcc_lo
	s_cbranch_execz .LBB12_82
.LBB12_101:
	ds_load_b32 v10, v9 offset:320
	s_wait_dscnt 0x0
	v_add_f32_e32 v6, v6, v10
	s_wait_alu 0xfffe
	s_or_b32 exec_lo, exec_lo, s0
	s_and_saveexec_b32 s0, vcc_lo
	s_cbranch_execz .LBB12_83
.LBB12_102:
	ds_load_b32 v10, v9 offset:384
	s_wait_dscnt 0x0
	v_add_f32_e32 v7, v7, v10
	s_wait_alu 0xfffe
	s_or_b32 exec_lo, exec_lo, s0
	s_and_saveexec_b32 s0, vcc_lo
	s_cbranch_execnz .LBB12_84
	s_branch .LBB12_85
	.section	.rodata,"a",@progbits
	.p2align	6, 0x0
	.amdhsa_kernel _ZN4vllm25paged_attention_v2_kernelIffLi128ELi8ELi128ELNS_18Fp8KVCacheDataTypeE0ELb1ELi512EEEvPfS2_PT_PKS3_PKT0_S9_ifPKiSB_iPKfiiiSD_SD_iiiii
		.amdhsa_group_segment_fixed_size 544
		.amdhsa_private_segment_fixed_size 0
		.amdhsa_kernarg_size 400
		.amdhsa_user_sgpr_count 2
		.amdhsa_user_sgpr_dispatch_ptr 0
		.amdhsa_user_sgpr_queue_ptr 0
		.amdhsa_user_sgpr_kernarg_segment_ptr 1
		.amdhsa_user_sgpr_dispatch_id 0
		.amdhsa_user_sgpr_private_segment_size 0
		.amdhsa_wavefront_size32 1
		.amdhsa_uses_dynamic_stack 0
		.amdhsa_enable_private_segment 0
		.amdhsa_system_sgpr_workgroup_id_x 1
		.amdhsa_system_sgpr_workgroup_id_y 1
		.amdhsa_system_sgpr_workgroup_id_z 1
		.amdhsa_system_sgpr_workgroup_info 0
		.amdhsa_system_vgpr_workitem_id 0
		.amdhsa_next_free_vgpr 61
		.amdhsa_next_free_sgpr 42
		.amdhsa_reserve_vcc 1
		.amdhsa_float_round_mode_32 0
		.amdhsa_float_round_mode_16_64 0
		.amdhsa_float_denorm_mode_32 3
		.amdhsa_float_denorm_mode_16_64 3
		.amdhsa_fp16_overflow 0
		.amdhsa_workgroup_processor_mode 1
		.amdhsa_memory_ordered 1
		.amdhsa_forward_progress 1
		.amdhsa_inst_pref_size 57
		.amdhsa_round_robin_scheduling 0
		.amdhsa_exception_fp_ieee_invalid_op 0
		.amdhsa_exception_fp_denorm_src 0
		.amdhsa_exception_fp_ieee_div_zero 0
		.amdhsa_exception_fp_ieee_overflow 0
		.amdhsa_exception_fp_ieee_underflow 0
		.amdhsa_exception_fp_ieee_inexact 0
		.amdhsa_exception_int_div_zero 0
	.end_amdhsa_kernel
	.section	.text._ZN4vllm25paged_attention_v2_kernelIffLi128ELi8ELi128ELNS_18Fp8KVCacheDataTypeE0ELb1ELi512EEEvPfS2_PT_PKS3_PKT0_S9_ifPKiSB_iPKfiiiSD_SD_iiiii,"axG",@progbits,_ZN4vllm25paged_attention_v2_kernelIffLi128ELi8ELi128ELNS_18Fp8KVCacheDataTypeE0ELb1ELi512EEEvPfS2_PT_PKS3_PKT0_S9_ifPKiSB_iPKfiiiSD_SD_iiiii,comdat
.Lfunc_end12:
	.size	_ZN4vllm25paged_attention_v2_kernelIffLi128ELi8ELi128ELNS_18Fp8KVCacheDataTypeE0ELb1ELi512EEEvPfS2_PT_PKS3_PKT0_S9_ifPKiSB_iPKfiiiSD_SD_iiiii, .Lfunc_end12-_ZN4vllm25paged_attention_v2_kernelIffLi128ELi8ELi128ELNS_18Fp8KVCacheDataTypeE0ELb1ELi512EEEvPfS2_PT_PKS3_PKT0_S9_ifPKiSB_iPKfiiiSD_SD_iiiii
                                        ; -- End function
	.set _ZN4vllm25paged_attention_v2_kernelIffLi128ELi8ELi128ELNS_18Fp8KVCacheDataTypeE0ELb1ELi512EEEvPfS2_PT_PKS3_PKT0_S9_ifPKiSB_iPKfiiiSD_SD_iiiii.num_vgpr, 61
	.set _ZN4vllm25paged_attention_v2_kernelIffLi128ELi8ELi128ELNS_18Fp8KVCacheDataTypeE0ELb1ELi512EEEvPfS2_PT_PKS3_PKT0_S9_ifPKiSB_iPKfiiiSD_SD_iiiii.num_agpr, 0
	.set _ZN4vllm25paged_attention_v2_kernelIffLi128ELi8ELi128ELNS_18Fp8KVCacheDataTypeE0ELb1ELi512EEEvPfS2_PT_PKS3_PKT0_S9_ifPKiSB_iPKfiiiSD_SD_iiiii.numbered_sgpr, 42
	.set _ZN4vllm25paged_attention_v2_kernelIffLi128ELi8ELi128ELNS_18Fp8KVCacheDataTypeE0ELb1ELi512EEEvPfS2_PT_PKS3_PKT0_S9_ifPKiSB_iPKfiiiSD_SD_iiiii.num_named_barrier, 0
	.set _ZN4vllm25paged_attention_v2_kernelIffLi128ELi8ELi128ELNS_18Fp8KVCacheDataTypeE0ELb1ELi512EEEvPfS2_PT_PKS3_PKT0_S9_ifPKiSB_iPKfiiiSD_SD_iiiii.private_seg_size, 0
	.set _ZN4vllm25paged_attention_v2_kernelIffLi128ELi8ELi128ELNS_18Fp8KVCacheDataTypeE0ELb1ELi512EEEvPfS2_PT_PKS3_PKT0_S9_ifPKiSB_iPKfiiiSD_SD_iiiii.uses_vcc, 1
	.set _ZN4vllm25paged_attention_v2_kernelIffLi128ELi8ELi128ELNS_18Fp8KVCacheDataTypeE0ELb1ELi512EEEvPfS2_PT_PKS3_PKT0_S9_ifPKiSB_iPKfiiiSD_SD_iiiii.uses_flat_scratch, 0
	.set _ZN4vllm25paged_attention_v2_kernelIffLi128ELi8ELi128ELNS_18Fp8KVCacheDataTypeE0ELb1ELi512EEEvPfS2_PT_PKS3_PKT0_S9_ifPKiSB_iPKfiiiSD_SD_iiiii.has_dyn_sized_stack, 0
	.set _ZN4vllm25paged_attention_v2_kernelIffLi128ELi8ELi128ELNS_18Fp8KVCacheDataTypeE0ELb1ELi512EEEvPfS2_PT_PKS3_PKT0_S9_ifPKiSB_iPKfiiiSD_SD_iiiii.has_recursion, 0
	.set _ZN4vllm25paged_attention_v2_kernelIffLi128ELi8ELi128ELNS_18Fp8KVCacheDataTypeE0ELb1ELi512EEEvPfS2_PT_PKS3_PKT0_S9_ifPKiSB_iPKfiiiSD_SD_iiiii.has_indirect_call, 0
	.section	.AMDGPU.csdata,"",@progbits
; Kernel info:
; codeLenInByte = 7208
; TotalNumSgprs: 44
; NumVgprs: 61
; ScratchSize: 0
; MemoryBound: 0
; FloatMode: 240
; IeeeMode: 1
; LDSByteSize: 544 bytes/workgroup (compile time only)
; SGPRBlocks: 0
; VGPRBlocks: 7
; NumSGPRsForWavesPerEU: 44
; NumVGPRsForWavesPerEU: 61
; Occupancy: 16
; WaveLimiterHint : 1
; COMPUTE_PGM_RSRC2:SCRATCH_EN: 0
; COMPUTE_PGM_RSRC2:USER_SGPR: 2
; COMPUTE_PGM_RSRC2:TRAP_HANDLER: 0
; COMPUTE_PGM_RSRC2:TGID_X_EN: 1
; COMPUTE_PGM_RSRC2:TGID_Y_EN: 1
; COMPUTE_PGM_RSRC2:TGID_Z_EN: 1
; COMPUTE_PGM_RSRC2:TIDIG_COMP_CNT: 0
	.section	.text._ZN4vllm32paged_attention_v2_reduce_kernelIfLi128ELi128ELi512EEEvPT_PKfS4_PKS1_PKii,"axG",@progbits,_ZN4vllm32paged_attention_v2_reduce_kernelIfLi128ELi128ELi512EEEvPT_PKfS4_PKS1_PKii,comdat
	.protected	_ZN4vllm32paged_attention_v2_reduce_kernelIfLi128ELi128ELi512EEEvPT_PKfS4_PKS1_PKii ; -- Begin function _ZN4vllm32paged_attention_v2_reduce_kernelIfLi128ELi128ELi512EEEvPT_PKfS4_PKS1_PKii
	.globl	_ZN4vllm32paged_attention_v2_reduce_kernelIfLi128ELi128ELi512EEEvPT_PKfS4_PKS1_PKii
	.p2align	8
	.type	_ZN4vllm32paged_attention_v2_reduce_kernelIfLi128ELi128ELi512EEEvPT_PKfS4_PKS1_PKii,@function
_ZN4vllm32paged_attention_v2_reduce_kernelIfLi128ELi128ELi512EEEvPT_PKfS4_PKS1_PKii: ; @_ZN4vllm32paged_attention_v2_reduce_kernelIfLi128ELi128ELi512EEEvPT_PKfS4_PKS1_PKii
; %bb.0:
	s_load_b128 s[4:7], s[0:1], 0x18
	s_mov_b32 s2, ttmp7
	s_ashr_i32 s3, ttmp7, 31
	s_add_nc_u64 s[8:9], s[0:1], 48
	s_lshl_b64 s[2:3], s[2:3], 2
	s_wait_kmcnt 0x0
	s_add_nc_u64 s[2:3], s[6:7], s[2:3]
	s_load_b32 s18, s[2:3], 0x0
	s_clause 0x2
	s_load_b64 s[6:7], s[0:1], 0x0
	s_load_b32 s14, s[0:1], 0x28
	s_load_b32 s15, s[0:1], 0x30
	s_wait_kmcnt 0x0
	s_add_co_i32 s2, s18, -1
	s_delay_alu instid0(SALU_CYCLE_1)
	s_cmp_gt_u32 s2, 0x1ff
	s_mov_b32 s2, -1
	s_cbranch_scc0 .LBB13_25
; %bb.1:
	s_add_co_i32 s2, s18, 0x1ff
	s_mul_i32 s16, s15, ttmp7
	s_ashr_i32 s3, s2, 31
	v_mov_b32_e32 v3, 0xff7fffff
	s_lshr_b32 s3, s3, 23
	s_mul_i32 s10, s16, s14
	s_add_co_i32 s2, s2, s3
	s_mul_i32 s12, s14, ttmp9
	s_ashr_i32 s17, s2, 9
	s_ashr_i32 s11, s10, 31
	v_cmp_gt_i32_e32 vcc_lo, s17, v0
	s_ashr_i32 s13, s12, 31
	s_and_saveexec_b32 s3, vcc_lo
	s_cbranch_execz .LBB13_5
; %bb.2:
	s_load_b64 s[20:21], s[0:1], 0x10
	s_load_b32 s2, s[8:9], 0xc
	s_lshl_b64 s[22:23], s[10:11], 2
	s_lshl_b64 s[24:25], s[12:13], 2
	v_lshlrev_b32_e32 v1, 2, v0
	s_add_nc_u64 s[22:23], s[22:23], s[24:25]
	v_mov_b32_e32 v3, 0xff7fffff
	s_delay_alu instid0(VALU_DEP_2) | instskip(SKIP_2) | instid1(SALU_CYCLE_1)
	v_dual_mov_b32 v5, v0 :: v_dual_add_nc_u32 v4, 32, v1
	s_wait_kmcnt 0x0
	s_add_nc_u64 s[20:21], s[20:21], s[22:23]
	v_add_co_u32 v1, s19, s20, v1
	s_delay_alu instid0(VALU_DEP_1)
	v_add_co_ci_u32_e64 v2, null, s21, 0, s19
	s_and_b32 s20, s2, 0xffff
	s_mov_b32 s19, 0
	s_wait_alu 0xfffe
	s_lshl_b32 s21, s20, 2
.LBB13_3:                               ; =>This Inner Loop Header: Depth=1
	global_load_b32 v6, v[1:2], off
	v_add_nc_u32_e32 v5, s20, v5
	v_max_num_f32_e32 v3, v3, v3
	s_wait_alu 0xfffe
	v_add_co_u32 v1, s2, v1, s21
	s_wait_alu 0xf1ff
	v_add_co_ci_u32_e64 v2, null, 0, v2, s2
	v_cmp_le_i32_e64 s2, s17, v5
	s_or_b32 s19, s2, s19
	s_wait_loadcnt 0x0
	v_max_num_f32_e32 v7, v6, v6
	ds_store_b32 v4, v6
	v_dual_max_num_f32 v3, v3, v7 :: v_dual_add_nc_u32 v4, s21, v4
	s_wait_alu 0xfffe
	s_and_not1_b32 exec_lo, exec_lo, s19
	s_cbranch_execnz .LBB13_3
; %bb.4:
	s_or_b32 exec_lo, exec_lo, s19
.LBB13_5:
	s_delay_alu instid0(SALU_CYCLE_1)
	s_or_b32 exec_lo, exec_lo, s3
	v_mbcnt_lo_u32_b32 v1, -1, 0
	s_load_b64 s[2:3], s[0:1], 0x8
	s_wait_dscnt 0x0
	s_barrier_signal -1
	s_barrier_wait -1
	v_xor_b32_e32 v2, 16, v1
	v_xor_b32_e32 v4, 8, v1
	global_inv scope:SCOPE_SE
	v_cmp_gt_i32_e64 s0, 32, v2
	s_delay_alu instid0(VALU_DEP_1) | instskip(SKIP_1) | instid1(VALU_DEP_2)
	v_cndmask_b32_e64 v2, v1, v2, s0
	v_cmp_gt_i32_e64 s0, 32, v4
	v_lshlrev_b32_e32 v5, 2, v2
	s_wait_alu 0xf1ff
	s_delay_alu instid0(VALU_DEP_2) | instskip(SKIP_4) | instid1(VALU_DEP_2)
	v_cndmask_b32_e64 v4, v1, v4, s0
	ds_bpermute_b32 v2, v5, v3
	v_lshlrev_b32_e32 v6, 2, v4
	v_xor_b32_e32 v4, 4, v1
	v_max_num_f32_e32 v3, v3, v3
	v_cmp_gt_i32_e64 s0, 32, v4
	s_wait_alu 0xf1ff
	s_delay_alu instid0(VALU_DEP_1) | instskip(NEXT) | instid1(VALU_DEP_1)
	v_cndmask_b32_e64 v4, v1, v4, s0
	v_lshlrev_b32_e32 v7, 2, v4
	v_xor_b32_e32 v4, 2, v1
	s_wait_dscnt 0x0
	v_max_num_f32_e32 v2, v2, v2
	s_delay_alu instid0(VALU_DEP_2) | instskip(NEXT) | instid1(VALU_DEP_2)
	v_cmp_gt_i32_e64 s0, 32, v4
	v_max_num_f32_e32 v2, v3, v2
	s_wait_alu 0xf1ff
	s_delay_alu instid0(VALU_DEP_2) | instskip(SKIP_3) | instid1(VALU_DEP_1)
	v_cndmask_b32_e64 v4, v1, v4, s0
	ds_bpermute_b32 v3, v6, v2
	s_wait_dscnt 0x0
	v_max_num_f32_e32 v3, v3, v3
	v_max_num_f32_e32 v2, v2, v3
	ds_bpermute_b32 v3, v7, v2
	s_wait_dscnt 0x0
	v_dual_max_num_f32 v8, v3, v3 :: v_dual_lshlrev_b32 v3, 2, v4
	s_delay_alu instid0(VALU_DEP_1) | instskip(SKIP_4) | instid1(VALU_DEP_1)
	v_max_num_f32_e32 v2, v2, v8
	v_xor_b32_e32 v8, 1, v1
	ds_bpermute_b32 v4, v3, v2
	v_cmp_gt_i32_e64 s0, 32, v8
	s_wait_alu 0xf1ff
	v_cndmask_b32_e64 v1, v1, v8, s0
	v_lshrrev_b32_e32 v8, 5, v0
	s_delay_alu instid0(VALU_DEP_1) | instskip(SKIP_2) | instid1(VALU_DEP_1)
	v_lshlrev_b32_e32 v8, 2, v8
	s_wait_dscnt 0x0
	v_max_num_f32_e32 v4, v4, v4
	v_max_num_f32_e32 v2, v2, v4
	v_lshlrev_b32_e32 v4, 2, v1
	v_and_b32_e32 v1, 31, v0
	ds_bpermute_b32 v9, v4, v2
	v_cmp_eq_u32_e64 s0, 0, v1
	s_and_saveexec_b32 s1, s0
	s_cbranch_execz .LBB13_7
; %bb.6:
	s_wait_dscnt 0x0
	v_dual_max_num_f32 v9, v9, v9 :: v_dual_max_num_f32 v2, v2, v2
	s_delay_alu instid0(VALU_DEP_1)
	v_max_num_f32_e32 v2, v2, v9
	ds_store_b32 v8, v2
.LBB13_7:
	s_wait_alu 0xfffe
	s_or_b32 exec_lo, exec_lo, s1
	v_cmp_gt_u32_e64 s1, 4, v1
	s_wait_dscnt 0x0
	v_dual_mov_b32 v2, 0xff7fffff :: v_dual_lshlrev_b32 v9, 2, v1
	s_wait_loadcnt 0x0
	s_barrier_signal -1
	s_barrier_wait -1
	global_inv scope:SCOPE_SE
	s_and_saveexec_b32 s19, s1
; %bb.8:
	ds_load_b32 v2, v9
; %bb.9:
	s_wait_alu 0xfffe
	s_or_b32 exec_lo, exec_lo, s19
	s_wait_dscnt 0x0
	ds_bpermute_b32 v1, v3, v2
	v_max_num_f32_e32 v2, v2, v2
	s_lshl_b32 s19, s17, 2
	s_wait_dscnt 0x0
	v_dual_mov_b32 v10, 0 :: v_dual_max_num_f32 v1, v1, v1
	s_delay_alu instid0(VALU_DEP_1) | instskip(SKIP_3) | instid1(VALU_DEP_1)
	v_max_num_f32_e32 v1, v2, v1
	ds_bpermute_b32 v2, v4, v1
	s_wait_dscnt 0x0
	v_max_num_f32_e32 v2, v2, v2
	v_max_num_f32_e32 v1, v1, v2
	ds_bpermute_b32 v11, v10, v1
	s_and_saveexec_b32 s20, vcc_lo
	s_cbranch_execz .LBB13_13
; %bb.10:
	s_load_b32 s21, s[8:9], 0xc
	s_lshl_b64 s[22:23], s[10:11], 2
	s_lshl_b64 s[24:25], s[12:13], 2
	v_dual_mov_b32 v13, v0 :: v_dual_lshlrev_b32 v12, 2, v0
	s_add_nc_u64 s[22:23], s[22:23], s[24:25]
	v_mov_b32_e32 v10, 0
	s_wait_kmcnt 0x0
	s_add_nc_u64 s[2:3], s[2:3], s[22:23]
	s_wait_alu 0xfffe
	v_add_co_u32 v1, s2, s2, v12
	s_wait_alu 0xf1ff
	v_add_co_ci_u32_e64 v2, null, s3, 0, s2
	v_add_nc_u32_e32 v12, 32, v12
	s_mov_b32 s3, 0
	s_and_b32 s11, s21, 0xffff
	s_delay_alu instid0(SALU_CYCLE_1)
	s_lshl_b32 s13, s11, 2
.LBB13_11:                              ; =>This Inner Loop Header: Depth=1
	global_load_b32 v14, v[1:2], off
	ds_load_b32 v15, v12
	s_wait_dscnt 0x0
	v_sub_f32_e32 v15, v15, v11
	s_delay_alu instid0(VALU_DEP_1) | instskip(NEXT) | instid1(VALU_DEP_1)
	v_mul_f32_e32 v16, 0x3fb8aa3b, v15
	v_fma_f32 v17, 0x3fb8aa3b, v15, -v16
	v_rndne_f32_e32 v18, v16
	s_delay_alu instid0(VALU_DEP_1) | instskip(SKIP_1) | instid1(VALU_DEP_4)
	v_sub_f32_e32 v16, v16, v18
	v_cmp_ngt_f32_e32 vcc_lo, 0xc2ce8ed0, v15
	v_fmac_f32_e32 v17, 0x32a5705f, v15
	v_cmp_nlt_f32_e64 s2, 0x42b17218, v15
	s_delay_alu instid0(VALU_DEP_2) | instskip(SKIP_1) | instid1(VALU_DEP_2)
	v_add_f32_e32 v16, v16, v17
	v_cvt_i32_f32_e32 v17, v18
	v_exp_f32_e32 v16, v16
	s_delay_alu instid0(TRANS32_DEP_1) | instskip(SKIP_3) | instid1(VALU_DEP_3)
	v_ldexp_f32 v16, v16, v17
	v_add_nc_u32_e32 v17, s19, v12
	v_add_nc_u32_e32 v12, s13, v12
	s_wait_alu 0xfffd
	v_cndmask_b32_e32 v16, 0, v16, vcc_lo
	v_add_co_u32 v1, vcc_lo, v1, s13
	s_wait_alu 0xfffd
	v_add_co_ci_u32_e64 v2, null, 0, v2, vcc_lo
	s_wait_alu 0xf1ff
	v_cndmask_b32_e64 v15, 0x7f800000, v16, s2
	s_wait_loadcnt 0x0
	s_delay_alu instid0(VALU_DEP_1) | instskip(NEXT) | instid1(VALU_DEP_1)
	v_dual_mul_f32 v16, v14, v15 :: v_dual_add_nc_u32 v13, s11, v13
	v_cmp_le_i32_e32 vcc_lo, s17, v13
	v_fmac_f32_e32 v10, v14, v15
	ds_store_b32 v17, v16
	s_wait_alu 0xfffe
	s_or_b32 s3, vcc_lo, s3
	s_wait_alu 0xfffe
	s_and_not1_b32 exec_lo, exec_lo, s3
	s_cbranch_execnz .LBB13_11
; %bb.12:
	s_or_b32 exec_lo, exec_lo, s3
.LBB13_13:
	s_wait_alu 0xfffe
	s_or_b32 exec_lo, exec_lo, s20
	ds_bpermute_b32 v1, v5, v10
	s_wait_loadcnt_dscnt 0x0
	s_barrier_signal -1
	s_barrier_wait -1
	global_inv scope:SCOPE_SE
	v_add_f32_e32 v1, v10, v1
	ds_bpermute_b32 v2, v6, v1
	s_wait_dscnt 0x0
	v_add_f32_e32 v1, v1, v2
	ds_bpermute_b32 v2, v7, v1
	s_wait_dscnt 0x0
	;; [unrolled: 3-line block ×4, first 2 shown]
	v_add_f32_e32 v1, v1, v2
	s_wait_kmcnt 0x0
	s_and_saveexec_b32 s2, s0
; %bb.14:
	ds_store_b32 v8, v1 offset:16
; %bb.15:
	s_wait_alu 0xfffe
	s_or_b32 exec_lo, exec_lo, s2
	s_wait_loadcnt_dscnt 0x0
	s_barrier_signal -1
	s_barrier_wait -1
	global_inv scope:SCOPE_SE
	s_and_saveexec_b32 s0, s1
; %bb.16:
	ds_load_b32 v1, v9 offset:16
; %bb.17:
	s_wait_alu 0xfffe
	s_or_b32 exec_lo, exec_lo, s0
	s_wait_dscnt 0x0
	ds_bpermute_b32 v2, v3, v1
	s_mov_b32 s0, exec_lo
	s_wait_dscnt 0x0
	v_add_f32_e32 v1, v1, v2
	ds_bpermute_b32 v2, v4, v1
	s_wait_dscnt 0x0
	v_dual_add_f32 v1, v1, v2 :: v_dual_mov_b32 v2, 0
	ds_bpermute_b32 v2, v2, v1
	v_cmpx_gt_u32_e32 0x80, v0
	s_cbranch_execz .LBB13_24
; %bb.18:
	s_cmp_gt_i32 s18, 0
	s_mov_b32 s1, 0
	s_cbranch_scc1 .LBB13_20
; %bb.19:
	v_dual_mov_b32 v1, 0 :: v_dual_mov_b32 v4, 0
	s_wait_alu 0xfffe
	s_and_not1_b32 vcc_lo, exec_lo, s1
	s_wait_alu 0xfffe
	s_cbranch_vccz .LBB13_21
	s_branch .LBB13_23
.LBB13_20:
	v_mov_b32_e32 v4, 0
.LBB13_21:
	s_wait_dscnt 0x0
	v_add_f32_e32 v4, 0x358637bd, v2
	s_lshl_b32 s2, s10, 7
	s_lshl_b32 s10, s12, 7
	s_wait_alu 0xfffe
	s_ashr_i32 s3, s2, 31
	s_ashr_i32 s11, s10, 31
	v_div_scale_f32 v2, null, v4, v4, 1.0
	s_wait_alu 0xfffe
	s_lshl_b64 s[2:3], s[2:3], 2
	s_lshl_b64 s[10:11], s[10:11], 2
	s_wait_alu 0xfffe
	s_add_nc_u64 s[2:3], s[2:3], s[10:11]
	v_rcp_f32_e32 v3, v2
	s_wait_alu 0xfffe
	s_add_nc_u64 s[2:3], s[4:5], s[2:3]
	s_delay_alu instid0(TRANS32_DEP_1) | instskip(NEXT) | instid1(VALU_DEP_1)
	v_fma_f32 v1, -v2, v3, 1.0
	v_fmac_f32_e32 v3, v1, v3
	v_div_scale_f32 v5, vcc_lo, 1.0, v4, 1.0
	s_delay_alu instid0(VALU_DEP_1) | instskip(NEXT) | instid1(VALU_DEP_1)
	v_mul_f32_e32 v6, v5, v3
	v_fma_f32 v1, -v2, v6, v5
	s_delay_alu instid0(VALU_DEP_1) | instskip(NEXT) | instid1(VALU_DEP_1)
	v_dual_fmac_f32 v6, v1, v3 :: v_dual_mov_b32 v1, 0
	v_fma_f32 v2, -v2, v6, v5
	v_lshlrev_b32_e32 v5, 2, v0
	s_wait_alu 0xfffd
	s_delay_alu instid0(VALU_DEP_2) | instskip(SKIP_1) | instid1(VALU_DEP_2)
	v_div_fmas_f32 v6, v2, v3, v6
	s_wait_alu 0xfffe
	v_add_co_u32 v2, s1, s2, v5
	s_wait_alu 0xf1ff
	v_add_co_ci_u32_e64 v3, null, s3, 0, s1
	v_div_fixup_f32 v5, v6, v4, 1.0
	v_mov_b32_e32 v4, v1
	s_max_i32 s1, s17, 1
	s_add_co_i32 s2, s19, 32
.LBB13_22:                              ; =>This Inner Loop Header: Depth=1
	global_load_b32 v6, v[2:3], off
	s_wait_alu 0xfffe
	v_mov_b32_e32 v7, s2
	v_add_co_u32 v2, vcc_lo, 0x200, v2
	s_wait_alu 0xfffd
	v_add_co_ci_u32_e64 v3, null, 0, v3, vcc_lo
	ds_load_b32 v7, v7
	s_add_co_i32 s1, s1, -1
	s_add_co_i32 s2, s2, 4
	s_wait_alu 0xfffe
	s_cmp_eq_u32 s1, 0
	s_wait_loadcnt_dscnt 0x0
	v_mul_f32_e32 v6, v6, v7
	s_delay_alu instid0(VALU_DEP_1)
	v_fmac_f32_e32 v4, v5, v6
	s_cbranch_scc0 .LBB13_22
.LBB13_23:
	s_lshl_b32 s2, s16, 7
	s_lshl_b32 s10, ttmp9, 7
	s_wait_alu 0xfffe
	s_ashr_i32 s3, s2, 31
	s_ashr_i32 s11, s10, 31
	s_wait_alu 0xfffe
	s_lshl_b64 s[2:3], s[2:3], 2
	s_wait_dscnt 0x0
	v_lshlrev_b64_e32 v[1:2], 2, v[0:1]
	s_lshl_b64 s[10:11], s[10:11], 2
	s_wait_alu 0xfffe
	s_add_nc_u64 s[2:3], s[6:7], s[2:3]
	s_wait_alu 0xfffe
	s_add_nc_u64 s[2:3], s[2:3], s[10:11]
	s_wait_alu 0xfffe
	v_add_co_u32 v1, vcc_lo, s2, v1
	s_wait_alu 0xfffd
	v_add_co_ci_u32_e64 v2, null, s3, v2, vcc_lo
	global_store_b32 v[1:2], v4, off
.LBB13_24:
	s_wait_alu 0xfffe
	s_or_b32 exec_lo, exec_lo, s0
	s_mov_b32 s2, 0
.LBB13_25:
	s_wait_alu 0xfffe
	s_and_b32 vcc_lo, exec_lo, s2
	s_wait_alu 0xfffe
	s_cbranch_vccz .LBB13_29
; %bb.26:
	s_mov_b32 s0, exec_lo
	v_cmpx_gt_u32_e32 0x80, v0
	s_cbranch_execz .LBB13_29
; %bb.27:
	s_load_b32 s10, s[8:9], 0xc
	s_mul_i32 s15, s15, ttmp7
	s_lshl_b32 s2, ttmp9, 7
	s_lshl_b32 s0, s15, 7
	s_mul_i32 s8, s14, s15
	s_wait_alu 0xfffe
	s_ashr_i32 s1, s0, 31
	s_mul_i32 s14, s14, ttmp9
	s_wait_alu 0xfffe
	s_lshl_b64 s[0:1], s[0:1], 2
	s_ashr_i32 s3, s2, 31
	s_wait_alu 0xfffe
	s_add_nc_u64 s[0:1], s[6:7], s[0:1]
	s_lshl_b32 s6, s8, 7
	s_lshl_b32 s8, s14, 7
	s_ashr_i32 s7, s6, 31
	s_lshl_b64 s[2:3], s[2:3], 2
	s_lshl_b64 s[6:7], s[6:7], 2
	s_ashr_i32 s9, s8, 31
	s_wait_dscnt 0x0
	v_dual_mov_b32 v2, 0 :: v_dual_lshlrev_b32 v1, 2, v0
	s_add_nc_u64 s[4:5], s[4:5], s[6:7]
	s_lshl_b64 s[6:7], s[8:9], 2
	s_wait_alu 0xfffe
	s_add_nc_u64 s[2:3], s[0:1], s[2:3]
	s_wait_kmcnt 0x0
	s_and_b32 s1, s10, 0xffff
	s_add_nc_u64 s[4:5], s[4:5], s[6:7]
	s_mov_b32 s6, 0
	s_wait_alu 0xfffe
	s_lshl_b32 s7, s1, 2
.LBB13_28:                              ; =>This Inner Loop Header: Depth=1
	v_add_co_u32 v3, vcc_lo, s4, v1
	s_wait_alu 0xfffd
	v_add_co_ci_u32_e64 v4, null, s5, v2, vcc_lo
	v_add_nc_u32_e32 v0, s1, v0
	global_load_b32 v5, v[3:4], off
	v_add_co_u32 v3, vcc_lo, s2, v1
	s_wait_alu 0xfffd
	v_add_co_ci_u32_e64 v4, null, s3, v2, vcc_lo
	v_cmp_lt_u32_e32 vcc_lo, 0x7f, v0
	v_add_co_u32 v1, s0, v1, s7
	s_wait_alu 0xf1ff
	v_add_co_ci_u32_e64 v2, null, 0, v2, s0
	s_or_b32 s6, vcc_lo, s6
	s_wait_loadcnt 0x0
	global_store_b32 v[3:4], v5, off
	s_wait_alu 0xfffe
	s_and_not1_b32 exec_lo, exec_lo, s6
	s_cbranch_execnz .LBB13_28
.LBB13_29:
	s_endpgm
	.section	.rodata,"a",@progbits
	.p2align	6, 0x0
	.amdhsa_kernel _ZN4vllm32paged_attention_v2_reduce_kernelIfLi128ELi128ELi512EEEvPT_PKfS4_PKS1_PKii
		.amdhsa_group_segment_fixed_size 32
		.amdhsa_private_segment_fixed_size 0
		.amdhsa_kernarg_size 304
		.amdhsa_user_sgpr_count 2
		.amdhsa_user_sgpr_dispatch_ptr 0
		.amdhsa_user_sgpr_queue_ptr 0
		.amdhsa_user_sgpr_kernarg_segment_ptr 1
		.amdhsa_user_sgpr_dispatch_id 0
		.amdhsa_user_sgpr_private_segment_size 0
		.amdhsa_wavefront_size32 1
		.amdhsa_uses_dynamic_stack 0
		.amdhsa_enable_private_segment 0
		.amdhsa_system_sgpr_workgroup_id_x 1
		.amdhsa_system_sgpr_workgroup_id_y 1
		.amdhsa_system_sgpr_workgroup_id_z 0
		.amdhsa_system_sgpr_workgroup_info 0
		.amdhsa_system_vgpr_workitem_id 0
		.amdhsa_next_free_vgpr 19
		.amdhsa_next_free_sgpr 26
		.amdhsa_reserve_vcc 1
		.amdhsa_float_round_mode_32 0
		.amdhsa_float_round_mode_16_64 0
		.amdhsa_float_denorm_mode_32 3
		.amdhsa_float_denorm_mode_16_64 3
		.amdhsa_fp16_overflow 0
		.amdhsa_workgroup_processor_mode 1
		.amdhsa_memory_ordered 1
		.amdhsa_forward_progress 1
		.amdhsa_inst_pref_size 17
		.amdhsa_round_robin_scheduling 0
		.amdhsa_exception_fp_ieee_invalid_op 0
		.amdhsa_exception_fp_denorm_src 0
		.amdhsa_exception_fp_ieee_div_zero 0
		.amdhsa_exception_fp_ieee_overflow 0
		.amdhsa_exception_fp_ieee_underflow 0
		.amdhsa_exception_fp_ieee_inexact 0
		.amdhsa_exception_int_div_zero 0
	.end_amdhsa_kernel
	.section	.text._ZN4vllm32paged_attention_v2_reduce_kernelIfLi128ELi128ELi512EEEvPT_PKfS4_PKS1_PKii,"axG",@progbits,_ZN4vllm32paged_attention_v2_reduce_kernelIfLi128ELi128ELi512EEEvPT_PKfS4_PKS1_PKii,comdat
.Lfunc_end13:
	.size	_ZN4vllm32paged_attention_v2_reduce_kernelIfLi128ELi128ELi512EEEvPT_PKfS4_PKS1_PKii, .Lfunc_end13-_ZN4vllm32paged_attention_v2_reduce_kernelIfLi128ELi128ELi512EEEvPT_PKfS4_PKS1_PKii
                                        ; -- End function
	.set _ZN4vllm32paged_attention_v2_reduce_kernelIfLi128ELi128ELi512EEEvPT_PKfS4_PKS1_PKii.num_vgpr, 19
	.set _ZN4vllm32paged_attention_v2_reduce_kernelIfLi128ELi128ELi512EEEvPT_PKfS4_PKS1_PKii.num_agpr, 0
	.set _ZN4vllm32paged_attention_v2_reduce_kernelIfLi128ELi128ELi512EEEvPT_PKfS4_PKS1_PKii.numbered_sgpr, 26
	.set _ZN4vllm32paged_attention_v2_reduce_kernelIfLi128ELi128ELi512EEEvPT_PKfS4_PKS1_PKii.num_named_barrier, 0
	.set _ZN4vllm32paged_attention_v2_reduce_kernelIfLi128ELi128ELi512EEEvPT_PKfS4_PKS1_PKii.private_seg_size, 0
	.set _ZN4vllm32paged_attention_v2_reduce_kernelIfLi128ELi128ELi512EEEvPT_PKfS4_PKS1_PKii.uses_vcc, 1
	.set _ZN4vllm32paged_attention_v2_reduce_kernelIfLi128ELi128ELi512EEEvPT_PKfS4_PKS1_PKii.uses_flat_scratch, 0
	.set _ZN4vllm32paged_attention_v2_reduce_kernelIfLi128ELi128ELi512EEEvPT_PKfS4_PKS1_PKii.has_dyn_sized_stack, 0
	.set _ZN4vllm32paged_attention_v2_reduce_kernelIfLi128ELi128ELi512EEEvPT_PKfS4_PKS1_PKii.has_recursion, 0
	.set _ZN4vllm32paged_attention_v2_reduce_kernelIfLi128ELi128ELi512EEEvPT_PKfS4_PKS1_PKii.has_indirect_call, 0
	.section	.AMDGPU.csdata,"",@progbits
; Kernel info:
; codeLenInByte = 2144
; TotalNumSgprs: 28
; NumVgprs: 19
; ScratchSize: 0
; MemoryBound: 0
; FloatMode: 240
; IeeeMode: 1
; LDSByteSize: 32 bytes/workgroup (compile time only)
; SGPRBlocks: 0
; VGPRBlocks: 2
; NumSGPRsForWavesPerEU: 28
; NumVGPRsForWavesPerEU: 19
; Occupancy: 16
; WaveLimiterHint : 0
; COMPUTE_PGM_RSRC2:SCRATCH_EN: 0
; COMPUTE_PGM_RSRC2:USER_SGPR: 2
; COMPUTE_PGM_RSRC2:TRAP_HANDLER: 0
; COMPUTE_PGM_RSRC2:TGID_X_EN: 1
; COMPUTE_PGM_RSRC2:TGID_Y_EN: 1
; COMPUTE_PGM_RSRC2:TGID_Z_EN: 0
; COMPUTE_PGM_RSRC2:TIDIG_COMP_CNT: 0
	.section	.text._ZN4vllm25paged_attention_v2_kernelIffLi192ELi8ELi128ELNS_18Fp8KVCacheDataTypeE0ELb1ELi512EEEvPfS2_PT_PKS3_PKT0_S9_ifPKiSB_iPKfiiiSD_SD_iiiii,"axG",@progbits,_ZN4vllm25paged_attention_v2_kernelIffLi192ELi8ELi128ELNS_18Fp8KVCacheDataTypeE0ELb1ELi512EEEvPfS2_PT_PKS3_PKT0_S9_ifPKiSB_iPKfiiiSD_SD_iiiii,comdat
	.protected	_ZN4vllm25paged_attention_v2_kernelIffLi192ELi8ELi128ELNS_18Fp8KVCacheDataTypeE0ELb1ELi512EEEvPfS2_PT_PKS3_PKT0_S9_ifPKiSB_iPKfiiiSD_SD_iiiii ; -- Begin function _ZN4vllm25paged_attention_v2_kernelIffLi192ELi8ELi128ELNS_18Fp8KVCacheDataTypeE0ELb1ELi512EEEvPfS2_PT_PKS3_PKT0_S9_ifPKiSB_iPKfiiiSD_SD_iiiii
	.globl	_ZN4vllm25paged_attention_v2_kernelIffLi192ELi8ELi128ELNS_18Fp8KVCacheDataTypeE0ELb1ELi512EEEvPfS2_PT_PKS3_PKT0_S9_ifPKiSB_iPKfiiiSD_SD_iiiii
	.p2align	8
	.type	_ZN4vllm25paged_attention_v2_kernelIffLi192ELi8ELi128ELNS_18Fp8KVCacheDataTypeE0ELb1ELi512EEEvPfS2_PT_PKS3_PKT0_S9_ifPKiSB_iPKfiiiSD_SD_iiiii,@function
_ZN4vllm25paged_attention_v2_kernelIffLi192ELi8ELi128ELNS_18Fp8KVCacheDataTypeE0ELb1ELi512EEEvPfS2_PT_PKS3_PKT0_S9_ifPKiSB_iPKfiiiSD_SD_iiiii: ; @_ZN4vllm25paged_attention_v2_kernelIffLi192ELi8ELi128ELNS_18Fp8KVCacheDataTypeE0ELb1ELi512EEEvPfS2_PT_PKS3_PKT0_S9_ifPKiSB_iPKfiiiSD_SD_iiiii
; %bb.0:
	s_load_b64 s[2:3], s[0:1], 0x40
	s_and_b32 s20, ttmp7, 0xffff
	s_lshr_b32 s30, ttmp7, 16
	s_lshl_b32 s4, s20, 2
	s_lshl_b32 s34, s30, 9
	s_wait_kmcnt 0x0
	s_load_b32 s33, s[2:3], s4 offset:0x0
	s_wait_kmcnt 0x0
	s_cmp_ge_i32 s34, s33
	s_cbranch_scc1 .LBB14_105
; %bb.1:
	s_clause 0x1
	s_load_b32 s21, s[0:1], 0x90
	s_load_b64 s[6:7], s[0:1], 0x30
	s_wait_kmcnt 0x0
	s_abs_i32 s5, s21
	s_abs_i32 s2, s6
	s_delay_alu instid0(SALU_CYCLE_1) | instskip(SKIP_1) | instid1(SALU_CYCLE_2)
	s_cvt_f32_u32 s3, s2
	s_sub_co_i32 s4, 0, s2
	v_rcp_iflag_f32_e32 v1, s3
	s_delay_alu instid0(TRANS32_DEP_1) | instskip(SKIP_2) | instid1(SALU_CYCLE_2)
	v_readfirstlane_b32 s3, v1
	s_mul_f32 s3, s3, 0x4f7ffffe
	s_wait_alu 0xfffe
	s_cvt_u32_f32 s3, s3
	s_wait_alu 0xfffe
	s_delay_alu instid0(SALU_CYCLE_2) | instskip(NEXT) | instid1(SALU_CYCLE_1)
	s_mul_i32 s4, s4, s3
	s_mul_hi_u32 s4, s3, s4
	s_delay_alu instid0(SALU_CYCLE_1)
	s_add_co_i32 s3, s3, s4
	s_xor_b32 s4, s21, s6
	s_wait_alu 0xfffe
	s_mul_hi_u32 s3, s5, s3
	s_ashr_i32 s4, s4, 31
	s_wait_alu 0xfffe
	s_mul_i32 s8, s3, s2
	s_delay_alu instid0(SALU_CYCLE_1)
	s_sub_co_i32 s5, s5, s8
	s_add_co_i32 s8, s3, 1
	s_sub_co_i32 s9, s5, s2
	s_cmp_ge_u32 s5, s2
	s_cselect_b32 s3, s8, s3
	s_cselect_b32 s5, s9, s5
	s_wait_alu 0xfffe
	s_add_co_i32 s8, s3, 1
	s_cmp_ge_u32 s5, s2
	s_cselect_b32 s2, s8, s3
	s_load_b64 s[8:9], s[0:1], 0x50
	s_xor_b32 s2, s2, s4
	s_mov_b32 s3, 0
	s_wait_alu 0xfffe
	s_sub_co_i32 s10, s2, s4
	s_mov_b32 s15, s3
	s_abs_i32 s18, s10
	s_delay_alu instid0(SALU_CYCLE_1) | instskip(SKIP_1) | instid1(SALU_CYCLE_2)
	s_cvt_f32_u32 s2, s18
	s_wait_alu 0xfffe
	v_rcp_iflag_f32_e32 v1, s2
	s_delay_alu instid0(TRANS32_DEP_1) | instskip(SKIP_2) | instid1(SALU_CYCLE_2)
	v_readfirstlane_b32 s2, v1
	s_mul_f32 s2, s2, 0x4f7ffffe
	s_wait_alu 0xfffe
	s_cvt_u32_f32 s4, s2
	s_sub_co_i32 s2, 0, s18
	s_wait_alu 0xfffe
	s_delay_alu instid0(SALU_CYCLE_1)
	s_mul_i32 s2, s2, s4
	s_wait_alu 0xfffe
	s_mul_hi_u32 s5, s4, s2
	s_abs_i32 s2, ttmp9
	s_add_co_i32 s4, s4, s5
	s_mov_b32 s5, s3
	s_wait_kmcnt 0x0
	s_cmp_eq_u64 s[8:9], 0
	s_cbranch_scc1 .LBB14_3
; %bb.2:
	s_mov_b32 s12, ttmp9
	s_ashr_i32 s13, ttmp9, 31
	s_delay_alu instid0(SALU_CYCLE_1) | instskip(NEXT) | instid1(SALU_CYCLE_1)
	s_lshl_b64 s[12:13], s[12:13], 2
	s_add_nc_u64 s[8:9], s[8:9], s[12:13]
	s_load_b32 s15, s[8:9], 0x0
.LBB14_3:
	s_clause 0x1
	s_load_b32 s31, s[0:1], 0x98
	s_load_b96 s[12:14], s[0:1], 0x58
	v_and_b32_e32 v1, 3, v0
	v_lshlrev_b32_e32 v3, 2, v0
	s_mul_u64 s[4:5], s[2:3], s[4:5]
	s_ashr_i32 s3, ttmp9, 31
	s_ashr_i32 s4, s10, 31
	s_mul_i32 s16, ttmp9, 0xc0
	s_mov_b32 s10, exec_lo
	v_cmpx_gt_u32_e32 0xc0, v0
	s_cbranch_execz .LBB14_6
; %bb.4:
	s_load_b64 s[8:9], s[0:1], 0x18
	s_wait_kmcnt 0x0
	s_mul_i32 s22, s12, s20
	s_ashr_i32 s17, s16, 31
	s_ashr_i32 s23, s22, 31
	v_and_b32_e32 v2, 0x3fc, v0
	s_lshl_b64 s[22:23], s[22:23], 2
	v_cmp_gt_u32_e32 vcc_lo, 64, v0
	s_delay_alu instid0(VALU_DEP_2) | instskip(SKIP_2) | instid1(SALU_CYCLE_1)
	v_mad_u32_u24 v2, 0xc0, v1, v2
	s_add_nc_u64 s[8:9], s[8:9], s[22:23]
	s_lshl_b64 s[22:23], s[16:17], 2
	s_add_nc_u64 s[8:9], s[8:9], s[22:23]
	global_load_b32 v4, v3, s[8:9]
	s_wait_loadcnt 0x0
	ds_store_b32 v2, v4
	s_and_b32 exec_lo, exec_lo, vcc_lo
	s_cbranch_execz .LBB14_6
; %bb.5:
	v_lshrrev_b32_e32 v4, 2, v0
	v_lshlrev_b32_e32 v5, 2, v1
	s_delay_alu instid0(VALU_DEP_2) | instskip(NEXT) | instid1(VALU_DEP_1)
	v_lshlrev_b32_e32 v4, 4, v4
	v_or3_b32 v4, v4, v5, 0x200
	global_load_b32 v4, v4, s[8:9]
	s_wait_loadcnt 0x0
	ds_store_b32 v2, v4 offset:128
.LBB14_6:
	s_or_b32 exec_lo, exec_lo, s10
	s_clause 0x1
	s_load_b128 s[8:11], s[0:1], 0x78
	s_load_b32 s22, s[0:1], 0x88
	s_wait_kmcnt 0x0
	s_mul_i32 s12, s5, s18
	s_xor_b32 s3, s3, s4
	s_sub_co_i32 s2, s2, s12
	s_add_co_i32 s4, s5, 1
	s_wait_alu 0xfffe
	s_sub_co_i32 s12, s2, s18
	s_cmp_ge_u32 s2, s18
	s_mov_b32 s24, -1
	s_cselect_b32 s4, s4, s5
	s_cselect_b32 s2, s12, s2
	s_add_co_i32 s5, s4, 1
	s_wait_alu 0xfffe
	s_cmp_ge_u32 s2, s18
	s_wait_dscnt 0x0
	s_cselect_b32 s2, s5, s4
	s_add_co_i32 s23, s33, -1
	s_wait_alu 0xfffe
	s_xor_b32 s2, s2, s3
	s_barrier_signal -1
	s_wait_alu 0xfffe
	s_sub_co_i32 s26, s2, s3
	s_barrier_wait -1
	s_abs_i32 s12, s11
	global_inv scope:SCOPE_SE
	s_cvt_f32_u32 s4, s12
                                        ; implicit-def: $sgpr17
	s_delay_alu instid0(SALU_CYCLE_3) | instskip(NEXT) | instid1(TRANS32_DEP_1)
	v_rcp_iflag_f32_e32 v2, s4
	v_readfirstlane_b32 s4, v2
	s_mul_f32 s2, s4, 0x4f7ffffe
	s_wait_alu 0xfffe
	s_delay_alu instid0(SALU_CYCLE_2) | instskip(SKIP_2) | instid1(SALU_CYCLE_1)
	s_cvt_u32_f32 s4, s2
	s_sub_co_i32 s2, 0, s12
	s_wait_alu 0xfffe
	s_mul_i32 s3, s2, s4
	s_abs_i32 s2, s23
	s_wait_alu 0xfffe
	s_mul_hi_u32 s5, s4, s3
	s_mov_b32 s3, 0
	s_wait_alu 0xfffe
	s_add_co_i32 s18, s4, s5
	s_cmp_lt_i32 s22, 0
	s_mov_b32 s19, s3
	s_cbranch_scc0 .LBB14_8
; %bb.7:
	s_mul_i32 s4, s8, s6
	s_mov_b32 s24, s3
	s_wait_alu 0xfffe
	s_add_co_i32 s4, s26, s4
	s_wait_alu 0xfffe
	s_mul_i32 s4, s4, s22
	s_wait_alu 0xfffe
	s_sub_co_i32 s17, 1, s4
.LBB14_8:
	s_mul_u64 s[4:5], s[2:3], s[18:19]
	s_ashr_i32 s3, s23, 31
	s_and_not1_b32 vcc_lo, exec_lo, s24
	s_ashr_i32 s11, s11, 31
	s_cbranch_vccnz .LBB14_10
; %bb.9:
	s_mul_i32 s4, s21, s8
	s_wait_alu 0xfffe
	s_add_co_i32 s4, s4, ttmp9
	s_wait_alu 0xfffe
	s_mul_i32 s4, s4, s22
	s_wait_alu 0xfffe
	s_add_co_i32 s17, s4, 1
.LBB14_10:
	s_clause 0x1
	s_load_b32 s4, s[0:1], 0x48
	s_load_b64 s[22:23], s[0:1], 0x38
	s_mul_i32 s6, s5, s12
	s_xor_b32 s3, s3, s11
	s_sub_co_i32 s2, s2, s6
	s_add_co_i32 s8, s5, 1
	v_lshrrev_b32_e32 v55, 5, v0
	v_mbcnt_lo_u32_b32 v5, -1, 0
	s_mul_i32 s26, s26, s14
	s_delay_alu instid0(VALU_DEP_2)
	v_lshl_add_u32 v56, v55, 3, s34
	s_wait_kmcnt 0x0
	s_mul_i32 s24, s4, s20
	s_wait_alu 0xfffe
	s_sub_co_i32 s4, s2, s12
	s_ashr_i32 s25, s24, 31
	s_cmp_ge_u32 s2, s12
	s_cselect_b32 s5, s8, s5
	s_wait_alu 0xfffe
	s_cselect_b32 s2, s4, s2
	s_add_co_i32 s4, s5, 1
	s_wait_alu 0xfffe
	s_cmp_ge_u32 s2, s12
	s_cselect_b32 s2, s4, s5
	s_add_co_i32 s4, s33, 7
	s_lshl_b32 s36, s30, 6
	s_wait_alu 0xfffe
	s_ashr_i32 s5, s4, 31
	v_or_b32_e32 v57, s36, v55
	s_wait_alu 0xfffe
	s_lshr_b32 s5, s5, 29
	v_mov_b32_e32 v7, 0xff7fffff
	s_wait_alu 0xfffe
	s_add_co_i32 s4, s4, s5
	s_add_co_i32 s5, s36, 64
	s_wait_alu 0xfffe
	s_ashr_i32 s19, s4, 3
	s_xor_b32 s4, s2, s3
	s_min_i32 s8, s5, s19
	v_lshlrev_b32_e32 v4, 2, v57
	v_cmp_gt_i32_e64 s2, s8, v57
	s_wait_alu 0xfffe
	s_sub_co_i32 s35, s4, s3
	s_and_saveexec_b32 s6, s2
	s_cbranch_execz .LBB14_22
; %bb.11:
	s_ashr_i32 s27, s26, 31
	s_wait_alu 0xfffe
	s_sub_co_i32 s14, s35, s9
	s_lshl_b64 s[4:5], s[26:27], 2
	s_cmp_neq_f32 s15, 0
	s_load_b64 s[38:39], s[0:1], 0x20
	v_bfe_u32 v6, v0, 2, 3
	v_dual_mov_b32 v14, 0xff7fffff :: v_dual_lshlrev_b32 v7, 2, v1
	s_cselect_b32 vcc_lo, -1, 0
	s_abs_i32 s27, s10
	v_mul_u32_u24_e32 v8, 0xc0, v1
	s_cvt_f32_u32 s3, s27
	v_lshlrev_b32_e32 v9, 4, v6
	s_lshl_b64 s[40:41], s[24:25], 2
	v_subrev_nc_u32_e32 v12, s33, v6
	s_wait_alu 0xfffe
	v_rcp_iflag_f32_e32 v2, s3
	v_cmp_eq_u32_e64 s3, 0, v1
	v_lshlrev_b32_e32 v1, 2, v6
	s_add_nc_u64 s[40:41], s[22:23], s[40:41]
	s_sub_co_i32 s37, 0, s27
	v_lshl_add_u32 v11, v55, 3, s34
	v_add_nc_u32_e32 v12, 1, v12
	v_lshl_or_b32 v13, v55, 5, v1
	v_xor_b32_e32 v15, 2, v5
	s_wait_kmcnt 0x0
	s_add_nc_u64 s[4:5], s[38:39], s[4:5]
	v_readfirstlane_b32 s29, v2
	s_wait_alu 0xfffe
	v_add_co_u32 v1, s4, s4, v9
	s_wait_alu 0xf1ff
	v_add_co_ci_u32_e64 v2, null, s5, 0, s4
	s_mul_f32 s29, s29, 0x4f7ffffe
	v_add_co_u32 v9, s4, v1, v7
	s_wait_alu 0xf1ff
	v_add_co_ci_u32_e64 v10, null, 0, v2, s4
	s_cvt_u32_f32 s5, s29
	v_add_co_u32 v1, s4, s40, v4
	s_wait_alu 0xf1ff
	v_add_co_ci_u32_e64 v2, null, s41, 0, s4
	s_wait_alu 0xfffe
	s_mul_i32 s37, s37, s5
	v_add_nc_u32_e32 v13, 0x320, v13
	v_xor_b32_e32 v16, 1, v5
	v_mov_b32_e32 v7, 0xff7fffff
	v_mov_b32_e32 v17, v57
	s_wait_alu 0xfffe
	s_mul_hi_u32 s4, s5, s37
	s_mov_b32 s28, 0
	s_mov_b32 s29, s13
	s_wait_alu 0xfffe
	s_add_co_i32 s37, s5, s4
	s_branch .LBB14_14
.LBB14_12:                              ;   in Loop: Header=BB14_14 Depth=1
	s_or_b32 exec_lo, exec_lo, s38
.LBB14_13:                              ;   in Loop: Header=BB14_14 Depth=1
	s_wait_alu 0xfffe
	s_or_b32 exec_lo, exec_lo, s5
	v_add_nc_u32_e32 v17, 4, v17
	v_add_co_u32 v1, s5, v1, 16
	s_wait_alu 0xf1ff
	v_add_co_ci_u32_e64 v2, null, 0, v2, s5
	s_delay_alu instid0(VALU_DEP_3)
	v_cmp_le_i32_e64 s4, s8, v17
	v_add_nc_u32_e32 v11, 32, v11
	v_add_nc_u32_e32 v13, 0x80, v13
	s_or_b32 s28, s4, s28
	s_wait_alu 0xfffe
	s_and_not1_b32 exec_lo, exec_lo, s28
	s_cbranch_execz .LBB14_21
.LBB14_14:                              ; =>This Inner Loop Header: Depth=1
	v_sub_nc_u32_e32 v18, 0, v11
	s_delay_alu instid0(VALU_DEP_1) | instskip(SKIP_1) | instid1(VALU_DEP_1)
	v_max_i32_e32 v18, v11, v18
	s_wait_dscnt 0x0
	v_mul_hi_u32 v19, v18, s18
	s_delay_alu instid0(VALU_DEP_1) | instskip(NEXT) | instid1(VALU_DEP_1)
	v_mul_lo_u32 v20, v19, s12
	v_sub_nc_u32_e32 v18, v18, v20
	v_add_nc_u32_e32 v20, 1, v19
	s_delay_alu instid0(VALU_DEP_2) | instskip(SKIP_2) | instid1(VALU_DEP_1)
	v_subrev_nc_u32_e32 v21, s12, v18
	v_cmp_le_u32_e64 s4, s12, v18
	s_wait_alu 0xf1ff
	v_cndmask_b32_e64 v19, v19, v20, s4
	s_delay_alu instid0(VALU_DEP_3) | instskip(SKIP_1) | instid1(VALU_DEP_3)
	v_cndmask_b32_e64 v18, v18, v21, s4
	v_ashrrev_i32_e32 v20, 31, v11
	v_add_nc_u32_e32 v21, 1, v19
	s_delay_alu instid0(VALU_DEP_3) | instskip(NEXT) | instid1(VALU_DEP_3)
	v_cmp_le_u32_e64 s4, s12, v18
	v_xor_b32_e32 v20, s11, v20
	s_wait_alu 0xf1ff
	s_delay_alu instid0(VALU_DEP_2) | instskip(NEXT) | instid1(VALU_DEP_1)
	v_cndmask_b32_e64 v18, v19, v21, s4
	v_xor_b32_e32 v18, v18, v20
	s_delay_alu instid0(VALU_DEP_1) | instskip(NEXT) | instid1(VALU_DEP_1)
	v_sub_nc_u32_e32 v18, v18, v20
	v_add_nc_u32_e32 v19, s17, v18
	v_cmp_ge_i32_e64 s5, s14, v18
	s_delay_alu instid0(VALU_DEP_2) | instskip(NEXT) | instid1(VALU_DEP_1)
	v_sub_nc_u32_e32 v20, 0, v19
	v_max_i32_e32 v20, v19, v20
	v_ashrrev_i32_e32 v19, 31, v19
	s_wait_alu 0xfffe
	s_delay_alu instid0(VALU_DEP_2) | instskip(NEXT) | instid1(VALU_DEP_1)
	v_mul_hi_u32 v21, v20, s37
	v_mul_lo_u32 v21, v21, s27
	s_delay_alu instid0(VALU_DEP_1) | instskip(NEXT) | instid1(VALU_DEP_1)
	v_sub_nc_u32_e32 v20, v20, v21
	v_subrev_nc_u32_e32 v21, s27, v20
	v_cmp_le_u32_e64 s4, s27, v20
	s_wait_alu 0xf1ff
	s_delay_alu instid0(VALU_DEP_1) | instskip(NEXT) | instid1(VALU_DEP_1)
	v_cndmask_b32_e64 v20, v20, v21, s4
	v_subrev_nc_u32_e32 v21, s27, v20
	v_cmp_le_u32_e64 s4, s27, v20
	s_wait_alu 0xf1ff
	s_delay_alu instid0(VALU_DEP_1) | instskip(NEXT) | instid1(VALU_DEP_1)
	v_cndmask_b32_e64 v20, v20, v21, s4
	v_xor_b32_e32 v20, v20, v19
	s_delay_alu instid0(VALU_DEP_1) | instskip(NEXT) | instid1(VALU_DEP_1)
	v_sub_nc_u32_e32 v19, v20, v19
	v_cmp_ne_u32_e64 s4, 0, v19
	s_and_b32 s4, s4, s5
	s_wait_alu 0xfffe
	s_and_saveexec_b32 s5, s4
	s_wait_alu 0xfffe
	s_xor_b32 s4, exec_lo, s5
	s_cbranch_execz .LBB14_18
; %bb.15:                               ;   in Loop: Header=BB14_14 Depth=1
	s_and_saveexec_b32 s5, s3
; %bb.16:                               ;   in Loop: Header=BB14_14 Depth=1
	ds_store_b32 v13, v14
; %bb.17:                               ;   in Loop: Header=BB14_14 Depth=1
	s_wait_alu 0xfffe
	s_or_b32 exec_lo, exec_lo, s5
.LBB14_18:                              ;   in Loop: Header=BB14_14 Depth=1
	s_wait_alu 0xfffe
	s_and_not1_saveexec_b32 s5, s4
	s_cbranch_execz .LBB14_13
; %bb.19:                               ;   in Loop: Header=BB14_14 Depth=1
	global_load_b32 v18, v[1:2], off
	s_wait_loadcnt 0x0
	v_mad_co_i64_i32 v[18:19], null, v18, s29, 0
	s_delay_alu instid0(VALU_DEP_1) | instskip(NEXT) | instid1(VALU_DEP_1)
	v_lshlrev_b64_e32 v[18:19], 2, v[18:19]
	v_add_co_u32 v18, s4, v9, v18
	s_wait_alu 0xf1ff
	s_delay_alu instid0(VALU_DEP_2)
	v_add_co_ci_u32_e64 v19, null, v10, v19, s4
	v_cmp_gt_i32_e64 s4, 32, v15
	s_clause 0x1f
	global_load_b32 v26, v[18:19], off offset:128
	global_load_b32 v27, v[18:19], off
	global_load_b32 v28, v[18:19], off offset:256
	global_load_b32 v29, v[18:19], off offset:384
	;; [unrolled: 1-line block ×30, first 2 shown]
	s_clause 0xf
	global_load_b32 v61, v[18:19], off offset:4096
	global_load_b32 v62, v[18:19], off offset:4224
	;; [unrolled: 1-line block ×16, first 2 shown]
	ds_load_b128 v[18:21], v8
	ds_load_b128 v[22:25], v8 offset:16
	s_wait_loadcnt_dscnt 0x2f01
	v_mul_f32_e32 v26, v19, v26
	s_wait_loadcnt 0x2e
	s_delay_alu instid0(VALU_DEP_1) | instskip(SKIP_1) | instid1(VALU_DEP_1)
	v_fmac_f32_e32 v26, v18, v27
	s_wait_loadcnt 0x2d
	v_fmac_f32_e32 v26, v20, v28
	s_wait_loadcnt 0x2c
	s_delay_alu instid0(VALU_DEP_1) | instskip(SKIP_4) | instid1(VALU_DEP_1)
	v_fmac_f32_e32 v26, v21, v29
	ds_load_b128 v[18:21], v8 offset:32
	s_wait_loadcnt_dscnt 0x2b01
	v_fmac_f32_e32 v26, v22, v30
	s_wait_loadcnt 0x2a
	v_fmac_f32_e32 v26, v23, v31
	s_wait_loadcnt 0x29
	s_delay_alu instid0(VALU_DEP_1) | instskip(SKIP_1) | instid1(VALU_DEP_1)
	v_fmac_f32_e32 v26, v24, v32
	s_wait_loadcnt 0x28
	v_fmac_f32_e32 v26, v25, v33
	ds_load_b128 v[22:25], v8 offset:48
	s_wait_loadcnt_dscnt 0x2701
	v_fmac_f32_e32 v26, v18, v34
	s_wait_loadcnt 0x26
	s_delay_alu instid0(VALU_DEP_1) | instskip(SKIP_1) | instid1(VALU_DEP_1)
	v_fmac_f32_e32 v26, v19, v35
	s_wait_loadcnt 0x25
	v_fmac_f32_e32 v26, v20, v36
	s_wait_loadcnt 0x24
	s_delay_alu instid0(VALU_DEP_1) | instskip(SKIP_4) | instid1(VALU_DEP_1)
	v_fmac_f32_e32 v26, v21, v37
	ds_load_b128 v[18:21], v8 offset:64
	s_wait_loadcnt_dscnt 0x2301
	v_fmac_f32_e32 v26, v22, v38
	s_wait_loadcnt 0x22
	v_fmac_f32_e32 v26, v23, v39
	s_wait_loadcnt 0x21
	s_delay_alu instid0(VALU_DEP_1) | instskip(SKIP_1) | instid1(VALU_DEP_1)
	v_fmac_f32_e32 v26, v24, v40
	s_wait_loadcnt 0x20
	v_fmac_f32_e32 v26, v25, v41
	ds_load_b128 v[22:25], v8 offset:80
	s_wait_loadcnt_dscnt 0x1f01
	v_fmac_f32_e32 v26, v18, v42
	;; [unrolled: 21-line block ×5, first 2 shown]
	s_wait_alu 0xf1ff
	v_cndmask_b32_e64 v18, v5, v15, s4
	v_cmp_gt_i32_e64 s4, 32, v16
	s_wait_loadcnt 0x6
	v_fmac_f32_e32 v26, v19, v70
	s_delay_alu instid0(VALU_DEP_3)
	v_lshlrev_b32_e32 v18, 2, v18
	s_wait_alu 0xf1ff
	v_cndmask_b32_e64 v19, v5, v16, s4
	s_wait_loadcnt 0x5
	v_fmac_f32_e32 v26, v20, v71
	s_wait_loadcnt 0x4
	s_delay_alu instid0(VALU_DEP_1) | instskip(SKIP_1) | instid1(VALU_DEP_1)
	v_dual_fmac_f32 v26, v21, v72 :: v_dual_lshlrev_b32 v19, 2, v19
	s_wait_loadcnt_dscnt 0x300
	v_fmac_f32_e32 v26, v22, v73
	s_wait_loadcnt 0x2
	s_delay_alu instid0(VALU_DEP_1) | instskip(SKIP_1) | instid1(VALU_DEP_1)
	v_fmac_f32_e32 v26, v23, v74
	s_wait_loadcnt 0x1
	v_fmac_f32_e32 v26, v24, v75
	s_wait_loadcnt 0x0
	s_delay_alu instid0(VALU_DEP_1)
	v_fmac_f32_e32 v26, v25, v76
	ds_bpermute_b32 v18, v18, v26
	s_wait_dscnt 0x0
	v_add_f32_e32 v18, v26, v18
	ds_bpermute_b32 v19, v19, v18
	s_and_saveexec_b32 s38, s3
	s_cbranch_execz .LBB14_12
; %bb.20:                               ;   in Loop: Header=BB14_14 Depth=1
	s_wait_dscnt 0x0
	v_add_f32_e32 v18, v18, v19
	v_add_nc_u32_e32 v20, v12, v11
	s_delay_alu instid0(VALU_DEP_1) | instskip(NEXT) | instid1(VALU_DEP_1)
	v_cvt_f32_i32_e32 v20, v20
	v_mul_f32_e32 v20, s15, v20
	s_delay_alu instid0(VALU_DEP_1) | instskip(NEXT) | instid1(VALU_DEP_1)
	v_dual_cndmask_b32 v19, 0, v20 :: v_dual_max_num_f32 v20, v7, v7
	v_dual_fmac_f32 v19, s7, v18 :: v_dual_add_nc_u32 v18, v6, v11
	s_delay_alu instid0(VALU_DEP_1) | instskip(NEXT) | instid1(VALU_DEP_2)
	v_max_num_f32_e32 v20, v20, v19
	v_cmp_gt_i32_e64 s4, s33, v18
	s_wait_alu 0xf1ff
	s_delay_alu instid0(VALU_DEP_1) | instskip(NEXT) | instid1(VALU_DEP_3)
	v_cndmask_b32_e64 v18, 0, v19, s4
	v_cndmask_b32_e64 v7, v7, v20, s4
	ds_store_b32 v13, v18
	s_branch .LBB14_12
.LBB14_21:
	s_or_b32 exec_lo, exec_lo, s28
.LBB14_22:
	s_delay_alu instid0(SALU_CYCLE_1)
	s_or_b32 exec_lo, exec_lo, s6
	v_xor_b32_e32 v1, 16, v5
	v_xor_b32_e32 v6, 8, v5
	v_xor_b32_e32 v8, 4, v5
	s_clause 0x2
	s_load_b128 s[4:7], s[0:1], 0x0
	s_load_b64 s[14:15], s[0:1], 0x10
	s_load_b64 s[28:29], s[0:1], 0x28
	v_and_b32_e32 v58, 31, v0
	v_cmp_gt_i32_e32 vcc_lo, 32, v1
	s_wait_alu 0xfffd
	v_cndmask_b32_e32 v1, v5, v1, vcc_lo
	v_cmp_gt_i32_e32 vcc_lo, 32, v6
	s_wait_alu 0xfffd
	v_cndmask_b32_e32 v6, v5, v6, vcc_lo
	v_cmp_gt_i32_e32 vcc_lo, 32, v8
	s_delay_alu instid0(VALU_DEP_2)
	v_lshlrev_b32_e32 v6, 2, v6
	v_lshlrev_b32_e32 v2, 2, v1
	s_wait_alu 0xfffd
	v_cndmask_b32_e32 v8, v5, v8, vcc_lo
	v_cmp_eq_u32_e32 vcc_lo, 0, v58
	ds_bpermute_b32 v1, v2, v7
	v_max_num_f32_e32 v7, v7, v7
	v_lshlrev_b32_e32 v9, 2, v8
	s_wait_dscnt 0x0
	v_max_num_f32_e32 v1, v1, v1
	s_delay_alu instid0(VALU_DEP_1) | instskip(SKIP_3) | instid1(VALU_DEP_1)
	v_max_num_f32_e32 v1, v7, v1
	ds_bpermute_b32 v7, v6, v1
	s_wait_dscnt 0x0
	v_max_num_f32_e32 v7, v7, v7
	v_max_num_f32_e32 v1, v1, v7
	v_lshlrev_b32_e32 v7, 2, v55
	ds_bpermute_b32 v8, v9, v1
	s_and_saveexec_b32 s0, vcc_lo
	s_cbranch_execz .LBB14_24
; %bb.23:
	s_wait_dscnt 0x0
	v_dual_max_num_f32 v8, v8, v8 :: v_dual_max_num_f32 v1, v1, v1
	s_delay_alu instid0(VALU_DEP_1)
	v_max_num_f32_e32 v1, v1, v8
	ds_store_b32 v7, v1 offset:768
.LBB14_24:
	s_or_b32 exec_lo, exec_lo, s0
	v_cmp_gt_u32_e64 s0, 4, v58
	s_wait_dscnt 0x0
	v_dual_mov_b32 v1, 0xff7fffff :: v_dual_lshlrev_b32 v8, 2, v58
	s_wait_loadcnt 0x0
	s_barrier_signal -1
	s_barrier_wait -1
	global_inv scope:SCOPE_SE
	s_and_saveexec_b32 s1, s0
; %bb.25:
	ds_load_b32 v1, v8 offset:768
; %bb.26:
	s_or_b32 exec_lo, exec_lo, s1
	v_xor_b32_e32 v10, 2, v5
	v_xor_b32_e32 v12, 1, v5
	s_delay_alu instid0(VALU_DEP_2) | instskip(NEXT) | instid1(VALU_DEP_1)
	v_cmp_gt_i32_e64 s1, 32, v10
	v_cndmask_b32_e64 v10, v5, v10, s1
	s_delay_alu instid0(VALU_DEP_3) | instskip(NEXT) | instid1(VALU_DEP_2)
	v_cmp_gt_i32_e64 s1, 32, v12
	v_lshlrev_b32_e32 v10, 2, v10
	s_wait_alu 0xf1ff
	s_delay_alu instid0(VALU_DEP_2)
	v_cndmask_b32_e64 v5, v5, v12, s1
	s_sub_co_i32 s1, s8, s36
	s_wait_alu 0xfffe
	s_lshl_b32 s1, s1, 3
	s_wait_dscnt 0x0
	ds_bpermute_b32 v11, v10, v1
	v_max_num_f32_e32 v1, v1, v1
	v_lshlrev_b32_e32 v59, 2, v5
	s_wait_alu 0xfffe
	s_add_co_i32 s1, s1, s34
	s_wait_alu 0xfffe
	s_min_i32 s1, s1, s33
	s_wait_alu 0xfffe
	s_sub_co_i32 s27, s1, s34
	s_wait_alu 0xfffe
	v_cmp_gt_i32_e64 s1, s27, v0
	s_wait_dscnt 0x0
	v_max_num_f32_e32 v11, v11, v11
	s_delay_alu instid0(VALU_DEP_1) | instskip(SKIP_4) | instid1(VALU_DEP_1)
	v_max_num_f32_e32 v1, v1, v11
	v_mov_b32_e32 v11, 0
	ds_bpermute_b32 v5, v59, v1
	s_wait_dscnt 0x0
	v_max_num_f32_e32 v5, v5, v5
	v_max_num_f32_e32 v1, v1, v5
	v_lshl_add_u32 v5, v0, 2, 0x320
	ds_bpermute_b32 v1, v11, v1
	s_and_saveexec_b32 s34, s1
	s_cbranch_execz .LBB14_30
; %bb.27:
	v_lshl_add_u32 v12, v0, 2, 0x320
	v_mov_b32_e32 v11, 0
	v_mov_b32_e32 v13, v0
	s_mov_b32 s36, 0
.LBB14_28:                              ; =>This Inner Loop Header: Depth=1
	ds_load_b32 v14, v12
	v_add_nc_u32_e32 v13, 0x80, v13
	s_delay_alu instid0(VALU_DEP_1) | instskip(SKIP_4) | instid1(VALU_DEP_1)
	v_cmp_le_i32_e64 s3, s27, v13
	s_wait_alu 0xfffe
	s_or_b32 s36, s3, s36
	s_wait_dscnt 0x0
	v_sub_f32_e32 v14, v14, v1
	v_mul_f32_e32 v14, 0x3fb8aa3b, v14
	s_delay_alu instid0(VALU_DEP_1)
	v_exp_f32_e32 v14, v14
	ds_store_b32 v12, v14
	v_dual_add_f32 v11, v11, v14 :: v_dual_add_nc_u32 v12, 0x200, v12
	s_wait_alu 0xfffe
	s_and_not1_b32 exec_lo, exec_lo, s36
	s_cbranch_execnz .LBB14_28
; %bb.29:
	s_or_b32 exec_lo, exec_lo, s36
.LBB14_30:
	s_wait_alu 0xfffe
	s_or_b32 exec_lo, exec_lo, s34
	ds_bpermute_b32 v2, v2, v11
	s_wait_dscnt 0x0
	v_add_f32_e32 v2, v11, v2
	ds_bpermute_b32 v6, v6, v2
	s_wait_dscnt 0x0
	v_add_f32_e32 v2, v2, v6
	;; [unrolled: 3-line block ×5, first 2 shown]
	s_and_saveexec_b32 s3, vcc_lo
; %bb.31:
	ds_store_b32 v7, v2 offset:784
; %bb.32:
	s_wait_alu 0xfffe
	s_or_b32 exec_lo, exec_lo, s3
	s_wait_loadcnt_dscnt 0x0
	s_barrier_signal -1
	s_barrier_wait -1
	global_inv scope:SCOPE_SE
	s_and_saveexec_b32 s3, s0
; %bb.33:
	ds_load_b32 v2, v8 offset:784
; %bb.34:
	s_wait_alu 0xfffe
	s_or_b32 exec_lo, exec_lo, s3
	s_wait_dscnt 0x0
	ds_bpermute_b32 v6, v10, v2
	s_wait_dscnt 0x0
	v_add_f32_e32 v2, v2, v6
	ds_bpermute_b32 v6, v59, v2
	s_wait_dscnt 0x0
	v_add_f32_e32 v2, v2, v6
	v_mov_b32_e32 v6, 0
	ds_bpermute_b32 v2, v6, v2
	s_and_saveexec_b32 s0, s1
	s_cbranch_execz .LBB14_37
; %bb.35:
	s_wait_dscnt 0x0
	v_add_f32_e32 v6, 0x358637bd, v2
	s_mov_b32 s1, 0
	s_delay_alu instid0(VALU_DEP_1) | instskip(SKIP_1) | instid1(VALU_DEP_2)
	v_div_scale_f32 v7, null, v6, v6, 1.0
	v_div_scale_f32 v10, vcc_lo, 1.0, v6, 1.0
	v_rcp_f32_e32 v8, v7
	s_delay_alu instid0(TRANS32_DEP_1) | instskip(NEXT) | instid1(VALU_DEP_1)
	v_fma_f32 v9, -v7, v8, 1.0
	v_fmac_f32_e32 v8, v9, v8
	s_delay_alu instid0(VALU_DEP_1) | instskip(NEXT) | instid1(VALU_DEP_1)
	v_mul_f32_e32 v9, v10, v8
	v_fma_f32 v11, -v7, v9, v10
	s_delay_alu instid0(VALU_DEP_1) | instskip(NEXT) | instid1(VALU_DEP_1)
	v_fmac_f32_e32 v9, v11, v8
	v_fma_f32 v7, -v7, v9, v10
	s_wait_alu 0xfffd
	s_delay_alu instid0(VALU_DEP_1) | instskip(NEXT) | instid1(VALU_DEP_1)
	v_div_fmas_f32 v7, v7, v8, v9
	v_div_fixup_f32 v6, v7, v6, 1.0
	v_mov_b32_e32 v7, v0
.LBB14_36:                              ; =>This Inner Loop Header: Depth=1
	ds_load_b32 v8, v5
	s_wait_dscnt 0x0
	v_dual_mul_f32 v8, v6, v8 :: v_dual_add_nc_u32 v7, 0x80, v7
	s_delay_alu instid0(VALU_DEP_1)
	v_cmp_le_i32_e32 vcc_lo, s27, v7
	ds_store_b32 v5, v8
	v_add_nc_u32_e32 v5, 0x200, v5
	s_wait_alu 0xfffe
	s_or_b32 s1, vcc_lo, s1
	s_wait_alu 0xfffe
	s_and_not1_b32 exec_lo, exec_lo, s1
	s_cbranch_execnz .LBB14_36
.LBB14_37:
	s_wait_alu 0xfffe
	s_or_b32 exec_lo, exec_lo, s0
	s_mul_i32 s0, s31, s20
	s_wait_loadcnt_dscnt 0x0
	s_wait_alu 0xfffe
	s_mul_i32 s20, s0, s21
	s_mov_b32 s0, exec_lo
	s_barrier_signal -1
	s_barrier_wait -1
	global_inv scope:SCOPE_SE
	v_cmpx_eq_u32_e32 0, v0
	s_cbranch_execz .LBB14_39
; %bb.38:
	s_ashr_i32 s21, s20, 31
	s_wait_alu 0xfffe
	s_mul_i32 s36, s31, ttmp9
	s_lshl_b32 s1, s30, 2
	s_lshl_b64 s[38:39], s[20:21], 2
	s_wait_alu 0xfffe
	s_ashr_i32 s37, s36, 31
	v_mov_b32_e32 v5, s1
	s_wait_kmcnt 0x0
	s_add_nc_u64 s[6:7], s[6:7], s[38:39]
	s_wait_alu 0xfffe
	s_lshl_b64 s[36:37], s[36:37], 2
	s_add_nc_u64 s[4:5], s[4:5], s[38:39]
	s_wait_alu 0xfffe
	s_add_nc_u64 s[6:7], s[6:7], s[36:37]
	s_add_nc_u64 s[4:5], s[4:5], s[36:37]
	s_clause 0x1
	global_store_b32 v5, v1, s[6:7]
	global_store_b32 v5, v2, s[4:5]
.LBB14_39:
	s_wait_alu 0xfffe
	s_or_b32 exec_lo, exec_lo, s0
	v_dual_mov_b32 v71, 0 :: v_dual_and_b32 v60, 1, v0
	v_dual_mov_b32 v72, 0 :: v_dual_mov_b32 v69, 0
	v_dual_mov_b32 v70, 0 :: v_dual_mov_b32 v67, 0
	v_dual_mov_b32 v68, 0 :: v_dual_mov_b32 v65, 0
	v_dual_mov_b32 v66, 0 :: v_dual_mov_b32 v63, 0
	v_dual_mov_b32 v64, 0 :: v_dual_mov_b32 v61, 0
	v_mov_b32_e32 v62, 0
	s_and_saveexec_b32 s1, s2
	s_cbranch_execz .LBB14_69
; %bb.40:
	s_abs_i32 s2, s10
	v_dual_mov_b32 v61, 0 :: v_dual_lshlrev_b32 v2, 4, v0
	s_wait_alu 0xfffe
	s_cvt_f32_u32 s0, s2
	v_dual_mov_b32 v62, 0 :: v_dual_and_b32 v73, 4, v3
	v_dual_mov_b32 v64, 0 :: v_dual_lshlrev_b32 v3, 4, v60
	s_wait_alu 0xfffe
	v_rcp_iflag_f32_e32 v1, s0
	s_ashr_i32 s27, s26, 31
	s_wait_kmcnt 0x0
	s_lshl_b64 s[6:7], s[24:25], 2
	s_wait_alu 0xfffe
	s_lshl_b64 s[24:25], s[26:27], 2
	s_add_nc_u64 s[6:7], s[22:23], s[6:7]
	s_add_nc_u64 s[22:23], s[28:29], s[24:25]
	s_wait_alu 0xfffe
	v_add_co_u32 v53, s6, s6, v4
	s_sub_co_i32 s5, 0, s2
	v_add_co_ci_u32_e64 v54, null, s7, 0, s6
	v_readfirstlane_b32 s0, v1
	v_dual_mov_b32 v66, 0 :: v_dual_and_b32 v1, 0x1f0, v2
	v_lshl_or_b32 v2, v55, 5, v3
	v_mov_b32_e32 v63, 0
	s_mul_f32 s0, s0, 0x4f7ffffe
	s_delay_alu instid0(VALU_DEP_3)
	v_add_co_u32 v74, s6, s22, v1
	s_wait_alu 0xf1ff
	v_add_co_ci_u32_e64 v75, null, s23, 0, s6
	s_wait_alu 0xfffe
	s_cvt_u32_f32 s0, s0
	v_dual_mov_b32 v65, 0 :: v_dual_add_nc_u32 v76, 0x320, v2
	v_mov_b32_e32 v68, 0
	s_wait_alu 0xfffe
	s_mul_i32 s5, s5, s0
	v_dual_mov_b32 v67, 0 :: v_dual_mov_b32 v70, 0
	v_dual_mov_b32 v69, 0 :: v_dual_mov_b32 v72, 0
	v_mov_b32_e32 v71, 0
	s_wait_alu 0xfffe
	s_mul_hi_u32 s6, s0, s5
	s_sub_co_i32 s3, s35, s9
	s_mov_b32 s4, s13
	s_add_co_i32 s19, s19, -1
	s_mov_b32 s5, 0
	s_wait_alu 0xfffe
	s_add_co_i32 s6, s0, s6
	s_branch .LBB14_43
.LBB14_41:                              ;   in Loop: Header=BB14_43 Depth=1
	s_wait_alu 0xfffe
	s_or_b32 exec_lo, exec_lo, s0
	s_wait_loadcnt_dscnt 0xa00
	v_mul_f32_e32 v9, v1, v9
	s_wait_loadcnt 0x3
	v_mul_f32_e32 v37, v1, v37
	v_mul_f32_e32 v29, v1, v29
	v_mul_f32_e32 v21, v1, v21
	v_mul_f32_e32 v13, v1, v13
	v_fmac_f32_e32 v9, v2, v10
	s_wait_loadcnt 0x1
	v_mul_f32_e32 v49, v1, v49
	v_fmac_f32_e32 v29, v2, v30
	v_fmac_f32_e32 v21, v2, v22
	;; [unrolled: 1-line block ×4, first 2 shown]
	v_mul_f32_e32 v45, v1, v45
	v_mul_f32_e32 v33, v1, v33
	;; [unrolled: 1-line block ×3, first 2 shown]
	v_fmac_f32_e32 v29, v3, v31
	v_fmac_f32_e32 v9, v4, v12
	v_fmac_f32_e32 v37, v2, v38
	v_fmac_f32_e32 v21, v3, v23
	v_mul_f32_e32 v17, v1, v17
	v_mul_f32_e32 v5, v1, v5
	s_delay_alu instid0(VALU_DEP_4)
	v_dual_add_f32 v72, v72, v9 :: v_dual_fmac_f32 v37, v3, v39
	s_wait_loadcnt 0x0
	v_mul_f32_e32 v1, v1, v41
	v_fmac_f32_e32 v13, v3, v15
	v_fmac_f32_e32 v33, v2, v34
	;; [unrolled: 1-line block ×7, first 2 shown]
	s_delay_alu instid0(VALU_DEP_4) | instskip(NEXT) | instid1(VALU_DEP_3)
	v_dual_fmac_f32 v45, v2, v46 :: v_dual_add_f32 v64, v64, v37
	v_dual_fmac_f32 v49, v3, v51 :: v_dual_add_f32 v66, v66, v29
	v_fmac_f32_e32 v17, v2, v18
	v_fmac_f32_e32 v5, v2, v6
	;; [unrolled: 1-line block ×6, first 2 shown]
	v_dual_fmac_f32 v25, v3, v27 :: v_dual_add_f32 v68, v68, v21
	v_fmac_f32_e32 v17, v3, v19
	v_fmac_f32_e32 v5, v3, v7
	v_dual_fmac_f32 v1, v3, v43 :: v_dual_add_f32 v70, v70, v13
	v_dual_fmac_f32 v45, v3, v47 :: v_dual_add_f32 v62, v62, v49
	v_fmac_f32_e32 v33, v4, v36
	v_fmac_f32_e32 v25, v4, v28
	v_fmac_f32_e32 v17, v4, v20
	s_delay_alu instid0(VALU_DEP_4)
	v_fmac_f32_e32 v45, v4, v48
	v_fmac_f32_e32 v5, v4, v8
	;; [unrolled: 1-line block ×3, first 2 shown]
	v_add_f32_e32 v65, v65, v33
	v_add_f32_e32 v67, v67, v25
	;; [unrolled: 1-line block ×6, first 2 shown]
.LBB14_42:                              ;   in Loop: Header=BB14_43 Depth=1
	s_wait_alu 0xfffe
	s_or_b32 exec_lo, exec_lo, s7
	v_add_nc_u32_e32 v57, 4, v57
	v_add_co_u32 v53, s0, v53, 16
	s_wait_alu 0xf1ff
	v_add_co_ci_u32_e64 v54, null, 0, v54, s0
	s_delay_alu instid0(VALU_DEP_3)
	v_cmp_le_i32_e32 vcc_lo, s8, v57
	v_add_nc_u32_e32 v56, 32, v56
	v_add_nc_u32_e32 v76, 0x80, v76
	s_or_b32 s5, vcc_lo, s5
	s_wait_alu 0xfffe
	s_and_not1_b32 exec_lo, exec_lo, s5
	s_cbranch_execz .LBB14_68
.LBB14_43:                              ; =>This Inner Loop Header: Depth=1
	v_sub_nc_u32_e32 v1, 0, v56
	s_delay_alu instid0(VALU_DEP_1) | instskip(NEXT) | instid1(VALU_DEP_1)
	v_max_i32_e32 v1, v56, v1
	v_mul_hi_u32 v2, v1, s18
	s_delay_alu instid0(VALU_DEP_1) | instskip(NEXT) | instid1(VALU_DEP_1)
	v_mul_lo_u32 v3, v2, s12
	v_sub_nc_u32_e32 v1, v1, v3
	v_add_nc_u32_e32 v3, 1, v2
	s_delay_alu instid0(VALU_DEP_2) | instskip(SKIP_2) | instid1(VALU_DEP_2)
	v_subrev_nc_u32_e32 v4, s12, v1
	v_cmp_le_u32_e32 vcc_lo, s12, v1
	s_wait_alu 0xfffd
	v_dual_cndmask_b32 v2, v2, v3 :: v_dual_cndmask_b32 v1, v1, v4
	v_ashrrev_i32_e32 v3, 31, v56
	s_delay_alu instid0(VALU_DEP_2) | instskip(NEXT) | instid1(VALU_DEP_3)
	v_add_nc_u32_e32 v4, 1, v2
	v_cmp_le_u32_e32 vcc_lo, s12, v1
	s_delay_alu instid0(VALU_DEP_3) | instskip(SKIP_1) | instid1(VALU_DEP_3)
	v_xor_b32_e32 v3, s11, v3
	s_wait_alu 0xfffd
	v_cndmask_b32_e32 v1, v2, v4, vcc_lo
	s_delay_alu instid0(VALU_DEP_1) | instskip(NEXT) | instid1(VALU_DEP_1)
	v_xor_b32_e32 v1, v1, v3
	v_sub_nc_u32_e32 v1, v1, v3
	s_delay_alu instid0(VALU_DEP_1) | instskip(SKIP_1) | instid1(VALU_DEP_2)
	v_add_nc_u32_e32 v2, s17, v1
	v_cmp_lt_i32_e64 s0, s3, v1
	v_sub_nc_u32_e32 v3, 0, v2
	s_delay_alu instid0(VALU_DEP_1) | instskip(SKIP_1) | instid1(VALU_DEP_1)
	v_max_i32_e32 v3, v2, v3
	s_wait_alu 0xfffe
	v_mul_hi_u32 v4, v3, s6
	s_delay_alu instid0(VALU_DEP_1) | instskip(NEXT) | instid1(VALU_DEP_1)
	v_mul_lo_u32 v4, v4, s2
	v_sub_nc_u32_e32 v3, v3, v4
	s_delay_alu instid0(VALU_DEP_1) | instskip(SKIP_2) | instid1(VALU_DEP_2)
	v_subrev_nc_u32_e32 v4, s2, v3
	v_cmp_le_u32_e32 vcc_lo, s2, v3
	s_wait_alu 0xfffd
	v_cndmask_b32_e32 v3, v3, v4, vcc_lo
	v_ashrrev_i32_e32 v2, 31, v2
	s_delay_alu instid0(VALU_DEP_2) | instskip(SKIP_2) | instid1(VALU_DEP_2)
	v_subrev_nc_u32_e32 v4, s2, v3
	v_cmp_le_u32_e32 vcc_lo, s2, v3
	s_wait_alu 0xfffd
	v_cndmask_b32_e32 v3, v3, v4, vcc_lo
	s_delay_alu instid0(VALU_DEP_1) | instskip(NEXT) | instid1(VALU_DEP_1)
	v_xor_b32_e32 v3, v3, v2
	v_sub_nc_u32_e32 v2, v3, v2
	s_delay_alu instid0(VALU_DEP_1)
	v_cmp_eq_u32_e32 vcc_lo, 0, v2
	s_or_b32 s0, vcc_lo, s0
	s_wait_alu 0xfffe
	s_and_saveexec_b32 s7, s0
	s_cbranch_execz .LBB14_42
; %bb.44:                               ;   in Loop: Header=BB14_43 Depth=1
	global_load_b32 v1, v[53:54], off
	v_add_nc_u32_e32 v77, v73, v56
	s_delay_alu instid0(VALU_DEP_1) | instskip(SKIP_4) | instid1(VALU_DEP_1)
	v_add_nc_u32_e32 v80, 1, v77
	v_add_nc_u32_e32 v79, 2, v77
	;; [unrolled: 1-line block ×3, first 2 shown]
	s_wait_loadcnt 0x0
	v_mad_co_i64_i32 v[1:2], null, v1, s4, 0
	v_lshlrev_b64_e32 v[1:2], 2, v[1:2]
	s_delay_alu instid0(VALU_DEP_1) | instskip(SKIP_1) | instid1(VALU_DEP_2)
	v_add_co_u32 v41, vcc_lo, v74, v1
	s_wait_alu 0xfffd
	v_add_co_ci_u32_e64 v42, null, v75, v2, vcc_lo
	ds_load_b128 v[1:4], v76
	v_cmp_eq_u32_e32 vcc_lo, s19, v57
	global_load_b128 v[5:8], v[41:42], off
	s_and_saveexec_b32 s9, vcc_lo
	s_cbranch_execnz .LBB14_56
; %bb.45:                               ;   in Loop: Header=BB14_43 Depth=1
	s_wait_alu 0xfffe
	s_or_b32 exec_lo, exec_lo, s9
	global_load_b128 v[9:12], v[41:42], off offset:512
	s_and_saveexec_b32 s9, vcc_lo
	s_cbranch_execnz .LBB14_57
.LBB14_46:                              ;   in Loop: Header=BB14_43 Depth=1
	s_wait_alu 0xfffe
	s_or_b32 exec_lo, exec_lo, s9
	global_load_b128 v[13:16], v[41:42], off offset:1024
	s_and_saveexec_b32 s9, vcc_lo
	s_cbranch_execnz .LBB14_58
.LBB14_47:                              ;   in Loop: Header=BB14_43 Depth=1
	s_wait_alu 0xfffe
	s_or_b32 exec_lo, exec_lo, s9
	global_load_b128 v[17:20], v[41:42], off offset:1536
	s_and_saveexec_b32 s9, vcc_lo
	s_cbranch_execnz .LBB14_59
.LBB14_48:                              ;   in Loop: Header=BB14_43 Depth=1
	s_wait_alu 0xfffe
	s_or_b32 exec_lo, exec_lo, s9
	global_load_b128 v[21:24], v[41:42], off offset:2048
	s_and_saveexec_b32 s9, vcc_lo
	s_cbranch_execnz .LBB14_60
.LBB14_49:                              ;   in Loop: Header=BB14_43 Depth=1
	s_wait_alu 0xfffe
	s_or_b32 exec_lo, exec_lo, s9
	global_load_b128 v[25:28], v[41:42], off offset:2560
	s_and_saveexec_b32 s9, vcc_lo
	s_cbranch_execnz .LBB14_61
.LBB14_50:                              ;   in Loop: Header=BB14_43 Depth=1
	s_wait_alu 0xfffe
	s_or_b32 exec_lo, exec_lo, s9
	global_load_b128 v[29:32], v[41:42], off offset:3072
	s_and_saveexec_b32 s9, vcc_lo
	s_cbranch_execnz .LBB14_62
.LBB14_51:                              ;   in Loop: Header=BB14_43 Depth=1
	s_wait_alu 0xfffe
	s_or_b32 exec_lo, exec_lo, s9
	global_load_b128 v[33:36], v[41:42], off offset:3584
	s_and_saveexec_b32 s9, vcc_lo
	s_cbranch_execnz .LBB14_63
.LBB14_52:                              ;   in Loop: Header=BB14_43 Depth=1
	s_wait_alu 0xfffe
	s_or_b32 exec_lo, exec_lo, s9
	global_load_b128 v[37:40], v[41:42], off offset:4096
	s_and_saveexec_b32 s9, vcc_lo
	s_cbranch_execnz .LBB14_64
.LBB14_53:                              ;   in Loop: Header=BB14_43 Depth=1
	s_wait_alu 0xfffe
	s_or_b32 exec_lo, exec_lo, s9
	global_load_b128 v[45:48], v[41:42], off offset:4608
	s_and_saveexec_b32 s9, vcc_lo
	s_cbranch_execnz .LBB14_65
.LBB14_54:                              ;   in Loop: Header=BB14_43 Depth=1
	s_wait_alu 0xfffe
	s_or_b32 exec_lo, exec_lo, s9
	global_load_b128 v[49:52], v[41:42], off offset:5120
	s_and_saveexec_b32 s9, vcc_lo
	s_cbranch_execnz .LBB14_66
.LBB14_55:                              ;   in Loop: Header=BB14_43 Depth=1
	s_wait_alu 0xfffe
	s_or_b32 exec_lo, exec_lo, s9
	global_load_b128 v[41:44], v[41:42], off offset:5632
	s_and_saveexec_b32 s0, vcc_lo
	s_cbranch_execz .LBB14_41
	s_branch .LBB14_67
.LBB14_56:                              ;   in Loop: Header=BB14_43 Depth=1
	v_cmp_gt_i32_e64 s0, s33, v77
	s_wait_loadcnt 0x0
	s_wait_alu 0xf1ff
	s_delay_alu instid0(VALU_DEP_1) | instskip(SKIP_2) | instid1(VALU_DEP_1)
	v_cndmask_b32_e64 v5, 0, v5, s0
	v_cmp_gt_i32_e64 s0, s33, v80
	s_wait_alu 0xf1ff
	v_cndmask_b32_e64 v6, 0, v6, s0
	v_cmp_gt_i32_e64 s0, s33, v79
	s_wait_alu 0xf1ff
	s_delay_alu instid0(VALU_DEP_1) | instskip(SKIP_2) | instid1(VALU_DEP_1)
	v_cndmask_b32_e64 v7, 0, v7, s0
	v_cmp_gt_i32_e64 s0, s33, v78
	s_wait_alu 0xf1ff
	v_cndmask_b32_e64 v8, 0, v8, s0
	s_wait_alu 0xfffe
	s_or_b32 exec_lo, exec_lo, s9
	global_load_b128 v[9:12], v[41:42], off offset:512
	s_and_saveexec_b32 s9, vcc_lo
	s_cbranch_execz .LBB14_46
.LBB14_57:                              ;   in Loop: Header=BB14_43 Depth=1
	v_cmp_gt_i32_e64 s0, s33, v77
	s_wait_loadcnt 0x0
	s_wait_alu 0xf1ff
	s_delay_alu instid0(VALU_DEP_1) | instskip(SKIP_2) | instid1(VALU_DEP_1)
	v_cndmask_b32_e64 v9, 0, v9, s0
	v_cmp_gt_i32_e64 s0, s33, v80
	s_wait_alu 0xf1ff
	v_cndmask_b32_e64 v10, 0, v10, s0
	v_cmp_gt_i32_e64 s0, s33, v79
	s_wait_alu 0xf1ff
	s_delay_alu instid0(VALU_DEP_1) | instskip(SKIP_2) | instid1(VALU_DEP_1)
	v_cndmask_b32_e64 v11, 0, v11, s0
	v_cmp_gt_i32_e64 s0, s33, v78
	s_wait_alu 0xf1ff
	v_cndmask_b32_e64 v12, 0, v12, s0
	s_wait_alu 0xfffe
	s_or_b32 exec_lo, exec_lo, s9
	global_load_b128 v[13:16], v[41:42], off offset:1024
	s_and_saveexec_b32 s9, vcc_lo
	s_cbranch_execz .LBB14_47
.LBB14_58:                              ;   in Loop: Header=BB14_43 Depth=1
	v_cmp_gt_i32_e64 s0, s33, v77
	s_wait_loadcnt 0x0
	s_wait_alu 0xf1ff
	s_delay_alu instid0(VALU_DEP_1) | instskip(SKIP_2) | instid1(VALU_DEP_1)
	v_cndmask_b32_e64 v13, 0, v13, s0
	v_cmp_gt_i32_e64 s0, s33, v80
	s_wait_alu 0xf1ff
	v_cndmask_b32_e64 v14, 0, v14, s0
	v_cmp_gt_i32_e64 s0, s33, v79
	s_wait_alu 0xf1ff
	s_delay_alu instid0(VALU_DEP_1) | instskip(SKIP_2) | instid1(VALU_DEP_1)
	v_cndmask_b32_e64 v15, 0, v15, s0
	v_cmp_gt_i32_e64 s0, s33, v78
	s_wait_alu 0xf1ff
	v_cndmask_b32_e64 v16, 0, v16, s0
	s_wait_alu 0xfffe
	s_or_b32 exec_lo, exec_lo, s9
	global_load_b128 v[17:20], v[41:42], off offset:1536
	s_and_saveexec_b32 s9, vcc_lo
	s_cbranch_execz .LBB14_48
.LBB14_59:                              ;   in Loop: Header=BB14_43 Depth=1
	v_cmp_gt_i32_e64 s0, s33, v77
	s_wait_loadcnt 0x0
	s_wait_alu 0xf1ff
	s_delay_alu instid0(VALU_DEP_1) | instskip(SKIP_2) | instid1(VALU_DEP_1)
	v_cndmask_b32_e64 v17, 0, v17, s0
	v_cmp_gt_i32_e64 s0, s33, v80
	s_wait_alu 0xf1ff
	v_cndmask_b32_e64 v18, 0, v18, s0
	v_cmp_gt_i32_e64 s0, s33, v79
	s_wait_alu 0xf1ff
	s_delay_alu instid0(VALU_DEP_1) | instskip(SKIP_2) | instid1(VALU_DEP_1)
	v_cndmask_b32_e64 v19, 0, v19, s0
	v_cmp_gt_i32_e64 s0, s33, v78
	s_wait_alu 0xf1ff
	v_cndmask_b32_e64 v20, 0, v20, s0
	s_wait_alu 0xfffe
	s_or_b32 exec_lo, exec_lo, s9
	global_load_b128 v[21:24], v[41:42], off offset:2048
	s_and_saveexec_b32 s9, vcc_lo
	s_cbranch_execz .LBB14_49
.LBB14_60:                              ;   in Loop: Header=BB14_43 Depth=1
	v_cmp_gt_i32_e64 s0, s33, v77
	s_wait_loadcnt 0x0
	s_wait_alu 0xf1ff
	s_delay_alu instid0(VALU_DEP_1) | instskip(SKIP_2) | instid1(VALU_DEP_1)
	v_cndmask_b32_e64 v21, 0, v21, s0
	v_cmp_gt_i32_e64 s0, s33, v80
	s_wait_alu 0xf1ff
	v_cndmask_b32_e64 v22, 0, v22, s0
	v_cmp_gt_i32_e64 s0, s33, v79
	s_wait_alu 0xf1ff
	s_delay_alu instid0(VALU_DEP_1) | instskip(SKIP_2) | instid1(VALU_DEP_1)
	v_cndmask_b32_e64 v23, 0, v23, s0
	v_cmp_gt_i32_e64 s0, s33, v78
	s_wait_alu 0xf1ff
	v_cndmask_b32_e64 v24, 0, v24, s0
	s_wait_alu 0xfffe
	s_or_b32 exec_lo, exec_lo, s9
	global_load_b128 v[25:28], v[41:42], off offset:2560
	s_and_saveexec_b32 s9, vcc_lo
	s_cbranch_execz .LBB14_50
.LBB14_61:                              ;   in Loop: Header=BB14_43 Depth=1
	v_cmp_gt_i32_e64 s0, s33, v77
	s_wait_loadcnt 0x0
	s_wait_alu 0xf1ff
	s_delay_alu instid0(VALU_DEP_1) | instskip(SKIP_2) | instid1(VALU_DEP_1)
	v_cndmask_b32_e64 v25, 0, v25, s0
	v_cmp_gt_i32_e64 s0, s33, v80
	s_wait_alu 0xf1ff
	v_cndmask_b32_e64 v26, 0, v26, s0
	v_cmp_gt_i32_e64 s0, s33, v79
	s_wait_alu 0xf1ff
	s_delay_alu instid0(VALU_DEP_1) | instskip(SKIP_2) | instid1(VALU_DEP_1)
	v_cndmask_b32_e64 v27, 0, v27, s0
	v_cmp_gt_i32_e64 s0, s33, v78
	s_wait_alu 0xf1ff
	v_cndmask_b32_e64 v28, 0, v28, s0
	s_wait_alu 0xfffe
	s_or_b32 exec_lo, exec_lo, s9
	global_load_b128 v[29:32], v[41:42], off offset:3072
	s_and_saveexec_b32 s9, vcc_lo
	s_cbranch_execz .LBB14_51
.LBB14_62:                              ;   in Loop: Header=BB14_43 Depth=1
	v_cmp_gt_i32_e64 s0, s33, v77
	s_wait_loadcnt 0x0
	s_wait_alu 0xf1ff
	s_delay_alu instid0(VALU_DEP_1) | instskip(SKIP_2) | instid1(VALU_DEP_1)
	v_cndmask_b32_e64 v29, 0, v29, s0
	v_cmp_gt_i32_e64 s0, s33, v80
	s_wait_alu 0xf1ff
	v_cndmask_b32_e64 v30, 0, v30, s0
	v_cmp_gt_i32_e64 s0, s33, v79
	s_wait_alu 0xf1ff
	s_delay_alu instid0(VALU_DEP_1) | instskip(SKIP_2) | instid1(VALU_DEP_1)
	v_cndmask_b32_e64 v31, 0, v31, s0
	v_cmp_gt_i32_e64 s0, s33, v78
	s_wait_alu 0xf1ff
	v_cndmask_b32_e64 v32, 0, v32, s0
	s_wait_alu 0xfffe
	s_or_b32 exec_lo, exec_lo, s9
	global_load_b128 v[33:36], v[41:42], off offset:3584
	s_and_saveexec_b32 s9, vcc_lo
	s_cbranch_execz .LBB14_52
.LBB14_63:                              ;   in Loop: Header=BB14_43 Depth=1
	v_cmp_gt_i32_e64 s0, s33, v77
	s_wait_loadcnt 0x0
	s_wait_alu 0xf1ff
	s_delay_alu instid0(VALU_DEP_1) | instskip(SKIP_2) | instid1(VALU_DEP_1)
	v_cndmask_b32_e64 v33, 0, v33, s0
	v_cmp_gt_i32_e64 s0, s33, v80
	s_wait_alu 0xf1ff
	v_cndmask_b32_e64 v34, 0, v34, s0
	v_cmp_gt_i32_e64 s0, s33, v79
	s_wait_alu 0xf1ff
	s_delay_alu instid0(VALU_DEP_1) | instskip(SKIP_2) | instid1(VALU_DEP_1)
	v_cndmask_b32_e64 v35, 0, v35, s0
	v_cmp_gt_i32_e64 s0, s33, v78
	s_wait_alu 0xf1ff
	v_cndmask_b32_e64 v36, 0, v36, s0
	s_wait_alu 0xfffe
	s_or_b32 exec_lo, exec_lo, s9
	global_load_b128 v[37:40], v[41:42], off offset:4096
	s_and_saveexec_b32 s9, vcc_lo
	s_cbranch_execz .LBB14_53
.LBB14_64:                              ;   in Loop: Header=BB14_43 Depth=1
	v_cmp_gt_i32_e64 s0, s33, v77
	s_wait_loadcnt 0x0
	s_wait_alu 0xf1ff
	s_delay_alu instid0(VALU_DEP_1) | instskip(SKIP_2) | instid1(VALU_DEP_1)
	v_cndmask_b32_e64 v37, 0, v37, s0
	v_cmp_gt_i32_e64 s0, s33, v80
	s_wait_alu 0xf1ff
	v_cndmask_b32_e64 v38, 0, v38, s0
	v_cmp_gt_i32_e64 s0, s33, v79
	s_wait_alu 0xf1ff
	s_delay_alu instid0(VALU_DEP_1) | instskip(SKIP_2) | instid1(VALU_DEP_1)
	v_cndmask_b32_e64 v39, 0, v39, s0
	v_cmp_gt_i32_e64 s0, s33, v78
	s_wait_alu 0xf1ff
	v_cndmask_b32_e64 v40, 0, v40, s0
	s_wait_alu 0xfffe
	s_or_b32 exec_lo, exec_lo, s9
	global_load_b128 v[45:48], v[41:42], off offset:4608
	s_and_saveexec_b32 s9, vcc_lo
	s_cbranch_execz .LBB14_54
.LBB14_65:                              ;   in Loop: Header=BB14_43 Depth=1
	v_cmp_gt_i32_e64 s0, s33, v77
	s_wait_loadcnt 0x0
	s_wait_alu 0xf1ff
	s_delay_alu instid0(VALU_DEP_1) | instskip(SKIP_2) | instid1(VALU_DEP_1)
	v_cndmask_b32_e64 v45, 0, v45, s0
	v_cmp_gt_i32_e64 s0, s33, v80
	s_wait_alu 0xf1ff
	v_cndmask_b32_e64 v46, 0, v46, s0
	v_cmp_gt_i32_e64 s0, s33, v79
	s_wait_alu 0xf1ff
	s_delay_alu instid0(VALU_DEP_1) | instskip(SKIP_2) | instid1(VALU_DEP_1)
	v_cndmask_b32_e64 v47, 0, v47, s0
	v_cmp_gt_i32_e64 s0, s33, v78
	s_wait_alu 0xf1ff
	v_cndmask_b32_e64 v48, 0, v48, s0
	s_wait_alu 0xfffe
	s_or_b32 exec_lo, exec_lo, s9
	global_load_b128 v[49:52], v[41:42], off offset:5120
	s_and_saveexec_b32 s9, vcc_lo
	s_cbranch_execz .LBB14_55
.LBB14_66:                              ;   in Loop: Header=BB14_43 Depth=1
	v_cmp_gt_i32_e64 s0, s33, v77
	s_wait_loadcnt 0x0
	s_wait_alu 0xf1ff
	s_delay_alu instid0(VALU_DEP_1) | instskip(SKIP_2) | instid1(VALU_DEP_1)
	v_cndmask_b32_e64 v49, 0, v49, s0
	v_cmp_gt_i32_e64 s0, s33, v80
	s_wait_alu 0xf1ff
	v_cndmask_b32_e64 v50, 0, v50, s0
	v_cmp_gt_i32_e64 s0, s33, v79
	s_wait_alu 0xf1ff
	s_delay_alu instid0(VALU_DEP_1) | instskip(SKIP_2) | instid1(VALU_DEP_1)
	v_cndmask_b32_e64 v51, 0, v51, s0
	v_cmp_gt_i32_e64 s0, s33, v78
	s_wait_alu 0xf1ff
	v_cndmask_b32_e64 v52, 0, v52, s0
	s_wait_alu 0xfffe
	s_or_b32 exec_lo, exec_lo, s9
	global_load_b128 v[41:44], v[41:42], off offset:5632
	s_and_saveexec_b32 s0, vcc_lo
	s_cbranch_execz .LBB14_41
.LBB14_67:                              ;   in Loop: Header=BB14_43 Depth=1
	v_cmp_gt_i32_e32 vcc_lo, s33, v77
	s_wait_loadcnt 0x0
	s_wait_alu 0xfffd
	v_cndmask_b32_e32 v41, 0, v41, vcc_lo
	v_cmp_gt_i32_e32 vcc_lo, s33, v80
	s_wait_alu 0xfffd
	v_cndmask_b32_e32 v42, 0, v42, vcc_lo
	v_cmp_gt_i32_e32 vcc_lo, s33, v79
	;; [unrolled: 3-line block ×3, first 2 shown]
	s_wait_alu 0xfffd
	v_cndmask_b32_e32 v44, 0, v44, vcc_lo
	s_branch .LBB14_41
.LBB14_68:
	s_or_b32 exec_lo, exec_lo, s5
.LBB14_69:
	s_wait_alu 0xfffe
	s_or_b32 exec_lo, exec_lo, s1
	ds_bpermute_b32 v1, v59, v71
	ds_bpermute_b32 v2, v59, v72
	;; [unrolled: 1-line block ×12, first 2 shown]
	v_lshrrev_b32_e32 v13, 1, v58
	v_and_b32_e32 v16, 0x3c1, v0
	v_mul_u32_u24_e32 v15, 0x300, v55
	s_mov_b32 s0, exec_lo
	s_wait_storecnt 0x0
	s_wait_loadcnt_dscnt 0x0
	v_lshl_add_u32 v14, v13, 2, 0x320
	s_barrier_signal -1
	s_barrier_wait -1
	v_dual_add_f32 v1, v71, v1 :: v_dual_add_f32 v2, v72, v2
	v_dual_add_f32 v3, v70, v3 :: v_dual_add_f32 v4, v69, v4
	;; [unrolled: 1-line block ×6, first 2 shown]
	global_inv scope:SCOPE_SE
	v_cmpx_eq_u32_e32 64, v16
	s_cbranch_execz .LBB14_71
; %bb.70:
	v_add_nc_u32_e32 v16, v14, v15
	s_delay_alu instid0(VALU_DEP_1)
	v_add_nc_u32_e32 v17, 0xfffffa00, v16
	v_add_nc_u32_e32 v18, 0xfffffa40, v16
	;; [unrolled: 1-line block ×12, first 2 shown]
	ds_store_b32 v17, v1
	ds_store_b32 v18, v2
	ds_store_b32 v19, v3
	ds_store_b32 v20, v4
	ds_store_b32 v21, v5
	ds_store_b32 v22, v6
	ds_store_b32 v23, v7
	ds_store_b32 v24, v8
	ds_store_b32 v25, v9
	ds_store_b32 v26, v10
	ds_store_b32 v27, v11
	ds_store_b32 v16, v12
.LBB14_71:
	s_wait_alu 0xfffe
	s_or_b32 exec_lo, exec_lo, s0
	v_lshlrev_b32_e32 v13, 2, v13
	s_mov_b32 s1, exec_lo
	v_cmp_eq_u32_e32 vcc_lo, 0, v60
	s_wait_loadcnt_dscnt 0x0
	s_barrier_signal -1
	v_add3_u32 v13, 0x320, v15, v13
	s_barrier_wait -1
	global_inv scope:SCOPE_SE
	v_cmpx_gt_u32_e32 64, v0
	s_cbranch_execz .LBB14_86
; %bb.72:
	s_and_saveexec_b32 s0, vcc_lo
	s_cbranch_execnz .LBB14_106
; %bb.73:
	s_wait_alu 0xfffe
	s_or_b32 exec_lo, exec_lo, s0
	s_and_saveexec_b32 s0, vcc_lo
	s_cbranch_execnz .LBB14_107
.LBB14_74:
	s_wait_alu 0xfffe
	s_or_b32 exec_lo, exec_lo, s0
	s_and_saveexec_b32 s0, vcc_lo
	s_cbranch_execnz .LBB14_108
.LBB14_75:
	s_wait_alu 0xfffe
	s_or_b32 exec_lo, exec_lo, s0
	s_and_saveexec_b32 s0, vcc_lo
	s_cbranch_execnz .LBB14_109
.LBB14_76:
	s_wait_alu 0xfffe
	s_or_b32 exec_lo, exec_lo, s0
	s_and_saveexec_b32 s0, vcc_lo
	s_cbranch_execnz .LBB14_110
.LBB14_77:
	s_wait_alu 0xfffe
	s_or_b32 exec_lo, exec_lo, s0
	s_and_saveexec_b32 s0, vcc_lo
	s_cbranch_execnz .LBB14_111
.LBB14_78:
	s_wait_alu 0xfffe
	s_or_b32 exec_lo, exec_lo, s0
	s_and_saveexec_b32 s0, vcc_lo
	s_cbranch_execnz .LBB14_112
.LBB14_79:
	s_wait_alu 0xfffe
	s_or_b32 exec_lo, exec_lo, s0
	s_and_saveexec_b32 s0, vcc_lo
	s_cbranch_execnz .LBB14_113
.LBB14_80:
	s_wait_alu 0xfffe
	s_or_b32 exec_lo, exec_lo, s0
	s_and_saveexec_b32 s0, vcc_lo
	s_cbranch_execnz .LBB14_114
.LBB14_81:
	s_wait_alu 0xfffe
	s_or_b32 exec_lo, exec_lo, s0
	s_and_saveexec_b32 s0, vcc_lo
	s_cbranch_execnz .LBB14_115
.LBB14_82:
	s_wait_alu 0xfffe
	s_or_b32 exec_lo, exec_lo, s0
	s_and_saveexec_b32 s0, vcc_lo
	s_cbranch_execnz .LBB14_116
.LBB14_83:
	s_wait_alu 0xfffe
	s_or_b32 exec_lo, exec_lo, s0
	s_and_saveexec_b32 s0, vcc_lo
	s_cbranch_execz .LBB14_85
.LBB14_84:
	ds_load_b32 v15, v13 offset:704
	s_wait_dscnt 0x0
	v_add_f32_e32 v12, v12, v15
.LBB14_85:
	s_wait_alu 0xfffe
	s_or_b32 exec_lo, exec_lo, s0
.LBB14_86:
	s_wait_alu 0xfffe
	s_or_b32 exec_lo, exec_lo, s1
	v_and_b32_e32 v15, 0x3e1, v0
	s_mov_b32 s1, exec_lo
	s_wait_loadcnt 0x0
	s_barrier_signal -1
	s_barrier_wait -1
	global_inv scope:SCOPE_SE
	v_cmpx_eq_u32_e32 32, v15
	s_cbranch_execz .LBB14_88
; %bb.87:
	ds_store_2addr_b32 v14, v1, v2 offset1:16
	ds_store_2addr_b32 v14, v3, v4 offset0:32 offset1:48
	ds_store_2addr_b32 v14, v5, v6 offset0:64 offset1:80
	;; [unrolled: 1-line block ×5, first 2 shown]
.LBB14_88:
	s_wait_alu 0xfffe
	s_or_b32 exec_lo, exec_lo, s1
	s_delay_alu instid0(SALU_CYCLE_1)
	s_mov_b32 s1, exec_lo
	s_wait_loadcnt_dscnt 0x0
	s_barrier_signal -1
	s_barrier_wait -1
	global_inv scope:SCOPE_SE
	v_cmpx_gt_u32_e32 32, v0
	s_cbranch_execz .LBB14_103
; %bb.89:
	s_and_saveexec_b32 s0, vcc_lo
	s_cbranch_execnz .LBB14_117
; %bb.90:
	s_wait_alu 0xfffe
	s_or_b32 exec_lo, exec_lo, s0
	s_and_saveexec_b32 s0, vcc_lo
	s_cbranch_execnz .LBB14_118
.LBB14_91:
	s_wait_alu 0xfffe
	s_or_b32 exec_lo, exec_lo, s0
	s_and_saveexec_b32 s0, vcc_lo
	s_cbranch_execnz .LBB14_119
.LBB14_92:
	s_wait_alu 0xfffe
	s_or_b32 exec_lo, exec_lo, s0
	s_and_saveexec_b32 s0, vcc_lo
	s_cbranch_execnz .LBB14_120
.LBB14_93:
	s_wait_alu 0xfffe
	s_or_b32 exec_lo, exec_lo, s0
	s_and_saveexec_b32 s0, vcc_lo
	s_cbranch_execnz .LBB14_121
.LBB14_94:
	s_wait_alu 0xfffe
	s_or_b32 exec_lo, exec_lo, s0
	s_and_saveexec_b32 s0, vcc_lo
	s_cbranch_execnz .LBB14_122
.LBB14_95:
	s_wait_alu 0xfffe
	s_or_b32 exec_lo, exec_lo, s0
	s_and_saveexec_b32 s0, vcc_lo
	s_cbranch_execnz .LBB14_123
.LBB14_96:
	s_wait_alu 0xfffe
	s_or_b32 exec_lo, exec_lo, s0
	s_and_saveexec_b32 s0, vcc_lo
	s_cbranch_execnz .LBB14_124
.LBB14_97:
	s_wait_alu 0xfffe
	s_or_b32 exec_lo, exec_lo, s0
	s_and_saveexec_b32 s0, vcc_lo
	s_cbranch_execnz .LBB14_125
.LBB14_98:
	s_wait_alu 0xfffe
	s_or_b32 exec_lo, exec_lo, s0
	s_and_saveexec_b32 s0, vcc_lo
	s_cbranch_execnz .LBB14_126
.LBB14_99:
	s_wait_alu 0xfffe
	s_or_b32 exec_lo, exec_lo, s0
	s_and_saveexec_b32 s0, vcc_lo
	s_cbranch_execnz .LBB14_127
.LBB14_100:
	s_wait_alu 0xfffe
	s_or_b32 exec_lo, exec_lo, s0
	s_and_saveexec_b32 s0, vcc_lo
	s_cbranch_execz .LBB14_102
.LBB14_101:
	ds_load_b32 v13, v13 offset:704
	s_wait_dscnt 0x0
	v_add_f32_e32 v12, v12, v13
.LBB14_102:
	s_wait_alu 0xfffe
	s_or_b32 exec_lo, exec_lo, s0
.LBB14_103:
	s_wait_alu 0xfffe
	s_or_b32 exec_lo, exec_lo, s1
	s_mov_b32 s1, 0
	s_wait_loadcnt 0x0
	s_barrier_signal -1
	s_barrier_wait -1
	global_inv scope:SCOPE_SE
	s_mov_b32 s0, exec_lo
	v_cmpx_eq_u32_e32 0, v15
	s_cbranch_execz .LBB14_105
; %bb.104:
	s_mul_i32 s2, s20, 0xc0
	s_wait_kmcnt 0x0
	s_mul_i32 s4, s31, s16
	s_wait_alu 0xfffe
	s_ashr_i32 s3, s2, 31
	s_ashr_i32 s5, s4, 31
	s_wait_alu 0xfffe
	s_lshl_b64 s[2:3], s[2:3], 2
	s_lshl_b64 s[4:5], s[4:5], 2
	s_wait_alu 0xfffe
	s_add_nc_u64 s[2:3], s[14:15], s[2:3]
	v_lshlrev_b32_e32 v0, 1, v0
	s_mul_i32 s0, s30, 0x300
	s_wait_alu 0xfffe
	s_add_nc_u64 s[2:3], s[2:3], s[4:5]
	s_wait_alu 0xfffe
	s_add_nc_u64 s[0:1], s[2:3], s[0:1]
	s_clause 0xb
	global_store_b32 v0, v1, s[0:1]
	global_store_b32 v0, v2, s[0:1] offset:64
	global_store_b32 v0, v3, s[0:1] offset:128
	;; [unrolled: 1-line block ×11, first 2 shown]
.LBB14_105:
	s_endpgm
.LBB14_106:
	ds_load_b32 v15, v13
	s_wait_dscnt 0x0
	v_add_f32_e32 v1, v1, v15
	s_wait_alu 0xfffe
	s_or_b32 exec_lo, exec_lo, s0
	s_and_saveexec_b32 s0, vcc_lo
	s_cbranch_execz .LBB14_74
.LBB14_107:
	ds_load_b32 v15, v13 offset:64
	s_wait_dscnt 0x0
	v_add_f32_e32 v2, v2, v15
	s_wait_alu 0xfffe
	s_or_b32 exec_lo, exec_lo, s0
	s_and_saveexec_b32 s0, vcc_lo
	s_cbranch_execz .LBB14_75
.LBB14_108:
	ds_load_b32 v15, v13 offset:128
	s_wait_dscnt 0x0
	v_add_f32_e32 v3, v3, v15
	s_wait_alu 0xfffe
	s_or_b32 exec_lo, exec_lo, s0
	s_and_saveexec_b32 s0, vcc_lo
	s_cbranch_execz .LBB14_76
.LBB14_109:
	ds_load_b32 v15, v13 offset:192
	s_wait_dscnt 0x0
	v_add_f32_e32 v4, v4, v15
	s_wait_alu 0xfffe
	s_or_b32 exec_lo, exec_lo, s0
	s_and_saveexec_b32 s0, vcc_lo
	s_cbranch_execz .LBB14_77
.LBB14_110:
	ds_load_b32 v15, v13 offset:256
	s_wait_dscnt 0x0
	v_add_f32_e32 v5, v5, v15
	s_wait_alu 0xfffe
	s_or_b32 exec_lo, exec_lo, s0
	s_and_saveexec_b32 s0, vcc_lo
	s_cbranch_execz .LBB14_78
.LBB14_111:
	ds_load_b32 v15, v13 offset:320
	s_wait_dscnt 0x0
	v_add_f32_e32 v6, v6, v15
	s_wait_alu 0xfffe
	s_or_b32 exec_lo, exec_lo, s0
	s_and_saveexec_b32 s0, vcc_lo
	s_cbranch_execz .LBB14_79
.LBB14_112:
	ds_load_b32 v15, v13 offset:384
	s_wait_dscnt 0x0
	v_add_f32_e32 v7, v7, v15
	s_wait_alu 0xfffe
	s_or_b32 exec_lo, exec_lo, s0
	s_and_saveexec_b32 s0, vcc_lo
	s_cbranch_execz .LBB14_80
.LBB14_113:
	ds_load_b32 v15, v13 offset:448
	s_wait_dscnt 0x0
	v_add_f32_e32 v8, v8, v15
	s_wait_alu 0xfffe
	s_or_b32 exec_lo, exec_lo, s0
	s_and_saveexec_b32 s0, vcc_lo
	s_cbranch_execz .LBB14_81
.LBB14_114:
	ds_load_b32 v15, v13 offset:512
	s_wait_dscnt 0x0
	v_add_f32_e32 v9, v9, v15
	s_wait_alu 0xfffe
	s_or_b32 exec_lo, exec_lo, s0
	s_and_saveexec_b32 s0, vcc_lo
	s_cbranch_execz .LBB14_82
.LBB14_115:
	ds_load_b32 v15, v13 offset:576
	s_wait_dscnt 0x0
	v_add_f32_e32 v10, v10, v15
	s_wait_alu 0xfffe
	s_or_b32 exec_lo, exec_lo, s0
	s_and_saveexec_b32 s0, vcc_lo
	s_cbranch_execz .LBB14_83
.LBB14_116:
	ds_load_b32 v15, v13 offset:640
	s_wait_dscnt 0x0
	v_add_f32_e32 v11, v11, v15
	s_wait_alu 0xfffe
	s_or_b32 exec_lo, exec_lo, s0
	s_and_saveexec_b32 s0, vcc_lo
	s_cbranch_execnz .LBB14_84
	s_branch .LBB14_85
.LBB14_117:
	ds_load_b32 v14, v13
	s_wait_dscnt 0x0
	v_add_f32_e32 v1, v1, v14
	s_wait_alu 0xfffe
	s_or_b32 exec_lo, exec_lo, s0
	s_and_saveexec_b32 s0, vcc_lo
	s_cbranch_execz .LBB14_91
.LBB14_118:
	ds_load_b32 v14, v13 offset:64
	s_wait_dscnt 0x0
	v_add_f32_e32 v2, v2, v14
	s_wait_alu 0xfffe
	s_or_b32 exec_lo, exec_lo, s0
	s_and_saveexec_b32 s0, vcc_lo
	s_cbranch_execz .LBB14_92
.LBB14_119:
	ds_load_b32 v14, v13 offset:128
	s_wait_dscnt 0x0
	v_add_f32_e32 v3, v3, v14
	s_wait_alu 0xfffe
	s_or_b32 exec_lo, exec_lo, s0
	s_and_saveexec_b32 s0, vcc_lo
	s_cbranch_execz .LBB14_93
.LBB14_120:
	ds_load_b32 v14, v13 offset:192
	s_wait_dscnt 0x0
	v_add_f32_e32 v4, v4, v14
	s_wait_alu 0xfffe
	s_or_b32 exec_lo, exec_lo, s0
	s_and_saveexec_b32 s0, vcc_lo
	s_cbranch_execz .LBB14_94
.LBB14_121:
	ds_load_b32 v14, v13 offset:256
	s_wait_dscnt 0x0
	v_add_f32_e32 v5, v5, v14
	s_wait_alu 0xfffe
	s_or_b32 exec_lo, exec_lo, s0
	s_and_saveexec_b32 s0, vcc_lo
	s_cbranch_execz .LBB14_95
.LBB14_122:
	ds_load_b32 v14, v13 offset:320
	s_wait_dscnt 0x0
	v_add_f32_e32 v6, v6, v14
	s_wait_alu 0xfffe
	s_or_b32 exec_lo, exec_lo, s0
	s_and_saveexec_b32 s0, vcc_lo
	s_cbranch_execz .LBB14_96
.LBB14_123:
	ds_load_b32 v14, v13 offset:384
	s_wait_dscnt 0x0
	v_add_f32_e32 v7, v7, v14
	s_wait_alu 0xfffe
	s_or_b32 exec_lo, exec_lo, s0
	s_and_saveexec_b32 s0, vcc_lo
	s_cbranch_execz .LBB14_97
.LBB14_124:
	ds_load_b32 v14, v13 offset:448
	s_wait_dscnt 0x0
	v_add_f32_e32 v8, v8, v14
	s_wait_alu 0xfffe
	s_or_b32 exec_lo, exec_lo, s0
	s_and_saveexec_b32 s0, vcc_lo
	s_cbranch_execz .LBB14_98
.LBB14_125:
	ds_load_b32 v14, v13 offset:512
	s_wait_dscnt 0x0
	v_add_f32_e32 v9, v9, v14
	s_wait_alu 0xfffe
	s_or_b32 exec_lo, exec_lo, s0
	s_and_saveexec_b32 s0, vcc_lo
	s_cbranch_execz .LBB14_99
.LBB14_126:
	ds_load_b32 v14, v13 offset:576
	s_wait_dscnt 0x0
	v_add_f32_e32 v10, v10, v14
	s_wait_alu 0xfffe
	s_or_b32 exec_lo, exec_lo, s0
	s_and_saveexec_b32 s0, vcc_lo
	s_cbranch_execz .LBB14_100
.LBB14_127:
	ds_load_b32 v14, v13 offset:640
	s_wait_dscnt 0x0
	v_add_f32_e32 v11, v11, v14
	s_wait_alu 0xfffe
	s_or_b32 exec_lo, exec_lo, s0
	s_and_saveexec_b32 s0, vcc_lo
	s_cbranch_execnz .LBB14_101
	s_branch .LBB14_102
	.section	.rodata,"a",@progbits
	.p2align	6, 0x0
	.amdhsa_kernel _ZN4vllm25paged_attention_v2_kernelIffLi192ELi8ELi128ELNS_18Fp8KVCacheDataTypeE0ELb1ELi512EEEvPfS2_PT_PKS3_PKT0_S9_ifPKiSB_iPKfiiiSD_SD_iiiii
		.amdhsa_group_segment_fixed_size 800
		.amdhsa_private_segment_fixed_size 0
		.amdhsa_kernarg_size 400
		.amdhsa_user_sgpr_count 2
		.amdhsa_user_sgpr_dispatch_ptr 0
		.amdhsa_user_sgpr_queue_ptr 0
		.amdhsa_user_sgpr_kernarg_segment_ptr 1
		.amdhsa_user_sgpr_dispatch_id 0
		.amdhsa_user_sgpr_private_segment_size 0
		.amdhsa_wavefront_size32 1
		.amdhsa_uses_dynamic_stack 0
		.amdhsa_enable_private_segment 0
		.amdhsa_system_sgpr_workgroup_id_x 1
		.amdhsa_system_sgpr_workgroup_id_y 1
		.amdhsa_system_sgpr_workgroup_id_z 1
		.amdhsa_system_sgpr_workgroup_info 0
		.amdhsa_system_vgpr_workitem_id 0
		.amdhsa_next_free_vgpr 81
		.amdhsa_next_free_sgpr 42
		.amdhsa_reserve_vcc 1
		.amdhsa_float_round_mode_32 0
		.amdhsa_float_round_mode_16_64 0
		.amdhsa_float_denorm_mode_32 3
		.amdhsa_float_denorm_mode_16_64 3
		.amdhsa_fp16_overflow 0
		.amdhsa_workgroup_processor_mode 1
		.amdhsa_memory_ordered 1
		.amdhsa_forward_progress 1
		.amdhsa_inst_pref_size 71
		.amdhsa_round_robin_scheduling 0
		.amdhsa_exception_fp_ieee_invalid_op 0
		.amdhsa_exception_fp_denorm_src 0
		.amdhsa_exception_fp_ieee_div_zero 0
		.amdhsa_exception_fp_ieee_overflow 0
		.amdhsa_exception_fp_ieee_underflow 0
		.amdhsa_exception_fp_ieee_inexact 0
		.amdhsa_exception_int_div_zero 0
	.end_amdhsa_kernel
	.section	.text._ZN4vllm25paged_attention_v2_kernelIffLi192ELi8ELi128ELNS_18Fp8KVCacheDataTypeE0ELb1ELi512EEEvPfS2_PT_PKS3_PKT0_S9_ifPKiSB_iPKfiiiSD_SD_iiiii,"axG",@progbits,_ZN4vllm25paged_attention_v2_kernelIffLi192ELi8ELi128ELNS_18Fp8KVCacheDataTypeE0ELb1ELi512EEEvPfS2_PT_PKS3_PKT0_S9_ifPKiSB_iPKfiiiSD_SD_iiiii,comdat
.Lfunc_end14:
	.size	_ZN4vllm25paged_attention_v2_kernelIffLi192ELi8ELi128ELNS_18Fp8KVCacheDataTypeE0ELb1ELi512EEEvPfS2_PT_PKS3_PKT0_S9_ifPKiSB_iPKfiiiSD_SD_iiiii, .Lfunc_end14-_ZN4vllm25paged_attention_v2_kernelIffLi192ELi8ELi128ELNS_18Fp8KVCacheDataTypeE0ELb1ELi512EEEvPfS2_PT_PKS3_PKT0_S9_ifPKiSB_iPKfiiiSD_SD_iiiii
                                        ; -- End function
	.set _ZN4vllm25paged_attention_v2_kernelIffLi192ELi8ELi128ELNS_18Fp8KVCacheDataTypeE0ELb1ELi512EEEvPfS2_PT_PKS3_PKT0_S9_ifPKiSB_iPKfiiiSD_SD_iiiii.num_vgpr, 81
	.set _ZN4vllm25paged_attention_v2_kernelIffLi192ELi8ELi128ELNS_18Fp8KVCacheDataTypeE0ELb1ELi512EEEvPfS2_PT_PKS3_PKT0_S9_ifPKiSB_iPKfiiiSD_SD_iiiii.num_agpr, 0
	.set _ZN4vllm25paged_attention_v2_kernelIffLi192ELi8ELi128ELNS_18Fp8KVCacheDataTypeE0ELb1ELi512EEEvPfS2_PT_PKS3_PKT0_S9_ifPKiSB_iPKfiiiSD_SD_iiiii.numbered_sgpr, 42
	.set _ZN4vllm25paged_attention_v2_kernelIffLi192ELi8ELi128ELNS_18Fp8KVCacheDataTypeE0ELb1ELi512EEEvPfS2_PT_PKS3_PKT0_S9_ifPKiSB_iPKfiiiSD_SD_iiiii.num_named_barrier, 0
	.set _ZN4vllm25paged_attention_v2_kernelIffLi192ELi8ELi128ELNS_18Fp8KVCacheDataTypeE0ELb1ELi512EEEvPfS2_PT_PKS3_PKT0_S9_ifPKiSB_iPKfiiiSD_SD_iiiii.private_seg_size, 0
	.set _ZN4vllm25paged_attention_v2_kernelIffLi192ELi8ELi128ELNS_18Fp8KVCacheDataTypeE0ELb1ELi512EEEvPfS2_PT_PKS3_PKT0_S9_ifPKiSB_iPKfiiiSD_SD_iiiii.uses_vcc, 1
	.set _ZN4vllm25paged_attention_v2_kernelIffLi192ELi8ELi128ELNS_18Fp8KVCacheDataTypeE0ELb1ELi512EEEvPfS2_PT_PKS3_PKT0_S9_ifPKiSB_iPKfiiiSD_SD_iiiii.uses_flat_scratch, 0
	.set _ZN4vllm25paged_attention_v2_kernelIffLi192ELi8ELi128ELNS_18Fp8KVCacheDataTypeE0ELb1ELi512EEEvPfS2_PT_PKS3_PKT0_S9_ifPKiSB_iPKfiiiSD_SD_iiiii.has_dyn_sized_stack, 0
	.set _ZN4vllm25paged_attention_v2_kernelIffLi192ELi8ELi128ELNS_18Fp8KVCacheDataTypeE0ELb1ELi512EEEvPfS2_PT_PKS3_PKT0_S9_ifPKiSB_iPKfiiiSD_SD_iiiii.has_recursion, 0
	.set _ZN4vllm25paged_attention_v2_kernelIffLi192ELi8ELi128ELNS_18Fp8KVCacheDataTypeE0ELb1ELi512EEEvPfS2_PT_PKS3_PKT0_S9_ifPKiSB_iPKfiiiSD_SD_iiiii.has_indirect_call, 0
	.section	.AMDGPU.csdata,"",@progbits
; Kernel info:
; codeLenInByte = 9008
; TotalNumSgprs: 44
; NumVgprs: 81
; ScratchSize: 0
; MemoryBound: 0
; FloatMode: 240
; IeeeMode: 1
; LDSByteSize: 800 bytes/workgroup (compile time only)
; SGPRBlocks: 0
; VGPRBlocks: 10
; NumSGPRsForWavesPerEU: 44
; NumVGPRsForWavesPerEU: 81
; Occupancy: 16
; WaveLimiterHint : 1
; COMPUTE_PGM_RSRC2:SCRATCH_EN: 0
; COMPUTE_PGM_RSRC2:USER_SGPR: 2
; COMPUTE_PGM_RSRC2:TRAP_HANDLER: 0
; COMPUTE_PGM_RSRC2:TGID_X_EN: 1
; COMPUTE_PGM_RSRC2:TGID_Y_EN: 1
; COMPUTE_PGM_RSRC2:TGID_Z_EN: 1
; COMPUTE_PGM_RSRC2:TIDIG_COMP_CNT: 0
	.section	.text._ZN4vllm32paged_attention_v2_reduce_kernelIfLi192ELi128ELi512EEEvPT_PKfS4_PKS1_PKii,"axG",@progbits,_ZN4vllm32paged_attention_v2_reduce_kernelIfLi192ELi128ELi512EEEvPT_PKfS4_PKS1_PKii,comdat
	.protected	_ZN4vllm32paged_attention_v2_reduce_kernelIfLi192ELi128ELi512EEEvPT_PKfS4_PKS1_PKii ; -- Begin function _ZN4vllm32paged_attention_v2_reduce_kernelIfLi192ELi128ELi512EEEvPT_PKfS4_PKS1_PKii
	.globl	_ZN4vllm32paged_attention_v2_reduce_kernelIfLi192ELi128ELi512EEEvPT_PKfS4_PKS1_PKii
	.p2align	8
	.type	_ZN4vllm32paged_attention_v2_reduce_kernelIfLi192ELi128ELi512EEEvPT_PKfS4_PKS1_PKii,@function
_ZN4vllm32paged_attention_v2_reduce_kernelIfLi192ELi128ELi512EEEvPT_PKfS4_PKS1_PKii: ; @_ZN4vllm32paged_attention_v2_reduce_kernelIfLi192ELi128ELi512EEEvPT_PKfS4_PKS1_PKii
; %bb.0:
	s_load_b128 s[4:7], s[0:1], 0x18
	s_mov_b32 s2, ttmp7
	s_ashr_i32 s3, ttmp7, 31
	s_add_nc_u64 s[8:9], s[0:1], 48
	s_lshl_b64 s[2:3], s[2:3], 2
	s_wait_kmcnt 0x0
	s_add_nc_u64 s[2:3], s[6:7], s[2:3]
	s_load_b32 s18, s[2:3], 0x0
	s_clause 0x2
	s_load_b64 s[6:7], s[0:1], 0x0
	s_load_b32 s14, s[0:1], 0x28
	s_load_b32 s15, s[0:1], 0x30
	s_wait_kmcnt 0x0
	s_add_co_i32 s2, s18, -1
	s_delay_alu instid0(SALU_CYCLE_1)
	s_cmp_gt_u32 s2, 0x1ff
	s_mov_b32 s2, -1
	s_cbranch_scc0 .LBB15_31
; %bb.1:
	s_add_co_i32 s2, s18, 0x1ff
	s_mul_i32 s16, s15, ttmp7
	s_ashr_i32 s3, s2, 31
	v_mov_b32_e32 v3, 0xff7fffff
	s_lshr_b32 s3, s3, 23
	s_mul_i32 s10, s16, s14
	s_add_co_i32 s2, s2, s3
	s_mul_i32 s12, s14, ttmp9
	s_ashr_i32 s17, s2, 9
	s_ashr_i32 s11, s10, 31
	v_cmp_gt_i32_e32 vcc_lo, s17, v0
	s_ashr_i32 s13, s12, 31
	s_and_saveexec_b32 s3, vcc_lo
	s_cbranch_execz .LBB15_5
; %bb.2:
	s_load_b64 s[20:21], s[0:1], 0x10
	s_load_b32 s2, s[8:9], 0xc
	s_lshl_b64 s[22:23], s[10:11], 2
	s_lshl_b64 s[24:25], s[12:13], 2
	v_lshlrev_b32_e32 v1, 2, v0
	s_add_nc_u64 s[22:23], s[22:23], s[24:25]
	v_mov_b32_e32 v3, 0xff7fffff
	s_delay_alu instid0(VALU_DEP_2) | instskip(SKIP_2) | instid1(SALU_CYCLE_1)
	v_dual_mov_b32 v5, v0 :: v_dual_add_nc_u32 v4, 32, v1
	s_wait_kmcnt 0x0
	s_add_nc_u64 s[20:21], s[20:21], s[22:23]
	v_add_co_u32 v1, s19, s20, v1
	s_delay_alu instid0(VALU_DEP_1)
	v_add_co_ci_u32_e64 v2, null, s21, 0, s19
	s_and_b32 s20, s2, 0xffff
	s_mov_b32 s19, 0
	s_wait_alu 0xfffe
	s_lshl_b32 s21, s20, 2
.LBB15_3:                               ; =>This Inner Loop Header: Depth=1
	global_load_b32 v6, v[1:2], off
	v_add_nc_u32_e32 v5, s20, v5
	v_max_num_f32_e32 v3, v3, v3
	s_wait_alu 0xfffe
	v_add_co_u32 v1, s2, v1, s21
	s_wait_alu 0xf1ff
	v_add_co_ci_u32_e64 v2, null, 0, v2, s2
	v_cmp_le_i32_e64 s2, s17, v5
	s_or_b32 s19, s2, s19
	s_wait_loadcnt 0x0
	v_max_num_f32_e32 v7, v6, v6
	ds_store_b32 v4, v6
	v_dual_max_num_f32 v3, v3, v7 :: v_dual_add_nc_u32 v4, s21, v4
	s_wait_alu 0xfffe
	s_and_not1_b32 exec_lo, exec_lo, s19
	s_cbranch_execnz .LBB15_3
; %bb.4:
	s_or_b32 exec_lo, exec_lo, s19
.LBB15_5:
	s_delay_alu instid0(SALU_CYCLE_1)
	s_or_b32 exec_lo, exec_lo, s3
	v_mbcnt_lo_u32_b32 v1, -1, 0
	s_load_b64 s[2:3], s[0:1], 0x8
	s_wait_dscnt 0x0
	s_barrier_signal -1
	s_barrier_wait -1
	v_xor_b32_e32 v2, 16, v1
	v_xor_b32_e32 v4, 8, v1
	global_inv scope:SCOPE_SE
	v_cmp_gt_i32_e64 s0, 32, v2
	s_delay_alu instid0(VALU_DEP_1) | instskip(SKIP_1) | instid1(VALU_DEP_2)
	v_cndmask_b32_e64 v2, v1, v2, s0
	v_cmp_gt_i32_e64 s0, 32, v4
	v_lshlrev_b32_e32 v5, 2, v2
	s_wait_alu 0xf1ff
	s_delay_alu instid0(VALU_DEP_2) | instskip(SKIP_4) | instid1(VALU_DEP_2)
	v_cndmask_b32_e64 v4, v1, v4, s0
	ds_bpermute_b32 v2, v5, v3
	v_lshlrev_b32_e32 v6, 2, v4
	v_xor_b32_e32 v4, 4, v1
	v_max_num_f32_e32 v3, v3, v3
	v_cmp_gt_i32_e64 s0, 32, v4
	s_wait_alu 0xf1ff
	s_delay_alu instid0(VALU_DEP_1) | instskip(NEXT) | instid1(VALU_DEP_1)
	v_cndmask_b32_e64 v4, v1, v4, s0
	v_lshlrev_b32_e32 v7, 2, v4
	v_xor_b32_e32 v4, 2, v1
	s_wait_dscnt 0x0
	v_max_num_f32_e32 v2, v2, v2
	s_delay_alu instid0(VALU_DEP_2) | instskip(NEXT) | instid1(VALU_DEP_2)
	v_cmp_gt_i32_e64 s0, 32, v4
	v_max_num_f32_e32 v2, v3, v2
	s_wait_alu 0xf1ff
	s_delay_alu instid0(VALU_DEP_2) | instskip(SKIP_3) | instid1(VALU_DEP_1)
	v_cndmask_b32_e64 v4, v1, v4, s0
	ds_bpermute_b32 v3, v6, v2
	s_wait_dscnt 0x0
	v_max_num_f32_e32 v3, v3, v3
	v_max_num_f32_e32 v2, v2, v3
	ds_bpermute_b32 v3, v7, v2
	s_wait_dscnt 0x0
	v_dual_max_num_f32 v8, v3, v3 :: v_dual_lshlrev_b32 v3, 2, v4
	s_delay_alu instid0(VALU_DEP_1) | instskip(SKIP_4) | instid1(VALU_DEP_1)
	v_max_num_f32_e32 v2, v2, v8
	v_xor_b32_e32 v8, 1, v1
	ds_bpermute_b32 v4, v3, v2
	v_cmp_gt_i32_e64 s0, 32, v8
	s_wait_alu 0xf1ff
	v_cndmask_b32_e64 v1, v1, v8, s0
	v_lshrrev_b32_e32 v8, 5, v0
	s_delay_alu instid0(VALU_DEP_1) | instskip(SKIP_2) | instid1(VALU_DEP_1)
	v_lshlrev_b32_e32 v8, 2, v8
	s_wait_dscnt 0x0
	v_max_num_f32_e32 v4, v4, v4
	v_max_num_f32_e32 v2, v2, v4
	v_lshlrev_b32_e32 v4, 2, v1
	v_and_b32_e32 v1, 31, v0
	ds_bpermute_b32 v9, v4, v2
	v_cmp_eq_u32_e64 s0, 0, v1
	s_and_saveexec_b32 s1, s0
	s_cbranch_execz .LBB15_7
; %bb.6:
	s_wait_dscnt 0x0
	v_dual_max_num_f32 v9, v9, v9 :: v_dual_max_num_f32 v2, v2, v2
	s_delay_alu instid0(VALU_DEP_1)
	v_max_num_f32_e32 v2, v2, v9
	ds_store_b32 v8, v2
.LBB15_7:
	s_wait_alu 0xfffe
	s_or_b32 exec_lo, exec_lo, s1
	v_cmp_gt_u32_e64 s1, 4, v1
	s_wait_dscnt 0x0
	v_dual_mov_b32 v2, 0xff7fffff :: v_dual_lshlrev_b32 v9, 2, v1
	s_wait_loadcnt 0x0
	s_barrier_signal -1
	s_barrier_wait -1
	global_inv scope:SCOPE_SE
	s_and_saveexec_b32 s19, s1
; %bb.8:
	ds_load_b32 v2, v9
; %bb.9:
	s_wait_alu 0xfffe
	s_or_b32 exec_lo, exec_lo, s19
	s_wait_dscnt 0x0
	ds_bpermute_b32 v1, v3, v2
	v_max_num_f32_e32 v2, v2, v2
	s_lshl_b32 s19, s17, 2
	s_wait_dscnt 0x0
	v_dual_mov_b32 v10, 0 :: v_dual_max_num_f32 v1, v1, v1
	s_delay_alu instid0(VALU_DEP_1) | instskip(SKIP_3) | instid1(VALU_DEP_1)
	v_max_num_f32_e32 v1, v2, v1
	ds_bpermute_b32 v2, v4, v1
	s_wait_dscnt 0x0
	v_max_num_f32_e32 v2, v2, v2
	v_max_num_f32_e32 v1, v1, v2
	ds_bpermute_b32 v11, v10, v1
	s_and_saveexec_b32 s20, vcc_lo
	s_cbranch_execz .LBB15_13
; %bb.10:
	s_load_b32 s21, s[8:9], 0xc
	s_lshl_b64 s[22:23], s[10:11], 2
	s_lshl_b64 s[24:25], s[12:13], 2
	v_dual_mov_b32 v13, v0 :: v_dual_lshlrev_b32 v12, 2, v0
	s_add_nc_u64 s[22:23], s[22:23], s[24:25]
	v_mov_b32_e32 v10, 0
	s_wait_kmcnt 0x0
	s_add_nc_u64 s[2:3], s[2:3], s[22:23]
	s_wait_alu 0xfffe
	v_add_co_u32 v1, s2, s2, v12
	s_wait_alu 0xf1ff
	v_add_co_ci_u32_e64 v2, null, s3, 0, s2
	v_add_nc_u32_e32 v12, 32, v12
	s_mov_b32 s3, 0
	s_and_b32 s11, s21, 0xffff
	s_delay_alu instid0(SALU_CYCLE_1)
	s_lshl_b32 s13, s11, 2
.LBB15_11:                              ; =>This Inner Loop Header: Depth=1
	global_load_b32 v14, v[1:2], off
	ds_load_b32 v15, v12
	s_wait_dscnt 0x0
	v_sub_f32_e32 v15, v15, v11
	s_delay_alu instid0(VALU_DEP_1) | instskip(NEXT) | instid1(VALU_DEP_1)
	v_mul_f32_e32 v16, 0x3fb8aa3b, v15
	v_fma_f32 v17, 0x3fb8aa3b, v15, -v16
	v_rndne_f32_e32 v18, v16
	s_delay_alu instid0(VALU_DEP_1) | instskip(SKIP_1) | instid1(VALU_DEP_4)
	v_sub_f32_e32 v16, v16, v18
	v_cmp_ngt_f32_e32 vcc_lo, 0xc2ce8ed0, v15
	v_fmac_f32_e32 v17, 0x32a5705f, v15
	v_cmp_nlt_f32_e64 s2, 0x42b17218, v15
	s_delay_alu instid0(VALU_DEP_2) | instskip(SKIP_1) | instid1(VALU_DEP_2)
	v_add_f32_e32 v16, v16, v17
	v_cvt_i32_f32_e32 v17, v18
	v_exp_f32_e32 v16, v16
	s_delay_alu instid0(TRANS32_DEP_1) | instskip(SKIP_3) | instid1(VALU_DEP_3)
	v_ldexp_f32 v16, v16, v17
	v_add_nc_u32_e32 v17, s19, v12
	v_add_nc_u32_e32 v12, s13, v12
	s_wait_alu 0xfffd
	v_cndmask_b32_e32 v16, 0, v16, vcc_lo
	v_add_co_u32 v1, vcc_lo, v1, s13
	s_wait_alu 0xfffd
	v_add_co_ci_u32_e64 v2, null, 0, v2, vcc_lo
	s_wait_alu 0xf1ff
	v_cndmask_b32_e64 v15, 0x7f800000, v16, s2
	s_wait_loadcnt 0x0
	s_delay_alu instid0(VALU_DEP_1) | instskip(NEXT) | instid1(VALU_DEP_1)
	v_dual_mul_f32 v16, v14, v15 :: v_dual_add_nc_u32 v13, s11, v13
	v_cmp_le_i32_e32 vcc_lo, s17, v13
	v_fmac_f32_e32 v10, v14, v15
	ds_store_b32 v17, v16
	s_wait_alu 0xfffe
	s_or_b32 s3, vcc_lo, s3
	s_wait_alu 0xfffe
	s_and_not1_b32 exec_lo, exec_lo, s3
	s_cbranch_execnz .LBB15_11
; %bb.12:
	s_or_b32 exec_lo, exec_lo, s3
.LBB15_13:
	s_wait_alu 0xfffe
	s_or_b32 exec_lo, exec_lo, s20
	ds_bpermute_b32 v1, v5, v10
	s_wait_loadcnt_dscnt 0x0
	s_barrier_signal -1
	s_barrier_wait -1
	global_inv scope:SCOPE_SE
	v_add_f32_e32 v1, v10, v1
	ds_bpermute_b32 v2, v6, v1
	s_wait_dscnt 0x0
	v_add_f32_e32 v1, v1, v2
	ds_bpermute_b32 v2, v7, v1
	s_wait_dscnt 0x0
	v_add_f32_e32 v1, v1, v2
	ds_bpermute_b32 v2, v3, v1
	s_wait_dscnt 0x0
	v_add_f32_e32 v1, v1, v2
	ds_bpermute_b32 v2, v4, v1
	s_wait_dscnt 0x0
	v_add_f32_e32 v1, v1, v2
	s_wait_kmcnt 0x0
	s_and_saveexec_b32 s2, s0
; %bb.14:
	ds_store_b32 v8, v1 offset:16
; %bb.15:
	s_wait_alu 0xfffe
	s_or_b32 exec_lo, exec_lo, s2
	s_wait_loadcnt_dscnt 0x0
	s_barrier_signal -1
	s_barrier_wait -1
	global_inv scope:SCOPE_SE
	s_and_saveexec_b32 s0, s1
; %bb.16:
	ds_load_b32 v1, v9 offset:16
; %bb.17:
	s_wait_alu 0xfffe
	s_or_b32 exec_lo, exec_lo, s0
	s_wait_dscnt 0x0
	ds_bpermute_b32 v2, v3, v1
	s_mov_b32 s11, exec_lo
	s_wait_dscnt 0x0
	v_add_f32_e32 v1, v1, v2
	ds_bpermute_b32 v2, v4, v1
	s_wait_dscnt 0x0
	v_dual_add_f32 v1, v1, v2 :: v_dual_mov_b32 v2, 0
	ds_bpermute_b32 v1, v2, v1
	v_cmpx_gt_u32_e32 0xc0, v0
	s_cbranch_execz .LBB15_30
; %bb.18:
	s_wait_dscnt 0x0
	v_add_f32_e32 v2, 0x358637bd, v1
	s_mul_i32 s0, s10, 0xc0
	s_mul_i32 s2, s12, 0xc0
	s_wait_alu 0xfffe
	s_ashr_i32 s1, s0, 31
	s_ashr_i32 s3, s2, 31
	v_div_scale_f32 v1, null, v2, v2, 1.0
	s_cmp_gt_i32 s18, 0
	s_mov_b32 s12, 0
	s_cselect_b32 s13, -1, 0
	v_rcp_f32_e32 v3, v1
	s_delay_alu instid0(TRANS32_DEP_1) | instskip(NEXT) | instid1(VALU_DEP_1)
	v_fma_f32 v4, -v1, v3, 1.0
	v_fmac_f32_e32 v3, v4, v3
	v_div_scale_f32 v5, vcc_lo, 1.0, v2, 1.0
	s_delay_alu instid0(VALU_DEP_1) | instskip(NEXT) | instid1(VALU_DEP_1)
	v_mul_f32_e32 v4, v5, v3
	v_fma_f32 v6, -v1, v4, v5
	s_delay_alu instid0(VALU_DEP_1) | instskip(NEXT) | instid1(VALU_DEP_1)
	v_fmac_f32_e32 v4, v6, v3
	v_fma_f32 v1, -v1, v4, v5
	s_wait_alu 0xfffd
	s_delay_alu instid0(VALU_DEP_1)
	v_div_fmas_f32 v3, v1, v3, v4
	s_wait_alu 0xfffe
	s_and_b32 vcc_lo, exec_lo, s13
	s_wait_alu 0xfffe
	s_cbranch_vccnz .LBB15_20
; %bb.19:
	v_mov_b32_e32 v1, 0
	s_branch .LBB15_21
.LBB15_20:
	s_mov_b32 s12, -1
.LBB15_21:
	v_div_fixup_f32 v5, v3, v2, 1.0
	v_mov_b32_e32 v6, 0
	s_add_co_i32 s10, s19, 32
	s_wait_alu 0xfffe
	s_and_not1_b32 vcc_lo, exec_lo, s12
	s_max_i32 s12, s17, 1
	s_wait_alu 0xfffe
	s_cbranch_vccnz .LBB15_24
; %bb.22:
	s_lshl_b64 s[18:19], s[0:1], 2
	s_lshl_b64 s[20:21], s[2:3], 2
	v_dual_mov_b32 v1, 0 :: v_dual_lshlrev_b32 v2, 2, v0
	s_wait_alu 0xfffe
	s_add_nc_u64 s[18:19], s[18:19], s[20:21]
	s_wait_alu 0xfffe
	s_add_nc_u64 s[18:19], s[4:5], s[18:19]
	s_wait_alu 0xfffe
	v_add_co_u32 v2, s17, s18, v2
	s_wait_alu 0xf1ff
	v_add_co_ci_u32_e64 v3, null, s19, 0, s17
	v_mov_b32_e32 v6, v1
	s_mov_b32 s17, s10
	s_mov_b32 s18, s12
.LBB15_23:                              ; =>This Inner Loop Header: Depth=1
	global_load_b32 v4, v[2:3], off
	s_wait_alu 0xfffe
	v_mov_b32_e32 v7, s17
	v_add_co_u32 v2, vcc_lo, 0x300, v2
	s_wait_alu 0xfffd
	v_add_co_ci_u32_e64 v3, null, 0, v3, vcc_lo
	ds_load_b32 v7, v7
	s_add_co_i32 s18, s18, -1
	s_add_co_i32 s17, s17, 4
	s_wait_alu 0xfffe
	s_cmp_eq_u32 s18, 0
	s_wait_loadcnt_dscnt 0x0
	v_mul_f32_e32 v4, v4, v7
	s_delay_alu instid0(VALU_DEP_1)
	v_fmac_f32_e32 v6, v5, v4
	s_cbranch_scc0 .LBB15_23
.LBB15_24:
	s_mulk_i32 s16, 0xc0
	s_mul_i32 s18, ttmp9, 0xc0
	s_wait_alu 0xfffe
	s_ashr_i32 s17, s16, 31
	s_ashr_i32 s19, s18, 31
	s_wait_alu 0xfffe
	s_lshl_b64 s[16:17], s[16:17], 2
	v_lshlrev_b64_e32 v[3:4], 2, v[0:1]
	s_lshl_b64 s[18:19], s[18:19], 2
	s_wait_alu 0xfffe
	s_add_nc_u64 s[16:17], s[6:7], s[16:17]
	s_wait_alu 0xfffe
	s_add_nc_u64 s[16:17], s[16:17], s[18:19]
	s_wait_alu 0xfffe
	v_add_co_u32 v1, vcc_lo, s16, v3
	s_wait_alu 0xfffd
	v_add_co_ci_u32_e64 v2, null, s17, v4, vcc_lo
	v_cmp_gt_u32_e32 vcc_lo, 64, v0
	global_store_b32 v[1:2], v6, off
	s_and_b32 exec_lo, exec_lo, vcc_lo
	s_cbranch_execz .LBB15_30
; %bb.25:
	s_and_not1_b32 vcc_lo, exec_lo, s13
	s_wait_alu 0xfffe
	s_cbranch_vccnz .LBB15_28
; %bb.26:
	s_lshl_b64 s[0:1], s[0:1], 2
	s_lshl_b64 s[2:3], s[2:3], 2
	v_mov_b32_e32 v6, 0
	s_wait_alu 0xfffe
	s_add_nc_u64 s[0:1], s[0:1], s[2:3]
	s_wait_alu 0xfffe
	s_add_nc_u64 s[0:1], s[4:5], s[0:1]
	s_wait_alu 0xfffe
	v_add_co_u32 v3, vcc_lo, s0, v3
	s_wait_alu 0xfffd
	v_add_co_ci_u32_e64 v4, null, s1, v4, vcc_lo
	s_delay_alu instid0(VALU_DEP_2) | instskip(SKIP_1) | instid1(VALU_DEP_2)
	v_add_co_u32 v3, vcc_lo, 0x200, v3
	s_wait_alu 0xfffd
	v_add_co_ci_u32_e64 v4, null, 0, v4, vcc_lo
.LBB15_27:                              ; =>This Inner Loop Header: Depth=1
	global_load_b32 v7, v[3:4], off
	v_mov_b32_e32 v8, s10
	v_add_co_u32 v3, vcc_lo, 0x300, v3
	s_wait_alu 0xfffd
	v_add_co_ci_u32_e64 v4, null, 0, v4, vcc_lo
	ds_load_b32 v8, v8
	s_add_co_i32 s12, s12, -1
	s_add_co_i32 s10, s10, 4
	s_wait_alu 0xfffe
	s_cmp_lg_u32 s12, 0
	s_wait_loadcnt_dscnt 0x0
	v_mul_f32_e32 v7, v7, v8
	s_delay_alu instid0(VALU_DEP_1)
	v_fmac_f32_e32 v6, v5, v7
	s_cbranch_scc1 .LBB15_27
	s_branch .LBB15_29
.LBB15_28:
	v_mov_b32_e32 v6, 0
.LBB15_29:
	global_store_b32 v[1:2], v6, off offset:512
.LBB15_30:
	s_wait_alu 0xfffe
	s_or_b32 exec_lo, exec_lo, s11
	s_mov_b32 s2, 0
.LBB15_31:
	s_wait_alu 0xfffe
	s_and_b32 vcc_lo, exec_lo, s2
	s_wait_alu 0xfffe
	s_cbranch_vccz .LBB15_35
; %bb.32:
	s_mov_b32 s0, exec_lo
	v_cmpx_gt_u32_e32 0xc0, v0
	s_cbranch_execz .LBB15_35
; %bb.33:
	s_load_b32 s10, s[8:9], 0xc
	s_mul_i32 s0, s15, ttmp7
	s_wait_alu 0xfffe
	s_mul_i32 s2, ttmp9, 0xc0
	s_mulk_i32 s0, 0xc0
	s_wait_alu 0xfffe
	s_ashr_i32 s3, s2, 31
	s_ashr_i32 s1, s0, 31
	s_wait_dscnt 0x0
	v_dual_mov_b32 v2, 0 :: v_dual_lshlrev_b32 v1, 2, v0
	s_wait_alu 0xfffe
	s_lshl_b64 s[8:9], s[0:1], 2
	s_mul_i32 s0, s0, s14
	s_add_nc_u64 s[6:7], s[6:7], s[8:9]
	s_lshl_b64 s[8:9], s[2:3], 2
	s_wait_alu 0xfffe
	s_ashr_i32 s1, s0, 31
	s_mul_i32 s2, s2, s14
	s_wait_alu 0xfffe
	s_lshl_b64 s[0:1], s[0:1], 2
	s_ashr_i32 s3, s2, 31
	s_wait_alu 0xfffe
	s_add_nc_u64 s[0:1], s[4:5], s[0:1]
	s_lshl_b64 s[4:5], s[2:3], 2
	s_add_nc_u64 s[2:3], s[6:7], s[8:9]
	s_wait_alu 0xfffe
	s_add_nc_u64 s[4:5], s[0:1], s[4:5]
	s_wait_kmcnt 0x0
	s_and_b32 s1, s10, 0xffff
	s_mov_b32 s6, 0
	s_wait_alu 0xfffe
	s_lshl_b32 s7, s1, 2
.LBB15_34:                              ; =>This Inner Loop Header: Depth=1
	v_add_co_u32 v3, vcc_lo, s4, v1
	s_wait_alu 0xfffd
	v_add_co_ci_u32_e64 v4, null, s5, v2, vcc_lo
	v_add_nc_u32_e32 v0, s1, v0
	global_load_b32 v5, v[3:4], off
	v_add_co_u32 v3, vcc_lo, s2, v1
	s_wait_alu 0xfffd
	v_add_co_ci_u32_e64 v4, null, s3, v2, vcc_lo
	v_cmp_lt_u32_e32 vcc_lo, 0xbf, v0
	v_add_co_u32 v1, s0, v1, s7
	s_wait_alu 0xf1ff
	v_add_co_ci_u32_e64 v2, null, 0, v2, s0
	s_or_b32 s6, vcc_lo, s6
	s_wait_loadcnt 0x0
	global_store_b32 v[3:4], v5, off
	s_wait_alu 0xfffe
	s_and_not1_b32 exec_lo, exec_lo, s6
	s_cbranch_execnz .LBB15_34
.LBB15_35:
	s_endpgm
	.section	.rodata,"a",@progbits
	.p2align	6, 0x0
	.amdhsa_kernel _ZN4vllm32paged_attention_v2_reduce_kernelIfLi192ELi128ELi512EEEvPT_PKfS4_PKS1_PKii
		.amdhsa_group_segment_fixed_size 32
		.amdhsa_private_segment_fixed_size 0
		.amdhsa_kernarg_size 304
		.amdhsa_user_sgpr_count 2
		.amdhsa_user_sgpr_dispatch_ptr 0
		.amdhsa_user_sgpr_queue_ptr 0
		.amdhsa_user_sgpr_kernarg_segment_ptr 1
		.amdhsa_user_sgpr_dispatch_id 0
		.amdhsa_user_sgpr_private_segment_size 0
		.amdhsa_wavefront_size32 1
		.amdhsa_uses_dynamic_stack 0
		.amdhsa_enable_private_segment 0
		.amdhsa_system_sgpr_workgroup_id_x 1
		.amdhsa_system_sgpr_workgroup_id_y 1
		.amdhsa_system_sgpr_workgroup_id_z 0
		.amdhsa_system_sgpr_workgroup_info 0
		.amdhsa_system_vgpr_workitem_id 0
		.amdhsa_next_free_vgpr 19
		.amdhsa_next_free_sgpr 26
		.amdhsa_reserve_vcc 1
		.amdhsa_float_round_mode_32 0
		.amdhsa_float_round_mode_16_64 0
		.amdhsa_float_denorm_mode_32 3
		.amdhsa_float_denorm_mode_16_64 3
		.amdhsa_fp16_overflow 0
		.amdhsa_workgroup_processor_mode 1
		.amdhsa_memory_ordered 1
		.amdhsa_forward_progress 1
		.amdhsa_inst_pref_size 19
		.amdhsa_round_robin_scheduling 0
		.amdhsa_exception_fp_ieee_invalid_op 0
		.amdhsa_exception_fp_denorm_src 0
		.amdhsa_exception_fp_ieee_div_zero 0
		.amdhsa_exception_fp_ieee_overflow 0
		.amdhsa_exception_fp_ieee_underflow 0
		.amdhsa_exception_fp_ieee_inexact 0
		.amdhsa_exception_int_div_zero 0
	.end_amdhsa_kernel
	.section	.text._ZN4vllm32paged_attention_v2_reduce_kernelIfLi192ELi128ELi512EEEvPT_PKfS4_PKS1_PKii,"axG",@progbits,_ZN4vllm32paged_attention_v2_reduce_kernelIfLi192ELi128ELi512EEEvPT_PKfS4_PKS1_PKii,comdat
.Lfunc_end15:
	.size	_ZN4vllm32paged_attention_v2_reduce_kernelIfLi192ELi128ELi512EEEvPT_PKfS4_PKS1_PKii, .Lfunc_end15-_ZN4vllm32paged_attention_v2_reduce_kernelIfLi192ELi128ELi512EEEvPT_PKfS4_PKS1_PKii
                                        ; -- End function
	.set _ZN4vllm32paged_attention_v2_reduce_kernelIfLi192ELi128ELi512EEEvPT_PKfS4_PKS1_PKii.num_vgpr, 19
	.set _ZN4vllm32paged_attention_v2_reduce_kernelIfLi192ELi128ELi512EEEvPT_PKfS4_PKS1_PKii.num_agpr, 0
	.set _ZN4vllm32paged_attention_v2_reduce_kernelIfLi192ELi128ELi512EEEvPT_PKfS4_PKS1_PKii.numbered_sgpr, 26
	.set _ZN4vllm32paged_attention_v2_reduce_kernelIfLi192ELi128ELi512EEEvPT_PKfS4_PKS1_PKii.num_named_barrier, 0
	.set _ZN4vllm32paged_attention_v2_reduce_kernelIfLi192ELi128ELi512EEEvPT_PKfS4_PKS1_PKii.private_seg_size, 0
	.set _ZN4vllm32paged_attention_v2_reduce_kernelIfLi192ELi128ELi512EEEvPT_PKfS4_PKS1_PKii.uses_vcc, 1
	.set _ZN4vllm32paged_attention_v2_reduce_kernelIfLi192ELi128ELi512EEEvPT_PKfS4_PKS1_PKii.uses_flat_scratch, 0
	.set _ZN4vllm32paged_attention_v2_reduce_kernelIfLi192ELi128ELi512EEEvPT_PKfS4_PKS1_PKii.has_dyn_sized_stack, 0
	.set _ZN4vllm32paged_attention_v2_reduce_kernelIfLi192ELi128ELi512EEEvPT_PKfS4_PKS1_PKii.has_recursion, 0
	.set _ZN4vllm32paged_attention_v2_reduce_kernelIfLi192ELi128ELi512EEEvPT_PKfS4_PKS1_PKii.has_indirect_call, 0
	.section	.AMDGPU.csdata,"",@progbits
; Kernel info:
; codeLenInByte = 2388
; TotalNumSgprs: 28
; NumVgprs: 19
; ScratchSize: 0
; MemoryBound: 0
; FloatMode: 240
; IeeeMode: 1
; LDSByteSize: 32 bytes/workgroup (compile time only)
; SGPRBlocks: 0
; VGPRBlocks: 2
; NumSGPRsForWavesPerEU: 28
; NumVGPRsForWavesPerEU: 19
; Occupancy: 16
; WaveLimiterHint : 0
; COMPUTE_PGM_RSRC2:SCRATCH_EN: 0
; COMPUTE_PGM_RSRC2:USER_SGPR: 2
; COMPUTE_PGM_RSRC2:TRAP_HANDLER: 0
; COMPUTE_PGM_RSRC2:TGID_X_EN: 1
; COMPUTE_PGM_RSRC2:TGID_Y_EN: 1
; COMPUTE_PGM_RSRC2:TGID_Z_EN: 0
; COMPUTE_PGM_RSRC2:TIDIG_COMP_CNT: 0
	.section	.text._ZN4vllm25paged_attention_v2_kernelIffLi256ELi8ELi128ELNS_18Fp8KVCacheDataTypeE0ELb1ELi512EEEvPfS2_PT_PKS3_PKT0_S9_ifPKiSB_iPKfiiiSD_SD_iiiii,"axG",@progbits,_ZN4vllm25paged_attention_v2_kernelIffLi256ELi8ELi128ELNS_18Fp8KVCacheDataTypeE0ELb1ELi512EEEvPfS2_PT_PKS3_PKT0_S9_ifPKiSB_iPKfiiiSD_SD_iiiii,comdat
	.protected	_ZN4vllm25paged_attention_v2_kernelIffLi256ELi8ELi128ELNS_18Fp8KVCacheDataTypeE0ELb1ELi512EEEvPfS2_PT_PKS3_PKT0_S9_ifPKiSB_iPKfiiiSD_SD_iiiii ; -- Begin function _ZN4vllm25paged_attention_v2_kernelIffLi256ELi8ELi128ELNS_18Fp8KVCacheDataTypeE0ELb1ELi512EEEvPfS2_PT_PKS3_PKT0_S9_ifPKiSB_iPKfiiiSD_SD_iiiii
	.globl	_ZN4vllm25paged_attention_v2_kernelIffLi256ELi8ELi128ELNS_18Fp8KVCacheDataTypeE0ELb1ELi512EEEvPfS2_PT_PKS3_PKT0_S9_ifPKiSB_iPKfiiiSD_SD_iiiii
	.p2align	8
	.type	_ZN4vllm25paged_attention_v2_kernelIffLi256ELi8ELi128ELNS_18Fp8KVCacheDataTypeE0ELb1ELi512EEEvPfS2_PT_PKS3_PKT0_S9_ifPKiSB_iPKfiiiSD_SD_iiiii,@function
_ZN4vllm25paged_attention_v2_kernelIffLi256ELi8ELi128ELNS_18Fp8KVCacheDataTypeE0ELb1ELi512EEEvPfS2_PT_PKS3_PKT0_S9_ifPKiSB_iPKfiiiSD_SD_iiiii: ; @_ZN4vllm25paged_attention_v2_kernelIffLi256ELi8ELi128ELNS_18Fp8KVCacheDataTypeE0ELb1ELi512EEEvPfS2_PT_PKS3_PKT0_S9_ifPKiSB_iPKfiiiSD_SD_iiiii
; %bb.0:
	s_load_b64 s[2:3], s[0:1], 0x40
	s_and_b32 s20, ttmp7, 0xffff
	s_lshr_b32 s30, ttmp7, 16
	s_lshl_b32 s4, s20, 2
	s_lshl_b32 s34, s30, 9
	s_wait_kmcnt 0x0
	s_load_b32 s33, s[2:3], s4 offset:0x0
	s_wait_kmcnt 0x0
	s_cmp_ge_i32 s34, s33
	s_cbranch_scc1 .LBB16_121
; %bb.1:
	s_clause 0x1
	s_load_b32 s21, s[0:1], 0x90
	s_load_b64 s[6:7], s[0:1], 0x30
	s_wait_kmcnt 0x0
	s_abs_i32 s5, s21
	s_abs_i32 s2, s6
	s_delay_alu instid0(SALU_CYCLE_1) | instskip(SKIP_1) | instid1(SALU_CYCLE_2)
	s_cvt_f32_u32 s3, s2
	s_sub_co_i32 s4, 0, s2
	v_rcp_iflag_f32_e32 v1, s3
	s_delay_alu instid0(TRANS32_DEP_1) | instskip(SKIP_2) | instid1(SALU_CYCLE_2)
	v_readfirstlane_b32 s3, v1
	s_mul_f32 s3, s3, 0x4f7ffffe
	s_wait_alu 0xfffe
	s_cvt_u32_f32 s3, s3
	s_wait_alu 0xfffe
	s_delay_alu instid0(SALU_CYCLE_2) | instskip(NEXT) | instid1(SALU_CYCLE_1)
	s_mul_i32 s4, s4, s3
	s_mul_hi_u32 s4, s3, s4
	s_delay_alu instid0(SALU_CYCLE_1)
	s_add_co_i32 s3, s3, s4
	s_xor_b32 s4, s21, s6
	s_wait_alu 0xfffe
	s_mul_hi_u32 s3, s5, s3
	s_ashr_i32 s4, s4, 31
	s_wait_alu 0xfffe
	s_mul_i32 s8, s3, s2
	s_delay_alu instid0(SALU_CYCLE_1)
	s_sub_co_i32 s5, s5, s8
	s_add_co_i32 s8, s3, 1
	s_sub_co_i32 s9, s5, s2
	s_cmp_ge_u32 s5, s2
	s_cselect_b32 s3, s8, s3
	s_cselect_b32 s5, s9, s5
	s_wait_alu 0xfffe
	s_add_co_i32 s8, s3, 1
	s_cmp_ge_u32 s5, s2
	s_cselect_b32 s2, s8, s3
	s_load_b64 s[8:9], s[0:1], 0x50
	s_xor_b32 s2, s2, s4
	s_mov_b32 s3, 0
	s_wait_alu 0xfffe
	s_sub_co_i32 s10, s2, s4
	s_mov_b32 s15, s3
	s_abs_i32 s18, s10
	s_delay_alu instid0(SALU_CYCLE_1) | instskip(SKIP_1) | instid1(SALU_CYCLE_2)
	s_cvt_f32_u32 s2, s18
	s_wait_alu 0xfffe
	v_rcp_iflag_f32_e32 v1, s2
	s_delay_alu instid0(TRANS32_DEP_1) | instskip(SKIP_2) | instid1(SALU_CYCLE_2)
	v_readfirstlane_b32 s2, v1
	s_mul_f32 s2, s2, 0x4f7ffffe
	s_wait_alu 0xfffe
	s_cvt_u32_f32 s4, s2
	s_sub_co_i32 s2, 0, s18
	s_wait_alu 0xfffe
	s_delay_alu instid0(SALU_CYCLE_1)
	s_mul_i32 s2, s2, s4
	s_wait_alu 0xfffe
	s_mul_hi_u32 s5, s4, s2
	s_abs_i32 s2, ttmp9
	s_add_co_i32 s4, s4, s5
	s_mov_b32 s5, s3
	s_wait_kmcnt 0x0
	s_cmp_eq_u64 s[8:9], 0
	s_cbranch_scc1 .LBB16_3
; %bb.2:
	s_mov_b32 s12, ttmp9
	s_ashr_i32 s13, ttmp9, 31
	s_delay_alu instid0(SALU_CYCLE_1) | instskip(NEXT) | instid1(SALU_CYCLE_1)
	s_lshl_b64 s[12:13], s[12:13], 2
	s_add_nc_u64 s[8:9], s[8:9], s[12:13]
	s_load_b32 s15, s[8:9], 0x0
.LBB16_3:
	s_clause 0x1
	s_load_b32 s31, s[0:1], 0x98
	s_load_b96 s[12:14], s[0:1], 0x58
	v_and_b32_e32 v1, 3, v0
	v_lshlrev_b32_e32 v3, 2, v0
	s_mul_u64 s[4:5], s[2:3], s[4:5]
	s_ashr_i32 s3, ttmp9, 31
	s_ashr_i32 s4, s10, 31
	s_lshl_b32 s16, ttmp9, 8
	s_mov_b32 s10, exec_lo
	v_cmpx_gt_u32_e32 0x100, v0
	s_cbranch_execz .LBB16_6
; %bb.4:
	s_load_b64 s[8:9], s[0:1], 0x18
	s_wait_kmcnt 0x0
	s_mul_i32 s22, s12, s20
	s_ashr_i32 s17, s16, 31
	s_ashr_i32 s23, s22, 31
	v_and_b32_e32 v2, 0x3fc, v0
	s_lshl_b64 s[22:23], s[22:23], 2
	v_cmp_gt_u32_e32 vcc_lo, 0x80, v0
	s_delay_alu instid0(VALU_DEP_2) | instskip(SKIP_2) | instid1(SALU_CYCLE_1)
	v_lshl_add_u32 v2, v1, 8, v2
	s_add_nc_u64 s[8:9], s[8:9], s[22:23]
	s_lshl_b64 s[22:23], s[16:17], 2
	s_add_nc_u64 s[8:9], s[8:9], s[22:23]
	global_load_b32 v4, v3, s[8:9]
	s_wait_loadcnt 0x0
	ds_store_b32 v2, v4
	s_and_b32 exec_lo, exec_lo, vcc_lo
	s_cbranch_execz .LBB16_6
; %bb.5:
	v_lshrrev_b32_e32 v4, 2, v0
	v_lshlrev_b32_e32 v5, 2, v1
	s_delay_alu instid0(VALU_DEP_2) | instskip(NEXT) | instid1(VALU_DEP_1)
	v_lshlrev_b32_e32 v4, 4, v4
	v_or3_b32 v4, v4, v5, 0x200
	global_load_b32 v4, v4, s[8:9]
	s_wait_loadcnt 0x0
	ds_store_b32 v2, v4 offset:128
.LBB16_6:
	s_or_b32 exec_lo, exec_lo, s10
	s_clause 0x1
	s_load_b128 s[8:11], s[0:1], 0x78
	s_load_b32 s22, s[0:1], 0x88
	s_wait_kmcnt 0x0
	s_mul_i32 s12, s5, s18
	s_xor_b32 s3, s3, s4
	s_sub_co_i32 s2, s2, s12
	s_add_co_i32 s4, s5, 1
	s_wait_alu 0xfffe
	s_sub_co_i32 s12, s2, s18
	s_cmp_ge_u32 s2, s18
	s_mov_b32 s24, -1
	s_cselect_b32 s4, s4, s5
	s_cselect_b32 s2, s12, s2
	s_add_co_i32 s5, s4, 1
	s_wait_alu 0xfffe
	s_cmp_ge_u32 s2, s18
	s_wait_dscnt 0x0
	s_cselect_b32 s2, s5, s4
	s_add_co_i32 s23, s33, -1
	s_wait_alu 0xfffe
	s_xor_b32 s2, s2, s3
	s_barrier_signal -1
	s_wait_alu 0xfffe
	s_sub_co_i32 s26, s2, s3
	s_barrier_wait -1
	s_abs_i32 s12, s11
	global_inv scope:SCOPE_SE
	s_cvt_f32_u32 s4, s12
                                        ; implicit-def: $sgpr17
	s_delay_alu instid0(SALU_CYCLE_3) | instskip(NEXT) | instid1(TRANS32_DEP_1)
	v_rcp_iflag_f32_e32 v2, s4
	v_readfirstlane_b32 s4, v2
	s_mul_f32 s2, s4, 0x4f7ffffe
	s_wait_alu 0xfffe
	s_delay_alu instid0(SALU_CYCLE_2) | instskip(SKIP_2) | instid1(SALU_CYCLE_1)
	s_cvt_u32_f32 s4, s2
	s_sub_co_i32 s2, 0, s12
	s_wait_alu 0xfffe
	s_mul_i32 s3, s2, s4
	s_abs_i32 s2, s23
	s_wait_alu 0xfffe
	s_mul_hi_u32 s5, s4, s3
	s_mov_b32 s3, 0
	s_wait_alu 0xfffe
	s_add_co_i32 s18, s4, s5
	s_cmp_lt_i32 s22, 0
	s_mov_b32 s19, s3
	s_cbranch_scc0 .LBB16_8
; %bb.7:
	s_mul_i32 s4, s8, s6
	s_mov_b32 s24, s3
	s_wait_alu 0xfffe
	s_add_co_i32 s4, s26, s4
	s_wait_alu 0xfffe
	s_mul_i32 s4, s4, s22
	s_wait_alu 0xfffe
	s_sub_co_i32 s17, 1, s4
.LBB16_8:
	s_mul_u64 s[4:5], s[2:3], s[18:19]
	s_ashr_i32 s3, s23, 31
	s_and_not1_b32 vcc_lo, exec_lo, s24
	s_ashr_i32 s11, s11, 31
	s_cbranch_vccnz .LBB16_10
; %bb.9:
	s_mul_i32 s4, s21, s8
	s_wait_alu 0xfffe
	s_add_co_i32 s4, s4, ttmp9
	s_wait_alu 0xfffe
	s_mul_i32 s4, s4, s22
	s_wait_alu 0xfffe
	s_add_co_i32 s17, s4, 1
.LBB16_10:
	s_clause 0x1
	s_load_b32 s4, s[0:1], 0x48
	s_load_b64 s[22:23], s[0:1], 0x38
	s_mul_i32 s6, s5, s12
	s_xor_b32 s3, s3, s11
	s_sub_co_i32 s2, s2, s6
	s_add_co_i32 s8, s5, 1
	v_lshrrev_b32_e32 v71, 5, v0
	v_mbcnt_lo_u32_b32 v5, -1, 0
	s_mul_i32 s26, s26, s14
	s_delay_alu instid0(VALU_DEP_2)
	v_lshl_add_u32 v72, v71, 3, s34
	s_wait_kmcnt 0x0
	s_mul_i32 s24, s4, s20
	s_wait_alu 0xfffe
	s_sub_co_i32 s4, s2, s12
	s_ashr_i32 s25, s24, 31
	s_cmp_ge_u32 s2, s12
	s_cselect_b32 s5, s8, s5
	s_wait_alu 0xfffe
	s_cselect_b32 s2, s4, s2
	s_add_co_i32 s4, s5, 1
	s_wait_alu 0xfffe
	s_cmp_ge_u32 s2, s12
	s_cselect_b32 s2, s4, s5
	s_add_co_i32 s4, s33, 7
	s_lshl_b32 s36, s30, 6
	s_wait_alu 0xfffe
	s_ashr_i32 s5, s4, 31
	v_or_b32_e32 v73, s36, v71
	s_wait_alu 0xfffe
	s_lshr_b32 s5, s5, 29
	v_mov_b32_e32 v7, 0xff7fffff
	s_wait_alu 0xfffe
	s_add_co_i32 s4, s4, s5
	s_add_co_i32 s5, s36, 64
	s_wait_alu 0xfffe
	s_ashr_i32 s19, s4, 3
	s_xor_b32 s4, s2, s3
	s_min_i32 s8, s5, s19
	v_lshlrev_b32_e32 v4, 2, v73
	v_cmp_gt_i32_e64 s2, s8, v73
	s_wait_alu 0xfffe
	s_sub_co_i32 s35, s4, s3
	s_and_saveexec_b32 s6, s2
	s_cbranch_execz .LBB16_22
; %bb.11:
	s_ashr_i32 s27, s26, 31
	s_wait_alu 0xfffe
	s_sub_co_i32 s14, s35, s9
	s_lshl_b64 s[4:5], s[26:27], 2
	s_cmp_neq_f32 s15, 0
	s_load_b64 s[38:39], s[0:1], 0x20
	v_bfe_u32 v6, v0, 2, 3
	v_dual_mov_b32 v14, 0xff7fffff :: v_dual_lshlrev_b32 v7, 2, v1
	s_cselect_b32 vcc_lo, -1, 0
	s_abs_i32 s27, s10
	v_lshlrev_b32_e32 v8, 8, v1
	s_cvt_f32_u32 s3, s27
	v_lshlrev_b32_e32 v9, 4, v6
	s_lshl_b64 s[40:41], s[24:25], 2
	v_subrev_nc_u32_e32 v12, s33, v6
	s_wait_alu 0xfffe
	v_rcp_iflag_f32_e32 v2, s3
	v_cmp_eq_u32_e64 s3, 0, v1
	v_lshlrev_b32_e32 v1, 2, v6
	s_add_nc_u64 s[40:41], s[22:23], s[40:41]
	s_sub_co_i32 s37, 0, s27
	v_lshl_add_u32 v11, v71, 3, s34
	v_dual_mov_b32 v17, v73 :: v_dual_add_nc_u32 v12, 1, v12
	v_lshl_or_b32 v13, v71, 5, v1
	s_wait_kmcnt 0x0
	s_add_nc_u64 s[4:5], s[38:39], s[4:5]
	v_readfirstlane_b32 s29, v2
	s_wait_alu 0xfffe
	v_add_co_u32 v1, s4, s4, v9
	s_wait_alu 0xf1ff
	v_add_co_ci_u32_e64 v2, null, s5, 0, s4
	s_mul_f32 s29, s29, 0x4f7ffffe
	v_add_co_u32 v9, s4, v1, v7
	s_wait_alu 0xf1ff
	v_add_co_ci_u32_e64 v10, null, 0, v2, s4
	s_cvt_u32_f32 s5, s29
	v_add_co_u32 v1, s4, s40, v4
	s_wait_alu 0xf1ff
	v_add_co_ci_u32_e64 v2, null, s41, 0, s4
	s_wait_alu 0xfffe
	s_mul_i32 s37, s37, s5
	v_add_nc_u32_e32 v13, 0x420, v13
	v_xor_b32_e32 v15, 2, v5
	v_xor_b32_e32 v16, 1, v5
	v_mov_b32_e32 v7, 0xff7fffff
	s_wait_alu 0xfffe
	s_mul_hi_u32 s4, s5, s37
	s_mov_b32 s28, 0
	s_mov_b32 s29, s13
	s_wait_alu 0xfffe
	s_add_co_i32 s37, s5, s4
	s_branch .LBB16_14
.LBB16_12:                              ;   in Loop: Header=BB16_14 Depth=1
	s_or_b32 exec_lo, exec_lo, s38
.LBB16_13:                              ;   in Loop: Header=BB16_14 Depth=1
	s_wait_alu 0xfffe
	s_or_b32 exec_lo, exec_lo, s5
	v_add_nc_u32_e32 v17, 4, v17
	v_add_co_u32 v1, s5, v1, 16
	s_wait_alu 0xf1ff
	v_add_co_ci_u32_e64 v2, null, 0, v2, s5
	s_delay_alu instid0(VALU_DEP_3)
	v_cmp_le_i32_e64 s4, s8, v17
	v_add_nc_u32_e32 v11, 32, v11
	v_add_nc_u32_e32 v13, 0x80, v13
	s_or_b32 s28, s4, s28
	s_wait_alu 0xfffe
	s_and_not1_b32 exec_lo, exec_lo, s28
	s_cbranch_execz .LBB16_21
.LBB16_14:                              ; =>This Inner Loop Header: Depth=1
	v_sub_nc_u32_e32 v18, 0, v11
	s_delay_alu instid0(VALU_DEP_1) | instskip(SKIP_1) | instid1(VALU_DEP_1)
	v_max_i32_e32 v18, v11, v18
	s_wait_dscnt 0x0
	v_mul_hi_u32 v19, v18, s18
	s_delay_alu instid0(VALU_DEP_1) | instskip(NEXT) | instid1(VALU_DEP_1)
	v_mul_lo_u32 v20, v19, s12
	v_sub_nc_u32_e32 v18, v18, v20
	v_add_nc_u32_e32 v20, 1, v19
	s_delay_alu instid0(VALU_DEP_2) | instskip(SKIP_2) | instid1(VALU_DEP_1)
	v_subrev_nc_u32_e32 v21, s12, v18
	v_cmp_le_u32_e64 s4, s12, v18
	s_wait_alu 0xf1ff
	v_cndmask_b32_e64 v19, v19, v20, s4
	s_delay_alu instid0(VALU_DEP_3) | instskip(SKIP_1) | instid1(VALU_DEP_3)
	v_cndmask_b32_e64 v18, v18, v21, s4
	v_ashrrev_i32_e32 v20, 31, v11
	v_add_nc_u32_e32 v21, 1, v19
	s_delay_alu instid0(VALU_DEP_3) | instskip(NEXT) | instid1(VALU_DEP_3)
	v_cmp_le_u32_e64 s4, s12, v18
	v_xor_b32_e32 v20, s11, v20
	s_wait_alu 0xf1ff
	s_delay_alu instid0(VALU_DEP_2) | instskip(NEXT) | instid1(VALU_DEP_1)
	v_cndmask_b32_e64 v18, v19, v21, s4
	v_xor_b32_e32 v18, v18, v20
	s_delay_alu instid0(VALU_DEP_1) | instskip(NEXT) | instid1(VALU_DEP_1)
	v_sub_nc_u32_e32 v18, v18, v20
	v_add_nc_u32_e32 v19, s17, v18
	v_cmp_ge_i32_e64 s5, s14, v18
	s_delay_alu instid0(VALU_DEP_2) | instskip(NEXT) | instid1(VALU_DEP_1)
	v_sub_nc_u32_e32 v20, 0, v19
	v_max_i32_e32 v20, v19, v20
	v_ashrrev_i32_e32 v19, 31, v19
	s_wait_alu 0xfffe
	s_delay_alu instid0(VALU_DEP_2) | instskip(NEXT) | instid1(VALU_DEP_1)
	v_mul_hi_u32 v21, v20, s37
	v_mul_lo_u32 v21, v21, s27
	s_delay_alu instid0(VALU_DEP_1) | instskip(NEXT) | instid1(VALU_DEP_1)
	v_sub_nc_u32_e32 v20, v20, v21
	v_subrev_nc_u32_e32 v21, s27, v20
	v_cmp_le_u32_e64 s4, s27, v20
	s_wait_alu 0xf1ff
	s_delay_alu instid0(VALU_DEP_1) | instskip(NEXT) | instid1(VALU_DEP_1)
	v_cndmask_b32_e64 v20, v20, v21, s4
	v_subrev_nc_u32_e32 v21, s27, v20
	v_cmp_le_u32_e64 s4, s27, v20
	s_wait_alu 0xf1ff
	s_delay_alu instid0(VALU_DEP_1) | instskip(NEXT) | instid1(VALU_DEP_1)
	v_cndmask_b32_e64 v20, v20, v21, s4
	v_xor_b32_e32 v20, v20, v19
	s_delay_alu instid0(VALU_DEP_1) | instskip(NEXT) | instid1(VALU_DEP_1)
	v_sub_nc_u32_e32 v19, v20, v19
	v_cmp_ne_u32_e64 s4, 0, v19
	s_and_b32 s4, s4, s5
	s_wait_alu 0xfffe
	s_and_saveexec_b32 s5, s4
	s_wait_alu 0xfffe
	s_xor_b32 s4, exec_lo, s5
	s_cbranch_execz .LBB16_18
; %bb.15:                               ;   in Loop: Header=BB16_14 Depth=1
	s_and_saveexec_b32 s5, s3
; %bb.16:                               ;   in Loop: Header=BB16_14 Depth=1
	ds_store_b32 v13, v14
; %bb.17:                               ;   in Loop: Header=BB16_14 Depth=1
	s_wait_alu 0xfffe
	s_or_b32 exec_lo, exec_lo, s5
.LBB16_18:                              ;   in Loop: Header=BB16_14 Depth=1
	s_wait_alu 0xfffe
	s_and_not1_saveexec_b32 s5, s4
	s_cbranch_execz .LBB16_13
; %bb.19:                               ;   in Loop: Header=BB16_14 Depth=1
	global_load_b32 v18, v[1:2], off
	s_wait_loadcnt 0x0
	v_mad_co_i64_i32 v[18:19], null, v18, s29, 0
	s_delay_alu instid0(VALU_DEP_1) | instskip(NEXT) | instid1(VALU_DEP_1)
	v_lshlrev_b64_e32 v[18:19], 2, v[18:19]
	v_add_co_u32 v22, s4, v9, v18
	s_wait_alu 0xf1ff
	s_delay_alu instid0(VALU_DEP_2)
	v_add_co_ci_u32_e64 v23, null, v10, v19, s4
	v_cmp_gt_i32_e64 s4, 32, v15
	s_clause 0x1f
	global_load_b32 v26, v[22:23], off offset:128
	global_load_b32 v27, v[22:23], off
	global_load_b32 v28, v[22:23], off offset:256
	global_load_b32 v29, v[22:23], off offset:384
	;; [unrolled: 1-line block ×30, first 2 shown]
	s_clause 0x1b
	global_load_b32 v58, v[22:23], off offset:4096
	global_load_b32 v59, v[22:23], off offset:4224
	;; [unrolled: 1-line block ×28, first 2 shown]
	ds_load_b128 v[18:21], v8
	s_clause 0x3
	global_load_b32 v89, v[22:23], off offset:7680
	global_load_b32 v90, v[22:23], off offset:7808
	;; [unrolled: 1-line block ×4, first 2 shown]
	ds_load_b128 v[22:25], v8 offset:16
	s_wait_loadcnt_dscnt 0x3e01
	v_mul_f32_e32 v26, v19, v26
	s_delay_alu instid0(VALU_DEP_1) | instskip(SKIP_1) | instid1(VALU_DEP_1)
	v_fmac_f32_e32 v26, v18, v27
	s_wait_loadcnt 0x3d
	v_fmac_f32_e32 v26, v20, v28
	s_wait_loadcnt 0x3c
	s_delay_alu instid0(VALU_DEP_1) | instskip(SKIP_4) | instid1(VALU_DEP_1)
	v_fmac_f32_e32 v26, v21, v29
	ds_load_b128 v[18:21], v8 offset:32
	s_wait_loadcnt_dscnt 0x3b01
	v_fmac_f32_e32 v26, v22, v30
	s_wait_loadcnt 0x3a
	v_fmac_f32_e32 v26, v23, v31
	s_wait_loadcnt 0x39
	s_delay_alu instid0(VALU_DEP_1) | instskip(SKIP_1) | instid1(VALU_DEP_1)
	v_fmac_f32_e32 v26, v24, v32
	s_wait_loadcnt 0x38
	v_fmac_f32_e32 v26, v25, v33
	ds_load_b128 v[22:25], v8 offset:48
	s_wait_loadcnt_dscnt 0x3701
	v_fmac_f32_e32 v26, v18, v34
	s_wait_loadcnt 0x36
	s_delay_alu instid0(VALU_DEP_1) | instskip(SKIP_1) | instid1(VALU_DEP_1)
	v_fmac_f32_e32 v26, v19, v35
	s_wait_loadcnt 0x35
	v_fmac_f32_e32 v26, v20, v36
	s_wait_loadcnt 0x34
	s_delay_alu instid0(VALU_DEP_1) | instskip(SKIP_4) | instid1(VALU_DEP_1)
	v_fmac_f32_e32 v26, v21, v37
	ds_load_b128 v[18:21], v8 offset:64
	s_wait_loadcnt_dscnt 0x3301
	v_fmac_f32_e32 v26, v22, v38
	s_wait_loadcnt 0x32
	v_fmac_f32_e32 v26, v23, v39
	s_wait_loadcnt 0x31
	s_delay_alu instid0(VALU_DEP_1) | instskip(SKIP_1) | instid1(VALU_DEP_1)
	v_fmac_f32_e32 v26, v24, v40
	s_wait_loadcnt 0x30
	v_fmac_f32_e32 v26, v25, v41
	ds_load_b128 v[22:25], v8 offset:80
	s_wait_loadcnt_dscnt 0x2f01
	v_fmac_f32_e32 v26, v18, v42
	s_wait_loadcnt 0x2e
	s_delay_alu instid0(VALU_DEP_1) | instskip(SKIP_1) | instid1(VALU_DEP_1)
	v_fmac_f32_e32 v26, v19, v43
	s_wait_loadcnt 0x2d
	v_fmac_f32_e32 v26, v20, v44
	s_wait_loadcnt 0x2c
	s_delay_alu instid0(VALU_DEP_1) | instskip(SKIP_4) | instid1(VALU_DEP_1)
	v_fmac_f32_e32 v26, v21, v45
	ds_load_b128 v[18:21], v8 offset:96
	s_wait_loadcnt_dscnt 0x2b01
	v_fmac_f32_e32 v26, v22, v46
	s_wait_loadcnt 0x2a
	v_fmac_f32_e32 v26, v23, v47
	s_wait_loadcnt 0x29
	s_delay_alu instid0(VALU_DEP_1) | instskip(SKIP_1) | instid1(VALU_DEP_1)
	v_fmac_f32_e32 v26, v24, v48
	s_wait_loadcnt 0x28
	v_fmac_f32_e32 v26, v25, v49
	ds_load_b128 v[22:25], v8 offset:112
	s_wait_loadcnt_dscnt 0x2701
	v_fmac_f32_e32 v26, v18, v50
	s_wait_loadcnt 0x26
	s_delay_alu instid0(VALU_DEP_1) | instskip(SKIP_1) | instid1(VALU_DEP_1)
	v_fmac_f32_e32 v26, v19, v51
	s_wait_loadcnt 0x25
	v_fmac_f32_e32 v26, v20, v52
	s_wait_loadcnt 0x24
	s_delay_alu instid0(VALU_DEP_1) | instskip(SKIP_4) | instid1(VALU_DEP_1)
	v_fmac_f32_e32 v26, v21, v53
	ds_load_b128 v[18:21], v8 offset:128
	s_wait_loadcnt_dscnt 0x2301
	v_fmac_f32_e32 v26, v22, v54
	s_wait_loadcnt 0x22
	v_fmac_f32_e32 v26, v23, v55
	s_wait_loadcnt 0x21
	s_delay_alu instid0(VALU_DEP_1) | instskip(SKIP_1) | instid1(VALU_DEP_1)
	v_fmac_f32_e32 v26, v24, v56
	s_wait_loadcnt 0x20
	v_fmac_f32_e32 v26, v25, v57
	ds_load_b128 v[22:25], v8 offset:144
	s_wait_loadcnt_dscnt 0x1f01
	v_fmac_f32_e32 v26, v18, v58
	s_wait_loadcnt 0x1e
	s_delay_alu instid0(VALU_DEP_1) | instskip(SKIP_1) | instid1(VALU_DEP_1)
	v_fmac_f32_e32 v26, v19, v59
	s_wait_loadcnt 0x1d
	v_fmac_f32_e32 v26, v20, v60
	s_wait_loadcnt 0x1c
	s_delay_alu instid0(VALU_DEP_1) | instskip(SKIP_4) | instid1(VALU_DEP_1)
	v_fmac_f32_e32 v26, v21, v61
	ds_load_b128 v[18:21], v8 offset:160
	s_wait_loadcnt_dscnt 0x1b01
	v_fmac_f32_e32 v26, v22, v62
	s_wait_loadcnt 0x1a
	v_fmac_f32_e32 v26, v23, v63
	s_wait_loadcnt 0x19
	s_delay_alu instid0(VALU_DEP_1) | instskip(SKIP_1) | instid1(VALU_DEP_1)
	v_fmac_f32_e32 v26, v24, v64
	s_wait_loadcnt 0x18
	v_fmac_f32_e32 v26, v25, v65
	ds_load_b128 v[22:25], v8 offset:176
	s_wait_loadcnt_dscnt 0x1701
	v_fmac_f32_e32 v26, v18, v66
	s_wait_loadcnt 0x16
	s_delay_alu instid0(VALU_DEP_1) | instskip(SKIP_1) | instid1(VALU_DEP_1)
	v_fmac_f32_e32 v26, v19, v67
	s_wait_loadcnt 0x15
	v_fmac_f32_e32 v26, v20, v68
	s_wait_loadcnt 0x14
	s_delay_alu instid0(VALU_DEP_1) | instskip(SKIP_4) | instid1(VALU_DEP_1)
	v_fmac_f32_e32 v26, v21, v69
	ds_load_b128 v[18:21], v8 offset:192
	s_wait_loadcnt_dscnt 0x1301
	v_fmac_f32_e32 v26, v22, v70
	s_wait_loadcnt 0x12
	v_fmac_f32_e32 v26, v23, v74
	s_wait_loadcnt 0x11
	s_delay_alu instid0(VALU_DEP_1) | instskip(SKIP_1) | instid1(VALU_DEP_1)
	v_fmac_f32_e32 v26, v24, v75
	s_wait_loadcnt 0x10
	v_fmac_f32_e32 v26, v25, v76
	ds_load_b128 v[22:25], v8 offset:208
	s_wait_loadcnt_dscnt 0xf01
	v_fmac_f32_e32 v26, v18, v77
	s_wait_loadcnt 0xe
	s_delay_alu instid0(VALU_DEP_1) | instskip(SKIP_1) | instid1(VALU_DEP_1)
	v_fmac_f32_e32 v26, v19, v78
	s_wait_loadcnt 0xd
	v_fmac_f32_e32 v26, v79, v20
	s_wait_loadcnt 0xc
	s_delay_alu instid0(VALU_DEP_1) | instskip(SKIP_4) | instid1(VALU_DEP_1)
	v_fmac_f32_e32 v26, v80, v21
	ds_load_b128 v[18:21], v8 offset:224
	s_wait_loadcnt_dscnt 0xb01
	v_fmac_f32_e32 v26, v81, v22
	s_wait_loadcnt 0xa
	v_fmac_f32_e32 v26, v82, v23
	s_wait_loadcnt 0x9
	s_delay_alu instid0(VALU_DEP_1) | instskip(SKIP_1) | instid1(VALU_DEP_1)
	v_fmac_f32_e32 v26, v83, v24
	s_wait_loadcnt 0x8
	v_fmac_f32_e32 v26, v84, v25
	ds_load_b128 v[22:25], v8 offset:240
	s_wait_loadcnt_dscnt 0x701
	v_fmac_f32_e32 v26, v85, v18
	s_wait_alu 0xf1ff
	v_cndmask_b32_e64 v18, v5, v15, s4
	v_cmp_gt_i32_e64 s4, 32, v16
	s_wait_loadcnt 0x6
	v_fmac_f32_e32 v26, v86, v19
	s_delay_alu instid0(VALU_DEP_3) | instskip(SKIP_3) | instid1(VALU_DEP_1)
	v_lshlrev_b32_e32 v18, 2, v18
	s_wait_alu 0xf1ff
	v_cndmask_b32_e64 v19, v5, v16, s4
	s_wait_loadcnt 0x5
	v_dual_fmac_f32 v26, v87, v20 :: v_dual_lshlrev_b32 v19, 2, v19
	s_wait_loadcnt 0x4
	s_delay_alu instid0(VALU_DEP_1) | instskip(SKIP_1) | instid1(VALU_DEP_1)
	v_fmac_f32_e32 v26, v88, v21
	s_wait_loadcnt_dscnt 0x300
	v_fmac_f32_e32 v26, v89, v22
	s_wait_loadcnt 0x2
	s_delay_alu instid0(VALU_DEP_1) | instskip(SKIP_1) | instid1(VALU_DEP_1)
	v_fmac_f32_e32 v26, v90, v23
	s_wait_loadcnt 0x1
	v_fmac_f32_e32 v26, v91, v24
	s_wait_loadcnt 0x0
	s_delay_alu instid0(VALU_DEP_1)
	v_fmac_f32_e32 v26, v92, v25
	ds_bpermute_b32 v18, v18, v26
	s_wait_dscnt 0x0
	v_add_f32_e32 v18, v26, v18
	ds_bpermute_b32 v19, v19, v18
	s_and_saveexec_b32 s38, s3
	s_cbranch_execz .LBB16_12
; %bb.20:                               ;   in Loop: Header=BB16_14 Depth=1
	s_wait_dscnt 0x0
	v_add_f32_e32 v18, v18, v19
	v_add_nc_u32_e32 v20, v12, v11
	s_delay_alu instid0(VALU_DEP_1) | instskip(NEXT) | instid1(VALU_DEP_1)
	v_cvt_f32_i32_e32 v20, v20
	v_mul_f32_e32 v20, s15, v20
	s_delay_alu instid0(VALU_DEP_1) | instskip(NEXT) | instid1(VALU_DEP_1)
	v_dual_cndmask_b32 v19, 0, v20 :: v_dual_max_num_f32 v20, v7, v7
	v_dual_fmac_f32 v19, s7, v18 :: v_dual_add_nc_u32 v18, v6, v11
	s_delay_alu instid0(VALU_DEP_1) | instskip(NEXT) | instid1(VALU_DEP_2)
	v_max_num_f32_e32 v20, v20, v19
	v_cmp_gt_i32_e64 s4, s33, v18
	s_wait_alu 0xf1ff
	s_delay_alu instid0(VALU_DEP_1) | instskip(NEXT) | instid1(VALU_DEP_3)
	v_cndmask_b32_e64 v18, 0, v19, s4
	v_cndmask_b32_e64 v7, v7, v20, s4
	ds_store_b32 v13, v18
	s_branch .LBB16_12
.LBB16_21:
	s_or_b32 exec_lo, exec_lo, s28
.LBB16_22:
	s_delay_alu instid0(SALU_CYCLE_1)
	s_or_b32 exec_lo, exec_lo, s6
	v_xor_b32_e32 v1, 16, v5
	v_xor_b32_e32 v6, 8, v5
	;; [unrolled: 1-line block ×3, first 2 shown]
	s_clause 0x2
	s_load_b128 s[4:7], s[0:1], 0x0
	s_load_b64 s[14:15], s[0:1], 0x10
	s_load_b64 s[28:29], s[0:1], 0x28
	v_and_b32_e32 v74, 31, v0
	v_cmp_gt_i32_e32 vcc_lo, 32, v1
	s_wait_alu 0xfffd
	v_cndmask_b32_e32 v1, v5, v1, vcc_lo
	v_cmp_gt_i32_e32 vcc_lo, 32, v6
	s_wait_alu 0xfffd
	v_cndmask_b32_e32 v6, v5, v6, vcc_lo
	v_cmp_gt_i32_e32 vcc_lo, 32, v8
	s_delay_alu instid0(VALU_DEP_2)
	v_lshlrev_b32_e32 v6, 2, v6
	v_lshlrev_b32_e32 v2, 2, v1
	s_wait_alu 0xfffd
	v_cndmask_b32_e32 v8, v5, v8, vcc_lo
	v_cmp_eq_u32_e32 vcc_lo, 0, v74
	ds_bpermute_b32 v1, v2, v7
	v_max_num_f32_e32 v7, v7, v7
	v_lshlrev_b32_e32 v9, 2, v8
	s_wait_dscnt 0x0
	v_max_num_f32_e32 v1, v1, v1
	s_delay_alu instid0(VALU_DEP_1) | instskip(SKIP_3) | instid1(VALU_DEP_1)
	v_max_num_f32_e32 v1, v7, v1
	ds_bpermute_b32 v7, v6, v1
	s_wait_dscnt 0x0
	v_max_num_f32_e32 v7, v7, v7
	v_max_num_f32_e32 v1, v1, v7
	v_lshlrev_b32_e32 v7, 2, v71
	ds_bpermute_b32 v8, v9, v1
	s_and_saveexec_b32 s0, vcc_lo
	s_cbranch_execz .LBB16_24
; %bb.23:
	s_wait_dscnt 0x0
	v_dual_max_num_f32 v8, v8, v8 :: v_dual_max_num_f32 v1, v1, v1
	s_delay_alu instid0(VALU_DEP_1)
	v_max_num_f32_e32 v1, v1, v8
	ds_store_b32 v7, v1 offset:1024
.LBB16_24:
	s_or_b32 exec_lo, exec_lo, s0
	v_cmp_gt_u32_e64 s0, 4, v74
	s_wait_dscnt 0x0
	v_dual_mov_b32 v1, 0xff7fffff :: v_dual_lshlrev_b32 v8, 2, v74
	s_wait_loadcnt 0x0
	s_barrier_signal -1
	s_barrier_wait -1
	global_inv scope:SCOPE_SE
	s_and_saveexec_b32 s1, s0
; %bb.25:
	ds_load_b32 v1, v8 offset:1024
; %bb.26:
	s_or_b32 exec_lo, exec_lo, s1
	v_xor_b32_e32 v10, 2, v5
	v_xor_b32_e32 v12, 1, v5
	s_delay_alu instid0(VALU_DEP_2) | instskip(NEXT) | instid1(VALU_DEP_1)
	v_cmp_gt_i32_e64 s1, 32, v10
	v_cndmask_b32_e64 v10, v5, v10, s1
	s_delay_alu instid0(VALU_DEP_3) | instskip(NEXT) | instid1(VALU_DEP_2)
	v_cmp_gt_i32_e64 s1, 32, v12
	v_lshlrev_b32_e32 v10, 2, v10
	s_wait_alu 0xf1ff
	s_delay_alu instid0(VALU_DEP_2)
	v_cndmask_b32_e64 v5, v5, v12, s1
	s_sub_co_i32 s1, s8, s36
	s_wait_alu 0xfffe
	s_lshl_b32 s1, s1, 3
	s_wait_dscnt 0x0
	ds_bpermute_b32 v11, v10, v1
	v_max_num_f32_e32 v1, v1, v1
	v_lshlrev_b32_e32 v75, 2, v5
	s_wait_alu 0xfffe
	s_add_co_i32 s1, s1, s34
	s_wait_alu 0xfffe
	s_min_i32 s1, s1, s33
	s_wait_alu 0xfffe
	s_sub_co_i32 s27, s1, s34
	s_wait_alu 0xfffe
	v_cmp_gt_i32_e64 s1, s27, v0
	s_wait_dscnt 0x0
	v_max_num_f32_e32 v11, v11, v11
	s_delay_alu instid0(VALU_DEP_1) | instskip(SKIP_4) | instid1(VALU_DEP_1)
	v_max_num_f32_e32 v1, v1, v11
	v_mov_b32_e32 v11, 0
	ds_bpermute_b32 v5, v75, v1
	s_wait_dscnt 0x0
	v_max_num_f32_e32 v5, v5, v5
	v_max_num_f32_e32 v1, v1, v5
	v_lshl_add_u32 v5, v0, 2, 0x420
	ds_bpermute_b32 v1, v11, v1
	s_and_saveexec_b32 s34, s1
	s_cbranch_execz .LBB16_30
; %bb.27:
	v_lshl_add_u32 v12, v0, 2, 0x420
	v_mov_b32_e32 v11, 0
	v_mov_b32_e32 v13, v0
	s_mov_b32 s36, 0
.LBB16_28:                              ; =>This Inner Loop Header: Depth=1
	ds_load_b32 v14, v12
	v_add_nc_u32_e32 v13, 0x80, v13
	s_delay_alu instid0(VALU_DEP_1) | instskip(SKIP_4) | instid1(VALU_DEP_1)
	v_cmp_le_i32_e64 s3, s27, v13
	s_wait_alu 0xfffe
	s_or_b32 s36, s3, s36
	s_wait_dscnt 0x0
	v_sub_f32_e32 v14, v14, v1
	v_mul_f32_e32 v14, 0x3fb8aa3b, v14
	s_delay_alu instid0(VALU_DEP_1)
	v_exp_f32_e32 v14, v14
	ds_store_b32 v12, v14
	v_dual_add_f32 v11, v11, v14 :: v_dual_add_nc_u32 v12, 0x200, v12
	s_wait_alu 0xfffe
	s_and_not1_b32 exec_lo, exec_lo, s36
	s_cbranch_execnz .LBB16_28
; %bb.29:
	s_or_b32 exec_lo, exec_lo, s36
.LBB16_30:
	s_wait_alu 0xfffe
	s_or_b32 exec_lo, exec_lo, s34
	ds_bpermute_b32 v2, v2, v11
	s_wait_dscnt 0x0
	v_add_f32_e32 v2, v11, v2
	ds_bpermute_b32 v6, v6, v2
	s_wait_dscnt 0x0
	v_add_f32_e32 v2, v2, v6
	;; [unrolled: 3-line block ×5, first 2 shown]
	s_and_saveexec_b32 s3, vcc_lo
; %bb.31:
	ds_store_b32 v7, v2 offset:1040
; %bb.32:
	s_wait_alu 0xfffe
	s_or_b32 exec_lo, exec_lo, s3
	s_wait_loadcnt_dscnt 0x0
	s_barrier_signal -1
	s_barrier_wait -1
	global_inv scope:SCOPE_SE
	s_and_saveexec_b32 s3, s0
; %bb.33:
	ds_load_b32 v2, v8 offset:1040
; %bb.34:
	s_wait_alu 0xfffe
	s_or_b32 exec_lo, exec_lo, s3
	s_wait_dscnt 0x0
	ds_bpermute_b32 v6, v10, v2
	s_wait_dscnt 0x0
	v_add_f32_e32 v2, v2, v6
	ds_bpermute_b32 v6, v75, v2
	s_wait_dscnt 0x0
	v_add_f32_e32 v2, v2, v6
	v_mov_b32_e32 v6, 0
	ds_bpermute_b32 v2, v6, v2
	s_and_saveexec_b32 s0, s1
	s_cbranch_execz .LBB16_37
; %bb.35:
	s_wait_dscnt 0x0
	v_add_f32_e32 v6, 0x358637bd, v2
	s_mov_b32 s1, 0
	s_delay_alu instid0(VALU_DEP_1) | instskip(SKIP_1) | instid1(VALU_DEP_2)
	v_div_scale_f32 v7, null, v6, v6, 1.0
	v_div_scale_f32 v10, vcc_lo, 1.0, v6, 1.0
	v_rcp_f32_e32 v8, v7
	s_delay_alu instid0(TRANS32_DEP_1) | instskip(NEXT) | instid1(VALU_DEP_1)
	v_fma_f32 v9, -v7, v8, 1.0
	v_fmac_f32_e32 v8, v9, v8
	s_delay_alu instid0(VALU_DEP_1) | instskip(NEXT) | instid1(VALU_DEP_1)
	v_mul_f32_e32 v9, v10, v8
	v_fma_f32 v11, -v7, v9, v10
	s_delay_alu instid0(VALU_DEP_1) | instskip(NEXT) | instid1(VALU_DEP_1)
	v_fmac_f32_e32 v9, v11, v8
	v_fma_f32 v7, -v7, v9, v10
	s_wait_alu 0xfffd
	s_delay_alu instid0(VALU_DEP_1) | instskip(NEXT) | instid1(VALU_DEP_1)
	v_div_fmas_f32 v7, v7, v8, v9
	v_div_fixup_f32 v6, v7, v6, 1.0
	v_mov_b32_e32 v7, v0
.LBB16_36:                              ; =>This Inner Loop Header: Depth=1
	ds_load_b32 v8, v5
	s_wait_dscnt 0x0
	v_dual_mul_f32 v8, v6, v8 :: v_dual_add_nc_u32 v7, 0x80, v7
	s_delay_alu instid0(VALU_DEP_1)
	v_cmp_le_i32_e32 vcc_lo, s27, v7
	ds_store_b32 v5, v8
	v_add_nc_u32_e32 v5, 0x200, v5
	s_wait_alu 0xfffe
	s_or_b32 s1, vcc_lo, s1
	s_wait_alu 0xfffe
	s_and_not1_b32 exec_lo, exec_lo, s1
	s_cbranch_execnz .LBB16_36
.LBB16_37:
	s_wait_alu 0xfffe
	s_or_b32 exec_lo, exec_lo, s0
	s_mul_i32 s0, s31, s20
	s_wait_loadcnt_dscnt 0x0
	s_wait_alu 0xfffe
	s_mul_i32 s20, s0, s21
	s_mov_b32 s0, exec_lo
	s_barrier_signal -1
	s_barrier_wait -1
	global_inv scope:SCOPE_SE
	v_cmpx_eq_u32_e32 0, v0
	s_cbranch_execz .LBB16_39
; %bb.38:
	s_ashr_i32 s21, s20, 31
	s_wait_alu 0xfffe
	s_mul_i32 s36, s31, ttmp9
	s_lshl_b32 s1, s30, 2
	s_lshl_b64 s[38:39], s[20:21], 2
	s_wait_alu 0xfffe
	s_ashr_i32 s37, s36, 31
	v_mov_b32_e32 v5, s1
	s_wait_kmcnt 0x0
	s_add_nc_u64 s[6:7], s[6:7], s[38:39]
	s_wait_alu 0xfffe
	s_lshl_b64 s[36:37], s[36:37], 2
	s_add_nc_u64 s[4:5], s[4:5], s[38:39]
	s_wait_alu 0xfffe
	s_add_nc_u64 s[6:7], s[6:7], s[36:37]
	s_add_nc_u64 s[4:5], s[4:5], s[36:37]
	s_clause 0x1
	global_store_b32 v5, v1, s[6:7]
	global_store_b32 v5, v2, s[4:5]
.LBB16_39:
	s_wait_alu 0xfffe
	s_or_b32 exec_lo, exec_lo, s0
	v_dual_mov_b32 v91, 0 :: v_dual_and_b32 v76, 1, v0
	v_dual_mov_b32 v92, 0 :: v_dual_mov_b32 v89, 0
	v_dual_mov_b32 v90, 0 :: v_dual_mov_b32 v87, 0
	;; [unrolled: 1-line block ×7, first 2 shown]
	v_mov_b32_e32 v78, 0
	s_and_saveexec_b32 s1, s2
	s_cbranch_execz .LBB16_77
; %bb.40:
	s_abs_i32 s2, s10
	v_dual_mov_b32 v77, 0 :: v_dual_lshlrev_b32 v2, 4, v0
	s_wait_alu 0xfffe
	s_cvt_f32_u32 s0, s2
	v_dual_mov_b32 v78, 0 :: v_dual_and_b32 v93, 4, v3
	v_dual_mov_b32 v80, 0 :: v_dual_lshlrev_b32 v3, 4, v76
	s_wait_alu 0xfffe
	v_rcp_iflag_f32_e32 v1, s0
	s_ashr_i32 s27, s26, 31
	s_wait_kmcnt 0x0
	s_lshl_b64 s[6:7], s[24:25], 2
	s_wait_alu 0xfffe
	s_lshl_b64 s[24:25], s[26:27], 2
	s_add_nc_u64 s[6:7], s[22:23], s[6:7]
	s_add_nc_u64 s[22:23], s[28:29], s[24:25]
	s_wait_alu 0xfffe
	v_add_co_u32 v69, s6, s6, v4
	s_sub_co_i32 s3, s35, s9
	s_sub_co_i32 s9, 0, s2
	v_readfirstlane_b32 s0, v1
	v_dual_mov_b32 v82, 0 :: v_dual_and_b32 v1, 0x1f0, v2
	v_lshl_or_b32 v2, v71, 5, v3
	v_add_co_ci_u32_e64 v70, null, s7, 0, s6
	s_mul_f32 s0, s0, 0x4f7ffffe
	v_add_co_u32 v94, s6, s22, v1
	s_wait_alu 0xf1ff
	v_add_co_ci_u32_e64 v95, null, s23, 0, s6
	s_wait_alu 0xfffe
	s_cvt_u32_f32 s0, s0
	v_dual_mov_b32 v79, 0 :: v_dual_add_nc_u32 v96, 0x420, v2
	v_dual_mov_b32 v81, 0 :: v_dual_mov_b32 v84, 0
	s_wait_alu 0xfffe
	s_mul_i32 s9, s9, s0
	v_dual_mov_b32 v83, 0 :: v_dual_mov_b32 v86, 0
	v_dual_mov_b32 v85, 0 :: v_dual_mov_b32 v88, 0
	;; [unrolled: 1-line block ×4, first 2 shown]
	v_mov_b32_e32 v91, 0
	s_wait_alu 0xfffe
	s_mul_hi_u32 s7, s0, s9
	s_mov_b32 s4, s13
	s_add_co_i32 s5, s19, -1
	s_mov_b32 s6, 0
	s_wait_alu 0xfffe
	s_add_co_i32 s7, s0, s7
	s_branch .LBB16_43
.LBB16_41:                              ;   in Loop: Header=BB16_43 Depth=1
	s_wait_alu 0xfffe
	s_or_b32 exec_lo, exec_lo, s0
	s_wait_loadcnt_dscnt 0xb00
	v_mul_f32_e32 v21, v1, v21
	s_wait_loadcnt 0x9
	v_mul_f32_e32 v29, v1, v29
	s_wait_loadcnt 0x3
	v_mul_f32_e32 v57, v1, v57
	v_mul_f32_e32 v45, v1, v45
	;; [unrolled: 1-line block ×3, first 2 shown]
	v_fmac_f32_e32 v21, v2, v22
	v_fmac_f32_e32 v29, v2, v30
	v_mul_f32_e32 v13, v1, v13
	v_mul_f32_e32 v9, v1, v9
	s_wait_loadcnt 0x1
	v_mul_f32_e32 v65, v1, v65
	v_fmac_f32_e32 v21, v3, v23
	v_fmac_f32_e32 v29, v3, v31
	;; [unrolled: 1-line block ×9, first 2 shown]
	v_mul_f32_e32 v61, v1, v61
	s_delay_alu instid0(VALU_DEP_4) | instskip(NEXT) | instid1(VALU_DEP_4)
	v_dual_add_f32 v88, v88, v21 :: v_dual_fmac_f32 v57, v3, v59
	v_add_f32_e32 v86, v86, v29
	v_mul_f32_e32 v49, v1, v49
	v_mul_f32_e32 v41, v1, v41
	v_fmac_f32_e32 v45, v3, v47
	v_fmac_f32_e32 v57, v4, v60
	;; [unrolled: 1-line block ×3, first 2 shown]
	v_mul_f32_e32 v33, v1, v33
	v_mul_f32_e32 v25, v1, v25
	v_fmac_f32_e32 v37, v3, v39
	v_mul_f32_e32 v17, v1, v17
	v_mul_f32_e32 v5, v1, v5
	s_wait_loadcnt 0x0
	v_mul_f32_e32 v1, v1, v53
	v_fmac_f32_e32 v13, v3, v15
	v_fmac_f32_e32 v9, v3, v11
	;; [unrolled: 1-line block ×4, first 2 shown]
	v_dual_add_f32 v80, v80, v57 :: v_dual_fmac_f32 v65, v3, v67
	v_fmac_f32_e32 v33, v2, v34
	v_fmac_f32_e32 v25, v2, v26
	;; [unrolled: 1-line block ×10, first 2 shown]
	v_dual_fmac_f32 v41, v3, v43 :: v_dual_add_f32 v82, v82, v45
	s_delay_alu instid0(VALU_DEP_4) | instskip(SKIP_2) | instid1(VALU_DEP_3)
	v_dual_fmac_f32 v65, v4, v68 :: v_dual_add_f32 v90, v90, v13
	v_fmac_f32_e32 v33, v3, v35
	v_dual_fmac_f32 v25, v3, v27 :: v_dual_add_f32 v84, v84, v37
	v_dual_fmac_f32 v61, v3, v63 :: v_dual_add_f32 v78, v78, v65
	v_fmac_f32_e32 v17, v3, v19
	v_fmac_f32_e32 v5, v3, v7
	v_dual_fmac_f32 v1, v3, v55 :: v_dual_add_f32 v92, v92, v9
	v_fmac_f32_e32 v49, v3, v51
	v_fmac_f32_e32 v61, v4, v64
	;; [unrolled: 1-line block ×9, first 2 shown]
	v_add_f32_e32 v79, v79, v61
	v_add_f32_e32 v81, v81, v49
	;; [unrolled: 1-line block ×8, first 2 shown]
.LBB16_42:                              ;   in Loop: Header=BB16_43 Depth=1
	s_wait_alu 0xfffe
	s_or_b32 exec_lo, exec_lo, s9
	v_add_nc_u32_e32 v73, 4, v73
	v_add_co_u32 v69, s0, v69, 16
	s_wait_alu 0xf1ff
	v_add_co_ci_u32_e64 v70, null, 0, v70, s0
	s_delay_alu instid0(VALU_DEP_3)
	v_cmp_le_i32_e32 vcc_lo, s8, v73
	v_add_nc_u32_e32 v72, 32, v72
	v_add_nc_u32_e32 v96, 0x80, v96
	s_or_b32 s6, vcc_lo, s6
	s_wait_alu 0xfffe
	s_and_not1_b32 exec_lo, exec_lo, s6
	s_cbranch_execz .LBB16_76
.LBB16_43:                              ; =>This Inner Loop Header: Depth=1
	v_sub_nc_u32_e32 v1, 0, v72
	s_delay_alu instid0(VALU_DEP_1) | instskip(NEXT) | instid1(VALU_DEP_1)
	v_max_i32_e32 v1, v72, v1
	v_mul_hi_u32 v2, v1, s18
	s_delay_alu instid0(VALU_DEP_1) | instskip(NEXT) | instid1(VALU_DEP_1)
	v_mul_lo_u32 v3, v2, s12
	v_sub_nc_u32_e32 v1, v1, v3
	v_add_nc_u32_e32 v3, 1, v2
	s_delay_alu instid0(VALU_DEP_2) | instskip(SKIP_2) | instid1(VALU_DEP_2)
	v_subrev_nc_u32_e32 v4, s12, v1
	v_cmp_le_u32_e32 vcc_lo, s12, v1
	s_wait_alu 0xfffd
	v_dual_cndmask_b32 v2, v2, v3 :: v_dual_cndmask_b32 v1, v1, v4
	v_ashrrev_i32_e32 v3, 31, v72
	s_delay_alu instid0(VALU_DEP_2) | instskip(NEXT) | instid1(VALU_DEP_3)
	v_add_nc_u32_e32 v4, 1, v2
	v_cmp_le_u32_e32 vcc_lo, s12, v1
	s_delay_alu instid0(VALU_DEP_3) | instskip(SKIP_1) | instid1(VALU_DEP_3)
	v_xor_b32_e32 v3, s11, v3
	s_wait_alu 0xfffd
	v_cndmask_b32_e32 v1, v2, v4, vcc_lo
	s_delay_alu instid0(VALU_DEP_1) | instskip(NEXT) | instid1(VALU_DEP_1)
	v_xor_b32_e32 v1, v1, v3
	v_sub_nc_u32_e32 v1, v1, v3
	s_delay_alu instid0(VALU_DEP_1) | instskip(SKIP_1) | instid1(VALU_DEP_2)
	v_add_nc_u32_e32 v2, s17, v1
	v_cmp_lt_i32_e64 s0, s3, v1
	v_sub_nc_u32_e32 v3, 0, v2
	s_delay_alu instid0(VALU_DEP_1) | instskip(SKIP_1) | instid1(VALU_DEP_1)
	v_max_i32_e32 v3, v2, v3
	s_wait_alu 0xfffe
	v_mul_hi_u32 v4, v3, s7
	s_delay_alu instid0(VALU_DEP_1) | instskip(NEXT) | instid1(VALU_DEP_1)
	v_mul_lo_u32 v4, v4, s2
	v_sub_nc_u32_e32 v3, v3, v4
	s_delay_alu instid0(VALU_DEP_1) | instskip(SKIP_2) | instid1(VALU_DEP_2)
	v_subrev_nc_u32_e32 v4, s2, v3
	v_cmp_le_u32_e32 vcc_lo, s2, v3
	s_wait_alu 0xfffd
	v_cndmask_b32_e32 v3, v3, v4, vcc_lo
	v_ashrrev_i32_e32 v2, 31, v2
	s_delay_alu instid0(VALU_DEP_2) | instskip(SKIP_2) | instid1(VALU_DEP_2)
	v_subrev_nc_u32_e32 v4, s2, v3
	v_cmp_le_u32_e32 vcc_lo, s2, v3
	s_wait_alu 0xfffd
	v_cndmask_b32_e32 v3, v3, v4, vcc_lo
	s_delay_alu instid0(VALU_DEP_1) | instskip(NEXT) | instid1(VALU_DEP_1)
	v_xor_b32_e32 v3, v3, v2
	v_sub_nc_u32_e32 v2, v3, v2
	s_delay_alu instid0(VALU_DEP_1)
	v_cmp_eq_u32_e32 vcc_lo, 0, v2
	s_or_b32 s0, vcc_lo, s0
	s_wait_alu 0xfffe
	s_and_saveexec_b32 s9, s0
	s_cbranch_execz .LBB16_42
; %bb.44:                               ;   in Loop: Header=BB16_43 Depth=1
	global_load_b32 v1, v[69:70], off
	v_add_nc_u32_e32 v97, v93, v72
	s_delay_alu instid0(VALU_DEP_1) | instskip(SKIP_4) | instid1(VALU_DEP_1)
	v_add_nc_u32_e32 v100, 1, v97
	v_add_nc_u32_e32 v99, 2, v97
	;; [unrolled: 1-line block ×3, first 2 shown]
	s_wait_loadcnt 0x0
	v_mad_co_i64_i32 v[1:2], null, v1, s4, 0
	v_lshlrev_b64_e32 v[1:2], 2, v[1:2]
	s_delay_alu instid0(VALU_DEP_1) | instskip(SKIP_1) | instid1(VALU_DEP_2)
	v_add_co_u32 v53, vcc_lo, v94, v1
	s_wait_alu 0xfffd
	v_add_co_ci_u32_e64 v54, null, v95, v2, vcc_lo
	ds_load_b128 v[1:4], v96
	v_cmp_eq_u32_e32 vcc_lo, s5, v73
	global_load_b128 v[5:8], v[53:54], off
	s_and_saveexec_b32 s10, vcc_lo
	s_cbranch_execnz .LBB16_60
; %bb.45:                               ;   in Loop: Header=BB16_43 Depth=1
	s_wait_alu 0xfffe
	s_or_b32 exec_lo, exec_lo, s10
	global_load_b128 v[9:12], v[53:54], off offset:512
	s_and_saveexec_b32 s10, vcc_lo
	s_cbranch_execnz .LBB16_61
.LBB16_46:                              ;   in Loop: Header=BB16_43 Depth=1
	s_wait_alu 0xfffe
	s_or_b32 exec_lo, exec_lo, s10
	global_load_b128 v[13:16], v[53:54], off offset:1024
	s_and_saveexec_b32 s10, vcc_lo
	s_cbranch_execnz .LBB16_62
.LBB16_47:                              ;   in Loop: Header=BB16_43 Depth=1
	s_wait_alu 0xfffe
	s_or_b32 exec_lo, exec_lo, s10
	global_load_b128 v[17:20], v[53:54], off offset:1536
	s_and_saveexec_b32 s10, vcc_lo
	s_cbranch_execnz .LBB16_63
.LBB16_48:                              ;   in Loop: Header=BB16_43 Depth=1
	s_wait_alu 0xfffe
	s_or_b32 exec_lo, exec_lo, s10
	global_load_b128 v[21:24], v[53:54], off offset:2048
	s_and_saveexec_b32 s10, vcc_lo
	s_cbranch_execnz .LBB16_64
.LBB16_49:                              ;   in Loop: Header=BB16_43 Depth=1
	s_wait_alu 0xfffe
	s_or_b32 exec_lo, exec_lo, s10
	global_load_b128 v[25:28], v[53:54], off offset:2560
	s_and_saveexec_b32 s10, vcc_lo
	s_cbranch_execnz .LBB16_65
.LBB16_50:                              ;   in Loop: Header=BB16_43 Depth=1
	s_wait_alu 0xfffe
	s_or_b32 exec_lo, exec_lo, s10
	global_load_b128 v[29:32], v[53:54], off offset:3072
	s_and_saveexec_b32 s10, vcc_lo
	s_cbranch_execnz .LBB16_66
.LBB16_51:                              ;   in Loop: Header=BB16_43 Depth=1
	s_wait_alu 0xfffe
	s_or_b32 exec_lo, exec_lo, s10
	global_load_b128 v[33:36], v[53:54], off offset:3584
	s_and_saveexec_b32 s10, vcc_lo
	s_cbranch_execnz .LBB16_67
.LBB16_52:                              ;   in Loop: Header=BB16_43 Depth=1
	s_wait_alu 0xfffe
	s_or_b32 exec_lo, exec_lo, s10
	global_load_b128 v[37:40], v[53:54], off offset:4096
	s_and_saveexec_b32 s10, vcc_lo
	s_cbranch_execnz .LBB16_68
.LBB16_53:                              ;   in Loop: Header=BB16_43 Depth=1
	s_wait_alu 0xfffe
	s_or_b32 exec_lo, exec_lo, s10
	global_load_b128 v[41:44], v[53:54], off offset:4608
	s_and_saveexec_b32 s10, vcc_lo
	s_cbranch_execnz .LBB16_69
.LBB16_54:                              ;   in Loop: Header=BB16_43 Depth=1
	s_wait_alu 0xfffe
	s_or_b32 exec_lo, exec_lo, s10
	global_load_b128 v[45:48], v[53:54], off offset:5120
	s_and_saveexec_b32 s10, vcc_lo
	s_cbranch_execnz .LBB16_70
.LBB16_55:                              ;   in Loop: Header=BB16_43 Depth=1
	s_wait_alu 0xfffe
	s_or_b32 exec_lo, exec_lo, s10
	global_load_b128 v[49:52], v[53:54], off offset:5632
	s_and_saveexec_b32 s10, vcc_lo
	s_cbranch_execnz .LBB16_71
.LBB16_56:                              ;   in Loop: Header=BB16_43 Depth=1
	s_wait_alu 0xfffe
	s_or_b32 exec_lo, exec_lo, s10
	global_load_b128 v[57:60], v[53:54], off offset:6144
	s_and_saveexec_b32 s10, vcc_lo
	s_cbranch_execnz .LBB16_72
.LBB16_57:                              ;   in Loop: Header=BB16_43 Depth=1
	s_wait_alu 0xfffe
	s_or_b32 exec_lo, exec_lo, s10
	global_load_b128 v[61:64], v[53:54], off offset:6656
	s_and_saveexec_b32 s10, vcc_lo
	s_cbranch_execnz .LBB16_73
.LBB16_58:                              ;   in Loop: Header=BB16_43 Depth=1
	s_wait_alu 0xfffe
	s_or_b32 exec_lo, exec_lo, s10
	global_load_b128 v[65:68], v[53:54], off offset:7168
	s_and_saveexec_b32 s10, vcc_lo
	s_cbranch_execnz .LBB16_74
.LBB16_59:                              ;   in Loop: Header=BB16_43 Depth=1
	s_wait_alu 0xfffe
	s_or_b32 exec_lo, exec_lo, s10
	global_load_b128 v[53:56], v[53:54], off offset:7680
	s_and_saveexec_b32 s0, vcc_lo
	s_cbranch_execz .LBB16_41
	s_branch .LBB16_75
.LBB16_60:                              ;   in Loop: Header=BB16_43 Depth=1
	v_cmp_gt_i32_e64 s0, s33, v97
	s_wait_loadcnt 0x0
	s_wait_alu 0xf1ff
	s_delay_alu instid0(VALU_DEP_1) | instskip(SKIP_2) | instid1(VALU_DEP_1)
	v_cndmask_b32_e64 v5, 0, v5, s0
	v_cmp_gt_i32_e64 s0, s33, v100
	s_wait_alu 0xf1ff
	v_cndmask_b32_e64 v6, 0, v6, s0
	v_cmp_gt_i32_e64 s0, s33, v99
	s_wait_alu 0xf1ff
	s_delay_alu instid0(VALU_DEP_1) | instskip(SKIP_2) | instid1(VALU_DEP_1)
	v_cndmask_b32_e64 v7, 0, v7, s0
	v_cmp_gt_i32_e64 s0, s33, v98
	s_wait_alu 0xf1ff
	v_cndmask_b32_e64 v8, 0, v8, s0
	s_wait_alu 0xfffe
	s_or_b32 exec_lo, exec_lo, s10
	global_load_b128 v[9:12], v[53:54], off offset:512
	s_and_saveexec_b32 s10, vcc_lo
	s_cbranch_execz .LBB16_46
.LBB16_61:                              ;   in Loop: Header=BB16_43 Depth=1
	v_cmp_gt_i32_e64 s0, s33, v97
	s_wait_loadcnt 0x0
	s_wait_alu 0xf1ff
	s_delay_alu instid0(VALU_DEP_1) | instskip(SKIP_2) | instid1(VALU_DEP_1)
	v_cndmask_b32_e64 v9, 0, v9, s0
	v_cmp_gt_i32_e64 s0, s33, v100
	s_wait_alu 0xf1ff
	v_cndmask_b32_e64 v10, 0, v10, s0
	v_cmp_gt_i32_e64 s0, s33, v99
	s_wait_alu 0xf1ff
	s_delay_alu instid0(VALU_DEP_1) | instskip(SKIP_2) | instid1(VALU_DEP_1)
	v_cndmask_b32_e64 v11, 0, v11, s0
	v_cmp_gt_i32_e64 s0, s33, v98
	s_wait_alu 0xf1ff
	v_cndmask_b32_e64 v12, 0, v12, s0
	s_wait_alu 0xfffe
	s_or_b32 exec_lo, exec_lo, s10
	global_load_b128 v[13:16], v[53:54], off offset:1024
	s_and_saveexec_b32 s10, vcc_lo
	s_cbranch_execz .LBB16_47
.LBB16_62:                              ;   in Loop: Header=BB16_43 Depth=1
	v_cmp_gt_i32_e64 s0, s33, v97
	s_wait_loadcnt 0x0
	s_wait_alu 0xf1ff
	s_delay_alu instid0(VALU_DEP_1) | instskip(SKIP_2) | instid1(VALU_DEP_1)
	v_cndmask_b32_e64 v13, 0, v13, s0
	v_cmp_gt_i32_e64 s0, s33, v100
	s_wait_alu 0xf1ff
	v_cndmask_b32_e64 v14, 0, v14, s0
	v_cmp_gt_i32_e64 s0, s33, v99
	s_wait_alu 0xf1ff
	s_delay_alu instid0(VALU_DEP_1) | instskip(SKIP_2) | instid1(VALU_DEP_1)
	v_cndmask_b32_e64 v15, 0, v15, s0
	v_cmp_gt_i32_e64 s0, s33, v98
	s_wait_alu 0xf1ff
	v_cndmask_b32_e64 v16, 0, v16, s0
	s_wait_alu 0xfffe
	s_or_b32 exec_lo, exec_lo, s10
	global_load_b128 v[17:20], v[53:54], off offset:1536
	s_and_saveexec_b32 s10, vcc_lo
	s_cbranch_execz .LBB16_48
.LBB16_63:                              ;   in Loop: Header=BB16_43 Depth=1
	v_cmp_gt_i32_e64 s0, s33, v97
	s_wait_loadcnt 0x0
	s_wait_alu 0xf1ff
	s_delay_alu instid0(VALU_DEP_1) | instskip(SKIP_2) | instid1(VALU_DEP_1)
	v_cndmask_b32_e64 v17, 0, v17, s0
	v_cmp_gt_i32_e64 s0, s33, v100
	s_wait_alu 0xf1ff
	v_cndmask_b32_e64 v18, 0, v18, s0
	v_cmp_gt_i32_e64 s0, s33, v99
	s_wait_alu 0xf1ff
	s_delay_alu instid0(VALU_DEP_1) | instskip(SKIP_2) | instid1(VALU_DEP_1)
	v_cndmask_b32_e64 v19, 0, v19, s0
	v_cmp_gt_i32_e64 s0, s33, v98
	s_wait_alu 0xf1ff
	v_cndmask_b32_e64 v20, 0, v20, s0
	s_wait_alu 0xfffe
	s_or_b32 exec_lo, exec_lo, s10
	global_load_b128 v[21:24], v[53:54], off offset:2048
	s_and_saveexec_b32 s10, vcc_lo
	s_cbranch_execz .LBB16_49
.LBB16_64:                              ;   in Loop: Header=BB16_43 Depth=1
	v_cmp_gt_i32_e64 s0, s33, v97
	s_wait_loadcnt 0x0
	s_wait_alu 0xf1ff
	s_delay_alu instid0(VALU_DEP_1) | instskip(SKIP_2) | instid1(VALU_DEP_1)
	v_cndmask_b32_e64 v21, 0, v21, s0
	v_cmp_gt_i32_e64 s0, s33, v100
	s_wait_alu 0xf1ff
	v_cndmask_b32_e64 v22, 0, v22, s0
	v_cmp_gt_i32_e64 s0, s33, v99
	s_wait_alu 0xf1ff
	s_delay_alu instid0(VALU_DEP_1) | instskip(SKIP_2) | instid1(VALU_DEP_1)
	v_cndmask_b32_e64 v23, 0, v23, s0
	v_cmp_gt_i32_e64 s0, s33, v98
	s_wait_alu 0xf1ff
	v_cndmask_b32_e64 v24, 0, v24, s0
	s_wait_alu 0xfffe
	s_or_b32 exec_lo, exec_lo, s10
	global_load_b128 v[25:28], v[53:54], off offset:2560
	s_and_saveexec_b32 s10, vcc_lo
	s_cbranch_execz .LBB16_50
.LBB16_65:                              ;   in Loop: Header=BB16_43 Depth=1
	v_cmp_gt_i32_e64 s0, s33, v97
	s_wait_loadcnt 0x0
	s_wait_alu 0xf1ff
	s_delay_alu instid0(VALU_DEP_1) | instskip(SKIP_2) | instid1(VALU_DEP_1)
	v_cndmask_b32_e64 v25, 0, v25, s0
	v_cmp_gt_i32_e64 s0, s33, v100
	s_wait_alu 0xf1ff
	v_cndmask_b32_e64 v26, 0, v26, s0
	v_cmp_gt_i32_e64 s0, s33, v99
	s_wait_alu 0xf1ff
	s_delay_alu instid0(VALU_DEP_1) | instskip(SKIP_2) | instid1(VALU_DEP_1)
	v_cndmask_b32_e64 v27, 0, v27, s0
	v_cmp_gt_i32_e64 s0, s33, v98
	s_wait_alu 0xf1ff
	v_cndmask_b32_e64 v28, 0, v28, s0
	s_wait_alu 0xfffe
	s_or_b32 exec_lo, exec_lo, s10
	global_load_b128 v[29:32], v[53:54], off offset:3072
	s_and_saveexec_b32 s10, vcc_lo
	s_cbranch_execz .LBB16_51
.LBB16_66:                              ;   in Loop: Header=BB16_43 Depth=1
	v_cmp_gt_i32_e64 s0, s33, v97
	s_wait_loadcnt 0x0
	s_wait_alu 0xf1ff
	s_delay_alu instid0(VALU_DEP_1) | instskip(SKIP_2) | instid1(VALU_DEP_1)
	v_cndmask_b32_e64 v29, 0, v29, s0
	v_cmp_gt_i32_e64 s0, s33, v100
	s_wait_alu 0xf1ff
	v_cndmask_b32_e64 v30, 0, v30, s0
	v_cmp_gt_i32_e64 s0, s33, v99
	s_wait_alu 0xf1ff
	s_delay_alu instid0(VALU_DEP_1) | instskip(SKIP_2) | instid1(VALU_DEP_1)
	v_cndmask_b32_e64 v31, 0, v31, s0
	v_cmp_gt_i32_e64 s0, s33, v98
	s_wait_alu 0xf1ff
	v_cndmask_b32_e64 v32, 0, v32, s0
	s_wait_alu 0xfffe
	s_or_b32 exec_lo, exec_lo, s10
	global_load_b128 v[33:36], v[53:54], off offset:3584
	s_and_saveexec_b32 s10, vcc_lo
	s_cbranch_execz .LBB16_52
.LBB16_67:                              ;   in Loop: Header=BB16_43 Depth=1
	v_cmp_gt_i32_e64 s0, s33, v97
	s_wait_loadcnt 0x0
	s_wait_alu 0xf1ff
	s_delay_alu instid0(VALU_DEP_1) | instskip(SKIP_2) | instid1(VALU_DEP_1)
	v_cndmask_b32_e64 v33, 0, v33, s0
	v_cmp_gt_i32_e64 s0, s33, v100
	s_wait_alu 0xf1ff
	v_cndmask_b32_e64 v34, 0, v34, s0
	v_cmp_gt_i32_e64 s0, s33, v99
	s_wait_alu 0xf1ff
	s_delay_alu instid0(VALU_DEP_1) | instskip(SKIP_2) | instid1(VALU_DEP_1)
	v_cndmask_b32_e64 v35, 0, v35, s0
	v_cmp_gt_i32_e64 s0, s33, v98
	s_wait_alu 0xf1ff
	v_cndmask_b32_e64 v36, 0, v36, s0
	s_wait_alu 0xfffe
	s_or_b32 exec_lo, exec_lo, s10
	global_load_b128 v[37:40], v[53:54], off offset:4096
	s_and_saveexec_b32 s10, vcc_lo
	s_cbranch_execz .LBB16_53
.LBB16_68:                              ;   in Loop: Header=BB16_43 Depth=1
	v_cmp_gt_i32_e64 s0, s33, v97
	s_wait_loadcnt 0x0
	s_wait_alu 0xf1ff
	s_delay_alu instid0(VALU_DEP_1) | instskip(SKIP_2) | instid1(VALU_DEP_1)
	v_cndmask_b32_e64 v37, 0, v37, s0
	v_cmp_gt_i32_e64 s0, s33, v100
	s_wait_alu 0xf1ff
	v_cndmask_b32_e64 v38, 0, v38, s0
	v_cmp_gt_i32_e64 s0, s33, v99
	s_wait_alu 0xf1ff
	s_delay_alu instid0(VALU_DEP_1) | instskip(SKIP_2) | instid1(VALU_DEP_1)
	v_cndmask_b32_e64 v39, 0, v39, s0
	v_cmp_gt_i32_e64 s0, s33, v98
	s_wait_alu 0xf1ff
	v_cndmask_b32_e64 v40, 0, v40, s0
	s_wait_alu 0xfffe
	s_or_b32 exec_lo, exec_lo, s10
	global_load_b128 v[41:44], v[53:54], off offset:4608
	s_and_saveexec_b32 s10, vcc_lo
	s_cbranch_execz .LBB16_54
.LBB16_69:                              ;   in Loop: Header=BB16_43 Depth=1
	v_cmp_gt_i32_e64 s0, s33, v97
	s_wait_loadcnt 0x0
	s_wait_alu 0xf1ff
	s_delay_alu instid0(VALU_DEP_1) | instskip(SKIP_2) | instid1(VALU_DEP_1)
	v_cndmask_b32_e64 v41, 0, v41, s0
	v_cmp_gt_i32_e64 s0, s33, v100
	s_wait_alu 0xf1ff
	v_cndmask_b32_e64 v42, 0, v42, s0
	v_cmp_gt_i32_e64 s0, s33, v99
	s_wait_alu 0xf1ff
	s_delay_alu instid0(VALU_DEP_1) | instskip(SKIP_2) | instid1(VALU_DEP_1)
	v_cndmask_b32_e64 v43, 0, v43, s0
	v_cmp_gt_i32_e64 s0, s33, v98
	s_wait_alu 0xf1ff
	v_cndmask_b32_e64 v44, 0, v44, s0
	s_wait_alu 0xfffe
	s_or_b32 exec_lo, exec_lo, s10
	global_load_b128 v[45:48], v[53:54], off offset:5120
	s_and_saveexec_b32 s10, vcc_lo
	s_cbranch_execz .LBB16_55
.LBB16_70:                              ;   in Loop: Header=BB16_43 Depth=1
	v_cmp_gt_i32_e64 s0, s33, v97
	s_wait_loadcnt 0x0
	s_wait_alu 0xf1ff
	s_delay_alu instid0(VALU_DEP_1) | instskip(SKIP_2) | instid1(VALU_DEP_1)
	v_cndmask_b32_e64 v45, 0, v45, s0
	v_cmp_gt_i32_e64 s0, s33, v100
	s_wait_alu 0xf1ff
	v_cndmask_b32_e64 v46, 0, v46, s0
	v_cmp_gt_i32_e64 s0, s33, v99
	s_wait_alu 0xf1ff
	s_delay_alu instid0(VALU_DEP_1) | instskip(SKIP_2) | instid1(VALU_DEP_1)
	v_cndmask_b32_e64 v47, 0, v47, s0
	v_cmp_gt_i32_e64 s0, s33, v98
	s_wait_alu 0xf1ff
	v_cndmask_b32_e64 v48, 0, v48, s0
	s_wait_alu 0xfffe
	s_or_b32 exec_lo, exec_lo, s10
	global_load_b128 v[49:52], v[53:54], off offset:5632
	s_and_saveexec_b32 s10, vcc_lo
	s_cbranch_execz .LBB16_56
.LBB16_71:                              ;   in Loop: Header=BB16_43 Depth=1
	v_cmp_gt_i32_e64 s0, s33, v97
	s_wait_loadcnt 0x0
	s_wait_alu 0xf1ff
	s_delay_alu instid0(VALU_DEP_1) | instskip(SKIP_2) | instid1(VALU_DEP_1)
	v_cndmask_b32_e64 v49, 0, v49, s0
	v_cmp_gt_i32_e64 s0, s33, v100
	s_wait_alu 0xf1ff
	v_cndmask_b32_e64 v50, 0, v50, s0
	v_cmp_gt_i32_e64 s0, s33, v99
	s_wait_alu 0xf1ff
	s_delay_alu instid0(VALU_DEP_1) | instskip(SKIP_2) | instid1(VALU_DEP_1)
	v_cndmask_b32_e64 v51, 0, v51, s0
	v_cmp_gt_i32_e64 s0, s33, v98
	s_wait_alu 0xf1ff
	v_cndmask_b32_e64 v52, 0, v52, s0
	s_wait_alu 0xfffe
	s_or_b32 exec_lo, exec_lo, s10
	global_load_b128 v[57:60], v[53:54], off offset:6144
	s_and_saveexec_b32 s10, vcc_lo
	s_cbranch_execz .LBB16_57
.LBB16_72:                              ;   in Loop: Header=BB16_43 Depth=1
	v_cmp_gt_i32_e64 s0, s33, v97
	s_wait_loadcnt 0x0
	s_wait_alu 0xf1ff
	s_delay_alu instid0(VALU_DEP_1) | instskip(SKIP_2) | instid1(VALU_DEP_1)
	v_cndmask_b32_e64 v57, 0, v57, s0
	v_cmp_gt_i32_e64 s0, s33, v100
	s_wait_alu 0xf1ff
	v_cndmask_b32_e64 v58, 0, v58, s0
	v_cmp_gt_i32_e64 s0, s33, v99
	s_wait_alu 0xf1ff
	s_delay_alu instid0(VALU_DEP_1) | instskip(SKIP_2) | instid1(VALU_DEP_1)
	v_cndmask_b32_e64 v59, 0, v59, s0
	v_cmp_gt_i32_e64 s0, s33, v98
	s_wait_alu 0xf1ff
	v_cndmask_b32_e64 v60, 0, v60, s0
	s_wait_alu 0xfffe
	s_or_b32 exec_lo, exec_lo, s10
	global_load_b128 v[61:64], v[53:54], off offset:6656
	s_and_saveexec_b32 s10, vcc_lo
	s_cbranch_execz .LBB16_58
.LBB16_73:                              ;   in Loop: Header=BB16_43 Depth=1
	v_cmp_gt_i32_e64 s0, s33, v97
	s_wait_loadcnt 0x0
	s_wait_alu 0xf1ff
	s_delay_alu instid0(VALU_DEP_1) | instskip(SKIP_2) | instid1(VALU_DEP_1)
	v_cndmask_b32_e64 v61, 0, v61, s0
	v_cmp_gt_i32_e64 s0, s33, v100
	s_wait_alu 0xf1ff
	v_cndmask_b32_e64 v62, 0, v62, s0
	v_cmp_gt_i32_e64 s0, s33, v99
	s_wait_alu 0xf1ff
	s_delay_alu instid0(VALU_DEP_1) | instskip(SKIP_2) | instid1(VALU_DEP_1)
	v_cndmask_b32_e64 v63, 0, v63, s0
	v_cmp_gt_i32_e64 s0, s33, v98
	s_wait_alu 0xf1ff
	v_cndmask_b32_e64 v64, 0, v64, s0
	s_wait_alu 0xfffe
	s_or_b32 exec_lo, exec_lo, s10
	global_load_b128 v[65:68], v[53:54], off offset:7168
	s_and_saveexec_b32 s10, vcc_lo
	s_cbranch_execz .LBB16_59
.LBB16_74:                              ;   in Loop: Header=BB16_43 Depth=1
	v_cmp_gt_i32_e64 s0, s33, v97
	s_wait_loadcnt 0x0
	s_wait_alu 0xf1ff
	s_delay_alu instid0(VALU_DEP_1) | instskip(SKIP_2) | instid1(VALU_DEP_1)
	v_cndmask_b32_e64 v65, 0, v65, s0
	v_cmp_gt_i32_e64 s0, s33, v100
	s_wait_alu 0xf1ff
	v_cndmask_b32_e64 v66, 0, v66, s0
	v_cmp_gt_i32_e64 s0, s33, v99
	s_wait_alu 0xf1ff
	s_delay_alu instid0(VALU_DEP_1) | instskip(SKIP_2) | instid1(VALU_DEP_1)
	v_cndmask_b32_e64 v67, 0, v67, s0
	v_cmp_gt_i32_e64 s0, s33, v98
	s_wait_alu 0xf1ff
	v_cndmask_b32_e64 v68, 0, v68, s0
	s_wait_alu 0xfffe
	s_or_b32 exec_lo, exec_lo, s10
	global_load_b128 v[53:56], v[53:54], off offset:7680
	s_and_saveexec_b32 s0, vcc_lo
	s_cbranch_execz .LBB16_41
.LBB16_75:                              ;   in Loop: Header=BB16_43 Depth=1
	v_cmp_gt_i32_e32 vcc_lo, s33, v97
	s_wait_loadcnt 0x0
	s_wait_alu 0xfffd
	v_cndmask_b32_e32 v53, 0, v53, vcc_lo
	v_cmp_gt_i32_e32 vcc_lo, s33, v100
	s_wait_alu 0xfffd
	v_cndmask_b32_e32 v54, 0, v54, vcc_lo
	v_cmp_gt_i32_e32 vcc_lo, s33, v99
	s_wait_alu 0xfffd
	v_cndmask_b32_e32 v55, 0, v55, vcc_lo
	v_cmp_gt_i32_e32 vcc_lo, s33, v98
	s_wait_alu 0xfffd
	v_cndmask_b32_e32 v56, 0, v56, vcc_lo
	s_branch .LBB16_41
.LBB16_76:
	s_or_b32 exec_lo, exec_lo, s6
.LBB16_77:
	s_wait_alu 0xfffe
	s_or_b32 exec_lo, exec_lo, s1
	ds_bpermute_b32 v1, v75, v91
	ds_bpermute_b32 v2, v75, v92
	ds_bpermute_b32 v3, v75, v90
	ds_bpermute_b32 v4, v75, v89
	ds_bpermute_b32 v5, v75, v88
	ds_bpermute_b32 v6, v75, v87
	ds_bpermute_b32 v7, v75, v86
	ds_bpermute_b32 v8, v75, v85
	ds_bpermute_b32 v9, v75, v84
	ds_bpermute_b32 v10, v75, v83
	ds_bpermute_b32 v11, v75, v82
	ds_bpermute_b32 v12, v75, v81
	ds_bpermute_b32 v13, v75, v80
	ds_bpermute_b32 v14, v75, v79
	ds_bpermute_b32 v15, v75, v78
	ds_bpermute_b32 v16, v75, v77
	v_lshrrev_b32_e32 v17, 1, v74
	v_and_b32_e32 v20, 0x3c1, v0
	s_mov_b32 s0, exec_lo
	s_wait_storecnt 0x0
	s_wait_loadcnt_dscnt 0x0
	v_dual_add_f32 v1, v91, v1 :: v_dual_add_f32 v2, v92, v2
	v_dual_add_f32 v3, v90, v3 :: v_dual_add_f32 v4, v89, v4
	;; [unrolled: 1-line block ×8, first 2 shown]
	v_lshlrev_b32_e32 v19, 10, v71
	v_lshl_add_u32 v18, v17, 2, 0x420
	s_barrier_signal -1
	s_barrier_wait -1
	global_inv scope:SCOPE_SE
	v_cmpx_eq_u32_e32 64, v20
	s_cbranch_execz .LBB16_79
; %bb.78:
	v_add_nc_u32_e32 v20, v18, v19
	s_delay_alu instid0(VALU_DEP_1)
	v_add_nc_u32_e32 v21, 0xfffff800, v20
	v_add_nc_u32_e32 v22, 0xfffff840, v20
	;; [unrolled: 1-line block ×8, first 2 shown]
	ds_store_b32 v21, v1
	ds_store_b32 v22, v2
	;; [unrolled: 1-line block ×8, first 2 shown]
	v_add_nc_u32_e32 v21, 0xfffffa00, v20
	v_add_nc_u32_e32 v22, 0xfffffa40, v20
	;; [unrolled: 1-line block ×8, first 2 shown]
	ds_store_b32 v21, v9
	ds_store_b32 v22, v10
	;; [unrolled: 1-line block ×8, first 2 shown]
.LBB16_79:
	s_wait_alu 0xfffe
	s_or_b32 exec_lo, exec_lo, s0
	v_lshlrev_b32_e32 v17, 2, v17
	s_mov_b32 s1, exec_lo
	v_cmp_eq_u32_e32 vcc_lo, 0, v76
	s_wait_loadcnt_dscnt 0x0
	s_barrier_signal -1
	v_add3_u32 v17, 0x420, v19, v17
	s_barrier_wait -1
	global_inv scope:SCOPE_SE
	v_cmpx_gt_u32_e32 64, v0
	s_cbranch_execz .LBB16_98
; %bb.80:
	s_and_saveexec_b32 s0, vcc_lo
	s_cbranch_execnz .LBB16_122
; %bb.81:
	s_wait_alu 0xfffe
	s_or_b32 exec_lo, exec_lo, s0
	s_and_saveexec_b32 s0, vcc_lo
	s_cbranch_execnz .LBB16_123
.LBB16_82:
	s_wait_alu 0xfffe
	s_or_b32 exec_lo, exec_lo, s0
	s_and_saveexec_b32 s0, vcc_lo
	s_cbranch_execnz .LBB16_124
.LBB16_83:
	s_wait_alu 0xfffe
	s_or_b32 exec_lo, exec_lo, s0
	s_and_saveexec_b32 s0, vcc_lo
	s_cbranch_execnz .LBB16_125
.LBB16_84:
	s_wait_alu 0xfffe
	s_or_b32 exec_lo, exec_lo, s0
	s_and_saveexec_b32 s0, vcc_lo
	s_cbranch_execnz .LBB16_126
.LBB16_85:
	s_wait_alu 0xfffe
	s_or_b32 exec_lo, exec_lo, s0
	s_and_saveexec_b32 s0, vcc_lo
	s_cbranch_execnz .LBB16_127
.LBB16_86:
	s_wait_alu 0xfffe
	s_or_b32 exec_lo, exec_lo, s0
	s_and_saveexec_b32 s0, vcc_lo
	s_cbranch_execnz .LBB16_128
.LBB16_87:
	s_wait_alu 0xfffe
	s_or_b32 exec_lo, exec_lo, s0
	s_and_saveexec_b32 s0, vcc_lo
	s_cbranch_execnz .LBB16_129
.LBB16_88:
	s_wait_alu 0xfffe
	s_or_b32 exec_lo, exec_lo, s0
	s_and_saveexec_b32 s0, vcc_lo
	s_cbranch_execnz .LBB16_130
.LBB16_89:
	s_wait_alu 0xfffe
	s_or_b32 exec_lo, exec_lo, s0
	s_and_saveexec_b32 s0, vcc_lo
	s_cbranch_execnz .LBB16_131
.LBB16_90:
	s_wait_alu 0xfffe
	s_or_b32 exec_lo, exec_lo, s0
	s_and_saveexec_b32 s0, vcc_lo
	s_cbranch_execnz .LBB16_132
.LBB16_91:
	s_wait_alu 0xfffe
	s_or_b32 exec_lo, exec_lo, s0
	s_and_saveexec_b32 s0, vcc_lo
	s_cbranch_execnz .LBB16_133
.LBB16_92:
	s_wait_alu 0xfffe
	s_or_b32 exec_lo, exec_lo, s0
	s_and_saveexec_b32 s0, vcc_lo
	s_cbranch_execnz .LBB16_134
.LBB16_93:
	s_wait_alu 0xfffe
	s_or_b32 exec_lo, exec_lo, s0
	s_and_saveexec_b32 s0, vcc_lo
	s_cbranch_execnz .LBB16_135
.LBB16_94:
	s_wait_alu 0xfffe
	s_or_b32 exec_lo, exec_lo, s0
	s_and_saveexec_b32 s0, vcc_lo
	s_cbranch_execnz .LBB16_136
.LBB16_95:
	s_wait_alu 0xfffe
	s_or_b32 exec_lo, exec_lo, s0
	s_and_saveexec_b32 s0, vcc_lo
	s_cbranch_execz .LBB16_97
.LBB16_96:
	ds_load_b32 v19, v17 offset:960
	s_wait_dscnt 0x0
	v_add_f32_e32 v16, v16, v19
.LBB16_97:
	s_wait_alu 0xfffe
	s_or_b32 exec_lo, exec_lo, s0
.LBB16_98:
	s_wait_alu 0xfffe
	s_or_b32 exec_lo, exec_lo, s1
	v_and_b32_e32 v19, 0x3e1, v0
	s_mov_b32 s1, exec_lo
	s_wait_loadcnt 0x0
	s_barrier_signal -1
	s_barrier_wait -1
	global_inv scope:SCOPE_SE
	v_cmpx_eq_u32_e32 32, v19
	s_cbranch_execz .LBB16_100
; %bb.99:
	ds_store_2addr_b32 v18, v1, v2 offset1:16
	ds_store_2addr_b32 v18, v3, v4 offset0:32 offset1:48
	ds_store_2addr_b32 v18, v5, v6 offset0:64 offset1:80
	;; [unrolled: 1-line block ×7, first 2 shown]
.LBB16_100:
	s_wait_alu 0xfffe
	s_or_b32 exec_lo, exec_lo, s1
	s_delay_alu instid0(SALU_CYCLE_1)
	s_mov_b32 s1, exec_lo
	s_wait_loadcnt_dscnt 0x0
	s_barrier_signal -1
	s_barrier_wait -1
	global_inv scope:SCOPE_SE
	v_cmpx_gt_u32_e32 32, v0
	s_cbranch_execz .LBB16_119
; %bb.101:
	s_and_saveexec_b32 s0, vcc_lo
	s_cbranch_execnz .LBB16_137
; %bb.102:
	s_wait_alu 0xfffe
	s_or_b32 exec_lo, exec_lo, s0
	s_and_saveexec_b32 s0, vcc_lo
	s_cbranch_execnz .LBB16_138
.LBB16_103:
	s_wait_alu 0xfffe
	s_or_b32 exec_lo, exec_lo, s0
	s_and_saveexec_b32 s0, vcc_lo
	s_cbranch_execnz .LBB16_139
.LBB16_104:
	s_wait_alu 0xfffe
	s_or_b32 exec_lo, exec_lo, s0
	s_and_saveexec_b32 s0, vcc_lo
	s_cbranch_execnz .LBB16_140
.LBB16_105:
	s_wait_alu 0xfffe
	s_or_b32 exec_lo, exec_lo, s0
	s_and_saveexec_b32 s0, vcc_lo
	s_cbranch_execnz .LBB16_141
.LBB16_106:
	s_wait_alu 0xfffe
	s_or_b32 exec_lo, exec_lo, s0
	s_and_saveexec_b32 s0, vcc_lo
	s_cbranch_execnz .LBB16_142
.LBB16_107:
	s_wait_alu 0xfffe
	s_or_b32 exec_lo, exec_lo, s0
	s_and_saveexec_b32 s0, vcc_lo
	s_cbranch_execnz .LBB16_143
.LBB16_108:
	s_wait_alu 0xfffe
	s_or_b32 exec_lo, exec_lo, s0
	s_and_saveexec_b32 s0, vcc_lo
	s_cbranch_execnz .LBB16_144
.LBB16_109:
	s_wait_alu 0xfffe
	s_or_b32 exec_lo, exec_lo, s0
	s_and_saveexec_b32 s0, vcc_lo
	s_cbranch_execnz .LBB16_145
.LBB16_110:
	s_wait_alu 0xfffe
	s_or_b32 exec_lo, exec_lo, s0
	s_and_saveexec_b32 s0, vcc_lo
	s_cbranch_execnz .LBB16_146
.LBB16_111:
	s_wait_alu 0xfffe
	s_or_b32 exec_lo, exec_lo, s0
	s_and_saveexec_b32 s0, vcc_lo
	s_cbranch_execnz .LBB16_147
.LBB16_112:
	s_wait_alu 0xfffe
	s_or_b32 exec_lo, exec_lo, s0
	s_and_saveexec_b32 s0, vcc_lo
	s_cbranch_execnz .LBB16_148
.LBB16_113:
	s_wait_alu 0xfffe
	s_or_b32 exec_lo, exec_lo, s0
	s_and_saveexec_b32 s0, vcc_lo
	s_cbranch_execnz .LBB16_149
.LBB16_114:
	s_wait_alu 0xfffe
	s_or_b32 exec_lo, exec_lo, s0
	s_and_saveexec_b32 s0, vcc_lo
	s_cbranch_execnz .LBB16_150
.LBB16_115:
	s_wait_alu 0xfffe
	s_or_b32 exec_lo, exec_lo, s0
	s_and_saveexec_b32 s0, vcc_lo
	s_cbranch_execnz .LBB16_151
.LBB16_116:
	s_wait_alu 0xfffe
	s_or_b32 exec_lo, exec_lo, s0
	s_and_saveexec_b32 s0, vcc_lo
	s_cbranch_execz .LBB16_118
.LBB16_117:
	ds_load_b32 v17, v17 offset:960
	s_wait_dscnt 0x0
	v_add_f32_e32 v16, v16, v17
.LBB16_118:
	s_wait_alu 0xfffe
	s_or_b32 exec_lo, exec_lo, s0
.LBB16_119:
	s_wait_alu 0xfffe
	s_or_b32 exec_lo, exec_lo, s1
	s_mov_b32 s1, 0
	s_wait_loadcnt 0x0
	s_barrier_signal -1
	s_barrier_wait -1
	global_inv scope:SCOPE_SE
	s_mov_b32 s0, exec_lo
	v_cmpx_eq_u32_e32 0, v19
	s_cbranch_execz .LBB16_121
; %bb.120:
	s_lshl_b32 s2, s20, 8
	s_wait_kmcnt 0x0
	s_mul_i32 s4, s31, s16
	s_wait_alu 0xfffe
	s_ashr_i32 s3, s2, 31
	s_ashr_i32 s5, s4, 31
	s_wait_alu 0xfffe
	s_lshl_b64 s[2:3], s[2:3], 2
	s_lshl_b64 s[4:5], s[4:5], 2
	s_wait_alu 0xfffe
	s_add_nc_u64 s[2:3], s[14:15], s[2:3]
	v_lshlrev_b32_e32 v0, 1, v0
	s_lshl_b32 s0, s30, 10
	s_wait_alu 0xfffe
	s_add_nc_u64 s[2:3], s[2:3], s[4:5]
	s_wait_alu 0xfffe
	s_add_nc_u64 s[0:1], s[2:3], s[0:1]
	s_clause 0xf
	global_store_b32 v0, v1, s[0:1]
	global_store_b32 v0, v2, s[0:1] offset:64
	global_store_b32 v0, v3, s[0:1] offset:128
	;; [unrolled: 1-line block ×15, first 2 shown]
.LBB16_121:
	s_nop 0
	s_sendmsg sendmsg(MSG_DEALLOC_VGPRS)
	s_endpgm
.LBB16_122:
	ds_load_b32 v19, v17
	s_wait_dscnt 0x0
	v_add_f32_e32 v1, v1, v19
	s_wait_alu 0xfffe
	s_or_b32 exec_lo, exec_lo, s0
	s_and_saveexec_b32 s0, vcc_lo
	s_cbranch_execz .LBB16_82
.LBB16_123:
	ds_load_b32 v19, v17 offset:64
	s_wait_dscnt 0x0
	v_add_f32_e32 v2, v2, v19
	s_wait_alu 0xfffe
	s_or_b32 exec_lo, exec_lo, s0
	s_and_saveexec_b32 s0, vcc_lo
	s_cbranch_execz .LBB16_83
.LBB16_124:
	ds_load_b32 v19, v17 offset:128
	s_wait_dscnt 0x0
	v_add_f32_e32 v3, v3, v19
	s_wait_alu 0xfffe
	s_or_b32 exec_lo, exec_lo, s0
	s_and_saveexec_b32 s0, vcc_lo
	s_cbranch_execz .LBB16_84
.LBB16_125:
	ds_load_b32 v19, v17 offset:192
	s_wait_dscnt 0x0
	v_add_f32_e32 v4, v4, v19
	s_wait_alu 0xfffe
	s_or_b32 exec_lo, exec_lo, s0
	s_and_saveexec_b32 s0, vcc_lo
	s_cbranch_execz .LBB16_85
.LBB16_126:
	ds_load_b32 v19, v17 offset:256
	s_wait_dscnt 0x0
	v_add_f32_e32 v5, v5, v19
	s_wait_alu 0xfffe
	s_or_b32 exec_lo, exec_lo, s0
	s_and_saveexec_b32 s0, vcc_lo
	s_cbranch_execz .LBB16_86
.LBB16_127:
	ds_load_b32 v19, v17 offset:320
	s_wait_dscnt 0x0
	v_add_f32_e32 v6, v6, v19
	s_wait_alu 0xfffe
	s_or_b32 exec_lo, exec_lo, s0
	s_and_saveexec_b32 s0, vcc_lo
	s_cbranch_execz .LBB16_87
.LBB16_128:
	ds_load_b32 v19, v17 offset:384
	s_wait_dscnt 0x0
	v_add_f32_e32 v7, v7, v19
	s_wait_alu 0xfffe
	s_or_b32 exec_lo, exec_lo, s0
	s_and_saveexec_b32 s0, vcc_lo
	s_cbranch_execz .LBB16_88
.LBB16_129:
	ds_load_b32 v19, v17 offset:448
	s_wait_dscnt 0x0
	v_add_f32_e32 v8, v8, v19
	s_wait_alu 0xfffe
	s_or_b32 exec_lo, exec_lo, s0
	s_and_saveexec_b32 s0, vcc_lo
	s_cbranch_execz .LBB16_89
.LBB16_130:
	ds_load_b32 v19, v17 offset:512
	s_wait_dscnt 0x0
	v_add_f32_e32 v9, v9, v19
	s_wait_alu 0xfffe
	s_or_b32 exec_lo, exec_lo, s0
	s_and_saveexec_b32 s0, vcc_lo
	s_cbranch_execz .LBB16_90
.LBB16_131:
	ds_load_b32 v19, v17 offset:576
	s_wait_dscnt 0x0
	v_add_f32_e32 v10, v10, v19
	s_wait_alu 0xfffe
	s_or_b32 exec_lo, exec_lo, s0
	s_and_saveexec_b32 s0, vcc_lo
	s_cbranch_execz .LBB16_91
.LBB16_132:
	ds_load_b32 v19, v17 offset:640
	s_wait_dscnt 0x0
	v_add_f32_e32 v11, v11, v19
	s_wait_alu 0xfffe
	s_or_b32 exec_lo, exec_lo, s0
	s_and_saveexec_b32 s0, vcc_lo
	s_cbranch_execz .LBB16_92
.LBB16_133:
	ds_load_b32 v19, v17 offset:704
	s_wait_dscnt 0x0
	v_add_f32_e32 v12, v12, v19
	s_wait_alu 0xfffe
	s_or_b32 exec_lo, exec_lo, s0
	s_and_saveexec_b32 s0, vcc_lo
	s_cbranch_execz .LBB16_93
.LBB16_134:
	ds_load_b32 v19, v17 offset:768
	s_wait_dscnt 0x0
	v_add_f32_e32 v13, v13, v19
	s_wait_alu 0xfffe
	s_or_b32 exec_lo, exec_lo, s0
	s_and_saveexec_b32 s0, vcc_lo
	s_cbranch_execz .LBB16_94
.LBB16_135:
	ds_load_b32 v19, v17 offset:832
	s_wait_dscnt 0x0
	v_add_f32_e32 v14, v14, v19
	s_wait_alu 0xfffe
	s_or_b32 exec_lo, exec_lo, s0
	s_and_saveexec_b32 s0, vcc_lo
	s_cbranch_execz .LBB16_95
.LBB16_136:
	ds_load_b32 v19, v17 offset:896
	s_wait_dscnt 0x0
	v_add_f32_e32 v15, v15, v19
	s_wait_alu 0xfffe
	s_or_b32 exec_lo, exec_lo, s0
	s_and_saveexec_b32 s0, vcc_lo
	s_cbranch_execnz .LBB16_96
	s_branch .LBB16_97
.LBB16_137:
	ds_load_b32 v18, v17
	s_wait_dscnt 0x0
	v_add_f32_e32 v1, v1, v18
	s_wait_alu 0xfffe
	s_or_b32 exec_lo, exec_lo, s0
	s_and_saveexec_b32 s0, vcc_lo
	s_cbranch_execz .LBB16_103
.LBB16_138:
	ds_load_b32 v18, v17 offset:64
	s_wait_dscnt 0x0
	v_add_f32_e32 v2, v2, v18
	s_wait_alu 0xfffe
	s_or_b32 exec_lo, exec_lo, s0
	s_and_saveexec_b32 s0, vcc_lo
	s_cbranch_execz .LBB16_104
.LBB16_139:
	ds_load_b32 v18, v17 offset:128
	s_wait_dscnt 0x0
	v_add_f32_e32 v3, v3, v18
	s_wait_alu 0xfffe
	s_or_b32 exec_lo, exec_lo, s0
	s_and_saveexec_b32 s0, vcc_lo
	s_cbranch_execz .LBB16_105
.LBB16_140:
	ds_load_b32 v18, v17 offset:192
	s_wait_dscnt 0x0
	v_add_f32_e32 v4, v4, v18
	s_wait_alu 0xfffe
	s_or_b32 exec_lo, exec_lo, s0
	s_and_saveexec_b32 s0, vcc_lo
	s_cbranch_execz .LBB16_106
.LBB16_141:
	ds_load_b32 v18, v17 offset:256
	s_wait_dscnt 0x0
	v_add_f32_e32 v5, v5, v18
	s_wait_alu 0xfffe
	s_or_b32 exec_lo, exec_lo, s0
	s_and_saveexec_b32 s0, vcc_lo
	s_cbranch_execz .LBB16_107
.LBB16_142:
	ds_load_b32 v18, v17 offset:320
	s_wait_dscnt 0x0
	v_add_f32_e32 v6, v6, v18
	s_wait_alu 0xfffe
	s_or_b32 exec_lo, exec_lo, s0
	s_and_saveexec_b32 s0, vcc_lo
	s_cbranch_execz .LBB16_108
.LBB16_143:
	ds_load_b32 v18, v17 offset:384
	s_wait_dscnt 0x0
	v_add_f32_e32 v7, v7, v18
	s_wait_alu 0xfffe
	s_or_b32 exec_lo, exec_lo, s0
	s_and_saveexec_b32 s0, vcc_lo
	s_cbranch_execz .LBB16_109
.LBB16_144:
	ds_load_b32 v18, v17 offset:448
	s_wait_dscnt 0x0
	v_add_f32_e32 v8, v8, v18
	s_wait_alu 0xfffe
	s_or_b32 exec_lo, exec_lo, s0
	s_and_saveexec_b32 s0, vcc_lo
	s_cbranch_execz .LBB16_110
.LBB16_145:
	ds_load_b32 v18, v17 offset:512
	s_wait_dscnt 0x0
	v_add_f32_e32 v9, v9, v18
	s_wait_alu 0xfffe
	s_or_b32 exec_lo, exec_lo, s0
	s_and_saveexec_b32 s0, vcc_lo
	s_cbranch_execz .LBB16_111
.LBB16_146:
	ds_load_b32 v18, v17 offset:576
	s_wait_dscnt 0x0
	v_add_f32_e32 v10, v10, v18
	s_wait_alu 0xfffe
	s_or_b32 exec_lo, exec_lo, s0
	s_and_saveexec_b32 s0, vcc_lo
	s_cbranch_execz .LBB16_112
.LBB16_147:
	ds_load_b32 v18, v17 offset:640
	s_wait_dscnt 0x0
	v_add_f32_e32 v11, v11, v18
	s_wait_alu 0xfffe
	s_or_b32 exec_lo, exec_lo, s0
	s_and_saveexec_b32 s0, vcc_lo
	s_cbranch_execz .LBB16_113
.LBB16_148:
	ds_load_b32 v18, v17 offset:704
	s_wait_dscnt 0x0
	v_add_f32_e32 v12, v12, v18
	s_wait_alu 0xfffe
	s_or_b32 exec_lo, exec_lo, s0
	s_and_saveexec_b32 s0, vcc_lo
	s_cbranch_execz .LBB16_114
.LBB16_149:
	ds_load_b32 v18, v17 offset:768
	s_wait_dscnt 0x0
	v_add_f32_e32 v13, v13, v18
	s_wait_alu 0xfffe
	s_or_b32 exec_lo, exec_lo, s0
	s_and_saveexec_b32 s0, vcc_lo
	s_cbranch_execz .LBB16_115
.LBB16_150:
	ds_load_b32 v18, v17 offset:832
	s_wait_dscnt 0x0
	v_add_f32_e32 v14, v14, v18
	s_wait_alu 0xfffe
	s_or_b32 exec_lo, exec_lo, s0
	s_and_saveexec_b32 s0, vcc_lo
	s_cbranch_execz .LBB16_116
.LBB16_151:
	ds_load_b32 v18, v17 offset:896
	s_wait_dscnt 0x0
	v_add_f32_e32 v15, v15, v18
	s_wait_alu 0xfffe
	s_or_b32 exec_lo, exec_lo, s0
	s_and_saveexec_b32 s0, vcc_lo
	s_cbranch_execnz .LBB16_117
	s_branch .LBB16_118
	.section	.rodata,"a",@progbits
	.p2align	6, 0x0
	.amdhsa_kernel _ZN4vllm25paged_attention_v2_kernelIffLi256ELi8ELi128ELNS_18Fp8KVCacheDataTypeE0ELb1ELi512EEEvPfS2_PT_PKS3_PKT0_S9_ifPKiSB_iPKfiiiSD_SD_iiiii
		.amdhsa_group_segment_fixed_size 1056
		.amdhsa_private_segment_fixed_size 0
		.amdhsa_kernarg_size 400
		.amdhsa_user_sgpr_count 2
		.amdhsa_user_sgpr_dispatch_ptr 0
		.amdhsa_user_sgpr_queue_ptr 0
		.amdhsa_user_sgpr_kernarg_segment_ptr 1
		.amdhsa_user_sgpr_dispatch_id 0
		.amdhsa_user_sgpr_private_segment_size 0
		.amdhsa_wavefront_size32 1
		.amdhsa_uses_dynamic_stack 0
		.amdhsa_enable_private_segment 0
		.amdhsa_system_sgpr_workgroup_id_x 1
		.amdhsa_system_sgpr_workgroup_id_y 1
		.amdhsa_system_sgpr_workgroup_id_z 1
		.amdhsa_system_sgpr_workgroup_info 0
		.amdhsa_system_vgpr_workitem_id 0
		.amdhsa_next_free_vgpr 101
		.amdhsa_next_free_sgpr 42
		.amdhsa_reserve_vcc 1
		.amdhsa_float_round_mode_32 0
		.amdhsa_float_round_mode_16_64 0
		.amdhsa_float_denorm_mode_32 3
		.amdhsa_float_denorm_mode_16_64 3
		.amdhsa_fp16_overflow 0
		.amdhsa_workgroup_processor_mode 1
		.amdhsa_memory_ordered 1
		.amdhsa_forward_progress 1
		.amdhsa_inst_pref_size 84
		.amdhsa_round_robin_scheduling 0
		.amdhsa_exception_fp_ieee_invalid_op 0
		.amdhsa_exception_fp_denorm_src 0
		.amdhsa_exception_fp_ieee_div_zero 0
		.amdhsa_exception_fp_ieee_overflow 0
		.amdhsa_exception_fp_ieee_underflow 0
		.amdhsa_exception_fp_ieee_inexact 0
		.amdhsa_exception_int_div_zero 0
	.end_amdhsa_kernel
	.section	.text._ZN4vllm25paged_attention_v2_kernelIffLi256ELi8ELi128ELNS_18Fp8KVCacheDataTypeE0ELb1ELi512EEEvPfS2_PT_PKS3_PKT0_S9_ifPKiSB_iPKfiiiSD_SD_iiiii,"axG",@progbits,_ZN4vllm25paged_attention_v2_kernelIffLi256ELi8ELi128ELNS_18Fp8KVCacheDataTypeE0ELb1ELi512EEEvPfS2_PT_PKS3_PKT0_S9_ifPKiSB_iPKfiiiSD_SD_iiiii,comdat
.Lfunc_end16:
	.size	_ZN4vllm25paged_attention_v2_kernelIffLi256ELi8ELi128ELNS_18Fp8KVCacheDataTypeE0ELb1ELi512EEEvPfS2_PT_PKS3_PKT0_S9_ifPKiSB_iPKfiiiSD_SD_iiiii, .Lfunc_end16-_ZN4vllm25paged_attention_v2_kernelIffLi256ELi8ELi128ELNS_18Fp8KVCacheDataTypeE0ELb1ELi512EEEvPfS2_PT_PKS3_PKT0_S9_ifPKiSB_iPKfiiiSD_SD_iiiii
                                        ; -- End function
	.set _ZN4vllm25paged_attention_v2_kernelIffLi256ELi8ELi128ELNS_18Fp8KVCacheDataTypeE0ELb1ELi512EEEvPfS2_PT_PKS3_PKT0_S9_ifPKiSB_iPKfiiiSD_SD_iiiii.num_vgpr, 101
	.set _ZN4vllm25paged_attention_v2_kernelIffLi256ELi8ELi128ELNS_18Fp8KVCacheDataTypeE0ELb1ELi512EEEvPfS2_PT_PKS3_PKT0_S9_ifPKiSB_iPKfiiiSD_SD_iiiii.num_agpr, 0
	.set _ZN4vllm25paged_attention_v2_kernelIffLi256ELi8ELi128ELNS_18Fp8KVCacheDataTypeE0ELb1ELi512EEEvPfS2_PT_PKS3_PKT0_S9_ifPKiSB_iPKfiiiSD_SD_iiiii.numbered_sgpr, 42
	.set _ZN4vllm25paged_attention_v2_kernelIffLi256ELi8ELi128ELNS_18Fp8KVCacheDataTypeE0ELb1ELi512EEEvPfS2_PT_PKS3_PKT0_S9_ifPKiSB_iPKfiiiSD_SD_iiiii.num_named_barrier, 0
	.set _ZN4vllm25paged_attention_v2_kernelIffLi256ELi8ELi128ELNS_18Fp8KVCacheDataTypeE0ELb1ELi512EEEvPfS2_PT_PKS3_PKT0_S9_ifPKiSB_iPKfiiiSD_SD_iiiii.private_seg_size, 0
	.set _ZN4vllm25paged_attention_v2_kernelIffLi256ELi8ELi128ELNS_18Fp8KVCacheDataTypeE0ELb1ELi512EEEvPfS2_PT_PKS3_PKT0_S9_ifPKiSB_iPKfiiiSD_SD_iiiii.uses_vcc, 1
	.set _ZN4vllm25paged_attention_v2_kernelIffLi256ELi8ELi128ELNS_18Fp8KVCacheDataTypeE0ELb1ELi512EEEvPfS2_PT_PKS3_PKT0_S9_ifPKiSB_iPKfiiiSD_SD_iiiii.uses_flat_scratch, 0
	.set _ZN4vllm25paged_attention_v2_kernelIffLi256ELi8ELi128ELNS_18Fp8KVCacheDataTypeE0ELb1ELi512EEEvPfS2_PT_PKS3_PKT0_S9_ifPKiSB_iPKfiiiSD_SD_iiiii.has_dyn_sized_stack, 0
	.set _ZN4vllm25paged_attention_v2_kernelIffLi256ELi8ELi128ELNS_18Fp8KVCacheDataTypeE0ELb1ELi512EEEvPfS2_PT_PKS3_PKT0_S9_ifPKiSB_iPKfiiiSD_SD_iiiii.has_recursion, 0
	.set _ZN4vllm25paged_attention_v2_kernelIffLi256ELi8ELi128ELNS_18Fp8KVCacheDataTypeE0ELb1ELi512EEEvPfS2_PT_PKS3_PKT0_S9_ifPKiSB_iPKfiiiSD_SD_iiiii.has_indirect_call, 0
	.section	.AMDGPU.csdata,"",@progbits
; Kernel info:
; codeLenInByte = 10632
; TotalNumSgprs: 44
; NumVgprs: 101
; ScratchSize: 0
; MemoryBound: 0
; FloatMode: 240
; IeeeMode: 1
; LDSByteSize: 1056 bytes/workgroup (compile time only)
; SGPRBlocks: 0
; VGPRBlocks: 12
; NumSGPRsForWavesPerEU: 44
; NumVGPRsForWavesPerEU: 101
; Occupancy: 12
; WaveLimiterHint : 1
; COMPUTE_PGM_RSRC2:SCRATCH_EN: 0
; COMPUTE_PGM_RSRC2:USER_SGPR: 2
; COMPUTE_PGM_RSRC2:TRAP_HANDLER: 0
; COMPUTE_PGM_RSRC2:TGID_X_EN: 1
; COMPUTE_PGM_RSRC2:TGID_Y_EN: 1
; COMPUTE_PGM_RSRC2:TGID_Z_EN: 1
; COMPUTE_PGM_RSRC2:TIDIG_COMP_CNT: 0
	.section	.text._ZN4vllm32paged_attention_v2_reduce_kernelIfLi256ELi128ELi512EEEvPT_PKfS4_PKS1_PKii,"axG",@progbits,_ZN4vllm32paged_attention_v2_reduce_kernelIfLi256ELi128ELi512EEEvPT_PKfS4_PKS1_PKii,comdat
	.protected	_ZN4vllm32paged_attention_v2_reduce_kernelIfLi256ELi128ELi512EEEvPT_PKfS4_PKS1_PKii ; -- Begin function _ZN4vllm32paged_attention_v2_reduce_kernelIfLi256ELi128ELi512EEEvPT_PKfS4_PKS1_PKii
	.globl	_ZN4vllm32paged_attention_v2_reduce_kernelIfLi256ELi128ELi512EEEvPT_PKfS4_PKS1_PKii
	.p2align	8
	.type	_ZN4vllm32paged_attention_v2_reduce_kernelIfLi256ELi128ELi512EEEvPT_PKfS4_PKS1_PKii,@function
_ZN4vllm32paged_attention_v2_reduce_kernelIfLi256ELi128ELi512EEEvPT_PKfS4_PKS1_PKii: ; @_ZN4vllm32paged_attention_v2_reduce_kernelIfLi256ELi128ELi512EEEvPT_PKfS4_PKS1_PKii
; %bb.0:
	s_load_b128 s[4:7], s[0:1], 0x18
	s_mov_b32 s2, ttmp7
	s_ashr_i32 s3, ttmp7, 31
	s_add_nc_u64 s[8:9], s[0:1], 48
	s_lshl_b64 s[2:3], s[2:3], 2
	s_wait_kmcnt 0x0
	s_add_nc_u64 s[2:3], s[6:7], s[2:3]
	s_load_b32 s18, s[2:3], 0x0
	s_clause 0x2
	s_load_b64 s[6:7], s[0:1], 0x0
	s_load_b32 s14, s[0:1], 0x28
	s_load_b32 s15, s[0:1], 0x30
	s_wait_kmcnt 0x0
	s_add_co_i32 s2, s18, -1
	s_delay_alu instid0(SALU_CYCLE_1)
	s_cmp_gt_u32 s2, 0x1ff
	s_mov_b32 s2, -1
	s_cbranch_scc0 .LBB17_31
; %bb.1:
	s_add_co_i32 s2, s18, 0x1ff
	s_mul_i32 s16, s15, ttmp7
	s_ashr_i32 s3, s2, 31
	v_mov_b32_e32 v3, 0xff7fffff
	s_lshr_b32 s3, s3, 23
	s_mul_i32 s10, s16, s14
	s_add_co_i32 s2, s2, s3
	s_mul_i32 s12, s14, ttmp9
	s_ashr_i32 s17, s2, 9
	s_ashr_i32 s11, s10, 31
	v_cmp_gt_i32_e32 vcc_lo, s17, v0
	s_ashr_i32 s13, s12, 31
	s_and_saveexec_b32 s3, vcc_lo
	s_cbranch_execz .LBB17_5
; %bb.2:
	s_load_b64 s[20:21], s[0:1], 0x10
	s_load_b32 s2, s[8:9], 0xc
	s_lshl_b64 s[22:23], s[10:11], 2
	s_lshl_b64 s[24:25], s[12:13], 2
	v_lshlrev_b32_e32 v1, 2, v0
	s_add_nc_u64 s[22:23], s[22:23], s[24:25]
	v_mov_b32_e32 v3, 0xff7fffff
	s_delay_alu instid0(VALU_DEP_2) | instskip(SKIP_2) | instid1(SALU_CYCLE_1)
	v_dual_mov_b32 v5, v0 :: v_dual_add_nc_u32 v4, 32, v1
	s_wait_kmcnt 0x0
	s_add_nc_u64 s[20:21], s[20:21], s[22:23]
	v_add_co_u32 v1, s19, s20, v1
	s_delay_alu instid0(VALU_DEP_1)
	v_add_co_ci_u32_e64 v2, null, s21, 0, s19
	s_and_b32 s20, s2, 0xffff
	s_mov_b32 s19, 0
	s_wait_alu 0xfffe
	s_lshl_b32 s21, s20, 2
.LBB17_3:                               ; =>This Inner Loop Header: Depth=1
	global_load_b32 v6, v[1:2], off
	v_add_nc_u32_e32 v5, s20, v5
	v_max_num_f32_e32 v3, v3, v3
	s_wait_alu 0xfffe
	v_add_co_u32 v1, s2, v1, s21
	s_wait_alu 0xf1ff
	v_add_co_ci_u32_e64 v2, null, 0, v2, s2
	v_cmp_le_i32_e64 s2, s17, v5
	s_or_b32 s19, s2, s19
	s_wait_loadcnt 0x0
	v_max_num_f32_e32 v7, v6, v6
	ds_store_b32 v4, v6
	v_dual_max_num_f32 v3, v3, v7 :: v_dual_add_nc_u32 v4, s21, v4
	s_wait_alu 0xfffe
	s_and_not1_b32 exec_lo, exec_lo, s19
	s_cbranch_execnz .LBB17_3
; %bb.4:
	s_or_b32 exec_lo, exec_lo, s19
.LBB17_5:
	s_delay_alu instid0(SALU_CYCLE_1)
	s_or_b32 exec_lo, exec_lo, s3
	v_mbcnt_lo_u32_b32 v1, -1, 0
	s_load_b64 s[2:3], s[0:1], 0x8
	s_wait_dscnt 0x0
	s_barrier_signal -1
	s_barrier_wait -1
	v_xor_b32_e32 v2, 16, v1
	v_xor_b32_e32 v4, 8, v1
	global_inv scope:SCOPE_SE
	v_cmp_gt_i32_e64 s0, 32, v2
	s_delay_alu instid0(VALU_DEP_1) | instskip(SKIP_1) | instid1(VALU_DEP_2)
	v_cndmask_b32_e64 v2, v1, v2, s0
	v_cmp_gt_i32_e64 s0, 32, v4
	v_lshlrev_b32_e32 v5, 2, v2
	s_wait_alu 0xf1ff
	s_delay_alu instid0(VALU_DEP_2) | instskip(SKIP_4) | instid1(VALU_DEP_2)
	v_cndmask_b32_e64 v4, v1, v4, s0
	ds_bpermute_b32 v2, v5, v3
	v_lshlrev_b32_e32 v6, 2, v4
	v_xor_b32_e32 v4, 4, v1
	v_max_num_f32_e32 v3, v3, v3
	v_cmp_gt_i32_e64 s0, 32, v4
	s_wait_alu 0xf1ff
	s_delay_alu instid0(VALU_DEP_1) | instskip(NEXT) | instid1(VALU_DEP_1)
	v_cndmask_b32_e64 v4, v1, v4, s0
	v_lshlrev_b32_e32 v7, 2, v4
	v_xor_b32_e32 v4, 2, v1
	s_wait_dscnt 0x0
	v_max_num_f32_e32 v2, v2, v2
	s_delay_alu instid0(VALU_DEP_2) | instskip(NEXT) | instid1(VALU_DEP_2)
	v_cmp_gt_i32_e64 s0, 32, v4
	v_max_num_f32_e32 v2, v3, v2
	s_wait_alu 0xf1ff
	s_delay_alu instid0(VALU_DEP_2) | instskip(SKIP_3) | instid1(VALU_DEP_1)
	v_cndmask_b32_e64 v4, v1, v4, s0
	ds_bpermute_b32 v3, v6, v2
	s_wait_dscnt 0x0
	v_max_num_f32_e32 v3, v3, v3
	v_max_num_f32_e32 v2, v2, v3
	ds_bpermute_b32 v3, v7, v2
	s_wait_dscnt 0x0
	v_dual_max_num_f32 v8, v3, v3 :: v_dual_lshlrev_b32 v3, 2, v4
	s_delay_alu instid0(VALU_DEP_1) | instskip(SKIP_4) | instid1(VALU_DEP_1)
	v_max_num_f32_e32 v2, v2, v8
	v_xor_b32_e32 v8, 1, v1
	ds_bpermute_b32 v4, v3, v2
	v_cmp_gt_i32_e64 s0, 32, v8
	s_wait_alu 0xf1ff
	v_cndmask_b32_e64 v1, v1, v8, s0
	v_lshrrev_b32_e32 v8, 5, v0
	s_delay_alu instid0(VALU_DEP_1) | instskip(SKIP_2) | instid1(VALU_DEP_1)
	v_lshlrev_b32_e32 v8, 2, v8
	s_wait_dscnt 0x0
	v_max_num_f32_e32 v4, v4, v4
	v_max_num_f32_e32 v2, v2, v4
	v_lshlrev_b32_e32 v4, 2, v1
	v_and_b32_e32 v1, 31, v0
	ds_bpermute_b32 v9, v4, v2
	v_cmp_eq_u32_e64 s0, 0, v1
	s_and_saveexec_b32 s1, s0
	s_cbranch_execz .LBB17_7
; %bb.6:
	s_wait_dscnt 0x0
	v_dual_max_num_f32 v9, v9, v9 :: v_dual_max_num_f32 v2, v2, v2
	s_delay_alu instid0(VALU_DEP_1)
	v_max_num_f32_e32 v2, v2, v9
	ds_store_b32 v8, v2
.LBB17_7:
	s_wait_alu 0xfffe
	s_or_b32 exec_lo, exec_lo, s1
	v_cmp_gt_u32_e64 s1, 4, v1
	s_wait_dscnt 0x0
	v_dual_mov_b32 v2, 0xff7fffff :: v_dual_lshlrev_b32 v9, 2, v1
	s_wait_loadcnt 0x0
	s_barrier_signal -1
	s_barrier_wait -1
	global_inv scope:SCOPE_SE
	s_and_saveexec_b32 s19, s1
; %bb.8:
	ds_load_b32 v2, v9
; %bb.9:
	s_wait_alu 0xfffe
	s_or_b32 exec_lo, exec_lo, s19
	s_wait_dscnt 0x0
	ds_bpermute_b32 v1, v3, v2
	v_max_num_f32_e32 v2, v2, v2
	s_lshl_b32 s19, s17, 2
	s_wait_dscnt 0x0
	v_dual_mov_b32 v10, 0 :: v_dual_max_num_f32 v1, v1, v1
	s_delay_alu instid0(VALU_DEP_1) | instskip(SKIP_3) | instid1(VALU_DEP_1)
	v_max_num_f32_e32 v1, v2, v1
	ds_bpermute_b32 v2, v4, v1
	s_wait_dscnt 0x0
	v_max_num_f32_e32 v2, v2, v2
	v_max_num_f32_e32 v1, v1, v2
	ds_bpermute_b32 v11, v10, v1
	s_and_saveexec_b32 s20, vcc_lo
	s_cbranch_execz .LBB17_13
; %bb.10:
	s_load_b32 s21, s[8:9], 0xc
	s_lshl_b64 s[22:23], s[10:11], 2
	s_lshl_b64 s[24:25], s[12:13], 2
	v_dual_mov_b32 v13, v0 :: v_dual_lshlrev_b32 v12, 2, v0
	s_add_nc_u64 s[22:23], s[22:23], s[24:25]
	v_mov_b32_e32 v10, 0
	s_wait_kmcnt 0x0
	s_add_nc_u64 s[2:3], s[2:3], s[22:23]
	s_wait_alu 0xfffe
	v_add_co_u32 v1, s2, s2, v12
	s_wait_alu 0xf1ff
	v_add_co_ci_u32_e64 v2, null, s3, 0, s2
	v_add_nc_u32_e32 v12, 32, v12
	s_mov_b32 s3, 0
	s_and_b32 s11, s21, 0xffff
	s_delay_alu instid0(SALU_CYCLE_1)
	s_lshl_b32 s13, s11, 2
.LBB17_11:                              ; =>This Inner Loop Header: Depth=1
	global_load_b32 v14, v[1:2], off
	ds_load_b32 v15, v12
	s_wait_dscnt 0x0
	v_sub_f32_e32 v15, v15, v11
	s_delay_alu instid0(VALU_DEP_1) | instskip(NEXT) | instid1(VALU_DEP_1)
	v_mul_f32_e32 v16, 0x3fb8aa3b, v15
	v_fma_f32 v17, 0x3fb8aa3b, v15, -v16
	v_rndne_f32_e32 v18, v16
	s_delay_alu instid0(VALU_DEP_1) | instskip(SKIP_1) | instid1(VALU_DEP_4)
	v_sub_f32_e32 v16, v16, v18
	v_cmp_ngt_f32_e32 vcc_lo, 0xc2ce8ed0, v15
	v_fmac_f32_e32 v17, 0x32a5705f, v15
	v_cmp_nlt_f32_e64 s2, 0x42b17218, v15
	s_delay_alu instid0(VALU_DEP_2) | instskip(SKIP_1) | instid1(VALU_DEP_2)
	v_add_f32_e32 v16, v16, v17
	v_cvt_i32_f32_e32 v17, v18
	v_exp_f32_e32 v16, v16
	s_delay_alu instid0(TRANS32_DEP_1) | instskip(SKIP_3) | instid1(VALU_DEP_3)
	v_ldexp_f32 v16, v16, v17
	v_add_nc_u32_e32 v17, s19, v12
	v_add_nc_u32_e32 v12, s13, v12
	s_wait_alu 0xfffd
	v_cndmask_b32_e32 v16, 0, v16, vcc_lo
	v_add_co_u32 v1, vcc_lo, v1, s13
	s_wait_alu 0xfffd
	v_add_co_ci_u32_e64 v2, null, 0, v2, vcc_lo
	s_wait_alu 0xf1ff
	v_cndmask_b32_e64 v15, 0x7f800000, v16, s2
	s_wait_loadcnt 0x0
	s_delay_alu instid0(VALU_DEP_1) | instskip(NEXT) | instid1(VALU_DEP_1)
	v_dual_mul_f32 v16, v14, v15 :: v_dual_add_nc_u32 v13, s11, v13
	v_cmp_le_i32_e32 vcc_lo, s17, v13
	v_fmac_f32_e32 v10, v14, v15
	ds_store_b32 v17, v16
	s_wait_alu 0xfffe
	s_or_b32 s3, vcc_lo, s3
	s_wait_alu 0xfffe
	s_and_not1_b32 exec_lo, exec_lo, s3
	s_cbranch_execnz .LBB17_11
; %bb.12:
	s_or_b32 exec_lo, exec_lo, s3
.LBB17_13:
	s_wait_alu 0xfffe
	s_or_b32 exec_lo, exec_lo, s20
	ds_bpermute_b32 v1, v5, v10
	s_wait_loadcnt_dscnt 0x0
	s_barrier_signal -1
	s_barrier_wait -1
	global_inv scope:SCOPE_SE
	v_add_f32_e32 v1, v10, v1
	ds_bpermute_b32 v2, v6, v1
	s_wait_dscnt 0x0
	v_add_f32_e32 v1, v1, v2
	ds_bpermute_b32 v2, v7, v1
	s_wait_dscnt 0x0
	;; [unrolled: 3-line block ×4, first 2 shown]
	v_add_f32_e32 v1, v1, v2
	s_wait_kmcnt 0x0
	s_and_saveexec_b32 s2, s0
; %bb.14:
	ds_store_b32 v8, v1 offset:16
; %bb.15:
	s_wait_alu 0xfffe
	s_or_b32 exec_lo, exec_lo, s2
	s_wait_loadcnt_dscnt 0x0
	s_barrier_signal -1
	s_barrier_wait -1
	global_inv scope:SCOPE_SE
	s_and_saveexec_b32 s0, s1
; %bb.16:
	ds_load_b32 v1, v9 offset:16
; %bb.17:
	s_wait_alu 0xfffe
	s_or_b32 exec_lo, exec_lo, s0
	s_wait_dscnt 0x0
	ds_bpermute_b32 v2, v3, v1
	s_mov_b32 s11, exec_lo
	s_wait_dscnt 0x0
	v_add_f32_e32 v1, v1, v2
	ds_bpermute_b32 v2, v4, v1
	s_wait_dscnt 0x0
	v_dual_add_f32 v1, v1, v2 :: v_dual_mov_b32 v2, 0
	ds_bpermute_b32 v1, v2, v1
	v_cmpx_gt_u32_e32 0x100, v0
	s_cbranch_execz .LBB17_30
; %bb.18:
	s_wait_dscnt 0x0
	v_add_f32_e32 v2, 0x358637bd, v1
	s_lshl_b32 s0, s10, 8
	s_lshl_b32 s2, s12, 8
	s_wait_alu 0xfffe
	s_ashr_i32 s1, s0, 31
	s_ashr_i32 s3, s2, 31
	v_div_scale_f32 v1, null, v2, v2, 1.0
	s_cmp_gt_i32 s18, 0
	s_mov_b32 s12, 0
	s_cselect_b32 s13, -1, 0
	v_rcp_f32_e32 v3, v1
	s_delay_alu instid0(TRANS32_DEP_1) | instskip(NEXT) | instid1(VALU_DEP_1)
	v_fma_f32 v4, -v1, v3, 1.0
	v_fmac_f32_e32 v3, v4, v3
	v_div_scale_f32 v5, vcc_lo, 1.0, v2, 1.0
	s_delay_alu instid0(VALU_DEP_1) | instskip(NEXT) | instid1(VALU_DEP_1)
	v_mul_f32_e32 v4, v5, v3
	v_fma_f32 v6, -v1, v4, v5
	s_delay_alu instid0(VALU_DEP_1) | instskip(NEXT) | instid1(VALU_DEP_1)
	v_fmac_f32_e32 v4, v6, v3
	v_fma_f32 v1, -v1, v4, v5
	s_wait_alu 0xfffd
	s_delay_alu instid0(VALU_DEP_1)
	v_div_fmas_f32 v3, v1, v3, v4
	s_wait_alu 0xfffe
	s_and_b32 vcc_lo, exec_lo, s13
	s_wait_alu 0xfffe
	s_cbranch_vccnz .LBB17_20
; %bb.19:
	v_mov_b32_e32 v1, 0
	s_branch .LBB17_21
.LBB17_20:
	s_mov_b32 s12, -1
.LBB17_21:
	v_div_fixup_f32 v5, v3, v2, 1.0
	v_mov_b32_e32 v6, 0
	s_add_co_i32 s10, s19, 32
	s_wait_alu 0xfffe
	s_and_not1_b32 vcc_lo, exec_lo, s12
	s_max_i32 s12, s17, 1
	s_wait_alu 0xfffe
	s_cbranch_vccnz .LBB17_24
; %bb.22:
	s_lshl_b64 s[18:19], s[0:1], 2
	s_lshl_b64 s[20:21], s[2:3], 2
	v_dual_mov_b32 v1, 0 :: v_dual_lshlrev_b32 v2, 2, v0
	s_wait_alu 0xfffe
	s_add_nc_u64 s[18:19], s[18:19], s[20:21]
	s_wait_alu 0xfffe
	s_add_nc_u64 s[18:19], s[4:5], s[18:19]
	s_wait_alu 0xfffe
	v_add_co_u32 v2, s17, s18, v2
	s_wait_alu 0xf1ff
	v_add_co_ci_u32_e64 v3, null, s19, 0, s17
	v_mov_b32_e32 v6, v1
	s_mov_b32 s17, s10
	s_mov_b32 s18, s12
.LBB17_23:                              ; =>This Inner Loop Header: Depth=1
	global_load_b32 v4, v[2:3], off
	s_wait_alu 0xfffe
	v_mov_b32_e32 v7, s17
	v_add_co_u32 v2, vcc_lo, 0x400, v2
	s_wait_alu 0xfffd
	v_add_co_ci_u32_e64 v3, null, 0, v3, vcc_lo
	ds_load_b32 v7, v7
	s_add_co_i32 s18, s18, -1
	s_add_co_i32 s17, s17, 4
	s_wait_alu 0xfffe
	s_cmp_eq_u32 s18, 0
	s_wait_loadcnt_dscnt 0x0
	v_mul_f32_e32 v4, v4, v7
	s_delay_alu instid0(VALU_DEP_1)
	v_fmac_f32_e32 v6, v5, v4
	s_cbranch_scc0 .LBB17_23
.LBB17_24:
	s_lshl_b32 s16, s16, 8
	s_lshl_b32 s18, ttmp9, 8
	s_wait_alu 0xfffe
	s_ashr_i32 s17, s16, 31
	s_ashr_i32 s19, s18, 31
	s_wait_alu 0xfffe
	s_lshl_b64 s[16:17], s[16:17], 2
	v_lshlrev_b64_e32 v[3:4], 2, v[0:1]
	s_lshl_b64 s[18:19], s[18:19], 2
	s_wait_alu 0xfffe
	s_add_nc_u64 s[16:17], s[6:7], s[16:17]
	s_wait_alu 0xfffe
	s_add_nc_u64 s[16:17], s[16:17], s[18:19]
	s_wait_alu 0xfffe
	v_add_co_u32 v1, vcc_lo, s16, v3
	s_wait_alu 0xfffd
	v_add_co_ci_u32_e64 v2, null, s17, v4, vcc_lo
	v_cmp_gt_u32_e32 vcc_lo, 0x80, v0
	global_store_b32 v[1:2], v6, off
	s_and_b32 exec_lo, exec_lo, vcc_lo
	s_cbranch_execz .LBB17_30
; %bb.25:
	s_and_not1_b32 vcc_lo, exec_lo, s13
	s_wait_alu 0xfffe
	s_cbranch_vccnz .LBB17_28
; %bb.26:
	s_lshl_b64 s[0:1], s[0:1], 2
	s_lshl_b64 s[2:3], s[2:3], 2
	v_mov_b32_e32 v6, 0
	s_wait_alu 0xfffe
	s_add_nc_u64 s[0:1], s[0:1], s[2:3]
	s_wait_alu 0xfffe
	s_add_nc_u64 s[0:1], s[4:5], s[0:1]
	s_wait_alu 0xfffe
	v_add_co_u32 v3, vcc_lo, s0, v3
	s_wait_alu 0xfffd
	v_add_co_ci_u32_e64 v4, null, s1, v4, vcc_lo
	s_delay_alu instid0(VALU_DEP_2) | instskip(SKIP_1) | instid1(VALU_DEP_2)
	v_add_co_u32 v3, vcc_lo, 0x200, v3
	s_wait_alu 0xfffd
	v_add_co_ci_u32_e64 v4, null, 0, v4, vcc_lo
.LBB17_27:                              ; =>This Inner Loop Header: Depth=1
	global_load_b32 v7, v[3:4], off
	v_mov_b32_e32 v8, s10
	v_add_co_u32 v3, vcc_lo, 0x400, v3
	s_wait_alu 0xfffd
	v_add_co_ci_u32_e64 v4, null, 0, v4, vcc_lo
	ds_load_b32 v8, v8
	s_add_co_i32 s12, s12, -1
	s_add_co_i32 s10, s10, 4
	s_wait_alu 0xfffe
	s_cmp_lg_u32 s12, 0
	s_wait_loadcnt_dscnt 0x0
	v_mul_f32_e32 v7, v7, v8
	s_delay_alu instid0(VALU_DEP_1)
	v_fmac_f32_e32 v6, v5, v7
	s_cbranch_scc1 .LBB17_27
	s_branch .LBB17_29
.LBB17_28:
	v_mov_b32_e32 v6, 0
.LBB17_29:
	global_store_b32 v[1:2], v6, off offset:512
.LBB17_30:
	s_wait_alu 0xfffe
	s_or_b32 exec_lo, exec_lo, s11
	s_mov_b32 s2, 0
.LBB17_31:
	s_wait_alu 0xfffe
	s_and_b32 vcc_lo, exec_lo, s2
	s_wait_alu 0xfffe
	s_cbranch_vccz .LBB17_35
; %bb.32:
	s_mov_b32 s0, exec_lo
	v_cmpx_gt_u32_e32 0x100, v0
	s_cbranch_execz .LBB17_35
; %bb.33:
	s_load_b32 s10, s[8:9], 0xc
	s_mul_i32 s15, s15, ttmp7
	s_lshl_b32 s2, ttmp9, 8
	s_lshl_b32 s0, s15, 8
	s_mul_i32 s8, s14, s15
	s_wait_alu 0xfffe
	s_ashr_i32 s1, s0, 31
	s_mul_i32 s14, s14, ttmp9
	s_wait_alu 0xfffe
	s_lshl_b64 s[0:1], s[0:1], 2
	s_ashr_i32 s3, s2, 31
	s_wait_alu 0xfffe
	s_add_nc_u64 s[0:1], s[6:7], s[0:1]
	s_lshl_b32 s6, s8, 8
	s_lshl_b32 s8, s14, 8
	s_ashr_i32 s7, s6, 31
	s_lshl_b64 s[2:3], s[2:3], 2
	s_lshl_b64 s[6:7], s[6:7], 2
	s_ashr_i32 s9, s8, 31
	s_wait_dscnt 0x0
	v_dual_mov_b32 v2, 0 :: v_dual_lshlrev_b32 v1, 2, v0
	s_add_nc_u64 s[4:5], s[4:5], s[6:7]
	s_lshl_b64 s[6:7], s[8:9], 2
	s_wait_alu 0xfffe
	s_add_nc_u64 s[2:3], s[0:1], s[2:3]
	s_wait_kmcnt 0x0
	s_and_b32 s1, s10, 0xffff
	s_add_nc_u64 s[4:5], s[4:5], s[6:7]
	s_mov_b32 s6, 0
	s_wait_alu 0xfffe
	s_lshl_b32 s7, s1, 2
.LBB17_34:                              ; =>This Inner Loop Header: Depth=1
	v_add_co_u32 v3, vcc_lo, s4, v1
	s_wait_alu 0xfffd
	v_add_co_ci_u32_e64 v4, null, s5, v2, vcc_lo
	v_add_nc_u32_e32 v0, s1, v0
	global_load_b32 v5, v[3:4], off
	v_add_co_u32 v3, vcc_lo, s2, v1
	s_wait_alu 0xfffd
	v_add_co_ci_u32_e64 v4, null, s3, v2, vcc_lo
	v_cmp_lt_u32_e32 vcc_lo, 0xff, v0
	v_add_co_u32 v1, s0, v1, s7
	s_wait_alu 0xf1ff
	v_add_co_ci_u32_e64 v2, null, 0, v2, s0
	s_or_b32 s6, vcc_lo, s6
	s_wait_loadcnt 0x0
	global_store_b32 v[3:4], v5, off
	s_wait_alu 0xfffe
	s_and_not1_b32 exec_lo, exec_lo, s6
	s_cbranch_execnz .LBB17_34
.LBB17_35:
	s_endpgm
	.section	.rodata,"a",@progbits
	.p2align	6, 0x0
	.amdhsa_kernel _ZN4vllm32paged_attention_v2_reduce_kernelIfLi256ELi128ELi512EEEvPT_PKfS4_PKS1_PKii
		.amdhsa_group_segment_fixed_size 32
		.amdhsa_private_segment_fixed_size 0
		.amdhsa_kernarg_size 304
		.amdhsa_user_sgpr_count 2
		.amdhsa_user_sgpr_dispatch_ptr 0
		.amdhsa_user_sgpr_queue_ptr 0
		.amdhsa_user_sgpr_kernarg_segment_ptr 1
		.amdhsa_user_sgpr_dispatch_id 0
		.amdhsa_user_sgpr_private_segment_size 0
		.amdhsa_wavefront_size32 1
		.amdhsa_uses_dynamic_stack 0
		.amdhsa_enable_private_segment 0
		.amdhsa_system_sgpr_workgroup_id_x 1
		.amdhsa_system_sgpr_workgroup_id_y 1
		.amdhsa_system_sgpr_workgroup_id_z 0
		.amdhsa_system_sgpr_workgroup_info 0
		.amdhsa_system_vgpr_workitem_id 0
		.amdhsa_next_free_vgpr 19
		.amdhsa_next_free_sgpr 26
		.amdhsa_reserve_vcc 1
		.amdhsa_float_round_mode_32 0
		.amdhsa_float_round_mode_16_64 0
		.amdhsa_float_denorm_mode_32 3
		.amdhsa_float_denorm_mode_16_64 3
		.amdhsa_fp16_overflow 0
		.amdhsa_workgroup_processor_mode 1
		.amdhsa_memory_ordered 1
		.amdhsa_forward_progress 1
		.amdhsa_inst_pref_size 19
		.amdhsa_round_robin_scheduling 0
		.amdhsa_exception_fp_ieee_invalid_op 0
		.amdhsa_exception_fp_denorm_src 0
		.amdhsa_exception_fp_ieee_div_zero 0
		.amdhsa_exception_fp_ieee_overflow 0
		.amdhsa_exception_fp_ieee_underflow 0
		.amdhsa_exception_fp_ieee_inexact 0
		.amdhsa_exception_int_div_zero 0
	.end_amdhsa_kernel
	.section	.text._ZN4vllm32paged_attention_v2_reduce_kernelIfLi256ELi128ELi512EEEvPT_PKfS4_PKS1_PKii,"axG",@progbits,_ZN4vllm32paged_attention_v2_reduce_kernelIfLi256ELi128ELi512EEEvPT_PKfS4_PKS1_PKii,comdat
.Lfunc_end17:
	.size	_ZN4vllm32paged_attention_v2_reduce_kernelIfLi256ELi128ELi512EEEvPT_PKfS4_PKS1_PKii, .Lfunc_end17-_ZN4vllm32paged_attention_v2_reduce_kernelIfLi256ELi128ELi512EEEvPT_PKfS4_PKS1_PKii
                                        ; -- End function
	.set _ZN4vllm32paged_attention_v2_reduce_kernelIfLi256ELi128ELi512EEEvPT_PKfS4_PKS1_PKii.num_vgpr, 19
	.set _ZN4vllm32paged_attention_v2_reduce_kernelIfLi256ELi128ELi512EEEvPT_PKfS4_PKS1_PKii.num_agpr, 0
	.set _ZN4vllm32paged_attention_v2_reduce_kernelIfLi256ELi128ELi512EEEvPT_PKfS4_PKS1_PKii.numbered_sgpr, 26
	.set _ZN4vllm32paged_attention_v2_reduce_kernelIfLi256ELi128ELi512EEEvPT_PKfS4_PKS1_PKii.num_named_barrier, 0
	.set _ZN4vllm32paged_attention_v2_reduce_kernelIfLi256ELi128ELi512EEEvPT_PKfS4_PKS1_PKii.private_seg_size, 0
	.set _ZN4vllm32paged_attention_v2_reduce_kernelIfLi256ELi128ELi512EEEvPT_PKfS4_PKS1_PKii.uses_vcc, 1
	.set _ZN4vllm32paged_attention_v2_reduce_kernelIfLi256ELi128ELi512EEEvPT_PKfS4_PKS1_PKii.uses_flat_scratch, 0
	.set _ZN4vllm32paged_attention_v2_reduce_kernelIfLi256ELi128ELi512EEEvPT_PKfS4_PKS1_PKii.has_dyn_sized_stack, 0
	.set _ZN4vllm32paged_attention_v2_reduce_kernelIfLi256ELi128ELi512EEEvPT_PKfS4_PKS1_PKii.has_recursion, 0
	.set _ZN4vllm32paged_attention_v2_reduce_kernelIfLi256ELi128ELi512EEEvPT_PKfS4_PKS1_PKii.has_indirect_call, 0
	.section	.AMDGPU.csdata,"",@progbits
; Kernel info:
; codeLenInByte = 2372
; TotalNumSgprs: 28
; NumVgprs: 19
; ScratchSize: 0
; MemoryBound: 0
; FloatMode: 240
; IeeeMode: 1
; LDSByteSize: 32 bytes/workgroup (compile time only)
; SGPRBlocks: 0
; VGPRBlocks: 2
; NumSGPRsForWavesPerEU: 28
; NumVGPRsForWavesPerEU: 19
; Occupancy: 16
; WaveLimiterHint : 0
; COMPUTE_PGM_RSRC2:SCRATCH_EN: 0
; COMPUTE_PGM_RSRC2:USER_SGPR: 2
; COMPUTE_PGM_RSRC2:TRAP_HANDLER: 0
; COMPUTE_PGM_RSRC2:TGID_X_EN: 1
; COMPUTE_PGM_RSRC2:TGID_Y_EN: 1
; COMPUTE_PGM_RSRC2:TGID_Z_EN: 0
; COMPUTE_PGM_RSRC2:TIDIG_COMP_CNT: 0
	.section	.text._ZN4vllm25paged_attention_v2_kernelIffLi32ELi8ELi128ELNS_18Fp8KVCacheDataTypeE0ELb0ELi512EEEvPfS2_PT_PKS3_PKT0_S9_ifPKiSB_iPKfiiiSD_SD_iiiii,"axG",@progbits,_ZN4vllm25paged_attention_v2_kernelIffLi32ELi8ELi128ELNS_18Fp8KVCacheDataTypeE0ELb0ELi512EEEvPfS2_PT_PKS3_PKT0_S9_ifPKiSB_iPKfiiiSD_SD_iiiii,comdat
	.protected	_ZN4vllm25paged_attention_v2_kernelIffLi32ELi8ELi128ELNS_18Fp8KVCacheDataTypeE0ELb0ELi512EEEvPfS2_PT_PKS3_PKT0_S9_ifPKiSB_iPKfiiiSD_SD_iiiii ; -- Begin function _ZN4vllm25paged_attention_v2_kernelIffLi32ELi8ELi128ELNS_18Fp8KVCacheDataTypeE0ELb0ELi512EEEvPfS2_PT_PKS3_PKT0_S9_ifPKiSB_iPKfiiiSD_SD_iiiii
	.globl	_ZN4vllm25paged_attention_v2_kernelIffLi32ELi8ELi128ELNS_18Fp8KVCacheDataTypeE0ELb0ELi512EEEvPfS2_PT_PKS3_PKT0_S9_ifPKiSB_iPKfiiiSD_SD_iiiii
	.p2align	8
	.type	_ZN4vllm25paged_attention_v2_kernelIffLi32ELi8ELi128ELNS_18Fp8KVCacheDataTypeE0ELb0ELi512EEEvPfS2_PT_PKS3_PKT0_S9_ifPKiSB_iPKfiiiSD_SD_iiiii,@function
_ZN4vllm25paged_attention_v2_kernelIffLi32ELi8ELi128ELNS_18Fp8KVCacheDataTypeE0ELb0ELi512EEEvPfS2_PT_PKS3_PKT0_S9_ifPKiSB_iPKfiiiSD_SD_iiiii: ; @_ZN4vllm25paged_attention_v2_kernelIffLi32ELi8ELi128ELNS_18Fp8KVCacheDataTypeE0ELb0ELi512EEEvPfS2_PT_PKS3_PKT0_S9_ifPKiSB_iPKfiiiSD_SD_iiiii
; %bb.0:
	s_load_b64 s[2:3], s[0:1], 0x40
	s_and_b32 s27, ttmp7, 0xffff
	s_lshr_b32 s24, ttmp7, 16
	s_lshl_b32 s4, s27, 2
	s_lshl_b32 s26, s24, 9
	s_wait_kmcnt 0x0
	s_load_b32 s25, s[2:3], s4 offset:0x0
	s_wait_kmcnt 0x0
	s_cmp_ge_i32 s26, s25
	s_cbranch_scc1 .LBB18_56
; %bb.1:
	s_clause 0x1
	s_load_b32 s28, s[0:1], 0x90
	s_load_b64 s[6:7], s[0:1], 0x30
	s_wait_kmcnt 0x0
	s_abs_i32 s5, s28
	s_abs_i32 s2, s6
	s_delay_alu instid0(SALU_CYCLE_1) | instskip(SKIP_1) | instid1(SALU_CYCLE_2)
	s_cvt_f32_u32 s3, s2
	s_sub_co_i32 s4, 0, s2
	v_rcp_iflag_f32_e32 v1, s3
	s_delay_alu instid0(TRANS32_DEP_1) | instskip(SKIP_2) | instid1(SALU_CYCLE_2)
	v_readfirstlane_b32 s3, v1
	s_mul_f32 s3, s3, 0x4f7ffffe
	s_wait_alu 0xfffe
	s_cvt_u32_f32 s3, s3
	s_wait_alu 0xfffe
	s_delay_alu instid0(SALU_CYCLE_2) | instskip(NEXT) | instid1(SALU_CYCLE_1)
	s_mul_i32 s4, s4, s3
	s_mul_hi_u32 s4, s3, s4
	s_delay_alu instid0(SALU_CYCLE_1)
	s_add_co_i32 s3, s3, s4
	s_xor_b32 s4, s28, s6
	s_wait_alu 0xfffe
	s_mul_hi_u32 s3, s5, s3
	s_ashr_i32 s4, s4, 31
	s_wait_alu 0xfffe
	s_mul_i32 s6, s3, s2
	s_delay_alu instid0(SALU_CYCLE_1)
	s_sub_co_i32 s5, s5, s6
	s_add_co_i32 s6, s3, 1
	s_sub_co_i32 s8, s5, s2
	s_cmp_ge_u32 s5, s2
	s_cselect_b32 s3, s6, s3
	s_cselect_b32 s5, s8, s5
	s_wait_alu 0xfffe
	s_add_co_i32 s6, s3, 1
	s_cmp_ge_u32 s5, s2
	s_load_b64 s[8:9], s[0:1], 0x50
	s_cselect_b32 s2, s6, s3
	s_mov_b32 s5, 0
	s_wait_alu 0xfffe
	s_xor_b32 s2, s2, s4
	s_mov_b32 s10, s5
	s_wait_alu 0xfffe
	s_sub_co_i32 s11, s2, s4
	s_abs_i32 s4, ttmp9
	s_abs_i32 s6, s11
	s_delay_alu instid0(SALU_CYCLE_1) | instskip(SKIP_2) | instid1(SALU_CYCLE_1)
	s_cvt_f32_u32 s2, s6
	s_sub_co_i32 s3, 0, s6
	s_wait_alu 0xfffe
	v_rcp_iflag_f32_e32 v1, s2
	s_delay_alu instid0(TRANS32_DEP_1) | instskip(SKIP_2) | instid1(SALU_CYCLE_2)
	v_readfirstlane_b32 s2, v1
	s_mul_f32 s2, s2, 0x4f7ffffe
	s_wait_alu 0xfffe
	s_cvt_u32_f32 s2, s2
	s_wait_alu 0xfffe
	s_delay_alu instid0(SALU_CYCLE_2)
	s_mul_i32 s3, s3, s2
	s_wait_alu 0xfffe
	s_mul_hi_u32 s3, s2, s3
	s_wait_alu 0xfffe
	s_add_co_i32 s2, s2, s3
	s_mov_b32 s3, s5
	s_wait_kmcnt 0x0
	s_cmp_eq_u64 s[8:9], 0
	s_cbranch_scc1 .LBB18_3
; %bb.2:
	s_mov_b32 s12, ttmp9
	s_ashr_i32 s13, ttmp9, 31
	s_delay_alu instid0(SALU_CYCLE_1) | instskip(NEXT) | instid1(SALU_CYCLE_1)
	s_lshl_b64 s[12:13], s[12:13], 2
	s_add_nc_u64 s[8:9], s[8:9], s[12:13]
	s_load_b32 s10, s[8:9], 0x0
.LBB18_3:
	s_load_b96 s[12:14], s[0:1], 0x58
	s_mul_u64 s[2:3], s[4:5], s[2:3]
	v_and_b32_e32 v9, 3, v0
	v_cmp_gt_u32_e64 s2, 32, v0
	v_lshlrev_b32_e32 v11, 2, v0
	s_ashr_i32 s5, ttmp9, 31
	s_ashr_i32 s8, s11, 31
	s_lshl_b32 s16, ttmp9, 5
	s_wait_alu 0xfffe
	s_and_saveexec_b32 s9, s2
	s_cbranch_execz .LBB18_5
; %bb.4:
	s_load_b64 s[18:19], s[0:1], 0x18
	s_wait_kmcnt 0x0
	s_mul_i32 s20, s12, s27
	s_ashr_i32 s17, s16, 31
	s_ashr_i32 s21, s20, 31
	v_and_b32_e32 v2, 0x3fc, v0
	s_lshl_b64 s[20:21], s[20:21], 2
	s_delay_alu instid0(VALU_DEP_1) | instskip(SKIP_2) | instid1(SALU_CYCLE_1)
	v_lshl_add_u32 v2, v9, 5, v2
	s_add_nc_u64 s[18:19], s[18:19], s[20:21]
	s_lshl_b64 s[20:21], s[16:17], 2
	s_add_nc_u64 s[18:19], s[18:19], s[20:21]
	global_load_b32 v1, v11, s[18:19]
	s_wait_loadcnt 0x0
	ds_store_b32 v2, v1
.LBB18_5:
	s_or_b32 exec_lo, exec_lo, s9
	s_add_co_i32 s9, s25, 7
	s_xor_b32 s5, s5, s8
	s_ashr_i32 s11, s9, 31
	s_lshl_b32 s30, s24, 6
	s_lshr_b32 s8, s11, 29
	s_mul_i32 s11, s3, s6
	s_add_co_i32 s9, s9, s8
	s_add_co_i32 s8, s30, 64
	s_ashr_i32 s29, s9, 3
	s_load_b32 s9, s[0:1], 0x48
	s_sub_co_i32 s4, s4, s11
	s_min_i32 s17, s8, s29
	s_add_co_i32 s8, s3, 1
	s_sub_co_i32 s11, s4, s6
	s_cmp_ge_u32 s4, s6
	v_lshrrev_b32_e32 v15, 5, v0
	s_cselect_b32 s3, s8, s3
	s_cselect_b32 s4, s11, s4
	s_wait_alu 0xfffe
	s_add_co_i32 s8, s3, 1
	s_cmp_ge_u32 s4, s6
	v_or_b32_e32 v16, s30, v15
	s_cselect_b32 s3, s8, s3
	v_mbcnt_lo_u32_b32 v13, -1, 0
	s_wait_alu 0xfffe
	s_xor_b32 s3, s3, s5
	s_wait_dscnt 0x0
	s_wait_alu 0xfffe
	s_sub_co_i32 s4, s3, s5
	v_cmp_gt_i32_e64 s3, s17, v16
	s_mov_b32 s5, exec_lo
	s_barrier_signal -1
	s_wait_kmcnt 0x0
	s_mul_i32 s18, s9, s27
	s_barrier_wait -1
	s_ashr_i32 s19, s18, 31
	global_inv scope:SCOPE_SE
                                        ; implicit-def: $vgpr14
                                        ; implicit-def: $vgpr18
	v_cmpx_le_i32_e64 s17, v16
	s_xor_b32 s5, exec_lo, s5
; %bb.6:
	v_mov_b32_e32 v14, 0
	v_mbcnt_lo_u32_b32 v13, -1, 0
	v_mov_b32_e32 v18, 32
                                        ; implicit-def: $vgpr9
; %bb.7:
	s_or_saveexec_b32 s8, s5
	s_clause 0x1
	s_load_b64 s[20:21], s[0:1], 0x38
	s_load_b32 s12, s[0:1], 0x98
	v_dual_mov_b32 v17, 0xff7fffff :: v_dual_lshlrev_b32 v12, 2, v16
	s_mul_i32 s14, s4, s14
	s_xor_b32 exec_lo, exec_lo, s8
	s_cbranch_execz .LBB18_13
; %bb.8:
	s_load_b64 s[4:5], s[0:1], 0x20
	v_xor_b32_e32 v19, 2, v13
	v_bfe_u32 v10, v0, 2, 3
	v_dual_mov_b32 v18, 32 :: v_dual_lshlrev_b32 v5, 5, v9
	v_xor_b32_e32 v20, 1, v13
	s_delay_alu instid0(VALU_DEP_4)
	v_cmp_gt_i32_e32 vcc_lo, 32, v19
	s_ashr_i32 s15, s14, 31
	v_lshlrev_b32_e32 v21, 4, v10
	ds_load_b128 v[1:4], v5
	ds_load_b128 v[5:8], v5 offset:16
	s_lshl_b64 s[22:23], s[14:15], 2
	v_cndmask_b32_e32 v19, v13, v19, vcc_lo
	v_cmp_gt_i32_e32 vcc_lo, 32, v20
	v_dual_mov_b32 v14, 0 :: v_dual_lshlrev_b32 v17, 2, v9
	v_lshlrev_b32_e32 v23, 2, v10
	s_cmp_neq_f32 s10, 0
	s_wait_alu 0xfffd
	v_cndmask_b32_e32 v22, v13, v20, vcc_lo
	s_mov_b32 s11, s13
	s_mov_b32 s9, 0
	s_wait_kmcnt 0x0
	s_add_nc_u64 s[4:5], s[4:5], s[22:23]
	v_lshl_or_b32 v24, v15, 5, v23
	v_add_co_u32 v20, s4, s4, v21
	s_wait_alu 0xf1ff
	v_add_co_ci_u32_e64 v21, null, s5, 0, s4
	s_cselect_b32 s4, -1, 0
	s_lshl_b64 s[22:23], s[18:19], 2
	v_add_co_u32 v20, vcc_lo, v20, v17
	v_lshlrev_b32_e32 v17, 3, v15
	s_add_nc_u64 s[22:23], s[20:21], s[22:23]
	s_wait_alu 0xfffd
	v_add_co_ci_u32_e64 v21, null, 0, v21, vcc_lo
	v_cmp_eq_u32_e32 vcc_lo, 0, v9
	v_add_co_u32 v9, s5, s22, v12
	v_lshlrev_b32_e32 v22, 2, v22
	v_lshlrev_b32_e32 v19, 2, v19
	v_add3_u32 v23, s26, v17, v10
	v_dual_mov_b32 v25, v16 :: v_dual_add_nc_u32 v24, 0xa0, v24
	s_wait_alu 0xf1ff
	v_add_co_ci_u32_e64 v10, null, s23, 0, s5
	v_mov_b32_e32 v17, 0xff7fffff
	s_sub_co_i32 s15, 1, s25
	s_branch .LBB18_10
.LBB18_9:                               ;   in Loop: Header=BB18_10 Depth=1
	s_wait_alu 0xfffe
	s_or_b32 exec_lo, exec_lo, s6
	v_add_nc_u32_e32 v25, 4, v25
	v_add_co_u32 v9, s6, v9, 16
	v_add_nc_u32_e32 v23, 32, v23
	v_add_nc_u32_e32 v24, 0x80, v24
	s_delay_alu instid0(VALU_DEP_4) | instskip(SKIP_3) | instid1(SALU_CYCLE_1)
	v_cmp_le_i32_e64 s5, s17, v25
	s_wait_alu 0xf1ff
	v_add_co_ci_u32_e64 v10, null, 0, v10, s6
	s_or_b32 s9, s5, s9
	s_and_not1_b32 exec_lo, exec_lo, s9
	s_cbranch_execz .LBB18_12
.LBB18_10:                              ; =>This Inner Loop Header: Depth=1
	global_load_b32 v26, v[9:10], off
	s_wait_loadcnt_dscnt 0x0
	v_mad_co_i64_i32 v[26:27], null, v26, s11, 0
	s_delay_alu instid0(VALU_DEP_1) | instskip(NEXT) | instid1(VALU_DEP_1)
	v_lshlrev_b64_e32 v[26:27], 2, v[26:27]
	v_add_co_u32 v26, s5, v20, v26
	s_wait_alu 0xf1ff
	s_delay_alu instid0(VALU_DEP_2)
	v_add_co_ci_u32_e64 v27, null, v21, v27, s5
	s_clause 0x7
	global_load_b32 v28, v[26:27], off offset:128
	global_load_b32 v29, v[26:27], off
	global_load_b32 v30, v[26:27], off offset:256
	global_load_b32 v31, v[26:27], off offset:384
	;; [unrolled: 1-line block ×6, first 2 shown]
	s_wait_loadcnt_dscnt 0x701
	v_mul_f32_e32 v27, v2, v28
	s_wait_loadcnt 0x6
	s_delay_alu instid0(VALU_DEP_1) | instskip(SKIP_1) | instid1(VALU_DEP_1)
	v_fmac_f32_e32 v27, v1, v29
	s_wait_loadcnt 0x5
	v_fmac_f32_e32 v27, v3, v30
	s_wait_loadcnt 0x4
	s_delay_alu instid0(VALU_DEP_1) | instskip(SKIP_1) | instid1(VALU_DEP_1)
	v_fmac_f32_e32 v27, v4, v31
	s_wait_loadcnt_dscnt 0x300
	v_fmac_f32_e32 v27, v5, v32
	s_wait_loadcnt 0x2
	s_delay_alu instid0(VALU_DEP_1) | instskip(SKIP_1) | instid1(VALU_DEP_1)
	v_fmac_f32_e32 v27, v6, v33
	s_wait_loadcnt 0x1
	v_fmac_f32_e32 v27, v7, v34
	s_wait_loadcnt 0x0
	s_delay_alu instid0(VALU_DEP_1)
	v_fmac_f32_e32 v27, v8, v26
	ds_bpermute_b32 v26, v19, v27
	s_wait_dscnt 0x0
	v_add_f32_e32 v26, v27, v26
	ds_bpermute_b32 v27, v22, v26
	s_and_saveexec_b32 s6, vcc_lo
	s_cbranch_execz .LBB18_9
; %bb.11:                               ;   in Loop: Header=BB18_10 Depth=1
	s_wait_dscnt 0x0
	v_add_f32_e32 v26, v26, v27
	v_add_nc_u32_e32 v28, s15, v23
	v_cmp_gt_i32_e64 s5, s25, v23
	s_delay_alu instid0(VALU_DEP_2) | instskip(NEXT) | instid1(VALU_DEP_1)
	v_cvt_f32_i32_e32 v28, v28
	v_mul_f32_e32 v28, s10, v28
	s_wait_alu 0xfffe
	s_delay_alu instid0(VALU_DEP_1) | instskip(NEXT) | instid1(VALU_DEP_1)
	v_cndmask_b32_e64 v27, 0, v28, s4
	v_dual_max_num_f32 v28, v17, v17 :: v_dual_fmac_f32 v27, s7, v26
	s_delay_alu instid0(VALU_DEP_1) | instskip(SKIP_2) | instid1(VALU_DEP_2)
	v_max_num_f32_e32 v26, v28, v27
	s_wait_alu 0xf1ff
	v_cndmask_b32_e64 v27, 0, v27, s5
	v_cndmask_b32_e64 v17, v17, v26, s5
	ds_store_b32 v24, v27
	s_branch .LBB18_9
.LBB18_12:
	s_or_b32 exec_lo, exec_lo, s9
.LBB18_13:
	s_delay_alu instid0(SALU_CYCLE_1)
	s_or_b32 exec_lo, exec_lo, s8
	v_xor_b32_e32 v1, 16, v13
	v_xor_b32_e32 v3, 8, v13
	v_max_num_f32_e32 v5, v17, v17
	s_clause 0x2
	s_load_b128 s[8:11], s[0:1], 0x0
	s_load_b64 s[6:7], s[0:1], 0x10
	s_load_b64 s[22:23], s[0:1], 0x28
	v_cmp_lt_i32_e32 vcc_lo, v1, v18
	s_wait_alu 0xfffd
	v_cndmask_b32_e32 v1, v13, v1, vcc_lo
	v_cmp_lt_i32_e32 vcc_lo, v3, v18
	s_wait_alu 0xfffd
	v_cndmask_b32_e32 v3, v13, v3, vcc_lo
	s_delay_alu instid0(VALU_DEP_1)
	v_lshlrev_b32_e32 v4, 2, v3
	v_lshlrev_b32_e32 v2, 2, v1
	ds_bpermute_b32 v1, v2, v17
	v_and_b32_e32 v17, 31, v0
	s_wait_dscnt 0x0
	v_max_num_f32_e32 v1, v1, v1
	s_delay_alu instid0(VALU_DEP_1)
	v_max_num_f32_e32 v1, v5, v1
	v_xor_b32_e32 v5, 4, v13
	ds_bpermute_b32 v3, v4, v1
	v_cmp_lt_i32_e32 vcc_lo, v5, v18
	s_wait_alu 0xfffd
	v_cndmask_b32_e32 v5, v13, v5, vcc_lo
	v_cmp_eq_u32_e32 vcc_lo, 0, v17
	s_delay_alu instid0(VALU_DEP_2) | instskip(SKIP_3) | instid1(VALU_DEP_1)
	v_lshlrev_b32_e32 v7, 2, v5
	v_lshlrev_b32_e32 v5, 2, v15
	s_wait_dscnt 0x0
	v_max_num_f32_e32 v3, v3, v3
	v_max_num_f32_e32 v1, v1, v3
	ds_bpermute_b32 v3, v7, v1
	s_and_saveexec_b32 s0, vcc_lo
	s_cbranch_execz .LBB18_15
; %bb.14:
	s_wait_dscnt 0x0
	v_max_num_f32_e32 v3, v3, v3
	v_max_num_f32_e32 v1, v1, v1
	s_delay_alu instid0(VALU_DEP_1)
	v_max_num_f32_e32 v1, v1, v3
	ds_store_b32 v5, v1 offset:128
.LBB18_15:
	s_or_b32 exec_lo, exec_lo, s0
	v_cmp_gt_u32_e64 s0, 4, v17
	v_dual_mov_b32 v1, 0xff7fffff :: v_dual_lshlrev_b32 v6, 2, v17
	s_wait_loadcnt_dscnt 0x0
	s_barrier_signal -1
	s_barrier_wait -1
	global_inv scope:SCOPE_SE
	s_and_saveexec_b32 s1, s0
; %bb.16:
	ds_load_b32 v1, v6 offset:128
; %bb.17:
	s_or_b32 exec_lo, exec_lo, s1
	v_xor_b32_e32 v3, 2, v13
	v_xor_b32_e32 v9, 1, v13
	s_delay_alu instid0(VALU_DEP_2) | instskip(NEXT) | instid1(VALU_DEP_1)
	v_cmp_lt_i32_e64 s1, v3, v18
	v_cndmask_b32_e64 v3, v13, v3, s1
	s_delay_alu instid0(VALU_DEP_3) | instskip(NEXT) | instid1(VALU_DEP_2)
	v_cmp_lt_i32_e64 s1, v9, v18
	v_lshlrev_b32_e32 v8, 2, v3
	s_wait_alu 0xf1ff
	s_delay_alu instid0(VALU_DEP_2)
	v_cndmask_b32_e64 v9, v13, v9, s1
	s_sub_co_i32 s1, s17, s30
	s_wait_alu 0xfffe
	s_lshl_b32 s1, s1, 3
	s_wait_dscnt 0x0
	ds_bpermute_b32 v3, v8, v1
	v_max_num_f32_e32 v1, v1, v1
	s_wait_alu 0xfffe
	s_add_co_i32 s1, s1, s26
	v_lshlrev_b32_e32 v18, 2, v9
	s_wait_alu 0xfffe
	s_min_i32 s1, s1, s25
	v_mov_b32_e32 v9, 0
	s_wait_alu 0xfffe
	s_sub_co_i32 s5, s1, s26
	s_wait_alu 0xfffe
	v_cmp_gt_i32_e64 s1, s5, v0
	s_wait_dscnt 0x0
	v_max_num_f32_e32 v3, v3, v3
	s_delay_alu instid0(VALU_DEP_1) | instskip(SKIP_3) | instid1(VALU_DEP_1)
	v_max_num_f32_e32 v1, v1, v3
	ds_bpermute_b32 v3, v18, v1
	s_wait_dscnt 0x0
	v_max_num_f32_e32 v3, v3, v3
	v_max_num_f32_e32 v1, v1, v3
	v_lshlrev_b32_e32 v3, 2, v14
	ds_bpermute_b32 v1, v3, v1
	v_lshl_add_u32 v3, v0, 2, 0xa0
	s_and_saveexec_b32 s15, s1
	s_cbranch_execz .LBB18_21
; %bb.18:
	v_lshl_add_u32 v10, v0, 2, 0xa0
	v_dual_mov_b32 v9, 0 :: v_dual_mov_b32 v14, v0
	s_mov_b32 s30, 0
.LBB18_19:                              ; =>This Inner Loop Header: Depth=1
	ds_load_b32 v19, v10
	v_add_nc_u32_e32 v14, 0x80, v14
	s_delay_alu instid0(VALU_DEP_1) | instskip(SKIP_4) | instid1(VALU_DEP_1)
	v_cmp_le_i32_e64 s4, s5, v14
	s_wait_alu 0xfffe
	s_or_b32 s30, s4, s30
	s_wait_dscnt 0x0
	v_sub_f32_e32 v19, v19, v1
	v_mul_f32_e32 v19, 0x3fb8aa3b, v19
	s_delay_alu instid0(VALU_DEP_1)
	v_exp_f32_e32 v19, v19
	ds_store_b32 v10, v19
	v_dual_add_f32 v9, v9, v19 :: v_dual_add_nc_u32 v10, 0x200, v10
	s_wait_alu 0xfffe
	s_and_not1_b32 exec_lo, exec_lo, s30
	s_cbranch_execnz .LBB18_19
; %bb.20:
	s_or_b32 exec_lo, exec_lo, s30
.LBB18_21:
	s_wait_alu 0xfffe
	s_or_b32 exec_lo, exec_lo, s15
	ds_bpermute_b32 v2, v2, v9
	s_wait_dscnt 0x0
	v_add_f32_e32 v2, v9, v2
	ds_bpermute_b32 v4, v4, v2
	s_wait_dscnt 0x0
	v_add_f32_e32 v2, v2, v4
	;; [unrolled: 3-line block ×5, first 2 shown]
	s_and_saveexec_b32 s4, vcc_lo
; %bb.22:
	ds_store_b32 v5, v2 offset:144
; %bb.23:
	s_wait_alu 0xfffe
	s_or_b32 exec_lo, exec_lo, s4
	s_wait_loadcnt_dscnt 0x0
	s_barrier_signal -1
	s_barrier_wait -1
	global_inv scope:SCOPE_SE
	s_and_saveexec_b32 s4, s0
; %bb.24:
	ds_load_b32 v2, v6 offset:144
; %bb.25:
	s_wait_alu 0xfffe
	s_or_b32 exec_lo, exec_lo, s4
	s_wait_dscnt 0x0
	ds_bpermute_b32 v4, v8, v2
	s_wait_dscnt 0x0
	v_dual_add_f32 v2, v2, v4 :: v_dual_lshlrev_b32 v5, 2, v13
	ds_bpermute_b32 v4, v18, v2
	s_wait_dscnt 0x0
	v_add_f32_e32 v2, v2, v4
	v_and_b32_e32 v4, 0xffffff80, v5
	ds_bpermute_b32 v2, v4, v2
	s_and_saveexec_b32 s0, s1
	s_cbranch_execz .LBB18_28
; %bb.26:
	s_wait_dscnt 0x0
	v_add_f32_e32 v4, 0x358637bd, v2
	s_mov_b32 s1, 0
	s_delay_alu instid0(VALU_DEP_1) | instskip(SKIP_1) | instid1(VALU_DEP_2)
	v_div_scale_f32 v5, null, v4, v4, 1.0
	v_div_scale_f32 v8, vcc_lo, 1.0, v4, 1.0
	v_rcp_f32_e32 v6, v5
	s_delay_alu instid0(TRANS32_DEP_1) | instskip(NEXT) | instid1(VALU_DEP_1)
	v_fma_f32 v7, -v5, v6, 1.0
	v_fmac_f32_e32 v6, v7, v6
	s_delay_alu instid0(VALU_DEP_1) | instskip(NEXT) | instid1(VALU_DEP_1)
	v_mul_f32_e32 v7, v8, v6
	v_fma_f32 v9, -v5, v7, v8
	s_delay_alu instid0(VALU_DEP_1) | instskip(NEXT) | instid1(VALU_DEP_1)
	v_fmac_f32_e32 v7, v9, v6
	v_fma_f32 v5, -v5, v7, v8
	s_wait_alu 0xfffd
	s_delay_alu instid0(VALU_DEP_1) | instskip(NEXT) | instid1(VALU_DEP_1)
	v_div_fmas_f32 v5, v5, v6, v7
	v_div_fixup_f32 v4, v5, v4, 1.0
	v_mov_b32_e32 v5, v0
.LBB18_27:                              ; =>This Inner Loop Header: Depth=1
	ds_load_b32 v6, v3
	s_wait_dscnt 0x0
	v_dual_mul_f32 v6, v4, v6 :: v_dual_add_nc_u32 v5, 0x80, v5
	s_delay_alu instid0(VALU_DEP_1)
	v_cmp_le_i32_e32 vcc_lo, s5, v5
	ds_store_b32 v3, v6
	v_add_nc_u32_e32 v3, 0x200, v3
	s_wait_alu 0xfffe
	s_or_b32 s1, vcc_lo, s1
	s_wait_alu 0xfffe
	s_and_not1_b32 exec_lo, exec_lo, s1
	s_cbranch_execnz .LBB18_27
.LBB18_28:
	s_wait_alu 0xfffe
	s_or_b32 exec_lo, exec_lo, s0
	s_wait_kmcnt 0x0
	s_mul_i32 s0, s12, s27
	s_wait_loadcnt_dscnt 0x0
	s_wait_alu 0xfffe
	s_mul_i32 s4, s0, s28
	s_mov_b32 s0, exec_lo
	s_barrier_signal -1
	s_barrier_wait -1
	global_inv scope:SCOPE_SE
	v_cmpx_eq_u32_e32 0, v0
	s_cbranch_execz .LBB18_30
; %bb.29:
	s_wait_alu 0xfffe
	s_ashr_i32 s5, s4, 31
	s_mul_i32 s30, s12, ttmp9
	s_lshl_b32 s1, s24, 2
	s_wait_alu 0xfffe
	s_lshl_b64 s[34:35], s[4:5], 2
	s_ashr_i32 s31, s30, 31
	v_mov_b32_e32 v3, s1
	s_add_nc_u64 s[10:11], s[10:11], s[34:35]
	s_wait_alu 0xfffe
	s_lshl_b64 s[30:31], s[30:31], 2
	s_add_nc_u64 s[8:9], s[8:9], s[34:35]
	s_wait_alu 0xfffe
	s_add_nc_u64 s[10:11], s[10:11], s[30:31]
	s_add_nc_u64 s[8:9], s[8:9], s[30:31]
	s_clause 0x1
	global_store_b32 v3, v1, s[10:11]
	global_store_b32 v3, v2, s[8:9]
.LBB18_30:
	s_wait_alu 0xfffe
	s_or_b32 exec_lo, exec_lo, s0
	v_dual_mov_b32 v21, 0 :: v_dual_mov_b32 v20, 0
	v_and_b32_e32 v19, 1, v0
	s_and_saveexec_b32 s1, s3
	s_cbranch_execz .LBB18_38
; %bb.31:
	v_dual_mov_b32 v20, 0 :: v_dual_lshlrev_b32 v1, 4, v0
	s_ashr_i32 s15, s14, 31
	v_lshlrev_b32_e32 v3, 4, v19
	s_wait_alu 0xfffe
	s_lshl_b64 s[8:9], s[14:15], 2
	v_and_b32_e32 v1, 0x1f0, v1
	s_add_nc_u64 s[8:9], s[22:23], s[8:9]
	v_dual_mov_b32 v21, 0 :: v_dual_and_b32 v2, 4, v11
	v_lshl_add_u32 v4, v15, 3, s26
	s_delay_alu instid0(VALU_DEP_3)
	v_add_co_u32 v22, s0, s8, v1
	s_wait_alu 0xf1ff
	v_add_co_ci_u32_e64 v23, null, s9, 0, s0
	s_lshl_b64 s[8:9], s[18:19], 2
	v_lshl_or_b32 v3, v15, 5, v3
	s_wait_alu 0xfffe
	s_add_nc_u64 s[8:9], s[20:21], s[8:9]
	v_add3_u32 v24, v4, v2, 3
	s_wait_alu 0xfffe
	v_add_co_u32 v13, s0, s8, v12
	v_add_nc_u32_e32 v25, 0xa0, v3
	s_wait_alu 0xf1ff
	v_add_co_ci_u32_e64 v14, null, s9, 0, s0
	s_mov_b32 s3, s13
	s_add_co_i32 s29, s29, -1
	s_mov_b32 s5, 0
	s_branch .LBB18_33
.LBB18_32:                              ;   in Loop: Header=BB18_33 Depth=1
	s_wait_alu 0xfffe
	s_or_b32 exec_lo, exec_lo, s0
	s_wait_loadcnt_dscnt 0x100
	v_dual_mul_f32 v5, v1, v5 :: v_dual_add_nc_u32 v16, 4, v16
	s_wait_loadcnt 0x0
	v_dual_mul_f32 v1, v1, v9 :: v_dual_add_nc_u32 v24, 32, v24
	v_add_co_u32 v13, s0, v13, 16
	s_delay_alu instid0(VALU_DEP_3) | instskip(NEXT) | instid1(VALU_DEP_3)
	v_cmp_le_i32_e32 vcc_lo, s17, v16
	v_fmac_f32_e32 v1, v2, v10
	v_add_nc_u32_e32 v25, 0x80, v25
	s_wait_alu 0xf1ff
	v_add_co_ci_u32_e64 v14, null, 0, v14, s0
	s_or_b32 s5, vcc_lo, s5
	v_fmac_f32_e32 v1, v3, v11
	s_delay_alu instid0(VALU_DEP_1) | instskip(NEXT) | instid1(VALU_DEP_1)
	v_fmac_f32_e32 v1, v4, v12
	v_dual_fmac_f32 v5, v2, v6 :: v_dual_add_f32 v20, v20, v1
	s_delay_alu instid0(VALU_DEP_1) | instskip(NEXT) | instid1(VALU_DEP_1)
	v_fmac_f32_e32 v5, v3, v7
	v_fmac_f32_e32 v5, v4, v8
	s_delay_alu instid0(VALU_DEP_1)
	v_add_f32_e32 v21, v21, v5
	s_wait_alu 0xfffe
	s_and_not1_b32 exec_lo, exec_lo, s5
	s_cbranch_execz .LBB18_37
.LBB18_33:                              ; =>This Inner Loop Header: Depth=1
	global_load_b32 v1, v[13:14], off
	v_add_nc_u32_e32 v26, -3, v24
	v_add_nc_u32_e32 v28, -2, v24
	;; [unrolled: 1-line block ×3, first 2 shown]
	s_wait_loadcnt 0x0
	s_wait_alu 0xfffe
	v_mad_co_i64_i32 v[1:2], null, v1, s3, 0
	s_delay_alu instid0(VALU_DEP_1) | instskip(NEXT) | instid1(VALU_DEP_1)
	v_lshlrev_b64_e32 v[1:2], 2, v[1:2]
	v_add_co_u32 v9, vcc_lo, v22, v1
	s_wait_alu 0xfffd
	s_delay_alu instid0(VALU_DEP_2)
	v_add_co_ci_u32_e64 v10, null, v23, v2, vcc_lo
	ds_load_b128 v[1:4], v25
	v_cmp_eq_u32_e32 vcc_lo, s29, v16
	global_load_b128 v[5:8], v[9:10], off
	s_and_saveexec_b32 s8, vcc_lo
	s_cbranch_execz .LBB18_35
; %bb.34:                               ;   in Loop: Header=BB18_33 Depth=1
	v_cmp_gt_i32_e64 s0, s25, v26
	s_wait_loadcnt 0x0
	s_wait_alu 0xf1ff
	s_delay_alu instid0(VALU_DEP_1) | instskip(SKIP_2) | instid1(VALU_DEP_1)
	v_cndmask_b32_e64 v5, 0, v5, s0
	v_cmp_gt_i32_e64 s0, s25, v28
	s_wait_alu 0xf1ff
	v_cndmask_b32_e64 v6, 0, v6, s0
	v_cmp_gt_i32_e64 s0, s25, v27
	s_wait_alu 0xf1ff
	s_delay_alu instid0(VALU_DEP_1) | instskip(SKIP_2) | instid1(VALU_DEP_1)
	v_cndmask_b32_e64 v7, 0, v7, s0
	v_cmp_gt_i32_e64 s0, s25, v24
	s_wait_alu 0xf1ff
	v_cndmask_b32_e64 v8, 0, v8, s0
.LBB18_35:                              ;   in Loop: Header=BB18_33 Depth=1
	s_wait_alu 0xfffe
	s_or_b32 exec_lo, exec_lo, s8
	global_load_b128 v[9:12], v[9:10], off offset:512
	s_and_saveexec_b32 s0, vcc_lo
	s_cbranch_execz .LBB18_32
; %bb.36:                               ;   in Loop: Header=BB18_33 Depth=1
	v_cmp_gt_i32_e32 vcc_lo, s25, v26
	s_wait_loadcnt 0x0
	s_wait_alu 0xfffd
	v_cndmask_b32_e32 v9, 0, v9, vcc_lo
	v_cmp_gt_i32_e32 vcc_lo, s25, v28
	s_wait_alu 0xfffd
	v_cndmask_b32_e32 v10, 0, v10, vcc_lo
	v_cmp_gt_i32_e32 vcc_lo, s25, v27
	;; [unrolled: 3-line block ×3, first 2 shown]
	s_wait_alu 0xfffd
	v_cndmask_b32_e32 v12, 0, v12, vcc_lo
	s_branch .LBB18_32
.LBB18_37:
	s_or_b32 exec_lo, exec_lo, s5
.LBB18_38:
	s_wait_alu 0xfffe
	s_or_b32 exec_lo, exec_lo, s1
	ds_bpermute_b32 v1, v18, v21
	ds_bpermute_b32 v2, v18, v20
	v_lshrrev_b32_e32 v3, 1, v17
	v_and_b32_e32 v5, 0x3c1, v0
	s_mov_b32 s0, exec_lo
	s_wait_storecnt 0x0
	s_wait_loadcnt_dscnt 0x0
	s_barrier_signal -1
	v_lshl_add_u32 v4, v3, 2, 0xa0
	s_barrier_wait -1
	global_inv scope:SCOPE_SE
	v_dual_add_f32 v1, v21, v1 :: v_dual_add_f32 v2, v20, v2
	v_cmpx_eq_u32_e32 64, v5
	s_cbranch_execz .LBB18_40
; %bb.39:
	v_lshl_add_u32 v5, v15, 7, v4
	s_delay_alu instid0(VALU_DEP_1)
	v_add_nc_u32_e32 v6, 0xffffff00, v5
	v_add_nc_u32_e32 v5, 0xffffff40, v5
	ds_store_b32 v6, v1
	ds_store_b32 v5, v2
.LBB18_40:
	s_wait_alu 0xfffe
	s_or_b32 exec_lo, exec_lo, s0
	v_and_b32_e32 v5, 0x3e0, v0
	v_lshlrev_b32_e32 v3, 2, v3
	s_mov_b32 s1, exec_lo
	v_cmp_eq_u32_e32 vcc_lo, 0, v19
	s_wait_loadcnt_dscnt 0x0
	v_lshlrev_b32_e32 v5, 2, v5
	s_barrier_signal -1
	s_barrier_wait -1
	global_inv scope:SCOPE_SE
	v_add3_u32 v3, 0xa0, v5, v3
	v_cmpx_gt_u32_e32 64, v0
	s_cbranch_execz .LBB18_46
; %bb.41:
	s_and_saveexec_b32 s0, vcc_lo
	s_cbranch_execz .LBB18_43
; %bb.42:
	ds_load_b32 v5, v3
	s_wait_dscnt 0x0
	v_add_f32_e32 v1, v1, v5
.LBB18_43:
	s_wait_alu 0xfffe
	s_or_b32 exec_lo, exec_lo, s0
	s_and_saveexec_b32 s0, vcc_lo
	s_cbranch_execz .LBB18_45
; %bb.44:
	ds_load_b32 v5, v3 offset:64
	s_wait_dscnt 0x0
	v_add_f32_e32 v2, v2, v5
.LBB18_45:
	s_wait_alu 0xfffe
	s_or_b32 exec_lo, exec_lo, s0
.LBB18_46:
	s_wait_alu 0xfffe
	s_or_b32 exec_lo, exec_lo, s1
	v_and_b32_e32 v5, 0x3e1, v0
	s_mov_b32 s1, exec_lo
	s_wait_loadcnt 0x0
	s_barrier_signal -1
	s_barrier_wait -1
	global_inv scope:SCOPE_SE
	v_cmpx_eq_u32_e32 32, v5
; %bb.47:
	ds_store_2addr_b32 v4, v1, v2 offset1:16
; %bb.48:
	s_wait_alu 0xfffe
	s_or_b32 exec_lo, exec_lo, s1
	s_wait_loadcnt_dscnt 0x0
	s_barrier_signal -1
	s_barrier_wait -1
	global_inv scope:SCOPE_SE
	s_and_saveexec_b32 s0, s2
	s_cbranch_execz .LBB18_54
; %bb.49:
	s_and_saveexec_b32 s1, vcc_lo
	s_cbranch_execz .LBB18_51
; %bb.50:
	ds_load_b32 v4, v3
	s_wait_dscnt 0x0
	v_add_f32_e32 v1, v1, v4
.LBB18_51:
	s_wait_alu 0xfffe
	s_or_b32 exec_lo, exec_lo, s1
	s_and_saveexec_b32 s1, vcc_lo
	s_cbranch_execz .LBB18_53
; %bb.52:
	ds_load_b32 v3, v3 offset:64
	s_wait_dscnt 0x0
	v_add_f32_e32 v2, v2, v3
.LBB18_53:
	s_wait_alu 0xfffe
	s_or_b32 exec_lo, exec_lo, s1
.LBB18_54:
	s_wait_alu 0xfffe
	s_or_b32 exec_lo, exec_lo, s0
	s_mov_b32 s1, 0
	s_wait_loadcnt 0x0
	s_barrier_signal -1
	s_barrier_wait -1
	global_inv scope:SCOPE_SE
	s_mov_b32 s0, exec_lo
	v_cmpx_eq_u32_e32 0, v5
	s_cbranch_execz .LBB18_56
; %bb.55:
	s_lshl_b32 s2, s4, 5
	s_mul_i32 s4, s12, s16
	s_wait_alu 0xfffe
	s_ashr_i32 s3, s2, 31
	s_ashr_i32 s5, s4, 31
	s_wait_alu 0xfffe
	s_lshl_b64 s[2:3], s[2:3], 2
	s_lshl_b64 s[4:5], s[4:5], 2
	s_wait_alu 0xfffe
	s_add_nc_u64 s[2:3], s[6:7], s[2:3]
	v_lshlrev_b32_e32 v0, 1, v0
	s_lshl_b32 s0, s24, 7
	s_wait_alu 0xfffe
	s_add_nc_u64 s[2:3], s[2:3], s[4:5]
	s_wait_alu 0xfffe
	s_add_nc_u64 s[0:1], s[2:3], s[0:1]
	s_clause 0x1
	global_store_b32 v0, v1, s[0:1]
	global_store_b32 v0, v2, s[0:1] offset:64
.LBB18_56:
	s_endpgm
	.section	.rodata,"a",@progbits
	.p2align	6, 0x0
	.amdhsa_kernel _ZN4vllm25paged_attention_v2_kernelIffLi32ELi8ELi128ELNS_18Fp8KVCacheDataTypeE0ELb0ELi512EEEvPfS2_PT_PKS3_PKT0_S9_ifPKiSB_iPKfiiiSD_SD_iiiii
		.amdhsa_group_segment_fixed_size 160
		.amdhsa_private_segment_fixed_size 0
		.amdhsa_kernarg_size 400
		.amdhsa_user_sgpr_count 2
		.amdhsa_user_sgpr_dispatch_ptr 0
		.amdhsa_user_sgpr_queue_ptr 0
		.amdhsa_user_sgpr_kernarg_segment_ptr 1
		.amdhsa_user_sgpr_dispatch_id 0
		.amdhsa_user_sgpr_private_segment_size 0
		.amdhsa_wavefront_size32 1
		.amdhsa_uses_dynamic_stack 0
		.amdhsa_enable_private_segment 0
		.amdhsa_system_sgpr_workgroup_id_x 1
		.amdhsa_system_sgpr_workgroup_id_y 1
		.amdhsa_system_sgpr_workgroup_id_z 1
		.amdhsa_system_sgpr_workgroup_info 0
		.amdhsa_system_vgpr_workitem_id 0
		.amdhsa_next_free_vgpr 35
		.amdhsa_next_free_sgpr 36
		.amdhsa_reserve_vcc 1
		.amdhsa_float_round_mode_32 0
		.amdhsa_float_round_mode_16_64 0
		.amdhsa_float_denorm_mode_32 3
		.amdhsa_float_denorm_mode_16_64 3
		.amdhsa_fp16_overflow 0
		.amdhsa_workgroup_processor_mode 1
		.amdhsa_memory_ordered 1
		.amdhsa_forward_progress 1
		.amdhsa_inst_pref_size 30
		.amdhsa_round_robin_scheduling 0
		.amdhsa_exception_fp_ieee_invalid_op 0
		.amdhsa_exception_fp_denorm_src 0
		.amdhsa_exception_fp_ieee_div_zero 0
		.amdhsa_exception_fp_ieee_overflow 0
		.amdhsa_exception_fp_ieee_underflow 0
		.amdhsa_exception_fp_ieee_inexact 0
		.amdhsa_exception_int_div_zero 0
	.end_amdhsa_kernel
	.section	.text._ZN4vllm25paged_attention_v2_kernelIffLi32ELi8ELi128ELNS_18Fp8KVCacheDataTypeE0ELb0ELi512EEEvPfS2_PT_PKS3_PKT0_S9_ifPKiSB_iPKfiiiSD_SD_iiiii,"axG",@progbits,_ZN4vllm25paged_attention_v2_kernelIffLi32ELi8ELi128ELNS_18Fp8KVCacheDataTypeE0ELb0ELi512EEEvPfS2_PT_PKS3_PKT0_S9_ifPKiSB_iPKfiiiSD_SD_iiiii,comdat
.Lfunc_end18:
	.size	_ZN4vllm25paged_attention_v2_kernelIffLi32ELi8ELi128ELNS_18Fp8KVCacheDataTypeE0ELb0ELi512EEEvPfS2_PT_PKS3_PKT0_S9_ifPKiSB_iPKfiiiSD_SD_iiiii, .Lfunc_end18-_ZN4vllm25paged_attention_v2_kernelIffLi32ELi8ELi128ELNS_18Fp8KVCacheDataTypeE0ELb0ELi512EEEvPfS2_PT_PKS3_PKT0_S9_ifPKiSB_iPKfiiiSD_SD_iiiii
                                        ; -- End function
	.set _ZN4vllm25paged_attention_v2_kernelIffLi32ELi8ELi128ELNS_18Fp8KVCacheDataTypeE0ELb0ELi512EEEvPfS2_PT_PKS3_PKT0_S9_ifPKiSB_iPKfiiiSD_SD_iiiii.num_vgpr, 35
	.set _ZN4vllm25paged_attention_v2_kernelIffLi32ELi8ELi128ELNS_18Fp8KVCacheDataTypeE0ELb0ELi512EEEvPfS2_PT_PKS3_PKT0_S9_ifPKiSB_iPKfiiiSD_SD_iiiii.num_agpr, 0
	.set _ZN4vllm25paged_attention_v2_kernelIffLi32ELi8ELi128ELNS_18Fp8KVCacheDataTypeE0ELb0ELi512EEEvPfS2_PT_PKS3_PKT0_S9_ifPKiSB_iPKfiiiSD_SD_iiiii.numbered_sgpr, 36
	.set _ZN4vllm25paged_attention_v2_kernelIffLi32ELi8ELi128ELNS_18Fp8KVCacheDataTypeE0ELb0ELi512EEEvPfS2_PT_PKS3_PKT0_S9_ifPKiSB_iPKfiiiSD_SD_iiiii.num_named_barrier, 0
	.set _ZN4vllm25paged_attention_v2_kernelIffLi32ELi8ELi128ELNS_18Fp8KVCacheDataTypeE0ELb0ELi512EEEvPfS2_PT_PKS3_PKT0_S9_ifPKiSB_iPKfiiiSD_SD_iiiii.private_seg_size, 0
	.set _ZN4vllm25paged_attention_v2_kernelIffLi32ELi8ELi128ELNS_18Fp8KVCacheDataTypeE0ELb0ELi512EEEvPfS2_PT_PKS3_PKT0_S9_ifPKiSB_iPKfiiiSD_SD_iiiii.uses_vcc, 1
	.set _ZN4vllm25paged_attention_v2_kernelIffLi32ELi8ELi128ELNS_18Fp8KVCacheDataTypeE0ELb0ELi512EEEvPfS2_PT_PKS3_PKT0_S9_ifPKiSB_iPKfiiiSD_SD_iiiii.uses_flat_scratch, 0
	.set _ZN4vllm25paged_attention_v2_kernelIffLi32ELi8ELi128ELNS_18Fp8KVCacheDataTypeE0ELb0ELi512EEEvPfS2_PT_PKS3_PKT0_S9_ifPKiSB_iPKfiiiSD_SD_iiiii.has_dyn_sized_stack, 0
	.set _ZN4vllm25paged_attention_v2_kernelIffLi32ELi8ELi128ELNS_18Fp8KVCacheDataTypeE0ELb0ELi512EEEvPfS2_PT_PKS3_PKT0_S9_ifPKiSB_iPKfiiiSD_SD_iiiii.has_recursion, 0
	.set _ZN4vllm25paged_attention_v2_kernelIffLi32ELi8ELi128ELNS_18Fp8KVCacheDataTypeE0ELb0ELi512EEEvPfS2_PT_PKS3_PKT0_S9_ifPKiSB_iPKfiiiSD_SD_iiiii.has_indirect_call, 0
	.section	.AMDGPU.csdata,"",@progbits
; Kernel info:
; codeLenInByte = 3756
; TotalNumSgprs: 38
; NumVgprs: 35
; ScratchSize: 0
; MemoryBound: 0
; FloatMode: 240
; IeeeMode: 1
; LDSByteSize: 160 bytes/workgroup (compile time only)
; SGPRBlocks: 0
; VGPRBlocks: 4
; NumSGPRsForWavesPerEU: 38
; NumVGPRsForWavesPerEU: 35
; Occupancy: 16
; WaveLimiterHint : 1
; COMPUTE_PGM_RSRC2:SCRATCH_EN: 0
; COMPUTE_PGM_RSRC2:USER_SGPR: 2
; COMPUTE_PGM_RSRC2:TRAP_HANDLER: 0
; COMPUTE_PGM_RSRC2:TGID_X_EN: 1
; COMPUTE_PGM_RSRC2:TGID_Y_EN: 1
; COMPUTE_PGM_RSRC2:TGID_Z_EN: 1
; COMPUTE_PGM_RSRC2:TIDIG_COMP_CNT: 0
	.section	.text._ZN4vllm25paged_attention_v2_kernelIffLi64ELi8ELi128ELNS_18Fp8KVCacheDataTypeE0ELb0ELi512EEEvPfS2_PT_PKS3_PKT0_S9_ifPKiSB_iPKfiiiSD_SD_iiiii,"axG",@progbits,_ZN4vllm25paged_attention_v2_kernelIffLi64ELi8ELi128ELNS_18Fp8KVCacheDataTypeE0ELb0ELi512EEEvPfS2_PT_PKS3_PKT0_S9_ifPKiSB_iPKfiiiSD_SD_iiiii,comdat
	.protected	_ZN4vllm25paged_attention_v2_kernelIffLi64ELi8ELi128ELNS_18Fp8KVCacheDataTypeE0ELb0ELi512EEEvPfS2_PT_PKS3_PKT0_S9_ifPKiSB_iPKfiiiSD_SD_iiiii ; -- Begin function _ZN4vllm25paged_attention_v2_kernelIffLi64ELi8ELi128ELNS_18Fp8KVCacheDataTypeE0ELb0ELi512EEEvPfS2_PT_PKS3_PKT0_S9_ifPKiSB_iPKfiiiSD_SD_iiiii
	.globl	_ZN4vllm25paged_attention_v2_kernelIffLi64ELi8ELi128ELNS_18Fp8KVCacheDataTypeE0ELb0ELi512EEEvPfS2_PT_PKS3_PKT0_S9_ifPKiSB_iPKfiiiSD_SD_iiiii
	.p2align	8
	.type	_ZN4vllm25paged_attention_v2_kernelIffLi64ELi8ELi128ELNS_18Fp8KVCacheDataTypeE0ELb0ELi512EEEvPfS2_PT_PKS3_PKT0_S9_ifPKiSB_iPKfiiiSD_SD_iiiii,@function
_ZN4vllm25paged_attention_v2_kernelIffLi64ELi8ELi128ELNS_18Fp8KVCacheDataTypeE0ELb0ELi512EEEvPfS2_PT_PKS3_PKT0_S9_ifPKiSB_iPKfiiiSD_SD_iiiii: ; @_ZN4vllm25paged_attention_v2_kernelIffLi64ELi8ELi128ELNS_18Fp8KVCacheDataTypeE0ELb0ELi512EEEvPfS2_PT_PKS3_PKT0_S9_ifPKiSB_iPKfiiiSD_SD_iiiii
; %bb.0:
	s_load_b64 s[2:3], s[0:1], 0x40
	s_and_b32 s28, ttmp7, 0xffff
	s_lshr_b32 s27, ttmp7, 16
	s_lshl_b32 s4, s28, 2
	s_lshl_b32 s26, s27, 9
	s_wait_kmcnt 0x0
	s_load_b32 s24, s[2:3], s4 offset:0x0
	s_wait_kmcnt 0x0
	s_cmp_ge_i32 s26, s24
	s_cbranch_scc1 .LBB19_62
; %bb.1:
	s_clause 0x1
	s_load_b32 s29, s[0:1], 0x90
	s_load_b64 s[6:7], s[0:1], 0x30
	s_wait_kmcnt 0x0
	s_abs_i32 s5, s29
	s_abs_i32 s2, s6
	s_delay_alu instid0(SALU_CYCLE_1) | instskip(SKIP_1) | instid1(SALU_CYCLE_2)
	s_cvt_f32_u32 s3, s2
	s_sub_co_i32 s4, 0, s2
	v_rcp_iflag_f32_e32 v1, s3
	s_delay_alu instid0(TRANS32_DEP_1) | instskip(SKIP_2) | instid1(SALU_CYCLE_2)
	v_readfirstlane_b32 s3, v1
	s_mul_f32 s3, s3, 0x4f7ffffe
	s_wait_alu 0xfffe
	s_cvt_u32_f32 s3, s3
	s_wait_alu 0xfffe
	s_delay_alu instid0(SALU_CYCLE_2) | instskip(NEXT) | instid1(SALU_CYCLE_1)
	s_mul_i32 s4, s4, s3
	s_mul_hi_u32 s4, s3, s4
	s_delay_alu instid0(SALU_CYCLE_1)
	s_add_co_i32 s3, s3, s4
	s_xor_b32 s4, s29, s6
	s_wait_alu 0xfffe
	s_mul_hi_u32 s3, s5, s3
	s_ashr_i32 s4, s4, 31
	s_wait_alu 0xfffe
	s_mul_i32 s6, s3, s2
	s_delay_alu instid0(SALU_CYCLE_1)
	s_sub_co_i32 s5, s5, s6
	s_add_co_i32 s6, s3, 1
	s_sub_co_i32 s8, s5, s2
	s_cmp_ge_u32 s5, s2
	s_cselect_b32 s3, s6, s3
	s_cselect_b32 s5, s8, s5
	s_wait_alu 0xfffe
	s_add_co_i32 s6, s3, 1
	s_cmp_ge_u32 s5, s2
	s_load_b64 s[8:9], s[0:1], 0x50
	s_cselect_b32 s2, s6, s3
	s_mov_b32 s5, 0
	s_wait_alu 0xfffe
	s_xor_b32 s2, s2, s4
	s_mov_b32 s10, s5
	s_wait_alu 0xfffe
	s_sub_co_i32 s11, s2, s4
	s_abs_i32 s4, ttmp9
	s_abs_i32 s6, s11
	s_delay_alu instid0(SALU_CYCLE_1) | instskip(SKIP_2) | instid1(SALU_CYCLE_1)
	s_cvt_f32_u32 s2, s6
	s_sub_co_i32 s3, 0, s6
	s_wait_alu 0xfffe
	v_rcp_iflag_f32_e32 v1, s2
	s_delay_alu instid0(TRANS32_DEP_1) | instskip(SKIP_2) | instid1(SALU_CYCLE_2)
	v_readfirstlane_b32 s2, v1
	s_mul_f32 s2, s2, 0x4f7ffffe
	s_wait_alu 0xfffe
	s_cvt_u32_f32 s2, s2
	s_wait_alu 0xfffe
	s_delay_alu instid0(SALU_CYCLE_2)
	s_mul_i32 s3, s3, s2
	s_wait_alu 0xfffe
	s_mul_hi_u32 s3, s2, s3
	s_wait_alu 0xfffe
	s_add_co_i32 s2, s2, s3
	s_mov_b32 s3, s5
	s_wait_kmcnt 0x0
	s_cmp_eq_u64 s[8:9], 0
	s_cbranch_scc1 .LBB19_3
; %bb.2:
	s_mov_b32 s12, ttmp9
	s_ashr_i32 s13, ttmp9, 31
	s_delay_alu instid0(SALU_CYCLE_1) | instskip(NEXT) | instid1(SALU_CYCLE_1)
	s_lshl_b64 s[12:13], s[12:13], 2
	s_add_nc_u64 s[8:9], s[8:9], s[12:13]
	s_load_b32 s10, s[8:9], 0x0
.LBB19_3:
	s_load_b96 s[12:14], s[0:1], 0x58
	s_mul_u64 s[2:3], s[4:5], s[2:3]
	v_and_b32_e32 v17, 3, v0
	v_cmp_gt_u32_e64 s2, 64, v0
	v_lshlrev_b32_e32 v19, 2, v0
	s_ashr_i32 s5, ttmp9, 31
	s_ashr_i32 s8, s11, 31
	s_lshl_b32 s16, ttmp9, 6
	s_wait_alu 0xfffe
	s_and_saveexec_b32 s9, s2
	s_cbranch_execz .LBB19_5
; %bb.4:
	s_load_b64 s[18:19], s[0:1], 0x18
	s_wait_kmcnt 0x0
	s_mul_i32 s20, s12, s28
	s_ashr_i32 s17, s16, 31
	s_ashr_i32 s21, s20, 31
	v_and_b32_e32 v2, 0x3fc, v0
	s_lshl_b64 s[20:21], s[20:21], 2
	s_delay_alu instid0(VALU_DEP_1) | instskip(SKIP_2) | instid1(SALU_CYCLE_1)
	v_lshl_add_u32 v2, v17, 6, v2
	s_add_nc_u64 s[18:19], s[18:19], s[20:21]
	s_lshl_b64 s[20:21], s[16:17], 2
	s_add_nc_u64 s[18:19], s[18:19], s[20:21]
	global_load_b32 v1, v19, s[18:19]
	s_wait_loadcnt 0x0
	ds_store_b32 v2, v1
.LBB19_5:
	s_or_b32 exec_lo, exec_lo, s9
	s_add_co_i32 s9, s24, 7
	s_xor_b32 s5, s5, s8
	s_ashr_i32 s11, s9, 31
	s_wait_kmcnt 0x0
	s_lshl_b32 s12, s27, 6
	s_lshr_b32 s8, s11, 29
	s_mul_i32 s11, s3, s6
	s_add_co_i32 s9, s9, s8
	s_add_co_i32 s8, s12, 64
	s_ashr_i32 s30, s9, 3
	s_load_b32 s9, s[0:1], 0x48
	s_sub_co_i32 s4, s4, s11
	s_min_i32 s25, s8, s30
	s_add_co_i32 s8, s3, 1
	s_sub_co_i32 s11, s4, s6
	s_cmp_ge_u32 s4, s6
	v_lshrrev_b32_e32 v23, 5, v0
	s_cselect_b32 s3, s8, s3
	s_cselect_b32 s4, s11, s4
	s_wait_alu 0xfffe
	s_add_co_i32 s8, s3, 1
	s_cmp_ge_u32 s4, s6
	v_or_b32_e32 v24, s12, v23
	s_cselect_b32 s3, s8, s3
	v_mbcnt_lo_u32_b32 v21, -1, 0
	s_wait_alu 0xfffe
	s_xor_b32 s3, s3, s5
	s_wait_dscnt 0x0
	s_wait_alu 0xfffe
	s_sub_co_i32 s4, s3, s5
	v_cmp_gt_i32_e64 s3, s25, v24
	s_mov_b32 s5, exec_lo
	s_barrier_signal -1
	s_wait_kmcnt 0x0
	s_mul_i32 s18, s9, s28
	s_barrier_wait -1
	s_ashr_i32 s19, s18, 31
	global_inv scope:SCOPE_SE
                                        ; implicit-def: $vgpr22
                                        ; implicit-def: $vgpr26
	v_cmpx_le_i32_e64 s25, v24
	s_xor_b32 s5, exec_lo, s5
; %bb.6:
	v_mov_b32_e32 v22, 0
	v_mbcnt_lo_u32_b32 v21, -1, 0
	v_mov_b32_e32 v26, 32
                                        ; implicit-def: $vgpr17
; %bb.7:
	s_or_saveexec_b32 s8, s5
	s_clause 0x1
	s_load_b64 s[20:21], s[0:1], 0x38
	s_load_b32 s17, s[0:1], 0x98
	v_dual_mov_b32 v25, 0xff7fffff :: v_dual_lshlrev_b32 v20, 2, v24
	s_mul_i32 s14, s4, s14
	s_xor_b32 exec_lo, exec_lo, s8
	s_cbranch_execz .LBB19_13
; %bb.8:
	s_load_b64 s[4:5], s[0:1], 0x20
	v_xor_b32_e32 v26, 2, v21
	v_xor_b32_e32 v27, 1, v21
	v_bfe_u32 v18, v0, 2, 3
	s_ashr_i32 s15, s14, 31
	v_dual_mov_b32 v22, 0 :: v_dual_lshlrev_b32 v25, 2, v17
	v_cmp_gt_i32_e32 vcc_lo, 32, v26
	s_delay_alu instid0(VALU_DEP_3)
	v_lshlrev_b32_e32 v28, 4, v18
	s_lshl_b64 s[22:23], s[14:15], 2
	v_lshlrev_b32_e32 v31, 2, v18
	s_cmp_neq_f32 s10, 0
	v_cndmask_b32_e32 v29, v21, v26, vcc_lo
	v_cmp_gt_i32_e32 vcc_lo, 32, v27
	v_lshlrev_b32_e32 v13, 6, v17
	s_mov_b32 s11, s13
	s_mov_b32 s9, 0
	s_wait_alu 0xfffd
	v_dual_mov_b32 v33, v24 :: v_dual_cndmask_b32 v30, v21, v27
	ds_load_b128 v[1:4], v13
	ds_load_b128 v[5:8], v13 offset:16
	ds_load_b128 v[9:12], v13 offset:32
	;; [unrolled: 1-line block ×3, first 2 shown]
	s_wait_kmcnt 0x0
	s_add_nc_u64 s[4:5], s[4:5], s[22:23]
	s_delay_alu instid0(SALU_CYCLE_1)
	v_add_co_u32 v26, s4, s4, v28
	s_wait_alu 0xf1ff
	v_add_co_ci_u32_e64 v28, null, s5, 0, s4
	s_cselect_b32 s4, -1, 0
	s_lshl_b64 s[22:23], s[18:19], 2
	v_add_co_u32 v27, vcc_lo, v26, v25
	v_dual_mov_b32 v26, 32 :: v_dual_lshlrev_b32 v25, 3, v23
	v_lshl_or_b32 v32, v23, 5, v31
	s_add_nc_u64 s[22:23], s[20:21], s[22:23]
	s_wait_alu 0xfffd
	v_add_co_ci_u32_e64 v28, null, 0, v28, vcc_lo
	v_cmp_eq_u32_e32 vcc_lo, 0, v17
	v_add_co_u32 v17, s5, s22, v20
	v_lshlrev_b32_e32 v30, 2, v30
	v_add3_u32 v31, s26, v25, v18
	v_add_nc_u32_e32 v32, 0x120, v32
	v_lshlrev_b32_e32 v29, 2, v29
	s_wait_alu 0xf1ff
	v_add_co_ci_u32_e64 v18, null, s23, 0, s5
	v_mov_b32_e32 v25, 0xff7fffff
	s_sub_co_i32 s15, 1, s24
	s_branch .LBB19_10
.LBB19_9:                               ;   in Loop: Header=BB19_10 Depth=1
	s_wait_alu 0xfffe
	s_or_b32 exec_lo, exec_lo, s6
	v_add_nc_u32_e32 v33, 4, v33
	v_add_co_u32 v17, s6, v17, 16
	v_add_nc_u32_e32 v31, 32, v31
	v_add_nc_u32_e32 v32, 0x80, v32
	s_delay_alu instid0(VALU_DEP_4) | instskip(SKIP_3) | instid1(SALU_CYCLE_1)
	v_cmp_le_i32_e64 s5, s25, v33
	s_wait_alu 0xf1ff
	v_add_co_ci_u32_e64 v18, null, 0, v18, s6
	s_or_b32 s9, s5, s9
	s_and_not1_b32 exec_lo, exec_lo, s9
	s_cbranch_execz .LBB19_12
.LBB19_10:                              ; =>This Inner Loop Header: Depth=1
	global_load_b32 v34, v[17:18], off
	s_wait_loadcnt_dscnt 0x0
	v_mad_co_i64_i32 v[34:35], null, v34, s11, 0
	s_delay_alu instid0(VALU_DEP_1) | instskip(NEXT) | instid1(VALU_DEP_1)
	v_lshlrev_b64_e32 v[34:35], 2, v[34:35]
	v_add_co_u32 v34, s5, v27, v34
	s_wait_alu 0xf1ff
	s_delay_alu instid0(VALU_DEP_2)
	v_add_co_ci_u32_e64 v35, null, v28, v35, s5
	s_clause 0xf
	global_load_b32 v36, v[34:35], off offset:128
	global_load_b32 v37, v[34:35], off
	global_load_b32 v38, v[34:35], off offset:256
	global_load_b32 v39, v[34:35], off offset:384
	;; [unrolled: 1-line block ×14, first 2 shown]
	s_wait_loadcnt_dscnt 0xf03
	v_mul_f32_e32 v35, v2, v36
	s_wait_loadcnt 0xe
	s_delay_alu instid0(VALU_DEP_1) | instskip(SKIP_1) | instid1(VALU_DEP_1)
	v_fmac_f32_e32 v35, v1, v37
	s_wait_loadcnt 0xd
	v_fmac_f32_e32 v35, v3, v38
	s_wait_loadcnt 0xc
	s_delay_alu instid0(VALU_DEP_1) | instskip(SKIP_1) | instid1(VALU_DEP_1)
	v_fmac_f32_e32 v35, v4, v39
	s_wait_loadcnt_dscnt 0xb02
	v_fmac_f32_e32 v35, v5, v40
	s_wait_loadcnt 0xa
	s_delay_alu instid0(VALU_DEP_1) | instskip(SKIP_1) | instid1(VALU_DEP_1)
	v_fmac_f32_e32 v35, v6, v41
	s_wait_loadcnt 0x9
	v_fmac_f32_e32 v35, v7, v42
	s_wait_loadcnt 0x8
	s_delay_alu instid0(VALU_DEP_1) | instskip(SKIP_1) | instid1(VALU_DEP_1)
	v_fmac_f32_e32 v35, v8, v43
	s_wait_loadcnt_dscnt 0x701
	v_fmac_f32_e32 v35, v9, v44
	;; [unrolled: 10-line block ×3, first 2 shown]
	s_wait_loadcnt 0x2
	s_delay_alu instid0(VALU_DEP_1) | instskip(SKIP_1) | instid1(VALU_DEP_1)
	v_fmac_f32_e32 v35, v14, v49
	s_wait_loadcnt 0x1
	v_fmac_f32_e32 v35, v15, v50
	s_wait_loadcnt 0x0
	s_delay_alu instid0(VALU_DEP_1)
	v_fmac_f32_e32 v35, v16, v34
	ds_bpermute_b32 v34, v29, v35
	s_wait_dscnt 0x0
	v_add_f32_e32 v34, v35, v34
	ds_bpermute_b32 v35, v30, v34
	s_and_saveexec_b32 s6, vcc_lo
	s_cbranch_execz .LBB19_9
; %bb.11:                               ;   in Loop: Header=BB19_10 Depth=1
	s_wait_dscnt 0x0
	v_add_f32_e32 v34, v34, v35
	v_add_nc_u32_e32 v36, s15, v31
	v_cmp_gt_i32_e64 s5, s24, v31
	s_delay_alu instid0(VALU_DEP_2) | instskip(NEXT) | instid1(VALU_DEP_1)
	v_cvt_f32_i32_e32 v36, v36
	v_mul_f32_e32 v36, s10, v36
	s_wait_alu 0xfffe
	s_delay_alu instid0(VALU_DEP_1) | instskip(NEXT) | instid1(VALU_DEP_1)
	v_cndmask_b32_e64 v35, 0, v36, s4
	v_dual_max_num_f32 v36, v25, v25 :: v_dual_fmac_f32 v35, s7, v34
	s_delay_alu instid0(VALU_DEP_1) | instskip(SKIP_2) | instid1(VALU_DEP_2)
	v_max_num_f32_e32 v34, v36, v35
	s_wait_alu 0xf1ff
	v_cndmask_b32_e64 v35, 0, v35, s5
	v_cndmask_b32_e64 v25, v25, v34, s5
	ds_store_b32 v32, v35
	s_branch .LBB19_9
.LBB19_12:
	s_or_b32 exec_lo, exec_lo, s9
.LBB19_13:
	s_delay_alu instid0(SALU_CYCLE_1)
	s_or_b32 exec_lo, exec_lo, s8
	v_xor_b32_e32 v1, 16, v21
	v_xor_b32_e32 v3, 8, v21
	v_max_num_f32_e32 v5, v25, v25
	s_clause 0x2
	s_load_b128 s[8:11], s[0:1], 0x0
	s_load_b64 s[6:7], s[0:1], 0x10
	s_load_b64 s[22:23], s[0:1], 0x28
	v_cmp_lt_i32_e32 vcc_lo, v1, v26
	s_wait_alu 0xfffd
	v_cndmask_b32_e32 v1, v21, v1, vcc_lo
	v_cmp_lt_i32_e32 vcc_lo, v3, v26
	s_wait_alu 0xfffd
	v_cndmask_b32_e32 v3, v21, v3, vcc_lo
	s_delay_alu instid0(VALU_DEP_1)
	v_lshlrev_b32_e32 v4, 2, v3
	v_lshlrev_b32_e32 v2, 2, v1
	ds_bpermute_b32 v1, v2, v25
	v_and_b32_e32 v25, 31, v0
	s_wait_dscnt 0x0
	v_max_num_f32_e32 v1, v1, v1
	s_delay_alu instid0(VALU_DEP_1)
	v_max_num_f32_e32 v1, v5, v1
	v_xor_b32_e32 v5, 4, v21
	ds_bpermute_b32 v3, v4, v1
	v_cmp_lt_i32_e32 vcc_lo, v5, v26
	s_wait_alu 0xfffd
	v_cndmask_b32_e32 v5, v21, v5, vcc_lo
	v_cmp_eq_u32_e32 vcc_lo, 0, v25
	s_delay_alu instid0(VALU_DEP_2) | instskip(SKIP_3) | instid1(VALU_DEP_1)
	v_lshlrev_b32_e32 v7, 2, v5
	v_lshlrev_b32_e32 v5, 2, v23
	s_wait_dscnt 0x0
	v_max_num_f32_e32 v3, v3, v3
	v_max_num_f32_e32 v1, v1, v3
	ds_bpermute_b32 v3, v7, v1
	s_and_saveexec_b32 s0, vcc_lo
	s_cbranch_execz .LBB19_15
; %bb.14:
	s_wait_dscnt 0x0
	v_max_num_f32_e32 v3, v3, v3
	v_max_num_f32_e32 v1, v1, v1
	s_delay_alu instid0(VALU_DEP_1)
	v_max_num_f32_e32 v1, v1, v3
	ds_store_b32 v5, v1 offset:256
.LBB19_15:
	s_or_b32 exec_lo, exec_lo, s0
	v_cmp_gt_u32_e64 s0, 4, v25
	v_dual_mov_b32 v1, 0xff7fffff :: v_dual_lshlrev_b32 v6, 2, v25
	s_wait_loadcnt_dscnt 0x0
	s_barrier_signal -1
	s_barrier_wait -1
	global_inv scope:SCOPE_SE
	s_and_saveexec_b32 s1, s0
; %bb.16:
	ds_load_b32 v1, v6 offset:256
; %bb.17:
	s_or_b32 exec_lo, exec_lo, s1
	v_xor_b32_e32 v3, 2, v21
	v_xor_b32_e32 v9, 1, v21
	s_delay_alu instid0(VALU_DEP_2) | instskip(NEXT) | instid1(VALU_DEP_1)
	v_cmp_lt_i32_e64 s1, v3, v26
	v_cndmask_b32_e64 v3, v21, v3, s1
	s_delay_alu instid0(VALU_DEP_3) | instskip(NEXT) | instid1(VALU_DEP_2)
	v_cmp_lt_i32_e64 s1, v9, v26
	v_lshlrev_b32_e32 v8, 2, v3
	s_wait_alu 0xf1ff
	s_delay_alu instid0(VALU_DEP_2)
	v_cndmask_b32_e64 v9, v21, v9, s1
	s_sub_co_i32 s1, s25, s12
	s_wait_alu 0xfffe
	s_lshl_b32 s1, s1, 3
	s_wait_dscnt 0x0
	ds_bpermute_b32 v3, v8, v1
	v_max_num_f32_e32 v1, v1, v1
	s_wait_alu 0xfffe
	s_add_co_i32 s1, s1, s26
	v_lshlrev_b32_e32 v26, 2, v9
	s_wait_alu 0xfffe
	s_min_i32 s1, s1, s24
	v_mov_b32_e32 v9, 0
	s_wait_alu 0xfffe
	s_sub_co_i32 s5, s1, s26
	s_wait_alu 0xfffe
	v_cmp_gt_i32_e64 s1, s5, v0
	s_wait_dscnt 0x0
	v_max_num_f32_e32 v3, v3, v3
	s_delay_alu instid0(VALU_DEP_1) | instskip(SKIP_3) | instid1(VALU_DEP_1)
	v_max_num_f32_e32 v1, v1, v3
	ds_bpermute_b32 v3, v26, v1
	s_wait_dscnt 0x0
	v_max_num_f32_e32 v3, v3, v3
	v_max_num_f32_e32 v1, v1, v3
	v_lshlrev_b32_e32 v3, 2, v22
	ds_bpermute_b32 v1, v3, v1
	v_lshl_add_u32 v3, v0, 2, 0x120
	s_and_saveexec_b32 s15, s1
	s_cbranch_execz .LBB19_21
; %bb.18:
	v_lshl_add_u32 v10, v0, 2, 0x120
	v_mov_b32_e32 v9, 0
	v_mov_b32_e32 v11, v0
	s_mov_b32 s31, 0
.LBB19_19:                              ; =>This Inner Loop Header: Depth=1
	ds_load_b32 v12, v10
	v_add_nc_u32_e32 v11, 0x80, v11
	s_delay_alu instid0(VALU_DEP_1) | instskip(SKIP_3) | instid1(VALU_DEP_1)
	v_cmp_le_i32_e64 s4, s5, v11
	s_or_b32 s31, s4, s31
	s_wait_dscnt 0x0
	v_sub_f32_e32 v12, v12, v1
	v_mul_f32_e32 v12, 0x3fb8aa3b, v12
	s_delay_alu instid0(VALU_DEP_1)
	v_exp_f32_e32 v12, v12
	ds_store_b32 v10, v12
	v_dual_add_f32 v9, v9, v12 :: v_dual_add_nc_u32 v10, 0x200, v10
	s_and_not1_b32 exec_lo, exec_lo, s31
	s_cbranch_execnz .LBB19_19
; %bb.20:
	s_or_b32 exec_lo, exec_lo, s31
.LBB19_21:
	s_wait_alu 0xfffe
	s_or_b32 exec_lo, exec_lo, s15
	ds_bpermute_b32 v2, v2, v9
	s_wait_dscnt 0x0
	v_add_f32_e32 v2, v9, v2
	ds_bpermute_b32 v4, v4, v2
	s_wait_dscnt 0x0
	v_add_f32_e32 v2, v2, v4
	;; [unrolled: 3-line block ×5, first 2 shown]
	s_and_saveexec_b32 s4, vcc_lo
; %bb.22:
	ds_store_b32 v5, v2 offset:272
; %bb.23:
	s_wait_alu 0xfffe
	s_or_b32 exec_lo, exec_lo, s4
	s_wait_loadcnt_dscnt 0x0
	s_barrier_signal -1
	s_barrier_wait -1
	global_inv scope:SCOPE_SE
	s_and_saveexec_b32 s4, s0
; %bb.24:
	ds_load_b32 v2, v6 offset:272
; %bb.25:
	s_wait_alu 0xfffe
	s_or_b32 exec_lo, exec_lo, s4
	s_wait_dscnt 0x0
	ds_bpermute_b32 v4, v8, v2
	s_wait_dscnt 0x0
	v_dual_add_f32 v2, v2, v4 :: v_dual_lshlrev_b32 v5, 2, v21
	ds_bpermute_b32 v4, v26, v2
	s_wait_dscnt 0x0
	v_add_f32_e32 v2, v2, v4
	v_and_b32_e32 v4, 0xffffff80, v5
	ds_bpermute_b32 v2, v4, v2
	s_and_saveexec_b32 s0, s1
	s_cbranch_execz .LBB19_28
; %bb.26:
	s_wait_dscnt 0x0
	v_add_f32_e32 v4, 0x358637bd, v2
	s_mov_b32 s1, 0
	s_delay_alu instid0(VALU_DEP_1) | instskip(SKIP_1) | instid1(VALU_DEP_2)
	v_div_scale_f32 v5, null, v4, v4, 1.0
	v_div_scale_f32 v8, vcc_lo, 1.0, v4, 1.0
	v_rcp_f32_e32 v6, v5
	s_delay_alu instid0(TRANS32_DEP_1) | instskip(NEXT) | instid1(VALU_DEP_1)
	v_fma_f32 v7, -v5, v6, 1.0
	v_fmac_f32_e32 v6, v7, v6
	s_delay_alu instid0(VALU_DEP_1) | instskip(NEXT) | instid1(VALU_DEP_1)
	v_mul_f32_e32 v7, v8, v6
	v_fma_f32 v9, -v5, v7, v8
	s_delay_alu instid0(VALU_DEP_1) | instskip(NEXT) | instid1(VALU_DEP_1)
	v_fmac_f32_e32 v7, v9, v6
	v_fma_f32 v5, -v5, v7, v8
	s_wait_alu 0xfffd
	s_delay_alu instid0(VALU_DEP_1) | instskip(NEXT) | instid1(VALU_DEP_1)
	v_div_fmas_f32 v5, v5, v6, v7
	v_div_fixup_f32 v4, v5, v4, 1.0
	v_mov_b32_e32 v5, v0
.LBB19_27:                              ; =>This Inner Loop Header: Depth=1
	ds_load_b32 v6, v3
	s_wait_dscnt 0x0
	v_dual_mul_f32 v6, v4, v6 :: v_dual_add_nc_u32 v5, 0x80, v5
	s_delay_alu instid0(VALU_DEP_1)
	v_cmp_le_i32_e32 vcc_lo, s5, v5
	ds_store_b32 v3, v6
	v_add_nc_u32_e32 v3, 0x200, v3
	s_wait_alu 0xfffe
	s_or_b32 s1, vcc_lo, s1
	s_wait_alu 0xfffe
	s_and_not1_b32 exec_lo, exec_lo, s1
	s_cbranch_execnz .LBB19_27
.LBB19_28:
	s_wait_alu 0xfffe
	s_or_b32 exec_lo, exec_lo, s0
	s_wait_kmcnt 0x0
	s_mul_i32 s0, s17, s28
	s_wait_loadcnt_dscnt 0x0
	s_wait_alu 0xfffe
	s_mul_i32 s4, s0, s29
	s_mov_b32 s0, exec_lo
	s_barrier_signal -1
	s_barrier_wait -1
	global_inv scope:SCOPE_SE
	v_cmpx_eq_u32_e32 0, v0
	s_cbranch_execz .LBB19_30
; %bb.29:
	s_wait_alu 0xfffe
	s_ashr_i32 s5, s4, 31
	s_mul_i32 s28, s17, ttmp9
	s_lshl_b32 s1, s27, 2
	s_wait_alu 0xfffe
	s_lshl_b64 s[34:35], s[4:5], 2
	s_ashr_i32 s29, s28, 31
	v_mov_b32_e32 v3, s1
	s_add_nc_u64 s[10:11], s[10:11], s[34:35]
	s_lshl_b64 s[28:29], s[28:29], 2
	s_add_nc_u64 s[8:9], s[8:9], s[34:35]
	s_wait_alu 0xfffe
	s_add_nc_u64 s[10:11], s[10:11], s[28:29]
	s_add_nc_u64 s[8:9], s[8:9], s[28:29]
	s_clause 0x1
	global_store_b32 v3, v1, s[10:11]
	global_store_b32 v3, v2, s[8:9]
.LBB19_30:
	s_wait_alu 0xfffe
	s_or_b32 exec_lo, exec_lo, s0
	v_dual_mov_b32 v29, 0 :: v_dual_mov_b32 v30, 0
	v_dual_mov_b32 v28, 0 :: v_dual_and_b32 v27, 1, v0
	v_mov_b32_e32 v31, 0
	s_and_saveexec_b32 s1, s3
	s_cbranch_execz .LBB19_42
; %bb.31:
	v_dual_mov_b32 v28, 0 :: v_dual_lshlrev_b32 v1, 4, v0
	s_ashr_i32 s15, s14, 31
	v_dual_mov_b32 v30, 0 :: v_dual_lshlrev_b32 v3, 4, v27
	s_delay_alu instid0(VALU_DEP_2)
	v_and_b32_e32 v1, 0x1f0, v1
	s_wait_alu 0xfffe
	s_lshl_b64 s[8:9], s[14:15], 2
	v_dual_mov_b32 v31, 0 :: v_dual_and_b32 v2, 4, v19
	s_add_nc_u64 s[8:9], s[22:23], s[8:9]
	v_lshl_add_u32 v4, v23, 3, s26
	v_add_co_u32 v32, s0, s8, v1
	s_wait_alu 0xf1ff
	v_add_co_ci_u32_e64 v33, null, s9, 0, s0
	s_lshl_b64 s[8:9], s[18:19], 2
	v_lshl_or_b32 v3, v23, 5, v3
	s_wait_alu 0xfffe
	s_add_nc_u64 s[8:9], s[20:21], s[8:9]
	v_add3_u32 v34, v4, v2, 3
	s_wait_alu 0xfffe
	v_add_co_u32 v21, s0, s8, v20
	v_add_nc_u32_e32 v35, 0x120, v3
	s_wait_alu 0xf1ff
	v_add_co_ci_u32_e64 v22, null, s9, 0, s0
	v_mov_b32_e32 v29, 0
	s_mov_b32 s3, s13
	s_add_co_i32 s30, s30, -1
	s_mov_b32 s5, 0
	s_branch .LBB19_33
.LBB19_32:                              ;   in Loop: Header=BB19_33 Depth=1
	s_wait_alu 0xfffe
	s_or_b32 exec_lo, exec_lo, s0
	s_wait_loadcnt_dscnt 0x100
	v_dual_mul_f32 v13, v1, v13 :: v_dual_add_nc_u32 v24, 4, v24
	v_dual_mul_f32 v9, v1, v9 :: v_dual_add_nc_u32 v34, 32, v34
	v_mul_f32_e32 v5, v1, v5
	s_wait_loadcnt 0x0
	v_mul_f32_e32 v1, v1, v17
	v_cmp_le_i32_e32 vcc_lo, s25, v24
	v_fmac_f32_e32 v9, v2, v10
	v_add_co_u32 v21, s0, v21, 16
	s_delay_alu instid0(VALU_DEP_4)
	v_fmac_f32_e32 v1, v2, v18
	v_fmac_f32_e32 v5, v2, v6
	v_add_nc_u32_e32 v35, 0x80, v35
	s_wait_alu 0xf1ff
	v_add_co_ci_u32_e64 v22, null, 0, v22, s0
	v_fmac_f32_e32 v1, v3, v19
	v_fmac_f32_e32 v5, v3, v7
	s_or_b32 s5, vcc_lo, s5
	s_delay_alu instid0(VALU_DEP_2) | instskip(SKIP_1) | instid1(VALU_DEP_3)
	v_fmac_f32_e32 v1, v4, v20
	v_fmac_f32_e32 v13, v2, v14
	;; [unrolled: 1-line block ×3, first 2 shown]
	s_delay_alu instid0(VALU_DEP_2) | instskip(NEXT) | instid1(VALU_DEP_2)
	v_dual_add_f32 v28, v28, v1 :: v_dual_fmac_f32 v13, v3, v15
	v_add_f32_e32 v29, v29, v5
	s_delay_alu instid0(VALU_DEP_2) | instskip(NEXT) | instid1(VALU_DEP_1)
	v_fmac_f32_e32 v13, v4, v16
	v_dual_fmac_f32 v9, v3, v11 :: v_dual_add_f32 v30, v30, v13
	s_delay_alu instid0(VALU_DEP_1) | instskip(NEXT) | instid1(VALU_DEP_1)
	v_fmac_f32_e32 v9, v4, v12
	v_add_f32_e32 v31, v31, v9
	s_wait_alu 0xfffe
	s_and_not1_b32 exec_lo, exec_lo, s5
	s_cbranch_execz .LBB19_41
.LBB19_33:                              ; =>This Inner Loop Header: Depth=1
	global_load_b32 v1, v[21:22], off
	v_add_nc_u32_e32 v36, -3, v34
	v_add_nc_u32_e32 v38, -2, v34
	;; [unrolled: 1-line block ×3, first 2 shown]
	s_wait_loadcnt 0x0
	s_wait_alu 0xfffe
	v_mad_co_i64_i32 v[1:2], null, v1, s3, 0
	s_delay_alu instid0(VALU_DEP_1) | instskip(NEXT) | instid1(VALU_DEP_1)
	v_lshlrev_b64_e32 v[1:2], 2, v[1:2]
	v_add_co_u32 v17, vcc_lo, v32, v1
	s_wait_alu 0xfffd
	s_delay_alu instid0(VALU_DEP_2)
	v_add_co_ci_u32_e64 v18, null, v33, v2, vcc_lo
	ds_load_b128 v[1:4], v35
	v_cmp_eq_u32_e32 vcc_lo, s30, v24
	global_load_b128 v[5:8], v[17:18], off
	s_and_saveexec_b32 s8, vcc_lo
	s_cbranch_execnz .LBB19_37
; %bb.34:                               ;   in Loop: Header=BB19_33 Depth=1
	s_wait_alu 0xfffe
	s_or_b32 exec_lo, exec_lo, s8
	global_load_b128 v[9:12], v[17:18], off offset:512
	s_and_saveexec_b32 s8, vcc_lo
	s_cbranch_execnz .LBB19_38
.LBB19_35:                              ;   in Loop: Header=BB19_33 Depth=1
	s_wait_alu 0xfffe
	s_or_b32 exec_lo, exec_lo, s8
	global_load_b128 v[13:16], v[17:18], off offset:1024
	s_and_saveexec_b32 s8, vcc_lo
	s_cbranch_execnz .LBB19_39
.LBB19_36:                              ;   in Loop: Header=BB19_33 Depth=1
	s_wait_alu 0xfffe
	s_or_b32 exec_lo, exec_lo, s8
	global_load_b128 v[17:20], v[17:18], off offset:1536
	s_and_saveexec_b32 s0, vcc_lo
	s_cbranch_execz .LBB19_32
	s_branch .LBB19_40
.LBB19_37:                              ;   in Loop: Header=BB19_33 Depth=1
	v_cmp_gt_i32_e64 s0, s24, v36
	s_wait_loadcnt 0x0
	s_wait_alu 0xf1ff
	s_delay_alu instid0(VALU_DEP_1) | instskip(SKIP_2) | instid1(VALU_DEP_1)
	v_cndmask_b32_e64 v5, 0, v5, s0
	v_cmp_gt_i32_e64 s0, s24, v38
	s_wait_alu 0xf1ff
	v_cndmask_b32_e64 v6, 0, v6, s0
	v_cmp_gt_i32_e64 s0, s24, v37
	s_wait_alu 0xf1ff
	s_delay_alu instid0(VALU_DEP_1) | instskip(SKIP_2) | instid1(VALU_DEP_1)
	v_cndmask_b32_e64 v7, 0, v7, s0
	v_cmp_gt_i32_e64 s0, s24, v34
	s_wait_alu 0xf1ff
	v_cndmask_b32_e64 v8, 0, v8, s0
	s_wait_alu 0xfffe
	s_or_b32 exec_lo, exec_lo, s8
	global_load_b128 v[9:12], v[17:18], off offset:512
	s_and_saveexec_b32 s8, vcc_lo
	s_cbranch_execz .LBB19_35
.LBB19_38:                              ;   in Loop: Header=BB19_33 Depth=1
	v_cmp_gt_i32_e64 s0, s24, v36
	s_wait_loadcnt 0x0
	s_wait_alu 0xf1ff
	s_delay_alu instid0(VALU_DEP_1) | instskip(SKIP_2) | instid1(VALU_DEP_1)
	v_cndmask_b32_e64 v9, 0, v9, s0
	v_cmp_gt_i32_e64 s0, s24, v38
	s_wait_alu 0xf1ff
	v_cndmask_b32_e64 v10, 0, v10, s0
	v_cmp_gt_i32_e64 s0, s24, v37
	s_wait_alu 0xf1ff
	s_delay_alu instid0(VALU_DEP_1) | instskip(SKIP_2) | instid1(VALU_DEP_1)
	v_cndmask_b32_e64 v11, 0, v11, s0
	v_cmp_gt_i32_e64 s0, s24, v34
	s_wait_alu 0xf1ff
	v_cndmask_b32_e64 v12, 0, v12, s0
	s_wait_alu 0xfffe
	s_or_b32 exec_lo, exec_lo, s8
	global_load_b128 v[13:16], v[17:18], off offset:1024
	s_and_saveexec_b32 s8, vcc_lo
	s_cbranch_execz .LBB19_36
.LBB19_39:                              ;   in Loop: Header=BB19_33 Depth=1
	v_cmp_gt_i32_e64 s0, s24, v36
	s_wait_loadcnt 0x0
	s_wait_alu 0xf1ff
	s_delay_alu instid0(VALU_DEP_1) | instskip(SKIP_2) | instid1(VALU_DEP_1)
	v_cndmask_b32_e64 v13, 0, v13, s0
	v_cmp_gt_i32_e64 s0, s24, v38
	s_wait_alu 0xf1ff
	v_cndmask_b32_e64 v14, 0, v14, s0
	v_cmp_gt_i32_e64 s0, s24, v37
	s_wait_alu 0xf1ff
	s_delay_alu instid0(VALU_DEP_1) | instskip(SKIP_2) | instid1(VALU_DEP_1)
	v_cndmask_b32_e64 v15, 0, v15, s0
	v_cmp_gt_i32_e64 s0, s24, v34
	s_wait_alu 0xf1ff
	v_cndmask_b32_e64 v16, 0, v16, s0
	s_wait_alu 0xfffe
	s_or_b32 exec_lo, exec_lo, s8
	global_load_b128 v[17:20], v[17:18], off offset:1536
	s_and_saveexec_b32 s0, vcc_lo
	s_cbranch_execz .LBB19_32
.LBB19_40:                              ;   in Loop: Header=BB19_33 Depth=1
	v_cmp_gt_i32_e32 vcc_lo, s24, v36
	s_wait_loadcnt 0x0
	s_wait_alu 0xfffd
	v_cndmask_b32_e32 v17, 0, v17, vcc_lo
	v_cmp_gt_i32_e32 vcc_lo, s24, v38
	s_wait_alu 0xfffd
	v_cndmask_b32_e32 v18, 0, v18, vcc_lo
	v_cmp_gt_i32_e32 vcc_lo, s24, v37
	;; [unrolled: 3-line block ×3, first 2 shown]
	s_wait_alu 0xfffd
	v_cndmask_b32_e32 v20, 0, v20, vcc_lo
	s_branch .LBB19_32
.LBB19_41:
	s_or_b32 exec_lo, exec_lo, s5
.LBB19_42:
	s_wait_alu 0xfffe
	s_or_b32 exec_lo, exec_lo, s1
	ds_bpermute_b32 v1, v26, v29
	ds_bpermute_b32 v2, v26, v31
	;; [unrolled: 1-line block ×4, first 2 shown]
	v_lshrrev_b32_e32 v5, 1, v25
	v_lshlrev_b32_e32 v7, 8, v23
	v_and_b32_e32 v8, 0x3c1, v0
	s_mov_b32 s0, exec_lo
	s_wait_storecnt 0x0
	s_wait_loadcnt_dscnt 0x0
	v_lshl_add_u32 v6, v5, 2, 0x120
	s_barrier_signal -1
	s_barrier_wait -1
	global_inv scope:SCOPE_SE
	v_dual_add_f32 v1, v29, v1 :: v_dual_add_f32 v2, v31, v2
	v_dual_add_f32 v3, v30, v3 :: v_dual_add_f32 v4, v28, v4
	v_cmpx_eq_u32_e32 64, v8
	s_cbranch_execz .LBB19_44
; %bb.43:
	v_add_nc_u32_e32 v8, v6, v7
	s_delay_alu instid0(VALU_DEP_1)
	v_add_nc_u32_e32 v9, 0xfffffe00, v8
	v_add_nc_u32_e32 v10, 0xfffffe40, v8
	;; [unrolled: 1-line block ×4, first 2 shown]
	ds_store_b32 v9, v1
	ds_store_b32 v10, v2
	;; [unrolled: 1-line block ×4, first 2 shown]
.LBB19_44:
	s_wait_alu 0xfffe
	s_or_b32 exec_lo, exec_lo, s0
	v_lshlrev_b32_e32 v5, 2, v5
	v_cmp_eq_u32_e32 vcc_lo, 0, v27
	s_wait_loadcnt_dscnt 0x0
	s_barrier_signal -1
	s_barrier_wait -1
	v_add3_u32 v5, 0x120, v7, v5
	global_inv scope:SCOPE_SE
	s_and_saveexec_b32 s0, s2
	s_cbranch_execz .LBB19_51
; %bb.45:
	s_and_saveexec_b32 s1, vcc_lo
	s_cbranch_execnz .LBB19_63
; %bb.46:
	s_wait_alu 0xfffe
	s_or_b32 exec_lo, exec_lo, s1
	s_and_saveexec_b32 s1, vcc_lo
	s_cbranch_execnz .LBB19_64
.LBB19_47:
	s_wait_alu 0xfffe
	s_or_b32 exec_lo, exec_lo, s1
	s_and_saveexec_b32 s1, vcc_lo
	s_cbranch_execnz .LBB19_65
.LBB19_48:
	s_wait_alu 0xfffe
	s_or_b32 exec_lo, exec_lo, s1
	s_and_saveexec_b32 s1, vcc_lo
	s_cbranch_execz .LBB19_50
.LBB19_49:
	ds_load_b32 v7, v5 offset:192
	s_wait_dscnt 0x0
	v_add_f32_e32 v4, v4, v7
.LBB19_50:
	s_wait_alu 0xfffe
	s_or_b32 exec_lo, exec_lo, s1
.LBB19_51:
	s_wait_alu 0xfffe
	s_or_b32 exec_lo, exec_lo, s0
	v_and_b32_e32 v7, 0x3e1, v0
	s_mov_b32 s1, exec_lo
	s_wait_loadcnt 0x0
	s_barrier_signal -1
	s_barrier_wait -1
	global_inv scope:SCOPE_SE
	v_cmpx_eq_u32_e32 32, v7
	s_cbranch_execz .LBB19_53
; %bb.52:
	ds_store_2addr_b32 v6, v1, v2 offset1:16
	ds_store_2addr_b32 v6, v3, v4 offset0:32 offset1:48
.LBB19_53:
	s_wait_alu 0xfffe
	s_or_b32 exec_lo, exec_lo, s1
	s_delay_alu instid0(SALU_CYCLE_1)
	s_mov_b32 s1, exec_lo
	s_wait_loadcnt_dscnt 0x0
	s_barrier_signal -1
	s_barrier_wait -1
	global_inv scope:SCOPE_SE
	v_cmpx_gt_u32_e32 32, v0
	s_cbranch_execz .LBB19_60
; %bb.54:
	s_and_saveexec_b32 s0, vcc_lo
	s_cbranch_execnz .LBB19_66
; %bb.55:
	s_wait_alu 0xfffe
	s_or_b32 exec_lo, exec_lo, s0
	s_and_saveexec_b32 s0, vcc_lo
	s_cbranch_execnz .LBB19_67
.LBB19_56:
	s_wait_alu 0xfffe
	s_or_b32 exec_lo, exec_lo, s0
	s_and_saveexec_b32 s0, vcc_lo
	s_cbranch_execnz .LBB19_68
.LBB19_57:
	s_wait_alu 0xfffe
	s_or_b32 exec_lo, exec_lo, s0
	s_and_saveexec_b32 s0, vcc_lo
	s_cbranch_execz .LBB19_59
.LBB19_58:
	ds_load_b32 v5, v5 offset:192
	s_wait_dscnt 0x0
	v_add_f32_e32 v4, v4, v5
.LBB19_59:
	s_wait_alu 0xfffe
	s_or_b32 exec_lo, exec_lo, s0
.LBB19_60:
	s_wait_alu 0xfffe
	s_or_b32 exec_lo, exec_lo, s1
	s_mov_b32 s1, 0
	s_wait_loadcnt 0x0
	s_barrier_signal -1
	s_barrier_wait -1
	global_inv scope:SCOPE_SE
	s_mov_b32 s0, exec_lo
	v_cmpx_eq_u32_e32 0, v7
	s_cbranch_execz .LBB19_62
; %bb.61:
	s_lshl_b32 s2, s4, 6
	s_mul_i32 s4, s17, s16
	s_wait_alu 0xfffe
	s_ashr_i32 s3, s2, 31
	s_ashr_i32 s5, s4, 31
	s_wait_alu 0xfffe
	s_lshl_b64 s[2:3], s[2:3], 2
	s_lshl_b64 s[4:5], s[4:5], 2
	s_wait_alu 0xfffe
	s_add_nc_u64 s[2:3], s[6:7], s[2:3]
	v_lshlrev_b32_e32 v0, 1, v0
	s_lshl_b32 s0, s12, 2
	s_wait_alu 0xfffe
	s_add_nc_u64 s[2:3], s[2:3], s[4:5]
	s_wait_alu 0xfffe
	s_add_nc_u64 s[0:1], s[2:3], s[0:1]
	s_clause 0x3
	global_store_b32 v0, v1, s[0:1]
	global_store_b32 v0, v2, s[0:1] offset:64
	global_store_b32 v0, v3, s[0:1] offset:128
	;; [unrolled: 1-line block ×3, first 2 shown]
.LBB19_62:
	s_endpgm
.LBB19_63:
	ds_load_b32 v7, v5
	s_wait_dscnt 0x0
	v_add_f32_e32 v1, v1, v7
	s_wait_alu 0xfffe
	s_or_b32 exec_lo, exec_lo, s1
	s_and_saveexec_b32 s1, vcc_lo
	s_cbranch_execz .LBB19_47
.LBB19_64:
	ds_load_b32 v7, v5 offset:64
	s_wait_dscnt 0x0
	v_add_f32_e32 v2, v2, v7
	s_wait_alu 0xfffe
	s_or_b32 exec_lo, exec_lo, s1
	s_and_saveexec_b32 s1, vcc_lo
	s_cbranch_execz .LBB19_48
.LBB19_65:
	ds_load_b32 v7, v5 offset:128
	s_wait_dscnt 0x0
	v_add_f32_e32 v3, v3, v7
	s_wait_alu 0xfffe
	s_or_b32 exec_lo, exec_lo, s1
	s_and_saveexec_b32 s1, vcc_lo
	s_cbranch_execnz .LBB19_49
	s_branch .LBB19_50
.LBB19_66:
	ds_load_b32 v6, v5
	s_wait_dscnt 0x0
	v_add_f32_e32 v1, v1, v6
	s_wait_alu 0xfffe
	s_or_b32 exec_lo, exec_lo, s0
	s_and_saveexec_b32 s0, vcc_lo
	s_cbranch_execz .LBB19_56
.LBB19_67:
	ds_load_b32 v6, v5 offset:64
	s_wait_dscnt 0x0
	v_add_f32_e32 v2, v2, v6
	s_wait_alu 0xfffe
	s_or_b32 exec_lo, exec_lo, s0
	s_and_saveexec_b32 s0, vcc_lo
	s_cbranch_execz .LBB19_57
.LBB19_68:
	ds_load_b32 v6, v5 offset:128
	s_wait_dscnt 0x0
	v_add_f32_e32 v3, v3, v6
	s_wait_alu 0xfffe
	s_or_b32 exec_lo, exec_lo, s0
	s_and_saveexec_b32 s0, vcc_lo
	s_cbranch_execnz .LBB19_58
	s_branch .LBB19_59
	.section	.rodata,"a",@progbits
	.p2align	6, 0x0
	.amdhsa_kernel _ZN4vllm25paged_attention_v2_kernelIffLi64ELi8ELi128ELNS_18Fp8KVCacheDataTypeE0ELb0ELi512EEEvPfS2_PT_PKS3_PKT0_S9_ifPKiSB_iPKfiiiSD_SD_iiiii
		.amdhsa_group_segment_fixed_size 288
		.amdhsa_private_segment_fixed_size 0
		.amdhsa_kernarg_size 400
		.amdhsa_user_sgpr_count 2
		.amdhsa_user_sgpr_dispatch_ptr 0
		.amdhsa_user_sgpr_queue_ptr 0
		.amdhsa_user_sgpr_kernarg_segment_ptr 1
		.amdhsa_user_sgpr_dispatch_id 0
		.amdhsa_user_sgpr_private_segment_size 0
		.amdhsa_wavefront_size32 1
		.amdhsa_uses_dynamic_stack 0
		.amdhsa_enable_private_segment 0
		.amdhsa_system_sgpr_workgroup_id_x 1
		.amdhsa_system_sgpr_workgroup_id_y 1
		.amdhsa_system_sgpr_workgroup_id_z 1
		.amdhsa_system_sgpr_workgroup_info 0
		.amdhsa_system_vgpr_workitem_id 0
		.amdhsa_next_free_vgpr 51
		.amdhsa_next_free_sgpr 36
		.amdhsa_reserve_vcc 1
		.amdhsa_float_round_mode_32 0
		.amdhsa_float_round_mode_16_64 0
		.amdhsa_float_denorm_mode_32 3
		.amdhsa_float_denorm_mode_16_64 3
		.amdhsa_fp16_overflow 0
		.amdhsa_workgroup_processor_mode 1
		.amdhsa_memory_ordered 1
		.amdhsa_forward_progress 1
		.amdhsa_inst_pref_size 37
		.amdhsa_round_robin_scheduling 0
		.amdhsa_exception_fp_ieee_invalid_op 0
		.amdhsa_exception_fp_denorm_src 0
		.amdhsa_exception_fp_ieee_div_zero 0
		.amdhsa_exception_fp_ieee_overflow 0
		.amdhsa_exception_fp_ieee_underflow 0
		.amdhsa_exception_fp_ieee_inexact 0
		.amdhsa_exception_int_div_zero 0
	.end_amdhsa_kernel
	.section	.text._ZN4vllm25paged_attention_v2_kernelIffLi64ELi8ELi128ELNS_18Fp8KVCacheDataTypeE0ELb0ELi512EEEvPfS2_PT_PKS3_PKT0_S9_ifPKiSB_iPKfiiiSD_SD_iiiii,"axG",@progbits,_ZN4vllm25paged_attention_v2_kernelIffLi64ELi8ELi128ELNS_18Fp8KVCacheDataTypeE0ELb0ELi512EEEvPfS2_PT_PKS3_PKT0_S9_ifPKiSB_iPKfiiiSD_SD_iiiii,comdat
.Lfunc_end19:
	.size	_ZN4vllm25paged_attention_v2_kernelIffLi64ELi8ELi128ELNS_18Fp8KVCacheDataTypeE0ELb0ELi512EEEvPfS2_PT_PKS3_PKT0_S9_ifPKiSB_iPKfiiiSD_SD_iiiii, .Lfunc_end19-_ZN4vllm25paged_attention_v2_kernelIffLi64ELi8ELi128ELNS_18Fp8KVCacheDataTypeE0ELb0ELi512EEEvPfS2_PT_PKS3_PKT0_S9_ifPKiSB_iPKfiiiSD_SD_iiiii
                                        ; -- End function
	.set _ZN4vllm25paged_attention_v2_kernelIffLi64ELi8ELi128ELNS_18Fp8KVCacheDataTypeE0ELb0ELi512EEEvPfS2_PT_PKS3_PKT0_S9_ifPKiSB_iPKfiiiSD_SD_iiiii.num_vgpr, 51
	.set _ZN4vllm25paged_attention_v2_kernelIffLi64ELi8ELi128ELNS_18Fp8KVCacheDataTypeE0ELb0ELi512EEEvPfS2_PT_PKS3_PKT0_S9_ifPKiSB_iPKfiiiSD_SD_iiiii.num_agpr, 0
	.set _ZN4vllm25paged_attention_v2_kernelIffLi64ELi8ELi128ELNS_18Fp8KVCacheDataTypeE0ELb0ELi512EEEvPfS2_PT_PKS3_PKT0_S9_ifPKiSB_iPKfiiiSD_SD_iiiii.numbered_sgpr, 36
	.set _ZN4vllm25paged_attention_v2_kernelIffLi64ELi8ELi128ELNS_18Fp8KVCacheDataTypeE0ELb0ELi512EEEvPfS2_PT_PKS3_PKT0_S9_ifPKiSB_iPKfiiiSD_SD_iiiii.num_named_barrier, 0
	.set _ZN4vllm25paged_attention_v2_kernelIffLi64ELi8ELi128ELNS_18Fp8KVCacheDataTypeE0ELb0ELi512EEEvPfS2_PT_PKS3_PKT0_S9_ifPKiSB_iPKfiiiSD_SD_iiiii.private_seg_size, 0
	.set _ZN4vllm25paged_attention_v2_kernelIffLi64ELi8ELi128ELNS_18Fp8KVCacheDataTypeE0ELb0ELi512EEEvPfS2_PT_PKS3_PKT0_S9_ifPKiSB_iPKfiiiSD_SD_iiiii.uses_vcc, 1
	.set _ZN4vllm25paged_attention_v2_kernelIffLi64ELi8ELi128ELNS_18Fp8KVCacheDataTypeE0ELb0ELi512EEEvPfS2_PT_PKS3_PKT0_S9_ifPKiSB_iPKfiiiSD_SD_iiiii.uses_flat_scratch, 0
	.set _ZN4vllm25paged_attention_v2_kernelIffLi64ELi8ELi128ELNS_18Fp8KVCacheDataTypeE0ELb0ELi512EEEvPfS2_PT_PKS3_PKT0_S9_ifPKiSB_iPKfiiiSD_SD_iiiii.has_dyn_sized_stack, 0
	.set _ZN4vllm25paged_attention_v2_kernelIffLi64ELi8ELi128ELNS_18Fp8KVCacheDataTypeE0ELb0ELi512EEEvPfS2_PT_PKS3_PKT0_S9_ifPKiSB_iPKfiiiSD_SD_iiiii.has_recursion, 0
	.set _ZN4vllm25paged_attention_v2_kernelIffLi64ELi8ELi128ELNS_18Fp8KVCacheDataTypeE0ELb0ELi512EEEvPfS2_PT_PKS3_PKT0_S9_ifPKiSB_iPKfiiiSD_SD_iiiii.has_indirect_call, 0
	.section	.AMDGPU.csdata,"",@progbits
; Kernel info:
; codeLenInByte = 4648
; TotalNumSgprs: 38
; NumVgprs: 51
; ScratchSize: 0
; MemoryBound: 0
; FloatMode: 240
; IeeeMode: 1
; LDSByteSize: 288 bytes/workgroup (compile time only)
; SGPRBlocks: 0
; VGPRBlocks: 6
; NumSGPRsForWavesPerEU: 38
; NumVGPRsForWavesPerEU: 51
; Occupancy: 16
; WaveLimiterHint : 1
; COMPUTE_PGM_RSRC2:SCRATCH_EN: 0
; COMPUTE_PGM_RSRC2:USER_SGPR: 2
; COMPUTE_PGM_RSRC2:TRAP_HANDLER: 0
; COMPUTE_PGM_RSRC2:TGID_X_EN: 1
; COMPUTE_PGM_RSRC2:TGID_Y_EN: 1
; COMPUTE_PGM_RSRC2:TGID_Z_EN: 1
; COMPUTE_PGM_RSRC2:TIDIG_COMP_CNT: 0
	.section	.text._ZN4vllm25paged_attention_v2_kernelIffLi80ELi8ELi128ELNS_18Fp8KVCacheDataTypeE0ELb0ELi512EEEvPfS2_PT_PKS3_PKT0_S9_ifPKiSB_iPKfiiiSD_SD_iiiii,"axG",@progbits,_ZN4vllm25paged_attention_v2_kernelIffLi80ELi8ELi128ELNS_18Fp8KVCacheDataTypeE0ELb0ELi512EEEvPfS2_PT_PKS3_PKT0_S9_ifPKiSB_iPKfiiiSD_SD_iiiii,comdat
	.protected	_ZN4vllm25paged_attention_v2_kernelIffLi80ELi8ELi128ELNS_18Fp8KVCacheDataTypeE0ELb0ELi512EEEvPfS2_PT_PKS3_PKT0_S9_ifPKiSB_iPKfiiiSD_SD_iiiii ; -- Begin function _ZN4vllm25paged_attention_v2_kernelIffLi80ELi8ELi128ELNS_18Fp8KVCacheDataTypeE0ELb0ELi512EEEvPfS2_PT_PKS3_PKT0_S9_ifPKiSB_iPKfiiiSD_SD_iiiii
	.globl	_ZN4vllm25paged_attention_v2_kernelIffLi80ELi8ELi128ELNS_18Fp8KVCacheDataTypeE0ELb0ELi512EEEvPfS2_PT_PKS3_PKT0_S9_ifPKiSB_iPKfiiiSD_SD_iiiii
	.p2align	8
	.type	_ZN4vllm25paged_attention_v2_kernelIffLi80ELi8ELi128ELNS_18Fp8KVCacheDataTypeE0ELb0ELi512EEEvPfS2_PT_PKS3_PKT0_S9_ifPKiSB_iPKfiiiSD_SD_iiiii,@function
_ZN4vllm25paged_attention_v2_kernelIffLi80ELi8ELi128ELNS_18Fp8KVCacheDataTypeE0ELb0ELi512EEEvPfS2_PT_PKS3_PKT0_S9_ifPKiSB_iPKfiiiSD_SD_iiiii: ; @_ZN4vllm25paged_attention_v2_kernelIffLi80ELi8ELi128ELNS_18Fp8KVCacheDataTypeE0ELb0ELi512EEEvPfS2_PT_PKS3_PKT0_S9_ifPKiSB_iPKfiiiSD_SD_iiiii
; %bb.0:
	s_load_b64 s[2:3], s[0:1], 0x40
	s_and_b32 s14, ttmp7, 0xffff
	s_lshr_b32 s24, ttmp7, 16
	s_lshl_b32 s4, s14, 2
	s_lshl_b32 s26, s24, 9
	s_wait_kmcnt 0x0
	s_load_b32 s25, s[2:3], s4 offset:0x0
	s_wait_kmcnt 0x0
	s_cmp_ge_i32 s26, s25
	s_cbranch_scc1 .LBB20_66
; %bb.1:
	s_clause 0x1
	s_load_b32 s15, s[0:1], 0x90
	s_load_b64 s[6:7], s[0:1], 0x30
	s_wait_kmcnt 0x0
	s_abs_i32 s5, s15
	s_abs_i32 s2, s6
	s_delay_alu instid0(SALU_CYCLE_1) | instskip(SKIP_1) | instid1(SALU_CYCLE_2)
	s_cvt_f32_u32 s3, s2
	s_sub_co_i32 s4, 0, s2
	v_rcp_iflag_f32_e32 v1, s3
	s_delay_alu instid0(TRANS32_DEP_1) | instskip(SKIP_2) | instid1(SALU_CYCLE_2)
	v_readfirstlane_b32 s3, v1
	s_mul_f32 s3, s3, 0x4f7ffffe
	s_wait_alu 0xfffe
	s_cvt_u32_f32 s3, s3
	s_wait_alu 0xfffe
	s_delay_alu instid0(SALU_CYCLE_2) | instskip(NEXT) | instid1(SALU_CYCLE_1)
	s_mul_i32 s4, s4, s3
	s_mul_hi_u32 s4, s3, s4
	s_delay_alu instid0(SALU_CYCLE_1)
	s_add_co_i32 s3, s3, s4
	s_xor_b32 s4, s15, s6
	s_wait_alu 0xfffe
	s_mul_hi_u32 s3, s5, s3
	s_ashr_i32 s4, s4, 31
	s_wait_alu 0xfffe
	s_mul_i32 s6, s3, s2
	s_delay_alu instid0(SALU_CYCLE_1)
	s_sub_co_i32 s5, s5, s6
	s_add_co_i32 s6, s3, 1
	s_sub_co_i32 s8, s5, s2
	s_cmp_ge_u32 s5, s2
	s_cselect_b32 s3, s6, s3
	s_cselect_b32 s5, s8, s5
	s_wait_alu 0xfffe
	s_add_co_i32 s6, s3, 1
	s_cmp_ge_u32 s5, s2
	s_load_b64 s[8:9], s[0:1], 0x50
	s_cselect_b32 s2, s6, s3
	s_mov_b32 s3, 0
	s_wait_alu 0xfffe
	s_xor_b32 s2, s2, s4
	s_mov_b32 s6, s3
	s_wait_alu 0xfffe
	s_sub_co_i32 s12, s2, s4
	s_delay_alu instid0(SALU_CYCLE_1) | instskip(NEXT) | instid1(SALU_CYCLE_1)
	s_abs_i32 s11, s12
	s_cvt_f32_u32 s2, s11
	s_wait_alu 0xfffe
	s_delay_alu instid0(SALU_CYCLE_2) | instskip(NEXT) | instid1(TRANS32_DEP_1)
	v_rcp_iflag_f32_e32 v1, s2
	v_readfirstlane_b32 s2, v1
	s_mul_f32 s2, s2, 0x4f7ffffe
	s_wait_alu 0xfffe
	s_delay_alu instid0(SALU_CYCLE_2) | instskip(SKIP_2) | instid1(SALU_CYCLE_1)
	s_cvt_u32_f32 s4, s2
	s_sub_co_i32 s2, 0, s11
	s_wait_alu 0xfffe
	s_mul_i32 s2, s2, s4
	s_wait_alu 0xfffe
	s_mul_hi_u32 s5, s4, s2
	s_abs_i32 s2, ttmp9
	s_add_co_i32 s4, s4, s5
	s_mov_b32 s5, s3
	s_wait_kmcnt 0x0
	s_cmp_eq_u64 s[8:9], 0
	s_cbranch_scc1 .LBB20_3
; %bb.2:
	s_mov_b32 s16, ttmp9
	s_ashr_i32 s17, ttmp9, 31
	s_delay_alu instid0(SALU_CYCLE_1) | instskip(NEXT) | instid1(SALU_CYCLE_1)
	s_lshl_b64 s[16:17], s[16:17], 2
	s_add_nc_u64 s[8:9], s[8:9], s[16:17]
	s_load_b32 s6, s[8:9], 0x0
.LBB20_3:
	s_load_b96 s[8:10], s[0:1], 0x58
	v_and_b32_e32 v21, 3, v0
	v_lshlrev_b32_e32 v23, 2, v0
	s_mul_u64 s[4:5], s[2:3], s[4:5]
	s_ashr_i32 s3, ttmp9, 31
	s_ashr_i32 s4, s12, 31
	s_mul_i32 s12, ttmp9, 0x50
	s_mov_b32 s16, exec_lo
	v_cmpx_gt_u32_e32 0x50, v0
	s_cbranch_execz .LBB20_5
; %bb.4:
	s_load_b64 s[18:19], s[0:1], 0x18
	s_wait_kmcnt 0x0
	s_mul_i32 s20, s8, s14
	s_ashr_i32 s13, s12, 31
	s_ashr_i32 s21, s20, 31
	v_and_b32_e32 v2, 0x3fc, v0
	s_lshl_b64 s[20:21], s[20:21], 2
	s_delay_alu instid0(VALU_DEP_1) | instskip(SKIP_2) | instid1(SALU_CYCLE_1)
	v_mad_u32_u24 v2, 0x50, v21, v2
	s_add_nc_u64 s[18:19], s[18:19], s[20:21]
	s_lshl_b64 s[20:21], s[12:13], 2
	s_add_nc_u64 s[18:19], s[18:19], s[20:21]
	global_load_b32 v1, v23, s[18:19]
	s_wait_loadcnt 0x0
	ds_store_b32 v2, v1
.LBB20_5:
	s_or_b32 exec_lo, exec_lo, s16
	s_wait_kmcnt 0x0
	s_add_co_i32 s8, s25, 7
	s_wait_alu 0xfffe
	s_xor_b32 s3, s3, s4
	s_ashr_i32 s13, s8, 31
	s_lshl_b32 s28, s24, 6
	s_lshr_b32 s4, s13, 29
	s_mul_i32 s13, s5, s11
	s_add_co_i32 s8, s8, s4
	s_add_co_i32 s4, s28, 64
	s_ashr_i32 s27, s8, 3
	s_load_b32 s8, s[0:1], 0x48
	s_sub_co_i32 s2, s2, s13
	s_min_i32 s13, s4, s27
	s_add_co_i32 s4, s5, 1
	s_wait_alu 0xfffe
	s_sub_co_i32 s16, s2, s11
	s_cmp_ge_u32 s2, s11
	v_lshrrev_b32_e32 v27, 5, v0
	s_cselect_b32 s4, s4, s5
	s_cselect_b32 s2, s16, s2
	s_add_co_i32 s5, s4, 1
	s_wait_alu 0xfffe
	s_cmp_ge_u32 s2, s11
	v_or_b32_e32 v28, s28, v27
	s_cselect_b32 s2, s5, s4
	v_mbcnt_lo_u32_b32 v25, -1, 0
	s_wait_alu 0xfffe
	s_xor_b32 s2, s2, s3
	s_mov_b32 s4, exec_lo
	s_wait_alu 0xfffe
	s_sub_co_i32 s3, s2, s3
	v_cmp_gt_i32_e64 s2, s13, v28
	s_wait_dscnt 0x0
	s_barrier_signal -1
	s_wait_kmcnt 0x0
	s_mul_i32 s16, s8, s14
	s_barrier_wait -1
	s_ashr_i32 s17, s16, 31
	global_inv scope:SCOPE_SE
                                        ; implicit-def: $vgpr26
                                        ; implicit-def: $vgpr30
	v_cmpx_le_i32_e64 s13, v28
	s_xor_b32 s4, exec_lo, s4
; %bb.6:
	v_mov_b32_e32 v26, 0
	v_mbcnt_lo_u32_b32 v25, -1, 0
	v_mov_b32_e32 v30, 32
                                        ; implicit-def: $vgpr21
; %bb.7:
	s_or_saveexec_b32 s11, s4
	s_clause 0x1
	s_load_b64 s[18:19], s[0:1], 0x38
	s_load_b32 s8, s[0:1], 0x98
	v_dual_mov_b32 v29, 0xff7fffff :: v_dual_lshlrev_b32 v24, 2, v28
	s_mul_i32 s20, s3, s10
	s_xor_b32 exec_lo, exec_lo, s11
	s_cbranch_execz .LBB20_13
; %bb.8:
	s_load_b64 s[4:5], s[0:1], 0x20
	v_bfe_u32 v22, v0, 2, 3
	s_ashr_i32 s21, s20, 31
	v_xor_b32_e32 v30, 2, v25
	s_lshl_b64 s[22:23], s[20:21], 2
	v_mul_u32_u24_e32 v17, 0x50, v21
	v_dual_mov_b32 v26, 0 :: v_dual_lshlrev_b32 v31, 4, v22
	v_lshlrev_b32_e32 v29, 2, v21
	v_cmp_gt_i32_e32 vcc_lo, 32, v30
	v_xor_b32_e32 v33, 1, v25
	ds_load_b128 v[1:4], v17
	ds_load_b128 v[5:8], v17 offset:16
	ds_load_b128 v[9:12], v17 offset:32
	;; [unrolled: 1-line block ×4, first 2 shown]
	v_lshlrev_b32_e32 v35, 2, v22
	s_cmp_neq_f32 s6, 0
	v_cndmask_b32_e32 v34, v25, v30, vcc_lo
	v_mov_b32_e32 v30, 32
	s_mov_b32 s21, s9
	s_mov_b32 s10, 0
	v_dual_mov_b32 v37, v28 :: v_dual_lshlrev_b32 v36, 3, v27
	s_wait_kmcnt 0x0
	s_add_nc_u64 s[4:5], s[4:5], s[22:23]
	s_delay_alu instid0(SALU_CYCLE_1)
	v_add_co_u32 v31, s3, s4, v31
	s_wait_alu 0xf1ff
	v_add_co_ci_u32_e64 v32, null, s5, 0, s3
	s_cselect_b32 s3, -1, 0
	v_add_co_u32 v31, vcc_lo, v31, v29
	s_wait_alu 0xfffd
	v_add_co_ci_u32_e64 v32, null, 0, v32, vcc_lo
	v_cmp_gt_i32_e32 vcc_lo, 32, v33
	s_lshl_b64 s[4:5], s[16:17], 2
	s_sub_co_i32 s22, 1, s25
	s_wait_alu 0xfffe
	s_add_nc_u64 s[4:5], s[18:19], s[4:5]
	s_wait_alu 0xfffd
	v_cndmask_b32_e32 v29, v25, v33, vcc_lo
	v_lshlrev_b32_e32 v33, 2, v34
	v_cmp_eq_u32_e32 vcc_lo, 0, v21
	s_wait_alu 0xfffe
	v_add_co_u32 v21, s4, s4, v24
	v_lshlrev_b32_e32 v34, 2, v29
	v_lshl_or_b32 v29, v27, 5, v35
	v_add3_u32 v35, s26, v36, v22
	s_wait_alu 0xf1ff
	v_add_co_ci_u32_e64 v22, null, s5, 0, s4
	s_delay_alu instid0(VALU_DEP_3)
	v_add_nc_u32_e32 v36, 0x160, v29
	v_mov_b32_e32 v29, 0xff7fffff
	s_branch .LBB20_10
.LBB20_9:                               ;   in Loop: Header=BB20_10 Depth=1
	s_wait_alu 0xfffe
	s_or_b32 exec_lo, exec_lo, s5
	v_add_nc_u32_e32 v37, 4, v37
	v_add_co_u32 v21, s5, v21, 16
	v_add_nc_u32_e32 v35, 32, v35
	v_add_nc_u32_e32 v36, 0x80, v36
	s_delay_alu instid0(VALU_DEP_4) | instskip(SKIP_3) | instid1(SALU_CYCLE_1)
	v_cmp_le_i32_e64 s4, s13, v37
	s_wait_alu 0xf1ff
	v_add_co_ci_u32_e64 v22, null, 0, v22, s5
	s_or_b32 s10, s4, s10
	s_and_not1_b32 exec_lo, exec_lo, s10
	s_cbranch_execz .LBB20_12
.LBB20_10:                              ; =>This Inner Loop Header: Depth=1
	global_load_b32 v38, v[21:22], off
	s_wait_loadcnt_dscnt 0x0
	v_mad_co_i64_i32 v[38:39], null, v38, s21, 0
	s_delay_alu instid0(VALU_DEP_1) | instskip(NEXT) | instid1(VALU_DEP_1)
	v_lshlrev_b64_e32 v[38:39], 2, v[38:39]
	v_add_co_u32 v38, s4, v31, v38
	s_wait_alu 0xf1ff
	s_delay_alu instid0(VALU_DEP_2)
	v_add_co_ci_u32_e64 v39, null, v32, v39, s4
	s_clause 0x13
	global_load_b32 v40, v[38:39], off offset:128
	global_load_b32 v41, v[38:39], off
	global_load_b32 v42, v[38:39], off offset:256
	global_load_b32 v43, v[38:39], off offset:384
	;; [unrolled: 1-line block ×18, first 2 shown]
	s_wait_loadcnt_dscnt 0x1304
	v_mul_f32_e32 v39, v2, v40
	s_wait_loadcnt 0x12
	s_delay_alu instid0(VALU_DEP_1) | instskip(SKIP_1) | instid1(VALU_DEP_1)
	v_fmac_f32_e32 v39, v1, v41
	s_wait_loadcnt 0x11
	v_fmac_f32_e32 v39, v3, v42
	s_wait_loadcnt 0x10
	s_delay_alu instid0(VALU_DEP_1) | instskip(SKIP_1) | instid1(VALU_DEP_1)
	v_fmac_f32_e32 v39, v4, v43
	s_wait_loadcnt_dscnt 0xf03
	v_fmac_f32_e32 v39, v5, v44
	s_wait_loadcnt 0xe
	s_delay_alu instid0(VALU_DEP_1) | instskip(SKIP_1) | instid1(VALU_DEP_1)
	v_fmac_f32_e32 v39, v6, v45
	s_wait_loadcnt 0xd
	v_fmac_f32_e32 v39, v7, v46
	s_wait_loadcnt 0xc
	s_delay_alu instid0(VALU_DEP_1) | instskip(SKIP_1) | instid1(VALU_DEP_1)
	v_fmac_f32_e32 v39, v8, v47
	s_wait_loadcnt_dscnt 0xb02
	v_fmac_f32_e32 v39, v9, v48
	;; [unrolled: 10-line block ×4, first 2 shown]
	s_wait_loadcnt 0x2
	s_delay_alu instid0(VALU_DEP_1) | instskip(SKIP_1) | instid1(VALU_DEP_1)
	v_fmac_f32_e32 v39, v18, v57
	s_wait_loadcnt 0x1
	v_fmac_f32_e32 v39, v19, v58
	s_wait_loadcnt 0x0
	s_delay_alu instid0(VALU_DEP_1)
	v_fmac_f32_e32 v39, v20, v38
	ds_bpermute_b32 v38, v33, v39
	s_wait_dscnt 0x0
	v_add_f32_e32 v38, v39, v38
	ds_bpermute_b32 v39, v34, v38
	s_and_saveexec_b32 s5, vcc_lo
	s_cbranch_execz .LBB20_9
; %bb.11:                               ;   in Loop: Header=BB20_10 Depth=1
	s_wait_dscnt 0x0
	v_add_f32_e32 v38, v38, v39
	v_add_nc_u32_e32 v40, s22, v35
	v_cmp_gt_i32_e64 s4, s25, v35
	s_delay_alu instid0(VALU_DEP_2) | instskip(NEXT) | instid1(VALU_DEP_1)
	v_cvt_f32_i32_e32 v40, v40
	v_mul_f32_e32 v40, s6, v40
	s_delay_alu instid0(VALU_DEP_1) | instskip(NEXT) | instid1(VALU_DEP_1)
	v_cndmask_b32_e64 v39, 0, v40, s3
	v_dual_max_num_f32 v40, v29, v29 :: v_dual_fmac_f32 v39, s7, v38
	s_delay_alu instid0(VALU_DEP_1) | instskip(SKIP_2) | instid1(VALU_DEP_2)
	v_max_num_f32_e32 v38, v40, v39
	s_wait_alu 0xf1ff
	v_cndmask_b32_e64 v39, 0, v39, s4
	v_cndmask_b32_e64 v29, v29, v38, s4
	ds_store_b32 v36, v39
	s_branch .LBB20_9
.LBB20_12:
	s_or_b32 exec_lo, exec_lo, s10
.LBB20_13:
	s_delay_alu instid0(SALU_CYCLE_1)
	s_or_b32 exec_lo, exec_lo, s11
	v_xor_b32_e32 v1, 16, v25
	v_xor_b32_e32 v3, 8, v25
	v_max_num_f32_e32 v5, v29, v29
	s_clause 0x2
	s_load_b128 s[4:7], s[0:1], 0x0
	s_load_b64 s[10:11], s[0:1], 0x10
	s_load_b64 s[22:23], s[0:1], 0x28
	v_cmp_lt_i32_e32 vcc_lo, v1, v30
	s_wait_alu 0xfffd
	v_cndmask_b32_e32 v1, v25, v1, vcc_lo
	v_cmp_lt_i32_e32 vcc_lo, v3, v30
	s_wait_alu 0xfffd
	v_cndmask_b32_e32 v3, v25, v3, vcc_lo
	s_delay_alu instid0(VALU_DEP_1)
	v_lshlrev_b32_e32 v4, 2, v3
	v_lshlrev_b32_e32 v2, 2, v1
	ds_bpermute_b32 v1, v2, v29
	v_and_b32_e32 v29, 31, v0
	s_wait_dscnt 0x0
	v_max_num_f32_e32 v1, v1, v1
	s_delay_alu instid0(VALU_DEP_1)
	v_max_num_f32_e32 v1, v5, v1
	v_xor_b32_e32 v5, 4, v25
	ds_bpermute_b32 v3, v4, v1
	v_cmp_lt_i32_e32 vcc_lo, v5, v30
	s_wait_alu 0xfffd
	v_cndmask_b32_e32 v5, v25, v5, vcc_lo
	v_cmp_eq_u32_e32 vcc_lo, 0, v29
	s_delay_alu instid0(VALU_DEP_2) | instskip(SKIP_3) | instid1(VALU_DEP_1)
	v_lshlrev_b32_e32 v7, 2, v5
	v_lshlrev_b32_e32 v5, 2, v27
	s_wait_dscnt 0x0
	v_max_num_f32_e32 v3, v3, v3
	v_max_num_f32_e32 v1, v1, v3
	ds_bpermute_b32 v3, v7, v1
	s_and_saveexec_b32 s0, vcc_lo
	s_cbranch_execz .LBB20_15
; %bb.14:
	s_wait_dscnt 0x0
	v_max_num_f32_e32 v3, v3, v3
	v_max_num_f32_e32 v1, v1, v1
	s_delay_alu instid0(VALU_DEP_1)
	v_max_num_f32_e32 v1, v1, v3
	ds_store_b32 v5, v1 offset:320
.LBB20_15:
	s_or_b32 exec_lo, exec_lo, s0
	v_cmp_gt_u32_e64 s0, 4, v29
	v_dual_mov_b32 v1, 0xff7fffff :: v_dual_lshlrev_b32 v6, 2, v29
	s_wait_loadcnt_dscnt 0x0
	s_barrier_signal -1
	s_barrier_wait -1
	global_inv scope:SCOPE_SE
	s_and_saveexec_b32 s1, s0
; %bb.16:
	ds_load_b32 v1, v6 offset:320
; %bb.17:
	s_or_b32 exec_lo, exec_lo, s1
	v_xor_b32_e32 v3, 2, v25
	v_xor_b32_e32 v9, 1, v25
	s_delay_alu instid0(VALU_DEP_2) | instskip(NEXT) | instid1(VALU_DEP_1)
	v_cmp_lt_i32_e64 s1, v3, v30
	v_cndmask_b32_e64 v3, v25, v3, s1
	s_delay_alu instid0(VALU_DEP_3) | instskip(NEXT) | instid1(VALU_DEP_2)
	v_cmp_lt_i32_e64 s1, v9, v30
	v_lshlrev_b32_e32 v8, 2, v3
	s_wait_alu 0xf1ff
	s_delay_alu instid0(VALU_DEP_2)
	v_cndmask_b32_e64 v9, v25, v9, s1
	s_sub_co_i32 s1, s13, s28
	s_wait_alu 0xfffe
	s_lshl_b32 s1, s1, 3
	s_wait_dscnt 0x0
	ds_bpermute_b32 v3, v8, v1
	v_max_num_f32_e32 v1, v1, v1
	s_wait_alu 0xfffe
	s_add_co_i32 s1, s1, s26
	v_lshlrev_b32_e32 v30, 2, v9
	s_wait_alu 0xfffe
	s_min_i32 s1, s1, s25
	v_mov_b32_e32 v9, 0
	s_wait_alu 0xfffe
	s_sub_co_i32 s21, s1, s26
	s_wait_alu 0xfffe
	v_cmp_gt_i32_e64 s1, s21, v0
	s_wait_dscnt 0x0
	v_max_num_f32_e32 v3, v3, v3
	s_delay_alu instid0(VALU_DEP_1) | instskip(SKIP_3) | instid1(VALU_DEP_1)
	v_max_num_f32_e32 v1, v1, v3
	ds_bpermute_b32 v3, v30, v1
	s_wait_dscnt 0x0
	v_max_num_f32_e32 v3, v3, v3
	v_max_num_f32_e32 v1, v1, v3
	v_lshlrev_b32_e32 v3, 2, v26
	ds_bpermute_b32 v1, v3, v1
	v_lshl_add_u32 v3, v0, 2, 0x160
	s_and_saveexec_b32 s28, s1
	s_cbranch_execz .LBB20_21
; %bb.18:
	v_lshl_add_u32 v10, v0, 2, 0x160
	v_mov_b32_e32 v9, 0
	v_mov_b32_e32 v11, v0
	s_mov_b32 s29, 0
.LBB20_19:                              ; =>This Inner Loop Header: Depth=1
	ds_load_b32 v12, v10
	v_add_nc_u32_e32 v11, 0x80, v11
	s_delay_alu instid0(VALU_DEP_1) | instskip(SKIP_4) | instid1(VALU_DEP_1)
	v_cmp_le_i32_e64 s3, s21, v11
	s_wait_alu 0xfffe
	s_or_b32 s29, s3, s29
	s_wait_dscnt 0x0
	v_sub_f32_e32 v12, v12, v1
	v_mul_f32_e32 v12, 0x3fb8aa3b, v12
	s_delay_alu instid0(VALU_DEP_1)
	v_exp_f32_e32 v12, v12
	ds_store_b32 v10, v12
	v_dual_add_f32 v9, v9, v12 :: v_dual_add_nc_u32 v10, 0x200, v10
	s_wait_alu 0xfffe
	s_and_not1_b32 exec_lo, exec_lo, s29
	s_cbranch_execnz .LBB20_19
; %bb.20:
	s_or_b32 exec_lo, exec_lo, s29
.LBB20_21:
	s_wait_alu 0xfffe
	s_or_b32 exec_lo, exec_lo, s28
	ds_bpermute_b32 v2, v2, v9
	s_wait_dscnt 0x0
	v_add_f32_e32 v2, v9, v2
	ds_bpermute_b32 v4, v4, v2
	s_wait_dscnt 0x0
	v_add_f32_e32 v2, v2, v4
	;; [unrolled: 3-line block ×5, first 2 shown]
	s_and_saveexec_b32 s3, vcc_lo
; %bb.22:
	ds_store_b32 v5, v2 offset:336
; %bb.23:
	s_wait_alu 0xfffe
	s_or_b32 exec_lo, exec_lo, s3
	s_wait_loadcnt_dscnt 0x0
	s_barrier_signal -1
	s_barrier_wait -1
	global_inv scope:SCOPE_SE
	s_and_saveexec_b32 s3, s0
; %bb.24:
	ds_load_b32 v2, v6 offset:336
; %bb.25:
	s_wait_alu 0xfffe
	s_or_b32 exec_lo, exec_lo, s3
	s_wait_dscnt 0x0
	ds_bpermute_b32 v4, v8, v2
	s_wait_dscnt 0x0
	v_dual_add_f32 v2, v2, v4 :: v_dual_lshlrev_b32 v5, 2, v25
	ds_bpermute_b32 v4, v30, v2
	s_wait_dscnt 0x0
	v_add_f32_e32 v2, v2, v4
	v_and_b32_e32 v4, 0xffffff80, v5
	ds_bpermute_b32 v2, v4, v2
	s_and_saveexec_b32 s0, s1
	s_cbranch_execz .LBB20_28
; %bb.26:
	s_wait_dscnt 0x0
	v_add_f32_e32 v4, 0x358637bd, v2
	s_mov_b32 s1, 0
	s_delay_alu instid0(VALU_DEP_1) | instskip(SKIP_1) | instid1(VALU_DEP_2)
	v_div_scale_f32 v5, null, v4, v4, 1.0
	v_div_scale_f32 v8, vcc_lo, 1.0, v4, 1.0
	v_rcp_f32_e32 v6, v5
	s_delay_alu instid0(TRANS32_DEP_1) | instskip(NEXT) | instid1(VALU_DEP_1)
	v_fma_f32 v7, -v5, v6, 1.0
	v_fmac_f32_e32 v6, v7, v6
	s_delay_alu instid0(VALU_DEP_1) | instskip(NEXT) | instid1(VALU_DEP_1)
	v_mul_f32_e32 v7, v8, v6
	v_fma_f32 v9, -v5, v7, v8
	s_delay_alu instid0(VALU_DEP_1) | instskip(NEXT) | instid1(VALU_DEP_1)
	v_fmac_f32_e32 v7, v9, v6
	v_fma_f32 v5, -v5, v7, v8
	s_wait_alu 0xfffd
	s_delay_alu instid0(VALU_DEP_1) | instskip(NEXT) | instid1(VALU_DEP_1)
	v_div_fmas_f32 v5, v5, v6, v7
	v_div_fixup_f32 v4, v5, v4, 1.0
	v_mov_b32_e32 v5, v0
.LBB20_27:                              ; =>This Inner Loop Header: Depth=1
	ds_load_b32 v6, v3
	s_wait_dscnt 0x0
	v_dual_mul_f32 v6, v4, v6 :: v_dual_add_nc_u32 v5, 0x80, v5
	s_delay_alu instid0(VALU_DEP_1)
	v_cmp_le_i32_e32 vcc_lo, s21, v5
	ds_store_b32 v3, v6
	v_add_nc_u32_e32 v3, 0x200, v3
	s_wait_alu 0xfffe
	s_or_b32 s1, vcc_lo, s1
	s_wait_alu 0xfffe
	s_and_not1_b32 exec_lo, exec_lo, s1
	s_cbranch_execnz .LBB20_27
.LBB20_28:
	s_wait_alu 0xfffe
	s_or_b32 exec_lo, exec_lo, s0
	s_wait_kmcnt 0x0
	s_mul_i32 s0, s8, s14
	s_wait_loadcnt_dscnt 0x0
	s_wait_alu 0xfffe
	s_mul_i32 s14, s0, s15
	s_mov_b32 s0, exec_lo
	s_barrier_signal -1
	s_barrier_wait -1
	global_inv scope:SCOPE_SE
	v_cmpx_eq_u32_e32 0, v0
	s_cbranch_execz .LBB20_30
; %bb.29:
	s_ashr_i32 s15, s14, 31
	s_wait_alu 0xfffe
	s_mul_i32 s28, s8, ttmp9
	s_lshl_b32 s1, s24, 2
	s_lshl_b64 s[30:31], s[14:15], 2
	s_wait_alu 0xfffe
	s_ashr_i32 s29, s28, 31
	v_mov_b32_e32 v3, s1
	s_add_nc_u64 s[6:7], s[6:7], s[30:31]
	s_wait_alu 0xfffe
	s_lshl_b64 s[28:29], s[28:29], 2
	s_add_nc_u64 s[4:5], s[4:5], s[30:31]
	s_wait_alu 0xfffe
	s_add_nc_u64 s[6:7], s[6:7], s[28:29]
	s_add_nc_u64 s[4:5], s[4:5], s[28:29]
	s_clause 0x1
	global_store_b32 v3, v1, s[6:7]
	global_store_b32 v3, v2, s[4:5]
.LBB20_30:
	s_wait_alu 0xfffe
	s_or_b32 exec_lo, exec_lo, s0
	v_dual_mov_b32 v34, 0 :: v_dual_and_b32 v31, 1, v0
	v_dual_mov_b32 v36, 0 :: v_dual_mov_b32 v35, 0
	v_dual_mov_b32 v33, 0 :: v_dual_mov_b32 v32, 0
	s_and_saveexec_b32 s1, s2
	s_cbranch_execz .LBB20_44
; %bb.31:
	v_dual_mov_b32 v32, 0 :: v_dual_lshlrev_b32 v1, 4, v0
	s_ashr_i32 s21, s20, 31
	v_dual_mov_b32 v36, 0 :: v_dual_lshlrev_b32 v3, 4, v31
	s_delay_alu instid0(VALU_DEP_2)
	v_dual_mov_b32 v34, 0 :: v_dual_and_b32 v1, 0x1f0, v1
	s_wait_alu 0xfffe
	s_lshl_b64 s[2:3], s[20:21], 2
	v_dual_mov_b32 v33, 0 :: v_dual_and_b32 v2, 4, v23
	s_wait_alu 0xfffe
	s_add_nc_u64 s[2:3], s[22:23], s[2:3]
	v_lshl_add_u32 v4, v27, 3, s26
	s_wait_alu 0xfffe
	v_add_co_u32 v37, s0, s2, v1
	s_wait_alu 0xf1ff
	v_add_co_ci_u32_e64 v38, null, s3, 0, s0
	s_lshl_b64 s[2:3], s[16:17], 2
	v_lshl_or_b32 v3, v27, 5, v3
	s_wait_alu 0xfffe
	s_add_nc_u64 s[2:3], s[18:19], s[2:3]
	v_add3_u32 v39, v4, v2, 3
	s_wait_alu 0xfffe
	v_add_co_u32 v25, s0, s2, v24
	v_dual_mov_b32 v35, 0 :: v_dual_add_nc_u32 v40, 0x160, v3
	s_wait_alu 0xf1ff
	v_add_co_ci_u32_e64 v26, null, s3, 0, s0
	s_mov_b32 s2, s9
	s_add_co_i32 s27, s27, -1
	s_mov_b32 s3, 0
	s_branch .LBB20_33
.LBB20_32:                              ;   in Loop: Header=BB20_33 Depth=1
	s_wait_alu 0xfffe
	s_or_b32 exec_lo, exec_lo, s0
	s_wait_loadcnt_dscnt 0x100
	v_dual_mul_f32 v17, v1, v17 :: v_dual_add_nc_u32 v28, 4, v28
	v_dual_mul_f32 v13, v1, v13 :: v_dual_add_nc_u32 v40, 0x80, v40
	v_mul_f32_e32 v9, v1, v9
	v_mul_f32_e32 v5, v1, v5
	s_wait_loadcnt 0x0
	v_mul_f32_e32 v1, v1, v21
	v_cmp_le_i32_e32 vcc_lo, s13, v28
	v_add_co_u32 v25, s0, v25, 16
	v_fmac_f32_e32 v9, v2, v10
	s_delay_alu instid0(VALU_DEP_4)
	v_fmac_f32_e32 v1, v2, v22
	v_fmac_f32_e32 v5, v2, v6
	v_add_nc_u32_e32 v39, 32, v39
	s_wait_alu 0xf1ff
	v_add_co_ci_u32_e64 v26, null, 0, v26, s0
	v_fmac_f32_e32 v9, v3, v11
	v_fmac_f32_e32 v1, v3, v23
	;; [unrolled: 1-line block ×3, first 2 shown]
	s_or_b32 s3, vcc_lo, s3
	s_delay_alu instid0(VALU_DEP_3) | instskip(SKIP_4) | instid1(VALU_DEP_4)
	v_fmac_f32_e32 v9, v4, v12
	v_fmac_f32_e32 v17, v2, v18
	;; [unrolled: 1-line block ×5, first 2 shown]
	v_dual_add_f32 v36, v36, v9 :: v_dual_fmac_f32 v17, v3, v19
	s_delay_alu instid0(VALU_DEP_3) | instskip(NEXT) | instid1(VALU_DEP_2)
	v_dual_add_f32 v32, v32, v1 :: v_dual_fmac_f32 v13, v3, v15
	v_dual_add_f32 v34, v34, v5 :: v_dual_fmac_f32 v17, v4, v20
	s_delay_alu instid0(VALU_DEP_2) | instskip(NEXT) | instid1(VALU_DEP_2)
	v_fmac_f32_e32 v13, v4, v16
	v_add_f32_e32 v33, v33, v17
	s_delay_alu instid0(VALU_DEP_2)
	v_add_f32_e32 v35, v35, v13
	s_wait_alu 0xfffe
	s_and_not1_b32 exec_lo, exec_lo, s3
	s_cbranch_execz .LBB20_43
.LBB20_33:                              ; =>This Inner Loop Header: Depth=1
	global_load_b32 v1, v[25:26], off
	v_add_nc_u32_e32 v41, -3, v39
	v_add_nc_u32_e32 v43, -2, v39
	;; [unrolled: 1-line block ×3, first 2 shown]
	s_wait_loadcnt 0x0
	s_wait_alu 0xfffe
	v_mad_co_i64_i32 v[1:2], null, v1, s2, 0
	s_delay_alu instid0(VALU_DEP_1) | instskip(NEXT) | instid1(VALU_DEP_1)
	v_lshlrev_b64_e32 v[1:2], 2, v[1:2]
	v_add_co_u32 v21, vcc_lo, v37, v1
	s_wait_alu 0xfffd
	s_delay_alu instid0(VALU_DEP_2)
	v_add_co_ci_u32_e64 v22, null, v38, v2, vcc_lo
	ds_load_b128 v[1:4], v40
	v_cmp_eq_u32_e32 vcc_lo, s27, v28
	global_load_b128 v[5:8], v[21:22], off
	s_and_saveexec_b32 s4, vcc_lo
	s_cbranch_execnz .LBB20_38
; %bb.34:                               ;   in Loop: Header=BB20_33 Depth=1
	s_wait_alu 0xfffe
	s_or_b32 exec_lo, exec_lo, s4
	global_load_b128 v[9:12], v[21:22], off offset:512
	s_and_saveexec_b32 s4, vcc_lo
	s_cbranch_execnz .LBB20_39
.LBB20_35:                              ;   in Loop: Header=BB20_33 Depth=1
	s_wait_alu 0xfffe
	s_or_b32 exec_lo, exec_lo, s4
	global_load_b128 v[13:16], v[21:22], off offset:1024
	s_and_saveexec_b32 s4, vcc_lo
	s_cbranch_execnz .LBB20_40
.LBB20_36:                              ;   in Loop: Header=BB20_33 Depth=1
	s_wait_alu 0xfffe
	s_or_b32 exec_lo, exec_lo, s4
	global_load_b128 v[17:20], v[21:22], off offset:1536
	s_and_saveexec_b32 s4, vcc_lo
	s_cbranch_execnz .LBB20_41
.LBB20_37:                              ;   in Loop: Header=BB20_33 Depth=1
	s_wait_alu 0xfffe
	s_or_b32 exec_lo, exec_lo, s4
	global_load_b128 v[21:24], v[21:22], off offset:2048
	s_and_saveexec_b32 s0, vcc_lo
	s_cbranch_execz .LBB20_32
	s_branch .LBB20_42
.LBB20_38:                              ;   in Loop: Header=BB20_33 Depth=1
	v_cmp_gt_i32_e64 s0, s25, v41
	s_wait_loadcnt 0x0
	s_wait_alu 0xf1ff
	s_delay_alu instid0(VALU_DEP_1) | instskip(SKIP_2) | instid1(VALU_DEP_1)
	v_cndmask_b32_e64 v5, 0, v5, s0
	v_cmp_gt_i32_e64 s0, s25, v43
	s_wait_alu 0xf1ff
	v_cndmask_b32_e64 v6, 0, v6, s0
	v_cmp_gt_i32_e64 s0, s25, v42
	s_wait_alu 0xf1ff
	s_delay_alu instid0(VALU_DEP_1) | instskip(SKIP_2) | instid1(VALU_DEP_1)
	v_cndmask_b32_e64 v7, 0, v7, s0
	v_cmp_gt_i32_e64 s0, s25, v39
	s_wait_alu 0xf1ff
	v_cndmask_b32_e64 v8, 0, v8, s0
	s_wait_alu 0xfffe
	s_or_b32 exec_lo, exec_lo, s4
	global_load_b128 v[9:12], v[21:22], off offset:512
	s_and_saveexec_b32 s4, vcc_lo
	s_cbranch_execz .LBB20_35
.LBB20_39:                              ;   in Loop: Header=BB20_33 Depth=1
	v_cmp_gt_i32_e64 s0, s25, v41
	s_wait_loadcnt 0x0
	s_wait_alu 0xf1ff
	s_delay_alu instid0(VALU_DEP_1) | instskip(SKIP_2) | instid1(VALU_DEP_1)
	v_cndmask_b32_e64 v9, 0, v9, s0
	v_cmp_gt_i32_e64 s0, s25, v43
	s_wait_alu 0xf1ff
	v_cndmask_b32_e64 v10, 0, v10, s0
	v_cmp_gt_i32_e64 s0, s25, v42
	s_wait_alu 0xf1ff
	s_delay_alu instid0(VALU_DEP_1) | instskip(SKIP_2) | instid1(VALU_DEP_1)
	v_cndmask_b32_e64 v11, 0, v11, s0
	v_cmp_gt_i32_e64 s0, s25, v39
	s_wait_alu 0xf1ff
	v_cndmask_b32_e64 v12, 0, v12, s0
	s_wait_alu 0xfffe
	s_or_b32 exec_lo, exec_lo, s4
	global_load_b128 v[13:16], v[21:22], off offset:1024
	s_and_saveexec_b32 s4, vcc_lo
	s_cbranch_execz .LBB20_36
.LBB20_40:                              ;   in Loop: Header=BB20_33 Depth=1
	v_cmp_gt_i32_e64 s0, s25, v41
	s_wait_loadcnt 0x0
	s_wait_alu 0xf1ff
	s_delay_alu instid0(VALU_DEP_1) | instskip(SKIP_2) | instid1(VALU_DEP_1)
	v_cndmask_b32_e64 v13, 0, v13, s0
	v_cmp_gt_i32_e64 s0, s25, v43
	s_wait_alu 0xf1ff
	v_cndmask_b32_e64 v14, 0, v14, s0
	v_cmp_gt_i32_e64 s0, s25, v42
	s_wait_alu 0xf1ff
	s_delay_alu instid0(VALU_DEP_1) | instskip(SKIP_2) | instid1(VALU_DEP_1)
	v_cndmask_b32_e64 v15, 0, v15, s0
	v_cmp_gt_i32_e64 s0, s25, v39
	s_wait_alu 0xf1ff
	v_cndmask_b32_e64 v16, 0, v16, s0
	s_wait_alu 0xfffe
	s_or_b32 exec_lo, exec_lo, s4
	global_load_b128 v[17:20], v[21:22], off offset:1536
	s_and_saveexec_b32 s4, vcc_lo
	s_cbranch_execz .LBB20_37
.LBB20_41:                              ;   in Loop: Header=BB20_33 Depth=1
	v_cmp_gt_i32_e64 s0, s25, v41
	s_wait_loadcnt 0x0
	s_wait_alu 0xf1ff
	s_delay_alu instid0(VALU_DEP_1) | instskip(SKIP_2) | instid1(VALU_DEP_1)
	v_cndmask_b32_e64 v17, 0, v17, s0
	v_cmp_gt_i32_e64 s0, s25, v43
	s_wait_alu 0xf1ff
	v_cndmask_b32_e64 v18, 0, v18, s0
	v_cmp_gt_i32_e64 s0, s25, v42
	s_wait_alu 0xf1ff
	s_delay_alu instid0(VALU_DEP_1) | instskip(SKIP_2) | instid1(VALU_DEP_1)
	v_cndmask_b32_e64 v19, 0, v19, s0
	v_cmp_gt_i32_e64 s0, s25, v39
	s_wait_alu 0xf1ff
	v_cndmask_b32_e64 v20, 0, v20, s0
	s_wait_alu 0xfffe
	s_or_b32 exec_lo, exec_lo, s4
	global_load_b128 v[21:24], v[21:22], off offset:2048
	s_and_saveexec_b32 s0, vcc_lo
	s_cbranch_execz .LBB20_32
.LBB20_42:                              ;   in Loop: Header=BB20_33 Depth=1
	v_cmp_gt_i32_e32 vcc_lo, s25, v41
	s_wait_loadcnt 0x0
	s_wait_alu 0xfffd
	v_cndmask_b32_e32 v21, 0, v21, vcc_lo
	v_cmp_gt_i32_e32 vcc_lo, s25, v43
	s_wait_alu 0xfffd
	v_cndmask_b32_e32 v22, 0, v22, vcc_lo
	v_cmp_gt_i32_e32 vcc_lo, s25, v42
	;; [unrolled: 3-line block ×3, first 2 shown]
	s_wait_alu 0xfffd
	v_cndmask_b32_e32 v24, 0, v24, vcc_lo
	s_branch .LBB20_32
.LBB20_43:
	s_or_b32 exec_lo, exec_lo, s3
.LBB20_44:
	s_wait_alu 0xfffe
	s_or_b32 exec_lo, exec_lo, s1
	ds_bpermute_b32 v1, v30, v34
	ds_bpermute_b32 v2, v30, v36
	;; [unrolled: 1-line block ×5, first 2 shown]
	v_lshrrev_b32_e32 v6, 1, v29
	v_mul_u32_u24_e32 v8, 0x140, v27
	v_and_b32_e32 v9, 0x3c1, v0
	s_mov_b32 s0, exec_lo
	s_wait_storecnt 0x0
	s_wait_loadcnt_dscnt 0x0
	v_lshl_add_u32 v7, v6, 2, 0x160
	s_barrier_signal -1
	s_barrier_wait -1
	global_inv scope:SCOPE_SE
	v_dual_add_f32 v1, v34, v1 :: v_dual_add_f32 v2, v36, v2
	v_dual_add_f32 v3, v35, v3 :: v_dual_add_f32 v4, v33, v4
	v_add_f32_e32 v5, v32, v5
	v_cmpx_eq_u32_e32 64, v9
	s_cbranch_execz .LBB20_46
; %bb.45:
	v_add_nc_u32_e32 v9, v7, v8
	s_delay_alu instid0(VALU_DEP_1)
	v_add_nc_u32_e32 v10, 0xfffffd80, v9
	v_add_nc_u32_e32 v11, 0xfffffdc0, v9
	;; [unrolled: 1-line block ×5, first 2 shown]
	ds_store_b32 v10, v1
	ds_store_b32 v11, v2
	;; [unrolled: 1-line block ×5, first 2 shown]
.LBB20_46:
	s_wait_alu 0xfffe
	s_or_b32 exec_lo, exec_lo, s0
	v_lshlrev_b32_e32 v6, 2, v6
	s_mov_b32 s1, exec_lo
	v_cmp_eq_u32_e32 vcc_lo, 0, v31
	s_wait_loadcnt_dscnt 0x0
	s_barrier_signal -1
	v_add3_u32 v6, 0x160, v8, v6
	s_barrier_wait -1
	global_inv scope:SCOPE_SE
	v_cmpx_gt_u32_e32 64, v0
	s_cbranch_execz .LBB20_54
; %bb.47:
	s_and_saveexec_b32 s0, vcc_lo
	s_cbranch_execnz .LBB20_67
; %bb.48:
	s_wait_alu 0xfffe
	s_or_b32 exec_lo, exec_lo, s0
	s_and_saveexec_b32 s0, vcc_lo
	s_cbranch_execnz .LBB20_68
.LBB20_49:
	s_wait_alu 0xfffe
	s_or_b32 exec_lo, exec_lo, s0
	s_and_saveexec_b32 s0, vcc_lo
	s_cbranch_execnz .LBB20_69
.LBB20_50:
	s_wait_alu 0xfffe
	s_or_b32 exec_lo, exec_lo, s0
	s_and_saveexec_b32 s0, vcc_lo
	s_cbranch_execnz .LBB20_70
.LBB20_51:
	s_wait_alu 0xfffe
	s_or_b32 exec_lo, exec_lo, s0
	s_and_saveexec_b32 s0, vcc_lo
	s_cbranch_execz .LBB20_53
.LBB20_52:
	ds_load_b32 v8, v6 offset:256
	s_wait_dscnt 0x0
	v_add_f32_e32 v5, v5, v8
.LBB20_53:
	s_wait_alu 0xfffe
	s_or_b32 exec_lo, exec_lo, s0
.LBB20_54:
	s_wait_alu 0xfffe
	s_or_b32 exec_lo, exec_lo, s1
	v_and_b32_e32 v8, 0x3e1, v0
	s_mov_b32 s1, exec_lo
	s_wait_loadcnt 0x0
	s_barrier_signal -1
	s_barrier_wait -1
	global_inv scope:SCOPE_SE
	v_cmpx_eq_u32_e32 32, v8
	s_cbranch_execz .LBB20_56
; %bb.55:
	ds_store_2addr_b32 v7, v1, v2 offset1:16
	ds_store_2addr_b32 v7, v3, v4 offset0:32 offset1:48
	ds_store_b32 v7, v5 offset:256
.LBB20_56:
	s_wait_alu 0xfffe
	s_or_b32 exec_lo, exec_lo, s1
	s_delay_alu instid0(SALU_CYCLE_1)
	s_mov_b32 s1, exec_lo
	s_wait_loadcnt_dscnt 0x0
	s_barrier_signal -1
	s_barrier_wait -1
	global_inv scope:SCOPE_SE
	v_cmpx_gt_u32_e32 32, v0
	s_cbranch_execz .LBB20_64
; %bb.57:
	s_and_saveexec_b32 s0, vcc_lo
	s_cbranch_execnz .LBB20_71
; %bb.58:
	s_wait_alu 0xfffe
	s_or_b32 exec_lo, exec_lo, s0
	s_and_saveexec_b32 s0, vcc_lo
	s_cbranch_execnz .LBB20_72
.LBB20_59:
	s_wait_alu 0xfffe
	s_or_b32 exec_lo, exec_lo, s0
	s_and_saveexec_b32 s0, vcc_lo
	s_cbranch_execnz .LBB20_73
.LBB20_60:
	s_wait_alu 0xfffe
	s_or_b32 exec_lo, exec_lo, s0
	s_and_saveexec_b32 s0, vcc_lo
	s_cbranch_execnz .LBB20_74
.LBB20_61:
	s_wait_alu 0xfffe
	s_or_b32 exec_lo, exec_lo, s0
	s_and_saveexec_b32 s0, vcc_lo
	s_cbranch_execz .LBB20_63
.LBB20_62:
	ds_load_b32 v6, v6 offset:256
	s_wait_dscnt 0x0
	v_add_f32_e32 v5, v5, v6
.LBB20_63:
	s_wait_alu 0xfffe
	s_or_b32 exec_lo, exec_lo, s0
.LBB20_64:
	s_wait_alu 0xfffe
	s_or_b32 exec_lo, exec_lo, s1
	s_mov_b32 s1, 0
	s_wait_loadcnt 0x0
	s_barrier_signal -1
	s_barrier_wait -1
	global_inv scope:SCOPE_SE
	s_mov_b32 s0, exec_lo
	v_cmpx_eq_u32_e32 0, v8
	s_cbranch_execz .LBB20_66
; %bb.65:
	s_mul_i32 s2, s14, 0x50
	s_mul_i32 s4, s8, s12
	s_wait_alu 0xfffe
	s_ashr_i32 s3, s2, 31
	s_ashr_i32 s5, s4, 31
	s_wait_alu 0xfffe
	s_lshl_b64 s[2:3], s[2:3], 2
	s_lshl_b64 s[4:5], s[4:5], 2
	s_wait_alu 0xfffe
	s_add_nc_u64 s[2:3], s[10:11], s[2:3]
	v_lshlrev_b32_e32 v0, 1, v0
	s_mul_i32 s0, s24, 0x140
	s_wait_alu 0xfffe
	s_add_nc_u64 s[2:3], s[2:3], s[4:5]
	s_wait_alu 0xfffe
	s_add_nc_u64 s[0:1], s[2:3], s[0:1]
	s_clause 0x4
	global_store_b32 v0, v1, s[0:1]
	global_store_b32 v0, v2, s[0:1] offset:64
	global_store_b32 v0, v3, s[0:1] offset:128
	;; [unrolled: 1-line block ×4, first 2 shown]
.LBB20_66:
	s_endpgm
.LBB20_67:
	ds_load_b32 v8, v6
	s_wait_dscnt 0x0
	v_add_f32_e32 v1, v1, v8
	s_wait_alu 0xfffe
	s_or_b32 exec_lo, exec_lo, s0
	s_and_saveexec_b32 s0, vcc_lo
	s_cbranch_execz .LBB20_49
.LBB20_68:
	ds_load_b32 v8, v6 offset:64
	s_wait_dscnt 0x0
	v_add_f32_e32 v2, v2, v8
	s_wait_alu 0xfffe
	s_or_b32 exec_lo, exec_lo, s0
	s_and_saveexec_b32 s0, vcc_lo
	s_cbranch_execz .LBB20_50
.LBB20_69:
	ds_load_b32 v8, v6 offset:128
	s_wait_dscnt 0x0
	v_add_f32_e32 v3, v3, v8
	s_wait_alu 0xfffe
	s_or_b32 exec_lo, exec_lo, s0
	s_and_saveexec_b32 s0, vcc_lo
	s_cbranch_execz .LBB20_51
.LBB20_70:
	ds_load_b32 v8, v6 offset:192
	s_wait_dscnt 0x0
	v_add_f32_e32 v4, v4, v8
	s_wait_alu 0xfffe
	s_or_b32 exec_lo, exec_lo, s0
	s_and_saveexec_b32 s0, vcc_lo
	s_cbranch_execnz .LBB20_52
	s_branch .LBB20_53
.LBB20_71:
	ds_load_b32 v7, v6
	s_wait_dscnt 0x0
	v_add_f32_e32 v1, v1, v7
	s_wait_alu 0xfffe
	s_or_b32 exec_lo, exec_lo, s0
	s_and_saveexec_b32 s0, vcc_lo
	s_cbranch_execz .LBB20_59
.LBB20_72:
	ds_load_b32 v7, v6 offset:64
	s_wait_dscnt 0x0
	v_add_f32_e32 v2, v2, v7
	s_wait_alu 0xfffe
	s_or_b32 exec_lo, exec_lo, s0
	s_and_saveexec_b32 s0, vcc_lo
	s_cbranch_execz .LBB20_60
.LBB20_73:
	ds_load_b32 v7, v6 offset:128
	s_wait_dscnt 0x0
	v_add_f32_e32 v3, v3, v7
	s_wait_alu 0xfffe
	s_or_b32 exec_lo, exec_lo, s0
	s_and_saveexec_b32 s0, vcc_lo
	s_cbranch_execz .LBB20_61
.LBB20_74:
	ds_load_b32 v7, v6 offset:192
	s_wait_dscnt 0x0
	v_add_f32_e32 v4, v4, v7
	s_wait_alu 0xfffe
	s_or_b32 exec_lo, exec_lo, s0
	s_and_saveexec_b32 s0, vcc_lo
	s_cbranch_execnz .LBB20_62
	s_branch .LBB20_63
	.section	.rodata,"a",@progbits
	.p2align	6, 0x0
	.amdhsa_kernel _ZN4vllm25paged_attention_v2_kernelIffLi80ELi8ELi128ELNS_18Fp8KVCacheDataTypeE0ELb0ELi512EEEvPfS2_PT_PKS3_PKT0_S9_ifPKiSB_iPKfiiiSD_SD_iiiii
		.amdhsa_group_segment_fixed_size 352
		.amdhsa_private_segment_fixed_size 0
		.amdhsa_kernarg_size 400
		.amdhsa_user_sgpr_count 2
		.amdhsa_user_sgpr_dispatch_ptr 0
		.amdhsa_user_sgpr_queue_ptr 0
		.amdhsa_user_sgpr_kernarg_segment_ptr 1
		.amdhsa_user_sgpr_dispatch_id 0
		.amdhsa_user_sgpr_private_segment_size 0
		.amdhsa_wavefront_size32 1
		.amdhsa_uses_dynamic_stack 0
		.amdhsa_enable_private_segment 0
		.amdhsa_system_sgpr_workgroup_id_x 1
		.amdhsa_system_sgpr_workgroup_id_y 1
		.amdhsa_system_sgpr_workgroup_id_z 1
		.amdhsa_system_sgpr_workgroup_info 0
		.amdhsa_system_vgpr_workitem_id 0
		.amdhsa_next_free_vgpr 59
		.amdhsa_next_free_sgpr 32
		.amdhsa_reserve_vcc 1
		.amdhsa_float_round_mode_32 0
		.amdhsa_float_round_mode_16_64 0
		.amdhsa_float_denorm_mode_32 3
		.amdhsa_float_denorm_mode_16_64 3
		.amdhsa_fp16_overflow 0
		.amdhsa_workgroup_processor_mode 1
		.amdhsa_memory_ordered 1
		.amdhsa_forward_progress 1
		.amdhsa_inst_pref_size 40
		.amdhsa_round_robin_scheduling 0
		.amdhsa_exception_fp_ieee_invalid_op 0
		.amdhsa_exception_fp_denorm_src 0
		.amdhsa_exception_fp_ieee_div_zero 0
		.amdhsa_exception_fp_ieee_overflow 0
		.amdhsa_exception_fp_ieee_underflow 0
		.amdhsa_exception_fp_ieee_inexact 0
		.amdhsa_exception_int_div_zero 0
	.end_amdhsa_kernel
	.section	.text._ZN4vllm25paged_attention_v2_kernelIffLi80ELi8ELi128ELNS_18Fp8KVCacheDataTypeE0ELb0ELi512EEEvPfS2_PT_PKS3_PKT0_S9_ifPKiSB_iPKfiiiSD_SD_iiiii,"axG",@progbits,_ZN4vllm25paged_attention_v2_kernelIffLi80ELi8ELi128ELNS_18Fp8KVCacheDataTypeE0ELb0ELi512EEEvPfS2_PT_PKS3_PKT0_S9_ifPKiSB_iPKfiiiSD_SD_iiiii,comdat
.Lfunc_end20:
	.size	_ZN4vllm25paged_attention_v2_kernelIffLi80ELi8ELi128ELNS_18Fp8KVCacheDataTypeE0ELb0ELi512EEEvPfS2_PT_PKS3_PKT0_S9_ifPKiSB_iPKfiiiSD_SD_iiiii, .Lfunc_end20-_ZN4vllm25paged_attention_v2_kernelIffLi80ELi8ELi128ELNS_18Fp8KVCacheDataTypeE0ELb0ELi512EEEvPfS2_PT_PKS3_PKT0_S9_ifPKiSB_iPKfiiiSD_SD_iiiii
                                        ; -- End function
	.set _ZN4vllm25paged_attention_v2_kernelIffLi80ELi8ELi128ELNS_18Fp8KVCacheDataTypeE0ELb0ELi512EEEvPfS2_PT_PKS3_PKT0_S9_ifPKiSB_iPKfiiiSD_SD_iiiii.num_vgpr, 59
	.set _ZN4vllm25paged_attention_v2_kernelIffLi80ELi8ELi128ELNS_18Fp8KVCacheDataTypeE0ELb0ELi512EEEvPfS2_PT_PKS3_PKT0_S9_ifPKiSB_iPKfiiiSD_SD_iiiii.num_agpr, 0
	.set _ZN4vllm25paged_attention_v2_kernelIffLi80ELi8ELi128ELNS_18Fp8KVCacheDataTypeE0ELb0ELi512EEEvPfS2_PT_PKS3_PKT0_S9_ifPKiSB_iPKfiiiSD_SD_iiiii.numbered_sgpr, 32
	.set _ZN4vllm25paged_attention_v2_kernelIffLi80ELi8ELi128ELNS_18Fp8KVCacheDataTypeE0ELb0ELi512EEEvPfS2_PT_PKS3_PKT0_S9_ifPKiSB_iPKfiiiSD_SD_iiiii.num_named_barrier, 0
	.set _ZN4vllm25paged_attention_v2_kernelIffLi80ELi8ELi128ELNS_18Fp8KVCacheDataTypeE0ELb0ELi512EEEvPfS2_PT_PKS3_PKT0_S9_ifPKiSB_iPKfiiiSD_SD_iiiii.private_seg_size, 0
	.set _ZN4vllm25paged_attention_v2_kernelIffLi80ELi8ELi128ELNS_18Fp8KVCacheDataTypeE0ELb0ELi512EEEvPfS2_PT_PKS3_PKT0_S9_ifPKiSB_iPKfiiiSD_SD_iiiii.uses_vcc, 1
	.set _ZN4vllm25paged_attention_v2_kernelIffLi80ELi8ELi128ELNS_18Fp8KVCacheDataTypeE0ELb0ELi512EEEvPfS2_PT_PKS3_PKT0_S9_ifPKiSB_iPKfiiiSD_SD_iiiii.uses_flat_scratch, 0
	.set _ZN4vllm25paged_attention_v2_kernelIffLi80ELi8ELi128ELNS_18Fp8KVCacheDataTypeE0ELb0ELi512EEEvPfS2_PT_PKS3_PKT0_S9_ifPKiSB_iPKfiiiSD_SD_iiiii.has_dyn_sized_stack, 0
	.set _ZN4vllm25paged_attention_v2_kernelIffLi80ELi8ELi128ELNS_18Fp8KVCacheDataTypeE0ELb0ELi512EEEvPfS2_PT_PKS3_PKT0_S9_ifPKiSB_iPKfiiiSD_SD_iiiii.has_recursion, 0
	.set _ZN4vllm25paged_attention_v2_kernelIffLi80ELi8ELi128ELNS_18Fp8KVCacheDataTypeE0ELb0ELi512EEEvPfS2_PT_PKS3_PKT0_S9_ifPKiSB_iPKfiiiSD_SD_iiiii.has_indirect_call, 0
	.section	.AMDGPU.csdata,"",@progbits
; Kernel info:
; codeLenInByte = 5116
; TotalNumSgprs: 34
; NumVgprs: 59
; ScratchSize: 0
; MemoryBound: 0
; FloatMode: 240
; IeeeMode: 1
; LDSByteSize: 352 bytes/workgroup (compile time only)
; SGPRBlocks: 0
; VGPRBlocks: 7
; NumSGPRsForWavesPerEU: 34
; NumVGPRsForWavesPerEU: 59
; Occupancy: 16
; WaveLimiterHint : 1
; COMPUTE_PGM_RSRC2:SCRATCH_EN: 0
; COMPUTE_PGM_RSRC2:USER_SGPR: 2
; COMPUTE_PGM_RSRC2:TRAP_HANDLER: 0
; COMPUTE_PGM_RSRC2:TGID_X_EN: 1
; COMPUTE_PGM_RSRC2:TGID_Y_EN: 1
; COMPUTE_PGM_RSRC2:TGID_Z_EN: 1
; COMPUTE_PGM_RSRC2:TIDIG_COMP_CNT: 0
	.section	.text._ZN4vllm25paged_attention_v2_kernelIffLi96ELi8ELi128ELNS_18Fp8KVCacheDataTypeE0ELb0ELi512EEEvPfS2_PT_PKS3_PKT0_S9_ifPKiSB_iPKfiiiSD_SD_iiiii,"axG",@progbits,_ZN4vllm25paged_attention_v2_kernelIffLi96ELi8ELi128ELNS_18Fp8KVCacheDataTypeE0ELb0ELi512EEEvPfS2_PT_PKS3_PKT0_S9_ifPKiSB_iPKfiiiSD_SD_iiiii,comdat
	.protected	_ZN4vllm25paged_attention_v2_kernelIffLi96ELi8ELi128ELNS_18Fp8KVCacheDataTypeE0ELb0ELi512EEEvPfS2_PT_PKS3_PKT0_S9_ifPKiSB_iPKfiiiSD_SD_iiiii ; -- Begin function _ZN4vllm25paged_attention_v2_kernelIffLi96ELi8ELi128ELNS_18Fp8KVCacheDataTypeE0ELb0ELi512EEEvPfS2_PT_PKS3_PKT0_S9_ifPKiSB_iPKfiiiSD_SD_iiiii
	.globl	_ZN4vllm25paged_attention_v2_kernelIffLi96ELi8ELi128ELNS_18Fp8KVCacheDataTypeE0ELb0ELi512EEEvPfS2_PT_PKS3_PKT0_S9_ifPKiSB_iPKfiiiSD_SD_iiiii
	.p2align	8
	.type	_ZN4vllm25paged_attention_v2_kernelIffLi96ELi8ELi128ELNS_18Fp8KVCacheDataTypeE0ELb0ELi512EEEvPfS2_PT_PKS3_PKT0_S9_ifPKiSB_iPKfiiiSD_SD_iiiii,@function
_ZN4vllm25paged_attention_v2_kernelIffLi96ELi8ELi128ELNS_18Fp8KVCacheDataTypeE0ELb0ELi512EEEvPfS2_PT_PKS3_PKT0_S9_ifPKiSB_iPKfiiiSD_SD_iiiii: ; @_ZN4vllm25paged_attention_v2_kernelIffLi96ELi8ELi128ELNS_18Fp8KVCacheDataTypeE0ELb0ELi512EEEvPfS2_PT_PKS3_PKT0_S9_ifPKiSB_iPKfiiiSD_SD_iiiii
; %bb.0:
	s_load_b64 s[2:3], s[0:1], 0x40
	s_and_b32 s14, ttmp7, 0xffff
	s_lshr_b32 s24, ttmp7, 16
	s_lshl_b32 s4, s14, 2
	s_lshl_b32 s26, s24, 9
	s_wait_kmcnt 0x0
	s_load_b32 s25, s[2:3], s4 offset:0x0
	s_wait_kmcnt 0x0
	s_cmp_ge_i32 s26, s25
	s_cbranch_scc1 .LBB21_70
; %bb.1:
	s_clause 0x1
	s_load_b32 s15, s[0:1], 0x90
	s_load_b64 s[6:7], s[0:1], 0x30
	s_wait_kmcnt 0x0
	s_abs_i32 s5, s15
	s_abs_i32 s2, s6
	s_delay_alu instid0(SALU_CYCLE_1) | instskip(SKIP_1) | instid1(SALU_CYCLE_2)
	s_cvt_f32_u32 s3, s2
	s_sub_co_i32 s4, 0, s2
	v_rcp_iflag_f32_e32 v1, s3
	s_delay_alu instid0(TRANS32_DEP_1) | instskip(SKIP_2) | instid1(SALU_CYCLE_2)
	v_readfirstlane_b32 s3, v1
	s_mul_f32 s3, s3, 0x4f7ffffe
	s_wait_alu 0xfffe
	s_cvt_u32_f32 s3, s3
	s_wait_alu 0xfffe
	s_delay_alu instid0(SALU_CYCLE_2) | instskip(NEXT) | instid1(SALU_CYCLE_1)
	s_mul_i32 s4, s4, s3
	s_mul_hi_u32 s4, s3, s4
	s_delay_alu instid0(SALU_CYCLE_1)
	s_add_co_i32 s3, s3, s4
	s_xor_b32 s4, s15, s6
	s_wait_alu 0xfffe
	s_mul_hi_u32 s3, s5, s3
	s_ashr_i32 s4, s4, 31
	s_wait_alu 0xfffe
	s_mul_i32 s6, s3, s2
	s_delay_alu instid0(SALU_CYCLE_1)
	s_sub_co_i32 s5, s5, s6
	s_add_co_i32 s6, s3, 1
	s_sub_co_i32 s8, s5, s2
	s_cmp_ge_u32 s5, s2
	s_cselect_b32 s3, s6, s3
	s_cselect_b32 s5, s8, s5
	s_wait_alu 0xfffe
	s_add_co_i32 s6, s3, 1
	s_cmp_ge_u32 s5, s2
	s_load_b64 s[8:9], s[0:1], 0x50
	s_cselect_b32 s2, s6, s3
	s_mov_b32 s3, 0
	s_wait_alu 0xfffe
	s_xor_b32 s2, s2, s4
	s_mov_b32 s6, s3
	s_wait_alu 0xfffe
	s_sub_co_i32 s12, s2, s4
	s_delay_alu instid0(SALU_CYCLE_1) | instskip(NEXT) | instid1(SALU_CYCLE_1)
	s_abs_i32 s11, s12
	s_cvt_f32_u32 s2, s11
	s_wait_alu 0xfffe
	s_delay_alu instid0(SALU_CYCLE_2) | instskip(NEXT) | instid1(TRANS32_DEP_1)
	v_rcp_iflag_f32_e32 v1, s2
	v_readfirstlane_b32 s2, v1
	s_mul_f32 s2, s2, 0x4f7ffffe
	s_wait_alu 0xfffe
	s_delay_alu instid0(SALU_CYCLE_2) | instskip(SKIP_2) | instid1(SALU_CYCLE_1)
	s_cvt_u32_f32 s4, s2
	s_sub_co_i32 s2, 0, s11
	s_wait_alu 0xfffe
	s_mul_i32 s2, s2, s4
	s_wait_alu 0xfffe
	s_mul_hi_u32 s5, s4, s2
	s_abs_i32 s2, ttmp9
	s_add_co_i32 s4, s4, s5
	s_mov_b32 s5, s3
	s_wait_kmcnt 0x0
	s_cmp_eq_u64 s[8:9], 0
	s_cbranch_scc1 .LBB21_3
; %bb.2:
	s_mov_b32 s16, ttmp9
	s_ashr_i32 s17, ttmp9, 31
	s_delay_alu instid0(SALU_CYCLE_1) | instskip(NEXT) | instid1(SALU_CYCLE_1)
	s_lshl_b64 s[16:17], s[16:17], 2
	s_add_nc_u64 s[8:9], s[8:9], s[16:17]
	s_load_b32 s6, s[8:9], 0x0
.LBB21_3:
	s_load_b96 s[8:10], s[0:1], 0x58
	v_and_b32_e32 v25, 3, v0
	v_lshlrev_b32_e32 v27, 2, v0
	s_mul_u64 s[4:5], s[2:3], s[4:5]
	s_ashr_i32 s3, ttmp9, 31
	s_ashr_i32 s4, s12, 31
	s_mul_i32 s12, ttmp9, 0x60
	s_mov_b32 s16, exec_lo
	v_cmpx_gt_u32_e32 0x60, v0
	s_cbranch_execz .LBB21_5
; %bb.4:
	s_load_b64 s[18:19], s[0:1], 0x18
	s_wait_kmcnt 0x0
	s_mul_i32 s20, s8, s14
	s_ashr_i32 s13, s12, 31
	s_ashr_i32 s21, s20, 31
	v_and_b32_e32 v2, 0x3fc, v0
	s_lshl_b64 s[20:21], s[20:21], 2
	s_delay_alu instid0(VALU_DEP_1) | instskip(SKIP_2) | instid1(SALU_CYCLE_1)
	v_mad_u32_u24 v2, 0x60, v25, v2
	s_add_nc_u64 s[18:19], s[18:19], s[20:21]
	s_lshl_b64 s[20:21], s[12:13], 2
	s_add_nc_u64 s[18:19], s[18:19], s[20:21]
	global_load_b32 v1, v27, s[18:19]
	s_wait_loadcnt 0x0
	ds_store_b32 v2, v1
.LBB21_5:
	s_or_b32 exec_lo, exec_lo, s16
	s_wait_kmcnt 0x0
	s_add_co_i32 s8, s25, 7
	s_wait_alu 0xfffe
	s_xor_b32 s3, s3, s4
	s_ashr_i32 s13, s8, 31
	s_lshl_b32 s28, s24, 6
	s_lshr_b32 s4, s13, 29
	s_mul_i32 s13, s5, s11
	s_add_co_i32 s8, s8, s4
	s_add_co_i32 s4, s28, 64
	s_ashr_i32 s27, s8, 3
	s_load_b32 s8, s[0:1], 0x48
	s_sub_co_i32 s2, s2, s13
	s_min_i32 s13, s4, s27
	s_add_co_i32 s4, s5, 1
	s_wait_alu 0xfffe
	s_sub_co_i32 s16, s2, s11
	s_cmp_ge_u32 s2, s11
	v_lshrrev_b32_e32 v31, 5, v0
	s_cselect_b32 s4, s4, s5
	s_cselect_b32 s2, s16, s2
	s_add_co_i32 s5, s4, 1
	s_wait_alu 0xfffe
	s_cmp_ge_u32 s2, s11
	v_or_b32_e32 v32, s28, v31
	s_cselect_b32 s2, s5, s4
	v_mbcnt_lo_u32_b32 v29, -1, 0
	s_wait_alu 0xfffe
	s_xor_b32 s2, s2, s3
	s_mov_b32 s4, exec_lo
	s_wait_alu 0xfffe
	s_sub_co_i32 s3, s2, s3
	v_cmp_gt_i32_e64 s2, s13, v32
	s_wait_dscnt 0x0
	s_barrier_signal -1
	s_wait_kmcnt 0x0
	s_mul_i32 s16, s8, s14
	s_barrier_wait -1
	s_ashr_i32 s17, s16, 31
	global_inv scope:SCOPE_SE
                                        ; implicit-def: $vgpr30
                                        ; implicit-def: $vgpr34
	v_cmpx_le_i32_e64 s13, v32
	s_xor_b32 s4, exec_lo, s4
; %bb.6:
	v_mov_b32_e32 v30, 0
	v_mbcnt_lo_u32_b32 v29, -1, 0
	v_mov_b32_e32 v34, 32
                                        ; implicit-def: $vgpr25
; %bb.7:
	s_or_saveexec_b32 s11, s4
	s_clause 0x1
	s_load_b64 s[18:19], s[0:1], 0x38
	s_load_b32 s8, s[0:1], 0x98
	v_dual_mov_b32 v33, 0xff7fffff :: v_dual_lshlrev_b32 v28, 2, v32
	s_mul_i32 s20, s3, s10
	s_xor_b32 exec_lo, exec_lo, s11
	s_cbranch_execz .LBB21_13
; %bb.8:
	s_load_b64 s[4:5], s[0:1], 0x20
	v_bfe_u32 v26, v0, 2, 3
	s_ashr_i32 s21, s20, 31
	v_xor_b32_e32 v34, 2, v29
	s_lshl_b64 s[22:23], s[20:21], 2
	v_mul_u32_u24_e32 v21, 0x60, v25
	v_dual_mov_b32 v30, 0 :: v_dual_lshlrev_b32 v35, 4, v26
	v_lshlrev_b32_e32 v33, 2, v25
	v_cmp_gt_i32_e32 vcc_lo, 32, v34
	v_xor_b32_e32 v37, 1, v29
	ds_load_b128 v[1:4], v21
	ds_load_b128 v[5:8], v21 offset:16
	ds_load_b128 v[9:12], v21 offset:32
	;; [unrolled: 1-line block ×5, first 2 shown]
	v_lshlrev_b32_e32 v39, 2, v26
	s_cmp_neq_f32 s6, 0
	v_cndmask_b32_e32 v38, v29, v34, vcc_lo
	v_mov_b32_e32 v34, 32
	s_mov_b32 s21, s9
	s_mov_b32 s10, 0
	v_dual_mov_b32 v41, v32 :: v_dual_lshlrev_b32 v40, 3, v31
	s_wait_kmcnt 0x0
	s_add_nc_u64 s[4:5], s[4:5], s[22:23]
	s_delay_alu instid0(SALU_CYCLE_1)
	v_add_co_u32 v35, s3, s4, v35
	s_wait_alu 0xf1ff
	v_add_co_ci_u32_e64 v36, null, s5, 0, s3
	s_cselect_b32 s3, -1, 0
	v_add_co_u32 v35, vcc_lo, v35, v33
	s_wait_alu 0xfffd
	v_add_co_ci_u32_e64 v36, null, 0, v36, vcc_lo
	v_cmp_gt_i32_e32 vcc_lo, 32, v37
	s_lshl_b64 s[4:5], s[16:17], 2
	s_sub_co_i32 s22, 1, s25
	s_wait_alu 0xfffe
	s_add_nc_u64 s[4:5], s[18:19], s[4:5]
	s_wait_alu 0xfffd
	v_cndmask_b32_e32 v33, v29, v37, vcc_lo
	v_lshlrev_b32_e32 v37, 2, v38
	v_cmp_eq_u32_e32 vcc_lo, 0, v25
	s_wait_alu 0xfffe
	v_add_co_u32 v25, s4, s4, v28
	v_lshlrev_b32_e32 v38, 2, v33
	v_lshl_or_b32 v33, v31, 5, v39
	v_add3_u32 v39, s26, v40, v26
	s_wait_alu 0xf1ff
	v_add_co_ci_u32_e64 v26, null, s5, 0, s4
	s_delay_alu instid0(VALU_DEP_3)
	v_add_nc_u32_e32 v40, 0x1a0, v33
	v_mov_b32_e32 v33, 0xff7fffff
	s_branch .LBB21_10
.LBB21_9:                               ;   in Loop: Header=BB21_10 Depth=1
	s_wait_alu 0xfffe
	s_or_b32 exec_lo, exec_lo, s5
	v_add_nc_u32_e32 v41, 4, v41
	v_add_co_u32 v25, s5, v25, 16
	v_add_nc_u32_e32 v39, 32, v39
	v_add_nc_u32_e32 v40, 0x80, v40
	s_delay_alu instid0(VALU_DEP_4) | instskip(SKIP_3) | instid1(SALU_CYCLE_1)
	v_cmp_le_i32_e64 s4, s13, v41
	s_wait_alu 0xf1ff
	v_add_co_ci_u32_e64 v26, null, 0, v26, s5
	s_or_b32 s10, s4, s10
	s_and_not1_b32 exec_lo, exec_lo, s10
	s_cbranch_execz .LBB21_12
.LBB21_10:                              ; =>This Inner Loop Header: Depth=1
	global_load_b32 v42, v[25:26], off
	s_wait_loadcnt_dscnt 0x0
	v_mad_co_i64_i32 v[42:43], null, v42, s21, 0
	s_delay_alu instid0(VALU_DEP_1) | instskip(NEXT) | instid1(VALU_DEP_1)
	v_lshlrev_b64_e32 v[42:43], 2, v[42:43]
	v_add_co_u32 v42, s4, v35, v42
	s_wait_alu 0xf1ff
	s_delay_alu instid0(VALU_DEP_2)
	v_add_co_ci_u32_e64 v43, null, v36, v43, s4
	s_clause 0x17
	global_load_b32 v44, v[42:43], off offset:128
	global_load_b32 v45, v[42:43], off
	global_load_b32 v46, v[42:43], off offset:256
	global_load_b32 v47, v[42:43], off offset:384
	;; [unrolled: 1-line block ×22, first 2 shown]
	s_wait_loadcnt_dscnt 0x1705
	v_mul_f32_e32 v43, v2, v44
	s_wait_loadcnt 0x16
	s_delay_alu instid0(VALU_DEP_1) | instskip(SKIP_1) | instid1(VALU_DEP_1)
	v_fmac_f32_e32 v43, v1, v45
	s_wait_loadcnt 0x15
	v_fmac_f32_e32 v43, v3, v46
	s_wait_loadcnt 0x14
	s_delay_alu instid0(VALU_DEP_1) | instskip(SKIP_1) | instid1(VALU_DEP_1)
	v_fmac_f32_e32 v43, v4, v47
	s_wait_loadcnt_dscnt 0x1304
	v_fmac_f32_e32 v43, v5, v48
	s_wait_loadcnt 0x12
	s_delay_alu instid0(VALU_DEP_1) | instskip(SKIP_1) | instid1(VALU_DEP_1)
	v_fmac_f32_e32 v43, v6, v49
	s_wait_loadcnt 0x11
	v_fmac_f32_e32 v43, v7, v50
	s_wait_loadcnt 0x10
	s_delay_alu instid0(VALU_DEP_1) | instskip(SKIP_1) | instid1(VALU_DEP_1)
	v_fmac_f32_e32 v43, v8, v51
	s_wait_loadcnt_dscnt 0xf03
	v_fmac_f32_e32 v43, v9, v52
	;; [unrolled: 10-line block ×5, first 2 shown]
	s_wait_loadcnt 0x2
	s_delay_alu instid0(VALU_DEP_1) | instskip(SKIP_1) | instid1(VALU_DEP_1)
	v_fmac_f32_e32 v43, v22, v65
	s_wait_loadcnt 0x1
	v_fmac_f32_e32 v43, v23, v66
	s_wait_loadcnt 0x0
	s_delay_alu instid0(VALU_DEP_1)
	v_fmac_f32_e32 v43, v24, v42
	ds_bpermute_b32 v42, v37, v43
	s_wait_dscnt 0x0
	v_add_f32_e32 v42, v43, v42
	ds_bpermute_b32 v43, v38, v42
	s_and_saveexec_b32 s5, vcc_lo
	s_cbranch_execz .LBB21_9
; %bb.11:                               ;   in Loop: Header=BB21_10 Depth=1
	s_wait_dscnt 0x0
	v_add_f32_e32 v42, v42, v43
	v_add_nc_u32_e32 v44, s22, v39
	v_cmp_gt_i32_e64 s4, s25, v39
	s_delay_alu instid0(VALU_DEP_2) | instskip(NEXT) | instid1(VALU_DEP_1)
	v_cvt_f32_i32_e32 v44, v44
	v_mul_f32_e32 v44, s6, v44
	s_delay_alu instid0(VALU_DEP_1) | instskip(NEXT) | instid1(VALU_DEP_1)
	v_cndmask_b32_e64 v43, 0, v44, s3
	v_dual_max_num_f32 v44, v33, v33 :: v_dual_fmac_f32 v43, s7, v42
	s_delay_alu instid0(VALU_DEP_1) | instskip(SKIP_2) | instid1(VALU_DEP_2)
	v_max_num_f32_e32 v42, v44, v43
	s_wait_alu 0xf1ff
	v_cndmask_b32_e64 v43, 0, v43, s4
	v_cndmask_b32_e64 v33, v33, v42, s4
	ds_store_b32 v40, v43
	s_branch .LBB21_9
.LBB21_12:
	s_or_b32 exec_lo, exec_lo, s10
.LBB21_13:
	s_delay_alu instid0(SALU_CYCLE_1)
	s_or_b32 exec_lo, exec_lo, s11
	v_xor_b32_e32 v1, 16, v29
	v_xor_b32_e32 v3, 8, v29
	v_max_num_f32_e32 v5, v33, v33
	s_clause 0x2
	s_load_b128 s[4:7], s[0:1], 0x0
	s_load_b64 s[10:11], s[0:1], 0x10
	s_load_b64 s[22:23], s[0:1], 0x28
	v_cmp_lt_i32_e32 vcc_lo, v1, v34
	s_wait_alu 0xfffd
	v_cndmask_b32_e32 v1, v29, v1, vcc_lo
	v_cmp_lt_i32_e32 vcc_lo, v3, v34
	s_wait_alu 0xfffd
	v_cndmask_b32_e32 v3, v29, v3, vcc_lo
	s_delay_alu instid0(VALU_DEP_1)
	v_lshlrev_b32_e32 v4, 2, v3
	v_lshlrev_b32_e32 v2, 2, v1
	ds_bpermute_b32 v1, v2, v33
	v_and_b32_e32 v33, 31, v0
	s_wait_dscnt 0x0
	v_max_num_f32_e32 v1, v1, v1
	s_delay_alu instid0(VALU_DEP_1)
	v_max_num_f32_e32 v1, v5, v1
	v_xor_b32_e32 v5, 4, v29
	ds_bpermute_b32 v3, v4, v1
	v_cmp_lt_i32_e32 vcc_lo, v5, v34
	s_wait_alu 0xfffd
	v_cndmask_b32_e32 v5, v29, v5, vcc_lo
	v_cmp_eq_u32_e32 vcc_lo, 0, v33
	s_delay_alu instid0(VALU_DEP_2) | instskip(SKIP_3) | instid1(VALU_DEP_1)
	v_lshlrev_b32_e32 v7, 2, v5
	v_lshlrev_b32_e32 v5, 2, v31
	s_wait_dscnt 0x0
	v_max_num_f32_e32 v3, v3, v3
	v_max_num_f32_e32 v1, v1, v3
	ds_bpermute_b32 v3, v7, v1
	s_and_saveexec_b32 s0, vcc_lo
	s_cbranch_execz .LBB21_15
; %bb.14:
	s_wait_dscnt 0x0
	v_max_num_f32_e32 v3, v3, v3
	v_max_num_f32_e32 v1, v1, v1
	s_delay_alu instid0(VALU_DEP_1)
	v_max_num_f32_e32 v1, v1, v3
	ds_store_b32 v5, v1 offset:384
.LBB21_15:
	s_or_b32 exec_lo, exec_lo, s0
	v_cmp_gt_u32_e64 s0, 4, v33
	v_dual_mov_b32 v1, 0xff7fffff :: v_dual_lshlrev_b32 v6, 2, v33
	s_wait_loadcnt_dscnt 0x0
	s_barrier_signal -1
	s_barrier_wait -1
	global_inv scope:SCOPE_SE
	s_and_saveexec_b32 s1, s0
; %bb.16:
	ds_load_b32 v1, v6 offset:384
; %bb.17:
	s_or_b32 exec_lo, exec_lo, s1
	v_xor_b32_e32 v3, 2, v29
	v_xor_b32_e32 v9, 1, v29
	s_delay_alu instid0(VALU_DEP_2) | instskip(NEXT) | instid1(VALU_DEP_1)
	v_cmp_lt_i32_e64 s1, v3, v34
	v_cndmask_b32_e64 v3, v29, v3, s1
	s_delay_alu instid0(VALU_DEP_3) | instskip(NEXT) | instid1(VALU_DEP_2)
	v_cmp_lt_i32_e64 s1, v9, v34
	v_lshlrev_b32_e32 v8, 2, v3
	s_wait_alu 0xf1ff
	s_delay_alu instid0(VALU_DEP_2)
	v_cndmask_b32_e64 v9, v29, v9, s1
	s_sub_co_i32 s1, s13, s28
	s_wait_alu 0xfffe
	s_lshl_b32 s1, s1, 3
	s_wait_dscnt 0x0
	ds_bpermute_b32 v3, v8, v1
	v_max_num_f32_e32 v1, v1, v1
	s_wait_alu 0xfffe
	s_add_co_i32 s1, s1, s26
	v_lshlrev_b32_e32 v34, 2, v9
	s_wait_alu 0xfffe
	s_min_i32 s1, s1, s25
	v_mov_b32_e32 v9, 0
	s_wait_alu 0xfffe
	s_sub_co_i32 s21, s1, s26
	s_wait_alu 0xfffe
	v_cmp_gt_i32_e64 s1, s21, v0
	s_wait_dscnt 0x0
	v_max_num_f32_e32 v3, v3, v3
	s_delay_alu instid0(VALU_DEP_1) | instskip(SKIP_3) | instid1(VALU_DEP_1)
	v_max_num_f32_e32 v1, v1, v3
	ds_bpermute_b32 v3, v34, v1
	s_wait_dscnt 0x0
	v_max_num_f32_e32 v3, v3, v3
	v_max_num_f32_e32 v1, v1, v3
	v_lshlrev_b32_e32 v3, 2, v30
	ds_bpermute_b32 v1, v3, v1
	v_lshl_add_u32 v3, v0, 2, 0x1a0
	s_and_saveexec_b32 s28, s1
	s_cbranch_execz .LBB21_21
; %bb.18:
	v_lshl_add_u32 v10, v0, 2, 0x1a0
	v_mov_b32_e32 v9, 0
	v_mov_b32_e32 v11, v0
	s_mov_b32 s29, 0
.LBB21_19:                              ; =>This Inner Loop Header: Depth=1
	ds_load_b32 v12, v10
	v_add_nc_u32_e32 v11, 0x80, v11
	s_delay_alu instid0(VALU_DEP_1) | instskip(SKIP_4) | instid1(VALU_DEP_1)
	v_cmp_le_i32_e64 s3, s21, v11
	s_wait_alu 0xfffe
	s_or_b32 s29, s3, s29
	s_wait_dscnt 0x0
	v_sub_f32_e32 v12, v12, v1
	v_mul_f32_e32 v12, 0x3fb8aa3b, v12
	s_delay_alu instid0(VALU_DEP_1)
	v_exp_f32_e32 v12, v12
	ds_store_b32 v10, v12
	v_dual_add_f32 v9, v9, v12 :: v_dual_add_nc_u32 v10, 0x200, v10
	s_wait_alu 0xfffe
	s_and_not1_b32 exec_lo, exec_lo, s29
	s_cbranch_execnz .LBB21_19
; %bb.20:
	s_or_b32 exec_lo, exec_lo, s29
.LBB21_21:
	s_wait_alu 0xfffe
	s_or_b32 exec_lo, exec_lo, s28
	ds_bpermute_b32 v2, v2, v9
	s_wait_dscnt 0x0
	v_add_f32_e32 v2, v9, v2
	ds_bpermute_b32 v4, v4, v2
	s_wait_dscnt 0x0
	v_add_f32_e32 v2, v2, v4
	;; [unrolled: 3-line block ×5, first 2 shown]
	s_and_saveexec_b32 s3, vcc_lo
; %bb.22:
	ds_store_b32 v5, v2 offset:400
; %bb.23:
	s_wait_alu 0xfffe
	s_or_b32 exec_lo, exec_lo, s3
	s_wait_loadcnt_dscnt 0x0
	s_barrier_signal -1
	s_barrier_wait -1
	global_inv scope:SCOPE_SE
	s_and_saveexec_b32 s3, s0
; %bb.24:
	ds_load_b32 v2, v6 offset:400
; %bb.25:
	s_wait_alu 0xfffe
	s_or_b32 exec_lo, exec_lo, s3
	s_wait_dscnt 0x0
	ds_bpermute_b32 v4, v8, v2
	s_wait_dscnt 0x0
	v_dual_add_f32 v2, v2, v4 :: v_dual_lshlrev_b32 v5, 2, v29
	ds_bpermute_b32 v4, v34, v2
	s_wait_dscnt 0x0
	v_add_f32_e32 v2, v2, v4
	v_and_b32_e32 v4, 0xffffff80, v5
	ds_bpermute_b32 v2, v4, v2
	s_and_saveexec_b32 s0, s1
	s_cbranch_execz .LBB21_28
; %bb.26:
	s_wait_dscnt 0x0
	v_add_f32_e32 v4, 0x358637bd, v2
	s_mov_b32 s1, 0
	s_delay_alu instid0(VALU_DEP_1) | instskip(SKIP_1) | instid1(VALU_DEP_2)
	v_div_scale_f32 v5, null, v4, v4, 1.0
	v_div_scale_f32 v8, vcc_lo, 1.0, v4, 1.0
	v_rcp_f32_e32 v6, v5
	s_delay_alu instid0(TRANS32_DEP_1) | instskip(NEXT) | instid1(VALU_DEP_1)
	v_fma_f32 v7, -v5, v6, 1.0
	v_fmac_f32_e32 v6, v7, v6
	s_delay_alu instid0(VALU_DEP_1) | instskip(NEXT) | instid1(VALU_DEP_1)
	v_mul_f32_e32 v7, v8, v6
	v_fma_f32 v9, -v5, v7, v8
	s_delay_alu instid0(VALU_DEP_1) | instskip(NEXT) | instid1(VALU_DEP_1)
	v_fmac_f32_e32 v7, v9, v6
	v_fma_f32 v5, -v5, v7, v8
	s_wait_alu 0xfffd
	s_delay_alu instid0(VALU_DEP_1) | instskip(NEXT) | instid1(VALU_DEP_1)
	v_div_fmas_f32 v5, v5, v6, v7
	v_div_fixup_f32 v4, v5, v4, 1.0
	v_mov_b32_e32 v5, v0
.LBB21_27:                              ; =>This Inner Loop Header: Depth=1
	ds_load_b32 v6, v3
	s_wait_dscnt 0x0
	v_dual_mul_f32 v6, v4, v6 :: v_dual_add_nc_u32 v5, 0x80, v5
	s_delay_alu instid0(VALU_DEP_1)
	v_cmp_le_i32_e32 vcc_lo, s21, v5
	ds_store_b32 v3, v6
	v_add_nc_u32_e32 v3, 0x200, v3
	s_wait_alu 0xfffe
	s_or_b32 s1, vcc_lo, s1
	s_wait_alu 0xfffe
	s_and_not1_b32 exec_lo, exec_lo, s1
	s_cbranch_execnz .LBB21_27
.LBB21_28:
	s_wait_alu 0xfffe
	s_or_b32 exec_lo, exec_lo, s0
	s_wait_kmcnt 0x0
	s_mul_i32 s0, s8, s14
	s_wait_loadcnt_dscnt 0x0
	s_wait_alu 0xfffe
	s_mul_i32 s14, s0, s15
	s_mov_b32 s0, exec_lo
	s_barrier_signal -1
	s_barrier_wait -1
	global_inv scope:SCOPE_SE
	v_cmpx_eq_u32_e32 0, v0
	s_cbranch_execz .LBB21_30
; %bb.29:
	s_ashr_i32 s15, s14, 31
	s_wait_alu 0xfffe
	s_mul_i32 s28, s8, ttmp9
	s_lshl_b32 s1, s24, 2
	s_lshl_b64 s[30:31], s[14:15], 2
	s_wait_alu 0xfffe
	s_ashr_i32 s29, s28, 31
	v_mov_b32_e32 v3, s1
	s_add_nc_u64 s[6:7], s[6:7], s[30:31]
	s_wait_alu 0xfffe
	s_lshl_b64 s[28:29], s[28:29], 2
	s_add_nc_u64 s[4:5], s[4:5], s[30:31]
	s_wait_alu 0xfffe
	s_add_nc_u64 s[6:7], s[6:7], s[28:29]
	s_add_nc_u64 s[4:5], s[4:5], s[28:29]
	s_clause 0x1
	global_store_b32 v3, v1, s[6:7]
	global_store_b32 v3, v2, s[4:5]
.LBB21_30:
	s_wait_alu 0xfffe
	s_or_b32 exec_lo, exec_lo, s0
	v_dual_mov_b32 v39, 0 :: v_dual_mov_b32 v40, 0
	v_dual_mov_b32 v38, 0 :: v_dual_and_b32 v35, 1, v0
	v_dual_mov_b32 v41, 0 :: v_dual_mov_b32 v36, 0
	v_mov_b32_e32 v37, 0
	s_and_saveexec_b32 s1, s2
	s_cbranch_execz .LBB21_46
; %bb.31:
	v_dual_mov_b32 v36, 0 :: v_dual_lshlrev_b32 v1, 4, v0
	s_ashr_i32 s21, s20, 31
	v_dual_mov_b32 v38, 0 :: v_dual_lshlrev_b32 v3, 4, v35
	s_delay_alu instid0(VALU_DEP_2)
	v_dual_mov_b32 v40, 0 :: v_dual_and_b32 v1, 0x1f0, v1
	s_wait_alu 0xfffe
	s_lshl_b64 s[2:3], s[20:21], 2
	v_dual_mov_b32 v37, 0 :: v_dual_and_b32 v2, 4, v27
	s_wait_alu 0xfffe
	s_add_nc_u64 s[2:3], s[22:23], s[2:3]
	v_lshl_add_u32 v4, v31, 3, s26
	s_wait_alu 0xfffe
	v_add_co_u32 v42, s0, s2, v1
	s_wait_alu 0xf1ff
	v_add_co_ci_u32_e64 v43, null, s3, 0, s0
	s_lshl_b64 s[2:3], s[16:17], 2
	v_lshl_or_b32 v3, v31, 5, v3
	s_wait_alu 0xfffe
	s_add_nc_u64 s[2:3], s[18:19], s[2:3]
	v_add3_u32 v44, v4, v2, 3
	s_wait_alu 0xfffe
	v_add_co_u32 v29, s0, s2, v28
	v_add_nc_u32_e32 v45, 0x1a0, v3
	s_wait_alu 0xf1ff
	v_add_co_ci_u32_e64 v30, null, s3, 0, s0
	v_mov_b32_e32 v41, 0
	v_mov_b32_e32 v39, 0
	s_mov_b32 s2, s9
	s_add_co_i32 s27, s27, -1
	s_mov_b32 s3, 0
	s_branch .LBB21_33
.LBB21_32:                              ;   in Loop: Header=BB21_33 Depth=1
	s_wait_alu 0xfffe
	s_or_b32 exec_lo, exec_lo, s0
	s_wait_loadcnt_dscnt 0x100
	v_dual_mul_f32 v21, v1, v21 :: v_dual_add_nc_u32 v32, 4, v32
	v_dual_mul_f32 v17, v1, v17 :: v_dual_add_nc_u32 v44, 32, v44
	v_mul_f32_e32 v13, v1, v13
	v_mul_f32_e32 v9, v1, v9
	;; [unrolled: 1-line block ×3, first 2 shown]
	s_wait_loadcnt 0x0
	v_mul_f32_e32 v1, v1, v25
	v_cmp_le_i32_e32 vcc_lo, s13, v32
	v_fmac_f32_e32 v13, v2, v14
	v_fmac_f32_e32 v9, v2, v10
	v_fmac_f32_e32 v5, v2, v6
	v_fmac_f32_e32 v1, v2, v26
	v_add_co_u32 v29, s0, v29, 16
	v_fmac_f32_e32 v13, v3, v15
	v_fmac_f32_e32 v9, v3, v11
	s_delay_alu instid0(VALU_DEP_4)
	v_fmac_f32_e32 v1, v3, v27
	v_fmac_f32_e32 v5, v3, v7
	v_add_nc_u32_e32 v45, 0x80, v45
	v_fmac_f32_e32 v13, v4, v16
	v_fmac_f32_e32 v21, v2, v22
	;; [unrolled: 1-line block ×5, first 2 shown]
	v_add_f32_e32 v40, v40, v13
	v_fmac_f32_e32 v5, v4, v8
	s_delay_alu instid0(VALU_DEP_4) | instskip(NEXT) | instid1(VALU_DEP_4)
	v_dual_add_f32 v36, v36, v1 :: v_dual_fmac_f32 v17, v3, v19
	v_add_f32_e32 v41, v41, v9
	s_wait_alu 0xf1ff
	v_add_co_ci_u32_e64 v30, null, 0, v30, s0
	v_add_f32_e32 v39, v39, v5
	v_fmac_f32_e32 v17, v4, v20
	v_fmac_f32_e32 v21, v3, v23
	s_or_b32 s3, vcc_lo, s3
	s_delay_alu instid0(VALU_DEP_1) | instskip(NEXT) | instid1(VALU_DEP_1)
	v_dual_add_f32 v38, v38, v17 :: v_dual_fmac_f32 v21, v4, v24
	v_add_f32_e32 v37, v37, v21
	s_wait_alu 0xfffe
	s_and_not1_b32 exec_lo, exec_lo, s3
	s_cbranch_execz .LBB21_45
.LBB21_33:                              ; =>This Inner Loop Header: Depth=1
	global_load_b32 v1, v[29:30], off
	v_add_nc_u32_e32 v46, -3, v44
	v_add_nc_u32_e32 v48, -2, v44
	;; [unrolled: 1-line block ×3, first 2 shown]
	s_wait_loadcnt 0x0
	s_wait_alu 0xfffe
	v_mad_co_i64_i32 v[1:2], null, v1, s2, 0
	s_delay_alu instid0(VALU_DEP_1) | instskip(NEXT) | instid1(VALU_DEP_1)
	v_lshlrev_b64_e32 v[1:2], 2, v[1:2]
	v_add_co_u32 v25, vcc_lo, v42, v1
	s_wait_alu 0xfffd
	s_delay_alu instid0(VALU_DEP_2)
	v_add_co_ci_u32_e64 v26, null, v43, v2, vcc_lo
	ds_load_b128 v[1:4], v45
	v_cmp_eq_u32_e32 vcc_lo, s27, v32
	global_load_b128 v[5:8], v[25:26], off
	s_and_saveexec_b32 s4, vcc_lo
	s_cbranch_execnz .LBB21_39
; %bb.34:                               ;   in Loop: Header=BB21_33 Depth=1
	s_wait_alu 0xfffe
	s_or_b32 exec_lo, exec_lo, s4
	global_load_b128 v[9:12], v[25:26], off offset:512
	s_and_saveexec_b32 s4, vcc_lo
	s_cbranch_execnz .LBB21_40
.LBB21_35:                              ;   in Loop: Header=BB21_33 Depth=1
	s_wait_alu 0xfffe
	s_or_b32 exec_lo, exec_lo, s4
	global_load_b128 v[13:16], v[25:26], off offset:1024
	s_and_saveexec_b32 s4, vcc_lo
	s_cbranch_execnz .LBB21_41
.LBB21_36:                              ;   in Loop: Header=BB21_33 Depth=1
	s_wait_alu 0xfffe
	s_or_b32 exec_lo, exec_lo, s4
	global_load_b128 v[17:20], v[25:26], off offset:1536
	s_and_saveexec_b32 s4, vcc_lo
	s_cbranch_execnz .LBB21_42
.LBB21_37:                              ;   in Loop: Header=BB21_33 Depth=1
	s_wait_alu 0xfffe
	s_or_b32 exec_lo, exec_lo, s4
	global_load_b128 v[21:24], v[25:26], off offset:2048
	s_and_saveexec_b32 s4, vcc_lo
	s_cbranch_execnz .LBB21_43
.LBB21_38:                              ;   in Loop: Header=BB21_33 Depth=1
	s_wait_alu 0xfffe
	s_or_b32 exec_lo, exec_lo, s4
	global_load_b128 v[25:28], v[25:26], off offset:2560
	s_and_saveexec_b32 s0, vcc_lo
	s_cbranch_execz .LBB21_32
	s_branch .LBB21_44
.LBB21_39:                              ;   in Loop: Header=BB21_33 Depth=1
	v_cmp_gt_i32_e64 s0, s25, v46
	s_wait_loadcnt 0x0
	s_wait_alu 0xf1ff
	s_delay_alu instid0(VALU_DEP_1) | instskip(SKIP_2) | instid1(VALU_DEP_1)
	v_cndmask_b32_e64 v5, 0, v5, s0
	v_cmp_gt_i32_e64 s0, s25, v48
	s_wait_alu 0xf1ff
	v_cndmask_b32_e64 v6, 0, v6, s0
	v_cmp_gt_i32_e64 s0, s25, v47
	s_wait_alu 0xf1ff
	s_delay_alu instid0(VALU_DEP_1) | instskip(SKIP_2) | instid1(VALU_DEP_1)
	v_cndmask_b32_e64 v7, 0, v7, s0
	v_cmp_gt_i32_e64 s0, s25, v44
	s_wait_alu 0xf1ff
	v_cndmask_b32_e64 v8, 0, v8, s0
	s_wait_alu 0xfffe
	s_or_b32 exec_lo, exec_lo, s4
	global_load_b128 v[9:12], v[25:26], off offset:512
	s_and_saveexec_b32 s4, vcc_lo
	s_cbranch_execz .LBB21_35
.LBB21_40:                              ;   in Loop: Header=BB21_33 Depth=1
	v_cmp_gt_i32_e64 s0, s25, v46
	s_wait_loadcnt 0x0
	s_wait_alu 0xf1ff
	s_delay_alu instid0(VALU_DEP_1) | instskip(SKIP_2) | instid1(VALU_DEP_1)
	v_cndmask_b32_e64 v9, 0, v9, s0
	v_cmp_gt_i32_e64 s0, s25, v48
	s_wait_alu 0xf1ff
	v_cndmask_b32_e64 v10, 0, v10, s0
	v_cmp_gt_i32_e64 s0, s25, v47
	s_wait_alu 0xf1ff
	s_delay_alu instid0(VALU_DEP_1) | instskip(SKIP_2) | instid1(VALU_DEP_1)
	v_cndmask_b32_e64 v11, 0, v11, s0
	v_cmp_gt_i32_e64 s0, s25, v44
	s_wait_alu 0xf1ff
	v_cndmask_b32_e64 v12, 0, v12, s0
	s_wait_alu 0xfffe
	s_or_b32 exec_lo, exec_lo, s4
	global_load_b128 v[13:16], v[25:26], off offset:1024
	s_and_saveexec_b32 s4, vcc_lo
	s_cbranch_execz .LBB21_36
.LBB21_41:                              ;   in Loop: Header=BB21_33 Depth=1
	v_cmp_gt_i32_e64 s0, s25, v46
	s_wait_loadcnt 0x0
	s_wait_alu 0xf1ff
	s_delay_alu instid0(VALU_DEP_1) | instskip(SKIP_2) | instid1(VALU_DEP_1)
	v_cndmask_b32_e64 v13, 0, v13, s0
	v_cmp_gt_i32_e64 s0, s25, v48
	s_wait_alu 0xf1ff
	v_cndmask_b32_e64 v14, 0, v14, s0
	v_cmp_gt_i32_e64 s0, s25, v47
	s_wait_alu 0xf1ff
	s_delay_alu instid0(VALU_DEP_1) | instskip(SKIP_2) | instid1(VALU_DEP_1)
	v_cndmask_b32_e64 v15, 0, v15, s0
	v_cmp_gt_i32_e64 s0, s25, v44
	s_wait_alu 0xf1ff
	v_cndmask_b32_e64 v16, 0, v16, s0
	s_wait_alu 0xfffe
	s_or_b32 exec_lo, exec_lo, s4
	global_load_b128 v[17:20], v[25:26], off offset:1536
	s_and_saveexec_b32 s4, vcc_lo
	s_cbranch_execz .LBB21_37
.LBB21_42:                              ;   in Loop: Header=BB21_33 Depth=1
	v_cmp_gt_i32_e64 s0, s25, v46
	s_wait_loadcnt 0x0
	s_wait_alu 0xf1ff
	s_delay_alu instid0(VALU_DEP_1) | instskip(SKIP_2) | instid1(VALU_DEP_1)
	v_cndmask_b32_e64 v17, 0, v17, s0
	v_cmp_gt_i32_e64 s0, s25, v48
	s_wait_alu 0xf1ff
	v_cndmask_b32_e64 v18, 0, v18, s0
	v_cmp_gt_i32_e64 s0, s25, v47
	s_wait_alu 0xf1ff
	s_delay_alu instid0(VALU_DEP_1) | instskip(SKIP_2) | instid1(VALU_DEP_1)
	v_cndmask_b32_e64 v19, 0, v19, s0
	v_cmp_gt_i32_e64 s0, s25, v44
	s_wait_alu 0xf1ff
	v_cndmask_b32_e64 v20, 0, v20, s0
	s_wait_alu 0xfffe
	s_or_b32 exec_lo, exec_lo, s4
	global_load_b128 v[21:24], v[25:26], off offset:2048
	s_and_saveexec_b32 s4, vcc_lo
	s_cbranch_execz .LBB21_38
.LBB21_43:                              ;   in Loop: Header=BB21_33 Depth=1
	v_cmp_gt_i32_e64 s0, s25, v46
	s_wait_loadcnt 0x0
	s_wait_alu 0xf1ff
	s_delay_alu instid0(VALU_DEP_1) | instskip(SKIP_2) | instid1(VALU_DEP_1)
	v_cndmask_b32_e64 v21, 0, v21, s0
	v_cmp_gt_i32_e64 s0, s25, v48
	s_wait_alu 0xf1ff
	v_cndmask_b32_e64 v22, 0, v22, s0
	v_cmp_gt_i32_e64 s0, s25, v47
	s_wait_alu 0xf1ff
	s_delay_alu instid0(VALU_DEP_1) | instskip(SKIP_2) | instid1(VALU_DEP_1)
	v_cndmask_b32_e64 v23, 0, v23, s0
	v_cmp_gt_i32_e64 s0, s25, v44
	s_wait_alu 0xf1ff
	v_cndmask_b32_e64 v24, 0, v24, s0
	s_wait_alu 0xfffe
	s_or_b32 exec_lo, exec_lo, s4
	global_load_b128 v[25:28], v[25:26], off offset:2560
	s_and_saveexec_b32 s0, vcc_lo
	s_cbranch_execz .LBB21_32
.LBB21_44:                              ;   in Loop: Header=BB21_33 Depth=1
	v_cmp_gt_i32_e32 vcc_lo, s25, v46
	s_wait_loadcnt 0x0
	s_wait_alu 0xfffd
	v_cndmask_b32_e32 v25, 0, v25, vcc_lo
	v_cmp_gt_i32_e32 vcc_lo, s25, v48
	s_wait_alu 0xfffd
	v_cndmask_b32_e32 v26, 0, v26, vcc_lo
	v_cmp_gt_i32_e32 vcc_lo, s25, v47
	;; [unrolled: 3-line block ×3, first 2 shown]
	s_wait_alu 0xfffd
	v_cndmask_b32_e32 v28, 0, v28, vcc_lo
	s_branch .LBB21_32
.LBB21_45:
	s_or_b32 exec_lo, exec_lo, s3
.LBB21_46:
	s_wait_alu 0xfffe
	s_or_b32 exec_lo, exec_lo, s1
	ds_bpermute_b32 v1, v34, v39
	ds_bpermute_b32 v2, v34, v41
	ds_bpermute_b32 v3, v34, v40
	ds_bpermute_b32 v4, v34, v38
	ds_bpermute_b32 v5, v34, v37
	ds_bpermute_b32 v6, v34, v36
	v_lshrrev_b32_e32 v7, 1, v33
	v_mul_u32_u24_e32 v9, 0x180, v31
	v_and_b32_e32 v10, 0x3c1, v0
	s_mov_b32 s0, exec_lo
	s_wait_storecnt 0x0
	s_wait_loadcnt_dscnt 0x0
	v_lshl_add_u32 v8, v7, 2, 0x1a0
	s_barrier_signal -1
	s_barrier_wait -1
	global_inv scope:SCOPE_SE
	v_dual_add_f32 v1, v39, v1 :: v_dual_add_f32 v2, v41, v2
	v_dual_add_f32 v3, v40, v3 :: v_dual_add_f32 v4, v38, v4
	;; [unrolled: 1-line block ×3, first 2 shown]
	v_cmpx_eq_u32_e32 64, v10
	s_cbranch_execz .LBB21_48
; %bb.47:
	v_add_nc_u32_e32 v10, v8, v9
	s_delay_alu instid0(VALU_DEP_1)
	v_add_nc_u32_e32 v11, 0xfffffd00, v10
	v_add_nc_u32_e32 v12, 0xfffffd40, v10
	;; [unrolled: 1-line block ×6, first 2 shown]
	ds_store_b32 v11, v1
	ds_store_b32 v12, v2
	;; [unrolled: 1-line block ×6, first 2 shown]
.LBB21_48:
	s_wait_alu 0xfffe
	s_or_b32 exec_lo, exec_lo, s0
	v_lshlrev_b32_e32 v7, 2, v7
	s_mov_b32 s1, exec_lo
	v_cmp_eq_u32_e32 vcc_lo, 0, v35
	s_wait_loadcnt_dscnt 0x0
	s_barrier_signal -1
	v_add3_u32 v7, 0x1a0, v9, v7
	s_barrier_wait -1
	global_inv scope:SCOPE_SE
	v_cmpx_gt_u32_e32 64, v0
	s_cbranch_execz .LBB21_57
; %bb.49:
	s_and_saveexec_b32 s0, vcc_lo
	s_cbranch_execnz .LBB21_71
; %bb.50:
	s_wait_alu 0xfffe
	s_or_b32 exec_lo, exec_lo, s0
	s_and_saveexec_b32 s0, vcc_lo
	s_cbranch_execnz .LBB21_72
.LBB21_51:
	s_wait_alu 0xfffe
	s_or_b32 exec_lo, exec_lo, s0
	s_and_saveexec_b32 s0, vcc_lo
	s_cbranch_execnz .LBB21_73
.LBB21_52:
	s_wait_alu 0xfffe
	s_or_b32 exec_lo, exec_lo, s0
	s_and_saveexec_b32 s0, vcc_lo
	s_cbranch_execnz .LBB21_74
.LBB21_53:
	s_wait_alu 0xfffe
	s_or_b32 exec_lo, exec_lo, s0
	s_and_saveexec_b32 s0, vcc_lo
	s_cbranch_execnz .LBB21_75
.LBB21_54:
	s_wait_alu 0xfffe
	s_or_b32 exec_lo, exec_lo, s0
	s_and_saveexec_b32 s0, vcc_lo
	s_cbranch_execz .LBB21_56
.LBB21_55:
	ds_load_b32 v9, v7 offset:320
	s_wait_dscnt 0x0
	v_add_f32_e32 v6, v6, v9
.LBB21_56:
	s_wait_alu 0xfffe
	s_or_b32 exec_lo, exec_lo, s0
.LBB21_57:
	s_wait_alu 0xfffe
	s_or_b32 exec_lo, exec_lo, s1
	v_and_b32_e32 v9, 0x3e1, v0
	s_mov_b32 s1, exec_lo
	s_wait_loadcnt 0x0
	s_barrier_signal -1
	s_barrier_wait -1
	global_inv scope:SCOPE_SE
	v_cmpx_eq_u32_e32 32, v9
	s_cbranch_execz .LBB21_59
; %bb.58:
	ds_store_2addr_b32 v8, v1, v2 offset1:16
	ds_store_2addr_b32 v8, v3, v4 offset0:32 offset1:48
	ds_store_2addr_b32 v8, v5, v6 offset0:64 offset1:80
.LBB21_59:
	s_wait_alu 0xfffe
	s_or_b32 exec_lo, exec_lo, s1
	s_delay_alu instid0(SALU_CYCLE_1)
	s_mov_b32 s1, exec_lo
	s_wait_loadcnt_dscnt 0x0
	s_barrier_signal -1
	s_barrier_wait -1
	global_inv scope:SCOPE_SE
	v_cmpx_gt_u32_e32 32, v0
	s_cbranch_execz .LBB21_68
; %bb.60:
	s_and_saveexec_b32 s0, vcc_lo
	s_cbranch_execnz .LBB21_76
; %bb.61:
	s_wait_alu 0xfffe
	s_or_b32 exec_lo, exec_lo, s0
	s_and_saveexec_b32 s0, vcc_lo
	s_cbranch_execnz .LBB21_77
.LBB21_62:
	s_wait_alu 0xfffe
	s_or_b32 exec_lo, exec_lo, s0
	s_and_saveexec_b32 s0, vcc_lo
	s_cbranch_execnz .LBB21_78
.LBB21_63:
	s_wait_alu 0xfffe
	s_or_b32 exec_lo, exec_lo, s0
	s_and_saveexec_b32 s0, vcc_lo
	s_cbranch_execnz .LBB21_79
.LBB21_64:
	s_wait_alu 0xfffe
	s_or_b32 exec_lo, exec_lo, s0
	s_and_saveexec_b32 s0, vcc_lo
	s_cbranch_execnz .LBB21_80
.LBB21_65:
	s_wait_alu 0xfffe
	s_or_b32 exec_lo, exec_lo, s0
	s_and_saveexec_b32 s0, vcc_lo
	s_cbranch_execz .LBB21_67
.LBB21_66:
	ds_load_b32 v7, v7 offset:320
	s_wait_dscnt 0x0
	v_add_f32_e32 v6, v6, v7
.LBB21_67:
	s_wait_alu 0xfffe
	s_or_b32 exec_lo, exec_lo, s0
.LBB21_68:
	s_wait_alu 0xfffe
	s_or_b32 exec_lo, exec_lo, s1
	s_mov_b32 s1, 0
	s_wait_loadcnt 0x0
	s_barrier_signal -1
	s_barrier_wait -1
	global_inv scope:SCOPE_SE
	s_mov_b32 s0, exec_lo
	v_cmpx_eq_u32_e32 0, v9
	s_cbranch_execz .LBB21_70
; %bb.69:
	s_mul_i32 s2, s14, 0x60
	s_mul_i32 s4, s8, s12
	s_wait_alu 0xfffe
	s_ashr_i32 s3, s2, 31
	s_ashr_i32 s5, s4, 31
	s_wait_alu 0xfffe
	s_lshl_b64 s[2:3], s[2:3], 2
	s_lshl_b64 s[4:5], s[4:5], 2
	s_wait_alu 0xfffe
	s_add_nc_u64 s[2:3], s[10:11], s[2:3]
	v_lshlrev_b32_e32 v0, 1, v0
	s_mul_i32 s0, s24, 0x180
	s_wait_alu 0xfffe
	s_add_nc_u64 s[2:3], s[2:3], s[4:5]
	s_wait_alu 0xfffe
	s_add_nc_u64 s[0:1], s[2:3], s[0:1]
	s_clause 0x5
	global_store_b32 v0, v1, s[0:1]
	global_store_b32 v0, v2, s[0:1] offset:64
	global_store_b32 v0, v3, s[0:1] offset:128
	;; [unrolled: 1-line block ×5, first 2 shown]
.LBB21_70:
	s_endpgm
.LBB21_71:
	ds_load_b32 v9, v7
	s_wait_dscnt 0x0
	v_add_f32_e32 v1, v1, v9
	s_wait_alu 0xfffe
	s_or_b32 exec_lo, exec_lo, s0
	s_and_saveexec_b32 s0, vcc_lo
	s_cbranch_execz .LBB21_51
.LBB21_72:
	ds_load_b32 v9, v7 offset:64
	s_wait_dscnt 0x0
	v_add_f32_e32 v2, v2, v9
	s_wait_alu 0xfffe
	s_or_b32 exec_lo, exec_lo, s0
	s_and_saveexec_b32 s0, vcc_lo
	s_cbranch_execz .LBB21_52
.LBB21_73:
	ds_load_b32 v9, v7 offset:128
	s_wait_dscnt 0x0
	v_add_f32_e32 v3, v3, v9
	s_wait_alu 0xfffe
	s_or_b32 exec_lo, exec_lo, s0
	s_and_saveexec_b32 s0, vcc_lo
	s_cbranch_execz .LBB21_53
.LBB21_74:
	ds_load_b32 v9, v7 offset:192
	s_wait_dscnt 0x0
	v_add_f32_e32 v4, v4, v9
	s_wait_alu 0xfffe
	s_or_b32 exec_lo, exec_lo, s0
	s_and_saveexec_b32 s0, vcc_lo
	s_cbranch_execz .LBB21_54
.LBB21_75:
	ds_load_b32 v9, v7 offset:256
	s_wait_dscnt 0x0
	v_add_f32_e32 v5, v5, v9
	s_wait_alu 0xfffe
	s_or_b32 exec_lo, exec_lo, s0
	s_and_saveexec_b32 s0, vcc_lo
	s_cbranch_execnz .LBB21_55
	s_branch .LBB21_56
.LBB21_76:
	ds_load_b32 v8, v7
	s_wait_dscnt 0x0
	v_add_f32_e32 v1, v1, v8
	s_wait_alu 0xfffe
	s_or_b32 exec_lo, exec_lo, s0
	s_and_saveexec_b32 s0, vcc_lo
	s_cbranch_execz .LBB21_62
.LBB21_77:
	ds_load_b32 v8, v7 offset:64
	s_wait_dscnt 0x0
	v_add_f32_e32 v2, v2, v8
	s_wait_alu 0xfffe
	s_or_b32 exec_lo, exec_lo, s0
	s_and_saveexec_b32 s0, vcc_lo
	s_cbranch_execz .LBB21_63
.LBB21_78:
	ds_load_b32 v8, v7 offset:128
	s_wait_dscnt 0x0
	v_add_f32_e32 v3, v3, v8
	s_wait_alu 0xfffe
	s_or_b32 exec_lo, exec_lo, s0
	s_and_saveexec_b32 s0, vcc_lo
	s_cbranch_execz .LBB21_64
.LBB21_79:
	ds_load_b32 v8, v7 offset:192
	s_wait_dscnt 0x0
	v_add_f32_e32 v4, v4, v8
	s_wait_alu 0xfffe
	s_or_b32 exec_lo, exec_lo, s0
	s_and_saveexec_b32 s0, vcc_lo
	s_cbranch_execz .LBB21_65
.LBB21_80:
	ds_load_b32 v8, v7 offset:256
	s_wait_dscnt 0x0
	v_add_f32_e32 v5, v5, v8
	s_wait_alu 0xfffe
	s_or_b32 exec_lo, exec_lo, s0
	s_and_saveexec_b32 s0, vcc_lo
	s_cbranch_execnz .LBB21_66
	s_branch .LBB21_67
	.section	.rodata,"a",@progbits
	.p2align	6, 0x0
	.amdhsa_kernel _ZN4vllm25paged_attention_v2_kernelIffLi96ELi8ELi128ELNS_18Fp8KVCacheDataTypeE0ELb0ELi512EEEvPfS2_PT_PKS3_PKT0_S9_ifPKiSB_iPKfiiiSD_SD_iiiii
		.amdhsa_group_segment_fixed_size 416
		.amdhsa_private_segment_fixed_size 0
		.amdhsa_kernarg_size 400
		.amdhsa_user_sgpr_count 2
		.amdhsa_user_sgpr_dispatch_ptr 0
		.amdhsa_user_sgpr_queue_ptr 0
		.amdhsa_user_sgpr_kernarg_segment_ptr 1
		.amdhsa_user_sgpr_dispatch_id 0
		.amdhsa_user_sgpr_private_segment_size 0
		.amdhsa_wavefront_size32 1
		.amdhsa_uses_dynamic_stack 0
		.amdhsa_enable_private_segment 0
		.amdhsa_system_sgpr_workgroup_id_x 1
		.amdhsa_system_sgpr_workgroup_id_y 1
		.amdhsa_system_sgpr_workgroup_id_z 1
		.amdhsa_system_sgpr_workgroup_info 0
		.amdhsa_system_vgpr_workitem_id 0
		.amdhsa_next_free_vgpr 67
		.amdhsa_next_free_sgpr 32
		.amdhsa_reserve_vcc 1
		.amdhsa_float_round_mode_32 0
		.amdhsa_float_round_mode_16_64 0
		.amdhsa_float_denorm_mode_32 3
		.amdhsa_float_denorm_mode_16_64 3
		.amdhsa_fp16_overflow 0
		.amdhsa_workgroup_processor_mode 1
		.amdhsa_memory_ordered 1
		.amdhsa_forward_progress 1
		.amdhsa_inst_pref_size 44
		.amdhsa_round_robin_scheduling 0
		.amdhsa_exception_fp_ieee_invalid_op 0
		.amdhsa_exception_fp_denorm_src 0
		.amdhsa_exception_fp_ieee_div_zero 0
		.amdhsa_exception_fp_ieee_overflow 0
		.amdhsa_exception_fp_ieee_underflow 0
		.amdhsa_exception_fp_ieee_inexact 0
		.amdhsa_exception_int_div_zero 0
	.end_amdhsa_kernel
	.section	.text._ZN4vllm25paged_attention_v2_kernelIffLi96ELi8ELi128ELNS_18Fp8KVCacheDataTypeE0ELb0ELi512EEEvPfS2_PT_PKS3_PKT0_S9_ifPKiSB_iPKfiiiSD_SD_iiiii,"axG",@progbits,_ZN4vllm25paged_attention_v2_kernelIffLi96ELi8ELi128ELNS_18Fp8KVCacheDataTypeE0ELb0ELi512EEEvPfS2_PT_PKS3_PKT0_S9_ifPKiSB_iPKfiiiSD_SD_iiiii,comdat
.Lfunc_end21:
	.size	_ZN4vllm25paged_attention_v2_kernelIffLi96ELi8ELi128ELNS_18Fp8KVCacheDataTypeE0ELb0ELi512EEEvPfS2_PT_PKS3_PKT0_S9_ifPKiSB_iPKfiiiSD_SD_iiiii, .Lfunc_end21-_ZN4vllm25paged_attention_v2_kernelIffLi96ELi8ELi128ELNS_18Fp8KVCacheDataTypeE0ELb0ELi512EEEvPfS2_PT_PKS3_PKT0_S9_ifPKiSB_iPKfiiiSD_SD_iiiii
                                        ; -- End function
	.set _ZN4vllm25paged_attention_v2_kernelIffLi96ELi8ELi128ELNS_18Fp8KVCacheDataTypeE0ELb0ELi512EEEvPfS2_PT_PKS3_PKT0_S9_ifPKiSB_iPKfiiiSD_SD_iiiii.num_vgpr, 67
	.set _ZN4vllm25paged_attention_v2_kernelIffLi96ELi8ELi128ELNS_18Fp8KVCacheDataTypeE0ELb0ELi512EEEvPfS2_PT_PKS3_PKT0_S9_ifPKiSB_iPKfiiiSD_SD_iiiii.num_agpr, 0
	.set _ZN4vllm25paged_attention_v2_kernelIffLi96ELi8ELi128ELNS_18Fp8KVCacheDataTypeE0ELb0ELi512EEEvPfS2_PT_PKS3_PKT0_S9_ifPKiSB_iPKfiiiSD_SD_iiiii.numbered_sgpr, 32
	.set _ZN4vllm25paged_attention_v2_kernelIffLi96ELi8ELi128ELNS_18Fp8KVCacheDataTypeE0ELb0ELi512EEEvPfS2_PT_PKS3_PKT0_S9_ifPKiSB_iPKfiiiSD_SD_iiiii.num_named_barrier, 0
	.set _ZN4vllm25paged_attention_v2_kernelIffLi96ELi8ELi128ELNS_18Fp8KVCacheDataTypeE0ELb0ELi512EEEvPfS2_PT_PKS3_PKT0_S9_ifPKiSB_iPKfiiiSD_SD_iiiii.private_seg_size, 0
	.set _ZN4vllm25paged_attention_v2_kernelIffLi96ELi8ELi128ELNS_18Fp8KVCacheDataTypeE0ELb0ELi512EEEvPfS2_PT_PKS3_PKT0_S9_ifPKiSB_iPKfiiiSD_SD_iiiii.uses_vcc, 1
	.set _ZN4vllm25paged_attention_v2_kernelIffLi96ELi8ELi128ELNS_18Fp8KVCacheDataTypeE0ELb0ELi512EEEvPfS2_PT_PKS3_PKT0_S9_ifPKiSB_iPKfiiiSD_SD_iiiii.uses_flat_scratch, 0
	.set _ZN4vllm25paged_attention_v2_kernelIffLi96ELi8ELi128ELNS_18Fp8KVCacheDataTypeE0ELb0ELi512EEEvPfS2_PT_PKS3_PKT0_S9_ifPKiSB_iPKfiiiSD_SD_iiiii.has_dyn_sized_stack, 0
	.set _ZN4vllm25paged_attention_v2_kernelIffLi96ELi8ELi128ELNS_18Fp8KVCacheDataTypeE0ELb0ELi512EEEvPfS2_PT_PKS3_PKT0_S9_ifPKiSB_iPKfiiiSD_SD_iiiii.has_recursion, 0
	.set _ZN4vllm25paged_attention_v2_kernelIffLi96ELi8ELi128ELNS_18Fp8KVCacheDataTypeE0ELb0ELi512EEEvPfS2_PT_PKS3_PKT0_S9_ifPKiSB_iPKfiiiSD_SD_iiiii.has_indirect_call, 0
	.section	.AMDGPU.csdata,"",@progbits
; Kernel info:
; codeLenInByte = 5516
; TotalNumSgprs: 34
; NumVgprs: 67
; ScratchSize: 0
; MemoryBound: 0
; FloatMode: 240
; IeeeMode: 1
; LDSByteSize: 416 bytes/workgroup (compile time only)
; SGPRBlocks: 0
; VGPRBlocks: 8
; NumSGPRsForWavesPerEU: 34
; NumVGPRsForWavesPerEU: 67
; Occupancy: 16
; WaveLimiterHint : 1
; COMPUTE_PGM_RSRC2:SCRATCH_EN: 0
; COMPUTE_PGM_RSRC2:USER_SGPR: 2
; COMPUTE_PGM_RSRC2:TRAP_HANDLER: 0
; COMPUTE_PGM_RSRC2:TGID_X_EN: 1
; COMPUTE_PGM_RSRC2:TGID_Y_EN: 1
; COMPUTE_PGM_RSRC2:TGID_Z_EN: 1
; COMPUTE_PGM_RSRC2:TIDIG_COMP_CNT: 0
	.section	.text._ZN4vllm25paged_attention_v2_kernelIffLi112ELi8ELi128ELNS_18Fp8KVCacheDataTypeE0ELb0ELi512EEEvPfS2_PT_PKS3_PKT0_S9_ifPKiSB_iPKfiiiSD_SD_iiiii,"axG",@progbits,_ZN4vllm25paged_attention_v2_kernelIffLi112ELi8ELi128ELNS_18Fp8KVCacheDataTypeE0ELb0ELi512EEEvPfS2_PT_PKS3_PKT0_S9_ifPKiSB_iPKfiiiSD_SD_iiiii,comdat
	.protected	_ZN4vllm25paged_attention_v2_kernelIffLi112ELi8ELi128ELNS_18Fp8KVCacheDataTypeE0ELb0ELi512EEEvPfS2_PT_PKS3_PKT0_S9_ifPKiSB_iPKfiiiSD_SD_iiiii ; -- Begin function _ZN4vllm25paged_attention_v2_kernelIffLi112ELi8ELi128ELNS_18Fp8KVCacheDataTypeE0ELb0ELi512EEEvPfS2_PT_PKS3_PKT0_S9_ifPKiSB_iPKfiiiSD_SD_iiiii
	.globl	_ZN4vllm25paged_attention_v2_kernelIffLi112ELi8ELi128ELNS_18Fp8KVCacheDataTypeE0ELb0ELi512EEEvPfS2_PT_PKS3_PKT0_S9_ifPKiSB_iPKfiiiSD_SD_iiiii
	.p2align	8
	.type	_ZN4vllm25paged_attention_v2_kernelIffLi112ELi8ELi128ELNS_18Fp8KVCacheDataTypeE0ELb0ELi512EEEvPfS2_PT_PKS3_PKT0_S9_ifPKiSB_iPKfiiiSD_SD_iiiii,@function
_ZN4vllm25paged_attention_v2_kernelIffLi112ELi8ELi128ELNS_18Fp8KVCacheDataTypeE0ELb0ELi512EEEvPfS2_PT_PKS3_PKT0_S9_ifPKiSB_iPKfiiiSD_SD_iiiii: ; @_ZN4vllm25paged_attention_v2_kernelIffLi112ELi8ELi128ELNS_18Fp8KVCacheDataTypeE0ELb0ELi512EEEvPfS2_PT_PKS3_PKT0_S9_ifPKiSB_iPKfiiiSD_SD_iiiii
; %bb.0:
	s_load_b64 s[2:3], s[0:1], 0x40
	s_and_b32 s14, ttmp7, 0xffff
	s_lshr_b32 s24, ttmp7, 16
	s_lshl_b32 s4, s14, 2
	s_lshl_b32 s26, s24, 9
	s_wait_kmcnt 0x0
	s_load_b32 s25, s[2:3], s4 offset:0x0
	s_wait_kmcnt 0x0
	s_cmp_ge_i32 s26, s25
	s_cbranch_scc1 .LBB22_74
; %bb.1:
	s_clause 0x1
	s_load_b32 s15, s[0:1], 0x90
	s_load_b64 s[6:7], s[0:1], 0x30
	s_wait_kmcnt 0x0
	s_abs_i32 s5, s15
	s_abs_i32 s2, s6
	s_delay_alu instid0(SALU_CYCLE_1) | instskip(SKIP_1) | instid1(SALU_CYCLE_2)
	s_cvt_f32_u32 s3, s2
	s_sub_co_i32 s4, 0, s2
	v_rcp_iflag_f32_e32 v1, s3
	s_delay_alu instid0(TRANS32_DEP_1) | instskip(SKIP_2) | instid1(SALU_CYCLE_2)
	v_readfirstlane_b32 s3, v1
	s_mul_f32 s3, s3, 0x4f7ffffe
	s_wait_alu 0xfffe
	s_cvt_u32_f32 s3, s3
	s_wait_alu 0xfffe
	s_delay_alu instid0(SALU_CYCLE_2) | instskip(NEXT) | instid1(SALU_CYCLE_1)
	s_mul_i32 s4, s4, s3
	s_mul_hi_u32 s4, s3, s4
	s_delay_alu instid0(SALU_CYCLE_1)
	s_add_co_i32 s3, s3, s4
	s_xor_b32 s4, s15, s6
	s_wait_alu 0xfffe
	s_mul_hi_u32 s3, s5, s3
	s_ashr_i32 s4, s4, 31
	s_wait_alu 0xfffe
	s_mul_i32 s6, s3, s2
	s_delay_alu instid0(SALU_CYCLE_1)
	s_sub_co_i32 s5, s5, s6
	s_add_co_i32 s6, s3, 1
	s_sub_co_i32 s8, s5, s2
	s_cmp_ge_u32 s5, s2
	s_cselect_b32 s3, s6, s3
	s_cselect_b32 s5, s8, s5
	s_wait_alu 0xfffe
	s_add_co_i32 s6, s3, 1
	s_cmp_ge_u32 s5, s2
	s_load_b64 s[8:9], s[0:1], 0x50
	s_cselect_b32 s2, s6, s3
	s_mov_b32 s3, 0
	s_wait_alu 0xfffe
	s_xor_b32 s2, s2, s4
	s_mov_b32 s6, s3
	s_wait_alu 0xfffe
	s_sub_co_i32 s12, s2, s4
	s_delay_alu instid0(SALU_CYCLE_1) | instskip(NEXT) | instid1(SALU_CYCLE_1)
	s_abs_i32 s11, s12
	s_cvt_f32_u32 s2, s11
	s_wait_alu 0xfffe
	s_delay_alu instid0(SALU_CYCLE_2) | instskip(NEXT) | instid1(TRANS32_DEP_1)
	v_rcp_iflag_f32_e32 v1, s2
	v_readfirstlane_b32 s2, v1
	s_mul_f32 s2, s2, 0x4f7ffffe
	s_wait_alu 0xfffe
	s_delay_alu instid0(SALU_CYCLE_2) | instskip(SKIP_2) | instid1(SALU_CYCLE_1)
	s_cvt_u32_f32 s4, s2
	s_sub_co_i32 s2, 0, s11
	s_wait_alu 0xfffe
	s_mul_i32 s2, s2, s4
	s_wait_alu 0xfffe
	s_mul_hi_u32 s5, s4, s2
	s_abs_i32 s2, ttmp9
	s_add_co_i32 s4, s4, s5
	s_mov_b32 s5, s3
	s_wait_kmcnt 0x0
	s_cmp_eq_u64 s[8:9], 0
	s_cbranch_scc1 .LBB22_3
; %bb.2:
	s_mov_b32 s16, ttmp9
	s_ashr_i32 s17, ttmp9, 31
	s_delay_alu instid0(SALU_CYCLE_1) | instskip(NEXT) | instid1(SALU_CYCLE_1)
	s_lshl_b64 s[16:17], s[16:17], 2
	s_add_nc_u64 s[8:9], s[8:9], s[16:17]
	s_load_b32 s6, s[8:9], 0x0
.LBB22_3:
	s_load_b96 s[8:10], s[0:1], 0x58
	v_and_b32_e32 v29, 3, v0
	v_lshlrev_b32_e32 v31, 2, v0
	s_mul_u64 s[4:5], s[2:3], s[4:5]
	s_ashr_i32 s3, ttmp9, 31
	s_ashr_i32 s4, s12, 31
	s_mul_i32 s12, ttmp9, 0x70
	s_mov_b32 s16, exec_lo
	v_cmpx_gt_u32_e32 0x70, v0
	s_cbranch_execz .LBB22_5
; %bb.4:
	s_load_b64 s[18:19], s[0:1], 0x18
	s_wait_kmcnt 0x0
	s_mul_i32 s20, s8, s14
	s_ashr_i32 s13, s12, 31
	s_ashr_i32 s21, s20, 31
	v_and_b32_e32 v2, 0x3fc, v0
	s_lshl_b64 s[20:21], s[20:21], 2
	s_delay_alu instid0(VALU_DEP_1) | instskip(SKIP_2) | instid1(SALU_CYCLE_1)
	v_mad_u32_u24 v2, 0x70, v29, v2
	s_add_nc_u64 s[18:19], s[18:19], s[20:21]
	s_lshl_b64 s[20:21], s[12:13], 2
	s_add_nc_u64 s[18:19], s[18:19], s[20:21]
	global_load_b32 v1, v31, s[18:19]
	s_wait_loadcnt 0x0
	ds_store_b32 v2, v1
.LBB22_5:
	s_or_b32 exec_lo, exec_lo, s16
	s_wait_kmcnt 0x0
	s_add_co_i32 s8, s25, 7
	s_wait_alu 0xfffe
	s_xor_b32 s3, s3, s4
	s_ashr_i32 s13, s8, 31
	s_lshl_b32 s28, s24, 6
	s_lshr_b32 s4, s13, 29
	s_mul_i32 s13, s5, s11
	s_add_co_i32 s8, s8, s4
	s_add_co_i32 s4, s28, 64
	s_ashr_i32 s27, s8, 3
	s_load_b32 s8, s[0:1], 0x48
	s_sub_co_i32 s2, s2, s13
	s_min_i32 s13, s4, s27
	s_add_co_i32 s4, s5, 1
	s_wait_alu 0xfffe
	s_sub_co_i32 s16, s2, s11
	s_cmp_ge_u32 s2, s11
	v_lshrrev_b32_e32 v35, 5, v0
	s_cselect_b32 s4, s4, s5
	s_cselect_b32 s2, s16, s2
	s_add_co_i32 s5, s4, 1
	s_wait_alu 0xfffe
	s_cmp_ge_u32 s2, s11
	v_or_b32_e32 v36, s28, v35
	s_cselect_b32 s2, s5, s4
	v_mbcnt_lo_u32_b32 v33, -1, 0
	s_wait_alu 0xfffe
	s_xor_b32 s2, s2, s3
	s_mov_b32 s4, exec_lo
	s_wait_alu 0xfffe
	s_sub_co_i32 s3, s2, s3
	v_cmp_gt_i32_e64 s2, s13, v36
	s_wait_dscnt 0x0
	s_barrier_signal -1
	s_wait_kmcnt 0x0
	s_mul_i32 s16, s8, s14
	s_barrier_wait -1
	s_ashr_i32 s17, s16, 31
	global_inv scope:SCOPE_SE
                                        ; implicit-def: $vgpr34
                                        ; implicit-def: $vgpr38
	v_cmpx_le_i32_e64 s13, v36
	s_xor_b32 s4, exec_lo, s4
; %bb.6:
	v_mov_b32_e32 v34, 0
	v_mbcnt_lo_u32_b32 v33, -1, 0
	v_mov_b32_e32 v38, 32
                                        ; implicit-def: $vgpr29
; %bb.7:
	s_or_saveexec_b32 s11, s4
	s_clause 0x1
	s_load_b64 s[18:19], s[0:1], 0x38
	s_load_b32 s8, s[0:1], 0x98
	v_dual_mov_b32 v37, 0xff7fffff :: v_dual_lshlrev_b32 v32, 2, v36
	s_mul_i32 s20, s3, s10
	s_xor_b32 exec_lo, exec_lo, s11
	s_cbranch_execz .LBB22_13
; %bb.8:
	s_load_b64 s[4:5], s[0:1], 0x20
	v_bfe_u32 v30, v0, 2, 3
	v_xor_b32_e32 v27, 2, v33
	s_ashr_i32 s21, s20, 31
	v_mul_u32_u24_e32 v26, 0x70, v29
	s_lshl_b64 s[22:23], s[20:21], 2
	v_dual_mov_b32 v34, 0 :: v_dual_lshlrev_b32 v25, 2, v29
	v_cmp_gt_i32_e32 vcc_lo, 32, v27
	v_lshlrev_b32_e32 v28, 4, v30
	v_xor_b32_e32 v37, 1, v33
	ds_load_b128 v[1:4], v26
	ds_load_b128 v[5:8], v26 offset:16
	ds_load_b128 v[9:12], v26 offset:32
	;; [unrolled: 1-line block ×5, first 2 shown]
	v_lshlrev_b32_e32 v43, 2, v30
	v_cndmask_b32_e32 v41, v33, v27, vcc_lo
	s_cmp_neq_f32 s6, 0
	s_mov_b32 s21, s9
	s_mov_b32 s10, 0
	v_lshlrev_b32_e32 v44, 3, v35
	v_lshlrev_b32_e32 v41, 2, v41
	v_mov_b32_e32 v45, v36
	s_wait_kmcnt 0x0
	s_add_nc_u64 s[4:5], s[4:5], s[22:23]
	s_delay_alu instid0(SALU_CYCLE_1)
	v_add_co_u32 v28, s3, s4, v28
	s_wait_alu 0xf1ff
	v_add_co_ci_u32_e64 v38, null, s5, 0, s3
	s_cselect_b32 s3, -1, 0
	v_add_co_u32 v39, vcc_lo, v28, v25
	s_wait_alu 0xfffd
	v_add_co_ci_u32_e64 v40, null, 0, v38, vcc_lo
	ds_load_b128 v[25:28], v26 offset:96
	v_cmp_gt_i32_e32 vcc_lo, 32, v37
	s_lshl_b64 s[4:5], s[16:17], 2
	v_mov_b32_e32 v38, 32
	s_wait_alu 0xfffe
	s_add_nc_u64 s[4:5], s[18:19], s[4:5]
	s_sub_co_i32 s22, 1, s25
	s_wait_alu 0xfffd
	v_cndmask_b32_e32 v37, v33, v37, vcc_lo
	v_cmp_eq_u32_e32 vcc_lo, 0, v29
	s_wait_alu 0xfffe
	v_add_co_u32 v29, s4, s4, v32
	s_delay_alu instid0(VALU_DEP_3) | instskip(SKIP_4) | instid1(VALU_DEP_3)
	v_lshlrev_b32_e32 v42, 2, v37
	v_lshl_or_b32 v37, v35, 5, v43
	v_add3_u32 v43, s26, v44, v30
	s_wait_alu 0xf1ff
	v_add_co_ci_u32_e64 v30, null, s5, 0, s4
	v_add_nc_u32_e32 v44, 0x1e0, v37
	v_mov_b32_e32 v37, 0xff7fffff
	s_branch .LBB22_10
.LBB22_9:                               ;   in Loop: Header=BB22_10 Depth=1
	s_wait_alu 0xfffe
	s_or_b32 exec_lo, exec_lo, s5
	v_add_nc_u32_e32 v45, 4, v45
	v_add_co_u32 v29, s5, v29, 16
	v_add_nc_u32_e32 v43, 32, v43
	v_add_nc_u32_e32 v44, 0x80, v44
	s_delay_alu instid0(VALU_DEP_4) | instskip(SKIP_3) | instid1(SALU_CYCLE_1)
	v_cmp_le_i32_e64 s4, s13, v45
	s_wait_alu 0xf1ff
	v_add_co_ci_u32_e64 v30, null, 0, v30, s5
	s_or_b32 s10, s4, s10
	s_and_not1_b32 exec_lo, exec_lo, s10
	s_cbranch_execz .LBB22_12
.LBB22_10:                              ; =>This Inner Loop Header: Depth=1
	global_load_b32 v46, v[29:30], off
	s_wait_loadcnt_dscnt 0x0
	v_mad_co_i64_i32 v[46:47], null, v46, s21, 0
	s_delay_alu instid0(VALU_DEP_1) | instskip(NEXT) | instid1(VALU_DEP_1)
	v_lshlrev_b64_e32 v[46:47], 2, v[46:47]
	v_add_co_u32 v46, s4, v39, v46
	s_wait_alu 0xf1ff
	s_delay_alu instid0(VALU_DEP_2)
	v_add_co_ci_u32_e64 v47, null, v40, v47, s4
	s_clause 0x1b
	global_load_b32 v48, v[46:47], off offset:128
	global_load_b32 v49, v[46:47], off
	global_load_b32 v50, v[46:47], off offset:256
	global_load_b32 v51, v[46:47], off offset:384
	;; [unrolled: 1-line block ×26, first 2 shown]
	s_wait_loadcnt_dscnt 0x1b06
	v_mul_f32_e32 v47, v2, v48
	s_wait_loadcnt 0x1a
	s_delay_alu instid0(VALU_DEP_1) | instskip(SKIP_1) | instid1(VALU_DEP_1)
	v_fmac_f32_e32 v47, v1, v49
	s_wait_loadcnt 0x19
	v_fmac_f32_e32 v47, v3, v50
	s_wait_loadcnt 0x18
	s_delay_alu instid0(VALU_DEP_1) | instskip(SKIP_1) | instid1(VALU_DEP_1)
	v_fmac_f32_e32 v47, v4, v51
	s_wait_loadcnt_dscnt 0x1705
	v_fmac_f32_e32 v47, v5, v52
	s_wait_loadcnt 0x16
	s_delay_alu instid0(VALU_DEP_1) | instskip(SKIP_1) | instid1(VALU_DEP_1)
	v_fmac_f32_e32 v47, v6, v53
	s_wait_loadcnt 0x15
	v_fmac_f32_e32 v47, v7, v54
	s_wait_loadcnt 0x14
	s_delay_alu instid0(VALU_DEP_1) | instskip(SKIP_1) | instid1(VALU_DEP_1)
	v_fmac_f32_e32 v47, v8, v55
	s_wait_loadcnt_dscnt 0x1304
	v_fmac_f32_e32 v47, v9, v56
	;; [unrolled: 10-line block ×6, first 2 shown]
	s_wait_loadcnt 0x2
	s_delay_alu instid0(VALU_DEP_1) | instskip(SKIP_1) | instid1(VALU_DEP_1)
	v_fmac_f32_e32 v47, v26, v73
	s_wait_loadcnt 0x1
	v_fmac_f32_e32 v47, v27, v74
	s_wait_loadcnt 0x0
	s_delay_alu instid0(VALU_DEP_1)
	v_fmac_f32_e32 v47, v28, v46
	ds_bpermute_b32 v46, v41, v47
	s_wait_dscnt 0x0
	v_add_f32_e32 v46, v47, v46
	ds_bpermute_b32 v47, v42, v46
	s_and_saveexec_b32 s5, vcc_lo
	s_cbranch_execz .LBB22_9
; %bb.11:                               ;   in Loop: Header=BB22_10 Depth=1
	s_wait_dscnt 0x0
	v_add_f32_e32 v46, v46, v47
	v_add_nc_u32_e32 v48, s22, v43
	v_cmp_gt_i32_e64 s4, s25, v43
	s_delay_alu instid0(VALU_DEP_2) | instskip(NEXT) | instid1(VALU_DEP_1)
	v_cvt_f32_i32_e32 v48, v48
	v_mul_f32_e32 v48, s6, v48
	s_delay_alu instid0(VALU_DEP_1) | instskip(NEXT) | instid1(VALU_DEP_1)
	v_cndmask_b32_e64 v47, 0, v48, s3
	v_dual_max_num_f32 v48, v37, v37 :: v_dual_fmac_f32 v47, s7, v46
	s_delay_alu instid0(VALU_DEP_1) | instskip(SKIP_2) | instid1(VALU_DEP_2)
	v_max_num_f32_e32 v46, v48, v47
	s_wait_alu 0xf1ff
	v_cndmask_b32_e64 v47, 0, v47, s4
	v_cndmask_b32_e64 v37, v37, v46, s4
	ds_store_b32 v44, v47
	s_branch .LBB22_9
.LBB22_12:
	s_or_b32 exec_lo, exec_lo, s10
.LBB22_13:
	s_delay_alu instid0(SALU_CYCLE_1)
	s_or_b32 exec_lo, exec_lo, s11
	v_xor_b32_e32 v1, 16, v33
	v_xor_b32_e32 v3, 8, v33
	v_max_num_f32_e32 v5, v37, v37
	s_clause 0x2
	s_load_b128 s[4:7], s[0:1], 0x0
	s_load_b64 s[10:11], s[0:1], 0x10
	s_load_b64 s[22:23], s[0:1], 0x28
	v_cmp_lt_i32_e32 vcc_lo, v1, v38
	s_wait_alu 0xfffd
	v_cndmask_b32_e32 v1, v33, v1, vcc_lo
	v_cmp_lt_i32_e32 vcc_lo, v3, v38
	s_wait_alu 0xfffd
	v_cndmask_b32_e32 v3, v33, v3, vcc_lo
	s_delay_alu instid0(VALU_DEP_1)
	v_lshlrev_b32_e32 v4, 2, v3
	v_lshlrev_b32_e32 v2, 2, v1
	ds_bpermute_b32 v1, v2, v37
	v_and_b32_e32 v37, 31, v0
	s_wait_dscnt 0x0
	v_max_num_f32_e32 v1, v1, v1
	s_delay_alu instid0(VALU_DEP_1)
	v_max_num_f32_e32 v1, v5, v1
	v_xor_b32_e32 v5, 4, v33
	ds_bpermute_b32 v3, v4, v1
	v_cmp_lt_i32_e32 vcc_lo, v5, v38
	s_wait_alu 0xfffd
	v_cndmask_b32_e32 v5, v33, v5, vcc_lo
	v_cmp_eq_u32_e32 vcc_lo, 0, v37
	s_delay_alu instid0(VALU_DEP_2) | instskip(SKIP_3) | instid1(VALU_DEP_1)
	v_lshlrev_b32_e32 v7, 2, v5
	v_lshlrev_b32_e32 v5, 2, v35
	s_wait_dscnt 0x0
	v_max_num_f32_e32 v3, v3, v3
	v_max_num_f32_e32 v1, v1, v3
	ds_bpermute_b32 v3, v7, v1
	s_and_saveexec_b32 s0, vcc_lo
	s_cbranch_execz .LBB22_15
; %bb.14:
	s_wait_dscnt 0x0
	v_max_num_f32_e32 v3, v3, v3
	v_max_num_f32_e32 v1, v1, v1
	s_delay_alu instid0(VALU_DEP_1)
	v_max_num_f32_e32 v1, v1, v3
	ds_store_b32 v5, v1 offset:448
.LBB22_15:
	s_or_b32 exec_lo, exec_lo, s0
	v_cmp_gt_u32_e64 s0, 4, v37
	v_dual_mov_b32 v1, 0xff7fffff :: v_dual_lshlrev_b32 v6, 2, v37
	s_wait_loadcnt_dscnt 0x0
	s_barrier_signal -1
	s_barrier_wait -1
	global_inv scope:SCOPE_SE
	s_and_saveexec_b32 s1, s0
; %bb.16:
	ds_load_b32 v1, v6 offset:448
; %bb.17:
	s_or_b32 exec_lo, exec_lo, s1
	v_xor_b32_e32 v3, 2, v33
	v_xor_b32_e32 v9, 1, v33
	s_delay_alu instid0(VALU_DEP_2) | instskip(NEXT) | instid1(VALU_DEP_1)
	v_cmp_lt_i32_e64 s1, v3, v38
	v_cndmask_b32_e64 v3, v33, v3, s1
	s_delay_alu instid0(VALU_DEP_3) | instskip(NEXT) | instid1(VALU_DEP_2)
	v_cmp_lt_i32_e64 s1, v9, v38
	v_lshlrev_b32_e32 v8, 2, v3
	s_wait_alu 0xf1ff
	s_delay_alu instid0(VALU_DEP_2)
	v_cndmask_b32_e64 v9, v33, v9, s1
	s_sub_co_i32 s1, s13, s28
	s_wait_alu 0xfffe
	s_lshl_b32 s1, s1, 3
	s_wait_dscnt 0x0
	ds_bpermute_b32 v3, v8, v1
	v_max_num_f32_e32 v1, v1, v1
	s_wait_alu 0xfffe
	s_add_co_i32 s1, s1, s26
	v_lshlrev_b32_e32 v38, 2, v9
	s_wait_alu 0xfffe
	s_min_i32 s1, s1, s25
	v_mov_b32_e32 v9, 0
	s_wait_alu 0xfffe
	s_sub_co_i32 s21, s1, s26
	s_wait_alu 0xfffe
	v_cmp_gt_i32_e64 s1, s21, v0
	s_wait_dscnt 0x0
	v_max_num_f32_e32 v3, v3, v3
	s_delay_alu instid0(VALU_DEP_1) | instskip(SKIP_3) | instid1(VALU_DEP_1)
	v_max_num_f32_e32 v1, v1, v3
	ds_bpermute_b32 v3, v38, v1
	s_wait_dscnt 0x0
	v_max_num_f32_e32 v3, v3, v3
	v_max_num_f32_e32 v1, v1, v3
	v_lshlrev_b32_e32 v3, 2, v34
	ds_bpermute_b32 v1, v3, v1
	v_lshl_add_u32 v3, v0, 2, 0x1e0
	s_and_saveexec_b32 s28, s1
	s_cbranch_execz .LBB22_21
; %bb.18:
	v_lshl_add_u32 v10, v0, 2, 0x1e0
	v_mov_b32_e32 v9, 0
	v_mov_b32_e32 v11, v0
	s_mov_b32 s29, 0
.LBB22_19:                              ; =>This Inner Loop Header: Depth=1
	ds_load_b32 v12, v10
	v_add_nc_u32_e32 v11, 0x80, v11
	s_delay_alu instid0(VALU_DEP_1) | instskip(SKIP_4) | instid1(VALU_DEP_1)
	v_cmp_le_i32_e64 s3, s21, v11
	s_wait_alu 0xfffe
	s_or_b32 s29, s3, s29
	s_wait_dscnt 0x0
	v_sub_f32_e32 v12, v12, v1
	v_mul_f32_e32 v12, 0x3fb8aa3b, v12
	s_delay_alu instid0(VALU_DEP_1)
	v_exp_f32_e32 v12, v12
	ds_store_b32 v10, v12
	v_dual_add_f32 v9, v9, v12 :: v_dual_add_nc_u32 v10, 0x200, v10
	s_wait_alu 0xfffe
	s_and_not1_b32 exec_lo, exec_lo, s29
	s_cbranch_execnz .LBB22_19
; %bb.20:
	s_or_b32 exec_lo, exec_lo, s29
.LBB22_21:
	s_wait_alu 0xfffe
	s_or_b32 exec_lo, exec_lo, s28
	ds_bpermute_b32 v2, v2, v9
	s_wait_dscnt 0x0
	v_add_f32_e32 v2, v9, v2
	ds_bpermute_b32 v4, v4, v2
	s_wait_dscnt 0x0
	v_add_f32_e32 v2, v2, v4
	;; [unrolled: 3-line block ×5, first 2 shown]
	s_and_saveexec_b32 s3, vcc_lo
; %bb.22:
	ds_store_b32 v5, v2 offset:464
; %bb.23:
	s_wait_alu 0xfffe
	s_or_b32 exec_lo, exec_lo, s3
	s_wait_loadcnt_dscnt 0x0
	s_barrier_signal -1
	s_barrier_wait -1
	global_inv scope:SCOPE_SE
	s_and_saveexec_b32 s3, s0
; %bb.24:
	ds_load_b32 v2, v6 offset:464
; %bb.25:
	s_wait_alu 0xfffe
	s_or_b32 exec_lo, exec_lo, s3
	s_wait_dscnt 0x0
	ds_bpermute_b32 v4, v8, v2
	s_wait_dscnt 0x0
	v_dual_add_f32 v2, v2, v4 :: v_dual_lshlrev_b32 v5, 2, v33
	ds_bpermute_b32 v4, v38, v2
	s_wait_dscnt 0x0
	v_add_f32_e32 v2, v2, v4
	v_and_b32_e32 v4, 0xffffff80, v5
	ds_bpermute_b32 v2, v4, v2
	s_and_saveexec_b32 s0, s1
	s_cbranch_execz .LBB22_28
; %bb.26:
	s_wait_dscnt 0x0
	v_add_f32_e32 v4, 0x358637bd, v2
	s_mov_b32 s1, 0
	s_delay_alu instid0(VALU_DEP_1) | instskip(SKIP_1) | instid1(VALU_DEP_2)
	v_div_scale_f32 v5, null, v4, v4, 1.0
	v_div_scale_f32 v8, vcc_lo, 1.0, v4, 1.0
	v_rcp_f32_e32 v6, v5
	s_delay_alu instid0(TRANS32_DEP_1) | instskip(NEXT) | instid1(VALU_DEP_1)
	v_fma_f32 v7, -v5, v6, 1.0
	v_fmac_f32_e32 v6, v7, v6
	s_delay_alu instid0(VALU_DEP_1) | instskip(NEXT) | instid1(VALU_DEP_1)
	v_mul_f32_e32 v7, v8, v6
	v_fma_f32 v9, -v5, v7, v8
	s_delay_alu instid0(VALU_DEP_1) | instskip(NEXT) | instid1(VALU_DEP_1)
	v_fmac_f32_e32 v7, v9, v6
	v_fma_f32 v5, -v5, v7, v8
	s_wait_alu 0xfffd
	s_delay_alu instid0(VALU_DEP_1) | instskip(NEXT) | instid1(VALU_DEP_1)
	v_div_fmas_f32 v5, v5, v6, v7
	v_div_fixup_f32 v4, v5, v4, 1.0
	v_mov_b32_e32 v5, v0
.LBB22_27:                              ; =>This Inner Loop Header: Depth=1
	ds_load_b32 v6, v3
	s_wait_dscnt 0x0
	v_dual_mul_f32 v6, v4, v6 :: v_dual_add_nc_u32 v5, 0x80, v5
	s_delay_alu instid0(VALU_DEP_1)
	v_cmp_le_i32_e32 vcc_lo, s21, v5
	ds_store_b32 v3, v6
	v_add_nc_u32_e32 v3, 0x200, v3
	s_wait_alu 0xfffe
	s_or_b32 s1, vcc_lo, s1
	s_wait_alu 0xfffe
	s_and_not1_b32 exec_lo, exec_lo, s1
	s_cbranch_execnz .LBB22_27
.LBB22_28:
	s_wait_alu 0xfffe
	s_or_b32 exec_lo, exec_lo, s0
	s_wait_kmcnt 0x0
	s_mul_i32 s0, s8, s14
	s_wait_loadcnt_dscnt 0x0
	s_wait_alu 0xfffe
	s_mul_i32 s14, s0, s15
	s_mov_b32 s0, exec_lo
	s_barrier_signal -1
	s_barrier_wait -1
	global_inv scope:SCOPE_SE
	v_cmpx_eq_u32_e32 0, v0
	s_cbranch_execz .LBB22_30
; %bb.29:
	s_ashr_i32 s15, s14, 31
	s_wait_alu 0xfffe
	s_mul_i32 s28, s8, ttmp9
	s_lshl_b32 s1, s24, 2
	s_lshl_b64 s[30:31], s[14:15], 2
	s_wait_alu 0xfffe
	s_ashr_i32 s29, s28, 31
	v_mov_b32_e32 v3, s1
	s_add_nc_u64 s[6:7], s[6:7], s[30:31]
	s_wait_alu 0xfffe
	s_lshl_b64 s[28:29], s[28:29], 2
	s_add_nc_u64 s[4:5], s[4:5], s[30:31]
	s_wait_alu 0xfffe
	s_add_nc_u64 s[6:7], s[6:7], s[28:29]
	s_add_nc_u64 s[4:5], s[4:5], s[28:29]
	s_clause 0x1
	global_store_b32 v3, v1, s[6:7]
	global_store_b32 v3, v2, s[4:5]
.LBB22_30:
	s_wait_alu 0xfffe
	s_or_b32 exec_lo, exec_lo, s0
	v_dual_mov_b32 v44, 0 :: v_dual_and_b32 v39, 1, v0
	v_dual_mov_b32 v46, 0 :: v_dual_mov_b32 v45, 0
	v_dual_mov_b32 v43, 0 :: v_dual_mov_b32 v42, 0
	;; [unrolled: 1-line block ×3, first 2 shown]
	s_and_saveexec_b32 s1, s2
	s_cbranch_execz .LBB22_48
; %bb.31:
	v_dual_mov_b32 v40, 0 :: v_dual_lshlrev_b32 v1, 4, v0
	s_ashr_i32 s21, s20, 31
	v_dual_mov_b32 v42, 0 :: v_dual_lshlrev_b32 v3, 4, v39
	s_delay_alu instid0(VALU_DEP_2)
	v_dual_mov_b32 v46, 0 :: v_dual_and_b32 v1, 0x1f0, v1
	s_wait_alu 0xfffe
	s_lshl_b64 s[2:3], s[20:21], 2
	v_dual_mov_b32 v41, 0 :: v_dual_and_b32 v2, 4, v31
	s_wait_alu 0xfffe
	s_add_nc_u64 s[2:3], s[22:23], s[2:3]
	v_lshl_add_u32 v4, v35, 3, s26
	s_wait_alu 0xfffe
	v_add_co_u32 v47, s0, s2, v1
	s_wait_alu 0xf1ff
	v_add_co_ci_u32_e64 v48, null, s3, 0, s0
	s_lshl_b64 s[2:3], s[16:17], 2
	v_lshl_or_b32 v3, v35, 5, v3
	s_wait_alu 0xfffe
	s_add_nc_u64 s[2:3], s[18:19], s[2:3]
	v_add3_u32 v49, v4, v2, 3
	s_wait_alu 0xfffe
	v_add_co_u32 v33, s0, s2, v32
	v_dual_mov_b32 v43, 0 :: v_dual_add_nc_u32 v50, 0x1e0, v3
	s_wait_alu 0xf1ff
	v_add_co_ci_u32_e64 v34, null, s3, 0, s0
	v_dual_mov_b32 v45, 0 :: v_dual_mov_b32 v44, 0
	s_mov_b32 s2, s9
	s_add_co_i32 s27, s27, -1
	s_mov_b32 s3, 0
	s_branch .LBB22_33
.LBB22_32:                              ;   in Loop: Header=BB22_33 Depth=1
	s_wait_alu 0xfffe
	s_or_b32 exec_lo, exec_lo, s0
	s_wait_loadcnt_dscnt 0x100
	v_dual_mul_f32 v25, v1, v25 :: v_dual_add_nc_u32 v36, 4, v36
	v_dual_mul_f32 v21, v1, v21 :: v_dual_add_nc_u32 v50, 0x80, v50
	v_mul_f32_e32 v17, v1, v17
	v_mul_f32_e32 v13, v1, v13
	;; [unrolled: 1-line block ×4, first 2 shown]
	s_wait_loadcnt 0x0
	v_mul_f32_e32 v1, v1, v29
	v_fmac_f32_e32 v17, v2, v18
	v_fmac_f32_e32 v13, v2, v14
	;; [unrolled: 1-line block ×17, first 2 shown]
	v_add_f32_e32 v46, v46, v9
	v_add_f32_e32 v44, v44, v5
	s_delay_alu instid0(VALU_DEP_4) | instskip(SKIP_3) | instid1(VALU_DEP_4)
	v_dual_add_f32 v40, v40, v1 :: v_dual_fmac_f32 v21, v3, v23
	v_cmp_le_i32_e32 vcc_lo, s13, v36
	v_add_co_u32 v33, s0, v33, 16
	v_add_f32_e32 v43, v43, v17
	v_fmac_f32_e32 v21, v4, v24
	v_fmac_f32_e32 v25, v3, v27
	v_add_f32_e32 v45, v45, v13
	v_add_nc_u32_e32 v49, 32, v49
	s_wait_alu 0xf1ff
	v_add_co_ci_u32_e64 v34, null, 0, v34, s0
	v_dual_add_f32 v42, v42, v21 :: v_dual_fmac_f32 v25, v4, v28
	s_or_b32 s3, vcc_lo, s3
	s_delay_alu instid0(VALU_DEP_1)
	v_add_f32_e32 v41, v41, v25
	s_wait_alu 0xfffe
	s_and_not1_b32 exec_lo, exec_lo, s3
	s_cbranch_execz .LBB22_47
.LBB22_33:                              ; =>This Inner Loop Header: Depth=1
	global_load_b32 v1, v[33:34], off
	v_add_nc_u32_e32 v51, -3, v49
	v_add_nc_u32_e32 v53, -2, v49
	;; [unrolled: 1-line block ×3, first 2 shown]
	s_wait_loadcnt 0x0
	s_wait_alu 0xfffe
	v_mad_co_i64_i32 v[1:2], null, v1, s2, 0
	s_delay_alu instid0(VALU_DEP_1) | instskip(NEXT) | instid1(VALU_DEP_1)
	v_lshlrev_b64_e32 v[1:2], 2, v[1:2]
	v_add_co_u32 v29, vcc_lo, v47, v1
	s_wait_alu 0xfffd
	s_delay_alu instid0(VALU_DEP_2)
	v_add_co_ci_u32_e64 v30, null, v48, v2, vcc_lo
	ds_load_b128 v[1:4], v50
	v_cmp_eq_u32_e32 vcc_lo, s27, v36
	global_load_b128 v[5:8], v[29:30], off
	s_and_saveexec_b32 s4, vcc_lo
	s_cbranch_execnz .LBB22_40
; %bb.34:                               ;   in Loop: Header=BB22_33 Depth=1
	s_wait_alu 0xfffe
	s_or_b32 exec_lo, exec_lo, s4
	global_load_b128 v[9:12], v[29:30], off offset:512
	s_and_saveexec_b32 s4, vcc_lo
	s_cbranch_execnz .LBB22_41
.LBB22_35:                              ;   in Loop: Header=BB22_33 Depth=1
	s_wait_alu 0xfffe
	s_or_b32 exec_lo, exec_lo, s4
	global_load_b128 v[13:16], v[29:30], off offset:1024
	s_and_saveexec_b32 s4, vcc_lo
	s_cbranch_execnz .LBB22_42
.LBB22_36:                              ;   in Loop: Header=BB22_33 Depth=1
	s_wait_alu 0xfffe
	s_or_b32 exec_lo, exec_lo, s4
	global_load_b128 v[17:20], v[29:30], off offset:1536
	s_and_saveexec_b32 s4, vcc_lo
	s_cbranch_execnz .LBB22_43
.LBB22_37:                              ;   in Loop: Header=BB22_33 Depth=1
	s_wait_alu 0xfffe
	s_or_b32 exec_lo, exec_lo, s4
	global_load_b128 v[21:24], v[29:30], off offset:2048
	s_and_saveexec_b32 s4, vcc_lo
	s_cbranch_execnz .LBB22_44
.LBB22_38:                              ;   in Loop: Header=BB22_33 Depth=1
	s_wait_alu 0xfffe
	s_or_b32 exec_lo, exec_lo, s4
	global_load_b128 v[25:28], v[29:30], off offset:2560
	s_and_saveexec_b32 s4, vcc_lo
	s_cbranch_execnz .LBB22_45
.LBB22_39:                              ;   in Loop: Header=BB22_33 Depth=1
	s_wait_alu 0xfffe
	s_or_b32 exec_lo, exec_lo, s4
	global_load_b128 v[29:32], v[29:30], off offset:3072
	s_and_saveexec_b32 s0, vcc_lo
	s_cbranch_execz .LBB22_32
	s_branch .LBB22_46
.LBB22_40:                              ;   in Loop: Header=BB22_33 Depth=1
	v_cmp_gt_i32_e64 s0, s25, v51
	s_wait_loadcnt 0x0
	s_wait_alu 0xf1ff
	s_delay_alu instid0(VALU_DEP_1) | instskip(SKIP_2) | instid1(VALU_DEP_1)
	v_cndmask_b32_e64 v5, 0, v5, s0
	v_cmp_gt_i32_e64 s0, s25, v53
	s_wait_alu 0xf1ff
	v_cndmask_b32_e64 v6, 0, v6, s0
	v_cmp_gt_i32_e64 s0, s25, v52
	s_wait_alu 0xf1ff
	s_delay_alu instid0(VALU_DEP_1) | instskip(SKIP_2) | instid1(VALU_DEP_1)
	v_cndmask_b32_e64 v7, 0, v7, s0
	v_cmp_gt_i32_e64 s0, s25, v49
	s_wait_alu 0xf1ff
	v_cndmask_b32_e64 v8, 0, v8, s0
	s_wait_alu 0xfffe
	s_or_b32 exec_lo, exec_lo, s4
	global_load_b128 v[9:12], v[29:30], off offset:512
	s_and_saveexec_b32 s4, vcc_lo
	s_cbranch_execz .LBB22_35
.LBB22_41:                              ;   in Loop: Header=BB22_33 Depth=1
	v_cmp_gt_i32_e64 s0, s25, v51
	s_wait_loadcnt 0x0
	s_wait_alu 0xf1ff
	s_delay_alu instid0(VALU_DEP_1) | instskip(SKIP_2) | instid1(VALU_DEP_1)
	v_cndmask_b32_e64 v9, 0, v9, s0
	v_cmp_gt_i32_e64 s0, s25, v53
	s_wait_alu 0xf1ff
	v_cndmask_b32_e64 v10, 0, v10, s0
	v_cmp_gt_i32_e64 s0, s25, v52
	s_wait_alu 0xf1ff
	s_delay_alu instid0(VALU_DEP_1) | instskip(SKIP_2) | instid1(VALU_DEP_1)
	v_cndmask_b32_e64 v11, 0, v11, s0
	v_cmp_gt_i32_e64 s0, s25, v49
	s_wait_alu 0xf1ff
	v_cndmask_b32_e64 v12, 0, v12, s0
	s_wait_alu 0xfffe
	s_or_b32 exec_lo, exec_lo, s4
	global_load_b128 v[13:16], v[29:30], off offset:1024
	s_and_saveexec_b32 s4, vcc_lo
	s_cbranch_execz .LBB22_36
.LBB22_42:                              ;   in Loop: Header=BB22_33 Depth=1
	v_cmp_gt_i32_e64 s0, s25, v51
	s_wait_loadcnt 0x0
	s_wait_alu 0xf1ff
	s_delay_alu instid0(VALU_DEP_1) | instskip(SKIP_2) | instid1(VALU_DEP_1)
	v_cndmask_b32_e64 v13, 0, v13, s0
	v_cmp_gt_i32_e64 s0, s25, v53
	s_wait_alu 0xf1ff
	v_cndmask_b32_e64 v14, 0, v14, s0
	v_cmp_gt_i32_e64 s0, s25, v52
	s_wait_alu 0xf1ff
	s_delay_alu instid0(VALU_DEP_1) | instskip(SKIP_2) | instid1(VALU_DEP_1)
	v_cndmask_b32_e64 v15, 0, v15, s0
	v_cmp_gt_i32_e64 s0, s25, v49
	s_wait_alu 0xf1ff
	v_cndmask_b32_e64 v16, 0, v16, s0
	s_wait_alu 0xfffe
	s_or_b32 exec_lo, exec_lo, s4
	global_load_b128 v[17:20], v[29:30], off offset:1536
	s_and_saveexec_b32 s4, vcc_lo
	s_cbranch_execz .LBB22_37
.LBB22_43:                              ;   in Loop: Header=BB22_33 Depth=1
	v_cmp_gt_i32_e64 s0, s25, v51
	s_wait_loadcnt 0x0
	s_wait_alu 0xf1ff
	s_delay_alu instid0(VALU_DEP_1) | instskip(SKIP_2) | instid1(VALU_DEP_1)
	v_cndmask_b32_e64 v17, 0, v17, s0
	v_cmp_gt_i32_e64 s0, s25, v53
	s_wait_alu 0xf1ff
	v_cndmask_b32_e64 v18, 0, v18, s0
	v_cmp_gt_i32_e64 s0, s25, v52
	s_wait_alu 0xf1ff
	s_delay_alu instid0(VALU_DEP_1) | instskip(SKIP_2) | instid1(VALU_DEP_1)
	v_cndmask_b32_e64 v19, 0, v19, s0
	v_cmp_gt_i32_e64 s0, s25, v49
	s_wait_alu 0xf1ff
	v_cndmask_b32_e64 v20, 0, v20, s0
	s_wait_alu 0xfffe
	s_or_b32 exec_lo, exec_lo, s4
	global_load_b128 v[21:24], v[29:30], off offset:2048
	s_and_saveexec_b32 s4, vcc_lo
	s_cbranch_execz .LBB22_38
.LBB22_44:                              ;   in Loop: Header=BB22_33 Depth=1
	v_cmp_gt_i32_e64 s0, s25, v51
	s_wait_loadcnt 0x0
	s_wait_alu 0xf1ff
	s_delay_alu instid0(VALU_DEP_1) | instskip(SKIP_2) | instid1(VALU_DEP_1)
	v_cndmask_b32_e64 v21, 0, v21, s0
	v_cmp_gt_i32_e64 s0, s25, v53
	s_wait_alu 0xf1ff
	v_cndmask_b32_e64 v22, 0, v22, s0
	v_cmp_gt_i32_e64 s0, s25, v52
	s_wait_alu 0xf1ff
	s_delay_alu instid0(VALU_DEP_1) | instskip(SKIP_2) | instid1(VALU_DEP_1)
	v_cndmask_b32_e64 v23, 0, v23, s0
	v_cmp_gt_i32_e64 s0, s25, v49
	s_wait_alu 0xf1ff
	v_cndmask_b32_e64 v24, 0, v24, s0
	s_wait_alu 0xfffe
	s_or_b32 exec_lo, exec_lo, s4
	global_load_b128 v[25:28], v[29:30], off offset:2560
	s_and_saveexec_b32 s4, vcc_lo
	s_cbranch_execz .LBB22_39
.LBB22_45:                              ;   in Loop: Header=BB22_33 Depth=1
	v_cmp_gt_i32_e64 s0, s25, v51
	s_wait_loadcnt 0x0
	s_wait_alu 0xf1ff
	s_delay_alu instid0(VALU_DEP_1) | instskip(SKIP_2) | instid1(VALU_DEP_1)
	v_cndmask_b32_e64 v25, 0, v25, s0
	v_cmp_gt_i32_e64 s0, s25, v53
	s_wait_alu 0xf1ff
	v_cndmask_b32_e64 v26, 0, v26, s0
	v_cmp_gt_i32_e64 s0, s25, v52
	s_wait_alu 0xf1ff
	s_delay_alu instid0(VALU_DEP_1) | instskip(SKIP_2) | instid1(VALU_DEP_1)
	v_cndmask_b32_e64 v27, 0, v27, s0
	v_cmp_gt_i32_e64 s0, s25, v49
	s_wait_alu 0xf1ff
	v_cndmask_b32_e64 v28, 0, v28, s0
	s_wait_alu 0xfffe
	s_or_b32 exec_lo, exec_lo, s4
	global_load_b128 v[29:32], v[29:30], off offset:3072
	s_and_saveexec_b32 s0, vcc_lo
	s_cbranch_execz .LBB22_32
.LBB22_46:                              ;   in Loop: Header=BB22_33 Depth=1
	v_cmp_gt_i32_e32 vcc_lo, s25, v51
	s_wait_loadcnt 0x0
	s_wait_alu 0xfffd
	v_cndmask_b32_e32 v29, 0, v29, vcc_lo
	v_cmp_gt_i32_e32 vcc_lo, s25, v53
	s_wait_alu 0xfffd
	v_cndmask_b32_e32 v30, 0, v30, vcc_lo
	v_cmp_gt_i32_e32 vcc_lo, s25, v52
	;; [unrolled: 3-line block ×3, first 2 shown]
	s_wait_alu 0xfffd
	v_cndmask_b32_e32 v32, 0, v32, vcc_lo
	s_branch .LBB22_32
.LBB22_47:
	s_or_b32 exec_lo, exec_lo, s3
.LBB22_48:
	s_wait_alu 0xfffe
	s_or_b32 exec_lo, exec_lo, s1
	ds_bpermute_b32 v1, v38, v44
	ds_bpermute_b32 v2, v38, v46
	;; [unrolled: 1-line block ×7, first 2 shown]
	v_lshrrev_b32_e32 v8, 1, v37
	v_mul_u32_u24_e32 v10, 0x1c0, v35
	v_and_b32_e32 v11, 0x3c1, v0
	s_mov_b32 s0, exec_lo
	s_wait_storecnt 0x0
	s_wait_loadcnt_dscnt 0x0
	v_lshl_add_u32 v9, v8, 2, 0x1e0
	s_barrier_signal -1
	s_barrier_wait -1
	global_inv scope:SCOPE_SE
	v_dual_add_f32 v1, v44, v1 :: v_dual_add_f32 v2, v46, v2
	v_dual_add_f32 v3, v45, v3 :: v_dual_add_f32 v4, v43, v4
	;; [unrolled: 1-line block ×3, first 2 shown]
	v_add_f32_e32 v7, v40, v7
	v_cmpx_eq_u32_e32 64, v11
	s_cbranch_execz .LBB22_50
; %bb.49:
	v_add_nc_u32_e32 v11, v9, v10
	s_delay_alu instid0(VALU_DEP_1)
	v_add_nc_u32_e32 v12, 0xfffffc80, v11
	v_add_nc_u32_e32 v13, 0xfffffcc0, v11
	;; [unrolled: 1-line block ×7, first 2 shown]
	ds_store_b32 v12, v1
	ds_store_b32 v13, v2
	;; [unrolled: 1-line block ×7, first 2 shown]
.LBB22_50:
	s_wait_alu 0xfffe
	s_or_b32 exec_lo, exec_lo, s0
	v_lshlrev_b32_e32 v8, 2, v8
	s_mov_b32 s1, exec_lo
	v_cmp_eq_u32_e32 vcc_lo, 0, v39
	s_wait_loadcnt_dscnt 0x0
	s_barrier_signal -1
	v_add3_u32 v8, 0x1e0, v10, v8
	s_barrier_wait -1
	global_inv scope:SCOPE_SE
	v_cmpx_gt_u32_e32 64, v0
	s_cbranch_execz .LBB22_60
; %bb.51:
	s_and_saveexec_b32 s0, vcc_lo
	s_cbranch_execnz .LBB22_75
; %bb.52:
	s_wait_alu 0xfffe
	s_or_b32 exec_lo, exec_lo, s0
	s_and_saveexec_b32 s0, vcc_lo
	s_cbranch_execnz .LBB22_76
.LBB22_53:
	s_wait_alu 0xfffe
	s_or_b32 exec_lo, exec_lo, s0
	s_and_saveexec_b32 s0, vcc_lo
	s_cbranch_execnz .LBB22_77
.LBB22_54:
	s_wait_alu 0xfffe
	s_or_b32 exec_lo, exec_lo, s0
	s_and_saveexec_b32 s0, vcc_lo
	s_cbranch_execnz .LBB22_78
.LBB22_55:
	s_wait_alu 0xfffe
	s_or_b32 exec_lo, exec_lo, s0
	s_and_saveexec_b32 s0, vcc_lo
	s_cbranch_execnz .LBB22_79
.LBB22_56:
	s_wait_alu 0xfffe
	s_or_b32 exec_lo, exec_lo, s0
	s_and_saveexec_b32 s0, vcc_lo
	s_cbranch_execnz .LBB22_80
.LBB22_57:
	s_wait_alu 0xfffe
	s_or_b32 exec_lo, exec_lo, s0
	s_and_saveexec_b32 s0, vcc_lo
	s_cbranch_execz .LBB22_59
.LBB22_58:
	ds_load_b32 v10, v8 offset:384
	s_wait_dscnt 0x0
	v_add_f32_e32 v7, v7, v10
.LBB22_59:
	s_wait_alu 0xfffe
	s_or_b32 exec_lo, exec_lo, s0
.LBB22_60:
	s_wait_alu 0xfffe
	s_or_b32 exec_lo, exec_lo, s1
	v_and_b32_e32 v10, 0x3e1, v0
	s_mov_b32 s1, exec_lo
	s_wait_loadcnt 0x0
	s_barrier_signal -1
	s_barrier_wait -1
	global_inv scope:SCOPE_SE
	v_cmpx_eq_u32_e32 32, v10
	s_cbranch_execz .LBB22_62
; %bb.61:
	ds_store_2addr_b32 v9, v1, v2 offset1:16
	ds_store_2addr_b32 v9, v3, v4 offset0:32 offset1:48
	ds_store_2addr_b32 v9, v5, v6 offset0:64 offset1:80
	ds_store_b32 v9, v7 offset:384
.LBB22_62:
	s_wait_alu 0xfffe
	s_or_b32 exec_lo, exec_lo, s1
	s_delay_alu instid0(SALU_CYCLE_1)
	s_mov_b32 s1, exec_lo
	s_wait_loadcnt_dscnt 0x0
	s_barrier_signal -1
	s_barrier_wait -1
	global_inv scope:SCOPE_SE
	v_cmpx_gt_u32_e32 32, v0
	s_cbranch_execz .LBB22_72
; %bb.63:
	s_and_saveexec_b32 s0, vcc_lo
	s_cbranch_execnz .LBB22_81
; %bb.64:
	s_wait_alu 0xfffe
	s_or_b32 exec_lo, exec_lo, s0
	s_and_saveexec_b32 s0, vcc_lo
	s_cbranch_execnz .LBB22_82
.LBB22_65:
	s_wait_alu 0xfffe
	s_or_b32 exec_lo, exec_lo, s0
	s_and_saveexec_b32 s0, vcc_lo
	s_cbranch_execnz .LBB22_83
.LBB22_66:
	s_wait_alu 0xfffe
	s_or_b32 exec_lo, exec_lo, s0
	s_and_saveexec_b32 s0, vcc_lo
	s_cbranch_execnz .LBB22_84
.LBB22_67:
	s_wait_alu 0xfffe
	s_or_b32 exec_lo, exec_lo, s0
	s_and_saveexec_b32 s0, vcc_lo
	s_cbranch_execnz .LBB22_85
.LBB22_68:
	s_wait_alu 0xfffe
	s_or_b32 exec_lo, exec_lo, s0
	s_and_saveexec_b32 s0, vcc_lo
	s_cbranch_execnz .LBB22_86
.LBB22_69:
	s_wait_alu 0xfffe
	s_or_b32 exec_lo, exec_lo, s0
	s_and_saveexec_b32 s0, vcc_lo
	s_cbranch_execz .LBB22_71
.LBB22_70:
	ds_load_b32 v8, v8 offset:384
	s_wait_dscnt 0x0
	v_add_f32_e32 v7, v7, v8
.LBB22_71:
	s_wait_alu 0xfffe
	s_or_b32 exec_lo, exec_lo, s0
.LBB22_72:
	s_wait_alu 0xfffe
	s_or_b32 exec_lo, exec_lo, s1
	s_mov_b32 s1, 0
	s_wait_loadcnt 0x0
	s_barrier_signal -1
	s_barrier_wait -1
	global_inv scope:SCOPE_SE
	s_mov_b32 s0, exec_lo
	v_cmpx_eq_u32_e32 0, v10
	s_cbranch_execz .LBB22_74
; %bb.73:
	s_mul_i32 s2, s14, 0x70
	s_mul_i32 s4, s8, s12
	s_wait_alu 0xfffe
	s_ashr_i32 s3, s2, 31
	s_ashr_i32 s5, s4, 31
	s_wait_alu 0xfffe
	s_lshl_b64 s[2:3], s[2:3], 2
	s_lshl_b64 s[4:5], s[4:5], 2
	s_wait_alu 0xfffe
	s_add_nc_u64 s[2:3], s[10:11], s[2:3]
	v_lshlrev_b32_e32 v0, 1, v0
	s_mul_i32 s0, s24, 0x1c0
	s_wait_alu 0xfffe
	s_add_nc_u64 s[2:3], s[2:3], s[4:5]
	s_wait_alu 0xfffe
	s_add_nc_u64 s[0:1], s[2:3], s[0:1]
	s_clause 0x6
	global_store_b32 v0, v1, s[0:1]
	global_store_b32 v0, v2, s[0:1] offset:64
	global_store_b32 v0, v3, s[0:1] offset:128
	;; [unrolled: 1-line block ×6, first 2 shown]
.LBB22_74:
	s_endpgm
.LBB22_75:
	ds_load_b32 v10, v8
	s_wait_dscnt 0x0
	v_add_f32_e32 v1, v1, v10
	s_wait_alu 0xfffe
	s_or_b32 exec_lo, exec_lo, s0
	s_and_saveexec_b32 s0, vcc_lo
	s_cbranch_execz .LBB22_53
.LBB22_76:
	ds_load_b32 v10, v8 offset:64
	s_wait_dscnt 0x0
	v_add_f32_e32 v2, v2, v10
	s_wait_alu 0xfffe
	s_or_b32 exec_lo, exec_lo, s0
	s_and_saveexec_b32 s0, vcc_lo
	s_cbranch_execz .LBB22_54
.LBB22_77:
	ds_load_b32 v10, v8 offset:128
	s_wait_dscnt 0x0
	v_add_f32_e32 v3, v3, v10
	s_wait_alu 0xfffe
	s_or_b32 exec_lo, exec_lo, s0
	s_and_saveexec_b32 s0, vcc_lo
	s_cbranch_execz .LBB22_55
.LBB22_78:
	ds_load_b32 v10, v8 offset:192
	s_wait_dscnt 0x0
	v_add_f32_e32 v4, v4, v10
	s_wait_alu 0xfffe
	s_or_b32 exec_lo, exec_lo, s0
	s_and_saveexec_b32 s0, vcc_lo
	s_cbranch_execz .LBB22_56
.LBB22_79:
	ds_load_b32 v10, v8 offset:256
	s_wait_dscnt 0x0
	v_add_f32_e32 v5, v5, v10
	s_wait_alu 0xfffe
	s_or_b32 exec_lo, exec_lo, s0
	s_and_saveexec_b32 s0, vcc_lo
	s_cbranch_execz .LBB22_57
.LBB22_80:
	ds_load_b32 v10, v8 offset:320
	s_wait_dscnt 0x0
	v_add_f32_e32 v6, v6, v10
	s_wait_alu 0xfffe
	s_or_b32 exec_lo, exec_lo, s0
	s_and_saveexec_b32 s0, vcc_lo
	s_cbranch_execnz .LBB22_58
	s_branch .LBB22_59
.LBB22_81:
	ds_load_b32 v9, v8
	s_wait_dscnt 0x0
	v_add_f32_e32 v1, v1, v9
	s_wait_alu 0xfffe
	s_or_b32 exec_lo, exec_lo, s0
	s_and_saveexec_b32 s0, vcc_lo
	s_cbranch_execz .LBB22_65
.LBB22_82:
	ds_load_b32 v9, v8 offset:64
	s_wait_dscnt 0x0
	v_add_f32_e32 v2, v2, v9
	s_wait_alu 0xfffe
	s_or_b32 exec_lo, exec_lo, s0
	s_and_saveexec_b32 s0, vcc_lo
	s_cbranch_execz .LBB22_66
.LBB22_83:
	ds_load_b32 v9, v8 offset:128
	s_wait_dscnt 0x0
	v_add_f32_e32 v3, v3, v9
	s_wait_alu 0xfffe
	s_or_b32 exec_lo, exec_lo, s0
	s_and_saveexec_b32 s0, vcc_lo
	s_cbranch_execz .LBB22_67
.LBB22_84:
	ds_load_b32 v9, v8 offset:192
	s_wait_dscnt 0x0
	v_add_f32_e32 v4, v4, v9
	s_wait_alu 0xfffe
	s_or_b32 exec_lo, exec_lo, s0
	s_and_saveexec_b32 s0, vcc_lo
	s_cbranch_execz .LBB22_68
.LBB22_85:
	ds_load_b32 v9, v8 offset:256
	s_wait_dscnt 0x0
	v_add_f32_e32 v5, v5, v9
	s_wait_alu 0xfffe
	s_or_b32 exec_lo, exec_lo, s0
	s_and_saveexec_b32 s0, vcc_lo
	s_cbranch_execz .LBB22_69
.LBB22_86:
	ds_load_b32 v9, v8 offset:320
	s_wait_dscnt 0x0
	v_add_f32_e32 v6, v6, v9
	s_wait_alu 0xfffe
	s_or_b32 exec_lo, exec_lo, s0
	s_and_saveexec_b32 s0, vcc_lo
	s_cbranch_execnz .LBB22_70
	s_branch .LBB22_71
	.section	.rodata,"a",@progbits
	.p2align	6, 0x0
	.amdhsa_kernel _ZN4vllm25paged_attention_v2_kernelIffLi112ELi8ELi128ELNS_18Fp8KVCacheDataTypeE0ELb0ELi512EEEvPfS2_PT_PKS3_PKT0_S9_ifPKiSB_iPKfiiiSD_SD_iiiii
		.amdhsa_group_segment_fixed_size 480
		.amdhsa_private_segment_fixed_size 0
		.amdhsa_kernarg_size 400
		.amdhsa_user_sgpr_count 2
		.amdhsa_user_sgpr_dispatch_ptr 0
		.amdhsa_user_sgpr_queue_ptr 0
		.amdhsa_user_sgpr_kernarg_segment_ptr 1
		.amdhsa_user_sgpr_dispatch_id 0
		.amdhsa_user_sgpr_private_segment_size 0
		.amdhsa_wavefront_size32 1
		.amdhsa_uses_dynamic_stack 0
		.amdhsa_enable_private_segment 0
		.amdhsa_system_sgpr_workgroup_id_x 1
		.amdhsa_system_sgpr_workgroup_id_y 1
		.amdhsa_system_sgpr_workgroup_id_z 1
		.amdhsa_system_sgpr_workgroup_info 0
		.amdhsa_system_vgpr_workitem_id 0
		.amdhsa_next_free_vgpr 75
		.amdhsa_next_free_sgpr 32
		.amdhsa_reserve_vcc 1
		.amdhsa_float_round_mode_32 0
		.amdhsa_float_round_mode_16_64 0
		.amdhsa_float_denorm_mode_32 3
		.amdhsa_float_denorm_mode_16_64 3
		.amdhsa_fp16_overflow 0
		.amdhsa_workgroup_processor_mode 1
		.amdhsa_memory_ordered 1
		.amdhsa_forward_progress 1
		.amdhsa_inst_pref_size 47
		.amdhsa_round_robin_scheduling 0
		.amdhsa_exception_fp_ieee_invalid_op 0
		.amdhsa_exception_fp_denorm_src 0
		.amdhsa_exception_fp_ieee_div_zero 0
		.amdhsa_exception_fp_ieee_overflow 0
		.amdhsa_exception_fp_ieee_underflow 0
		.amdhsa_exception_fp_ieee_inexact 0
		.amdhsa_exception_int_div_zero 0
	.end_amdhsa_kernel
	.section	.text._ZN4vllm25paged_attention_v2_kernelIffLi112ELi8ELi128ELNS_18Fp8KVCacheDataTypeE0ELb0ELi512EEEvPfS2_PT_PKS3_PKT0_S9_ifPKiSB_iPKfiiiSD_SD_iiiii,"axG",@progbits,_ZN4vllm25paged_attention_v2_kernelIffLi112ELi8ELi128ELNS_18Fp8KVCacheDataTypeE0ELb0ELi512EEEvPfS2_PT_PKS3_PKT0_S9_ifPKiSB_iPKfiiiSD_SD_iiiii,comdat
.Lfunc_end22:
	.size	_ZN4vllm25paged_attention_v2_kernelIffLi112ELi8ELi128ELNS_18Fp8KVCacheDataTypeE0ELb0ELi512EEEvPfS2_PT_PKS3_PKT0_S9_ifPKiSB_iPKfiiiSD_SD_iiiii, .Lfunc_end22-_ZN4vllm25paged_attention_v2_kernelIffLi112ELi8ELi128ELNS_18Fp8KVCacheDataTypeE0ELb0ELi512EEEvPfS2_PT_PKS3_PKT0_S9_ifPKiSB_iPKfiiiSD_SD_iiiii
                                        ; -- End function
	.set _ZN4vllm25paged_attention_v2_kernelIffLi112ELi8ELi128ELNS_18Fp8KVCacheDataTypeE0ELb0ELi512EEEvPfS2_PT_PKS3_PKT0_S9_ifPKiSB_iPKfiiiSD_SD_iiiii.num_vgpr, 75
	.set _ZN4vllm25paged_attention_v2_kernelIffLi112ELi8ELi128ELNS_18Fp8KVCacheDataTypeE0ELb0ELi512EEEvPfS2_PT_PKS3_PKT0_S9_ifPKiSB_iPKfiiiSD_SD_iiiii.num_agpr, 0
	.set _ZN4vllm25paged_attention_v2_kernelIffLi112ELi8ELi128ELNS_18Fp8KVCacheDataTypeE0ELb0ELi512EEEvPfS2_PT_PKS3_PKT0_S9_ifPKiSB_iPKfiiiSD_SD_iiiii.numbered_sgpr, 32
	.set _ZN4vllm25paged_attention_v2_kernelIffLi112ELi8ELi128ELNS_18Fp8KVCacheDataTypeE0ELb0ELi512EEEvPfS2_PT_PKS3_PKT0_S9_ifPKiSB_iPKfiiiSD_SD_iiiii.num_named_barrier, 0
	.set _ZN4vllm25paged_attention_v2_kernelIffLi112ELi8ELi128ELNS_18Fp8KVCacheDataTypeE0ELb0ELi512EEEvPfS2_PT_PKS3_PKT0_S9_ifPKiSB_iPKfiiiSD_SD_iiiii.private_seg_size, 0
	.set _ZN4vllm25paged_attention_v2_kernelIffLi112ELi8ELi128ELNS_18Fp8KVCacheDataTypeE0ELb0ELi512EEEvPfS2_PT_PKS3_PKT0_S9_ifPKiSB_iPKfiiiSD_SD_iiiii.uses_vcc, 1
	.set _ZN4vllm25paged_attention_v2_kernelIffLi112ELi8ELi128ELNS_18Fp8KVCacheDataTypeE0ELb0ELi512EEEvPfS2_PT_PKS3_PKT0_S9_ifPKiSB_iPKfiiiSD_SD_iiiii.uses_flat_scratch, 0
	.set _ZN4vllm25paged_attention_v2_kernelIffLi112ELi8ELi128ELNS_18Fp8KVCacheDataTypeE0ELb0ELi512EEEvPfS2_PT_PKS3_PKT0_S9_ifPKiSB_iPKfiiiSD_SD_iiiii.has_dyn_sized_stack, 0
	.set _ZN4vllm25paged_attention_v2_kernelIffLi112ELi8ELi128ELNS_18Fp8KVCacheDataTypeE0ELb0ELi512EEEvPfS2_PT_PKS3_PKT0_S9_ifPKiSB_iPKfiiiSD_SD_iiiii.has_recursion, 0
	.set _ZN4vllm25paged_attention_v2_kernelIffLi112ELi8ELi128ELNS_18Fp8KVCacheDataTypeE0ELb0ELi512EEEvPfS2_PT_PKS3_PKT0_S9_ifPKiSB_iPKfiiiSD_SD_iiiii.has_indirect_call, 0
	.section	.AMDGPU.csdata,"",@progbits
; Kernel info:
; codeLenInByte = 5928
; TotalNumSgprs: 34
; NumVgprs: 75
; ScratchSize: 0
; MemoryBound: 0
; FloatMode: 240
; IeeeMode: 1
; LDSByteSize: 480 bytes/workgroup (compile time only)
; SGPRBlocks: 0
; VGPRBlocks: 9
; NumSGPRsForWavesPerEU: 34
; NumVGPRsForWavesPerEU: 75
; Occupancy: 16
; WaveLimiterHint : 1
; COMPUTE_PGM_RSRC2:SCRATCH_EN: 0
; COMPUTE_PGM_RSRC2:USER_SGPR: 2
; COMPUTE_PGM_RSRC2:TRAP_HANDLER: 0
; COMPUTE_PGM_RSRC2:TGID_X_EN: 1
; COMPUTE_PGM_RSRC2:TGID_Y_EN: 1
; COMPUTE_PGM_RSRC2:TGID_Z_EN: 1
; COMPUTE_PGM_RSRC2:TIDIG_COMP_CNT: 0
	.section	.text._ZN4vllm25paged_attention_v2_kernelIffLi120ELi8ELi128ELNS_18Fp8KVCacheDataTypeE0ELb0ELi512EEEvPfS2_PT_PKS3_PKT0_S9_ifPKiSB_iPKfiiiSD_SD_iiiii,"axG",@progbits,_ZN4vllm25paged_attention_v2_kernelIffLi120ELi8ELi128ELNS_18Fp8KVCacheDataTypeE0ELb0ELi512EEEvPfS2_PT_PKS3_PKT0_S9_ifPKiSB_iPKfiiiSD_SD_iiiii,comdat
	.protected	_ZN4vllm25paged_attention_v2_kernelIffLi120ELi8ELi128ELNS_18Fp8KVCacheDataTypeE0ELb0ELi512EEEvPfS2_PT_PKS3_PKT0_S9_ifPKiSB_iPKfiiiSD_SD_iiiii ; -- Begin function _ZN4vllm25paged_attention_v2_kernelIffLi120ELi8ELi128ELNS_18Fp8KVCacheDataTypeE0ELb0ELi512EEEvPfS2_PT_PKS3_PKT0_S9_ifPKiSB_iPKfiiiSD_SD_iiiii
	.globl	_ZN4vllm25paged_attention_v2_kernelIffLi120ELi8ELi128ELNS_18Fp8KVCacheDataTypeE0ELb0ELi512EEEvPfS2_PT_PKS3_PKT0_S9_ifPKiSB_iPKfiiiSD_SD_iiiii
	.p2align	8
	.type	_ZN4vllm25paged_attention_v2_kernelIffLi120ELi8ELi128ELNS_18Fp8KVCacheDataTypeE0ELb0ELi512EEEvPfS2_PT_PKS3_PKT0_S9_ifPKiSB_iPKfiiiSD_SD_iiiii,@function
_ZN4vllm25paged_attention_v2_kernelIffLi120ELi8ELi128ELNS_18Fp8KVCacheDataTypeE0ELb0ELi512EEEvPfS2_PT_PKS3_PKT0_S9_ifPKiSB_iPKfiiiSD_SD_iiiii: ; @_ZN4vllm25paged_attention_v2_kernelIffLi120ELi8ELi128ELNS_18Fp8KVCacheDataTypeE0ELb0ELi512EEEvPfS2_PT_PKS3_PKT0_S9_ifPKiSB_iPKfiiiSD_SD_iiiii
; %bb.0:
	s_load_b64 s[2:3], s[0:1], 0x40
	s_and_b32 s14, ttmp7, 0xffff
	s_lshr_b32 s24, ttmp7, 16
	s_lshl_b32 s4, s14, 2
	s_lshl_b32 s26, s24, 9
	s_wait_kmcnt 0x0
	s_load_b32 s25, s[2:3], s4 offset:0x0
	s_wait_kmcnt 0x0
	s_cmp_ge_i32 s26, s25
	s_cbranch_scc1 .LBB23_93
; %bb.1:
	s_clause 0x1
	s_load_b32 s15, s[0:1], 0x90
	s_load_b64 s[6:7], s[0:1], 0x30
	s_wait_kmcnt 0x0
	s_abs_i32 s5, s15
	s_abs_i32 s2, s6
	s_delay_alu instid0(SALU_CYCLE_1) | instskip(SKIP_1) | instid1(SALU_CYCLE_2)
	s_cvt_f32_u32 s3, s2
	s_sub_co_i32 s4, 0, s2
	v_rcp_iflag_f32_e32 v1, s3
	s_delay_alu instid0(TRANS32_DEP_1) | instskip(SKIP_2) | instid1(SALU_CYCLE_2)
	v_readfirstlane_b32 s3, v1
	s_mul_f32 s3, s3, 0x4f7ffffe
	s_wait_alu 0xfffe
	s_cvt_u32_f32 s3, s3
	s_wait_alu 0xfffe
	s_delay_alu instid0(SALU_CYCLE_2) | instskip(NEXT) | instid1(SALU_CYCLE_1)
	s_mul_i32 s4, s4, s3
	s_mul_hi_u32 s4, s3, s4
	s_delay_alu instid0(SALU_CYCLE_1)
	s_add_co_i32 s3, s3, s4
	s_xor_b32 s4, s15, s6
	s_wait_alu 0xfffe
	s_mul_hi_u32 s3, s5, s3
	s_ashr_i32 s4, s4, 31
	s_wait_alu 0xfffe
	s_mul_i32 s6, s3, s2
	s_delay_alu instid0(SALU_CYCLE_1)
	s_sub_co_i32 s5, s5, s6
	s_add_co_i32 s6, s3, 1
	s_sub_co_i32 s8, s5, s2
	s_cmp_ge_u32 s5, s2
	s_cselect_b32 s3, s6, s3
	s_cselect_b32 s5, s8, s5
	s_wait_alu 0xfffe
	s_add_co_i32 s6, s3, 1
	s_cmp_ge_u32 s5, s2
	s_load_b64 s[8:9], s[0:1], 0x50
	s_cselect_b32 s2, s6, s3
	s_mov_b32 s3, 0
	s_wait_alu 0xfffe
	s_xor_b32 s2, s2, s4
	s_mov_b32 s6, s3
	s_wait_alu 0xfffe
	s_sub_co_i32 s12, s2, s4
	s_delay_alu instid0(SALU_CYCLE_1) | instskip(NEXT) | instid1(SALU_CYCLE_1)
	s_abs_i32 s11, s12
	s_cvt_f32_u32 s2, s11
	s_wait_alu 0xfffe
	s_delay_alu instid0(SALU_CYCLE_2) | instskip(NEXT) | instid1(TRANS32_DEP_1)
	v_rcp_iflag_f32_e32 v1, s2
	v_readfirstlane_b32 s2, v1
	s_mul_f32 s2, s2, 0x4f7ffffe
	s_wait_alu 0xfffe
	s_delay_alu instid0(SALU_CYCLE_2) | instskip(SKIP_2) | instid1(SALU_CYCLE_1)
	s_cvt_u32_f32 s4, s2
	s_sub_co_i32 s2, 0, s11
	s_wait_alu 0xfffe
	s_mul_i32 s2, s2, s4
	s_wait_alu 0xfffe
	s_mul_hi_u32 s5, s4, s2
	s_abs_i32 s2, ttmp9
	s_add_co_i32 s4, s4, s5
	s_mov_b32 s5, s3
	s_wait_kmcnt 0x0
	s_cmp_eq_u64 s[8:9], 0
	s_cbranch_scc1 .LBB23_3
; %bb.2:
	s_mov_b32 s16, ttmp9
	s_ashr_i32 s17, ttmp9, 31
	s_delay_alu instid0(SALU_CYCLE_1) | instskip(NEXT) | instid1(SALU_CYCLE_1)
	s_lshl_b64 s[16:17], s[16:17], 2
	s_add_nc_u64 s[8:9], s[8:9], s[16:17]
	s_load_b32 s6, s[8:9], 0x0
.LBB23_3:
	s_load_b96 s[8:10], s[0:1], 0x58
	v_and_b32_e32 v31, 3, v0
	v_lshlrev_b32_e32 v33, 2, v0
	s_mul_u64 s[4:5], s[2:3], s[4:5]
	s_ashr_i32 s3, ttmp9, 31
	s_ashr_i32 s4, s12, 31
	s_mul_i32 s12, ttmp9, 0x78
	s_mov_b32 s16, exec_lo
	v_cmpx_gt_u32_e32 0x78, v0
	s_cbranch_execz .LBB23_5
; %bb.4:
	s_load_b64 s[18:19], s[0:1], 0x18
	s_wait_kmcnt 0x0
	s_mul_i32 s20, s8, s14
	s_ashr_i32 s13, s12, 31
	s_ashr_i32 s21, s20, 31
	v_and_b32_e32 v2, 0x3fc, v0
	s_lshl_b64 s[20:21], s[20:21], 2
	s_delay_alu instid0(VALU_DEP_1) | instskip(SKIP_2) | instid1(SALU_CYCLE_1)
	v_mad_u32_u24 v2, 0x78, v31, v2
	s_add_nc_u64 s[18:19], s[18:19], s[20:21]
	s_lshl_b64 s[20:21], s[12:13], 2
	s_add_nc_u64 s[18:19], s[18:19], s[20:21]
	global_load_b32 v1, v33, s[18:19]
	s_wait_loadcnt 0x0
	ds_store_b32 v2, v1
.LBB23_5:
	s_or_b32 exec_lo, exec_lo, s16
	s_wait_kmcnt 0x0
	s_add_co_i32 s8, s25, 7
	s_wait_alu 0xfffe
	s_xor_b32 s3, s3, s4
	s_ashr_i32 s13, s8, 31
	s_lshl_b32 s28, s24, 6
	s_lshr_b32 s4, s13, 29
	s_mul_i32 s13, s5, s11
	s_add_co_i32 s8, s8, s4
	s_add_co_i32 s4, s28, 64
	s_ashr_i32 s27, s8, 3
	s_sub_co_i32 s2, s2, s13
	s_min_i32 s13, s4, s27
	s_load_b32 s4, s[0:1], 0x48
	s_add_co_i32 s8, s5, 1
	s_sub_co_i32 s16, s2, s11
	s_cmp_ge_u32 s2, s11
	v_lshrrev_b32_e32 v39, 5, v0
	s_cselect_b32 s5, s8, s5
	s_cselect_b32 s2, s16, s2
	s_add_co_i32 s8, s5, 1
	s_wait_alu 0xfffe
	s_cmp_ge_u32 s2, s11
	v_or_b32_e32 v40, s28, v39
	s_cselect_b32 s2, s8, s5
	v_mbcnt_lo_u32_b32 v35, -1, 0
	s_wait_alu 0xfffe
	s_xor_b32 s2, s2, s3
	s_wait_dscnt 0x0
	s_wait_alu 0xfffe
	s_sub_co_i32 s3, s2, s3
	v_cmp_le_i32_e64 s2, s13, v40
	s_barrier_signal -1
	s_barrier_wait -1
	global_inv scope:SCOPE_SE
                                        ; implicit-def: $vgpr36
                                        ; implicit-def: $vgpr37
	s_wait_kmcnt 0x0
	s_mul_i32 s16, s4, s14
	s_delay_alu instid0(SALU_CYCLE_1) | instskip(SKIP_1) | instid1(SALU_CYCLE_1)
	s_ashr_i32 s17, s16, 31
	s_and_saveexec_b32 s4, s2
	s_xor_b32 s4, exec_lo, s4
; %bb.6:
	v_dual_mov_b32 v36, 0 :: v_dual_mov_b32 v37, 32
	v_mbcnt_lo_u32_b32 v35, -1, 0
                                        ; implicit-def: $vgpr31
; %bb.7:
	s_or_saveexec_b32 s11, s4
	s_clause 0x1
	s_load_b64 s[18:19], s[0:1], 0x38
	s_load_b32 s8, s[0:1], 0x98
	v_mov_b32_e32 v38, 0xff7fffff
	v_lshlrev_b32_e32 v34, 2, v40
	s_mul_i32 s20, s3, s10
	s_xor_b32 exec_lo, exec_lo, s11
	s_cbranch_execz .LBB23_13
; %bb.8:
	s_load_b64 s[4:5], s[0:1], 0x20
	v_bfe_u32 v32, v0, 2, 3
	s_ashr_i32 s21, s20, 31
	v_xor_b32_e32 v26, 2, v35
	v_xor_b32_e32 v37, 1, v35
	s_lshl_b64 s[22:23], s[20:21], 2
	v_lshlrev_b32_e32 v27, 4, v32
	v_mul_u32_u24_e32 v29, 0x78, v31
	v_dual_mov_b32 v36, 0 :: v_dual_lshlrev_b32 v25, 2, v31
	v_cmp_gt_i32_e32 vcc_lo, 32, v26
	ds_load_2addr_b64 v[1:4], v29 offset1:1
	ds_load_2addr_b64 v[5:8], v29 offset0:2 offset1:3
	ds_load_2addr_b64 v[9:12], v29 offset0:4 offset1:5
	;; [unrolled: 1-line block ×5, first 2 shown]
	v_lshlrev_b32_e32 v38, 2, v32
	s_cmp_neq_f32 s6, 0
	v_cndmask_b32_e32 v43, v35, v26, vcc_lo
	v_lshlrev_b32_e32 v45, 3, v39
	v_mov_b32_e32 v47, v40
	v_lshl_or_b32 v38, v39, 5, v38
	s_mov_b32 s21, s9
	s_wait_kmcnt 0x0
	s_add_nc_u64 s[4:5], s[4:5], s[22:23]
	v_lshlrev_b32_e32 v43, 2, v43
	v_add_co_u32 v27, s3, s4, v27
	s_wait_alu 0xf1ff
	v_add_co_ci_u32_e64 v28, null, s5, 0, s3
	s_cselect_b32 s3, -1, 0
	v_add_co_u32 v41, vcc_lo, v27, v25
	s_wait_alu 0xfffd
	v_add_co_ci_u32_e64 v42, null, 0, v28, vcc_lo
	ds_load_2addr_b64 v[25:28], v29 offset0:12 offset1:13
	ds_load_b64 v[29:30], v29 offset:112
	v_cmp_gt_i32_e32 vcc_lo, 32, v37
	s_lshl_b64 s[4:5], s[16:17], 2
	v_add3_u32 v45, s26, v45, v32
	s_wait_alu 0xfffe
	s_add_nc_u64 s[4:5], s[18:19], s[4:5]
	v_add_nc_u32_e32 v46, 0x200, v38
	s_wait_alu 0xfffd
	v_cndmask_b32_e32 v44, v35, v37, vcc_lo
	v_cmp_eq_u32_e32 vcc_lo, 0, v31
	s_wait_alu 0xfffe
	v_add_co_u32 v31, s4, s4, v34
	s_delay_alu instid0(VALU_DEP_3)
	v_dual_mov_b32 v37, 32 :: v_dual_lshlrev_b32 v44, 2, v44
	s_wait_alu 0xf1ff
	v_add_co_ci_u32_e64 v32, null, s5, 0, s4
	v_mov_b32_e32 v38, 0xff7fffff
	s_mov_b32 s10, 0
	s_sub_co_i32 s22, 1, s25
	s_branch .LBB23_10
.LBB23_9:                               ;   in Loop: Header=BB23_10 Depth=1
	s_wait_alu 0xfffe
	s_or_b32 exec_lo, exec_lo, s5
	v_add_nc_u32_e32 v47, 4, v47
	v_add_co_u32 v31, s5, v31, 16
	v_add_nc_u32_e32 v45, 32, v45
	v_add_nc_u32_e32 v46, 0x80, v46
	s_delay_alu instid0(VALU_DEP_4) | instskip(SKIP_3) | instid1(SALU_CYCLE_1)
	v_cmp_le_i32_e64 s4, s13, v47
	s_wait_alu 0xf1ff
	v_add_co_ci_u32_e64 v32, null, 0, v32, s5
	s_or_b32 s10, s4, s10
	s_and_not1_b32 exec_lo, exec_lo, s10
	s_cbranch_execz .LBB23_12
.LBB23_10:                              ; =>This Inner Loop Header: Depth=1
	global_load_b32 v48, v[31:32], off
	s_wait_loadcnt_dscnt 0x0
	v_mad_co_i64_i32 v[48:49], null, v48, s21, 0
	s_delay_alu instid0(VALU_DEP_1) | instskip(NEXT) | instid1(VALU_DEP_1)
	v_lshlrev_b64_e32 v[48:49], 2, v[48:49]
	v_add_co_u32 v48, s4, v41, v48
	s_wait_alu 0xf1ff
	s_delay_alu instid0(VALU_DEP_2)
	v_add_co_ci_u32_e64 v49, null, v42, v49, s4
	s_clause 0x1d
	global_load_b32 v50, v[48:49], off offset:128
	global_load_b32 v51, v[48:49], off
	global_load_b32 v52, v[48:49], off offset:256
	global_load_b32 v53, v[48:49], off offset:384
	;; [unrolled: 1-line block ×28, first 2 shown]
	s_wait_loadcnt_dscnt 0x1d07
	v_mul_f32_e32 v49, v2, v50
	s_wait_loadcnt 0x1c
	s_delay_alu instid0(VALU_DEP_1) | instskip(SKIP_1) | instid1(VALU_DEP_1)
	v_fmac_f32_e32 v49, v1, v51
	s_wait_loadcnt 0x1b
	v_fmac_f32_e32 v49, v3, v52
	s_wait_loadcnt 0x1a
	s_delay_alu instid0(VALU_DEP_1) | instskip(SKIP_1) | instid1(VALU_DEP_1)
	v_fmac_f32_e32 v49, v4, v53
	s_wait_loadcnt_dscnt 0x1906
	v_fmac_f32_e32 v49, v5, v54
	s_wait_loadcnt 0x18
	s_delay_alu instid0(VALU_DEP_1) | instskip(SKIP_1) | instid1(VALU_DEP_1)
	v_fmac_f32_e32 v49, v6, v55
	s_wait_loadcnt 0x17
	v_fmac_f32_e32 v49, v7, v56
	s_wait_loadcnt 0x16
	s_delay_alu instid0(VALU_DEP_1) | instskip(SKIP_1) | instid1(VALU_DEP_1)
	v_fmac_f32_e32 v49, v8, v57
	s_wait_loadcnt_dscnt 0x1505
	v_fmac_f32_e32 v49, v9, v58
	s_wait_loadcnt 0x14
	s_delay_alu instid0(VALU_DEP_1) | instskip(SKIP_1) | instid1(VALU_DEP_1)
	v_fmac_f32_e32 v49, v10, v59
	s_wait_loadcnt 0x13
	v_fmac_f32_e32 v49, v11, v60
	s_wait_loadcnt 0x12
	s_delay_alu instid0(VALU_DEP_1) | instskip(SKIP_1) | instid1(VALU_DEP_1)
	v_fmac_f32_e32 v49, v12, v61
	s_wait_loadcnt_dscnt 0x1104
	v_fmac_f32_e32 v49, v13, v62
	s_wait_loadcnt 0x10
	s_delay_alu instid0(VALU_DEP_1) | instskip(SKIP_1) | instid1(VALU_DEP_1)
	v_fmac_f32_e32 v49, v14, v63
	s_wait_loadcnt 0xf
	v_fmac_f32_e32 v49, v15, v64
	s_wait_loadcnt 0xe
	s_delay_alu instid0(VALU_DEP_1) | instskip(SKIP_1) | instid1(VALU_DEP_1)
	v_fmac_f32_e32 v49, v16, v65
	s_wait_loadcnt_dscnt 0xd03
	v_fmac_f32_e32 v49, v17, v66
	s_wait_loadcnt 0xc
	s_delay_alu instid0(VALU_DEP_1) | instskip(SKIP_1) | instid1(VALU_DEP_1)
	v_fmac_f32_e32 v49, v18, v67
	s_wait_loadcnt 0xb
	v_fmac_f32_e32 v49, v19, v68
	s_wait_loadcnt 0xa
	s_delay_alu instid0(VALU_DEP_1) | instskip(SKIP_1) | instid1(VALU_DEP_1)
	v_fmac_f32_e32 v49, v20, v69
	s_wait_loadcnt_dscnt 0x902
	v_fmac_f32_e32 v49, v21, v70
	s_wait_loadcnt 0x8
	s_delay_alu instid0(VALU_DEP_1) | instskip(SKIP_1) | instid1(VALU_DEP_1)
	v_fmac_f32_e32 v49, v22, v71
	s_wait_loadcnt 0x7
	v_fmac_f32_e32 v49, v23, v72
	s_wait_loadcnt 0x6
	s_delay_alu instid0(VALU_DEP_1) | instskip(SKIP_1) | instid1(VALU_DEP_1)
	v_fmac_f32_e32 v49, v24, v73
	s_wait_loadcnt_dscnt 0x501
	v_fmac_f32_e32 v49, v25, v74
	s_wait_loadcnt 0x4
	s_delay_alu instid0(VALU_DEP_1) | instskip(SKIP_1) | instid1(VALU_DEP_1)
	v_fmac_f32_e32 v49, v26, v75
	s_wait_loadcnt 0x3
	v_fmac_f32_e32 v49, v27, v76
	s_wait_loadcnt 0x2
	s_delay_alu instid0(VALU_DEP_1) | instskip(SKIP_1) | instid1(VALU_DEP_1)
	v_fmac_f32_e32 v49, v28, v77
	s_wait_loadcnt_dscnt 0x100
	v_fmac_f32_e32 v49, v29, v78
	s_wait_loadcnt 0x0
	s_delay_alu instid0(VALU_DEP_1)
	v_fmac_f32_e32 v49, v30, v48
	ds_bpermute_b32 v48, v43, v49
	s_wait_dscnt 0x0
	v_add_f32_e32 v48, v49, v48
	ds_bpermute_b32 v49, v44, v48
	s_and_saveexec_b32 s5, vcc_lo
	s_cbranch_execz .LBB23_9
; %bb.11:                               ;   in Loop: Header=BB23_10 Depth=1
	s_wait_dscnt 0x0
	v_add_f32_e32 v48, v48, v49
	v_add_nc_u32_e32 v50, s22, v45
	v_cmp_gt_i32_e64 s4, s25, v45
	s_delay_alu instid0(VALU_DEP_2) | instskip(NEXT) | instid1(VALU_DEP_1)
	v_cvt_f32_i32_e32 v50, v50
	v_mul_f32_e32 v50, s6, v50
	s_delay_alu instid0(VALU_DEP_1) | instskip(NEXT) | instid1(VALU_DEP_1)
	v_cndmask_b32_e64 v49, 0, v50, s3
	v_dual_max_num_f32 v50, v38, v38 :: v_dual_fmac_f32 v49, s7, v48
	s_delay_alu instid0(VALU_DEP_1) | instskip(SKIP_2) | instid1(VALU_DEP_2)
	v_max_num_f32_e32 v48, v50, v49
	s_wait_alu 0xf1ff
	v_cndmask_b32_e64 v49, 0, v49, s4
	v_cndmask_b32_e64 v38, v38, v48, s4
	ds_store_b32 v46, v49
	s_branch .LBB23_9
.LBB23_12:
	s_or_b32 exec_lo, exec_lo, s10
.LBB23_13:
	s_delay_alu instid0(SALU_CYCLE_1)
	s_or_b32 exec_lo, exec_lo, s11
	v_xor_b32_e32 v1, 16, v35
	v_xor_b32_e32 v2, 8, v35
	s_clause 0x2
	s_load_b128 s[4:7], s[0:1], 0x0
	s_load_b64 s[10:11], s[0:1], 0x10
	s_load_b64 s[22:23], s[0:1], 0x28
	v_lshlrev_b32_e32 v6, 2, v39
	v_max_num_f32_e32 v4, v38, v38
	v_cmp_lt_i32_e32 vcc_lo, v1, v37
	s_wait_alu 0xfffd
	v_cndmask_b32_e32 v1, v35, v1, vcc_lo
	v_cmp_lt_i32_e32 vcc_lo, v2, v37
	s_wait_alu 0xfffd
	s_delay_alu instid0(VALU_DEP_2) | instskip(SKIP_3) | instid1(VALU_DEP_1)
	v_dual_cndmask_b32 v2, v35, v2 :: v_dual_lshlrev_b32 v3, 2, v1
	ds_bpermute_b32 v1, v3, v38
	s_wait_dscnt 0x0
	v_max_num_f32_e32 v1, v1, v1
	v_max_num_f32_e32 v1, v4, v1
	v_xor_b32_e32 v4, 4, v35
	s_delay_alu instid0(VALU_DEP_1) | instskip(SKIP_2) | instid1(VALU_DEP_1)
	v_cmp_lt_i32_e32 vcc_lo, v4, v37
	s_wait_alu 0xfffd
	v_dual_cndmask_b32 v4, v35, v4 :: v_dual_lshlrev_b32 v5, 2, v2
	v_lshlrev_b32_e32 v8, 2, v4
	ds_bpermute_b32 v2, v5, v1
	s_wait_dscnt 0x0
	v_max_num_f32_e32 v2, v2, v2
	s_delay_alu instid0(VALU_DEP_1)
	v_dual_max_num_f32 v2, v1, v2 :: v_dual_and_b32 v1, 31, v0
	ds_bpermute_b32 v4, v8, v2
	v_cmp_eq_u32_e32 vcc_lo, 0, v1
	s_and_saveexec_b32 s0, vcc_lo
	s_cbranch_execz .LBB23_15
; %bb.14:
	s_wait_dscnt 0x0
	v_max_num_f32_e32 v4, v4, v4
	v_max_num_f32_e32 v2, v2, v2
	s_delay_alu instid0(VALU_DEP_1)
	v_max_num_f32_e32 v2, v2, v4
	ds_store_b32 v6, v2 offset:480
.LBB23_15:
	s_or_b32 exec_lo, exec_lo, s0
	v_cmp_gt_u32_e64 s0, 4, v1
	v_dual_mov_b32 v2, 0xff7fffff :: v_dual_lshlrev_b32 v7, 2, v1
	s_wait_loadcnt_dscnt 0x0
	s_barrier_signal -1
	s_barrier_wait -1
	global_inv scope:SCOPE_SE
	s_and_saveexec_b32 s1, s0
; %bb.16:
	ds_load_b32 v2, v7 offset:480
; %bb.17:
	s_or_b32 exec_lo, exec_lo, s1
	v_xor_b32_e32 v4, 2, v35
	v_xor_b32_e32 v10, 1, v35
	s_delay_alu instid0(VALU_DEP_2) | instskip(NEXT) | instid1(VALU_DEP_1)
	v_cmp_lt_i32_e64 s1, v4, v37
	v_cndmask_b32_e64 v4, v35, v4, s1
	s_delay_alu instid0(VALU_DEP_3) | instskip(NEXT) | instid1(VALU_DEP_2)
	v_cmp_lt_i32_e64 s1, v10, v37
	v_lshlrev_b32_e32 v9, 2, v4
	s_wait_alu 0xf1ff
	s_delay_alu instid0(VALU_DEP_2)
	v_cndmask_b32_e64 v10, v35, v10, s1
	s_sub_co_i32 s1, s13, s28
	s_wait_alu 0xfffe
	s_lshl_b32 s1, s1, 3
	s_wait_dscnt 0x0
	ds_bpermute_b32 v4, v9, v2
	v_max_num_f32_e32 v2, v2, v2
	v_lshlrev_b32_e32 v42, 2, v10
	s_wait_alu 0xfffe
	s_add_co_i32 s1, s1, s26
	v_mov_b32_e32 v10, 0
	s_wait_alu 0xfffe
	s_min_i32 s1, s1, s25
	s_wait_alu 0xfffe
	s_sub_co_i32 s21, s1, s26
	s_wait_alu 0xfffe
	v_cmp_gt_i32_e64 s1, s21, v0
	s_wait_dscnt 0x0
	v_max_num_f32_e32 v4, v4, v4
	s_delay_alu instid0(VALU_DEP_1) | instskip(SKIP_3) | instid1(VALU_DEP_1)
	v_max_num_f32_e32 v2, v2, v4
	ds_bpermute_b32 v4, v42, v2
	s_wait_dscnt 0x0
	v_max_num_f32_e32 v4, v4, v4
	v_max_num_f32_e32 v2, v2, v4
	v_lshlrev_b32_e32 v4, 2, v36
	ds_bpermute_b32 v2, v4, v2
	v_lshl_add_u32 v4, v0, 2, 0x200
	s_and_saveexec_b32 s28, s1
	s_cbranch_execz .LBB23_21
; %bb.18:
	v_lshl_add_u32 v11, v0, 2, 0x200
	v_mov_b32_e32 v10, 0
	v_mov_b32_e32 v12, v0
	s_mov_b32 s29, 0
.LBB23_19:                              ; =>This Inner Loop Header: Depth=1
	ds_load_b32 v13, v11
	v_add_nc_u32_e32 v12, 0x80, v12
	s_delay_alu instid0(VALU_DEP_1) | instskip(SKIP_4) | instid1(VALU_DEP_1)
	v_cmp_le_i32_e64 s3, s21, v12
	s_wait_alu 0xfffe
	s_or_b32 s29, s3, s29
	s_wait_dscnt 0x0
	v_sub_f32_e32 v13, v13, v2
	v_mul_f32_e32 v13, 0x3fb8aa3b, v13
	s_delay_alu instid0(VALU_DEP_1)
	v_exp_f32_e32 v13, v13
	ds_store_b32 v11, v13
	v_dual_add_f32 v10, v10, v13 :: v_dual_add_nc_u32 v11, 0x200, v11
	s_wait_alu 0xfffe
	s_and_not1_b32 exec_lo, exec_lo, s29
	s_cbranch_execnz .LBB23_19
; %bb.20:
	s_or_b32 exec_lo, exec_lo, s29
.LBB23_21:
	s_wait_alu 0xfffe
	s_or_b32 exec_lo, exec_lo, s28
	ds_bpermute_b32 v3, v3, v10
	s_wait_dscnt 0x0
	v_add_f32_e32 v3, v10, v3
	ds_bpermute_b32 v5, v5, v3
	s_wait_dscnt 0x0
	v_add_f32_e32 v3, v3, v5
	;; [unrolled: 3-line block ×5, first 2 shown]
	s_and_saveexec_b32 s3, vcc_lo
; %bb.22:
	ds_store_b32 v6, v3 offset:496
; %bb.23:
	s_wait_alu 0xfffe
	s_or_b32 exec_lo, exec_lo, s3
	s_wait_loadcnt_dscnt 0x0
	s_barrier_signal -1
	s_barrier_wait -1
	global_inv scope:SCOPE_SE
	s_and_saveexec_b32 s3, s0
; %bb.24:
	ds_load_b32 v3, v7 offset:496
; %bb.25:
	s_wait_alu 0xfffe
	s_or_b32 exec_lo, exec_lo, s3
	s_wait_dscnt 0x0
	ds_bpermute_b32 v5, v9, v3
	s_wait_dscnt 0x0
	v_dual_add_f32 v3, v3, v5 :: v_dual_lshlrev_b32 v6, 2, v35
	ds_bpermute_b32 v5, v42, v3
	s_wait_dscnt 0x0
	v_add_f32_e32 v3, v3, v5
	v_and_b32_e32 v5, 0xffffff80, v6
	ds_bpermute_b32 v3, v5, v3
	s_and_saveexec_b32 s0, s1
	s_cbranch_execz .LBB23_28
; %bb.26:
	s_wait_dscnt 0x0
	v_add_f32_e32 v5, 0x358637bd, v3
	s_mov_b32 s1, 0
	s_delay_alu instid0(VALU_DEP_1) | instskip(SKIP_1) | instid1(VALU_DEP_2)
	v_div_scale_f32 v6, null, v5, v5, 1.0
	v_div_scale_f32 v9, vcc_lo, 1.0, v5, 1.0
	v_rcp_f32_e32 v7, v6
	s_delay_alu instid0(TRANS32_DEP_1) | instskip(NEXT) | instid1(VALU_DEP_1)
	v_fma_f32 v8, -v6, v7, 1.0
	v_fmac_f32_e32 v7, v8, v7
	s_delay_alu instid0(VALU_DEP_1) | instskip(NEXT) | instid1(VALU_DEP_1)
	v_mul_f32_e32 v8, v9, v7
	v_fma_f32 v10, -v6, v8, v9
	s_delay_alu instid0(VALU_DEP_1) | instskip(NEXT) | instid1(VALU_DEP_1)
	v_fmac_f32_e32 v8, v10, v7
	v_fma_f32 v6, -v6, v8, v9
	s_wait_alu 0xfffd
	s_delay_alu instid0(VALU_DEP_1) | instskip(NEXT) | instid1(VALU_DEP_1)
	v_div_fmas_f32 v6, v6, v7, v8
	v_div_fixup_f32 v5, v6, v5, 1.0
	v_mov_b32_e32 v6, v0
.LBB23_27:                              ; =>This Inner Loop Header: Depth=1
	ds_load_b32 v7, v4
	s_wait_dscnt 0x0
	v_dual_mul_f32 v7, v5, v7 :: v_dual_add_nc_u32 v6, 0x80, v6
	s_delay_alu instid0(VALU_DEP_1)
	v_cmp_le_i32_e32 vcc_lo, s21, v6
	ds_store_b32 v4, v7
	v_add_nc_u32_e32 v4, 0x200, v4
	s_wait_alu 0xfffe
	s_or_b32 s1, vcc_lo, s1
	s_wait_alu 0xfffe
	s_and_not1_b32 exec_lo, exec_lo, s1
	s_cbranch_execnz .LBB23_27
.LBB23_28:
	s_wait_alu 0xfffe
	s_or_b32 exec_lo, exec_lo, s0
	s_wait_kmcnt 0x0
	s_mul_i32 s0, s8, s14
	s_wait_loadcnt_dscnt 0x0
	s_wait_alu 0xfffe
	s_mul_i32 s14, s0, s15
	s_mov_b32 s0, exec_lo
	s_barrier_signal -1
	s_barrier_wait -1
	global_inv scope:SCOPE_SE
	v_cmpx_eq_u32_e32 0, v0
	s_cbranch_execz .LBB23_30
; %bb.29:
	s_ashr_i32 s15, s14, 31
	s_wait_alu 0xfffe
	s_mul_i32 s28, s8, ttmp9
	s_lshl_b32 s1, s24, 2
	s_lshl_b64 s[30:31], s[14:15], 2
	s_wait_alu 0xfffe
	s_ashr_i32 s29, s28, 31
	v_mov_b32_e32 v4, s1
	s_add_nc_u64 s[6:7], s[6:7], s[30:31]
	s_wait_alu 0xfffe
	s_lshl_b64 s[28:29], s[28:29], 2
	s_add_nc_u64 s[4:5], s[4:5], s[30:31]
	s_wait_alu 0xfffe
	s_add_nc_u64 s[6:7], s[6:7], s[28:29]
	s_add_nc_u64 s[4:5], s[4:5], s[28:29]
	s_clause 0x1
	global_store_b32 v4, v2, s[6:7]
	global_store_b32 v4, v3, s[4:5]
.LBB23_30:
	s_wait_alu 0xfffe
	s_or_b32 exec_lo, exec_lo, s0
	v_lshrrev_b32_e32 v41, 1, v1
	s_and_saveexec_b32 s0, s2
	s_wait_alu 0xfffe
	s_xor_b32 s0, exec_lo, s0
; %bb.31:
	v_lshrrev_b32_e32 v41, 1, v1
                                        ; implicit-def: $vgpr40
                                        ; implicit-def: $vgpr33
                                        ; implicit-def: $vgpr34
; %bb.32:
	s_wait_alu 0xfffe
	s_or_saveexec_b32 s4, s0
	v_dual_mov_b32 v49, 0 :: v_dual_mov_b32 v50, 0
	v_dual_mov_b32 v48, 0 :: v_dual_and_b32 v43, 1, v0
	v_dual_mov_b32 v51, 0 :: v_dual_mov_b32 v46, 0
	v_dual_mov_b32 v47, 0 :: v_dual_mov_b32 v44, 0
	v_mov_b32_e32 v45, 0
	s_wait_alu 0xfffe
	s_xor_b32 exec_lo, exec_lo, s4
	s_cbranch_execz .LBB23_54
; %bb.33:
	v_dual_mov_b32 v44, 0 :: v_dual_and_b32 v1, 4, v33
	v_dual_mov_b32 v45, 0 :: v_dual_lshlrev_b32 v2, 4, v43
	v_or_b32_e32 v3, 0x70, v41
	s_lshl_b64 s[2:3], s[16:17], 2
	s_delay_alu instid0(VALU_DEP_3)
	v_lshl_or_b32 v4, v41, 3, v1
	v_lshl_add_u32 v5, v39, 3, s26
	v_lshl_or_b32 v2, v39, 5, v2
	v_cmp_gt_u32_e32 vcc_lo, 0x78, v3
	v_lshl_or_b32 v3, v3, 3, v1
	s_wait_alu 0xfffe
	s_add_nc_u64 s[2:3], s[18:19], s[2:3]
	s_ashr_i32 s21, s20, 31
	s_wait_alu 0xfffe
	v_add_co_u32 v37, s2, s2, v34
	v_add3_u32 v52, v5, v1, 3
	v_dual_mov_b32 v46, 0 :: v_dual_add_nc_u32 v53, 0x200, v2
	s_wait_alu 0xf1ff
	v_add_co_ci_u32_e64 v38, null, s3, 0, s2
	v_dual_mov_b32 v47, 0 :: v_dual_lshlrev_b32 v54, 2, v4
	v_dual_mov_b32 v48, 0 :: v_dual_lshlrev_b32 v55, 2, v3
	v_dual_mov_b32 v50, 0 :: v_dual_mov_b32 v51, 0
	v_mov_b32_e32 v49, 0
	s_lshl_b64 s[0:1], s[20:21], 2
	s_mov_b32 s5, s9
	s_wait_alu 0xfffe
	s_add_nc_u64 s[2:3], s[22:23], s[0:1]
	s_add_co_i32 s27, s27, -1
	s_mov_b32 s6, 0
	s_branch .LBB23_36
.LBB23_34:                              ;   in Loop: Header=BB23_36 Depth=1
	s_wait_alu 0xfffe
	s_or_b32 exec_lo, exec_lo, s1
	s_wait_loadcnt_dscnt 0x0
	v_mul_f32_e32 v33, v5, v33
	s_delay_alu instid0(VALU_DEP_1) | instskip(NEXT) | instid1(VALU_DEP_1)
	v_fmac_f32_e32 v33, v6, v34
	v_fmac_f32_e32 v33, v7, v35
	s_delay_alu instid0(VALU_DEP_1) | instskip(NEXT) | instid1(VALU_DEP_1)
	v_fmac_f32_e32 v33, v8, v36
	v_add_f32_e32 v44, v44, v33
.LBB23_35:                              ;   in Loop: Header=BB23_36 Depth=1
	s_wait_alu 0xfffe
	s_or_b32 exec_lo, exec_lo, s7
	s_wait_loadcnt_dscnt 0x300
	v_mul_f32_e32 v17, v5, v17
	v_mul_f32_e32 v13, v5, v13
	s_wait_loadcnt 0x1
	v_dual_mul_f32 v25, v5, v25 :: v_dual_add_nc_u32 v52, 32, v52
	s_wait_loadcnt 0x0
	v_dual_mul_f32 v29, v5, v29 :: v_dual_add_nc_u32 v40, 4, v40
	v_fmac_f32_e32 v17, v6, v18
	v_fmac_f32_e32 v13, v6, v14
	v_mul_f32_e32 v21, v5, v21
	v_fmac_f32_e32 v25, v6, v26
	v_mul_f32_e32 v9, v5, v9
	v_mul_f32_e32 v1, v5, v1
	v_fmac_f32_e32 v17, v7, v19
	v_fmac_f32_e32 v13, v7, v15
	v_fmac_f32_e32 v21, v6, v22
	v_fmac_f32_e32 v9, v6, v10
	v_fmac_f32_e32 v1, v6, v2
	v_fmac_f32_e32 v17, v8, v20
	v_fmac_f32_e32 v29, v6, v30
	v_fmac_f32_e32 v13, v8, v16
	v_fmac_f32_e32 v25, v7, v27
	v_fmac_f32_e32 v21, v7, v23
	v_fmac_f32_e32 v9, v7, v11
	v_dual_fmac_f32 v1, v7, v3 :: v_dual_add_f32 v48, v48, v17
	s_delay_alu instid0(VALU_DEP_4) | instskip(SKIP_3) | instid1(VALU_DEP_4)
	v_dual_add_f32 v50, v50, v13 :: v_dual_fmac_f32 v25, v8, v28
	v_fmac_f32_e32 v29, v7, v31
	v_fmac_f32_e32 v21, v8, v24
	;; [unrolled: 1-line block ×3, first 2 shown]
	v_dual_fmac_f32 v1, v8, v4 :: v_dual_add_f32 v46, v46, v25
	s_delay_alu instid0(VALU_DEP_4) | instskip(SKIP_3) | instid1(VALU_DEP_4)
	v_fmac_f32_e32 v29, v8, v32
	v_cmp_le_i32_e64 s0, s13, v40
	v_add_co_u32 v37, s1, v37, 16
	v_add_f32_e32 v47, v47, v21
	v_add_f32_e32 v45, v45, v29
	;; [unrolled: 1-line block ×4, first 2 shown]
	v_add_nc_u32_e32 v53, 0x80, v53
	s_wait_alu 0xf1ff
	v_add_co_ci_u32_e64 v38, null, 0, v38, s1
	s_or_b32 s6, s0, s6
	s_wait_alu 0xfffe
	s_and_not1_b32 exec_lo, exec_lo, s6
	s_cbranch_execz .LBB23_53
.LBB23_36:                              ; =>This Inner Loop Header: Depth=1
	global_load_b32 v1, v[37:38], off
	ds_load_b128 v[5:8], v53
	v_add_nc_u32_e32 v56, -3, v52
	s_wait_loadcnt 0x0
	v_mad_co_i64_i32 v[1:2], null, v1, s5, 0
	s_delay_alu instid0(VALU_DEP_1) | instskip(SKIP_1) | instid1(VALU_DEP_1)
	v_lshlrev_b64_e32 v[1:2], 2, v[1:2]
	s_wait_alu 0xfffe
	v_add_co_u32 v33, s0, s2, v1
	s_wait_alu 0xf1ff
	s_delay_alu instid0(VALU_DEP_2) | instskip(NEXT) | instid1(VALU_DEP_2)
	v_add_co_ci_u32_e64 v34, null, s3, v2, s0
	v_add_co_u32 v29, s0, v33, v54
	s_wait_alu 0xf1ff
	s_delay_alu instid0(VALU_DEP_2)
	v_add_co_ci_u32_e64 v30, null, 0, v34, s0
	v_cmp_eq_u32_e64 s0, s27, v40
	global_load_b128 v[1:4], v[29:30], off
	s_and_saveexec_b32 s7, s0
	s_cbranch_execnz .LBB23_44
; %bb.37:                               ;   in Loop: Header=BB23_36 Depth=1
	s_wait_alu 0xfffe
	s_or_b32 exec_lo, exec_lo, s7
	global_load_b128 v[9:12], v[29:30], off offset:512
	s_and_saveexec_b32 s7, s0
	s_cbranch_execnz .LBB23_45
.LBB23_38:                              ;   in Loop: Header=BB23_36 Depth=1
	s_wait_alu 0xfffe
	s_or_b32 exec_lo, exec_lo, s7
	global_load_b128 v[13:16], v[29:30], off offset:1024
	s_and_saveexec_b32 s7, s0
	s_cbranch_execnz .LBB23_46
.LBB23_39:                              ;   in Loop: Header=BB23_36 Depth=1
	s_wait_alu 0xfffe
	s_or_b32 exec_lo, exec_lo, s7
	global_load_b128 v[17:20], v[29:30], off offset:1536
	s_and_saveexec_b32 s7, s0
	s_cbranch_execnz .LBB23_47
.LBB23_40:                              ;   in Loop: Header=BB23_36 Depth=1
	s_wait_alu 0xfffe
	s_or_b32 exec_lo, exec_lo, s7
	global_load_b128 v[21:24], v[29:30], off offset:2048
	s_and_saveexec_b32 s7, s0
	s_cbranch_execnz .LBB23_48
.LBB23_41:                              ;   in Loop: Header=BB23_36 Depth=1
	s_wait_alu 0xfffe
	s_or_b32 exec_lo, exec_lo, s7
	global_load_b128 v[25:28], v[29:30], off offset:2560
	s_and_saveexec_b32 s7, s0
	s_cbranch_execnz .LBB23_49
.LBB23_42:                              ;   in Loop: Header=BB23_36 Depth=1
	s_wait_alu 0xfffe
	s_or_b32 exec_lo, exec_lo, s7
	global_load_b128 v[29:32], v[29:30], off offset:3072
	s_and_saveexec_b32 s7, s0
	s_cbranch_execnz .LBB23_50
.LBB23_43:                              ;   in Loop: Header=BB23_36 Depth=1
	s_wait_alu 0xfffe
	s_or_b32 exec_lo, exec_lo, s7
	s_and_saveexec_b32 s7, vcc_lo
	s_cbranch_execz .LBB23_35
	s_branch .LBB23_51
.LBB23_44:                              ;   in Loop: Header=BB23_36 Depth=1
	v_add_nc_u32_e32 v9, -2, v52
	v_cmp_gt_i32_e64 s1, s25, v56
	v_add_nc_u32_e32 v10, -1, v52
	s_wait_loadcnt 0x0
	s_wait_alu 0xf1ff
	s_delay_alu instid0(VALU_DEP_2) | instskip(SKIP_2) | instid1(VALU_DEP_1)
	v_cndmask_b32_e64 v1, 0, v1, s1
	v_cmp_gt_i32_e64 s1, s25, v9
	s_wait_alu 0xf1ff
	v_cndmask_b32_e64 v2, 0, v2, s1
	v_cmp_gt_i32_e64 s1, s25, v10
	s_wait_alu 0xf1ff
	s_delay_alu instid0(VALU_DEP_1) | instskip(SKIP_2) | instid1(VALU_DEP_1)
	v_cndmask_b32_e64 v3, 0, v3, s1
	v_cmp_gt_i32_e64 s1, s25, v52
	s_wait_alu 0xf1ff
	v_cndmask_b32_e64 v4, 0, v4, s1
	s_wait_alu 0xfffe
	s_or_b32 exec_lo, exec_lo, s7
	global_load_b128 v[9:12], v[29:30], off offset:512
	s_and_saveexec_b32 s7, s0
	s_cbranch_execz .LBB23_38
.LBB23_45:                              ;   in Loop: Header=BB23_36 Depth=1
	v_add_nc_u32_e32 v13, -2, v52
	v_cmp_gt_i32_e64 s1, s25, v56
	v_add_nc_u32_e32 v14, -1, v52
	s_wait_loadcnt 0x0
	s_wait_alu 0xf1ff
	s_delay_alu instid0(VALU_DEP_2) | instskip(SKIP_2) | instid1(VALU_DEP_1)
	v_cndmask_b32_e64 v9, 0, v9, s1
	v_cmp_gt_i32_e64 s1, s25, v13
	s_wait_alu 0xf1ff
	v_cndmask_b32_e64 v10, 0, v10, s1
	v_cmp_gt_i32_e64 s1, s25, v14
	s_wait_alu 0xf1ff
	s_delay_alu instid0(VALU_DEP_1) | instskip(SKIP_2) | instid1(VALU_DEP_1)
	v_cndmask_b32_e64 v11, 0, v11, s1
	v_cmp_gt_i32_e64 s1, s25, v52
	s_wait_alu 0xf1ff
	v_cndmask_b32_e64 v12, 0, v12, s1
	s_wait_alu 0xfffe
	s_or_b32 exec_lo, exec_lo, s7
	global_load_b128 v[13:16], v[29:30], off offset:1024
	s_and_saveexec_b32 s7, s0
	s_cbranch_execz .LBB23_39
.LBB23_46:                              ;   in Loop: Header=BB23_36 Depth=1
	v_add_nc_u32_e32 v17, -2, v52
	v_cmp_gt_i32_e64 s1, s25, v56
	v_add_nc_u32_e32 v18, -1, v52
	s_wait_loadcnt 0x0
	s_wait_alu 0xf1ff
	s_delay_alu instid0(VALU_DEP_2) | instskip(SKIP_2) | instid1(VALU_DEP_1)
	v_cndmask_b32_e64 v13, 0, v13, s1
	v_cmp_gt_i32_e64 s1, s25, v17
	s_wait_alu 0xf1ff
	v_cndmask_b32_e64 v14, 0, v14, s1
	v_cmp_gt_i32_e64 s1, s25, v18
	s_wait_alu 0xf1ff
	s_delay_alu instid0(VALU_DEP_1) | instskip(SKIP_2) | instid1(VALU_DEP_1)
	v_cndmask_b32_e64 v15, 0, v15, s1
	v_cmp_gt_i32_e64 s1, s25, v52
	s_wait_alu 0xf1ff
	v_cndmask_b32_e64 v16, 0, v16, s1
	s_wait_alu 0xfffe
	s_or_b32 exec_lo, exec_lo, s7
	global_load_b128 v[17:20], v[29:30], off offset:1536
	s_and_saveexec_b32 s7, s0
	s_cbranch_execz .LBB23_40
.LBB23_47:                              ;   in Loop: Header=BB23_36 Depth=1
	v_add_nc_u32_e32 v21, -2, v52
	v_cmp_gt_i32_e64 s1, s25, v56
	v_add_nc_u32_e32 v22, -1, v52
	s_wait_loadcnt 0x0
	s_wait_alu 0xf1ff
	s_delay_alu instid0(VALU_DEP_2) | instskip(SKIP_2) | instid1(VALU_DEP_1)
	v_cndmask_b32_e64 v17, 0, v17, s1
	v_cmp_gt_i32_e64 s1, s25, v21
	s_wait_alu 0xf1ff
	v_cndmask_b32_e64 v18, 0, v18, s1
	v_cmp_gt_i32_e64 s1, s25, v22
	s_wait_alu 0xf1ff
	s_delay_alu instid0(VALU_DEP_1) | instskip(SKIP_2) | instid1(VALU_DEP_1)
	v_cndmask_b32_e64 v19, 0, v19, s1
	v_cmp_gt_i32_e64 s1, s25, v52
	s_wait_alu 0xf1ff
	v_cndmask_b32_e64 v20, 0, v20, s1
	s_wait_alu 0xfffe
	s_or_b32 exec_lo, exec_lo, s7
	global_load_b128 v[21:24], v[29:30], off offset:2048
	s_and_saveexec_b32 s7, s0
	s_cbranch_execz .LBB23_41
.LBB23_48:                              ;   in Loop: Header=BB23_36 Depth=1
	v_add_nc_u32_e32 v25, -2, v52
	v_cmp_gt_i32_e64 s1, s25, v56
	v_add_nc_u32_e32 v26, -1, v52
	s_wait_loadcnt 0x0
	s_wait_alu 0xf1ff
	s_delay_alu instid0(VALU_DEP_2) | instskip(SKIP_2) | instid1(VALU_DEP_1)
	v_cndmask_b32_e64 v21, 0, v21, s1
	v_cmp_gt_i32_e64 s1, s25, v25
	s_wait_alu 0xf1ff
	v_cndmask_b32_e64 v22, 0, v22, s1
	v_cmp_gt_i32_e64 s1, s25, v26
	s_wait_alu 0xf1ff
	s_delay_alu instid0(VALU_DEP_1) | instskip(SKIP_2) | instid1(VALU_DEP_1)
	v_cndmask_b32_e64 v23, 0, v23, s1
	v_cmp_gt_i32_e64 s1, s25, v52
	s_wait_alu 0xf1ff
	v_cndmask_b32_e64 v24, 0, v24, s1
	s_wait_alu 0xfffe
	s_or_b32 exec_lo, exec_lo, s7
	global_load_b128 v[25:28], v[29:30], off offset:2560
	s_and_saveexec_b32 s7, s0
	s_cbranch_execz .LBB23_42
.LBB23_49:                              ;   in Loop: Header=BB23_36 Depth=1
	v_add_nc_u32_e32 v31, -2, v52
	v_cmp_gt_i32_e64 s1, s25, v56
	v_add_nc_u32_e32 v32, -1, v52
	s_wait_loadcnt 0x0
	s_wait_alu 0xf1ff
	s_delay_alu instid0(VALU_DEP_2) | instskip(SKIP_2) | instid1(VALU_DEP_1)
	v_cndmask_b32_e64 v25, 0, v25, s1
	v_cmp_gt_i32_e64 s1, s25, v31
	s_wait_alu 0xf1ff
	v_cndmask_b32_e64 v26, 0, v26, s1
	v_cmp_gt_i32_e64 s1, s25, v32
	s_wait_alu 0xf1ff
	s_delay_alu instid0(VALU_DEP_1) | instskip(SKIP_2) | instid1(VALU_DEP_1)
	v_cndmask_b32_e64 v27, 0, v27, s1
	v_cmp_gt_i32_e64 s1, s25, v52
	s_wait_alu 0xf1ff
	v_cndmask_b32_e64 v28, 0, v28, s1
	s_wait_alu 0xfffe
	s_or_b32 exec_lo, exec_lo, s7
	global_load_b128 v[29:32], v[29:30], off offset:3072
	s_and_saveexec_b32 s7, s0
	s_cbranch_execz .LBB23_43
.LBB23_50:                              ;   in Loop: Header=BB23_36 Depth=1
	v_add_nc_u32_e32 v35, -2, v52
	v_cmp_gt_i32_e64 s1, s25, v56
	v_add_nc_u32_e32 v36, -1, v52
	s_wait_loadcnt 0x0
	s_wait_alu 0xf1ff
	s_delay_alu instid0(VALU_DEP_2) | instskip(SKIP_2) | instid1(VALU_DEP_1)
	v_cndmask_b32_e64 v29, 0, v29, s1
	v_cmp_gt_i32_e64 s1, s25, v35
	s_wait_alu 0xf1ff
	v_cndmask_b32_e64 v30, 0, v30, s1
	v_cmp_gt_i32_e64 s1, s25, v36
	s_wait_alu 0xf1ff
	s_delay_alu instid0(VALU_DEP_1) | instskip(SKIP_2) | instid1(VALU_DEP_1)
	v_cndmask_b32_e64 v31, 0, v31, s1
	v_cmp_gt_i32_e64 s1, s25, v52
	s_wait_alu 0xf1ff
	v_cndmask_b32_e64 v32, 0, v32, s1
	s_wait_alu 0xfffe
	s_or_b32 exec_lo, exec_lo, s7
	s_and_saveexec_b32 s7, vcc_lo
	s_cbranch_execz .LBB23_35
.LBB23_51:                              ;   in Loop: Header=BB23_36 Depth=1
	v_add_co_u32 v33, s1, v33, v55
	s_wait_alu 0xf1ff
	v_add_co_ci_u32_e64 v34, null, 0, v34, s1
	global_load_b128 v[33:36], v[33:34], off
	s_and_saveexec_b32 s1, s0
	s_cbranch_execz .LBB23_34
; %bb.52:                               ;   in Loop: Header=BB23_36 Depth=1
	v_add_nc_u32_e32 v57, -2, v52
	v_cmp_gt_i32_e64 s0, s25, v56
	v_add_nc_u32_e32 v58, -1, v52
	s_wait_loadcnt 0x0
	s_wait_alu 0xf1ff
	s_delay_alu instid0(VALU_DEP_2) | instskip(SKIP_2) | instid1(VALU_DEP_1)
	v_cndmask_b32_e64 v33, 0, v33, s0
	v_cmp_gt_i32_e64 s0, s25, v57
	s_wait_alu 0xf1ff
	v_cndmask_b32_e64 v34, 0, v34, s0
	v_cmp_gt_i32_e64 s0, s25, v58
	s_wait_alu 0xf1ff
	s_delay_alu instid0(VALU_DEP_1) | instskip(SKIP_2) | instid1(VALU_DEP_1)
	v_cndmask_b32_e64 v35, 0, v35, s0
	v_cmp_gt_i32_e64 s0, s25, v52
	s_wait_alu 0xf1ff
	v_cndmask_b32_e64 v36, 0, v36, s0
	s_branch .LBB23_34
.LBB23_53:
	s_or_b32 exec_lo, exec_lo, s6
.LBB23_54:
	s_delay_alu instid0(SALU_CYCLE_1)
	s_or_b32 exec_lo, exec_lo, s4
	ds_bpermute_b32 v1, v42, v49
	ds_bpermute_b32 v3, v42, v51
	;; [unrolled: 1-line block ×8, first 2 shown]
	s_movk_i32 s0, 0x1e0
	v_and_b32_e32 v11, 0x3c0, v0
	s_wait_alu 0xfffe
	v_mad_u32_u24 v9, v39, s0, 0x200
	s_mov_b32 s1, exec_lo
	v_cmp_eq_u32_e32 vcc_lo, 0, v43
	s_wait_storecnt 0x0
	s_wait_loadcnt_dscnt 0x0
	s_barrier_signal -1
	s_barrier_wait -1
	global_inv scope:SCOPE_SE
	v_dual_add_f32 v2, v49, v1 :: v_dual_add_f32 v3, v51, v3
	v_dual_add_f32 v4, v50, v4 :: v_dual_add_f32 v5, v48, v5
	;; [unrolled: 1-line block ×4, first 2 shown]
	v_cmpx_eq_u32_e32 64, v11
	s_cbranch_execz .LBB23_59
; %bb.55:
	v_add_nc_u32_e32 v10, 0xfffffc40, v9
	s_and_saveexec_b32 s0, vcc_lo
	s_cbranch_execz .LBB23_57
; %bb.56:
	s_delay_alu instid0(VALU_DEP_1)
	v_lshl_add_u32 v11, v41, 2, v10
	ds_store_2addr_b32 v11, v2, v3 offset1:16
	ds_store_2addr_b32 v11, v4, v5 offset0:32 offset1:48
	ds_store_2addr_b32 v11, v6, v7 offset0:64 offset1:80
	ds_store_b32 v11, v8 offset:384
.LBB23_57:
	s_wait_alu 0xfffe
	s_or_b32 exec_lo, exec_lo, s0
	v_or_b32_e32 v11, 0x70, v41
	s_delay_alu instid0(VALU_DEP_1)
	v_cmp_gt_u32_e64 s0, 0x78, v11
	s_and_b32 s0, vcc_lo, s0
	s_wait_alu 0xfffe
	s_and_b32 exec_lo, exec_lo, s0
; %bb.58:
	v_lshl_add_u32 v10, v11, 2, v10
	ds_store_b32 v10, v1
.LBB23_59:
	s_wait_alu 0xfffe
	s_or_b32 exec_lo, exec_lo, s1
	s_delay_alu instid0(SALU_CYCLE_1)
	s_mov_b32 s1, exec_lo
	s_wait_loadcnt_dscnt 0x0
	s_barrier_signal -1
	s_barrier_wait -1
	global_inv scope:SCOPE_SE
	v_cmpx_gt_u32_e32 64, v0
	s_cbranch_execz .LBB23_71
; %bb.60:
	s_and_saveexec_b32 s0, vcc_lo
	s_cbranch_execnz .LBB23_94
; %bb.61:
	s_wait_alu 0xfffe
	s_or_b32 exec_lo, exec_lo, s0
	s_and_saveexec_b32 s0, vcc_lo
	s_cbranch_execnz .LBB23_95
.LBB23_62:
	s_wait_alu 0xfffe
	s_or_b32 exec_lo, exec_lo, s0
	s_and_saveexec_b32 s0, vcc_lo
	s_cbranch_execnz .LBB23_96
.LBB23_63:
	s_wait_alu 0xfffe
	s_or_b32 exec_lo, exec_lo, s0
	s_and_saveexec_b32 s0, vcc_lo
	s_cbranch_execnz .LBB23_97
.LBB23_64:
	s_wait_alu 0xfffe
	s_or_b32 exec_lo, exec_lo, s0
	s_and_saveexec_b32 s0, vcc_lo
	s_cbranch_execnz .LBB23_98
.LBB23_65:
	s_wait_alu 0xfffe
	s_or_b32 exec_lo, exec_lo, s0
	s_and_saveexec_b32 s0, vcc_lo
	s_cbranch_execnz .LBB23_99
.LBB23_66:
	s_wait_alu 0xfffe
	s_or_b32 exec_lo, exec_lo, s0
	s_and_saveexec_b32 s0, vcc_lo
	s_cbranch_execz .LBB23_68
.LBB23_67:
	v_lshl_add_u32 v10, v41, 2, v9
	ds_load_b32 v10, v10 offset:384
	s_wait_dscnt 0x0
	v_add_f32_e32 v8, v8, v10
.LBB23_68:
	s_wait_alu 0xfffe
	s_or_b32 exec_lo, exec_lo, s0
	v_or_b32_e32 v10, 0x70, v41
	s_delay_alu instid0(VALU_DEP_1)
	v_cmp_gt_u32_e64 s0, 0x78, v10
	s_and_b32 s2, vcc_lo, s0
	s_wait_alu 0xfffe
	s_and_saveexec_b32 s0, s2
	s_cbranch_execz .LBB23_70
; %bb.69:
	v_lshl_add_u32 v10, v41, 2, v9
	ds_load_b32 v10, v10 offset:448
	s_wait_dscnt 0x0
	v_add_f32_e32 v1, v1, v10
.LBB23_70:
	s_wait_alu 0xfffe
	s_or_b32 exec_lo, exec_lo, s0
.LBB23_71:
	s_wait_alu 0xfffe
	s_or_b32 exec_lo, exec_lo, s1
	v_and_b32_e32 v10, 0x3e0, v0
	s_mov_b32 s1, exec_lo
	s_wait_loadcnt 0x0
	s_barrier_signal -1
	s_barrier_wait -1
	global_inv scope:SCOPE_SE
	v_cmpx_eq_u32_e32 32, v10
	s_cbranch_execz .LBB23_76
; %bb.72:
	v_lshl_add_u32 v10, v41, 2, 0x200
	s_and_saveexec_b32 s0, vcc_lo
	s_cbranch_execz .LBB23_74
; %bb.73:
	ds_store_2addr_b32 v10, v2, v3 offset1:16
	ds_store_2addr_b32 v10, v4, v5 offset0:32 offset1:48
	ds_store_2addr_b32 v10, v6, v7 offset0:64 offset1:80
	ds_store_b32 v10, v8 offset:384
.LBB23_74:
	s_wait_alu 0xfffe
	s_or_b32 exec_lo, exec_lo, s0
	v_or_b32_e32 v11, 0x70, v41
	s_delay_alu instid0(VALU_DEP_1)
	v_cmp_gt_u32_e64 s0, 0x78, v11
	s_and_b32 s0, vcc_lo, s0
	s_wait_alu 0xfffe
	s_and_b32 exec_lo, exec_lo, s0
; %bb.75:
	ds_store_b32 v10, v1 offset:448
.LBB23_76:
	s_wait_alu 0xfffe
	s_or_b32 exec_lo, exec_lo, s1
	v_cmp_gt_u32_e64 s0, 32, v0
	s_wait_loadcnt_dscnt 0x0
	s_barrier_signal -1
	s_barrier_wait -1
	global_inv scope:SCOPE_SE
	s_and_saveexec_b32 s2, s0
	s_cbranch_execz .LBB23_88
; %bb.77:
	v_lshl_add_u32 v9, v41, 2, v9
	s_and_saveexec_b32 s1, vcc_lo
	s_cbranch_execnz .LBB23_100
; %bb.78:
	s_wait_alu 0xfffe
	s_or_b32 exec_lo, exec_lo, s1
	s_and_saveexec_b32 s1, vcc_lo
	s_cbranch_execnz .LBB23_101
.LBB23_79:
	s_wait_alu 0xfffe
	s_or_b32 exec_lo, exec_lo, s1
	s_and_saveexec_b32 s1, vcc_lo
	s_cbranch_execnz .LBB23_102
.LBB23_80:
	s_wait_alu 0xfffe
	s_or_b32 exec_lo, exec_lo, s1
	s_and_saveexec_b32 s1, vcc_lo
	s_cbranch_execnz .LBB23_103
.LBB23_81:
	s_wait_alu 0xfffe
	s_or_b32 exec_lo, exec_lo, s1
	s_and_saveexec_b32 s1, vcc_lo
	s_cbranch_execnz .LBB23_104
.LBB23_82:
	s_wait_alu 0xfffe
	s_or_b32 exec_lo, exec_lo, s1
	s_and_saveexec_b32 s1, vcc_lo
	s_cbranch_execnz .LBB23_105
.LBB23_83:
	s_wait_alu 0xfffe
	s_or_b32 exec_lo, exec_lo, s1
	s_and_saveexec_b32 s1, vcc_lo
	s_cbranch_execz .LBB23_85
.LBB23_84:
	ds_load_b32 v10, v9 offset:384
	s_wait_dscnt 0x0
	v_add_f32_e32 v8, v8, v10
.LBB23_85:
	s_wait_alu 0xfffe
	s_or_b32 exec_lo, exec_lo, s1
	v_or_b32_e32 v10, 0x70, v41
	s_delay_alu instid0(VALU_DEP_1)
	v_cmp_gt_u32_e64 s1, 0x78, v10
	s_and_b32 s3, vcc_lo, s1
	s_wait_alu 0xfffe
	s_and_saveexec_b32 s1, s3
	s_cbranch_execz .LBB23_87
; %bb.86:
	ds_load_b32 v9, v9 offset:448
	s_wait_dscnt 0x0
	v_add_f32_e32 v1, v1, v9
.LBB23_87:
	s_wait_alu 0xfffe
	s_or_b32 exec_lo, exec_lo, s1
.LBB23_88:
	s_wait_alu 0xfffe
	s_or_b32 exec_lo, exec_lo, s2
	s_wait_loadcnt 0x0
	s_barrier_signal -1
	s_barrier_wait -1
	global_inv scope:SCOPE_SE
	s_and_saveexec_b32 s1, s0
	s_cbranch_execz .LBB23_93
; %bb.89:
	s_mul_i32 s0, s14, 0x78
	s_mul_i32 s2, s8, s12
	s_wait_alu 0xfffe
	s_ashr_i32 s1, s0, 31
	v_lshrrev_b32_e32 v9, 1, v0
	s_ashr_i32 s3, s2, 31
	s_wait_alu 0xfffe
	s_lshl_b64 s[0:1], s[0:1], 2
	s_lshl_b64 s[2:3], s[2:3], 2
	s_wait_alu 0xfffe
	s_add_nc_u64 s[0:1], s[10:11], s[0:1]
	v_lshlrev_b32_e32 v0, 2, v9
	s_wait_alu 0xfffe
	s_add_nc_u64 s[0:1], s[0:1], s[2:3]
	s_mul_i32 s2, s24, 0x1e0
	s_mov_b32 s3, 0
	s_wait_alu 0xfffe
	s_add_nc_u64 s[2:3], s[0:1], s[2:3]
	s_and_saveexec_b32 s0, vcc_lo
	s_cbranch_execz .LBB23_91
; %bb.90:
	s_clause 0x6
	global_store_b32 v0, v2, s[2:3]
	global_store_b32 v0, v3, s[2:3] offset:64
	global_store_b32 v0, v4, s[2:3] offset:128
	;; [unrolled: 1-line block ×6, first 2 shown]
.LBB23_91:
	s_wait_alu 0xfffe
	s_or_b32 exec_lo, exec_lo, s0
	v_or_b32_e32 v2, 0x70, v9
	s_delay_alu instid0(VALU_DEP_1)
	v_cmp_gt_u32_e64 s0, 0x78, v2
	s_and_b32 s0, vcc_lo, s0
	s_wait_alu 0xfffe
	s_and_b32 exec_lo, exec_lo, s0
	s_cbranch_execz .LBB23_93
; %bb.92:
	global_store_b32 v0, v1, s[2:3] offset:448
.LBB23_93:
	s_endpgm
.LBB23_94:
	v_lshl_add_u32 v10, v41, 2, v9
	ds_load_b32 v10, v10
	s_wait_dscnt 0x0
	v_add_f32_e32 v2, v2, v10
	s_wait_alu 0xfffe
	s_or_b32 exec_lo, exec_lo, s0
	s_and_saveexec_b32 s0, vcc_lo
	s_cbranch_execz .LBB23_62
.LBB23_95:
	v_lshl_add_u32 v10, v41, 2, v9
	ds_load_b32 v10, v10 offset:64
	s_wait_dscnt 0x0
	v_add_f32_e32 v3, v3, v10
	s_wait_alu 0xfffe
	s_or_b32 exec_lo, exec_lo, s0
	s_and_saveexec_b32 s0, vcc_lo
	s_cbranch_execz .LBB23_63
.LBB23_96:
	v_lshl_add_u32 v10, v41, 2, v9
	ds_load_b32 v10, v10 offset:128
	s_wait_dscnt 0x0
	v_add_f32_e32 v4, v4, v10
	s_wait_alu 0xfffe
	s_or_b32 exec_lo, exec_lo, s0
	s_and_saveexec_b32 s0, vcc_lo
	s_cbranch_execz .LBB23_64
.LBB23_97:
	v_lshl_add_u32 v10, v41, 2, v9
	ds_load_b32 v10, v10 offset:192
	s_wait_dscnt 0x0
	v_add_f32_e32 v5, v5, v10
	s_wait_alu 0xfffe
	s_or_b32 exec_lo, exec_lo, s0
	s_and_saveexec_b32 s0, vcc_lo
	s_cbranch_execz .LBB23_65
.LBB23_98:
	v_lshl_add_u32 v10, v41, 2, v9
	ds_load_b32 v10, v10 offset:256
	s_wait_dscnt 0x0
	v_add_f32_e32 v6, v6, v10
	s_wait_alu 0xfffe
	s_or_b32 exec_lo, exec_lo, s0
	s_and_saveexec_b32 s0, vcc_lo
	s_cbranch_execz .LBB23_66
.LBB23_99:
	v_lshl_add_u32 v10, v41, 2, v9
	ds_load_b32 v10, v10 offset:320
	s_wait_dscnt 0x0
	v_add_f32_e32 v7, v7, v10
	s_wait_alu 0xfffe
	s_or_b32 exec_lo, exec_lo, s0
	s_and_saveexec_b32 s0, vcc_lo
	s_cbranch_execnz .LBB23_67
	s_branch .LBB23_68
.LBB23_100:
	ds_load_b32 v10, v9
	s_wait_dscnt 0x0
	v_add_f32_e32 v2, v2, v10
	s_wait_alu 0xfffe
	s_or_b32 exec_lo, exec_lo, s1
	s_and_saveexec_b32 s1, vcc_lo
	s_cbranch_execz .LBB23_79
.LBB23_101:
	ds_load_b32 v10, v9 offset:64
	s_wait_dscnt 0x0
	v_add_f32_e32 v3, v3, v10
	s_wait_alu 0xfffe
	s_or_b32 exec_lo, exec_lo, s1
	s_and_saveexec_b32 s1, vcc_lo
	s_cbranch_execz .LBB23_80
.LBB23_102:
	ds_load_b32 v10, v9 offset:128
	s_wait_dscnt 0x0
	v_add_f32_e32 v4, v4, v10
	s_wait_alu 0xfffe
	s_or_b32 exec_lo, exec_lo, s1
	s_and_saveexec_b32 s1, vcc_lo
	s_cbranch_execz .LBB23_81
.LBB23_103:
	ds_load_b32 v10, v9 offset:192
	s_wait_dscnt 0x0
	v_add_f32_e32 v5, v5, v10
	s_wait_alu 0xfffe
	s_or_b32 exec_lo, exec_lo, s1
	s_and_saveexec_b32 s1, vcc_lo
	s_cbranch_execz .LBB23_82
.LBB23_104:
	ds_load_b32 v10, v9 offset:256
	s_wait_dscnt 0x0
	v_add_f32_e32 v6, v6, v10
	s_wait_alu 0xfffe
	s_or_b32 exec_lo, exec_lo, s1
	s_and_saveexec_b32 s1, vcc_lo
	s_cbranch_execz .LBB23_83
.LBB23_105:
	ds_load_b32 v10, v9 offset:320
	s_wait_dscnt 0x0
	v_add_f32_e32 v7, v7, v10
	s_wait_alu 0xfffe
	s_or_b32 exec_lo, exec_lo, s1
	s_and_saveexec_b32 s1, vcc_lo
	s_cbranch_execnz .LBB23_84
	s_branch .LBB23_85
	.section	.rodata,"a",@progbits
	.p2align	6, 0x0
	.amdhsa_kernel _ZN4vllm25paged_attention_v2_kernelIffLi120ELi8ELi128ELNS_18Fp8KVCacheDataTypeE0ELb0ELi512EEEvPfS2_PT_PKS3_PKT0_S9_ifPKiSB_iPKfiiiSD_SD_iiiii
		.amdhsa_group_segment_fixed_size 512
		.amdhsa_private_segment_fixed_size 0
		.amdhsa_kernarg_size 400
		.amdhsa_user_sgpr_count 2
		.amdhsa_user_sgpr_dispatch_ptr 0
		.amdhsa_user_sgpr_queue_ptr 0
		.amdhsa_user_sgpr_kernarg_segment_ptr 1
		.amdhsa_user_sgpr_dispatch_id 0
		.amdhsa_user_sgpr_private_segment_size 0
		.amdhsa_wavefront_size32 1
		.amdhsa_uses_dynamic_stack 0
		.amdhsa_enable_private_segment 0
		.amdhsa_system_sgpr_workgroup_id_x 1
		.amdhsa_system_sgpr_workgroup_id_y 1
		.amdhsa_system_sgpr_workgroup_id_z 1
		.amdhsa_system_sgpr_workgroup_info 0
		.amdhsa_system_vgpr_workitem_id 0
		.amdhsa_next_free_vgpr 79
		.amdhsa_next_free_sgpr 32
		.amdhsa_reserve_vcc 1
		.amdhsa_float_round_mode_32 0
		.amdhsa_float_round_mode_16_64 0
		.amdhsa_float_denorm_mode_32 3
		.amdhsa_float_denorm_mode_16_64 3
		.amdhsa_fp16_overflow 0
		.amdhsa_workgroup_processor_mode 1
		.amdhsa_memory_ordered 1
		.amdhsa_forward_progress 1
		.amdhsa_inst_pref_size 53
		.amdhsa_round_robin_scheduling 0
		.amdhsa_exception_fp_ieee_invalid_op 0
		.amdhsa_exception_fp_denorm_src 0
		.amdhsa_exception_fp_ieee_div_zero 0
		.amdhsa_exception_fp_ieee_overflow 0
		.amdhsa_exception_fp_ieee_underflow 0
		.amdhsa_exception_fp_ieee_inexact 0
		.amdhsa_exception_int_div_zero 0
	.end_amdhsa_kernel
	.section	.text._ZN4vllm25paged_attention_v2_kernelIffLi120ELi8ELi128ELNS_18Fp8KVCacheDataTypeE0ELb0ELi512EEEvPfS2_PT_PKS3_PKT0_S9_ifPKiSB_iPKfiiiSD_SD_iiiii,"axG",@progbits,_ZN4vllm25paged_attention_v2_kernelIffLi120ELi8ELi128ELNS_18Fp8KVCacheDataTypeE0ELb0ELi512EEEvPfS2_PT_PKS3_PKT0_S9_ifPKiSB_iPKfiiiSD_SD_iiiii,comdat
.Lfunc_end23:
	.size	_ZN4vllm25paged_attention_v2_kernelIffLi120ELi8ELi128ELNS_18Fp8KVCacheDataTypeE0ELb0ELi512EEEvPfS2_PT_PKS3_PKT0_S9_ifPKiSB_iPKfiiiSD_SD_iiiii, .Lfunc_end23-_ZN4vllm25paged_attention_v2_kernelIffLi120ELi8ELi128ELNS_18Fp8KVCacheDataTypeE0ELb0ELi512EEEvPfS2_PT_PKS3_PKT0_S9_ifPKiSB_iPKfiiiSD_SD_iiiii
                                        ; -- End function
	.set _ZN4vllm25paged_attention_v2_kernelIffLi120ELi8ELi128ELNS_18Fp8KVCacheDataTypeE0ELb0ELi512EEEvPfS2_PT_PKS3_PKT0_S9_ifPKiSB_iPKfiiiSD_SD_iiiii.num_vgpr, 79
	.set _ZN4vllm25paged_attention_v2_kernelIffLi120ELi8ELi128ELNS_18Fp8KVCacheDataTypeE0ELb0ELi512EEEvPfS2_PT_PKS3_PKT0_S9_ifPKiSB_iPKfiiiSD_SD_iiiii.num_agpr, 0
	.set _ZN4vllm25paged_attention_v2_kernelIffLi120ELi8ELi128ELNS_18Fp8KVCacheDataTypeE0ELb0ELi512EEEvPfS2_PT_PKS3_PKT0_S9_ifPKiSB_iPKfiiiSD_SD_iiiii.numbered_sgpr, 32
	.set _ZN4vllm25paged_attention_v2_kernelIffLi120ELi8ELi128ELNS_18Fp8KVCacheDataTypeE0ELb0ELi512EEEvPfS2_PT_PKS3_PKT0_S9_ifPKiSB_iPKfiiiSD_SD_iiiii.num_named_barrier, 0
	.set _ZN4vllm25paged_attention_v2_kernelIffLi120ELi8ELi128ELNS_18Fp8KVCacheDataTypeE0ELb0ELi512EEEvPfS2_PT_PKS3_PKT0_S9_ifPKiSB_iPKfiiiSD_SD_iiiii.private_seg_size, 0
	.set _ZN4vllm25paged_attention_v2_kernelIffLi120ELi8ELi128ELNS_18Fp8KVCacheDataTypeE0ELb0ELi512EEEvPfS2_PT_PKS3_PKT0_S9_ifPKiSB_iPKfiiiSD_SD_iiiii.uses_vcc, 1
	.set _ZN4vllm25paged_attention_v2_kernelIffLi120ELi8ELi128ELNS_18Fp8KVCacheDataTypeE0ELb0ELi512EEEvPfS2_PT_PKS3_PKT0_S9_ifPKiSB_iPKfiiiSD_SD_iiiii.uses_flat_scratch, 0
	.set _ZN4vllm25paged_attention_v2_kernelIffLi120ELi8ELi128ELNS_18Fp8KVCacheDataTypeE0ELb0ELi512EEEvPfS2_PT_PKS3_PKT0_S9_ifPKiSB_iPKfiiiSD_SD_iiiii.has_dyn_sized_stack, 0
	.set _ZN4vllm25paged_attention_v2_kernelIffLi120ELi8ELi128ELNS_18Fp8KVCacheDataTypeE0ELb0ELi512EEEvPfS2_PT_PKS3_PKT0_S9_ifPKiSB_iPKfiiiSD_SD_iiiii.has_recursion, 0
	.set _ZN4vllm25paged_attention_v2_kernelIffLi120ELi8ELi128ELNS_18Fp8KVCacheDataTypeE0ELb0ELi512EEEvPfS2_PT_PKS3_PKT0_S9_ifPKiSB_iPKfiiiSD_SD_iiiii.has_indirect_call, 0
	.section	.AMDGPU.csdata,"",@progbits
; Kernel info:
; codeLenInByte = 6680
; TotalNumSgprs: 34
; NumVgprs: 79
; ScratchSize: 0
; MemoryBound: 0
; FloatMode: 240
; IeeeMode: 1
; LDSByteSize: 512 bytes/workgroup (compile time only)
; SGPRBlocks: 0
; VGPRBlocks: 9
; NumSGPRsForWavesPerEU: 34
; NumVGPRsForWavesPerEU: 79
; Occupancy: 16
; WaveLimiterHint : 1
; COMPUTE_PGM_RSRC2:SCRATCH_EN: 0
; COMPUTE_PGM_RSRC2:USER_SGPR: 2
; COMPUTE_PGM_RSRC2:TRAP_HANDLER: 0
; COMPUTE_PGM_RSRC2:TGID_X_EN: 1
; COMPUTE_PGM_RSRC2:TGID_Y_EN: 1
; COMPUTE_PGM_RSRC2:TGID_Z_EN: 1
; COMPUTE_PGM_RSRC2:TIDIG_COMP_CNT: 0
	.section	.text._ZN4vllm25paged_attention_v2_kernelIffLi128ELi8ELi128ELNS_18Fp8KVCacheDataTypeE0ELb0ELi512EEEvPfS2_PT_PKS3_PKT0_S9_ifPKiSB_iPKfiiiSD_SD_iiiii,"axG",@progbits,_ZN4vllm25paged_attention_v2_kernelIffLi128ELi8ELi128ELNS_18Fp8KVCacheDataTypeE0ELb0ELi512EEEvPfS2_PT_PKS3_PKT0_S9_ifPKiSB_iPKfiiiSD_SD_iiiii,comdat
	.protected	_ZN4vllm25paged_attention_v2_kernelIffLi128ELi8ELi128ELNS_18Fp8KVCacheDataTypeE0ELb0ELi512EEEvPfS2_PT_PKS3_PKT0_S9_ifPKiSB_iPKfiiiSD_SD_iiiii ; -- Begin function _ZN4vllm25paged_attention_v2_kernelIffLi128ELi8ELi128ELNS_18Fp8KVCacheDataTypeE0ELb0ELi512EEEvPfS2_PT_PKS3_PKT0_S9_ifPKiSB_iPKfiiiSD_SD_iiiii
	.globl	_ZN4vllm25paged_attention_v2_kernelIffLi128ELi8ELi128ELNS_18Fp8KVCacheDataTypeE0ELb0ELi512EEEvPfS2_PT_PKS3_PKT0_S9_ifPKiSB_iPKfiiiSD_SD_iiiii
	.p2align	8
	.type	_ZN4vllm25paged_attention_v2_kernelIffLi128ELi8ELi128ELNS_18Fp8KVCacheDataTypeE0ELb0ELi512EEEvPfS2_PT_PKS3_PKT0_S9_ifPKiSB_iPKfiiiSD_SD_iiiii,@function
_ZN4vllm25paged_attention_v2_kernelIffLi128ELi8ELi128ELNS_18Fp8KVCacheDataTypeE0ELb0ELi512EEEvPfS2_PT_PKS3_PKT0_S9_ifPKiSB_iPKfiiiSD_SD_iiiii: ; @_ZN4vllm25paged_attention_v2_kernelIffLi128ELi8ELi128ELNS_18Fp8KVCacheDataTypeE0ELb0ELi512EEEvPfS2_PT_PKS3_PKT0_S9_ifPKiSB_iPKfiiiSD_SD_iiiii
; %bb.0:
	s_load_b64 s[2:3], s[0:1], 0x40
	s_and_b32 s16, ttmp7, 0xffff
	s_lshr_b32 s26, ttmp7, 16
	s_lshl_b32 s4, s16, 2
	s_lshl_b32 s12, s26, 9
	s_wait_kmcnt 0x0
	s_load_b32 s13, s[2:3], s4 offset:0x0
	s_wait_kmcnt 0x0
	s_cmp_ge_i32 s12, s13
	s_cbranch_scc1 .LBB24_78
; %bb.1:
	s_clause 0x1
	s_load_b32 s17, s[0:1], 0x90
	s_load_b64 s[6:7], s[0:1], 0x30
	s_wait_kmcnt 0x0
	s_abs_i32 s5, s17
	s_abs_i32 s2, s6
	s_delay_alu instid0(SALU_CYCLE_1) | instskip(SKIP_1) | instid1(SALU_CYCLE_2)
	s_cvt_f32_u32 s3, s2
	s_sub_co_i32 s4, 0, s2
	v_rcp_iflag_f32_e32 v1, s3
	s_delay_alu instid0(TRANS32_DEP_1) | instskip(SKIP_2) | instid1(SALU_CYCLE_2)
	v_readfirstlane_b32 s3, v1
	s_mul_f32 s3, s3, 0x4f7ffffe
	s_wait_alu 0xfffe
	s_cvt_u32_f32 s3, s3
	s_wait_alu 0xfffe
	s_delay_alu instid0(SALU_CYCLE_2) | instskip(NEXT) | instid1(SALU_CYCLE_1)
	s_mul_i32 s4, s4, s3
	s_mul_hi_u32 s4, s3, s4
	s_delay_alu instid0(SALU_CYCLE_1)
	s_add_co_i32 s3, s3, s4
	s_xor_b32 s4, s17, s6
	s_wait_alu 0xfffe
	s_mul_hi_u32 s3, s5, s3
	s_ashr_i32 s4, s4, 31
	s_wait_alu 0xfffe
	s_mul_i32 s6, s3, s2
	s_delay_alu instid0(SALU_CYCLE_1)
	s_sub_co_i32 s5, s5, s6
	s_add_co_i32 s6, s3, 1
	s_sub_co_i32 s8, s5, s2
	s_cmp_ge_u32 s5, s2
	s_cselect_b32 s3, s6, s3
	s_cselect_b32 s5, s8, s5
	s_wait_alu 0xfffe
	s_add_co_i32 s6, s3, 1
	s_cmp_ge_u32 s5, s2
	s_load_b64 s[8:9], s[0:1], 0x50
	s_cselect_b32 s2, s6, s3
	s_mov_b32 s3, 0
	s_wait_alu 0xfffe
	s_xor_b32 s2, s2, s4
	s_mov_b32 s6, s3
	s_wait_alu 0xfffe
	s_sub_co_i32 s14, s2, s4
	s_delay_alu instid0(SALU_CYCLE_1) | instskip(NEXT) | instid1(SALU_CYCLE_1)
	s_abs_i32 s11, s14
	s_cvt_f32_u32 s2, s11
	s_wait_alu 0xfffe
	s_delay_alu instid0(SALU_CYCLE_2) | instskip(NEXT) | instid1(TRANS32_DEP_1)
	v_rcp_iflag_f32_e32 v1, s2
	v_readfirstlane_b32 s2, v1
	s_mul_f32 s2, s2, 0x4f7ffffe
	s_wait_alu 0xfffe
	s_delay_alu instid0(SALU_CYCLE_2) | instskip(SKIP_2) | instid1(SALU_CYCLE_1)
	s_cvt_u32_f32 s4, s2
	s_sub_co_i32 s2, 0, s11
	s_wait_alu 0xfffe
	s_mul_i32 s2, s2, s4
	s_wait_alu 0xfffe
	s_mul_hi_u32 s5, s4, s2
	s_abs_i32 s2, ttmp9
	s_add_co_i32 s4, s4, s5
	s_mov_b32 s5, s3
	s_wait_kmcnt 0x0
	s_cmp_eq_u64 s[8:9], 0
	s_cbranch_scc1 .LBB24_3
; %bb.2:
	s_mov_b32 s18, ttmp9
	s_ashr_i32 s19, ttmp9, 31
	s_delay_alu instid0(SALU_CYCLE_1) | instskip(NEXT) | instid1(SALU_CYCLE_1)
	s_lshl_b64 s[18:19], s[18:19], 2
	s_add_nc_u64 s[8:9], s[8:9], s[18:19]
	s_load_b32 s6, s[8:9], 0x0
.LBB24_3:
	s_load_b96 s[8:10], s[0:1], 0x58
	v_and_b32_e32 v33, 3, v0
	v_lshlrev_b32_e32 v35, 2, v0
	s_mul_u64 s[4:5], s[2:3], s[4:5]
	s_ashr_i32 s3, ttmp9, 31
	s_ashr_i32 s4, s14, 31
	s_lshl_b32 s14, ttmp9, 7
	s_mov_b32 s18, exec_lo
	v_cmpx_gt_u32_e32 0x80, v0
	s_cbranch_execz .LBB24_5
; %bb.4:
	s_load_b64 s[20:21], s[0:1], 0x18
	s_wait_kmcnt 0x0
	s_mul_i32 s22, s8, s16
	s_ashr_i32 s15, s14, 31
	s_ashr_i32 s23, s22, 31
	v_and_b32_e32 v2, 0x3fc, v0
	s_lshl_b64 s[22:23], s[22:23], 2
	s_delay_alu instid0(VALU_DEP_1) | instskip(SKIP_2) | instid1(SALU_CYCLE_1)
	v_lshl_add_u32 v2, v33, 7, v2
	s_add_nc_u64 s[20:21], s[20:21], s[22:23]
	s_lshl_b64 s[22:23], s[14:15], 2
	s_add_nc_u64 s[20:21], s[20:21], s[22:23]
	global_load_b32 v1, v35, s[20:21]
	s_wait_loadcnt 0x0
	ds_store_b32 v2, v1
.LBB24_5:
	s_or_b32 exec_lo, exec_lo, s18
	s_wait_kmcnt 0x0
	s_add_co_i32 s8, s13, 7
	s_wait_alu 0xfffe
	s_xor_b32 s3, s3, s4
	s_ashr_i32 s15, s8, 31
	s_lshl_b32 s28, s26, 6
	s_lshr_b32 s4, s15, 29
	s_mul_i32 s15, s5, s11
	s_add_co_i32 s8, s8, s4
	s_add_co_i32 s4, s28, 64
	s_ashr_i32 s27, s8, 3
	s_load_b32 s8, s[0:1], 0x48
	s_sub_co_i32 s2, s2, s15
	s_min_i32 s15, s4, s27
	s_add_co_i32 s4, s5, 1
	s_wait_alu 0xfffe
	s_sub_co_i32 s18, s2, s11
	s_cmp_ge_u32 s2, s11
	v_lshrrev_b32_e32 v39, 5, v0
	s_cselect_b32 s4, s4, s5
	s_cselect_b32 s2, s18, s2
	s_add_co_i32 s5, s4, 1
	s_wait_alu 0xfffe
	s_cmp_ge_u32 s2, s11
	v_or_b32_e32 v40, s28, v39
	s_cselect_b32 s2, s5, s4
	v_mbcnt_lo_u32_b32 v37, -1, 0
	s_wait_alu 0xfffe
	s_xor_b32 s2, s2, s3
	s_mov_b32 s4, exec_lo
	s_wait_alu 0xfffe
	s_sub_co_i32 s3, s2, s3
	v_cmp_gt_i32_e64 s2, s15, v40
	s_wait_dscnt 0x0
	s_barrier_signal -1
	s_wait_kmcnt 0x0
	s_mul_i32 s18, s8, s16
	s_barrier_wait -1
	s_ashr_i32 s19, s18, 31
	global_inv scope:SCOPE_SE
                                        ; implicit-def: $vgpr38
                                        ; implicit-def: $vgpr42
	v_cmpx_le_i32_e64 s15, v40
	s_xor_b32 s4, exec_lo, s4
; %bb.6:
	v_mov_b32_e32 v38, 0
	v_mbcnt_lo_u32_b32 v37, -1, 0
	v_mov_b32_e32 v42, 32
                                        ; implicit-def: $vgpr33
; %bb.7:
	s_or_saveexec_b32 s11, s4
	s_clause 0x1
	s_load_b64 s[20:21], s[0:1], 0x38
	s_load_b32 s8, s[0:1], 0x98
	v_dual_mov_b32 v41, 0xff7fffff :: v_dual_lshlrev_b32 v36, 2, v40
	s_mul_i32 s22, s3, s10
	s_xor_b32 exec_lo, exec_lo, s11
	s_cbranch_execz .LBB24_13
; %bb.8:
	s_load_b64 s[4:5], s[0:1], 0x20
	v_bfe_u32 v34, v0, 2, 3
	s_ashr_i32 s23, s22, 31
	v_xor_b32_e32 v26, 2, v37
	s_lshl_b64 s[24:25], s[22:23], 2
	v_dual_mov_b32 v42, 32 :: v_dual_lshlrev_b32 v29, 7, v33
	v_dual_mov_b32 v38, 0 :: v_dual_lshlrev_b32 v27, 4, v34
	v_lshlrev_b32_e32 v25, 2, v33
	v_cmp_gt_i32_e32 vcc_lo, 32, v26
	v_xor_b32_e32 v41, 1, v37
	ds_load_b128 v[1:4], v29
	ds_load_b128 v[5:8], v29 offset:16
	ds_load_b128 v[9:12], v29 offset:32
	;; [unrolled: 1-line block ×5, first 2 shown]
	v_lshlrev_b32_e32 v47, 2, v34
	s_cmp_neq_f32 s6, 0
	v_dual_cndmask_b32 v45, v37, v26 :: v_dual_lshlrev_b32 v48, 3, v39
	s_mov_b32 s23, s9
	s_mov_b32 s10, 0
	v_mov_b32_e32 v49, v40
	s_wait_kmcnt 0x0
	s_add_nc_u64 s[4:5], s[4:5], s[24:25]
	v_lshlrev_b32_e32 v45, 2, v45
	v_add_co_u32 v27, s3, s4, v27
	s_wait_alu 0xf1ff
	v_add_co_ci_u32_e64 v28, null, s5, 0, s3
	s_cselect_b32 s3, -1, 0
	v_add_co_u32 v43, vcc_lo, v27, v25
	s_wait_alu 0xfffd
	v_add_co_ci_u32_e64 v44, null, 0, v28, vcc_lo
	ds_load_b128 v[25:28], v29 offset:96
	ds_load_b128 v[29:32], v29 offset:112
	v_cmp_gt_i32_e32 vcc_lo, 32, v41
	s_lshl_b64 s[4:5], s[18:19], 2
	s_sub_co_i32 s24, 1, s13
	s_wait_alu 0xfffe
	s_add_nc_u64 s[4:5], s[20:21], s[4:5]
	s_wait_alu 0xfffd
	v_cndmask_b32_e32 v41, v37, v41, vcc_lo
	v_cmp_eq_u32_e32 vcc_lo, 0, v33
	s_wait_alu 0xfffe
	v_add_co_u32 v33, s4, s4, v36
	s_delay_alu instid0(VALU_DEP_3) | instskip(SKIP_4) | instid1(VALU_DEP_3)
	v_lshlrev_b32_e32 v46, 2, v41
	v_lshl_or_b32 v41, v39, 5, v47
	v_add3_u32 v47, s12, v48, v34
	s_wait_alu 0xf1ff
	v_add_co_ci_u32_e64 v34, null, s5, 0, s4
	v_add_nc_u32_e32 v48, 0x220, v41
	v_mov_b32_e32 v41, 0xff7fffff
	s_branch .LBB24_10
.LBB24_9:                               ;   in Loop: Header=BB24_10 Depth=1
	s_wait_alu 0xfffe
	s_or_b32 exec_lo, exec_lo, s5
	v_add_nc_u32_e32 v49, 4, v49
	v_add_co_u32 v33, s5, v33, 16
	v_add_nc_u32_e32 v47, 32, v47
	v_add_nc_u32_e32 v48, 0x80, v48
	s_delay_alu instid0(VALU_DEP_4) | instskip(SKIP_3) | instid1(SALU_CYCLE_1)
	v_cmp_le_i32_e64 s4, s15, v49
	s_wait_alu 0xf1ff
	v_add_co_ci_u32_e64 v34, null, 0, v34, s5
	s_or_b32 s10, s4, s10
	s_and_not1_b32 exec_lo, exec_lo, s10
	s_cbranch_execz .LBB24_12
.LBB24_10:                              ; =>This Inner Loop Header: Depth=1
	global_load_b32 v50, v[33:34], off
	s_wait_loadcnt_dscnt 0x0
	v_mad_co_i64_i32 v[50:51], null, v50, s23, 0
	s_delay_alu instid0(VALU_DEP_1) | instskip(NEXT) | instid1(VALU_DEP_1)
	v_lshlrev_b64_e32 v[50:51], 2, v[50:51]
	v_add_co_u32 v50, s4, v43, v50
	s_wait_alu 0xf1ff
	s_delay_alu instid0(VALU_DEP_2)
	v_add_co_ci_u32_e64 v51, null, v44, v51, s4
	s_clause 0x1f
	global_load_b32 v52, v[50:51], off offset:128
	global_load_b32 v53, v[50:51], off
	global_load_b32 v54, v[50:51], off offset:256
	global_load_b32 v55, v[50:51], off offset:384
	global_load_b32 v56, v[50:51], off offset:512
	global_load_b32 v57, v[50:51], off offset:640
	global_load_b32 v58, v[50:51], off offset:768
	global_load_b32 v59, v[50:51], off offset:896
	global_load_b32 v60, v[50:51], off offset:1024
	global_load_b32 v61, v[50:51], off offset:1152
	global_load_b32 v62, v[50:51], off offset:1280
	global_load_b32 v63, v[50:51], off offset:1408
	global_load_b32 v64, v[50:51], off offset:1536
	global_load_b32 v65, v[50:51], off offset:1664
	global_load_b32 v66, v[50:51], off offset:1792
	global_load_b32 v67, v[50:51], off offset:1920
	global_load_b32 v68, v[50:51], off offset:2048
	global_load_b32 v69, v[50:51], off offset:2176
	global_load_b32 v70, v[50:51], off offset:2304
	global_load_b32 v71, v[50:51], off offset:2432
	global_load_b32 v72, v[50:51], off offset:2560
	global_load_b32 v73, v[50:51], off offset:2688
	global_load_b32 v74, v[50:51], off offset:2816
	global_load_b32 v75, v[50:51], off offset:2944
	global_load_b32 v76, v[50:51], off offset:3072
	global_load_b32 v77, v[50:51], off offset:3200
	global_load_b32 v78, v[50:51], off offset:3328
	global_load_b32 v79, v[50:51], off offset:3456
	global_load_b32 v80, v[50:51], off offset:3584
	global_load_b32 v81, v[50:51], off offset:3712
	global_load_b32 v82, v[50:51], off offset:3840
	global_load_b32 v50, v[50:51], off offset:3968
	s_wait_loadcnt_dscnt 0x1f07
	v_mul_f32_e32 v51, v2, v52
	s_wait_loadcnt 0x1e
	s_delay_alu instid0(VALU_DEP_1) | instskip(SKIP_1) | instid1(VALU_DEP_1)
	v_fmac_f32_e32 v51, v1, v53
	s_wait_loadcnt 0x1d
	v_fmac_f32_e32 v51, v3, v54
	s_wait_loadcnt 0x1c
	s_delay_alu instid0(VALU_DEP_1) | instskip(SKIP_1) | instid1(VALU_DEP_1)
	v_fmac_f32_e32 v51, v4, v55
	s_wait_loadcnt_dscnt 0x1b06
	v_fmac_f32_e32 v51, v5, v56
	s_wait_loadcnt 0x1a
	s_delay_alu instid0(VALU_DEP_1) | instskip(SKIP_1) | instid1(VALU_DEP_1)
	v_fmac_f32_e32 v51, v6, v57
	s_wait_loadcnt 0x19
	v_fmac_f32_e32 v51, v7, v58
	s_wait_loadcnt 0x18
	s_delay_alu instid0(VALU_DEP_1) | instskip(SKIP_1) | instid1(VALU_DEP_1)
	v_fmac_f32_e32 v51, v8, v59
	s_wait_loadcnt_dscnt 0x1705
	v_fmac_f32_e32 v51, v9, v60
	;; [unrolled: 10-line block ×7, first 2 shown]
	s_wait_loadcnt 0x2
	s_delay_alu instid0(VALU_DEP_1) | instskip(SKIP_1) | instid1(VALU_DEP_1)
	v_fmac_f32_e32 v51, v30, v81
	s_wait_loadcnt 0x1
	v_fmac_f32_e32 v51, v31, v82
	s_wait_loadcnt 0x0
	s_delay_alu instid0(VALU_DEP_1)
	v_fmac_f32_e32 v51, v32, v50
	ds_bpermute_b32 v50, v45, v51
	s_wait_dscnt 0x0
	v_add_f32_e32 v50, v51, v50
	ds_bpermute_b32 v51, v46, v50
	s_and_saveexec_b32 s5, vcc_lo
	s_cbranch_execz .LBB24_9
; %bb.11:                               ;   in Loop: Header=BB24_10 Depth=1
	s_wait_dscnt 0x0
	v_add_f32_e32 v50, v50, v51
	v_add_nc_u32_e32 v52, s24, v47
	v_cmp_gt_i32_e64 s4, s13, v47
	s_delay_alu instid0(VALU_DEP_2) | instskip(NEXT) | instid1(VALU_DEP_1)
	v_cvt_f32_i32_e32 v52, v52
	v_mul_f32_e32 v52, s6, v52
	s_delay_alu instid0(VALU_DEP_1) | instskip(NEXT) | instid1(VALU_DEP_1)
	v_cndmask_b32_e64 v51, 0, v52, s3
	v_dual_max_num_f32 v52, v41, v41 :: v_dual_fmac_f32 v51, s7, v50
	s_delay_alu instid0(VALU_DEP_1) | instskip(SKIP_2) | instid1(VALU_DEP_2)
	v_max_num_f32_e32 v50, v52, v51
	s_wait_alu 0xf1ff
	v_cndmask_b32_e64 v51, 0, v51, s4
	v_cndmask_b32_e64 v41, v41, v50, s4
	ds_store_b32 v48, v51
	s_branch .LBB24_9
.LBB24_12:
	s_or_b32 exec_lo, exec_lo, s10
.LBB24_13:
	s_delay_alu instid0(SALU_CYCLE_1)
	s_or_b32 exec_lo, exec_lo, s11
	v_xor_b32_e32 v1, 16, v37
	v_xor_b32_e32 v3, 8, v37
	v_max_num_f32_e32 v5, v41, v41
	s_clause 0x2
	s_load_b128 s[4:7], s[0:1], 0x0
	s_load_b64 s[10:11], s[0:1], 0x10
	s_load_b64 s[24:25], s[0:1], 0x28
	v_cmp_lt_i32_e32 vcc_lo, v1, v42
	s_wait_alu 0xfffd
	v_cndmask_b32_e32 v1, v37, v1, vcc_lo
	v_cmp_lt_i32_e32 vcc_lo, v3, v42
	s_wait_alu 0xfffd
	v_cndmask_b32_e32 v3, v37, v3, vcc_lo
	s_delay_alu instid0(VALU_DEP_1)
	v_lshlrev_b32_e32 v4, 2, v3
	v_lshlrev_b32_e32 v2, 2, v1
	ds_bpermute_b32 v1, v2, v41
	v_and_b32_e32 v41, 31, v0
	s_wait_dscnt 0x0
	v_max_num_f32_e32 v1, v1, v1
	s_delay_alu instid0(VALU_DEP_1)
	v_max_num_f32_e32 v1, v5, v1
	v_xor_b32_e32 v5, 4, v37
	ds_bpermute_b32 v3, v4, v1
	v_cmp_lt_i32_e32 vcc_lo, v5, v42
	s_wait_alu 0xfffd
	v_cndmask_b32_e32 v5, v37, v5, vcc_lo
	v_cmp_eq_u32_e32 vcc_lo, 0, v41
	s_delay_alu instid0(VALU_DEP_2) | instskip(SKIP_3) | instid1(VALU_DEP_1)
	v_lshlrev_b32_e32 v7, 2, v5
	v_lshlrev_b32_e32 v5, 2, v39
	s_wait_dscnt 0x0
	v_max_num_f32_e32 v3, v3, v3
	v_max_num_f32_e32 v1, v1, v3
	ds_bpermute_b32 v3, v7, v1
	s_and_saveexec_b32 s0, vcc_lo
	s_cbranch_execz .LBB24_15
; %bb.14:
	s_wait_dscnt 0x0
	v_max_num_f32_e32 v3, v3, v3
	v_max_num_f32_e32 v1, v1, v1
	s_delay_alu instid0(VALU_DEP_1)
	v_max_num_f32_e32 v1, v1, v3
	ds_store_b32 v5, v1 offset:512
.LBB24_15:
	s_or_b32 exec_lo, exec_lo, s0
	v_cmp_gt_u32_e64 s0, 4, v41
	v_dual_mov_b32 v1, 0xff7fffff :: v_dual_lshlrev_b32 v6, 2, v41
	s_wait_loadcnt_dscnt 0x0
	s_barrier_signal -1
	s_barrier_wait -1
	global_inv scope:SCOPE_SE
	s_and_saveexec_b32 s1, s0
; %bb.16:
	ds_load_b32 v1, v6 offset:512
; %bb.17:
	s_or_b32 exec_lo, exec_lo, s1
	v_xor_b32_e32 v3, 2, v37
	v_xor_b32_e32 v9, 1, v37
	s_delay_alu instid0(VALU_DEP_2) | instskip(NEXT) | instid1(VALU_DEP_1)
	v_cmp_lt_i32_e64 s1, v3, v42
	v_cndmask_b32_e64 v3, v37, v3, s1
	s_delay_alu instid0(VALU_DEP_3) | instskip(NEXT) | instid1(VALU_DEP_2)
	v_cmp_lt_i32_e64 s1, v9, v42
	v_lshlrev_b32_e32 v8, 2, v3
	s_wait_alu 0xf1ff
	s_delay_alu instid0(VALU_DEP_2)
	v_cndmask_b32_e64 v9, v37, v9, s1
	s_sub_co_i32 s1, s15, s28
	s_wait_alu 0xfffe
	s_lshl_b32 s1, s1, 3
	s_wait_dscnt 0x0
	ds_bpermute_b32 v3, v8, v1
	v_max_num_f32_e32 v1, v1, v1
	s_wait_alu 0xfffe
	s_add_co_i32 s1, s1, s12
	v_lshlrev_b32_e32 v42, 2, v9
	s_wait_alu 0xfffe
	s_min_i32 s1, s1, s13
	v_mov_b32_e32 v9, 0
	s_wait_alu 0xfffe
	s_sub_co_i32 s23, s1, s12
	s_wait_alu 0xfffe
	v_cmp_gt_i32_e64 s1, s23, v0
	s_wait_dscnt 0x0
	v_max_num_f32_e32 v3, v3, v3
	s_delay_alu instid0(VALU_DEP_1) | instskip(SKIP_3) | instid1(VALU_DEP_1)
	v_max_num_f32_e32 v1, v1, v3
	ds_bpermute_b32 v3, v42, v1
	s_wait_dscnt 0x0
	v_max_num_f32_e32 v3, v3, v3
	v_max_num_f32_e32 v1, v1, v3
	v_lshlrev_b32_e32 v3, 2, v38
	ds_bpermute_b32 v1, v3, v1
	v_lshl_add_u32 v3, v0, 2, 0x220
	s_and_saveexec_b32 s28, s1
	s_cbranch_execz .LBB24_21
; %bb.18:
	v_lshl_add_u32 v10, v0, 2, 0x220
	v_mov_b32_e32 v9, 0
	v_mov_b32_e32 v11, v0
	s_mov_b32 s29, 0
.LBB24_19:                              ; =>This Inner Loop Header: Depth=1
	ds_load_b32 v12, v10
	v_add_nc_u32_e32 v11, 0x80, v11
	s_delay_alu instid0(VALU_DEP_1) | instskip(SKIP_4) | instid1(VALU_DEP_1)
	v_cmp_le_i32_e64 s3, s23, v11
	s_wait_alu 0xfffe
	s_or_b32 s29, s3, s29
	s_wait_dscnt 0x0
	v_sub_f32_e32 v12, v12, v1
	v_mul_f32_e32 v12, 0x3fb8aa3b, v12
	s_delay_alu instid0(VALU_DEP_1)
	v_exp_f32_e32 v12, v12
	ds_store_b32 v10, v12
	v_dual_add_f32 v9, v9, v12 :: v_dual_add_nc_u32 v10, 0x200, v10
	s_wait_alu 0xfffe
	s_and_not1_b32 exec_lo, exec_lo, s29
	s_cbranch_execnz .LBB24_19
; %bb.20:
	s_or_b32 exec_lo, exec_lo, s29
.LBB24_21:
	s_wait_alu 0xfffe
	s_or_b32 exec_lo, exec_lo, s28
	ds_bpermute_b32 v2, v2, v9
	s_wait_dscnt 0x0
	v_add_f32_e32 v2, v9, v2
	ds_bpermute_b32 v4, v4, v2
	s_wait_dscnt 0x0
	v_add_f32_e32 v2, v2, v4
	;; [unrolled: 3-line block ×5, first 2 shown]
	s_and_saveexec_b32 s3, vcc_lo
; %bb.22:
	ds_store_b32 v5, v2 offset:528
; %bb.23:
	s_wait_alu 0xfffe
	s_or_b32 exec_lo, exec_lo, s3
	s_wait_loadcnt_dscnt 0x0
	s_barrier_signal -1
	s_barrier_wait -1
	global_inv scope:SCOPE_SE
	s_and_saveexec_b32 s3, s0
; %bb.24:
	ds_load_b32 v2, v6 offset:528
; %bb.25:
	s_wait_alu 0xfffe
	s_or_b32 exec_lo, exec_lo, s3
	s_wait_dscnt 0x0
	ds_bpermute_b32 v4, v8, v2
	s_wait_dscnt 0x0
	v_dual_add_f32 v2, v2, v4 :: v_dual_lshlrev_b32 v5, 2, v37
	ds_bpermute_b32 v4, v42, v2
	s_wait_dscnt 0x0
	v_add_f32_e32 v2, v2, v4
	v_and_b32_e32 v4, 0xffffff80, v5
	ds_bpermute_b32 v2, v4, v2
	s_and_saveexec_b32 s0, s1
	s_cbranch_execz .LBB24_28
; %bb.26:
	s_wait_dscnt 0x0
	v_add_f32_e32 v4, 0x358637bd, v2
	s_mov_b32 s1, 0
	s_delay_alu instid0(VALU_DEP_1) | instskip(SKIP_1) | instid1(VALU_DEP_2)
	v_div_scale_f32 v5, null, v4, v4, 1.0
	v_div_scale_f32 v8, vcc_lo, 1.0, v4, 1.0
	v_rcp_f32_e32 v6, v5
	s_delay_alu instid0(TRANS32_DEP_1) | instskip(NEXT) | instid1(VALU_DEP_1)
	v_fma_f32 v7, -v5, v6, 1.0
	v_fmac_f32_e32 v6, v7, v6
	s_delay_alu instid0(VALU_DEP_1) | instskip(NEXT) | instid1(VALU_DEP_1)
	v_mul_f32_e32 v7, v8, v6
	v_fma_f32 v9, -v5, v7, v8
	s_delay_alu instid0(VALU_DEP_1) | instskip(NEXT) | instid1(VALU_DEP_1)
	v_fmac_f32_e32 v7, v9, v6
	v_fma_f32 v5, -v5, v7, v8
	s_wait_alu 0xfffd
	s_delay_alu instid0(VALU_DEP_1) | instskip(NEXT) | instid1(VALU_DEP_1)
	v_div_fmas_f32 v5, v5, v6, v7
	v_div_fixup_f32 v4, v5, v4, 1.0
	v_mov_b32_e32 v5, v0
.LBB24_27:                              ; =>This Inner Loop Header: Depth=1
	ds_load_b32 v6, v3
	s_wait_dscnt 0x0
	v_dual_mul_f32 v6, v4, v6 :: v_dual_add_nc_u32 v5, 0x80, v5
	s_delay_alu instid0(VALU_DEP_1)
	v_cmp_le_i32_e32 vcc_lo, s23, v5
	ds_store_b32 v3, v6
	v_add_nc_u32_e32 v3, 0x200, v3
	s_wait_alu 0xfffe
	s_or_b32 s1, vcc_lo, s1
	s_wait_alu 0xfffe
	s_and_not1_b32 exec_lo, exec_lo, s1
	s_cbranch_execnz .LBB24_27
.LBB24_28:
	s_wait_alu 0xfffe
	s_or_b32 exec_lo, exec_lo, s0
	s_wait_kmcnt 0x0
	s_mul_i32 s0, s8, s16
	s_wait_loadcnt_dscnt 0x0
	s_wait_alu 0xfffe
	s_mul_i32 s16, s0, s17
	s_mov_b32 s0, exec_lo
	s_barrier_signal -1
	s_barrier_wait -1
	global_inv scope:SCOPE_SE
	v_cmpx_eq_u32_e32 0, v0
	s_cbranch_execz .LBB24_30
; %bb.29:
	s_ashr_i32 s17, s16, 31
	s_wait_alu 0xfffe
	s_mul_i32 s28, s8, ttmp9
	s_lshl_b32 s1, s26, 2
	s_lshl_b64 s[30:31], s[16:17], 2
	s_wait_alu 0xfffe
	s_ashr_i32 s29, s28, 31
	v_mov_b32_e32 v3, s1
	s_add_nc_u64 s[6:7], s[6:7], s[30:31]
	s_wait_alu 0xfffe
	s_lshl_b64 s[28:29], s[28:29], 2
	s_add_nc_u64 s[4:5], s[4:5], s[30:31]
	s_wait_alu 0xfffe
	s_add_nc_u64 s[6:7], s[6:7], s[28:29]
	s_add_nc_u64 s[4:5], s[4:5], s[28:29]
	s_clause 0x1
	global_store_b32 v3, v1, s[6:7]
	global_store_b32 v3, v2, s[4:5]
.LBB24_30:
	s_wait_alu 0xfffe
	s_or_b32 exec_lo, exec_lo, s0
	v_dual_mov_b32 v49, 0 :: v_dual_mov_b32 v50, 0
	v_dual_mov_b32 v48, 0 :: v_dual_and_b32 v43, 1, v0
	v_dual_mov_b32 v51, 0 :: v_dual_mov_b32 v46, 0
	v_dual_mov_b32 v47, 0 :: v_dual_mov_b32 v44, 0
	v_mov_b32_e32 v45, 0
	s_and_saveexec_b32 s1, s2
	s_cbranch_execz .LBB24_50
; %bb.31:
	v_dual_mov_b32 v44, 0 :: v_dual_lshlrev_b32 v1, 4, v0
	s_ashr_i32 s23, s22, 31
	v_dual_mov_b32 v46, 0 :: v_dual_lshlrev_b32 v3, 4, v43
	s_delay_alu instid0(VALU_DEP_2)
	v_dual_mov_b32 v48, 0 :: v_dual_and_b32 v1, 0x1f0, v1
	s_wait_alu 0xfffe
	s_lshl_b64 s[2:3], s[22:23], 2
	v_dual_mov_b32 v45, 0 :: v_dual_and_b32 v2, 4, v35
	s_wait_alu 0xfffe
	s_add_nc_u64 s[2:3], s[24:25], s[2:3]
	v_lshl_add_u32 v4, v39, 3, s12
	s_wait_alu 0xfffe
	v_add_co_u32 v52, s0, s2, v1
	s_wait_alu 0xf1ff
	v_add_co_ci_u32_e64 v53, null, s3, 0, s0
	s_lshl_b64 s[2:3], s[18:19], 2
	v_lshl_or_b32 v3, v39, 5, v3
	s_wait_alu 0xfffe
	s_add_nc_u64 s[2:3], s[20:21], s[2:3]
	v_add3_u32 v54, v4, v2, 3
	s_wait_alu 0xfffe
	v_add_co_u32 v37, s0, s2, v36
	v_dual_mov_b32 v50, 0 :: v_dual_add_nc_u32 v55, 0x220, v3
	s_wait_alu 0xf1ff
	v_add_co_ci_u32_e64 v38, null, s3, 0, s0
	v_mov_b32_e32 v47, 0
	v_mov_b32_e32 v51, 0
	;; [unrolled: 1-line block ×3, first 2 shown]
	s_mov_b32 s2, s9
	s_add_co_i32 s27, s27, -1
	s_mov_b32 s3, 0
	s_branch .LBB24_33
.LBB24_32:                              ;   in Loop: Header=BB24_33 Depth=1
	s_wait_alu 0xfffe
	s_or_b32 exec_lo, exec_lo, s0
	s_wait_loadcnt_dscnt 0x100
	v_dual_mul_f32 v29, v1, v29 :: v_dual_add_nc_u32 v40, 4, v40
	v_dual_mul_f32 v25, v1, v25 :: v_dual_add_nc_u32 v54, 32, v54
	v_mul_f32_e32 v21, v1, v21
	v_mul_f32_e32 v17, v1, v17
	;; [unrolled: 1-line block ×5, first 2 shown]
	s_wait_loadcnt 0x0
	v_mul_f32_e32 v1, v1, v33
	v_fmac_f32_e32 v17, v2, v18
	v_fmac_f32_e32 v13, v2, v14
	;; [unrolled: 1-line block ×16, first 2 shown]
	v_dual_fmac_f32 v5, v3, v7 :: v_dual_add_f32 v48, v48, v17
	v_add_f32_e32 v50, v50, v13
	s_delay_alu instid0(VALU_DEP_3)
	v_dual_add_f32 v44, v44, v1 :: v_dual_fmac_f32 v25, v3, v27
	v_fmac_f32_e32 v21, v4, v24
	v_fmac_f32_e32 v9, v4, v12
	;; [unrolled: 1-line block ×3, first 2 shown]
	v_cmp_le_i32_e32 vcc_lo, s15, v40
	v_fmac_f32_e32 v25, v4, v28
	v_fmac_f32_e32 v29, v3, v31
	v_add_co_u32 v37, s0, v37, 16
	v_add_f32_e32 v47, v47, v21
	s_delay_alu instid0(VALU_DEP_3)
	v_dual_add_f32 v46, v46, v25 :: v_dual_fmac_f32 v29, v4, v32
	v_add_f32_e32 v51, v51, v9
	v_add_f32_e32 v49, v49, v5
	v_add_nc_u32_e32 v55, 0x80, v55
	s_wait_alu 0xf1ff
	v_add_co_ci_u32_e64 v38, null, 0, v38, s0
	v_add_f32_e32 v45, v45, v29
	s_or_b32 s3, vcc_lo, s3
	s_wait_alu 0xfffe
	s_and_not1_b32 exec_lo, exec_lo, s3
	s_cbranch_execz .LBB24_49
.LBB24_33:                              ; =>This Inner Loop Header: Depth=1
	global_load_b32 v1, v[37:38], off
	v_add_nc_u32_e32 v56, -3, v54
	v_add_nc_u32_e32 v58, -2, v54
	v_add_nc_u32_e32 v57, -1, v54
	s_wait_loadcnt 0x0
	s_wait_alu 0xfffe
	v_mad_co_i64_i32 v[1:2], null, v1, s2, 0
	s_delay_alu instid0(VALU_DEP_1) | instskip(NEXT) | instid1(VALU_DEP_1)
	v_lshlrev_b64_e32 v[1:2], 2, v[1:2]
	v_add_co_u32 v33, vcc_lo, v52, v1
	s_wait_alu 0xfffd
	s_delay_alu instid0(VALU_DEP_2)
	v_add_co_ci_u32_e64 v34, null, v53, v2, vcc_lo
	ds_load_b128 v[1:4], v55
	v_cmp_eq_u32_e32 vcc_lo, s27, v40
	global_load_b128 v[5:8], v[33:34], off
	s_and_saveexec_b32 s4, vcc_lo
	s_cbranch_execnz .LBB24_41
; %bb.34:                               ;   in Loop: Header=BB24_33 Depth=1
	s_wait_alu 0xfffe
	s_or_b32 exec_lo, exec_lo, s4
	global_load_b128 v[9:12], v[33:34], off offset:512
	s_and_saveexec_b32 s4, vcc_lo
	s_cbranch_execnz .LBB24_42
.LBB24_35:                              ;   in Loop: Header=BB24_33 Depth=1
	s_wait_alu 0xfffe
	s_or_b32 exec_lo, exec_lo, s4
	global_load_b128 v[13:16], v[33:34], off offset:1024
	s_and_saveexec_b32 s4, vcc_lo
	s_cbranch_execnz .LBB24_43
.LBB24_36:                              ;   in Loop: Header=BB24_33 Depth=1
	s_wait_alu 0xfffe
	s_or_b32 exec_lo, exec_lo, s4
	global_load_b128 v[17:20], v[33:34], off offset:1536
	s_and_saveexec_b32 s4, vcc_lo
	s_cbranch_execnz .LBB24_44
.LBB24_37:                              ;   in Loop: Header=BB24_33 Depth=1
	s_wait_alu 0xfffe
	s_or_b32 exec_lo, exec_lo, s4
	global_load_b128 v[21:24], v[33:34], off offset:2048
	s_and_saveexec_b32 s4, vcc_lo
	s_cbranch_execnz .LBB24_45
.LBB24_38:                              ;   in Loop: Header=BB24_33 Depth=1
	s_wait_alu 0xfffe
	s_or_b32 exec_lo, exec_lo, s4
	global_load_b128 v[25:28], v[33:34], off offset:2560
	s_and_saveexec_b32 s4, vcc_lo
	s_cbranch_execnz .LBB24_46
.LBB24_39:                              ;   in Loop: Header=BB24_33 Depth=1
	s_wait_alu 0xfffe
	s_or_b32 exec_lo, exec_lo, s4
	global_load_b128 v[29:32], v[33:34], off offset:3072
	s_and_saveexec_b32 s4, vcc_lo
	s_cbranch_execnz .LBB24_47
.LBB24_40:                              ;   in Loop: Header=BB24_33 Depth=1
	s_wait_alu 0xfffe
	s_or_b32 exec_lo, exec_lo, s4
	global_load_b128 v[33:36], v[33:34], off offset:3584
	s_and_saveexec_b32 s0, vcc_lo
	s_cbranch_execz .LBB24_32
	s_branch .LBB24_48
.LBB24_41:                              ;   in Loop: Header=BB24_33 Depth=1
	v_cmp_gt_i32_e64 s0, s13, v56
	s_wait_loadcnt 0x0
	s_wait_alu 0xf1ff
	s_delay_alu instid0(VALU_DEP_1) | instskip(SKIP_2) | instid1(VALU_DEP_1)
	v_cndmask_b32_e64 v5, 0, v5, s0
	v_cmp_gt_i32_e64 s0, s13, v58
	s_wait_alu 0xf1ff
	v_cndmask_b32_e64 v6, 0, v6, s0
	v_cmp_gt_i32_e64 s0, s13, v57
	s_wait_alu 0xf1ff
	s_delay_alu instid0(VALU_DEP_1) | instskip(SKIP_2) | instid1(VALU_DEP_1)
	v_cndmask_b32_e64 v7, 0, v7, s0
	v_cmp_gt_i32_e64 s0, s13, v54
	s_wait_alu 0xf1ff
	v_cndmask_b32_e64 v8, 0, v8, s0
	s_wait_alu 0xfffe
	s_or_b32 exec_lo, exec_lo, s4
	global_load_b128 v[9:12], v[33:34], off offset:512
	s_and_saveexec_b32 s4, vcc_lo
	s_cbranch_execz .LBB24_35
.LBB24_42:                              ;   in Loop: Header=BB24_33 Depth=1
	v_cmp_gt_i32_e64 s0, s13, v56
	s_wait_loadcnt 0x0
	s_wait_alu 0xf1ff
	s_delay_alu instid0(VALU_DEP_1) | instskip(SKIP_2) | instid1(VALU_DEP_1)
	v_cndmask_b32_e64 v9, 0, v9, s0
	v_cmp_gt_i32_e64 s0, s13, v58
	s_wait_alu 0xf1ff
	v_cndmask_b32_e64 v10, 0, v10, s0
	v_cmp_gt_i32_e64 s0, s13, v57
	s_wait_alu 0xf1ff
	s_delay_alu instid0(VALU_DEP_1) | instskip(SKIP_2) | instid1(VALU_DEP_1)
	v_cndmask_b32_e64 v11, 0, v11, s0
	v_cmp_gt_i32_e64 s0, s13, v54
	s_wait_alu 0xf1ff
	v_cndmask_b32_e64 v12, 0, v12, s0
	s_wait_alu 0xfffe
	s_or_b32 exec_lo, exec_lo, s4
	global_load_b128 v[13:16], v[33:34], off offset:1024
	s_and_saveexec_b32 s4, vcc_lo
	s_cbranch_execz .LBB24_36
.LBB24_43:                              ;   in Loop: Header=BB24_33 Depth=1
	v_cmp_gt_i32_e64 s0, s13, v56
	s_wait_loadcnt 0x0
	s_wait_alu 0xf1ff
	s_delay_alu instid0(VALU_DEP_1) | instskip(SKIP_2) | instid1(VALU_DEP_1)
	v_cndmask_b32_e64 v13, 0, v13, s0
	v_cmp_gt_i32_e64 s0, s13, v58
	s_wait_alu 0xf1ff
	v_cndmask_b32_e64 v14, 0, v14, s0
	v_cmp_gt_i32_e64 s0, s13, v57
	s_wait_alu 0xf1ff
	s_delay_alu instid0(VALU_DEP_1) | instskip(SKIP_2) | instid1(VALU_DEP_1)
	v_cndmask_b32_e64 v15, 0, v15, s0
	v_cmp_gt_i32_e64 s0, s13, v54
	s_wait_alu 0xf1ff
	v_cndmask_b32_e64 v16, 0, v16, s0
	s_wait_alu 0xfffe
	s_or_b32 exec_lo, exec_lo, s4
	global_load_b128 v[17:20], v[33:34], off offset:1536
	s_and_saveexec_b32 s4, vcc_lo
	s_cbranch_execz .LBB24_37
.LBB24_44:                              ;   in Loop: Header=BB24_33 Depth=1
	v_cmp_gt_i32_e64 s0, s13, v56
	s_wait_loadcnt 0x0
	s_wait_alu 0xf1ff
	s_delay_alu instid0(VALU_DEP_1) | instskip(SKIP_2) | instid1(VALU_DEP_1)
	v_cndmask_b32_e64 v17, 0, v17, s0
	v_cmp_gt_i32_e64 s0, s13, v58
	s_wait_alu 0xf1ff
	v_cndmask_b32_e64 v18, 0, v18, s0
	v_cmp_gt_i32_e64 s0, s13, v57
	s_wait_alu 0xf1ff
	s_delay_alu instid0(VALU_DEP_1) | instskip(SKIP_2) | instid1(VALU_DEP_1)
	v_cndmask_b32_e64 v19, 0, v19, s0
	v_cmp_gt_i32_e64 s0, s13, v54
	s_wait_alu 0xf1ff
	v_cndmask_b32_e64 v20, 0, v20, s0
	s_wait_alu 0xfffe
	s_or_b32 exec_lo, exec_lo, s4
	global_load_b128 v[21:24], v[33:34], off offset:2048
	s_and_saveexec_b32 s4, vcc_lo
	s_cbranch_execz .LBB24_38
.LBB24_45:                              ;   in Loop: Header=BB24_33 Depth=1
	v_cmp_gt_i32_e64 s0, s13, v56
	s_wait_loadcnt 0x0
	s_wait_alu 0xf1ff
	s_delay_alu instid0(VALU_DEP_1) | instskip(SKIP_2) | instid1(VALU_DEP_1)
	v_cndmask_b32_e64 v21, 0, v21, s0
	v_cmp_gt_i32_e64 s0, s13, v58
	s_wait_alu 0xf1ff
	v_cndmask_b32_e64 v22, 0, v22, s0
	v_cmp_gt_i32_e64 s0, s13, v57
	s_wait_alu 0xf1ff
	s_delay_alu instid0(VALU_DEP_1) | instskip(SKIP_2) | instid1(VALU_DEP_1)
	v_cndmask_b32_e64 v23, 0, v23, s0
	v_cmp_gt_i32_e64 s0, s13, v54
	s_wait_alu 0xf1ff
	v_cndmask_b32_e64 v24, 0, v24, s0
	s_wait_alu 0xfffe
	s_or_b32 exec_lo, exec_lo, s4
	global_load_b128 v[25:28], v[33:34], off offset:2560
	s_and_saveexec_b32 s4, vcc_lo
	s_cbranch_execz .LBB24_39
.LBB24_46:                              ;   in Loop: Header=BB24_33 Depth=1
	v_cmp_gt_i32_e64 s0, s13, v56
	s_wait_loadcnt 0x0
	s_wait_alu 0xf1ff
	s_delay_alu instid0(VALU_DEP_1) | instskip(SKIP_2) | instid1(VALU_DEP_1)
	v_cndmask_b32_e64 v25, 0, v25, s0
	v_cmp_gt_i32_e64 s0, s13, v58
	s_wait_alu 0xf1ff
	v_cndmask_b32_e64 v26, 0, v26, s0
	v_cmp_gt_i32_e64 s0, s13, v57
	s_wait_alu 0xf1ff
	s_delay_alu instid0(VALU_DEP_1) | instskip(SKIP_2) | instid1(VALU_DEP_1)
	v_cndmask_b32_e64 v27, 0, v27, s0
	v_cmp_gt_i32_e64 s0, s13, v54
	s_wait_alu 0xf1ff
	v_cndmask_b32_e64 v28, 0, v28, s0
	s_wait_alu 0xfffe
	s_or_b32 exec_lo, exec_lo, s4
	global_load_b128 v[29:32], v[33:34], off offset:3072
	s_and_saveexec_b32 s4, vcc_lo
	s_cbranch_execz .LBB24_40
.LBB24_47:                              ;   in Loop: Header=BB24_33 Depth=1
	v_cmp_gt_i32_e64 s0, s13, v56
	s_wait_loadcnt 0x0
	s_wait_alu 0xf1ff
	s_delay_alu instid0(VALU_DEP_1) | instskip(SKIP_2) | instid1(VALU_DEP_1)
	v_cndmask_b32_e64 v29, 0, v29, s0
	v_cmp_gt_i32_e64 s0, s13, v58
	s_wait_alu 0xf1ff
	v_cndmask_b32_e64 v30, 0, v30, s0
	v_cmp_gt_i32_e64 s0, s13, v57
	s_wait_alu 0xf1ff
	s_delay_alu instid0(VALU_DEP_1) | instskip(SKIP_2) | instid1(VALU_DEP_1)
	v_cndmask_b32_e64 v31, 0, v31, s0
	v_cmp_gt_i32_e64 s0, s13, v54
	s_wait_alu 0xf1ff
	v_cndmask_b32_e64 v32, 0, v32, s0
	s_wait_alu 0xfffe
	s_or_b32 exec_lo, exec_lo, s4
	global_load_b128 v[33:36], v[33:34], off offset:3584
	s_and_saveexec_b32 s0, vcc_lo
	s_cbranch_execz .LBB24_32
.LBB24_48:                              ;   in Loop: Header=BB24_33 Depth=1
	v_cmp_gt_i32_e32 vcc_lo, s13, v56
	s_wait_loadcnt 0x0
	s_wait_alu 0xfffd
	v_cndmask_b32_e32 v33, 0, v33, vcc_lo
	v_cmp_gt_i32_e32 vcc_lo, s13, v58
	s_wait_alu 0xfffd
	v_cndmask_b32_e32 v34, 0, v34, vcc_lo
	v_cmp_gt_i32_e32 vcc_lo, s13, v57
	;; [unrolled: 3-line block ×3, first 2 shown]
	s_wait_alu 0xfffd
	v_cndmask_b32_e32 v36, 0, v36, vcc_lo
	s_branch .LBB24_32
.LBB24_49:
	s_or_b32 exec_lo, exec_lo, s3
.LBB24_50:
	s_wait_alu 0xfffe
	s_or_b32 exec_lo, exec_lo, s1
	ds_bpermute_b32 v1, v42, v49
	ds_bpermute_b32 v2, v42, v51
	;; [unrolled: 1-line block ×8, first 2 shown]
	v_lshrrev_b32_e32 v9, 1, v41
	v_lshlrev_b32_e32 v11, 9, v39
	v_and_b32_e32 v12, 0x3c1, v0
	s_mov_b32 s0, exec_lo
	s_wait_storecnt 0x0
	s_wait_loadcnt_dscnt 0x0
	v_lshl_add_u32 v10, v9, 2, 0x220
	s_barrier_signal -1
	s_barrier_wait -1
	global_inv scope:SCOPE_SE
	v_dual_add_f32 v1, v49, v1 :: v_dual_add_f32 v2, v51, v2
	v_dual_add_f32 v3, v50, v3 :: v_dual_add_f32 v4, v48, v4
	v_dual_add_f32 v5, v47, v5 :: v_dual_add_f32 v6, v46, v6
	v_dual_add_f32 v7, v45, v7 :: v_dual_add_f32 v8, v44, v8
	v_cmpx_eq_u32_e32 64, v12
	s_cbranch_execz .LBB24_52
; %bb.51:
	v_add_nc_u32_e32 v12, v10, v11
	s_delay_alu instid0(VALU_DEP_1)
	v_add_nc_u32_e32 v13, 0xfffffc00, v12
	v_add_nc_u32_e32 v14, 0xfffffc40, v12
	;; [unrolled: 1-line block ×8, first 2 shown]
	ds_store_b32 v13, v1
	ds_store_b32 v14, v2
	;; [unrolled: 1-line block ×8, first 2 shown]
.LBB24_52:
	s_wait_alu 0xfffe
	s_or_b32 exec_lo, exec_lo, s0
	v_lshlrev_b32_e32 v9, 2, v9
	s_mov_b32 s1, exec_lo
	v_cmp_eq_u32_e32 vcc_lo, 0, v43
	s_wait_loadcnt_dscnt 0x0
	s_barrier_signal -1
	v_add3_u32 v9, 0x220, v11, v9
	s_barrier_wait -1
	global_inv scope:SCOPE_SE
	v_cmpx_gt_u32_e32 64, v0
	s_cbranch_execz .LBB24_63
; %bb.53:
	s_and_saveexec_b32 s0, vcc_lo
	s_cbranch_execnz .LBB24_79
; %bb.54:
	s_wait_alu 0xfffe
	s_or_b32 exec_lo, exec_lo, s0
	s_and_saveexec_b32 s0, vcc_lo
	s_cbranch_execnz .LBB24_80
.LBB24_55:
	s_wait_alu 0xfffe
	s_or_b32 exec_lo, exec_lo, s0
	s_and_saveexec_b32 s0, vcc_lo
	s_cbranch_execnz .LBB24_81
.LBB24_56:
	s_wait_alu 0xfffe
	s_or_b32 exec_lo, exec_lo, s0
	s_and_saveexec_b32 s0, vcc_lo
	s_cbranch_execnz .LBB24_82
.LBB24_57:
	s_wait_alu 0xfffe
	s_or_b32 exec_lo, exec_lo, s0
	s_and_saveexec_b32 s0, vcc_lo
	s_cbranch_execnz .LBB24_83
.LBB24_58:
	s_wait_alu 0xfffe
	s_or_b32 exec_lo, exec_lo, s0
	s_and_saveexec_b32 s0, vcc_lo
	s_cbranch_execnz .LBB24_84
.LBB24_59:
	s_wait_alu 0xfffe
	s_or_b32 exec_lo, exec_lo, s0
	s_and_saveexec_b32 s0, vcc_lo
	s_cbranch_execnz .LBB24_85
.LBB24_60:
	s_wait_alu 0xfffe
	s_or_b32 exec_lo, exec_lo, s0
	s_and_saveexec_b32 s0, vcc_lo
	s_cbranch_execz .LBB24_62
.LBB24_61:
	ds_load_b32 v11, v9 offset:448
	s_wait_dscnt 0x0
	v_add_f32_e32 v8, v8, v11
.LBB24_62:
	s_wait_alu 0xfffe
	s_or_b32 exec_lo, exec_lo, s0
.LBB24_63:
	s_wait_alu 0xfffe
	s_or_b32 exec_lo, exec_lo, s1
	v_and_b32_e32 v11, 0x3e1, v0
	s_mov_b32 s1, exec_lo
	s_wait_loadcnt 0x0
	s_barrier_signal -1
	s_barrier_wait -1
	global_inv scope:SCOPE_SE
	v_cmpx_eq_u32_e32 32, v11
	s_cbranch_execz .LBB24_65
; %bb.64:
	ds_store_2addr_b32 v10, v1, v2 offset1:16
	ds_store_2addr_b32 v10, v3, v4 offset0:32 offset1:48
	ds_store_2addr_b32 v10, v5, v6 offset0:64 offset1:80
	;; [unrolled: 1-line block ×3, first 2 shown]
.LBB24_65:
	s_wait_alu 0xfffe
	s_or_b32 exec_lo, exec_lo, s1
	s_delay_alu instid0(SALU_CYCLE_1)
	s_mov_b32 s1, exec_lo
	s_wait_loadcnt_dscnt 0x0
	s_barrier_signal -1
	s_barrier_wait -1
	global_inv scope:SCOPE_SE
	v_cmpx_gt_u32_e32 32, v0
	s_cbranch_execz .LBB24_76
; %bb.66:
	s_and_saveexec_b32 s0, vcc_lo
	s_cbranch_execnz .LBB24_86
; %bb.67:
	s_wait_alu 0xfffe
	s_or_b32 exec_lo, exec_lo, s0
	s_and_saveexec_b32 s0, vcc_lo
	s_cbranch_execnz .LBB24_87
.LBB24_68:
	s_wait_alu 0xfffe
	s_or_b32 exec_lo, exec_lo, s0
	s_and_saveexec_b32 s0, vcc_lo
	s_cbranch_execnz .LBB24_88
.LBB24_69:
	s_wait_alu 0xfffe
	s_or_b32 exec_lo, exec_lo, s0
	s_and_saveexec_b32 s0, vcc_lo
	s_cbranch_execnz .LBB24_89
.LBB24_70:
	s_wait_alu 0xfffe
	s_or_b32 exec_lo, exec_lo, s0
	s_and_saveexec_b32 s0, vcc_lo
	s_cbranch_execnz .LBB24_90
.LBB24_71:
	s_wait_alu 0xfffe
	s_or_b32 exec_lo, exec_lo, s0
	s_and_saveexec_b32 s0, vcc_lo
	s_cbranch_execnz .LBB24_91
.LBB24_72:
	s_wait_alu 0xfffe
	s_or_b32 exec_lo, exec_lo, s0
	s_and_saveexec_b32 s0, vcc_lo
	s_cbranch_execnz .LBB24_92
.LBB24_73:
	s_wait_alu 0xfffe
	s_or_b32 exec_lo, exec_lo, s0
	s_and_saveexec_b32 s0, vcc_lo
	s_cbranch_execz .LBB24_75
.LBB24_74:
	ds_load_b32 v9, v9 offset:448
	s_wait_dscnt 0x0
	v_add_f32_e32 v8, v8, v9
.LBB24_75:
	s_wait_alu 0xfffe
	s_or_b32 exec_lo, exec_lo, s0
.LBB24_76:
	s_wait_alu 0xfffe
	s_or_b32 exec_lo, exec_lo, s1
	s_mov_b32 s13, 0
	s_wait_loadcnt 0x0
	s_barrier_signal -1
	s_barrier_wait -1
	global_inv scope:SCOPE_SE
	s_mov_b32 s0, exec_lo
	v_cmpx_eq_u32_e32 0, v11
	s_cbranch_execz .LBB24_78
; %bb.77:
	s_lshl_b32 s0, s16, 7
	s_mul_i32 s2, s8, s14
	s_wait_alu 0xfffe
	s_ashr_i32 s1, s0, 31
	s_ashr_i32 s3, s2, 31
	s_wait_alu 0xfffe
	s_lshl_b64 s[0:1], s[0:1], 2
	s_lshl_b64 s[2:3], s[2:3], 2
	s_wait_alu 0xfffe
	s_add_nc_u64 s[0:1], s[10:11], s[0:1]
	v_lshlrev_b32_e32 v0, 1, v0
	s_wait_alu 0xfffe
	s_add_nc_u64 s[0:1], s[0:1], s[2:3]
	s_wait_alu 0xfffe
	s_add_nc_u64 s[0:1], s[0:1], s[12:13]
	s_clause 0x7
	global_store_b32 v0, v1, s[0:1]
	global_store_b32 v0, v2, s[0:1] offset:64
	global_store_b32 v0, v3, s[0:1] offset:128
	global_store_b32 v0, v4, s[0:1] offset:192
	global_store_b32 v0, v5, s[0:1] offset:256
	global_store_b32 v0, v6, s[0:1] offset:320
	global_store_b32 v0, v7, s[0:1] offset:384
	global_store_b32 v0, v8, s[0:1] offset:448
.LBB24_78:
	s_endpgm
.LBB24_79:
	ds_load_b32 v11, v9
	s_wait_dscnt 0x0
	v_add_f32_e32 v1, v1, v11
	s_wait_alu 0xfffe
	s_or_b32 exec_lo, exec_lo, s0
	s_and_saveexec_b32 s0, vcc_lo
	s_cbranch_execz .LBB24_55
.LBB24_80:
	ds_load_b32 v11, v9 offset:64
	s_wait_dscnt 0x0
	v_add_f32_e32 v2, v2, v11
	s_wait_alu 0xfffe
	s_or_b32 exec_lo, exec_lo, s0
	s_and_saveexec_b32 s0, vcc_lo
	s_cbranch_execz .LBB24_56
.LBB24_81:
	ds_load_b32 v11, v9 offset:128
	s_wait_dscnt 0x0
	v_add_f32_e32 v3, v3, v11
	s_wait_alu 0xfffe
	s_or_b32 exec_lo, exec_lo, s0
	s_and_saveexec_b32 s0, vcc_lo
	s_cbranch_execz .LBB24_57
.LBB24_82:
	ds_load_b32 v11, v9 offset:192
	s_wait_dscnt 0x0
	v_add_f32_e32 v4, v4, v11
	s_wait_alu 0xfffe
	s_or_b32 exec_lo, exec_lo, s0
	s_and_saveexec_b32 s0, vcc_lo
	s_cbranch_execz .LBB24_58
.LBB24_83:
	ds_load_b32 v11, v9 offset:256
	s_wait_dscnt 0x0
	v_add_f32_e32 v5, v5, v11
	s_wait_alu 0xfffe
	s_or_b32 exec_lo, exec_lo, s0
	s_and_saveexec_b32 s0, vcc_lo
	s_cbranch_execz .LBB24_59
.LBB24_84:
	ds_load_b32 v11, v9 offset:320
	s_wait_dscnt 0x0
	v_add_f32_e32 v6, v6, v11
	s_wait_alu 0xfffe
	s_or_b32 exec_lo, exec_lo, s0
	s_and_saveexec_b32 s0, vcc_lo
	s_cbranch_execz .LBB24_60
.LBB24_85:
	ds_load_b32 v11, v9 offset:384
	s_wait_dscnt 0x0
	v_add_f32_e32 v7, v7, v11
	s_wait_alu 0xfffe
	s_or_b32 exec_lo, exec_lo, s0
	s_and_saveexec_b32 s0, vcc_lo
	s_cbranch_execnz .LBB24_61
	s_branch .LBB24_62
.LBB24_86:
	ds_load_b32 v10, v9
	s_wait_dscnt 0x0
	v_add_f32_e32 v1, v1, v10
	s_wait_alu 0xfffe
	s_or_b32 exec_lo, exec_lo, s0
	s_and_saveexec_b32 s0, vcc_lo
	s_cbranch_execz .LBB24_68
.LBB24_87:
	ds_load_b32 v10, v9 offset:64
	s_wait_dscnt 0x0
	v_add_f32_e32 v2, v2, v10
	s_wait_alu 0xfffe
	s_or_b32 exec_lo, exec_lo, s0
	s_and_saveexec_b32 s0, vcc_lo
	s_cbranch_execz .LBB24_69
.LBB24_88:
	ds_load_b32 v10, v9 offset:128
	s_wait_dscnt 0x0
	v_add_f32_e32 v3, v3, v10
	s_wait_alu 0xfffe
	s_or_b32 exec_lo, exec_lo, s0
	s_and_saveexec_b32 s0, vcc_lo
	s_cbranch_execz .LBB24_70
.LBB24_89:
	ds_load_b32 v10, v9 offset:192
	s_wait_dscnt 0x0
	v_add_f32_e32 v4, v4, v10
	s_wait_alu 0xfffe
	s_or_b32 exec_lo, exec_lo, s0
	s_and_saveexec_b32 s0, vcc_lo
	s_cbranch_execz .LBB24_71
.LBB24_90:
	ds_load_b32 v10, v9 offset:256
	s_wait_dscnt 0x0
	v_add_f32_e32 v5, v5, v10
	s_wait_alu 0xfffe
	s_or_b32 exec_lo, exec_lo, s0
	s_and_saveexec_b32 s0, vcc_lo
	s_cbranch_execz .LBB24_72
.LBB24_91:
	ds_load_b32 v10, v9 offset:320
	s_wait_dscnt 0x0
	v_add_f32_e32 v6, v6, v10
	s_wait_alu 0xfffe
	s_or_b32 exec_lo, exec_lo, s0
	s_and_saveexec_b32 s0, vcc_lo
	s_cbranch_execz .LBB24_73
.LBB24_92:
	ds_load_b32 v10, v9 offset:384
	s_wait_dscnt 0x0
	v_add_f32_e32 v7, v7, v10
	s_wait_alu 0xfffe
	s_or_b32 exec_lo, exec_lo, s0
	s_and_saveexec_b32 s0, vcc_lo
	s_cbranch_execnz .LBB24_74
	s_branch .LBB24_75
	.section	.rodata,"a",@progbits
	.p2align	6, 0x0
	.amdhsa_kernel _ZN4vllm25paged_attention_v2_kernelIffLi128ELi8ELi128ELNS_18Fp8KVCacheDataTypeE0ELb0ELi512EEEvPfS2_PT_PKS3_PKT0_S9_ifPKiSB_iPKfiiiSD_SD_iiiii
		.amdhsa_group_segment_fixed_size 544
		.amdhsa_private_segment_fixed_size 0
		.amdhsa_kernarg_size 400
		.amdhsa_user_sgpr_count 2
		.amdhsa_user_sgpr_dispatch_ptr 0
		.amdhsa_user_sgpr_queue_ptr 0
		.amdhsa_user_sgpr_kernarg_segment_ptr 1
		.amdhsa_user_sgpr_dispatch_id 0
		.amdhsa_user_sgpr_private_segment_size 0
		.amdhsa_wavefront_size32 1
		.amdhsa_uses_dynamic_stack 0
		.amdhsa_enable_private_segment 0
		.amdhsa_system_sgpr_workgroup_id_x 1
		.amdhsa_system_sgpr_workgroup_id_y 1
		.amdhsa_system_sgpr_workgroup_id_z 1
		.amdhsa_system_sgpr_workgroup_info 0
		.amdhsa_system_vgpr_workitem_id 0
		.amdhsa_next_free_vgpr 83
		.amdhsa_next_free_sgpr 32
		.amdhsa_reserve_vcc 1
		.amdhsa_float_round_mode_32 0
		.amdhsa_float_round_mode_16_64 0
		.amdhsa_float_denorm_mode_32 3
		.amdhsa_float_denorm_mode_16_64 3
		.amdhsa_fp16_overflow 0
		.amdhsa_workgroup_processor_mode 1
		.amdhsa_memory_ordered 1
		.amdhsa_forward_progress 1
		.amdhsa_inst_pref_size 50
		.amdhsa_round_robin_scheduling 0
		.amdhsa_exception_fp_ieee_invalid_op 0
		.amdhsa_exception_fp_denorm_src 0
		.amdhsa_exception_fp_ieee_div_zero 0
		.amdhsa_exception_fp_ieee_overflow 0
		.amdhsa_exception_fp_ieee_underflow 0
		.amdhsa_exception_fp_ieee_inexact 0
		.amdhsa_exception_int_div_zero 0
	.end_amdhsa_kernel
	.section	.text._ZN4vllm25paged_attention_v2_kernelIffLi128ELi8ELi128ELNS_18Fp8KVCacheDataTypeE0ELb0ELi512EEEvPfS2_PT_PKS3_PKT0_S9_ifPKiSB_iPKfiiiSD_SD_iiiii,"axG",@progbits,_ZN4vllm25paged_attention_v2_kernelIffLi128ELi8ELi128ELNS_18Fp8KVCacheDataTypeE0ELb0ELi512EEEvPfS2_PT_PKS3_PKT0_S9_ifPKiSB_iPKfiiiSD_SD_iiiii,comdat
.Lfunc_end24:
	.size	_ZN4vllm25paged_attention_v2_kernelIffLi128ELi8ELi128ELNS_18Fp8KVCacheDataTypeE0ELb0ELi512EEEvPfS2_PT_PKS3_PKT0_S9_ifPKiSB_iPKfiiiSD_SD_iiiii, .Lfunc_end24-_ZN4vllm25paged_attention_v2_kernelIffLi128ELi8ELi128ELNS_18Fp8KVCacheDataTypeE0ELb0ELi512EEEvPfS2_PT_PKS3_PKT0_S9_ifPKiSB_iPKfiiiSD_SD_iiiii
                                        ; -- End function
	.set _ZN4vllm25paged_attention_v2_kernelIffLi128ELi8ELi128ELNS_18Fp8KVCacheDataTypeE0ELb0ELi512EEEvPfS2_PT_PKS3_PKT0_S9_ifPKiSB_iPKfiiiSD_SD_iiiii.num_vgpr, 83
	.set _ZN4vllm25paged_attention_v2_kernelIffLi128ELi8ELi128ELNS_18Fp8KVCacheDataTypeE0ELb0ELi512EEEvPfS2_PT_PKS3_PKT0_S9_ifPKiSB_iPKfiiiSD_SD_iiiii.num_agpr, 0
	.set _ZN4vllm25paged_attention_v2_kernelIffLi128ELi8ELi128ELNS_18Fp8KVCacheDataTypeE0ELb0ELi512EEEvPfS2_PT_PKS3_PKT0_S9_ifPKiSB_iPKfiiiSD_SD_iiiii.numbered_sgpr, 32
	.set _ZN4vllm25paged_attention_v2_kernelIffLi128ELi8ELi128ELNS_18Fp8KVCacheDataTypeE0ELb0ELi512EEEvPfS2_PT_PKS3_PKT0_S9_ifPKiSB_iPKfiiiSD_SD_iiiii.num_named_barrier, 0
	.set _ZN4vllm25paged_attention_v2_kernelIffLi128ELi8ELi128ELNS_18Fp8KVCacheDataTypeE0ELb0ELi512EEEvPfS2_PT_PKS3_PKT0_S9_ifPKiSB_iPKfiiiSD_SD_iiiii.private_seg_size, 0
	.set _ZN4vllm25paged_attention_v2_kernelIffLi128ELi8ELi128ELNS_18Fp8KVCacheDataTypeE0ELb0ELi512EEEvPfS2_PT_PKS3_PKT0_S9_ifPKiSB_iPKfiiiSD_SD_iiiii.uses_vcc, 1
	.set _ZN4vllm25paged_attention_v2_kernelIffLi128ELi8ELi128ELNS_18Fp8KVCacheDataTypeE0ELb0ELi512EEEvPfS2_PT_PKS3_PKT0_S9_ifPKiSB_iPKfiiiSD_SD_iiiii.uses_flat_scratch, 0
	.set _ZN4vllm25paged_attention_v2_kernelIffLi128ELi8ELi128ELNS_18Fp8KVCacheDataTypeE0ELb0ELi512EEEvPfS2_PT_PKS3_PKT0_S9_ifPKiSB_iPKfiiiSD_SD_iiiii.has_dyn_sized_stack, 0
	.set _ZN4vllm25paged_attention_v2_kernelIffLi128ELi8ELi128ELNS_18Fp8KVCacheDataTypeE0ELb0ELi512EEEvPfS2_PT_PKS3_PKT0_S9_ifPKiSB_iPKfiiiSD_SD_iiiii.has_recursion, 0
	.set _ZN4vllm25paged_attention_v2_kernelIffLi128ELi8ELi128ELNS_18Fp8KVCacheDataTypeE0ELb0ELi512EEEvPfS2_PT_PKS3_PKT0_S9_ifPKiSB_iPKfiiiSD_SD_iiiii.has_indirect_call, 0
	.section	.AMDGPU.csdata,"",@progbits
; Kernel info:
; codeLenInByte = 6304
; TotalNumSgprs: 34
; NumVgprs: 83
; ScratchSize: 0
; MemoryBound: 0
; FloatMode: 240
; IeeeMode: 1
; LDSByteSize: 544 bytes/workgroup (compile time only)
; SGPRBlocks: 0
; VGPRBlocks: 10
; NumSGPRsForWavesPerEU: 34
; NumVGPRsForWavesPerEU: 83
; Occupancy: 16
; WaveLimiterHint : 1
; COMPUTE_PGM_RSRC2:SCRATCH_EN: 0
; COMPUTE_PGM_RSRC2:USER_SGPR: 2
; COMPUTE_PGM_RSRC2:TRAP_HANDLER: 0
; COMPUTE_PGM_RSRC2:TGID_X_EN: 1
; COMPUTE_PGM_RSRC2:TGID_Y_EN: 1
; COMPUTE_PGM_RSRC2:TGID_Z_EN: 1
; COMPUTE_PGM_RSRC2:TIDIG_COMP_CNT: 0
	.section	.text._ZN4vllm25paged_attention_v2_kernelIffLi192ELi8ELi128ELNS_18Fp8KVCacheDataTypeE0ELb0ELi512EEEvPfS2_PT_PKS3_PKT0_S9_ifPKiSB_iPKfiiiSD_SD_iiiii,"axG",@progbits,_ZN4vllm25paged_attention_v2_kernelIffLi192ELi8ELi128ELNS_18Fp8KVCacheDataTypeE0ELb0ELi512EEEvPfS2_PT_PKS3_PKT0_S9_ifPKiSB_iPKfiiiSD_SD_iiiii,comdat
	.protected	_ZN4vllm25paged_attention_v2_kernelIffLi192ELi8ELi128ELNS_18Fp8KVCacheDataTypeE0ELb0ELi512EEEvPfS2_PT_PKS3_PKT0_S9_ifPKiSB_iPKfiiiSD_SD_iiiii ; -- Begin function _ZN4vllm25paged_attention_v2_kernelIffLi192ELi8ELi128ELNS_18Fp8KVCacheDataTypeE0ELb0ELi512EEEvPfS2_PT_PKS3_PKT0_S9_ifPKiSB_iPKfiiiSD_SD_iiiii
	.globl	_ZN4vllm25paged_attention_v2_kernelIffLi192ELi8ELi128ELNS_18Fp8KVCacheDataTypeE0ELb0ELi512EEEvPfS2_PT_PKS3_PKT0_S9_ifPKiSB_iPKfiiiSD_SD_iiiii
	.p2align	8
	.type	_ZN4vllm25paged_attention_v2_kernelIffLi192ELi8ELi128ELNS_18Fp8KVCacheDataTypeE0ELb0ELi512EEEvPfS2_PT_PKS3_PKT0_S9_ifPKiSB_iPKfiiiSD_SD_iiiii,@function
_ZN4vllm25paged_attention_v2_kernelIffLi192ELi8ELi128ELNS_18Fp8KVCacheDataTypeE0ELb0ELi512EEEvPfS2_PT_PKS3_PKT0_S9_ifPKiSB_iPKfiiiSD_SD_iiiii: ; @_ZN4vllm25paged_attention_v2_kernelIffLi192ELi8ELi128ELNS_18Fp8KVCacheDataTypeE0ELb0ELi512EEEvPfS2_PT_PKS3_PKT0_S9_ifPKiSB_iPKfiiiSD_SD_iiiii
; %bb.0:
	s_load_b64 s[2:3], s[0:1], 0x40
	s_and_b32 s28, ttmp7, 0xffff
	s_lshr_b32 s24, ttmp7, 16
	s_lshl_b32 s4, s28, 2
	s_lshl_b32 s27, s24, 9
	s_wait_kmcnt 0x0
	s_load_b32 s26, s[2:3], s4 offset:0x0
	s_wait_kmcnt 0x0
	s_cmp_ge_i32 s27, s26
	s_cbranch_scc1 .LBB25_95
; %bb.1:
	s_clause 0x1
	s_load_b32 s29, s[0:1], 0x90
	s_load_b64 s[6:7], s[0:1], 0x30
	s_wait_kmcnt 0x0
	s_abs_i32 s5, s29
	s_abs_i32 s2, s6
	s_delay_alu instid0(SALU_CYCLE_1) | instskip(SKIP_1) | instid1(SALU_CYCLE_2)
	s_cvt_f32_u32 s3, s2
	s_sub_co_i32 s4, 0, s2
	v_rcp_iflag_f32_e32 v1, s3
	s_delay_alu instid0(TRANS32_DEP_1) | instskip(SKIP_2) | instid1(SALU_CYCLE_2)
	v_readfirstlane_b32 s3, v1
	s_mul_f32 s3, s3, 0x4f7ffffe
	s_wait_alu 0xfffe
	s_cvt_u32_f32 s3, s3
	s_wait_alu 0xfffe
	s_delay_alu instid0(SALU_CYCLE_2) | instskip(NEXT) | instid1(SALU_CYCLE_1)
	s_mul_i32 s4, s4, s3
	s_mul_hi_u32 s4, s3, s4
	s_delay_alu instid0(SALU_CYCLE_1)
	s_add_co_i32 s3, s3, s4
	s_xor_b32 s4, s29, s6
	s_wait_alu 0xfffe
	s_mul_hi_u32 s3, s5, s3
	s_ashr_i32 s4, s4, 31
	s_wait_alu 0xfffe
	s_mul_i32 s6, s3, s2
	s_delay_alu instid0(SALU_CYCLE_1)
	s_sub_co_i32 s5, s5, s6
	s_add_co_i32 s6, s3, 1
	s_sub_co_i32 s8, s5, s2
	s_cmp_ge_u32 s5, s2
	s_cselect_b32 s3, s6, s3
	s_cselect_b32 s5, s8, s5
	s_wait_alu 0xfffe
	s_add_co_i32 s6, s3, 1
	s_cmp_ge_u32 s5, s2
	s_load_b64 s[8:9], s[0:1], 0x50
	s_cselect_b32 s2, s6, s3
	s_mov_b32 s3, 0
	s_wait_alu 0xfffe
	s_xor_b32 s2, s2, s4
	s_mov_b32 s6, s3
	s_wait_alu 0xfffe
	s_sub_co_i32 s12, s2, s4
	s_delay_alu instid0(SALU_CYCLE_1) | instskip(NEXT) | instid1(SALU_CYCLE_1)
	s_abs_i32 s11, s12
	s_cvt_f32_u32 s2, s11
	s_wait_alu 0xfffe
	s_delay_alu instid0(SALU_CYCLE_2) | instskip(NEXT) | instid1(TRANS32_DEP_1)
	v_rcp_iflag_f32_e32 v1, s2
	v_readfirstlane_b32 s2, v1
	s_mul_f32 s2, s2, 0x4f7ffffe
	s_wait_alu 0xfffe
	s_delay_alu instid0(SALU_CYCLE_2) | instskip(SKIP_2) | instid1(SALU_CYCLE_1)
	s_cvt_u32_f32 s4, s2
	s_sub_co_i32 s2, 0, s11
	s_wait_alu 0xfffe
	s_mul_i32 s2, s2, s4
	s_wait_alu 0xfffe
	s_mul_hi_u32 s5, s4, s2
	s_abs_i32 s2, ttmp9
	s_add_co_i32 s4, s4, s5
	s_mov_b32 s5, s3
	s_wait_kmcnt 0x0
	s_cmp_eq_u64 s[8:9], 0
	s_cbranch_scc1 .LBB25_3
; %bb.2:
	s_mov_b32 s14, ttmp9
	s_ashr_i32 s15, ttmp9, 31
	s_delay_alu instid0(SALU_CYCLE_1) | instskip(NEXT) | instid1(SALU_CYCLE_1)
	s_lshl_b64 s[14:15], s[14:15], 2
	s_add_nc_u64 s[8:9], s[8:9], s[14:15]
	s_load_b32 s6, s[8:9], 0x0
.LBB25_3:
	s_clause 0x1
	s_load_b32 s25, s[0:1], 0x98
	s_load_b96 s[8:10], s[0:1], 0x58
	v_and_b32_e32 v49, 3, v0
	v_lshlrev_b32_e32 v51, 2, v0
	s_mul_u64 s[4:5], s[2:3], s[4:5]
	s_ashr_i32 s3, ttmp9, 31
	s_ashr_i32 s4, s12, 31
	s_mul_i32 s12, ttmp9, 0xc0
	s_mov_b32 s16, exec_lo
	v_cmpx_gt_u32_e32 0xc0, v0
	s_cbranch_execz .LBB25_6
; %bb.4:
	s_load_b64 s[14:15], s[0:1], 0x18
	s_wait_kmcnt 0x0
	s_mul_i32 s18, s8, s28
	s_ashr_i32 s13, s12, 31
	s_ashr_i32 s19, s18, 31
	v_and_b32_e32 v1, 0x3fc, v0
	s_lshl_b64 s[18:19], s[18:19], 2
	v_cmp_gt_u32_e32 vcc_lo, 64, v0
	s_delay_alu instid0(VALU_DEP_2) | instskip(SKIP_2) | instid1(SALU_CYCLE_1)
	v_mad_u32_u24 v1, 0xc0, v49, v1
	s_add_nc_u64 s[14:15], s[14:15], s[18:19]
	s_lshl_b64 s[18:19], s[12:13], 2
	s_add_nc_u64 s[14:15], s[14:15], s[18:19]
	global_load_b32 v2, v51, s[14:15]
	s_wait_loadcnt 0x0
	ds_store_b32 v1, v2
	s_and_b32 exec_lo, exec_lo, vcc_lo
	s_cbranch_execz .LBB25_6
; %bb.5:
	v_lshrrev_b32_e32 v2, 2, v0
	v_lshlrev_b32_e32 v3, 2, v49
	s_delay_alu instid0(VALU_DEP_2) | instskip(NEXT) | instid1(VALU_DEP_1)
	v_lshlrev_b32_e32 v2, 4, v2
	v_or3_b32 v2, v2, v3, 0x200
	global_load_b32 v2, v2, s[14:15]
	s_wait_loadcnt 0x0
	ds_store_b32 v1, v2 offset:128
.LBB25_6:
	s_or_b32 exec_lo, exec_lo, s16
	s_wait_kmcnt 0x0
	s_add_co_i32 s8, s26, 7
	s_mul_i32 s15, s5, s11
	s_ashr_i32 s13, s8, 31
	s_sub_co_i32 s2, s2, s15
	s_load_b32 s15, s[0:1], 0x48
	s_xor_b32 s3, s3, s4
	s_lshr_b32 s4, s13, 29
	s_lshl_b32 s14, s24, 6
	s_add_co_i32 s8, s8, s4
	s_add_co_i32 s4, s14, 64
	s_ashr_i32 s13, s8, 3
	s_sub_co_i32 s16, s2, s11
	s_min_i32 s8, s4, s13
	s_add_co_i32 s4, s5, 1
	s_cmp_ge_u32 s2, s11
	v_lshrrev_b32_e32 v55, 5, v0
	s_cselect_b32 s4, s4, s5
	s_cselect_b32 s2, s16, s2
	s_add_co_i32 s5, s4, 1
	s_wait_alu 0xfffe
	s_cmp_ge_u32 s2, s11
	v_or_b32_e32 v56, s14, v55
	s_cselect_b32 s2, s5, s4
	v_mbcnt_lo_u32_b32 v53, -1, 0
	s_wait_alu 0xfffe
	s_xor_b32 s2, s2, s3
	s_wait_kmcnt 0x0
	s_mul_i32 s16, s15, s28
	s_wait_alu 0xfffe
	s_sub_co_i32 s3, s2, s3
	v_cmp_gt_i32_e64 s2, s8, v56
	s_ashr_i32 s17, s16, 31
	s_mov_b32 s4, exec_lo
	s_wait_dscnt 0x0
	s_barrier_signal -1
	s_barrier_wait -1
	global_inv scope:SCOPE_SE
                                        ; implicit-def: $vgpr54
                                        ; implicit-def: $vgpr58
	v_cmpx_le_i32_e64 s8, v56
	s_xor_b32 s4, exec_lo, s4
; %bb.7:
	v_mov_b32_e32 v54, 0
	v_mbcnt_lo_u32_b32 v53, -1, 0
	v_mov_b32_e32 v58, 32
                                        ; implicit-def: $vgpr49
; %bb.8:
	s_or_saveexec_b32 s11, s4
	s_load_b64 s[18:19], s[0:1], 0x38
	v_dual_mov_b32 v57, 0xff7fffff :: v_dual_lshlrev_b32 v52, 2, v56
	s_mul_i32 s20, s3, s10
	s_xor_b32 exec_lo, exec_lo, s11
	s_cbranch_execz .LBB25_14
; %bb.9:
	s_load_b64 s[4:5], s[0:1], 0x20
	v_bfe_u32 v50, v0, 2, 3
	s_ashr_i32 s21, s20, 31
	v_dual_mov_b32 v54, 0 :: v_dual_lshlrev_b32 v33, 2, v49
	s_lshl_b64 s[22:23], s[20:21], 2
	s_delay_alu instid0(VALU_DEP_2)
	v_lshlrev_b32_e32 v25, 4, v50
	v_xor_b32_e32 v41, 2, v53
	v_mul_u32_u24_e32 v45, 0xc0, v49
	ds_load_b128 v[1:4], v45
	ds_load_b128 v[5:8], v45 offset:16
	ds_load_b128 v[9:12], v45 offset:32
	;; [unrolled: 1-line block ×5, first 2 shown]
	v_xor_b32_e32 v58, 1, v53
	v_lshlrev_b32_e32 v57, 2, v50
	s_cmp_neq_f32 s6, 0
	v_lshlrev_b32_e32 v63, 3, v55
	s_mov_b32 s15, s9
	s_mov_b32 s10, 0
	s_wait_kmcnt 0x0
	s_add_nc_u64 s[4:5], s[4:5], s[22:23]
	v_mov_b32_e32 v65, v56
	v_add_co_u32 v34, s3, s4, v25
	s_wait_alu 0xf1ff
	v_add_co_ci_u32_e64 v35, null, s5, 0, s3
	ds_load_b128 v[25:28], v45 offset:96
	ds_load_b128 v[29:32], v45 offset:112
	v_add_co_u32 v59, vcc_lo, v34, v33
	s_delay_alu instid0(VALU_DEP_1)
	v_add_co_ci_u32_e64 v60, null, 0, v35, vcc_lo
	v_cmp_gt_i32_e32 vcc_lo, 32, v41
	ds_load_b128 v[33:36], v45 offset:128
	ds_load_b128 v[37:40], v45 offset:144
	s_cselect_b32 s3, -1, 0
	s_lshl_b64 s[4:5], s[16:17], 2
	v_add3_u32 v63, s27, v63, v50
	s_wait_alu 0xfffd
	v_cndmask_b32_e32 v61, v53, v41, vcc_lo
	ds_load_b128 v[41:44], v45 offset:160
	ds_load_b128 v[45:48], v45 offset:176
	v_cmp_gt_i32_e32 vcc_lo, 32, v58
	s_wait_alu 0xfffe
	s_add_nc_u64 s[4:5], s[18:19], s[4:5]
	s_sub_co_i32 s21, 1, s26
	s_wait_alu 0xfffd
	v_cndmask_b32_e32 v62, v53, v58, vcc_lo
	v_mov_b32_e32 v58, 32
	v_lshl_or_b32 v57, v55, 5, v57
	v_cmp_eq_u32_e32 vcc_lo, 0, v49
	s_wait_alu 0xfffe
	v_add_co_u32 v49, s4, s4, v52
	v_lshlrev_b32_e32 v62, 2, v62
	v_lshlrev_b32_e32 v61, 2, v61
	v_add_nc_u32_e32 v64, 0x320, v57
	s_wait_alu 0xf1ff
	v_add_co_ci_u32_e64 v50, null, s5, 0, s4
	v_mov_b32_e32 v57, 0xff7fffff
	s_branch .LBB25_11
.LBB25_10:                              ;   in Loop: Header=BB25_11 Depth=1
	s_wait_alu 0xfffe
	s_or_b32 exec_lo, exec_lo, s5
	v_add_nc_u32_e32 v65, 4, v65
	v_add_co_u32 v49, s5, v49, 16
	v_add_nc_u32_e32 v63, 32, v63
	v_add_nc_u32_e32 v64, 0x80, v64
	s_delay_alu instid0(VALU_DEP_4) | instskip(SKIP_3) | instid1(SALU_CYCLE_1)
	v_cmp_le_i32_e64 s4, s8, v65
	s_wait_alu 0xf1ff
	v_add_co_ci_u32_e64 v50, null, 0, v50, s5
	s_or_b32 s10, s4, s10
	s_and_not1_b32 exec_lo, exec_lo, s10
	s_cbranch_execz .LBB25_13
.LBB25_11:                              ; =>This Inner Loop Header: Depth=1
	global_load_b32 v66, v[49:50], off
	s_wait_loadcnt_dscnt 0x0
	v_mad_co_i64_i32 v[66:67], null, v66, s15, 0
	s_delay_alu instid0(VALU_DEP_1) | instskip(NEXT) | instid1(VALU_DEP_1)
	v_lshlrev_b64_e32 v[66:67], 2, v[66:67]
	v_add_co_u32 v66, s4, v59, v66
	s_wait_alu 0xf1ff
	s_delay_alu instid0(VALU_DEP_2)
	v_add_co_ci_u32_e64 v67, null, v60, v67, s4
	s_clause 0x1f
	global_load_b32 v68, v[66:67], off offset:128
	global_load_b32 v69, v[66:67], off offset:256
	;; [unrolled: 1-line block ×7, first 2 shown]
	global_load_b32 v75, v[66:67], off
	global_load_b32 v76, v[66:67], off offset:1024
	global_load_b32 v77, v[66:67], off offset:1152
	;; [unrolled: 1-line block ×24, first 2 shown]
	s_clause 0xf
	global_load_b32 v100, v[66:67], off offset:4096
	global_load_b32 v101, v[66:67], off offset:4224
	;; [unrolled: 1-line block ×16, first 2 shown]
	s_wait_loadcnt_dscnt 0x2f0b
	v_mul_f32_e32 v67, v2, v68
	s_wait_loadcnt 0x28
	s_delay_alu instid0(VALU_DEP_1) | instskip(NEXT) | instid1(VALU_DEP_1)
	v_fmac_f32_e32 v67, v1, v75
	v_fmac_f32_e32 v67, v3, v69
	s_delay_alu instid0(VALU_DEP_1) | instskip(SKIP_1) | instid1(VALU_DEP_1)
	v_fmac_f32_e32 v67, v4, v70
	s_wait_dscnt 0xa
	v_fmac_f32_e32 v67, v5, v71
	s_delay_alu instid0(VALU_DEP_1) | instskip(NEXT) | instid1(VALU_DEP_1)
	v_fmac_f32_e32 v67, v6, v72
	v_fmac_f32_e32 v67, v7, v73
	s_delay_alu instid0(VALU_DEP_1) | instskip(SKIP_1) | instid1(VALU_DEP_1)
	v_fmac_f32_e32 v67, v8, v74
	s_wait_loadcnt_dscnt 0x2709
	v_fmac_f32_e32 v67, v9, v76
	s_wait_loadcnt 0x26
	s_delay_alu instid0(VALU_DEP_1) | instskip(SKIP_1) | instid1(VALU_DEP_1)
	v_fmac_f32_e32 v67, v10, v77
	s_wait_loadcnt 0x25
	v_fmac_f32_e32 v67, v11, v78
	s_wait_loadcnt 0x24
	s_delay_alu instid0(VALU_DEP_1) | instskip(SKIP_1) | instid1(VALU_DEP_1)
	v_fmac_f32_e32 v67, v12, v79
	s_wait_loadcnt_dscnt 0x2308
	v_fmac_f32_e32 v67, v13, v80
	s_wait_loadcnt 0x22
	s_delay_alu instid0(VALU_DEP_1) | instskip(SKIP_1) | instid1(VALU_DEP_1)
	v_fmac_f32_e32 v67, v14, v81
	s_wait_loadcnt 0x21
	v_fmac_f32_e32 v67, v15, v82
	s_wait_loadcnt 0x20
	;; [unrolled: 10-line block ×10, first 2 shown]
	s_delay_alu instid0(VALU_DEP_1)
	v_fmac_f32_e32 v67, v48, v66
	ds_bpermute_b32 v66, v61, v67
	s_wait_dscnt 0x0
	v_add_f32_e32 v66, v67, v66
	ds_bpermute_b32 v67, v62, v66
	s_and_saveexec_b32 s5, vcc_lo
	s_cbranch_execz .LBB25_10
; %bb.12:                               ;   in Loop: Header=BB25_11 Depth=1
	s_wait_dscnt 0x0
	v_add_f32_e32 v66, v66, v67
	v_add_nc_u32_e32 v68, s21, v63
	v_cmp_gt_i32_e64 s4, s26, v63
	s_delay_alu instid0(VALU_DEP_2) | instskip(NEXT) | instid1(VALU_DEP_1)
	v_cvt_f32_i32_e32 v68, v68
	v_mul_f32_e32 v68, s6, v68
	s_delay_alu instid0(VALU_DEP_1) | instskip(NEXT) | instid1(VALU_DEP_1)
	v_cndmask_b32_e64 v67, 0, v68, s3
	v_dual_max_num_f32 v68, v57, v57 :: v_dual_fmac_f32 v67, s7, v66
	s_delay_alu instid0(VALU_DEP_1) | instskip(SKIP_2) | instid1(VALU_DEP_2)
	v_max_num_f32_e32 v66, v68, v67
	s_wait_alu 0xf1ff
	v_cndmask_b32_e64 v67, 0, v67, s4
	v_cndmask_b32_e64 v57, v57, v66, s4
	ds_store_b32 v64, v67
	s_branch .LBB25_10
.LBB25_13:
	s_or_b32 exec_lo, exec_lo, s10
.LBB25_14:
	s_delay_alu instid0(SALU_CYCLE_1)
	s_or_b32 exec_lo, exec_lo, s11
	v_xor_b32_e32 v1, 16, v53
	v_xor_b32_e32 v3, 8, v53
	v_max_num_f32_e32 v5, v57, v57
	s_clause 0x2
	s_load_b128 s[4:7], s[0:1], 0x0
	s_load_b64 s[10:11], s[0:1], 0x10
	s_load_b64 s[22:23], s[0:1], 0x28
	v_cmp_lt_i32_e32 vcc_lo, v1, v58
	s_wait_alu 0xfffd
	v_cndmask_b32_e32 v1, v53, v1, vcc_lo
	v_cmp_lt_i32_e32 vcc_lo, v3, v58
	s_wait_alu 0xfffd
	v_cndmask_b32_e32 v3, v53, v3, vcc_lo
	s_delay_alu instid0(VALU_DEP_1)
	v_lshlrev_b32_e32 v4, 2, v3
	v_lshlrev_b32_e32 v2, 2, v1
	ds_bpermute_b32 v1, v2, v57
	v_and_b32_e32 v57, 31, v0
	s_wait_dscnt 0x0
	v_max_num_f32_e32 v1, v1, v1
	s_delay_alu instid0(VALU_DEP_1)
	v_max_num_f32_e32 v1, v5, v1
	v_xor_b32_e32 v5, 4, v53
	ds_bpermute_b32 v3, v4, v1
	v_cmp_lt_i32_e32 vcc_lo, v5, v58
	s_wait_alu 0xfffd
	v_cndmask_b32_e32 v5, v53, v5, vcc_lo
	v_cmp_eq_u32_e32 vcc_lo, 0, v57
	s_delay_alu instid0(VALU_DEP_2) | instskip(SKIP_3) | instid1(VALU_DEP_1)
	v_lshlrev_b32_e32 v7, 2, v5
	v_lshlrev_b32_e32 v5, 2, v55
	s_wait_dscnt 0x0
	v_max_num_f32_e32 v3, v3, v3
	v_max_num_f32_e32 v1, v1, v3
	ds_bpermute_b32 v3, v7, v1
	s_and_saveexec_b32 s0, vcc_lo
	s_cbranch_execz .LBB25_16
; %bb.15:
	s_wait_dscnt 0x0
	v_max_num_f32_e32 v3, v3, v3
	v_max_num_f32_e32 v1, v1, v1
	s_delay_alu instid0(VALU_DEP_1)
	v_max_num_f32_e32 v1, v1, v3
	ds_store_b32 v5, v1 offset:768
.LBB25_16:
	s_or_b32 exec_lo, exec_lo, s0
	v_cmp_gt_u32_e64 s0, 4, v57
	v_dual_mov_b32 v1, 0xff7fffff :: v_dual_lshlrev_b32 v6, 2, v57
	s_wait_loadcnt_dscnt 0x0
	s_barrier_signal -1
	s_barrier_wait -1
	global_inv scope:SCOPE_SE
	s_and_saveexec_b32 s1, s0
; %bb.17:
	ds_load_b32 v1, v6 offset:768
; %bb.18:
	s_or_b32 exec_lo, exec_lo, s1
	v_xor_b32_e32 v3, 2, v53
	v_xor_b32_e32 v9, 1, v53
	s_delay_alu instid0(VALU_DEP_2) | instskip(NEXT) | instid1(VALU_DEP_1)
	v_cmp_lt_i32_e64 s1, v3, v58
	v_cndmask_b32_e64 v3, v53, v3, s1
	s_delay_alu instid0(VALU_DEP_3) | instskip(NEXT) | instid1(VALU_DEP_2)
	v_cmp_lt_i32_e64 s1, v9, v58
	v_lshlrev_b32_e32 v8, 2, v3
	s_wait_alu 0xf1ff
	s_delay_alu instid0(VALU_DEP_2)
	v_cndmask_b32_e64 v9, v53, v9, s1
	s_sub_co_i32 s1, s8, s14
	s_wait_alu 0xfffe
	s_lshl_b32 s1, s1, 3
	s_wait_dscnt 0x0
	ds_bpermute_b32 v3, v8, v1
	v_max_num_f32_e32 v1, v1, v1
	s_wait_alu 0xfffe
	s_add_co_i32 s1, s1, s27
	v_lshlrev_b32_e32 v58, 2, v9
	s_wait_alu 0xfffe
	s_min_i32 s1, s1, s26
	v_mov_b32_e32 v9, 0
	s_wait_alu 0xfffe
	s_sub_co_i32 s14, s1, s27
	s_wait_alu 0xfffe
	v_cmp_gt_i32_e64 s1, s14, v0
	s_wait_dscnt 0x0
	v_max_num_f32_e32 v3, v3, v3
	s_delay_alu instid0(VALU_DEP_1) | instskip(SKIP_3) | instid1(VALU_DEP_1)
	v_max_num_f32_e32 v1, v1, v3
	ds_bpermute_b32 v3, v58, v1
	s_wait_dscnt 0x0
	v_max_num_f32_e32 v3, v3, v3
	v_max_num_f32_e32 v1, v1, v3
	v_lshlrev_b32_e32 v3, 2, v54
	ds_bpermute_b32 v1, v3, v1
	v_lshl_add_u32 v3, v0, 2, 0x320
	s_and_saveexec_b32 s15, s1
	s_cbranch_execz .LBB25_22
; %bb.19:
	v_lshl_add_u32 v10, v0, 2, 0x320
	v_mov_b32_e32 v9, 0
	v_mov_b32_e32 v11, v0
	s_mov_b32 s21, 0
.LBB25_20:                              ; =>This Inner Loop Header: Depth=1
	ds_load_b32 v12, v10
	v_add_nc_u32_e32 v11, 0x80, v11
	s_delay_alu instid0(VALU_DEP_1) | instskip(SKIP_4) | instid1(VALU_DEP_1)
	v_cmp_le_i32_e64 s3, s14, v11
	s_wait_alu 0xfffe
	s_or_b32 s21, s3, s21
	s_wait_dscnt 0x0
	v_sub_f32_e32 v12, v12, v1
	v_mul_f32_e32 v12, 0x3fb8aa3b, v12
	s_delay_alu instid0(VALU_DEP_1)
	v_exp_f32_e32 v12, v12
	ds_store_b32 v10, v12
	v_dual_add_f32 v9, v9, v12 :: v_dual_add_nc_u32 v10, 0x200, v10
	s_wait_alu 0xfffe
	s_and_not1_b32 exec_lo, exec_lo, s21
	s_cbranch_execnz .LBB25_20
; %bb.21:
	s_or_b32 exec_lo, exec_lo, s21
.LBB25_22:
	s_wait_alu 0xfffe
	s_or_b32 exec_lo, exec_lo, s15
	ds_bpermute_b32 v2, v2, v9
	s_wait_dscnt 0x0
	v_add_f32_e32 v2, v9, v2
	ds_bpermute_b32 v4, v4, v2
	s_wait_dscnt 0x0
	v_add_f32_e32 v2, v2, v4
	;; [unrolled: 3-line block ×5, first 2 shown]
	s_and_saveexec_b32 s3, vcc_lo
; %bb.23:
	ds_store_b32 v5, v2 offset:784
; %bb.24:
	s_wait_alu 0xfffe
	s_or_b32 exec_lo, exec_lo, s3
	s_wait_loadcnt_dscnt 0x0
	s_barrier_signal -1
	s_barrier_wait -1
	global_inv scope:SCOPE_SE
	s_and_saveexec_b32 s3, s0
; %bb.25:
	ds_load_b32 v2, v6 offset:784
; %bb.26:
	s_wait_alu 0xfffe
	s_or_b32 exec_lo, exec_lo, s3
	s_wait_dscnt 0x0
	ds_bpermute_b32 v4, v8, v2
	s_wait_dscnt 0x0
	v_dual_add_f32 v2, v2, v4 :: v_dual_lshlrev_b32 v5, 2, v53
	ds_bpermute_b32 v4, v58, v2
	s_wait_dscnt 0x0
	v_add_f32_e32 v2, v2, v4
	v_and_b32_e32 v4, 0xffffff80, v5
	ds_bpermute_b32 v2, v4, v2
	s_and_saveexec_b32 s0, s1
	s_cbranch_execz .LBB25_29
; %bb.27:
	s_wait_dscnt 0x0
	v_add_f32_e32 v4, 0x358637bd, v2
	s_mov_b32 s1, 0
	s_delay_alu instid0(VALU_DEP_1) | instskip(SKIP_1) | instid1(VALU_DEP_2)
	v_div_scale_f32 v5, null, v4, v4, 1.0
	v_div_scale_f32 v8, vcc_lo, 1.0, v4, 1.0
	v_rcp_f32_e32 v6, v5
	s_delay_alu instid0(TRANS32_DEP_1) | instskip(NEXT) | instid1(VALU_DEP_1)
	v_fma_f32 v7, -v5, v6, 1.0
	v_fmac_f32_e32 v6, v7, v6
	s_delay_alu instid0(VALU_DEP_1) | instskip(NEXT) | instid1(VALU_DEP_1)
	v_mul_f32_e32 v7, v8, v6
	v_fma_f32 v9, -v5, v7, v8
	s_delay_alu instid0(VALU_DEP_1) | instskip(NEXT) | instid1(VALU_DEP_1)
	v_fmac_f32_e32 v7, v9, v6
	v_fma_f32 v5, -v5, v7, v8
	s_wait_alu 0xfffd
	s_delay_alu instid0(VALU_DEP_1) | instskip(NEXT) | instid1(VALU_DEP_1)
	v_div_fmas_f32 v5, v5, v6, v7
	v_div_fixup_f32 v4, v5, v4, 1.0
	v_mov_b32_e32 v5, v0
.LBB25_28:                              ; =>This Inner Loop Header: Depth=1
	ds_load_b32 v6, v3
	s_wait_dscnt 0x0
	v_dual_mul_f32 v6, v4, v6 :: v_dual_add_nc_u32 v5, 0x80, v5
	s_delay_alu instid0(VALU_DEP_1)
	v_cmp_le_i32_e32 vcc_lo, s14, v5
	ds_store_b32 v3, v6
	v_add_nc_u32_e32 v3, 0x200, v3
	s_wait_alu 0xfffe
	s_or_b32 s1, vcc_lo, s1
	s_wait_alu 0xfffe
	s_and_not1_b32 exec_lo, exec_lo, s1
	s_cbranch_execnz .LBB25_28
.LBB25_29:
	s_wait_alu 0xfffe
	s_or_b32 exec_lo, exec_lo, s0
	s_mul_i32 s0, s25, s28
	s_wait_loadcnt_dscnt 0x0
	s_wait_alu 0xfffe
	s_mul_i32 s14, s0, s29
	s_mov_b32 s0, exec_lo
	s_barrier_signal -1
	s_barrier_wait -1
	global_inv scope:SCOPE_SE
	v_cmpx_eq_u32_e32 0, v0
	s_cbranch_execz .LBB25_31
; %bb.30:
	s_wait_alu 0xfffe
	s_ashr_i32 s15, s14, 31
	s_mul_i32 s28, s25, ttmp9
	s_lshl_b32 s1, s24, 2
	s_wait_alu 0xfffe
	s_lshl_b64 s[30:31], s[14:15], 2
	s_ashr_i32 s29, s28, 31
	v_mov_b32_e32 v3, s1
	s_wait_kmcnt 0x0
	s_add_nc_u64 s[6:7], s[6:7], s[30:31]
	s_lshl_b64 s[28:29], s[28:29], 2
	s_add_nc_u64 s[4:5], s[4:5], s[30:31]
	s_wait_alu 0xfffe
	s_add_nc_u64 s[6:7], s[6:7], s[28:29]
	s_add_nc_u64 s[4:5], s[4:5], s[28:29]
	s_clause 0x1
	global_store_b32 v3, v1, s[6:7]
	global_store_b32 v3, v2, s[4:5]
.LBB25_31:
	s_wait_alu 0xfffe
	s_or_b32 exec_lo, exec_lo, s0
	v_dual_mov_b32 v69, 0 :: v_dual_mov_b32 v70, 0
	v_dual_mov_b32 v68, 0 :: v_dual_and_b32 v59, 1, v0
	v_dual_mov_b32 v71, 0 :: v_dual_mov_b32 v66, 0
	v_dual_mov_b32 v67, 0 :: v_dual_mov_b32 v64, 0
	;; [unrolled: 1-line block ×4, first 2 shown]
	v_mov_b32_e32 v61, 0
	s_and_saveexec_b32 s1, s2
	s_cbranch_execz .LBB25_59
; %bb.32:
	v_dual_mov_b32 v60, 0 :: v_dual_lshlrev_b32 v1, 4, v0
	s_ashr_i32 s21, s20, 31
	v_dual_mov_b32 v62, 0 :: v_dual_lshlrev_b32 v3, 4, v59
	s_delay_alu instid0(VALU_DEP_2)
	v_dual_mov_b32 v64, 0 :: v_dual_and_b32 v1, 0x1f0, v1
	s_wait_alu 0xfffe
	s_lshl_b64 s[2:3], s[20:21], 2
	v_dual_mov_b32 v61, 0 :: v_dual_and_b32 v2, 4, v51
	s_wait_kmcnt 0x0
	s_wait_alu 0xfffe
	s_add_nc_u64 s[2:3], s[22:23], s[2:3]
	v_lshl_add_u32 v4, v55, 3, s27
	s_wait_alu 0xfffe
	v_add_co_u32 v72, s0, s2, v1
	s_wait_alu 0xf1ff
	v_add_co_ci_u32_e64 v73, null, s3, 0, s0
	s_lshl_b64 s[2:3], s[16:17], 2
	v_lshl_or_b32 v3, v55, 5, v3
	s_wait_alu 0xfffe
	s_add_nc_u64 s[2:3], s[18:19], s[2:3]
	v_add3_u32 v74, v4, v2, 3
	s_wait_alu 0xfffe
	v_add_co_u32 v53, s0, s2, v52
	v_dual_mov_b32 v66, 0 :: v_dual_add_nc_u32 v75, 0x320, v3
	s_wait_alu 0xf1ff
	v_add_co_ci_u32_e64 v54, null, s3, 0, s0
	v_dual_mov_b32 v63, 0 :: v_dual_mov_b32 v68, 0
	v_dual_mov_b32 v65, 0 :: v_dual_mov_b32 v70, 0
	v_mov_b32_e32 v67, 0
	v_mov_b32_e32 v71, 0
	;; [unrolled: 1-line block ×3, first 2 shown]
	s_mov_b32 s2, s9
	s_add_co_i32 s13, s13, -1
	s_mov_b32 s3, 0
	s_branch .LBB25_34
.LBB25_33:                              ;   in Loop: Header=BB25_34 Depth=1
	s_wait_alu 0xfffe
	s_or_b32 exec_lo, exec_lo, s0
	s_wait_loadcnt_dscnt 0x800
	v_mul_f32_e32 v17, v1, v17
	s_wait_loadcnt 0x1
	v_dual_mul_f32 v49, v1, v49 :: v_dual_add_nc_u32 v56, 4, v56
	v_dual_mul_f32 v45, v1, v45 :: v_dual_add_nc_u32 v74, 32, v74
	v_mul_f32_e32 v37, v1, v37
	v_mul_f32_e32 v33, v1, v33
	;; [unrolled: 1-line block ×7, first 2 shown]
	v_fmac_f32_e32 v17, v2, v18
	v_mul_f32_e32 v5, v1, v5
	s_wait_loadcnt 0x0
	v_mul_f32_e32 v1, v1, v41
	v_fmac_f32_e32 v33, v2, v34
	v_fmac_f32_e32 v25, v2, v26
	;; [unrolled: 1-line block ×16, first 2 shown]
	v_dual_fmac_f32 v5, v2, v6 :: v_dual_add_f32 v68, v68, v17
	s_delay_alu instid0(VALU_DEP_4) | instskip(SKIP_3) | instid1(VALU_DEP_4)
	v_dual_fmac_f32 v45, v3, v47 :: v_dual_add_f32 v66, v66, v25
	v_fmac_f32_e32 v1, v4, v44
	v_fmac_f32_e32 v37, v2, v38
	;; [unrolled: 1-line block ×4, first 2 shown]
	v_dual_fmac_f32 v21, v3, v23 :: v_dual_add_f32 v64, v64, v33
	v_fmac_f32_e32 v49, v3, v51
	v_fmac_f32_e32 v13, v3, v15
	;; [unrolled: 1-line block ×3, first 2 shown]
	v_dual_fmac_f32 v5, v3, v7 :: v_dual_add_f32 v60, v60, v1
	v_dual_fmac_f32 v37, v3, v39 :: v_dual_add_f32 v62, v62, v45
	v_fmac_f32_e32 v29, v4, v32
	v_fmac_f32_e32 v21, v4, v24
	;; [unrolled: 1-line block ×7, first 2 shown]
	v_cmp_le_i32_e32 vcc_lo, s8, v56
	v_add_co_u32 v53, s0, v53, 16
	v_add_f32_e32 v63, v63, v37
	v_add_f32_e32 v65, v65, v29
	;; [unrolled: 1-line block ×7, first 2 shown]
	v_add_nc_u32_e32 v75, 0x80, v75
	s_wait_alu 0xf1ff
	v_add_co_ci_u32_e64 v54, null, 0, v54, s0
	s_or_b32 s3, vcc_lo, s3
	s_wait_alu 0xfffe
	s_and_not1_b32 exec_lo, exec_lo, s3
	s_cbranch_execz .LBB25_58
.LBB25_34:                              ; =>This Inner Loop Header: Depth=1
	global_load_b32 v1, v[53:54], off
	v_add_nc_u32_e32 v76, -3, v74
	v_add_nc_u32_e32 v78, -2, v74
	;; [unrolled: 1-line block ×3, first 2 shown]
	s_wait_loadcnt 0x0
	s_wait_alu 0xfffe
	v_mad_co_i64_i32 v[1:2], null, v1, s2, 0
	s_delay_alu instid0(VALU_DEP_1) | instskip(NEXT) | instid1(VALU_DEP_1)
	v_lshlrev_b64_e32 v[1:2], 2, v[1:2]
	v_add_co_u32 v41, vcc_lo, v72, v1
	s_wait_alu 0xfffd
	s_delay_alu instid0(VALU_DEP_2)
	v_add_co_ci_u32_e64 v42, null, v73, v2, vcc_lo
	ds_load_b128 v[1:4], v75
	v_cmp_eq_u32_e32 vcc_lo, s13, v56
	global_load_b128 v[5:8], v[41:42], off
	s_and_saveexec_b32 s4, vcc_lo
	s_cbranch_execnz .LBB25_46
; %bb.35:                               ;   in Loop: Header=BB25_34 Depth=1
	s_wait_alu 0xfffe
	s_or_b32 exec_lo, exec_lo, s4
	global_load_b128 v[9:12], v[41:42], off offset:512
	s_and_saveexec_b32 s4, vcc_lo
	s_cbranch_execnz .LBB25_47
.LBB25_36:                              ;   in Loop: Header=BB25_34 Depth=1
	s_wait_alu 0xfffe
	s_or_b32 exec_lo, exec_lo, s4
	global_load_b128 v[13:16], v[41:42], off offset:1024
	s_and_saveexec_b32 s4, vcc_lo
	s_cbranch_execnz .LBB25_48
.LBB25_37:                              ;   in Loop: Header=BB25_34 Depth=1
	s_wait_alu 0xfffe
	s_or_b32 exec_lo, exec_lo, s4
	global_load_b128 v[17:20], v[41:42], off offset:1536
	s_and_saveexec_b32 s4, vcc_lo
	s_cbranch_execnz .LBB25_49
.LBB25_38:                              ;   in Loop: Header=BB25_34 Depth=1
	s_wait_alu 0xfffe
	s_or_b32 exec_lo, exec_lo, s4
	global_load_b128 v[21:24], v[41:42], off offset:2048
	s_and_saveexec_b32 s4, vcc_lo
	s_cbranch_execnz .LBB25_50
.LBB25_39:                              ;   in Loop: Header=BB25_34 Depth=1
	s_wait_alu 0xfffe
	s_or_b32 exec_lo, exec_lo, s4
	global_load_b128 v[25:28], v[41:42], off offset:2560
	s_and_saveexec_b32 s4, vcc_lo
	s_cbranch_execnz .LBB25_51
.LBB25_40:                              ;   in Loop: Header=BB25_34 Depth=1
	s_wait_alu 0xfffe
	s_or_b32 exec_lo, exec_lo, s4
	global_load_b128 v[29:32], v[41:42], off offset:3072
	s_and_saveexec_b32 s4, vcc_lo
	s_cbranch_execnz .LBB25_52
.LBB25_41:                              ;   in Loop: Header=BB25_34 Depth=1
	s_wait_alu 0xfffe
	s_or_b32 exec_lo, exec_lo, s4
	global_load_b128 v[33:36], v[41:42], off offset:3584
	s_and_saveexec_b32 s4, vcc_lo
	s_cbranch_execnz .LBB25_53
.LBB25_42:                              ;   in Loop: Header=BB25_34 Depth=1
	s_wait_alu 0xfffe
	s_or_b32 exec_lo, exec_lo, s4
	global_load_b128 v[37:40], v[41:42], off offset:4096
	s_and_saveexec_b32 s4, vcc_lo
	s_cbranch_execnz .LBB25_54
.LBB25_43:                              ;   in Loop: Header=BB25_34 Depth=1
	s_wait_alu 0xfffe
	s_or_b32 exec_lo, exec_lo, s4
	global_load_b128 v[45:48], v[41:42], off offset:4608
	s_and_saveexec_b32 s4, vcc_lo
	s_cbranch_execnz .LBB25_55
.LBB25_44:                              ;   in Loop: Header=BB25_34 Depth=1
	s_wait_alu 0xfffe
	s_or_b32 exec_lo, exec_lo, s4
	global_load_b128 v[49:52], v[41:42], off offset:5120
	s_and_saveexec_b32 s4, vcc_lo
	s_cbranch_execnz .LBB25_56
.LBB25_45:                              ;   in Loop: Header=BB25_34 Depth=1
	s_wait_alu 0xfffe
	s_or_b32 exec_lo, exec_lo, s4
	global_load_b128 v[41:44], v[41:42], off offset:5632
	s_and_saveexec_b32 s0, vcc_lo
	s_cbranch_execz .LBB25_33
	s_branch .LBB25_57
.LBB25_46:                              ;   in Loop: Header=BB25_34 Depth=1
	v_cmp_gt_i32_e64 s0, s26, v76
	s_wait_loadcnt 0x0
	s_wait_alu 0xf1ff
	s_delay_alu instid0(VALU_DEP_1) | instskip(SKIP_2) | instid1(VALU_DEP_1)
	v_cndmask_b32_e64 v5, 0, v5, s0
	v_cmp_gt_i32_e64 s0, s26, v78
	s_wait_alu 0xf1ff
	v_cndmask_b32_e64 v6, 0, v6, s0
	v_cmp_gt_i32_e64 s0, s26, v77
	s_wait_alu 0xf1ff
	s_delay_alu instid0(VALU_DEP_1) | instskip(SKIP_2) | instid1(VALU_DEP_1)
	v_cndmask_b32_e64 v7, 0, v7, s0
	v_cmp_gt_i32_e64 s0, s26, v74
	s_wait_alu 0xf1ff
	v_cndmask_b32_e64 v8, 0, v8, s0
	s_wait_alu 0xfffe
	s_or_b32 exec_lo, exec_lo, s4
	global_load_b128 v[9:12], v[41:42], off offset:512
	s_and_saveexec_b32 s4, vcc_lo
	s_cbranch_execz .LBB25_36
.LBB25_47:                              ;   in Loop: Header=BB25_34 Depth=1
	v_cmp_gt_i32_e64 s0, s26, v76
	s_wait_loadcnt 0x0
	s_wait_alu 0xf1ff
	s_delay_alu instid0(VALU_DEP_1) | instskip(SKIP_2) | instid1(VALU_DEP_1)
	v_cndmask_b32_e64 v9, 0, v9, s0
	v_cmp_gt_i32_e64 s0, s26, v78
	s_wait_alu 0xf1ff
	v_cndmask_b32_e64 v10, 0, v10, s0
	v_cmp_gt_i32_e64 s0, s26, v77
	s_wait_alu 0xf1ff
	s_delay_alu instid0(VALU_DEP_1) | instskip(SKIP_2) | instid1(VALU_DEP_1)
	v_cndmask_b32_e64 v11, 0, v11, s0
	v_cmp_gt_i32_e64 s0, s26, v74
	s_wait_alu 0xf1ff
	v_cndmask_b32_e64 v12, 0, v12, s0
	s_wait_alu 0xfffe
	s_or_b32 exec_lo, exec_lo, s4
	global_load_b128 v[13:16], v[41:42], off offset:1024
	s_and_saveexec_b32 s4, vcc_lo
	s_cbranch_execz .LBB25_37
.LBB25_48:                              ;   in Loop: Header=BB25_34 Depth=1
	v_cmp_gt_i32_e64 s0, s26, v76
	s_wait_loadcnt 0x0
	s_wait_alu 0xf1ff
	s_delay_alu instid0(VALU_DEP_1) | instskip(SKIP_2) | instid1(VALU_DEP_1)
	v_cndmask_b32_e64 v13, 0, v13, s0
	v_cmp_gt_i32_e64 s0, s26, v78
	s_wait_alu 0xf1ff
	v_cndmask_b32_e64 v14, 0, v14, s0
	v_cmp_gt_i32_e64 s0, s26, v77
	s_wait_alu 0xf1ff
	s_delay_alu instid0(VALU_DEP_1) | instskip(SKIP_2) | instid1(VALU_DEP_1)
	v_cndmask_b32_e64 v15, 0, v15, s0
	v_cmp_gt_i32_e64 s0, s26, v74
	s_wait_alu 0xf1ff
	v_cndmask_b32_e64 v16, 0, v16, s0
	s_wait_alu 0xfffe
	s_or_b32 exec_lo, exec_lo, s4
	global_load_b128 v[17:20], v[41:42], off offset:1536
	s_and_saveexec_b32 s4, vcc_lo
	s_cbranch_execz .LBB25_38
.LBB25_49:                              ;   in Loop: Header=BB25_34 Depth=1
	v_cmp_gt_i32_e64 s0, s26, v76
	s_wait_loadcnt 0x0
	s_wait_alu 0xf1ff
	s_delay_alu instid0(VALU_DEP_1) | instskip(SKIP_2) | instid1(VALU_DEP_1)
	v_cndmask_b32_e64 v17, 0, v17, s0
	v_cmp_gt_i32_e64 s0, s26, v78
	s_wait_alu 0xf1ff
	v_cndmask_b32_e64 v18, 0, v18, s0
	v_cmp_gt_i32_e64 s0, s26, v77
	s_wait_alu 0xf1ff
	s_delay_alu instid0(VALU_DEP_1) | instskip(SKIP_2) | instid1(VALU_DEP_1)
	v_cndmask_b32_e64 v19, 0, v19, s0
	v_cmp_gt_i32_e64 s0, s26, v74
	s_wait_alu 0xf1ff
	v_cndmask_b32_e64 v20, 0, v20, s0
	s_wait_alu 0xfffe
	s_or_b32 exec_lo, exec_lo, s4
	global_load_b128 v[21:24], v[41:42], off offset:2048
	s_and_saveexec_b32 s4, vcc_lo
	s_cbranch_execz .LBB25_39
.LBB25_50:                              ;   in Loop: Header=BB25_34 Depth=1
	v_cmp_gt_i32_e64 s0, s26, v76
	s_wait_loadcnt 0x0
	s_wait_alu 0xf1ff
	s_delay_alu instid0(VALU_DEP_1) | instskip(SKIP_2) | instid1(VALU_DEP_1)
	v_cndmask_b32_e64 v21, 0, v21, s0
	v_cmp_gt_i32_e64 s0, s26, v78
	s_wait_alu 0xf1ff
	v_cndmask_b32_e64 v22, 0, v22, s0
	v_cmp_gt_i32_e64 s0, s26, v77
	s_wait_alu 0xf1ff
	s_delay_alu instid0(VALU_DEP_1) | instskip(SKIP_2) | instid1(VALU_DEP_1)
	v_cndmask_b32_e64 v23, 0, v23, s0
	v_cmp_gt_i32_e64 s0, s26, v74
	s_wait_alu 0xf1ff
	v_cndmask_b32_e64 v24, 0, v24, s0
	s_wait_alu 0xfffe
	s_or_b32 exec_lo, exec_lo, s4
	global_load_b128 v[25:28], v[41:42], off offset:2560
	s_and_saveexec_b32 s4, vcc_lo
	s_cbranch_execz .LBB25_40
.LBB25_51:                              ;   in Loop: Header=BB25_34 Depth=1
	v_cmp_gt_i32_e64 s0, s26, v76
	s_wait_loadcnt 0x0
	s_wait_alu 0xf1ff
	s_delay_alu instid0(VALU_DEP_1) | instskip(SKIP_2) | instid1(VALU_DEP_1)
	v_cndmask_b32_e64 v25, 0, v25, s0
	v_cmp_gt_i32_e64 s0, s26, v78
	s_wait_alu 0xf1ff
	v_cndmask_b32_e64 v26, 0, v26, s0
	v_cmp_gt_i32_e64 s0, s26, v77
	s_wait_alu 0xf1ff
	s_delay_alu instid0(VALU_DEP_1) | instskip(SKIP_2) | instid1(VALU_DEP_1)
	v_cndmask_b32_e64 v27, 0, v27, s0
	v_cmp_gt_i32_e64 s0, s26, v74
	s_wait_alu 0xf1ff
	v_cndmask_b32_e64 v28, 0, v28, s0
	s_wait_alu 0xfffe
	s_or_b32 exec_lo, exec_lo, s4
	global_load_b128 v[29:32], v[41:42], off offset:3072
	s_and_saveexec_b32 s4, vcc_lo
	s_cbranch_execz .LBB25_41
.LBB25_52:                              ;   in Loop: Header=BB25_34 Depth=1
	v_cmp_gt_i32_e64 s0, s26, v76
	s_wait_loadcnt 0x0
	s_wait_alu 0xf1ff
	s_delay_alu instid0(VALU_DEP_1) | instskip(SKIP_2) | instid1(VALU_DEP_1)
	v_cndmask_b32_e64 v29, 0, v29, s0
	v_cmp_gt_i32_e64 s0, s26, v78
	s_wait_alu 0xf1ff
	v_cndmask_b32_e64 v30, 0, v30, s0
	v_cmp_gt_i32_e64 s0, s26, v77
	s_wait_alu 0xf1ff
	s_delay_alu instid0(VALU_DEP_1) | instskip(SKIP_2) | instid1(VALU_DEP_1)
	v_cndmask_b32_e64 v31, 0, v31, s0
	v_cmp_gt_i32_e64 s0, s26, v74
	s_wait_alu 0xf1ff
	v_cndmask_b32_e64 v32, 0, v32, s0
	s_wait_alu 0xfffe
	s_or_b32 exec_lo, exec_lo, s4
	global_load_b128 v[33:36], v[41:42], off offset:3584
	s_and_saveexec_b32 s4, vcc_lo
	s_cbranch_execz .LBB25_42
.LBB25_53:                              ;   in Loop: Header=BB25_34 Depth=1
	v_cmp_gt_i32_e64 s0, s26, v76
	s_wait_loadcnt 0x0
	s_wait_alu 0xf1ff
	s_delay_alu instid0(VALU_DEP_1) | instskip(SKIP_2) | instid1(VALU_DEP_1)
	v_cndmask_b32_e64 v33, 0, v33, s0
	v_cmp_gt_i32_e64 s0, s26, v78
	s_wait_alu 0xf1ff
	v_cndmask_b32_e64 v34, 0, v34, s0
	v_cmp_gt_i32_e64 s0, s26, v77
	s_wait_alu 0xf1ff
	s_delay_alu instid0(VALU_DEP_1) | instskip(SKIP_2) | instid1(VALU_DEP_1)
	v_cndmask_b32_e64 v35, 0, v35, s0
	v_cmp_gt_i32_e64 s0, s26, v74
	s_wait_alu 0xf1ff
	v_cndmask_b32_e64 v36, 0, v36, s0
	s_wait_alu 0xfffe
	s_or_b32 exec_lo, exec_lo, s4
	global_load_b128 v[37:40], v[41:42], off offset:4096
	s_and_saveexec_b32 s4, vcc_lo
	s_cbranch_execz .LBB25_43
.LBB25_54:                              ;   in Loop: Header=BB25_34 Depth=1
	v_cmp_gt_i32_e64 s0, s26, v76
	s_wait_loadcnt 0x0
	s_wait_alu 0xf1ff
	s_delay_alu instid0(VALU_DEP_1) | instskip(SKIP_2) | instid1(VALU_DEP_1)
	v_cndmask_b32_e64 v37, 0, v37, s0
	v_cmp_gt_i32_e64 s0, s26, v78
	s_wait_alu 0xf1ff
	v_cndmask_b32_e64 v38, 0, v38, s0
	v_cmp_gt_i32_e64 s0, s26, v77
	s_wait_alu 0xf1ff
	s_delay_alu instid0(VALU_DEP_1) | instskip(SKIP_2) | instid1(VALU_DEP_1)
	v_cndmask_b32_e64 v39, 0, v39, s0
	v_cmp_gt_i32_e64 s0, s26, v74
	s_wait_alu 0xf1ff
	v_cndmask_b32_e64 v40, 0, v40, s0
	s_wait_alu 0xfffe
	s_or_b32 exec_lo, exec_lo, s4
	global_load_b128 v[45:48], v[41:42], off offset:4608
	s_and_saveexec_b32 s4, vcc_lo
	s_cbranch_execz .LBB25_44
.LBB25_55:                              ;   in Loop: Header=BB25_34 Depth=1
	v_cmp_gt_i32_e64 s0, s26, v76
	s_wait_loadcnt 0x0
	s_wait_alu 0xf1ff
	s_delay_alu instid0(VALU_DEP_1) | instskip(SKIP_2) | instid1(VALU_DEP_1)
	v_cndmask_b32_e64 v45, 0, v45, s0
	v_cmp_gt_i32_e64 s0, s26, v78
	s_wait_alu 0xf1ff
	v_cndmask_b32_e64 v46, 0, v46, s0
	v_cmp_gt_i32_e64 s0, s26, v77
	s_wait_alu 0xf1ff
	s_delay_alu instid0(VALU_DEP_1) | instskip(SKIP_2) | instid1(VALU_DEP_1)
	v_cndmask_b32_e64 v47, 0, v47, s0
	v_cmp_gt_i32_e64 s0, s26, v74
	s_wait_alu 0xf1ff
	v_cndmask_b32_e64 v48, 0, v48, s0
	s_wait_alu 0xfffe
	s_or_b32 exec_lo, exec_lo, s4
	global_load_b128 v[49:52], v[41:42], off offset:5120
	s_and_saveexec_b32 s4, vcc_lo
	s_cbranch_execz .LBB25_45
.LBB25_56:                              ;   in Loop: Header=BB25_34 Depth=1
	v_cmp_gt_i32_e64 s0, s26, v76
	s_wait_loadcnt 0x0
	s_wait_alu 0xf1ff
	s_delay_alu instid0(VALU_DEP_1) | instskip(SKIP_2) | instid1(VALU_DEP_1)
	v_cndmask_b32_e64 v49, 0, v49, s0
	v_cmp_gt_i32_e64 s0, s26, v78
	s_wait_alu 0xf1ff
	v_cndmask_b32_e64 v50, 0, v50, s0
	v_cmp_gt_i32_e64 s0, s26, v77
	s_wait_alu 0xf1ff
	s_delay_alu instid0(VALU_DEP_1) | instskip(SKIP_2) | instid1(VALU_DEP_1)
	v_cndmask_b32_e64 v51, 0, v51, s0
	v_cmp_gt_i32_e64 s0, s26, v74
	s_wait_alu 0xf1ff
	v_cndmask_b32_e64 v52, 0, v52, s0
	s_wait_alu 0xfffe
	s_or_b32 exec_lo, exec_lo, s4
	global_load_b128 v[41:44], v[41:42], off offset:5632
	s_and_saveexec_b32 s0, vcc_lo
	s_cbranch_execz .LBB25_33
.LBB25_57:                              ;   in Loop: Header=BB25_34 Depth=1
	v_cmp_gt_i32_e32 vcc_lo, s26, v76
	s_wait_loadcnt 0x0
	s_wait_alu 0xfffd
	v_cndmask_b32_e32 v41, 0, v41, vcc_lo
	v_cmp_gt_i32_e32 vcc_lo, s26, v78
	s_wait_alu 0xfffd
	v_cndmask_b32_e32 v42, 0, v42, vcc_lo
	v_cmp_gt_i32_e32 vcc_lo, s26, v77
	;; [unrolled: 3-line block ×3, first 2 shown]
	s_wait_alu 0xfffd
	v_cndmask_b32_e32 v44, 0, v44, vcc_lo
	s_branch .LBB25_33
.LBB25_58:
	s_or_b32 exec_lo, exec_lo, s3
.LBB25_59:
	s_wait_alu 0xfffe
	s_or_b32 exec_lo, exec_lo, s1
	ds_bpermute_b32 v1, v58, v69
	ds_bpermute_b32 v2, v58, v71
	;; [unrolled: 1-line block ×12, first 2 shown]
	v_lshrrev_b32_e32 v13, 1, v57
	v_and_b32_e32 v16, 0x3c1, v0
	v_mul_u32_u24_e32 v15, 0x300, v55
	s_mov_b32 s0, exec_lo
	s_wait_storecnt 0x0
	s_wait_loadcnt_dscnt 0x0
	v_lshl_add_u32 v14, v13, 2, 0x320
	s_barrier_signal -1
	s_barrier_wait -1
	v_dual_add_f32 v1, v69, v1 :: v_dual_add_f32 v2, v71, v2
	v_dual_add_f32 v3, v70, v3 :: v_dual_add_f32 v4, v68, v4
	;; [unrolled: 1-line block ×6, first 2 shown]
	global_inv scope:SCOPE_SE
	v_cmpx_eq_u32_e32 64, v16
	s_cbranch_execz .LBB25_61
; %bb.60:
	v_add_nc_u32_e32 v16, v14, v15
	s_delay_alu instid0(VALU_DEP_1)
	v_add_nc_u32_e32 v17, 0xfffffa00, v16
	v_add_nc_u32_e32 v18, 0xfffffa40, v16
	;; [unrolled: 1-line block ×12, first 2 shown]
	ds_store_b32 v17, v1
	ds_store_b32 v18, v2
	;; [unrolled: 1-line block ×12, first 2 shown]
.LBB25_61:
	s_wait_alu 0xfffe
	s_or_b32 exec_lo, exec_lo, s0
	v_lshlrev_b32_e32 v13, 2, v13
	s_mov_b32 s1, exec_lo
	v_cmp_eq_u32_e32 vcc_lo, 0, v59
	s_wait_loadcnt_dscnt 0x0
	s_barrier_signal -1
	v_add3_u32 v13, 0x320, v15, v13
	s_barrier_wait -1
	global_inv scope:SCOPE_SE
	v_cmpx_gt_u32_e32 64, v0
	s_cbranch_execz .LBB25_76
; %bb.62:
	s_and_saveexec_b32 s0, vcc_lo
	s_cbranch_execnz .LBB25_96
; %bb.63:
	s_wait_alu 0xfffe
	s_or_b32 exec_lo, exec_lo, s0
	s_and_saveexec_b32 s0, vcc_lo
	s_cbranch_execnz .LBB25_97
.LBB25_64:
	s_wait_alu 0xfffe
	s_or_b32 exec_lo, exec_lo, s0
	s_and_saveexec_b32 s0, vcc_lo
	s_cbranch_execnz .LBB25_98
.LBB25_65:
	s_wait_alu 0xfffe
	s_or_b32 exec_lo, exec_lo, s0
	s_and_saveexec_b32 s0, vcc_lo
	s_cbranch_execnz .LBB25_99
.LBB25_66:
	s_wait_alu 0xfffe
	s_or_b32 exec_lo, exec_lo, s0
	s_and_saveexec_b32 s0, vcc_lo
	s_cbranch_execnz .LBB25_100
.LBB25_67:
	s_wait_alu 0xfffe
	s_or_b32 exec_lo, exec_lo, s0
	s_and_saveexec_b32 s0, vcc_lo
	s_cbranch_execnz .LBB25_101
.LBB25_68:
	s_wait_alu 0xfffe
	s_or_b32 exec_lo, exec_lo, s0
	s_and_saveexec_b32 s0, vcc_lo
	s_cbranch_execnz .LBB25_102
.LBB25_69:
	s_wait_alu 0xfffe
	s_or_b32 exec_lo, exec_lo, s0
	s_and_saveexec_b32 s0, vcc_lo
	s_cbranch_execnz .LBB25_103
.LBB25_70:
	s_wait_alu 0xfffe
	s_or_b32 exec_lo, exec_lo, s0
	s_and_saveexec_b32 s0, vcc_lo
	s_cbranch_execnz .LBB25_104
.LBB25_71:
	s_wait_alu 0xfffe
	s_or_b32 exec_lo, exec_lo, s0
	s_and_saveexec_b32 s0, vcc_lo
	s_cbranch_execnz .LBB25_105
.LBB25_72:
	s_wait_alu 0xfffe
	s_or_b32 exec_lo, exec_lo, s0
	s_and_saveexec_b32 s0, vcc_lo
	s_cbranch_execnz .LBB25_106
.LBB25_73:
	s_wait_alu 0xfffe
	s_or_b32 exec_lo, exec_lo, s0
	s_and_saveexec_b32 s0, vcc_lo
	s_cbranch_execz .LBB25_75
.LBB25_74:
	ds_load_b32 v15, v13 offset:704
	s_wait_dscnt 0x0
	v_add_f32_e32 v12, v12, v15
.LBB25_75:
	s_wait_alu 0xfffe
	s_or_b32 exec_lo, exec_lo, s0
.LBB25_76:
	s_wait_alu 0xfffe
	s_or_b32 exec_lo, exec_lo, s1
	v_and_b32_e32 v15, 0x3e1, v0
	s_mov_b32 s1, exec_lo
	s_wait_loadcnt 0x0
	s_barrier_signal -1
	s_barrier_wait -1
	global_inv scope:SCOPE_SE
	v_cmpx_eq_u32_e32 32, v15
	s_cbranch_execz .LBB25_78
; %bb.77:
	ds_store_2addr_b32 v14, v1, v2 offset1:16
	ds_store_2addr_b32 v14, v3, v4 offset0:32 offset1:48
	ds_store_2addr_b32 v14, v5, v6 offset0:64 offset1:80
	;; [unrolled: 1-line block ×5, first 2 shown]
.LBB25_78:
	s_wait_alu 0xfffe
	s_or_b32 exec_lo, exec_lo, s1
	s_delay_alu instid0(SALU_CYCLE_1)
	s_mov_b32 s1, exec_lo
	s_wait_loadcnt_dscnt 0x0
	s_barrier_signal -1
	s_barrier_wait -1
	global_inv scope:SCOPE_SE
	v_cmpx_gt_u32_e32 32, v0
	s_cbranch_execz .LBB25_93
; %bb.79:
	s_and_saveexec_b32 s0, vcc_lo
	s_cbranch_execnz .LBB25_107
; %bb.80:
	s_wait_alu 0xfffe
	s_or_b32 exec_lo, exec_lo, s0
	s_and_saveexec_b32 s0, vcc_lo
	s_cbranch_execnz .LBB25_108
.LBB25_81:
	s_wait_alu 0xfffe
	s_or_b32 exec_lo, exec_lo, s0
	s_and_saveexec_b32 s0, vcc_lo
	s_cbranch_execnz .LBB25_109
.LBB25_82:
	s_wait_alu 0xfffe
	s_or_b32 exec_lo, exec_lo, s0
	s_and_saveexec_b32 s0, vcc_lo
	s_cbranch_execnz .LBB25_110
.LBB25_83:
	s_wait_alu 0xfffe
	s_or_b32 exec_lo, exec_lo, s0
	s_and_saveexec_b32 s0, vcc_lo
	s_cbranch_execnz .LBB25_111
.LBB25_84:
	s_wait_alu 0xfffe
	s_or_b32 exec_lo, exec_lo, s0
	s_and_saveexec_b32 s0, vcc_lo
	s_cbranch_execnz .LBB25_112
.LBB25_85:
	s_wait_alu 0xfffe
	s_or_b32 exec_lo, exec_lo, s0
	s_and_saveexec_b32 s0, vcc_lo
	s_cbranch_execnz .LBB25_113
.LBB25_86:
	s_wait_alu 0xfffe
	s_or_b32 exec_lo, exec_lo, s0
	s_and_saveexec_b32 s0, vcc_lo
	s_cbranch_execnz .LBB25_114
.LBB25_87:
	s_wait_alu 0xfffe
	s_or_b32 exec_lo, exec_lo, s0
	s_and_saveexec_b32 s0, vcc_lo
	s_cbranch_execnz .LBB25_115
.LBB25_88:
	s_wait_alu 0xfffe
	s_or_b32 exec_lo, exec_lo, s0
	s_and_saveexec_b32 s0, vcc_lo
	s_cbranch_execnz .LBB25_116
.LBB25_89:
	s_wait_alu 0xfffe
	s_or_b32 exec_lo, exec_lo, s0
	s_and_saveexec_b32 s0, vcc_lo
	s_cbranch_execnz .LBB25_117
.LBB25_90:
	s_wait_alu 0xfffe
	s_or_b32 exec_lo, exec_lo, s0
	s_and_saveexec_b32 s0, vcc_lo
	s_cbranch_execz .LBB25_92
.LBB25_91:
	ds_load_b32 v13, v13 offset:704
	s_wait_dscnt 0x0
	v_add_f32_e32 v12, v12, v13
.LBB25_92:
	s_wait_alu 0xfffe
	s_or_b32 exec_lo, exec_lo, s0
.LBB25_93:
	s_wait_alu 0xfffe
	s_or_b32 exec_lo, exec_lo, s1
	s_mov_b32 s1, 0
	s_wait_loadcnt 0x0
	s_barrier_signal -1
	s_barrier_wait -1
	global_inv scope:SCOPE_SE
	s_mov_b32 s0, exec_lo
	v_cmpx_eq_u32_e32 0, v15
	s_cbranch_execz .LBB25_95
; %bb.94:
	s_mul_i32 s2, s14, 0xc0
	s_wait_kmcnt 0x0
	s_mul_i32 s4, s25, s12
	s_wait_alu 0xfffe
	s_ashr_i32 s3, s2, 31
	s_ashr_i32 s5, s4, 31
	s_wait_alu 0xfffe
	s_lshl_b64 s[2:3], s[2:3], 2
	s_lshl_b64 s[4:5], s[4:5], 2
	s_wait_alu 0xfffe
	s_add_nc_u64 s[2:3], s[10:11], s[2:3]
	v_lshlrev_b32_e32 v0, 1, v0
	s_mul_i32 s0, s24, 0x300
	s_wait_alu 0xfffe
	s_add_nc_u64 s[2:3], s[2:3], s[4:5]
	s_wait_alu 0xfffe
	s_add_nc_u64 s[0:1], s[2:3], s[0:1]
	s_clause 0xb
	global_store_b32 v0, v1, s[0:1]
	global_store_b32 v0, v2, s[0:1] offset:64
	global_store_b32 v0, v3, s[0:1] offset:128
	;; [unrolled: 1-line block ×11, first 2 shown]
.LBB25_95:
	s_nop 0
	s_sendmsg sendmsg(MSG_DEALLOC_VGPRS)
	s_endpgm
.LBB25_96:
	ds_load_b32 v15, v13
	s_wait_dscnt 0x0
	v_add_f32_e32 v1, v1, v15
	s_wait_alu 0xfffe
	s_or_b32 exec_lo, exec_lo, s0
	s_and_saveexec_b32 s0, vcc_lo
	s_cbranch_execz .LBB25_64
.LBB25_97:
	ds_load_b32 v15, v13 offset:64
	s_wait_dscnt 0x0
	v_add_f32_e32 v2, v2, v15
	s_wait_alu 0xfffe
	s_or_b32 exec_lo, exec_lo, s0
	s_and_saveexec_b32 s0, vcc_lo
	s_cbranch_execz .LBB25_65
.LBB25_98:
	ds_load_b32 v15, v13 offset:128
	s_wait_dscnt 0x0
	v_add_f32_e32 v3, v3, v15
	s_wait_alu 0xfffe
	s_or_b32 exec_lo, exec_lo, s0
	s_and_saveexec_b32 s0, vcc_lo
	s_cbranch_execz .LBB25_66
.LBB25_99:
	ds_load_b32 v15, v13 offset:192
	s_wait_dscnt 0x0
	v_add_f32_e32 v4, v4, v15
	s_wait_alu 0xfffe
	s_or_b32 exec_lo, exec_lo, s0
	s_and_saveexec_b32 s0, vcc_lo
	s_cbranch_execz .LBB25_67
.LBB25_100:
	ds_load_b32 v15, v13 offset:256
	s_wait_dscnt 0x0
	v_add_f32_e32 v5, v5, v15
	s_wait_alu 0xfffe
	s_or_b32 exec_lo, exec_lo, s0
	s_and_saveexec_b32 s0, vcc_lo
	s_cbranch_execz .LBB25_68
.LBB25_101:
	ds_load_b32 v15, v13 offset:320
	s_wait_dscnt 0x0
	v_add_f32_e32 v6, v6, v15
	s_wait_alu 0xfffe
	s_or_b32 exec_lo, exec_lo, s0
	s_and_saveexec_b32 s0, vcc_lo
	s_cbranch_execz .LBB25_69
.LBB25_102:
	ds_load_b32 v15, v13 offset:384
	s_wait_dscnt 0x0
	v_add_f32_e32 v7, v7, v15
	s_wait_alu 0xfffe
	s_or_b32 exec_lo, exec_lo, s0
	s_and_saveexec_b32 s0, vcc_lo
	s_cbranch_execz .LBB25_70
.LBB25_103:
	ds_load_b32 v15, v13 offset:448
	s_wait_dscnt 0x0
	v_add_f32_e32 v8, v8, v15
	s_wait_alu 0xfffe
	s_or_b32 exec_lo, exec_lo, s0
	s_and_saveexec_b32 s0, vcc_lo
	s_cbranch_execz .LBB25_71
.LBB25_104:
	ds_load_b32 v15, v13 offset:512
	s_wait_dscnt 0x0
	v_add_f32_e32 v9, v9, v15
	s_wait_alu 0xfffe
	s_or_b32 exec_lo, exec_lo, s0
	s_and_saveexec_b32 s0, vcc_lo
	s_cbranch_execz .LBB25_72
.LBB25_105:
	ds_load_b32 v15, v13 offset:576
	s_wait_dscnt 0x0
	v_add_f32_e32 v10, v10, v15
	s_wait_alu 0xfffe
	s_or_b32 exec_lo, exec_lo, s0
	s_and_saveexec_b32 s0, vcc_lo
	s_cbranch_execz .LBB25_73
.LBB25_106:
	ds_load_b32 v15, v13 offset:640
	s_wait_dscnt 0x0
	v_add_f32_e32 v11, v11, v15
	s_wait_alu 0xfffe
	s_or_b32 exec_lo, exec_lo, s0
	s_and_saveexec_b32 s0, vcc_lo
	s_cbranch_execnz .LBB25_74
	s_branch .LBB25_75
.LBB25_107:
	ds_load_b32 v14, v13
	s_wait_dscnt 0x0
	v_add_f32_e32 v1, v1, v14
	s_wait_alu 0xfffe
	s_or_b32 exec_lo, exec_lo, s0
	s_and_saveexec_b32 s0, vcc_lo
	s_cbranch_execz .LBB25_81
.LBB25_108:
	ds_load_b32 v14, v13 offset:64
	s_wait_dscnt 0x0
	v_add_f32_e32 v2, v2, v14
	s_wait_alu 0xfffe
	s_or_b32 exec_lo, exec_lo, s0
	s_and_saveexec_b32 s0, vcc_lo
	s_cbranch_execz .LBB25_82
.LBB25_109:
	ds_load_b32 v14, v13 offset:128
	s_wait_dscnt 0x0
	v_add_f32_e32 v3, v3, v14
	s_wait_alu 0xfffe
	s_or_b32 exec_lo, exec_lo, s0
	s_and_saveexec_b32 s0, vcc_lo
	s_cbranch_execz .LBB25_83
.LBB25_110:
	ds_load_b32 v14, v13 offset:192
	s_wait_dscnt 0x0
	v_add_f32_e32 v4, v4, v14
	s_wait_alu 0xfffe
	s_or_b32 exec_lo, exec_lo, s0
	s_and_saveexec_b32 s0, vcc_lo
	s_cbranch_execz .LBB25_84
.LBB25_111:
	ds_load_b32 v14, v13 offset:256
	s_wait_dscnt 0x0
	v_add_f32_e32 v5, v5, v14
	s_wait_alu 0xfffe
	s_or_b32 exec_lo, exec_lo, s0
	s_and_saveexec_b32 s0, vcc_lo
	s_cbranch_execz .LBB25_85
.LBB25_112:
	ds_load_b32 v14, v13 offset:320
	s_wait_dscnt 0x0
	v_add_f32_e32 v6, v6, v14
	s_wait_alu 0xfffe
	s_or_b32 exec_lo, exec_lo, s0
	s_and_saveexec_b32 s0, vcc_lo
	s_cbranch_execz .LBB25_86
.LBB25_113:
	ds_load_b32 v14, v13 offset:384
	s_wait_dscnt 0x0
	v_add_f32_e32 v7, v7, v14
	s_wait_alu 0xfffe
	s_or_b32 exec_lo, exec_lo, s0
	s_and_saveexec_b32 s0, vcc_lo
	s_cbranch_execz .LBB25_87
.LBB25_114:
	ds_load_b32 v14, v13 offset:448
	s_wait_dscnt 0x0
	v_add_f32_e32 v8, v8, v14
	s_wait_alu 0xfffe
	s_or_b32 exec_lo, exec_lo, s0
	s_and_saveexec_b32 s0, vcc_lo
	s_cbranch_execz .LBB25_88
.LBB25_115:
	ds_load_b32 v14, v13 offset:512
	s_wait_dscnt 0x0
	v_add_f32_e32 v9, v9, v14
	s_wait_alu 0xfffe
	s_or_b32 exec_lo, exec_lo, s0
	s_and_saveexec_b32 s0, vcc_lo
	s_cbranch_execz .LBB25_89
.LBB25_116:
	ds_load_b32 v14, v13 offset:576
	s_wait_dscnt 0x0
	v_add_f32_e32 v10, v10, v14
	s_wait_alu 0xfffe
	s_or_b32 exec_lo, exec_lo, s0
	s_and_saveexec_b32 s0, vcc_lo
	s_cbranch_execz .LBB25_90
.LBB25_117:
	ds_load_b32 v14, v13 offset:640
	s_wait_dscnt 0x0
	v_add_f32_e32 v11, v11, v14
	s_wait_alu 0xfffe
	s_or_b32 exec_lo, exec_lo, s0
	s_and_saveexec_b32 s0, vcc_lo
	s_cbranch_execnz .LBB25_91
	s_branch .LBB25_92
	.section	.rodata,"a",@progbits
	.p2align	6, 0x0
	.amdhsa_kernel _ZN4vllm25paged_attention_v2_kernelIffLi192ELi8ELi128ELNS_18Fp8KVCacheDataTypeE0ELb0ELi512EEEvPfS2_PT_PKS3_PKT0_S9_ifPKiSB_iPKfiiiSD_SD_iiiii
		.amdhsa_group_segment_fixed_size 800
		.amdhsa_private_segment_fixed_size 0
		.amdhsa_kernarg_size 400
		.amdhsa_user_sgpr_count 2
		.amdhsa_user_sgpr_dispatch_ptr 0
		.amdhsa_user_sgpr_queue_ptr 0
		.amdhsa_user_sgpr_kernarg_segment_ptr 1
		.amdhsa_user_sgpr_dispatch_id 0
		.amdhsa_user_sgpr_private_segment_size 0
		.amdhsa_wavefront_size32 1
		.amdhsa_uses_dynamic_stack 0
		.amdhsa_enable_private_segment 0
		.amdhsa_system_sgpr_workgroup_id_x 1
		.amdhsa_system_sgpr_workgroup_id_y 1
		.amdhsa_system_sgpr_workgroup_id_z 1
		.amdhsa_system_sgpr_workgroup_info 0
		.amdhsa_system_vgpr_workitem_id 0
		.amdhsa_next_free_vgpr 115
		.amdhsa_next_free_sgpr 32
		.amdhsa_reserve_vcc 1
		.amdhsa_float_round_mode_32 0
		.amdhsa_float_round_mode_16_64 0
		.amdhsa_float_denorm_mode_32 3
		.amdhsa_float_denorm_mode_16_64 3
		.amdhsa_fp16_overflow 0
		.amdhsa_workgroup_processor_mode 1
		.amdhsa_memory_ordered 1
		.amdhsa_forward_progress 1
		.amdhsa_inst_pref_size 63
		.amdhsa_round_robin_scheduling 0
		.amdhsa_exception_fp_ieee_invalid_op 0
		.amdhsa_exception_fp_denorm_src 0
		.amdhsa_exception_fp_ieee_div_zero 0
		.amdhsa_exception_fp_ieee_overflow 0
		.amdhsa_exception_fp_ieee_underflow 0
		.amdhsa_exception_fp_ieee_inexact 0
		.amdhsa_exception_int_div_zero 0
	.end_amdhsa_kernel
	.section	.text._ZN4vllm25paged_attention_v2_kernelIffLi192ELi8ELi128ELNS_18Fp8KVCacheDataTypeE0ELb0ELi512EEEvPfS2_PT_PKS3_PKT0_S9_ifPKiSB_iPKfiiiSD_SD_iiiii,"axG",@progbits,_ZN4vllm25paged_attention_v2_kernelIffLi192ELi8ELi128ELNS_18Fp8KVCacheDataTypeE0ELb0ELi512EEEvPfS2_PT_PKS3_PKT0_S9_ifPKiSB_iPKfiiiSD_SD_iiiii,comdat
.Lfunc_end25:
	.size	_ZN4vllm25paged_attention_v2_kernelIffLi192ELi8ELi128ELNS_18Fp8KVCacheDataTypeE0ELb0ELi512EEEvPfS2_PT_PKS3_PKT0_S9_ifPKiSB_iPKfiiiSD_SD_iiiii, .Lfunc_end25-_ZN4vllm25paged_attention_v2_kernelIffLi192ELi8ELi128ELNS_18Fp8KVCacheDataTypeE0ELb0ELi512EEEvPfS2_PT_PKS3_PKT0_S9_ifPKiSB_iPKfiiiSD_SD_iiiii
                                        ; -- End function
	.set _ZN4vllm25paged_attention_v2_kernelIffLi192ELi8ELi128ELNS_18Fp8KVCacheDataTypeE0ELb0ELi512EEEvPfS2_PT_PKS3_PKT0_S9_ifPKiSB_iPKfiiiSD_SD_iiiii.num_vgpr, 115
	.set _ZN4vllm25paged_attention_v2_kernelIffLi192ELi8ELi128ELNS_18Fp8KVCacheDataTypeE0ELb0ELi512EEEvPfS2_PT_PKS3_PKT0_S9_ifPKiSB_iPKfiiiSD_SD_iiiii.num_agpr, 0
	.set _ZN4vllm25paged_attention_v2_kernelIffLi192ELi8ELi128ELNS_18Fp8KVCacheDataTypeE0ELb0ELi512EEEvPfS2_PT_PKS3_PKT0_S9_ifPKiSB_iPKfiiiSD_SD_iiiii.numbered_sgpr, 32
	.set _ZN4vllm25paged_attention_v2_kernelIffLi192ELi8ELi128ELNS_18Fp8KVCacheDataTypeE0ELb0ELi512EEEvPfS2_PT_PKS3_PKT0_S9_ifPKiSB_iPKfiiiSD_SD_iiiii.num_named_barrier, 0
	.set _ZN4vllm25paged_attention_v2_kernelIffLi192ELi8ELi128ELNS_18Fp8KVCacheDataTypeE0ELb0ELi512EEEvPfS2_PT_PKS3_PKT0_S9_ifPKiSB_iPKfiiiSD_SD_iiiii.private_seg_size, 0
	.set _ZN4vllm25paged_attention_v2_kernelIffLi192ELi8ELi128ELNS_18Fp8KVCacheDataTypeE0ELb0ELi512EEEvPfS2_PT_PKS3_PKT0_S9_ifPKiSB_iPKfiiiSD_SD_iiiii.uses_vcc, 1
	.set _ZN4vllm25paged_attention_v2_kernelIffLi192ELi8ELi128ELNS_18Fp8KVCacheDataTypeE0ELb0ELi512EEEvPfS2_PT_PKS3_PKT0_S9_ifPKiSB_iPKfiiiSD_SD_iiiii.uses_flat_scratch, 0
	.set _ZN4vllm25paged_attention_v2_kernelIffLi192ELi8ELi128ELNS_18Fp8KVCacheDataTypeE0ELb0ELi512EEEvPfS2_PT_PKS3_PKT0_S9_ifPKiSB_iPKfiiiSD_SD_iiiii.has_dyn_sized_stack, 0
	.set _ZN4vllm25paged_attention_v2_kernelIffLi192ELi8ELi128ELNS_18Fp8KVCacheDataTypeE0ELb0ELi512EEEvPfS2_PT_PKS3_PKT0_S9_ifPKiSB_iPKfiiiSD_SD_iiiii.has_recursion, 0
	.set _ZN4vllm25paged_attention_v2_kernelIffLi192ELi8ELi128ELNS_18Fp8KVCacheDataTypeE0ELb0ELi512EEEvPfS2_PT_PKS3_PKT0_S9_ifPKiSB_iPKfiiiSD_SD_iiiii.has_indirect_call, 0
	.section	.AMDGPU.csdata,"",@progbits
; Kernel info:
; codeLenInByte = 8036
; TotalNumSgprs: 34
; NumVgprs: 115
; ScratchSize: 0
; MemoryBound: 0
; FloatMode: 240
; IeeeMode: 1
; LDSByteSize: 800 bytes/workgroup (compile time only)
; SGPRBlocks: 0
; VGPRBlocks: 14
; NumSGPRsForWavesPerEU: 34
; NumVGPRsForWavesPerEU: 115
; Occupancy: 12
; WaveLimiterHint : 1
; COMPUTE_PGM_RSRC2:SCRATCH_EN: 0
; COMPUTE_PGM_RSRC2:USER_SGPR: 2
; COMPUTE_PGM_RSRC2:TRAP_HANDLER: 0
; COMPUTE_PGM_RSRC2:TGID_X_EN: 1
; COMPUTE_PGM_RSRC2:TGID_Y_EN: 1
; COMPUTE_PGM_RSRC2:TGID_Z_EN: 1
; COMPUTE_PGM_RSRC2:TIDIG_COMP_CNT: 0
	.section	.text._ZN4vllm25paged_attention_v2_kernelIffLi256ELi8ELi128ELNS_18Fp8KVCacheDataTypeE0ELb0ELi512EEEvPfS2_PT_PKS3_PKT0_S9_ifPKiSB_iPKfiiiSD_SD_iiiii,"axG",@progbits,_ZN4vllm25paged_attention_v2_kernelIffLi256ELi8ELi128ELNS_18Fp8KVCacheDataTypeE0ELb0ELi512EEEvPfS2_PT_PKS3_PKT0_S9_ifPKiSB_iPKfiiiSD_SD_iiiii,comdat
	.protected	_ZN4vllm25paged_attention_v2_kernelIffLi256ELi8ELi128ELNS_18Fp8KVCacheDataTypeE0ELb0ELi512EEEvPfS2_PT_PKS3_PKT0_S9_ifPKiSB_iPKfiiiSD_SD_iiiii ; -- Begin function _ZN4vllm25paged_attention_v2_kernelIffLi256ELi8ELi128ELNS_18Fp8KVCacheDataTypeE0ELb0ELi512EEEvPfS2_PT_PKS3_PKT0_S9_ifPKiSB_iPKfiiiSD_SD_iiiii
	.globl	_ZN4vllm25paged_attention_v2_kernelIffLi256ELi8ELi128ELNS_18Fp8KVCacheDataTypeE0ELb0ELi512EEEvPfS2_PT_PKS3_PKT0_S9_ifPKiSB_iPKfiiiSD_SD_iiiii
	.p2align	8
	.type	_ZN4vllm25paged_attention_v2_kernelIffLi256ELi8ELi128ELNS_18Fp8KVCacheDataTypeE0ELb0ELi512EEEvPfS2_PT_PKS3_PKT0_S9_ifPKiSB_iPKfiiiSD_SD_iiiii,@function
_ZN4vllm25paged_attention_v2_kernelIffLi256ELi8ELi128ELNS_18Fp8KVCacheDataTypeE0ELb0ELi512EEEvPfS2_PT_PKS3_PKT0_S9_ifPKiSB_iPKfiiiSD_SD_iiiii: ; @_ZN4vllm25paged_attention_v2_kernelIffLi256ELi8ELi128ELNS_18Fp8KVCacheDataTypeE0ELb0ELi512EEEvPfS2_PT_PKS3_PKT0_S9_ifPKiSB_iPKfiiiSD_SD_iiiii
; %bb.0:
	s_load_b64 s[2:3], s[0:1], 0x40
	s_and_b32 s28, ttmp7, 0xffff
	s_lshr_b32 s24, ttmp7, 16
	s_lshl_b32 s4, s28, 2
	s_lshl_b32 s27, s24, 9
	s_wait_kmcnt 0x0
	s_load_b32 s26, s[2:3], s4 offset:0x0
	s_wait_kmcnt 0x0
	s_cmp_ge_i32 s27, s26
	s_cbranch_scc1 .LBB26_111
; %bb.1:
	s_clause 0x1
	s_load_b32 s29, s[0:1], 0x90
	s_load_b64 s[6:7], s[0:1], 0x30
	s_wait_kmcnt 0x0
	s_abs_i32 s5, s29
	s_abs_i32 s2, s6
	s_delay_alu instid0(SALU_CYCLE_1) | instskip(SKIP_1) | instid1(SALU_CYCLE_2)
	s_cvt_f32_u32 s3, s2
	s_sub_co_i32 s4, 0, s2
	v_rcp_iflag_f32_e32 v1, s3
	s_delay_alu instid0(TRANS32_DEP_1) | instskip(SKIP_2) | instid1(SALU_CYCLE_2)
	v_readfirstlane_b32 s3, v1
	s_mul_f32 s3, s3, 0x4f7ffffe
	s_wait_alu 0xfffe
	s_cvt_u32_f32 s3, s3
	s_wait_alu 0xfffe
	s_delay_alu instid0(SALU_CYCLE_2) | instskip(NEXT) | instid1(SALU_CYCLE_1)
	s_mul_i32 s4, s4, s3
	s_mul_hi_u32 s4, s3, s4
	s_delay_alu instid0(SALU_CYCLE_1)
	s_add_co_i32 s3, s3, s4
	s_xor_b32 s4, s29, s6
	s_wait_alu 0xfffe
	s_mul_hi_u32 s3, s5, s3
	s_ashr_i32 s4, s4, 31
	s_wait_alu 0xfffe
	s_mul_i32 s6, s3, s2
	s_delay_alu instid0(SALU_CYCLE_1)
	s_sub_co_i32 s5, s5, s6
	s_add_co_i32 s6, s3, 1
	s_sub_co_i32 s8, s5, s2
	s_cmp_ge_u32 s5, s2
	s_cselect_b32 s3, s6, s3
	s_cselect_b32 s5, s8, s5
	s_wait_alu 0xfffe
	s_add_co_i32 s6, s3, 1
	s_cmp_ge_u32 s5, s2
	s_load_b64 s[8:9], s[0:1], 0x50
	s_cselect_b32 s2, s6, s3
	s_mov_b32 s3, 0
	s_wait_alu 0xfffe
	s_xor_b32 s2, s2, s4
	s_mov_b32 s6, s3
	s_wait_alu 0xfffe
	s_sub_co_i32 s12, s2, s4
	s_delay_alu instid0(SALU_CYCLE_1) | instskip(NEXT) | instid1(SALU_CYCLE_1)
	s_abs_i32 s11, s12
	s_cvt_f32_u32 s2, s11
	s_wait_alu 0xfffe
	s_delay_alu instid0(SALU_CYCLE_2) | instskip(NEXT) | instid1(TRANS32_DEP_1)
	v_rcp_iflag_f32_e32 v1, s2
	v_readfirstlane_b32 s2, v1
	s_mul_f32 s2, s2, 0x4f7ffffe
	s_wait_alu 0xfffe
	s_delay_alu instid0(SALU_CYCLE_2) | instskip(SKIP_2) | instid1(SALU_CYCLE_1)
	s_cvt_u32_f32 s4, s2
	s_sub_co_i32 s2, 0, s11
	s_wait_alu 0xfffe
	s_mul_i32 s2, s2, s4
	s_wait_alu 0xfffe
	s_mul_hi_u32 s5, s4, s2
	s_abs_i32 s2, ttmp9
	s_add_co_i32 s4, s4, s5
	s_mov_b32 s5, s3
	s_wait_kmcnt 0x0
	s_cmp_eq_u64 s[8:9], 0
	s_cbranch_scc1 .LBB26_3
; %bb.2:
	s_mov_b32 s14, ttmp9
	s_ashr_i32 s15, ttmp9, 31
	s_delay_alu instid0(SALU_CYCLE_1) | instskip(NEXT) | instid1(SALU_CYCLE_1)
	s_lshl_b64 s[14:15], s[14:15], 2
	s_add_nc_u64 s[8:9], s[8:9], s[14:15]
	s_load_b32 s6, s[8:9], 0x0
.LBB26_3:
	s_clause 0x1
	s_load_b32 s25, s[0:1], 0x98
	s_load_b96 s[8:10], s[0:1], 0x58
	v_and_b32_e32 v65, 3, v0
	v_lshlrev_b32_e32 v67, 2, v0
	s_mul_u64 s[4:5], s[2:3], s[4:5]
	s_ashr_i32 s3, ttmp9, 31
	s_ashr_i32 s4, s12, 31
	s_lshl_b32 s12, ttmp9, 8
	s_mov_b32 s16, exec_lo
	v_cmpx_gt_u32_e32 0x100, v0
	s_cbranch_execz .LBB26_6
; %bb.4:
	s_load_b64 s[14:15], s[0:1], 0x18
	s_wait_kmcnt 0x0
	s_mul_i32 s18, s8, s28
	s_ashr_i32 s13, s12, 31
	s_ashr_i32 s19, s18, 31
	v_and_b32_e32 v1, 0x3fc, v0
	s_lshl_b64 s[18:19], s[18:19], 2
	v_cmp_gt_u32_e32 vcc_lo, 0x80, v0
	s_delay_alu instid0(VALU_DEP_2) | instskip(SKIP_2) | instid1(SALU_CYCLE_1)
	v_lshl_add_u32 v1, v65, 8, v1
	s_add_nc_u64 s[14:15], s[14:15], s[18:19]
	s_lshl_b64 s[18:19], s[12:13], 2
	s_add_nc_u64 s[14:15], s[14:15], s[18:19]
	global_load_b32 v2, v67, s[14:15]
	s_wait_loadcnt 0x0
	ds_store_b32 v1, v2
	s_and_b32 exec_lo, exec_lo, vcc_lo
	s_cbranch_execz .LBB26_6
; %bb.5:
	v_lshrrev_b32_e32 v2, 2, v0
	v_lshlrev_b32_e32 v3, 2, v65
	s_delay_alu instid0(VALU_DEP_2) | instskip(NEXT) | instid1(VALU_DEP_1)
	v_lshlrev_b32_e32 v2, 4, v2
	v_or3_b32 v2, v2, v3, 0x200
	global_load_b32 v2, v2, s[14:15]
	s_wait_loadcnt 0x0
	ds_store_b32 v1, v2 offset:128
.LBB26_6:
	s_or_b32 exec_lo, exec_lo, s16
	s_wait_kmcnt 0x0
	s_add_co_i32 s8, s26, 7
	s_mul_i32 s15, s5, s11
	s_ashr_i32 s13, s8, 31
	s_sub_co_i32 s2, s2, s15
	s_load_b32 s15, s[0:1], 0x48
	s_xor_b32 s3, s3, s4
	s_lshr_b32 s4, s13, 29
	s_lshl_b32 s14, s24, 6
	s_add_co_i32 s8, s8, s4
	s_add_co_i32 s4, s14, 64
	s_ashr_i32 s13, s8, 3
	s_sub_co_i32 s16, s2, s11
	s_min_i32 s8, s4, s13
	s_add_co_i32 s4, s5, 1
	s_cmp_ge_u32 s2, s11
	v_lshrrev_b32_e32 v71, 5, v0
	s_cselect_b32 s4, s4, s5
	s_cselect_b32 s2, s16, s2
	s_add_co_i32 s5, s4, 1
	s_wait_alu 0xfffe
	s_cmp_ge_u32 s2, s11
	v_or_b32_e32 v72, s14, v71
	s_cselect_b32 s2, s5, s4
	v_mbcnt_lo_u32_b32 v69, -1, 0
	s_wait_alu 0xfffe
	s_xor_b32 s2, s2, s3
	s_wait_kmcnt 0x0
	s_mul_i32 s16, s15, s28
	s_wait_alu 0xfffe
	s_sub_co_i32 s3, s2, s3
	v_cmp_gt_i32_e64 s2, s8, v72
	s_ashr_i32 s17, s16, 31
	s_mov_b32 s4, exec_lo
	s_wait_dscnt 0x0
	s_barrier_signal -1
	s_barrier_wait -1
	global_inv scope:SCOPE_SE
                                        ; implicit-def: $vgpr70
                                        ; implicit-def: $vgpr74
	v_cmpx_le_i32_e64 s8, v72
	s_xor_b32 s4, exec_lo, s4
; %bb.7:
	v_mov_b32_e32 v70, 0
	v_mbcnt_lo_u32_b32 v69, -1, 0
	v_mov_b32_e32 v74, 32
                                        ; implicit-def: $vgpr65
; %bb.8:
	s_or_saveexec_b32 s11, s4
	s_load_b64 s[18:19], s[0:1], 0x38
	v_dual_mov_b32 v73, 0xff7fffff :: v_dual_lshlrev_b32 v68, 2, v72
	s_mul_i32 s20, s3, s10
	s_xor_b32 exec_lo, exec_lo, s11
	s_cbranch_execz .LBB26_14
; %bb.9:
	s_load_b64 s[4:5], s[0:1], 0x20
	v_bfe_u32 v66, v0, 2, 3
	s_ashr_i32 s21, s20, 31
	v_dual_mov_b32 v70, 0 :: v_dual_lshlrev_b32 v33, 2, v65
	s_lshl_b64 s[22:23], s[20:21], 2
	s_delay_alu instid0(VALU_DEP_2)
	v_lshlrev_b32_e32 v25, 4, v66
	v_xor_b32_e32 v41, 2, v69
	v_xor_b32_e32 v50, 1, v69
	v_dual_mov_b32 v74, 32 :: v_dual_lshlrev_b32 v61, 8, v65
	ds_load_b128 v[1:4], v61
	ds_load_b128 v[5:8], v61 offset:16
	ds_load_b128 v[9:12], v61 offset:32
	;; [unrolled: 1-line block ×5, first 2 shown]
	v_lshlrev_b32_e32 v73, 2, v66
	s_cmp_neq_f32 s6, 0
	v_mov_b32_e32 v81, v72
	s_mov_b32 s15, s9
	s_mov_b32 s10, 0
	s_wait_kmcnt 0x0
	s_add_nc_u64 s[4:5], s[4:5], s[22:23]
	v_lshl_or_b32 v73, v71, 5, v73
	v_add_co_u32 v34, s3, s4, v25
	s_wait_alu 0xf1ff
	v_add_co_ci_u32_e64 v35, null, s5, 0, s3
	ds_load_b128 v[25:28], v61 offset:96
	ds_load_b128 v[29:32], v61 offset:112
	v_add_co_u32 v75, vcc_lo, v34, v33
	s_delay_alu instid0(VALU_DEP_1)
	v_add_co_ci_u32_e64 v76, null, 0, v35, vcc_lo
	v_cmp_gt_i32_e32 vcc_lo, 32, v41
	ds_load_b128 v[33:36], v61 offset:128
	ds_load_b128 v[37:40], v61 offset:144
	s_cselect_b32 s3, -1, 0
	s_lshl_b64 s[4:5], s[16:17], 2
	v_add_nc_u32_e32 v80, 0x420, v73
	s_wait_alu 0xfffd
	v_cndmask_b32_e32 v49, v69, v41, vcc_lo
	v_cmp_gt_i32_e32 vcc_lo, 32, v50
	ds_load_b128 v[41:44], v61 offset:160
	ds_load_b128 v[45:48], v61 offset:176
	v_lshlrev_b32_e32 v79, 3, v71
	s_wait_alu 0xfffe
	s_add_nc_u64 s[4:5], s[18:19], s[4:5]
	s_wait_alu 0xfffd
	v_dual_mov_b32 v73, 0xff7fffff :: v_dual_cndmask_b32 v78, v69, v50
	v_cmp_eq_u32_e32 vcc_lo, 0, v65
	s_wait_alu 0xfffe
	v_add_co_u32 v65, s4, s4, v68
	v_add3_u32 v79, s27, v79, v66
	v_lshlrev_b32_e32 v78, 2, v78
	v_lshlrev_b32_e32 v77, 2, v49
	ds_load_b128 v[49:52], v61 offset:192
	ds_load_b128 v[53:56], v61 offset:208
	;; [unrolled: 1-line block ×4, first 2 shown]
	s_wait_alu 0xf1ff
	v_add_co_ci_u32_e64 v66, null, s5, 0, s4
	s_sub_co_i32 s21, 1, s26
	s_branch .LBB26_11
.LBB26_10:                              ;   in Loop: Header=BB26_11 Depth=1
	s_wait_alu 0xfffe
	s_or_b32 exec_lo, exec_lo, s5
	v_add_nc_u32_e32 v81, 4, v81
	v_add_co_u32 v65, s5, v65, 16
	v_add_nc_u32_e32 v79, 32, v79
	v_add_nc_u32_e32 v80, 0x80, v80
	s_delay_alu instid0(VALU_DEP_4) | instskip(SKIP_3) | instid1(SALU_CYCLE_1)
	v_cmp_le_i32_e64 s4, s8, v81
	s_wait_alu 0xf1ff
	v_add_co_ci_u32_e64 v66, null, 0, v66, s5
	s_or_b32 s10, s4, s10
	s_and_not1_b32 exec_lo, exec_lo, s10
	s_cbranch_execz .LBB26_13
.LBB26_11:                              ; =>This Inner Loop Header: Depth=1
	global_load_b32 v82, v[65:66], off
	s_wait_loadcnt_dscnt 0x0
	v_mad_co_i64_i32 v[82:83], null, v82, s15, 0
	s_delay_alu instid0(VALU_DEP_1) | instskip(NEXT) | instid1(VALU_DEP_1)
	v_lshlrev_b64_e32 v[82:83], 2, v[82:83]
	v_add_co_u32 v82, s4, v75, v82
	s_wait_alu 0xf1ff
	s_delay_alu instid0(VALU_DEP_2)
	v_add_co_ci_u32_e64 v83, null, v76, v83, s4
	s_clause 0x1f
	global_load_b32 v84, v[82:83], off offset:128
	global_load_b32 v85, v[82:83], off offset:256
	;; [unrolled: 1-line block ×7, first 2 shown]
	global_load_b32 v91, v[82:83], off
	global_load_b32 v92, v[82:83], off offset:1024
	global_load_b32 v93, v[82:83], off offset:1152
	;; [unrolled: 1-line block ×24, first 2 shown]
	s_clause 0x1f
	global_load_b32 v116, v[82:83], off offset:4096
	global_load_b32 v117, v[82:83], off offset:4224
	;; [unrolled: 1-line block ×32, first 2 shown]
	s_wait_loadcnt_dscnt 0x3e0f
	v_mul_f32_e32 v83, v2, v84
	s_wait_loadcnt 0x38
	s_delay_alu instid0(VALU_DEP_1) | instskip(NEXT) | instid1(VALU_DEP_1)
	v_fmac_f32_e32 v83, v1, v91
	v_fmac_f32_e32 v83, v3, v85
	s_delay_alu instid0(VALU_DEP_1) | instskip(SKIP_1) | instid1(VALU_DEP_1)
	v_fmac_f32_e32 v83, v4, v86
	s_wait_dscnt 0xe
	v_fmac_f32_e32 v83, v5, v87
	s_delay_alu instid0(VALU_DEP_1) | instskip(NEXT) | instid1(VALU_DEP_1)
	v_fmac_f32_e32 v83, v6, v88
	v_fmac_f32_e32 v83, v7, v89
	s_delay_alu instid0(VALU_DEP_1) | instskip(SKIP_1) | instid1(VALU_DEP_1)
	v_fmac_f32_e32 v83, v8, v90
	s_wait_loadcnt_dscnt 0x370d
	v_fmac_f32_e32 v83, v9, v92
	s_wait_loadcnt 0x36
	s_delay_alu instid0(VALU_DEP_1) | instskip(SKIP_1) | instid1(VALU_DEP_1)
	v_fmac_f32_e32 v83, v10, v93
	s_wait_loadcnt 0x35
	v_fmac_f32_e32 v83, v11, v94
	s_wait_loadcnt 0x34
	s_delay_alu instid0(VALU_DEP_1) | instskip(SKIP_1) | instid1(VALU_DEP_1)
	v_fmac_f32_e32 v83, v12, v95
	s_wait_loadcnt_dscnt 0x330c
	v_fmac_f32_e32 v83, v13, v96
	s_wait_loadcnt 0x32
	s_delay_alu instid0(VALU_DEP_1) | instskip(SKIP_1) | instid1(VALU_DEP_1)
	v_fmac_f32_e32 v83, v14, v97
	s_wait_loadcnt 0x31
	v_fmac_f32_e32 v83, v15, v98
	s_wait_loadcnt 0x30
	;; [unrolled: 10-line block ×14, first 2 shown]
	s_delay_alu instid0(VALU_DEP_1)
	v_fmac_f32_e32 v83, v64, v82
	ds_bpermute_b32 v82, v77, v83
	s_wait_dscnt 0x0
	v_add_f32_e32 v82, v83, v82
	ds_bpermute_b32 v83, v78, v82
	s_and_saveexec_b32 s5, vcc_lo
	s_cbranch_execz .LBB26_10
; %bb.12:                               ;   in Loop: Header=BB26_11 Depth=1
	s_wait_dscnt 0x0
	v_add_f32_e32 v82, v82, v83
	v_add_nc_u32_e32 v84, s21, v79
	v_cmp_gt_i32_e64 s4, s26, v79
	s_delay_alu instid0(VALU_DEP_2) | instskip(NEXT) | instid1(VALU_DEP_1)
	v_cvt_f32_i32_e32 v84, v84
	v_mul_f32_e32 v84, s6, v84
	s_delay_alu instid0(VALU_DEP_1) | instskip(NEXT) | instid1(VALU_DEP_1)
	v_cndmask_b32_e64 v83, 0, v84, s3
	v_dual_max_num_f32 v84, v73, v73 :: v_dual_fmac_f32 v83, s7, v82
	s_delay_alu instid0(VALU_DEP_1) | instskip(SKIP_2) | instid1(VALU_DEP_2)
	v_max_num_f32_e32 v82, v84, v83
	s_wait_alu 0xf1ff
	v_cndmask_b32_e64 v83, 0, v83, s4
	v_cndmask_b32_e64 v73, v73, v82, s4
	ds_store_b32 v80, v83
	s_branch .LBB26_10
.LBB26_13:
	s_or_b32 exec_lo, exec_lo, s10
.LBB26_14:
	s_delay_alu instid0(SALU_CYCLE_1)
	s_or_b32 exec_lo, exec_lo, s11
	v_xor_b32_e32 v1, 16, v69
	v_xor_b32_e32 v3, 8, v69
	v_max_num_f32_e32 v5, v73, v73
	s_clause 0x2
	s_load_b128 s[4:7], s[0:1], 0x0
	s_load_b64 s[10:11], s[0:1], 0x10
	s_load_b64 s[22:23], s[0:1], 0x28
	v_cmp_lt_i32_e32 vcc_lo, v1, v74
	s_wait_alu 0xfffd
	v_cndmask_b32_e32 v1, v69, v1, vcc_lo
	v_cmp_lt_i32_e32 vcc_lo, v3, v74
	s_wait_alu 0xfffd
	v_cndmask_b32_e32 v3, v69, v3, vcc_lo
	s_delay_alu instid0(VALU_DEP_1)
	v_lshlrev_b32_e32 v4, 2, v3
	v_lshlrev_b32_e32 v2, 2, v1
	ds_bpermute_b32 v1, v2, v73
	v_and_b32_e32 v73, 31, v0
	s_wait_dscnt 0x0
	v_max_num_f32_e32 v1, v1, v1
	s_delay_alu instid0(VALU_DEP_1)
	v_max_num_f32_e32 v1, v5, v1
	v_xor_b32_e32 v5, 4, v69
	ds_bpermute_b32 v3, v4, v1
	v_cmp_lt_i32_e32 vcc_lo, v5, v74
	s_wait_alu 0xfffd
	v_cndmask_b32_e32 v5, v69, v5, vcc_lo
	v_cmp_eq_u32_e32 vcc_lo, 0, v73
	s_delay_alu instid0(VALU_DEP_2) | instskip(SKIP_3) | instid1(VALU_DEP_1)
	v_lshlrev_b32_e32 v7, 2, v5
	v_lshlrev_b32_e32 v5, 2, v71
	s_wait_dscnt 0x0
	v_max_num_f32_e32 v3, v3, v3
	v_max_num_f32_e32 v1, v1, v3
	ds_bpermute_b32 v3, v7, v1
	s_and_saveexec_b32 s0, vcc_lo
	s_cbranch_execz .LBB26_16
; %bb.15:
	s_wait_dscnt 0x0
	v_max_num_f32_e32 v3, v3, v3
	v_max_num_f32_e32 v1, v1, v1
	s_delay_alu instid0(VALU_DEP_1)
	v_max_num_f32_e32 v1, v1, v3
	ds_store_b32 v5, v1 offset:1024
.LBB26_16:
	s_or_b32 exec_lo, exec_lo, s0
	v_cmp_gt_u32_e64 s0, 4, v73
	v_dual_mov_b32 v1, 0xff7fffff :: v_dual_lshlrev_b32 v6, 2, v73
	s_wait_loadcnt_dscnt 0x0
	s_barrier_signal -1
	s_barrier_wait -1
	global_inv scope:SCOPE_SE
	s_and_saveexec_b32 s1, s0
; %bb.17:
	ds_load_b32 v1, v6 offset:1024
; %bb.18:
	s_or_b32 exec_lo, exec_lo, s1
	v_xor_b32_e32 v3, 2, v69
	v_xor_b32_e32 v9, 1, v69
	s_delay_alu instid0(VALU_DEP_2) | instskip(NEXT) | instid1(VALU_DEP_1)
	v_cmp_lt_i32_e64 s1, v3, v74
	v_cndmask_b32_e64 v3, v69, v3, s1
	s_delay_alu instid0(VALU_DEP_3) | instskip(NEXT) | instid1(VALU_DEP_2)
	v_cmp_lt_i32_e64 s1, v9, v74
	v_lshlrev_b32_e32 v8, 2, v3
	s_wait_alu 0xf1ff
	s_delay_alu instid0(VALU_DEP_2)
	v_cndmask_b32_e64 v9, v69, v9, s1
	s_sub_co_i32 s1, s8, s14
	s_wait_alu 0xfffe
	s_lshl_b32 s1, s1, 3
	s_wait_dscnt 0x0
	ds_bpermute_b32 v3, v8, v1
	v_max_num_f32_e32 v1, v1, v1
	s_wait_alu 0xfffe
	s_add_co_i32 s1, s1, s27
	v_lshlrev_b32_e32 v74, 2, v9
	s_wait_alu 0xfffe
	s_min_i32 s1, s1, s26
	v_mov_b32_e32 v9, 0
	s_wait_alu 0xfffe
	s_sub_co_i32 s14, s1, s27
	s_wait_alu 0xfffe
	v_cmp_gt_i32_e64 s1, s14, v0
	s_wait_dscnt 0x0
	v_max_num_f32_e32 v3, v3, v3
	s_delay_alu instid0(VALU_DEP_1) | instskip(SKIP_3) | instid1(VALU_DEP_1)
	v_max_num_f32_e32 v1, v1, v3
	ds_bpermute_b32 v3, v74, v1
	s_wait_dscnt 0x0
	v_max_num_f32_e32 v3, v3, v3
	v_max_num_f32_e32 v1, v1, v3
	v_lshlrev_b32_e32 v3, 2, v70
	ds_bpermute_b32 v1, v3, v1
	v_lshl_add_u32 v3, v0, 2, 0x420
	s_and_saveexec_b32 s15, s1
	s_cbranch_execz .LBB26_22
; %bb.19:
	v_lshl_add_u32 v10, v0, 2, 0x420
	v_mov_b32_e32 v9, 0
	v_mov_b32_e32 v11, v0
	s_mov_b32 s21, 0
.LBB26_20:                              ; =>This Inner Loop Header: Depth=1
	ds_load_b32 v12, v10
	v_add_nc_u32_e32 v11, 0x80, v11
	s_delay_alu instid0(VALU_DEP_1) | instskip(SKIP_4) | instid1(VALU_DEP_1)
	v_cmp_le_i32_e64 s3, s14, v11
	s_wait_alu 0xfffe
	s_or_b32 s21, s3, s21
	s_wait_dscnt 0x0
	v_sub_f32_e32 v12, v12, v1
	v_mul_f32_e32 v12, 0x3fb8aa3b, v12
	s_delay_alu instid0(VALU_DEP_1)
	v_exp_f32_e32 v12, v12
	ds_store_b32 v10, v12
	v_dual_add_f32 v9, v9, v12 :: v_dual_add_nc_u32 v10, 0x200, v10
	s_wait_alu 0xfffe
	s_and_not1_b32 exec_lo, exec_lo, s21
	s_cbranch_execnz .LBB26_20
; %bb.21:
	s_or_b32 exec_lo, exec_lo, s21
.LBB26_22:
	s_wait_alu 0xfffe
	s_or_b32 exec_lo, exec_lo, s15
	ds_bpermute_b32 v2, v2, v9
	s_wait_dscnt 0x0
	v_add_f32_e32 v2, v9, v2
	ds_bpermute_b32 v4, v4, v2
	s_wait_dscnt 0x0
	v_add_f32_e32 v2, v2, v4
	;; [unrolled: 3-line block ×5, first 2 shown]
	s_and_saveexec_b32 s3, vcc_lo
; %bb.23:
	ds_store_b32 v5, v2 offset:1040
; %bb.24:
	s_wait_alu 0xfffe
	s_or_b32 exec_lo, exec_lo, s3
	s_wait_loadcnt_dscnt 0x0
	s_barrier_signal -1
	s_barrier_wait -1
	global_inv scope:SCOPE_SE
	s_and_saveexec_b32 s3, s0
; %bb.25:
	ds_load_b32 v2, v6 offset:1040
; %bb.26:
	s_wait_alu 0xfffe
	s_or_b32 exec_lo, exec_lo, s3
	s_wait_dscnt 0x0
	ds_bpermute_b32 v4, v8, v2
	s_wait_dscnt 0x0
	v_dual_add_f32 v2, v2, v4 :: v_dual_lshlrev_b32 v5, 2, v69
	ds_bpermute_b32 v4, v74, v2
	s_wait_dscnt 0x0
	v_add_f32_e32 v2, v2, v4
	v_and_b32_e32 v4, 0xffffff80, v5
	ds_bpermute_b32 v2, v4, v2
	s_and_saveexec_b32 s0, s1
	s_cbranch_execz .LBB26_29
; %bb.27:
	s_wait_dscnt 0x0
	v_add_f32_e32 v4, 0x358637bd, v2
	s_mov_b32 s1, 0
	s_delay_alu instid0(VALU_DEP_1) | instskip(SKIP_1) | instid1(VALU_DEP_2)
	v_div_scale_f32 v5, null, v4, v4, 1.0
	v_div_scale_f32 v8, vcc_lo, 1.0, v4, 1.0
	v_rcp_f32_e32 v6, v5
	s_delay_alu instid0(TRANS32_DEP_1) | instskip(NEXT) | instid1(VALU_DEP_1)
	v_fma_f32 v7, -v5, v6, 1.0
	v_fmac_f32_e32 v6, v7, v6
	s_delay_alu instid0(VALU_DEP_1) | instskip(NEXT) | instid1(VALU_DEP_1)
	v_mul_f32_e32 v7, v8, v6
	v_fma_f32 v9, -v5, v7, v8
	s_delay_alu instid0(VALU_DEP_1) | instskip(NEXT) | instid1(VALU_DEP_1)
	v_fmac_f32_e32 v7, v9, v6
	v_fma_f32 v5, -v5, v7, v8
	s_wait_alu 0xfffd
	s_delay_alu instid0(VALU_DEP_1) | instskip(NEXT) | instid1(VALU_DEP_1)
	v_div_fmas_f32 v5, v5, v6, v7
	v_div_fixup_f32 v4, v5, v4, 1.0
	v_mov_b32_e32 v5, v0
.LBB26_28:                              ; =>This Inner Loop Header: Depth=1
	ds_load_b32 v6, v3
	s_wait_dscnt 0x0
	v_dual_mul_f32 v6, v4, v6 :: v_dual_add_nc_u32 v5, 0x80, v5
	s_delay_alu instid0(VALU_DEP_1)
	v_cmp_le_i32_e32 vcc_lo, s14, v5
	ds_store_b32 v3, v6
	v_add_nc_u32_e32 v3, 0x200, v3
	s_wait_alu 0xfffe
	s_or_b32 s1, vcc_lo, s1
	s_wait_alu 0xfffe
	s_and_not1_b32 exec_lo, exec_lo, s1
	s_cbranch_execnz .LBB26_28
.LBB26_29:
	s_wait_alu 0xfffe
	s_or_b32 exec_lo, exec_lo, s0
	s_mul_i32 s0, s25, s28
	s_wait_loadcnt_dscnt 0x0
	s_wait_alu 0xfffe
	s_mul_i32 s14, s0, s29
	s_mov_b32 s0, exec_lo
	s_barrier_signal -1
	s_barrier_wait -1
	global_inv scope:SCOPE_SE
	v_cmpx_eq_u32_e32 0, v0
	s_cbranch_execz .LBB26_31
; %bb.30:
	s_wait_alu 0xfffe
	s_ashr_i32 s15, s14, 31
	s_mul_i32 s28, s25, ttmp9
	s_lshl_b32 s1, s24, 2
	s_wait_alu 0xfffe
	s_lshl_b64 s[30:31], s[14:15], 2
	s_ashr_i32 s29, s28, 31
	v_mov_b32_e32 v3, s1
	s_wait_kmcnt 0x0
	s_add_nc_u64 s[6:7], s[6:7], s[30:31]
	s_lshl_b64 s[28:29], s[28:29], 2
	s_add_nc_u64 s[4:5], s[4:5], s[30:31]
	s_wait_alu 0xfffe
	s_add_nc_u64 s[6:7], s[6:7], s[28:29]
	s_add_nc_u64 s[4:5], s[4:5], s[28:29]
	s_clause 0x1
	global_store_b32 v3, v1, s[6:7]
	global_store_b32 v3, v2, s[4:5]
.LBB26_31:
	s_wait_alu 0xfffe
	s_or_b32 exec_lo, exec_lo, s0
	v_dual_mov_b32 v89, 0 :: v_dual_mov_b32 v90, 0
	v_dual_mov_b32 v88, 0 :: v_dual_and_b32 v75, 1, v0
	v_dual_mov_b32 v91, 0 :: v_dual_mov_b32 v86, 0
	v_dual_mov_b32 v87, 0 :: v_dual_mov_b32 v84, 0
	;; [unrolled: 1-line block ×6, first 2 shown]
	v_mov_b32_e32 v77, 0
	s_and_saveexec_b32 s1, s2
	s_cbranch_execz .LBB26_67
; %bb.32:
	v_dual_mov_b32 v76, 0 :: v_dual_lshlrev_b32 v1, 4, v0
	s_ashr_i32 s21, s20, 31
	v_dual_mov_b32 v78, 0 :: v_dual_lshlrev_b32 v3, 4, v75
	s_delay_alu instid0(VALU_DEP_2)
	v_dual_mov_b32 v80, 0 :: v_dual_and_b32 v1, 0x1f0, v1
	s_wait_alu 0xfffe
	s_lshl_b64 s[2:3], s[20:21], 2
	v_dual_mov_b32 v77, 0 :: v_dual_and_b32 v2, 4, v67
	s_wait_kmcnt 0x0
	s_wait_alu 0xfffe
	s_add_nc_u64 s[2:3], s[22:23], s[2:3]
	v_lshl_add_u32 v4, v71, 3, s27
	s_wait_alu 0xfffe
	v_add_co_u32 v92, s0, s2, v1
	s_wait_alu 0xf1ff
	v_add_co_ci_u32_e64 v93, null, s3, 0, s0
	s_lshl_b64 s[2:3], s[16:17], 2
	v_lshl_or_b32 v3, v71, 5, v3
	s_wait_alu 0xfffe
	s_add_nc_u64 s[2:3], s[18:19], s[2:3]
	v_add3_u32 v94, v4, v2, 3
	s_wait_alu 0xfffe
	v_add_co_u32 v69, s0, s2, v68
	v_dual_mov_b32 v82, 0 :: v_dual_add_nc_u32 v95, 0x420, v3
	s_wait_alu 0xf1ff
	v_add_co_ci_u32_e64 v70, null, s3, 0, s0
	v_dual_mov_b32 v79, 0 :: v_dual_mov_b32 v84, 0
	v_dual_mov_b32 v81, 0 :: v_dual_mov_b32 v86, 0
	v_dual_mov_b32 v83, 0 :: v_dual_mov_b32 v88, 0
	v_dual_mov_b32 v85, 0 :: v_dual_mov_b32 v90, 0
	v_mov_b32_e32 v87, 0
	v_mov_b32_e32 v91, 0
	;; [unrolled: 1-line block ×3, first 2 shown]
	s_mov_b32 s2, s9
	s_add_co_i32 s13, s13, -1
	s_mov_b32 s3, 0
	s_branch .LBB26_34
.LBB26_33:                              ;   in Loop: Header=BB26_34 Depth=1
	s_wait_alu 0xfffe
	s_or_b32 exec_lo, exec_lo, s0
	s_wait_loadcnt_dscnt 0x100
	v_dual_mul_f32 v65, v1, v65 :: v_dual_add_nc_u32 v72, 4, v72
	v_dual_mul_f32 v61, v1, v61 :: v_dual_add_nc_u32 v94, 32, v94
	v_mul_f32_e32 v57, v1, v57
	v_mul_f32_e32 v49, v1, v49
	;; [unrolled: 1-line block ×13, first 2 shown]
	s_wait_loadcnt 0x0
	v_mul_f32_e32 v1, v1, v53
	v_fmac_f32_e32 v33, v2, v34
	v_fmac_f32_e32 v41, v2, v42
	v_fmac_f32_e32 v17, v2, v18
	v_fmac_f32_e32 v25, v2, v26
	v_fmac_f32_e32 v1, v2, v54
	v_fmac_f32_e32 v33, v3, v35
	v_fmac_f32_e32 v41, v3, v43
	v_fmac_f32_e32 v17, v3, v19
	v_fmac_f32_e32 v45, v2, v46
	v_fmac_f32_e32 v1, v3, v55
	v_fmac_f32_e32 v33, v4, v36
	v_fmac_f32_e32 v61, v2, v62
	v_fmac_f32_e32 v41, v4, v44
	v_fmac_f32_e32 v37, v2, v38
	v_fmac_f32_e32 v1, v4, v56
	v_fmac_f32_e32 v49, v2, v50
	v_fmac_f32_e32 v29, v2, v30
	v_fmac_f32_e32 v21, v2, v22
	s_delay_alu instid0(VALU_DEP_4) | instskip(NEXT) | instid1(VALU_DEP_4)
	v_dual_fmac_f32 v25, v3, v27 :: v_dual_add_f32 v76, v76, v1
	v_dual_fmac_f32 v49, v3, v51 :: v_dual_add_f32 v84, v84, v33
	;; [unrolled: 1-line block ×3, first 2 shown]
	v_fmac_f32_e32 v13, v2, v14
	s_delay_alu instid0(VALU_DEP_3)
	v_fmac_f32_e32 v49, v4, v52
	v_fmac_f32_e32 v65, v2, v66
	;; [unrolled: 1-line block ×8, first 2 shown]
	v_dual_add_f32 v80, v80, v49 :: v_dual_fmac_f32 v65, v3, v67
	v_fmac_f32_e32 v37, v3, v39
	v_fmac_f32_e32 v29, v3, v31
	;; [unrolled: 1-line block ×6, first 2 shown]
	v_dual_fmac_f32 v5, v3, v7 :: v_dual_add_f32 v88, v88, v17
	s_delay_alu instid0(VALU_DEP_4) | instskip(SKIP_2) | instid1(VALU_DEP_3)
	v_dual_fmac_f32 v57, v3, v59 :: v_dual_add_f32 v86, v86, v25
	v_dual_add_f32 v78, v78, v61 :: v_dual_fmac_f32 v45, v4, v48
	v_fmac_f32_e32 v37, v4, v40
	v_fmac_f32_e32 v57, v4, v60
	;; [unrolled: 1-line block ×8, first 2 shown]
	v_cmp_le_i32_e32 vcc_lo, s8, v72
	v_add_co_u32 v69, s0, v69, 16
	v_add_f32_e32 v79, v79, v57
	v_add_f32_e32 v81, v81, v45
	;; [unrolled: 1-line block ×9, first 2 shown]
	v_add_nc_u32_e32 v95, 0x80, v95
	s_wait_alu 0xf1ff
	v_add_co_ci_u32_e64 v70, null, 0, v70, s0
	s_or_b32 s3, vcc_lo, s3
	s_wait_alu 0xfffe
	s_and_not1_b32 exec_lo, exec_lo, s3
	s_cbranch_execz .LBB26_66
.LBB26_34:                              ; =>This Inner Loop Header: Depth=1
	global_load_b32 v1, v[69:70], off
	v_add_nc_u32_e32 v96, -3, v94
	v_add_nc_u32_e32 v98, -2, v94
	v_add_nc_u32_e32 v97, -1, v94
	s_wait_loadcnt 0x0
	s_wait_alu 0xfffe
	v_mad_co_i64_i32 v[1:2], null, v1, s2, 0
	s_delay_alu instid0(VALU_DEP_1) | instskip(NEXT) | instid1(VALU_DEP_1)
	v_lshlrev_b64_e32 v[1:2], 2, v[1:2]
	v_add_co_u32 v53, vcc_lo, v92, v1
	s_wait_alu 0xfffd
	s_delay_alu instid0(VALU_DEP_2)
	v_add_co_ci_u32_e64 v54, null, v93, v2, vcc_lo
	ds_load_b128 v[1:4], v95
	v_cmp_eq_u32_e32 vcc_lo, s13, v72
	global_load_b128 v[5:8], v[53:54], off
	s_and_saveexec_b32 s4, vcc_lo
	s_cbranch_execnz .LBB26_50
; %bb.35:                               ;   in Loop: Header=BB26_34 Depth=1
	s_wait_alu 0xfffe
	s_or_b32 exec_lo, exec_lo, s4
	global_load_b128 v[9:12], v[53:54], off offset:512
	s_and_saveexec_b32 s4, vcc_lo
	s_cbranch_execnz .LBB26_51
.LBB26_36:                              ;   in Loop: Header=BB26_34 Depth=1
	s_wait_alu 0xfffe
	s_or_b32 exec_lo, exec_lo, s4
	global_load_b128 v[13:16], v[53:54], off offset:1024
	s_and_saveexec_b32 s4, vcc_lo
	s_cbranch_execnz .LBB26_52
.LBB26_37:                              ;   in Loop: Header=BB26_34 Depth=1
	s_wait_alu 0xfffe
	s_or_b32 exec_lo, exec_lo, s4
	global_load_b128 v[17:20], v[53:54], off offset:1536
	s_and_saveexec_b32 s4, vcc_lo
	s_cbranch_execnz .LBB26_53
.LBB26_38:                              ;   in Loop: Header=BB26_34 Depth=1
	s_wait_alu 0xfffe
	s_or_b32 exec_lo, exec_lo, s4
	global_load_b128 v[21:24], v[53:54], off offset:2048
	s_and_saveexec_b32 s4, vcc_lo
	s_cbranch_execnz .LBB26_54
.LBB26_39:                              ;   in Loop: Header=BB26_34 Depth=1
	s_wait_alu 0xfffe
	s_or_b32 exec_lo, exec_lo, s4
	global_load_b128 v[25:28], v[53:54], off offset:2560
	s_and_saveexec_b32 s4, vcc_lo
	s_cbranch_execnz .LBB26_55
.LBB26_40:                              ;   in Loop: Header=BB26_34 Depth=1
	s_wait_alu 0xfffe
	s_or_b32 exec_lo, exec_lo, s4
	global_load_b128 v[29:32], v[53:54], off offset:3072
	s_and_saveexec_b32 s4, vcc_lo
	s_cbranch_execnz .LBB26_56
.LBB26_41:                              ;   in Loop: Header=BB26_34 Depth=1
	s_wait_alu 0xfffe
	s_or_b32 exec_lo, exec_lo, s4
	global_load_b128 v[33:36], v[53:54], off offset:3584
	s_and_saveexec_b32 s4, vcc_lo
	s_cbranch_execnz .LBB26_57
.LBB26_42:                              ;   in Loop: Header=BB26_34 Depth=1
	s_wait_alu 0xfffe
	s_or_b32 exec_lo, exec_lo, s4
	global_load_b128 v[37:40], v[53:54], off offset:4096
	s_and_saveexec_b32 s4, vcc_lo
	s_cbranch_execnz .LBB26_58
.LBB26_43:                              ;   in Loop: Header=BB26_34 Depth=1
	s_wait_alu 0xfffe
	s_or_b32 exec_lo, exec_lo, s4
	global_load_b128 v[41:44], v[53:54], off offset:4608
	s_and_saveexec_b32 s4, vcc_lo
	s_cbranch_execnz .LBB26_59
.LBB26_44:                              ;   in Loop: Header=BB26_34 Depth=1
	s_wait_alu 0xfffe
	s_or_b32 exec_lo, exec_lo, s4
	global_load_b128 v[45:48], v[53:54], off offset:5120
	s_and_saveexec_b32 s4, vcc_lo
	s_cbranch_execnz .LBB26_60
.LBB26_45:                              ;   in Loop: Header=BB26_34 Depth=1
	s_wait_alu 0xfffe
	s_or_b32 exec_lo, exec_lo, s4
	global_load_b128 v[49:52], v[53:54], off offset:5632
	s_and_saveexec_b32 s4, vcc_lo
	s_cbranch_execnz .LBB26_61
.LBB26_46:                              ;   in Loop: Header=BB26_34 Depth=1
	s_wait_alu 0xfffe
	s_or_b32 exec_lo, exec_lo, s4
	global_load_b128 v[57:60], v[53:54], off offset:6144
	s_and_saveexec_b32 s4, vcc_lo
	s_cbranch_execnz .LBB26_62
.LBB26_47:                              ;   in Loop: Header=BB26_34 Depth=1
	s_wait_alu 0xfffe
	s_or_b32 exec_lo, exec_lo, s4
	global_load_b128 v[61:64], v[53:54], off offset:6656
	s_and_saveexec_b32 s4, vcc_lo
	s_cbranch_execnz .LBB26_63
.LBB26_48:                              ;   in Loop: Header=BB26_34 Depth=1
	s_wait_alu 0xfffe
	s_or_b32 exec_lo, exec_lo, s4
	global_load_b128 v[65:68], v[53:54], off offset:7168
	s_and_saveexec_b32 s4, vcc_lo
	s_cbranch_execnz .LBB26_64
.LBB26_49:                              ;   in Loop: Header=BB26_34 Depth=1
	s_wait_alu 0xfffe
	s_or_b32 exec_lo, exec_lo, s4
	global_load_b128 v[53:56], v[53:54], off offset:7680
	s_and_saveexec_b32 s0, vcc_lo
	s_cbranch_execz .LBB26_33
	s_branch .LBB26_65
.LBB26_50:                              ;   in Loop: Header=BB26_34 Depth=1
	v_cmp_gt_i32_e64 s0, s26, v96
	s_wait_loadcnt 0x0
	s_wait_alu 0xf1ff
	s_delay_alu instid0(VALU_DEP_1) | instskip(SKIP_2) | instid1(VALU_DEP_1)
	v_cndmask_b32_e64 v5, 0, v5, s0
	v_cmp_gt_i32_e64 s0, s26, v98
	s_wait_alu 0xf1ff
	v_cndmask_b32_e64 v6, 0, v6, s0
	v_cmp_gt_i32_e64 s0, s26, v97
	s_wait_alu 0xf1ff
	s_delay_alu instid0(VALU_DEP_1) | instskip(SKIP_2) | instid1(VALU_DEP_1)
	v_cndmask_b32_e64 v7, 0, v7, s0
	v_cmp_gt_i32_e64 s0, s26, v94
	s_wait_alu 0xf1ff
	v_cndmask_b32_e64 v8, 0, v8, s0
	s_wait_alu 0xfffe
	s_or_b32 exec_lo, exec_lo, s4
	global_load_b128 v[9:12], v[53:54], off offset:512
	s_and_saveexec_b32 s4, vcc_lo
	s_cbranch_execz .LBB26_36
.LBB26_51:                              ;   in Loop: Header=BB26_34 Depth=1
	v_cmp_gt_i32_e64 s0, s26, v96
	s_wait_loadcnt 0x0
	s_wait_alu 0xf1ff
	s_delay_alu instid0(VALU_DEP_1) | instskip(SKIP_2) | instid1(VALU_DEP_1)
	v_cndmask_b32_e64 v9, 0, v9, s0
	v_cmp_gt_i32_e64 s0, s26, v98
	s_wait_alu 0xf1ff
	v_cndmask_b32_e64 v10, 0, v10, s0
	v_cmp_gt_i32_e64 s0, s26, v97
	s_wait_alu 0xf1ff
	s_delay_alu instid0(VALU_DEP_1) | instskip(SKIP_2) | instid1(VALU_DEP_1)
	v_cndmask_b32_e64 v11, 0, v11, s0
	v_cmp_gt_i32_e64 s0, s26, v94
	s_wait_alu 0xf1ff
	v_cndmask_b32_e64 v12, 0, v12, s0
	s_wait_alu 0xfffe
	s_or_b32 exec_lo, exec_lo, s4
	global_load_b128 v[13:16], v[53:54], off offset:1024
	s_and_saveexec_b32 s4, vcc_lo
	s_cbranch_execz .LBB26_37
.LBB26_52:                              ;   in Loop: Header=BB26_34 Depth=1
	v_cmp_gt_i32_e64 s0, s26, v96
	s_wait_loadcnt 0x0
	s_wait_alu 0xf1ff
	s_delay_alu instid0(VALU_DEP_1) | instskip(SKIP_2) | instid1(VALU_DEP_1)
	v_cndmask_b32_e64 v13, 0, v13, s0
	v_cmp_gt_i32_e64 s0, s26, v98
	s_wait_alu 0xf1ff
	v_cndmask_b32_e64 v14, 0, v14, s0
	v_cmp_gt_i32_e64 s0, s26, v97
	s_wait_alu 0xf1ff
	s_delay_alu instid0(VALU_DEP_1) | instskip(SKIP_2) | instid1(VALU_DEP_1)
	v_cndmask_b32_e64 v15, 0, v15, s0
	v_cmp_gt_i32_e64 s0, s26, v94
	s_wait_alu 0xf1ff
	v_cndmask_b32_e64 v16, 0, v16, s0
	s_wait_alu 0xfffe
	s_or_b32 exec_lo, exec_lo, s4
	global_load_b128 v[17:20], v[53:54], off offset:1536
	s_and_saveexec_b32 s4, vcc_lo
	s_cbranch_execz .LBB26_38
.LBB26_53:                              ;   in Loop: Header=BB26_34 Depth=1
	v_cmp_gt_i32_e64 s0, s26, v96
	s_wait_loadcnt 0x0
	s_wait_alu 0xf1ff
	s_delay_alu instid0(VALU_DEP_1) | instskip(SKIP_2) | instid1(VALU_DEP_1)
	v_cndmask_b32_e64 v17, 0, v17, s0
	v_cmp_gt_i32_e64 s0, s26, v98
	s_wait_alu 0xf1ff
	v_cndmask_b32_e64 v18, 0, v18, s0
	v_cmp_gt_i32_e64 s0, s26, v97
	s_wait_alu 0xf1ff
	s_delay_alu instid0(VALU_DEP_1) | instskip(SKIP_2) | instid1(VALU_DEP_1)
	v_cndmask_b32_e64 v19, 0, v19, s0
	v_cmp_gt_i32_e64 s0, s26, v94
	s_wait_alu 0xf1ff
	v_cndmask_b32_e64 v20, 0, v20, s0
	s_wait_alu 0xfffe
	s_or_b32 exec_lo, exec_lo, s4
	global_load_b128 v[21:24], v[53:54], off offset:2048
	s_and_saveexec_b32 s4, vcc_lo
	s_cbranch_execz .LBB26_39
.LBB26_54:                              ;   in Loop: Header=BB26_34 Depth=1
	v_cmp_gt_i32_e64 s0, s26, v96
	s_wait_loadcnt 0x0
	s_wait_alu 0xf1ff
	s_delay_alu instid0(VALU_DEP_1) | instskip(SKIP_2) | instid1(VALU_DEP_1)
	v_cndmask_b32_e64 v21, 0, v21, s0
	v_cmp_gt_i32_e64 s0, s26, v98
	s_wait_alu 0xf1ff
	v_cndmask_b32_e64 v22, 0, v22, s0
	v_cmp_gt_i32_e64 s0, s26, v97
	s_wait_alu 0xf1ff
	s_delay_alu instid0(VALU_DEP_1) | instskip(SKIP_2) | instid1(VALU_DEP_1)
	v_cndmask_b32_e64 v23, 0, v23, s0
	v_cmp_gt_i32_e64 s0, s26, v94
	s_wait_alu 0xf1ff
	v_cndmask_b32_e64 v24, 0, v24, s0
	s_wait_alu 0xfffe
	s_or_b32 exec_lo, exec_lo, s4
	global_load_b128 v[25:28], v[53:54], off offset:2560
	s_and_saveexec_b32 s4, vcc_lo
	s_cbranch_execz .LBB26_40
.LBB26_55:                              ;   in Loop: Header=BB26_34 Depth=1
	v_cmp_gt_i32_e64 s0, s26, v96
	s_wait_loadcnt 0x0
	s_wait_alu 0xf1ff
	s_delay_alu instid0(VALU_DEP_1) | instskip(SKIP_2) | instid1(VALU_DEP_1)
	v_cndmask_b32_e64 v25, 0, v25, s0
	v_cmp_gt_i32_e64 s0, s26, v98
	s_wait_alu 0xf1ff
	v_cndmask_b32_e64 v26, 0, v26, s0
	v_cmp_gt_i32_e64 s0, s26, v97
	s_wait_alu 0xf1ff
	s_delay_alu instid0(VALU_DEP_1) | instskip(SKIP_2) | instid1(VALU_DEP_1)
	v_cndmask_b32_e64 v27, 0, v27, s0
	v_cmp_gt_i32_e64 s0, s26, v94
	s_wait_alu 0xf1ff
	v_cndmask_b32_e64 v28, 0, v28, s0
	s_wait_alu 0xfffe
	s_or_b32 exec_lo, exec_lo, s4
	global_load_b128 v[29:32], v[53:54], off offset:3072
	s_and_saveexec_b32 s4, vcc_lo
	s_cbranch_execz .LBB26_41
.LBB26_56:                              ;   in Loop: Header=BB26_34 Depth=1
	v_cmp_gt_i32_e64 s0, s26, v96
	s_wait_loadcnt 0x0
	s_wait_alu 0xf1ff
	s_delay_alu instid0(VALU_DEP_1) | instskip(SKIP_2) | instid1(VALU_DEP_1)
	v_cndmask_b32_e64 v29, 0, v29, s0
	v_cmp_gt_i32_e64 s0, s26, v98
	s_wait_alu 0xf1ff
	v_cndmask_b32_e64 v30, 0, v30, s0
	v_cmp_gt_i32_e64 s0, s26, v97
	s_wait_alu 0xf1ff
	s_delay_alu instid0(VALU_DEP_1) | instskip(SKIP_2) | instid1(VALU_DEP_1)
	v_cndmask_b32_e64 v31, 0, v31, s0
	v_cmp_gt_i32_e64 s0, s26, v94
	s_wait_alu 0xf1ff
	v_cndmask_b32_e64 v32, 0, v32, s0
	s_wait_alu 0xfffe
	s_or_b32 exec_lo, exec_lo, s4
	global_load_b128 v[33:36], v[53:54], off offset:3584
	s_and_saveexec_b32 s4, vcc_lo
	s_cbranch_execz .LBB26_42
.LBB26_57:                              ;   in Loop: Header=BB26_34 Depth=1
	v_cmp_gt_i32_e64 s0, s26, v96
	s_wait_loadcnt 0x0
	s_wait_alu 0xf1ff
	s_delay_alu instid0(VALU_DEP_1) | instskip(SKIP_2) | instid1(VALU_DEP_1)
	v_cndmask_b32_e64 v33, 0, v33, s0
	v_cmp_gt_i32_e64 s0, s26, v98
	s_wait_alu 0xf1ff
	v_cndmask_b32_e64 v34, 0, v34, s0
	v_cmp_gt_i32_e64 s0, s26, v97
	s_wait_alu 0xf1ff
	s_delay_alu instid0(VALU_DEP_1) | instskip(SKIP_2) | instid1(VALU_DEP_1)
	v_cndmask_b32_e64 v35, 0, v35, s0
	v_cmp_gt_i32_e64 s0, s26, v94
	s_wait_alu 0xf1ff
	v_cndmask_b32_e64 v36, 0, v36, s0
	s_wait_alu 0xfffe
	s_or_b32 exec_lo, exec_lo, s4
	global_load_b128 v[37:40], v[53:54], off offset:4096
	s_and_saveexec_b32 s4, vcc_lo
	s_cbranch_execz .LBB26_43
.LBB26_58:                              ;   in Loop: Header=BB26_34 Depth=1
	v_cmp_gt_i32_e64 s0, s26, v96
	s_wait_loadcnt 0x0
	s_wait_alu 0xf1ff
	s_delay_alu instid0(VALU_DEP_1) | instskip(SKIP_2) | instid1(VALU_DEP_1)
	v_cndmask_b32_e64 v37, 0, v37, s0
	v_cmp_gt_i32_e64 s0, s26, v98
	s_wait_alu 0xf1ff
	v_cndmask_b32_e64 v38, 0, v38, s0
	v_cmp_gt_i32_e64 s0, s26, v97
	s_wait_alu 0xf1ff
	s_delay_alu instid0(VALU_DEP_1) | instskip(SKIP_2) | instid1(VALU_DEP_1)
	v_cndmask_b32_e64 v39, 0, v39, s0
	v_cmp_gt_i32_e64 s0, s26, v94
	s_wait_alu 0xf1ff
	v_cndmask_b32_e64 v40, 0, v40, s0
	s_wait_alu 0xfffe
	s_or_b32 exec_lo, exec_lo, s4
	global_load_b128 v[41:44], v[53:54], off offset:4608
	s_and_saveexec_b32 s4, vcc_lo
	s_cbranch_execz .LBB26_44
.LBB26_59:                              ;   in Loop: Header=BB26_34 Depth=1
	v_cmp_gt_i32_e64 s0, s26, v96
	s_wait_loadcnt 0x0
	s_wait_alu 0xf1ff
	s_delay_alu instid0(VALU_DEP_1) | instskip(SKIP_2) | instid1(VALU_DEP_1)
	v_cndmask_b32_e64 v41, 0, v41, s0
	v_cmp_gt_i32_e64 s0, s26, v98
	s_wait_alu 0xf1ff
	v_cndmask_b32_e64 v42, 0, v42, s0
	v_cmp_gt_i32_e64 s0, s26, v97
	s_wait_alu 0xf1ff
	s_delay_alu instid0(VALU_DEP_1) | instskip(SKIP_2) | instid1(VALU_DEP_1)
	v_cndmask_b32_e64 v43, 0, v43, s0
	v_cmp_gt_i32_e64 s0, s26, v94
	s_wait_alu 0xf1ff
	v_cndmask_b32_e64 v44, 0, v44, s0
	s_wait_alu 0xfffe
	s_or_b32 exec_lo, exec_lo, s4
	global_load_b128 v[45:48], v[53:54], off offset:5120
	s_and_saveexec_b32 s4, vcc_lo
	s_cbranch_execz .LBB26_45
.LBB26_60:                              ;   in Loop: Header=BB26_34 Depth=1
	v_cmp_gt_i32_e64 s0, s26, v96
	s_wait_loadcnt 0x0
	s_wait_alu 0xf1ff
	s_delay_alu instid0(VALU_DEP_1) | instskip(SKIP_2) | instid1(VALU_DEP_1)
	v_cndmask_b32_e64 v45, 0, v45, s0
	v_cmp_gt_i32_e64 s0, s26, v98
	s_wait_alu 0xf1ff
	v_cndmask_b32_e64 v46, 0, v46, s0
	v_cmp_gt_i32_e64 s0, s26, v97
	s_wait_alu 0xf1ff
	s_delay_alu instid0(VALU_DEP_1) | instskip(SKIP_2) | instid1(VALU_DEP_1)
	v_cndmask_b32_e64 v47, 0, v47, s0
	v_cmp_gt_i32_e64 s0, s26, v94
	s_wait_alu 0xf1ff
	v_cndmask_b32_e64 v48, 0, v48, s0
	s_wait_alu 0xfffe
	s_or_b32 exec_lo, exec_lo, s4
	global_load_b128 v[49:52], v[53:54], off offset:5632
	s_and_saveexec_b32 s4, vcc_lo
	s_cbranch_execz .LBB26_46
.LBB26_61:                              ;   in Loop: Header=BB26_34 Depth=1
	v_cmp_gt_i32_e64 s0, s26, v96
	s_wait_loadcnt 0x0
	s_wait_alu 0xf1ff
	s_delay_alu instid0(VALU_DEP_1) | instskip(SKIP_2) | instid1(VALU_DEP_1)
	v_cndmask_b32_e64 v49, 0, v49, s0
	v_cmp_gt_i32_e64 s0, s26, v98
	s_wait_alu 0xf1ff
	v_cndmask_b32_e64 v50, 0, v50, s0
	v_cmp_gt_i32_e64 s0, s26, v97
	s_wait_alu 0xf1ff
	s_delay_alu instid0(VALU_DEP_1) | instskip(SKIP_2) | instid1(VALU_DEP_1)
	v_cndmask_b32_e64 v51, 0, v51, s0
	v_cmp_gt_i32_e64 s0, s26, v94
	s_wait_alu 0xf1ff
	v_cndmask_b32_e64 v52, 0, v52, s0
	s_wait_alu 0xfffe
	s_or_b32 exec_lo, exec_lo, s4
	global_load_b128 v[57:60], v[53:54], off offset:6144
	s_and_saveexec_b32 s4, vcc_lo
	s_cbranch_execz .LBB26_47
.LBB26_62:                              ;   in Loop: Header=BB26_34 Depth=1
	v_cmp_gt_i32_e64 s0, s26, v96
	s_wait_loadcnt 0x0
	s_wait_alu 0xf1ff
	s_delay_alu instid0(VALU_DEP_1) | instskip(SKIP_2) | instid1(VALU_DEP_1)
	v_cndmask_b32_e64 v57, 0, v57, s0
	v_cmp_gt_i32_e64 s0, s26, v98
	s_wait_alu 0xf1ff
	v_cndmask_b32_e64 v58, 0, v58, s0
	v_cmp_gt_i32_e64 s0, s26, v97
	s_wait_alu 0xf1ff
	s_delay_alu instid0(VALU_DEP_1) | instskip(SKIP_2) | instid1(VALU_DEP_1)
	v_cndmask_b32_e64 v59, 0, v59, s0
	v_cmp_gt_i32_e64 s0, s26, v94
	s_wait_alu 0xf1ff
	v_cndmask_b32_e64 v60, 0, v60, s0
	s_wait_alu 0xfffe
	s_or_b32 exec_lo, exec_lo, s4
	global_load_b128 v[61:64], v[53:54], off offset:6656
	s_and_saveexec_b32 s4, vcc_lo
	s_cbranch_execz .LBB26_48
.LBB26_63:                              ;   in Loop: Header=BB26_34 Depth=1
	v_cmp_gt_i32_e64 s0, s26, v96
	s_wait_loadcnt 0x0
	s_wait_alu 0xf1ff
	s_delay_alu instid0(VALU_DEP_1) | instskip(SKIP_2) | instid1(VALU_DEP_1)
	v_cndmask_b32_e64 v61, 0, v61, s0
	v_cmp_gt_i32_e64 s0, s26, v98
	s_wait_alu 0xf1ff
	v_cndmask_b32_e64 v62, 0, v62, s0
	v_cmp_gt_i32_e64 s0, s26, v97
	s_wait_alu 0xf1ff
	s_delay_alu instid0(VALU_DEP_1) | instskip(SKIP_2) | instid1(VALU_DEP_1)
	v_cndmask_b32_e64 v63, 0, v63, s0
	v_cmp_gt_i32_e64 s0, s26, v94
	s_wait_alu 0xf1ff
	v_cndmask_b32_e64 v64, 0, v64, s0
	s_wait_alu 0xfffe
	s_or_b32 exec_lo, exec_lo, s4
	global_load_b128 v[65:68], v[53:54], off offset:7168
	s_and_saveexec_b32 s4, vcc_lo
	s_cbranch_execz .LBB26_49
.LBB26_64:                              ;   in Loop: Header=BB26_34 Depth=1
	v_cmp_gt_i32_e64 s0, s26, v96
	s_wait_loadcnt 0x0
	s_wait_alu 0xf1ff
	s_delay_alu instid0(VALU_DEP_1) | instskip(SKIP_2) | instid1(VALU_DEP_1)
	v_cndmask_b32_e64 v65, 0, v65, s0
	v_cmp_gt_i32_e64 s0, s26, v98
	s_wait_alu 0xf1ff
	v_cndmask_b32_e64 v66, 0, v66, s0
	v_cmp_gt_i32_e64 s0, s26, v97
	s_wait_alu 0xf1ff
	s_delay_alu instid0(VALU_DEP_1) | instskip(SKIP_2) | instid1(VALU_DEP_1)
	v_cndmask_b32_e64 v67, 0, v67, s0
	v_cmp_gt_i32_e64 s0, s26, v94
	s_wait_alu 0xf1ff
	v_cndmask_b32_e64 v68, 0, v68, s0
	s_wait_alu 0xfffe
	s_or_b32 exec_lo, exec_lo, s4
	global_load_b128 v[53:56], v[53:54], off offset:7680
	s_and_saveexec_b32 s0, vcc_lo
	s_cbranch_execz .LBB26_33
.LBB26_65:                              ;   in Loop: Header=BB26_34 Depth=1
	v_cmp_gt_i32_e32 vcc_lo, s26, v96
	s_wait_loadcnt 0x0
	s_wait_alu 0xfffd
	v_cndmask_b32_e32 v53, 0, v53, vcc_lo
	v_cmp_gt_i32_e32 vcc_lo, s26, v98
	s_wait_alu 0xfffd
	v_cndmask_b32_e32 v54, 0, v54, vcc_lo
	v_cmp_gt_i32_e32 vcc_lo, s26, v97
	;; [unrolled: 3-line block ×3, first 2 shown]
	s_wait_alu 0xfffd
	v_cndmask_b32_e32 v56, 0, v56, vcc_lo
	s_branch .LBB26_33
.LBB26_66:
	s_or_b32 exec_lo, exec_lo, s3
.LBB26_67:
	s_wait_alu 0xfffe
	s_or_b32 exec_lo, exec_lo, s1
	ds_bpermute_b32 v1, v74, v89
	ds_bpermute_b32 v2, v74, v91
	;; [unrolled: 1-line block ×16, first 2 shown]
	v_lshrrev_b32_e32 v17, 1, v73
	v_and_b32_e32 v20, 0x3c1, v0
	s_mov_b32 s0, exec_lo
	s_wait_storecnt 0x0
	s_wait_loadcnt_dscnt 0x0
	v_dual_add_f32 v1, v89, v1 :: v_dual_add_f32 v2, v91, v2
	v_dual_add_f32 v3, v90, v3 :: v_dual_add_f32 v4, v88, v4
	;; [unrolled: 1-line block ×8, first 2 shown]
	v_lshlrev_b32_e32 v19, 10, v71
	v_lshl_add_u32 v18, v17, 2, 0x420
	s_barrier_signal -1
	s_barrier_wait -1
	global_inv scope:SCOPE_SE
	v_cmpx_eq_u32_e32 64, v20
	s_cbranch_execz .LBB26_69
; %bb.68:
	v_add_nc_u32_e32 v20, v18, v19
	s_delay_alu instid0(VALU_DEP_1)
	v_add_nc_u32_e32 v21, 0xfffff800, v20
	v_add_nc_u32_e32 v22, 0xfffff840, v20
	;; [unrolled: 1-line block ×8, first 2 shown]
	ds_store_b32 v21, v1
	ds_store_b32 v22, v2
	;; [unrolled: 1-line block ×8, first 2 shown]
	v_add_nc_u32_e32 v21, 0xfffffa00, v20
	v_add_nc_u32_e32 v22, 0xfffffa40, v20
	;; [unrolled: 1-line block ×8, first 2 shown]
	ds_store_b32 v21, v9
	ds_store_b32 v22, v10
	;; [unrolled: 1-line block ×8, first 2 shown]
.LBB26_69:
	s_wait_alu 0xfffe
	s_or_b32 exec_lo, exec_lo, s0
	v_lshlrev_b32_e32 v17, 2, v17
	s_mov_b32 s1, exec_lo
	v_cmp_eq_u32_e32 vcc_lo, 0, v75
	s_wait_loadcnt_dscnt 0x0
	s_barrier_signal -1
	v_add3_u32 v17, 0x420, v19, v17
	s_barrier_wait -1
	global_inv scope:SCOPE_SE
	v_cmpx_gt_u32_e32 64, v0
	s_cbranch_execz .LBB26_88
; %bb.70:
	s_and_saveexec_b32 s0, vcc_lo
	s_cbranch_execnz .LBB26_112
; %bb.71:
	s_wait_alu 0xfffe
	s_or_b32 exec_lo, exec_lo, s0
	s_and_saveexec_b32 s0, vcc_lo
	s_cbranch_execnz .LBB26_113
.LBB26_72:
	s_wait_alu 0xfffe
	s_or_b32 exec_lo, exec_lo, s0
	s_and_saveexec_b32 s0, vcc_lo
	s_cbranch_execnz .LBB26_114
.LBB26_73:
	s_wait_alu 0xfffe
	s_or_b32 exec_lo, exec_lo, s0
	s_and_saveexec_b32 s0, vcc_lo
	s_cbranch_execnz .LBB26_115
.LBB26_74:
	s_wait_alu 0xfffe
	s_or_b32 exec_lo, exec_lo, s0
	s_and_saveexec_b32 s0, vcc_lo
	s_cbranch_execnz .LBB26_116
.LBB26_75:
	s_wait_alu 0xfffe
	s_or_b32 exec_lo, exec_lo, s0
	s_and_saveexec_b32 s0, vcc_lo
	s_cbranch_execnz .LBB26_117
.LBB26_76:
	s_wait_alu 0xfffe
	s_or_b32 exec_lo, exec_lo, s0
	s_and_saveexec_b32 s0, vcc_lo
	s_cbranch_execnz .LBB26_118
.LBB26_77:
	s_wait_alu 0xfffe
	s_or_b32 exec_lo, exec_lo, s0
	s_and_saveexec_b32 s0, vcc_lo
	s_cbranch_execnz .LBB26_119
.LBB26_78:
	s_wait_alu 0xfffe
	s_or_b32 exec_lo, exec_lo, s0
	s_and_saveexec_b32 s0, vcc_lo
	s_cbranch_execnz .LBB26_120
.LBB26_79:
	s_wait_alu 0xfffe
	s_or_b32 exec_lo, exec_lo, s0
	s_and_saveexec_b32 s0, vcc_lo
	s_cbranch_execnz .LBB26_121
.LBB26_80:
	s_wait_alu 0xfffe
	s_or_b32 exec_lo, exec_lo, s0
	s_and_saveexec_b32 s0, vcc_lo
	s_cbranch_execnz .LBB26_122
.LBB26_81:
	s_wait_alu 0xfffe
	s_or_b32 exec_lo, exec_lo, s0
	s_and_saveexec_b32 s0, vcc_lo
	s_cbranch_execnz .LBB26_123
.LBB26_82:
	s_wait_alu 0xfffe
	s_or_b32 exec_lo, exec_lo, s0
	s_and_saveexec_b32 s0, vcc_lo
	s_cbranch_execnz .LBB26_124
.LBB26_83:
	s_wait_alu 0xfffe
	s_or_b32 exec_lo, exec_lo, s0
	s_and_saveexec_b32 s0, vcc_lo
	s_cbranch_execnz .LBB26_125
.LBB26_84:
	s_wait_alu 0xfffe
	s_or_b32 exec_lo, exec_lo, s0
	s_and_saveexec_b32 s0, vcc_lo
	s_cbranch_execnz .LBB26_126
.LBB26_85:
	s_wait_alu 0xfffe
	s_or_b32 exec_lo, exec_lo, s0
	s_and_saveexec_b32 s0, vcc_lo
	s_cbranch_execz .LBB26_87
.LBB26_86:
	ds_load_b32 v19, v17 offset:960
	s_wait_dscnt 0x0
	v_add_f32_e32 v16, v16, v19
.LBB26_87:
	s_wait_alu 0xfffe
	s_or_b32 exec_lo, exec_lo, s0
.LBB26_88:
	s_wait_alu 0xfffe
	s_or_b32 exec_lo, exec_lo, s1
	v_and_b32_e32 v19, 0x3e1, v0
	s_mov_b32 s1, exec_lo
	s_wait_loadcnt 0x0
	s_barrier_signal -1
	s_barrier_wait -1
	global_inv scope:SCOPE_SE
	v_cmpx_eq_u32_e32 32, v19
	s_cbranch_execz .LBB26_90
; %bb.89:
	ds_store_2addr_b32 v18, v1, v2 offset1:16
	ds_store_2addr_b32 v18, v3, v4 offset0:32 offset1:48
	ds_store_2addr_b32 v18, v5, v6 offset0:64 offset1:80
	;; [unrolled: 1-line block ×7, first 2 shown]
.LBB26_90:
	s_wait_alu 0xfffe
	s_or_b32 exec_lo, exec_lo, s1
	s_delay_alu instid0(SALU_CYCLE_1)
	s_mov_b32 s1, exec_lo
	s_wait_loadcnt_dscnt 0x0
	s_barrier_signal -1
	s_barrier_wait -1
	global_inv scope:SCOPE_SE
	v_cmpx_gt_u32_e32 32, v0
	s_cbranch_execz .LBB26_109
; %bb.91:
	s_and_saveexec_b32 s0, vcc_lo
	s_cbranch_execnz .LBB26_127
; %bb.92:
	s_wait_alu 0xfffe
	s_or_b32 exec_lo, exec_lo, s0
	s_and_saveexec_b32 s0, vcc_lo
	s_cbranch_execnz .LBB26_128
.LBB26_93:
	s_wait_alu 0xfffe
	s_or_b32 exec_lo, exec_lo, s0
	s_and_saveexec_b32 s0, vcc_lo
	s_cbranch_execnz .LBB26_129
.LBB26_94:
	s_wait_alu 0xfffe
	s_or_b32 exec_lo, exec_lo, s0
	s_and_saveexec_b32 s0, vcc_lo
	s_cbranch_execnz .LBB26_130
.LBB26_95:
	s_wait_alu 0xfffe
	s_or_b32 exec_lo, exec_lo, s0
	s_and_saveexec_b32 s0, vcc_lo
	s_cbranch_execnz .LBB26_131
.LBB26_96:
	s_wait_alu 0xfffe
	s_or_b32 exec_lo, exec_lo, s0
	s_and_saveexec_b32 s0, vcc_lo
	s_cbranch_execnz .LBB26_132
.LBB26_97:
	s_wait_alu 0xfffe
	s_or_b32 exec_lo, exec_lo, s0
	s_and_saveexec_b32 s0, vcc_lo
	s_cbranch_execnz .LBB26_133
.LBB26_98:
	s_wait_alu 0xfffe
	s_or_b32 exec_lo, exec_lo, s0
	s_and_saveexec_b32 s0, vcc_lo
	s_cbranch_execnz .LBB26_134
.LBB26_99:
	s_wait_alu 0xfffe
	s_or_b32 exec_lo, exec_lo, s0
	s_and_saveexec_b32 s0, vcc_lo
	s_cbranch_execnz .LBB26_135
.LBB26_100:
	s_wait_alu 0xfffe
	s_or_b32 exec_lo, exec_lo, s0
	s_and_saveexec_b32 s0, vcc_lo
	s_cbranch_execnz .LBB26_136
.LBB26_101:
	s_wait_alu 0xfffe
	s_or_b32 exec_lo, exec_lo, s0
	s_and_saveexec_b32 s0, vcc_lo
	s_cbranch_execnz .LBB26_137
.LBB26_102:
	s_wait_alu 0xfffe
	s_or_b32 exec_lo, exec_lo, s0
	s_and_saveexec_b32 s0, vcc_lo
	s_cbranch_execnz .LBB26_138
.LBB26_103:
	s_wait_alu 0xfffe
	s_or_b32 exec_lo, exec_lo, s0
	s_and_saveexec_b32 s0, vcc_lo
	s_cbranch_execnz .LBB26_139
.LBB26_104:
	s_wait_alu 0xfffe
	s_or_b32 exec_lo, exec_lo, s0
	s_and_saveexec_b32 s0, vcc_lo
	s_cbranch_execnz .LBB26_140
.LBB26_105:
	s_wait_alu 0xfffe
	s_or_b32 exec_lo, exec_lo, s0
	s_and_saveexec_b32 s0, vcc_lo
	s_cbranch_execnz .LBB26_141
.LBB26_106:
	s_wait_alu 0xfffe
	s_or_b32 exec_lo, exec_lo, s0
	s_and_saveexec_b32 s0, vcc_lo
	s_cbranch_execz .LBB26_108
.LBB26_107:
	ds_load_b32 v17, v17 offset:960
	s_wait_dscnt 0x0
	v_add_f32_e32 v16, v16, v17
.LBB26_108:
	s_wait_alu 0xfffe
	s_or_b32 exec_lo, exec_lo, s0
.LBB26_109:
	s_wait_alu 0xfffe
	s_or_b32 exec_lo, exec_lo, s1
	s_mov_b32 s1, 0
	s_wait_loadcnt 0x0
	s_barrier_signal -1
	s_barrier_wait -1
	global_inv scope:SCOPE_SE
	s_mov_b32 s0, exec_lo
	v_cmpx_eq_u32_e32 0, v19
	s_cbranch_execz .LBB26_111
; %bb.110:
	s_lshl_b32 s2, s14, 8
	s_wait_kmcnt 0x0
	s_mul_i32 s4, s25, s12
	s_wait_alu 0xfffe
	s_ashr_i32 s3, s2, 31
	s_ashr_i32 s5, s4, 31
	s_wait_alu 0xfffe
	s_lshl_b64 s[2:3], s[2:3], 2
	s_lshl_b64 s[4:5], s[4:5], 2
	s_wait_alu 0xfffe
	s_add_nc_u64 s[2:3], s[10:11], s[2:3]
	v_lshlrev_b32_e32 v0, 1, v0
	s_lshl_b32 s0, s24, 10
	s_wait_alu 0xfffe
	s_add_nc_u64 s[2:3], s[2:3], s[4:5]
	s_wait_alu 0xfffe
	s_add_nc_u64 s[0:1], s[2:3], s[0:1]
	s_clause 0xf
	global_store_b32 v0, v1, s[0:1]
	global_store_b32 v0, v2, s[0:1] offset:64
	global_store_b32 v0, v3, s[0:1] offset:128
	;; [unrolled: 1-line block ×15, first 2 shown]
.LBB26_111:
	s_nop 0
	s_sendmsg sendmsg(MSG_DEALLOC_VGPRS)
	s_endpgm
.LBB26_112:
	ds_load_b32 v19, v17
	s_wait_dscnt 0x0
	v_add_f32_e32 v1, v1, v19
	s_wait_alu 0xfffe
	s_or_b32 exec_lo, exec_lo, s0
	s_and_saveexec_b32 s0, vcc_lo
	s_cbranch_execz .LBB26_72
.LBB26_113:
	ds_load_b32 v19, v17 offset:64
	s_wait_dscnt 0x0
	v_add_f32_e32 v2, v2, v19
	s_wait_alu 0xfffe
	s_or_b32 exec_lo, exec_lo, s0
	s_and_saveexec_b32 s0, vcc_lo
	s_cbranch_execz .LBB26_73
.LBB26_114:
	ds_load_b32 v19, v17 offset:128
	s_wait_dscnt 0x0
	v_add_f32_e32 v3, v3, v19
	s_wait_alu 0xfffe
	s_or_b32 exec_lo, exec_lo, s0
	s_and_saveexec_b32 s0, vcc_lo
	s_cbranch_execz .LBB26_74
.LBB26_115:
	ds_load_b32 v19, v17 offset:192
	s_wait_dscnt 0x0
	v_add_f32_e32 v4, v4, v19
	s_wait_alu 0xfffe
	s_or_b32 exec_lo, exec_lo, s0
	s_and_saveexec_b32 s0, vcc_lo
	s_cbranch_execz .LBB26_75
.LBB26_116:
	ds_load_b32 v19, v17 offset:256
	s_wait_dscnt 0x0
	v_add_f32_e32 v5, v5, v19
	s_wait_alu 0xfffe
	s_or_b32 exec_lo, exec_lo, s0
	s_and_saveexec_b32 s0, vcc_lo
	s_cbranch_execz .LBB26_76
.LBB26_117:
	ds_load_b32 v19, v17 offset:320
	s_wait_dscnt 0x0
	v_add_f32_e32 v6, v6, v19
	s_wait_alu 0xfffe
	s_or_b32 exec_lo, exec_lo, s0
	s_and_saveexec_b32 s0, vcc_lo
	s_cbranch_execz .LBB26_77
.LBB26_118:
	ds_load_b32 v19, v17 offset:384
	s_wait_dscnt 0x0
	v_add_f32_e32 v7, v7, v19
	s_wait_alu 0xfffe
	s_or_b32 exec_lo, exec_lo, s0
	s_and_saveexec_b32 s0, vcc_lo
	s_cbranch_execz .LBB26_78
.LBB26_119:
	ds_load_b32 v19, v17 offset:448
	s_wait_dscnt 0x0
	v_add_f32_e32 v8, v8, v19
	s_wait_alu 0xfffe
	s_or_b32 exec_lo, exec_lo, s0
	s_and_saveexec_b32 s0, vcc_lo
	s_cbranch_execz .LBB26_79
.LBB26_120:
	ds_load_b32 v19, v17 offset:512
	s_wait_dscnt 0x0
	v_add_f32_e32 v9, v9, v19
	s_wait_alu 0xfffe
	s_or_b32 exec_lo, exec_lo, s0
	s_and_saveexec_b32 s0, vcc_lo
	s_cbranch_execz .LBB26_80
.LBB26_121:
	ds_load_b32 v19, v17 offset:576
	s_wait_dscnt 0x0
	v_add_f32_e32 v10, v10, v19
	s_wait_alu 0xfffe
	s_or_b32 exec_lo, exec_lo, s0
	s_and_saveexec_b32 s0, vcc_lo
	s_cbranch_execz .LBB26_81
.LBB26_122:
	ds_load_b32 v19, v17 offset:640
	s_wait_dscnt 0x0
	v_add_f32_e32 v11, v11, v19
	s_wait_alu 0xfffe
	s_or_b32 exec_lo, exec_lo, s0
	s_and_saveexec_b32 s0, vcc_lo
	s_cbranch_execz .LBB26_82
.LBB26_123:
	ds_load_b32 v19, v17 offset:704
	s_wait_dscnt 0x0
	v_add_f32_e32 v12, v12, v19
	s_wait_alu 0xfffe
	s_or_b32 exec_lo, exec_lo, s0
	s_and_saveexec_b32 s0, vcc_lo
	s_cbranch_execz .LBB26_83
.LBB26_124:
	ds_load_b32 v19, v17 offset:768
	s_wait_dscnt 0x0
	v_add_f32_e32 v13, v13, v19
	s_wait_alu 0xfffe
	s_or_b32 exec_lo, exec_lo, s0
	s_and_saveexec_b32 s0, vcc_lo
	s_cbranch_execz .LBB26_84
.LBB26_125:
	ds_load_b32 v19, v17 offset:832
	s_wait_dscnt 0x0
	v_add_f32_e32 v14, v14, v19
	s_wait_alu 0xfffe
	s_or_b32 exec_lo, exec_lo, s0
	s_and_saveexec_b32 s0, vcc_lo
	s_cbranch_execz .LBB26_85
.LBB26_126:
	ds_load_b32 v19, v17 offset:896
	s_wait_dscnt 0x0
	v_add_f32_e32 v15, v15, v19
	s_wait_alu 0xfffe
	s_or_b32 exec_lo, exec_lo, s0
	s_and_saveexec_b32 s0, vcc_lo
	s_cbranch_execnz .LBB26_86
	s_branch .LBB26_87
.LBB26_127:
	ds_load_b32 v18, v17
	s_wait_dscnt 0x0
	v_add_f32_e32 v1, v1, v18
	s_wait_alu 0xfffe
	s_or_b32 exec_lo, exec_lo, s0
	s_and_saveexec_b32 s0, vcc_lo
	s_cbranch_execz .LBB26_93
.LBB26_128:
	ds_load_b32 v18, v17 offset:64
	s_wait_dscnt 0x0
	v_add_f32_e32 v2, v2, v18
	s_wait_alu 0xfffe
	s_or_b32 exec_lo, exec_lo, s0
	s_and_saveexec_b32 s0, vcc_lo
	s_cbranch_execz .LBB26_94
.LBB26_129:
	ds_load_b32 v18, v17 offset:128
	s_wait_dscnt 0x0
	v_add_f32_e32 v3, v3, v18
	s_wait_alu 0xfffe
	s_or_b32 exec_lo, exec_lo, s0
	s_and_saveexec_b32 s0, vcc_lo
	s_cbranch_execz .LBB26_95
.LBB26_130:
	ds_load_b32 v18, v17 offset:192
	s_wait_dscnt 0x0
	v_add_f32_e32 v4, v4, v18
	s_wait_alu 0xfffe
	s_or_b32 exec_lo, exec_lo, s0
	s_and_saveexec_b32 s0, vcc_lo
	s_cbranch_execz .LBB26_96
.LBB26_131:
	ds_load_b32 v18, v17 offset:256
	s_wait_dscnt 0x0
	v_add_f32_e32 v5, v5, v18
	s_wait_alu 0xfffe
	s_or_b32 exec_lo, exec_lo, s0
	s_and_saveexec_b32 s0, vcc_lo
	s_cbranch_execz .LBB26_97
.LBB26_132:
	ds_load_b32 v18, v17 offset:320
	s_wait_dscnt 0x0
	v_add_f32_e32 v6, v6, v18
	s_wait_alu 0xfffe
	s_or_b32 exec_lo, exec_lo, s0
	s_and_saveexec_b32 s0, vcc_lo
	s_cbranch_execz .LBB26_98
.LBB26_133:
	ds_load_b32 v18, v17 offset:384
	s_wait_dscnt 0x0
	v_add_f32_e32 v7, v7, v18
	s_wait_alu 0xfffe
	s_or_b32 exec_lo, exec_lo, s0
	s_and_saveexec_b32 s0, vcc_lo
	s_cbranch_execz .LBB26_99
.LBB26_134:
	ds_load_b32 v18, v17 offset:448
	s_wait_dscnt 0x0
	v_add_f32_e32 v8, v8, v18
	s_wait_alu 0xfffe
	s_or_b32 exec_lo, exec_lo, s0
	s_and_saveexec_b32 s0, vcc_lo
	s_cbranch_execz .LBB26_100
.LBB26_135:
	ds_load_b32 v18, v17 offset:512
	s_wait_dscnt 0x0
	v_add_f32_e32 v9, v9, v18
	s_wait_alu 0xfffe
	s_or_b32 exec_lo, exec_lo, s0
	s_and_saveexec_b32 s0, vcc_lo
	s_cbranch_execz .LBB26_101
.LBB26_136:
	ds_load_b32 v18, v17 offset:576
	s_wait_dscnt 0x0
	v_add_f32_e32 v10, v10, v18
	s_wait_alu 0xfffe
	s_or_b32 exec_lo, exec_lo, s0
	s_and_saveexec_b32 s0, vcc_lo
	s_cbranch_execz .LBB26_102
.LBB26_137:
	ds_load_b32 v18, v17 offset:640
	s_wait_dscnt 0x0
	v_add_f32_e32 v11, v11, v18
	s_wait_alu 0xfffe
	s_or_b32 exec_lo, exec_lo, s0
	s_and_saveexec_b32 s0, vcc_lo
	s_cbranch_execz .LBB26_103
.LBB26_138:
	ds_load_b32 v18, v17 offset:704
	s_wait_dscnt 0x0
	v_add_f32_e32 v12, v12, v18
	s_wait_alu 0xfffe
	s_or_b32 exec_lo, exec_lo, s0
	s_and_saveexec_b32 s0, vcc_lo
	s_cbranch_execz .LBB26_104
.LBB26_139:
	ds_load_b32 v18, v17 offset:768
	s_wait_dscnt 0x0
	v_add_f32_e32 v13, v13, v18
	s_wait_alu 0xfffe
	s_or_b32 exec_lo, exec_lo, s0
	s_and_saveexec_b32 s0, vcc_lo
	s_cbranch_execz .LBB26_105
.LBB26_140:
	ds_load_b32 v18, v17 offset:832
	s_wait_dscnt 0x0
	v_add_f32_e32 v14, v14, v18
	s_wait_alu 0xfffe
	s_or_b32 exec_lo, exec_lo, s0
	s_and_saveexec_b32 s0, vcc_lo
	s_cbranch_execz .LBB26_106
.LBB26_141:
	ds_load_b32 v18, v17 offset:896
	s_wait_dscnt 0x0
	v_add_f32_e32 v15, v15, v18
	s_wait_alu 0xfffe
	s_or_b32 exec_lo, exec_lo, s0
	s_and_saveexec_b32 s0, vcc_lo
	s_cbranch_execnz .LBB26_107
	s_branch .LBB26_108
	.section	.rodata,"a",@progbits
	.p2align	6, 0x0
	.amdhsa_kernel _ZN4vllm25paged_attention_v2_kernelIffLi256ELi8ELi128ELNS_18Fp8KVCacheDataTypeE0ELb0ELi512EEEvPfS2_PT_PKS3_PKT0_S9_ifPKiSB_iPKfiiiSD_SD_iiiii
		.amdhsa_group_segment_fixed_size 1056
		.amdhsa_private_segment_fixed_size 0
		.amdhsa_kernarg_size 400
		.amdhsa_user_sgpr_count 2
		.amdhsa_user_sgpr_dispatch_ptr 0
		.amdhsa_user_sgpr_queue_ptr 0
		.amdhsa_user_sgpr_kernarg_segment_ptr 1
		.amdhsa_user_sgpr_dispatch_id 0
		.amdhsa_user_sgpr_private_segment_size 0
		.amdhsa_wavefront_size32 1
		.amdhsa_uses_dynamic_stack 0
		.amdhsa_enable_private_segment 0
		.amdhsa_system_sgpr_workgroup_id_x 1
		.amdhsa_system_sgpr_workgroup_id_y 1
		.amdhsa_system_sgpr_workgroup_id_z 1
		.amdhsa_system_sgpr_workgroup_info 0
		.amdhsa_system_vgpr_workitem_id 0
		.amdhsa_next_free_vgpr 147
		.amdhsa_next_free_sgpr 32
		.amdhsa_reserve_vcc 1
		.amdhsa_float_round_mode_32 0
		.amdhsa_float_round_mode_16_64 0
		.amdhsa_float_denorm_mode_32 3
		.amdhsa_float_denorm_mode_16_64 3
		.amdhsa_fp16_overflow 0
		.amdhsa_workgroup_processor_mode 1
		.amdhsa_memory_ordered 1
		.amdhsa_forward_progress 1
		.amdhsa_inst_pref_size 76
		.amdhsa_round_robin_scheduling 0
		.amdhsa_exception_fp_ieee_invalid_op 0
		.amdhsa_exception_fp_denorm_src 0
		.amdhsa_exception_fp_ieee_div_zero 0
		.amdhsa_exception_fp_ieee_overflow 0
		.amdhsa_exception_fp_ieee_underflow 0
		.amdhsa_exception_fp_ieee_inexact 0
		.amdhsa_exception_int_div_zero 0
	.end_amdhsa_kernel
	.section	.text._ZN4vllm25paged_attention_v2_kernelIffLi256ELi8ELi128ELNS_18Fp8KVCacheDataTypeE0ELb0ELi512EEEvPfS2_PT_PKS3_PKT0_S9_ifPKiSB_iPKfiiiSD_SD_iiiii,"axG",@progbits,_ZN4vllm25paged_attention_v2_kernelIffLi256ELi8ELi128ELNS_18Fp8KVCacheDataTypeE0ELb0ELi512EEEvPfS2_PT_PKS3_PKT0_S9_ifPKiSB_iPKfiiiSD_SD_iiiii,comdat
.Lfunc_end26:
	.size	_ZN4vllm25paged_attention_v2_kernelIffLi256ELi8ELi128ELNS_18Fp8KVCacheDataTypeE0ELb0ELi512EEEvPfS2_PT_PKS3_PKT0_S9_ifPKiSB_iPKfiiiSD_SD_iiiii, .Lfunc_end26-_ZN4vllm25paged_attention_v2_kernelIffLi256ELi8ELi128ELNS_18Fp8KVCacheDataTypeE0ELb0ELi512EEEvPfS2_PT_PKS3_PKT0_S9_ifPKiSB_iPKfiiiSD_SD_iiiii
                                        ; -- End function
	.set _ZN4vllm25paged_attention_v2_kernelIffLi256ELi8ELi128ELNS_18Fp8KVCacheDataTypeE0ELb0ELi512EEEvPfS2_PT_PKS3_PKT0_S9_ifPKiSB_iPKfiiiSD_SD_iiiii.num_vgpr, 147
	.set _ZN4vllm25paged_attention_v2_kernelIffLi256ELi8ELi128ELNS_18Fp8KVCacheDataTypeE0ELb0ELi512EEEvPfS2_PT_PKS3_PKT0_S9_ifPKiSB_iPKfiiiSD_SD_iiiii.num_agpr, 0
	.set _ZN4vllm25paged_attention_v2_kernelIffLi256ELi8ELi128ELNS_18Fp8KVCacheDataTypeE0ELb0ELi512EEEvPfS2_PT_PKS3_PKT0_S9_ifPKiSB_iPKfiiiSD_SD_iiiii.numbered_sgpr, 32
	.set _ZN4vllm25paged_attention_v2_kernelIffLi256ELi8ELi128ELNS_18Fp8KVCacheDataTypeE0ELb0ELi512EEEvPfS2_PT_PKS3_PKT0_S9_ifPKiSB_iPKfiiiSD_SD_iiiii.num_named_barrier, 0
	.set _ZN4vllm25paged_attention_v2_kernelIffLi256ELi8ELi128ELNS_18Fp8KVCacheDataTypeE0ELb0ELi512EEEvPfS2_PT_PKS3_PKT0_S9_ifPKiSB_iPKfiiiSD_SD_iiiii.private_seg_size, 0
	.set _ZN4vllm25paged_attention_v2_kernelIffLi256ELi8ELi128ELNS_18Fp8KVCacheDataTypeE0ELb0ELi512EEEvPfS2_PT_PKS3_PKT0_S9_ifPKiSB_iPKfiiiSD_SD_iiiii.uses_vcc, 1
	.set _ZN4vllm25paged_attention_v2_kernelIffLi256ELi8ELi128ELNS_18Fp8KVCacheDataTypeE0ELb0ELi512EEEvPfS2_PT_PKS3_PKT0_S9_ifPKiSB_iPKfiiiSD_SD_iiiii.uses_flat_scratch, 0
	.set _ZN4vllm25paged_attention_v2_kernelIffLi256ELi8ELi128ELNS_18Fp8KVCacheDataTypeE0ELb0ELi512EEEvPfS2_PT_PKS3_PKT0_S9_ifPKiSB_iPKfiiiSD_SD_iiiii.has_dyn_sized_stack, 0
	.set _ZN4vllm25paged_attention_v2_kernelIffLi256ELi8ELi128ELNS_18Fp8KVCacheDataTypeE0ELb0ELi512EEEvPfS2_PT_PKS3_PKT0_S9_ifPKiSB_iPKfiiiSD_SD_iiiii.has_recursion, 0
	.set _ZN4vllm25paged_attention_v2_kernelIffLi256ELi8ELi128ELNS_18Fp8KVCacheDataTypeE0ELb0ELi512EEEvPfS2_PT_PKS3_PKT0_S9_ifPKiSB_iPKfiiiSD_SD_iiiii.has_indirect_call, 0
	.section	.AMDGPU.csdata,"",@progbits
; Kernel info:
; codeLenInByte = 9668
; TotalNumSgprs: 34
; NumVgprs: 147
; ScratchSize: 0
; MemoryBound: 0
; FloatMode: 240
; IeeeMode: 1
; LDSByteSize: 1056 bytes/workgroup (compile time only)
; SGPRBlocks: 0
; VGPRBlocks: 18
; NumSGPRsForWavesPerEU: 34
; NumVGPRsForWavesPerEU: 147
; Occupancy: 9
; WaveLimiterHint : 1
; COMPUTE_PGM_RSRC2:SCRATCH_EN: 0
; COMPUTE_PGM_RSRC2:USER_SGPR: 2
; COMPUTE_PGM_RSRC2:TRAP_HANDLER: 0
; COMPUTE_PGM_RSRC2:TGID_X_EN: 1
; COMPUTE_PGM_RSRC2:TGID_Y_EN: 1
; COMPUTE_PGM_RSRC2:TGID_Z_EN: 1
; COMPUTE_PGM_RSRC2:TIDIG_COMP_CNT: 0
	.section	.text._ZN4vllm25paged_attention_v2_kernelIffLi32ELi16ELi128ELNS_18Fp8KVCacheDataTypeE0ELb1ELi512EEEvPfS2_PT_PKS3_PKT0_S9_ifPKiSB_iPKfiiiSD_SD_iiiii,"axG",@progbits,_ZN4vllm25paged_attention_v2_kernelIffLi32ELi16ELi128ELNS_18Fp8KVCacheDataTypeE0ELb1ELi512EEEvPfS2_PT_PKS3_PKT0_S9_ifPKiSB_iPKfiiiSD_SD_iiiii,comdat
	.protected	_ZN4vllm25paged_attention_v2_kernelIffLi32ELi16ELi128ELNS_18Fp8KVCacheDataTypeE0ELb1ELi512EEEvPfS2_PT_PKS3_PKT0_S9_ifPKiSB_iPKfiiiSD_SD_iiiii ; -- Begin function _ZN4vllm25paged_attention_v2_kernelIffLi32ELi16ELi128ELNS_18Fp8KVCacheDataTypeE0ELb1ELi512EEEvPfS2_PT_PKS3_PKT0_S9_ifPKiSB_iPKfiiiSD_SD_iiiii
	.globl	_ZN4vllm25paged_attention_v2_kernelIffLi32ELi16ELi128ELNS_18Fp8KVCacheDataTypeE0ELb1ELi512EEEvPfS2_PT_PKS3_PKT0_S9_ifPKiSB_iPKfiiiSD_SD_iiiii
	.p2align	8
	.type	_ZN4vllm25paged_attention_v2_kernelIffLi32ELi16ELi128ELNS_18Fp8KVCacheDataTypeE0ELb1ELi512EEEvPfS2_PT_PKS3_PKT0_S9_ifPKiSB_iPKfiiiSD_SD_iiiii,@function
_ZN4vllm25paged_attention_v2_kernelIffLi32ELi16ELi128ELNS_18Fp8KVCacheDataTypeE0ELb1ELi512EEEvPfS2_PT_PKS3_PKT0_S9_ifPKiSB_iPKfiiiSD_SD_iiiii: ; @_ZN4vllm25paged_attention_v2_kernelIffLi32ELi16ELi128ELNS_18Fp8KVCacheDataTypeE0ELb1ELi512EEEvPfS2_PT_PKS3_PKT0_S9_ifPKiSB_iPKfiiiSD_SD_iiiii
; %bb.0:
	s_load_b64 s[2:3], s[0:1], 0x40
	s_and_b32 s20, ttmp7, 0xffff
	s_lshr_b32 s33, ttmp7, 16
	s_lshl_b32 s4, s20, 2
	s_lshl_b32 s34, s33, 9
	s_wait_kmcnt 0x0
	s_load_b32 s30, s[2:3], s4 offset:0x0
	s_wait_kmcnt 0x0
	s_cmp_ge_i32 s34, s30
	s_cbranch_scc1 .LBB27_72
; %bb.1:
	s_clause 0x1
	s_load_b32 s21, s[0:1], 0x90
	s_load_b64 s[6:7], s[0:1], 0x30
	s_wait_kmcnt 0x0
	s_abs_i32 s5, s21
	s_abs_i32 s2, s6
	s_delay_alu instid0(SALU_CYCLE_1) | instskip(SKIP_1) | instid1(SALU_CYCLE_2)
	s_cvt_f32_u32 s3, s2
	s_sub_co_i32 s4, 0, s2
	v_rcp_iflag_f32_e32 v1, s3
	s_delay_alu instid0(TRANS32_DEP_1) | instskip(SKIP_2) | instid1(SALU_CYCLE_2)
	v_readfirstlane_b32 s3, v1
	s_mul_f32 s3, s3, 0x4f7ffffe
	s_wait_alu 0xfffe
	s_cvt_u32_f32 s3, s3
	s_wait_alu 0xfffe
	s_delay_alu instid0(SALU_CYCLE_2) | instskip(NEXT) | instid1(SALU_CYCLE_1)
	s_mul_i32 s4, s4, s3
	s_mul_hi_u32 s4, s3, s4
	s_delay_alu instid0(SALU_CYCLE_1)
	s_add_co_i32 s3, s3, s4
	s_xor_b32 s4, s21, s6
	s_wait_alu 0xfffe
	s_mul_hi_u32 s3, s5, s3
	s_ashr_i32 s4, s4, 31
	s_wait_alu 0xfffe
	s_mul_i32 s8, s3, s2
	s_delay_alu instid0(SALU_CYCLE_1)
	s_sub_co_i32 s5, s5, s8
	s_add_co_i32 s8, s3, 1
	s_sub_co_i32 s9, s5, s2
	s_cmp_ge_u32 s5, s2
	s_cselect_b32 s3, s8, s3
	s_cselect_b32 s5, s9, s5
	s_wait_alu 0xfffe
	s_add_co_i32 s8, s3, 1
	s_cmp_ge_u32 s5, s2
	s_cselect_b32 s2, s8, s3
	s_load_b64 s[8:9], s[0:1], 0x50
	s_xor_b32 s2, s2, s4
	s_mov_b32 s3, 0
	s_wait_alu 0xfffe
	s_sub_co_i32 s10, s2, s4
	s_mov_b32 s15, s3
	s_abs_i32 s18, s10
	s_delay_alu instid0(SALU_CYCLE_1) | instskip(SKIP_1) | instid1(SALU_CYCLE_2)
	s_cvt_f32_u32 s2, s18
	s_wait_alu 0xfffe
	v_rcp_iflag_f32_e32 v1, s2
	s_delay_alu instid0(TRANS32_DEP_1) | instskip(SKIP_2) | instid1(SALU_CYCLE_2)
	v_readfirstlane_b32 s2, v1
	s_mul_f32 s2, s2, 0x4f7ffffe
	s_wait_alu 0xfffe
	s_cvt_u32_f32 s4, s2
	s_sub_co_i32 s2, 0, s18
	s_wait_alu 0xfffe
	s_delay_alu instid0(SALU_CYCLE_1)
	s_mul_i32 s2, s2, s4
	s_wait_alu 0xfffe
	s_mul_hi_u32 s5, s4, s2
	s_abs_i32 s2, ttmp9
	s_add_co_i32 s4, s4, s5
	s_mov_b32 s5, s3
	s_wait_kmcnt 0x0
	s_cmp_eq_u64 s[8:9], 0
	s_cbranch_scc1 .LBB27_3
; %bb.2:
	s_mov_b32 s12, ttmp9
	s_ashr_i32 s13, ttmp9, 31
	s_delay_alu instid0(SALU_CYCLE_1) | instskip(NEXT) | instid1(SALU_CYCLE_1)
	s_lshl_b64 s[12:13], s[12:13], 2
	s_add_nc_u64 s[8:9], s[8:9], s[12:13]
	s_load_b32 s15, s[8:9], 0x0
.LBB27_3:
	s_load_b96 s[12:14], s[0:1], 0x58
	v_and_b32_e32 v1, 1, v0
	v_lshlrev_b32_e32 v2, 3, v0
	v_lshlrev_b32_e32 v3, 2, v0
	s_mul_u64 s[4:5], s[2:3], s[4:5]
	s_ashr_i32 s3, ttmp9, 31
	s_ashr_i32 s4, s10, 31
	s_lshl_b32 s16, ttmp9, 5
	s_mov_b32 s8, exec_lo
	v_cmpx_gt_u32_e32 16, v0
	s_cbranch_execz .LBB27_5
; %bb.4:
	s_load_b64 s[10:11], s[0:1], 0x18
	s_wait_kmcnt 0x0
	s_mul_i32 s22, s12, s20
	s_ashr_i32 s17, s16, 31
	s_ashr_i32 s23, s22, 31
	v_and_b32_e32 v6, 0xff8, v3
	s_lshl_b64 s[22:23], s[22:23], 2
	s_delay_alu instid0(VALU_DEP_1) | instskip(SKIP_2) | instid1(SALU_CYCLE_1)
	v_lshl_add_u32 v6, v1, 6, v6
	s_add_nc_u64 s[10:11], s[10:11], s[22:23]
	s_lshl_b64 s[22:23], s[16:17], 2
	s_add_nc_u64 s[10:11], s[10:11], s[22:23]
	global_load_b64 v[4:5], v2, s[10:11]
	s_wait_loadcnt 0x0
	ds_store_b64 v6, v[4:5]
.LBB27_5:
	s_or_b32 exec_lo, exec_lo, s8
	s_clause 0x1
	s_load_b128 s[8:11], s[0:1], 0x78
	s_load_b32 s22, s[0:1], 0x88
	s_wait_kmcnt 0x0
	s_mul_i32 s12, s5, s18
	s_xor_b32 s3, s3, s4
	s_sub_co_i32 s2, s2, s12
	s_add_co_i32 s4, s5, 1
	s_wait_alu 0xfffe
	s_sub_co_i32 s12, s2, s18
	s_cmp_ge_u32 s2, s18
	s_mov_b32 s24, -1
	s_cselect_b32 s4, s4, s5
	s_cselect_b32 s2, s12, s2
	s_add_co_i32 s5, s4, 1
	s_wait_alu 0xfffe
	s_cmp_ge_u32 s2, s18
	s_wait_dscnt 0x0
	s_cselect_b32 s2, s5, s4
	s_add_co_i32 s23, s30, -1
	s_wait_alu 0xfffe
	s_xor_b32 s2, s2, s3
	s_barrier_signal -1
	s_wait_alu 0xfffe
	s_sub_co_i32 s26, s2, s3
	s_barrier_wait -1
	s_abs_i32 s12, s11
	global_inv scope:SCOPE_SE
	s_cvt_f32_u32 s4, s12
                                        ; implicit-def: $sgpr17
	s_delay_alu instid0(SALU_CYCLE_3) | instskip(NEXT) | instid1(TRANS32_DEP_1)
	v_rcp_iflag_f32_e32 v4, s4
	v_readfirstlane_b32 s4, v4
	s_mul_f32 s2, s4, 0x4f7ffffe
	s_wait_alu 0xfffe
	s_delay_alu instid0(SALU_CYCLE_2) | instskip(SKIP_2) | instid1(SALU_CYCLE_1)
	s_cvt_u32_f32 s4, s2
	s_sub_co_i32 s2, 0, s12
	s_wait_alu 0xfffe
	s_mul_i32 s3, s2, s4
	s_abs_i32 s2, s23
	s_wait_alu 0xfffe
	s_mul_hi_u32 s5, s4, s3
	s_mov_b32 s3, 0
	s_wait_alu 0xfffe
	s_add_co_i32 s18, s4, s5
	s_cmp_lt_i32 s22, 0
	s_mov_b32 s19, s3
	s_cbranch_scc0 .LBB27_7
; %bb.6:
	s_mul_i32 s4, s8, s6
	s_mov_b32 s24, s3
	s_wait_alu 0xfffe
	s_add_co_i32 s4, s26, s4
	s_wait_alu 0xfffe
	s_mul_i32 s4, s4, s22
	s_wait_alu 0xfffe
	s_sub_co_i32 s17, 1, s4
.LBB27_7:
	s_mul_u64 s[4:5], s[2:3], s[18:19]
	s_ashr_i32 s3, s23, 31
	s_and_not1_b32 vcc_lo, exec_lo, s24
	s_ashr_i32 s19, s11, 31
	s_cbranch_vccnz .LBB27_9
; %bb.8:
	s_mul_i32 s4, s21, s8
	s_wait_alu 0xfffe
	s_add_co_i32 s4, s4, ttmp9
	s_wait_alu 0xfffe
	s_mul_i32 s4, s4, s22
	s_wait_alu 0xfffe
	s_add_co_i32 s17, s4, 1
.LBB27_9:
	s_clause 0x2
	s_load_b32 s4, s[0:1], 0x48
	s_load_b64 s[22:23], s[0:1], 0x38
	s_load_b32 s8, s[0:1], 0x98
	s_mul_i32 s6, s5, s12
	s_xor_b32 s3, s3, s19
	s_sub_co_i32 s2, s2, s6
	s_add_co_i32 s11, s5, 1
	v_lshrrev_b32_e32 v23, 5, v0
	v_mov_b32_e32 v6, 0xff7fffff
	v_mbcnt_lo_u32_b32 v5, -1, 0
	s_mul_i32 s26, s26, s14
	s_delay_alu instid0(VALU_DEP_3)
	v_lshl_add_u32 v24, v23, 4, s34
	s_wait_kmcnt 0x0
	s_mul_i32 s24, s4, s20
	s_wait_alu 0xfffe
	s_sub_co_i32 s4, s2, s12
	s_ashr_i32 s25, s24, 31
	s_cmp_ge_u32 s2, s12
	s_cselect_b32 s5, s11, s5
	s_wait_alu 0xfffe
	s_cselect_b32 s2, s4, s2
	s_add_co_i32 s4, s5, 1
	s_wait_alu 0xfffe
	s_cmp_ge_u32 s2, s12
	s_cselect_b32 s2, s4, s5
	s_add_co_i32 s4, s30, 15
	s_lshl_b32 s11, s33, 5
	s_wait_alu 0xfffe
	s_ashr_i32 s5, s4, 31
	v_or_b32_e32 v25, s11, v23
	s_wait_alu 0xfffe
	s_lshr_b32 s5, s5, 28
	s_wait_alu 0xfffe
	s_add_co_i32 s4, s4, s5
	s_add_co_i32 s5, s11, 32
	s_wait_alu 0xfffe
	s_ashr_i32 s35, s4, 4
	s_xor_b32 s4, s2, s3
	s_wait_alu 0xfffe
	s_min_i32 s31, s5, s35
	v_lshlrev_b32_e32 v4, 2, v25
	v_cmp_gt_i32_e64 s2, s31, v25
	s_sub_co_i32 s36, s4, s3
	s_and_saveexec_b32 s6, s2
	s_cbranch_execz .LBB27_21
; %bb.10:
	s_ashr_i32 s27, s26, 31
	s_sub_co_i32 s14, s36, s9
	s_lshl_b64 s[4:5], s[26:27], 2
	s_cmp_neq_f32 s15, 0
	s_load_b64 s[38:39], s[0:1], 0x20
	v_bfe_u32 v7, v0, 1, 4
	v_lshlrev_b32_e32 v8, 6, v1
	s_cselect_b32 vcc_lo, -1, 0
	s_abs_i32 s27, s10
	v_and_b32_e32 v2, 8, v2
	s_cvt_f32_u32 s3, s27
	v_lshlrev_b32_e32 v9, 4, v7
	s_lshl_b64 s[40:41], s[24:25], 2
	v_mov_b32_e32 v14, 0xff7fffff
	s_wait_alu 0xfffe
	v_rcp_iflag_f32_e32 v6, s3
	v_cmp_eq_u32_e64 s3, 0, v1
	v_lshlrev_b32_e32 v1, 2, v7
	v_subrev_nc_u32_e32 v12, s30, v7
	s_add_nc_u64 s[40:41], s[22:23], s[40:41]
	s_sub_co_i32 s37, 0, s27
	v_lshl_add_u32 v11, v23, 4, s34
	v_xor_b32_e32 v15, 1, v5
	v_add_nc_u32_e32 v12, 1, v12
	s_mov_b32 s28, 0
	v_readfirstlane_b32 s29, v6
	v_lshl_or_b32 v6, v23, 6, v1
	s_wait_kmcnt 0x0
	s_add_nc_u64 s[4:5], s[38:39], s[4:5]
	v_mov_b32_e32 v16, v25
	s_mul_f32 s29, s29, 0x4f7ffffe
	v_add_nc_u32_e32 v13, 0xa0, v6
	v_mov_b32_e32 v6, 0xff7fffff
	s_wait_alu 0xfffe
	v_add_co_u32 v1, s4, s4, v9
	s_wait_alu 0xf1ff
	v_add_co_ci_u32_e64 v10, null, s5, 0, s4
	s_cvt_u32_f32 s5, s29
	v_add_co_u32 v9, s4, v1, v2
	s_wait_alu 0xf1ff
	v_add_co_ci_u32_e64 v10, null, 0, v10, s4
	v_add_co_u32 v1, s4, s40, v4
	s_wait_alu 0xfffe
	s_mul_i32 s37, s37, s5
	v_add_co_ci_u32_e64 v2, null, s41, 0, s4
	s_mul_hi_u32 s4, s5, s37
	s_mov_b32 s29, s13
	s_wait_alu 0xfffe
	s_add_co_i32 s37, s5, s4
	s_branch .LBB27_13
.LBB27_11:                              ;   in Loop: Header=BB27_13 Depth=1
	s_or_b32 exec_lo, exec_lo, s38
.LBB27_12:                              ;   in Loop: Header=BB27_13 Depth=1
	s_wait_alu 0xfffe
	s_or_b32 exec_lo, exec_lo, s5
	v_add_nc_u32_e32 v16, 4, v16
	v_add_co_u32 v1, s5, v1, 16
	s_wait_alu 0xf1ff
	v_add_co_ci_u32_e64 v2, null, 0, v2, s5
	s_delay_alu instid0(VALU_DEP_3)
	v_cmp_le_i32_e64 s4, s31, v16
	v_add_nc_u32_e32 v11, 64, v11
	v_add_nc_u32_e32 v13, 0x100, v13
	s_or_b32 s28, s4, s28
	s_wait_alu 0xfffe
	s_and_not1_b32 exec_lo, exec_lo, s28
	s_cbranch_execz .LBB27_20
.LBB27_13:                              ; =>This Inner Loop Header: Depth=1
	v_sub_nc_u32_e32 v17, 0, v11
	s_delay_alu instid0(VALU_DEP_1) | instskip(SKIP_1) | instid1(VALU_DEP_1)
	v_max_i32_e32 v17, v11, v17
	s_wait_dscnt 0x0
	v_mul_hi_u32 v18, v17, s18
	s_delay_alu instid0(VALU_DEP_1) | instskip(NEXT) | instid1(VALU_DEP_1)
	v_mul_lo_u32 v19, v18, s12
	v_sub_nc_u32_e32 v17, v17, v19
	v_add_nc_u32_e32 v19, 1, v18
	s_delay_alu instid0(VALU_DEP_2) | instskip(SKIP_2) | instid1(VALU_DEP_1)
	v_subrev_nc_u32_e32 v20, s12, v17
	v_cmp_le_u32_e64 s4, s12, v17
	s_wait_alu 0xf1ff
	v_cndmask_b32_e64 v18, v18, v19, s4
	s_delay_alu instid0(VALU_DEP_3) | instskip(SKIP_1) | instid1(VALU_DEP_3)
	v_cndmask_b32_e64 v17, v17, v20, s4
	v_ashrrev_i32_e32 v19, 31, v11
	v_add_nc_u32_e32 v20, 1, v18
	s_delay_alu instid0(VALU_DEP_3) | instskip(NEXT) | instid1(VALU_DEP_3)
	v_cmp_le_u32_e64 s4, s12, v17
	v_xor_b32_e32 v19, s19, v19
	s_wait_alu 0xf1ff
	s_delay_alu instid0(VALU_DEP_2) | instskip(NEXT) | instid1(VALU_DEP_1)
	v_cndmask_b32_e64 v17, v18, v20, s4
	v_xor_b32_e32 v17, v17, v19
	s_delay_alu instid0(VALU_DEP_1) | instskip(NEXT) | instid1(VALU_DEP_1)
	v_sub_nc_u32_e32 v17, v17, v19
	v_add_nc_u32_e32 v18, s17, v17
	v_cmp_ge_i32_e64 s5, s14, v17
	s_delay_alu instid0(VALU_DEP_2) | instskip(NEXT) | instid1(VALU_DEP_1)
	v_sub_nc_u32_e32 v19, 0, v18
	v_max_i32_e32 v19, v18, v19
	v_ashrrev_i32_e32 v18, 31, v18
	s_delay_alu instid0(VALU_DEP_2) | instskip(NEXT) | instid1(VALU_DEP_1)
	v_mul_hi_u32 v20, v19, s37
	v_mul_lo_u32 v20, v20, s27
	s_delay_alu instid0(VALU_DEP_1) | instskip(NEXT) | instid1(VALU_DEP_1)
	v_sub_nc_u32_e32 v19, v19, v20
	v_subrev_nc_u32_e32 v20, s27, v19
	v_cmp_le_u32_e64 s4, s27, v19
	s_wait_alu 0xf1ff
	s_delay_alu instid0(VALU_DEP_1) | instskip(NEXT) | instid1(VALU_DEP_1)
	v_cndmask_b32_e64 v19, v19, v20, s4
	v_subrev_nc_u32_e32 v20, s27, v19
	v_cmp_le_u32_e64 s4, s27, v19
	s_wait_alu 0xf1ff
	s_delay_alu instid0(VALU_DEP_1) | instskip(NEXT) | instid1(VALU_DEP_1)
	v_cndmask_b32_e64 v19, v19, v20, s4
	v_xor_b32_e32 v19, v19, v18
	s_delay_alu instid0(VALU_DEP_1) | instskip(NEXT) | instid1(VALU_DEP_1)
	v_sub_nc_u32_e32 v18, v19, v18
	v_cmp_ne_u32_e64 s4, 0, v18
	s_and_b32 s4, s4, s5
	s_wait_alu 0xfffe
	s_and_saveexec_b32 s5, s4
	s_wait_alu 0xfffe
	s_xor_b32 s4, exec_lo, s5
	s_cbranch_execz .LBB27_17
; %bb.14:                               ;   in Loop: Header=BB27_13 Depth=1
	s_and_saveexec_b32 s5, s3
; %bb.15:                               ;   in Loop: Header=BB27_13 Depth=1
	ds_store_b32 v13, v14
; %bb.16:                               ;   in Loop: Header=BB27_13 Depth=1
	s_wait_alu 0xfffe
	s_or_b32 exec_lo, exec_lo, s5
.LBB27_17:                              ;   in Loop: Header=BB27_13 Depth=1
	s_wait_alu 0xfffe
	s_and_not1_saveexec_b32 s5, s4
	s_cbranch_execz .LBB27_12
; %bb.18:                               ;   in Loop: Header=BB27_13 Depth=1
	global_load_b32 v17, v[1:2], off
	s_wait_loadcnt 0x0
	v_mad_co_i64_i32 v[17:18], null, v17, s29, 0
	s_delay_alu instid0(VALU_DEP_1) | instskip(NEXT) | instid1(VALU_DEP_1)
	v_lshlrev_b64_e32 v[17:18], 2, v[17:18]
	v_add_co_u32 v17, s4, v9, v17
	s_wait_alu 0xf1ff
	s_delay_alu instid0(VALU_DEP_2)
	v_add_co_ci_u32_e64 v18, null, v10, v18, s4
	v_cmp_gt_i32_e64 s4, 32, v15
	s_clause 0x7
	global_load_b64 v[21:22], v[17:18], off offset:256
	global_load_b64 v[34:35], v[17:18], off
	global_load_b64 v[36:37], v[17:18], off offset:512
	global_load_b64 v[38:39], v[17:18], off offset:768
	;; [unrolled: 1-line block ×6, first 2 shown]
	ds_load_b128 v[17:20], v8
	ds_load_b128 v[26:29], v8 offset:16
	ds_load_b128 v[30:33], v8 offset:32
	s_wait_loadcnt_dscnt 0x702
	v_dual_mul_f32 v21, v19, v21 :: v_dual_mul_f32 v22, v20, v22
	s_wait_loadcnt 0x6
	s_delay_alu instid0(VALU_DEP_1) | instskip(SKIP_4) | instid1(VALU_DEP_1)
	v_dual_fmac_f32 v21, v17, v34 :: v_dual_fmac_f32 v22, v18, v35
	ds_load_b128 v[17:20], v8 offset:48
	s_wait_loadcnt_dscnt 0x502
	v_dual_fmac_f32 v21, v26, v36 :: v_dual_fmac_f32 v22, v27, v37
	s_wait_loadcnt 0x4
	v_dual_fmac_f32 v21, v28, v38 :: v_dual_fmac_f32 v22, v29, v39
	s_wait_loadcnt_dscnt 0x301
	s_delay_alu instid0(VALU_DEP_1) | instskip(SKIP_1) | instid1(VALU_DEP_1)
	v_dual_fmac_f32 v21, v30, v40 :: v_dual_fmac_f32 v22, v31, v41
	s_wait_loadcnt 0x2
	v_dual_fmac_f32 v21, v32, v42 :: v_dual_fmac_f32 v22, v33, v43
	s_wait_loadcnt_dscnt 0x100
	s_delay_alu instid0(VALU_DEP_1) | instskip(SKIP_3) | instid1(VALU_DEP_2)
	v_dual_fmac_f32 v21, v17, v44 :: v_dual_fmac_f32 v22, v18, v45
	s_wait_alu 0xf1ff
	v_cndmask_b32_e64 v17, v5, v15, s4
	s_wait_loadcnt 0x0
	v_dual_fmac_f32 v21, v19, v46 :: v_dual_fmac_f32 v22, v20, v47
	s_delay_alu instid0(VALU_DEP_1)
	v_dual_add_f32 v17, v21, v22 :: v_dual_lshlrev_b32 v18, 2, v17
	ds_bpermute_b32 v18, v18, v17
	s_and_saveexec_b32 s38, s3
	s_cbranch_execz .LBB27_11
; %bb.19:                               ;   in Loop: Header=BB27_13 Depth=1
	s_wait_dscnt 0x0
	v_add_f32_e32 v17, v17, v18
	v_add_nc_u32_e32 v19, v12, v11
	s_delay_alu instid0(VALU_DEP_1) | instskip(NEXT) | instid1(VALU_DEP_1)
	v_cvt_f32_i32_e32 v19, v19
	v_mul_f32_e32 v19, s15, v19
	s_delay_alu instid0(VALU_DEP_1) | instskip(NEXT) | instid1(VALU_DEP_1)
	v_dual_cndmask_b32 v18, 0, v19 :: v_dual_max_num_f32 v19, v6, v6
	v_dual_fmac_f32 v18, s7, v17 :: v_dual_add_nc_u32 v17, v7, v11
	s_delay_alu instid0(VALU_DEP_1) | instskip(NEXT) | instid1(VALU_DEP_2)
	v_max_num_f32_e32 v19, v19, v18
	v_cmp_gt_i32_e64 s4, s30, v17
	s_wait_alu 0xf1ff
	s_delay_alu instid0(VALU_DEP_1) | instskip(NEXT) | instid1(VALU_DEP_3)
	v_cndmask_b32_e64 v17, 0, v18, s4
	v_cndmask_b32_e64 v6, v6, v19, s4
	ds_store_b32 v13, v17
	s_branch .LBB27_11
.LBB27_20:
	s_or_b32 exec_lo, exec_lo, s28
.LBB27_21:
	s_delay_alu instid0(SALU_CYCLE_1)
	s_or_b32 exec_lo, exec_lo, s6
	v_xor_b32_e32 v1, 16, v5
	v_xor_b32_e32 v7, 8, v5
	s_clause 0x2
	s_load_b128 s[4:7], s[0:1], 0x0
	s_load_b64 s[14:15], s[0:1], 0x10
	s_load_b64 s[28:29], s[0:1], 0x28
	v_max_num_f32_e32 v8, v6, v6
	v_and_b32_e32 v26, 31, v0
	v_cmp_gt_i32_e32 vcc_lo, 32, v1
	s_wait_alu 0xfffd
	v_cndmask_b32_e32 v1, v5, v1, vcc_lo
	v_cmp_gt_i32_e32 vcc_lo, 32, v7
	s_delay_alu instid0(VALU_DEP_2) | instskip(SKIP_4) | instid1(VALU_DEP_1)
	v_lshlrev_b32_e32 v2, 2, v1
	ds_bpermute_b32 v1, v2, v6
	s_wait_dscnt 0x0
	v_max_num_f32_e32 v1, v1, v1
	s_wait_alu 0xfffd
	v_dual_cndmask_b32 v6, v5, v7 :: v_dual_max_num_f32 v1, v8, v1
	s_delay_alu instid0(VALU_DEP_1)
	v_lshlrev_b32_e32 v6, 2, v6
	v_xor_b32_e32 v8, 4, v5
	ds_bpermute_b32 v7, v6, v1
	v_cmp_gt_i32_e32 vcc_lo, 32, v8
	s_wait_dscnt 0x0
	s_wait_alu 0xfffd
	v_dual_cndmask_b32 v8, v5, v8 :: v_dual_max_num_f32 v9, v7, v7
	s_delay_alu instid0(VALU_DEP_1) | instskip(SKIP_1) | instid1(VALU_DEP_1)
	v_max_num_f32_e32 v1, v1, v9
	v_xor_b32_e32 v9, 2, v5
	v_cmp_gt_i32_e32 vcc_lo, 32, v9
	s_wait_alu 0xfffd
	v_cndmask_b32_e32 v9, v5, v9, vcc_lo
	v_cmp_eq_u32_e32 vcc_lo, 0, v26
	s_delay_alu instid0(VALU_DEP_2) | instskip(SKIP_4) | instid1(VALU_DEP_1)
	v_lshlrev_b32_e32 v27, 2, v9
	v_lshlrev_b32_e32 v7, 2, v8
	ds_bpermute_b32 v8, v7, v1
	s_wait_dscnt 0x0
	v_max_num_f32_e32 v8, v8, v8
	v_dual_max_num_f32 v1, v1, v8 :: v_dual_lshlrev_b32 v8, 2, v23
	ds_bpermute_b32 v9, v27, v1
	s_and_saveexec_b32 s0, vcc_lo
	s_cbranch_execz .LBB27_23
; %bb.22:
	s_wait_dscnt 0x0
	v_max_num_f32_e32 v9, v9, v9
	v_max_num_f32_e32 v1, v1, v1
	s_delay_alu instid0(VALU_DEP_1)
	v_max_num_f32_e32 v1, v1, v9
	ds_store_b32 v8, v1 offset:128
.LBB27_23:
	s_or_b32 exec_lo, exec_lo, s0
	v_cmp_gt_u32_e64 s0, 4, v26
	v_mov_b32_e32 v1, 0xff7fffff
	s_wait_dscnt 0x0
	v_lshlrev_b32_e32 v9, 2, v26
	s_wait_loadcnt 0x0
	s_barrier_signal -1
	s_barrier_wait -1
	global_inv scope:SCOPE_SE
	s_and_saveexec_b32 s1, s0
; %bb.24:
	ds_load_b32 v1, v9 offset:128
; %bb.25:
	s_or_b32 exec_lo, exec_lo, s1
	s_wait_dscnt 0x0
	ds_bpermute_b32 v10, v27, v1
	v_xor_b32_e32 v11, 1, v5
	v_max_num_f32_e32 v1, v1, v1
	s_delay_alu instid0(VALU_DEP_2) | instskip(NEXT) | instid1(VALU_DEP_1)
	v_cmp_gt_i32_e64 s1, 32, v11
	v_cndmask_b32_e64 v5, v5, v11, s1
	s_sub_co_i32 s1, s31, s11
	s_wait_alu 0xfffe
	s_lshl_b32 s1, s1, 4
	s_wait_alu 0xfffe
	s_add_co_i32 s1, s1, s34
	s_wait_alu 0xfffe
	s_min_i32 s1, s1, s30
	s_wait_alu 0xfffe
	s_sub_co_i32 s27, s1, s34
	s_wait_dscnt 0x0
	v_max_num_f32_e32 v10, v10, v10
	v_lshlrev_b32_e32 v28, 2, v5
	s_wait_alu 0xfffe
	v_cmp_gt_i32_e64 s1, s27, v0
	s_delay_alu instid0(VALU_DEP_3) | instskip(SKIP_3) | instid1(VALU_DEP_1)
	v_dual_max_num_f32 v1, v1, v10 :: v_dual_mov_b32 v10, 0
	ds_bpermute_b32 v5, v28, v1
	s_wait_dscnt 0x0
	v_max_num_f32_e32 v5, v5, v5
	v_max_num_f32_e32 v1, v1, v5
	v_lshl_add_u32 v5, v0, 2, 0xa0
	ds_bpermute_b32 v1, v10, v1
	s_and_saveexec_b32 s34, s1
	s_cbranch_execz .LBB27_29
; %bb.26:
	v_lshl_add_u32 v11, v0, 2, 0xa0
	v_mov_b32_e32 v10, 0
	v_mov_b32_e32 v12, v0
	s_mov_b32 s37, 0
.LBB27_27:                              ; =>This Inner Loop Header: Depth=1
	ds_load_b32 v13, v11
	v_add_nc_u32_e32 v12, 0x80, v12
	s_delay_alu instid0(VALU_DEP_1) | instskip(SKIP_4) | instid1(VALU_DEP_1)
	v_cmp_le_i32_e64 s3, s27, v12
	s_wait_alu 0xfffe
	s_or_b32 s37, s3, s37
	s_wait_dscnt 0x0
	v_sub_f32_e32 v13, v13, v1
	v_mul_f32_e32 v13, 0x3fb8aa3b, v13
	s_delay_alu instid0(VALU_DEP_1)
	v_exp_f32_e32 v13, v13
	ds_store_b32 v11, v13
	v_dual_add_f32 v10, v10, v13 :: v_dual_add_nc_u32 v11, 0x200, v11
	s_wait_alu 0xfffe
	s_and_not1_b32 exec_lo, exec_lo, s37
	s_cbranch_execnz .LBB27_27
; %bb.28:
	s_or_b32 exec_lo, exec_lo, s37
.LBB27_29:
	s_wait_alu 0xfffe
	s_or_b32 exec_lo, exec_lo, s34
	ds_bpermute_b32 v2, v2, v10
	s_wait_dscnt 0x0
	v_add_f32_e32 v2, v10, v2
	ds_bpermute_b32 v6, v6, v2
	s_wait_dscnt 0x0
	v_add_f32_e32 v2, v2, v6
	;; [unrolled: 3-line block ×5, first 2 shown]
	s_and_saveexec_b32 s3, vcc_lo
; %bb.30:
	ds_store_b32 v8, v2 offset:144
; %bb.31:
	s_wait_alu 0xfffe
	s_or_b32 exec_lo, exec_lo, s3
	s_wait_loadcnt_dscnt 0x0
	s_barrier_signal -1
	s_barrier_wait -1
	global_inv scope:SCOPE_SE
	s_and_saveexec_b32 s3, s0
; %bb.32:
	ds_load_b32 v2, v9 offset:144
; %bb.33:
	s_wait_alu 0xfffe
	s_or_b32 exec_lo, exec_lo, s3
	s_wait_dscnt 0x0
	ds_bpermute_b32 v6, v27, v2
	s_wait_dscnt 0x0
	v_add_f32_e32 v2, v2, v6
	ds_bpermute_b32 v6, v28, v2
	s_wait_dscnt 0x0
	v_add_f32_e32 v2, v2, v6
	v_mov_b32_e32 v6, 0
	ds_bpermute_b32 v2, v6, v2
	s_and_saveexec_b32 s0, s1
	s_cbranch_execz .LBB27_36
; %bb.34:
	s_wait_dscnt 0x0
	v_add_f32_e32 v6, 0x358637bd, v2
	s_mov_b32 s1, 0
	s_delay_alu instid0(VALU_DEP_1) | instskip(SKIP_1) | instid1(VALU_DEP_2)
	v_div_scale_f32 v7, null, v6, v6, 1.0
	v_div_scale_f32 v10, vcc_lo, 1.0, v6, 1.0
	v_rcp_f32_e32 v8, v7
	s_delay_alu instid0(TRANS32_DEP_1) | instskip(NEXT) | instid1(VALU_DEP_1)
	v_fma_f32 v9, -v7, v8, 1.0
	v_fmac_f32_e32 v8, v9, v8
	s_delay_alu instid0(VALU_DEP_1) | instskip(NEXT) | instid1(VALU_DEP_1)
	v_mul_f32_e32 v9, v10, v8
	v_fma_f32 v11, -v7, v9, v10
	s_delay_alu instid0(VALU_DEP_1) | instskip(NEXT) | instid1(VALU_DEP_1)
	v_fmac_f32_e32 v9, v11, v8
	v_fma_f32 v7, -v7, v9, v10
	s_wait_alu 0xfffd
	s_delay_alu instid0(VALU_DEP_1) | instskip(NEXT) | instid1(VALU_DEP_1)
	v_div_fmas_f32 v7, v7, v8, v9
	v_div_fixup_f32 v6, v7, v6, 1.0
	v_mov_b32_e32 v7, v0
.LBB27_35:                              ; =>This Inner Loop Header: Depth=1
	ds_load_b32 v8, v5
	s_wait_dscnt 0x0
	v_dual_mul_f32 v8, v6, v8 :: v_dual_add_nc_u32 v7, 0x80, v7
	s_delay_alu instid0(VALU_DEP_1)
	v_cmp_le_i32_e32 vcc_lo, s27, v7
	ds_store_b32 v5, v8
	v_add_nc_u32_e32 v5, 0x200, v5
	s_wait_alu 0xfffe
	s_or_b32 s1, vcc_lo, s1
	s_wait_alu 0xfffe
	s_and_not1_b32 exec_lo, exec_lo, s1
	s_cbranch_execnz .LBB27_35
.LBB27_36:
	s_wait_alu 0xfffe
	s_or_b32 exec_lo, exec_lo, s0
	s_mul_i32 s0, s8, s20
	s_wait_loadcnt_dscnt 0x0
	s_wait_alu 0xfffe
	s_mul_i32 s20, s0, s21
	s_mov_b32 s0, exec_lo
	s_barrier_signal -1
	s_barrier_wait -1
	global_inv scope:SCOPE_SE
	v_cmpx_eq_u32_e32 0, v0
	s_cbranch_execz .LBB27_38
; %bb.37:
	s_ashr_i32 s21, s20, 31
	s_wait_alu 0xfffe
	s_mul_i32 s38, s8, ttmp9
	s_lshl_b32 s1, s33, 2
	s_lshl_b64 s[40:41], s[20:21], 2
	s_ashr_i32 s39, s38, 31
	s_wait_alu 0xfffe
	v_mov_b32_e32 v5, s1
	s_wait_kmcnt 0x0
	s_add_nc_u64 s[6:7], s[6:7], s[40:41]
	s_lshl_b64 s[38:39], s[38:39], 2
	s_add_nc_u64 s[4:5], s[4:5], s[40:41]
	s_wait_alu 0xfffe
	s_add_nc_u64 s[6:7], s[6:7], s[38:39]
	s_add_nc_u64 s[4:5], s[4:5], s[38:39]
	s_clause 0x1
	global_store_b32 v5, v1, s[6:7]
	global_store_b32 v5, v2, s[4:5]
.LBB27_38:
	s_wait_alu 0xfffe
	s_or_b32 exec_lo, exec_lo, s0
	v_dual_mov_b32 v33, 0 :: v_dual_mov_b32 v34, 0
	v_dual_mov_b32 v32, 0 :: v_dual_and_b32 v29, 3, v0
	v_mov_b32_e32 v30, 0
	s_and_saveexec_b32 s1, s2
	s_cbranch_execz .LBB27_52
; %bb.39:
	s_abs_i32 s2, s10
	v_dual_mov_b32 v33, 0 :: v_dual_lshlrev_b32 v2, 4, v0
	s_wait_alu 0xfffe
	s_cvt_f32_u32 s0, s2
	v_dual_mov_b32 v30, 0 :: v_dual_and_b32 v31, 12, v3
	v_dual_mov_b32 v32, 0 :: v_dual_lshlrev_b32 v3, 4, v29
	s_wait_alu 0xfffe
	v_rcp_iflag_f32_e32 v1, s0
	s_ashr_i32 s27, s26, 31
	s_wait_kmcnt 0x0
	s_lshl_b64 s[6:7], s[24:25], 2
	s_wait_alu 0xfffe
	s_lshl_b64 s[24:25], s[26:27], 2
	s_add_nc_u64 s[6:7], s[22:23], s[6:7]
	s_add_nc_u64 s[22:23], s[28:29], s[24:25]
	s_wait_alu 0xfffe
	v_add_co_u32 v21, s6, s6, v4
	s_sub_co_i32 s5, 0, s2
	v_add_co_ci_u32_e64 v22, null, s7, 0, s6
	v_readfirstlane_b32 s0, v1
	v_dual_mov_b32 v34, 0 :: v_dual_and_b32 v1, 0x1f0, v2
	v_lshl_or_b32 v2, v23, 6, v3
	s_sub_co_i32 s3, s36, s9
	s_mul_f32 s0, s0, 0x4f7ffffe
	s_delay_alu instid0(VALU_DEP_2)
	v_add_co_u32 v35, s6, s22, v1
	s_wait_alu 0xf1ff
	v_add_co_ci_u32_e64 v36, null, s23, 0, s6
	s_wait_alu 0xfffe
	s_cvt_u32_f32 s0, s0
	v_add_nc_u32_e32 v37, 0xa0, v2
	s_mov_b32 s4, s13
	s_add_co_i32 s35, s35, -1
	s_wait_alu 0xfffe
	s_mul_i32 s5, s5, s0
	s_wait_alu 0xfffe
	s_mul_hi_u32 s6, s0, s5
	s_mov_b32 s5, 0
	s_wait_alu 0xfffe
	s_add_co_i32 s6, s0, s6
	s_branch .LBB27_42
.LBB27_40:                              ;   in Loop: Header=BB27_42 Depth=1
	s_wait_alu 0xfffe
	s_or_b32 exec_lo, exec_lo, s0
	s_wait_loadcnt_dscnt 0x100
	v_mul_f32_e32 v13, v1, v13
	v_mul_f32_e32 v9, v1, v9
	v_mul_f32_e32 v5, v1, v5
	s_wait_loadcnt 0x0
	v_mul_f32_e32 v1, v1, v17
	v_fmac_f32_e32 v13, v2, v14
	s_delay_alu instid0(VALU_DEP_3) | instskip(NEXT) | instid1(VALU_DEP_3)
	v_fmac_f32_e32 v5, v2, v6
	v_fmac_f32_e32 v1, v2, v18
	s_delay_alu instid0(VALU_DEP_3) | instskip(NEXT) | instid1(VALU_DEP_3)
	v_fmac_f32_e32 v13, v3, v15
	;; [unrolled: 3-line block ×3, first 2 shown]
	v_fmac_f32_e32 v13, v4, v16
	v_fmac_f32_e32 v9, v2, v10
	s_delay_alu instid0(VALU_DEP_4) | instskip(NEXT) | instid1(VALU_DEP_4)
	v_fmac_f32_e32 v5, v4, v8
	v_fmac_f32_e32 v1, v4, v20
	s_delay_alu instid0(VALU_DEP_3) | instskip(NEXT) | instid1(VALU_DEP_3)
	v_dual_add_f32 v32, v32, v13 :: v_dual_fmac_f32 v9, v3, v11
	v_add_f32_e32 v33, v33, v5
	s_delay_alu instid0(VALU_DEP_2) | instskip(NEXT) | instid1(VALU_DEP_1)
	v_dual_add_f32 v30, v30, v1 :: v_dual_fmac_f32 v9, v4, v12
	v_add_f32_e32 v34, v34, v9
.LBB27_41:                              ;   in Loop: Header=BB27_42 Depth=1
	s_wait_alu 0xfffe
	s_or_b32 exec_lo, exec_lo, s7
	v_add_nc_u32_e32 v25, 4, v25
	v_add_co_u32 v21, s0, v21, 16
	s_wait_alu 0xf1ff
	v_add_co_ci_u32_e64 v22, null, 0, v22, s0
	s_delay_alu instid0(VALU_DEP_3)
	v_cmp_le_i32_e32 vcc_lo, s31, v25
	v_add_nc_u32_e32 v24, 64, v24
	v_add_nc_u32_e32 v37, 0x100, v37
	s_or_b32 s5, vcc_lo, s5
	s_wait_alu 0xfffe
	s_and_not1_b32 exec_lo, exec_lo, s5
	s_cbranch_execz .LBB27_51
.LBB27_42:                              ; =>This Inner Loop Header: Depth=1
	v_sub_nc_u32_e32 v1, 0, v24
	s_delay_alu instid0(VALU_DEP_1) | instskip(NEXT) | instid1(VALU_DEP_1)
	v_max_i32_e32 v1, v24, v1
	v_mul_hi_u32 v2, v1, s18
	s_delay_alu instid0(VALU_DEP_1) | instskip(NEXT) | instid1(VALU_DEP_1)
	v_mul_lo_u32 v3, v2, s12
	v_sub_nc_u32_e32 v1, v1, v3
	v_add_nc_u32_e32 v3, 1, v2
	s_delay_alu instid0(VALU_DEP_2) | instskip(SKIP_2) | instid1(VALU_DEP_2)
	v_subrev_nc_u32_e32 v4, s12, v1
	v_cmp_le_u32_e32 vcc_lo, s12, v1
	s_wait_alu 0xfffd
	v_dual_cndmask_b32 v2, v2, v3 :: v_dual_cndmask_b32 v1, v1, v4
	v_ashrrev_i32_e32 v3, 31, v24
	s_delay_alu instid0(VALU_DEP_2) | instskip(NEXT) | instid1(VALU_DEP_3)
	v_add_nc_u32_e32 v4, 1, v2
	v_cmp_le_u32_e32 vcc_lo, s12, v1
	s_delay_alu instid0(VALU_DEP_3) | instskip(SKIP_1) | instid1(VALU_DEP_3)
	v_xor_b32_e32 v3, s19, v3
	s_wait_alu 0xfffd
	v_cndmask_b32_e32 v1, v2, v4, vcc_lo
	s_delay_alu instid0(VALU_DEP_1) | instskip(NEXT) | instid1(VALU_DEP_1)
	v_xor_b32_e32 v1, v1, v3
	v_sub_nc_u32_e32 v1, v1, v3
	s_delay_alu instid0(VALU_DEP_1) | instskip(SKIP_1) | instid1(VALU_DEP_2)
	v_add_nc_u32_e32 v2, s17, v1
	v_cmp_lt_i32_e64 s0, s3, v1
	v_sub_nc_u32_e32 v3, 0, v2
	s_delay_alu instid0(VALU_DEP_1) | instskip(SKIP_1) | instid1(VALU_DEP_1)
	v_max_i32_e32 v3, v2, v3
	s_wait_alu 0xfffe
	v_mul_hi_u32 v4, v3, s6
	s_delay_alu instid0(VALU_DEP_1) | instskip(NEXT) | instid1(VALU_DEP_1)
	v_mul_lo_u32 v4, v4, s2
	v_sub_nc_u32_e32 v3, v3, v4
	s_delay_alu instid0(VALU_DEP_1) | instskip(SKIP_2) | instid1(VALU_DEP_2)
	v_subrev_nc_u32_e32 v4, s2, v3
	v_cmp_le_u32_e32 vcc_lo, s2, v3
	s_wait_alu 0xfffd
	v_cndmask_b32_e32 v3, v3, v4, vcc_lo
	v_ashrrev_i32_e32 v2, 31, v2
	s_delay_alu instid0(VALU_DEP_2) | instskip(SKIP_2) | instid1(VALU_DEP_2)
	v_subrev_nc_u32_e32 v4, s2, v3
	v_cmp_le_u32_e32 vcc_lo, s2, v3
	s_wait_alu 0xfffd
	v_cndmask_b32_e32 v3, v3, v4, vcc_lo
	s_delay_alu instid0(VALU_DEP_1) | instskip(NEXT) | instid1(VALU_DEP_1)
	v_xor_b32_e32 v3, v3, v2
	v_sub_nc_u32_e32 v2, v3, v2
	s_delay_alu instid0(VALU_DEP_1)
	v_cmp_eq_u32_e32 vcc_lo, 0, v2
	s_or_b32 s0, vcc_lo, s0
	s_wait_alu 0xfffe
	s_and_saveexec_b32 s7, s0
	s_cbranch_execz .LBB27_41
; %bb.43:                               ;   in Loop: Header=BB27_42 Depth=1
	global_load_b32 v1, v[21:22], off
	v_add_nc_u32_e32 v38, v31, v24
	s_delay_alu instid0(VALU_DEP_1) | instskip(SKIP_4) | instid1(VALU_DEP_1)
	v_add_nc_u32_e32 v41, 1, v38
	v_add_nc_u32_e32 v40, 2, v38
	;; [unrolled: 1-line block ×3, first 2 shown]
	s_wait_loadcnt 0x0
	v_mad_co_i64_i32 v[1:2], null, v1, s4, 0
	v_lshlrev_b64_e32 v[1:2], 2, v[1:2]
	s_delay_alu instid0(VALU_DEP_1) | instskip(SKIP_1) | instid1(VALU_DEP_2)
	v_add_co_u32 v17, vcc_lo, v35, v1
	s_wait_alu 0xfffd
	v_add_co_ci_u32_e64 v18, null, v36, v2, vcc_lo
	ds_load_b128 v[1:4], v37
	v_cmp_eq_u32_e32 vcc_lo, s35, v25
	global_load_b128 v[5:8], v[17:18], off
	s_and_saveexec_b32 s9, vcc_lo
	s_cbranch_execnz .LBB27_47
; %bb.44:                               ;   in Loop: Header=BB27_42 Depth=1
	s_or_b32 exec_lo, exec_lo, s9
	global_load_b128 v[9:12], v[17:18], off offset:512
	s_and_saveexec_b32 s9, vcc_lo
	s_cbranch_execnz .LBB27_48
.LBB27_45:                              ;   in Loop: Header=BB27_42 Depth=1
	s_or_b32 exec_lo, exec_lo, s9
	global_load_b128 v[13:16], v[17:18], off offset:1024
	s_and_saveexec_b32 s9, vcc_lo
	s_cbranch_execnz .LBB27_49
.LBB27_46:                              ;   in Loop: Header=BB27_42 Depth=1
	s_or_b32 exec_lo, exec_lo, s9
	global_load_b128 v[17:20], v[17:18], off offset:1536
	s_and_saveexec_b32 s0, vcc_lo
	s_cbranch_execz .LBB27_40
	s_branch .LBB27_50
.LBB27_47:                              ;   in Loop: Header=BB27_42 Depth=1
	v_cmp_gt_i32_e64 s0, s30, v38
	s_wait_loadcnt 0x0
	s_wait_alu 0xf1ff
	s_delay_alu instid0(VALU_DEP_1) | instskip(SKIP_2) | instid1(VALU_DEP_1)
	v_cndmask_b32_e64 v5, 0, v5, s0
	v_cmp_gt_i32_e64 s0, s30, v41
	s_wait_alu 0xf1ff
	v_cndmask_b32_e64 v6, 0, v6, s0
	v_cmp_gt_i32_e64 s0, s30, v40
	s_wait_alu 0xf1ff
	s_delay_alu instid0(VALU_DEP_1) | instskip(SKIP_2) | instid1(VALU_DEP_1)
	v_cndmask_b32_e64 v7, 0, v7, s0
	v_cmp_gt_i32_e64 s0, s30, v39
	s_wait_alu 0xf1ff
	v_cndmask_b32_e64 v8, 0, v8, s0
	s_or_b32 exec_lo, exec_lo, s9
	global_load_b128 v[9:12], v[17:18], off offset:512
	s_and_saveexec_b32 s9, vcc_lo
	s_cbranch_execz .LBB27_45
.LBB27_48:                              ;   in Loop: Header=BB27_42 Depth=1
	v_cmp_gt_i32_e64 s0, s30, v38
	s_wait_loadcnt 0x0
	s_wait_alu 0xf1ff
	s_delay_alu instid0(VALU_DEP_1) | instskip(SKIP_2) | instid1(VALU_DEP_1)
	v_cndmask_b32_e64 v9, 0, v9, s0
	v_cmp_gt_i32_e64 s0, s30, v41
	s_wait_alu 0xf1ff
	v_cndmask_b32_e64 v10, 0, v10, s0
	v_cmp_gt_i32_e64 s0, s30, v40
	s_wait_alu 0xf1ff
	s_delay_alu instid0(VALU_DEP_1) | instskip(SKIP_2) | instid1(VALU_DEP_1)
	v_cndmask_b32_e64 v11, 0, v11, s0
	v_cmp_gt_i32_e64 s0, s30, v39
	s_wait_alu 0xf1ff
	v_cndmask_b32_e64 v12, 0, v12, s0
	s_or_b32 exec_lo, exec_lo, s9
	global_load_b128 v[13:16], v[17:18], off offset:1024
	s_and_saveexec_b32 s9, vcc_lo
	s_cbranch_execz .LBB27_46
.LBB27_49:                              ;   in Loop: Header=BB27_42 Depth=1
	v_cmp_gt_i32_e64 s0, s30, v38
	s_wait_loadcnt 0x0
	s_wait_alu 0xf1ff
	s_delay_alu instid0(VALU_DEP_1) | instskip(SKIP_2) | instid1(VALU_DEP_1)
	v_cndmask_b32_e64 v13, 0, v13, s0
	v_cmp_gt_i32_e64 s0, s30, v41
	s_wait_alu 0xf1ff
	v_cndmask_b32_e64 v14, 0, v14, s0
	v_cmp_gt_i32_e64 s0, s30, v40
	s_wait_alu 0xf1ff
	s_delay_alu instid0(VALU_DEP_1) | instskip(SKIP_2) | instid1(VALU_DEP_1)
	v_cndmask_b32_e64 v15, 0, v15, s0
	v_cmp_gt_i32_e64 s0, s30, v39
	s_wait_alu 0xf1ff
	v_cndmask_b32_e64 v16, 0, v16, s0
	s_or_b32 exec_lo, exec_lo, s9
	global_load_b128 v[17:20], v[17:18], off offset:1536
	s_and_saveexec_b32 s0, vcc_lo
	s_cbranch_execz .LBB27_40
.LBB27_50:                              ;   in Loop: Header=BB27_42 Depth=1
	v_cmp_gt_i32_e32 vcc_lo, s30, v38
	s_wait_loadcnt 0x0
	s_wait_alu 0xfffd
	v_cndmask_b32_e32 v17, 0, v17, vcc_lo
	v_cmp_gt_i32_e32 vcc_lo, s30, v41
	s_wait_alu 0xfffd
	v_cndmask_b32_e32 v18, 0, v18, vcc_lo
	v_cmp_gt_i32_e32 vcc_lo, s30, v40
	;; [unrolled: 3-line block ×3, first 2 shown]
	s_wait_alu 0xfffd
	v_cndmask_b32_e32 v20, 0, v20, vcc_lo
	s_branch .LBB27_40
.LBB27_51:
	s_or_b32 exec_lo, exec_lo, s5
.LBB27_52:
	s_wait_alu 0xfffe
	s_or_b32 exec_lo, exec_lo, s1
	ds_bpermute_b32 v1, v27, v33
	ds_bpermute_b32 v2, v27, v34
	;; [unrolled: 1-line block ×4, first 2 shown]
	v_lshrrev_b32_e32 v5, 2, v26
	s_mov_b32 s0, exec_lo
	s_wait_storecnt 0x0
	s_wait_loadcnt_dscnt 0x0
	s_barrier_signal -1
	s_barrier_wait -1
	global_inv scope:SCOPE_SE
	v_dual_add_f32 v1, v33, v1 :: v_dual_add_f32 v2, v34, v2
	v_dual_add_f32 v3, v32, v3 :: v_dual_add_f32 v4, v30, v4
	ds_bpermute_b32 v7, v28, v1
	ds_bpermute_b32 v8, v28, v2
	;; [unrolled: 1-line block ×4, first 2 shown]
	v_and_b32_e32 v6, 28, v26
	v_and_b32_e32 v11, 0x3c3, v0
	s_wait_dscnt 0x3
	s_delay_alu instid0(VALU_DEP_2)
	v_dual_add_f32 v1, v1, v7 :: v_dual_add_nc_u32 v6, 0xa0, v6
	s_wait_dscnt 0x1
	v_dual_add_f32 v3, v3, v9 :: v_dual_add_f32 v2, v2, v8
	s_wait_dscnt 0x0
	v_add_f32_e32 v4, v4, v10
	v_cmpx_eq_u32_e32 64, v11
	s_cbranch_execz .LBB27_54
; %bb.53:
	v_lshl_add_u32 v7, v23, 7, v6
	s_delay_alu instid0(VALU_DEP_1)
	v_add_nc_u32_e32 v8, 0xffffff00, v7
	v_add_nc_u32_e32 v9, 0xffffff20, v7
	;; [unrolled: 1-line block ×4, first 2 shown]
	ds_store_b32 v8, v1
	ds_store_b32 v9, v2
	;; [unrolled: 1-line block ×4, first 2 shown]
.LBB27_54:
	s_wait_alu 0xfffe
	s_or_b32 exec_lo, exec_lo, s0
	v_and_b32_e32 v7, 0x3e0, v0
	v_lshlrev_b32_e32 v5, 2, v5
	s_mov_b32 s1, exec_lo
	v_cmp_eq_u32_e32 vcc_lo, 0, v29
	s_wait_loadcnt_dscnt 0x0
	v_lshlrev_b32_e32 v7, 2, v7
	s_barrier_signal -1
	s_barrier_wait -1
	global_inv scope:SCOPE_SE
	v_add3_u32 v5, 0xa0, v7, v5
	v_cmpx_gt_u32_e32 64, v0
	s_cbranch_execz .LBB27_61
; %bb.55:
	s_and_saveexec_b32 s0, vcc_lo
	s_cbranch_execnz .LBB27_73
; %bb.56:
	s_wait_alu 0xfffe
	s_or_b32 exec_lo, exec_lo, s0
	s_and_saveexec_b32 s0, vcc_lo
	s_cbranch_execnz .LBB27_74
.LBB27_57:
	s_wait_alu 0xfffe
	s_or_b32 exec_lo, exec_lo, s0
	s_and_saveexec_b32 s0, vcc_lo
	s_cbranch_execnz .LBB27_75
.LBB27_58:
	s_wait_alu 0xfffe
	s_or_b32 exec_lo, exec_lo, s0
	s_and_saveexec_b32 s0, vcc_lo
	s_cbranch_execz .LBB27_60
.LBB27_59:
	ds_load_b32 v7, v5 offset:96
	s_wait_dscnt 0x0
	v_add_f32_e32 v4, v4, v7
.LBB27_60:
	s_wait_alu 0xfffe
	s_or_b32 exec_lo, exec_lo, s0
.LBB27_61:
	s_wait_alu 0xfffe
	s_or_b32 exec_lo, exec_lo, s1
	v_and_b32_e32 v7, 0x3e3, v0
	s_mov_b32 s1, exec_lo
	s_wait_loadcnt 0x0
	s_barrier_signal -1
	s_barrier_wait -1
	global_inv scope:SCOPE_SE
	v_cmpx_eq_u32_e32 32, v7
	s_cbranch_execz .LBB27_63
; %bb.62:
	ds_store_2addr_b32 v6, v1, v2 offset1:8
	ds_store_2addr_b32 v6, v3, v4 offset0:16 offset1:24
.LBB27_63:
	s_wait_alu 0xfffe
	s_or_b32 exec_lo, exec_lo, s1
	s_delay_alu instid0(SALU_CYCLE_1)
	s_mov_b32 s1, exec_lo
	s_wait_loadcnt_dscnt 0x0
	s_barrier_signal -1
	s_barrier_wait -1
	global_inv scope:SCOPE_SE
	v_cmpx_gt_u32_e32 32, v0
	s_cbranch_execz .LBB27_70
; %bb.64:
	s_and_saveexec_b32 s0, vcc_lo
	s_cbranch_execnz .LBB27_76
; %bb.65:
	s_wait_alu 0xfffe
	s_or_b32 exec_lo, exec_lo, s0
	s_and_saveexec_b32 s0, vcc_lo
	s_cbranch_execnz .LBB27_77
.LBB27_66:
	s_wait_alu 0xfffe
	s_or_b32 exec_lo, exec_lo, s0
	s_and_saveexec_b32 s0, vcc_lo
	s_cbranch_execnz .LBB27_78
.LBB27_67:
	s_wait_alu 0xfffe
	s_or_b32 exec_lo, exec_lo, s0
	s_and_saveexec_b32 s0, vcc_lo
	s_cbranch_execz .LBB27_69
.LBB27_68:
	ds_load_b32 v5, v5 offset:96
	s_wait_dscnt 0x0
	v_add_f32_e32 v4, v4, v5
.LBB27_69:
	s_wait_alu 0xfffe
	s_or_b32 exec_lo, exec_lo, s0
.LBB27_70:
	s_wait_alu 0xfffe
	s_or_b32 exec_lo, exec_lo, s1
	s_mov_b32 s1, 0
	s_wait_loadcnt 0x0
	s_barrier_signal -1
	s_barrier_wait -1
	global_inv scope:SCOPE_SE
	s_mov_b32 s0, exec_lo
	v_cmpx_eq_u32_e32 0, v7
	s_cbranch_execz .LBB27_72
; %bb.71:
	s_lshl_b32 s2, s20, 5
	s_wait_kmcnt 0x0
	s_mul_i32 s4, s8, s16
	s_wait_alu 0xfffe
	s_ashr_i32 s3, s2, 31
	s_ashr_i32 s5, s4, 31
	s_wait_alu 0xfffe
	s_lshl_b64 s[2:3], s[2:3], 2
	s_lshl_b64 s[4:5], s[4:5], 2
	s_wait_alu 0xfffe
	s_add_nc_u64 s[2:3], s[14:15], s[2:3]
	s_lshl_b32 s0, s11, 2
	s_wait_alu 0xfffe
	s_add_nc_u64 s[2:3], s[2:3], s[4:5]
	s_wait_alu 0xfffe
	s_add_nc_u64 s[0:1], s[2:3], s[0:1]
	s_clause 0x3
	global_store_b32 v0, v1, s[0:1]
	global_store_b32 v0, v2, s[0:1] offset:32
	global_store_b32 v0, v3, s[0:1] offset:64
	;; [unrolled: 1-line block ×3, first 2 shown]
.LBB27_72:
	s_endpgm
.LBB27_73:
	ds_load_b32 v7, v5
	s_wait_dscnt 0x0
	v_add_f32_e32 v1, v1, v7
	s_wait_alu 0xfffe
	s_or_b32 exec_lo, exec_lo, s0
	s_and_saveexec_b32 s0, vcc_lo
	s_cbranch_execz .LBB27_57
.LBB27_74:
	ds_load_b32 v7, v5 offset:32
	s_wait_dscnt 0x0
	v_add_f32_e32 v2, v2, v7
	s_wait_alu 0xfffe
	s_or_b32 exec_lo, exec_lo, s0
	s_and_saveexec_b32 s0, vcc_lo
	s_cbranch_execz .LBB27_58
.LBB27_75:
	ds_load_b32 v7, v5 offset:64
	s_wait_dscnt 0x0
	v_add_f32_e32 v3, v3, v7
	s_wait_alu 0xfffe
	s_or_b32 exec_lo, exec_lo, s0
	s_and_saveexec_b32 s0, vcc_lo
	s_cbranch_execnz .LBB27_59
	s_branch .LBB27_60
.LBB27_76:
	ds_load_b32 v6, v5
	s_wait_dscnt 0x0
	v_add_f32_e32 v1, v1, v6
	s_wait_alu 0xfffe
	s_or_b32 exec_lo, exec_lo, s0
	s_and_saveexec_b32 s0, vcc_lo
	s_cbranch_execz .LBB27_66
.LBB27_77:
	ds_load_b32 v6, v5 offset:32
	s_wait_dscnt 0x0
	v_add_f32_e32 v2, v2, v6
	s_wait_alu 0xfffe
	s_or_b32 exec_lo, exec_lo, s0
	s_and_saveexec_b32 s0, vcc_lo
	s_cbranch_execz .LBB27_67
.LBB27_78:
	ds_load_b32 v6, v5 offset:64
	s_wait_dscnt 0x0
	v_add_f32_e32 v3, v3, v6
	s_wait_alu 0xfffe
	s_or_b32 exec_lo, exec_lo, s0
	s_and_saveexec_b32 s0, vcc_lo
	s_cbranch_execnz .LBB27_68
	s_branch .LBB27_69
	.section	.rodata,"a",@progbits
	.p2align	6, 0x0
	.amdhsa_kernel _ZN4vllm25paged_attention_v2_kernelIffLi32ELi16ELi128ELNS_18Fp8KVCacheDataTypeE0ELb1ELi512EEEvPfS2_PT_PKS3_PKT0_S9_ifPKiSB_iPKfiiiSD_SD_iiiii
		.amdhsa_group_segment_fixed_size 160
		.amdhsa_private_segment_fixed_size 0
		.amdhsa_kernarg_size 400
		.amdhsa_user_sgpr_count 2
		.amdhsa_user_sgpr_dispatch_ptr 0
		.amdhsa_user_sgpr_queue_ptr 0
		.amdhsa_user_sgpr_kernarg_segment_ptr 1
		.amdhsa_user_sgpr_dispatch_id 0
		.amdhsa_user_sgpr_private_segment_size 0
		.amdhsa_wavefront_size32 1
		.amdhsa_uses_dynamic_stack 0
		.amdhsa_enable_private_segment 0
		.amdhsa_system_sgpr_workgroup_id_x 1
		.amdhsa_system_sgpr_workgroup_id_y 1
		.amdhsa_system_sgpr_workgroup_id_z 1
		.amdhsa_system_sgpr_workgroup_info 0
		.amdhsa_system_vgpr_workitem_id 0
		.amdhsa_next_free_vgpr 48
		.amdhsa_next_free_sgpr 42
		.amdhsa_reserve_vcc 1
		.amdhsa_float_round_mode_32 0
		.amdhsa_float_round_mode_16_64 0
		.amdhsa_float_denorm_mode_32 3
		.amdhsa_float_denorm_mode_16_64 3
		.amdhsa_fp16_overflow 0
		.amdhsa_workgroup_processor_mode 1
		.amdhsa_memory_ordered 1
		.amdhsa_forward_progress 1
		.amdhsa_inst_pref_size 43
		.amdhsa_round_robin_scheduling 0
		.amdhsa_exception_fp_ieee_invalid_op 0
		.amdhsa_exception_fp_denorm_src 0
		.amdhsa_exception_fp_ieee_div_zero 0
		.amdhsa_exception_fp_ieee_overflow 0
		.amdhsa_exception_fp_ieee_underflow 0
		.amdhsa_exception_fp_ieee_inexact 0
		.amdhsa_exception_int_div_zero 0
	.end_amdhsa_kernel
	.section	.text._ZN4vllm25paged_attention_v2_kernelIffLi32ELi16ELi128ELNS_18Fp8KVCacheDataTypeE0ELb1ELi512EEEvPfS2_PT_PKS3_PKT0_S9_ifPKiSB_iPKfiiiSD_SD_iiiii,"axG",@progbits,_ZN4vllm25paged_attention_v2_kernelIffLi32ELi16ELi128ELNS_18Fp8KVCacheDataTypeE0ELb1ELi512EEEvPfS2_PT_PKS3_PKT0_S9_ifPKiSB_iPKfiiiSD_SD_iiiii,comdat
.Lfunc_end27:
	.size	_ZN4vllm25paged_attention_v2_kernelIffLi32ELi16ELi128ELNS_18Fp8KVCacheDataTypeE0ELb1ELi512EEEvPfS2_PT_PKS3_PKT0_S9_ifPKiSB_iPKfiiiSD_SD_iiiii, .Lfunc_end27-_ZN4vllm25paged_attention_v2_kernelIffLi32ELi16ELi128ELNS_18Fp8KVCacheDataTypeE0ELb1ELi512EEEvPfS2_PT_PKS3_PKT0_S9_ifPKiSB_iPKfiiiSD_SD_iiiii
                                        ; -- End function
	.set _ZN4vllm25paged_attention_v2_kernelIffLi32ELi16ELi128ELNS_18Fp8KVCacheDataTypeE0ELb1ELi512EEEvPfS2_PT_PKS3_PKT0_S9_ifPKiSB_iPKfiiiSD_SD_iiiii.num_vgpr, 48
	.set _ZN4vllm25paged_attention_v2_kernelIffLi32ELi16ELi128ELNS_18Fp8KVCacheDataTypeE0ELb1ELi512EEEvPfS2_PT_PKS3_PKT0_S9_ifPKiSB_iPKfiiiSD_SD_iiiii.num_agpr, 0
	.set _ZN4vllm25paged_attention_v2_kernelIffLi32ELi16ELi128ELNS_18Fp8KVCacheDataTypeE0ELb1ELi512EEEvPfS2_PT_PKS3_PKT0_S9_ifPKiSB_iPKfiiiSD_SD_iiiii.numbered_sgpr, 42
	.set _ZN4vllm25paged_attention_v2_kernelIffLi32ELi16ELi128ELNS_18Fp8KVCacheDataTypeE0ELb1ELi512EEEvPfS2_PT_PKS3_PKT0_S9_ifPKiSB_iPKfiiiSD_SD_iiiii.num_named_barrier, 0
	.set _ZN4vllm25paged_attention_v2_kernelIffLi32ELi16ELi128ELNS_18Fp8KVCacheDataTypeE0ELb1ELi512EEEvPfS2_PT_PKS3_PKT0_S9_ifPKiSB_iPKfiiiSD_SD_iiiii.private_seg_size, 0
	.set _ZN4vllm25paged_attention_v2_kernelIffLi32ELi16ELi128ELNS_18Fp8KVCacheDataTypeE0ELb1ELi512EEEvPfS2_PT_PKS3_PKT0_S9_ifPKiSB_iPKfiiiSD_SD_iiiii.uses_vcc, 1
	.set _ZN4vllm25paged_attention_v2_kernelIffLi32ELi16ELi128ELNS_18Fp8KVCacheDataTypeE0ELb1ELi512EEEvPfS2_PT_PKS3_PKT0_S9_ifPKiSB_iPKfiiiSD_SD_iiiii.uses_flat_scratch, 0
	.set _ZN4vllm25paged_attention_v2_kernelIffLi32ELi16ELi128ELNS_18Fp8KVCacheDataTypeE0ELb1ELi512EEEvPfS2_PT_PKS3_PKT0_S9_ifPKiSB_iPKfiiiSD_SD_iiiii.has_dyn_sized_stack, 0
	.set _ZN4vllm25paged_attention_v2_kernelIffLi32ELi16ELi128ELNS_18Fp8KVCacheDataTypeE0ELb1ELi512EEEvPfS2_PT_PKS3_PKT0_S9_ifPKiSB_iPKfiiiSD_SD_iiiii.has_recursion, 0
	.set _ZN4vllm25paged_attention_v2_kernelIffLi32ELi16ELi128ELNS_18Fp8KVCacheDataTypeE0ELb1ELi512EEEvPfS2_PT_PKS3_PKT0_S9_ifPKiSB_iPKfiiiSD_SD_iiiii.has_indirect_call, 0
	.section	.AMDGPU.csdata,"",@progbits
; Kernel info:
; codeLenInByte = 5496
; TotalNumSgprs: 44
; NumVgprs: 48
; ScratchSize: 0
; MemoryBound: 0
; FloatMode: 240
; IeeeMode: 1
; LDSByteSize: 160 bytes/workgroup (compile time only)
; SGPRBlocks: 0
; VGPRBlocks: 5
; NumSGPRsForWavesPerEU: 44
; NumVGPRsForWavesPerEU: 48
; Occupancy: 16
; WaveLimiterHint : 1
; COMPUTE_PGM_RSRC2:SCRATCH_EN: 0
; COMPUTE_PGM_RSRC2:USER_SGPR: 2
; COMPUTE_PGM_RSRC2:TRAP_HANDLER: 0
; COMPUTE_PGM_RSRC2:TGID_X_EN: 1
; COMPUTE_PGM_RSRC2:TGID_Y_EN: 1
; COMPUTE_PGM_RSRC2:TGID_Z_EN: 1
; COMPUTE_PGM_RSRC2:TIDIG_COMP_CNT: 0
	.section	.text._ZN4vllm25paged_attention_v2_kernelIffLi64ELi16ELi128ELNS_18Fp8KVCacheDataTypeE0ELb1ELi512EEEvPfS2_PT_PKS3_PKT0_S9_ifPKiSB_iPKfiiiSD_SD_iiiii,"axG",@progbits,_ZN4vllm25paged_attention_v2_kernelIffLi64ELi16ELi128ELNS_18Fp8KVCacheDataTypeE0ELb1ELi512EEEvPfS2_PT_PKS3_PKT0_S9_ifPKiSB_iPKfiiiSD_SD_iiiii,comdat
	.protected	_ZN4vllm25paged_attention_v2_kernelIffLi64ELi16ELi128ELNS_18Fp8KVCacheDataTypeE0ELb1ELi512EEEvPfS2_PT_PKS3_PKT0_S9_ifPKiSB_iPKfiiiSD_SD_iiiii ; -- Begin function _ZN4vllm25paged_attention_v2_kernelIffLi64ELi16ELi128ELNS_18Fp8KVCacheDataTypeE0ELb1ELi512EEEvPfS2_PT_PKS3_PKT0_S9_ifPKiSB_iPKfiiiSD_SD_iiiii
	.globl	_ZN4vllm25paged_attention_v2_kernelIffLi64ELi16ELi128ELNS_18Fp8KVCacheDataTypeE0ELb1ELi512EEEvPfS2_PT_PKS3_PKT0_S9_ifPKiSB_iPKfiiiSD_SD_iiiii
	.p2align	8
	.type	_ZN4vllm25paged_attention_v2_kernelIffLi64ELi16ELi128ELNS_18Fp8KVCacheDataTypeE0ELb1ELi512EEEvPfS2_PT_PKS3_PKT0_S9_ifPKiSB_iPKfiiiSD_SD_iiiii,@function
_ZN4vllm25paged_attention_v2_kernelIffLi64ELi16ELi128ELNS_18Fp8KVCacheDataTypeE0ELb1ELi512EEEvPfS2_PT_PKS3_PKT0_S9_ifPKiSB_iPKfiiiSD_SD_iiiii: ; @_ZN4vllm25paged_attention_v2_kernelIffLi64ELi16ELi128ELNS_18Fp8KVCacheDataTypeE0ELb1ELi512EEEvPfS2_PT_PKS3_PKT0_S9_ifPKiSB_iPKfiiiSD_SD_iiiii
; %bb.0:
	s_load_b64 s[2:3], s[0:1], 0x40
	s_and_b32 s33, ttmp7, 0xffff
	s_lshr_b32 s30, ttmp7, 16
	s_lshl_b32 s4, s33, 2
	s_lshl_b32 s35, s30, 9
	s_wait_kmcnt 0x0
	s_load_b32 s31, s[2:3], s4 offset:0x0
	s_wait_kmcnt 0x0
	s_cmp_ge_i32 s35, s31
	s_cbranch_scc1 .LBB28_88
; %bb.1:
	s_clause 0x1
	s_load_b32 s34, s[0:1], 0x90
	s_load_b64 s[6:7], s[0:1], 0x30
	s_wait_kmcnt 0x0
	s_abs_i32 s5, s34
	s_abs_i32 s2, s6
	s_delay_alu instid0(SALU_CYCLE_1) | instskip(SKIP_1) | instid1(SALU_CYCLE_2)
	s_cvt_f32_u32 s3, s2
	s_sub_co_i32 s4, 0, s2
	v_rcp_iflag_f32_e32 v1, s3
	s_delay_alu instid0(TRANS32_DEP_1) | instskip(SKIP_2) | instid1(SALU_CYCLE_2)
	v_readfirstlane_b32 s3, v1
	s_mul_f32 s3, s3, 0x4f7ffffe
	s_wait_alu 0xfffe
	s_cvt_u32_f32 s3, s3
	s_wait_alu 0xfffe
	s_delay_alu instid0(SALU_CYCLE_2) | instskip(NEXT) | instid1(SALU_CYCLE_1)
	s_mul_i32 s4, s4, s3
	s_mul_hi_u32 s4, s3, s4
	s_delay_alu instid0(SALU_CYCLE_1)
	s_add_co_i32 s3, s3, s4
	s_xor_b32 s4, s34, s6
	s_wait_alu 0xfffe
	s_mul_hi_u32 s3, s5, s3
	s_ashr_i32 s4, s4, 31
	s_wait_alu 0xfffe
	s_mul_i32 s8, s3, s2
	s_delay_alu instid0(SALU_CYCLE_1)
	s_sub_co_i32 s5, s5, s8
	s_add_co_i32 s8, s3, 1
	s_sub_co_i32 s9, s5, s2
	s_cmp_ge_u32 s5, s2
	s_cselect_b32 s3, s8, s3
	s_cselect_b32 s5, s9, s5
	s_wait_alu 0xfffe
	s_add_co_i32 s8, s3, 1
	s_cmp_ge_u32 s5, s2
	s_mov_b32 s5, 0
	s_cselect_b32 s2, s8, s3
	s_load_b64 s[8:9], s[0:1], 0x50
	s_xor_b32 s2, s2, s4
	s_mov_b32 s14, s5
	s_wait_alu 0xfffe
	s_sub_co_i32 s10, s2, s4
	s_abs_i32 s4, ttmp9
	s_abs_i32 s12, s10
	s_delay_alu instid0(SALU_CYCLE_1) | instskip(SKIP_2) | instid1(SALU_CYCLE_1)
	s_cvt_f32_u32 s2, s12
	s_sub_co_i32 s3, 0, s12
	s_wait_alu 0xfffe
	v_rcp_iflag_f32_e32 v1, s2
	s_delay_alu instid0(TRANS32_DEP_1) | instskip(SKIP_2) | instid1(SALU_CYCLE_2)
	v_readfirstlane_b32 s2, v1
	s_mul_f32 s2, s2, 0x4f7ffffe
	s_wait_alu 0xfffe
	s_cvt_u32_f32 s2, s2
	s_wait_alu 0xfffe
	s_delay_alu instid0(SALU_CYCLE_2)
	s_mul_i32 s3, s3, s2
	s_wait_alu 0xfffe
	s_mul_hi_u32 s3, s2, s3
	s_wait_alu 0xfffe
	s_add_co_i32 s2, s2, s3
	s_mov_b32 s3, s5
	s_wait_kmcnt 0x0
	s_cmp_eq_u64 s[8:9], 0
	s_cbranch_scc1 .LBB28_3
; %bb.2:
	s_mov_b32 s14, ttmp9
	s_ashr_i32 s15, ttmp9, 31
	s_delay_alu instid0(SALU_CYCLE_1) | instskip(NEXT) | instid1(SALU_CYCLE_1)
	s_lshl_b64 s[14:15], s[14:15], 2
	s_add_nc_u64 s[8:9], s[8:9], s[14:15]
	s_load_b32 s14, s[8:9], 0x0
.LBB28_3:
	s_load_b96 s[16:18], s[0:1], 0x58
	s_mul_u64 s[2:3], s[4:5], s[2:3]
	v_and_b32_e32 v1, 1, v0
	v_cmp_gt_u32_e64 s2, 32, v0
	v_lshlrev_b32_e32 v2, 3, v0
	v_lshlrev_b32_e32 v3, 2, v0
	s_ashr_i32 s5, ttmp9, 31
	s_ashr_i32 s13, s10, 31
	s_lshl_b32 s20, ttmp9, 6
	s_wait_alu 0xfffe
	s_and_saveexec_b32 s8, s2
	s_cbranch_execz .LBB28_5
; %bb.4:
	s_load_b64 s[10:11], s[0:1], 0x18
	s_wait_kmcnt 0x0
	s_mul_i32 s22, s16, s33
	s_ashr_i32 s21, s20, 31
	s_ashr_i32 s23, s22, 31
	v_and_b32_e32 v6, 0xff8, v3
	s_lshl_b64 s[22:23], s[22:23], 2
	s_delay_alu instid0(VALU_DEP_1) | instskip(SKIP_2) | instid1(SALU_CYCLE_1)
	v_lshl_add_u32 v6, v1, 7, v6
	s_add_nc_u64 s[10:11], s[10:11], s[22:23]
	s_lshl_b64 s[22:23], s[20:21], 2
	s_add_nc_u64 s[10:11], s[10:11], s[22:23]
	global_load_b64 v[4:5], v2, s[10:11]
	s_wait_loadcnt 0x0
	ds_store_b64 v6, v[4:5]
.LBB28_5:
	s_or_b32 exec_lo, exec_lo, s8
	s_load_b128 s[8:11], s[0:1], 0x78
	s_mul_i32 s15, s3, s12
	s_xor_b32 s5, s5, s13
	s_sub_co_i32 s4, s4, s15
	s_add_co_i32 s13, s3, 1
	s_sub_co_i32 s15, s4, s12
	s_cmp_ge_u32 s4, s12
	s_mov_b32 s24, -1
	s_cselect_b32 s3, s13, s3
	s_cselect_b32 s4, s15, s4
	s_wait_alu 0xfffe
	s_add_co_i32 s13, s3, 1
	s_cmp_ge_u32 s4, s12
                                        ; implicit-def: $sgpr21
	s_cselect_b32 s4, s13, s3
	s_load_b32 s3, s[0:1], 0x88
	s_xor_b32 s4, s4, s5
	s_add_co_i32 s19, s31, -1
	s_sub_co_i32 s15, s4, s5
	s_wait_dscnt 0x0
	s_barrier_signal -1
	s_wait_kmcnt 0x0
	s_abs_i32 s16, s11
	s_barrier_wait -1
	s_cvt_f32_u32 s12, s16
	global_inv scope:SCOPE_SE
	v_rcp_iflag_f32_e32 v4, s12
	s_delay_alu instid0(TRANS32_DEP_1) | instskip(SKIP_1) | instid1(SALU_CYCLE_3)
	v_readfirstlane_b32 s12, v4
	s_mul_f32 s4, s12, 0x4f7ffffe
	s_cvt_u32_f32 s12, s4
	s_sub_co_i32 s4, 0, s16
	s_wait_alu 0xfffe
	s_delay_alu instid0(SALU_CYCLE_1)
	s_mul_i32 s5, s4, s12
	s_abs_i32 s4, s19
	s_mul_hi_u32 s13, s12, s5
	s_mov_b32 s5, 0
	s_wait_alu 0xfffe
	s_add_co_i32 s22, s12, s13
	s_cmp_lt_i32 s3, 0
	s_mov_b32 s23, s5
	s_cbranch_scc0 .LBB28_7
; %bb.6:
	s_mul_i32 s6, s8, s6
	s_mov_b32 s24, s5
	s_add_co_i32 s6, s15, s6
	s_delay_alu instid0(SALU_CYCLE_1) | instskip(NEXT) | instid1(SALU_CYCLE_1)
	s_mul_i32 s6, s6, s3
	s_sub_co_i32 s21, 1, s6
.LBB28_7:
	s_mul_u64 s[12:13], s[4:5], s[22:23]
	s_ashr_i32 s5, s19, 31
	s_and_not1_b32 vcc_lo, exec_lo, s24
	s_ashr_i32 s11, s11, 31
	s_cbranch_vccnz .LBB28_9
; %bb.8:
	s_mul_i32 s6, s34, s8
	s_delay_alu instid0(SALU_CYCLE_1) | instskip(NEXT) | instid1(SALU_CYCLE_1)
	s_add_co_i32 s6, s6, ttmp9
	s_mul_i32 s3, s6, s3
	s_wait_alu 0xfffe
	s_add_co_i32 s21, s3, 1
.LBB28_9:
	s_clause 0x2
	s_load_b32 s3, s[0:1], 0x48
	s_load_b64 s[24:25], s[0:1], 0x38
	s_load_b32 s8, s[0:1], 0x98
	s_mul_i32 s6, s13, s16
	s_xor_b32 s5, s5, s11
	s_sub_co_i32 s4, s4, s6
	s_add_co_i32 s12, s13, 1
	v_lshrrev_b32_e32 v39, 5, v0
	v_mov_b32_e32 v6, 0xff7fffff
	v_mbcnt_lo_u32_b32 v5, -1, 0
	s_mul_i32 s18, s15, s18
	s_delay_alu instid0(VALU_DEP_3)
	v_lshl_add_u32 v40, v39, 4, s35
	s_wait_kmcnt 0x0
	s_mul_i32 s26, s3, s33
	s_sub_co_i32 s3, s4, s16
	s_ashr_i32 s27, s26, 31
	s_cmp_ge_u32 s4, s16
	s_wait_alu 0xfffe
	s_cselect_b32 s6, s12, s13
	s_cselect_b32 s3, s3, s4
	s_add_co_i32 s4, s6, 1
	s_wait_alu 0xfffe
	s_cmp_ge_u32 s3, s16
	s_cselect_b32 s3, s4, s6
	s_add_co_i32 s4, s31, 15
	s_lshl_b32 s38, s30, 5
	s_ashr_i32 s6, s4, 31
	v_or_b32_e32 v41, s38, v39
	s_lshr_b32 s6, s6, 28
	s_delay_alu instid0(SALU_CYCLE_1)
	s_add_co_i32 s4, s4, s6
	s_add_co_i32 s6, s38, 32
	s_ashr_i32 s36, s4, 4
	s_wait_alu 0xfffe
	s_xor_b32 s4, s3, s5
	s_min_i32 s23, s6, s36
	v_lshlrev_b32_e32 v4, 2, v41
	v_cmp_gt_i32_e64 s3, s23, v41
	s_sub_co_i32 s37, s4, s5
	s_and_saveexec_b32 s12, s3
	s_cbranch_execz .LBB28_21
; %bb.10:
	s_ashr_i32 s19, s18, 31
	s_sub_co_i32 s13, s37, s9
	s_lshl_b64 s[28:29], s[18:19], 2
	s_cmp_neq_f32 s14, 0
	s_load_b64 s[40:41], s[0:1], 0x20
	v_bfe_u32 v7, v0, 1, 4
	v_lshlrev_b32_e32 v8, 7, v1
	s_cselect_b32 vcc_lo, -1, 0
	s_abs_i32 s15, s10
	v_and_b32_e32 v2, 8, v2
	s_cvt_f32_u32 s4, s15
	v_lshlrev_b32_e32 v9, 4, v7
	s_lshl_b64 s[42:43], s[26:27], 2
	v_mov_b32_e32 v14, 0xff7fffff
	v_rcp_iflag_f32_e32 v6, s4
	v_cmp_eq_u32_e64 s4, 0, v1
	v_lshlrev_b32_e32 v1, 2, v7
	v_subrev_nc_u32_e32 v12, s31, v7
	s_add_nc_u64 s[42:43], s[24:25], s[42:43]
	s_sub_co_i32 s6, 0, s15
	v_lshl_add_u32 v11, v39, 4, s35
	v_xor_b32_e32 v15, 1, v5
	v_add_nc_u32_e32 v12, 1, v12
	s_mov_b32 s19, 0
	v_readfirstlane_b32 s5, v6
	v_lshl_or_b32 v6, v39, 6, v1
	s_wait_kmcnt 0x0
	s_add_nc_u64 s[28:29], s[40:41], s[28:29]
	v_mov_b32_e32 v16, v41
	s_mul_f32 s5, s5, 0x4f7ffffe
	v_add_nc_u32_e32 v13, 0x120, v6
	v_mov_b32_e32 v6, 0xff7fffff
	v_add_co_u32 v1, s28, s28, v9
	s_wait_alu 0xf1ff
	v_add_co_ci_u32_e64 v10, null, s29, 0, s28
	s_wait_alu 0xfffe
	s_cvt_u32_f32 s29, s5
	v_add_co_u32 v9, s5, v1, v2
	s_wait_alu 0xf1ff
	v_add_co_ci_u32_e64 v10, null, 0, v10, s5
	v_add_co_u32 v1, s5, s42, v4
	s_wait_alu 0xfffe
	s_mul_i32 s6, s6, s29
	v_add_co_ci_u32_e64 v2, null, s43, 0, s5
	s_mul_hi_u32 s5, s29, s6
	s_mov_b32 s28, s17
	s_wait_alu 0xfffe
	s_add_co_i32 s29, s29, s5
	s_branch .LBB28_13
.LBB28_11:                              ;   in Loop: Header=BB28_13 Depth=1
	s_wait_alu 0xfffe
	s_or_b32 exec_lo, exec_lo, s39
.LBB28_12:                              ;   in Loop: Header=BB28_13 Depth=1
	s_wait_alu 0xfffe
	s_or_b32 exec_lo, exec_lo, s6
	v_add_nc_u32_e32 v16, 4, v16
	v_add_co_u32 v1, s6, v1, 16
	s_wait_alu 0xf1ff
	v_add_co_ci_u32_e64 v2, null, 0, v2, s6
	s_delay_alu instid0(VALU_DEP_3) | instskip(SKIP_3) | instid1(SALU_CYCLE_1)
	v_cmp_le_i32_e64 s5, s23, v16
	v_add_nc_u32_e32 v11, 64, v11
	v_add_nc_u32_e32 v13, 0x100, v13
	s_or_b32 s19, s5, s19
	s_and_not1_b32 exec_lo, exec_lo, s19
	s_cbranch_execz .LBB28_20
.LBB28_13:                              ; =>This Inner Loop Header: Depth=1
	v_sub_nc_u32_e32 v17, 0, v11
	s_delay_alu instid0(VALU_DEP_1) | instskip(SKIP_1) | instid1(VALU_DEP_1)
	v_max_i32_e32 v17, v11, v17
	s_wait_dscnt 0x0
	v_mul_hi_u32 v18, v17, s22
	s_delay_alu instid0(VALU_DEP_1) | instskip(NEXT) | instid1(VALU_DEP_1)
	v_mul_lo_u32 v19, v18, s16
	v_sub_nc_u32_e32 v17, v17, v19
	v_add_nc_u32_e32 v19, 1, v18
	s_delay_alu instid0(VALU_DEP_2) | instskip(SKIP_2) | instid1(VALU_DEP_1)
	v_subrev_nc_u32_e32 v20, s16, v17
	v_cmp_le_u32_e64 s5, s16, v17
	s_wait_alu 0xf1ff
	v_cndmask_b32_e64 v18, v18, v19, s5
	s_delay_alu instid0(VALU_DEP_3) | instskip(SKIP_1) | instid1(VALU_DEP_3)
	v_cndmask_b32_e64 v17, v17, v20, s5
	v_ashrrev_i32_e32 v19, 31, v11
	v_add_nc_u32_e32 v20, 1, v18
	s_delay_alu instid0(VALU_DEP_3) | instskip(NEXT) | instid1(VALU_DEP_3)
	v_cmp_le_u32_e64 s5, s16, v17
	v_xor_b32_e32 v19, s11, v19
	s_wait_alu 0xf1ff
	s_delay_alu instid0(VALU_DEP_2) | instskip(NEXT) | instid1(VALU_DEP_1)
	v_cndmask_b32_e64 v17, v18, v20, s5
	v_xor_b32_e32 v17, v17, v19
	s_delay_alu instid0(VALU_DEP_1) | instskip(NEXT) | instid1(VALU_DEP_1)
	v_sub_nc_u32_e32 v17, v17, v19
	v_add_nc_u32_e32 v18, s21, v17
	v_cmp_ge_i32_e64 s6, s13, v17
	s_delay_alu instid0(VALU_DEP_2) | instskip(NEXT) | instid1(VALU_DEP_1)
	v_sub_nc_u32_e32 v19, 0, v18
	v_max_i32_e32 v19, v18, v19
	v_ashrrev_i32_e32 v18, 31, v18
	s_wait_alu 0xfffe
	s_delay_alu instid0(VALU_DEP_2) | instskip(NEXT) | instid1(VALU_DEP_1)
	v_mul_hi_u32 v20, v19, s29
	v_mul_lo_u32 v20, v20, s15
	s_delay_alu instid0(VALU_DEP_1) | instskip(NEXT) | instid1(VALU_DEP_1)
	v_sub_nc_u32_e32 v19, v19, v20
	v_subrev_nc_u32_e32 v20, s15, v19
	v_cmp_le_u32_e64 s5, s15, v19
	s_wait_alu 0xf1ff
	s_delay_alu instid0(VALU_DEP_1) | instskip(NEXT) | instid1(VALU_DEP_1)
	v_cndmask_b32_e64 v19, v19, v20, s5
	v_subrev_nc_u32_e32 v20, s15, v19
	v_cmp_le_u32_e64 s5, s15, v19
	s_wait_alu 0xf1ff
	s_delay_alu instid0(VALU_DEP_1) | instskip(NEXT) | instid1(VALU_DEP_1)
	v_cndmask_b32_e64 v19, v19, v20, s5
	v_xor_b32_e32 v19, v19, v18
	s_delay_alu instid0(VALU_DEP_1) | instskip(NEXT) | instid1(VALU_DEP_1)
	v_sub_nc_u32_e32 v18, v19, v18
	v_cmp_ne_u32_e64 s5, 0, v18
	s_and_b32 s5, s5, s6
	s_wait_alu 0xfffe
	s_and_saveexec_b32 s6, s5
	s_wait_alu 0xfffe
	s_xor_b32 s5, exec_lo, s6
	s_cbranch_execz .LBB28_17
; %bb.14:                               ;   in Loop: Header=BB28_13 Depth=1
	s_and_saveexec_b32 s6, s4
; %bb.15:                               ;   in Loop: Header=BB28_13 Depth=1
	ds_store_b32 v13, v14
; %bb.16:                               ;   in Loop: Header=BB28_13 Depth=1
	s_wait_alu 0xfffe
	s_or_b32 exec_lo, exec_lo, s6
.LBB28_17:                              ;   in Loop: Header=BB28_13 Depth=1
	s_wait_alu 0xfffe
	s_and_not1_saveexec_b32 s6, s5
	s_cbranch_execz .LBB28_12
; %bb.18:                               ;   in Loop: Header=BB28_13 Depth=1
	global_load_b32 v17, v[1:2], off
	s_wait_loadcnt 0x0
	v_mad_co_i64_i32 v[17:18], null, v17, s28, 0
	s_delay_alu instid0(VALU_DEP_1) | instskip(NEXT) | instid1(VALU_DEP_1)
	v_lshlrev_b64_e32 v[17:18], 2, v[17:18]
	v_add_co_u32 v17, s5, v9, v17
	s_wait_alu 0xf1ff
	s_delay_alu instid0(VALU_DEP_2)
	v_add_co_ci_u32_e64 v18, null, v10, v18, s5
	v_cmp_gt_i32_e64 s5, 32, v15
	s_clause 0xf
	global_load_b64 v[29:30], v[17:18], off offset:256
	global_load_b64 v[31:32], v[17:18], off
	global_load_b64 v[33:34], v[17:18], off offset:512
	global_load_b64 v[35:36], v[17:18], off offset:768
	;; [unrolled: 1-line block ×14, first 2 shown]
	ds_load_b128 v[17:20], v8
	ds_load_b128 v[21:24], v8 offset:16
	ds_load_b128 v[25:28], v8 offset:32
	s_wait_loadcnt_dscnt 0xf02
	v_dual_mul_f32 v29, v19, v29 :: v_dual_mul_f32 v30, v20, v30
	s_wait_loadcnt 0xe
	s_delay_alu instid0(VALU_DEP_1) | instskip(SKIP_4) | instid1(VALU_DEP_1)
	v_dual_fmac_f32 v29, v17, v31 :: v_dual_fmac_f32 v30, v18, v32
	ds_load_b128 v[17:20], v8 offset:48
	s_wait_loadcnt_dscnt 0xd02
	v_dual_fmac_f32 v29, v21, v33 :: v_dual_fmac_f32 v30, v22, v34
	s_wait_loadcnt 0xc
	v_dual_fmac_f32 v29, v23, v35 :: v_dual_fmac_f32 v30, v24, v36
	ds_load_b128 v[21:24], v8 offset:64
	s_wait_loadcnt_dscnt 0xb02
	v_dual_fmac_f32 v29, v25, v37 :: v_dual_fmac_f32 v30, v26, v38
	s_wait_loadcnt 0xa
	s_delay_alu instid0(VALU_DEP_1) | instskip(SKIP_4) | instid1(VALU_DEP_1)
	v_dual_fmac_f32 v29, v27, v42 :: v_dual_fmac_f32 v30, v28, v43
	ds_load_b128 v[25:28], v8 offset:80
	s_wait_loadcnt_dscnt 0x902
	v_dual_fmac_f32 v29, v17, v44 :: v_dual_fmac_f32 v30, v18, v45
	s_wait_loadcnt 0x8
	v_dual_fmac_f32 v29, v19, v46 :: v_dual_fmac_f32 v30, v20, v47
	ds_load_b128 v[17:20], v8 offset:96
	s_wait_loadcnt_dscnt 0x702
	v_dual_fmac_f32 v29, v21, v48 :: v_dual_fmac_f32 v30, v22, v49
	s_wait_loadcnt 0x6
	s_delay_alu instid0(VALU_DEP_1) | instskip(SKIP_4) | instid1(VALU_DEP_1)
	v_dual_fmac_f32 v29, v23, v50 :: v_dual_fmac_f32 v30, v24, v51
	ds_load_b128 v[21:24], v8 offset:112
	s_wait_loadcnt_dscnt 0x502
	v_dual_fmac_f32 v29, v25, v52 :: v_dual_fmac_f32 v30, v26, v53
	s_wait_loadcnt 0x4
	v_dual_fmac_f32 v29, v27, v54 :: v_dual_fmac_f32 v30, v28, v55
	s_wait_loadcnt_dscnt 0x301
	s_delay_alu instid0(VALU_DEP_1) | instskip(SKIP_3) | instid1(VALU_DEP_2)
	v_dual_fmac_f32 v29, v17, v56 :: v_dual_fmac_f32 v30, v18, v57
	s_wait_alu 0xf1ff
	v_cndmask_b32_e64 v17, v5, v15, s5
	s_wait_loadcnt 0x2
	v_dual_fmac_f32 v29, v19, v58 :: v_dual_fmac_f32 v30, v20, v59
	s_wait_loadcnt_dscnt 0x100
	s_delay_alu instid0(VALU_DEP_1) | instskip(SKIP_1) | instid1(VALU_DEP_1)
	v_dual_fmac_f32 v29, v21, v60 :: v_dual_fmac_f32 v30, v22, v61
	s_wait_loadcnt 0x0
	v_dual_fmac_f32 v29, v23, v62 :: v_dual_fmac_f32 v30, v24, v63
	s_delay_alu instid0(VALU_DEP_1)
	v_dual_add_f32 v17, v29, v30 :: v_dual_lshlrev_b32 v18, 2, v17
	ds_bpermute_b32 v18, v18, v17
	s_and_saveexec_b32 s39, s4
	s_cbranch_execz .LBB28_11
; %bb.19:                               ;   in Loop: Header=BB28_13 Depth=1
	s_wait_dscnt 0x0
	v_add_f32_e32 v17, v17, v18
	v_add_nc_u32_e32 v19, v12, v11
	s_delay_alu instid0(VALU_DEP_1) | instskip(NEXT) | instid1(VALU_DEP_1)
	v_cvt_f32_i32_e32 v19, v19
	v_mul_f32_e32 v19, s14, v19
	s_delay_alu instid0(VALU_DEP_1) | instskip(NEXT) | instid1(VALU_DEP_1)
	v_dual_cndmask_b32 v18, 0, v19 :: v_dual_max_num_f32 v19, v6, v6
	v_dual_fmac_f32 v18, s7, v17 :: v_dual_add_nc_u32 v17, v7, v11
	s_delay_alu instid0(VALU_DEP_1) | instskip(NEXT) | instid1(VALU_DEP_2)
	v_max_num_f32_e32 v19, v19, v18
	v_cmp_gt_i32_e64 s5, s31, v17
	s_wait_alu 0xf1ff
	s_delay_alu instid0(VALU_DEP_1) | instskip(NEXT) | instid1(VALU_DEP_3)
	v_cndmask_b32_e64 v17, 0, v18, s5
	v_cndmask_b32_e64 v6, v6, v19, s5
	ds_store_b32 v13, v17
	s_branch .LBB28_11
.LBB28_20:
	s_or_b32 exec_lo, exec_lo, s19
.LBB28_21:
	s_wait_alu 0xfffe
	s_or_b32 exec_lo, exec_lo, s12
	v_xor_b32_e32 v1, 16, v5
	v_xor_b32_e32 v7, 8, v5
	s_clause 0x2
	s_load_b128 s[12:15], s[0:1], 0x0
	s_load_b64 s[6:7], s[0:1], 0x10
	s_load_b64 s[28:29], s[0:1], 0x28
	v_max_num_f32_e32 v8, v6, v6
	v_and_b32_e32 v42, 31, v0
	v_cmp_gt_i32_e32 vcc_lo, 32, v1
	s_wait_alu 0xfffd
	v_cndmask_b32_e32 v1, v5, v1, vcc_lo
	v_cmp_gt_i32_e32 vcc_lo, 32, v7
	s_delay_alu instid0(VALU_DEP_2) | instskip(SKIP_4) | instid1(VALU_DEP_1)
	v_lshlrev_b32_e32 v2, 2, v1
	ds_bpermute_b32 v1, v2, v6
	s_wait_dscnt 0x0
	v_max_num_f32_e32 v1, v1, v1
	s_wait_alu 0xfffd
	v_dual_cndmask_b32 v6, v5, v7 :: v_dual_max_num_f32 v1, v8, v1
	s_delay_alu instid0(VALU_DEP_1)
	v_lshlrev_b32_e32 v6, 2, v6
	v_xor_b32_e32 v8, 4, v5
	ds_bpermute_b32 v7, v6, v1
	v_cmp_gt_i32_e32 vcc_lo, 32, v8
	s_wait_dscnt 0x0
	s_wait_alu 0xfffd
	v_dual_cndmask_b32 v8, v5, v8 :: v_dual_max_num_f32 v9, v7, v7
	s_delay_alu instid0(VALU_DEP_1) | instskip(SKIP_1) | instid1(VALU_DEP_1)
	v_max_num_f32_e32 v1, v1, v9
	v_xor_b32_e32 v9, 2, v5
	v_cmp_gt_i32_e32 vcc_lo, 32, v9
	s_wait_alu 0xfffd
	v_cndmask_b32_e32 v9, v5, v9, vcc_lo
	v_cmp_eq_u32_e32 vcc_lo, 0, v42
	s_delay_alu instid0(VALU_DEP_2) | instskip(SKIP_4) | instid1(VALU_DEP_1)
	v_lshlrev_b32_e32 v43, 2, v9
	v_lshlrev_b32_e32 v7, 2, v8
	ds_bpermute_b32 v8, v7, v1
	s_wait_dscnt 0x0
	v_max_num_f32_e32 v8, v8, v8
	v_dual_max_num_f32 v1, v1, v8 :: v_dual_lshlrev_b32 v8, 2, v39
	ds_bpermute_b32 v9, v43, v1
	s_and_saveexec_b32 s0, vcc_lo
	s_cbranch_execz .LBB28_23
; %bb.22:
	s_wait_dscnt 0x0
	v_max_num_f32_e32 v9, v9, v9
	v_max_num_f32_e32 v1, v1, v1
	s_delay_alu instid0(VALU_DEP_1)
	v_max_num_f32_e32 v1, v1, v9
	ds_store_b32 v8, v1 offset:256
.LBB28_23:
	s_or_b32 exec_lo, exec_lo, s0
	v_cmp_gt_u32_e64 s0, 4, v42
	v_mov_b32_e32 v1, 0xff7fffff
	s_wait_dscnt 0x0
	v_lshlrev_b32_e32 v9, 2, v42
	s_wait_loadcnt 0x0
	s_barrier_signal -1
	s_barrier_wait -1
	global_inv scope:SCOPE_SE
	s_and_saveexec_b32 s1, s0
; %bb.24:
	ds_load_b32 v1, v9 offset:256
; %bb.25:
	s_or_b32 exec_lo, exec_lo, s1
	s_wait_dscnt 0x0
	ds_bpermute_b32 v10, v43, v1
	v_xor_b32_e32 v11, 1, v5
	v_max_num_f32_e32 v1, v1, v1
	s_delay_alu instid0(VALU_DEP_2) | instskip(NEXT) | instid1(VALU_DEP_1)
	v_cmp_gt_i32_e64 s1, 32, v11
	v_cndmask_b32_e64 v5, v5, v11, s1
	s_sub_co_i32 s1, s23, s38
	s_wait_alu 0xfffe
	s_lshl_b32 s1, s1, 4
	s_wait_alu 0xfffe
	s_add_co_i32 s1, s1, s35
	s_wait_alu 0xfffe
	s_min_i32 s1, s1, s31
	s_wait_alu 0xfffe
	s_sub_co_i32 s5, s1, s35
	s_wait_dscnt 0x0
	v_max_num_f32_e32 v10, v10, v10
	v_lshlrev_b32_e32 v44, 2, v5
	s_wait_alu 0xfffe
	v_cmp_gt_i32_e64 s1, s5, v0
	s_delay_alu instid0(VALU_DEP_3) | instskip(SKIP_3) | instid1(VALU_DEP_1)
	v_dual_max_num_f32 v1, v1, v10 :: v_dual_mov_b32 v10, 0
	ds_bpermute_b32 v5, v44, v1
	s_wait_dscnt 0x0
	v_max_num_f32_e32 v5, v5, v5
	v_max_num_f32_e32 v1, v1, v5
	v_lshl_add_u32 v5, v0, 2, 0x120
	ds_bpermute_b32 v1, v10, v1
	s_and_saveexec_b32 s19, s1
	s_cbranch_execz .LBB28_29
; %bb.26:
	v_lshl_add_u32 v11, v0, 2, 0x120
	v_mov_b32_e32 v10, 0
	v_mov_b32_e32 v12, v0
	s_mov_b32 s35, 0
.LBB28_27:                              ; =>This Inner Loop Header: Depth=1
	ds_load_b32 v13, v11
	v_add_nc_u32_e32 v12, 0x80, v12
	s_delay_alu instid0(VALU_DEP_1) | instskip(SKIP_4) | instid1(VALU_DEP_1)
	v_cmp_le_i32_e64 s4, s5, v12
	s_wait_alu 0xfffe
	s_or_b32 s35, s4, s35
	s_wait_dscnt 0x0
	v_sub_f32_e32 v13, v13, v1
	v_mul_f32_e32 v13, 0x3fb8aa3b, v13
	s_delay_alu instid0(VALU_DEP_1)
	v_exp_f32_e32 v13, v13
	ds_store_b32 v11, v13
	v_dual_add_f32 v10, v10, v13 :: v_dual_add_nc_u32 v11, 0x200, v11
	s_wait_alu 0xfffe
	s_and_not1_b32 exec_lo, exec_lo, s35
	s_cbranch_execnz .LBB28_27
; %bb.28:
	s_or_b32 exec_lo, exec_lo, s35
.LBB28_29:
	s_delay_alu instid0(SALU_CYCLE_1)
	s_or_b32 exec_lo, exec_lo, s19
	ds_bpermute_b32 v2, v2, v10
	s_wait_dscnt 0x0
	v_add_f32_e32 v2, v10, v2
	ds_bpermute_b32 v6, v6, v2
	s_wait_dscnt 0x0
	v_add_f32_e32 v2, v2, v6
	;; [unrolled: 3-line block ×5, first 2 shown]
	s_and_saveexec_b32 s4, vcc_lo
; %bb.30:
	ds_store_b32 v8, v2 offset:272
; %bb.31:
	s_wait_alu 0xfffe
	s_or_b32 exec_lo, exec_lo, s4
	s_wait_loadcnt_dscnt 0x0
	s_barrier_signal -1
	s_barrier_wait -1
	global_inv scope:SCOPE_SE
	s_and_saveexec_b32 s4, s0
; %bb.32:
	ds_load_b32 v2, v9 offset:272
; %bb.33:
	s_wait_alu 0xfffe
	s_or_b32 exec_lo, exec_lo, s4
	s_wait_dscnt 0x0
	ds_bpermute_b32 v6, v43, v2
	s_wait_dscnt 0x0
	v_add_f32_e32 v2, v2, v6
	ds_bpermute_b32 v6, v44, v2
	s_wait_dscnt 0x0
	v_add_f32_e32 v2, v2, v6
	v_mov_b32_e32 v6, 0
	ds_bpermute_b32 v2, v6, v2
	s_and_saveexec_b32 s0, s1
	s_cbranch_execz .LBB28_36
; %bb.34:
	s_wait_dscnt 0x0
	v_add_f32_e32 v6, 0x358637bd, v2
	s_mov_b32 s1, 0
	s_delay_alu instid0(VALU_DEP_1) | instskip(SKIP_1) | instid1(VALU_DEP_2)
	v_div_scale_f32 v7, null, v6, v6, 1.0
	v_div_scale_f32 v10, vcc_lo, 1.0, v6, 1.0
	v_rcp_f32_e32 v8, v7
	s_delay_alu instid0(TRANS32_DEP_1) | instskip(NEXT) | instid1(VALU_DEP_1)
	v_fma_f32 v9, -v7, v8, 1.0
	v_fmac_f32_e32 v8, v9, v8
	s_delay_alu instid0(VALU_DEP_1) | instskip(NEXT) | instid1(VALU_DEP_1)
	v_mul_f32_e32 v9, v10, v8
	v_fma_f32 v11, -v7, v9, v10
	s_delay_alu instid0(VALU_DEP_1) | instskip(NEXT) | instid1(VALU_DEP_1)
	v_fmac_f32_e32 v9, v11, v8
	v_fma_f32 v7, -v7, v9, v10
	s_wait_alu 0xfffd
	s_delay_alu instid0(VALU_DEP_1) | instskip(NEXT) | instid1(VALU_DEP_1)
	v_div_fmas_f32 v7, v7, v8, v9
	v_div_fixup_f32 v6, v7, v6, 1.0
	v_mov_b32_e32 v7, v0
.LBB28_35:                              ; =>This Inner Loop Header: Depth=1
	ds_load_b32 v8, v5
	s_wait_dscnt 0x0
	v_dual_mul_f32 v8, v6, v8 :: v_dual_add_nc_u32 v7, 0x80, v7
	s_delay_alu instid0(VALU_DEP_1)
	v_cmp_le_i32_e32 vcc_lo, s5, v7
	ds_store_b32 v5, v8
	v_add_nc_u32_e32 v5, 0x200, v5
	s_wait_alu 0xfffe
	s_or_b32 s1, vcc_lo, s1
	s_wait_alu 0xfffe
	s_and_not1_b32 exec_lo, exec_lo, s1
	s_cbranch_execnz .LBB28_35
.LBB28_36:
	s_wait_alu 0xfffe
	s_or_b32 exec_lo, exec_lo, s0
	s_mul_i32 s0, s8, s33
	s_wait_loadcnt_dscnt 0x0
	s_wait_alu 0xfffe
	s_mul_i32 s4, s0, s34
	s_mov_b32 s0, exec_lo
	s_barrier_signal -1
	s_barrier_wait -1
	global_inv scope:SCOPE_SE
	v_cmpx_eq_u32_e32 0, v0
	s_cbranch_execz .LBB28_38
; %bb.37:
	s_wait_alu 0xfffe
	s_ashr_i32 s5, s4, 31
	s_mul_i32 s34, s8, ttmp9
	s_lshl_b32 s1, s30, 2
	s_wait_alu 0xfffe
	s_lshl_b64 s[38:39], s[4:5], 2
	s_ashr_i32 s35, s34, 31
	v_mov_b32_e32 v5, s1
	s_wait_kmcnt 0x0
	s_wait_alu 0xfffe
	s_add_nc_u64 s[14:15], s[14:15], s[38:39]
	s_lshl_b64 s[34:35], s[34:35], 2
	s_add_nc_u64 s[12:13], s[12:13], s[38:39]
	s_wait_alu 0xfffe
	s_add_nc_u64 s[14:15], s[14:15], s[34:35]
	s_add_nc_u64 s[12:13], s[12:13], s[34:35]
	s_clause 0x1
	global_store_b32 v5, v1, s[14:15]
	global_store_b32 v5, v2, s[12:13]
.LBB28_38:
	s_wait_alu 0xfffe
	s_or_b32 exec_lo, exec_lo, s0
	v_dual_mov_b32 v52, 0 :: v_dual_and_b32 v45, 3, v0
	v_dual_mov_b32 v53, 0 :: v_dual_mov_b32 v50, 0
	v_dual_mov_b32 v51, 0 :: v_dual_mov_b32 v48, 0
	;; [unrolled: 1-line block ×3, first 2 shown]
	v_mov_b32_e32 v47, 0
	s_and_saveexec_b32 s1, s3
	s_cbranch_execz .LBB28_60
; %bb.39:
	s_abs_i32 s3, s10
	v_dual_mov_b32 v49, 0 :: v_dual_lshlrev_b32 v2, 4, v0
	s_wait_alu 0xfffe
	s_cvt_f32_u32 s0, s3
	v_dual_mov_b32 v47, 0 :: v_dual_and_b32 v54, 12, v3
	v_dual_mov_b32 v46, 0 :: v_dual_lshlrev_b32 v3, 4, v45
	s_wait_alu 0xfffe
	v_rcp_iflag_f32_e32 v1, s0
	s_ashr_i32 s19, s18, 31
	s_wait_kmcnt 0x0
	s_lshl_b64 s[12:13], s[26:27], 2
	s_lshl_b64 s[14:15], s[18:19], 2
	s_wait_alu 0xfffe
	s_add_nc_u64 s[12:13], s[24:25], s[12:13]
	s_add_nc_u64 s[14:15], s[28:29], s[14:15]
	s_wait_alu 0xfffe
	v_add_co_u32 v37, s12, s12, v4
	s_sub_co_i32 s10, 0, s3
	v_add_co_ci_u32_e64 v38, null, s13, 0, s12
	v_readfirstlane_b32 s0, v1
	v_dual_mov_b32 v48, 0 :: v_dual_and_b32 v1, 0x1f0, v2
	v_lshl_or_b32 v2, v39, 6, v3
	v_mov_b32_e32 v50, 0
	s_mul_f32 s0, s0, 0x4f7ffffe
	s_delay_alu instid0(VALU_DEP_3)
	v_add_co_u32 v55, s12, s14, v1
	s_wait_alu 0xf1ff
	v_add_co_ci_u32_e64 v56, null, s15, 0, s12
	s_wait_alu 0xfffe
	s_cvt_u32_f32 s0, s0
	v_add_nc_u32_e32 v57, 0x120, v2
	v_dual_mov_b32 v51, 0 :: v_dual_mov_b32 v52, 0
	s_wait_alu 0xfffe
	s_mul_i32 s10, s10, s0
	v_mov_b32_e32 v53, 0
	s_wait_alu 0xfffe
	s_mul_hi_u32 s12, s0, s10
	s_sub_co_i32 s5, s37, s9
	s_mov_b32 s9, s17
	s_add_co_i32 s36, s36, -1
	s_mov_b32 s10, 0
	s_wait_alu 0xfffe
	s_add_co_i32 s12, s0, s12
	s_branch .LBB28_42
.LBB28_40:                              ;   in Loop: Header=BB28_42 Depth=1
	s_wait_alu 0xfffe
	s_or_b32 exec_lo, exec_lo, s0
	s_wait_loadcnt_dscnt 0x700
	v_mul_f32_e32 v5, v1, v5
	s_wait_loadcnt 0x1
	v_mul_f32_e32 v29, v1, v29
	v_mul_f32_e32 v25, v1, v25
	;; [unrolled: 1-line block ×6, first 2 shown]
	s_wait_loadcnt 0x0
	v_mul_f32_e32 v1, v1, v33
	v_fmac_f32_e32 v5, v2, v6
	v_fmac_f32_e32 v17, v2, v18
	;; [unrolled: 1-line block ×15, first 2 shown]
	s_delay_alu instid0(VALU_DEP_4) | instskip(SKIP_1) | instid1(VALU_DEP_3)
	v_dual_add_f32 v52, v52, v5 :: v_dual_fmac_f32 v25, v3, v27
	v_fmac_f32_e32 v17, v4, v20
	v_dual_fmac_f32 v21, v4, v24 :: v_dual_add_f32 v46, v46, v1
	v_fmac_f32_e32 v13, v4, v16
	s_delay_alu instid0(VALU_DEP_4) | instskip(SKIP_3) | instid1(VALU_DEP_3)
	v_fmac_f32_e32 v25, v4, v28
	v_fmac_f32_e32 v29, v2, v30
	v_dual_fmac_f32 v9, v4, v12 :: v_dual_add_f32 v50, v50, v17
	v_add_f32_e32 v49, v49, v21
	v_dual_add_f32 v48, v48, v25 :: v_dual_fmac_f32 v29, v3, v31
	v_add_f32_e32 v51, v51, v13
	s_delay_alu instid0(VALU_DEP_4) | instskip(NEXT) | instid1(VALU_DEP_3)
	v_add_f32_e32 v53, v53, v9
	v_fmac_f32_e32 v29, v4, v32
	s_delay_alu instid0(VALU_DEP_1)
	v_add_f32_e32 v47, v47, v29
.LBB28_41:                              ;   in Loop: Header=BB28_42 Depth=1
	s_wait_alu 0xfffe
	s_or_b32 exec_lo, exec_lo, s13
	v_add_nc_u32_e32 v41, 4, v41
	v_add_co_u32 v37, s0, v37, 16
	s_wait_alu 0xf1ff
	v_add_co_ci_u32_e64 v38, null, 0, v38, s0
	s_delay_alu instid0(VALU_DEP_3)
	v_cmp_le_i32_e32 vcc_lo, s23, v41
	v_add_nc_u32_e32 v40, 64, v40
	v_add_nc_u32_e32 v57, 0x100, v57
	s_or_b32 s10, vcc_lo, s10
	s_wait_alu 0xfffe
	s_and_not1_b32 exec_lo, exec_lo, s10
	s_cbranch_execz .LBB28_59
.LBB28_42:                              ; =>This Inner Loop Header: Depth=1
	v_sub_nc_u32_e32 v1, 0, v40
	s_delay_alu instid0(VALU_DEP_1) | instskip(NEXT) | instid1(VALU_DEP_1)
	v_max_i32_e32 v1, v40, v1
	v_mul_hi_u32 v2, v1, s22
	s_delay_alu instid0(VALU_DEP_1) | instskip(NEXT) | instid1(VALU_DEP_1)
	v_mul_lo_u32 v3, v2, s16
	v_sub_nc_u32_e32 v1, v1, v3
	v_add_nc_u32_e32 v3, 1, v2
	s_delay_alu instid0(VALU_DEP_2) | instskip(SKIP_2) | instid1(VALU_DEP_2)
	v_subrev_nc_u32_e32 v4, s16, v1
	v_cmp_le_u32_e32 vcc_lo, s16, v1
	s_wait_alu 0xfffd
	v_dual_cndmask_b32 v2, v2, v3 :: v_dual_cndmask_b32 v1, v1, v4
	v_ashrrev_i32_e32 v3, 31, v40
	s_delay_alu instid0(VALU_DEP_2) | instskip(NEXT) | instid1(VALU_DEP_3)
	v_add_nc_u32_e32 v4, 1, v2
	v_cmp_le_u32_e32 vcc_lo, s16, v1
	s_delay_alu instid0(VALU_DEP_3) | instskip(SKIP_1) | instid1(VALU_DEP_3)
	v_xor_b32_e32 v3, s11, v3
	s_wait_alu 0xfffd
	v_cndmask_b32_e32 v1, v2, v4, vcc_lo
	s_delay_alu instid0(VALU_DEP_1) | instskip(NEXT) | instid1(VALU_DEP_1)
	v_xor_b32_e32 v1, v1, v3
	v_sub_nc_u32_e32 v1, v1, v3
	s_delay_alu instid0(VALU_DEP_1) | instskip(SKIP_1) | instid1(VALU_DEP_2)
	v_add_nc_u32_e32 v2, s21, v1
	v_cmp_lt_i32_e64 s0, s5, v1
	v_sub_nc_u32_e32 v3, 0, v2
	s_delay_alu instid0(VALU_DEP_1) | instskip(SKIP_1) | instid1(VALU_DEP_1)
	v_max_i32_e32 v3, v2, v3
	s_wait_alu 0xfffe
	v_mul_hi_u32 v4, v3, s12
	s_delay_alu instid0(VALU_DEP_1) | instskip(NEXT) | instid1(VALU_DEP_1)
	v_mul_lo_u32 v4, v4, s3
	v_sub_nc_u32_e32 v3, v3, v4
	s_delay_alu instid0(VALU_DEP_1) | instskip(SKIP_2) | instid1(VALU_DEP_2)
	v_subrev_nc_u32_e32 v4, s3, v3
	v_cmp_le_u32_e32 vcc_lo, s3, v3
	s_wait_alu 0xfffd
	v_cndmask_b32_e32 v3, v3, v4, vcc_lo
	v_ashrrev_i32_e32 v2, 31, v2
	s_delay_alu instid0(VALU_DEP_2) | instskip(SKIP_2) | instid1(VALU_DEP_2)
	v_subrev_nc_u32_e32 v4, s3, v3
	v_cmp_le_u32_e32 vcc_lo, s3, v3
	s_wait_alu 0xfffd
	v_cndmask_b32_e32 v3, v3, v4, vcc_lo
	s_delay_alu instid0(VALU_DEP_1) | instskip(NEXT) | instid1(VALU_DEP_1)
	v_xor_b32_e32 v3, v3, v2
	v_sub_nc_u32_e32 v2, v3, v2
	s_delay_alu instid0(VALU_DEP_1)
	v_cmp_eq_u32_e32 vcc_lo, 0, v2
	s_or_b32 s0, vcc_lo, s0
	s_wait_alu 0xfffe
	s_and_saveexec_b32 s13, s0
	s_cbranch_execz .LBB28_41
; %bb.43:                               ;   in Loop: Header=BB28_42 Depth=1
	global_load_b32 v1, v[37:38], off
	v_add_nc_u32_e32 v58, v54, v40
	s_delay_alu instid0(VALU_DEP_1) | instskip(SKIP_4) | instid1(VALU_DEP_1)
	v_add_nc_u32_e32 v61, 1, v58
	v_add_nc_u32_e32 v60, 2, v58
	v_add_nc_u32_e32 v59, 3, v58
	s_wait_loadcnt 0x0
	v_mad_co_i64_i32 v[1:2], null, v1, s9, 0
	v_lshlrev_b64_e32 v[1:2], 2, v[1:2]
	s_delay_alu instid0(VALU_DEP_1) | instskip(SKIP_1) | instid1(VALU_DEP_2)
	v_add_co_u32 v33, vcc_lo, v55, v1
	s_wait_alu 0xfffd
	v_add_co_ci_u32_e64 v34, null, v56, v2, vcc_lo
	ds_load_b128 v[1:4], v57
	v_cmp_eq_u32_e32 vcc_lo, s36, v41
	global_load_b128 v[5:8], v[33:34], off
	s_and_saveexec_b32 s14, vcc_lo
	s_cbranch_execnz .LBB28_51
; %bb.44:                               ;   in Loop: Header=BB28_42 Depth=1
	s_wait_alu 0xfffe
	s_or_b32 exec_lo, exec_lo, s14
	global_load_b128 v[9:12], v[33:34], off offset:512
	s_and_saveexec_b32 s14, vcc_lo
	s_cbranch_execnz .LBB28_52
.LBB28_45:                              ;   in Loop: Header=BB28_42 Depth=1
	s_wait_alu 0xfffe
	s_or_b32 exec_lo, exec_lo, s14
	global_load_b128 v[13:16], v[33:34], off offset:1024
	s_and_saveexec_b32 s14, vcc_lo
	s_cbranch_execnz .LBB28_53
.LBB28_46:                              ;   in Loop: Header=BB28_42 Depth=1
	s_wait_alu 0xfffe
	s_or_b32 exec_lo, exec_lo, s14
	global_load_b128 v[17:20], v[33:34], off offset:1536
	s_and_saveexec_b32 s14, vcc_lo
	s_cbranch_execnz .LBB28_54
.LBB28_47:                              ;   in Loop: Header=BB28_42 Depth=1
	s_wait_alu 0xfffe
	s_or_b32 exec_lo, exec_lo, s14
	global_load_b128 v[21:24], v[33:34], off offset:2048
	s_and_saveexec_b32 s14, vcc_lo
	s_cbranch_execnz .LBB28_55
.LBB28_48:                              ;   in Loop: Header=BB28_42 Depth=1
	s_wait_alu 0xfffe
	s_or_b32 exec_lo, exec_lo, s14
	global_load_b128 v[25:28], v[33:34], off offset:2560
	s_and_saveexec_b32 s14, vcc_lo
	s_cbranch_execnz .LBB28_56
.LBB28_49:                              ;   in Loop: Header=BB28_42 Depth=1
	s_wait_alu 0xfffe
	s_or_b32 exec_lo, exec_lo, s14
	global_load_b128 v[29:32], v[33:34], off offset:3072
	s_and_saveexec_b32 s14, vcc_lo
	s_cbranch_execnz .LBB28_57
.LBB28_50:                              ;   in Loop: Header=BB28_42 Depth=1
	s_wait_alu 0xfffe
	s_or_b32 exec_lo, exec_lo, s14
	global_load_b128 v[33:36], v[33:34], off offset:3584
	s_and_saveexec_b32 s0, vcc_lo
	s_cbranch_execz .LBB28_40
	s_branch .LBB28_58
.LBB28_51:                              ;   in Loop: Header=BB28_42 Depth=1
	v_cmp_gt_i32_e64 s0, s31, v58
	s_wait_loadcnt 0x0
	s_wait_alu 0xf1ff
	s_delay_alu instid0(VALU_DEP_1) | instskip(SKIP_2) | instid1(VALU_DEP_1)
	v_cndmask_b32_e64 v5, 0, v5, s0
	v_cmp_gt_i32_e64 s0, s31, v61
	s_wait_alu 0xf1ff
	v_cndmask_b32_e64 v6, 0, v6, s0
	v_cmp_gt_i32_e64 s0, s31, v60
	s_wait_alu 0xf1ff
	s_delay_alu instid0(VALU_DEP_1) | instskip(SKIP_2) | instid1(VALU_DEP_1)
	v_cndmask_b32_e64 v7, 0, v7, s0
	v_cmp_gt_i32_e64 s0, s31, v59
	s_wait_alu 0xf1ff
	v_cndmask_b32_e64 v8, 0, v8, s0
	s_wait_alu 0xfffe
	s_or_b32 exec_lo, exec_lo, s14
	global_load_b128 v[9:12], v[33:34], off offset:512
	s_and_saveexec_b32 s14, vcc_lo
	s_cbranch_execz .LBB28_45
.LBB28_52:                              ;   in Loop: Header=BB28_42 Depth=1
	v_cmp_gt_i32_e64 s0, s31, v58
	s_wait_loadcnt 0x0
	s_wait_alu 0xf1ff
	s_delay_alu instid0(VALU_DEP_1) | instskip(SKIP_2) | instid1(VALU_DEP_1)
	v_cndmask_b32_e64 v9, 0, v9, s0
	v_cmp_gt_i32_e64 s0, s31, v61
	s_wait_alu 0xf1ff
	v_cndmask_b32_e64 v10, 0, v10, s0
	v_cmp_gt_i32_e64 s0, s31, v60
	s_wait_alu 0xf1ff
	s_delay_alu instid0(VALU_DEP_1) | instskip(SKIP_2) | instid1(VALU_DEP_1)
	v_cndmask_b32_e64 v11, 0, v11, s0
	v_cmp_gt_i32_e64 s0, s31, v59
	s_wait_alu 0xf1ff
	v_cndmask_b32_e64 v12, 0, v12, s0
	s_wait_alu 0xfffe
	s_or_b32 exec_lo, exec_lo, s14
	global_load_b128 v[13:16], v[33:34], off offset:1024
	s_and_saveexec_b32 s14, vcc_lo
	s_cbranch_execz .LBB28_46
.LBB28_53:                              ;   in Loop: Header=BB28_42 Depth=1
	v_cmp_gt_i32_e64 s0, s31, v58
	s_wait_loadcnt 0x0
	s_wait_alu 0xf1ff
	s_delay_alu instid0(VALU_DEP_1) | instskip(SKIP_2) | instid1(VALU_DEP_1)
	v_cndmask_b32_e64 v13, 0, v13, s0
	v_cmp_gt_i32_e64 s0, s31, v61
	s_wait_alu 0xf1ff
	v_cndmask_b32_e64 v14, 0, v14, s0
	v_cmp_gt_i32_e64 s0, s31, v60
	s_wait_alu 0xf1ff
	s_delay_alu instid0(VALU_DEP_1) | instskip(SKIP_2) | instid1(VALU_DEP_1)
	v_cndmask_b32_e64 v15, 0, v15, s0
	v_cmp_gt_i32_e64 s0, s31, v59
	s_wait_alu 0xf1ff
	v_cndmask_b32_e64 v16, 0, v16, s0
	s_wait_alu 0xfffe
	s_or_b32 exec_lo, exec_lo, s14
	global_load_b128 v[17:20], v[33:34], off offset:1536
	s_and_saveexec_b32 s14, vcc_lo
	s_cbranch_execz .LBB28_47
.LBB28_54:                              ;   in Loop: Header=BB28_42 Depth=1
	v_cmp_gt_i32_e64 s0, s31, v58
	s_wait_loadcnt 0x0
	s_wait_alu 0xf1ff
	s_delay_alu instid0(VALU_DEP_1) | instskip(SKIP_2) | instid1(VALU_DEP_1)
	v_cndmask_b32_e64 v17, 0, v17, s0
	v_cmp_gt_i32_e64 s0, s31, v61
	s_wait_alu 0xf1ff
	v_cndmask_b32_e64 v18, 0, v18, s0
	v_cmp_gt_i32_e64 s0, s31, v60
	s_wait_alu 0xf1ff
	s_delay_alu instid0(VALU_DEP_1) | instskip(SKIP_2) | instid1(VALU_DEP_1)
	v_cndmask_b32_e64 v19, 0, v19, s0
	v_cmp_gt_i32_e64 s0, s31, v59
	s_wait_alu 0xf1ff
	v_cndmask_b32_e64 v20, 0, v20, s0
	s_wait_alu 0xfffe
	s_or_b32 exec_lo, exec_lo, s14
	global_load_b128 v[21:24], v[33:34], off offset:2048
	s_and_saveexec_b32 s14, vcc_lo
	s_cbranch_execz .LBB28_48
.LBB28_55:                              ;   in Loop: Header=BB28_42 Depth=1
	v_cmp_gt_i32_e64 s0, s31, v58
	s_wait_loadcnt 0x0
	s_wait_alu 0xf1ff
	s_delay_alu instid0(VALU_DEP_1) | instskip(SKIP_2) | instid1(VALU_DEP_1)
	v_cndmask_b32_e64 v21, 0, v21, s0
	v_cmp_gt_i32_e64 s0, s31, v61
	s_wait_alu 0xf1ff
	v_cndmask_b32_e64 v22, 0, v22, s0
	v_cmp_gt_i32_e64 s0, s31, v60
	s_wait_alu 0xf1ff
	s_delay_alu instid0(VALU_DEP_1) | instskip(SKIP_2) | instid1(VALU_DEP_1)
	v_cndmask_b32_e64 v23, 0, v23, s0
	v_cmp_gt_i32_e64 s0, s31, v59
	s_wait_alu 0xf1ff
	v_cndmask_b32_e64 v24, 0, v24, s0
	s_wait_alu 0xfffe
	s_or_b32 exec_lo, exec_lo, s14
	global_load_b128 v[25:28], v[33:34], off offset:2560
	s_and_saveexec_b32 s14, vcc_lo
	s_cbranch_execz .LBB28_49
.LBB28_56:                              ;   in Loop: Header=BB28_42 Depth=1
	v_cmp_gt_i32_e64 s0, s31, v58
	s_wait_loadcnt 0x0
	s_wait_alu 0xf1ff
	s_delay_alu instid0(VALU_DEP_1) | instskip(SKIP_2) | instid1(VALU_DEP_1)
	v_cndmask_b32_e64 v25, 0, v25, s0
	v_cmp_gt_i32_e64 s0, s31, v61
	s_wait_alu 0xf1ff
	v_cndmask_b32_e64 v26, 0, v26, s0
	v_cmp_gt_i32_e64 s0, s31, v60
	s_wait_alu 0xf1ff
	s_delay_alu instid0(VALU_DEP_1) | instskip(SKIP_2) | instid1(VALU_DEP_1)
	v_cndmask_b32_e64 v27, 0, v27, s0
	v_cmp_gt_i32_e64 s0, s31, v59
	s_wait_alu 0xf1ff
	v_cndmask_b32_e64 v28, 0, v28, s0
	s_wait_alu 0xfffe
	s_or_b32 exec_lo, exec_lo, s14
	global_load_b128 v[29:32], v[33:34], off offset:3072
	s_and_saveexec_b32 s14, vcc_lo
	s_cbranch_execz .LBB28_50
.LBB28_57:                              ;   in Loop: Header=BB28_42 Depth=1
	v_cmp_gt_i32_e64 s0, s31, v58
	s_wait_loadcnt 0x0
	s_wait_alu 0xf1ff
	s_delay_alu instid0(VALU_DEP_1) | instskip(SKIP_2) | instid1(VALU_DEP_1)
	v_cndmask_b32_e64 v29, 0, v29, s0
	v_cmp_gt_i32_e64 s0, s31, v61
	s_wait_alu 0xf1ff
	v_cndmask_b32_e64 v30, 0, v30, s0
	v_cmp_gt_i32_e64 s0, s31, v60
	s_wait_alu 0xf1ff
	s_delay_alu instid0(VALU_DEP_1) | instskip(SKIP_2) | instid1(VALU_DEP_1)
	v_cndmask_b32_e64 v31, 0, v31, s0
	v_cmp_gt_i32_e64 s0, s31, v59
	s_wait_alu 0xf1ff
	v_cndmask_b32_e64 v32, 0, v32, s0
	s_wait_alu 0xfffe
	s_or_b32 exec_lo, exec_lo, s14
	global_load_b128 v[33:36], v[33:34], off offset:3584
	s_and_saveexec_b32 s0, vcc_lo
	s_cbranch_execz .LBB28_40
.LBB28_58:                              ;   in Loop: Header=BB28_42 Depth=1
	v_cmp_gt_i32_e32 vcc_lo, s31, v58
	s_wait_loadcnt 0x0
	s_wait_alu 0xfffd
	v_cndmask_b32_e32 v33, 0, v33, vcc_lo
	v_cmp_gt_i32_e32 vcc_lo, s31, v61
	s_wait_alu 0xfffd
	v_cndmask_b32_e32 v34, 0, v34, vcc_lo
	v_cmp_gt_i32_e32 vcc_lo, s31, v60
	;; [unrolled: 3-line block ×3, first 2 shown]
	s_wait_alu 0xfffd
	v_cndmask_b32_e32 v36, 0, v36, vcc_lo
	s_branch .LBB28_40
.LBB28_59:
	s_or_b32 exec_lo, exec_lo, s10
.LBB28_60:
	s_wait_alu 0xfffe
	s_or_b32 exec_lo, exec_lo, s1
	ds_bpermute_b32 v1, v43, v52
	ds_bpermute_b32 v2, v43, v53
	;; [unrolled: 1-line block ×8, first 2 shown]
	v_lshrrev_b32_e32 v9, 2, v42
	s_mov_b32 s0, exec_lo
	s_wait_storecnt 0x0
	s_wait_loadcnt_dscnt 0x0
	s_barrier_signal -1
	s_barrier_wait -1
	global_inv scope:SCOPE_SE
	v_dual_add_f32 v1, v52, v1 :: v_dual_add_f32 v2, v53, v2
	v_dual_add_f32 v3, v51, v3 :: v_dual_add_f32 v4, v50, v4
	;; [unrolled: 1-line block ×4, first 2 shown]
	ds_bpermute_b32 v12, v44, v1
	ds_bpermute_b32 v13, v44, v2
	ds_bpermute_b32 v14, v44, v3
	ds_bpermute_b32 v15, v44, v4
	ds_bpermute_b32 v16, v44, v5
	ds_bpermute_b32 v17, v44, v6
	ds_bpermute_b32 v18, v44, v7
	ds_bpermute_b32 v19, v44, v8
	v_and_b32_e32 v10, 28, v42
	v_lshlrev_b32_e32 v11, 8, v39
	v_and_b32_e32 v20, 0x3c3, v0
	s_wait_dscnt 0x7
	s_delay_alu instid0(VALU_DEP_3)
	v_dual_add_f32 v1, v1, v12 :: v_dual_add_nc_u32 v10, 0x120, v10
	s_wait_dscnt 0x5
	v_dual_add_f32 v2, v2, v13 :: v_dual_add_f32 v3, v3, v14
	s_wait_dscnt 0x3
	v_dual_add_f32 v4, v4, v15 :: v_dual_add_f32 v5, v5, v16
	;; [unrolled: 2-line block ×3, first 2 shown]
	s_wait_dscnt 0x0
	v_add_f32_e32 v8, v8, v19
	v_cmpx_eq_u32_e32 64, v20
	s_cbranch_execz .LBB28_62
; %bb.61:
	v_add_nc_u32_e32 v12, v10, v11
	s_delay_alu instid0(VALU_DEP_1)
	v_add_nc_u32_e32 v13, 0xfffffe00, v12
	v_add_nc_u32_e32 v14, 0xfffffe20, v12
	;; [unrolled: 1-line block ×8, first 2 shown]
	ds_store_b32 v13, v1
	ds_store_b32 v14, v2
	;; [unrolled: 1-line block ×8, first 2 shown]
.LBB28_62:
	s_wait_alu 0xfffe
	s_or_b32 exec_lo, exec_lo, s0
	v_lshlrev_b32_e32 v9, 2, v9
	s_mov_b32 s1, exec_lo
	v_cmp_eq_u32_e32 vcc_lo, 0, v45
	s_wait_loadcnt_dscnt 0x0
	s_barrier_signal -1
	v_add3_u32 v9, 0x120, v11, v9
	s_barrier_wait -1
	global_inv scope:SCOPE_SE
	v_cmpx_gt_u32_e32 64, v0
	s_cbranch_execz .LBB28_73
; %bb.63:
	s_and_saveexec_b32 s0, vcc_lo
	s_cbranch_execnz .LBB28_89
; %bb.64:
	s_wait_alu 0xfffe
	s_or_b32 exec_lo, exec_lo, s0
	s_and_saveexec_b32 s0, vcc_lo
	s_cbranch_execnz .LBB28_90
.LBB28_65:
	s_wait_alu 0xfffe
	s_or_b32 exec_lo, exec_lo, s0
	s_and_saveexec_b32 s0, vcc_lo
	s_cbranch_execnz .LBB28_91
.LBB28_66:
	s_wait_alu 0xfffe
	s_or_b32 exec_lo, exec_lo, s0
	s_and_saveexec_b32 s0, vcc_lo
	s_cbranch_execnz .LBB28_92
.LBB28_67:
	s_wait_alu 0xfffe
	s_or_b32 exec_lo, exec_lo, s0
	s_and_saveexec_b32 s0, vcc_lo
	s_cbranch_execnz .LBB28_93
.LBB28_68:
	s_wait_alu 0xfffe
	s_or_b32 exec_lo, exec_lo, s0
	s_and_saveexec_b32 s0, vcc_lo
	s_cbranch_execnz .LBB28_94
.LBB28_69:
	s_wait_alu 0xfffe
	s_or_b32 exec_lo, exec_lo, s0
	s_and_saveexec_b32 s0, vcc_lo
	s_cbranch_execnz .LBB28_95
.LBB28_70:
	s_wait_alu 0xfffe
	s_or_b32 exec_lo, exec_lo, s0
	s_and_saveexec_b32 s0, vcc_lo
	s_cbranch_execz .LBB28_72
.LBB28_71:
	ds_load_b32 v11, v9 offset:224
	s_wait_dscnt 0x0
	v_add_f32_e32 v8, v8, v11
.LBB28_72:
	s_wait_alu 0xfffe
	s_or_b32 exec_lo, exec_lo, s0
.LBB28_73:
	s_wait_alu 0xfffe
	s_or_b32 exec_lo, exec_lo, s1
	v_and_b32_e32 v11, 0x3e3, v0
	s_mov_b32 s1, exec_lo
	s_wait_loadcnt 0x0
	s_barrier_signal -1
	s_barrier_wait -1
	global_inv scope:SCOPE_SE
	v_cmpx_eq_u32_e32 32, v11
	s_cbranch_execz .LBB28_75
; %bb.74:
	ds_store_2addr_b32 v10, v1, v2 offset1:8
	ds_store_2addr_b32 v10, v3, v4 offset0:16 offset1:24
	ds_store_2addr_b32 v10, v5, v6 offset0:32 offset1:40
	;; [unrolled: 1-line block ×3, first 2 shown]
.LBB28_75:
	s_wait_alu 0xfffe
	s_or_b32 exec_lo, exec_lo, s1
	s_wait_loadcnt_dscnt 0x0
	s_barrier_signal -1
	s_barrier_wait -1
	global_inv scope:SCOPE_SE
	s_and_saveexec_b32 s0, s2
	s_cbranch_execz .LBB28_86
; %bb.76:
	s_and_saveexec_b32 s1, vcc_lo
	s_cbranch_execnz .LBB28_96
; %bb.77:
	s_wait_alu 0xfffe
	s_or_b32 exec_lo, exec_lo, s1
	s_and_saveexec_b32 s1, vcc_lo
	s_cbranch_execnz .LBB28_97
.LBB28_78:
	s_wait_alu 0xfffe
	s_or_b32 exec_lo, exec_lo, s1
	s_and_saveexec_b32 s1, vcc_lo
	s_cbranch_execnz .LBB28_98
.LBB28_79:
	s_wait_alu 0xfffe
	s_or_b32 exec_lo, exec_lo, s1
	s_and_saveexec_b32 s1, vcc_lo
	s_cbranch_execnz .LBB28_99
.LBB28_80:
	s_wait_alu 0xfffe
	s_or_b32 exec_lo, exec_lo, s1
	s_and_saveexec_b32 s1, vcc_lo
	s_cbranch_execnz .LBB28_100
.LBB28_81:
	s_wait_alu 0xfffe
	s_or_b32 exec_lo, exec_lo, s1
	s_and_saveexec_b32 s1, vcc_lo
	s_cbranch_execnz .LBB28_101
.LBB28_82:
	s_wait_alu 0xfffe
	s_or_b32 exec_lo, exec_lo, s1
	s_and_saveexec_b32 s1, vcc_lo
	s_cbranch_execnz .LBB28_102
.LBB28_83:
	s_wait_alu 0xfffe
	s_or_b32 exec_lo, exec_lo, s1
	s_and_saveexec_b32 s1, vcc_lo
	s_cbranch_execz .LBB28_85
.LBB28_84:
	ds_load_b32 v9, v9 offset:224
	s_wait_dscnt 0x0
	v_add_f32_e32 v8, v8, v9
.LBB28_85:
	s_wait_alu 0xfffe
	s_or_b32 exec_lo, exec_lo, s1
.LBB28_86:
	s_wait_alu 0xfffe
	s_or_b32 exec_lo, exec_lo, s0
	s_mov_b32 s1, 0
	s_wait_loadcnt 0x0
	s_barrier_signal -1
	s_barrier_wait -1
	global_inv scope:SCOPE_SE
	s_mov_b32 s0, exec_lo
	v_cmpx_eq_u32_e32 0, v11
	s_cbranch_execz .LBB28_88
; %bb.87:
	s_lshl_b32 s2, s4, 6
	s_mul_i32 s4, s8, s20
	s_wait_alu 0xfffe
	s_ashr_i32 s3, s2, 31
	s_ashr_i32 s5, s4, 31
	s_wait_alu 0xfffe
	s_lshl_b64 s[2:3], s[2:3], 2
	s_lshl_b64 s[4:5], s[4:5], 2
	s_wait_kmcnt 0x0
	s_wait_alu 0xfffe
	s_add_nc_u64 s[2:3], s[6:7], s[2:3]
	s_lshl_b32 s0, s30, 8
	s_wait_alu 0xfffe
	s_add_nc_u64 s[2:3], s[2:3], s[4:5]
	s_wait_alu 0xfffe
	s_add_nc_u64 s[0:1], s[2:3], s[0:1]
	s_clause 0x7
	global_store_b32 v0, v1, s[0:1]
	global_store_b32 v0, v2, s[0:1] offset:32
	global_store_b32 v0, v3, s[0:1] offset:64
	;; [unrolled: 1-line block ×7, first 2 shown]
.LBB28_88:
	s_endpgm
.LBB28_89:
	ds_load_b32 v11, v9
	s_wait_dscnt 0x0
	v_add_f32_e32 v1, v1, v11
	s_wait_alu 0xfffe
	s_or_b32 exec_lo, exec_lo, s0
	s_and_saveexec_b32 s0, vcc_lo
	s_cbranch_execz .LBB28_65
.LBB28_90:
	ds_load_b32 v11, v9 offset:32
	s_wait_dscnt 0x0
	v_add_f32_e32 v2, v2, v11
	s_wait_alu 0xfffe
	s_or_b32 exec_lo, exec_lo, s0
	s_and_saveexec_b32 s0, vcc_lo
	s_cbranch_execz .LBB28_66
.LBB28_91:
	ds_load_b32 v11, v9 offset:64
	s_wait_dscnt 0x0
	v_add_f32_e32 v3, v3, v11
	s_wait_alu 0xfffe
	s_or_b32 exec_lo, exec_lo, s0
	s_and_saveexec_b32 s0, vcc_lo
	s_cbranch_execz .LBB28_67
.LBB28_92:
	ds_load_b32 v11, v9 offset:96
	s_wait_dscnt 0x0
	v_add_f32_e32 v4, v4, v11
	s_wait_alu 0xfffe
	s_or_b32 exec_lo, exec_lo, s0
	s_and_saveexec_b32 s0, vcc_lo
	s_cbranch_execz .LBB28_68
.LBB28_93:
	ds_load_b32 v11, v9 offset:128
	s_wait_dscnt 0x0
	v_add_f32_e32 v5, v5, v11
	s_wait_alu 0xfffe
	s_or_b32 exec_lo, exec_lo, s0
	s_and_saveexec_b32 s0, vcc_lo
	s_cbranch_execz .LBB28_69
.LBB28_94:
	ds_load_b32 v11, v9 offset:160
	s_wait_dscnt 0x0
	v_add_f32_e32 v6, v6, v11
	s_wait_alu 0xfffe
	s_or_b32 exec_lo, exec_lo, s0
	s_and_saveexec_b32 s0, vcc_lo
	s_cbranch_execz .LBB28_70
.LBB28_95:
	ds_load_b32 v11, v9 offset:192
	s_wait_dscnt 0x0
	v_add_f32_e32 v7, v7, v11
	s_wait_alu 0xfffe
	s_or_b32 exec_lo, exec_lo, s0
	s_and_saveexec_b32 s0, vcc_lo
	s_cbranch_execnz .LBB28_71
	s_branch .LBB28_72
.LBB28_96:
	ds_load_b32 v10, v9
	s_wait_dscnt 0x0
	v_add_f32_e32 v1, v1, v10
	s_wait_alu 0xfffe
	s_or_b32 exec_lo, exec_lo, s1
	s_and_saveexec_b32 s1, vcc_lo
	s_cbranch_execz .LBB28_78
.LBB28_97:
	ds_load_b32 v10, v9 offset:32
	s_wait_dscnt 0x0
	v_add_f32_e32 v2, v2, v10
	s_wait_alu 0xfffe
	s_or_b32 exec_lo, exec_lo, s1
	s_and_saveexec_b32 s1, vcc_lo
	s_cbranch_execz .LBB28_79
.LBB28_98:
	ds_load_b32 v10, v9 offset:64
	s_wait_dscnt 0x0
	v_add_f32_e32 v3, v3, v10
	s_wait_alu 0xfffe
	s_or_b32 exec_lo, exec_lo, s1
	s_and_saveexec_b32 s1, vcc_lo
	s_cbranch_execz .LBB28_80
.LBB28_99:
	ds_load_b32 v10, v9 offset:96
	s_wait_dscnt 0x0
	v_add_f32_e32 v4, v4, v10
	s_wait_alu 0xfffe
	s_or_b32 exec_lo, exec_lo, s1
	s_and_saveexec_b32 s1, vcc_lo
	s_cbranch_execz .LBB28_81
.LBB28_100:
	ds_load_b32 v10, v9 offset:128
	s_wait_dscnt 0x0
	v_add_f32_e32 v5, v5, v10
	s_wait_alu 0xfffe
	s_or_b32 exec_lo, exec_lo, s1
	s_and_saveexec_b32 s1, vcc_lo
	s_cbranch_execz .LBB28_82
.LBB28_101:
	ds_load_b32 v10, v9 offset:160
	s_wait_dscnt 0x0
	v_add_f32_e32 v6, v6, v10
	s_wait_alu 0xfffe
	s_or_b32 exec_lo, exec_lo, s1
	s_and_saveexec_b32 s1, vcc_lo
	s_cbranch_execz .LBB28_83
.LBB28_102:
	ds_load_b32 v10, v9 offset:192
	s_wait_dscnt 0x0
	v_add_f32_e32 v7, v7, v10
	s_wait_alu 0xfffe
	s_or_b32 exec_lo, exec_lo, s1
	s_and_saveexec_b32 s1, vcc_lo
	s_cbranch_execnz .LBB28_84
	s_branch .LBB28_85
	.section	.rodata,"a",@progbits
	.p2align	6, 0x0
	.amdhsa_kernel _ZN4vllm25paged_attention_v2_kernelIffLi64ELi16ELi128ELNS_18Fp8KVCacheDataTypeE0ELb1ELi512EEEvPfS2_PT_PKS3_PKT0_S9_ifPKiSB_iPKfiiiSD_SD_iiiii
		.amdhsa_group_segment_fixed_size 288
		.amdhsa_private_segment_fixed_size 0
		.amdhsa_kernarg_size 400
		.amdhsa_user_sgpr_count 2
		.amdhsa_user_sgpr_dispatch_ptr 0
		.amdhsa_user_sgpr_queue_ptr 0
		.amdhsa_user_sgpr_kernarg_segment_ptr 1
		.amdhsa_user_sgpr_dispatch_id 0
		.amdhsa_user_sgpr_private_segment_size 0
		.amdhsa_wavefront_size32 1
		.amdhsa_uses_dynamic_stack 0
		.amdhsa_enable_private_segment 0
		.amdhsa_system_sgpr_workgroup_id_x 1
		.amdhsa_system_sgpr_workgroup_id_y 1
		.amdhsa_system_sgpr_workgroup_id_z 1
		.amdhsa_system_sgpr_workgroup_info 0
		.amdhsa_system_vgpr_workitem_id 0
		.amdhsa_next_free_vgpr 64
		.amdhsa_next_free_sgpr 44
		.amdhsa_reserve_vcc 1
		.amdhsa_float_round_mode_32 0
		.amdhsa_float_round_mode_16_64 0
		.amdhsa_float_denorm_mode_32 3
		.amdhsa_float_denorm_mode_16_64 3
		.amdhsa_fp16_overflow 0
		.amdhsa_workgroup_processor_mode 1
		.amdhsa_memory_ordered 1
		.amdhsa_forward_progress 1
		.amdhsa_inst_pref_size 55
		.amdhsa_round_robin_scheduling 0
		.amdhsa_exception_fp_ieee_invalid_op 0
		.amdhsa_exception_fp_denorm_src 0
		.amdhsa_exception_fp_ieee_div_zero 0
		.amdhsa_exception_fp_ieee_overflow 0
		.amdhsa_exception_fp_ieee_underflow 0
		.amdhsa_exception_fp_ieee_inexact 0
		.amdhsa_exception_int_div_zero 0
	.end_amdhsa_kernel
	.section	.text._ZN4vllm25paged_attention_v2_kernelIffLi64ELi16ELi128ELNS_18Fp8KVCacheDataTypeE0ELb1ELi512EEEvPfS2_PT_PKS3_PKT0_S9_ifPKiSB_iPKfiiiSD_SD_iiiii,"axG",@progbits,_ZN4vllm25paged_attention_v2_kernelIffLi64ELi16ELi128ELNS_18Fp8KVCacheDataTypeE0ELb1ELi512EEEvPfS2_PT_PKS3_PKT0_S9_ifPKiSB_iPKfiiiSD_SD_iiiii,comdat
.Lfunc_end28:
	.size	_ZN4vllm25paged_attention_v2_kernelIffLi64ELi16ELi128ELNS_18Fp8KVCacheDataTypeE0ELb1ELi512EEEvPfS2_PT_PKS3_PKT0_S9_ifPKiSB_iPKfiiiSD_SD_iiiii, .Lfunc_end28-_ZN4vllm25paged_attention_v2_kernelIffLi64ELi16ELi128ELNS_18Fp8KVCacheDataTypeE0ELb1ELi512EEEvPfS2_PT_PKS3_PKT0_S9_ifPKiSB_iPKfiiiSD_SD_iiiii
                                        ; -- End function
	.set _ZN4vllm25paged_attention_v2_kernelIffLi64ELi16ELi128ELNS_18Fp8KVCacheDataTypeE0ELb1ELi512EEEvPfS2_PT_PKS3_PKT0_S9_ifPKiSB_iPKfiiiSD_SD_iiiii.num_vgpr, 64
	.set _ZN4vllm25paged_attention_v2_kernelIffLi64ELi16ELi128ELNS_18Fp8KVCacheDataTypeE0ELb1ELi512EEEvPfS2_PT_PKS3_PKT0_S9_ifPKiSB_iPKfiiiSD_SD_iiiii.num_agpr, 0
	.set _ZN4vllm25paged_attention_v2_kernelIffLi64ELi16ELi128ELNS_18Fp8KVCacheDataTypeE0ELb1ELi512EEEvPfS2_PT_PKS3_PKT0_S9_ifPKiSB_iPKfiiiSD_SD_iiiii.numbered_sgpr, 44
	.set _ZN4vllm25paged_attention_v2_kernelIffLi64ELi16ELi128ELNS_18Fp8KVCacheDataTypeE0ELb1ELi512EEEvPfS2_PT_PKS3_PKT0_S9_ifPKiSB_iPKfiiiSD_SD_iiiii.num_named_barrier, 0
	.set _ZN4vllm25paged_attention_v2_kernelIffLi64ELi16ELi128ELNS_18Fp8KVCacheDataTypeE0ELb1ELi512EEEvPfS2_PT_PKS3_PKT0_S9_ifPKiSB_iPKfiiiSD_SD_iiiii.private_seg_size, 0
	.set _ZN4vllm25paged_attention_v2_kernelIffLi64ELi16ELi128ELNS_18Fp8KVCacheDataTypeE0ELb1ELi512EEEvPfS2_PT_PKS3_PKT0_S9_ifPKiSB_iPKfiiiSD_SD_iiiii.uses_vcc, 1
	.set _ZN4vllm25paged_attention_v2_kernelIffLi64ELi16ELi128ELNS_18Fp8KVCacheDataTypeE0ELb1ELi512EEEvPfS2_PT_PKS3_PKT0_S9_ifPKiSB_iPKfiiiSD_SD_iiiii.uses_flat_scratch, 0
	.set _ZN4vllm25paged_attention_v2_kernelIffLi64ELi16ELi128ELNS_18Fp8KVCacheDataTypeE0ELb1ELi512EEEvPfS2_PT_PKS3_PKT0_S9_ifPKiSB_iPKfiiiSD_SD_iiiii.has_dyn_sized_stack, 0
	.set _ZN4vllm25paged_attention_v2_kernelIffLi64ELi16ELi128ELNS_18Fp8KVCacheDataTypeE0ELb1ELi512EEEvPfS2_PT_PKS3_PKT0_S9_ifPKiSB_iPKfiiiSD_SD_iiiii.has_recursion, 0
	.set _ZN4vllm25paged_attention_v2_kernelIffLi64ELi16ELi128ELNS_18Fp8KVCacheDataTypeE0ELb1ELi512EEEvPfS2_PT_PKS3_PKT0_S9_ifPKiSB_iPKfiiiSD_SD_iiiii.has_indirect_call, 0
	.section	.AMDGPU.csdata,"",@progbits
; Kernel info:
; codeLenInByte = 7012
; TotalNumSgprs: 46
; NumVgprs: 64
; ScratchSize: 0
; MemoryBound: 0
; FloatMode: 240
; IeeeMode: 1
; LDSByteSize: 288 bytes/workgroup (compile time only)
; SGPRBlocks: 0
; VGPRBlocks: 7
; NumSGPRsForWavesPerEU: 46
; NumVGPRsForWavesPerEU: 64
; Occupancy: 16
; WaveLimiterHint : 1
; COMPUTE_PGM_RSRC2:SCRATCH_EN: 0
; COMPUTE_PGM_RSRC2:USER_SGPR: 2
; COMPUTE_PGM_RSRC2:TRAP_HANDLER: 0
; COMPUTE_PGM_RSRC2:TGID_X_EN: 1
; COMPUTE_PGM_RSRC2:TGID_Y_EN: 1
; COMPUTE_PGM_RSRC2:TGID_Z_EN: 1
; COMPUTE_PGM_RSRC2:TIDIG_COMP_CNT: 0
	.section	.text._ZN4vllm25paged_attention_v2_kernelIffLi80ELi16ELi128ELNS_18Fp8KVCacheDataTypeE0ELb1ELi512EEEvPfS2_PT_PKS3_PKT0_S9_ifPKiSB_iPKfiiiSD_SD_iiiii,"axG",@progbits,_ZN4vllm25paged_attention_v2_kernelIffLi80ELi16ELi128ELNS_18Fp8KVCacheDataTypeE0ELb1ELi512EEEvPfS2_PT_PKS3_PKT0_S9_ifPKiSB_iPKfiiiSD_SD_iiiii,comdat
	.protected	_ZN4vllm25paged_attention_v2_kernelIffLi80ELi16ELi128ELNS_18Fp8KVCacheDataTypeE0ELb1ELi512EEEvPfS2_PT_PKS3_PKT0_S9_ifPKiSB_iPKfiiiSD_SD_iiiii ; -- Begin function _ZN4vllm25paged_attention_v2_kernelIffLi80ELi16ELi128ELNS_18Fp8KVCacheDataTypeE0ELb1ELi512EEEvPfS2_PT_PKS3_PKT0_S9_ifPKiSB_iPKfiiiSD_SD_iiiii
	.globl	_ZN4vllm25paged_attention_v2_kernelIffLi80ELi16ELi128ELNS_18Fp8KVCacheDataTypeE0ELb1ELi512EEEvPfS2_PT_PKS3_PKT0_S9_ifPKiSB_iPKfiiiSD_SD_iiiii
	.p2align	8
	.type	_ZN4vllm25paged_attention_v2_kernelIffLi80ELi16ELi128ELNS_18Fp8KVCacheDataTypeE0ELb1ELi512EEEvPfS2_PT_PKS3_PKT0_S9_ifPKiSB_iPKfiiiSD_SD_iiiii,@function
_ZN4vllm25paged_attention_v2_kernelIffLi80ELi16ELi128ELNS_18Fp8KVCacheDataTypeE0ELb1ELi512EEEvPfS2_PT_PKS3_PKT0_S9_ifPKiSB_iPKfiiiSD_SD_iiiii: ; @_ZN4vllm25paged_attention_v2_kernelIffLi80ELi16ELi128ELNS_18Fp8KVCacheDataTypeE0ELb1ELi512EEEvPfS2_PT_PKS3_PKT0_S9_ifPKiSB_iPKfiiiSD_SD_iiiii
; %bb.0:
	s_load_b64 s[2:3], s[0:1], 0x40
	s_and_b32 s20, ttmp7, 0xffff
	s_lshr_b32 s30, ttmp7, 16
	s_lshl_b32 s4, s20, 2
	s_lshl_b32 s33, s30, 9
	s_wait_kmcnt 0x0
	s_load_b32 s31, s[2:3], s4 offset:0x0
	s_wait_kmcnt 0x0
	s_cmp_ge_i32 s33, s31
	s_cbranch_scc1 .LBB29_96
; %bb.1:
	s_clause 0x1
	s_load_b32 s21, s[0:1], 0x90
	s_load_b64 s[6:7], s[0:1], 0x30
	s_wait_kmcnt 0x0
	s_abs_i32 s5, s21
	s_abs_i32 s2, s6
	s_delay_alu instid0(SALU_CYCLE_1) | instskip(SKIP_1) | instid1(SALU_CYCLE_2)
	s_cvt_f32_u32 s3, s2
	s_sub_co_i32 s4, 0, s2
	v_rcp_iflag_f32_e32 v1, s3
	s_delay_alu instid0(TRANS32_DEP_1) | instskip(SKIP_2) | instid1(SALU_CYCLE_2)
	v_readfirstlane_b32 s3, v1
	s_mul_f32 s3, s3, 0x4f7ffffe
	s_wait_alu 0xfffe
	s_cvt_u32_f32 s3, s3
	s_wait_alu 0xfffe
	s_delay_alu instid0(SALU_CYCLE_2) | instskip(NEXT) | instid1(SALU_CYCLE_1)
	s_mul_i32 s4, s4, s3
	s_mul_hi_u32 s4, s3, s4
	s_delay_alu instid0(SALU_CYCLE_1)
	s_add_co_i32 s3, s3, s4
	s_xor_b32 s4, s21, s6
	s_wait_alu 0xfffe
	s_mul_hi_u32 s3, s5, s3
	s_ashr_i32 s4, s4, 31
	s_wait_alu 0xfffe
	s_mul_i32 s8, s3, s2
	s_delay_alu instid0(SALU_CYCLE_1)
	s_sub_co_i32 s5, s5, s8
	s_add_co_i32 s8, s3, 1
	s_sub_co_i32 s9, s5, s2
	s_cmp_ge_u32 s5, s2
	s_cselect_b32 s3, s8, s3
	s_cselect_b32 s5, s9, s5
	s_wait_alu 0xfffe
	s_add_co_i32 s8, s3, 1
	s_cmp_ge_u32 s5, s2
	s_cselect_b32 s2, s8, s3
	s_load_b64 s[8:9], s[0:1], 0x50
	s_xor_b32 s2, s2, s4
	s_mov_b32 s3, 0
	s_wait_alu 0xfffe
	s_sub_co_i32 s10, s2, s4
	s_mov_b32 s15, s3
	s_abs_i32 s18, s10
	s_delay_alu instid0(SALU_CYCLE_1) | instskip(SKIP_1) | instid1(SALU_CYCLE_2)
	s_cvt_f32_u32 s2, s18
	s_wait_alu 0xfffe
	v_rcp_iflag_f32_e32 v1, s2
	s_delay_alu instid0(TRANS32_DEP_1) | instskip(SKIP_2) | instid1(SALU_CYCLE_2)
	v_readfirstlane_b32 s2, v1
	s_mul_f32 s2, s2, 0x4f7ffffe
	s_wait_alu 0xfffe
	s_cvt_u32_f32 s4, s2
	s_sub_co_i32 s2, 0, s18
	s_wait_alu 0xfffe
	s_delay_alu instid0(SALU_CYCLE_1)
	s_mul_i32 s2, s2, s4
	s_wait_alu 0xfffe
	s_mul_hi_u32 s5, s4, s2
	s_abs_i32 s2, ttmp9
	s_add_co_i32 s4, s4, s5
	s_mov_b32 s5, s3
	s_wait_kmcnt 0x0
	s_cmp_eq_u64 s[8:9], 0
	s_cbranch_scc1 .LBB29_3
; %bb.2:
	s_mov_b32 s12, ttmp9
	s_ashr_i32 s13, ttmp9, 31
	s_delay_alu instid0(SALU_CYCLE_1) | instskip(NEXT) | instid1(SALU_CYCLE_1)
	s_lshl_b64 s[12:13], s[12:13], 2
	s_add_nc_u64 s[8:9], s[8:9], s[12:13]
	s_load_b32 s15, s[8:9], 0x0
.LBB29_3:
	s_load_b96 s[12:14], s[0:1], 0x58
	v_and_b32_e32 v1, 1, v0
	v_lshlrev_b32_e32 v2, 3, v0
	v_lshlrev_b32_e32 v3, 2, v0
	s_mul_u64 s[4:5], s[2:3], s[4:5]
	s_ashr_i32 s3, ttmp9, 31
	s_ashr_i32 s4, s10, 31
	s_mul_i32 s16, ttmp9, 0x50
	s_mov_b32 s8, exec_lo
	v_cmpx_gt_u32_e32 40, v0
	s_cbranch_execz .LBB29_5
; %bb.4:
	s_load_b64 s[10:11], s[0:1], 0x18
	s_wait_kmcnt 0x0
	s_mul_i32 s22, s12, s20
	s_ashr_i32 s17, s16, 31
	s_ashr_i32 s23, s22, 31
	v_and_b32_e32 v6, 0xff8, v3
	s_lshl_b64 s[22:23], s[22:23], 2
	s_delay_alu instid0(VALU_DEP_1) | instskip(SKIP_2) | instid1(SALU_CYCLE_1)
	v_mad_u32_u24 v6, 0xa0, v1, v6
	s_add_nc_u64 s[10:11], s[10:11], s[22:23]
	s_lshl_b64 s[22:23], s[16:17], 2
	s_add_nc_u64 s[10:11], s[10:11], s[22:23]
	global_load_b64 v[4:5], v2, s[10:11]
	s_wait_loadcnt 0x0
	ds_store_b64 v6, v[4:5]
.LBB29_5:
	s_or_b32 exec_lo, exec_lo, s8
	s_clause 0x1
	s_load_b128 s[8:11], s[0:1], 0x78
	s_load_b32 s22, s[0:1], 0x88
	s_wait_kmcnt 0x0
	s_mul_i32 s12, s5, s18
	s_xor_b32 s3, s3, s4
	s_sub_co_i32 s2, s2, s12
	s_add_co_i32 s4, s5, 1
	s_wait_alu 0xfffe
	s_sub_co_i32 s12, s2, s18
	s_cmp_ge_u32 s2, s18
	s_mov_b32 s24, -1
	s_cselect_b32 s4, s4, s5
	s_cselect_b32 s2, s12, s2
	s_add_co_i32 s5, s4, 1
	s_wait_alu 0xfffe
	s_cmp_ge_u32 s2, s18
	s_wait_dscnt 0x0
	s_cselect_b32 s2, s5, s4
	s_add_co_i32 s23, s31, -1
	s_wait_alu 0xfffe
	s_xor_b32 s2, s2, s3
	s_barrier_signal -1
	s_wait_alu 0xfffe
	s_sub_co_i32 s26, s2, s3
	s_barrier_wait -1
	s_abs_i32 s12, s11
	global_inv scope:SCOPE_SE
	s_cvt_f32_u32 s4, s12
                                        ; implicit-def: $sgpr17
	s_delay_alu instid0(SALU_CYCLE_3) | instskip(NEXT) | instid1(TRANS32_DEP_1)
	v_rcp_iflag_f32_e32 v4, s4
	v_readfirstlane_b32 s4, v4
	s_mul_f32 s2, s4, 0x4f7ffffe
	s_wait_alu 0xfffe
	s_delay_alu instid0(SALU_CYCLE_2) | instskip(SKIP_2) | instid1(SALU_CYCLE_1)
	s_cvt_u32_f32 s4, s2
	s_sub_co_i32 s2, 0, s12
	s_wait_alu 0xfffe
	s_mul_i32 s3, s2, s4
	s_abs_i32 s2, s23
	s_wait_alu 0xfffe
	s_mul_hi_u32 s5, s4, s3
	s_mov_b32 s3, 0
	s_wait_alu 0xfffe
	s_add_co_i32 s18, s4, s5
	s_cmp_lt_i32 s22, 0
	s_mov_b32 s19, s3
	s_cbranch_scc0 .LBB29_7
; %bb.6:
	s_mul_i32 s4, s8, s6
	s_mov_b32 s24, s3
	s_wait_alu 0xfffe
	s_add_co_i32 s4, s26, s4
	s_wait_alu 0xfffe
	s_mul_i32 s4, s4, s22
	s_wait_alu 0xfffe
	s_sub_co_i32 s17, 1, s4
.LBB29_7:
	s_mul_u64 s[4:5], s[2:3], s[18:19]
	s_ashr_i32 s3, s23, 31
	s_and_not1_b32 vcc_lo, exec_lo, s24
	s_ashr_i32 s11, s11, 31
	s_cbranch_vccnz .LBB29_9
; %bb.8:
	s_mul_i32 s4, s21, s8
	s_wait_alu 0xfffe
	s_add_co_i32 s4, s4, ttmp9
	s_wait_alu 0xfffe
	s_mul_i32 s4, s4, s22
	s_wait_alu 0xfffe
	s_add_co_i32 s17, s4, 1
.LBB29_9:
	s_clause 0x2
	s_load_b32 s4, s[0:1], 0x48
	s_load_b64 s[22:23], s[0:1], 0x38
	s_load_b32 s8, s[0:1], 0x98
	s_mul_i32 s6, s5, s12
	s_xor_b32 s3, s3, s11
	s_sub_co_i32 s2, s2, s6
	s_add_co_i32 s19, s5, 1
	v_lshrrev_b32_e32 v47, 5, v0
	v_mov_b32_e32 v6, 0xff7fffff
	v_mbcnt_lo_u32_b32 v5, -1, 0
	s_mul_i32 s26, s26, s14
	s_delay_alu instid0(VALU_DEP_3)
	v_lshl_add_u32 v48, v47, 4, s33
	s_wait_kmcnt 0x0
	s_mul_i32 s24, s4, s20
	s_wait_alu 0xfffe
	s_sub_co_i32 s4, s2, s12
	s_ashr_i32 s25, s24, 31
	s_cmp_ge_u32 s2, s12
	s_cselect_b32 s5, s19, s5
	s_wait_alu 0xfffe
	s_cselect_b32 s2, s4, s2
	s_add_co_i32 s4, s5, 1
	s_wait_alu 0xfffe
	s_cmp_ge_u32 s2, s12
	s_cselect_b32 s2, s4, s5
	s_add_co_i32 s4, s31, 15
	s_lshl_b32 s36, s30, 5
	s_wait_alu 0xfffe
	s_ashr_i32 s5, s4, 31
	v_or_b32_e32 v49, s36, v47
	s_wait_alu 0xfffe
	s_lshr_b32 s5, s5, 28
	s_wait_alu 0xfffe
	s_add_co_i32 s4, s4, s5
	s_add_co_i32 s5, s36, 32
	s_wait_alu 0xfffe
	s_ashr_i32 s34, s4, 4
	s_xor_b32 s4, s2, s3
	s_min_i32 s19, s5, s34
	v_lshlrev_b32_e32 v4, 2, v49
	v_cmp_gt_i32_e64 s2, s19, v49
	s_wait_alu 0xfffe
	s_sub_co_i32 s35, s4, s3
	s_and_saveexec_b32 s6, s2
	s_cbranch_execz .LBB29_21
; %bb.10:
	s_ashr_i32 s27, s26, 31
	s_sub_co_i32 s14, s35, s9
	s_lshl_b64 s[4:5], s[26:27], 2
	s_cmp_neq_f32 s15, 0
	s_load_b64 s[38:39], s[0:1], 0x20
	v_bfe_u32 v7, v0, 1, 4
	v_mul_u32_u24_e32 v8, 0xa0, v1
	s_cselect_b32 vcc_lo, -1, 0
	s_abs_i32 s27, s10
	v_and_b32_e32 v2, 8, v2
	s_cvt_f32_u32 s3, s27
	v_lshlrev_b32_e32 v9, 4, v7
	s_lshl_b64 s[40:41], s[24:25], 2
	v_mov_b32_e32 v14, 0xff7fffff
	s_wait_alu 0xfffe
	v_rcp_iflag_f32_e32 v6, s3
	v_cmp_eq_u32_e64 s3, 0, v1
	v_lshlrev_b32_e32 v1, 2, v7
	v_subrev_nc_u32_e32 v12, s31, v7
	s_add_nc_u64 s[40:41], s[22:23], s[40:41]
	s_sub_co_i32 s37, 0, s27
	v_lshl_add_u32 v11, v47, 4, s33
	v_xor_b32_e32 v15, 1, v5
	v_add_nc_u32_e32 v12, 1, v12
	s_mov_b32 s28, 0
	v_readfirstlane_b32 s29, v6
	v_lshl_or_b32 v6, v47, 6, v1
	s_wait_kmcnt 0x0
	s_add_nc_u64 s[4:5], s[38:39], s[4:5]
	v_mov_b32_e32 v16, v49
	s_mul_f32 s29, s29, 0x4f7ffffe
	v_add_nc_u32_e32 v13, 0x160, v6
	v_mov_b32_e32 v6, 0xff7fffff
	s_wait_alu 0xfffe
	v_add_co_u32 v1, s4, s4, v9
	s_wait_alu 0xf1ff
	v_add_co_ci_u32_e64 v10, null, s5, 0, s4
	s_cvt_u32_f32 s5, s29
	v_add_co_u32 v9, s4, v1, v2
	s_wait_alu 0xf1ff
	v_add_co_ci_u32_e64 v10, null, 0, v10, s4
	v_add_co_u32 v1, s4, s40, v4
	s_wait_alu 0xfffe
	s_mul_i32 s37, s37, s5
	v_add_co_ci_u32_e64 v2, null, s41, 0, s4
	s_wait_alu 0xfffe
	s_mul_hi_u32 s4, s5, s37
	s_mov_b32 s29, s13
	s_wait_alu 0xfffe
	s_add_co_i32 s37, s5, s4
	s_branch .LBB29_13
.LBB29_11:                              ;   in Loop: Header=BB29_13 Depth=1
	s_or_b32 exec_lo, exec_lo, s38
.LBB29_12:                              ;   in Loop: Header=BB29_13 Depth=1
	s_wait_alu 0xfffe
	s_or_b32 exec_lo, exec_lo, s5
	v_add_nc_u32_e32 v16, 4, v16
	v_add_co_u32 v1, s5, v1, 16
	s_wait_alu 0xf1ff
	v_add_co_ci_u32_e64 v2, null, 0, v2, s5
	s_delay_alu instid0(VALU_DEP_3)
	v_cmp_le_i32_e64 s4, s19, v16
	v_add_nc_u32_e32 v11, 64, v11
	v_add_nc_u32_e32 v13, 0x100, v13
	s_or_b32 s28, s4, s28
	s_wait_alu 0xfffe
	s_and_not1_b32 exec_lo, exec_lo, s28
	s_cbranch_execz .LBB29_20
.LBB29_13:                              ; =>This Inner Loop Header: Depth=1
	v_sub_nc_u32_e32 v17, 0, v11
	s_delay_alu instid0(VALU_DEP_1) | instskip(SKIP_1) | instid1(VALU_DEP_1)
	v_max_i32_e32 v17, v11, v17
	s_wait_dscnt 0x0
	v_mul_hi_u32 v18, v17, s18
	s_delay_alu instid0(VALU_DEP_1) | instskip(NEXT) | instid1(VALU_DEP_1)
	v_mul_lo_u32 v19, v18, s12
	v_sub_nc_u32_e32 v17, v17, v19
	v_add_nc_u32_e32 v19, 1, v18
	s_delay_alu instid0(VALU_DEP_2) | instskip(SKIP_2) | instid1(VALU_DEP_1)
	v_subrev_nc_u32_e32 v20, s12, v17
	v_cmp_le_u32_e64 s4, s12, v17
	s_wait_alu 0xf1ff
	v_cndmask_b32_e64 v18, v18, v19, s4
	s_delay_alu instid0(VALU_DEP_3) | instskip(SKIP_1) | instid1(VALU_DEP_3)
	v_cndmask_b32_e64 v17, v17, v20, s4
	v_ashrrev_i32_e32 v19, 31, v11
	v_add_nc_u32_e32 v20, 1, v18
	s_delay_alu instid0(VALU_DEP_3) | instskip(NEXT) | instid1(VALU_DEP_3)
	v_cmp_le_u32_e64 s4, s12, v17
	v_xor_b32_e32 v19, s11, v19
	s_wait_alu 0xf1ff
	s_delay_alu instid0(VALU_DEP_2) | instskip(NEXT) | instid1(VALU_DEP_1)
	v_cndmask_b32_e64 v17, v18, v20, s4
	v_xor_b32_e32 v17, v17, v19
	s_delay_alu instid0(VALU_DEP_1) | instskip(NEXT) | instid1(VALU_DEP_1)
	v_sub_nc_u32_e32 v17, v17, v19
	v_add_nc_u32_e32 v18, s17, v17
	v_cmp_ge_i32_e64 s5, s14, v17
	s_delay_alu instid0(VALU_DEP_2) | instskip(NEXT) | instid1(VALU_DEP_1)
	v_sub_nc_u32_e32 v19, 0, v18
	v_max_i32_e32 v19, v18, v19
	v_ashrrev_i32_e32 v18, 31, v18
	s_wait_alu 0xfffe
	s_delay_alu instid0(VALU_DEP_2) | instskip(NEXT) | instid1(VALU_DEP_1)
	v_mul_hi_u32 v20, v19, s37
	v_mul_lo_u32 v20, v20, s27
	s_delay_alu instid0(VALU_DEP_1) | instskip(NEXT) | instid1(VALU_DEP_1)
	v_sub_nc_u32_e32 v19, v19, v20
	v_subrev_nc_u32_e32 v20, s27, v19
	v_cmp_le_u32_e64 s4, s27, v19
	s_wait_alu 0xf1ff
	s_delay_alu instid0(VALU_DEP_1) | instskip(NEXT) | instid1(VALU_DEP_1)
	v_cndmask_b32_e64 v19, v19, v20, s4
	v_subrev_nc_u32_e32 v20, s27, v19
	v_cmp_le_u32_e64 s4, s27, v19
	s_wait_alu 0xf1ff
	s_delay_alu instid0(VALU_DEP_1) | instskip(NEXT) | instid1(VALU_DEP_1)
	v_cndmask_b32_e64 v19, v19, v20, s4
	v_xor_b32_e32 v19, v19, v18
	s_delay_alu instid0(VALU_DEP_1) | instskip(NEXT) | instid1(VALU_DEP_1)
	v_sub_nc_u32_e32 v18, v19, v18
	v_cmp_ne_u32_e64 s4, 0, v18
	s_and_b32 s4, s4, s5
	s_wait_alu 0xfffe
	s_and_saveexec_b32 s5, s4
	s_wait_alu 0xfffe
	s_xor_b32 s4, exec_lo, s5
	s_cbranch_execz .LBB29_17
; %bb.14:                               ;   in Loop: Header=BB29_13 Depth=1
	s_and_saveexec_b32 s5, s3
; %bb.15:                               ;   in Loop: Header=BB29_13 Depth=1
	ds_store_b32 v13, v14
; %bb.16:                               ;   in Loop: Header=BB29_13 Depth=1
	s_wait_alu 0xfffe
	s_or_b32 exec_lo, exec_lo, s5
.LBB29_17:                              ;   in Loop: Header=BB29_13 Depth=1
	s_wait_alu 0xfffe
	s_and_not1_saveexec_b32 s5, s4
	s_cbranch_execz .LBB29_12
; %bb.18:                               ;   in Loop: Header=BB29_13 Depth=1
	global_load_b32 v17, v[1:2], off
	s_wait_loadcnt 0x0
	v_mad_co_i64_i32 v[17:18], null, v17, s29, 0
	s_delay_alu instid0(VALU_DEP_1) | instskip(NEXT) | instid1(VALU_DEP_1)
	v_lshlrev_b64_e32 v[17:18], 2, v[17:18]
	v_add_co_u32 v17, s4, v9, v17
	s_wait_alu 0xf1ff
	s_delay_alu instid0(VALU_DEP_2)
	v_add_co_ci_u32_e64 v18, null, v10, v18, s4
	v_cmp_gt_i32_e64 s4, 32, v15
	s_clause 0x13
	global_load_b64 v[29:30], v[17:18], off offset:256
	global_load_b64 v[31:32], v[17:18], off
	global_load_b64 v[33:34], v[17:18], off offset:512
	global_load_b64 v[35:36], v[17:18], off offset:768
	;; [unrolled: 1-line block ×18, first 2 shown]
	ds_load_b128 v[17:20], v8
	ds_load_b128 v[21:24], v8 offset:16
	ds_load_b128 v[25:28], v8 offset:32
	s_wait_loadcnt_dscnt 0x1302
	v_dual_mul_f32 v29, v19, v29 :: v_dual_mul_f32 v30, v20, v30
	s_wait_loadcnt 0x12
	s_delay_alu instid0(VALU_DEP_1) | instskip(SKIP_4) | instid1(VALU_DEP_1)
	v_dual_fmac_f32 v29, v17, v31 :: v_dual_fmac_f32 v30, v18, v32
	ds_load_b128 v[17:20], v8 offset:48
	s_wait_loadcnt_dscnt 0x1102
	v_dual_fmac_f32 v29, v21, v33 :: v_dual_fmac_f32 v30, v22, v34
	s_wait_loadcnt 0x10
	v_dual_fmac_f32 v29, v23, v35 :: v_dual_fmac_f32 v30, v24, v36
	ds_load_b128 v[21:24], v8 offset:64
	s_wait_loadcnt_dscnt 0xf02
	v_dual_fmac_f32 v29, v25, v37 :: v_dual_fmac_f32 v30, v26, v38
	s_wait_loadcnt 0xe
	s_delay_alu instid0(VALU_DEP_1) | instskip(SKIP_4) | instid1(VALU_DEP_1)
	v_dual_fmac_f32 v29, v27, v39 :: v_dual_fmac_f32 v30, v28, v40
	ds_load_b128 v[25:28], v8 offset:80
	s_wait_loadcnt_dscnt 0xd02
	v_dual_fmac_f32 v29, v17, v41 :: v_dual_fmac_f32 v30, v18, v42
	s_wait_loadcnt 0xc
	v_dual_fmac_f32 v29, v19, v43 :: v_dual_fmac_f32 v30, v20, v44
	ds_load_b128 v[17:20], v8 offset:96
	s_wait_loadcnt_dscnt 0xb02
	v_dual_fmac_f32 v29, v21, v45 :: v_dual_fmac_f32 v30, v22, v46
	;; [unrolled: 11-line block ×3, first 2 shown]
	s_wait_loadcnt 0x6
	s_delay_alu instid0(VALU_DEP_1) | instskip(SKIP_4) | instid1(VALU_DEP_1)
	v_dual_fmac_f32 v29, v19, v58 :: v_dual_fmac_f32 v30, v20, v59
	ds_load_b128 v[17:20], v8 offset:144
	s_wait_loadcnt_dscnt 0x502
	v_dual_fmac_f32 v29, v21, v60 :: v_dual_fmac_f32 v30, v22, v61
	s_wait_loadcnt 0x4
	v_dual_fmac_f32 v29, v23, v62 :: v_dual_fmac_f32 v30, v24, v63
	s_wait_loadcnt_dscnt 0x301
	s_delay_alu instid0(VALU_DEP_1) | instskip(SKIP_1) | instid1(VALU_DEP_1)
	v_dual_fmac_f32 v29, v25, v64 :: v_dual_fmac_f32 v30, v26, v65
	s_wait_loadcnt 0x2
	v_dual_fmac_f32 v29, v27, v66 :: v_dual_fmac_f32 v30, v28, v67
	s_wait_loadcnt_dscnt 0x100
	s_delay_alu instid0(VALU_DEP_1) | instskip(SKIP_3) | instid1(VALU_DEP_2)
	v_dual_fmac_f32 v29, v17, v68 :: v_dual_fmac_f32 v30, v18, v69
	s_wait_alu 0xf1ff
	v_cndmask_b32_e64 v17, v5, v15, s4
	s_wait_loadcnt 0x0
	v_dual_fmac_f32 v29, v19, v70 :: v_dual_fmac_f32 v30, v20, v71
	s_delay_alu instid0(VALU_DEP_1)
	v_dual_add_f32 v17, v29, v30 :: v_dual_lshlrev_b32 v18, 2, v17
	ds_bpermute_b32 v18, v18, v17
	s_and_saveexec_b32 s38, s3
	s_cbranch_execz .LBB29_11
; %bb.19:                               ;   in Loop: Header=BB29_13 Depth=1
	s_wait_dscnt 0x0
	v_add_f32_e32 v17, v17, v18
	v_add_nc_u32_e32 v19, v12, v11
	s_delay_alu instid0(VALU_DEP_1) | instskip(NEXT) | instid1(VALU_DEP_1)
	v_cvt_f32_i32_e32 v19, v19
	v_mul_f32_e32 v19, s15, v19
	s_delay_alu instid0(VALU_DEP_1) | instskip(NEXT) | instid1(VALU_DEP_1)
	v_dual_cndmask_b32 v18, 0, v19 :: v_dual_max_num_f32 v19, v6, v6
	v_dual_fmac_f32 v18, s7, v17 :: v_dual_add_nc_u32 v17, v7, v11
	s_delay_alu instid0(VALU_DEP_1) | instskip(NEXT) | instid1(VALU_DEP_2)
	v_max_num_f32_e32 v19, v19, v18
	v_cmp_gt_i32_e64 s4, s31, v17
	s_wait_alu 0xf1ff
	s_delay_alu instid0(VALU_DEP_1) | instskip(NEXT) | instid1(VALU_DEP_3)
	v_cndmask_b32_e64 v17, 0, v18, s4
	v_cndmask_b32_e64 v6, v6, v19, s4
	ds_store_b32 v13, v17
	s_branch .LBB29_11
.LBB29_20:
	s_or_b32 exec_lo, exec_lo, s28
.LBB29_21:
	s_delay_alu instid0(SALU_CYCLE_1)
	s_or_b32 exec_lo, exec_lo, s6
	v_xor_b32_e32 v1, 16, v5
	v_xor_b32_e32 v7, 8, v5
	s_clause 0x2
	s_load_b128 s[4:7], s[0:1], 0x0
	s_load_b64 s[14:15], s[0:1], 0x10
	s_load_b64 s[28:29], s[0:1], 0x28
	v_max_num_f32_e32 v8, v6, v6
	v_and_b32_e32 v50, 31, v0
	v_cmp_gt_i32_e32 vcc_lo, 32, v1
	s_wait_alu 0xfffd
	v_cndmask_b32_e32 v1, v5, v1, vcc_lo
	v_cmp_gt_i32_e32 vcc_lo, 32, v7
	s_delay_alu instid0(VALU_DEP_2) | instskip(SKIP_4) | instid1(VALU_DEP_1)
	v_lshlrev_b32_e32 v2, 2, v1
	ds_bpermute_b32 v1, v2, v6
	s_wait_dscnt 0x0
	v_max_num_f32_e32 v1, v1, v1
	s_wait_alu 0xfffd
	v_dual_cndmask_b32 v6, v5, v7 :: v_dual_max_num_f32 v1, v8, v1
	s_delay_alu instid0(VALU_DEP_1)
	v_lshlrev_b32_e32 v6, 2, v6
	v_xor_b32_e32 v8, 4, v5
	ds_bpermute_b32 v7, v6, v1
	v_cmp_gt_i32_e32 vcc_lo, 32, v8
	s_wait_dscnt 0x0
	s_wait_alu 0xfffd
	v_dual_cndmask_b32 v8, v5, v8 :: v_dual_max_num_f32 v9, v7, v7
	s_delay_alu instid0(VALU_DEP_1) | instskip(SKIP_1) | instid1(VALU_DEP_1)
	v_max_num_f32_e32 v1, v1, v9
	v_xor_b32_e32 v9, 2, v5
	v_cmp_gt_i32_e32 vcc_lo, 32, v9
	s_wait_alu 0xfffd
	v_cndmask_b32_e32 v9, v5, v9, vcc_lo
	v_cmp_eq_u32_e32 vcc_lo, 0, v50
	s_delay_alu instid0(VALU_DEP_2) | instskip(SKIP_4) | instid1(VALU_DEP_1)
	v_lshlrev_b32_e32 v51, 2, v9
	v_lshlrev_b32_e32 v7, 2, v8
	ds_bpermute_b32 v8, v7, v1
	s_wait_dscnt 0x0
	v_max_num_f32_e32 v8, v8, v8
	v_dual_max_num_f32 v1, v1, v8 :: v_dual_lshlrev_b32 v8, 2, v47
	ds_bpermute_b32 v9, v51, v1
	s_and_saveexec_b32 s0, vcc_lo
	s_cbranch_execz .LBB29_23
; %bb.22:
	s_wait_dscnt 0x0
	v_max_num_f32_e32 v9, v9, v9
	v_max_num_f32_e32 v1, v1, v1
	s_delay_alu instid0(VALU_DEP_1)
	v_max_num_f32_e32 v1, v1, v9
	ds_store_b32 v8, v1 offset:320
.LBB29_23:
	s_or_b32 exec_lo, exec_lo, s0
	v_cmp_gt_u32_e64 s0, 4, v50
	v_mov_b32_e32 v1, 0xff7fffff
	s_wait_dscnt 0x0
	v_lshlrev_b32_e32 v9, 2, v50
	s_wait_loadcnt 0x0
	s_barrier_signal -1
	s_barrier_wait -1
	global_inv scope:SCOPE_SE
	s_and_saveexec_b32 s1, s0
; %bb.24:
	ds_load_b32 v1, v9 offset:320
; %bb.25:
	s_or_b32 exec_lo, exec_lo, s1
	s_wait_dscnt 0x0
	ds_bpermute_b32 v10, v51, v1
	v_xor_b32_e32 v11, 1, v5
	v_max_num_f32_e32 v1, v1, v1
	s_delay_alu instid0(VALU_DEP_2) | instskip(NEXT) | instid1(VALU_DEP_1)
	v_cmp_gt_i32_e64 s1, 32, v11
	v_cndmask_b32_e64 v5, v5, v11, s1
	s_sub_co_i32 s1, s19, s36
	s_wait_alu 0xfffe
	s_lshl_b32 s1, s1, 4
	s_wait_alu 0xfffe
	s_add_co_i32 s1, s1, s33
	s_wait_alu 0xfffe
	s_min_i32 s1, s1, s31
	s_wait_alu 0xfffe
	s_sub_co_i32 s27, s1, s33
	s_wait_dscnt 0x0
	v_max_num_f32_e32 v10, v10, v10
	v_lshlrev_b32_e32 v52, 2, v5
	s_wait_alu 0xfffe
	v_cmp_gt_i32_e64 s1, s27, v0
	s_delay_alu instid0(VALU_DEP_3) | instskip(SKIP_3) | instid1(VALU_DEP_1)
	v_dual_max_num_f32 v1, v1, v10 :: v_dual_mov_b32 v10, 0
	ds_bpermute_b32 v5, v52, v1
	s_wait_dscnt 0x0
	v_max_num_f32_e32 v5, v5, v5
	v_max_num_f32_e32 v1, v1, v5
	v_lshl_add_u32 v5, v0, 2, 0x160
	ds_bpermute_b32 v1, v10, v1
	s_and_saveexec_b32 s33, s1
	s_cbranch_execz .LBB29_29
; %bb.26:
	v_lshl_add_u32 v11, v0, 2, 0x160
	v_mov_b32_e32 v10, 0
	v_mov_b32_e32 v12, v0
	s_mov_b32 s36, 0
.LBB29_27:                              ; =>This Inner Loop Header: Depth=1
	ds_load_b32 v13, v11
	v_add_nc_u32_e32 v12, 0x80, v12
	s_delay_alu instid0(VALU_DEP_1) | instskip(SKIP_4) | instid1(VALU_DEP_1)
	v_cmp_le_i32_e64 s3, s27, v12
	s_wait_alu 0xfffe
	s_or_b32 s36, s3, s36
	s_wait_dscnt 0x0
	v_sub_f32_e32 v13, v13, v1
	v_mul_f32_e32 v13, 0x3fb8aa3b, v13
	s_delay_alu instid0(VALU_DEP_1)
	v_exp_f32_e32 v13, v13
	ds_store_b32 v11, v13
	v_dual_add_f32 v10, v10, v13 :: v_dual_add_nc_u32 v11, 0x200, v11
	s_wait_alu 0xfffe
	s_and_not1_b32 exec_lo, exec_lo, s36
	s_cbranch_execnz .LBB29_27
; %bb.28:
	s_or_b32 exec_lo, exec_lo, s36
.LBB29_29:
	s_wait_alu 0xfffe
	s_or_b32 exec_lo, exec_lo, s33
	ds_bpermute_b32 v2, v2, v10
	s_wait_dscnt 0x0
	v_add_f32_e32 v2, v10, v2
	ds_bpermute_b32 v6, v6, v2
	s_wait_dscnt 0x0
	v_add_f32_e32 v2, v2, v6
	;; [unrolled: 3-line block ×5, first 2 shown]
	s_and_saveexec_b32 s3, vcc_lo
; %bb.30:
	ds_store_b32 v8, v2 offset:336
; %bb.31:
	s_wait_alu 0xfffe
	s_or_b32 exec_lo, exec_lo, s3
	s_wait_loadcnt_dscnt 0x0
	s_barrier_signal -1
	s_barrier_wait -1
	global_inv scope:SCOPE_SE
	s_and_saveexec_b32 s3, s0
; %bb.32:
	ds_load_b32 v2, v9 offset:336
; %bb.33:
	s_wait_alu 0xfffe
	s_or_b32 exec_lo, exec_lo, s3
	s_wait_dscnt 0x0
	ds_bpermute_b32 v6, v51, v2
	s_wait_dscnt 0x0
	v_add_f32_e32 v2, v2, v6
	ds_bpermute_b32 v6, v52, v2
	s_wait_dscnt 0x0
	v_add_f32_e32 v2, v2, v6
	v_mov_b32_e32 v6, 0
	ds_bpermute_b32 v2, v6, v2
	s_and_saveexec_b32 s0, s1
	s_cbranch_execz .LBB29_36
; %bb.34:
	s_wait_dscnt 0x0
	v_add_f32_e32 v6, 0x358637bd, v2
	s_mov_b32 s1, 0
	s_delay_alu instid0(VALU_DEP_1) | instskip(SKIP_1) | instid1(VALU_DEP_2)
	v_div_scale_f32 v7, null, v6, v6, 1.0
	v_div_scale_f32 v10, vcc_lo, 1.0, v6, 1.0
	v_rcp_f32_e32 v8, v7
	s_delay_alu instid0(TRANS32_DEP_1) | instskip(NEXT) | instid1(VALU_DEP_1)
	v_fma_f32 v9, -v7, v8, 1.0
	v_fmac_f32_e32 v8, v9, v8
	s_delay_alu instid0(VALU_DEP_1) | instskip(NEXT) | instid1(VALU_DEP_1)
	v_mul_f32_e32 v9, v10, v8
	v_fma_f32 v11, -v7, v9, v10
	s_delay_alu instid0(VALU_DEP_1) | instskip(NEXT) | instid1(VALU_DEP_1)
	v_fmac_f32_e32 v9, v11, v8
	v_fma_f32 v7, -v7, v9, v10
	s_wait_alu 0xfffd
	s_delay_alu instid0(VALU_DEP_1) | instskip(NEXT) | instid1(VALU_DEP_1)
	v_div_fmas_f32 v7, v7, v8, v9
	v_div_fixup_f32 v6, v7, v6, 1.0
	v_mov_b32_e32 v7, v0
.LBB29_35:                              ; =>This Inner Loop Header: Depth=1
	ds_load_b32 v8, v5
	s_wait_dscnt 0x0
	v_dual_mul_f32 v8, v6, v8 :: v_dual_add_nc_u32 v7, 0x80, v7
	s_delay_alu instid0(VALU_DEP_1)
	v_cmp_le_i32_e32 vcc_lo, s27, v7
	ds_store_b32 v5, v8
	v_add_nc_u32_e32 v5, 0x200, v5
	s_wait_alu 0xfffe
	s_or_b32 s1, vcc_lo, s1
	s_wait_alu 0xfffe
	s_and_not1_b32 exec_lo, exec_lo, s1
	s_cbranch_execnz .LBB29_35
.LBB29_36:
	s_wait_alu 0xfffe
	s_or_b32 exec_lo, exec_lo, s0
	s_mul_i32 s0, s8, s20
	s_wait_loadcnt_dscnt 0x0
	s_wait_alu 0xfffe
	s_mul_i32 s20, s0, s21
	s_mov_b32 s0, exec_lo
	s_barrier_signal -1
	s_barrier_wait -1
	global_inv scope:SCOPE_SE
	v_cmpx_eq_u32_e32 0, v0
	s_cbranch_execz .LBB29_38
; %bb.37:
	s_ashr_i32 s21, s20, 31
	s_wait_alu 0xfffe
	s_mul_i32 s36, s8, ttmp9
	s_lshl_b32 s1, s30, 2
	s_lshl_b64 s[38:39], s[20:21], 2
	s_wait_alu 0xfffe
	s_ashr_i32 s37, s36, 31
	v_mov_b32_e32 v5, s1
	s_wait_kmcnt 0x0
	s_add_nc_u64 s[6:7], s[6:7], s[38:39]
	s_wait_alu 0xfffe
	s_lshl_b64 s[36:37], s[36:37], 2
	s_add_nc_u64 s[4:5], s[4:5], s[38:39]
	s_wait_alu 0xfffe
	s_add_nc_u64 s[6:7], s[6:7], s[36:37]
	s_add_nc_u64 s[4:5], s[4:5], s[36:37]
	s_clause 0x1
	global_store_b32 v5, v1, s[6:7]
	global_store_b32 v5, v2, s[4:5]
.LBB29_38:
	s_wait_alu 0xfffe
	s_or_b32 exec_lo, exec_lo, s0
	v_dual_mov_b32 v62, 0 :: v_dual_and_b32 v53, 3, v0
	v_dual_mov_b32 v63, 0 :: v_dual_mov_b32 v60, 0
	v_dual_mov_b32 v61, 0 :: v_dual_mov_b32 v58, 0
	;; [unrolled: 1-line block ×4, first 2 shown]
	v_mov_b32_e32 v55, 0
	s_and_saveexec_b32 s1, s2
	s_cbranch_execz .LBB29_64
; %bb.39:
	s_abs_i32 s2, s10
	v_dual_mov_b32 v57, 0 :: v_dual_lshlrev_b32 v2, 4, v0
	s_wait_alu 0xfffe
	s_cvt_f32_u32 s0, s2
	v_dual_mov_b32 v55, 0 :: v_dual_and_b32 v64, 12, v3
	v_dual_mov_b32 v54, 0 :: v_dual_lshlrev_b32 v3, 4, v53
	s_wait_alu 0xfffe
	v_rcp_iflag_f32_e32 v1, s0
	s_ashr_i32 s27, s26, 31
	s_wait_kmcnt 0x0
	s_lshl_b64 s[6:7], s[24:25], 2
	s_wait_alu 0xfffe
	s_lshl_b64 s[24:25], s[26:27], 2
	s_add_nc_u64 s[6:7], s[22:23], s[6:7]
	s_add_nc_u64 s[22:23], s[28:29], s[24:25]
	s_wait_alu 0xfffe
	v_add_co_u32 v45, s6, s6, v4
	s_sub_co_i32 s5, 0, s2
	v_add_co_ci_u32_e64 v46, null, s7, 0, s6
	v_readfirstlane_b32 s0, v1
	v_dual_mov_b32 v56, 0 :: v_dual_and_b32 v1, 0x1f0, v2
	v_lshl_or_b32 v2, v47, 6, v3
	v_mov_b32_e32 v58, 0
	s_mul_f32 s0, s0, 0x4f7ffffe
	s_delay_alu instid0(VALU_DEP_3)
	v_add_co_u32 v65, s6, s22, v1
	s_wait_alu 0xf1ff
	v_add_co_ci_u32_e64 v66, null, s23, 0, s6
	s_wait_alu 0xfffe
	s_cvt_u32_f32 s0, s0
	v_add_nc_u32_e32 v67, 0x160, v2
	v_dual_mov_b32 v59, 0 :: v_dual_mov_b32 v60, 0
	s_wait_alu 0xfffe
	s_mul_i32 s5, s5, s0
	v_dual_mov_b32 v61, 0 :: v_dual_mov_b32 v62, 0
	v_mov_b32_e32 v63, 0
	s_wait_alu 0xfffe
	s_mul_hi_u32 s6, s0, s5
	s_sub_co_i32 s3, s35, s9
	s_mov_b32 s4, s13
	s_add_co_i32 s34, s34, -1
	s_mov_b32 s5, 0
	s_wait_alu 0xfffe
	s_add_co_i32 s6, s0, s6
	s_branch .LBB29_42
.LBB29_40:                              ;   in Loop: Header=BB29_42 Depth=1
	s_wait_alu 0xfffe
	s_or_b32 exec_lo, exec_lo, s0
	s_wait_loadcnt_dscnt 0x600
	v_mul_f32_e32 v17, v1, v17
	v_mul_f32_e32 v5, v1, v5
	s_wait_loadcnt 0x2
	v_mul_f32_e32 v33, v1, v33
	s_wait_loadcnt 0x1
	v_mul_f32_e32 v41, v1, v41
	v_mul_f32_e32 v29, v1, v29
	v_fmac_f32_e32 v17, v2, v18
	v_fmac_f32_e32 v5, v2, v6
	v_mul_f32_e32 v25, v1, v25
	v_mul_f32_e32 v21, v1, v21
	;; [unrolled: 1-line block ×3, first 2 shown]
	v_fmac_f32_e32 v17, v3, v19
	v_mul_f32_e32 v9, v1, v9
	s_wait_loadcnt 0x0
	v_mul_f32_e32 v1, v1, v37
	v_fmac_f32_e32 v5, v3, v7
	v_fmac_f32_e32 v25, v2, v26
	;; [unrolled: 1-line block ×6, first 2 shown]
	s_delay_alu instid0(VALU_DEP_4) | instskip(NEXT) | instid1(VALU_DEP_4)
	v_dual_fmac_f32 v29, v2, v30 :: v_dual_add_f32 v60, v60, v17
	v_fmac_f32_e32 v33, v3, v35
	v_fmac_f32_e32 v21, v2, v22
	;; [unrolled: 1-line block ×5, first 2 shown]
	v_dual_fmac_f32 v1, v3, v39 :: v_dual_add_f32 v62, v62, v5
	v_fmac_f32_e32 v33, v4, v36
	v_fmac_f32_e32 v41, v2, v42
	;; [unrolled: 1-line block ×4, first 2 shown]
	s_delay_alu instid0(VALU_DEP_4) | instskip(NEXT) | instid1(VALU_DEP_4)
	v_dual_fmac_f32 v13, v3, v15 :: v_dual_add_f32 v56, v56, v33
	v_fmac_f32_e32 v41, v3, v43
	v_fmac_f32_e32 v9, v3, v11
	;; [unrolled: 1-line block ×4, first 2 shown]
	v_dual_fmac_f32 v21, v4, v24 :: v_dual_add_f32 v58, v58, v25
	v_fmac_f32_e32 v41, v4, v44
	v_fmac_f32_e32 v13, v4, v16
	v_dual_fmac_f32 v9, v4, v12 :: v_dual_add_f32 v54, v54, v1
	v_fmac_f32_e32 v29, v4, v32
	s_delay_alu instid0(VALU_DEP_4)
	v_add_f32_e32 v55, v55, v41
	v_add_f32_e32 v59, v59, v21
	v_add_f32_e32 v61, v61, v13
	v_add_f32_e32 v63, v63, v9
	v_add_f32_e32 v57, v57, v29
.LBB29_41:                              ;   in Loop: Header=BB29_42 Depth=1
	s_wait_alu 0xfffe
	s_or_b32 exec_lo, exec_lo, s7
	v_add_nc_u32_e32 v49, 4, v49
	v_add_co_u32 v45, s0, v45, 16
	s_wait_alu 0xf1ff
	v_add_co_ci_u32_e64 v46, null, 0, v46, s0
	s_delay_alu instid0(VALU_DEP_3)
	v_cmp_le_i32_e32 vcc_lo, s19, v49
	v_add_nc_u32_e32 v48, 64, v48
	v_add_nc_u32_e32 v67, 0x100, v67
	s_or_b32 s5, vcc_lo, s5
	s_wait_alu 0xfffe
	s_and_not1_b32 exec_lo, exec_lo, s5
	s_cbranch_execz .LBB29_63
.LBB29_42:                              ; =>This Inner Loop Header: Depth=1
	v_sub_nc_u32_e32 v1, 0, v48
	s_delay_alu instid0(VALU_DEP_1) | instskip(NEXT) | instid1(VALU_DEP_1)
	v_max_i32_e32 v1, v48, v1
	v_mul_hi_u32 v2, v1, s18
	s_delay_alu instid0(VALU_DEP_1) | instskip(NEXT) | instid1(VALU_DEP_1)
	v_mul_lo_u32 v3, v2, s12
	v_sub_nc_u32_e32 v1, v1, v3
	v_add_nc_u32_e32 v3, 1, v2
	s_delay_alu instid0(VALU_DEP_2) | instskip(SKIP_2) | instid1(VALU_DEP_2)
	v_subrev_nc_u32_e32 v4, s12, v1
	v_cmp_le_u32_e32 vcc_lo, s12, v1
	s_wait_alu 0xfffd
	v_dual_cndmask_b32 v2, v2, v3 :: v_dual_cndmask_b32 v1, v1, v4
	v_ashrrev_i32_e32 v3, 31, v48
	s_delay_alu instid0(VALU_DEP_2) | instskip(NEXT) | instid1(VALU_DEP_3)
	v_add_nc_u32_e32 v4, 1, v2
	v_cmp_le_u32_e32 vcc_lo, s12, v1
	s_delay_alu instid0(VALU_DEP_3) | instskip(SKIP_1) | instid1(VALU_DEP_3)
	v_xor_b32_e32 v3, s11, v3
	s_wait_alu 0xfffd
	v_cndmask_b32_e32 v1, v2, v4, vcc_lo
	s_delay_alu instid0(VALU_DEP_1) | instskip(NEXT) | instid1(VALU_DEP_1)
	v_xor_b32_e32 v1, v1, v3
	v_sub_nc_u32_e32 v1, v1, v3
	s_delay_alu instid0(VALU_DEP_1) | instskip(SKIP_1) | instid1(VALU_DEP_2)
	v_add_nc_u32_e32 v2, s17, v1
	v_cmp_lt_i32_e64 s0, s3, v1
	v_sub_nc_u32_e32 v3, 0, v2
	s_delay_alu instid0(VALU_DEP_1) | instskip(SKIP_1) | instid1(VALU_DEP_1)
	v_max_i32_e32 v3, v2, v3
	s_wait_alu 0xfffe
	v_mul_hi_u32 v4, v3, s6
	s_delay_alu instid0(VALU_DEP_1) | instskip(NEXT) | instid1(VALU_DEP_1)
	v_mul_lo_u32 v4, v4, s2
	v_sub_nc_u32_e32 v3, v3, v4
	s_delay_alu instid0(VALU_DEP_1) | instskip(SKIP_2) | instid1(VALU_DEP_2)
	v_subrev_nc_u32_e32 v4, s2, v3
	v_cmp_le_u32_e32 vcc_lo, s2, v3
	s_wait_alu 0xfffd
	v_cndmask_b32_e32 v3, v3, v4, vcc_lo
	v_ashrrev_i32_e32 v2, 31, v2
	s_delay_alu instid0(VALU_DEP_2) | instskip(SKIP_2) | instid1(VALU_DEP_2)
	v_subrev_nc_u32_e32 v4, s2, v3
	v_cmp_le_u32_e32 vcc_lo, s2, v3
	s_wait_alu 0xfffd
	v_cndmask_b32_e32 v3, v3, v4, vcc_lo
	s_delay_alu instid0(VALU_DEP_1) | instskip(NEXT) | instid1(VALU_DEP_1)
	v_xor_b32_e32 v3, v3, v2
	v_sub_nc_u32_e32 v2, v3, v2
	s_delay_alu instid0(VALU_DEP_1)
	v_cmp_eq_u32_e32 vcc_lo, 0, v2
	s_or_b32 s0, vcc_lo, s0
	s_wait_alu 0xfffe
	s_and_saveexec_b32 s7, s0
	s_cbranch_execz .LBB29_41
; %bb.43:                               ;   in Loop: Header=BB29_42 Depth=1
	global_load_b32 v1, v[45:46], off
	v_add_nc_u32_e32 v68, v64, v48
	s_delay_alu instid0(VALU_DEP_1) | instskip(SKIP_4) | instid1(VALU_DEP_1)
	v_add_nc_u32_e32 v71, 1, v68
	v_add_nc_u32_e32 v70, 2, v68
	;; [unrolled: 1-line block ×3, first 2 shown]
	s_wait_loadcnt 0x0
	v_mad_co_i64_i32 v[1:2], null, v1, s4, 0
	v_lshlrev_b64_e32 v[1:2], 2, v[1:2]
	s_delay_alu instid0(VALU_DEP_1) | instskip(SKIP_1) | instid1(VALU_DEP_2)
	v_add_co_u32 v37, vcc_lo, v65, v1
	s_wait_alu 0xfffd
	v_add_co_ci_u32_e64 v38, null, v66, v2, vcc_lo
	ds_load_b128 v[1:4], v67
	v_cmp_eq_u32_e32 vcc_lo, s34, v49
	global_load_b128 v[5:8], v[37:38], off
	s_and_saveexec_b32 s9, vcc_lo
	s_cbranch_execnz .LBB29_53
; %bb.44:                               ;   in Loop: Header=BB29_42 Depth=1
	s_or_b32 exec_lo, exec_lo, s9
	global_load_b128 v[9:12], v[37:38], off offset:512
	s_and_saveexec_b32 s9, vcc_lo
	s_cbranch_execnz .LBB29_54
.LBB29_45:                              ;   in Loop: Header=BB29_42 Depth=1
	s_or_b32 exec_lo, exec_lo, s9
	global_load_b128 v[13:16], v[37:38], off offset:1024
	s_and_saveexec_b32 s9, vcc_lo
	s_cbranch_execnz .LBB29_55
.LBB29_46:                              ;   in Loop: Header=BB29_42 Depth=1
	s_or_b32 exec_lo, exec_lo, s9
	global_load_b128 v[17:20], v[37:38], off offset:1536
	s_and_saveexec_b32 s9, vcc_lo
	s_cbranch_execnz .LBB29_56
.LBB29_47:                              ;   in Loop: Header=BB29_42 Depth=1
	s_or_b32 exec_lo, exec_lo, s9
	global_load_b128 v[21:24], v[37:38], off offset:2048
	s_and_saveexec_b32 s9, vcc_lo
	s_cbranch_execnz .LBB29_57
.LBB29_48:                              ;   in Loop: Header=BB29_42 Depth=1
	s_or_b32 exec_lo, exec_lo, s9
	global_load_b128 v[25:28], v[37:38], off offset:2560
	s_and_saveexec_b32 s9, vcc_lo
	s_cbranch_execnz .LBB29_58
.LBB29_49:                              ;   in Loop: Header=BB29_42 Depth=1
	s_or_b32 exec_lo, exec_lo, s9
	global_load_b128 v[29:32], v[37:38], off offset:3072
	s_and_saveexec_b32 s9, vcc_lo
	s_cbranch_execnz .LBB29_59
.LBB29_50:                              ;   in Loop: Header=BB29_42 Depth=1
	s_or_b32 exec_lo, exec_lo, s9
	global_load_b128 v[33:36], v[37:38], off offset:3584
	s_and_saveexec_b32 s9, vcc_lo
	s_cbranch_execnz .LBB29_60
.LBB29_51:                              ;   in Loop: Header=BB29_42 Depth=1
	s_or_b32 exec_lo, exec_lo, s9
	global_load_b128 v[41:44], v[37:38], off offset:4096
	s_and_saveexec_b32 s9, vcc_lo
	s_cbranch_execnz .LBB29_61
.LBB29_52:                              ;   in Loop: Header=BB29_42 Depth=1
	s_or_b32 exec_lo, exec_lo, s9
	global_load_b128 v[37:40], v[37:38], off offset:4608
	s_and_saveexec_b32 s0, vcc_lo
	s_cbranch_execz .LBB29_40
	s_branch .LBB29_62
.LBB29_53:                              ;   in Loop: Header=BB29_42 Depth=1
	v_cmp_gt_i32_e64 s0, s31, v68
	s_wait_loadcnt 0x0
	s_wait_alu 0xf1ff
	s_delay_alu instid0(VALU_DEP_1) | instskip(SKIP_2) | instid1(VALU_DEP_1)
	v_cndmask_b32_e64 v5, 0, v5, s0
	v_cmp_gt_i32_e64 s0, s31, v71
	s_wait_alu 0xf1ff
	v_cndmask_b32_e64 v6, 0, v6, s0
	v_cmp_gt_i32_e64 s0, s31, v70
	s_wait_alu 0xf1ff
	s_delay_alu instid0(VALU_DEP_1) | instskip(SKIP_2) | instid1(VALU_DEP_1)
	v_cndmask_b32_e64 v7, 0, v7, s0
	v_cmp_gt_i32_e64 s0, s31, v69
	s_wait_alu 0xf1ff
	v_cndmask_b32_e64 v8, 0, v8, s0
	s_or_b32 exec_lo, exec_lo, s9
	global_load_b128 v[9:12], v[37:38], off offset:512
	s_and_saveexec_b32 s9, vcc_lo
	s_cbranch_execz .LBB29_45
.LBB29_54:                              ;   in Loop: Header=BB29_42 Depth=1
	v_cmp_gt_i32_e64 s0, s31, v68
	s_wait_loadcnt 0x0
	s_wait_alu 0xf1ff
	s_delay_alu instid0(VALU_DEP_1) | instskip(SKIP_2) | instid1(VALU_DEP_1)
	v_cndmask_b32_e64 v9, 0, v9, s0
	v_cmp_gt_i32_e64 s0, s31, v71
	s_wait_alu 0xf1ff
	v_cndmask_b32_e64 v10, 0, v10, s0
	v_cmp_gt_i32_e64 s0, s31, v70
	s_wait_alu 0xf1ff
	s_delay_alu instid0(VALU_DEP_1) | instskip(SKIP_2) | instid1(VALU_DEP_1)
	v_cndmask_b32_e64 v11, 0, v11, s0
	v_cmp_gt_i32_e64 s0, s31, v69
	s_wait_alu 0xf1ff
	v_cndmask_b32_e64 v12, 0, v12, s0
	s_or_b32 exec_lo, exec_lo, s9
	global_load_b128 v[13:16], v[37:38], off offset:1024
	s_and_saveexec_b32 s9, vcc_lo
	s_cbranch_execz .LBB29_46
.LBB29_55:                              ;   in Loop: Header=BB29_42 Depth=1
	v_cmp_gt_i32_e64 s0, s31, v68
	s_wait_loadcnt 0x0
	s_wait_alu 0xf1ff
	s_delay_alu instid0(VALU_DEP_1) | instskip(SKIP_2) | instid1(VALU_DEP_1)
	v_cndmask_b32_e64 v13, 0, v13, s0
	v_cmp_gt_i32_e64 s0, s31, v71
	s_wait_alu 0xf1ff
	v_cndmask_b32_e64 v14, 0, v14, s0
	v_cmp_gt_i32_e64 s0, s31, v70
	s_wait_alu 0xf1ff
	s_delay_alu instid0(VALU_DEP_1) | instskip(SKIP_2) | instid1(VALU_DEP_1)
	v_cndmask_b32_e64 v15, 0, v15, s0
	v_cmp_gt_i32_e64 s0, s31, v69
	s_wait_alu 0xf1ff
	v_cndmask_b32_e64 v16, 0, v16, s0
	s_or_b32 exec_lo, exec_lo, s9
	global_load_b128 v[17:20], v[37:38], off offset:1536
	s_and_saveexec_b32 s9, vcc_lo
	s_cbranch_execz .LBB29_47
.LBB29_56:                              ;   in Loop: Header=BB29_42 Depth=1
	v_cmp_gt_i32_e64 s0, s31, v68
	s_wait_loadcnt 0x0
	s_wait_alu 0xf1ff
	s_delay_alu instid0(VALU_DEP_1) | instskip(SKIP_2) | instid1(VALU_DEP_1)
	v_cndmask_b32_e64 v17, 0, v17, s0
	v_cmp_gt_i32_e64 s0, s31, v71
	s_wait_alu 0xf1ff
	v_cndmask_b32_e64 v18, 0, v18, s0
	v_cmp_gt_i32_e64 s0, s31, v70
	s_wait_alu 0xf1ff
	s_delay_alu instid0(VALU_DEP_1) | instskip(SKIP_2) | instid1(VALU_DEP_1)
	v_cndmask_b32_e64 v19, 0, v19, s0
	v_cmp_gt_i32_e64 s0, s31, v69
	s_wait_alu 0xf1ff
	v_cndmask_b32_e64 v20, 0, v20, s0
	s_or_b32 exec_lo, exec_lo, s9
	global_load_b128 v[21:24], v[37:38], off offset:2048
	s_and_saveexec_b32 s9, vcc_lo
	s_cbranch_execz .LBB29_48
.LBB29_57:                              ;   in Loop: Header=BB29_42 Depth=1
	v_cmp_gt_i32_e64 s0, s31, v68
	s_wait_loadcnt 0x0
	s_wait_alu 0xf1ff
	s_delay_alu instid0(VALU_DEP_1) | instskip(SKIP_2) | instid1(VALU_DEP_1)
	v_cndmask_b32_e64 v21, 0, v21, s0
	v_cmp_gt_i32_e64 s0, s31, v71
	s_wait_alu 0xf1ff
	v_cndmask_b32_e64 v22, 0, v22, s0
	v_cmp_gt_i32_e64 s0, s31, v70
	s_wait_alu 0xf1ff
	s_delay_alu instid0(VALU_DEP_1) | instskip(SKIP_2) | instid1(VALU_DEP_1)
	v_cndmask_b32_e64 v23, 0, v23, s0
	v_cmp_gt_i32_e64 s0, s31, v69
	s_wait_alu 0xf1ff
	v_cndmask_b32_e64 v24, 0, v24, s0
	s_or_b32 exec_lo, exec_lo, s9
	global_load_b128 v[25:28], v[37:38], off offset:2560
	s_and_saveexec_b32 s9, vcc_lo
	s_cbranch_execz .LBB29_49
.LBB29_58:                              ;   in Loop: Header=BB29_42 Depth=1
	v_cmp_gt_i32_e64 s0, s31, v68
	s_wait_loadcnt 0x0
	s_wait_alu 0xf1ff
	s_delay_alu instid0(VALU_DEP_1) | instskip(SKIP_2) | instid1(VALU_DEP_1)
	v_cndmask_b32_e64 v25, 0, v25, s0
	v_cmp_gt_i32_e64 s0, s31, v71
	s_wait_alu 0xf1ff
	v_cndmask_b32_e64 v26, 0, v26, s0
	v_cmp_gt_i32_e64 s0, s31, v70
	s_wait_alu 0xf1ff
	s_delay_alu instid0(VALU_DEP_1) | instskip(SKIP_2) | instid1(VALU_DEP_1)
	v_cndmask_b32_e64 v27, 0, v27, s0
	v_cmp_gt_i32_e64 s0, s31, v69
	s_wait_alu 0xf1ff
	v_cndmask_b32_e64 v28, 0, v28, s0
	s_or_b32 exec_lo, exec_lo, s9
	global_load_b128 v[29:32], v[37:38], off offset:3072
	s_and_saveexec_b32 s9, vcc_lo
	s_cbranch_execz .LBB29_50
.LBB29_59:                              ;   in Loop: Header=BB29_42 Depth=1
	v_cmp_gt_i32_e64 s0, s31, v68
	s_wait_loadcnt 0x0
	s_wait_alu 0xf1ff
	s_delay_alu instid0(VALU_DEP_1) | instskip(SKIP_2) | instid1(VALU_DEP_1)
	v_cndmask_b32_e64 v29, 0, v29, s0
	v_cmp_gt_i32_e64 s0, s31, v71
	s_wait_alu 0xf1ff
	v_cndmask_b32_e64 v30, 0, v30, s0
	v_cmp_gt_i32_e64 s0, s31, v70
	s_wait_alu 0xf1ff
	s_delay_alu instid0(VALU_DEP_1) | instskip(SKIP_2) | instid1(VALU_DEP_1)
	v_cndmask_b32_e64 v31, 0, v31, s0
	v_cmp_gt_i32_e64 s0, s31, v69
	s_wait_alu 0xf1ff
	v_cndmask_b32_e64 v32, 0, v32, s0
	s_or_b32 exec_lo, exec_lo, s9
	global_load_b128 v[33:36], v[37:38], off offset:3584
	s_and_saveexec_b32 s9, vcc_lo
	s_cbranch_execz .LBB29_51
.LBB29_60:                              ;   in Loop: Header=BB29_42 Depth=1
	v_cmp_gt_i32_e64 s0, s31, v68
	s_wait_loadcnt 0x0
	s_wait_alu 0xf1ff
	s_delay_alu instid0(VALU_DEP_1) | instskip(SKIP_2) | instid1(VALU_DEP_1)
	v_cndmask_b32_e64 v33, 0, v33, s0
	v_cmp_gt_i32_e64 s0, s31, v71
	s_wait_alu 0xf1ff
	v_cndmask_b32_e64 v34, 0, v34, s0
	v_cmp_gt_i32_e64 s0, s31, v70
	s_wait_alu 0xf1ff
	s_delay_alu instid0(VALU_DEP_1) | instskip(SKIP_2) | instid1(VALU_DEP_1)
	v_cndmask_b32_e64 v35, 0, v35, s0
	v_cmp_gt_i32_e64 s0, s31, v69
	s_wait_alu 0xf1ff
	v_cndmask_b32_e64 v36, 0, v36, s0
	s_or_b32 exec_lo, exec_lo, s9
	global_load_b128 v[41:44], v[37:38], off offset:4096
	s_and_saveexec_b32 s9, vcc_lo
	s_cbranch_execz .LBB29_52
.LBB29_61:                              ;   in Loop: Header=BB29_42 Depth=1
	v_cmp_gt_i32_e64 s0, s31, v68
	s_wait_loadcnt 0x0
	s_wait_alu 0xf1ff
	s_delay_alu instid0(VALU_DEP_1) | instskip(SKIP_2) | instid1(VALU_DEP_1)
	v_cndmask_b32_e64 v41, 0, v41, s0
	v_cmp_gt_i32_e64 s0, s31, v71
	s_wait_alu 0xf1ff
	v_cndmask_b32_e64 v42, 0, v42, s0
	v_cmp_gt_i32_e64 s0, s31, v70
	s_wait_alu 0xf1ff
	s_delay_alu instid0(VALU_DEP_1) | instskip(SKIP_2) | instid1(VALU_DEP_1)
	v_cndmask_b32_e64 v43, 0, v43, s0
	v_cmp_gt_i32_e64 s0, s31, v69
	s_wait_alu 0xf1ff
	v_cndmask_b32_e64 v44, 0, v44, s0
	s_or_b32 exec_lo, exec_lo, s9
	global_load_b128 v[37:40], v[37:38], off offset:4608
	s_and_saveexec_b32 s0, vcc_lo
	s_cbranch_execz .LBB29_40
.LBB29_62:                              ;   in Loop: Header=BB29_42 Depth=1
	v_cmp_gt_i32_e32 vcc_lo, s31, v68
	s_wait_loadcnt 0x0
	s_wait_alu 0xfffd
	v_cndmask_b32_e32 v37, 0, v37, vcc_lo
	v_cmp_gt_i32_e32 vcc_lo, s31, v71
	s_wait_alu 0xfffd
	v_cndmask_b32_e32 v38, 0, v38, vcc_lo
	v_cmp_gt_i32_e32 vcc_lo, s31, v70
	;; [unrolled: 3-line block ×3, first 2 shown]
	s_wait_alu 0xfffd
	v_cndmask_b32_e32 v40, 0, v40, vcc_lo
	s_branch .LBB29_40
.LBB29_63:
	s_or_b32 exec_lo, exec_lo, s5
.LBB29_64:
	s_wait_alu 0xfffe
	s_or_b32 exec_lo, exec_lo, s1
	ds_bpermute_b32 v1, v51, v62
	ds_bpermute_b32 v2, v51, v63
	;; [unrolled: 1-line block ×10, first 2 shown]
	v_lshrrev_b32_e32 v11, 2, v50
	v_mul_u32_u24_e32 v13, 0x140, v47
	s_mov_b32 s0, exec_lo
	s_wait_storecnt 0x0
	s_wait_loadcnt_dscnt 0x0
	s_barrier_signal -1
	s_barrier_wait -1
	global_inv scope:SCOPE_SE
	v_dual_add_f32 v1, v62, v1 :: v_dual_add_f32 v2, v63, v2
	v_dual_add_f32 v3, v61, v3 :: v_dual_add_f32 v4, v60, v4
	;; [unrolled: 1-line block ×5, first 2 shown]
	ds_bpermute_b32 v14, v52, v1
	ds_bpermute_b32 v15, v52, v2
	;; [unrolled: 1-line block ×10, first 2 shown]
	v_and_b32_e32 v12, 28, v50
	s_wait_dscnt 0x9
	v_dual_add_f32 v1, v1, v14 :: v_dual_and_b32 v24, 0x3c3, v0
	s_wait_dscnt 0x7
	v_dual_add_f32 v2, v2, v15 :: v_dual_add_f32 v3, v3, v16
	s_wait_dscnt 0x5
	v_dual_add_f32 v5, v5, v18 :: v_dual_add_nc_u32 v12, 0x160, v12
	v_add_f32_e32 v4, v4, v17
	s_wait_dscnt 0x3
	v_dual_add_f32 v6, v6, v19 :: v_dual_add_f32 v7, v7, v20
	s_wait_dscnt 0x1
	v_dual_add_f32 v8, v8, v21 :: v_dual_add_f32 v9, v9, v22
	s_wait_dscnt 0x0
	v_add_f32_e32 v10, v10, v23
	v_cmpx_eq_u32_e32 64, v24
	s_cbranch_execz .LBB29_66
; %bb.65:
	v_add_nc_u32_e32 v14, v12, v13
	s_delay_alu instid0(VALU_DEP_1)
	v_add_nc_u32_e32 v15, 0xfffffd80, v14
	v_add_nc_u32_e32 v16, 0xfffffda0, v14
	;; [unrolled: 1-line block ×10, first 2 shown]
	ds_store_b32 v15, v1
	ds_store_b32 v16, v2
	;; [unrolled: 1-line block ×10, first 2 shown]
.LBB29_66:
	s_wait_alu 0xfffe
	s_or_b32 exec_lo, exec_lo, s0
	v_lshlrev_b32_e32 v11, 2, v11
	s_mov_b32 s1, exec_lo
	v_cmp_eq_u32_e32 vcc_lo, 0, v53
	s_wait_loadcnt_dscnt 0x0
	s_barrier_signal -1
	v_add3_u32 v11, 0x160, v13, v11
	s_barrier_wait -1
	global_inv scope:SCOPE_SE
	v_cmpx_gt_u32_e32 64, v0
	s_cbranch_execz .LBB29_79
; %bb.67:
	s_and_saveexec_b32 s0, vcc_lo
	s_cbranch_execnz .LBB29_97
; %bb.68:
	s_wait_alu 0xfffe
	s_or_b32 exec_lo, exec_lo, s0
	s_and_saveexec_b32 s0, vcc_lo
	s_cbranch_execnz .LBB29_98
.LBB29_69:
	s_wait_alu 0xfffe
	s_or_b32 exec_lo, exec_lo, s0
	s_and_saveexec_b32 s0, vcc_lo
	s_cbranch_execnz .LBB29_99
.LBB29_70:
	s_wait_alu 0xfffe
	s_or_b32 exec_lo, exec_lo, s0
	s_and_saveexec_b32 s0, vcc_lo
	s_cbranch_execnz .LBB29_100
.LBB29_71:
	s_wait_alu 0xfffe
	s_or_b32 exec_lo, exec_lo, s0
	s_and_saveexec_b32 s0, vcc_lo
	s_cbranch_execnz .LBB29_101
.LBB29_72:
	s_wait_alu 0xfffe
	s_or_b32 exec_lo, exec_lo, s0
	s_and_saveexec_b32 s0, vcc_lo
	s_cbranch_execnz .LBB29_102
.LBB29_73:
	s_wait_alu 0xfffe
	s_or_b32 exec_lo, exec_lo, s0
	s_and_saveexec_b32 s0, vcc_lo
	s_cbranch_execnz .LBB29_103
.LBB29_74:
	s_wait_alu 0xfffe
	s_or_b32 exec_lo, exec_lo, s0
	s_and_saveexec_b32 s0, vcc_lo
	s_cbranch_execnz .LBB29_104
.LBB29_75:
	s_wait_alu 0xfffe
	s_or_b32 exec_lo, exec_lo, s0
	s_and_saveexec_b32 s0, vcc_lo
	s_cbranch_execnz .LBB29_105
.LBB29_76:
	s_wait_alu 0xfffe
	s_or_b32 exec_lo, exec_lo, s0
	s_and_saveexec_b32 s0, vcc_lo
	s_cbranch_execz .LBB29_78
.LBB29_77:
	ds_load_b32 v13, v11 offset:288
	s_wait_dscnt 0x0
	v_add_f32_e32 v10, v10, v13
.LBB29_78:
	s_wait_alu 0xfffe
	s_or_b32 exec_lo, exec_lo, s0
.LBB29_79:
	s_wait_alu 0xfffe
	s_or_b32 exec_lo, exec_lo, s1
	v_and_b32_e32 v13, 0x3e3, v0
	s_mov_b32 s1, exec_lo
	s_wait_loadcnt 0x0
	s_barrier_signal -1
	s_barrier_wait -1
	global_inv scope:SCOPE_SE
	v_cmpx_eq_u32_e32 32, v13
	s_cbranch_execz .LBB29_81
; %bb.80:
	ds_store_2addr_b32 v12, v1, v2 offset1:8
	ds_store_2addr_b32 v12, v3, v4 offset0:16 offset1:24
	ds_store_2addr_b32 v12, v5, v6 offset0:32 offset1:40
	ds_store_2addr_b32 v12, v7, v8 offset0:48 offset1:56
	ds_store_2addr_b32 v12, v9, v10 offset0:64 offset1:72
.LBB29_81:
	s_wait_alu 0xfffe
	s_or_b32 exec_lo, exec_lo, s1
	s_delay_alu instid0(SALU_CYCLE_1)
	s_mov_b32 s1, exec_lo
	s_wait_loadcnt_dscnt 0x0
	s_barrier_signal -1
	s_barrier_wait -1
	global_inv scope:SCOPE_SE
	v_cmpx_gt_u32_e32 32, v0
	s_cbranch_execz .LBB29_94
; %bb.82:
	s_and_saveexec_b32 s0, vcc_lo
	s_cbranch_execnz .LBB29_106
; %bb.83:
	s_wait_alu 0xfffe
	s_or_b32 exec_lo, exec_lo, s0
	s_and_saveexec_b32 s0, vcc_lo
	s_cbranch_execnz .LBB29_107
.LBB29_84:
	s_wait_alu 0xfffe
	s_or_b32 exec_lo, exec_lo, s0
	s_and_saveexec_b32 s0, vcc_lo
	s_cbranch_execnz .LBB29_108
.LBB29_85:
	s_wait_alu 0xfffe
	s_or_b32 exec_lo, exec_lo, s0
	s_and_saveexec_b32 s0, vcc_lo
	s_cbranch_execnz .LBB29_109
.LBB29_86:
	s_wait_alu 0xfffe
	s_or_b32 exec_lo, exec_lo, s0
	s_and_saveexec_b32 s0, vcc_lo
	s_cbranch_execnz .LBB29_110
.LBB29_87:
	s_wait_alu 0xfffe
	s_or_b32 exec_lo, exec_lo, s0
	s_and_saveexec_b32 s0, vcc_lo
	s_cbranch_execnz .LBB29_111
.LBB29_88:
	s_wait_alu 0xfffe
	s_or_b32 exec_lo, exec_lo, s0
	s_and_saveexec_b32 s0, vcc_lo
	s_cbranch_execnz .LBB29_112
.LBB29_89:
	s_wait_alu 0xfffe
	s_or_b32 exec_lo, exec_lo, s0
	s_and_saveexec_b32 s0, vcc_lo
	s_cbranch_execnz .LBB29_113
.LBB29_90:
	s_wait_alu 0xfffe
	s_or_b32 exec_lo, exec_lo, s0
	s_and_saveexec_b32 s0, vcc_lo
	s_cbranch_execnz .LBB29_114
.LBB29_91:
	s_wait_alu 0xfffe
	s_or_b32 exec_lo, exec_lo, s0
	s_and_saveexec_b32 s0, vcc_lo
	s_cbranch_execz .LBB29_93
.LBB29_92:
	ds_load_b32 v11, v11 offset:288
	s_wait_dscnt 0x0
	v_add_f32_e32 v10, v10, v11
.LBB29_93:
	s_wait_alu 0xfffe
	s_or_b32 exec_lo, exec_lo, s0
.LBB29_94:
	s_wait_alu 0xfffe
	s_or_b32 exec_lo, exec_lo, s1
	s_mov_b32 s1, 0
	s_wait_loadcnt 0x0
	s_barrier_signal -1
	s_barrier_wait -1
	global_inv scope:SCOPE_SE
	s_mov_b32 s0, exec_lo
	v_cmpx_eq_u32_e32 0, v13
	s_cbranch_execz .LBB29_96
; %bb.95:
	s_mul_i32 s2, s20, 0x50
	s_wait_kmcnt 0x0
	s_mul_i32 s4, s8, s16
	s_wait_alu 0xfffe
	s_ashr_i32 s3, s2, 31
	s_ashr_i32 s5, s4, 31
	s_wait_alu 0xfffe
	s_lshl_b64 s[2:3], s[2:3], 2
	s_lshl_b64 s[4:5], s[4:5], 2
	s_wait_alu 0xfffe
	s_add_nc_u64 s[2:3], s[14:15], s[2:3]
	s_mul_i32 s0, s30, 0x140
	s_wait_alu 0xfffe
	s_add_nc_u64 s[2:3], s[2:3], s[4:5]
	s_wait_alu 0xfffe
	s_add_nc_u64 s[0:1], s[2:3], s[0:1]
	s_clause 0x9
	global_store_b32 v0, v1, s[0:1]
	global_store_b32 v0, v2, s[0:1] offset:32
	global_store_b32 v0, v3, s[0:1] offset:64
	;; [unrolled: 1-line block ×9, first 2 shown]
.LBB29_96:
	s_endpgm
.LBB29_97:
	ds_load_b32 v13, v11
	s_wait_dscnt 0x0
	v_add_f32_e32 v1, v1, v13
	s_wait_alu 0xfffe
	s_or_b32 exec_lo, exec_lo, s0
	s_and_saveexec_b32 s0, vcc_lo
	s_cbranch_execz .LBB29_69
.LBB29_98:
	ds_load_b32 v13, v11 offset:32
	s_wait_dscnt 0x0
	v_add_f32_e32 v2, v2, v13
	s_wait_alu 0xfffe
	s_or_b32 exec_lo, exec_lo, s0
	s_and_saveexec_b32 s0, vcc_lo
	s_cbranch_execz .LBB29_70
.LBB29_99:
	ds_load_b32 v13, v11 offset:64
	s_wait_dscnt 0x0
	v_add_f32_e32 v3, v3, v13
	s_wait_alu 0xfffe
	s_or_b32 exec_lo, exec_lo, s0
	s_and_saveexec_b32 s0, vcc_lo
	s_cbranch_execz .LBB29_71
.LBB29_100:
	ds_load_b32 v13, v11 offset:96
	s_wait_dscnt 0x0
	v_add_f32_e32 v4, v4, v13
	s_wait_alu 0xfffe
	s_or_b32 exec_lo, exec_lo, s0
	s_and_saveexec_b32 s0, vcc_lo
	s_cbranch_execz .LBB29_72
.LBB29_101:
	ds_load_b32 v13, v11 offset:128
	s_wait_dscnt 0x0
	v_add_f32_e32 v5, v5, v13
	s_wait_alu 0xfffe
	s_or_b32 exec_lo, exec_lo, s0
	s_and_saveexec_b32 s0, vcc_lo
	s_cbranch_execz .LBB29_73
.LBB29_102:
	ds_load_b32 v13, v11 offset:160
	s_wait_dscnt 0x0
	v_add_f32_e32 v6, v6, v13
	s_wait_alu 0xfffe
	s_or_b32 exec_lo, exec_lo, s0
	s_and_saveexec_b32 s0, vcc_lo
	s_cbranch_execz .LBB29_74
.LBB29_103:
	ds_load_b32 v13, v11 offset:192
	s_wait_dscnt 0x0
	v_add_f32_e32 v7, v7, v13
	s_wait_alu 0xfffe
	s_or_b32 exec_lo, exec_lo, s0
	s_and_saveexec_b32 s0, vcc_lo
	s_cbranch_execz .LBB29_75
.LBB29_104:
	ds_load_b32 v13, v11 offset:224
	s_wait_dscnt 0x0
	v_add_f32_e32 v8, v8, v13
	s_wait_alu 0xfffe
	s_or_b32 exec_lo, exec_lo, s0
	s_and_saveexec_b32 s0, vcc_lo
	s_cbranch_execz .LBB29_76
.LBB29_105:
	ds_load_b32 v13, v11 offset:256
	s_wait_dscnt 0x0
	v_add_f32_e32 v9, v9, v13
	s_wait_alu 0xfffe
	s_or_b32 exec_lo, exec_lo, s0
	s_and_saveexec_b32 s0, vcc_lo
	s_cbranch_execnz .LBB29_77
	s_branch .LBB29_78
.LBB29_106:
	ds_load_b32 v12, v11
	s_wait_dscnt 0x0
	v_add_f32_e32 v1, v1, v12
	s_wait_alu 0xfffe
	s_or_b32 exec_lo, exec_lo, s0
	s_and_saveexec_b32 s0, vcc_lo
	s_cbranch_execz .LBB29_84
.LBB29_107:
	ds_load_b32 v12, v11 offset:32
	s_wait_dscnt 0x0
	v_add_f32_e32 v2, v2, v12
	s_wait_alu 0xfffe
	s_or_b32 exec_lo, exec_lo, s0
	s_and_saveexec_b32 s0, vcc_lo
	s_cbranch_execz .LBB29_85
.LBB29_108:
	ds_load_b32 v12, v11 offset:64
	s_wait_dscnt 0x0
	v_add_f32_e32 v3, v3, v12
	s_wait_alu 0xfffe
	s_or_b32 exec_lo, exec_lo, s0
	s_and_saveexec_b32 s0, vcc_lo
	s_cbranch_execz .LBB29_86
.LBB29_109:
	ds_load_b32 v12, v11 offset:96
	s_wait_dscnt 0x0
	v_add_f32_e32 v4, v4, v12
	s_wait_alu 0xfffe
	s_or_b32 exec_lo, exec_lo, s0
	s_and_saveexec_b32 s0, vcc_lo
	s_cbranch_execz .LBB29_87
.LBB29_110:
	ds_load_b32 v12, v11 offset:128
	s_wait_dscnt 0x0
	v_add_f32_e32 v5, v5, v12
	s_wait_alu 0xfffe
	s_or_b32 exec_lo, exec_lo, s0
	s_and_saveexec_b32 s0, vcc_lo
	s_cbranch_execz .LBB29_88
.LBB29_111:
	ds_load_b32 v12, v11 offset:160
	s_wait_dscnt 0x0
	v_add_f32_e32 v6, v6, v12
	s_wait_alu 0xfffe
	s_or_b32 exec_lo, exec_lo, s0
	s_and_saveexec_b32 s0, vcc_lo
	s_cbranch_execz .LBB29_89
.LBB29_112:
	ds_load_b32 v12, v11 offset:192
	s_wait_dscnt 0x0
	v_add_f32_e32 v7, v7, v12
	s_wait_alu 0xfffe
	s_or_b32 exec_lo, exec_lo, s0
	s_and_saveexec_b32 s0, vcc_lo
	s_cbranch_execz .LBB29_90
.LBB29_113:
	ds_load_b32 v12, v11 offset:224
	s_wait_dscnt 0x0
	v_add_f32_e32 v8, v8, v12
	s_wait_alu 0xfffe
	s_or_b32 exec_lo, exec_lo, s0
	s_and_saveexec_b32 s0, vcc_lo
	s_cbranch_execz .LBB29_91
.LBB29_114:
	ds_load_b32 v12, v11 offset:256
	s_wait_dscnt 0x0
	v_add_f32_e32 v9, v9, v12
	s_wait_alu 0xfffe
	s_or_b32 exec_lo, exec_lo, s0
	s_and_saveexec_b32 s0, vcc_lo
	s_cbranch_execnz .LBB29_92
	s_branch .LBB29_93
	.section	.rodata,"a",@progbits
	.p2align	6, 0x0
	.amdhsa_kernel _ZN4vllm25paged_attention_v2_kernelIffLi80ELi16ELi128ELNS_18Fp8KVCacheDataTypeE0ELb1ELi512EEEvPfS2_PT_PKS3_PKT0_S9_ifPKiSB_iPKfiiiSD_SD_iiiii
		.amdhsa_group_segment_fixed_size 352
		.amdhsa_private_segment_fixed_size 0
		.amdhsa_kernarg_size 400
		.amdhsa_user_sgpr_count 2
		.amdhsa_user_sgpr_dispatch_ptr 0
		.amdhsa_user_sgpr_queue_ptr 0
		.amdhsa_user_sgpr_kernarg_segment_ptr 1
		.amdhsa_user_sgpr_dispatch_id 0
		.amdhsa_user_sgpr_private_segment_size 0
		.amdhsa_wavefront_size32 1
		.amdhsa_uses_dynamic_stack 0
		.amdhsa_enable_private_segment 0
		.amdhsa_system_sgpr_workgroup_id_x 1
		.amdhsa_system_sgpr_workgroup_id_y 1
		.amdhsa_system_sgpr_workgroup_id_z 1
		.amdhsa_system_sgpr_workgroup_info 0
		.amdhsa_system_vgpr_workitem_id 0
		.amdhsa_next_free_vgpr 72
		.amdhsa_next_free_sgpr 42
		.amdhsa_reserve_vcc 1
		.amdhsa_float_round_mode_32 0
		.amdhsa_float_round_mode_16_64 0
		.amdhsa_float_denorm_mode_32 3
		.amdhsa_float_denorm_mode_16_64 3
		.amdhsa_fp16_overflow 0
		.amdhsa_workgroup_processor_mode 1
		.amdhsa_memory_ordered 1
		.amdhsa_forward_progress 1
		.amdhsa_inst_pref_size 61
		.amdhsa_round_robin_scheduling 0
		.amdhsa_exception_fp_ieee_invalid_op 0
		.amdhsa_exception_fp_denorm_src 0
		.amdhsa_exception_fp_ieee_div_zero 0
		.amdhsa_exception_fp_ieee_overflow 0
		.amdhsa_exception_fp_ieee_underflow 0
		.amdhsa_exception_fp_ieee_inexact 0
		.amdhsa_exception_int_div_zero 0
	.end_amdhsa_kernel
	.section	.text._ZN4vllm25paged_attention_v2_kernelIffLi80ELi16ELi128ELNS_18Fp8KVCacheDataTypeE0ELb1ELi512EEEvPfS2_PT_PKS3_PKT0_S9_ifPKiSB_iPKfiiiSD_SD_iiiii,"axG",@progbits,_ZN4vllm25paged_attention_v2_kernelIffLi80ELi16ELi128ELNS_18Fp8KVCacheDataTypeE0ELb1ELi512EEEvPfS2_PT_PKS3_PKT0_S9_ifPKiSB_iPKfiiiSD_SD_iiiii,comdat
.Lfunc_end29:
	.size	_ZN4vllm25paged_attention_v2_kernelIffLi80ELi16ELi128ELNS_18Fp8KVCacheDataTypeE0ELb1ELi512EEEvPfS2_PT_PKS3_PKT0_S9_ifPKiSB_iPKfiiiSD_SD_iiiii, .Lfunc_end29-_ZN4vllm25paged_attention_v2_kernelIffLi80ELi16ELi128ELNS_18Fp8KVCacheDataTypeE0ELb1ELi512EEEvPfS2_PT_PKS3_PKT0_S9_ifPKiSB_iPKfiiiSD_SD_iiiii
                                        ; -- End function
	.set _ZN4vllm25paged_attention_v2_kernelIffLi80ELi16ELi128ELNS_18Fp8KVCacheDataTypeE0ELb1ELi512EEEvPfS2_PT_PKS3_PKT0_S9_ifPKiSB_iPKfiiiSD_SD_iiiii.num_vgpr, 72
	.set _ZN4vllm25paged_attention_v2_kernelIffLi80ELi16ELi128ELNS_18Fp8KVCacheDataTypeE0ELb1ELi512EEEvPfS2_PT_PKS3_PKT0_S9_ifPKiSB_iPKfiiiSD_SD_iiiii.num_agpr, 0
	.set _ZN4vllm25paged_attention_v2_kernelIffLi80ELi16ELi128ELNS_18Fp8KVCacheDataTypeE0ELb1ELi512EEEvPfS2_PT_PKS3_PKT0_S9_ifPKiSB_iPKfiiiSD_SD_iiiii.numbered_sgpr, 42
	.set _ZN4vllm25paged_attention_v2_kernelIffLi80ELi16ELi128ELNS_18Fp8KVCacheDataTypeE0ELb1ELi512EEEvPfS2_PT_PKS3_PKT0_S9_ifPKiSB_iPKfiiiSD_SD_iiiii.num_named_barrier, 0
	.set _ZN4vllm25paged_attention_v2_kernelIffLi80ELi16ELi128ELNS_18Fp8KVCacheDataTypeE0ELb1ELi512EEEvPfS2_PT_PKS3_PKT0_S9_ifPKiSB_iPKfiiiSD_SD_iiiii.private_seg_size, 0
	.set _ZN4vllm25paged_attention_v2_kernelIffLi80ELi16ELi128ELNS_18Fp8KVCacheDataTypeE0ELb1ELi512EEEvPfS2_PT_PKS3_PKT0_S9_ifPKiSB_iPKfiiiSD_SD_iiiii.uses_vcc, 1
	.set _ZN4vllm25paged_attention_v2_kernelIffLi80ELi16ELi128ELNS_18Fp8KVCacheDataTypeE0ELb1ELi512EEEvPfS2_PT_PKS3_PKT0_S9_ifPKiSB_iPKfiiiSD_SD_iiiii.uses_flat_scratch, 0
	.set _ZN4vllm25paged_attention_v2_kernelIffLi80ELi16ELi128ELNS_18Fp8KVCacheDataTypeE0ELb1ELi512EEEvPfS2_PT_PKS3_PKT0_S9_ifPKiSB_iPKfiiiSD_SD_iiiii.has_dyn_sized_stack, 0
	.set _ZN4vllm25paged_attention_v2_kernelIffLi80ELi16ELi128ELNS_18Fp8KVCacheDataTypeE0ELb1ELi512EEEvPfS2_PT_PKS3_PKT0_S9_ifPKiSB_iPKfiiiSD_SD_iiiii.has_recursion, 0
	.set _ZN4vllm25paged_attention_v2_kernelIffLi80ELi16ELi128ELNS_18Fp8KVCacheDataTypeE0ELb1ELi512EEEvPfS2_PT_PKS3_PKT0_S9_ifPKiSB_iPKfiiiSD_SD_iiiii.has_indirect_call, 0
	.section	.AMDGPU.csdata,"",@progbits
; Kernel info:
; codeLenInByte = 7792
; TotalNumSgprs: 44
; NumVgprs: 72
; ScratchSize: 0
; MemoryBound: 0
; FloatMode: 240
; IeeeMode: 1
; LDSByteSize: 352 bytes/workgroup (compile time only)
; SGPRBlocks: 0
; VGPRBlocks: 8
; NumSGPRsForWavesPerEU: 44
; NumVGPRsForWavesPerEU: 72
; Occupancy: 16
; WaveLimiterHint : 1
; COMPUTE_PGM_RSRC2:SCRATCH_EN: 0
; COMPUTE_PGM_RSRC2:USER_SGPR: 2
; COMPUTE_PGM_RSRC2:TRAP_HANDLER: 0
; COMPUTE_PGM_RSRC2:TGID_X_EN: 1
; COMPUTE_PGM_RSRC2:TGID_Y_EN: 1
; COMPUTE_PGM_RSRC2:TGID_Z_EN: 1
; COMPUTE_PGM_RSRC2:TIDIG_COMP_CNT: 0
	.section	.text._ZN4vllm25paged_attention_v2_kernelIffLi96ELi16ELi128ELNS_18Fp8KVCacheDataTypeE0ELb1ELi512EEEvPfS2_PT_PKS3_PKT0_S9_ifPKiSB_iPKfiiiSD_SD_iiiii,"axG",@progbits,_ZN4vllm25paged_attention_v2_kernelIffLi96ELi16ELi128ELNS_18Fp8KVCacheDataTypeE0ELb1ELi512EEEvPfS2_PT_PKS3_PKT0_S9_ifPKiSB_iPKfiiiSD_SD_iiiii,comdat
	.protected	_ZN4vllm25paged_attention_v2_kernelIffLi96ELi16ELi128ELNS_18Fp8KVCacheDataTypeE0ELb1ELi512EEEvPfS2_PT_PKS3_PKT0_S9_ifPKiSB_iPKfiiiSD_SD_iiiii ; -- Begin function _ZN4vllm25paged_attention_v2_kernelIffLi96ELi16ELi128ELNS_18Fp8KVCacheDataTypeE0ELb1ELi512EEEvPfS2_PT_PKS3_PKT0_S9_ifPKiSB_iPKfiiiSD_SD_iiiii
	.globl	_ZN4vllm25paged_attention_v2_kernelIffLi96ELi16ELi128ELNS_18Fp8KVCacheDataTypeE0ELb1ELi512EEEvPfS2_PT_PKS3_PKT0_S9_ifPKiSB_iPKfiiiSD_SD_iiiii
	.p2align	8
	.type	_ZN4vllm25paged_attention_v2_kernelIffLi96ELi16ELi128ELNS_18Fp8KVCacheDataTypeE0ELb1ELi512EEEvPfS2_PT_PKS3_PKT0_S9_ifPKiSB_iPKfiiiSD_SD_iiiii,@function
_ZN4vllm25paged_attention_v2_kernelIffLi96ELi16ELi128ELNS_18Fp8KVCacheDataTypeE0ELb1ELi512EEEvPfS2_PT_PKS3_PKT0_S9_ifPKiSB_iPKfiiiSD_SD_iiiii: ; @_ZN4vllm25paged_attention_v2_kernelIffLi96ELi16ELi128ELNS_18Fp8KVCacheDataTypeE0ELb1ELi512EEEvPfS2_PT_PKS3_PKT0_S9_ifPKiSB_iPKfiiiSD_SD_iiiii
; %bb.0:
	s_load_b64 s[2:3], s[0:1], 0x40
	s_and_b32 s20, ttmp7, 0xffff
	s_lshr_b32 s30, ttmp7, 16
	s_lshl_b32 s4, s20, 2
	s_lshl_b32 s33, s30, 9
	s_wait_kmcnt 0x0
	s_load_b32 s31, s[2:3], s4 offset:0x0
	s_wait_kmcnt 0x0
	s_cmp_ge_i32 s33, s31
	s_cbranch_scc1 .LBB30_104
; %bb.1:
	s_clause 0x1
	s_load_b32 s21, s[0:1], 0x90
	s_load_b64 s[6:7], s[0:1], 0x30
	s_wait_kmcnt 0x0
	s_abs_i32 s5, s21
	s_abs_i32 s2, s6
	s_delay_alu instid0(SALU_CYCLE_1) | instskip(SKIP_1) | instid1(SALU_CYCLE_2)
	s_cvt_f32_u32 s3, s2
	s_sub_co_i32 s4, 0, s2
	v_rcp_iflag_f32_e32 v1, s3
	s_delay_alu instid0(TRANS32_DEP_1) | instskip(SKIP_2) | instid1(SALU_CYCLE_2)
	v_readfirstlane_b32 s3, v1
	s_mul_f32 s3, s3, 0x4f7ffffe
	s_wait_alu 0xfffe
	s_cvt_u32_f32 s3, s3
	s_wait_alu 0xfffe
	s_delay_alu instid0(SALU_CYCLE_2) | instskip(NEXT) | instid1(SALU_CYCLE_1)
	s_mul_i32 s4, s4, s3
	s_mul_hi_u32 s4, s3, s4
	s_delay_alu instid0(SALU_CYCLE_1)
	s_add_co_i32 s3, s3, s4
	s_xor_b32 s4, s21, s6
	s_wait_alu 0xfffe
	s_mul_hi_u32 s3, s5, s3
	s_ashr_i32 s4, s4, 31
	s_wait_alu 0xfffe
	s_mul_i32 s8, s3, s2
	s_delay_alu instid0(SALU_CYCLE_1)
	s_sub_co_i32 s5, s5, s8
	s_add_co_i32 s8, s3, 1
	s_sub_co_i32 s9, s5, s2
	s_cmp_ge_u32 s5, s2
	s_cselect_b32 s3, s8, s3
	s_cselect_b32 s5, s9, s5
	s_wait_alu 0xfffe
	s_add_co_i32 s8, s3, 1
	s_cmp_ge_u32 s5, s2
	s_cselect_b32 s2, s8, s3
	s_load_b64 s[8:9], s[0:1], 0x50
	s_xor_b32 s2, s2, s4
	s_mov_b32 s3, 0
	s_wait_alu 0xfffe
	s_sub_co_i32 s10, s2, s4
	s_mov_b32 s15, s3
	s_abs_i32 s18, s10
	s_delay_alu instid0(SALU_CYCLE_1) | instskip(SKIP_1) | instid1(SALU_CYCLE_2)
	s_cvt_f32_u32 s2, s18
	s_wait_alu 0xfffe
	v_rcp_iflag_f32_e32 v1, s2
	s_delay_alu instid0(TRANS32_DEP_1) | instskip(SKIP_2) | instid1(SALU_CYCLE_2)
	v_readfirstlane_b32 s2, v1
	s_mul_f32 s2, s2, 0x4f7ffffe
	s_wait_alu 0xfffe
	s_cvt_u32_f32 s4, s2
	s_sub_co_i32 s2, 0, s18
	s_wait_alu 0xfffe
	s_delay_alu instid0(SALU_CYCLE_1)
	s_mul_i32 s2, s2, s4
	s_wait_alu 0xfffe
	s_mul_hi_u32 s5, s4, s2
	s_abs_i32 s2, ttmp9
	s_add_co_i32 s4, s4, s5
	s_mov_b32 s5, s3
	s_wait_kmcnt 0x0
	s_cmp_eq_u64 s[8:9], 0
	s_cbranch_scc1 .LBB30_3
; %bb.2:
	s_mov_b32 s12, ttmp9
	s_ashr_i32 s13, ttmp9, 31
	s_delay_alu instid0(SALU_CYCLE_1) | instskip(NEXT) | instid1(SALU_CYCLE_1)
	s_lshl_b64 s[12:13], s[12:13], 2
	s_add_nc_u64 s[8:9], s[8:9], s[12:13]
	s_load_b32 s15, s[8:9], 0x0
.LBB30_3:
	s_load_b96 s[12:14], s[0:1], 0x58
	v_and_b32_e32 v1, 1, v0
	v_lshlrev_b32_e32 v2, 3, v0
	v_lshlrev_b32_e32 v3, 2, v0
	s_mul_u64 s[4:5], s[2:3], s[4:5]
	s_ashr_i32 s3, ttmp9, 31
	s_ashr_i32 s4, s10, 31
	s_mul_i32 s16, ttmp9, 0x60
	s_mov_b32 s8, exec_lo
	v_cmpx_gt_u32_e32 48, v0
	s_cbranch_execz .LBB30_5
; %bb.4:
	s_load_b64 s[10:11], s[0:1], 0x18
	s_wait_kmcnt 0x0
	s_mul_i32 s22, s12, s20
	s_ashr_i32 s17, s16, 31
	s_ashr_i32 s23, s22, 31
	v_and_b32_e32 v6, 0xff8, v3
	s_lshl_b64 s[22:23], s[22:23], 2
	s_delay_alu instid0(VALU_DEP_1) | instskip(SKIP_2) | instid1(SALU_CYCLE_1)
	v_mad_u32_u24 v6, 0xc0, v1, v6
	s_add_nc_u64 s[10:11], s[10:11], s[22:23]
	s_lshl_b64 s[22:23], s[16:17], 2
	s_add_nc_u64 s[10:11], s[10:11], s[22:23]
	global_load_b64 v[4:5], v2, s[10:11]
	s_wait_loadcnt 0x0
	ds_store_b64 v6, v[4:5]
.LBB30_5:
	s_or_b32 exec_lo, exec_lo, s8
	s_clause 0x1
	s_load_b128 s[8:11], s[0:1], 0x78
	s_load_b32 s22, s[0:1], 0x88
	s_wait_kmcnt 0x0
	s_mul_i32 s12, s5, s18
	s_xor_b32 s3, s3, s4
	s_sub_co_i32 s2, s2, s12
	s_add_co_i32 s4, s5, 1
	s_wait_alu 0xfffe
	s_sub_co_i32 s12, s2, s18
	s_cmp_ge_u32 s2, s18
	s_mov_b32 s24, -1
	s_cselect_b32 s4, s4, s5
	s_cselect_b32 s2, s12, s2
	s_add_co_i32 s5, s4, 1
	s_wait_alu 0xfffe
	s_cmp_ge_u32 s2, s18
	s_wait_dscnt 0x0
	s_cselect_b32 s2, s5, s4
	s_add_co_i32 s23, s31, -1
	s_wait_alu 0xfffe
	s_xor_b32 s2, s2, s3
	s_barrier_signal -1
	s_wait_alu 0xfffe
	s_sub_co_i32 s26, s2, s3
	s_barrier_wait -1
	s_abs_i32 s12, s11
	global_inv scope:SCOPE_SE
	s_cvt_f32_u32 s4, s12
                                        ; implicit-def: $sgpr17
	s_delay_alu instid0(SALU_CYCLE_3) | instskip(NEXT) | instid1(TRANS32_DEP_1)
	v_rcp_iflag_f32_e32 v4, s4
	v_readfirstlane_b32 s4, v4
	s_mul_f32 s2, s4, 0x4f7ffffe
	s_wait_alu 0xfffe
	s_delay_alu instid0(SALU_CYCLE_2) | instskip(SKIP_2) | instid1(SALU_CYCLE_1)
	s_cvt_u32_f32 s4, s2
	s_sub_co_i32 s2, 0, s12
	s_wait_alu 0xfffe
	s_mul_i32 s3, s2, s4
	s_abs_i32 s2, s23
	s_wait_alu 0xfffe
	s_mul_hi_u32 s5, s4, s3
	s_mov_b32 s3, 0
	s_wait_alu 0xfffe
	s_add_co_i32 s18, s4, s5
	s_cmp_lt_i32 s22, 0
	s_mov_b32 s19, s3
	s_cbranch_scc0 .LBB30_7
; %bb.6:
	s_mul_i32 s4, s8, s6
	s_mov_b32 s24, s3
	s_wait_alu 0xfffe
	s_add_co_i32 s4, s26, s4
	s_wait_alu 0xfffe
	s_mul_i32 s4, s4, s22
	s_wait_alu 0xfffe
	s_sub_co_i32 s17, 1, s4
.LBB30_7:
	s_mul_u64 s[4:5], s[2:3], s[18:19]
	s_ashr_i32 s3, s23, 31
	s_and_not1_b32 vcc_lo, exec_lo, s24
	s_ashr_i32 s11, s11, 31
	s_cbranch_vccnz .LBB30_9
; %bb.8:
	s_mul_i32 s4, s21, s8
	s_wait_alu 0xfffe
	s_add_co_i32 s4, s4, ttmp9
	s_wait_alu 0xfffe
	s_mul_i32 s4, s4, s22
	s_wait_alu 0xfffe
	s_add_co_i32 s17, s4, 1
.LBB30_9:
	s_clause 0x2
	s_load_b32 s4, s[0:1], 0x48
	s_load_b64 s[22:23], s[0:1], 0x38
	s_load_b32 s8, s[0:1], 0x98
	s_mul_i32 s6, s5, s12
	s_xor_b32 s3, s3, s11
	s_sub_co_i32 s2, s2, s6
	s_add_co_i32 s19, s5, 1
	v_lshrrev_b32_e32 v55, 5, v0
	v_mov_b32_e32 v6, 0xff7fffff
	v_mbcnt_lo_u32_b32 v5, -1, 0
	s_mul_i32 s26, s26, s14
	s_delay_alu instid0(VALU_DEP_3)
	v_lshl_add_u32 v56, v55, 4, s33
	s_wait_kmcnt 0x0
	s_mul_i32 s24, s4, s20
	s_wait_alu 0xfffe
	s_sub_co_i32 s4, s2, s12
	s_ashr_i32 s25, s24, 31
	s_cmp_ge_u32 s2, s12
	s_cselect_b32 s5, s19, s5
	s_wait_alu 0xfffe
	s_cselect_b32 s2, s4, s2
	s_add_co_i32 s4, s5, 1
	s_wait_alu 0xfffe
	s_cmp_ge_u32 s2, s12
	s_cselect_b32 s2, s4, s5
	s_add_co_i32 s4, s31, 15
	s_lshl_b32 s36, s30, 5
	s_wait_alu 0xfffe
	s_ashr_i32 s5, s4, 31
	v_or_b32_e32 v57, s36, v55
	s_wait_alu 0xfffe
	s_lshr_b32 s5, s5, 28
	s_wait_alu 0xfffe
	s_add_co_i32 s4, s4, s5
	s_add_co_i32 s5, s36, 32
	s_wait_alu 0xfffe
	s_ashr_i32 s34, s4, 4
	s_xor_b32 s4, s2, s3
	s_min_i32 s19, s5, s34
	v_lshlrev_b32_e32 v4, 2, v57
	v_cmp_gt_i32_e64 s2, s19, v57
	s_wait_alu 0xfffe
	s_sub_co_i32 s35, s4, s3
	s_and_saveexec_b32 s6, s2
	s_cbranch_execz .LBB30_21
; %bb.10:
	s_ashr_i32 s27, s26, 31
	s_sub_co_i32 s14, s35, s9
	s_lshl_b64 s[4:5], s[26:27], 2
	s_cmp_neq_f32 s15, 0
	s_load_b64 s[38:39], s[0:1], 0x20
	v_bfe_u32 v7, v0, 1, 4
	v_mul_u32_u24_e32 v8, 0xc0, v1
	s_cselect_b32 vcc_lo, -1, 0
	s_abs_i32 s27, s10
	v_and_b32_e32 v2, 8, v2
	s_cvt_f32_u32 s3, s27
	v_lshlrev_b32_e32 v9, 4, v7
	s_lshl_b64 s[40:41], s[24:25], 2
	v_mov_b32_e32 v14, 0xff7fffff
	s_wait_alu 0xfffe
	v_rcp_iflag_f32_e32 v6, s3
	v_cmp_eq_u32_e64 s3, 0, v1
	v_lshlrev_b32_e32 v1, 2, v7
	v_subrev_nc_u32_e32 v12, s31, v7
	s_add_nc_u64 s[40:41], s[22:23], s[40:41]
	s_sub_co_i32 s37, 0, s27
	v_lshl_add_u32 v11, v55, 4, s33
	v_xor_b32_e32 v15, 1, v5
	v_add_nc_u32_e32 v12, 1, v12
	s_mov_b32 s28, 0
	v_readfirstlane_b32 s29, v6
	v_lshl_or_b32 v6, v55, 6, v1
	s_wait_kmcnt 0x0
	s_add_nc_u64 s[4:5], s[38:39], s[4:5]
	v_mov_b32_e32 v16, v57
	s_mul_f32 s29, s29, 0x4f7ffffe
	v_add_nc_u32_e32 v13, 0x1a0, v6
	v_mov_b32_e32 v6, 0xff7fffff
	s_wait_alu 0xfffe
	v_add_co_u32 v1, s4, s4, v9
	s_wait_alu 0xf1ff
	v_add_co_ci_u32_e64 v10, null, s5, 0, s4
	s_cvt_u32_f32 s5, s29
	v_add_co_u32 v9, s4, v1, v2
	s_wait_alu 0xf1ff
	v_add_co_ci_u32_e64 v10, null, 0, v10, s4
	v_add_co_u32 v1, s4, s40, v4
	s_wait_alu 0xfffe
	s_mul_i32 s37, s37, s5
	v_add_co_ci_u32_e64 v2, null, s41, 0, s4
	s_wait_alu 0xfffe
	s_mul_hi_u32 s4, s5, s37
	s_mov_b32 s29, s13
	s_wait_alu 0xfffe
	s_add_co_i32 s37, s5, s4
	s_branch .LBB30_13
.LBB30_11:                              ;   in Loop: Header=BB30_13 Depth=1
	s_or_b32 exec_lo, exec_lo, s38
.LBB30_12:                              ;   in Loop: Header=BB30_13 Depth=1
	s_wait_alu 0xfffe
	s_or_b32 exec_lo, exec_lo, s5
	v_add_nc_u32_e32 v16, 4, v16
	v_add_co_u32 v1, s5, v1, 16
	s_wait_alu 0xf1ff
	v_add_co_ci_u32_e64 v2, null, 0, v2, s5
	s_delay_alu instid0(VALU_DEP_3)
	v_cmp_le_i32_e64 s4, s19, v16
	v_add_nc_u32_e32 v11, 64, v11
	v_add_nc_u32_e32 v13, 0x100, v13
	s_or_b32 s28, s4, s28
	s_wait_alu 0xfffe
	s_and_not1_b32 exec_lo, exec_lo, s28
	s_cbranch_execz .LBB30_20
.LBB30_13:                              ; =>This Inner Loop Header: Depth=1
	v_sub_nc_u32_e32 v17, 0, v11
	s_delay_alu instid0(VALU_DEP_1) | instskip(SKIP_1) | instid1(VALU_DEP_1)
	v_max_i32_e32 v17, v11, v17
	s_wait_dscnt 0x0
	v_mul_hi_u32 v18, v17, s18
	s_delay_alu instid0(VALU_DEP_1) | instskip(NEXT) | instid1(VALU_DEP_1)
	v_mul_lo_u32 v19, v18, s12
	v_sub_nc_u32_e32 v17, v17, v19
	v_add_nc_u32_e32 v19, 1, v18
	s_delay_alu instid0(VALU_DEP_2) | instskip(SKIP_2) | instid1(VALU_DEP_1)
	v_subrev_nc_u32_e32 v20, s12, v17
	v_cmp_le_u32_e64 s4, s12, v17
	s_wait_alu 0xf1ff
	v_cndmask_b32_e64 v18, v18, v19, s4
	s_delay_alu instid0(VALU_DEP_3) | instskip(SKIP_1) | instid1(VALU_DEP_3)
	v_cndmask_b32_e64 v17, v17, v20, s4
	v_ashrrev_i32_e32 v19, 31, v11
	v_add_nc_u32_e32 v20, 1, v18
	s_delay_alu instid0(VALU_DEP_3) | instskip(NEXT) | instid1(VALU_DEP_3)
	v_cmp_le_u32_e64 s4, s12, v17
	v_xor_b32_e32 v19, s11, v19
	s_wait_alu 0xf1ff
	s_delay_alu instid0(VALU_DEP_2) | instskip(NEXT) | instid1(VALU_DEP_1)
	v_cndmask_b32_e64 v17, v18, v20, s4
	v_xor_b32_e32 v17, v17, v19
	s_delay_alu instid0(VALU_DEP_1) | instskip(NEXT) | instid1(VALU_DEP_1)
	v_sub_nc_u32_e32 v17, v17, v19
	v_add_nc_u32_e32 v18, s17, v17
	v_cmp_ge_i32_e64 s5, s14, v17
	s_delay_alu instid0(VALU_DEP_2) | instskip(NEXT) | instid1(VALU_DEP_1)
	v_sub_nc_u32_e32 v19, 0, v18
	v_max_i32_e32 v19, v18, v19
	v_ashrrev_i32_e32 v18, 31, v18
	s_wait_alu 0xfffe
	s_delay_alu instid0(VALU_DEP_2) | instskip(NEXT) | instid1(VALU_DEP_1)
	v_mul_hi_u32 v20, v19, s37
	v_mul_lo_u32 v20, v20, s27
	s_delay_alu instid0(VALU_DEP_1) | instskip(NEXT) | instid1(VALU_DEP_1)
	v_sub_nc_u32_e32 v19, v19, v20
	v_subrev_nc_u32_e32 v20, s27, v19
	v_cmp_le_u32_e64 s4, s27, v19
	s_wait_alu 0xf1ff
	s_delay_alu instid0(VALU_DEP_1) | instskip(NEXT) | instid1(VALU_DEP_1)
	v_cndmask_b32_e64 v19, v19, v20, s4
	v_subrev_nc_u32_e32 v20, s27, v19
	v_cmp_le_u32_e64 s4, s27, v19
	s_wait_alu 0xf1ff
	s_delay_alu instid0(VALU_DEP_1) | instskip(NEXT) | instid1(VALU_DEP_1)
	v_cndmask_b32_e64 v19, v19, v20, s4
	v_xor_b32_e32 v19, v19, v18
	s_delay_alu instid0(VALU_DEP_1) | instskip(NEXT) | instid1(VALU_DEP_1)
	v_sub_nc_u32_e32 v18, v19, v18
	v_cmp_ne_u32_e64 s4, 0, v18
	s_and_b32 s4, s4, s5
	s_wait_alu 0xfffe
	s_and_saveexec_b32 s5, s4
	s_wait_alu 0xfffe
	s_xor_b32 s4, exec_lo, s5
	s_cbranch_execz .LBB30_17
; %bb.14:                               ;   in Loop: Header=BB30_13 Depth=1
	s_and_saveexec_b32 s5, s3
; %bb.15:                               ;   in Loop: Header=BB30_13 Depth=1
	ds_store_b32 v13, v14
; %bb.16:                               ;   in Loop: Header=BB30_13 Depth=1
	s_wait_alu 0xfffe
	s_or_b32 exec_lo, exec_lo, s5
.LBB30_17:                              ;   in Loop: Header=BB30_13 Depth=1
	s_wait_alu 0xfffe
	s_and_not1_saveexec_b32 s5, s4
	s_cbranch_execz .LBB30_12
; %bb.18:                               ;   in Loop: Header=BB30_13 Depth=1
	global_load_b32 v17, v[1:2], off
	s_wait_loadcnt 0x0
	v_mad_co_i64_i32 v[17:18], null, v17, s29, 0
	s_delay_alu instid0(VALU_DEP_1) | instskip(NEXT) | instid1(VALU_DEP_1)
	v_lshlrev_b64_e32 v[17:18], 2, v[17:18]
	v_add_co_u32 v17, s4, v9, v17
	s_wait_alu 0xf1ff
	s_delay_alu instid0(VALU_DEP_2)
	v_add_co_ci_u32_e64 v18, null, v10, v18, s4
	v_cmp_gt_i32_e64 s4, 32, v15
	s_clause 0x17
	global_load_b64 v[29:30], v[17:18], off offset:256
	global_load_b64 v[31:32], v[17:18], off
	global_load_b64 v[33:34], v[17:18], off offset:512
	global_load_b64 v[35:36], v[17:18], off offset:768
	;; [unrolled: 1-line block ×22, first 2 shown]
	ds_load_b128 v[17:20], v8
	ds_load_b128 v[21:24], v8 offset:16
	ds_load_b128 v[25:28], v8 offset:32
	s_wait_loadcnt_dscnt 0x1702
	v_dual_mul_f32 v29, v19, v29 :: v_dual_mul_f32 v30, v20, v30
	s_wait_loadcnt 0x16
	s_delay_alu instid0(VALU_DEP_1) | instskip(SKIP_4) | instid1(VALU_DEP_1)
	v_dual_fmac_f32 v29, v17, v31 :: v_dual_fmac_f32 v30, v18, v32
	ds_load_b128 v[17:20], v8 offset:48
	s_wait_loadcnt_dscnt 0x1502
	v_dual_fmac_f32 v29, v21, v33 :: v_dual_fmac_f32 v30, v22, v34
	s_wait_loadcnt 0x14
	v_dual_fmac_f32 v29, v23, v35 :: v_dual_fmac_f32 v30, v24, v36
	ds_load_b128 v[21:24], v8 offset:64
	s_wait_loadcnt_dscnt 0x1302
	v_dual_fmac_f32 v29, v25, v37 :: v_dual_fmac_f32 v30, v26, v38
	s_wait_loadcnt 0x12
	s_delay_alu instid0(VALU_DEP_1) | instskip(SKIP_4) | instid1(VALU_DEP_1)
	v_dual_fmac_f32 v29, v27, v39 :: v_dual_fmac_f32 v30, v28, v40
	ds_load_b128 v[25:28], v8 offset:80
	s_wait_loadcnt_dscnt 0x1102
	v_dual_fmac_f32 v29, v17, v41 :: v_dual_fmac_f32 v30, v18, v42
	s_wait_loadcnt 0x10
	v_dual_fmac_f32 v29, v19, v43 :: v_dual_fmac_f32 v30, v20, v44
	ds_load_b128 v[17:20], v8 offset:96
	s_wait_loadcnt_dscnt 0xf02
	v_dual_fmac_f32 v29, v21, v45 :: v_dual_fmac_f32 v30, v22, v46
	;; [unrolled: 11-line block ×4, first 2 shown]
	s_wait_loadcnt 0x6
	s_delay_alu instid0(VALU_DEP_1)
	v_dual_fmac_f32 v29, v27, v66 :: v_dual_fmac_f32 v30, v28, v67
	ds_load_b128 v[25:28], v8 offset:176
	s_wait_loadcnt_dscnt 0x502
	v_dual_fmac_f32 v29, v17, v68 :: v_dual_fmac_f32 v30, v18, v69
	s_wait_alu 0xf1ff
	v_cndmask_b32_e64 v17, v5, v15, s4
	s_wait_loadcnt 0x4
	s_delay_alu instid0(VALU_DEP_2) | instskip(SKIP_1) | instid1(VALU_DEP_1)
	v_dual_fmac_f32 v29, v19, v70 :: v_dual_fmac_f32 v30, v20, v71
	s_wait_loadcnt_dscnt 0x301
	v_dual_fmac_f32 v29, v21, v72 :: v_dual_fmac_f32 v30, v22, v73
	s_wait_loadcnt 0x2
	s_delay_alu instid0(VALU_DEP_1) | instskip(SKIP_1) | instid1(VALU_DEP_1)
	v_dual_fmac_f32 v29, v23, v74 :: v_dual_fmac_f32 v30, v24, v75
	s_wait_loadcnt_dscnt 0x100
	v_dual_fmac_f32 v29, v25, v76 :: v_dual_fmac_f32 v30, v26, v77
	s_wait_loadcnt 0x0
	s_delay_alu instid0(VALU_DEP_1) | instskip(NEXT) | instid1(VALU_DEP_1)
	v_dual_fmac_f32 v29, v27, v78 :: v_dual_fmac_f32 v30, v28, v79
	v_dual_add_f32 v17, v29, v30 :: v_dual_lshlrev_b32 v18, 2, v17
	ds_bpermute_b32 v18, v18, v17
	s_and_saveexec_b32 s38, s3
	s_cbranch_execz .LBB30_11
; %bb.19:                               ;   in Loop: Header=BB30_13 Depth=1
	s_wait_dscnt 0x0
	v_add_f32_e32 v17, v17, v18
	v_add_nc_u32_e32 v19, v12, v11
	s_delay_alu instid0(VALU_DEP_1) | instskip(NEXT) | instid1(VALU_DEP_1)
	v_cvt_f32_i32_e32 v19, v19
	v_mul_f32_e32 v19, s15, v19
	s_delay_alu instid0(VALU_DEP_1) | instskip(NEXT) | instid1(VALU_DEP_1)
	v_dual_cndmask_b32 v18, 0, v19 :: v_dual_max_num_f32 v19, v6, v6
	v_dual_fmac_f32 v18, s7, v17 :: v_dual_add_nc_u32 v17, v7, v11
	s_delay_alu instid0(VALU_DEP_1) | instskip(NEXT) | instid1(VALU_DEP_2)
	v_max_num_f32_e32 v19, v19, v18
	v_cmp_gt_i32_e64 s4, s31, v17
	s_wait_alu 0xf1ff
	s_delay_alu instid0(VALU_DEP_1) | instskip(NEXT) | instid1(VALU_DEP_3)
	v_cndmask_b32_e64 v17, 0, v18, s4
	v_cndmask_b32_e64 v6, v6, v19, s4
	ds_store_b32 v13, v17
	s_branch .LBB30_11
.LBB30_20:
	s_or_b32 exec_lo, exec_lo, s28
.LBB30_21:
	s_delay_alu instid0(SALU_CYCLE_1)
	s_or_b32 exec_lo, exec_lo, s6
	v_xor_b32_e32 v1, 16, v5
	v_xor_b32_e32 v7, 8, v5
	s_clause 0x2
	s_load_b128 s[4:7], s[0:1], 0x0
	s_load_b64 s[14:15], s[0:1], 0x10
	s_load_b64 s[28:29], s[0:1], 0x28
	v_max_num_f32_e32 v8, v6, v6
	v_and_b32_e32 v58, 31, v0
	v_cmp_gt_i32_e32 vcc_lo, 32, v1
	s_wait_alu 0xfffd
	v_cndmask_b32_e32 v1, v5, v1, vcc_lo
	v_cmp_gt_i32_e32 vcc_lo, 32, v7
	s_delay_alu instid0(VALU_DEP_2) | instskip(SKIP_4) | instid1(VALU_DEP_1)
	v_lshlrev_b32_e32 v2, 2, v1
	ds_bpermute_b32 v1, v2, v6
	s_wait_dscnt 0x0
	v_max_num_f32_e32 v1, v1, v1
	s_wait_alu 0xfffd
	v_dual_cndmask_b32 v6, v5, v7 :: v_dual_max_num_f32 v1, v8, v1
	s_delay_alu instid0(VALU_DEP_1)
	v_lshlrev_b32_e32 v6, 2, v6
	v_xor_b32_e32 v8, 4, v5
	ds_bpermute_b32 v7, v6, v1
	v_cmp_gt_i32_e32 vcc_lo, 32, v8
	s_wait_dscnt 0x0
	s_wait_alu 0xfffd
	v_dual_cndmask_b32 v8, v5, v8 :: v_dual_max_num_f32 v9, v7, v7
	s_delay_alu instid0(VALU_DEP_1) | instskip(SKIP_1) | instid1(VALU_DEP_1)
	v_max_num_f32_e32 v1, v1, v9
	v_xor_b32_e32 v9, 2, v5
	v_cmp_gt_i32_e32 vcc_lo, 32, v9
	s_wait_alu 0xfffd
	v_cndmask_b32_e32 v9, v5, v9, vcc_lo
	v_cmp_eq_u32_e32 vcc_lo, 0, v58
	s_delay_alu instid0(VALU_DEP_2) | instskip(SKIP_4) | instid1(VALU_DEP_1)
	v_lshlrev_b32_e32 v59, 2, v9
	v_lshlrev_b32_e32 v7, 2, v8
	ds_bpermute_b32 v8, v7, v1
	s_wait_dscnt 0x0
	v_max_num_f32_e32 v8, v8, v8
	v_dual_max_num_f32 v1, v1, v8 :: v_dual_lshlrev_b32 v8, 2, v55
	ds_bpermute_b32 v9, v59, v1
	s_and_saveexec_b32 s0, vcc_lo
	s_cbranch_execz .LBB30_23
; %bb.22:
	s_wait_dscnt 0x0
	v_max_num_f32_e32 v9, v9, v9
	v_max_num_f32_e32 v1, v1, v1
	s_delay_alu instid0(VALU_DEP_1)
	v_max_num_f32_e32 v1, v1, v9
	ds_store_b32 v8, v1 offset:384
.LBB30_23:
	s_or_b32 exec_lo, exec_lo, s0
	v_cmp_gt_u32_e64 s0, 4, v58
	v_mov_b32_e32 v1, 0xff7fffff
	s_wait_dscnt 0x0
	v_lshlrev_b32_e32 v9, 2, v58
	s_wait_loadcnt 0x0
	s_barrier_signal -1
	s_barrier_wait -1
	global_inv scope:SCOPE_SE
	s_and_saveexec_b32 s1, s0
; %bb.24:
	ds_load_b32 v1, v9 offset:384
; %bb.25:
	s_or_b32 exec_lo, exec_lo, s1
	s_wait_dscnt 0x0
	ds_bpermute_b32 v10, v59, v1
	v_xor_b32_e32 v11, 1, v5
	v_max_num_f32_e32 v1, v1, v1
	s_delay_alu instid0(VALU_DEP_2) | instskip(NEXT) | instid1(VALU_DEP_1)
	v_cmp_gt_i32_e64 s1, 32, v11
	v_cndmask_b32_e64 v5, v5, v11, s1
	s_sub_co_i32 s1, s19, s36
	s_wait_alu 0xfffe
	s_lshl_b32 s1, s1, 4
	s_wait_alu 0xfffe
	s_add_co_i32 s1, s1, s33
	s_wait_alu 0xfffe
	s_min_i32 s1, s1, s31
	s_wait_alu 0xfffe
	s_sub_co_i32 s27, s1, s33
	s_wait_dscnt 0x0
	v_max_num_f32_e32 v10, v10, v10
	v_lshlrev_b32_e32 v60, 2, v5
	s_wait_alu 0xfffe
	v_cmp_gt_i32_e64 s1, s27, v0
	s_delay_alu instid0(VALU_DEP_3) | instskip(SKIP_3) | instid1(VALU_DEP_1)
	v_dual_max_num_f32 v1, v1, v10 :: v_dual_mov_b32 v10, 0
	ds_bpermute_b32 v5, v60, v1
	s_wait_dscnt 0x0
	v_max_num_f32_e32 v5, v5, v5
	v_max_num_f32_e32 v1, v1, v5
	v_lshl_add_u32 v5, v0, 2, 0x1a0
	ds_bpermute_b32 v1, v10, v1
	s_and_saveexec_b32 s33, s1
	s_cbranch_execz .LBB30_29
; %bb.26:
	v_lshl_add_u32 v11, v0, 2, 0x1a0
	v_mov_b32_e32 v10, 0
	v_mov_b32_e32 v12, v0
	s_mov_b32 s36, 0
.LBB30_27:                              ; =>This Inner Loop Header: Depth=1
	ds_load_b32 v13, v11
	v_add_nc_u32_e32 v12, 0x80, v12
	s_delay_alu instid0(VALU_DEP_1) | instskip(SKIP_4) | instid1(VALU_DEP_1)
	v_cmp_le_i32_e64 s3, s27, v12
	s_wait_alu 0xfffe
	s_or_b32 s36, s3, s36
	s_wait_dscnt 0x0
	v_sub_f32_e32 v13, v13, v1
	v_mul_f32_e32 v13, 0x3fb8aa3b, v13
	s_delay_alu instid0(VALU_DEP_1)
	v_exp_f32_e32 v13, v13
	ds_store_b32 v11, v13
	v_dual_add_f32 v10, v10, v13 :: v_dual_add_nc_u32 v11, 0x200, v11
	s_wait_alu 0xfffe
	s_and_not1_b32 exec_lo, exec_lo, s36
	s_cbranch_execnz .LBB30_27
; %bb.28:
	s_or_b32 exec_lo, exec_lo, s36
.LBB30_29:
	s_wait_alu 0xfffe
	s_or_b32 exec_lo, exec_lo, s33
	ds_bpermute_b32 v2, v2, v10
	s_wait_dscnt 0x0
	v_add_f32_e32 v2, v10, v2
	ds_bpermute_b32 v6, v6, v2
	s_wait_dscnt 0x0
	v_add_f32_e32 v2, v2, v6
	;; [unrolled: 3-line block ×5, first 2 shown]
	s_and_saveexec_b32 s3, vcc_lo
; %bb.30:
	ds_store_b32 v8, v2 offset:400
; %bb.31:
	s_wait_alu 0xfffe
	s_or_b32 exec_lo, exec_lo, s3
	s_wait_loadcnt_dscnt 0x0
	s_barrier_signal -1
	s_barrier_wait -1
	global_inv scope:SCOPE_SE
	s_and_saveexec_b32 s3, s0
; %bb.32:
	ds_load_b32 v2, v9 offset:400
; %bb.33:
	s_wait_alu 0xfffe
	s_or_b32 exec_lo, exec_lo, s3
	s_wait_dscnt 0x0
	ds_bpermute_b32 v6, v59, v2
	s_wait_dscnt 0x0
	v_add_f32_e32 v2, v2, v6
	ds_bpermute_b32 v6, v60, v2
	s_wait_dscnt 0x0
	v_add_f32_e32 v2, v2, v6
	v_mov_b32_e32 v6, 0
	ds_bpermute_b32 v2, v6, v2
	s_and_saveexec_b32 s0, s1
	s_cbranch_execz .LBB30_36
; %bb.34:
	s_wait_dscnt 0x0
	v_add_f32_e32 v6, 0x358637bd, v2
	s_mov_b32 s1, 0
	s_delay_alu instid0(VALU_DEP_1) | instskip(SKIP_1) | instid1(VALU_DEP_2)
	v_div_scale_f32 v7, null, v6, v6, 1.0
	v_div_scale_f32 v10, vcc_lo, 1.0, v6, 1.0
	v_rcp_f32_e32 v8, v7
	s_delay_alu instid0(TRANS32_DEP_1) | instskip(NEXT) | instid1(VALU_DEP_1)
	v_fma_f32 v9, -v7, v8, 1.0
	v_fmac_f32_e32 v8, v9, v8
	s_delay_alu instid0(VALU_DEP_1) | instskip(NEXT) | instid1(VALU_DEP_1)
	v_mul_f32_e32 v9, v10, v8
	v_fma_f32 v11, -v7, v9, v10
	s_delay_alu instid0(VALU_DEP_1) | instskip(NEXT) | instid1(VALU_DEP_1)
	v_fmac_f32_e32 v9, v11, v8
	v_fma_f32 v7, -v7, v9, v10
	s_wait_alu 0xfffd
	s_delay_alu instid0(VALU_DEP_1) | instskip(NEXT) | instid1(VALU_DEP_1)
	v_div_fmas_f32 v7, v7, v8, v9
	v_div_fixup_f32 v6, v7, v6, 1.0
	v_mov_b32_e32 v7, v0
.LBB30_35:                              ; =>This Inner Loop Header: Depth=1
	ds_load_b32 v8, v5
	s_wait_dscnt 0x0
	v_dual_mul_f32 v8, v6, v8 :: v_dual_add_nc_u32 v7, 0x80, v7
	s_delay_alu instid0(VALU_DEP_1)
	v_cmp_le_i32_e32 vcc_lo, s27, v7
	ds_store_b32 v5, v8
	v_add_nc_u32_e32 v5, 0x200, v5
	s_wait_alu 0xfffe
	s_or_b32 s1, vcc_lo, s1
	s_wait_alu 0xfffe
	s_and_not1_b32 exec_lo, exec_lo, s1
	s_cbranch_execnz .LBB30_35
.LBB30_36:
	s_wait_alu 0xfffe
	s_or_b32 exec_lo, exec_lo, s0
	s_mul_i32 s0, s8, s20
	s_wait_loadcnt_dscnt 0x0
	s_wait_alu 0xfffe
	s_mul_i32 s20, s0, s21
	s_mov_b32 s0, exec_lo
	s_barrier_signal -1
	s_barrier_wait -1
	global_inv scope:SCOPE_SE
	v_cmpx_eq_u32_e32 0, v0
	s_cbranch_execz .LBB30_38
; %bb.37:
	s_ashr_i32 s21, s20, 31
	s_wait_alu 0xfffe
	s_mul_i32 s36, s8, ttmp9
	s_lshl_b32 s1, s30, 2
	s_lshl_b64 s[38:39], s[20:21], 2
	s_wait_alu 0xfffe
	s_ashr_i32 s37, s36, 31
	v_mov_b32_e32 v5, s1
	s_wait_kmcnt 0x0
	s_add_nc_u64 s[6:7], s[6:7], s[38:39]
	s_wait_alu 0xfffe
	s_lshl_b64 s[36:37], s[36:37], 2
	s_add_nc_u64 s[4:5], s[4:5], s[38:39]
	s_wait_alu 0xfffe
	s_add_nc_u64 s[6:7], s[6:7], s[36:37]
	s_add_nc_u64 s[4:5], s[4:5], s[36:37]
	s_clause 0x1
	global_store_b32 v5, v1, s[6:7]
	global_store_b32 v5, v2, s[4:5]
.LBB30_38:
	s_wait_alu 0xfffe
	s_or_b32 exec_lo, exec_lo, s0
	v_dual_mov_b32 v72, 0 :: v_dual_and_b32 v61, 3, v0
	v_dual_mov_b32 v73, 0 :: v_dual_mov_b32 v70, 0
	v_dual_mov_b32 v71, 0 :: v_dual_mov_b32 v68, 0
	;; [unrolled: 1-line block ×5, first 2 shown]
	v_mov_b32_e32 v63, 0
	s_and_saveexec_b32 s1, s2
	s_cbranch_execz .LBB30_68
; %bb.39:
	s_abs_i32 s2, s10
	v_dual_mov_b32 v65, 0 :: v_dual_lshlrev_b32 v2, 4, v0
	s_wait_alu 0xfffe
	s_cvt_f32_u32 s0, s2
	v_dual_mov_b32 v63, 0 :: v_dual_and_b32 v74, 12, v3
	v_dual_mov_b32 v62, 0 :: v_dual_lshlrev_b32 v3, 4, v61
	s_wait_alu 0xfffe
	v_rcp_iflag_f32_e32 v1, s0
	s_ashr_i32 s27, s26, 31
	s_wait_kmcnt 0x0
	s_lshl_b64 s[6:7], s[24:25], 2
	s_wait_alu 0xfffe
	s_lshl_b64 s[24:25], s[26:27], 2
	s_add_nc_u64 s[6:7], s[22:23], s[6:7]
	s_add_nc_u64 s[22:23], s[28:29], s[24:25]
	s_wait_alu 0xfffe
	v_add_co_u32 v53, s6, s6, v4
	s_sub_co_i32 s3, s35, s9
	s_sub_co_i32 s9, 0, s2
	v_readfirstlane_b32 s0, v1
	v_dual_mov_b32 v64, 0 :: v_dual_and_b32 v1, 0x1f0, v2
	v_lshl_or_b32 v2, v55, 6, v3
	v_add_co_ci_u32_e64 v54, null, s7, 0, s6
	s_mul_f32 s0, s0, 0x4f7ffffe
	v_add_co_u32 v75, s6, s22, v1
	s_wait_alu 0xf1ff
	v_add_co_ci_u32_e64 v76, null, s23, 0, s6
	s_wait_alu 0xfffe
	s_cvt_u32_f32 s0, s0
	v_dual_mov_b32 v66, 0 :: v_dual_add_nc_u32 v77, 0x1a0, v2
	v_dual_mov_b32 v67, 0 :: v_dual_mov_b32 v68, 0
	s_wait_alu 0xfffe
	s_mul_i32 s9, s9, s0
	v_dual_mov_b32 v69, 0 :: v_dual_mov_b32 v70, 0
	v_dual_mov_b32 v71, 0 :: v_dual_mov_b32 v72, 0
	v_mov_b32_e32 v73, 0
	s_mul_hi_u32 s7, s0, s9
	s_mov_b32 s4, s13
	s_add_co_i32 s5, s34, -1
	s_mov_b32 s6, 0
	s_wait_alu 0xfffe
	s_add_co_i32 s7, s0, s7
	s_branch .LBB30_42
.LBB30_40:                              ;   in Loop: Header=BB30_42 Depth=1
	s_wait_alu 0xfffe
	s_or_b32 exec_lo, exec_lo, s0
	s_wait_loadcnt_dscnt 0x600
	v_mul_f32_e32 v25, v1, v25
	v_mul_f32_e32 v17, v1, v17
	s_wait_loadcnt 0x2
	v_mul_f32_e32 v45, v1, v45
	v_mul_f32_e32 v5, v1, v5
	;; [unrolled: 1-line block ×3, first 2 shown]
	v_fmac_f32_e32 v25, v2, v26
	v_fmac_f32_e32 v17, v2, v18
	s_wait_loadcnt 0x1
	v_mul_f32_e32 v49, v1, v49
	v_fmac_f32_e32 v5, v2, v6
	v_mul_f32_e32 v37, v1, v37
	v_fmac_f32_e32 v25, v3, v27
	v_fmac_f32_e32 v17, v3, v19
	v_mul_f32_e32 v29, v1, v29
	v_mul_f32_e32 v21, v1, v21
	v_fmac_f32_e32 v33, v2, v34
	v_fmac_f32_e32 v25, v4, v28
	;; [unrolled: 1-line block ×3, first 2 shown]
	v_mul_f32_e32 v13, v1, v13
	v_mul_f32_e32 v9, v1, v9
	s_wait_loadcnt 0x0
	v_mul_f32_e32 v1, v1, v41
	v_dual_add_f32 v68, v68, v25 :: v_dual_fmac_f32 v5, v3, v7
	v_fmac_f32_e32 v17, v4, v20
	v_fmac_f32_e32 v45, v3, v47
	;; [unrolled: 1-line block ×10, first 2 shown]
	v_dual_add_f32 v70, v70, v17 :: v_dual_fmac_f32 v45, v4, v48
	v_fmac_f32_e32 v49, v2, v50
	v_fmac_f32_e32 v29, v3, v31
	;; [unrolled: 1-line block ×4, first 2 shown]
	s_delay_alu instid0(VALU_DEP_4)
	v_dual_add_f32 v64, v64, v45 :: v_dual_fmac_f32 v49, v3, v51
	v_fmac_f32_e32 v13, v3, v15
	v_fmac_f32_e32 v9, v3, v11
	v_dual_fmac_f32 v1, v3, v43 :: v_dual_add_f32 v72, v72, v5
	v_fmac_f32_e32 v37, v3, v39
	v_fmac_f32_e32 v29, v4, v32
	v_dual_fmac_f32 v21, v4, v24 :: v_dual_add_f32 v66, v66, v33
	v_fmac_f32_e32 v13, v4, v16
	s_delay_alu instid0(VALU_DEP_4)
	v_fmac_f32_e32 v37, v4, v40
	v_fmac_f32_e32 v9, v4, v12
	;; [unrolled: 1-line block ×4, first 2 shown]
	v_add_f32_e32 v67, v67, v29
	v_add_f32_e32 v65, v65, v37
	v_add_f32_e32 v69, v69, v21
	v_add_f32_e32 v71, v71, v13
	v_add_f32_e32 v73, v73, v9
	v_add_f32_e32 v62, v62, v1
	v_add_f32_e32 v63, v63, v49
.LBB30_41:                              ;   in Loop: Header=BB30_42 Depth=1
	s_or_b32 exec_lo, exec_lo, s9
	v_add_nc_u32_e32 v57, 4, v57
	v_add_co_u32 v53, s0, v53, 16
	s_wait_alu 0xf1ff
	v_add_co_ci_u32_e64 v54, null, 0, v54, s0
	s_delay_alu instid0(VALU_DEP_3)
	v_cmp_le_i32_e32 vcc_lo, s19, v57
	v_add_nc_u32_e32 v56, 64, v56
	v_add_nc_u32_e32 v77, 0x100, v77
	s_or_b32 s6, vcc_lo, s6
	s_wait_alu 0xfffe
	s_and_not1_b32 exec_lo, exec_lo, s6
	s_cbranch_execz .LBB30_67
.LBB30_42:                              ; =>This Inner Loop Header: Depth=1
	v_sub_nc_u32_e32 v1, 0, v56
	s_delay_alu instid0(VALU_DEP_1) | instskip(NEXT) | instid1(VALU_DEP_1)
	v_max_i32_e32 v1, v56, v1
	v_mul_hi_u32 v2, v1, s18
	s_delay_alu instid0(VALU_DEP_1) | instskip(NEXT) | instid1(VALU_DEP_1)
	v_mul_lo_u32 v3, v2, s12
	v_sub_nc_u32_e32 v1, v1, v3
	v_add_nc_u32_e32 v3, 1, v2
	s_delay_alu instid0(VALU_DEP_2) | instskip(SKIP_2) | instid1(VALU_DEP_2)
	v_subrev_nc_u32_e32 v4, s12, v1
	v_cmp_le_u32_e32 vcc_lo, s12, v1
	s_wait_alu 0xfffd
	v_dual_cndmask_b32 v2, v2, v3 :: v_dual_cndmask_b32 v1, v1, v4
	v_ashrrev_i32_e32 v3, 31, v56
	s_delay_alu instid0(VALU_DEP_2) | instskip(NEXT) | instid1(VALU_DEP_3)
	v_add_nc_u32_e32 v4, 1, v2
	v_cmp_le_u32_e32 vcc_lo, s12, v1
	s_delay_alu instid0(VALU_DEP_3) | instskip(SKIP_1) | instid1(VALU_DEP_3)
	v_xor_b32_e32 v3, s11, v3
	s_wait_alu 0xfffd
	v_cndmask_b32_e32 v1, v2, v4, vcc_lo
	s_delay_alu instid0(VALU_DEP_1) | instskip(NEXT) | instid1(VALU_DEP_1)
	v_xor_b32_e32 v1, v1, v3
	v_sub_nc_u32_e32 v1, v1, v3
	s_delay_alu instid0(VALU_DEP_1) | instskip(SKIP_1) | instid1(VALU_DEP_2)
	v_add_nc_u32_e32 v2, s17, v1
	v_cmp_lt_i32_e64 s0, s3, v1
	v_sub_nc_u32_e32 v3, 0, v2
	s_delay_alu instid0(VALU_DEP_1) | instskip(SKIP_1) | instid1(VALU_DEP_1)
	v_max_i32_e32 v3, v2, v3
	s_wait_alu 0xfffe
	v_mul_hi_u32 v4, v3, s7
	s_delay_alu instid0(VALU_DEP_1) | instskip(NEXT) | instid1(VALU_DEP_1)
	v_mul_lo_u32 v4, v4, s2
	v_sub_nc_u32_e32 v3, v3, v4
	s_delay_alu instid0(VALU_DEP_1) | instskip(SKIP_2) | instid1(VALU_DEP_2)
	v_subrev_nc_u32_e32 v4, s2, v3
	v_cmp_le_u32_e32 vcc_lo, s2, v3
	s_wait_alu 0xfffd
	v_cndmask_b32_e32 v3, v3, v4, vcc_lo
	v_ashrrev_i32_e32 v2, 31, v2
	s_delay_alu instid0(VALU_DEP_2) | instskip(SKIP_2) | instid1(VALU_DEP_2)
	v_subrev_nc_u32_e32 v4, s2, v3
	v_cmp_le_u32_e32 vcc_lo, s2, v3
	s_wait_alu 0xfffd
	v_cndmask_b32_e32 v3, v3, v4, vcc_lo
	s_delay_alu instid0(VALU_DEP_1) | instskip(NEXT) | instid1(VALU_DEP_1)
	v_xor_b32_e32 v3, v3, v2
	v_sub_nc_u32_e32 v2, v3, v2
	s_delay_alu instid0(VALU_DEP_1)
	v_cmp_eq_u32_e32 vcc_lo, 0, v2
	s_or_b32 s0, vcc_lo, s0
	s_wait_alu 0xfffe
	s_and_saveexec_b32 s9, s0
	s_cbranch_execz .LBB30_41
; %bb.43:                               ;   in Loop: Header=BB30_42 Depth=1
	global_load_b32 v1, v[53:54], off
	v_add_nc_u32_e32 v78, v74, v56
	s_delay_alu instid0(VALU_DEP_1) | instskip(SKIP_4) | instid1(VALU_DEP_1)
	v_add_nc_u32_e32 v81, 1, v78
	v_add_nc_u32_e32 v80, 2, v78
	;; [unrolled: 1-line block ×3, first 2 shown]
	s_wait_loadcnt 0x0
	v_mad_co_i64_i32 v[1:2], null, v1, s4, 0
	v_lshlrev_b64_e32 v[1:2], 2, v[1:2]
	s_delay_alu instid0(VALU_DEP_1) | instskip(SKIP_1) | instid1(VALU_DEP_2)
	v_add_co_u32 v41, vcc_lo, v75, v1
	s_wait_alu 0xfffd
	v_add_co_ci_u32_e64 v42, null, v76, v2, vcc_lo
	ds_load_b128 v[1:4], v77
	v_cmp_eq_u32_e32 vcc_lo, s5, v57
	global_load_b128 v[5:8], v[41:42], off
	s_and_saveexec_b32 s10, vcc_lo
	s_cbranch_execnz .LBB30_55
; %bb.44:                               ;   in Loop: Header=BB30_42 Depth=1
	s_wait_alu 0xfffe
	s_or_b32 exec_lo, exec_lo, s10
	global_load_b128 v[9:12], v[41:42], off offset:512
	s_and_saveexec_b32 s10, vcc_lo
	s_cbranch_execnz .LBB30_56
.LBB30_45:                              ;   in Loop: Header=BB30_42 Depth=1
	s_wait_alu 0xfffe
	s_or_b32 exec_lo, exec_lo, s10
	global_load_b128 v[13:16], v[41:42], off offset:1024
	s_and_saveexec_b32 s10, vcc_lo
	s_cbranch_execnz .LBB30_57
.LBB30_46:                              ;   in Loop: Header=BB30_42 Depth=1
	s_wait_alu 0xfffe
	s_or_b32 exec_lo, exec_lo, s10
	global_load_b128 v[17:20], v[41:42], off offset:1536
	s_and_saveexec_b32 s10, vcc_lo
	s_cbranch_execnz .LBB30_58
.LBB30_47:                              ;   in Loop: Header=BB30_42 Depth=1
	s_wait_alu 0xfffe
	s_or_b32 exec_lo, exec_lo, s10
	global_load_b128 v[21:24], v[41:42], off offset:2048
	s_and_saveexec_b32 s10, vcc_lo
	s_cbranch_execnz .LBB30_59
.LBB30_48:                              ;   in Loop: Header=BB30_42 Depth=1
	s_wait_alu 0xfffe
	s_or_b32 exec_lo, exec_lo, s10
	global_load_b128 v[25:28], v[41:42], off offset:2560
	s_and_saveexec_b32 s10, vcc_lo
	s_cbranch_execnz .LBB30_60
.LBB30_49:                              ;   in Loop: Header=BB30_42 Depth=1
	s_wait_alu 0xfffe
	s_or_b32 exec_lo, exec_lo, s10
	global_load_b128 v[29:32], v[41:42], off offset:3072
	s_and_saveexec_b32 s10, vcc_lo
	s_cbranch_execnz .LBB30_61
.LBB30_50:                              ;   in Loop: Header=BB30_42 Depth=1
	s_wait_alu 0xfffe
	s_or_b32 exec_lo, exec_lo, s10
	global_load_b128 v[33:36], v[41:42], off offset:3584
	s_and_saveexec_b32 s10, vcc_lo
	s_cbranch_execnz .LBB30_62
.LBB30_51:                              ;   in Loop: Header=BB30_42 Depth=1
	s_wait_alu 0xfffe
	s_or_b32 exec_lo, exec_lo, s10
	global_load_b128 v[37:40], v[41:42], off offset:4096
	s_and_saveexec_b32 s10, vcc_lo
	s_cbranch_execnz .LBB30_63
.LBB30_52:                              ;   in Loop: Header=BB30_42 Depth=1
	s_wait_alu 0xfffe
	s_or_b32 exec_lo, exec_lo, s10
	global_load_b128 v[45:48], v[41:42], off offset:4608
	s_and_saveexec_b32 s10, vcc_lo
	s_cbranch_execnz .LBB30_64
.LBB30_53:                              ;   in Loop: Header=BB30_42 Depth=1
	s_wait_alu 0xfffe
	s_or_b32 exec_lo, exec_lo, s10
	global_load_b128 v[49:52], v[41:42], off offset:5120
	s_and_saveexec_b32 s10, vcc_lo
	s_cbranch_execnz .LBB30_65
.LBB30_54:                              ;   in Loop: Header=BB30_42 Depth=1
	s_wait_alu 0xfffe
	s_or_b32 exec_lo, exec_lo, s10
	global_load_b128 v[41:44], v[41:42], off offset:5632
	s_and_saveexec_b32 s0, vcc_lo
	s_cbranch_execz .LBB30_40
	s_branch .LBB30_66
.LBB30_55:                              ;   in Loop: Header=BB30_42 Depth=1
	v_cmp_gt_i32_e64 s0, s31, v78
	s_wait_loadcnt 0x0
	s_wait_alu 0xf1ff
	s_delay_alu instid0(VALU_DEP_1) | instskip(SKIP_2) | instid1(VALU_DEP_1)
	v_cndmask_b32_e64 v5, 0, v5, s0
	v_cmp_gt_i32_e64 s0, s31, v81
	s_wait_alu 0xf1ff
	v_cndmask_b32_e64 v6, 0, v6, s0
	v_cmp_gt_i32_e64 s0, s31, v80
	s_wait_alu 0xf1ff
	s_delay_alu instid0(VALU_DEP_1) | instskip(SKIP_2) | instid1(VALU_DEP_1)
	v_cndmask_b32_e64 v7, 0, v7, s0
	v_cmp_gt_i32_e64 s0, s31, v79
	s_wait_alu 0xf1ff
	v_cndmask_b32_e64 v8, 0, v8, s0
	s_wait_alu 0xfffe
	s_or_b32 exec_lo, exec_lo, s10
	global_load_b128 v[9:12], v[41:42], off offset:512
	s_and_saveexec_b32 s10, vcc_lo
	s_cbranch_execz .LBB30_45
.LBB30_56:                              ;   in Loop: Header=BB30_42 Depth=1
	v_cmp_gt_i32_e64 s0, s31, v78
	s_wait_loadcnt 0x0
	s_wait_alu 0xf1ff
	s_delay_alu instid0(VALU_DEP_1) | instskip(SKIP_2) | instid1(VALU_DEP_1)
	v_cndmask_b32_e64 v9, 0, v9, s0
	v_cmp_gt_i32_e64 s0, s31, v81
	s_wait_alu 0xf1ff
	v_cndmask_b32_e64 v10, 0, v10, s0
	v_cmp_gt_i32_e64 s0, s31, v80
	s_wait_alu 0xf1ff
	s_delay_alu instid0(VALU_DEP_1) | instskip(SKIP_2) | instid1(VALU_DEP_1)
	v_cndmask_b32_e64 v11, 0, v11, s0
	v_cmp_gt_i32_e64 s0, s31, v79
	s_wait_alu 0xf1ff
	v_cndmask_b32_e64 v12, 0, v12, s0
	s_wait_alu 0xfffe
	s_or_b32 exec_lo, exec_lo, s10
	global_load_b128 v[13:16], v[41:42], off offset:1024
	s_and_saveexec_b32 s10, vcc_lo
	s_cbranch_execz .LBB30_46
.LBB30_57:                              ;   in Loop: Header=BB30_42 Depth=1
	v_cmp_gt_i32_e64 s0, s31, v78
	s_wait_loadcnt 0x0
	s_wait_alu 0xf1ff
	s_delay_alu instid0(VALU_DEP_1) | instskip(SKIP_2) | instid1(VALU_DEP_1)
	v_cndmask_b32_e64 v13, 0, v13, s0
	v_cmp_gt_i32_e64 s0, s31, v81
	s_wait_alu 0xf1ff
	v_cndmask_b32_e64 v14, 0, v14, s0
	v_cmp_gt_i32_e64 s0, s31, v80
	s_wait_alu 0xf1ff
	s_delay_alu instid0(VALU_DEP_1) | instskip(SKIP_2) | instid1(VALU_DEP_1)
	v_cndmask_b32_e64 v15, 0, v15, s0
	v_cmp_gt_i32_e64 s0, s31, v79
	s_wait_alu 0xf1ff
	v_cndmask_b32_e64 v16, 0, v16, s0
	s_wait_alu 0xfffe
	s_or_b32 exec_lo, exec_lo, s10
	global_load_b128 v[17:20], v[41:42], off offset:1536
	s_and_saveexec_b32 s10, vcc_lo
	s_cbranch_execz .LBB30_47
.LBB30_58:                              ;   in Loop: Header=BB30_42 Depth=1
	v_cmp_gt_i32_e64 s0, s31, v78
	s_wait_loadcnt 0x0
	s_wait_alu 0xf1ff
	s_delay_alu instid0(VALU_DEP_1) | instskip(SKIP_2) | instid1(VALU_DEP_1)
	v_cndmask_b32_e64 v17, 0, v17, s0
	v_cmp_gt_i32_e64 s0, s31, v81
	s_wait_alu 0xf1ff
	v_cndmask_b32_e64 v18, 0, v18, s0
	v_cmp_gt_i32_e64 s0, s31, v80
	s_wait_alu 0xf1ff
	s_delay_alu instid0(VALU_DEP_1) | instskip(SKIP_2) | instid1(VALU_DEP_1)
	v_cndmask_b32_e64 v19, 0, v19, s0
	v_cmp_gt_i32_e64 s0, s31, v79
	s_wait_alu 0xf1ff
	v_cndmask_b32_e64 v20, 0, v20, s0
	s_wait_alu 0xfffe
	s_or_b32 exec_lo, exec_lo, s10
	global_load_b128 v[21:24], v[41:42], off offset:2048
	s_and_saveexec_b32 s10, vcc_lo
	s_cbranch_execz .LBB30_48
.LBB30_59:                              ;   in Loop: Header=BB30_42 Depth=1
	v_cmp_gt_i32_e64 s0, s31, v78
	s_wait_loadcnt 0x0
	s_wait_alu 0xf1ff
	s_delay_alu instid0(VALU_DEP_1) | instskip(SKIP_2) | instid1(VALU_DEP_1)
	v_cndmask_b32_e64 v21, 0, v21, s0
	v_cmp_gt_i32_e64 s0, s31, v81
	s_wait_alu 0xf1ff
	v_cndmask_b32_e64 v22, 0, v22, s0
	v_cmp_gt_i32_e64 s0, s31, v80
	s_wait_alu 0xf1ff
	s_delay_alu instid0(VALU_DEP_1) | instskip(SKIP_2) | instid1(VALU_DEP_1)
	v_cndmask_b32_e64 v23, 0, v23, s0
	v_cmp_gt_i32_e64 s0, s31, v79
	s_wait_alu 0xf1ff
	v_cndmask_b32_e64 v24, 0, v24, s0
	s_wait_alu 0xfffe
	s_or_b32 exec_lo, exec_lo, s10
	global_load_b128 v[25:28], v[41:42], off offset:2560
	s_and_saveexec_b32 s10, vcc_lo
	s_cbranch_execz .LBB30_49
.LBB30_60:                              ;   in Loop: Header=BB30_42 Depth=1
	v_cmp_gt_i32_e64 s0, s31, v78
	s_wait_loadcnt 0x0
	s_wait_alu 0xf1ff
	s_delay_alu instid0(VALU_DEP_1) | instskip(SKIP_2) | instid1(VALU_DEP_1)
	v_cndmask_b32_e64 v25, 0, v25, s0
	v_cmp_gt_i32_e64 s0, s31, v81
	s_wait_alu 0xf1ff
	v_cndmask_b32_e64 v26, 0, v26, s0
	v_cmp_gt_i32_e64 s0, s31, v80
	s_wait_alu 0xf1ff
	s_delay_alu instid0(VALU_DEP_1) | instskip(SKIP_2) | instid1(VALU_DEP_1)
	v_cndmask_b32_e64 v27, 0, v27, s0
	v_cmp_gt_i32_e64 s0, s31, v79
	s_wait_alu 0xf1ff
	v_cndmask_b32_e64 v28, 0, v28, s0
	s_wait_alu 0xfffe
	s_or_b32 exec_lo, exec_lo, s10
	global_load_b128 v[29:32], v[41:42], off offset:3072
	s_and_saveexec_b32 s10, vcc_lo
	s_cbranch_execz .LBB30_50
.LBB30_61:                              ;   in Loop: Header=BB30_42 Depth=1
	v_cmp_gt_i32_e64 s0, s31, v78
	s_wait_loadcnt 0x0
	s_wait_alu 0xf1ff
	s_delay_alu instid0(VALU_DEP_1) | instskip(SKIP_2) | instid1(VALU_DEP_1)
	v_cndmask_b32_e64 v29, 0, v29, s0
	v_cmp_gt_i32_e64 s0, s31, v81
	s_wait_alu 0xf1ff
	v_cndmask_b32_e64 v30, 0, v30, s0
	v_cmp_gt_i32_e64 s0, s31, v80
	s_wait_alu 0xf1ff
	s_delay_alu instid0(VALU_DEP_1) | instskip(SKIP_2) | instid1(VALU_DEP_1)
	v_cndmask_b32_e64 v31, 0, v31, s0
	v_cmp_gt_i32_e64 s0, s31, v79
	s_wait_alu 0xf1ff
	v_cndmask_b32_e64 v32, 0, v32, s0
	s_wait_alu 0xfffe
	s_or_b32 exec_lo, exec_lo, s10
	global_load_b128 v[33:36], v[41:42], off offset:3584
	s_and_saveexec_b32 s10, vcc_lo
	s_cbranch_execz .LBB30_51
.LBB30_62:                              ;   in Loop: Header=BB30_42 Depth=1
	v_cmp_gt_i32_e64 s0, s31, v78
	s_wait_loadcnt 0x0
	s_wait_alu 0xf1ff
	s_delay_alu instid0(VALU_DEP_1) | instskip(SKIP_2) | instid1(VALU_DEP_1)
	v_cndmask_b32_e64 v33, 0, v33, s0
	v_cmp_gt_i32_e64 s0, s31, v81
	s_wait_alu 0xf1ff
	v_cndmask_b32_e64 v34, 0, v34, s0
	v_cmp_gt_i32_e64 s0, s31, v80
	s_wait_alu 0xf1ff
	s_delay_alu instid0(VALU_DEP_1) | instskip(SKIP_2) | instid1(VALU_DEP_1)
	v_cndmask_b32_e64 v35, 0, v35, s0
	v_cmp_gt_i32_e64 s0, s31, v79
	s_wait_alu 0xf1ff
	v_cndmask_b32_e64 v36, 0, v36, s0
	s_wait_alu 0xfffe
	s_or_b32 exec_lo, exec_lo, s10
	global_load_b128 v[37:40], v[41:42], off offset:4096
	s_and_saveexec_b32 s10, vcc_lo
	s_cbranch_execz .LBB30_52
.LBB30_63:                              ;   in Loop: Header=BB30_42 Depth=1
	v_cmp_gt_i32_e64 s0, s31, v78
	s_wait_loadcnt 0x0
	s_wait_alu 0xf1ff
	s_delay_alu instid0(VALU_DEP_1) | instskip(SKIP_2) | instid1(VALU_DEP_1)
	v_cndmask_b32_e64 v37, 0, v37, s0
	v_cmp_gt_i32_e64 s0, s31, v81
	s_wait_alu 0xf1ff
	v_cndmask_b32_e64 v38, 0, v38, s0
	v_cmp_gt_i32_e64 s0, s31, v80
	s_wait_alu 0xf1ff
	s_delay_alu instid0(VALU_DEP_1) | instskip(SKIP_2) | instid1(VALU_DEP_1)
	v_cndmask_b32_e64 v39, 0, v39, s0
	v_cmp_gt_i32_e64 s0, s31, v79
	s_wait_alu 0xf1ff
	v_cndmask_b32_e64 v40, 0, v40, s0
	s_wait_alu 0xfffe
	s_or_b32 exec_lo, exec_lo, s10
	global_load_b128 v[45:48], v[41:42], off offset:4608
	s_and_saveexec_b32 s10, vcc_lo
	s_cbranch_execz .LBB30_53
.LBB30_64:                              ;   in Loop: Header=BB30_42 Depth=1
	v_cmp_gt_i32_e64 s0, s31, v78
	s_wait_loadcnt 0x0
	s_wait_alu 0xf1ff
	s_delay_alu instid0(VALU_DEP_1) | instskip(SKIP_2) | instid1(VALU_DEP_1)
	v_cndmask_b32_e64 v45, 0, v45, s0
	v_cmp_gt_i32_e64 s0, s31, v81
	s_wait_alu 0xf1ff
	v_cndmask_b32_e64 v46, 0, v46, s0
	v_cmp_gt_i32_e64 s0, s31, v80
	s_wait_alu 0xf1ff
	s_delay_alu instid0(VALU_DEP_1) | instskip(SKIP_2) | instid1(VALU_DEP_1)
	v_cndmask_b32_e64 v47, 0, v47, s0
	v_cmp_gt_i32_e64 s0, s31, v79
	s_wait_alu 0xf1ff
	v_cndmask_b32_e64 v48, 0, v48, s0
	s_wait_alu 0xfffe
	s_or_b32 exec_lo, exec_lo, s10
	global_load_b128 v[49:52], v[41:42], off offset:5120
	s_and_saveexec_b32 s10, vcc_lo
	s_cbranch_execz .LBB30_54
.LBB30_65:                              ;   in Loop: Header=BB30_42 Depth=1
	v_cmp_gt_i32_e64 s0, s31, v78
	s_wait_loadcnt 0x0
	s_wait_alu 0xf1ff
	s_delay_alu instid0(VALU_DEP_1) | instskip(SKIP_2) | instid1(VALU_DEP_1)
	v_cndmask_b32_e64 v49, 0, v49, s0
	v_cmp_gt_i32_e64 s0, s31, v81
	s_wait_alu 0xf1ff
	v_cndmask_b32_e64 v50, 0, v50, s0
	v_cmp_gt_i32_e64 s0, s31, v80
	s_wait_alu 0xf1ff
	s_delay_alu instid0(VALU_DEP_1) | instskip(SKIP_2) | instid1(VALU_DEP_1)
	v_cndmask_b32_e64 v51, 0, v51, s0
	v_cmp_gt_i32_e64 s0, s31, v79
	s_wait_alu 0xf1ff
	v_cndmask_b32_e64 v52, 0, v52, s0
	s_wait_alu 0xfffe
	s_or_b32 exec_lo, exec_lo, s10
	global_load_b128 v[41:44], v[41:42], off offset:5632
	s_and_saveexec_b32 s0, vcc_lo
	s_cbranch_execz .LBB30_40
.LBB30_66:                              ;   in Loop: Header=BB30_42 Depth=1
	v_cmp_gt_i32_e32 vcc_lo, s31, v78
	s_wait_loadcnt 0x0
	s_wait_alu 0xfffd
	v_cndmask_b32_e32 v41, 0, v41, vcc_lo
	v_cmp_gt_i32_e32 vcc_lo, s31, v81
	s_wait_alu 0xfffd
	v_cndmask_b32_e32 v42, 0, v42, vcc_lo
	v_cmp_gt_i32_e32 vcc_lo, s31, v80
	;; [unrolled: 3-line block ×3, first 2 shown]
	s_wait_alu 0xfffd
	v_cndmask_b32_e32 v44, 0, v44, vcc_lo
	s_branch .LBB30_40
.LBB30_67:
	s_or_b32 exec_lo, exec_lo, s6
.LBB30_68:
	s_wait_alu 0xfffe
	s_or_b32 exec_lo, exec_lo, s1
	ds_bpermute_b32 v1, v59, v72
	ds_bpermute_b32 v2, v59, v73
	ds_bpermute_b32 v3, v59, v71
	ds_bpermute_b32 v4, v59, v70
	ds_bpermute_b32 v5, v59, v69
	ds_bpermute_b32 v6, v59, v68
	ds_bpermute_b32 v7, v59, v67
	ds_bpermute_b32 v8, v59, v66
	ds_bpermute_b32 v9, v59, v65
	ds_bpermute_b32 v10, v59, v64
	ds_bpermute_b32 v11, v59, v63
	ds_bpermute_b32 v12, v59, v62
	s_mov_b32 s0, exec_lo
	s_wait_storecnt 0x0
	s_wait_loadcnt_dscnt 0x0
	s_barrier_signal -1
	s_barrier_wait -1
	global_inv scope:SCOPE_SE
	v_dual_add_f32 v1, v72, v1 :: v_dual_add_f32 v2, v73, v2
	v_dual_add_f32 v3, v71, v3 :: v_dual_add_f32 v4, v70, v4
	;; [unrolled: 1-line block ×6, first 2 shown]
	ds_bpermute_b32 v13, v60, v1
	ds_bpermute_b32 v14, v60, v2
	ds_bpermute_b32 v15, v60, v3
	ds_bpermute_b32 v16, v60, v4
	ds_bpermute_b32 v17, v60, v5
	ds_bpermute_b32 v18, v60, v6
	ds_bpermute_b32 v19, v60, v7
	ds_bpermute_b32 v20, v60, v8
	ds_bpermute_b32 v21, v60, v9
	ds_bpermute_b32 v22, v60, v10
	ds_bpermute_b32 v23, v60, v11
	ds_bpermute_b32 v24, v60, v12
	s_wait_dscnt 0xa
	v_dual_add_f32 v1, v1, v13 :: v_dual_add_f32 v2, v2, v14
	s_wait_dscnt 0x9
	v_dual_add_f32 v3, v3, v15 :: v_dual_and_b32 v14, 28, v58
	s_wait_dscnt 0x7
	v_dual_add_f32 v4, v4, v16 :: v_dual_add_f32 v5, v5, v17
	s_wait_dscnt 0x5
	v_dual_add_f32 v6, v6, v18 :: v_dual_add_f32 v7, v7, v19
	;; [unrolled: 2-line block ×4, first 2 shown]
	v_and_b32_e32 v16, 0x3c3, v0
	s_wait_dscnt 0x0
	v_add_f32_e32 v12, v12, v24
	v_lshrrev_b32_e32 v13, 2, v58
	v_add_nc_u32_e32 v14, 0x1a0, v14
	v_mul_u32_u24_e32 v15, 0x180, v55
	v_cmpx_eq_u32_e32 64, v16
	s_cbranch_execz .LBB30_70
; %bb.69:
	s_delay_alu instid0(VALU_DEP_2) | instskip(NEXT) | instid1(VALU_DEP_1)
	v_add_nc_u32_e32 v16, v14, v15
	v_add_nc_u32_e32 v17, 0xfffffd00, v16
	v_add_nc_u32_e32 v18, 0xfffffd20, v16
	v_add_nc_u32_e32 v19, 0xfffffd40, v16
	v_add_nc_u32_e32 v20, 0xfffffd60, v16
	v_add_nc_u32_e32 v21, 0xfffffd80, v16
	v_add_nc_u32_e32 v22, 0xfffffda0, v16
	v_add_nc_u32_e32 v23, 0xfffffdc0, v16
	v_add_nc_u32_e32 v24, 0xfffffde0, v16
	v_add_nc_u32_e32 v25, 0xfffffe00, v16
	v_add_nc_u32_e32 v26, 0xfffffe20, v16
	v_add_nc_u32_e32 v27, 0xfffffe40, v16
	v_add_nc_u32_e32 v16, 0xfffffe60, v16
	ds_store_b32 v17, v1
	ds_store_b32 v18, v2
	;; [unrolled: 1-line block ×12, first 2 shown]
.LBB30_70:
	s_wait_alu 0xfffe
	s_or_b32 exec_lo, exec_lo, s0
	v_lshlrev_b32_e32 v13, 2, v13
	s_mov_b32 s1, exec_lo
	v_cmp_eq_u32_e32 vcc_lo, 0, v61
	s_wait_loadcnt_dscnt 0x0
	s_barrier_signal -1
	v_add3_u32 v13, 0x1a0, v15, v13
	s_barrier_wait -1
	global_inv scope:SCOPE_SE
	v_cmpx_gt_u32_e32 64, v0
	s_cbranch_execz .LBB30_85
; %bb.71:
	s_and_saveexec_b32 s0, vcc_lo
	s_cbranch_execnz .LBB30_105
; %bb.72:
	s_wait_alu 0xfffe
	s_or_b32 exec_lo, exec_lo, s0
	s_and_saveexec_b32 s0, vcc_lo
	s_cbranch_execnz .LBB30_106
.LBB30_73:
	s_wait_alu 0xfffe
	s_or_b32 exec_lo, exec_lo, s0
	s_and_saveexec_b32 s0, vcc_lo
	s_cbranch_execnz .LBB30_107
.LBB30_74:
	s_wait_alu 0xfffe
	s_or_b32 exec_lo, exec_lo, s0
	s_and_saveexec_b32 s0, vcc_lo
	s_cbranch_execnz .LBB30_108
.LBB30_75:
	s_wait_alu 0xfffe
	s_or_b32 exec_lo, exec_lo, s0
	s_and_saveexec_b32 s0, vcc_lo
	s_cbranch_execnz .LBB30_109
.LBB30_76:
	s_wait_alu 0xfffe
	s_or_b32 exec_lo, exec_lo, s0
	s_and_saveexec_b32 s0, vcc_lo
	s_cbranch_execnz .LBB30_110
.LBB30_77:
	s_wait_alu 0xfffe
	s_or_b32 exec_lo, exec_lo, s0
	s_and_saveexec_b32 s0, vcc_lo
	s_cbranch_execnz .LBB30_111
.LBB30_78:
	s_wait_alu 0xfffe
	s_or_b32 exec_lo, exec_lo, s0
	s_and_saveexec_b32 s0, vcc_lo
	s_cbranch_execnz .LBB30_112
.LBB30_79:
	s_wait_alu 0xfffe
	s_or_b32 exec_lo, exec_lo, s0
	s_and_saveexec_b32 s0, vcc_lo
	s_cbranch_execnz .LBB30_113
.LBB30_80:
	s_wait_alu 0xfffe
	s_or_b32 exec_lo, exec_lo, s0
	s_and_saveexec_b32 s0, vcc_lo
	s_cbranch_execnz .LBB30_114
.LBB30_81:
	s_wait_alu 0xfffe
	s_or_b32 exec_lo, exec_lo, s0
	s_and_saveexec_b32 s0, vcc_lo
	s_cbranch_execnz .LBB30_115
.LBB30_82:
	s_wait_alu 0xfffe
	s_or_b32 exec_lo, exec_lo, s0
	s_and_saveexec_b32 s0, vcc_lo
	s_cbranch_execz .LBB30_84
.LBB30_83:
	ds_load_b32 v15, v13 offset:352
	s_wait_dscnt 0x0
	v_add_f32_e32 v12, v12, v15
.LBB30_84:
	s_wait_alu 0xfffe
	s_or_b32 exec_lo, exec_lo, s0
.LBB30_85:
	s_wait_alu 0xfffe
	s_or_b32 exec_lo, exec_lo, s1
	v_and_b32_e32 v15, 0x3e3, v0
	s_mov_b32 s1, exec_lo
	s_wait_loadcnt 0x0
	s_barrier_signal -1
	s_barrier_wait -1
	global_inv scope:SCOPE_SE
	v_cmpx_eq_u32_e32 32, v15
	s_cbranch_execz .LBB30_87
; %bb.86:
	ds_store_2addr_b32 v14, v1, v2 offset1:8
	ds_store_2addr_b32 v14, v3, v4 offset0:16 offset1:24
	ds_store_2addr_b32 v14, v5, v6 offset0:32 offset1:40
	;; [unrolled: 1-line block ×5, first 2 shown]
.LBB30_87:
	s_wait_alu 0xfffe
	s_or_b32 exec_lo, exec_lo, s1
	s_delay_alu instid0(SALU_CYCLE_1)
	s_mov_b32 s1, exec_lo
	s_wait_loadcnt_dscnt 0x0
	s_barrier_signal -1
	s_barrier_wait -1
	global_inv scope:SCOPE_SE
	v_cmpx_gt_u32_e32 32, v0
	s_cbranch_execz .LBB30_102
; %bb.88:
	s_and_saveexec_b32 s0, vcc_lo
	s_cbranch_execnz .LBB30_116
; %bb.89:
	s_wait_alu 0xfffe
	s_or_b32 exec_lo, exec_lo, s0
	s_and_saveexec_b32 s0, vcc_lo
	s_cbranch_execnz .LBB30_117
.LBB30_90:
	s_wait_alu 0xfffe
	s_or_b32 exec_lo, exec_lo, s0
	s_and_saveexec_b32 s0, vcc_lo
	s_cbranch_execnz .LBB30_118
.LBB30_91:
	s_wait_alu 0xfffe
	s_or_b32 exec_lo, exec_lo, s0
	s_and_saveexec_b32 s0, vcc_lo
	s_cbranch_execnz .LBB30_119
.LBB30_92:
	s_wait_alu 0xfffe
	s_or_b32 exec_lo, exec_lo, s0
	s_and_saveexec_b32 s0, vcc_lo
	s_cbranch_execnz .LBB30_120
.LBB30_93:
	s_wait_alu 0xfffe
	s_or_b32 exec_lo, exec_lo, s0
	s_and_saveexec_b32 s0, vcc_lo
	s_cbranch_execnz .LBB30_121
.LBB30_94:
	s_wait_alu 0xfffe
	s_or_b32 exec_lo, exec_lo, s0
	s_and_saveexec_b32 s0, vcc_lo
	s_cbranch_execnz .LBB30_122
.LBB30_95:
	s_wait_alu 0xfffe
	s_or_b32 exec_lo, exec_lo, s0
	s_and_saveexec_b32 s0, vcc_lo
	s_cbranch_execnz .LBB30_123
.LBB30_96:
	s_wait_alu 0xfffe
	s_or_b32 exec_lo, exec_lo, s0
	s_and_saveexec_b32 s0, vcc_lo
	s_cbranch_execnz .LBB30_124
.LBB30_97:
	s_wait_alu 0xfffe
	s_or_b32 exec_lo, exec_lo, s0
	s_and_saveexec_b32 s0, vcc_lo
	s_cbranch_execnz .LBB30_125
.LBB30_98:
	s_wait_alu 0xfffe
	s_or_b32 exec_lo, exec_lo, s0
	s_and_saveexec_b32 s0, vcc_lo
	s_cbranch_execnz .LBB30_126
.LBB30_99:
	s_wait_alu 0xfffe
	s_or_b32 exec_lo, exec_lo, s0
	s_and_saveexec_b32 s0, vcc_lo
	s_cbranch_execz .LBB30_101
.LBB30_100:
	ds_load_b32 v13, v13 offset:352
	s_wait_dscnt 0x0
	v_add_f32_e32 v12, v12, v13
.LBB30_101:
	s_wait_alu 0xfffe
	s_or_b32 exec_lo, exec_lo, s0
.LBB30_102:
	s_wait_alu 0xfffe
	s_or_b32 exec_lo, exec_lo, s1
	s_mov_b32 s1, 0
	s_wait_loadcnt 0x0
	s_barrier_signal -1
	s_barrier_wait -1
	global_inv scope:SCOPE_SE
	s_mov_b32 s0, exec_lo
	v_cmpx_eq_u32_e32 0, v15
	s_cbranch_execz .LBB30_104
; %bb.103:
	s_mul_i32 s2, s20, 0x60
	s_wait_kmcnt 0x0
	s_mul_i32 s4, s8, s16
	s_wait_alu 0xfffe
	s_ashr_i32 s3, s2, 31
	s_ashr_i32 s5, s4, 31
	s_wait_alu 0xfffe
	s_lshl_b64 s[2:3], s[2:3], 2
	s_lshl_b64 s[4:5], s[4:5], 2
	s_wait_alu 0xfffe
	s_add_nc_u64 s[2:3], s[14:15], s[2:3]
	s_mul_i32 s0, s30, 0x180
	s_wait_alu 0xfffe
	s_add_nc_u64 s[2:3], s[2:3], s[4:5]
	s_wait_alu 0xfffe
	s_add_nc_u64 s[0:1], s[2:3], s[0:1]
	s_clause 0xb
	global_store_b32 v0, v1, s[0:1]
	global_store_b32 v0, v2, s[0:1] offset:32
	global_store_b32 v0, v3, s[0:1] offset:64
	;; [unrolled: 1-line block ×11, first 2 shown]
.LBB30_104:
	s_endpgm
.LBB30_105:
	ds_load_b32 v15, v13
	s_wait_dscnt 0x0
	v_add_f32_e32 v1, v1, v15
	s_wait_alu 0xfffe
	s_or_b32 exec_lo, exec_lo, s0
	s_and_saveexec_b32 s0, vcc_lo
	s_cbranch_execz .LBB30_73
.LBB30_106:
	ds_load_b32 v15, v13 offset:32
	s_wait_dscnt 0x0
	v_add_f32_e32 v2, v2, v15
	s_wait_alu 0xfffe
	s_or_b32 exec_lo, exec_lo, s0
	s_and_saveexec_b32 s0, vcc_lo
	s_cbranch_execz .LBB30_74
.LBB30_107:
	ds_load_b32 v15, v13 offset:64
	s_wait_dscnt 0x0
	v_add_f32_e32 v3, v3, v15
	s_wait_alu 0xfffe
	s_or_b32 exec_lo, exec_lo, s0
	s_and_saveexec_b32 s0, vcc_lo
	s_cbranch_execz .LBB30_75
.LBB30_108:
	ds_load_b32 v15, v13 offset:96
	s_wait_dscnt 0x0
	v_add_f32_e32 v4, v4, v15
	s_wait_alu 0xfffe
	s_or_b32 exec_lo, exec_lo, s0
	s_and_saveexec_b32 s0, vcc_lo
	s_cbranch_execz .LBB30_76
.LBB30_109:
	ds_load_b32 v15, v13 offset:128
	s_wait_dscnt 0x0
	v_add_f32_e32 v5, v5, v15
	s_wait_alu 0xfffe
	s_or_b32 exec_lo, exec_lo, s0
	s_and_saveexec_b32 s0, vcc_lo
	s_cbranch_execz .LBB30_77
.LBB30_110:
	ds_load_b32 v15, v13 offset:160
	s_wait_dscnt 0x0
	v_add_f32_e32 v6, v6, v15
	s_wait_alu 0xfffe
	s_or_b32 exec_lo, exec_lo, s0
	s_and_saveexec_b32 s0, vcc_lo
	s_cbranch_execz .LBB30_78
.LBB30_111:
	ds_load_b32 v15, v13 offset:192
	s_wait_dscnt 0x0
	v_add_f32_e32 v7, v7, v15
	s_wait_alu 0xfffe
	s_or_b32 exec_lo, exec_lo, s0
	s_and_saveexec_b32 s0, vcc_lo
	s_cbranch_execz .LBB30_79
.LBB30_112:
	ds_load_b32 v15, v13 offset:224
	s_wait_dscnt 0x0
	v_add_f32_e32 v8, v8, v15
	s_wait_alu 0xfffe
	s_or_b32 exec_lo, exec_lo, s0
	s_and_saveexec_b32 s0, vcc_lo
	s_cbranch_execz .LBB30_80
.LBB30_113:
	ds_load_b32 v15, v13 offset:256
	s_wait_dscnt 0x0
	v_add_f32_e32 v9, v9, v15
	s_wait_alu 0xfffe
	s_or_b32 exec_lo, exec_lo, s0
	s_and_saveexec_b32 s0, vcc_lo
	s_cbranch_execz .LBB30_81
.LBB30_114:
	ds_load_b32 v15, v13 offset:288
	s_wait_dscnt 0x0
	v_add_f32_e32 v10, v10, v15
	s_wait_alu 0xfffe
	s_or_b32 exec_lo, exec_lo, s0
	s_and_saveexec_b32 s0, vcc_lo
	s_cbranch_execz .LBB30_82
.LBB30_115:
	ds_load_b32 v15, v13 offset:320
	s_wait_dscnt 0x0
	v_add_f32_e32 v11, v11, v15
	s_wait_alu 0xfffe
	s_or_b32 exec_lo, exec_lo, s0
	s_and_saveexec_b32 s0, vcc_lo
	s_cbranch_execnz .LBB30_83
	s_branch .LBB30_84
.LBB30_116:
	ds_load_b32 v14, v13
	s_wait_dscnt 0x0
	v_add_f32_e32 v1, v1, v14
	s_wait_alu 0xfffe
	s_or_b32 exec_lo, exec_lo, s0
	s_and_saveexec_b32 s0, vcc_lo
	s_cbranch_execz .LBB30_90
.LBB30_117:
	ds_load_b32 v14, v13 offset:32
	s_wait_dscnt 0x0
	v_add_f32_e32 v2, v2, v14
	s_wait_alu 0xfffe
	s_or_b32 exec_lo, exec_lo, s0
	s_and_saveexec_b32 s0, vcc_lo
	s_cbranch_execz .LBB30_91
.LBB30_118:
	ds_load_b32 v14, v13 offset:64
	s_wait_dscnt 0x0
	v_add_f32_e32 v3, v3, v14
	s_wait_alu 0xfffe
	s_or_b32 exec_lo, exec_lo, s0
	s_and_saveexec_b32 s0, vcc_lo
	s_cbranch_execz .LBB30_92
.LBB30_119:
	ds_load_b32 v14, v13 offset:96
	s_wait_dscnt 0x0
	v_add_f32_e32 v4, v4, v14
	s_wait_alu 0xfffe
	s_or_b32 exec_lo, exec_lo, s0
	s_and_saveexec_b32 s0, vcc_lo
	s_cbranch_execz .LBB30_93
.LBB30_120:
	ds_load_b32 v14, v13 offset:128
	s_wait_dscnt 0x0
	v_add_f32_e32 v5, v5, v14
	s_wait_alu 0xfffe
	s_or_b32 exec_lo, exec_lo, s0
	s_and_saveexec_b32 s0, vcc_lo
	s_cbranch_execz .LBB30_94
.LBB30_121:
	ds_load_b32 v14, v13 offset:160
	s_wait_dscnt 0x0
	v_add_f32_e32 v6, v6, v14
	s_wait_alu 0xfffe
	s_or_b32 exec_lo, exec_lo, s0
	s_and_saveexec_b32 s0, vcc_lo
	s_cbranch_execz .LBB30_95
.LBB30_122:
	ds_load_b32 v14, v13 offset:192
	s_wait_dscnt 0x0
	v_add_f32_e32 v7, v7, v14
	s_wait_alu 0xfffe
	s_or_b32 exec_lo, exec_lo, s0
	s_and_saveexec_b32 s0, vcc_lo
	s_cbranch_execz .LBB30_96
.LBB30_123:
	ds_load_b32 v14, v13 offset:224
	s_wait_dscnt 0x0
	v_add_f32_e32 v8, v8, v14
	s_wait_alu 0xfffe
	s_or_b32 exec_lo, exec_lo, s0
	s_and_saveexec_b32 s0, vcc_lo
	s_cbranch_execz .LBB30_97
.LBB30_124:
	ds_load_b32 v14, v13 offset:256
	s_wait_dscnt 0x0
	v_add_f32_e32 v9, v9, v14
	s_wait_alu 0xfffe
	s_or_b32 exec_lo, exec_lo, s0
	s_and_saveexec_b32 s0, vcc_lo
	s_cbranch_execz .LBB30_98
.LBB30_125:
	ds_load_b32 v14, v13 offset:288
	s_wait_dscnt 0x0
	v_add_f32_e32 v10, v10, v14
	s_wait_alu 0xfffe
	s_or_b32 exec_lo, exec_lo, s0
	s_and_saveexec_b32 s0, vcc_lo
	s_cbranch_execz .LBB30_99
.LBB30_126:
	ds_load_b32 v14, v13 offset:320
	s_wait_dscnt 0x0
	v_add_f32_e32 v11, v11, v14
	s_wait_alu 0xfffe
	s_or_b32 exec_lo, exec_lo, s0
	s_and_saveexec_b32 s0, vcc_lo
	s_cbranch_execnz .LBB30_100
	s_branch .LBB30_101
	.section	.rodata,"a",@progbits
	.p2align	6, 0x0
	.amdhsa_kernel _ZN4vllm25paged_attention_v2_kernelIffLi96ELi16ELi128ELNS_18Fp8KVCacheDataTypeE0ELb1ELi512EEEvPfS2_PT_PKS3_PKT0_S9_ifPKiSB_iPKfiiiSD_SD_iiiii
		.amdhsa_group_segment_fixed_size 416
		.amdhsa_private_segment_fixed_size 0
		.amdhsa_kernarg_size 400
		.amdhsa_user_sgpr_count 2
		.amdhsa_user_sgpr_dispatch_ptr 0
		.amdhsa_user_sgpr_queue_ptr 0
		.amdhsa_user_sgpr_kernarg_segment_ptr 1
		.amdhsa_user_sgpr_dispatch_id 0
		.amdhsa_user_sgpr_private_segment_size 0
		.amdhsa_wavefront_size32 1
		.amdhsa_uses_dynamic_stack 0
		.amdhsa_enable_private_segment 0
		.amdhsa_system_sgpr_workgroup_id_x 1
		.amdhsa_system_sgpr_workgroup_id_y 1
		.amdhsa_system_sgpr_workgroup_id_z 1
		.amdhsa_system_sgpr_workgroup_info 0
		.amdhsa_system_vgpr_workitem_id 0
		.amdhsa_next_free_vgpr 82
		.amdhsa_next_free_sgpr 42
		.amdhsa_reserve_vcc 1
		.amdhsa_float_round_mode_32 0
		.amdhsa_float_round_mode_16_64 0
		.amdhsa_float_denorm_mode_32 3
		.amdhsa_float_denorm_mode_16_64 3
		.amdhsa_fp16_overflow 0
		.amdhsa_workgroup_processor_mode 1
		.amdhsa_memory_ordered 1
		.amdhsa_forward_progress 1
		.amdhsa_inst_pref_size 68
		.amdhsa_round_robin_scheduling 0
		.amdhsa_exception_fp_ieee_invalid_op 0
		.amdhsa_exception_fp_denorm_src 0
		.amdhsa_exception_fp_ieee_div_zero 0
		.amdhsa_exception_fp_ieee_overflow 0
		.amdhsa_exception_fp_ieee_underflow 0
		.amdhsa_exception_fp_ieee_inexact 0
		.amdhsa_exception_int_div_zero 0
	.end_amdhsa_kernel
	.section	.text._ZN4vllm25paged_attention_v2_kernelIffLi96ELi16ELi128ELNS_18Fp8KVCacheDataTypeE0ELb1ELi512EEEvPfS2_PT_PKS3_PKT0_S9_ifPKiSB_iPKfiiiSD_SD_iiiii,"axG",@progbits,_ZN4vllm25paged_attention_v2_kernelIffLi96ELi16ELi128ELNS_18Fp8KVCacheDataTypeE0ELb1ELi512EEEvPfS2_PT_PKS3_PKT0_S9_ifPKiSB_iPKfiiiSD_SD_iiiii,comdat
.Lfunc_end30:
	.size	_ZN4vllm25paged_attention_v2_kernelIffLi96ELi16ELi128ELNS_18Fp8KVCacheDataTypeE0ELb1ELi512EEEvPfS2_PT_PKS3_PKT0_S9_ifPKiSB_iPKfiiiSD_SD_iiiii, .Lfunc_end30-_ZN4vllm25paged_attention_v2_kernelIffLi96ELi16ELi128ELNS_18Fp8KVCacheDataTypeE0ELb1ELi512EEEvPfS2_PT_PKS3_PKT0_S9_ifPKiSB_iPKfiiiSD_SD_iiiii
                                        ; -- End function
	.set _ZN4vllm25paged_attention_v2_kernelIffLi96ELi16ELi128ELNS_18Fp8KVCacheDataTypeE0ELb1ELi512EEEvPfS2_PT_PKS3_PKT0_S9_ifPKiSB_iPKfiiiSD_SD_iiiii.num_vgpr, 82
	.set _ZN4vllm25paged_attention_v2_kernelIffLi96ELi16ELi128ELNS_18Fp8KVCacheDataTypeE0ELb1ELi512EEEvPfS2_PT_PKS3_PKT0_S9_ifPKiSB_iPKfiiiSD_SD_iiiii.num_agpr, 0
	.set _ZN4vllm25paged_attention_v2_kernelIffLi96ELi16ELi128ELNS_18Fp8KVCacheDataTypeE0ELb1ELi512EEEvPfS2_PT_PKS3_PKT0_S9_ifPKiSB_iPKfiiiSD_SD_iiiii.numbered_sgpr, 42
	.set _ZN4vllm25paged_attention_v2_kernelIffLi96ELi16ELi128ELNS_18Fp8KVCacheDataTypeE0ELb1ELi512EEEvPfS2_PT_PKS3_PKT0_S9_ifPKiSB_iPKfiiiSD_SD_iiiii.num_named_barrier, 0
	.set _ZN4vllm25paged_attention_v2_kernelIffLi96ELi16ELi128ELNS_18Fp8KVCacheDataTypeE0ELb1ELi512EEEvPfS2_PT_PKS3_PKT0_S9_ifPKiSB_iPKfiiiSD_SD_iiiii.private_seg_size, 0
	.set _ZN4vllm25paged_attention_v2_kernelIffLi96ELi16ELi128ELNS_18Fp8KVCacheDataTypeE0ELb1ELi512EEEvPfS2_PT_PKS3_PKT0_S9_ifPKiSB_iPKfiiiSD_SD_iiiii.uses_vcc, 1
	.set _ZN4vllm25paged_attention_v2_kernelIffLi96ELi16ELi128ELNS_18Fp8KVCacheDataTypeE0ELb1ELi512EEEvPfS2_PT_PKS3_PKT0_S9_ifPKiSB_iPKfiiiSD_SD_iiiii.uses_flat_scratch, 0
	.set _ZN4vllm25paged_attention_v2_kernelIffLi96ELi16ELi128ELNS_18Fp8KVCacheDataTypeE0ELb1ELi512EEEvPfS2_PT_PKS3_PKT0_S9_ifPKiSB_iPKfiiiSD_SD_iiiii.has_dyn_sized_stack, 0
	.set _ZN4vllm25paged_attention_v2_kernelIffLi96ELi16ELi128ELNS_18Fp8KVCacheDataTypeE0ELb1ELi512EEEvPfS2_PT_PKS3_PKT0_S9_ifPKiSB_iPKfiiiSD_SD_iiiii.has_recursion, 0
	.set _ZN4vllm25paged_attention_v2_kernelIffLi96ELi16ELi128ELNS_18Fp8KVCacheDataTypeE0ELb1ELi512EEEvPfS2_PT_PKS3_PKT0_S9_ifPKiSB_iPKfiiiSD_SD_iiiii.has_indirect_call, 0
	.section	.AMDGPU.csdata,"",@progbits
; Kernel info:
; codeLenInByte = 8624
; TotalNumSgprs: 44
; NumVgprs: 82
; ScratchSize: 0
; MemoryBound: 0
; FloatMode: 240
; IeeeMode: 1
; LDSByteSize: 416 bytes/workgroup (compile time only)
; SGPRBlocks: 0
; VGPRBlocks: 10
; NumSGPRsForWavesPerEU: 44
; NumVGPRsForWavesPerEU: 82
; Occupancy: 16
; WaveLimiterHint : 1
; COMPUTE_PGM_RSRC2:SCRATCH_EN: 0
; COMPUTE_PGM_RSRC2:USER_SGPR: 2
; COMPUTE_PGM_RSRC2:TRAP_HANDLER: 0
; COMPUTE_PGM_RSRC2:TGID_X_EN: 1
; COMPUTE_PGM_RSRC2:TGID_Y_EN: 1
; COMPUTE_PGM_RSRC2:TGID_Z_EN: 1
; COMPUTE_PGM_RSRC2:TIDIG_COMP_CNT: 0
	.section	.text._ZN4vllm25paged_attention_v2_kernelIffLi112ELi16ELi128ELNS_18Fp8KVCacheDataTypeE0ELb1ELi512EEEvPfS2_PT_PKS3_PKT0_S9_ifPKiSB_iPKfiiiSD_SD_iiiii,"axG",@progbits,_ZN4vllm25paged_attention_v2_kernelIffLi112ELi16ELi128ELNS_18Fp8KVCacheDataTypeE0ELb1ELi512EEEvPfS2_PT_PKS3_PKT0_S9_ifPKiSB_iPKfiiiSD_SD_iiiii,comdat
	.protected	_ZN4vllm25paged_attention_v2_kernelIffLi112ELi16ELi128ELNS_18Fp8KVCacheDataTypeE0ELb1ELi512EEEvPfS2_PT_PKS3_PKT0_S9_ifPKiSB_iPKfiiiSD_SD_iiiii ; -- Begin function _ZN4vllm25paged_attention_v2_kernelIffLi112ELi16ELi128ELNS_18Fp8KVCacheDataTypeE0ELb1ELi512EEEvPfS2_PT_PKS3_PKT0_S9_ifPKiSB_iPKfiiiSD_SD_iiiii
	.globl	_ZN4vllm25paged_attention_v2_kernelIffLi112ELi16ELi128ELNS_18Fp8KVCacheDataTypeE0ELb1ELi512EEEvPfS2_PT_PKS3_PKT0_S9_ifPKiSB_iPKfiiiSD_SD_iiiii
	.p2align	8
	.type	_ZN4vllm25paged_attention_v2_kernelIffLi112ELi16ELi128ELNS_18Fp8KVCacheDataTypeE0ELb1ELi512EEEvPfS2_PT_PKS3_PKT0_S9_ifPKiSB_iPKfiiiSD_SD_iiiii,@function
_ZN4vllm25paged_attention_v2_kernelIffLi112ELi16ELi128ELNS_18Fp8KVCacheDataTypeE0ELb1ELi512EEEvPfS2_PT_PKS3_PKT0_S9_ifPKiSB_iPKfiiiSD_SD_iiiii: ; @_ZN4vllm25paged_attention_v2_kernelIffLi112ELi16ELi128ELNS_18Fp8KVCacheDataTypeE0ELb1ELi512EEEvPfS2_PT_PKS3_PKT0_S9_ifPKiSB_iPKfiiiSD_SD_iiiii
; %bb.0:
	s_load_b64 s[2:3], s[0:1], 0x40
	s_and_b32 s20, ttmp7, 0xffff
	s_lshr_b32 s30, ttmp7, 16
	s_lshl_b32 s4, s20, 2
	s_lshl_b32 s33, s30, 9
	s_wait_kmcnt 0x0
	s_load_b32 s31, s[2:3], s4 offset:0x0
	s_wait_kmcnt 0x0
	s_cmp_ge_i32 s33, s31
	s_cbranch_scc1 .LBB31_112
; %bb.1:
	s_clause 0x1
	s_load_b32 s21, s[0:1], 0x90
	s_load_b64 s[6:7], s[0:1], 0x30
	s_wait_kmcnt 0x0
	s_abs_i32 s5, s21
	s_abs_i32 s2, s6
	s_delay_alu instid0(SALU_CYCLE_1) | instskip(SKIP_1) | instid1(SALU_CYCLE_2)
	s_cvt_f32_u32 s3, s2
	s_sub_co_i32 s4, 0, s2
	v_rcp_iflag_f32_e32 v1, s3
	s_delay_alu instid0(TRANS32_DEP_1) | instskip(SKIP_2) | instid1(SALU_CYCLE_2)
	v_readfirstlane_b32 s3, v1
	s_mul_f32 s3, s3, 0x4f7ffffe
	s_wait_alu 0xfffe
	s_cvt_u32_f32 s3, s3
	s_wait_alu 0xfffe
	s_delay_alu instid0(SALU_CYCLE_2) | instskip(NEXT) | instid1(SALU_CYCLE_1)
	s_mul_i32 s4, s4, s3
	s_mul_hi_u32 s4, s3, s4
	s_delay_alu instid0(SALU_CYCLE_1)
	s_add_co_i32 s3, s3, s4
	s_xor_b32 s4, s21, s6
	s_wait_alu 0xfffe
	s_mul_hi_u32 s3, s5, s3
	s_ashr_i32 s4, s4, 31
	s_wait_alu 0xfffe
	s_mul_i32 s8, s3, s2
	s_delay_alu instid0(SALU_CYCLE_1)
	s_sub_co_i32 s5, s5, s8
	s_add_co_i32 s8, s3, 1
	s_sub_co_i32 s9, s5, s2
	s_cmp_ge_u32 s5, s2
	s_cselect_b32 s3, s8, s3
	s_cselect_b32 s5, s9, s5
	s_wait_alu 0xfffe
	s_add_co_i32 s8, s3, 1
	s_cmp_ge_u32 s5, s2
	s_cselect_b32 s2, s8, s3
	s_load_b64 s[8:9], s[0:1], 0x50
	s_xor_b32 s2, s2, s4
	s_mov_b32 s3, 0
	s_wait_alu 0xfffe
	s_sub_co_i32 s10, s2, s4
	s_mov_b32 s15, s3
	s_abs_i32 s18, s10
	s_delay_alu instid0(SALU_CYCLE_1) | instskip(SKIP_1) | instid1(SALU_CYCLE_2)
	s_cvt_f32_u32 s2, s18
	s_wait_alu 0xfffe
	v_rcp_iflag_f32_e32 v1, s2
	s_delay_alu instid0(TRANS32_DEP_1) | instskip(SKIP_2) | instid1(SALU_CYCLE_2)
	v_readfirstlane_b32 s2, v1
	s_mul_f32 s2, s2, 0x4f7ffffe
	s_wait_alu 0xfffe
	s_cvt_u32_f32 s4, s2
	s_sub_co_i32 s2, 0, s18
	s_wait_alu 0xfffe
	s_delay_alu instid0(SALU_CYCLE_1)
	s_mul_i32 s2, s2, s4
	s_wait_alu 0xfffe
	s_mul_hi_u32 s5, s4, s2
	s_abs_i32 s2, ttmp9
	s_add_co_i32 s4, s4, s5
	s_mov_b32 s5, s3
	s_wait_kmcnt 0x0
	s_cmp_eq_u64 s[8:9], 0
	s_cbranch_scc1 .LBB31_3
; %bb.2:
	s_mov_b32 s12, ttmp9
	s_ashr_i32 s13, ttmp9, 31
	s_delay_alu instid0(SALU_CYCLE_1) | instskip(NEXT) | instid1(SALU_CYCLE_1)
	s_lshl_b64 s[12:13], s[12:13], 2
	s_add_nc_u64 s[8:9], s[8:9], s[12:13]
	s_load_b32 s15, s[8:9], 0x0
.LBB31_3:
	s_load_b96 s[12:14], s[0:1], 0x58
	v_and_b32_e32 v1, 1, v0
	v_lshlrev_b32_e32 v2, 3, v0
	v_lshlrev_b32_e32 v3, 2, v0
	s_mul_u64 s[4:5], s[2:3], s[4:5]
	s_ashr_i32 s3, ttmp9, 31
	s_ashr_i32 s4, s10, 31
	s_mul_i32 s16, ttmp9, 0x70
	s_mov_b32 s8, exec_lo
	v_cmpx_gt_u32_e32 56, v0
	s_cbranch_execz .LBB31_5
; %bb.4:
	s_load_b64 s[10:11], s[0:1], 0x18
	s_wait_kmcnt 0x0
	s_mul_i32 s22, s12, s20
	s_ashr_i32 s17, s16, 31
	s_ashr_i32 s23, s22, 31
	v_and_b32_e32 v6, 0xff8, v3
	s_lshl_b64 s[22:23], s[22:23], 2
	s_delay_alu instid0(VALU_DEP_1) | instskip(SKIP_2) | instid1(SALU_CYCLE_1)
	v_mad_u32_u24 v6, 0xe0, v1, v6
	s_add_nc_u64 s[10:11], s[10:11], s[22:23]
	s_lshl_b64 s[22:23], s[16:17], 2
	s_add_nc_u64 s[10:11], s[10:11], s[22:23]
	global_load_b64 v[4:5], v2, s[10:11]
	s_wait_loadcnt 0x0
	ds_store_b64 v6, v[4:5]
.LBB31_5:
	s_or_b32 exec_lo, exec_lo, s8
	s_clause 0x1
	s_load_b128 s[8:11], s[0:1], 0x78
	s_load_b32 s22, s[0:1], 0x88
	s_wait_kmcnt 0x0
	s_mul_i32 s12, s5, s18
	s_xor_b32 s3, s3, s4
	s_sub_co_i32 s2, s2, s12
	s_add_co_i32 s4, s5, 1
	s_wait_alu 0xfffe
	s_sub_co_i32 s12, s2, s18
	s_cmp_ge_u32 s2, s18
	s_mov_b32 s24, -1
	s_cselect_b32 s4, s4, s5
	s_cselect_b32 s2, s12, s2
	s_add_co_i32 s5, s4, 1
	s_wait_alu 0xfffe
	s_cmp_ge_u32 s2, s18
	s_wait_dscnt 0x0
	s_cselect_b32 s2, s5, s4
	s_add_co_i32 s23, s31, -1
	s_wait_alu 0xfffe
	s_xor_b32 s2, s2, s3
	s_barrier_signal -1
	s_wait_alu 0xfffe
	s_sub_co_i32 s26, s2, s3
	s_barrier_wait -1
	s_abs_i32 s12, s11
	global_inv scope:SCOPE_SE
	s_cvt_f32_u32 s4, s12
                                        ; implicit-def: $sgpr17
	s_delay_alu instid0(SALU_CYCLE_3) | instskip(NEXT) | instid1(TRANS32_DEP_1)
	v_rcp_iflag_f32_e32 v4, s4
	v_readfirstlane_b32 s4, v4
	s_mul_f32 s2, s4, 0x4f7ffffe
	s_wait_alu 0xfffe
	s_delay_alu instid0(SALU_CYCLE_2) | instskip(SKIP_2) | instid1(SALU_CYCLE_1)
	s_cvt_u32_f32 s4, s2
	s_sub_co_i32 s2, 0, s12
	s_wait_alu 0xfffe
	s_mul_i32 s3, s2, s4
	s_abs_i32 s2, s23
	s_wait_alu 0xfffe
	s_mul_hi_u32 s5, s4, s3
	s_mov_b32 s3, 0
	s_wait_alu 0xfffe
	s_add_co_i32 s18, s4, s5
	s_cmp_lt_i32 s22, 0
	s_mov_b32 s19, s3
	s_cbranch_scc0 .LBB31_7
; %bb.6:
	s_mul_i32 s4, s8, s6
	s_mov_b32 s24, s3
	s_wait_alu 0xfffe
	s_add_co_i32 s4, s26, s4
	s_wait_alu 0xfffe
	s_mul_i32 s4, s4, s22
	s_wait_alu 0xfffe
	s_sub_co_i32 s17, 1, s4
.LBB31_7:
	s_mul_u64 s[4:5], s[2:3], s[18:19]
	s_ashr_i32 s3, s23, 31
	s_and_not1_b32 vcc_lo, exec_lo, s24
	s_ashr_i32 s11, s11, 31
	s_cbranch_vccnz .LBB31_9
; %bb.8:
	s_mul_i32 s4, s21, s8
	s_wait_alu 0xfffe
	s_add_co_i32 s4, s4, ttmp9
	s_wait_alu 0xfffe
	s_mul_i32 s4, s4, s22
	s_wait_alu 0xfffe
	s_add_co_i32 s17, s4, 1
.LBB31_9:
	s_clause 0x2
	s_load_b32 s4, s[0:1], 0x48
	s_load_b64 s[22:23], s[0:1], 0x38
	s_load_b32 s8, s[0:1], 0x98
	s_mul_i32 s6, s5, s12
	s_xor_b32 s3, s3, s11
	s_sub_co_i32 s2, s2, s6
	s_add_co_i32 s19, s5, 1
	v_lshrrev_b32_e32 v63, 5, v0
	v_mov_b32_e32 v6, 0xff7fffff
	v_mbcnt_lo_u32_b32 v5, -1, 0
	s_mul_i32 s26, s26, s14
	s_delay_alu instid0(VALU_DEP_3)
	v_lshl_add_u32 v64, v63, 4, s33
	s_wait_kmcnt 0x0
	s_mul_i32 s24, s4, s20
	s_wait_alu 0xfffe
	s_sub_co_i32 s4, s2, s12
	s_ashr_i32 s25, s24, 31
	s_cmp_ge_u32 s2, s12
	s_cselect_b32 s5, s19, s5
	s_wait_alu 0xfffe
	s_cselect_b32 s2, s4, s2
	s_add_co_i32 s4, s5, 1
	s_wait_alu 0xfffe
	s_cmp_ge_u32 s2, s12
	s_cselect_b32 s2, s4, s5
	s_add_co_i32 s4, s31, 15
	s_lshl_b32 s36, s30, 5
	s_wait_alu 0xfffe
	s_ashr_i32 s5, s4, 31
	v_or_b32_e32 v65, s36, v63
	s_wait_alu 0xfffe
	s_lshr_b32 s5, s5, 28
	s_wait_alu 0xfffe
	s_add_co_i32 s4, s4, s5
	s_add_co_i32 s5, s36, 32
	s_wait_alu 0xfffe
	s_ashr_i32 s34, s4, 4
	s_xor_b32 s4, s2, s3
	s_min_i32 s19, s5, s34
	v_lshlrev_b32_e32 v4, 2, v65
	v_cmp_gt_i32_e64 s2, s19, v65
	s_wait_alu 0xfffe
	s_sub_co_i32 s35, s4, s3
	s_and_saveexec_b32 s6, s2
	s_cbranch_execz .LBB31_21
; %bb.10:
	s_ashr_i32 s27, s26, 31
	s_sub_co_i32 s14, s35, s9
	s_lshl_b64 s[4:5], s[26:27], 2
	s_cmp_neq_f32 s15, 0
	s_load_b64 s[38:39], s[0:1], 0x20
	v_bfe_u32 v7, v0, 1, 4
	v_mul_u32_u24_e32 v8, 0xe0, v1
	s_cselect_b32 vcc_lo, -1, 0
	s_abs_i32 s27, s10
	v_and_b32_e32 v2, 8, v2
	s_cvt_f32_u32 s3, s27
	v_lshlrev_b32_e32 v9, 4, v7
	s_lshl_b64 s[40:41], s[24:25], 2
	v_mov_b32_e32 v14, 0xff7fffff
	s_wait_alu 0xfffe
	v_rcp_iflag_f32_e32 v6, s3
	v_cmp_eq_u32_e64 s3, 0, v1
	v_lshlrev_b32_e32 v1, 2, v7
	v_subrev_nc_u32_e32 v12, s31, v7
	s_add_nc_u64 s[40:41], s[22:23], s[40:41]
	s_sub_co_i32 s37, 0, s27
	v_lshl_add_u32 v11, v63, 4, s33
	v_xor_b32_e32 v15, 1, v5
	v_add_nc_u32_e32 v12, 1, v12
	s_mov_b32 s28, 0
	v_readfirstlane_b32 s29, v6
	v_lshl_or_b32 v6, v63, 6, v1
	s_wait_kmcnt 0x0
	s_add_nc_u64 s[4:5], s[38:39], s[4:5]
	v_mov_b32_e32 v16, v65
	s_mul_f32 s29, s29, 0x4f7ffffe
	v_add_nc_u32_e32 v13, 0x1e0, v6
	v_mov_b32_e32 v6, 0xff7fffff
	s_wait_alu 0xfffe
	v_add_co_u32 v1, s4, s4, v9
	s_wait_alu 0xf1ff
	v_add_co_ci_u32_e64 v10, null, s5, 0, s4
	s_cvt_u32_f32 s5, s29
	v_add_co_u32 v9, s4, v1, v2
	s_wait_alu 0xf1ff
	v_add_co_ci_u32_e64 v10, null, 0, v10, s4
	v_add_co_u32 v1, s4, s40, v4
	s_wait_alu 0xfffe
	s_mul_i32 s37, s37, s5
	v_add_co_ci_u32_e64 v2, null, s41, 0, s4
	s_wait_alu 0xfffe
	s_mul_hi_u32 s4, s5, s37
	s_mov_b32 s29, s13
	s_wait_alu 0xfffe
	s_add_co_i32 s37, s5, s4
	s_branch .LBB31_13
.LBB31_11:                              ;   in Loop: Header=BB31_13 Depth=1
	s_or_b32 exec_lo, exec_lo, s38
.LBB31_12:                              ;   in Loop: Header=BB31_13 Depth=1
	s_wait_alu 0xfffe
	s_or_b32 exec_lo, exec_lo, s5
	v_add_nc_u32_e32 v16, 4, v16
	v_add_co_u32 v1, s5, v1, 16
	s_wait_alu 0xf1ff
	v_add_co_ci_u32_e64 v2, null, 0, v2, s5
	s_delay_alu instid0(VALU_DEP_3)
	v_cmp_le_i32_e64 s4, s19, v16
	v_add_nc_u32_e32 v11, 64, v11
	v_add_nc_u32_e32 v13, 0x100, v13
	s_or_b32 s28, s4, s28
	s_wait_alu 0xfffe
	s_and_not1_b32 exec_lo, exec_lo, s28
	s_cbranch_execz .LBB31_20
.LBB31_13:                              ; =>This Inner Loop Header: Depth=1
	v_sub_nc_u32_e32 v17, 0, v11
	s_delay_alu instid0(VALU_DEP_1) | instskip(SKIP_1) | instid1(VALU_DEP_1)
	v_max_i32_e32 v17, v11, v17
	s_wait_dscnt 0x0
	v_mul_hi_u32 v18, v17, s18
	s_delay_alu instid0(VALU_DEP_1) | instskip(NEXT) | instid1(VALU_DEP_1)
	v_mul_lo_u32 v19, v18, s12
	v_sub_nc_u32_e32 v17, v17, v19
	v_add_nc_u32_e32 v19, 1, v18
	s_delay_alu instid0(VALU_DEP_2) | instskip(SKIP_2) | instid1(VALU_DEP_1)
	v_subrev_nc_u32_e32 v20, s12, v17
	v_cmp_le_u32_e64 s4, s12, v17
	s_wait_alu 0xf1ff
	v_cndmask_b32_e64 v18, v18, v19, s4
	s_delay_alu instid0(VALU_DEP_3) | instskip(SKIP_1) | instid1(VALU_DEP_3)
	v_cndmask_b32_e64 v17, v17, v20, s4
	v_ashrrev_i32_e32 v19, 31, v11
	v_add_nc_u32_e32 v20, 1, v18
	s_delay_alu instid0(VALU_DEP_3) | instskip(NEXT) | instid1(VALU_DEP_3)
	v_cmp_le_u32_e64 s4, s12, v17
	v_xor_b32_e32 v19, s11, v19
	s_wait_alu 0xf1ff
	s_delay_alu instid0(VALU_DEP_2) | instskip(NEXT) | instid1(VALU_DEP_1)
	v_cndmask_b32_e64 v17, v18, v20, s4
	v_xor_b32_e32 v17, v17, v19
	s_delay_alu instid0(VALU_DEP_1) | instskip(NEXT) | instid1(VALU_DEP_1)
	v_sub_nc_u32_e32 v17, v17, v19
	v_add_nc_u32_e32 v18, s17, v17
	v_cmp_ge_i32_e64 s5, s14, v17
	s_delay_alu instid0(VALU_DEP_2) | instskip(NEXT) | instid1(VALU_DEP_1)
	v_sub_nc_u32_e32 v19, 0, v18
	v_max_i32_e32 v19, v18, v19
	v_ashrrev_i32_e32 v18, 31, v18
	s_wait_alu 0xfffe
	s_delay_alu instid0(VALU_DEP_2) | instskip(NEXT) | instid1(VALU_DEP_1)
	v_mul_hi_u32 v20, v19, s37
	v_mul_lo_u32 v20, v20, s27
	s_delay_alu instid0(VALU_DEP_1) | instskip(NEXT) | instid1(VALU_DEP_1)
	v_sub_nc_u32_e32 v19, v19, v20
	v_subrev_nc_u32_e32 v20, s27, v19
	v_cmp_le_u32_e64 s4, s27, v19
	s_wait_alu 0xf1ff
	s_delay_alu instid0(VALU_DEP_1) | instskip(NEXT) | instid1(VALU_DEP_1)
	v_cndmask_b32_e64 v19, v19, v20, s4
	v_subrev_nc_u32_e32 v20, s27, v19
	v_cmp_le_u32_e64 s4, s27, v19
	s_wait_alu 0xf1ff
	s_delay_alu instid0(VALU_DEP_1) | instskip(NEXT) | instid1(VALU_DEP_1)
	v_cndmask_b32_e64 v19, v19, v20, s4
	v_xor_b32_e32 v19, v19, v18
	s_delay_alu instid0(VALU_DEP_1) | instskip(NEXT) | instid1(VALU_DEP_1)
	v_sub_nc_u32_e32 v18, v19, v18
	v_cmp_ne_u32_e64 s4, 0, v18
	s_and_b32 s4, s4, s5
	s_wait_alu 0xfffe
	s_and_saveexec_b32 s5, s4
	s_wait_alu 0xfffe
	s_xor_b32 s4, exec_lo, s5
	s_cbranch_execz .LBB31_17
; %bb.14:                               ;   in Loop: Header=BB31_13 Depth=1
	s_and_saveexec_b32 s5, s3
; %bb.15:                               ;   in Loop: Header=BB31_13 Depth=1
	ds_store_b32 v13, v14
; %bb.16:                               ;   in Loop: Header=BB31_13 Depth=1
	s_wait_alu 0xfffe
	s_or_b32 exec_lo, exec_lo, s5
.LBB31_17:                              ;   in Loop: Header=BB31_13 Depth=1
	s_wait_alu 0xfffe
	s_and_not1_saveexec_b32 s5, s4
	s_cbranch_execz .LBB31_12
; %bb.18:                               ;   in Loop: Header=BB31_13 Depth=1
	global_load_b32 v17, v[1:2], off
	s_wait_loadcnt 0x0
	v_mad_co_i64_i32 v[17:18], null, v17, s29, 0
	s_delay_alu instid0(VALU_DEP_1) | instskip(NEXT) | instid1(VALU_DEP_1)
	v_lshlrev_b64_e32 v[17:18], 2, v[17:18]
	v_add_co_u32 v17, s4, v9, v17
	s_wait_alu 0xf1ff
	s_delay_alu instid0(VALU_DEP_2)
	v_add_co_ci_u32_e64 v18, null, v10, v18, s4
	v_cmp_gt_i32_e64 s4, 32, v15
	s_clause 0x1b
	global_load_b64 v[29:30], v[17:18], off offset:256
	global_load_b64 v[31:32], v[17:18], off
	global_load_b64 v[33:34], v[17:18], off offset:512
	global_load_b64 v[35:36], v[17:18], off offset:768
	;; [unrolled: 1-line block ×26, first 2 shown]
	ds_load_b128 v[17:20], v8
	ds_load_b128 v[21:24], v8 offset:16
	ds_load_b128 v[25:28], v8 offset:32
	s_wait_loadcnt_dscnt 0x1b02
	v_dual_mul_f32 v29, v19, v29 :: v_dual_mul_f32 v30, v20, v30
	s_wait_loadcnt 0x1a
	s_delay_alu instid0(VALU_DEP_1) | instskip(SKIP_4) | instid1(VALU_DEP_1)
	v_dual_fmac_f32 v29, v17, v31 :: v_dual_fmac_f32 v30, v18, v32
	ds_load_b128 v[17:20], v8 offset:48
	s_wait_loadcnt_dscnt 0x1902
	v_dual_fmac_f32 v29, v21, v33 :: v_dual_fmac_f32 v30, v22, v34
	s_wait_loadcnt 0x18
	v_dual_fmac_f32 v29, v23, v35 :: v_dual_fmac_f32 v30, v24, v36
	ds_load_b128 v[21:24], v8 offset:64
	s_wait_loadcnt_dscnt 0x1702
	v_dual_fmac_f32 v29, v25, v37 :: v_dual_fmac_f32 v30, v26, v38
	s_wait_loadcnt 0x16
	s_delay_alu instid0(VALU_DEP_1) | instskip(SKIP_4) | instid1(VALU_DEP_1)
	v_dual_fmac_f32 v29, v27, v39 :: v_dual_fmac_f32 v30, v28, v40
	ds_load_b128 v[25:28], v8 offset:80
	s_wait_loadcnt_dscnt 0x1502
	v_dual_fmac_f32 v29, v17, v41 :: v_dual_fmac_f32 v30, v18, v42
	s_wait_loadcnt 0x14
	v_dual_fmac_f32 v29, v19, v43 :: v_dual_fmac_f32 v30, v20, v44
	ds_load_b128 v[17:20], v8 offset:96
	s_wait_loadcnt_dscnt 0x1302
	v_dual_fmac_f32 v29, v21, v45 :: v_dual_fmac_f32 v30, v22, v46
	;; [unrolled: 11-line block ×5, first 2 shown]
	s_wait_loadcnt 0x6
	s_delay_alu instid0(VALU_DEP_1) | instskip(SKIP_4) | instid1(VALU_DEP_1)
	v_dual_fmac_f32 v29, v23, v74 :: v_dual_fmac_f32 v30, v24, v75
	ds_load_b128 v[21:24], v8 offset:208
	s_wait_loadcnt_dscnt 0x502
	v_dual_fmac_f32 v29, v25, v76 :: v_dual_fmac_f32 v30, v26, v77
	s_wait_loadcnt 0x4
	v_dual_fmac_f32 v29, v27, v78 :: v_dual_fmac_f32 v30, v28, v79
	s_wait_loadcnt_dscnt 0x301
	s_delay_alu instid0(VALU_DEP_1) | instskip(SKIP_3) | instid1(VALU_DEP_2)
	v_dual_fmac_f32 v29, v17, v80 :: v_dual_fmac_f32 v30, v18, v81
	s_wait_alu 0xf1ff
	v_cndmask_b32_e64 v17, v5, v15, s4
	s_wait_loadcnt 0x2
	v_dual_fmac_f32 v29, v82, v19 :: v_dual_fmac_f32 v30, v83, v20
	s_wait_loadcnt_dscnt 0x100
	s_delay_alu instid0(VALU_DEP_1) | instskip(SKIP_1) | instid1(VALU_DEP_1)
	v_dual_fmac_f32 v29, v84, v21 :: v_dual_fmac_f32 v30, v85, v22
	s_wait_loadcnt 0x0
	v_dual_fmac_f32 v29, v86, v23 :: v_dual_fmac_f32 v30, v87, v24
	s_delay_alu instid0(VALU_DEP_1)
	v_dual_add_f32 v17, v29, v30 :: v_dual_lshlrev_b32 v18, 2, v17
	ds_bpermute_b32 v18, v18, v17
	s_and_saveexec_b32 s38, s3
	s_cbranch_execz .LBB31_11
; %bb.19:                               ;   in Loop: Header=BB31_13 Depth=1
	s_wait_dscnt 0x0
	v_add_f32_e32 v17, v17, v18
	v_add_nc_u32_e32 v19, v12, v11
	s_delay_alu instid0(VALU_DEP_1) | instskip(NEXT) | instid1(VALU_DEP_1)
	v_cvt_f32_i32_e32 v19, v19
	v_mul_f32_e32 v19, s15, v19
	s_delay_alu instid0(VALU_DEP_1) | instskip(NEXT) | instid1(VALU_DEP_1)
	v_dual_cndmask_b32 v18, 0, v19 :: v_dual_max_num_f32 v19, v6, v6
	v_dual_fmac_f32 v18, s7, v17 :: v_dual_add_nc_u32 v17, v7, v11
	s_delay_alu instid0(VALU_DEP_1) | instskip(NEXT) | instid1(VALU_DEP_2)
	v_max_num_f32_e32 v19, v19, v18
	v_cmp_gt_i32_e64 s4, s31, v17
	s_wait_alu 0xf1ff
	s_delay_alu instid0(VALU_DEP_1) | instskip(NEXT) | instid1(VALU_DEP_3)
	v_cndmask_b32_e64 v17, 0, v18, s4
	v_cndmask_b32_e64 v6, v6, v19, s4
	ds_store_b32 v13, v17
	s_branch .LBB31_11
.LBB31_20:
	s_or_b32 exec_lo, exec_lo, s28
.LBB31_21:
	s_delay_alu instid0(SALU_CYCLE_1)
	s_or_b32 exec_lo, exec_lo, s6
	v_xor_b32_e32 v1, 16, v5
	v_xor_b32_e32 v7, 8, v5
	s_clause 0x2
	s_load_b128 s[4:7], s[0:1], 0x0
	s_load_b64 s[14:15], s[0:1], 0x10
	s_load_b64 s[28:29], s[0:1], 0x28
	v_max_num_f32_e32 v8, v6, v6
	v_and_b32_e32 v66, 31, v0
	v_cmp_gt_i32_e32 vcc_lo, 32, v1
	s_wait_alu 0xfffd
	v_cndmask_b32_e32 v1, v5, v1, vcc_lo
	v_cmp_gt_i32_e32 vcc_lo, 32, v7
	s_delay_alu instid0(VALU_DEP_2) | instskip(SKIP_4) | instid1(VALU_DEP_1)
	v_lshlrev_b32_e32 v2, 2, v1
	ds_bpermute_b32 v1, v2, v6
	s_wait_dscnt 0x0
	v_max_num_f32_e32 v1, v1, v1
	s_wait_alu 0xfffd
	v_dual_cndmask_b32 v6, v5, v7 :: v_dual_max_num_f32 v1, v8, v1
	s_delay_alu instid0(VALU_DEP_1)
	v_lshlrev_b32_e32 v6, 2, v6
	v_xor_b32_e32 v8, 4, v5
	ds_bpermute_b32 v7, v6, v1
	v_cmp_gt_i32_e32 vcc_lo, 32, v8
	s_wait_dscnt 0x0
	s_wait_alu 0xfffd
	v_dual_cndmask_b32 v8, v5, v8 :: v_dual_max_num_f32 v9, v7, v7
	s_delay_alu instid0(VALU_DEP_1) | instskip(SKIP_1) | instid1(VALU_DEP_1)
	v_max_num_f32_e32 v1, v1, v9
	v_xor_b32_e32 v9, 2, v5
	v_cmp_gt_i32_e32 vcc_lo, 32, v9
	s_wait_alu 0xfffd
	v_cndmask_b32_e32 v9, v5, v9, vcc_lo
	v_cmp_eq_u32_e32 vcc_lo, 0, v66
	s_delay_alu instid0(VALU_DEP_2) | instskip(SKIP_4) | instid1(VALU_DEP_1)
	v_lshlrev_b32_e32 v67, 2, v9
	v_lshlrev_b32_e32 v7, 2, v8
	ds_bpermute_b32 v8, v7, v1
	s_wait_dscnt 0x0
	v_max_num_f32_e32 v8, v8, v8
	v_dual_max_num_f32 v1, v1, v8 :: v_dual_lshlrev_b32 v8, 2, v63
	ds_bpermute_b32 v9, v67, v1
	s_and_saveexec_b32 s0, vcc_lo
	s_cbranch_execz .LBB31_23
; %bb.22:
	s_wait_dscnt 0x0
	v_max_num_f32_e32 v9, v9, v9
	v_max_num_f32_e32 v1, v1, v1
	s_delay_alu instid0(VALU_DEP_1)
	v_max_num_f32_e32 v1, v1, v9
	ds_store_b32 v8, v1 offset:448
.LBB31_23:
	s_or_b32 exec_lo, exec_lo, s0
	v_cmp_gt_u32_e64 s0, 4, v66
	v_mov_b32_e32 v1, 0xff7fffff
	s_wait_dscnt 0x0
	v_lshlrev_b32_e32 v9, 2, v66
	s_wait_loadcnt 0x0
	s_barrier_signal -1
	s_barrier_wait -1
	global_inv scope:SCOPE_SE
	s_and_saveexec_b32 s1, s0
; %bb.24:
	ds_load_b32 v1, v9 offset:448
; %bb.25:
	s_or_b32 exec_lo, exec_lo, s1
	s_wait_dscnt 0x0
	ds_bpermute_b32 v10, v67, v1
	v_xor_b32_e32 v11, 1, v5
	v_max_num_f32_e32 v1, v1, v1
	s_delay_alu instid0(VALU_DEP_2) | instskip(NEXT) | instid1(VALU_DEP_1)
	v_cmp_gt_i32_e64 s1, 32, v11
	v_cndmask_b32_e64 v5, v5, v11, s1
	s_sub_co_i32 s1, s19, s36
	s_wait_alu 0xfffe
	s_lshl_b32 s1, s1, 4
	s_wait_alu 0xfffe
	s_add_co_i32 s1, s1, s33
	s_wait_alu 0xfffe
	s_min_i32 s1, s1, s31
	s_wait_alu 0xfffe
	s_sub_co_i32 s27, s1, s33
	s_wait_dscnt 0x0
	v_max_num_f32_e32 v10, v10, v10
	v_lshlrev_b32_e32 v68, 2, v5
	s_wait_alu 0xfffe
	v_cmp_gt_i32_e64 s1, s27, v0
	s_delay_alu instid0(VALU_DEP_3) | instskip(SKIP_3) | instid1(VALU_DEP_1)
	v_dual_max_num_f32 v1, v1, v10 :: v_dual_mov_b32 v10, 0
	ds_bpermute_b32 v5, v68, v1
	s_wait_dscnt 0x0
	v_max_num_f32_e32 v5, v5, v5
	v_max_num_f32_e32 v1, v1, v5
	v_lshl_add_u32 v5, v0, 2, 0x1e0
	ds_bpermute_b32 v1, v10, v1
	s_and_saveexec_b32 s33, s1
	s_cbranch_execz .LBB31_29
; %bb.26:
	v_lshl_add_u32 v11, v0, 2, 0x1e0
	v_mov_b32_e32 v10, 0
	v_mov_b32_e32 v12, v0
	s_mov_b32 s36, 0
.LBB31_27:                              ; =>This Inner Loop Header: Depth=1
	ds_load_b32 v13, v11
	v_add_nc_u32_e32 v12, 0x80, v12
	s_delay_alu instid0(VALU_DEP_1) | instskip(SKIP_4) | instid1(VALU_DEP_1)
	v_cmp_le_i32_e64 s3, s27, v12
	s_wait_alu 0xfffe
	s_or_b32 s36, s3, s36
	s_wait_dscnt 0x0
	v_sub_f32_e32 v13, v13, v1
	v_mul_f32_e32 v13, 0x3fb8aa3b, v13
	s_delay_alu instid0(VALU_DEP_1)
	v_exp_f32_e32 v13, v13
	ds_store_b32 v11, v13
	v_dual_add_f32 v10, v10, v13 :: v_dual_add_nc_u32 v11, 0x200, v11
	s_wait_alu 0xfffe
	s_and_not1_b32 exec_lo, exec_lo, s36
	s_cbranch_execnz .LBB31_27
; %bb.28:
	s_or_b32 exec_lo, exec_lo, s36
.LBB31_29:
	s_wait_alu 0xfffe
	s_or_b32 exec_lo, exec_lo, s33
	ds_bpermute_b32 v2, v2, v10
	s_wait_dscnt 0x0
	v_add_f32_e32 v2, v10, v2
	ds_bpermute_b32 v6, v6, v2
	s_wait_dscnt 0x0
	v_add_f32_e32 v2, v2, v6
	;; [unrolled: 3-line block ×5, first 2 shown]
	s_and_saveexec_b32 s3, vcc_lo
; %bb.30:
	ds_store_b32 v8, v2 offset:464
; %bb.31:
	s_wait_alu 0xfffe
	s_or_b32 exec_lo, exec_lo, s3
	s_wait_loadcnt_dscnt 0x0
	s_barrier_signal -1
	s_barrier_wait -1
	global_inv scope:SCOPE_SE
	s_and_saveexec_b32 s3, s0
; %bb.32:
	ds_load_b32 v2, v9 offset:464
; %bb.33:
	s_wait_alu 0xfffe
	s_or_b32 exec_lo, exec_lo, s3
	s_wait_dscnt 0x0
	ds_bpermute_b32 v6, v67, v2
	s_wait_dscnt 0x0
	v_add_f32_e32 v2, v2, v6
	ds_bpermute_b32 v6, v68, v2
	s_wait_dscnt 0x0
	v_add_f32_e32 v2, v2, v6
	v_mov_b32_e32 v6, 0
	ds_bpermute_b32 v2, v6, v2
	s_and_saveexec_b32 s0, s1
	s_cbranch_execz .LBB31_36
; %bb.34:
	s_wait_dscnt 0x0
	v_add_f32_e32 v6, 0x358637bd, v2
	s_mov_b32 s1, 0
	s_delay_alu instid0(VALU_DEP_1) | instskip(SKIP_1) | instid1(VALU_DEP_2)
	v_div_scale_f32 v7, null, v6, v6, 1.0
	v_div_scale_f32 v10, vcc_lo, 1.0, v6, 1.0
	v_rcp_f32_e32 v8, v7
	s_delay_alu instid0(TRANS32_DEP_1) | instskip(NEXT) | instid1(VALU_DEP_1)
	v_fma_f32 v9, -v7, v8, 1.0
	v_fmac_f32_e32 v8, v9, v8
	s_delay_alu instid0(VALU_DEP_1) | instskip(NEXT) | instid1(VALU_DEP_1)
	v_mul_f32_e32 v9, v10, v8
	v_fma_f32 v11, -v7, v9, v10
	s_delay_alu instid0(VALU_DEP_1) | instskip(NEXT) | instid1(VALU_DEP_1)
	v_fmac_f32_e32 v9, v11, v8
	v_fma_f32 v7, -v7, v9, v10
	s_wait_alu 0xfffd
	s_delay_alu instid0(VALU_DEP_1) | instskip(NEXT) | instid1(VALU_DEP_1)
	v_div_fmas_f32 v7, v7, v8, v9
	v_div_fixup_f32 v6, v7, v6, 1.0
	v_mov_b32_e32 v7, v0
.LBB31_35:                              ; =>This Inner Loop Header: Depth=1
	ds_load_b32 v8, v5
	s_wait_dscnt 0x0
	v_dual_mul_f32 v8, v6, v8 :: v_dual_add_nc_u32 v7, 0x80, v7
	s_delay_alu instid0(VALU_DEP_1)
	v_cmp_le_i32_e32 vcc_lo, s27, v7
	ds_store_b32 v5, v8
	v_add_nc_u32_e32 v5, 0x200, v5
	s_wait_alu 0xfffe
	s_or_b32 s1, vcc_lo, s1
	s_wait_alu 0xfffe
	s_and_not1_b32 exec_lo, exec_lo, s1
	s_cbranch_execnz .LBB31_35
.LBB31_36:
	s_wait_alu 0xfffe
	s_or_b32 exec_lo, exec_lo, s0
	s_mul_i32 s0, s8, s20
	s_wait_loadcnt_dscnt 0x0
	s_wait_alu 0xfffe
	s_mul_i32 s20, s0, s21
	s_mov_b32 s0, exec_lo
	s_barrier_signal -1
	s_barrier_wait -1
	global_inv scope:SCOPE_SE
	v_cmpx_eq_u32_e32 0, v0
	s_cbranch_execz .LBB31_38
; %bb.37:
	s_ashr_i32 s21, s20, 31
	s_wait_alu 0xfffe
	s_mul_i32 s36, s8, ttmp9
	s_lshl_b32 s1, s30, 2
	s_lshl_b64 s[38:39], s[20:21], 2
	s_wait_alu 0xfffe
	s_ashr_i32 s37, s36, 31
	v_mov_b32_e32 v5, s1
	s_wait_kmcnt 0x0
	s_add_nc_u64 s[6:7], s[6:7], s[38:39]
	s_wait_alu 0xfffe
	s_lshl_b64 s[36:37], s[36:37], 2
	s_add_nc_u64 s[4:5], s[4:5], s[38:39]
	s_wait_alu 0xfffe
	s_add_nc_u64 s[6:7], s[6:7], s[36:37]
	s_add_nc_u64 s[4:5], s[4:5], s[36:37]
	s_clause 0x1
	global_store_b32 v5, v1, s[6:7]
	global_store_b32 v5, v2, s[4:5]
.LBB31_38:
	s_wait_alu 0xfffe
	s_or_b32 exec_lo, exec_lo, s0
	v_dual_mov_b32 v82, 0 :: v_dual_and_b32 v69, 3, v0
	v_dual_mov_b32 v83, 0 :: v_dual_mov_b32 v80, 0
	v_dual_mov_b32 v81, 0 :: v_dual_mov_b32 v78, 0
	;; [unrolled: 1-line block ×6, first 2 shown]
	v_mov_b32_e32 v71, 0
	s_and_saveexec_b32 s1, s2
	s_cbranch_execz .LBB31_72
; %bb.39:
	s_abs_i32 s2, s10
	v_dual_mov_b32 v73, 0 :: v_dual_lshlrev_b32 v2, 4, v0
	s_wait_alu 0xfffe
	s_cvt_f32_u32 s0, s2
	v_dual_mov_b32 v71, 0 :: v_dual_and_b32 v84, 12, v3
	v_dual_mov_b32 v70, 0 :: v_dual_lshlrev_b32 v3, 4, v69
	s_wait_alu 0xfffe
	v_rcp_iflag_f32_e32 v1, s0
	s_ashr_i32 s27, s26, 31
	s_wait_kmcnt 0x0
	s_lshl_b64 s[6:7], s[24:25], 2
	s_wait_alu 0xfffe
	s_lshl_b64 s[24:25], s[26:27], 2
	s_add_nc_u64 s[6:7], s[22:23], s[6:7]
	s_add_nc_u64 s[22:23], s[28:29], s[24:25]
	s_wait_alu 0xfffe
	v_add_co_u32 v61, s6, s6, v4
	s_sub_co_i32 s3, s35, s9
	s_sub_co_i32 s9, 0, s2
	v_readfirstlane_b32 s0, v1
	v_dual_mov_b32 v72, 0 :: v_dual_and_b32 v1, 0x1f0, v2
	v_lshl_or_b32 v2, v63, 6, v3
	v_add_co_ci_u32_e64 v62, null, s7, 0, s6
	s_mul_f32 s0, s0, 0x4f7ffffe
	v_add_co_u32 v85, s6, s22, v1
	s_wait_alu 0xf1ff
	v_add_co_ci_u32_e64 v86, null, s23, 0, s6
	s_wait_alu 0xfffe
	s_cvt_u32_f32 s0, s0
	v_dual_mov_b32 v74, 0 :: v_dual_add_nc_u32 v87, 0x1e0, v2
	v_dual_mov_b32 v75, 0 :: v_dual_mov_b32 v76, 0
	s_wait_alu 0xfffe
	s_mul_i32 s9, s9, s0
	v_dual_mov_b32 v77, 0 :: v_dual_mov_b32 v78, 0
	v_dual_mov_b32 v79, 0 :: v_dual_mov_b32 v80, 0
	;; [unrolled: 1-line block ×3, first 2 shown]
	v_mov_b32_e32 v83, 0
	s_mul_hi_u32 s7, s0, s9
	s_mov_b32 s4, s13
	s_add_co_i32 s5, s34, -1
	s_mov_b32 s6, 0
	s_wait_alu 0xfffe
	s_add_co_i32 s7, s0, s7
	s_branch .LBB31_42
.LBB31_40:                              ;   in Loop: Header=BB31_42 Depth=1
	s_wait_alu 0xfffe
	s_or_b32 exec_lo, exec_lo, s0
	s_wait_loadcnt_dscnt 0x600
	v_mul_f32_e32 v33, v1, v33
	v_mul_f32_e32 v25, v1, v25
	s_wait_loadcnt 0x1
	v_mul_f32_e32 v57, v1, v57
	v_mul_f32_e32 v53, v1, v53
	;; [unrolled: 1-line block ×3, first 2 shown]
	v_fmac_f32_e32 v33, v2, v34
	v_mul_f32_e32 v41, v1, v41
	v_mul_f32_e32 v37, v1, v37
	;; [unrolled: 1-line block ×4, first 2 shown]
	v_fmac_f32_e32 v25, v2, v26
	v_fmac_f32_e32 v33, v3, v35
	v_mul_f32_e32 v17, v1, v17
	v_mul_f32_e32 v13, v1, v13
	;; [unrolled: 1-line block ×4, first 2 shown]
	s_wait_loadcnt 0x0
	v_mul_f32_e32 v1, v1, v45
	v_fmac_f32_e32 v25, v3, v27
	v_fmac_f32_e32 v33, v4, v36
	;; [unrolled: 1-line block ×7, first 2 shown]
	v_dual_add_f32 v76, v76, v33 :: v_dual_fmac_f32 v53, v3, v55
	v_fmac_f32_e32 v5, v2, v6
	v_fmac_f32_e32 v17, v3, v19
	;; [unrolled: 1-line block ×6, first 2 shown]
	v_dual_add_f32 v78, v78, v25 :: v_dual_fmac_f32 v53, v4, v56
	v_fmac_f32_e32 v57, v2, v58
	v_fmac_f32_e32 v13, v2, v14
	;; [unrolled: 1-line block ×7, first 2 shown]
	v_dual_fmac_f32 v41, v3, v43 :: v_dual_add_f32 v72, v72, v53
	v_fmac_f32_e32 v37, v3, v39
	v_fmac_f32_e32 v29, v3, v31
	;; [unrolled: 1-line block ×6, first 2 shown]
	v_dual_add_f32 v80, v80, v17 :: v_dual_fmac_f32 v49, v3, v51
	v_dual_add_f32 v70, v70, v1 :: v_dual_fmac_f32 v41, v4, v44
	v_fmac_f32_e32 v57, v3, v59
	v_fmac_f32_e32 v37, v4, v40
	;; [unrolled: 1-line block ×3, first 2 shown]
	s_delay_alu instid0(VALU_DEP_4) | instskip(NEXT) | instid1(VALU_DEP_4)
	v_dual_fmac_f32 v21, v4, v24 :: v_dual_add_f32 v74, v74, v41
	v_fmac_f32_e32 v57, v4, v60
	v_fmac_f32_e32 v13, v4, v16
	v_dual_fmac_f32 v9, v4, v12 :: v_dual_add_f32 v82, v82, v5
	v_fmac_f32_e32 v49, v4, v52
	s_delay_alu instid0(VALU_DEP_4)
	v_add_f32_e32 v71, v71, v57
	v_add_f32_e32 v75, v75, v37
	;; [unrolled: 1-line block ×7, first 2 shown]
.LBB31_41:                              ;   in Loop: Header=BB31_42 Depth=1
	s_or_b32 exec_lo, exec_lo, s9
	v_add_nc_u32_e32 v65, 4, v65
	v_add_co_u32 v61, s0, v61, 16
	s_wait_alu 0xf1ff
	v_add_co_ci_u32_e64 v62, null, 0, v62, s0
	s_delay_alu instid0(VALU_DEP_3)
	v_cmp_le_i32_e32 vcc_lo, s19, v65
	v_add_nc_u32_e32 v64, 64, v64
	v_add_nc_u32_e32 v87, 0x100, v87
	s_or_b32 s6, vcc_lo, s6
	s_wait_alu 0xfffe
	s_and_not1_b32 exec_lo, exec_lo, s6
	s_cbranch_execz .LBB31_71
.LBB31_42:                              ; =>This Inner Loop Header: Depth=1
	v_sub_nc_u32_e32 v1, 0, v64
	s_delay_alu instid0(VALU_DEP_1) | instskip(NEXT) | instid1(VALU_DEP_1)
	v_max_i32_e32 v1, v64, v1
	v_mul_hi_u32 v2, v1, s18
	s_delay_alu instid0(VALU_DEP_1) | instskip(NEXT) | instid1(VALU_DEP_1)
	v_mul_lo_u32 v3, v2, s12
	v_sub_nc_u32_e32 v1, v1, v3
	v_add_nc_u32_e32 v3, 1, v2
	s_delay_alu instid0(VALU_DEP_2) | instskip(SKIP_2) | instid1(VALU_DEP_2)
	v_subrev_nc_u32_e32 v4, s12, v1
	v_cmp_le_u32_e32 vcc_lo, s12, v1
	s_wait_alu 0xfffd
	v_dual_cndmask_b32 v2, v2, v3 :: v_dual_cndmask_b32 v1, v1, v4
	v_ashrrev_i32_e32 v3, 31, v64
	s_delay_alu instid0(VALU_DEP_2) | instskip(NEXT) | instid1(VALU_DEP_3)
	v_add_nc_u32_e32 v4, 1, v2
	v_cmp_le_u32_e32 vcc_lo, s12, v1
	s_delay_alu instid0(VALU_DEP_3) | instskip(SKIP_1) | instid1(VALU_DEP_3)
	v_xor_b32_e32 v3, s11, v3
	s_wait_alu 0xfffd
	v_cndmask_b32_e32 v1, v2, v4, vcc_lo
	s_delay_alu instid0(VALU_DEP_1) | instskip(NEXT) | instid1(VALU_DEP_1)
	v_xor_b32_e32 v1, v1, v3
	v_sub_nc_u32_e32 v1, v1, v3
	s_delay_alu instid0(VALU_DEP_1) | instskip(SKIP_1) | instid1(VALU_DEP_2)
	v_add_nc_u32_e32 v2, s17, v1
	v_cmp_lt_i32_e64 s0, s3, v1
	v_sub_nc_u32_e32 v3, 0, v2
	s_delay_alu instid0(VALU_DEP_1) | instskip(SKIP_1) | instid1(VALU_DEP_1)
	v_max_i32_e32 v3, v2, v3
	s_wait_alu 0xfffe
	v_mul_hi_u32 v4, v3, s7
	s_delay_alu instid0(VALU_DEP_1) | instskip(NEXT) | instid1(VALU_DEP_1)
	v_mul_lo_u32 v4, v4, s2
	v_sub_nc_u32_e32 v3, v3, v4
	s_delay_alu instid0(VALU_DEP_1) | instskip(SKIP_2) | instid1(VALU_DEP_2)
	v_subrev_nc_u32_e32 v4, s2, v3
	v_cmp_le_u32_e32 vcc_lo, s2, v3
	s_wait_alu 0xfffd
	v_cndmask_b32_e32 v3, v3, v4, vcc_lo
	v_ashrrev_i32_e32 v2, 31, v2
	s_delay_alu instid0(VALU_DEP_2) | instskip(SKIP_2) | instid1(VALU_DEP_2)
	v_subrev_nc_u32_e32 v4, s2, v3
	v_cmp_le_u32_e32 vcc_lo, s2, v3
	s_wait_alu 0xfffd
	v_cndmask_b32_e32 v3, v3, v4, vcc_lo
	s_delay_alu instid0(VALU_DEP_1) | instskip(NEXT) | instid1(VALU_DEP_1)
	v_xor_b32_e32 v3, v3, v2
	v_sub_nc_u32_e32 v2, v3, v2
	s_delay_alu instid0(VALU_DEP_1)
	v_cmp_eq_u32_e32 vcc_lo, 0, v2
	s_or_b32 s0, vcc_lo, s0
	s_wait_alu 0xfffe
	s_and_saveexec_b32 s9, s0
	s_cbranch_execz .LBB31_41
; %bb.43:                               ;   in Loop: Header=BB31_42 Depth=1
	global_load_b32 v1, v[61:62], off
	v_add_nc_u32_e32 v88, v84, v64
	s_delay_alu instid0(VALU_DEP_1) | instskip(SKIP_4) | instid1(VALU_DEP_1)
	v_add_nc_u32_e32 v91, 1, v88
	v_add_nc_u32_e32 v90, 2, v88
	;; [unrolled: 1-line block ×3, first 2 shown]
	s_wait_loadcnt 0x0
	v_mad_co_i64_i32 v[1:2], null, v1, s4, 0
	v_lshlrev_b64_e32 v[1:2], 2, v[1:2]
	s_delay_alu instid0(VALU_DEP_1) | instskip(SKIP_1) | instid1(VALU_DEP_2)
	v_add_co_u32 v45, vcc_lo, v85, v1
	s_wait_alu 0xfffd
	v_add_co_ci_u32_e64 v46, null, v86, v2, vcc_lo
	ds_load_b128 v[1:4], v87
	v_cmp_eq_u32_e32 vcc_lo, s5, v65
	global_load_b128 v[5:8], v[45:46], off
	s_and_saveexec_b32 s10, vcc_lo
	s_cbranch_execnz .LBB31_57
; %bb.44:                               ;   in Loop: Header=BB31_42 Depth=1
	s_wait_alu 0xfffe
	s_or_b32 exec_lo, exec_lo, s10
	global_load_b128 v[9:12], v[45:46], off offset:512
	s_and_saveexec_b32 s10, vcc_lo
	s_cbranch_execnz .LBB31_58
.LBB31_45:                              ;   in Loop: Header=BB31_42 Depth=1
	s_wait_alu 0xfffe
	s_or_b32 exec_lo, exec_lo, s10
	global_load_b128 v[13:16], v[45:46], off offset:1024
	s_and_saveexec_b32 s10, vcc_lo
	s_cbranch_execnz .LBB31_59
.LBB31_46:                              ;   in Loop: Header=BB31_42 Depth=1
	s_wait_alu 0xfffe
	s_or_b32 exec_lo, exec_lo, s10
	global_load_b128 v[17:20], v[45:46], off offset:1536
	s_and_saveexec_b32 s10, vcc_lo
	s_cbranch_execnz .LBB31_60
.LBB31_47:                              ;   in Loop: Header=BB31_42 Depth=1
	s_wait_alu 0xfffe
	s_or_b32 exec_lo, exec_lo, s10
	global_load_b128 v[21:24], v[45:46], off offset:2048
	s_and_saveexec_b32 s10, vcc_lo
	s_cbranch_execnz .LBB31_61
.LBB31_48:                              ;   in Loop: Header=BB31_42 Depth=1
	s_wait_alu 0xfffe
	s_or_b32 exec_lo, exec_lo, s10
	global_load_b128 v[25:28], v[45:46], off offset:2560
	s_and_saveexec_b32 s10, vcc_lo
	s_cbranch_execnz .LBB31_62
.LBB31_49:                              ;   in Loop: Header=BB31_42 Depth=1
	s_wait_alu 0xfffe
	s_or_b32 exec_lo, exec_lo, s10
	global_load_b128 v[29:32], v[45:46], off offset:3072
	s_and_saveexec_b32 s10, vcc_lo
	s_cbranch_execnz .LBB31_63
.LBB31_50:                              ;   in Loop: Header=BB31_42 Depth=1
	s_wait_alu 0xfffe
	s_or_b32 exec_lo, exec_lo, s10
	global_load_b128 v[33:36], v[45:46], off offset:3584
	s_and_saveexec_b32 s10, vcc_lo
	s_cbranch_execnz .LBB31_64
.LBB31_51:                              ;   in Loop: Header=BB31_42 Depth=1
	s_wait_alu 0xfffe
	s_or_b32 exec_lo, exec_lo, s10
	global_load_b128 v[37:40], v[45:46], off offset:4096
	s_and_saveexec_b32 s10, vcc_lo
	s_cbranch_execnz .LBB31_65
.LBB31_52:                              ;   in Loop: Header=BB31_42 Depth=1
	s_wait_alu 0xfffe
	s_or_b32 exec_lo, exec_lo, s10
	global_load_b128 v[41:44], v[45:46], off offset:4608
	s_and_saveexec_b32 s10, vcc_lo
	s_cbranch_execnz .LBB31_66
.LBB31_53:                              ;   in Loop: Header=BB31_42 Depth=1
	s_wait_alu 0xfffe
	s_or_b32 exec_lo, exec_lo, s10
	global_load_b128 v[49:52], v[45:46], off offset:5120
	s_and_saveexec_b32 s10, vcc_lo
	s_cbranch_execnz .LBB31_67
.LBB31_54:                              ;   in Loop: Header=BB31_42 Depth=1
	s_wait_alu 0xfffe
	s_or_b32 exec_lo, exec_lo, s10
	global_load_b128 v[53:56], v[45:46], off offset:5632
	s_and_saveexec_b32 s10, vcc_lo
	s_cbranch_execnz .LBB31_68
.LBB31_55:                              ;   in Loop: Header=BB31_42 Depth=1
	s_wait_alu 0xfffe
	s_or_b32 exec_lo, exec_lo, s10
	global_load_b128 v[57:60], v[45:46], off offset:6144
	s_and_saveexec_b32 s10, vcc_lo
	s_cbranch_execnz .LBB31_69
.LBB31_56:                              ;   in Loop: Header=BB31_42 Depth=1
	s_wait_alu 0xfffe
	s_or_b32 exec_lo, exec_lo, s10
	global_load_b128 v[45:48], v[45:46], off offset:6656
	s_and_saveexec_b32 s0, vcc_lo
	s_cbranch_execz .LBB31_40
	s_branch .LBB31_70
.LBB31_57:                              ;   in Loop: Header=BB31_42 Depth=1
	v_cmp_gt_i32_e64 s0, s31, v88
	s_wait_loadcnt 0x0
	s_wait_alu 0xf1ff
	s_delay_alu instid0(VALU_DEP_1) | instskip(SKIP_2) | instid1(VALU_DEP_1)
	v_cndmask_b32_e64 v5, 0, v5, s0
	v_cmp_gt_i32_e64 s0, s31, v91
	s_wait_alu 0xf1ff
	v_cndmask_b32_e64 v6, 0, v6, s0
	v_cmp_gt_i32_e64 s0, s31, v90
	s_wait_alu 0xf1ff
	s_delay_alu instid0(VALU_DEP_1) | instskip(SKIP_2) | instid1(VALU_DEP_1)
	v_cndmask_b32_e64 v7, 0, v7, s0
	v_cmp_gt_i32_e64 s0, s31, v89
	s_wait_alu 0xf1ff
	v_cndmask_b32_e64 v8, 0, v8, s0
	s_wait_alu 0xfffe
	s_or_b32 exec_lo, exec_lo, s10
	global_load_b128 v[9:12], v[45:46], off offset:512
	s_and_saveexec_b32 s10, vcc_lo
	s_cbranch_execz .LBB31_45
.LBB31_58:                              ;   in Loop: Header=BB31_42 Depth=1
	v_cmp_gt_i32_e64 s0, s31, v88
	s_wait_loadcnt 0x0
	s_wait_alu 0xf1ff
	s_delay_alu instid0(VALU_DEP_1) | instskip(SKIP_2) | instid1(VALU_DEP_1)
	v_cndmask_b32_e64 v9, 0, v9, s0
	v_cmp_gt_i32_e64 s0, s31, v91
	s_wait_alu 0xf1ff
	v_cndmask_b32_e64 v10, 0, v10, s0
	v_cmp_gt_i32_e64 s0, s31, v90
	s_wait_alu 0xf1ff
	s_delay_alu instid0(VALU_DEP_1) | instskip(SKIP_2) | instid1(VALU_DEP_1)
	v_cndmask_b32_e64 v11, 0, v11, s0
	v_cmp_gt_i32_e64 s0, s31, v89
	s_wait_alu 0xf1ff
	v_cndmask_b32_e64 v12, 0, v12, s0
	s_wait_alu 0xfffe
	s_or_b32 exec_lo, exec_lo, s10
	global_load_b128 v[13:16], v[45:46], off offset:1024
	s_and_saveexec_b32 s10, vcc_lo
	s_cbranch_execz .LBB31_46
.LBB31_59:                              ;   in Loop: Header=BB31_42 Depth=1
	v_cmp_gt_i32_e64 s0, s31, v88
	s_wait_loadcnt 0x0
	s_wait_alu 0xf1ff
	s_delay_alu instid0(VALU_DEP_1) | instskip(SKIP_2) | instid1(VALU_DEP_1)
	v_cndmask_b32_e64 v13, 0, v13, s0
	v_cmp_gt_i32_e64 s0, s31, v91
	s_wait_alu 0xf1ff
	v_cndmask_b32_e64 v14, 0, v14, s0
	v_cmp_gt_i32_e64 s0, s31, v90
	s_wait_alu 0xf1ff
	s_delay_alu instid0(VALU_DEP_1) | instskip(SKIP_2) | instid1(VALU_DEP_1)
	v_cndmask_b32_e64 v15, 0, v15, s0
	v_cmp_gt_i32_e64 s0, s31, v89
	s_wait_alu 0xf1ff
	v_cndmask_b32_e64 v16, 0, v16, s0
	s_wait_alu 0xfffe
	s_or_b32 exec_lo, exec_lo, s10
	global_load_b128 v[17:20], v[45:46], off offset:1536
	s_and_saveexec_b32 s10, vcc_lo
	s_cbranch_execz .LBB31_47
.LBB31_60:                              ;   in Loop: Header=BB31_42 Depth=1
	v_cmp_gt_i32_e64 s0, s31, v88
	s_wait_loadcnt 0x0
	s_wait_alu 0xf1ff
	s_delay_alu instid0(VALU_DEP_1) | instskip(SKIP_2) | instid1(VALU_DEP_1)
	v_cndmask_b32_e64 v17, 0, v17, s0
	v_cmp_gt_i32_e64 s0, s31, v91
	s_wait_alu 0xf1ff
	v_cndmask_b32_e64 v18, 0, v18, s0
	v_cmp_gt_i32_e64 s0, s31, v90
	s_wait_alu 0xf1ff
	s_delay_alu instid0(VALU_DEP_1) | instskip(SKIP_2) | instid1(VALU_DEP_1)
	v_cndmask_b32_e64 v19, 0, v19, s0
	v_cmp_gt_i32_e64 s0, s31, v89
	s_wait_alu 0xf1ff
	v_cndmask_b32_e64 v20, 0, v20, s0
	s_wait_alu 0xfffe
	s_or_b32 exec_lo, exec_lo, s10
	global_load_b128 v[21:24], v[45:46], off offset:2048
	s_and_saveexec_b32 s10, vcc_lo
	s_cbranch_execz .LBB31_48
.LBB31_61:                              ;   in Loop: Header=BB31_42 Depth=1
	v_cmp_gt_i32_e64 s0, s31, v88
	s_wait_loadcnt 0x0
	s_wait_alu 0xf1ff
	s_delay_alu instid0(VALU_DEP_1) | instskip(SKIP_2) | instid1(VALU_DEP_1)
	v_cndmask_b32_e64 v21, 0, v21, s0
	v_cmp_gt_i32_e64 s0, s31, v91
	s_wait_alu 0xf1ff
	v_cndmask_b32_e64 v22, 0, v22, s0
	v_cmp_gt_i32_e64 s0, s31, v90
	s_wait_alu 0xf1ff
	s_delay_alu instid0(VALU_DEP_1) | instskip(SKIP_2) | instid1(VALU_DEP_1)
	v_cndmask_b32_e64 v23, 0, v23, s0
	v_cmp_gt_i32_e64 s0, s31, v89
	s_wait_alu 0xf1ff
	v_cndmask_b32_e64 v24, 0, v24, s0
	s_wait_alu 0xfffe
	s_or_b32 exec_lo, exec_lo, s10
	global_load_b128 v[25:28], v[45:46], off offset:2560
	s_and_saveexec_b32 s10, vcc_lo
	s_cbranch_execz .LBB31_49
.LBB31_62:                              ;   in Loop: Header=BB31_42 Depth=1
	v_cmp_gt_i32_e64 s0, s31, v88
	s_wait_loadcnt 0x0
	s_wait_alu 0xf1ff
	s_delay_alu instid0(VALU_DEP_1) | instskip(SKIP_2) | instid1(VALU_DEP_1)
	v_cndmask_b32_e64 v25, 0, v25, s0
	v_cmp_gt_i32_e64 s0, s31, v91
	s_wait_alu 0xf1ff
	v_cndmask_b32_e64 v26, 0, v26, s0
	v_cmp_gt_i32_e64 s0, s31, v90
	s_wait_alu 0xf1ff
	s_delay_alu instid0(VALU_DEP_1) | instskip(SKIP_2) | instid1(VALU_DEP_1)
	v_cndmask_b32_e64 v27, 0, v27, s0
	v_cmp_gt_i32_e64 s0, s31, v89
	s_wait_alu 0xf1ff
	v_cndmask_b32_e64 v28, 0, v28, s0
	s_wait_alu 0xfffe
	s_or_b32 exec_lo, exec_lo, s10
	global_load_b128 v[29:32], v[45:46], off offset:3072
	s_and_saveexec_b32 s10, vcc_lo
	s_cbranch_execz .LBB31_50
.LBB31_63:                              ;   in Loop: Header=BB31_42 Depth=1
	v_cmp_gt_i32_e64 s0, s31, v88
	s_wait_loadcnt 0x0
	s_wait_alu 0xf1ff
	s_delay_alu instid0(VALU_DEP_1) | instskip(SKIP_2) | instid1(VALU_DEP_1)
	v_cndmask_b32_e64 v29, 0, v29, s0
	v_cmp_gt_i32_e64 s0, s31, v91
	s_wait_alu 0xf1ff
	v_cndmask_b32_e64 v30, 0, v30, s0
	v_cmp_gt_i32_e64 s0, s31, v90
	s_wait_alu 0xf1ff
	s_delay_alu instid0(VALU_DEP_1) | instskip(SKIP_2) | instid1(VALU_DEP_1)
	v_cndmask_b32_e64 v31, 0, v31, s0
	v_cmp_gt_i32_e64 s0, s31, v89
	s_wait_alu 0xf1ff
	v_cndmask_b32_e64 v32, 0, v32, s0
	s_wait_alu 0xfffe
	s_or_b32 exec_lo, exec_lo, s10
	global_load_b128 v[33:36], v[45:46], off offset:3584
	s_and_saveexec_b32 s10, vcc_lo
	s_cbranch_execz .LBB31_51
.LBB31_64:                              ;   in Loop: Header=BB31_42 Depth=1
	v_cmp_gt_i32_e64 s0, s31, v88
	s_wait_loadcnt 0x0
	s_wait_alu 0xf1ff
	s_delay_alu instid0(VALU_DEP_1) | instskip(SKIP_2) | instid1(VALU_DEP_1)
	v_cndmask_b32_e64 v33, 0, v33, s0
	v_cmp_gt_i32_e64 s0, s31, v91
	s_wait_alu 0xf1ff
	v_cndmask_b32_e64 v34, 0, v34, s0
	v_cmp_gt_i32_e64 s0, s31, v90
	s_wait_alu 0xf1ff
	s_delay_alu instid0(VALU_DEP_1) | instskip(SKIP_2) | instid1(VALU_DEP_1)
	v_cndmask_b32_e64 v35, 0, v35, s0
	v_cmp_gt_i32_e64 s0, s31, v89
	s_wait_alu 0xf1ff
	v_cndmask_b32_e64 v36, 0, v36, s0
	s_wait_alu 0xfffe
	s_or_b32 exec_lo, exec_lo, s10
	global_load_b128 v[37:40], v[45:46], off offset:4096
	s_and_saveexec_b32 s10, vcc_lo
	s_cbranch_execz .LBB31_52
.LBB31_65:                              ;   in Loop: Header=BB31_42 Depth=1
	v_cmp_gt_i32_e64 s0, s31, v88
	s_wait_loadcnt 0x0
	s_wait_alu 0xf1ff
	s_delay_alu instid0(VALU_DEP_1) | instskip(SKIP_2) | instid1(VALU_DEP_1)
	v_cndmask_b32_e64 v37, 0, v37, s0
	v_cmp_gt_i32_e64 s0, s31, v91
	s_wait_alu 0xf1ff
	v_cndmask_b32_e64 v38, 0, v38, s0
	v_cmp_gt_i32_e64 s0, s31, v90
	s_wait_alu 0xf1ff
	s_delay_alu instid0(VALU_DEP_1) | instskip(SKIP_2) | instid1(VALU_DEP_1)
	v_cndmask_b32_e64 v39, 0, v39, s0
	v_cmp_gt_i32_e64 s0, s31, v89
	s_wait_alu 0xf1ff
	v_cndmask_b32_e64 v40, 0, v40, s0
	s_wait_alu 0xfffe
	s_or_b32 exec_lo, exec_lo, s10
	global_load_b128 v[41:44], v[45:46], off offset:4608
	s_and_saveexec_b32 s10, vcc_lo
	s_cbranch_execz .LBB31_53
.LBB31_66:                              ;   in Loop: Header=BB31_42 Depth=1
	v_cmp_gt_i32_e64 s0, s31, v88
	s_wait_loadcnt 0x0
	s_wait_alu 0xf1ff
	s_delay_alu instid0(VALU_DEP_1) | instskip(SKIP_2) | instid1(VALU_DEP_1)
	v_cndmask_b32_e64 v41, 0, v41, s0
	v_cmp_gt_i32_e64 s0, s31, v91
	s_wait_alu 0xf1ff
	v_cndmask_b32_e64 v42, 0, v42, s0
	v_cmp_gt_i32_e64 s0, s31, v90
	s_wait_alu 0xf1ff
	s_delay_alu instid0(VALU_DEP_1) | instskip(SKIP_2) | instid1(VALU_DEP_1)
	v_cndmask_b32_e64 v43, 0, v43, s0
	v_cmp_gt_i32_e64 s0, s31, v89
	s_wait_alu 0xf1ff
	v_cndmask_b32_e64 v44, 0, v44, s0
	s_wait_alu 0xfffe
	s_or_b32 exec_lo, exec_lo, s10
	global_load_b128 v[49:52], v[45:46], off offset:5120
	s_and_saveexec_b32 s10, vcc_lo
	s_cbranch_execz .LBB31_54
.LBB31_67:                              ;   in Loop: Header=BB31_42 Depth=1
	v_cmp_gt_i32_e64 s0, s31, v88
	s_wait_loadcnt 0x0
	s_wait_alu 0xf1ff
	s_delay_alu instid0(VALU_DEP_1) | instskip(SKIP_2) | instid1(VALU_DEP_1)
	v_cndmask_b32_e64 v49, 0, v49, s0
	v_cmp_gt_i32_e64 s0, s31, v91
	s_wait_alu 0xf1ff
	v_cndmask_b32_e64 v50, 0, v50, s0
	v_cmp_gt_i32_e64 s0, s31, v90
	s_wait_alu 0xf1ff
	s_delay_alu instid0(VALU_DEP_1) | instskip(SKIP_2) | instid1(VALU_DEP_1)
	v_cndmask_b32_e64 v51, 0, v51, s0
	v_cmp_gt_i32_e64 s0, s31, v89
	s_wait_alu 0xf1ff
	v_cndmask_b32_e64 v52, 0, v52, s0
	s_wait_alu 0xfffe
	s_or_b32 exec_lo, exec_lo, s10
	global_load_b128 v[53:56], v[45:46], off offset:5632
	s_and_saveexec_b32 s10, vcc_lo
	s_cbranch_execz .LBB31_55
.LBB31_68:                              ;   in Loop: Header=BB31_42 Depth=1
	v_cmp_gt_i32_e64 s0, s31, v88
	s_wait_loadcnt 0x0
	s_wait_alu 0xf1ff
	s_delay_alu instid0(VALU_DEP_1) | instskip(SKIP_2) | instid1(VALU_DEP_1)
	v_cndmask_b32_e64 v53, 0, v53, s0
	v_cmp_gt_i32_e64 s0, s31, v91
	s_wait_alu 0xf1ff
	v_cndmask_b32_e64 v54, 0, v54, s0
	v_cmp_gt_i32_e64 s0, s31, v90
	s_wait_alu 0xf1ff
	s_delay_alu instid0(VALU_DEP_1) | instskip(SKIP_2) | instid1(VALU_DEP_1)
	v_cndmask_b32_e64 v55, 0, v55, s0
	v_cmp_gt_i32_e64 s0, s31, v89
	s_wait_alu 0xf1ff
	v_cndmask_b32_e64 v56, 0, v56, s0
	s_wait_alu 0xfffe
	s_or_b32 exec_lo, exec_lo, s10
	global_load_b128 v[57:60], v[45:46], off offset:6144
	s_and_saveexec_b32 s10, vcc_lo
	s_cbranch_execz .LBB31_56
.LBB31_69:                              ;   in Loop: Header=BB31_42 Depth=1
	v_cmp_gt_i32_e64 s0, s31, v88
	s_wait_loadcnt 0x0
	s_wait_alu 0xf1ff
	s_delay_alu instid0(VALU_DEP_1) | instskip(SKIP_2) | instid1(VALU_DEP_1)
	v_cndmask_b32_e64 v57, 0, v57, s0
	v_cmp_gt_i32_e64 s0, s31, v91
	s_wait_alu 0xf1ff
	v_cndmask_b32_e64 v58, 0, v58, s0
	v_cmp_gt_i32_e64 s0, s31, v90
	s_wait_alu 0xf1ff
	s_delay_alu instid0(VALU_DEP_1) | instskip(SKIP_2) | instid1(VALU_DEP_1)
	v_cndmask_b32_e64 v59, 0, v59, s0
	v_cmp_gt_i32_e64 s0, s31, v89
	s_wait_alu 0xf1ff
	v_cndmask_b32_e64 v60, 0, v60, s0
	s_wait_alu 0xfffe
	s_or_b32 exec_lo, exec_lo, s10
	global_load_b128 v[45:48], v[45:46], off offset:6656
	s_and_saveexec_b32 s0, vcc_lo
	s_cbranch_execz .LBB31_40
.LBB31_70:                              ;   in Loop: Header=BB31_42 Depth=1
	v_cmp_gt_i32_e32 vcc_lo, s31, v88
	s_wait_loadcnt 0x0
	s_wait_alu 0xfffd
	v_cndmask_b32_e32 v45, 0, v45, vcc_lo
	v_cmp_gt_i32_e32 vcc_lo, s31, v91
	s_wait_alu 0xfffd
	v_cndmask_b32_e32 v46, 0, v46, vcc_lo
	v_cmp_gt_i32_e32 vcc_lo, s31, v90
	;; [unrolled: 3-line block ×3, first 2 shown]
	s_wait_alu 0xfffd
	v_cndmask_b32_e32 v48, 0, v48, vcc_lo
	s_branch .LBB31_40
.LBB31_71:
	s_or_b32 exec_lo, exec_lo, s6
.LBB31_72:
	s_wait_alu 0xfffe
	s_or_b32 exec_lo, exec_lo, s1
	ds_bpermute_b32 v1, v67, v82
	ds_bpermute_b32 v2, v67, v83
	;; [unrolled: 1-line block ×14, first 2 shown]
	s_mov_b32 s0, exec_lo
	s_wait_storecnt 0x0
	s_wait_loadcnt_dscnt 0x0
	s_barrier_signal -1
	s_barrier_wait -1
	global_inv scope:SCOPE_SE
	v_dual_add_f32 v1, v82, v1 :: v_dual_add_f32 v2, v83, v2
	v_dual_add_f32 v3, v81, v3 :: v_dual_add_f32 v4, v80, v4
	;; [unrolled: 1-line block ×4, first 2 shown]
	ds_bpermute_b32 v15, v68, v1
	ds_bpermute_b32 v16, v68, v2
	v_dual_add_f32 v9, v75, v9 :: v_dual_add_f32 v10, v74, v10
	v_dual_add_f32 v11, v73, v11 :: v_dual_add_f32 v12, v72, v12
	;; [unrolled: 1-line block ×3, first 2 shown]
	ds_bpermute_b32 v17, v68, v3
	ds_bpermute_b32 v18, v68, v4
	;; [unrolled: 1-line block ×12, first 2 shown]
	s_wait_dscnt 0xc
	v_dual_add_f32 v1, v1, v15 :: v_dual_add_f32 v2, v2, v16
	v_and_b32_e32 v16, 28, v66
	v_lshrrev_b32_e32 v15, 2, v66
	s_wait_dscnt 0xa
	v_dual_add_f32 v3, v3, v17 :: v_dual_add_f32 v4, v4, v18
	s_wait_dscnt 0x8
	v_dual_add_f32 v5, v5, v19 :: v_dual_add_f32 v6, v6, v20
	;; [unrolled: 2-line block ×5, first 2 shown]
	s_wait_dscnt 0x1
	v_dual_add_f32 v13, v13, v27 :: v_dual_and_b32 v18, 0x3c3, v0
	s_wait_dscnt 0x0
	v_add_f32_e32 v14, v14, v28
	v_add_nc_u32_e32 v16, 0x1e0, v16
	v_mul_u32_u24_e32 v17, 0x1c0, v63
	v_cmpx_eq_u32_e32 64, v18
	s_cbranch_execz .LBB31_74
; %bb.73:
	s_delay_alu instid0(VALU_DEP_2) | instskip(NEXT) | instid1(VALU_DEP_1)
	v_add_nc_u32_e32 v18, v16, v17
	v_add_nc_u32_e32 v19, 0xfffffc80, v18
	v_add_nc_u32_e32 v20, 0xfffffca0, v18
	v_add_nc_u32_e32 v21, 0xfffffcc0, v18
	v_add_nc_u32_e32 v22, 0xfffffce0, v18
	v_add_nc_u32_e32 v23, 0xfffffd00, v18
	v_add_nc_u32_e32 v24, 0xfffffd20, v18
	v_add_nc_u32_e32 v25, 0xfffffd40, v18
	v_add_nc_u32_e32 v26, 0xfffffd60, v18
	ds_store_b32 v19, v1
	ds_store_b32 v20, v2
	;; [unrolled: 1-line block ×8, first 2 shown]
	v_add_nc_u32_e32 v19, 0xfffffd80, v18
	v_add_nc_u32_e32 v20, 0xfffffda0, v18
	;; [unrolled: 1-line block ×6, first 2 shown]
	ds_store_b32 v19, v9
	ds_store_b32 v20, v10
	;; [unrolled: 1-line block ×6, first 2 shown]
.LBB31_74:
	s_wait_alu 0xfffe
	s_or_b32 exec_lo, exec_lo, s0
	v_lshlrev_b32_e32 v15, 2, v15
	s_mov_b32 s1, exec_lo
	v_cmp_eq_u32_e32 vcc_lo, 0, v69
	s_wait_loadcnt_dscnt 0x0
	s_barrier_signal -1
	v_add3_u32 v15, 0x1e0, v17, v15
	s_barrier_wait -1
	global_inv scope:SCOPE_SE
	v_cmpx_gt_u32_e32 64, v0
	s_cbranch_execz .LBB31_91
; %bb.75:
	s_and_saveexec_b32 s0, vcc_lo
	s_cbranch_execnz .LBB31_113
; %bb.76:
	s_wait_alu 0xfffe
	s_or_b32 exec_lo, exec_lo, s0
	s_and_saveexec_b32 s0, vcc_lo
	s_cbranch_execnz .LBB31_114
.LBB31_77:
	s_wait_alu 0xfffe
	s_or_b32 exec_lo, exec_lo, s0
	s_and_saveexec_b32 s0, vcc_lo
	s_cbranch_execnz .LBB31_115
.LBB31_78:
	s_wait_alu 0xfffe
	s_or_b32 exec_lo, exec_lo, s0
	s_and_saveexec_b32 s0, vcc_lo
	s_cbranch_execnz .LBB31_116
.LBB31_79:
	s_wait_alu 0xfffe
	s_or_b32 exec_lo, exec_lo, s0
	s_and_saveexec_b32 s0, vcc_lo
	s_cbranch_execnz .LBB31_117
.LBB31_80:
	s_wait_alu 0xfffe
	s_or_b32 exec_lo, exec_lo, s0
	s_and_saveexec_b32 s0, vcc_lo
	s_cbranch_execnz .LBB31_118
.LBB31_81:
	s_wait_alu 0xfffe
	s_or_b32 exec_lo, exec_lo, s0
	s_and_saveexec_b32 s0, vcc_lo
	s_cbranch_execnz .LBB31_119
.LBB31_82:
	s_wait_alu 0xfffe
	s_or_b32 exec_lo, exec_lo, s0
	s_and_saveexec_b32 s0, vcc_lo
	s_cbranch_execnz .LBB31_120
.LBB31_83:
	s_wait_alu 0xfffe
	s_or_b32 exec_lo, exec_lo, s0
	s_and_saveexec_b32 s0, vcc_lo
	s_cbranch_execnz .LBB31_121
.LBB31_84:
	s_wait_alu 0xfffe
	s_or_b32 exec_lo, exec_lo, s0
	s_and_saveexec_b32 s0, vcc_lo
	s_cbranch_execnz .LBB31_122
.LBB31_85:
	s_wait_alu 0xfffe
	s_or_b32 exec_lo, exec_lo, s0
	s_and_saveexec_b32 s0, vcc_lo
	s_cbranch_execnz .LBB31_123
.LBB31_86:
	s_wait_alu 0xfffe
	s_or_b32 exec_lo, exec_lo, s0
	s_and_saveexec_b32 s0, vcc_lo
	s_cbranch_execnz .LBB31_124
.LBB31_87:
	s_wait_alu 0xfffe
	s_or_b32 exec_lo, exec_lo, s0
	s_and_saveexec_b32 s0, vcc_lo
	s_cbranch_execnz .LBB31_125
.LBB31_88:
	s_wait_alu 0xfffe
	s_or_b32 exec_lo, exec_lo, s0
	s_and_saveexec_b32 s0, vcc_lo
	s_cbranch_execz .LBB31_90
.LBB31_89:
	ds_load_b32 v17, v15 offset:416
	s_wait_dscnt 0x0
	v_add_f32_e32 v14, v14, v17
.LBB31_90:
	s_wait_alu 0xfffe
	s_or_b32 exec_lo, exec_lo, s0
.LBB31_91:
	s_wait_alu 0xfffe
	s_or_b32 exec_lo, exec_lo, s1
	v_and_b32_e32 v17, 0x3e3, v0
	s_mov_b32 s1, exec_lo
	s_wait_loadcnt 0x0
	s_barrier_signal -1
	s_barrier_wait -1
	global_inv scope:SCOPE_SE
	v_cmpx_eq_u32_e32 32, v17
	s_cbranch_execz .LBB31_93
; %bb.92:
	ds_store_2addr_b32 v16, v1, v2 offset1:8
	ds_store_2addr_b32 v16, v3, v4 offset0:16 offset1:24
	ds_store_2addr_b32 v16, v5, v6 offset0:32 offset1:40
	ds_store_2addr_b32 v16, v7, v8 offset0:48 offset1:56
	ds_store_2addr_b32 v16, v9, v10 offset0:64 offset1:72
	ds_store_2addr_b32 v16, v11, v12 offset0:80 offset1:88
	ds_store_2addr_b32 v16, v13, v14 offset0:96 offset1:104
.LBB31_93:
	s_wait_alu 0xfffe
	s_or_b32 exec_lo, exec_lo, s1
	s_delay_alu instid0(SALU_CYCLE_1)
	s_mov_b32 s1, exec_lo
	s_wait_loadcnt_dscnt 0x0
	s_barrier_signal -1
	s_barrier_wait -1
	global_inv scope:SCOPE_SE
	v_cmpx_gt_u32_e32 32, v0
	s_cbranch_execz .LBB31_110
; %bb.94:
	s_and_saveexec_b32 s0, vcc_lo
	s_cbranch_execnz .LBB31_126
; %bb.95:
	s_wait_alu 0xfffe
	s_or_b32 exec_lo, exec_lo, s0
	s_and_saveexec_b32 s0, vcc_lo
	s_cbranch_execnz .LBB31_127
.LBB31_96:
	s_wait_alu 0xfffe
	s_or_b32 exec_lo, exec_lo, s0
	s_and_saveexec_b32 s0, vcc_lo
	s_cbranch_execnz .LBB31_128
.LBB31_97:
	s_wait_alu 0xfffe
	s_or_b32 exec_lo, exec_lo, s0
	s_and_saveexec_b32 s0, vcc_lo
	s_cbranch_execnz .LBB31_129
.LBB31_98:
	s_wait_alu 0xfffe
	s_or_b32 exec_lo, exec_lo, s0
	s_and_saveexec_b32 s0, vcc_lo
	s_cbranch_execnz .LBB31_130
.LBB31_99:
	s_wait_alu 0xfffe
	s_or_b32 exec_lo, exec_lo, s0
	s_and_saveexec_b32 s0, vcc_lo
	s_cbranch_execnz .LBB31_131
.LBB31_100:
	s_wait_alu 0xfffe
	s_or_b32 exec_lo, exec_lo, s0
	s_and_saveexec_b32 s0, vcc_lo
	s_cbranch_execnz .LBB31_132
.LBB31_101:
	s_wait_alu 0xfffe
	s_or_b32 exec_lo, exec_lo, s0
	s_and_saveexec_b32 s0, vcc_lo
	s_cbranch_execnz .LBB31_133
.LBB31_102:
	s_wait_alu 0xfffe
	s_or_b32 exec_lo, exec_lo, s0
	s_and_saveexec_b32 s0, vcc_lo
	s_cbranch_execnz .LBB31_134
.LBB31_103:
	s_wait_alu 0xfffe
	s_or_b32 exec_lo, exec_lo, s0
	s_and_saveexec_b32 s0, vcc_lo
	s_cbranch_execnz .LBB31_135
.LBB31_104:
	s_wait_alu 0xfffe
	s_or_b32 exec_lo, exec_lo, s0
	s_and_saveexec_b32 s0, vcc_lo
	s_cbranch_execnz .LBB31_136
.LBB31_105:
	s_wait_alu 0xfffe
	s_or_b32 exec_lo, exec_lo, s0
	s_and_saveexec_b32 s0, vcc_lo
	s_cbranch_execnz .LBB31_137
.LBB31_106:
	s_wait_alu 0xfffe
	s_or_b32 exec_lo, exec_lo, s0
	s_and_saveexec_b32 s0, vcc_lo
	s_cbranch_execnz .LBB31_138
.LBB31_107:
	s_wait_alu 0xfffe
	s_or_b32 exec_lo, exec_lo, s0
	s_and_saveexec_b32 s0, vcc_lo
	s_cbranch_execz .LBB31_109
.LBB31_108:
	ds_load_b32 v15, v15 offset:416
	s_wait_dscnt 0x0
	v_add_f32_e32 v14, v14, v15
.LBB31_109:
	s_wait_alu 0xfffe
	s_or_b32 exec_lo, exec_lo, s0
.LBB31_110:
	s_wait_alu 0xfffe
	s_or_b32 exec_lo, exec_lo, s1
	s_mov_b32 s1, 0
	s_wait_loadcnt 0x0
	s_barrier_signal -1
	s_barrier_wait -1
	global_inv scope:SCOPE_SE
	s_mov_b32 s0, exec_lo
	v_cmpx_eq_u32_e32 0, v17
	s_cbranch_execz .LBB31_112
; %bb.111:
	s_mul_i32 s2, s20, 0x70
	s_wait_kmcnt 0x0
	s_mul_i32 s4, s8, s16
	s_wait_alu 0xfffe
	s_ashr_i32 s3, s2, 31
	s_ashr_i32 s5, s4, 31
	s_wait_alu 0xfffe
	s_lshl_b64 s[2:3], s[2:3], 2
	s_lshl_b64 s[4:5], s[4:5], 2
	s_wait_alu 0xfffe
	s_add_nc_u64 s[2:3], s[14:15], s[2:3]
	s_mul_i32 s0, s30, 0x1c0
	s_wait_alu 0xfffe
	s_add_nc_u64 s[2:3], s[2:3], s[4:5]
	s_wait_alu 0xfffe
	s_add_nc_u64 s[0:1], s[2:3], s[0:1]
	s_clause 0xd
	global_store_b32 v0, v1, s[0:1]
	global_store_b32 v0, v2, s[0:1] offset:32
	global_store_b32 v0, v3, s[0:1] offset:64
	;; [unrolled: 1-line block ×13, first 2 shown]
.LBB31_112:
	s_endpgm
.LBB31_113:
	ds_load_b32 v17, v15
	s_wait_dscnt 0x0
	v_add_f32_e32 v1, v1, v17
	s_wait_alu 0xfffe
	s_or_b32 exec_lo, exec_lo, s0
	s_and_saveexec_b32 s0, vcc_lo
	s_cbranch_execz .LBB31_77
.LBB31_114:
	ds_load_b32 v17, v15 offset:32
	s_wait_dscnt 0x0
	v_add_f32_e32 v2, v2, v17
	s_wait_alu 0xfffe
	s_or_b32 exec_lo, exec_lo, s0
	s_and_saveexec_b32 s0, vcc_lo
	s_cbranch_execz .LBB31_78
.LBB31_115:
	ds_load_b32 v17, v15 offset:64
	s_wait_dscnt 0x0
	v_add_f32_e32 v3, v3, v17
	s_wait_alu 0xfffe
	s_or_b32 exec_lo, exec_lo, s0
	s_and_saveexec_b32 s0, vcc_lo
	s_cbranch_execz .LBB31_79
.LBB31_116:
	ds_load_b32 v17, v15 offset:96
	s_wait_dscnt 0x0
	v_add_f32_e32 v4, v4, v17
	s_wait_alu 0xfffe
	s_or_b32 exec_lo, exec_lo, s0
	s_and_saveexec_b32 s0, vcc_lo
	s_cbranch_execz .LBB31_80
.LBB31_117:
	ds_load_b32 v17, v15 offset:128
	s_wait_dscnt 0x0
	v_add_f32_e32 v5, v5, v17
	s_wait_alu 0xfffe
	s_or_b32 exec_lo, exec_lo, s0
	s_and_saveexec_b32 s0, vcc_lo
	s_cbranch_execz .LBB31_81
.LBB31_118:
	ds_load_b32 v17, v15 offset:160
	s_wait_dscnt 0x0
	v_add_f32_e32 v6, v6, v17
	s_wait_alu 0xfffe
	s_or_b32 exec_lo, exec_lo, s0
	s_and_saveexec_b32 s0, vcc_lo
	s_cbranch_execz .LBB31_82
.LBB31_119:
	ds_load_b32 v17, v15 offset:192
	s_wait_dscnt 0x0
	v_add_f32_e32 v7, v7, v17
	s_wait_alu 0xfffe
	s_or_b32 exec_lo, exec_lo, s0
	s_and_saveexec_b32 s0, vcc_lo
	s_cbranch_execz .LBB31_83
.LBB31_120:
	ds_load_b32 v17, v15 offset:224
	s_wait_dscnt 0x0
	v_add_f32_e32 v8, v8, v17
	s_wait_alu 0xfffe
	s_or_b32 exec_lo, exec_lo, s0
	s_and_saveexec_b32 s0, vcc_lo
	s_cbranch_execz .LBB31_84
.LBB31_121:
	ds_load_b32 v17, v15 offset:256
	s_wait_dscnt 0x0
	v_add_f32_e32 v9, v9, v17
	s_wait_alu 0xfffe
	s_or_b32 exec_lo, exec_lo, s0
	s_and_saveexec_b32 s0, vcc_lo
	s_cbranch_execz .LBB31_85
.LBB31_122:
	ds_load_b32 v17, v15 offset:288
	s_wait_dscnt 0x0
	v_add_f32_e32 v10, v10, v17
	s_wait_alu 0xfffe
	s_or_b32 exec_lo, exec_lo, s0
	s_and_saveexec_b32 s0, vcc_lo
	s_cbranch_execz .LBB31_86
.LBB31_123:
	ds_load_b32 v17, v15 offset:320
	s_wait_dscnt 0x0
	v_add_f32_e32 v11, v11, v17
	s_wait_alu 0xfffe
	s_or_b32 exec_lo, exec_lo, s0
	s_and_saveexec_b32 s0, vcc_lo
	s_cbranch_execz .LBB31_87
.LBB31_124:
	ds_load_b32 v17, v15 offset:352
	s_wait_dscnt 0x0
	v_add_f32_e32 v12, v12, v17
	s_wait_alu 0xfffe
	s_or_b32 exec_lo, exec_lo, s0
	s_and_saveexec_b32 s0, vcc_lo
	s_cbranch_execz .LBB31_88
.LBB31_125:
	ds_load_b32 v17, v15 offset:384
	s_wait_dscnt 0x0
	v_add_f32_e32 v13, v13, v17
	s_wait_alu 0xfffe
	s_or_b32 exec_lo, exec_lo, s0
	s_and_saveexec_b32 s0, vcc_lo
	s_cbranch_execnz .LBB31_89
	s_branch .LBB31_90
.LBB31_126:
	ds_load_b32 v16, v15
	s_wait_dscnt 0x0
	v_add_f32_e32 v1, v1, v16
	s_wait_alu 0xfffe
	s_or_b32 exec_lo, exec_lo, s0
	s_and_saveexec_b32 s0, vcc_lo
	s_cbranch_execz .LBB31_96
.LBB31_127:
	ds_load_b32 v16, v15 offset:32
	s_wait_dscnt 0x0
	v_add_f32_e32 v2, v2, v16
	s_wait_alu 0xfffe
	s_or_b32 exec_lo, exec_lo, s0
	s_and_saveexec_b32 s0, vcc_lo
	s_cbranch_execz .LBB31_97
.LBB31_128:
	ds_load_b32 v16, v15 offset:64
	s_wait_dscnt 0x0
	v_add_f32_e32 v3, v3, v16
	s_wait_alu 0xfffe
	s_or_b32 exec_lo, exec_lo, s0
	s_and_saveexec_b32 s0, vcc_lo
	s_cbranch_execz .LBB31_98
.LBB31_129:
	ds_load_b32 v16, v15 offset:96
	s_wait_dscnt 0x0
	v_add_f32_e32 v4, v4, v16
	s_wait_alu 0xfffe
	s_or_b32 exec_lo, exec_lo, s0
	s_and_saveexec_b32 s0, vcc_lo
	s_cbranch_execz .LBB31_99
.LBB31_130:
	ds_load_b32 v16, v15 offset:128
	s_wait_dscnt 0x0
	v_add_f32_e32 v5, v5, v16
	s_wait_alu 0xfffe
	s_or_b32 exec_lo, exec_lo, s0
	s_and_saveexec_b32 s0, vcc_lo
	s_cbranch_execz .LBB31_100
.LBB31_131:
	ds_load_b32 v16, v15 offset:160
	s_wait_dscnt 0x0
	v_add_f32_e32 v6, v6, v16
	s_wait_alu 0xfffe
	s_or_b32 exec_lo, exec_lo, s0
	s_and_saveexec_b32 s0, vcc_lo
	s_cbranch_execz .LBB31_101
.LBB31_132:
	ds_load_b32 v16, v15 offset:192
	s_wait_dscnt 0x0
	v_add_f32_e32 v7, v7, v16
	s_wait_alu 0xfffe
	s_or_b32 exec_lo, exec_lo, s0
	s_and_saveexec_b32 s0, vcc_lo
	s_cbranch_execz .LBB31_102
.LBB31_133:
	ds_load_b32 v16, v15 offset:224
	s_wait_dscnt 0x0
	v_add_f32_e32 v8, v8, v16
	s_wait_alu 0xfffe
	s_or_b32 exec_lo, exec_lo, s0
	s_and_saveexec_b32 s0, vcc_lo
	s_cbranch_execz .LBB31_103
.LBB31_134:
	ds_load_b32 v16, v15 offset:256
	s_wait_dscnt 0x0
	v_add_f32_e32 v9, v9, v16
	s_wait_alu 0xfffe
	s_or_b32 exec_lo, exec_lo, s0
	s_and_saveexec_b32 s0, vcc_lo
	s_cbranch_execz .LBB31_104
.LBB31_135:
	ds_load_b32 v16, v15 offset:288
	s_wait_dscnt 0x0
	v_add_f32_e32 v10, v10, v16
	s_wait_alu 0xfffe
	s_or_b32 exec_lo, exec_lo, s0
	s_and_saveexec_b32 s0, vcc_lo
	s_cbranch_execz .LBB31_105
.LBB31_136:
	ds_load_b32 v16, v15 offset:320
	s_wait_dscnt 0x0
	v_add_f32_e32 v11, v11, v16
	s_wait_alu 0xfffe
	s_or_b32 exec_lo, exec_lo, s0
	s_and_saveexec_b32 s0, vcc_lo
	s_cbranch_execz .LBB31_106
.LBB31_137:
	ds_load_b32 v16, v15 offset:352
	s_wait_dscnt 0x0
	v_add_f32_e32 v12, v12, v16
	s_wait_alu 0xfffe
	s_or_b32 exec_lo, exec_lo, s0
	s_and_saveexec_b32 s0, vcc_lo
	s_cbranch_execz .LBB31_107
.LBB31_138:
	ds_load_b32 v16, v15 offset:384
	s_wait_dscnt 0x0
	v_add_f32_e32 v13, v13, v16
	s_wait_alu 0xfffe
	s_or_b32 exec_lo, exec_lo, s0
	s_and_saveexec_b32 s0, vcc_lo
	s_cbranch_execnz .LBB31_108
	s_branch .LBB31_109
	.section	.rodata,"a",@progbits
	.p2align	6, 0x0
	.amdhsa_kernel _ZN4vllm25paged_attention_v2_kernelIffLi112ELi16ELi128ELNS_18Fp8KVCacheDataTypeE0ELb1ELi512EEEvPfS2_PT_PKS3_PKT0_S9_ifPKiSB_iPKfiiiSD_SD_iiiii
		.amdhsa_group_segment_fixed_size 480
		.amdhsa_private_segment_fixed_size 0
		.amdhsa_kernarg_size 400
		.amdhsa_user_sgpr_count 2
		.amdhsa_user_sgpr_dispatch_ptr 0
		.amdhsa_user_sgpr_queue_ptr 0
		.amdhsa_user_sgpr_kernarg_segment_ptr 1
		.amdhsa_user_sgpr_dispatch_id 0
		.amdhsa_user_sgpr_private_segment_size 0
		.amdhsa_wavefront_size32 1
		.amdhsa_uses_dynamic_stack 0
		.amdhsa_enable_private_segment 0
		.amdhsa_system_sgpr_workgroup_id_x 1
		.amdhsa_system_sgpr_workgroup_id_y 1
		.amdhsa_system_sgpr_workgroup_id_z 1
		.amdhsa_system_sgpr_workgroup_info 0
		.amdhsa_system_vgpr_workitem_id 0
		.amdhsa_next_free_vgpr 92
		.amdhsa_next_free_sgpr 42
		.amdhsa_reserve_vcc 1
		.amdhsa_float_round_mode_32 0
		.amdhsa_float_round_mode_16_64 0
		.amdhsa_float_denorm_mode_32 3
		.amdhsa_float_denorm_mode_16_64 3
		.amdhsa_fp16_overflow 0
		.amdhsa_workgroup_processor_mode 1
		.amdhsa_memory_ordered 1
		.amdhsa_forward_progress 1
		.amdhsa_inst_pref_size 74
		.amdhsa_round_robin_scheduling 0
		.amdhsa_exception_fp_ieee_invalid_op 0
		.amdhsa_exception_fp_denorm_src 0
		.amdhsa_exception_fp_ieee_div_zero 0
		.amdhsa_exception_fp_ieee_overflow 0
		.amdhsa_exception_fp_ieee_underflow 0
		.amdhsa_exception_fp_ieee_inexact 0
		.amdhsa_exception_int_div_zero 0
	.end_amdhsa_kernel
	.section	.text._ZN4vllm25paged_attention_v2_kernelIffLi112ELi16ELi128ELNS_18Fp8KVCacheDataTypeE0ELb1ELi512EEEvPfS2_PT_PKS3_PKT0_S9_ifPKiSB_iPKfiiiSD_SD_iiiii,"axG",@progbits,_ZN4vllm25paged_attention_v2_kernelIffLi112ELi16ELi128ELNS_18Fp8KVCacheDataTypeE0ELb1ELi512EEEvPfS2_PT_PKS3_PKT0_S9_ifPKiSB_iPKfiiiSD_SD_iiiii,comdat
.Lfunc_end31:
	.size	_ZN4vllm25paged_attention_v2_kernelIffLi112ELi16ELi128ELNS_18Fp8KVCacheDataTypeE0ELb1ELi512EEEvPfS2_PT_PKS3_PKT0_S9_ifPKiSB_iPKfiiiSD_SD_iiiii, .Lfunc_end31-_ZN4vllm25paged_attention_v2_kernelIffLi112ELi16ELi128ELNS_18Fp8KVCacheDataTypeE0ELb1ELi512EEEvPfS2_PT_PKS3_PKT0_S9_ifPKiSB_iPKfiiiSD_SD_iiiii
                                        ; -- End function
	.set _ZN4vllm25paged_attention_v2_kernelIffLi112ELi16ELi128ELNS_18Fp8KVCacheDataTypeE0ELb1ELi512EEEvPfS2_PT_PKS3_PKT0_S9_ifPKiSB_iPKfiiiSD_SD_iiiii.num_vgpr, 92
	.set _ZN4vllm25paged_attention_v2_kernelIffLi112ELi16ELi128ELNS_18Fp8KVCacheDataTypeE0ELb1ELi512EEEvPfS2_PT_PKS3_PKT0_S9_ifPKiSB_iPKfiiiSD_SD_iiiii.num_agpr, 0
	.set _ZN4vllm25paged_attention_v2_kernelIffLi112ELi16ELi128ELNS_18Fp8KVCacheDataTypeE0ELb1ELi512EEEvPfS2_PT_PKS3_PKT0_S9_ifPKiSB_iPKfiiiSD_SD_iiiii.numbered_sgpr, 42
	.set _ZN4vllm25paged_attention_v2_kernelIffLi112ELi16ELi128ELNS_18Fp8KVCacheDataTypeE0ELb1ELi512EEEvPfS2_PT_PKS3_PKT0_S9_ifPKiSB_iPKfiiiSD_SD_iiiii.num_named_barrier, 0
	.set _ZN4vllm25paged_attention_v2_kernelIffLi112ELi16ELi128ELNS_18Fp8KVCacheDataTypeE0ELb1ELi512EEEvPfS2_PT_PKS3_PKT0_S9_ifPKiSB_iPKfiiiSD_SD_iiiii.private_seg_size, 0
	.set _ZN4vllm25paged_attention_v2_kernelIffLi112ELi16ELi128ELNS_18Fp8KVCacheDataTypeE0ELb1ELi512EEEvPfS2_PT_PKS3_PKT0_S9_ifPKiSB_iPKfiiiSD_SD_iiiii.uses_vcc, 1
	.set _ZN4vllm25paged_attention_v2_kernelIffLi112ELi16ELi128ELNS_18Fp8KVCacheDataTypeE0ELb1ELi512EEEvPfS2_PT_PKS3_PKT0_S9_ifPKiSB_iPKfiiiSD_SD_iiiii.uses_flat_scratch, 0
	.set _ZN4vllm25paged_attention_v2_kernelIffLi112ELi16ELi128ELNS_18Fp8KVCacheDataTypeE0ELb1ELi512EEEvPfS2_PT_PKS3_PKT0_S9_ifPKiSB_iPKfiiiSD_SD_iiiii.has_dyn_sized_stack, 0
	.set _ZN4vllm25paged_attention_v2_kernelIffLi112ELi16ELi128ELNS_18Fp8KVCacheDataTypeE0ELb1ELi512EEEvPfS2_PT_PKS3_PKT0_S9_ifPKiSB_iPKfiiiSD_SD_iiiii.has_recursion, 0
	.set _ZN4vllm25paged_attention_v2_kernelIffLi112ELi16ELi128ELNS_18Fp8KVCacheDataTypeE0ELb1ELi512EEEvPfS2_PT_PKS3_PKT0_S9_ifPKiSB_iPKfiiiSD_SD_iiiii.has_indirect_call, 0
	.section	.AMDGPU.csdata,"",@progbits
; Kernel info:
; codeLenInByte = 9396
; TotalNumSgprs: 44
; NumVgprs: 92
; ScratchSize: 0
; MemoryBound: 0
; FloatMode: 240
; IeeeMode: 1
; LDSByteSize: 480 bytes/workgroup (compile time only)
; SGPRBlocks: 0
; VGPRBlocks: 11
; NumSGPRsForWavesPerEU: 44
; NumVGPRsForWavesPerEU: 92
; Occupancy: 16
; WaveLimiterHint : 1
; COMPUTE_PGM_RSRC2:SCRATCH_EN: 0
; COMPUTE_PGM_RSRC2:USER_SGPR: 2
; COMPUTE_PGM_RSRC2:TRAP_HANDLER: 0
; COMPUTE_PGM_RSRC2:TGID_X_EN: 1
; COMPUTE_PGM_RSRC2:TGID_Y_EN: 1
; COMPUTE_PGM_RSRC2:TGID_Z_EN: 1
; COMPUTE_PGM_RSRC2:TIDIG_COMP_CNT: 0
	.section	.text._ZN4vllm25paged_attention_v2_kernelIffLi120ELi16ELi128ELNS_18Fp8KVCacheDataTypeE0ELb1ELi512EEEvPfS2_PT_PKS3_PKT0_S9_ifPKiSB_iPKfiiiSD_SD_iiiii,"axG",@progbits,_ZN4vllm25paged_attention_v2_kernelIffLi120ELi16ELi128ELNS_18Fp8KVCacheDataTypeE0ELb1ELi512EEEvPfS2_PT_PKS3_PKT0_S9_ifPKiSB_iPKfiiiSD_SD_iiiii,comdat
	.protected	_ZN4vllm25paged_attention_v2_kernelIffLi120ELi16ELi128ELNS_18Fp8KVCacheDataTypeE0ELb1ELi512EEEvPfS2_PT_PKS3_PKT0_S9_ifPKiSB_iPKfiiiSD_SD_iiiii ; -- Begin function _ZN4vllm25paged_attention_v2_kernelIffLi120ELi16ELi128ELNS_18Fp8KVCacheDataTypeE0ELb1ELi512EEEvPfS2_PT_PKS3_PKT0_S9_ifPKiSB_iPKfiiiSD_SD_iiiii
	.globl	_ZN4vllm25paged_attention_v2_kernelIffLi120ELi16ELi128ELNS_18Fp8KVCacheDataTypeE0ELb1ELi512EEEvPfS2_PT_PKS3_PKT0_S9_ifPKiSB_iPKfiiiSD_SD_iiiii
	.p2align	8
	.type	_ZN4vllm25paged_attention_v2_kernelIffLi120ELi16ELi128ELNS_18Fp8KVCacheDataTypeE0ELb1ELi512EEEvPfS2_PT_PKS3_PKT0_S9_ifPKiSB_iPKfiiiSD_SD_iiiii,@function
_ZN4vllm25paged_attention_v2_kernelIffLi120ELi16ELi128ELNS_18Fp8KVCacheDataTypeE0ELb1ELi512EEEvPfS2_PT_PKS3_PKT0_S9_ifPKiSB_iPKfiiiSD_SD_iiiii: ; @_ZN4vllm25paged_attention_v2_kernelIffLi120ELi16ELi128ELNS_18Fp8KVCacheDataTypeE0ELb1ELi512EEEvPfS2_PT_PKS3_PKT0_S9_ifPKiSB_iPKfiiiSD_SD_iiiii
; %bb.0:
	s_load_b64 s[2:3], s[0:1], 0x40
	s_and_b32 s20, ttmp7, 0xffff
	s_lshr_b32 s30, ttmp7, 16
	s_lshl_b32 s4, s20, 2
	s_lshl_b32 s33, s30, 9
	s_wait_kmcnt 0x0
	s_load_b32 s31, s[2:3], s4 offset:0x0
	s_wait_kmcnt 0x0
	s_cmp_ge_i32 s33, s31
	s_cbranch_scc1 .LBB32_116
; %bb.1:
	s_clause 0x1
	s_load_b32 s21, s[0:1], 0x90
	s_load_b64 s[6:7], s[0:1], 0x30
	s_wait_kmcnt 0x0
	s_abs_i32 s5, s21
	s_abs_i32 s2, s6
	s_delay_alu instid0(SALU_CYCLE_1) | instskip(SKIP_1) | instid1(SALU_CYCLE_2)
	s_cvt_f32_u32 s3, s2
	s_sub_co_i32 s4, 0, s2
	v_rcp_iflag_f32_e32 v1, s3
	s_delay_alu instid0(TRANS32_DEP_1) | instskip(SKIP_2) | instid1(SALU_CYCLE_2)
	v_readfirstlane_b32 s3, v1
	s_mul_f32 s3, s3, 0x4f7ffffe
	s_wait_alu 0xfffe
	s_cvt_u32_f32 s3, s3
	s_wait_alu 0xfffe
	s_delay_alu instid0(SALU_CYCLE_2) | instskip(NEXT) | instid1(SALU_CYCLE_1)
	s_mul_i32 s4, s4, s3
	s_mul_hi_u32 s4, s3, s4
	s_delay_alu instid0(SALU_CYCLE_1)
	s_add_co_i32 s3, s3, s4
	s_xor_b32 s4, s21, s6
	s_wait_alu 0xfffe
	s_mul_hi_u32 s3, s5, s3
	s_ashr_i32 s4, s4, 31
	s_wait_alu 0xfffe
	s_mul_i32 s8, s3, s2
	s_delay_alu instid0(SALU_CYCLE_1)
	s_sub_co_i32 s5, s5, s8
	s_add_co_i32 s8, s3, 1
	s_sub_co_i32 s9, s5, s2
	s_cmp_ge_u32 s5, s2
	s_cselect_b32 s3, s8, s3
	s_cselect_b32 s5, s9, s5
	s_wait_alu 0xfffe
	s_add_co_i32 s8, s3, 1
	s_cmp_ge_u32 s5, s2
	s_cselect_b32 s2, s8, s3
	s_load_b64 s[8:9], s[0:1], 0x50
	s_xor_b32 s2, s2, s4
	s_mov_b32 s3, 0
	s_wait_alu 0xfffe
	s_sub_co_i32 s10, s2, s4
	s_mov_b32 s15, s3
	s_abs_i32 s18, s10
	s_delay_alu instid0(SALU_CYCLE_1) | instskip(SKIP_1) | instid1(SALU_CYCLE_2)
	s_cvt_f32_u32 s2, s18
	s_wait_alu 0xfffe
	v_rcp_iflag_f32_e32 v1, s2
	s_delay_alu instid0(TRANS32_DEP_1) | instskip(SKIP_2) | instid1(SALU_CYCLE_2)
	v_readfirstlane_b32 s2, v1
	s_mul_f32 s2, s2, 0x4f7ffffe
	s_wait_alu 0xfffe
	s_cvt_u32_f32 s4, s2
	s_sub_co_i32 s2, 0, s18
	s_wait_alu 0xfffe
	s_delay_alu instid0(SALU_CYCLE_1)
	s_mul_i32 s2, s2, s4
	s_wait_alu 0xfffe
	s_mul_hi_u32 s5, s4, s2
	s_abs_i32 s2, ttmp9
	s_add_co_i32 s4, s4, s5
	s_mov_b32 s5, s3
	s_wait_kmcnt 0x0
	s_cmp_eq_u64 s[8:9], 0
	s_cbranch_scc1 .LBB32_3
; %bb.2:
	s_mov_b32 s12, ttmp9
	s_ashr_i32 s13, ttmp9, 31
	s_delay_alu instid0(SALU_CYCLE_1) | instskip(NEXT) | instid1(SALU_CYCLE_1)
	s_lshl_b64 s[12:13], s[12:13], 2
	s_add_nc_u64 s[8:9], s[8:9], s[12:13]
	s_load_b32 s15, s[8:9], 0x0
.LBB32_3:
	s_load_b96 s[12:14], s[0:1], 0x58
	v_and_b32_e32 v1, 1, v0
	v_lshlrev_b32_e32 v2, 3, v0
	v_lshlrev_b32_e32 v3, 2, v0
	s_mul_u64 s[4:5], s[2:3], s[4:5]
	s_ashr_i32 s3, ttmp9, 31
	s_ashr_i32 s4, s10, 31
	s_mul_i32 s16, ttmp9, 0x78
	s_mov_b32 s8, exec_lo
	v_cmpx_gt_u32_e32 60, v0
	s_cbranch_execz .LBB32_5
; %bb.4:
	s_load_b64 s[10:11], s[0:1], 0x18
	s_wait_kmcnt 0x0
	s_mul_i32 s22, s12, s20
	s_ashr_i32 s17, s16, 31
	s_ashr_i32 s23, s22, 31
	v_and_b32_e32 v6, 0xff8, v3
	s_lshl_b64 s[22:23], s[22:23], 2
	s_delay_alu instid0(VALU_DEP_1) | instskip(SKIP_2) | instid1(SALU_CYCLE_1)
	v_mad_u32_u24 v6, 0xf0, v1, v6
	s_add_nc_u64 s[10:11], s[10:11], s[22:23]
	s_lshl_b64 s[22:23], s[16:17], 2
	s_add_nc_u64 s[10:11], s[10:11], s[22:23]
	global_load_b64 v[4:5], v2, s[10:11]
	s_wait_loadcnt 0x0
	ds_store_b64 v6, v[4:5]
.LBB32_5:
	s_or_b32 exec_lo, exec_lo, s8
	s_clause 0x1
	s_load_b128 s[8:11], s[0:1], 0x78
	s_load_b32 s22, s[0:1], 0x88
	s_wait_kmcnt 0x0
	s_mul_i32 s12, s5, s18
	s_xor_b32 s3, s3, s4
	s_sub_co_i32 s2, s2, s12
	s_add_co_i32 s4, s5, 1
	s_wait_alu 0xfffe
	s_sub_co_i32 s12, s2, s18
	s_cmp_ge_u32 s2, s18
	s_mov_b32 s24, -1
	s_cselect_b32 s4, s4, s5
	s_cselect_b32 s2, s12, s2
	s_add_co_i32 s5, s4, 1
	s_wait_alu 0xfffe
	s_cmp_ge_u32 s2, s18
	s_wait_dscnt 0x0
	s_cselect_b32 s2, s5, s4
	s_add_co_i32 s23, s31, -1
	s_wait_alu 0xfffe
	s_xor_b32 s2, s2, s3
	s_barrier_signal -1
	s_wait_alu 0xfffe
	s_sub_co_i32 s26, s2, s3
	s_barrier_wait -1
	s_abs_i32 s12, s11
	global_inv scope:SCOPE_SE
	s_cvt_f32_u32 s4, s12
                                        ; implicit-def: $sgpr17
	s_delay_alu instid0(SALU_CYCLE_3) | instskip(NEXT) | instid1(TRANS32_DEP_1)
	v_rcp_iflag_f32_e32 v4, s4
	v_readfirstlane_b32 s4, v4
	s_mul_f32 s2, s4, 0x4f7ffffe
	s_wait_alu 0xfffe
	s_delay_alu instid0(SALU_CYCLE_2) | instskip(SKIP_2) | instid1(SALU_CYCLE_1)
	s_cvt_u32_f32 s4, s2
	s_sub_co_i32 s2, 0, s12
	s_wait_alu 0xfffe
	s_mul_i32 s3, s2, s4
	s_abs_i32 s2, s23
	s_wait_alu 0xfffe
	s_mul_hi_u32 s5, s4, s3
	s_mov_b32 s3, 0
	s_wait_alu 0xfffe
	s_add_co_i32 s18, s4, s5
	s_cmp_lt_i32 s22, 0
	s_mov_b32 s19, s3
	s_cbranch_scc0 .LBB32_7
; %bb.6:
	s_mul_i32 s4, s8, s6
	s_mov_b32 s24, s3
	s_wait_alu 0xfffe
	s_add_co_i32 s4, s26, s4
	s_wait_alu 0xfffe
	s_mul_i32 s4, s4, s22
	s_wait_alu 0xfffe
	s_sub_co_i32 s17, 1, s4
.LBB32_7:
	s_mul_u64 s[4:5], s[2:3], s[18:19]
	s_ashr_i32 s3, s23, 31
	s_and_not1_b32 vcc_lo, exec_lo, s24
	s_ashr_i32 s11, s11, 31
	s_cbranch_vccnz .LBB32_9
; %bb.8:
	s_mul_i32 s4, s21, s8
	s_wait_alu 0xfffe
	s_add_co_i32 s4, s4, ttmp9
	s_wait_alu 0xfffe
	s_mul_i32 s4, s4, s22
	s_wait_alu 0xfffe
	s_add_co_i32 s17, s4, 1
.LBB32_9:
	s_clause 0x2
	s_load_b32 s4, s[0:1], 0x48
	s_load_b64 s[22:23], s[0:1], 0x38
	s_load_b32 s8, s[0:1], 0x98
	s_mul_i32 s6, s5, s12
	s_xor_b32 s3, s3, s11
	s_sub_co_i32 s2, s2, s6
	s_add_co_i32 s19, s5, 1
	v_lshrrev_b32_e32 v67, 5, v0
	v_mov_b32_e32 v6, 0xff7fffff
	v_mbcnt_lo_u32_b32 v5, -1, 0
	s_mul_i32 s26, s26, s14
	s_delay_alu instid0(VALU_DEP_3)
	v_lshl_add_u32 v68, v67, 4, s33
	s_wait_kmcnt 0x0
	s_mul_i32 s24, s4, s20
	s_wait_alu 0xfffe
	s_sub_co_i32 s4, s2, s12
	s_ashr_i32 s25, s24, 31
	s_cmp_ge_u32 s2, s12
	s_cselect_b32 s5, s19, s5
	s_wait_alu 0xfffe
	s_cselect_b32 s2, s4, s2
	s_add_co_i32 s4, s5, 1
	s_wait_alu 0xfffe
	s_cmp_ge_u32 s2, s12
	s_cselect_b32 s2, s4, s5
	s_add_co_i32 s4, s31, 15
	s_lshl_b32 s36, s30, 5
	s_wait_alu 0xfffe
	s_ashr_i32 s5, s4, 31
	v_or_b32_e32 v69, s36, v67
	s_wait_alu 0xfffe
	s_lshr_b32 s5, s5, 28
	s_wait_alu 0xfffe
	s_add_co_i32 s4, s4, s5
	s_add_co_i32 s5, s36, 32
	s_wait_alu 0xfffe
	s_ashr_i32 s34, s4, 4
	s_xor_b32 s4, s2, s3
	s_min_i32 s19, s5, s34
	v_lshlrev_b32_e32 v4, 2, v69
	v_cmp_gt_i32_e64 s2, s19, v69
	s_wait_alu 0xfffe
	s_sub_co_i32 s35, s4, s3
	s_and_saveexec_b32 s6, s2
	s_cbranch_execz .LBB32_21
; %bb.10:
	s_ashr_i32 s27, s26, 31
	s_sub_co_i32 s14, s35, s9
	s_lshl_b64 s[4:5], s[26:27], 2
	s_cmp_neq_f32 s15, 0
	s_load_b64 s[38:39], s[0:1], 0x20
	v_bfe_u32 v7, v0, 1, 4
	v_mul_u32_u24_e32 v8, 0xf0, v1
	s_cselect_b32 vcc_lo, -1, 0
	s_abs_i32 s27, s10
	v_and_b32_e32 v2, 8, v2
	s_cvt_f32_u32 s3, s27
	v_lshlrev_b32_e32 v9, 4, v7
	s_lshl_b64 s[40:41], s[24:25], 2
	v_mov_b32_e32 v14, 0xff7fffff
	s_wait_alu 0xfffe
	v_rcp_iflag_f32_e32 v6, s3
	v_cmp_eq_u32_e64 s3, 0, v1
	v_lshlrev_b32_e32 v1, 2, v7
	v_subrev_nc_u32_e32 v12, s31, v7
	s_add_nc_u64 s[40:41], s[22:23], s[40:41]
	s_sub_co_i32 s37, 0, s27
	v_lshl_add_u32 v11, v67, 4, s33
	v_xor_b32_e32 v15, 1, v5
	v_add_nc_u32_e32 v12, 1, v12
	s_mov_b32 s28, 0
	v_readfirstlane_b32 s29, v6
	v_lshl_or_b32 v6, v67, 6, v1
	s_wait_kmcnt 0x0
	s_add_nc_u64 s[4:5], s[38:39], s[4:5]
	v_mov_b32_e32 v16, v69
	s_mul_f32 s29, s29, 0x4f7ffffe
	v_add_nc_u32_e32 v13, 0x200, v6
	v_mov_b32_e32 v6, 0xff7fffff
	s_wait_alu 0xfffe
	v_add_co_u32 v1, s4, s4, v9
	s_wait_alu 0xf1ff
	v_add_co_ci_u32_e64 v10, null, s5, 0, s4
	s_cvt_u32_f32 s5, s29
	v_add_co_u32 v9, s4, v1, v2
	s_wait_alu 0xf1ff
	v_add_co_ci_u32_e64 v10, null, 0, v10, s4
	v_add_co_u32 v1, s4, s40, v4
	s_wait_alu 0xfffe
	s_mul_i32 s37, s37, s5
	v_add_co_ci_u32_e64 v2, null, s41, 0, s4
	s_wait_alu 0xfffe
	s_mul_hi_u32 s4, s5, s37
	s_mov_b32 s29, s13
	s_wait_alu 0xfffe
	s_add_co_i32 s37, s5, s4
	s_branch .LBB32_13
.LBB32_11:                              ;   in Loop: Header=BB32_13 Depth=1
	s_or_b32 exec_lo, exec_lo, s38
.LBB32_12:                              ;   in Loop: Header=BB32_13 Depth=1
	s_wait_alu 0xfffe
	s_or_b32 exec_lo, exec_lo, s5
	v_add_nc_u32_e32 v16, 4, v16
	v_add_co_u32 v1, s5, v1, 16
	s_wait_alu 0xf1ff
	v_add_co_ci_u32_e64 v2, null, 0, v2, s5
	s_delay_alu instid0(VALU_DEP_3)
	v_cmp_le_i32_e64 s4, s19, v16
	v_add_nc_u32_e32 v11, 64, v11
	v_add_nc_u32_e32 v13, 0x100, v13
	s_or_b32 s28, s4, s28
	s_wait_alu 0xfffe
	s_and_not1_b32 exec_lo, exec_lo, s28
	s_cbranch_execz .LBB32_20
.LBB32_13:                              ; =>This Inner Loop Header: Depth=1
	v_sub_nc_u32_e32 v17, 0, v11
	s_delay_alu instid0(VALU_DEP_1) | instskip(SKIP_1) | instid1(VALU_DEP_1)
	v_max_i32_e32 v17, v11, v17
	s_wait_dscnt 0x0
	v_mul_hi_u32 v18, v17, s18
	s_delay_alu instid0(VALU_DEP_1) | instskip(NEXT) | instid1(VALU_DEP_1)
	v_mul_lo_u32 v19, v18, s12
	v_sub_nc_u32_e32 v17, v17, v19
	v_add_nc_u32_e32 v19, 1, v18
	s_delay_alu instid0(VALU_DEP_2) | instskip(SKIP_2) | instid1(VALU_DEP_1)
	v_subrev_nc_u32_e32 v20, s12, v17
	v_cmp_le_u32_e64 s4, s12, v17
	s_wait_alu 0xf1ff
	v_cndmask_b32_e64 v18, v18, v19, s4
	s_delay_alu instid0(VALU_DEP_3) | instskip(SKIP_1) | instid1(VALU_DEP_3)
	v_cndmask_b32_e64 v17, v17, v20, s4
	v_ashrrev_i32_e32 v19, 31, v11
	v_add_nc_u32_e32 v20, 1, v18
	s_delay_alu instid0(VALU_DEP_3) | instskip(NEXT) | instid1(VALU_DEP_3)
	v_cmp_le_u32_e64 s4, s12, v17
	v_xor_b32_e32 v19, s11, v19
	s_wait_alu 0xf1ff
	s_delay_alu instid0(VALU_DEP_2) | instskip(NEXT) | instid1(VALU_DEP_1)
	v_cndmask_b32_e64 v17, v18, v20, s4
	v_xor_b32_e32 v17, v17, v19
	s_delay_alu instid0(VALU_DEP_1) | instskip(NEXT) | instid1(VALU_DEP_1)
	v_sub_nc_u32_e32 v17, v17, v19
	v_add_nc_u32_e32 v18, s17, v17
	v_cmp_ge_i32_e64 s5, s14, v17
	s_delay_alu instid0(VALU_DEP_2) | instskip(NEXT) | instid1(VALU_DEP_1)
	v_sub_nc_u32_e32 v19, 0, v18
	v_max_i32_e32 v19, v18, v19
	v_ashrrev_i32_e32 v18, 31, v18
	s_wait_alu 0xfffe
	s_delay_alu instid0(VALU_DEP_2) | instskip(NEXT) | instid1(VALU_DEP_1)
	v_mul_hi_u32 v20, v19, s37
	v_mul_lo_u32 v20, v20, s27
	s_delay_alu instid0(VALU_DEP_1) | instskip(NEXT) | instid1(VALU_DEP_1)
	v_sub_nc_u32_e32 v19, v19, v20
	v_subrev_nc_u32_e32 v20, s27, v19
	v_cmp_le_u32_e64 s4, s27, v19
	s_wait_alu 0xf1ff
	s_delay_alu instid0(VALU_DEP_1) | instskip(NEXT) | instid1(VALU_DEP_1)
	v_cndmask_b32_e64 v19, v19, v20, s4
	v_subrev_nc_u32_e32 v20, s27, v19
	v_cmp_le_u32_e64 s4, s27, v19
	s_wait_alu 0xf1ff
	s_delay_alu instid0(VALU_DEP_1) | instskip(NEXT) | instid1(VALU_DEP_1)
	v_cndmask_b32_e64 v19, v19, v20, s4
	v_xor_b32_e32 v19, v19, v18
	s_delay_alu instid0(VALU_DEP_1) | instskip(NEXT) | instid1(VALU_DEP_1)
	v_sub_nc_u32_e32 v18, v19, v18
	v_cmp_ne_u32_e64 s4, 0, v18
	s_and_b32 s4, s4, s5
	s_wait_alu 0xfffe
	s_and_saveexec_b32 s5, s4
	s_wait_alu 0xfffe
	s_xor_b32 s4, exec_lo, s5
	s_cbranch_execz .LBB32_17
; %bb.14:                               ;   in Loop: Header=BB32_13 Depth=1
	s_and_saveexec_b32 s5, s3
; %bb.15:                               ;   in Loop: Header=BB32_13 Depth=1
	ds_store_b32 v13, v14
; %bb.16:                               ;   in Loop: Header=BB32_13 Depth=1
	s_wait_alu 0xfffe
	s_or_b32 exec_lo, exec_lo, s5
.LBB32_17:                              ;   in Loop: Header=BB32_13 Depth=1
	s_wait_alu 0xfffe
	s_and_not1_saveexec_b32 s5, s4
	s_cbranch_execz .LBB32_12
; %bb.18:                               ;   in Loop: Header=BB32_13 Depth=1
	global_load_b32 v17, v[1:2], off
	s_wait_loadcnt 0x0
	v_mad_co_i64_i32 v[17:18], null, v17, s29, 0
	s_delay_alu instid0(VALU_DEP_1) | instskip(NEXT) | instid1(VALU_DEP_1)
	v_lshlrev_b64_e32 v[17:18], 2, v[17:18]
	v_add_co_u32 v17, s4, v9, v17
	s_wait_alu 0xf1ff
	s_delay_alu instid0(VALU_DEP_2)
	v_add_co_ci_u32_e64 v18, null, v10, v18, s4
	v_cmp_gt_i32_e64 s4, 32, v15
	s_clause 0x1d
	global_load_b64 v[29:30], v[17:18], off offset:256
	global_load_b64 v[31:32], v[17:18], off
	global_load_b64 v[33:34], v[17:18], off offset:512
	global_load_b64 v[35:36], v[17:18], off offset:768
	;; [unrolled: 1-line block ×28, first 2 shown]
	ds_load_b128 v[17:20], v8
	ds_load_b128 v[21:24], v8 offset:16
	ds_load_b128 v[25:28], v8 offset:32
	s_wait_loadcnt_dscnt 0x1d02
	v_dual_mul_f32 v29, v19, v29 :: v_dual_mul_f32 v30, v20, v30
	s_wait_loadcnt 0x1c
	s_delay_alu instid0(VALU_DEP_1) | instskip(SKIP_4) | instid1(VALU_DEP_1)
	v_dual_fmac_f32 v29, v17, v31 :: v_dual_fmac_f32 v30, v18, v32
	ds_load_b128 v[17:20], v8 offset:48
	s_wait_loadcnt_dscnt 0x1b02
	v_dual_fmac_f32 v29, v21, v33 :: v_dual_fmac_f32 v30, v22, v34
	s_wait_loadcnt 0x1a
	v_dual_fmac_f32 v29, v23, v35 :: v_dual_fmac_f32 v30, v24, v36
	ds_load_b128 v[21:24], v8 offset:64
	s_wait_loadcnt_dscnt 0x1902
	v_dual_fmac_f32 v29, v25, v37 :: v_dual_fmac_f32 v30, v26, v38
	s_wait_loadcnt 0x18
	s_delay_alu instid0(VALU_DEP_1) | instskip(SKIP_4) | instid1(VALU_DEP_1)
	v_dual_fmac_f32 v29, v27, v39 :: v_dual_fmac_f32 v30, v28, v40
	ds_load_b128 v[25:28], v8 offset:80
	s_wait_loadcnt_dscnt 0x1702
	v_dual_fmac_f32 v29, v17, v41 :: v_dual_fmac_f32 v30, v18, v42
	s_wait_loadcnt 0x16
	v_dual_fmac_f32 v29, v19, v43 :: v_dual_fmac_f32 v30, v20, v44
	ds_load_b128 v[17:20], v8 offset:96
	s_wait_loadcnt_dscnt 0x1502
	v_dual_fmac_f32 v29, v21, v45 :: v_dual_fmac_f32 v30, v22, v46
	;; [unrolled: 11-line block ×6, first 2 shown]
	s_wait_alu 0xf1ff
	v_cndmask_b32_e64 v17, v5, v15, s4
	s_wait_loadcnt 0x4
	s_delay_alu instid0(VALU_DEP_2) | instskip(SKIP_1) | instid1(VALU_DEP_1)
	v_dual_fmac_f32 v29, v82, v19 :: v_dual_fmac_f32 v30, v83, v20
	s_wait_loadcnt_dscnt 0x301
	v_dual_fmac_f32 v29, v84, v21 :: v_dual_fmac_f32 v30, v85, v22
	s_wait_loadcnt 0x2
	s_delay_alu instid0(VALU_DEP_1) | instskip(SKIP_1) | instid1(VALU_DEP_1)
	v_dual_fmac_f32 v29, v86, v23 :: v_dual_fmac_f32 v30, v87, v24
	s_wait_loadcnt_dscnt 0x100
	v_dual_fmac_f32 v29, v88, v25 :: v_dual_fmac_f32 v30, v89, v26
	s_wait_loadcnt 0x0
	s_delay_alu instid0(VALU_DEP_1) | instskip(NEXT) | instid1(VALU_DEP_1)
	v_dual_fmac_f32 v29, v90, v27 :: v_dual_fmac_f32 v30, v91, v28
	v_dual_add_f32 v17, v29, v30 :: v_dual_lshlrev_b32 v18, 2, v17
	ds_bpermute_b32 v18, v18, v17
	s_and_saveexec_b32 s38, s3
	s_cbranch_execz .LBB32_11
; %bb.19:                               ;   in Loop: Header=BB32_13 Depth=1
	s_wait_dscnt 0x0
	v_add_f32_e32 v17, v17, v18
	v_add_nc_u32_e32 v19, v12, v11
	s_delay_alu instid0(VALU_DEP_1) | instskip(NEXT) | instid1(VALU_DEP_1)
	v_cvt_f32_i32_e32 v19, v19
	v_mul_f32_e32 v19, s15, v19
	s_delay_alu instid0(VALU_DEP_1) | instskip(NEXT) | instid1(VALU_DEP_1)
	v_dual_cndmask_b32 v18, 0, v19 :: v_dual_max_num_f32 v19, v6, v6
	v_dual_fmac_f32 v18, s7, v17 :: v_dual_add_nc_u32 v17, v7, v11
	s_delay_alu instid0(VALU_DEP_1) | instskip(NEXT) | instid1(VALU_DEP_2)
	v_max_num_f32_e32 v19, v19, v18
	v_cmp_gt_i32_e64 s4, s31, v17
	s_wait_alu 0xf1ff
	s_delay_alu instid0(VALU_DEP_1) | instskip(NEXT) | instid1(VALU_DEP_3)
	v_cndmask_b32_e64 v17, 0, v18, s4
	v_cndmask_b32_e64 v6, v6, v19, s4
	ds_store_b32 v13, v17
	s_branch .LBB32_11
.LBB32_20:
	s_or_b32 exec_lo, exec_lo, s28
.LBB32_21:
	s_delay_alu instid0(SALU_CYCLE_1)
	s_or_b32 exec_lo, exec_lo, s6
	v_xor_b32_e32 v1, 16, v5
	v_xor_b32_e32 v7, 8, v5
	s_clause 0x2
	s_load_b128 s[4:7], s[0:1], 0x0
	s_load_b64 s[14:15], s[0:1], 0x10
	s_load_b64 s[28:29], s[0:1], 0x28
	v_max_num_f32_e32 v8, v6, v6
	v_and_b32_e32 v70, 31, v0
	v_cmp_gt_i32_e32 vcc_lo, 32, v1
	s_wait_alu 0xfffd
	v_cndmask_b32_e32 v1, v5, v1, vcc_lo
	v_cmp_gt_i32_e32 vcc_lo, 32, v7
	s_delay_alu instid0(VALU_DEP_2) | instskip(SKIP_4) | instid1(VALU_DEP_1)
	v_lshlrev_b32_e32 v2, 2, v1
	ds_bpermute_b32 v1, v2, v6
	s_wait_dscnt 0x0
	v_max_num_f32_e32 v1, v1, v1
	s_wait_alu 0xfffd
	v_dual_cndmask_b32 v6, v5, v7 :: v_dual_max_num_f32 v1, v8, v1
	s_delay_alu instid0(VALU_DEP_1)
	v_lshlrev_b32_e32 v6, 2, v6
	v_xor_b32_e32 v8, 4, v5
	ds_bpermute_b32 v7, v6, v1
	v_cmp_gt_i32_e32 vcc_lo, 32, v8
	s_wait_dscnt 0x0
	s_wait_alu 0xfffd
	v_dual_cndmask_b32 v8, v5, v8 :: v_dual_max_num_f32 v9, v7, v7
	s_delay_alu instid0(VALU_DEP_1) | instskip(SKIP_1) | instid1(VALU_DEP_1)
	v_max_num_f32_e32 v1, v1, v9
	v_xor_b32_e32 v9, 2, v5
	v_cmp_gt_i32_e32 vcc_lo, 32, v9
	s_wait_alu 0xfffd
	v_cndmask_b32_e32 v9, v5, v9, vcc_lo
	v_cmp_eq_u32_e32 vcc_lo, 0, v70
	s_delay_alu instid0(VALU_DEP_2) | instskip(SKIP_4) | instid1(VALU_DEP_1)
	v_lshlrev_b32_e32 v71, 2, v9
	v_lshlrev_b32_e32 v7, 2, v8
	ds_bpermute_b32 v8, v7, v1
	s_wait_dscnt 0x0
	v_max_num_f32_e32 v8, v8, v8
	v_dual_max_num_f32 v1, v1, v8 :: v_dual_lshlrev_b32 v8, 2, v67
	ds_bpermute_b32 v9, v71, v1
	s_and_saveexec_b32 s0, vcc_lo
	s_cbranch_execz .LBB32_23
; %bb.22:
	s_wait_dscnt 0x0
	v_max_num_f32_e32 v9, v9, v9
	v_max_num_f32_e32 v1, v1, v1
	s_delay_alu instid0(VALU_DEP_1)
	v_max_num_f32_e32 v1, v1, v9
	ds_store_b32 v8, v1 offset:480
.LBB32_23:
	s_or_b32 exec_lo, exec_lo, s0
	v_cmp_gt_u32_e64 s0, 4, v70
	v_mov_b32_e32 v1, 0xff7fffff
	s_wait_dscnt 0x0
	v_lshlrev_b32_e32 v9, 2, v70
	s_wait_loadcnt 0x0
	s_barrier_signal -1
	s_barrier_wait -1
	global_inv scope:SCOPE_SE
	s_and_saveexec_b32 s1, s0
; %bb.24:
	ds_load_b32 v1, v9 offset:480
; %bb.25:
	s_or_b32 exec_lo, exec_lo, s1
	s_wait_dscnt 0x0
	ds_bpermute_b32 v10, v71, v1
	v_xor_b32_e32 v11, 1, v5
	v_max_num_f32_e32 v1, v1, v1
	s_delay_alu instid0(VALU_DEP_2) | instskip(NEXT) | instid1(VALU_DEP_1)
	v_cmp_gt_i32_e64 s1, 32, v11
	v_cndmask_b32_e64 v5, v5, v11, s1
	s_sub_co_i32 s1, s19, s36
	s_wait_alu 0xfffe
	s_lshl_b32 s1, s1, 4
	s_wait_alu 0xfffe
	s_add_co_i32 s1, s1, s33
	s_wait_alu 0xfffe
	s_min_i32 s1, s1, s31
	s_wait_alu 0xfffe
	s_sub_co_i32 s27, s1, s33
	s_wait_dscnt 0x0
	v_max_num_f32_e32 v10, v10, v10
	v_lshlrev_b32_e32 v72, 2, v5
	s_wait_alu 0xfffe
	v_cmp_gt_i32_e64 s1, s27, v0
	s_delay_alu instid0(VALU_DEP_3) | instskip(SKIP_3) | instid1(VALU_DEP_1)
	v_dual_max_num_f32 v1, v1, v10 :: v_dual_mov_b32 v10, 0
	ds_bpermute_b32 v5, v72, v1
	s_wait_dscnt 0x0
	v_max_num_f32_e32 v5, v5, v5
	v_max_num_f32_e32 v1, v1, v5
	v_lshl_add_u32 v5, v0, 2, 0x200
	ds_bpermute_b32 v1, v10, v1
	s_and_saveexec_b32 s33, s1
	s_cbranch_execz .LBB32_29
; %bb.26:
	v_lshl_add_u32 v11, v0, 2, 0x200
	v_mov_b32_e32 v10, 0
	v_mov_b32_e32 v12, v0
	s_mov_b32 s36, 0
.LBB32_27:                              ; =>This Inner Loop Header: Depth=1
	ds_load_b32 v13, v11
	v_add_nc_u32_e32 v12, 0x80, v12
	s_delay_alu instid0(VALU_DEP_1) | instskip(SKIP_4) | instid1(VALU_DEP_1)
	v_cmp_le_i32_e64 s3, s27, v12
	s_wait_alu 0xfffe
	s_or_b32 s36, s3, s36
	s_wait_dscnt 0x0
	v_sub_f32_e32 v13, v13, v1
	v_mul_f32_e32 v13, 0x3fb8aa3b, v13
	s_delay_alu instid0(VALU_DEP_1)
	v_exp_f32_e32 v13, v13
	ds_store_b32 v11, v13
	v_dual_add_f32 v10, v10, v13 :: v_dual_add_nc_u32 v11, 0x200, v11
	s_wait_alu 0xfffe
	s_and_not1_b32 exec_lo, exec_lo, s36
	s_cbranch_execnz .LBB32_27
; %bb.28:
	s_or_b32 exec_lo, exec_lo, s36
.LBB32_29:
	s_wait_alu 0xfffe
	s_or_b32 exec_lo, exec_lo, s33
	ds_bpermute_b32 v2, v2, v10
	s_wait_dscnt 0x0
	v_add_f32_e32 v2, v10, v2
	ds_bpermute_b32 v6, v6, v2
	s_wait_dscnt 0x0
	v_add_f32_e32 v2, v2, v6
	;; [unrolled: 3-line block ×5, first 2 shown]
	s_and_saveexec_b32 s3, vcc_lo
; %bb.30:
	ds_store_b32 v8, v2 offset:496
; %bb.31:
	s_wait_alu 0xfffe
	s_or_b32 exec_lo, exec_lo, s3
	s_wait_loadcnt_dscnt 0x0
	s_barrier_signal -1
	s_barrier_wait -1
	global_inv scope:SCOPE_SE
	s_and_saveexec_b32 s3, s0
; %bb.32:
	ds_load_b32 v2, v9 offset:496
; %bb.33:
	s_wait_alu 0xfffe
	s_or_b32 exec_lo, exec_lo, s3
	s_wait_dscnt 0x0
	ds_bpermute_b32 v6, v71, v2
	s_wait_dscnt 0x0
	v_add_f32_e32 v2, v2, v6
	ds_bpermute_b32 v6, v72, v2
	s_wait_dscnt 0x0
	v_add_f32_e32 v2, v2, v6
	v_mov_b32_e32 v6, 0
	ds_bpermute_b32 v2, v6, v2
	s_and_saveexec_b32 s0, s1
	s_cbranch_execz .LBB32_36
; %bb.34:
	s_wait_dscnt 0x0
	v_add_f32_e32 v6, 0x358637bd, v2
	s_mov_b32 s1, 0
	s_delay_alu instid0(VALU_DEP_1) | instskip(SKIP_1) | instid1(VALU_DEP_2)
	v_div_scale_f32 v7, null, v6, v6, 1.0
	v_div_scale_f32 v10, vcc_lo, 1.0, v6, 1.0
	v_rcp_f32_e32 v8, v7
	s_delay_alu instid0(TRANS32_DEP_1) | instskip(NEXT) | instid1(VALU_DEP_1)
	v_fma_f32 v9, -v7, v8, 1.0
	v_fmac_f32_e32 v8, v9, v8
	s_delay_alu instid0(VALU_DEP_1) | instskip(NEXT) | instid1(VALU_DEP_1)
	v_mul_f32_e32 v9, v10, v8
	v_fma_f32 v11, -v7, v9, v10
	s_delay_alu instid0(VALU_DEP_1) | instskip(NEXT) | instid1(VALU_DEP_1)
	v_fmac_f32_e32 v9, v11, v8
	v_fma_f32 v7, -v7, v9, v10
	s_wait_alu 0xfffd
	s_delay_alu instid0(VALU_DEP_1) | instskip(NEXT) | instid1(VALU_DEP_1)
	v_div_fmas_f32 v7, v7, v8, v9
	v_div_fixup_f32 v6, v7, v6, 1.0
	v_mov_b32_e32 v7, v0
.LBB32_35:                              ; =>This Inner Loop Header: Depth=1
	ds_load_b32 v8, v5
	s_wait_dscnt 0x0
	v_dual_mul_f32 v8, v6, v8 :: v_dual_add_nc_u32 v7, 0x80, v7
	s_delay_alu instid0(VALU_DEP_1)
	v_cmp_le_i32_e32 vcc_lo, s27, v7
	ds_store_b32 v5, v8
	v_add_nc_u32_e32 v5, 0x200, v5
	s_wait_alu 0xfffe
	s_or_b32 s1, vcc_lo, s1
	s_wait_alu 0xfffe
	s_and_not1_b32 exec_lo, exec_lo, s1
	s_cbranch_execnz .LBB32_35
.LBB32_36:
	s_wait_alu 0xfffe
	s_or_b32 exec_lo, exec_lo, s0
	s_mul_i32 s0, s8, s20
	s_wait_loadcnt_dscnt 0x0
	s_wait_alu 0xfffe
	s_mul_i32 s20, s0, s21
	s_mov_b32 s0, exec_lo
	s_barrier_signal -1
	s_barrier_wait -1
	global_inv scope:SCOPE_SE
	v_cmpx_eq_u32_e32 0, v0
	s_cbranch_execz .LBB32_38
; %bb.37:
	s_ashr_i32 s21, s20, 31
	s_wait_alu 0xfffe
	s_mul_i32 s36, s8, ttmp9
	s_lshl_b32 s1, s30, 2
	s_lshl_b64 s[38:39], s[20:21], 2
	s_wait_alu 0xfffe
	s_ashr_i32 s37, s36, 31
	v_mov_b32_e32 v5, s1
	s_wait_kmcnt 0x0
	s_add_nc_u64 s[6:7], s[6:7], s[38:39]
	s_wait_alu 0xfffe
	s_lshl_b64 s[36:37], s[36:37], 2
	s_add_nc_u64 s[4:5], s[4:5], s[38:39]
	s_wait_alu 0xfffe
	s_add_nc_u64 s[6:7], s[6:7], s[36:37]
	s_add_nc_u64 s[4:5], s[4:5], s[36:37]
	s_clause 0x1
	global_store_b32 v5, v1, s[6:7]
	global_store_b32 v5, v2, s[4:5]
.LBB32_38:
	s_wait_alu 0xfffe
	s_or_b32 exec_lo, exec_lo, s0
	v_dual_mov_b32 v87, 0 :: v_dual_mov_b32 v88, 0
	v_dual_mov_b32 v86, 0 :: v_dual_and_b32 v73, 3, v0
	v_dual_mov_b32 v85, 0 :: v_dual_mov_b32 v84, 0
	v_dual_mov_b32 v83, 0 :: v_dual_mov_b32 v82, 0
	;; [unrolled: 1-line block ×6, first 2 shown]
	s_and_saveexec_b32 s1, s2
	s_cbranch_execz .LBB32_74
; %bb.39:
	s_abs_i32 s2, s10
	v_dual_mov_b32 v75, 0 :: v_dual_lshlrev_b32 v2, 4, v0
	s_wait_alu 0xfffe
	s_cvt_f32_u32 s0, s2
	v_dual_mov_b32 v74, 0 :: v_dual_and_b32 v89, 12, v3
	v_dual_mov_b32 v76, 0 :: v_dual_lshlrev_b32 v3, 4, v73
	s_wait_alu 0xfffe
	v_rcp_iflag_f32_e32 v1, s0
	s_ashr_i32 s27, s26, 31
	s_wait_kmcnt 0x0
	s_lshl_b64 s[6:7], s[24:25], 2
	s_wait_alu 0xfffe
	s_lshl_b64 s[24:25], s[26:27], 2
	s_add_nc_u64 s[6:7], s[22:23], s[6:7]
	s_add_nc_u64 s[22:23], s[28:29], s[24:25]
	s_wait_alu 0xfffe
	v_add_co_u32 v65, s6, s6, v4
	s_sub_co_i32 s3, s35, s9
	s_sub_co_i32 s9, 0, s2
	v_readfirstlane_b32 s0, v1
	v_dual_mov_b32 v78, 0 :: v_dual_and_b32 v1, 0x1f0, v2
	v_lshl_or_b32 v2, v67, 6, v3
	v_add_co_ci_u32_e64 v66, null, s7, 0, s6
	s_mul_f32 s0, s0, 0x4f7ffffe
	v_add_co_u32 v90, s6, s22, v1
	s_wait_alu 0xf1ff
	v_add_co_ci_u32_e64 v91, null, s23, 0, s6
	s_wait_alu 0xfffe
	s_cvt_u32_f32 s0, s0
	v_dual_mov_b32 v77, 0 :: v_dual_add_nc_u32 v92, 0x200, v2
	v_dual_mov_b32 v79, 0 :: v_dual_mov_b32 v80, 0
	s_wait_alu 0xfffe
	s_mul_i32 s9, s9, s0
	v_dual_mov_b32 v81, 0 :: v_dual_mov_b32 v82, 0
	v_dual_mov_b32 v83, 0 :: v_dual_mov_b32 v84, 0
	;; [unrolled: 1-line block ×4, first 2 shown]
	s_mul_hi_u32 s7, s0, s9
	s_mov_b32 s4, s13
	s_add_co_i32 s5, s34, -1
	s_mov_b32 s6, 0
	s_wait_alu 0xfffe
	s_add_co_i32 s7, s0, s7
	s_branch .LBB32_42
.LBB32_40:                              ;   in Loop: Header=BB32_42 Depth=1
	s_wait_alu 0xfffe
	s_or_b32 exec_lo, exec_lo, s0
	s_wait_loadcnt_dscnt 0x600
	v_mul_f32_e32 v37, v1, v37
	v_mul_f32_e32 v29, v1, v29
	;; [unrolled: 1-line block ×3, first 2 shown]
	s_wait_loadcnt 0x1
	v_mul_f32_e32 v61, v1, v61
	v_mul_f32_e32 v57, v1, v57
	v_fmac_f32_e32 v37, v2, v38
	v_mul_f32_e32 v53, v1, v53
	v_mul_f32_e32 v45, v1, v45
	v_mul_f32_e32 v41, v1, v41
	v_mul_f32_e32 v33, v1, v33
	v_mul_f32_e32 v25, v1, v25
	v_mul_f32_e32 v21, v1, v21
	v_fmac_f32_e32 v29, v2, v30
	v_fmac_f32_e32 v37, v3, v39
	v_mul_f32_e32 v17, v1, v17
	v_mul_f32_e32 v13, v1, v13
	;; [unrolled: 1-line block ×3, first 2 shown]
	s_wait_loadcnt 0x0
	v_mul_f32_e32 v1, v1, v49
	v_fmac_f32_e32 v9, v2, v10
	v_fmac_f32_e32 v21, v2, v22
	;; [unrolled: 1-line block ×9, first 2 shown]
	v_dual_add_f32 v80, v80, v37 :: v_dual_fmac_f32 v57, v3, v59
	v_fmac_f32_e32 v13, v2, v14
	v_fmac_f32_e32 v1, v3, v51
	v_fmac_f32_e32 v9, v4, v12
	v_fmac_f32_e32 v45, v2, v46
	v_fmac_f32_e32 v41, v2, v42
	v_fmac_f32_e32 v33, v2, v34
	v_fmac_f32_e32 v25, v2, v26
	v_fmac_f32_e32 v21, v4, v24
	v_fmac_f32_e32 v53, v2, v54
	v_dual_add_f32 v82, v82, v29 :: v_dual_fmac_f32 v57, v4, v60
	v_fmac_f32_e32 v61, v2, v62
	v_fmac_f32_e32 v17, v2, v18
	;; [unrolled: 1-line block ×5, first 2 shown]
	v_dual_add_f32 v88, v88, v9 :: v_dual_fmac_f32 v45, v3, v47
	v_dual_fmac_f32 v41, v3, v43 :: v_dual_add_f32 v76, v76, v57
	v_fmac_f32_e32 v33, v3, v35
	v_dual_fmac_f32 v25, v3, v27 :: v_dual_add_f32 v84, v84, v21
	v_fmac_f32_e32 v17, v3, v19
	v_fmac_f32_e32 v5, v3, v7
	;; [unrolled: 1-line block ×3, first 2 shown]
	v_dual_fmac_f32 v53, v3, v55 :: v_dual_add_f32 v74, v74, v1
	v_fmac_f32_e32 v45, v4, v48
	v_fmac_f32_e32 v61, v3, v63
	;; [unrolled: 1-line block ×4, first 2 shown]
	s_delay_alu instid0(VALU_DEP_4) | instskip(NEXT) | instid1(VALU_DEP_4)
	v_dual_fmac_f32 v25, v4, v28 :: v_dual_add_f32 v78, v78, v45
	v_fmac_f32_e32 v61, v4, v64
	v_fmac_f32_e32 v17, v4, v20
	v_dual_fmac_f32 v5, v4, v8 :: v_dual_add_f32 v86, v86, v13
	v_fmac_f32_e32 v53, v4, v56
	s_delay_alu instid0(VALU_DEP_4)
	v_add_f32_e32 v75, v75, v61
	v_add_f32_e32 v79, v79, v41
	;; [unrolled: 1-line block ×7, first 2 shown]
.LBB32_41:                              ;   in Loop: Header=BB32_42 Depth=1
	s_or_b32 exec_lo, exec_lo, s9
	v_add_nc_u32_e32 v69, 4, v69
	v_add_co_u32 v65, s0, v65, 16
	s_wait_alu 0xf1ff
	v_add_co_ci_u32_e64 v66, null, 0, v66, s0
	s_delay_alu instid0(VALU_DEP_3)
	v_cmp_le_i32_e32 vcc_lo, s19, v69
	v_add_nc_u32_e32 v68, 64, v68
	v_add_nc_u32_e32 v92, 0x100, v92
	s_or_b32 s6, vcc_lo, s6
	s_wait_alu 0xfffe
	s_and_not1_b32 exec_lo, exec_lo, s6
	s_cbranch_execz .LBB32_73
.LBB32_42:                              ; =>This Inner Loop Header: Depth=1
	v_sub_nc_u32_e32 v1, 0, v68
	s_delay_alu instid0(VALU_DEP_1) | instskip(NEXT) | instid1(VALU_DEP_1)
	v_max_i32_e32 v1, v68, v1
	v_mul_hi_u32 v2, v1, s18
	s_delay_alu instid0(VALU_DEP_1) | instskip(NEXT) | instid1(VALU_DEP_1)
	v_mul_lo_u32 v3, v2, s12
	v_sub_nc_u32_e32 v1, v1, v3
	v_add_nc_u32_e32 v3, 1, v2
	s_delay_alu instid0(VALU_DEP_2) | instskip(SKIP_2) | instid1(VALU_DEP_2)
	v_subrev_nc_u32_e32 v4, s12, v1
	v_cmp_le_u32_e32 vcc_lo, s12, v1
	s_wait_alu 0xfffd
	v_dual_cndmask_b32 v2, v2, v3 :: v_dual_cndmask_b32 v1, v1, v4
	v_ashrrev_i32_e32 v3, 31, v68
	s_delay_alu instid0(VALU_DEP_2) | instskip(NEXT) | instid1(VALU_DEP_3)
	v_add_nc_u32_e32 v4, 1, v2
	v_cmp_le_u32_e32 vcc_lo, s12, v1
	s_delay_alu instid0(VALU_DEP_3) | instskip(SKIP_1) | instid1(VALU_DEP_3)
	v_xor_b32_e32 v3, s11, v3
	s_wait_alu 0xfffd
	v_cndmask_b32_e32 v1, v2, v4, vcc_lo
	s_delay_alu instid0(VALU_DEP_1) | instskip(NEXT) | instid1(VALU_DEP_1)
	v_xor_b32_e32 v1, v1, v3
	v_sub_nc_u32_e32 v1, v1, v3
	s_delay_alu instid0(VALU_DEP_1) | instskip(SKIP_1) | instid1(VALU_DEP_2)
	v_add_nc_u32_e32 v2, s17, v1
	v_cmp_lt_i32_e64 s0, s3, v1
	v_sub_nc_u32_e32 v3, 0, v2
	s_delay_alu instid0(VALU_DEP_1) | instskip(SKIP_1) | instid1(VALU_DEP_1)
	v_max_i32_e32 v3, v2, v3
	s_wait_alu 0xfffe
	v_mul_hi_u32 v4, v3, s7
	s_delay_alu instid0(VALU_DEP_1) | instskip(NEXT) | instid1(VALU_DEP_1)
	v_mul_lo_u32 v4, v4, s2
	v_sub_nc_u32_e32 v3, v3, v4
	s_delay_alu instid0(VALU_DEP_1) | instskip(SKIP_2) | instid1(VALU_DEP_2)
	v_subrev_nc_u32_e32 v4, s2, v3
	v_cmp_le_u32_e32 vcc_lo, s2, v3
	s_wait_alu 0xfffd
	v_cndmask_b32_e32 v3, v3, v4, vcc_lo
	v_ashrrev_i32_e32 v2, 31, v2
	s_delay_alu instid0(VALU_DEP_2) | instskip(SKIP_2) | instid1(VALU_DEP_2)
	v_subrev_nc_u32_e32 v4, s2, v3
	v_cmp_le_u32_e32 vcc_lo, s2, v3
	s_wait_alu 0xfffd
	v_cndmask_b32_e32 v3, v3, v4, vcc_lo
	s_delay_alu instid0(VALU_DEP_1) | instskip(NEXT) | instid1(VALU_DEP_1)
	v_xor_b32_e32 v3, v3, v2
	v_sub_nc_u32_e32 v2, v3, v2
	s_delay_alu instid0(VALU_DEP_1)
	v_cmp_eq_u32_e32 vcc_lo, 0, v2
	s_or_b32 s0, vcc_lo, s0
	s_wait_alu 0xfffe
	s_and_saveexec_b32 s9, s0
	s_cbranch_execz .LBB32_41
; %bb.43:                               ;   in Loop: Header=BB32_42 Depth=1
	global_load_b32 v1, v[65:66], off
	v_add_nc_u32_e32 v93, v89, v68
	s_delay_alu instid0(VALU_DEP_1) | instskip(SKIP_4) | instid1(VALU_DEP_1)
	v_add_nc_u32_e32 v96, 1, v93
	v_add_nc_u32_e32 v95, 2, v93
	;; [unrolled: 1-line block ×3, first 2 shown]
	s_wait_loadcnt 0x0
	v_mad_co_i64_i32 v[1:2], null, v1, s4, 0
	v_lshlrev_b64_e32 v[1:2], 2, v[1:2]
	s_delay_alu instid0(VALU_DEP_1) | instskip(SKIP_1) | instid1(VALU_DEP_2)
	v_add_co_u32 v49, vcc_lo, v90, v1
	s_wait_alu 0xfffd
	v_add_co_ci_u32_e64 v50, null, v91, v2, vcc_lo
	ds_load_b128 v[1:4], v92
	v_cmp_eq_u32_e32 vcc_lo, s5, v69
	global_load_b128 v[5:8], v[49:50], off
	s_and_saveexec_b32 s10, vcc_lo
	s_cbranch_execnz .LBB32_58
; %bb.44:                               ;   in Loop: Header=BB32_42 Depth=1
	s_wait_alu 0xfffe
	s_or_b32 exec_lo, exec_lo, s10
	global_load_b128 v[9:12], v[49:50], off offset:512
	s_and_saveexec_b32 s10, vcc_lo
	s_cbranch_execnz .LBB32_59
.LBB32_45:                              ;   in Loop: Header=BB32_42 Depth=1
	s_wait_alu 0xfffe
	s_or_b32 exec_lo, exec_lo, s10
	global_load_b128 v[13:16], v[49:50], off offset:1024
	s_and_saveexec_b32 s10, vcc_lo
	s_cbranch_execnz .LBB32_60
.LBB32_46:                              ;   in Loop: Header=BB32_42 Depth=1
	s_wait_alu 0xfffe
	s_or_b32 exec_lo, exec_lo, s10
	global_load_b128 v[17:20], v[49:50], off offset:1536
	s_and_saveexec_b32 s10, vcc_lo
	s_cbranch_execnz .LBB32_61
.LBB32_47:                              ;   in Loop: Header=BB32_42 Depth=1
	s_wait_alu 0xfffe
	s_or_b32 exec_lo, exec_lo, s10
	global_load_b128 v[21:24], v[49:50], off offset:2048
	s_and_saveexec_b32 s10, vcc_lo
	s_cbranch_execnz .LBB32_62
.LBB32_48:                              ;   in Loop: Header=BB32_42 Depth=1
	s_wait_alu 0xfffe
	s_or_b32 exec_lo, exec_lo, s10
	global_load_b128 v[25:28], v[49:50], off offset:2560
	s_and_saveexec_b32 s10, vcc_lo
	s_cbranch_execnz .LBB32_63
.LBB32_49:                              ;   in Loop: Header=BB32_42 Depth=1
	s_wait_alu 0xfffe
	s_or_b32 exec_lo, exec_lo, s10
	global_load_b128 v[29:32], v[49:50], off offset:3072
	s_and_saveexec_b32 s10, vcc_lo
	s_cbranch_execnz .LBB32_64
.LBB32_50:                              ;   in Loop: Header=BB32_42 Depth=1
	s_wait_alu 0xfffe
	s_or_b32 exec_lo, exec_lo, s10
	global_load_b128 v[33:36], v[49:50], off offset:3584
	s_and_saveexec_b32 s10, vcc_lo
	s_cbranch_execnz .LBB32_65
.LBB32_51:                              ;   in Loop: Header=BB32_42 Depth=1
	s_wait_alu 0xfffe
	s_or_b32 exec_lo, exec_lo, s10
	global_load_b128 v[37:40], v[49:50], off offset:4096
	s_and_saveexec_b32 s10, vcc_lo
	s_cbranch_execnz .LBB32_66
.LBB32_52:                              ;   in Loop: Header=BB32_42 Depth=1
	s_wait_alu 0xfffe
	s_or_b32 exec_lo, exec_lo, s10
	global_load_b128 v[41:44], v[49:50], off offset:4608
	s_and_saveexec_b32 s10, vcc_lo
	s_cbranch_execnz .LBB32_67
.LBB32_53:                              ;   in Loop: Header=BB32_42 Depth=1
	s_wait_alu 0xfffe
	s_or_b32 exec_lo, exec_lo, s10
	global_load_b128 v[45:48], v[49:50], off offset:5120
	s_and_saveexec_b32 s10, vcc_lo
	s_cbranch_execnz .LBB32_68
.LBB32_54:                              ;   in Loop: Header=BB32_42 Depth=1
	s_wait_alu 0xfffe
	s_or_b32 exec_lo, exec_lo, s10
	global_load_b128 v[53:56], v[49:50], off offset:5632
	s_and_saveexec_b32 s10, vcc_lo
	s_cbranch_execnz .LBB32_69
.LBB32_55:                              ;   in Loop: Header=BB32_42 Depth=1
	s_wait_alu 0xfffe
	s_or_b32 exec_lo, exec_lo, s10
	global_load_b128 v[57:60], v[49:50], off offset:6144
	s_and_saveexec_b32 s10, vcc_lo
	s_cbranch_execnz .LBB32_70
.LBB32_56:                              ;   in Loop: Header=BB32_42 Depth=1
	s_wait_alu 0xfffe
	s_or_b32 exec_lo, exec_lo, s10
	global_load_b128 v[61:64], v[49:50], off offset:6656
	s_and_saveexec_b32 s10, vcc_lo
	s_cbranch_execnz .LBB32_71
.LBB32_57:                              ;   in Loop: Header=BB32_42 Depth=1
	s_wait_alu 0xfffe
	s_or_b32 exec_lo, exec_lo, s10
	global_load_b128 v[49:52], v[49:50], off offset:7168
	s_and_saveexec_b32 s0, vcc_lo
	s_cbranch_execz .LBB32_40
	s_branch .LBB32_72
.LBB32_58:                              ;   in Loop: Header=BB32_42 Depth=1
	v_cmp_gt_i32_e64 s0, s31, v93
	s_wait_loadcnt 0x0
	s_wait_alu 0xf1ff
	s_delay_alu instid0(VALU_DEP_1) | instskip(SKIP_2) | instid1(VALU_DEP_1)
	v_cndmask_b32_e64 v5, 0, v5, s0
	v_cmp_gt_i32_e64 s0, s31, v96
	s_wait_alu 0xf1ff
	v_cndmask_b32_e64 v6, 0, v6, s0
	v_cmp_gt_i32_e64 s0, s31, v95
	s_wait_alu 0xf1ff
	s_delay_alu instid0(VALU_DEP_1) | instskip(SKIP_2) | instid1(VALU_DEP_1)
	v_cndmask_b32_e64 v7, 0, v7, s0
	v_cmp_gt_i32_e64 s0, s31, v94
	s_wait_alu 0xf1ff
	v_cndmask_b32_e64 v8, 0, v8, s0
	s_wait_alu 0xfffe
	s_or_b32 exec_lo, exec_lo, s10
	global_load_b128 v[9:12], v[49:50], off offset:512
	s_and_saveexec_b32 s10, vcc_lo
	s_cbranch_execz .LBB32_45
.LBB32_59:                              ;   in Loop: Header=BB32_42 Depth=1
	v_cmp_gt_i32_e64 s0, s31, v93
	s_wait_loadcnt 0x0
	s_wait_alu 0xf1ff
	s_delay_alu instid0(VALU_DEP_1) | instskip(SKIP_2) | instid1(VALU_DEP_1)
	v_cndmask_b32_e64 v9, 0, v9, s0
	v_cmp_gt_i32_e64 s0, s31, v96
	s_wait_alu 0xf1ff
	v_cndmask_b32_e64 v10, 0, v10, s0
	v_cmp_gt_i32_e64 s0, s31, v95
	s_wait_alu 0xf1ff
	s_delay_alu instid0(VALU_DEP_1) | instskip(SKIP_2) | instid1(VALU_DEP_1)
	v_cndmask_b32_e64 v11, 0, v11, s0
	v_cmp_gt_i32_e64 s0, s31, v94
	s_wait_alu 0xf1ff
	v_cndmask_b32_e64 v12, 0, v12, s0
	s_wait_alu 0xfffe
	s_or_b32 exec_lo, exec_lo, s10
	global_load_b128 v[13:16], v[49:50], off offset:1024
	s_and_saveexec_b32 s10, vcc_lo
	s_cbranch_execz .LBB32_46
.LBB32_60:                              ;   in Loop: Header=BB32_42 Depth=1
	v_cmp_gt_i32_e64 s0, s31, v93
	s_wait_loadcnt 0x0
	s_wait_alu 0xf1ff
	s_delay_alu instid0(VALU_DEP_1) | instskip(SKIP_2) | instid1(VALU_DEP_1)
	v_cndmask_b32_e64 v13, 0, v13, s0
	v_cmp_gt_i32_e64 s0, s31, v96
	s_wait_alu 0xf1ff
	v_cndmask_b32_e64 v14, 0, v14, s0
	v_cmp_gt_i32_e64 s0, s31, v95
	s_wait_alu 0xf1ff
	s_delay_alu instid0(VALU_DEP_1) | instskip(SKIP_2) | instid1(VALU_DEP_1)
	v_cndmask_b32_e64 v15, 0, v15, s0
	v_cmp_gt_i32_e64 s0, s31, v94
	s_wait_alu 0xf1ff
	v_cndmask_b32_e64 v16, 0, v16, s0
	s_wait_alu 0xfffe
	s_or_b32 exec_lo, exec_lo, s10
	global_load_b128 v[17:20], v[49:50], off offset:1536
	s_and_saveexec_b32 s10, vcc_lo
	s_cbranch_execz .LBB32_47
.LBB32_61:                              ;   in Loop: Header=BB32_42 Depth=1
	v_cmp_gt_i32_e64 s0, s31, v93
	s_wait_loadcnt 0x0
	s_wait_alu 0xf1ff
	s_delay_alu instid0(VALU_DEP_1) | instskip(SKIP_2) | instid1(VALU_DEP_1)
	v_cndmask_b32_e64 v17, 0, v17, s0
	v_cmp_gt_i32_e64 s0, s31, v96
	s_wait_alu 0xf1ff
	v_cndmask_b32_e64 v18, 0, v18, s0
	v_cmp_gt_i32_e64 s0, s31, v95
	s_wait_alu 0xf1ff
	s_delay_alu instid0(VALU_DEP_1) | instskip(SKIP_2) | instid1(VALU_DEP_1)
	v_cndmask_b32_e64 v19, 0, v19, s0
	v_cmp_gt_i32_e64 s0, s31, v94
	s_wait_alu 0xf1ff
	v_cndmask_b32_e64 v20, 0, v20, s0
	s_wait_alu 0xfffe
	s_or_b32 exec_lo, exec_lo, s10
	global_load_b128 v[21:24], v[49:50], off offset:2048
	s_and_saveexec_b32 s10, vcc_lo
	s_cbranch_execz .LBB32_48
.LBB32_62:                              ;   in Loop: Header=BB32_42 Depth=1
	v_cmp_gt_i32_e64 s0, s31, v93
	s_wait_loadcnt 0x0
	s_wait_alu 0xf1ff
	s_delay_alu instid0(VALU_DEP_1) | instskip(SKIP_2) | instid1(VALU_DEP_1)
	v_cndmask_b32_e64 v21, 0, v21, s0
	v_cmp_gt_i32_e64 s0, s31, v96
	s_wait_alu 0xf1ff
	v_cndmask_b32_e64 v22, 0, v22, s0
	v_cmp_gt_i32_e64 s0, s31, v95
	s_wait_alu 0xf1ff
	s_delay_alu instid0(VALU_DEP_1) | instskip(SKIP_2) | instid1(VALU_DEP_1)
	v_cndmask_b32_e64 v23, 0, v23, s0
	v_cmp_gt_i32_e64 s0, s31, v94
	s_wait_alu 0xf1ff
	v_cndmask_b32_e64 v24, 0, v24, s0
	s_wait_alu 0xfffe
	s_or_b32 exec_lo, exec_lo, s10
	global_load_b128 v[25:28], v[49:50], off offset:2560
	s_and_saveexec_b32 s10, vcc_lo
	s_cbranch_execz .LBB32_49
.LBB32_63:                              ;   in Loop: Header=BB32_42 Depth=1
	v_cmp_gt_i32_e64 s0, s31, v93
	s_wait_loadcnt 0x0
	s_wait_alu 0xf1ff
	s_delay_alu instid0(VALU_DEP_1) | instskip(SKIP_2) | instid1(VALU_DEP_1)
	v_cndmask_b32_e64 v25, 0, v25, s0
	v_cmp_gt_i32_e64 s0, s31, v96
	s_wait_alu 0xf1ff
	v_cndmask_b32_e64 v26, 0, v26, s0
	v_cmp_gt_i32_e64 s0, s31, v95
	s_wait_alu 0xf1ff
	s_delay_alu instid0(VALU_DEP_1) | instskip(SKIP_2) | instid1(VALU_DEP_1)
	v_cndmask_b32_e64 v27, 0, v27, s0
	v_cmp_gt_i32_e64 s0, s31, v94
	s_wait_alu 0xf1ff
	v_cndmask_b32_e64 v28, 0, v28, s0
	s_wait_alu 0xfffe
	s_or_b32 exec_lo, exec_lo, s10
	global_load_b128 v[29:32], v[49:50], off offset:3072
	s_and_saveexec_b32 s10, vcc_lo
	s_cbranch_execz .LBB32_50
.LBB32_64:                              ;   in Loop: Header=BB32_42 Depth=1
	v_cmp_gt_i32_e64 s0, s31, v93
	s_wait_loadcnt 0x0
	s_wait_alu 0xf1ff
	s_delay_alu instid0(VALU_DEP_1) | instskip(SKIP_2) | instid1(VALU_DEP_1)
	v_cndmask_b32_e64 v29, 0, v29, s0
	v_cmp_gt_i32_e64 s0, s31, v96
	s_wait_alu 0xf1ff
	v_cndmask_b32_e64 v30, 0, v30, s0
	v_cmp_gt_i32_e64 s0, s31, v95
	s_wait_alu 0xf1ff
	s_delay_alu instid0(VALU_DEP_1) | instskip(SKIP_2) | instid1(VALU_DEP_1)
	v_cndmask_b32_e64 v31, 0, v31, s0
	v_cmp_gt_i32_e64 s0, s31, v94
	s_wait_alu 0xf1ff
	v_cndmask_b32_e64 v32, 0, v32, s0
	s_wait_alu 0xfffe
	s_or_b32 exec_lo, exec_lo, s10
	global_load_b128 v[33:36], v[49:50], off offset:3584
	s_and_saveexec_b32 s10, vcc_lo
	s_cbranch_execz .LBB32_51
.LBB32_65:                              ;   in Loop: Header=BB32_42 Depth=1
	v_cmp_gt_i32_e64 s0, s31, v93
	s_wait_loadcnt 0x0
	s_wait_alu 0xf1ff
	s_delay_alu instid0(VALU_DEP_1) | instskip(SKIP_2) | instid1(VALU_DEP_1)
	v_cndmask_b32_e64 v33, 0, v33, s0
	v_cmp_gt_i32_e64 s0, s31, v96
	s_wait_alu 0xf1ff
	v_cndmask_b32_e64 v34, 0, v34, s0
	v_cmp_gt_i32_e64 s0, s31, v95
	s_wait_alu 0xf1ff
	s_delay_alu instid0(VALU_DEP_1) | instskip(SKIP_2) | instid1(VALU_DEP_1)
	v_cndmask_b32_e64 v35, 0, v35, s0
	v_cmp_gt_i32_e64 s0, s31, v94
	s_wait_alu 0xf1ff
	v_cndmask_b32_e64 v36, 0, v36, s0
	s_wait_alu 0xfffe
	s_or_b32 exec_lo, exec_lo, s10
	global_load_b128 v[37:40], v[49:50], off offset:4096
	s_and_saveexec_b32 s10, vcc_lo
	s_cbranch_execz .LBB32_52
.LBB32_66:                              ;   in Loop: Header=BB32_42 Depth=1
	v_cmp_gt_i32_e64 s0, s31, v93
	s_wait_loadcnt 0x0
	s_wait_alu 0xf1ff
	s_delay_alu instid0(VALU_DEP_1) | instskip(SKIP_2) | instid1(VALU_DEP_1)
	v_cndmask_b32_e64 v37, 0, v37, s0
	v_cmp_gt_i32_e64 s0, s31, v96
	s_wait_alu 0xf1ff
	v_cndmask_b32_e64 v38, 0, v38, s0
	v_cmp_gt_i32_e64 s0, s31, v95
	s_wait_alu 0xf1ff
	s_delay_alu instid0(VALU_DEP_1) | instskip(SKIP_2) | instid1(VALU_DEP_1)
	v_cndmask_b32_e64 v39, 0, v39, s0
	v_cmp_gt_i32_e64 s0, s31, v94
	s_wait_alu 0xf1ff
	v_cndmask_b32_e64 v40, 0, v40, s0
	s_wait_alu 0xfffe
	s_or_b32 exec_lo, exec_lo, s10
	global_load_b128 v[41:44], v[49:50], off offset:4608
	s_and_saveexec_b32 s10, vcc_lo
	s_cbranch_execz .LBB32_53
.LBB32_67:                              ;   in Loop: Header=BB32_42 Depth=1
	v_cmp_gt_i32_e64 s0, s31, v93
	s_wait_loadcnt 0x0
	s_wait_alu 0xf1ff
	s_delay_alu instid0(VALU_DEP_1) | instskip(SKIP_2) | instid1(VALU_DEP_1)
	v_cndmask_b32_e64 v41, 0, v41, s0
	v_cmp_gt_i32_e64 s0, s31, v96
	s_wait_alu 0xf1ff
	v_cndmask_b32_e64 v42, 0, v42, s0
	v_cmp_gt_i32_e64 s0, s31, v95
	s_wait_alu 0xf1ff
	s_delay_alu instid0(VALU_DEP_1) | instskip(SKIP_2) | instid1(VALU_DEP_1)
	v_cndmask_b32_e64 v43, 0, v43, s0
	v_cmp_gt_i32_e64 s0, s31, v94
	s_wait_alu 0xf1ff
	v_cndmask_b32_e64 v44, 0, v44, s0
	s_wait_alu 0xfffe
	s_or_b32 exec_lo, exec_lo, s10
	global_load_b128 v[45:48], v[49:50], off offset:5120
	s_and_saveexec_b32 s10, vcc_lo
	s_cbranch_execz .LBB32_54
.LBB32_68:                              ;   in Loop: Header=BB32_42 Depth=1
	v_cmp_gt_i32_e64 s0, s31, v93
	s_wait_loadcnt 0x0
	s_wait_alu 0xf1ff
	s_delay_alu instid0(VALU_DEP_1) | instskip(SKIP_2) | instid1(VALU_DEP_1)
	v_cndmask_b32_e64 v45, 0, v45, s0
	v_cmp_gt_i32_e64 s0, s31, v96
	s_wait_alu 0xf1ff
	v_cndmask_b32_e64 v46, 0, v46, s0
	v_cmp_gt_i32_e64 s0, s31, v95
	s_wait_alu 0xf1ff
	s_delay_alu instid0(VALU_DEP_1) | instskip(SKIP_2) | instid1(VALU_DEP_1)
	v_cndmask_b32_e64 v47, 0, v47, s0
	v_cmp_gt_i32_e64 s0, s31, v94
	s_wait_alu 0xf1ff
	v_cndmask_b32_e64 v48, 0, v48, s0
	s_wait_alu 0xfffe
	s_or_b32 exec_lo, exec_lo, s10
	global_load_b128 v[53:56], v[49:50], off offset:5632
	s_and_saveexec_b32 s10, vcc_lo
	s_cbranch_execz .LBB32_55
.LBB32_69:                              ;   in Loop: Header=BB32_42 Depth=1
	v_cmp_gt_i32_e64 s0, s31, v93
	s_wait_loadcnt 0x0
	s_wait_alu 0xf1ff
	s_delay_alu instid0(VALU_DEP_1) | instskip(SKIP_2) | instid1(VALU_DEP_1)
	v_cndmask_b32_e64 v53, 0, v53, s0
	v_cmp_gt_i32_e64 s0, s31, v96
	s_wait_alu 0xf1ff
	v_cndmask_b32_e64 v54, 0, v54, s0
	v_cmp_gt_i32_e64 s0, s31, v95
	s_wait_alu 0xf1ff
	s_delay_alu instid0(VALU_DEP_1) | instskip(SKIP_2) | instid1(VALU_DEP_1)
	v_cndmask_b32_e64 v55, 0, v55, s0
	v_cmp_gt_i32_e64 s0, s31, v94
	s_wait_alu 0xf1ff
	v_cndmask_b32_e64 v56, 0, v56, s0
	s_wait_alu 0xfffe
	s_or_b32 exec_lo, exec_lo, s10
	global_load_b128 v[57:60], v[49:50], off offset:6144
	s_and_saveexec_b32 s10, vcc_lo
	s_cbranch_execz .LBB32_56
.LBB32_70:                              ;   in Loop: Header=BB32_42 Depth=1
	v_cmp_gt_i32_e64 s0, s31, v93
	s_wait_loadcnt 0x0
	s_wait_alu 0xf1ff
	s_delay_alu instid0(VALU_DEP_1) | instskip(SKIP_2) | instid1(VALU_DEP_1)
	v_cndmask_b32_e64 v57, 0, v57, s0
	v_cmp_gt_i32_e64 s0, s31, v96
	s_wait_alu 0xf1ff
	v_cndmask_b32_e64 v58, 0, v58, s0
	v_cmp_gt_i32_e64 s0, s31, v95
	s_wait_alu 0xf1ff
	s_delay_alu instid0(VALU_DEP_1) | instskip(SKIP_2) | instid1(VALU_DEP_1)
	v_cndmask_b32_e64 v59, 0, v59, s0
	v_cmp_gt_i32_e64 s0, s31, v94
	s_wait_alu 0xf1ff
	v_cndmask_b32_e64 v60, 0, v60, s0
	s_wait_alu 0xfffe
	s_or_b32 exec_lo, exec_lo, s10
	global_load_b128 v[61:64], v[49:50], off offset:6656
	s_and_saveexec_b32 s10, vcc_lo
	s_cbranch_execz .LBB32_57
.LBB32_71:                              ;   in Loop: Header=BB32_42 Depth=1
	v_cmp_gt_i32_e64 s0, s31, v93
	s_wait_loadcnt 0x0
	s_wait_alu 0xf1ff
	s_delay_alu instid0(VALU_DEP_1) | instskip(SKIP_2) | instid1(VALU_DEP_1)
	v_cndmask_b32_e64 v61, 0, v61, s0
	v_cmp_gt_i32_e64 s0, s31, v96
	s_wait_alu 0xf1ff
	v_cndmask_b32_e64 v62, 0, v62, s0
	v_cmp_gt_i32_e64 s0, s31, v95
	s_wait_alu 0xf1ff
	s_delay_alu instid0(VALU_DEP_1) | instskip(SKIP_2) | instid1(VALU_DEP_1)
	v_cndmask_b32_e64 v63, 0, v63, s0
	v_cmp_gt_i32_e64 s0, s31, v94
	s_wait_alu 0xf1ff
	v_cndmask_b32_e64 v64, 0, v64, s0
	s_wait_alu 0xfffe
	s_or_b32 exec_lo, exec_lo, s10
	global_load_b128 v[49:52], v[49:50], off offset:7168
	s_and_saveexec_b32 s0, vcc_lo
	s_cbranch_execz .LBB32_40
.LBB32_72:                              ;   in Loop: Header=BB32_42 Depth=1
	v_cmp_gt_i32_e32 vcc_lo, s31, v93
	s_wait_loadcnt 0x0
	s_wait_alu 0xfffd
	v_cndmask_b32_e32 v49, 0, v49, vcc_lo
	v_cmp_gt_i32_e32 vcc_lo, s31, v96
	s_wait_alu 0xfffd
	v_cndmask_b32_e32 v50, 0, v50, vcc_lo
	v_cmp_gt_i32_e32 vcc_lo, s31, v95
	;; [unrolled: 3-line block ×3, first 2 shown]
	s_wait_alu 0xfffd
	v_cndmask_b32_e32 v52, 0, v52, vcc_lo
	s_branch .LBB32_40
.LBB32_73:
	s_or_b32 exec_lo, exec_lo, s6
.LBB32_74:
	s_wait_alu 0xfffe
	s_or_b32 exec_lo, exec_lo, s1
	ds_bpermute_b32 v1, v71, v87
	ds_bpermute_b32 v2, v71, v88
	;; [unrolled: 1-line block ×15, first 2 shown]
	s_mov_b32 s0, exec_lo
	s_wait_storecnt 0x0
	s_wait_loadcnt_dscnt 0x0
	s_barrier_signal -1
	s_barrier_wait -1
	global_inv scope:SCOPE_SE
	v_dual_add_f32 v1, v87, v1 :: v_dual_add_f32 v2, v88, v2
	v_dual_add_f32 v3, v86, v3 :: v_dual_add_f32 v4, v85, v4
	v_dual_add_f32 v5, v84, v5 :: v_dual_add_f32 v6, v83, v6
	v_dual_add_f32 v7, v82, v7 :: v_dual_add_f32 v8, v81, v8
	ds_bpermute_b32 v16, v72, v1
	ds_bpermute_b32 v17, v72, v2
	v_dual_add_f32 v9, v80, v9 :: v_dual_add_f32 v10, v79, v10
	v_dual_add_f32 v11, v78, v11 :: v_dual_add_f32 v12, v77, v12
	v_dual_add_f32 v13, v76, v13 :: v_dual_add_f32 v14, v75, v14
	v_add_f32_e32 v15, v74, v15
	ds_bpermute_b32 v18, v72, v3
	ds_bpermute_b32 v19, v72, v4
	;; [unrolled: 1-line block ×13, first 2 shown]
	s_wait_dscnt 0xd
	v_dual_add_f32 v1, v1, v16 :: v_dual_add_f32 v2, v2, v17
	v_and_b32_e32 v17, 28, v70
	v_lshrrev_b32_e32 v16, 2, v70
	s_wait_dscnt 0xb
	v_dual_add_f32 v3, v3, v18 :: v_dual_add_f32 v4, v4, v19
	s_wait_dscnt 0x9
	v_dual_add_f32 v5, v5, v20 :: v_dual_add_f32 v6, v6, v21
	;; [unrolled: 2-line block ×6, first 2 shown]
	v_and_b32_e32 v19, 0x3c3, v0
	s_wait_dscnt 0x0
	v_add_f32_e32 v15, v15, v30
	v_add_nc_u32_e32 v17, 0x200, v17
	v_mul_u32_u24_e32 v18, 0x1e0, v67
	v_cmpx_eq_u32_e32 64, v19
	s_cbranch_execz .LBB32_76
; %bb.75:
	s_delay_alu instid0(VALU_DEP_2) | instskip(NEXT) | instid1(VALU_DEP_1)
	v_add_nc_u32_e32 v19, v17, v18
	v_add_nc_u32_e32 v20, 0xfffffc40, v19
	;; [unrolled: 1-line block ×9, first 2 shown]
	ds_store_b32 v20, v1
	ds_store_b32 v21, v2
	;; [unrolled: 1-line block ×8, first 2 shown]
	v_add_nc_u32_e32 v20, 0xfffffd40, v19
	v_add_nc_u32_e32 v21, 0xfffffd60, v19
	;; [unrolled: 1-line block ×7, first 2 shown]
	ds_store_b32 v20, v9
	ds_store_b32 v21, v10
	;; [unrolled: 1-line block ×7, first 2 shown]
.LBB32_76:
	s_wait_alu 0xfffe
	s_or_b32 exec_lo, exec_lo, s0
	v_lshlrev_b32_e32 v16, 2, v16
	s_mov_b32 s1, exec_lo
	v_cmp_eq_u32_e32 vcc_lo, 0, v73
	s_wait_loadcnt_dscnt 0x0
	s_barrier_signal -1
	v_add3_u32 v16, 0x200, v18, v16
	s_barrier_wait -1
	global_inv scope:SCOPE_SE
	v_cmpx_gt_u32_e32 64, v0
	s_cbranch_execz .LBB32_94
; %bb.77:
	s_and_saveexec_b32 s0, vcc_lo
	s_cbranch_execnz .LBB32_117
; %bb.78:
	s_wait_alu 0xfffe
	s_or_b32 exec_lo, exec_lo, s0
	s_and_saveexec_b32 s0, vcc_lo
	s_cbranch_execnz .LBB32_118
.LBB32_79:
	s_wait_alu 0xfffe
	s_or_b32 exec_lo, exec_lo, s0
	s_and_saveexec_b32 s0, vcc_lo
	s_cbranch_execnz .LBB32_119
.LBB32_80:
	s_wait_alu 0xfffe
	s_or_b32 exec_lo, exec_lo, s0
	s_and_saveexec_b32 s0, vcc_lo
	s_cbranch_execnz .LBB32_120
.LBB32_81:
	s_wait_alu 0xfffe
	s_or_b32 exec_lo, exec_lo, s0
	s_and_saveexec_b32 s0, vcc_lo
	s_cbranch_execnz .LBB32_121
.LBB32_82:
	s_wait_alu 0xfffe
	s_or_b32 exec_lo, exec_lo, s0
	s_and_saveexec_b32 s0, vcc_lo
	s_cbranch_execnz .LBB32_122
.LBB32_83:
	s_wait_alu 0xfffe
	s_or_b32 exec_lo, exec_lo, s0
	s_and_saveexec_b32 s0, vcc_lo
	s_cbranch_execnz .LBB32_123
.LBB32_84:
	s_wait_alu 0xfffe
	s_or_b32 exec_lo, exec_lo, s0
	s_and_saveexec_b32 s0, vcc_lo
	s_cbranch_execnz .LBB32_124
.LBB32_85:
	s_wait_alu 0xfffe
	s_or_b32 exec_lo, exec_lo, s0
	s_and_saveexec_b32 s0, vcc_lo
	s_cbranch_execnz .LBB32_125
.LBB32_86:
	s_wait_alu 0xfffe
	s_or_b32 exec_lo, exec_lo, s0
	s_and_saveexec_b32 s0, vcc_lo
	s_cbranch_execnz .LBB32_126
.LBB32_87:
	s_wait_alu 0xfffe
	s_or_b32 exec_lo, exec_lo, s0
	s_and_saveexec_b32 s0, vcc_lo
	s_cbranch_execnz .LBB32_127
.LBB32_88:
	s_wait_alu 0xfffe
	s_or_b32 exec_lo, exec_lo, s0
	s_and_saveexec_b32 s0, vcc_lo
	s_cbranch_execnz .LBB32_128
.LBB32_89:
	s_wait_alu 0xfffe
	s_or_b32 exec_lo, exec_lo, s0
	s_and_saveexec_b32 s0, vcc_lo
	s_cbranch_execnz .LBB32_129
.LBB32_90:
	s_wait_alu 0xfffe
	s_or_b32 exec_lo, exec_lo, s0
	s_and_saveexec_b32 s0, vcc_lo
	s_cbranch_execnz .LBB32_130
.LBB32_91:
	s_wait_alu 0xfffe
	s_or_b32 exec_lo, exec_lo, s0
	s_and_saveexec_b32 s0, vcc_lo
	s_cbranch_execz .LBB32_93
.LBB32_92:
	ds_load_b32 v18, v16 offset:448
	s_wait_dscnt 0x0
	v_add_f32_e32 v15, v15, v18
.LBB32_93:
	s_wait_alu 0xfffe
	s_or_b32 exec_lo, exec_lo, s0
.LBB32_94:
	s_wait_alu 0xfffe
	s_or_b32 exec_lo, exec_lo, s1
	v_and_b32_e32 v18, 0x3e3, v0
	s_mov_b32 s1, exec_lo
	s_wait_loadcnt 0x0
	s_barrier_signal -1
	s_barrier_wait -1
	global_inv scope:SCOPE_SE
	v_cmpx_eq_u32_e32 32, v18
	s_cbranch_execz .LBB32_96
; %bb.95:
	ds_store_2addr_b32 v17, v1, v2 offset1:8
	ds_store_2addr_b32 v17, v3, v4 offset0:16 offset1:24
	ds_store_2addr_b32 v17, v5, v6 offset0:32 offset1:40
	;; [unrolled: 1-line block ×6, first 2 shown]
	ds_store_b32 v17, v15 offset:448
.LBB32_96:
	s_wait_alu 0xfffe
	s_or_b32 exec_lo, exec_lo, s1
	s_delay_alu instid0(SALU_CYCLE_1)
	s_mov_b32 s1, exec_lo
	s_wait_loadcnt_dscnt 0x0
	s_barrier_signal -1
	s_barrier_wait -1
	global_inv scope:SCOPE_SE
	v_cmpx_gt_u32_e32 32, v0
	s_cbranch_execz .LBB32_114
; %bb.97:
	s_and_saveexec_b32 s0, vcc_lo
	s_cbranch_execnz .LBB32_131
; %bb.98:
	s_wait_alu 0xfffe
	s_or_b32 exec_lo, exec_lo, s0
	s_and_saveexec_b32 s0, vcc_lo
	s_cbranch_execnz .LBB32_132
.LBB32_99:
	s_wait_alu 0xfffe
	s_or_b32 exec_lo, exec_lo, s0
	s_and_saveexec_b32 s0, vcc_lo
	s_cbranch_execnz .LBB32_133
.LBB32_100:
	s_wait_alu 0xfffe
	s_or_b32 exec_lo, exec_lo, s0
	s_and_saveexec_b32 s0, vcc_lo
	s_cbranch_execnz .LBB32_134
.LBB32_101:
	s_wait_alu 0xfffe
	s_or_b32 exec_lo, exec_lo, s0
	s_and_saveexec_b32 s0, vcc_lo
	s_cbranch_execnz .LBB32_135
.LBB32_102:
	s_wait_alu 0xfffe
	s_or_b32 exec_lo, exec_lo, s0
	s_and_saveexec_b32 s0, vcc_lo
	s_cbranch_execnz .LBB32_136
.LBB32_103:
	s_wait_alu 0xfffe
	s_or_b32 exec_lo, exec_lo, s0
	s_and_saveexec_b32 s0, vcc_lo
	s_cbranch_execnz .LBB32_137
.LBB32_104:
	s_wait_alu 0xfffe
	s_or_b32 exec_lo, exec_lo, s0
	s_and_saveexec_b32 s0, vcc_lo
	s_cbranch_execnz .LBB32_138
.LBB32_105:
	s_wait_alu 0xfffe
	s_or_b32 exec_lo, exec_lo, s0
	s_and_saveexec_b32 s0, vcc_lo
	s_cbranch_execnz .LBB32_139
.LBB32_106:
	s_wait_alu 0xfffe
	s_or_b32 exec_lo, exec_lo, s0
	s_and_saveexec_b32 s0, vcc_lo
	s_cbranch_execnz .LBB32_140
.LBB32_107:
	s_wait_alu 0xfffe
	s_or_b32 exec_lo, exec_lo, s0
	s_and_saveexec_b32 s0, vcc_lo
	s_cbranch_execnz .LBB32_141
.LBB32_108:
	s_wait_alu 0xfffe
	s_or_b32 exec_lo, exec_lo, s0
	s_and_saveexec_b32 s0, vcc_lo
	s_cbranch_execnz .LBB32_142
.LBB32_109:
	s_wait_alu 0xfffe
	s_or_b32 exec_lo, exec_lo, s0
	s_and_saveexec_b32 s0, vcc_lo
	s_cbranch_execnz .LBB32_143
.LBB32_110:
	s_wait_alu 0xfffe
	s_or_b32 exec_lo, exec_lo, s0
	s_and_saveexec_b32 s0, vcc_lo
	s_cbranch_execnz .LBB32_144
.LBB32_111:
	s_wait_alu 0xfffe
	s_or_b32 exec_lo, exec_lo, s0
	s_and_saveexec_b32 s0, vcc_lo
	s_cbranch_execz .LBB32_113
.LBB32_112:
	ds_load_b32 v16, v16 offset:448
	s_wait_dscnt 0x0
	v_add_f32_e32 v15, v15, v16
.LBB32_113:
	s_wait_alu 0xfffe
	s_or_b32 exec_lo, exec_lo, s0
.LBB32_114:
	s_wait_alu 0xfffe
	s_or_b32 exec_lo, exec_lo, s1
	s_mov_b32 s1, 0
	s_wait_loadcnt 0x0
	s_barrier_signal -1
	s_barrier_wait -1
	global_inv scope:SCOPE_SE
	s_mov_b32 s0, exec_lo
	v_cmpx_eq_u32_e32 0, v18
	s_cbranch_execz .LBB32_116
; %bb.115:
	s_mul_i32 s2, s20, 0x78
	s_wait_kmcnt 0x0
	s_mul_i32 s4, s8, s16
	s_wait_alu 0xfffe
	s_ashr_i32 s3, s2, 31
	s_ashr_i32 s5, s4, 31
	s_wait_alu 0xfffe
	s_lshl_b64 s[2:3], s[2:3], 2
	s_lshl_b64 s[4:5], s[4:5], 2
	s_wait_alu 0xfffe
	s_add_nc_u64 s[2:3], s[14:15], s[2:3]
	s_mul_i32 s0, s30, 0x1e0
	s_wait_alu 0xfffe
	s_add_nc_u64 s[2:3], s[2:3], s[4:5]
	s_wait_alu 0xfffe
	s_add_nc_u64 s[0:1], s[2:3], s[0:1]
	s_clause 0xe
	global_store_b32 v0, v1, s[0:1]
	global_store_b32 v0, v2, s[0:1] offset:32
	global_store_b32 v0, v3, s[0:1] offset:64
	;; [unrolled: 1-line block ×14, first 2 shown]
.LBB32_116:
	s_nop 0
	s_sendmsg sendmsg(MSG_DEALLOC_VGPRS)
	s_endpgm
.LBB32_117:
	ds_load_b32 v18, v16
	s_wait_dscnt 0x0
	v_add_f32_e32 v1, v1, v18
	s_wait_alu 0xfffe
	s_or_b32 exec_lo, exec_lo, s0
	s_and_saveexec_b32 s0, vcc_lo
	s_cbranch_execz .LBB32_79
.LBB32_118:
	ds_load_b32 v18, v16 offset:32
	s_wait_dscnt 0x0
	v_add_f32_e32 v2, v2, v18
	s_wait_alu 0xfffe
	s_or_b32 exec_lo, exec_lo, s0
	s_and_saveexec_b32 s0, vcc_lo
	s_cbranch_execz .LBB32_80
.LBB32_119:
	ds_load_b32 v18, v16 offset:64
	s_wait_dscnt 0x0
	v_add_f32_e32 v3, v3, v18
	s_wait_alu 0xfffe
	s_or_b32 exec_lo, exec_lo, s0
	s_and_saveexec_b32 s0, vcc_lo
	s_cbranch_execz .LBB32_81
.LBB32_120:
	ds_load_b32 v18, v16 offset:96
	s_wait_dscnt 0x0
	v_add_f32_e32 v4, v4, v18
	s_wait_alu 0xfffe
	s_or_b32 exec_lo, exec_lo, s0
	s_and_saveexec_b32 s0, vcc_lo
	s_cbranch_execz .LBB32_82
.LBB32_121:
	ds_load_b32 v18, v16 offset:128
	s_wait_dscnt 0x0
	v_add_f32_e32 v5, v5, v18
	s_wait_alu 0xfffe
	s_or_b32 exec_lo, exec_lo, s0
	s_and_saveexec_b32 s0, vcc_lo
	s_cbranch_execz .LBB32_83
.LBB32_122:
	ds_load_b32 v18, v16 offset:160
	s_wait_dscnt 0x0
	v_add_f32_e32 v6, v6, v18
	s_wait_alu 0xfffe
	s_or_b32 exec_lo, exec_lo, s0
	s_and_saveexec_b32 s0, vcc_lo
	s_cbranch_execz .LBB32_84
.LBB32_123:
	ds_load_b32 v18, v16 offset:192
	s_wait_dscnt 0x0
	v_add_f32_e32 v7, v7, v18
	s_wait_alu 0xfffe
	s_or_b32 exec_lo, exec_lo, s0
	s_and_saveexec_b32 s0, vcc_lo
	s_cbranch_execz .LBB32_85
.LBB32_124:
	ds_load_b32 v18, v16 offset:224
	s_wait_dscnt 0x0
	v_add_f32_e32 v8, v8, v18
	s_wait_alu 0xfffe
	s_or_b32 exec_lo, exec_lo, s0
	s_and_saveexec_b32 s0, vcc_lo
	s_cbranch_execz .LBB32_86
.LBB32_125:
	ds_load_b32 v18, v16 offset:256
	s_wait_dscnt 0x0
	v_add_f32_e32 v9, v9, v18
	s_wait_alu 0xfffe
	s_or_b32 exec_lo, exec_lo, s0
	s_and_saveexec_b32 s0, vcc_lo
	s_cbranch_execz .LBB32_87
.LBB32_126:
	ds_load_b32 v18, v16 offset:288
	s_wait_dscnt 0x0
	v_add_f32_e32 v10, v10, v18
	s_wait_alu 0xfffe
	s_or_b32 exec_lo, exec_lo, s0
	s_and_saveexec_b32 s0, vcc_lo
	s_cbranch_execz .LBB32_88
.LBB32_127:
	ds_load_b32 v18, v16 offset:320
	s_wait_dscnt 0x0
	v_add_f32_e32 v11, v11, v18
	s_wait_alu 0xfffe
	s_or_b32 exec_lo, exec_lo, s0
	s_and_saveexec_b32 s0, vcc_lo
	s_cbranch_execz .LBB32_89
.LBB32_128:
	ds_load_b32 v18, v16 offset:352
	s_wait_dscnt 0x0
	v_add_f32_e32 v12, v12, v18
	s_wait_alu 0xfffe
	s_or_b32 exec_lo, exec_lo, s0
	s_and_saveexec_b32 s0, vcc_lo
	s_cbranch_execz .LBB32_90
.LBB32_129:
	ds_load_b32 v18, v16 offset:384
	s_wait_dscnt 0x0
	v_add_f32_e32 v13, v13, v18
	s_wait_alu 0xfffe
	s_or_b32 exec_lo, exec_lo, s0
	s_and_saveexec_b32 s0, vcc_lo
	s_cbranch_execz .LBB32_91
.LBB32_130:
	ds_load_b32 v18, v16 offset:416
	s_wait_dscnt 0x0
	v_add_f32_e32 v14, v14, v18
	s_wait_alu 0xfffe
	s_or_b32 exec_lo, exec_lo, s0
	s_and_saveexec_b32 s0, vcc_lo
	s_cbranch_execnz .LBB32_92
	s_branch .LBB32_93
.LBB32_131:
	ds_load_b32 v17, v16
	s_wait_dscnt 0x0
	v_add_f32_e32 v1, v1, v17
	s_wait_alu 0xfffe
	s_or_b32 exec_lo, exec_lo, s0
	s_and_saveexec_b32 s0, vcc_lo
	s_cbranch_execz .LBB32_99
.LBB32_132:
	ds_load_b32 v17, v16 offset:32
	s_wait_dscnt 0x0
	v_add_f32_e32 v2, v2, v17
	s_wait_alu 0xfffe
	s_or_b32 exec_lo, exec_lo, s0
	s_and_saveexec_b32 s0, vcc_lo
	s_cbranch_execz .LBB32_100
.LBB32_133:
	ds_load_b32 v17, v16 offset:64
	s_wait_dscnt 0x0
	v_add_f32_e32 v3, v3, v17
	s_wait_alu 0xfffe
	s_or_b32 exec_lo, exec_lo, s0
	s_and_saveexec_b32 s0, vcc_lo
	s_cbranch_execz .LBB32_101
.LBB32_134:
	ds_load_b32 v17, v16 offset:96
	s_wait_dscnt 0x0
	v_add_f32_e32 v4, v4, v17
	s_wait_alu 0xfffe
	s_or_b32 exec_lo, exec_lo, s0
	s_and_saveexec_b32 s0, vcc_lo
	s_cbranch_execz .LBB32_102
.LBB32_135:
	ds_load_b32 v17, v16 offset:128
	s_wait_dscnt 0x0
	v_add_f32_e32 v5, v5, v17
	s_wait_alu 0xfffe
	s_or_b32 exec_lo, exec_lo, s0
	s_and_saveexec_b32 s0, vcc_lo
	s_cbranch_execz .LBB32_103
.LBB32_136:
	ds_load_b32 v17, v16 offset:160
	s_wait_dscnt 0x0
	v_add_f32_e32 v6, v6, v17
	s_wait_alu 0xfffe
	s_or_b32 exec_lo, exec_lo, s0
	s_and_saveexec_b32 s0, vcc_lo
	s_cbranch_execz .LBB32_104
.LBB32_137:
	ds_load_b32 v17, v16 offset:192
	s_wait_dscnt 0x0
	v_add_f32_e32 v7, v7, v17
	s_wait_alu 0xfffe
	s_or_b32 exec_lo, exec_lo, s0
	s_and_saveexec_b32 s0, vcc_lo
	s_cbranch_execz .LBB32_105
.LBB32_138:
	ds_load_b32 v17, v16 offset:224
	s_wait_dscnt 0x0
	v_add_f32_e32 v8, v8, v17
	s_wait_alu 0xfffe
	s_or_b32 exec_lo, exec_lo, s0
	s_and_saveexec_b32 s0, vcc_lo
	s_cbranch_execz .LBB32_106
.LBB32_139:
	ds_load_b32 v17, v16 offset:256
	s_wait_dscnt 0x0
	v_add_f32_e32 v9, v9, v17
	s_wait_alu 0xfffe
	s_or_b32 exec_lo, exec_lo, s0
	s_and_saveexec_b32 s0, vcc_lo
	s_cbranch_execz .LBB32_107
.LBB32_140:
	ds_load_b32 v17, v16 offset:288
	s_wait_dscnt 0x0
	v_add_f32_e32 v10, v10, v17
	s_wait_alu 0xfffe
	s_or_b32 exec_lo, exec_lo, s0
	s_and_saveexec_b32 s0, vcc_lo
	s_cbranch_execz .LBB32_108
.LBB32_141:
	ds_load_b32 v17, v16 offset:320
	s_wait_dscnt 0x0
	v_add_f32_e32 v11, v11, v17
	s_wait_alu 0xfffe
	s_or_b32 exec_lo, exec_lo, s0
	s_and_saveexec_b32 s0, vcc_lo
	s_cbranch_execz .LBB32_109
.LBB32_142:
	ds_load_b32 v17, v16 offset:352
	s_wait_dscnt 0x0
	v_add_f32_e32 v12, v12, v17
	s_wait_alu 0xfffe
	s_or_b32 exec_lo, exec_lo, s0
	s_and_saveexec_b32 s0, vcc_lo
	s_cbranch_execz .LBB32_110
.LBB32_143:
	ds_load_b32 v17, v16 offset:384
	s_wait_dscnt 0x0
	v_add_f32_e32 v13, v13, v17
	s_wait_alu 0xfffe
	s_or_b32 exec_lo, exec_lo, s0
	s_and_saveexec_b32 s0, vcc_lo
	s_cbranch_execz .LBB32_111
.LBB32_144:
	ds_load_b32 v17, v16 offset:416
	s_wait_dscnt 0x0
	v_add_f32_e32 v14, v14, v17
	s_wait_alu 0xfffe
	s_or_b32 exec_lo, exec_lo, s0
	s_and_saveexec_b32 s0, vcc_lo
	s_cbranch_execnz .LBB32_112
	s_branch .LBB32_113
	.section	.rodata,"a",@progbits
	.p2align	6, 0x0
	.amdhsa_kernel _ZN4vllm25paged_attention_v2_kernelIffLi120ELi16ELi128ELNS_18Fp8KVCacheDataTypeE0ELb1ELi512EEEvPfS2_PT_PKS3_PKT0_S9_ifPKiSB_iPKfiiiSD_SD_iiiii
		.amdhsa_group_segment_fixed_size 512
		.amdhsa_private_segment_fixed_size 0
		.amdhsa_kernarg_size 400
		.amdhsa_user_sgpr_count 2
		.amdhsa_user_sgpr_dispatch_ptr 0
		.amdhsa_user_sgpr_queue_ptr 0
		.amdhsa_user_sgpr_kernarg_segment_ptr 1
		.amdhsa_user_sgpr_dispatch_id 0
		.amdhsa_user_sgpr_private_segment_size 0
		.amdhsa_wavefront_size32 1
		.amdhsa_uses_dynamic_stack 0
		.amdhsa_enable_private_segment 0
		.amdhsa_system_sgpr_workgroup_id_x 1
		.amdhsa_system_sgpr_workgroup_id_y 1
		.amdhsa_system_sgpr_workgroup_id_z 1
		.amdhsa_system_sgpr_workgroup_info 0
		.amdhsa_system_vgpr_workitem_id 0
		.amdhsa_next_free_vgpr 97
		.amdhsa_next_free_sgpr 42
		.amdhsa_reserve_vcc 1
		.amdhsa_float_round_mode_32 0
		.amdhsa_float_round_mode_16_64 0
		.amdhsa_float_denorm_mode_32 3
		.amdhsa_float_denorm_mode_16_64 3
		.amdhsa_fp16_overflow 0
		.amdhsa_workgroup_processor_mode 1
		.amdhsa_memory_ordered 1
		.amdhsa_forward_progress 1
		.amdhsa_inst_pref_size 77
		.amdhsa_round_robin_scheduling 0
		.amdhsa_exception_fp_ieee_invalid_op 0
		.amdhsa_exception_fp_denorm_src 0
		.amdhsa_exception_fp_ieee_div_zero 0
		.amdhsa_exception_fp_ieee_overflow 0
		.amdhsa_exception_fp_ieee_underflow 0
		.amdhsa_exception_fp_ieee_inexact 0
		.amdhsa_exception_int_div_zero 0
	.end_amdhsa_kernel
	.section	.text._ZN4vllm25paged_attention_v2_kernelIffLi120ELi16ELi128ELNS_18Fp8KVCacheDataTypeE0ELb1ELi512EEEvPfS2_PT_PKS3_PKT0_S9_ifPKiSB_iPKfiiiSD_SD_iiiii,"axG",@progbits,_ZN4vllm25paged_attention_v2_kernelIffLi120ELi16ELi128ELNS_18Fp8KVCacheDataTypeE0ELb1ELi512EEEvPfS2_PT_PKS3_PKT0_S9_ifPKiSB_iPKfiiiSD_SD_iiiii,comdat
.Lfunc_end32:
	.size	_ZN4vllm25paged_attention_v2_kernelIffLi120ELi16ELi128ELNS_18Fp8KVCacheDataTypeE0ELb1ELi512EEEvPfS2_PT_PKS3_PKT0_S9_ifPKiSB_iPKfiiiSD_SD_iiiii, .Lfunc_end32-_ZN4vllm25paged_attention_v2_kernelIffLi120ELi16ELi128ELNS_18Fp8KVCacheDataTypeE0ELb1ELi512EEEvPfS2_PT_PKS3_PKT0_S9_ifPKiSB_iPKfiiiSD_SD_iiiii
                                        ; -- End function
	.set _ZN4vllm25paged_attention_v2_kernelIffLi120ELi16ELi128ELNS_18Fp8KVCacheDataTypeE0ELb1ELi512EEEvPfS2_PT_PKS3_PKT0_S9_ifPKiSB_iPKfiiiSD_SD_iiiii.num_vgpr, 97
	.set _ZN4vllm25paged_attention_v2_kernelIffLi120ELi16ELi128ELNS_18Fp8KVCacheDataTypeE0ELb1ELi512EEEvPfS2_PT_PKS3_PKT0_S9_ifPKiSB_iPKfiiiSD_SD_iiiii.num_agpr, 0
	.set _ZN4vllm25paged_attention_v2_kernelIffLi120ELi16ELi128ELNS_18Fp8KVCacheDataTypeE0ELb1ELi512EEEvPfS2_PT_PKS3_PKT0_S9_ifPKiSB_iPKfiiiSD_SD_iiiii.numbered_sgpr, 42
	.set _ZN4vllm25paged_attention_v2_kernelIffLi120ELi16ELi128ELNS_18Fp8KVCacheDataTypeE0ELb1ELi512EEEvPfS2_PT_PKS3_PKT0_S9_ifPKiSB_iPKfiiiSD_SD_iiiii.num_named_barrier, 0
	.set _ZN4vllm25paged_attention_v2_kernelIffLi120ELi16ELi128ELNS_18Fp8KVCacheDataTypeE0ELb1ELi512EEEvPfS2_PT_PKS3_PKT0_S9_ifPKiSB_iPKfiiiSD_SD_iiiii.private_seg_size, 0
	.set _ZN4vllm25paged_attention_v2_kernelIffLi120ELi16ELi128ELNS_18Fp8KVCacheDataTypeE0ELb1ELi512EEEvPfS2_PT_PKS3_PKT0_S9_ifPKiSB_iPKfiiiSD_SD_iiiii.uses_vcc, 1
	.set _ZN4vllm25paged_attention_v2_kernelIffLi120ELi16ELi128ELNS_18Fp8KVCacheDataTypeE0ELb1ELi512EEEvPfS2_PT_PKS3_PKT0_S9_ifPKiSB_iPKfiiiSD_SD_iiiii.uses_flat_scratch, 0
	.set _ZN4vllm25paged_attention_v2_kernelIffLi120ELi16ELi128ELNS_18Fp8KVCacheDataTypeE0ELb1ELi512EEEvPfS2_PT_PKS3_PKT0_S9_ifPKiSB_iPKfiiiSD_SD_iiiii.has_dyn_sized_stack, 0
	.set _ZN4vllm25paged_attention_v2_kernelIffLi120ELi16ELi128ELNS_18Fp8KVCacheDataTypeE0ELb1ELi512EEEvPfS2_PT_PKS3_PKT0_S9_ifPKiSB_iPKfiiiSD_SD_iiiii.has_recursion, 0
	.set _ZN4vllm25paged_attention_v2_kernelIffLi120ELi16ELi128ELNS_18Fp8KVCacheDataTypeE0ELb1ELi512EEEvPfS2_PT_PKS3_PKT0_S9_ifPKiSB_iPKfiiiSD_SD_iiiii.has_indirect_call, 0
	.section	.AMDGPU.csdata,"",@progbits
; Kernel info:
; codeLenInByte = 9792
; TotalNumSgprs: 44
; NumVgprs: 97
; ScratchSize: 0
; MemoryBound: 0
; FloatMode: 240
; IeeeMode: 1
; LDSByteSize: 512 bytes/workgroup (compile time only)
; SGPRBlocks: 0
; VGPRBlocks: 12
; NumSGPRsForWavesPerEU: 44
; NumVGPRsForWavesPerEU: 97
; Occupancy: 12
; WaveLimiterHint : 1
; COMPUTE_PGM_RSRC2:SCRATCH_EN: 0
; COMPUTE_PGM_RSRC2:USER_SGPR: 2
; COMPUTE_PGM_RSRC2:TRAP_HANDLER: 0
; COMPUTE_PGM_RSRC2:TGID_X_EN: 1
; COMPUTE_PGM_RSRC2:TGID_Y_EN: 1
; COMPUTE_PGM_RSRC2:TGID_Z_EN: 1
; COMPUTE_PGM_RSRC2:TIDIG_COMP_CNT: 0
	.section	.text._ZN4vllm25paged_attention_v2_kernelIffLi128ELi16ELi128ELNS_18Fp8KVCacheDataTypeE0ELb1ELi512EEEvPfS2_PT_PKS3_PKT0_S9_ifPKiSB_iPKfiiiSD_SD_iiiii,"axG",@progbits,_ZN4vllm25paged_attention_v2_kernelIffLi128ELi16ELi128ELNS_18Fp8KVCacheDataTypeE0ELb1ELi512EEEvPfS2_PT_PKS3_PKT0_S9_ifPKiSB_iPKfiiiSD_SD_iiiii,comdat
	.protected	_ZN4vllm25paged_attention_v2_kernelIffLi128ELi16ELi128ELNS_18Fp8KVCacheDataTypeE0ELb1ELi512EEEvPfS2_PT_PKS3_PKT0_S9_ifPKiSB_iPKfiiiSD_SD_iiiii ; -- Begin function _ZN4vllm25paged_attention_v2_kernelIffLi128ELi16ELi128ELNS_18Fp8KVCacheDataTypeE0ELb1ELi512EEEvPfS2_PT_PKS3_PKT0_S9_ifPKiSB_iPKfiiiSD_SD_iiiii
	.globl	_ZN4vllm25paged_attention_v2_kernelIffLi128ELi16ELi128ELNS_18Fp8KVCacheDataTypeE0ELb1ELi512EEEvPfS2_PT_PKS3_PKT0_S9_ifPKiSB_iPKfiiiSD_SD_iiiii
	.p2align	8
	.type	_ZN4vllm25paged_attention_v2_kernelIffLi128ELi16ELi128ELNS_18Fp8KVCacheDataTypeE0ELb1ELi512EEEvPfS2_PT_PKS3_PKT0_S9_ifPKiSB_iPKfiiiSD_SD_iiiii,@function
_ZN4vllm25paged_attention_v2_kernelIffLi128ELi16ELi128ELNS_18Fp8KVCacheDataTypeE0ELb1ELi512EEEvPfS2_PT_PKS3_PKT0_S9_ifPKiSB_iPKfiiiSD_SD_iiiii: ; @_ZN4vllm25paged_attention_v2_kernelIffLi128ELi16ELi128ELNS_18Fp8KVCacheDataTypeE0ELb1ELi512EEEvPfS2_PT_PKS3_PKT0_S9_ifPKiSB_iPKfiiiSD_SD_iiiii
; %bb.0:
	s_load_b64 s[2:3], s[0:1], 0x40
	s_and_b32 s34, ttmp7, 0xffff
	s_lshr_b32 s33, ttmp7, 16
	s_lshl_b32 s4, s34, 2
	s_lshl_b32 s20, s33, 9
	s_wait_kmcnt 0x0
	s_load_b32 s21, s[2:3], s4 offset:0x0
	s_wait_kmcnt 0x0
	s_cmp_ge_i32 s20, s21
	s_cbranch_scc1 .LBB33_120
; %bb.1:
	s_clause 0x1
	s_load_b32 s35, s[0:1], 0x90
	s_load_b64 s[6:7], s[0:1], 0x30
	s_wait_kmcnt 0x0
	s_abs_i32 s5, s35
	s_abs_i32 s2, s6
	s_delay_alu instid0(SALU_CYCLE_1) | instskip(SKIP_1) | instid1(SALU_CYCLE_2)
	s_cvt_f32_u32 s3, s2
	s_sub_co_i32 s4, 0, s2
	v_rcp_iflag_f32_e32 v1, s3
	s_delay_alu instid0(TRANS32_DEP_1) | instskip(SKIP_2) | instid1(SALU_CYCLE_2)
	v_readfirstlane_b32 s3, v1
	s_mul_f32 s3, s3, 0x4f7ffffe
	s_wait_alu 0xfffe
	s_cvt_u32_f32 s3, s3
	s_wait_alu 0xfffe
	s_delay_alu instid0(SALU_CYCLE_2) | instskip(NEXT) | instid1(SALU_CYCLE_1)
	s_mul_i32 s4, s4, s3
	s_mul_hi_u32 s4, s3, s4
	s_delay_alu instid0(SALU_CYCLE_1)
	s_add_co_i32 s3, s3, s4
	s_xor_b32 s4, s35, s6
	s_wait_alu 0xfffe
	s_mul_hi_u32 s3, s5, s3
	s_ashr_i32 s4, s4, 31
	s_wait_alu 0xfffe
	s_mul_i32 s8, s3, s2
	s_delay_alu instid0(SALU_CYCLE_1)
	s_sub_co_i32 s5, s5, s8
	s_add_co_i32 s8, s3, 1
	s_sub_co_i32 s9, s5, s2
	s_cmp_ge_u32 s5, s2
	s_cselect_b32 s3, s8, s3
	s_cselect_b32 s5, s9, s5
	s_wait_alu 0xfffe
	s_add_co_i32 s8, s3, 1
	s_cmp_ge_u32 s5, s2
	s_mov_b32 s5, 0
	s_cselect_b32 s2, s8, s3
	s_load_b64 s[8:9], s[0:1], 0x50
	s_xor_b32 s2, s2, s4
	s_mov_b32 s14, s5
	s_wait_alu 0xfffe
	s_sub_co_i32 s10, s2, s4
	s_abs_i32 s4, ttmp9
	s_abs_i32 s12, s10
	s_delay_alu instid0(SALU_CYCLE_1) | instskip(SKIP_2) | instid1(SALU_CYCLE_1)
	s_cvt_f32_u32 s2, s12
	s_sub_co_i32 s3, 0, s12
	s_wait_alu 0xfffe
	v_rcp_iflag_f32_e32 v1, s2
	s_delay_alu instid0(TRANS32_DEP_1) | instskip(SKIP_2) | instid1(SALU_CYCLE_2)
	v_readfirstlane_b32 s2, v1
	s_mul_f32 s2, s2, 0x4f7ffffe
	s_wait_alu 0xfffe
	s_cvt_u32_f32 s2, s2
	s_wait_alu 0xfffe
	s_delay_alu instid0(SALU_CYCLE_2)
	s_mul_i32 s3, s3, s2
	s_wait_alu 0xfffe
	s_mul_hi_u32 s3, s2, s3
	s_wait_alu 0xfffe
	s_add_co_i32 s2, s2, s3
	s_mov_b32 s3, s5
	s_wait_kmcnt 0x0
	s_cmp_eq_u64 s[8:9], 0
	s_cbranch_scc1 .LBB33_3
; %bb.2:
	s_mov_b32 s14, ttmp9
	s_ashr_i32 s15, ttmp9, 31
	s_delay_alu instid0(SALU_CYCLE_1) | instskip(NEXT) | instid1(SALU_CYCLE_1)
	s_lshl_b64 s[14:15], s[14:15], 2
	s_add_nc_u64 s[8:9], s[8:9], s[14:15]
	s_load_b32 s14, s[8:9], 0x0
.LBB33_3:
	s_load_b96 s[16:18], s[0:1], 0x58
	s_mul_u64 s[2:3], s[4:5], s[2:3]
	v_and_b32_e32 v1, 1, v0
	v_cmp_gt_u32_e64 s2, 64, v0
	v_lshlrev_b32_e32 v2, 3, v0
	v_lshlrev_b32_e32 v3, 2, v0
	s_ashr_i32 s5, ttmp9, 31
	s_ashr_i32 s13, s10, 31
	s_lshl_b32 s22, ttmp9, 7
	s_wait_alu 0xfffe
	s_and_saveexec_b32 s8, s2
	s_cbranch_execz .LBB33_5
; %bb.4:
	s_load_b64 s[10:11], s[0:1], 0x18
	s_wait_kmcnt 0x0
	s_mul_i32 s24, s16, s34
	s_ashr_i32 s23, s22, 31
	s_ashr_i32 s25, s24, 31
	v_and_b32_e32 v6, 0xff8, v3
	s_lshl_b64 s[24:25], s[24:25], 2
	s_delay_alu instid0(VALU_DEP_1) | instskip(SKIP_2) | instid1(SALU_CYCLE_1)
	v_lshl_add_u32 v6, v1, 8, v6
	s_add_nc_u64 s[10:11], s[10:11], s[24:25]
	s_lshl_b64 s[24:25], s[22:23], 2
	s_add_nc_u64 s[10:11], s[10:11], s[24:25]
	global_load_b64 v[4:5], v2, s[10:11]
	s_wait_loadcnt 0x0
	ds_store_b64 v6, v[4:5]
.LBB33_5:
	s_or_b32 exec_lo, exec_lo, s8
	s_load_b128 s[8:11], s[0:1], 0x78
	s_mul_i32 s15, s3, s12
	s_xor_b32 s5, s5, s13
	s_sub_co_i32 s4, s4, s15
	s_add_co_i32 s13, s3, 1
	s_sub_co_i32 s15, s4, s12
	s_cmp_ge_u32 s4, s12
	s_mov_b32 s26, -1
	s_cselect_b32 s3, s13, s3
	s_cselect_b32 s4, s15, s4
	s_wait_alu 0xfffe
	s_add_co_i32 s13, s3, 1
	s_cmp_ge_u32 s4, s12
                                        ; implicit-def: $sgpr23
	s_cselect_b32 s4, s13, s3
	s_load_b32 s3, s[0:1], 0x88
	s_xor_b32 s4, s4, s5
	s_add_co_i32 s19, s21, -1
	s_sub_co_i32 s15, s4, s5
	s_wait_dscnt 0x0
	s_barrier_signal -1
	s_wait_kmcnt 0x0
	s_abs_i32 s16, s11
	s_barrier_wait -1
	s_cvt_f32_u32 s12, s16
	global_inv scope:SCOPE_SE
	v_rcp_iflag_f32_e32 v4, s12
	s_delay_alu instid0(TRANS32_DEP_1) | instskip(SKIP_1) | instid1(SALU_CYCLE_3)
	v_readfirstlane_b32 s12, v4
	s_mul_f32 s4, s12, 0x4f7ffffe
	s_cvt_u32_f32 s12, s4
	s_sub_co_i32 s4, 0, s16
	s_wait_alu 0xfffe
	s_delay_alu instid0(SALU_CYCLE_1)
	s_mul_i32 s5, s4, s12
	s_abs_i32 s4, s19
	s_mul_hi_u32 s13, s12, s5
	s_mov_b32 s5, 0
	s_wait_alu 0xfffe
	s_add_co_i32 s24, s12, s13
	s_cmp_lt_i32 s3, 0
	s_mov_b32 s25, s5
	s_cbranch_scc0 .LBB33_7
; %bb.6:
	s_mul_i32 s6, s8, s6
	s_mov_b32 s26, s5
	s_add_co_i32 s6, s15, s6
	s_delay_alu instid0(SALU_CYCLE_1) | instskip(NEXT) | instid1(SALU_CYCLE_1)
	s_mul_i32 s6, s6, s3
	s_sub_co_i32 s23, 1, s6
.LBB33_7:
	s_mul_u64 s[12:13], s[4:5], s[24:25]
	s_ashr_i32 s5, s19, 31
	s_and_not1_b32 vcc_lo, exec_lo, s26
	s_ashr_i32 s11, s11, 31
	s_cbranch_vccnz .LBB33_9
; %bb.8:
	s_mul_i32 s6, s35, s8
	s_delay_alu instid0(SALU_CYCLE_1) | instskip(NEXT) | instid1(SALU_CYCLE_1)
	s_add_co_i32 s6, s6, ttmp9
	s_mul_i32 s3, s6, s3
	s_wait_alu 0xfffe
	s_add_co_i32 s23, s3, 1
.LBB33_9:
	s_clause 0x2
	s_load_b32 s3, s[0:1], 0x48
	s_load_b64 s[26:27], s[0:1], 0x38
	s_load_b32 s8, s[0:1], 0x98
	s_mul_i32 s6, s13, s16
	s_xor_b32 s5, s5, s11
	s_sub_co_i32 s4, s4, s6
	s_add_co_i32 s12, s13, 1
	v_lshrrev_b32_e32 v71, 5, v0
	v_mov_b32_e32 v6, 0xff7fffff
	v_mbcnt_lo_u32_b32 v5, -1, 0
	s_mul_i32 s18, s15, s18
	s_delay_alu instid0(VALU_DEP_3)
	v_lshl_add_u32 v72, v71, 4, s20
	s_wait_kmcnt 0x0
	s_mul_i32 s28, s3, s34
	s_sub_co_i32 s3, s4, s16
	s_ashr_i32 s29, s28, 31
	s_cmp_ge_u32 s4, s16
	s_wait_alu 0xfffe
	s_cselect_b32 s6, s12, s13
	s_cselect_b32 s3, s3, s4
	s_add_co_i32 s4, s6, 1
	s_wait_alu 0xfffe
	s_cmp_ge_u32 s3, s16
	s_cselect_b32 s3, s4, s6
	s_add_co_i32 s4, s21, 15
	s_lshl_b32 s38, s33, 5
	s_ashr_i32 s6, s4, 31
	v_or_b32_e32 v73, s38, v71
	s_lshr_b32 s6, s6, 28
	s_delay_alu instid0(SALU_CYCLE_1)
	s_add_co_i32 s4, s4, s6
	s_add_co_i32 s6, s38, 32
	s_ashr_i32 s36, s4, 4
	s_wait_alu 0xfffe
	s_xor_b32 s4, s3, s5
	s_min_i32 s25, s6, s36
	v_lshlrev_b32_e32 v4, 2, v73
	v_cmp_gt_i32_e64 s3, s25, v73
	s_sub_co_i32 s37, s4, s5
	s_and_saveexec_b32 s12, s3
	s_cbranch_execz .LBB33_21
; %bb.10:
	s_ashr_i32 s19, s18, 31
	s_sub_co_i32 s13, s37, s9
	s_lshl_b64 s[30:31], s[18:19], 2
	s_cmp_neq_f32 s14, 0
	s_load_b64 s[40:41], s[0:1], 0x20
	v_bfe_u32 v7, v0, 1, 4
	v_lshlrev_b32_e32 v8, 8, v1
	s_cselect_b32 vcc_lo, -1, 0
	s_abs_i32 s15, s10
	v_and_b32_e32 v2, 8, v2
	s_cvt_f32_u32 s4, s15
	v_lshlrev_b32_e32 v9, 4, v7
	s_lshl_b64 s[42:43], s[28:29], 2
	v_mov_b32_e32 v14, 0xff7fffff
	v_rcp_iflag_f32_e32 v6, s4
	v_cmp_eq_u32_e64 s4, 0, v1
	v_lshlrev_b32_e32 v1, 2, v7
	v_subrev_nc_u32_e32 v12, s21, v7
	s_add_nc_u64 s[42:43], s[26:27], s[42:43]
	s_sub_co_i32 s6, 0, s15
	v_lshl_add_u32 v11, v71, 4, s20
	v_xor_b32_e32 v15, 1, v5
	v_add_nc_u32_e32 v12, 1, v12
	s_mov_b32 s19, 0
	v_readfirstlane_b32 s5, v6
	v_lshl_or_b32 v6, v71, 6, v1
	s_wait_kmcnt 0x0
	s_add_nc_u64 s[30:31], s[40:41], s[30:31]
	v_mov_b32_e32 v16, v73
	s_mul_f32 s5, s5, 0x4f7ffffe
	v_add_nc_u32_e32 v13, 0x220, v6
	v_mov_b32_e32 v6, 0xff7fffff
	v_add_co_u32 v1, s30, s30, v9
	s_wait_alu 0xf1ff
	v_add_co_ci_u32_e64 v10, null, s31, 0, s30
	s_wait_alu 0xfffe
	s_cvt_u32_f32 s31, s5
	v_add_co_u32 v9, s5, v1, v2
	s_wait_alu 0xf1ff
	v_add_co_ci_u32_e64 v10, null, 0, v10, s5
	v_add_co_u32 v1, s5, s42, v4
	s_wait_alu 0xfffe
	s_mul_i32 s6, s6, s31
	v_add_co_ci_u32_e64 v2, null, s43, 0, s5
	s_mul_hi_u32 s5, s31, s6
	s_mov_b32 s30, s17
	s_wait_alu 0xfffe
	s_add_co_i32 s31, s31, s5
	s_branch .LBB33_13
.LBB33_11:                              ;   in Loop: Header=BB33_13 Depth=1
	s_wait_alu 0xfffe
	s_or_b32 exec_lo, exec_lo, s39
.LBB33_12:                              ;   in Loop: Header=BB33_13 Depth=1
	s_wait_alu 0xfffe
	s_or_b32 exec_lo, exec_lo, s6
	v_add_nc_u32_e32 v16, 4, v16
	v_add_co_u32 v1, s6, v1, 16
	s_wait_alu 0xf1ff
	v_add_co_ci_u32_e64 v2, null, 0, v2, s6
	s_delay_alu instid0(VALU_DEP_3) | instskip(SKIP_3) | instid1(SALU_CYCLE_1)
	v_cmp_le_i32_e64 s5, s25, v16
	v_add_nc_u32_e32 v11, 64, v11
	v_add_nc_u32_e32 v13, 0x100, v13
	s_or_b32 s19, s5, s19
	s_and_not1_b32 exec_lo, exec_lo, s19
	s_cbranch_execz .LBB33_20
.LBB33_13:                              ; =>This Inner Loop Header: Depth=1
	v_sub_nc_u32_e32 v17, 0, v11
	s_delay_alu instid0(VALU_DEP_1) | instskip(SKIP_1) | instid1(VALU_DEP_1)
	v_max_i32_e32 v17, v11, v17
	s_wait_dscnt 0x0
	v_mul_hi_u32 v18, v17, s24
	s_delay_alu instid0(VALU_DEP_1) | instskip(NEXT) | instid1(VALU_DEP_1)
	v_mul_lo_u32 v19, v18, s16
	v_sub_nc_u32_e32 v17, v17, v19
	v_add_nc_u32_e32 v19, 1, v18
	s_delay_alu instid0(VALU_DEP_2) | instskip(SKIP_2) | instid1(VALU_DEP_1)
	v_subrev_nc_u32_e32 v20, s16, v17
	v_cmp_le_u32_e64 s5, s16, v17
	s_wait_alu 0xf1ff
	v_cndmask_b32_e64 v18, v18, v19, s5
	s_delay_alu instid0(VALU_DEP_3) | instskip(SKIP_1) | instid1(VALU_DEP_3)
	v_cndmask_b32_e64 v17, v17, v20, s5
	v_ashrrev_i32_e32 v19, 31, v11
	v_add_nc_u32_e32 v20, 1, v18
	s_delay_alu instid0(VALU_DEP_3) | instskip(NEXT) | instid1(VALU_DEP_3)
	v_cmp_le_u32_e64 s5, s16, v17
	v_xor_b32_e32 v19, s11, v19
	s_wait_alu 0xf1ff
	s_delay_alu instid0(VALU_DEP_2) | instskip(NEXT) | instid1(VALU_DEP_1)
	v_cndmask_b32_e64 v17, v18, v20, s5
	v_xor_b32_e32 v17, v17, v19
	s_delay_alu instid0(VALU_DEP_1) | instskip(NEXT) | instid1(VALU_DEP_1)
	v_sub_nc_u32_e32 v17, v17, v19
	v_add_nc_u32_e32 v18, s23, v17
	v_cmp_ge_i32_e64 s6, s13, v17
	s_delay_alu instid0(VALU_DEP_2) | instskip(NEXT) | instid1(VALU_DEP_1)
	v_sub_nc_u32_e32 v19, 0, v18
	v_max_i32_e32 v19, v18, v19
	v_ashrrev_i32_e32 v18, 31, v18
	s_wait_alu 0xfffe
	s_delay_alu instid0(VALU_DEP_2) | instskip(NEXT) | instid1(VALU_DEP_1)
	v_mul_hi_u32 v20, v19, s31
	v_mul_lo_u32 v20, v20, s15
	s_delay_alu instid0(VALU_DEP_1) | instskip(NEXT) | instid1(VALU_DEP_1)
	v_sub_nc_u32_e32 v19, v19, v20
	v_subrev_nc_u32_e32 v20, s15, v19
	v_cmp_le_u32_e64 s5, s15, v19
	s_wait_alu 0xf1ff
	s_delay_alu instid0(VALU_DEP_1) | instskip(NEXT) | instid1(VALU_DEP_1)
	v_cndmask_b32_e64 v19, v19, v20, s5
	v_subrev_nc_u32_e32 v20, s15, v19
	v_cmp_le_u32_e64 s5, s15, v19
	s_wait_alu 0xf1ff
	s_delay_alu instid0(VALU_DEP_1) | instskip(NEXT) | instid1(VALU_DEP_1)
	v_cndmask_b32_e64 v19, v19, v20, s5
	v_xor_b32_e32 v19, v19, v18
	s_delay_alu instid0(VALU_DEP_1) | instskip(NEXT) | instid1(VALU_DEP_1)
	v_sub_nc_u32_e32 v18, v19, v18
	v_cmp_ne_u32_e64 s5, 0, v18
	s_and_b32 s5, s5, s6
	s_wait_alu 0xfffe
	s_and_saveexec_b32 s6, s5
	s_wait_alu 0xfffe
	s_xor_b32 s5, exec_lo, s6
	s_cbranch_execz .LBB33_17
; %bb.14:                               ;   in Loop: Header=BB33_13 Depth=1
	s_and_saveexec_b32 s6, s4
; %bb.15:                               ;   in Loop: Header=BB33_13 Depth=1
	ds_store_b32 v13, v14
; %bb.16:                               ;   in Loop: Header=BB33_13 Depth=1
	s_wait_alu 0xfffe
	s_or_b32 exec_lo, exec_lo, s6
.LBB33_17:                              ;   in Loop: Header=BB33_13 Depth=1
	s_wait_alu 0xfffe
	s_and_not1_saveexec_b32 s6, s5
	s_cbranch_execz .LBB33_12
; %bb.18:                               ;   in Loop: Header=BB33_13 Depth=1
	global_load_b32 v17, v[1:2], off
	s_wait_loadcnt 0x0
	v_mad_co_i64_i32 v[17:18], null, v17, s30, 0
	s_delay_alu instid0(VALU_DEP_1) | instskip(NEXT) | instid1(VALU_DEP_1)
	v_lshlrev_b64_e32 v[17:18], 2, v[17:18]
	v_add_co_u32 v17, s5, v9, v17
	s_wait_alu 0xf1ff
	s_delay_alu instid0(VALU_DEP_2)
	v_add_co_ci_u32_e64 v18, null, v10, v18, s5
	v_cmp_gt_i32_e64 s5, 32, v15
	s_clause 0x1f
	global_load_b64 v[29:30], v[17:18], off offset:256
	global_load_b64 v[31:32], v[17:18], off
	global_load_b64 v[33:34], v[17:18], off offset:512
	global_load_b64 v[35:36], v[17:18], off offset:768
	;; [unrolled: 1-line block ×30, first 2 shown]
	ds_load_b128 v[17:20], v8
	ds_load_b128 v[21:24], v8 offset:16
	ds_load_b128 v[25:28], v8 offset:32
	s_wait_loadcnt_dscnt 0x1f02
	v_dual_mul_f32 v29, v19, v29 :: v_dual_mul_f32 v30, v20, v30
	s_wait_loadcnt 0x1e
	s_delay_alu instid0(VALU_DEP_1) | instskip(SKIP_4) | instid1(VALU_DEP_1)
	v_dual_fmac_f32 v29, v17, v31 :: v_dual_fmac_f32 v30, v18, v32
	ds_load_b128 v[17:20], v8 offset:48
	s_wait_loadcnt_dscnt 0x1d02
	v_dual_fmac_f32 v29, v21, v33 :: v_dual_fmac_f32 v30, v22, v34
	s_wait_loadcnt 0x1c
	v_dual_fmac_f32 v29, v23, v35 :: v_dual_fmac_f32 v30, v24, v36
	ds_load_b128 v[21:24], v8 offset:64
	s_wait_loadcnt_dscnt 0x1b02
	v_dual_fmac_f32 v29, v25, v37 :: v_dual_fmac_f32 v30, v26, v38
	s_wait_loadcnt 0x1a
	s_delay_alu instid0(VALU_DEP_1) | instskip(SKIP_4) | instid1(VALU_DEP_1)
	v_dual_fmac_f32 v29, v27, v39 :: v_dual_fmac_f32 v30, v28, v40
	ds_load_b128 v[25:28], v8 offset:80
	s_wait_loadcnt_dscnt 0x1902
	v_dual_fmac_f32 v29, v17, v41 :: v_dual_fmac_f32 v30, v18, v42
	s_wait_loadcnt 0x18
	v_dual_fmac_f32 v29, v19, v43 :: v_dual_fmac_f32 v30, v20, v44
	ds_load_b128 v[17:20], v8 offset:96
	s_wait_loadcnt_dscnt 0x1702
	v_dual_fmac_f32 v29, v21, v45 :: v_dual_fmac_f32 v30, v22, v46
	;; [unrolled: 11-line block ×6, first 2 shown]
	s_wait_loadcnt 0x6
	s_delay_alu instid0(VALU_DEP_1) | instskip(SKIP_4) | instid1(VALU_DEP_1)
	v_dual_fmac_f32 v29, v82, v19 :: v_dual_fmac_f32 v30, v83, v20
	ds_load_b128 v[17:20], v8 offset:240
	s_wait_loadcnt_dscnt 0x502
	v_dual_fmac_f32 v29, v84, v21 :: v_dual_fmac_f32 v30, v85, v22
	s_wait_loadcnt 0x4
	v_dual_fmac_f32 v29, v86, v23 :: v_dual_fmac_f32 v30, v87, v24
	s_wait_loadcnt_dscnt 0x301
	s_delay_alu instid0(VALU_DEP_1) | instskip(SKIP_1) | instid1(VALU_DEP_1)
	v_dual_fmac_f32 v29, v88, v25 :: v_dual_fmac_f32 v30, v89, v26
	s_wait_loadcnt 0x2
	v_dual_fmac_f32 v29, v90, v27 :: v_dual_fmac_f32 v30, v91, v28
	s_wait_loadcnt_dscnt 0x100
	s_delay_alu instid0(VALU_DEP_1) | instskip(SKIP_3) | instid1(VALU_DEP_2)
	v_dual_fmac_f32 v29, v92, v17 :: v_dual_fmac_f32 v30, v93, v18
	s_wait_alu 0xf1ff
	v_cndmask_b32_e64 v17, v5, v15, s5
	s_wait_loadcnt 0x0
	v_dual_fmac_f32 v29, v94, v19 :: v_dual_fmac_f32 v30, v95, v20
	s_delay_alu instid0(VALU_DEP_1)
	v_dual_add_f32 v17, v29, v30 :: v_dual_lshlrev_b32 v18, 2, v17
	ds_bpermute_b32 v18, v18, v17
	s_and_saveexec_b32 s39, s4
	s_cbranch_execz .LBB33_11
; %bb.19:                               ;   in Loop: Header=BB33_13 Depth=1
	s_wait_dscnt 0x0
	v_add_f32_e32 v17, v17, v18
	v_add_nc_u32_e32 v19, v12, v11
	s_delay_alu instid0(VALU_DEP_1) | instskip(NEXT) | instid1(VALU_DEP_1)
	v_cvt_f32_i32_e32 v19, v19
	v_mul_f32_e32 v19, s14, v19
	s_delay_alu instid0(VALU_DEP_1) | instskip(NEXT) | instid1(VALU_DEP_1)
	v_dual_cndmask_b32 v18, 0, v19 :: v_dual_max_num_f32 v19, v6, v6
	v_dual_fmac_f32 v18, s7, v17 :: v_dual_add_nc_u32 v17, v7, v11
	s_delay_alu instid0(VALU_DEP_1) | instskip(NEXT) | instid1(VALU_DEP_2)
	v_max_num_f32_e32 v19, v19, v18
	v_cmp_gt_i32_e64 s5, s21, v17
	s_wait_alu 0xf1ff
	s_delay_alu instid0(VALU_DEP_1) | instskip(NEXT) | instid1(VALU_DEP_3)
	v_cndmask_b32_e64 v17, 0, v18, s5
	v_cndmask_b32_e64 v6, v6, v19, s5
	ds_store_b32 v13, v17
	s_branch .LBB33_11
.LBB33_20:
	s_or_b32 exec_lo, exec_lo, s19
.LBB33_21:
	s_wait_alu 0xfffe
	s_or_b32 exec_lo, exec_lo, s12
	v_xor_b32_e32 v1, 16, v5
	v_xor_b32_e32 v7, 8, v5
	s_clause 0x2
	s_load_b128 s[12:15], s[0:1], 0x0
	s_load_b64 s[6:7], s[0:1], 0x10
	s_load_b64 s[30:31], s[0:1], 0x28
	v_max_num_f32_e32 v8, v6, v6
	v_and_b32_e32 v74, 31, v0
	v_cmp_gt_i32_e32 vcc_lo, 32, v1
	s_wait_alu 0xfffd
	v_cndmask_b32_e32 v1, v5, v1, vcc_lo
	v_cmp_gt_i32_e32 vcc_lo, 32, v7
	s_delay_alu instid0(VALU_DEP_2) | instskip(SKIP_4) | instid1(VALU_DEP_1)
	v_lshlrev_b32_e32 v2, 2, v1
	ds_bpermute_b32 v1, v2, v6
	s_wait_dscnt 0x0
	v_max_num_f32_e32 v1, v1, v1
	s_wait_alu 0xfffd
	v_dual_cndmask_b32 v6, v5, v7 :: v_dual_max_num_f32 v1, v8, v1
	s_delay_alu instid0(VALU_DEP_1)
	v_lshlrev_b32_e32 v6, 2, v6
	v_xor_b32_e32 v8, 4, v5
	ds_bpermute_b32 v7, v6, v1
	v_cmp_gt_i32_e32 vcc_lo, 32, v8
	s_wait_dscnt 0x0
	s_wait_alu 0xfffd
	v_dual_cndmask_b32 v8, v5, v8 :: v_dual_max_num_f32 v9, v7, v7
	s_delay_alu instid0(VALU_DEP_1) | instskip(SKIP_1) | instid1(VALU_DEP_1)
	v_max_num_f32_e32 v1, v1, v9
	v_xor_b32_e32 v9, 2, v5
	v_cmp_gt_i32_e32 vcc_lo, 32, v9
	s_wait_alu 0xfffd
	v_cndmask_b32_e32 v9, v5, v9, vcc_lo
	v_cmp_eq_u32_e32 vcc_lo, 0, v74
	s_delay_alu instid0(VALU_DEP_2) | instskip(SKIP_4) | instid1(VALU_DEP_1)
	v_lshlrev_b32_e32 v75, 2, v9
	v_lshlrev_b32_e32 v7, 2, v8
	ds_bpermute_b32 v8, v7, v1
	s_wait_dscnt 0x0
	v_max_num_f32_e32 v8, v8, v8
	v_dual_max_num_f32 v1, v1, v8 :: v_dual_lshlrev_b32 v8, 2, v71
	ds_bpermute_b32 v9, v75, v1
	s_and_saveexec_b32 s0, vcc_lo
	s_cbranch_execz .LBB33_23
; %bb.22:
	s_wait_dscnt 0x0
	v_max_num_f32_e32 v9, v9, v9
	v_max_num_f32_e32 v1, v1, v1
	s_delay_alu instid0(VALU_DEP_1)
	v_max_num_f32_e32 v1, v1, v9
	ds_store_b32 v8, v1 offset:512
.LBB33_23:
	s_or_b32 exec_lo, exec_lo, s0
	v_cmp_gt_u32_e64 s0, 4, v74
	v_mov_b32_e32 v1, 0xff7fffff
	s_wait_dscnt 0x0
	v_lshlrev_b32_e32 v9, 2, v74
	s_wait_loadcnt 0x0
	s_barrier_signal -1
	s_barrier_wait -1
	global_inv scope:SCOPE_SE
	s_and_saveexec_b32 s1, s0
; %bb.24:
	ds_load_b32 v1, v9 offset:512
; %bb.25:
	s_or_b32 exec_lo, exec_lo, s1
	s_wait_dscnt 0x0
	ds_bpermute_b32 v10, v75, v1
	v_xor_b32_e32 v11, 1, v5
	v_max_num_f32_e32 v1, v1, v1
	s_delay_alu instid0(VALU_DEP_2) | instskip(NEXT) | instid1(VALU_DEP_1)
	v_cmp_gt_i32_e64 s1, 32, v11
	v_cndmask_b32_e64 v5, v5, v11, s1
	s_sub_co_i32 s1, s25, s38
	s_wait_alu 0xfffe
	s_lshl_b32 s1, s1, 4
	s_wait_alu 0xfffe
	s_add_co_i32 s1, s1, s20
	s_wait_alu 0xfffe
	s_min_i32 s1, s1, s21
	s_wait_alu 0xfffe
	s_sub_co_i32 s5, s1, s20
	s_wait_dscnt 0x0
	v_max_num_f32_e32 v10, v10, v10
	v_lshlrev_b32_e32 v76, 2, v5
	s_wait_alu 0xfffe
	v_cmp_gt_i32_e64 s1, s5, v0
	s_delay_alu instid0(VALU_DEP_3) | instskip(SKIP_3) | instid1(VALU_DEP_1)
	v_dual_max_num_f32 v1, v1, v10 :: v_dual_mov_b32 v10, 0
	ds_bpermute_b32 v5, v76, v1
	s_wait_dscnt 0x0
	v_max_num_f32_e32 v5, v5, v5
	v_max_num_f32_e32 v1, v1, v5
	v_lshl_add_u32 v5, v0, 2, 0x220
	ds_bpermute_b32 v1, v10, v1
	s_and_saveexec_b32 s19, s1
	s_cbranch_execz .LBB33_29
; %bb.26:
	v_lshl_add_u32 v11, v0, 2, 0x220
	v_mov_b32_e32 v10, 0
	v_mov_b32_e32 v12, v0
	s_mov_b32 s38, 0
.LBB33_27:                              ; =>This Inner Loop Header: Depth=1
	ds_load_b32 v13, v11
	v_add_nc_u32_e32 v12, 0x80, v12
	s_delay_alu instid0(VALU_DEP_1) | instskip(SKIP_4) | instid1(VALU_DEP_1)
	v_cmp_le_i32_e64 s4, s5, v12
	s_wait_alu 0xfffe
	s_or_b32 s38, s4, s38
	s_wait_dscnt 0x0
	v_sub_f32_e32 v13, v13, v1
	v_mul_f32_e32 v13, 0x3fb8aa3b, v13
	s_delay_alu instid0(VALU_DEP_1)
	v_exp_f32_e32 v13, v13
	ds_store_b32 v11, v13
	v_dual_add_f32 v10, v10, v13 :: v_dual_add_nc_u32 v11, 0x200, v11
	s_wait_alu 0xfffe
	s_and_not1_b32 exec_lo, exec_lo, s38
	s_cbranch_execnz .LBB33_27
; %bb.28:
	s_or_b32 exec_lo, exec_lo, s38
.LBB33_29:
	s_delay_alu instid0(SALU_CYCLE_1)
	s_or_b32 exec_lo, exec_lo, s19
	ds_bpermute_b32 v2, v2, v10
	s_wait_dscnt 0x0
	v_add_f32_e32 v2, v10, v2
	ds_bpermute_b32 v6, v6, v2
	s_wait_dscnt 0x0
	v_add_f32_e32 v2, v2, v6
	;; [unrolled: 3-line block ×5, first 2 shown]
	s_and_saveexec_b32 s4, vcc_lo
; %bb.30:
	ds_store_b32 v8, v2 offset:528
; %bb.31:
	s_wait_alu 0xfffe
	s_or_b32 exec_lo, exec_lo, s4
	s_wait_loadcnt_dscnt 0x0
	s_barrier_signal -1
	s_barrier_wait -1
	global_inv scope:SCOPE_SE
	s_and_saveexec_b32 s4, s0
; %bb.32:
	ds_load_b32 v2, v9 offset:528
; %bb.33:
	s_wait_alu 0xfffe
	s_or_b32 exec_lo, exec_lo, s4
	s_wait_dscnt 0x0
	ds_bpermute_b32 v6, v75, v2
	s_wait_dscnt 0x0
	v_add_f32_e32 v2, v2, v6
	ds_bpermute_b32 v6, v76, v2
	s_wait_dscnt 0x0
	v_add_f32_e32 v2, v2, v6
	v_mov_b32_e32 v6, 0
	ds_bpermute_b32 v2, v6, v2
	s_and_saveexec_b32 s0, s1
	s_cbranch_execz .LBB33_36
; %bb.34:
	s_wait_dscnt 0x0
	v_add_f32_e32 v6, 0x358637bd, v2
	s_mov_b32 s1, 0
	s_delay_alu instid0(VALU_DEP_1) | instskip(SKIP_1) | instid1(VALU_DEP_2)
	v_div_scale_f32 v7, null, v6, v6, 1.0
	v_div_scale_f32 v10, vcc_lo, 1.0, v6, 1.0
	v_rcp_f32_e32 v8, v7
	s_delay_alu instid0(TRANS32_DEP_1) | instskip(NEXT) | instid1(VALU_DEP_1)
	v_fma_f32 v9, -v7, v8, 1.0
	v_fmac_f32_e32 v8, v9, v8
	s_delay_alu instid0(VALU_DEP_1) | instskip(NEXT) | instid1(VALU_DEP_1)
	v_mul_f32_e32 v9, v10, v8
	v_fma_f32 v11, -v7, v9, v10
	s_delay_alu instid0(VALU_DEP_1) | instskip(NEXT) | instid1(VALU_DEP_1)
	v_fmac_f32_e32 v9, v11, v8
	v_fma_f32 v7, -v7, v9, v10
	s_wait_alu 0xfffd
	s_delay_alu instid0(VALU_DEP_1) | instskip(NEXT) | instid1(VALU_DEP_1)
	v_div_fmas_f32 v7, v7, v8, v9
	v_div_fixup_f32 v6, v7, v6, 1.0
	v_mov_b32_e32 v7, v0
.LBB33_35:                              ; =>This Inner Loop Header: Depth=1
	ds_load_b32 v8, v5
	s_wait_dscnt 0x0
	v_dual_mul_f32 v8, v6, v8 :: v_dual_add_nc_u32 v7, 0x80, v7
	s_delay_alu instid0(VALU_DEP_1)
	v_cmp_le_i32_e32 vcc_lo, s5, v7
	ds_store_b32 v5, v8
	v_add_nc_u32_e32 v5, 0x200, v5
	s_wait_alu 0xfffe
	s_or_b32 s1, vcc_lo, s1
	s_wait_alu 0xfffe
	s_and_not1_b32 exec_lo, exec_lo, s1
	s_cbranch_execnz .LBB33_35
.LBB33_36:
	s_wait_alu 0xfffe
	s_or_b32 exec_lo, exec_lo, s0
	s_mul_i32 s0, s8, s34
	s_wait_loadcnt_dscnt 0x0
	s_wait_alu 0xfffe
	s_mul_i32 s4, s0, s35
	s_mov_b32 s0, exec_lo
	s_barrier_signal -1
	s_barrier_wait -1
	global_inv scope:SCOPE_SE
	v_cmpx_eq_u32_e32 0, v0
	s_cbranch_execz .LBB33_38
; %bb.37:
	s_wait_alu 0xfffe
	s_ashr_i32 s5, s4, 31
	s_mul_i32 s34, s8, ttmp9
	s_lshl_b32 s1, s33, 2
	s_wait_alu 0xfffe
	s_lshl_b64 s[38:39], s[4:5], 2
	s_ashr_i32 s35, s34, 31
	v_mov_b32_e32 v5, s1
	s_wait_kmcnt 0x0
	s_wait_alu 0xfffe
	s_add_nc_u64 s[14:15], s[14:15], s[38:39]
	s_lshl_b64 s[34:35], s[34:35], 2
	s_add_nc_u64 s[12:13], s[12:13], s[38:39]
	s_wait_alu 0xfffe
	s_add_nc_u64 s[14:15], s[14:15], s[34:35]
	s_add_nc_u64 s[12:13], s[12:13], s[34:35]
	s_clause 0x1
	global_store_b32 v5, v1, s[14:15]
	global_store_b32 v5, v2, s[12:13]
.LBB33_38:
	s_wait_alu 0xfffe
	s_or_b32 exec_lo, exec_lo, s0
	v_dual_mov_b32 v92, 0 :: v_dual_and_b32 v77, 3, v0
	v_dual_mov_b32 v93, 0 :: v_dual_mov_b32 v90, 0
	v_dual_mov_b32 v91, 0 :: v_dual_mov_b32 v88, 0
	;; [unrolled: 1-line block ×7, first 2 shown]
	v_mov_b32_e32 v79, 0
	s_and_saveexec_b32 s1, s3
	s_cbranch_execz .LBB33_76
; %bb.39:
	s_abs_i32 s3, s10
	v_dual_mov_b32 v81, 0 :: v_dual_lshlrev_b32 v2, 4, v0
	s_wait_alu 0xfffe
	s_cvt_f32_u32 s0, s3
	v_dual_mov_b32 v79, 0 :: v_dual_and_b32 v94, 12, v3
	v_dual_mov_b32 v78, 0 :: v_dual_lshlrev_b32 v3, 4, v77
	s_wait_alu 0xfffe
	v_rcp_iflag_f32_e32 v1, s0
	s_ashr_i32 s19, s18, 31
	s_wait_kmcnt 0x0
	s_lshl_b64 s[12:13], s[28:29], 2
	s_lshl_b64 s[14:15], s[18:19], 2
	s_wait_alu 0xfffe
	s_add_nc_u64 s[12:13], s[26:27], s[12:13]
	s_add_nc_u64 s[14:15], s[30:31], s[14:15]
	s_wait_alu 0xfffe
	v_add_co_u32 v69, s12, s12, v4
	s_sub_co_i32 s5, s37, s9
	s_mov_b32 s9, s17
	v_readfirstlane_b32 s0, v1
	v_dual_mov_b32 v80, 0 :: v_dual_and_b32 v1, 0x1f0, v2
	v_lshl_or_b32 v2, v71, 6, v3
	s_sub_co_i32 s17, 0, s3
	s_mul_f32 s0, s0, 0x4f7ffffe
	v_add_co_ci_u32_e64 v70, null, s13, 0, s12
	v_add_co_u32 v95, s12, s14, v1
	s_wait_alu 0xfffe
	s_cvt_u32_f32 s0, s0
	v_add_co_ci_u32_e64 v96, null, s15, 0, s12
	v_dual_mov_b32 v82, 0 :: v_dual_add_nc_u32 v97, 0x220, v2
	s_wait_alu 0xfffe
	s_mul_i32 s17, s17, s0
	v_dual_mov_b32 v83, 0 :: v_dual_mov_b32 v84, 0
	v_dual_mov_b32 v85, 0 :: v_dual_mov_b32 v86, 0
	;; [unrolled: 1-line block ×5, first 2 shown]
	v_mov_b32_e32 v93, 0
	s_wait_alu 0xfffe
	s_mul_hi_u32 s13, s0, s17
	s_add_co_i32 s10, s36, -1
	s_mov_b32 s12, 0
	s_wait_alu 0xfffe
	s_add_co_i32 s13, s0, s13
	s_branch .LBB33_42
.LBB33_40:                              ;   in Loop: Header=BB33_42 Depth=1
	s_wait_alu 0xfffe
	s_or_b32 exec_lo, exec_lo, s0
	s_wait_loadcnt_dscnt 0x600
	v_mul_f32_e32 v41, v1, v41
	v_mul_f32_e32 v33, v1, v33
	v_mul_f32_e32 v5, v1, v5
	s_wait_loadcnt 0x2
	v_mul_f32_e32 v61, v1, v61
	v_mul_f32_e32 v25, v1, v25
	v_fmac_f32_e32 v41, v2, v42
	v_fmac_f32_e32 v33, v2, v34
	;; [unrolled: 1-line block ×3, first 2 shown]
	v_mul_f32_e32 v49, v1, v49
	v_fmac_f32_e32 v25, v2, v26
	v_fmac_f32_e32 v41, v3, v43
	;; [unrolled: 1-line block ×3, first 2 shown]
	v_mul_f32_e32 v17, v1, v17
	v_fmac_f32_e32 v5, v3, v7
	s_wait_loadcnt 0x1
	v_mul_f32_e32 v65, v1, v65
	v_fmac_f32_e32 v41, v4, v44
	v_fmac_f32_e32 v61, v2, v62
	v_mul_f32_e32 v57, v1, v57
	v_mul_f32_e32 v45, v1, v45
	;; [unrolled: 1-line block ×3, first 2 shown]
	v_add_f32_e32 v84, v84, v41
	v_mul_f32_e32 v29, v1, v29
	v_mul_f32_e32 v21, v1, v21
	v_fmac_f32_e32 v25, v3, v27
	v_fmac_f32_e32 v33, v4, v36
	;; [unrolled: 1-line block ×3, first 2 shown]
	v_mul_f32_e32 v13, v1, v13
	v_mul_f32_e32 v9, v1, v9
	s_wait_loadcnt 0x0
	v_mul_f32_e32 v1, v1, v53
	v_fmac_f32_e32 v17, v2, v18
	v_fmac_f32_e32 v5, v4, v8
	v_fmac_f32_e32 v49, v2, v50
	v_fmac_f32_e32 v45, v2, v46
	v_fmac_f32_e32 v37, v2, v38
	v_fmac_f32_e32 v29, v2, v30
	v_fmac_f32_e32 v21, v2, v22
	v_fmac_f32_e32 v25, v4, v28
	v_fmac_f32_e32 v57, v2, v58
	v_dual_add_f32 v86, v86, v33 :: v_dual_fmac_f32 v61, v4, v64
	v_fmac_f32_e32 v65, v2, v66
	v_fmac_f32_e32 v13, v2, v14
	;; [unrolled: 1-line block ×4, first 2 shown]
	v_dual_fmac_f32 v17, v3, v19 :: v_dual_add_f32 v92, v92, v5
	v_fmac_f32_e32 v49, v3, v51
	v_dual_fmac_f32 v45, v3, v47 :: v_dual_add_f32 v80, v80, v61
	v_fmac_f32_e32 v37, v3, v39
	v_fmac_f32_e32 v29, v3, v31
	s_delay_alu instid0(VALU_DEP_4)
	v_fmac_f32_e32 v49, v4, v52
	v_fmac_f32_e32 v65, v3, v67
	v_dual_fmac_f32 v21, v3, v23 :: v_dual_add_f32 v88, v88, v25
	v_fmac_f32_e32 v13, v3, v15
	v_fmac_f32_e32 v9, v3, v11
	;; [unrolled: 1-line block ×5, first 2 shown]
	v_dual_fmac_f32 v45, v4, v48 :: v_dual_add_f32 v82, v82, v49
	v_fmac_f32_e32 v37, v4, v40
	v_fmac_f32_e32 v29, v4, v32
	;; [unrolled: 1-line block ×6, first 2 shown]
	v_dual_fmac_f32 v65, v4, v68 :: v_dual_add_f32 v90, v90, v17
	v_fmac_f32_e32 v57, v4, v60
	v_add_f32_e32 v83, v83, v45
	v_add_f32_e32 v85, v85, v37
	;; [unrolled: 1-line block ×9, first 2 shown]
.LBB33_41:                              ;   in Loop: Header=BB33_42 Depth=1
	s_wait_alu 0xfffe
	s_or_b32 exec_lo, exec_lo, s14
	v_add_nc_u32_e32 v73, 4, v73
	v_add_co_u32 v69, s0, v69, 16
	s_wait_alu 0xf1ff
	v_add_co_ci_u32_e64 v70, null, 0, v70, s0
	s_delay_alu instid0(VALU_DEP_3)
	v_cmp_le_i32_e32 vcc_lo, s25, v73
	v_add_nc_u32_e32 v72, 64, v72
	v_add_nc_u32_e32 v97, 0x100, v97
	s_or_b32 s12, vcc_lo, s12
	s_wait_alu 0xfffe
	s_and_not1_b32 exec_lo, exec_lo, s12
	s_cbranch_execz .LBB33_75
.LBB33_42:                              ; =>This Inner Loop Header: Depth=1
	v_sub_nc_u32_e32 v1, 0, v72
	s_delay_alu instid0(VALU_DEP_1) | instskip(NEXT) | instid1(VALU_DEP_1)
	v_max_i32_e32 v1, v72, v1
	v_mul_hi_u32 v2, v1, s24
	s_delay_alu instid0(VALU_DEP_1) | instskip(NEXT) | instid1(VALU_DEP_1)
	v_mul_lo_u32 v3, v2, s16
	v_sub_nc_u32_e32 v1, v1, v3
	v_add_nc_u32_e32 v3, 1, v2
	s_delay_alu instid0(VALU_DEP_2) | instskip(SKIP_2) | instid1(VALU_DEP_2)
	v_subrev_nc_u32_e32 v4, s16, v1
	v_cmp_le_u32_e32 vcc_lo, s16, v1
	s_wait_alu 0xfffd
	v_dual_cndmask_b32 v2, v2, v3 :: v_dual_cndmask_b32 v1, v1, v4
	v_ashrrev_i32_e32 v3, 31, v72
	s_delay_alu instid0(VALU_DEP_2) | instskip(NEXT) | instid1(VALU_DEP_3)
	v_add_nc_u32_e32 v4, 1, v2
	v_cmp_le_u32_e32 vcc_lo, s16, v1
	s_delay_alu instid0(VALU_DEP_3) | instskip(SKIP_1) | instid1(VALU_DEP_3)
	v_xor_b32_e32 v3, s11, v3
	s_wait_alu 0xfffd
	v_cndmask_b32_e32 v1, v2, v4, vcc_lo
	s_delay_alu instid0(VALU_DEP_1) | instskip(NEXT) | instid1(VALU_DEP_1)
	v_xor_b32_e32 v1, v1, v3
	v_sub_nc_u32_e32 v1, v1, v3
	s_delay_alu instid0(VALU_DEP_1) | instskip(SKIP_1) | instid1(VALU_DEP_2)
	v_add_nc_u32_e32 v2, s23, v1
	v_cmp_lt_i32_e64 s0, s5, v1
	v_sub_nc_u32_e32 v3, 0, v2
	s_delay_alu instid0(VALU_DEP_1) | instskip(SKIP_1) | instid1(VALU_DEP_1)
	v_max_i32_e32 v3, v2, v3
	s_wait_alu 0xfffe
	v_mul_hi_u32 v4, v3, s13
	s_delay_alu instid0(VALU_DEP_1) | instskip(NEXT) | instid1(VALU_DEP_1)
	v_mul_lo_u32 v4, v4, s3
	v_sub_nc_u32_e32 v3, v3, v4
	s_delay_alu instid0(VALU_DEP_1) | instskip(SKIP_2) | instid1(VALU_DEP_2)
	v_subrev_nc_u32_e32 v4, s3, v3
	v_cmp_le_u32_e32 vcc_lo, s3, v3
	s_wait_alu 0xfffd
	v_cndmask_b32_e32 v3, v3, v4, vcc_lo
	v_ashrrev_i32_e32 v2, 31, v2
	s_delay_alu instid0(VALU_DEP_2) | instskip(SKIP_2) | instid1(VALU_DEP_2)
	v_subrev_nc_u32_e32 v4, s3, v3
	v_cmp_le_u32_e32 vcc_lo, s3, v3
	s_wait_alu 0xfffd
	v_cndmask_b32_e32 v3, v3, v4, vcc_lo
	s_delay_alu instid0(VALU_DEP_1) | instskip(NEXT) | instid1(VALU_DEP_1)
	v_xor_b32_e32 v3, v3, v2
	v_sub_nc_u32_e32 v2, v3, v2
	s_delay_alu instid0(VALU_DEP_1)
	v_cmp_eq_u32_e32 vcc_lo, 0, v2
	s_or_b32 s0, vcc_lo, s0
	s_wait_alu 0xfffe
	s_and_saveexec_b32 s14, s0
	s_cbranch_execz .LBB33_41
; %bb.43:                               ;   in Loop: Header=BB33_42 Depth=1
	global_load_b32 v1, v[69:70], off
	v_add_nc_u32_e32 v98, v94, v72
	s_delay_alu instid0(VALU_DEP_1) | instskip(SKIP_4) | instid1(VALU_DEP_1)
	v_add_nc_u32_e32 v101, 1, v98
	v_add_nc_u32_e32 v100, 2, v98
	;; [unrolled: 1-line block ×3, first 2 shown]
	s_wait_loadcnt 0x0
	v_mad_co_i64_i32 v[1:2], null, v1, s9, 0
	v_lshlrev_b64_e32 v[1:2], 2, v[1:2]
	s_delay_alu instid0(VALU_DEP_1) | instskip(SKIP_1) | instid1(VALU_DEP_2)
	v_add_co_u32 v53, vcc_lo, v95, v1
	s_wait_alu 0xfffd
	v_add_co_ci_u32_e64 v54, null, v96, v2, vcc_lo
	ds_load_b128 v[1:4], v97
	v_cmp_eq_u32_e32 vcc_lo, s10, v73
	global_load_b128 v[5:8], v[53:54], off
	s_and_saveexec_b32 s15, vcc_lo
	s_cbranch_execnz .LBB33_59
; %bb.44:                               ;   in Loop: Header=BB33_42 Depth=1
	s_wait_alu 0xfffe
	s_or_b32 exec_lo, exec_lo, s15
	global_load_b128 v[9:12], v[53:54], off offset:512
	s_and_saveexec_b32 s15, vcc_lo
	s_cbranch_execnz .LBB33_60
.LBB33_45:                              ;   in Loop: Header=BB33_42 Depth=1
	s_wait_alu 0xfffe
	s_or_b32 exec_lo, exec_lo, s15
	global_load_b128 v[13:16], v[53:54], off offset:1024
	s_and_saveexec_b32 s15, vcc_lo
	s_cbranch_execnz .LBB33_61
.LBB33_46:                              ;   in Loop: Header=BB33_42 Depth=1
	s_wait_alu 0xfffe
	s_or_b32 exec_lo, exec_lo, s15
	global_load_b128 v[17:20], v[53:54], off offset:1536
	s_and_saveexec_b32 s15, vcc_lo
	s_cbranch_execnz .LBB33_62
.LBB33_47:                              ;   in Loop: Header=BB33_42 Depth=1
	s_wait_alu 0xfffe
	s_or_b32 exec_lo, exec_lo, s15
	global_load_b128 v[21:24], v[53:54], off offset:2048
	s_and_saveexec_b32 s15, vcc_lo
	s_cbranch_execnz .LBB33_63
.LBB33_48:                              ;   in Loop: Header=BB33_42 Depth=1
	s_wait_alu 0xfffe
	s_or_b32 exec_lo, exec_lo, s15
	global_load_b128 v[25:28], v[53:54], off offset:2560
	s_and_saveexec_b32 s15, vcc_lo
	s_cbranch_execnz .LBB33_64
.LBB33_49:                              ;   in Loop: Header=BB33_42 Depth=1
	s_wait_alu 0xfffe
	s_or_b32 exec_lo, exec_lo, s15
	global_load_b128 v[29:32], v[53:54], off offset:3072
	s_and_saveexec_b32 s15, vcc_lo
	s_cbranch_execnz .LBB33_65
.LBB33_50:                              ;   in Loop: Header=BB33_42 Depth=1
	s_wait_alu 0xfffe
	s_or_b32 exec_lo, exec_lo, s15
	global_load_b128 v[33:36], v[53:54], off offset:3584
	s_and_saveexec_b32 s15, vcc_lo
	s_cbranch_execnz .LBB33_66
.LBB33_51:                              ;   in Loop: Header=BB33_42 Depth=1
	s_wait_alu 0xfffe
	s_or_b32 exec_lo, exec_lo, s15
	global_load_b128 v[37:40], v[53:54], off offset:4096
	s_and_saveexec_b32 s15, vcc_lo
	s_cbranch_execnz .LBB33_67
.LBB33_52:                              ;   in Loop: Header=BB33_42 Depth=1
	s_wait_alu 0xfffe
	s_or_b32 exec_lo, exec_lo, s15
	global_load_b128 v[41:44], v[53:54], off offset:4608
	s_and_saveexec_b32 s15, vcc_lo
	s_cbranch_execnz .LBB33_68
.LBB33_53:                              ;   in Loop: Header=BB33_42 Depth=1
	s_wait_alu 0xfffe
	s_or_b32 exec_lo, exec_lo, s15
	global_load_b128 v[45:48], v[53:54], off offset:5120
	s_and_saveexec_b32 s15, vcc_lo
	s_cbranch_execnz .LBB33_69
.LBB33_54:                              ;   in Loop: Header=BB33_42 Depth=1
	s_wait_alu 0xfffe
	s_or_b32 exec_lo, exec_lo, s15
	global_load_b128 v[49:52], v[53:54], off offset:5632
	s_and_saveexec_b32 s15, vcc_lo
	s_cbranch_execnz .LBB33_70
.LBB33_55:                              ;   in Loop: Header=BB33_42 Depth=1
	s_wait_alu 0xfffe
	s_or_b32 exec_lo, exec_lo, s15
	global_load_b128 v[57:60], v[53:54], off offset:6144
	s_and_saveexec_b32 s15, vcc_lo
	s_cbranch_execnz .LBB33_71
.LBB33_56:                              ;   in Loop: Header=BB33_42 Depth=1
	s_wait_alu 0xfffe
	s_or_b32 exec_lo, exec_lo, s15
	global_load_b128 v[61:64], v[53:54], off offset:6656
	s_and_saveexec_b32 s15, vcc_lo
	s_cbranch_execnz .LBB33_72
.LBB33_57:                              ;   in Loop: Header=BB33_42 Depth=1
	s_wait_alu 0xfffe
	s_or_b32 exec_lo, exec_lo, s15
	global_load_b128 v[65:68], v[53:54], off offset:7168
	s_and_saveexec_b32 s15, vcc_lo
	s_cbranch_execnz .LBB33_73
.LBB33_58:                              ;   in Loop: Header=BB33_42 Depth=1
	s_wait_alu 0xfffe
	s_or_b32 exec_lo, exec_lo, s15
	global_load_b128 v[53:56], v[53:54], off offset:7680
	s_and_saveexec_b32 s0, vcc_lo
	s_cbranch_execz .LBB33_40
	s_branch .LBB33_74
.LBB33_59:                              ;   in Loop: Header=BB33_42 Depth=1
	v_cmp_gt_i32_e64 s0, s21, v98
	s_wait_loadcnt 0x0
	s_wait_alu 0xf1ff
	s_delay_alu instid0(VALU_DEP_1) | instskip(SKIP_2) | instid1(VALU_DEP_1)
	v_cndmask_b32_e64 v5, 0, v5, s0
	v_cmp_gt_i32_e64 s0, s21, v101
	s_wait_alu 0xf1ff
	v_cndmask_b32_e64 v6, 0, v6, s0
	v_cmp_gt_i32_e64 s0, s21, v100
	s_wait_alu 0xf1ff
	s_delay_alu instid0(VALU_DEP_1) | instskip(SKIP_2) | instid1(VALU_DEP_1)
	v_cndmask_b32_e64 v7, 0, v7, s0
	v_cmp_gt_i32_e64 s0, s21, v99
	s_wait_alu 0xf1ff
	v_cndmask_b32_e64 v8, 0, v8, s0
	s_wait_alu 0xfffe
	s_or_b32 exec_lo, exec_lo, s15
	global_load_b128 v[9:12], v[53:54], off offset:512
	s_and_saveexec_b32 s15, vcc_lo
	s_cbranch_execz .LBB33_45
.LBB33_60:                              ;   in Loop: Header=BB33_42 Depth=1
	v_cmp_gt_i32_e64 s0, s21, v98
	s_wait_loadcnt 0x0
	s_wait_alu 0xf1ff
	s_delay_alu instid0(VALU_DEP_1) | instskip(SKIP_2) | instid1(VALU_DEP_1)
	v_cndmask_b32_e64 v9, 0, v9, s0
	v_cmp_gt_i32_e64 s0, s21, v101
	s_wait_alu 0xf1ff
	v_cndmask_b32_e64 v10, 0, v10, s0
	v_cmp_gt_i32_e64 s0, s21, v100
	s_wait_alu 0xf1ff
	s_delay_alu instid0(VALU_DEP_1) | instskip(SKIP_2) | instid1(VALU_DEP_1)
	v_cndmask_b32_e64 v11, 0, v11, s0
	v_cmp_gt_i32_e64 s0, s21, v99
	s_wait_alu 0xf1ff
	v_cndmask_b32_e64 v12, 0, v12, s0
	s_wait_alu 0xfffe
	s_or_b32 exec_lo, exec_lo, s15
	global_load_b128 v[13:16], v[53:54], off offset:1024
	s_and_saveexec_b32 s15, vcc_lo
	s_cbranch_execz .LBB33_46
.LBB33_61:                              ;   in Loop: Header=BB33_42 Depth=1
	v_cmp_gt_i32_e64 s0, s21, v98
	s_wait_loadcnt 0x0
	s_wait_alu 0xf1ff
	s_delay_alu instid0(VALU_DEP_1) | instskip(SKIP_2) | instid1(VALU_DEP_1)
	v_cndmask_b32_e64 v13, 0, v13, s0
	v_cmp_gt_i32_e64 s0, s21, v101
	s_wait_alu 0xf1ff
	v_cndmask_b32_e64 v14, 0, v14, s0
	v_cmp_gt_i32_e64 s0, s21, v100
	s_wait_alu 0xf1ff
	s_delay_alu instid0(VALU_DEP_1) | instskip(SKIP_2) | instid1(VALU_DEP_1)
	v_cndmask_b32_e64 v15, 0, v15, s0
	v_cmp_gt_i32_e64 s0, s21, v99
	s_wait_alu 0xf1ff
	v_cndmask_b32_e64 v16, 0, v16, s0
	s_wait_alu 0xfffe
	s_or_b32 exec_lo, exec_lo, s15
	global_load_b128 v[17:20], v[53:54], off offset:1536
	s_and_saveexec_b32 s15, vcc_lo
	s_cbranch_execz .LBB33_47
.LBB33_62:                              ;   in Loop: Header=BB33_42 Depth=1
	v_cmp_gt_i32_e64 s0, s21, v98
	s_wait_loadcnt 0x0
	s_wait_alu 0xf1ff
	s_delay_alu instid0(VALU_DEP_1) | instskip(SKIP_2) | instid1(VALU_DEP_1)
	v_cndmask_b32_e64 v17, 0, v17, s0
	v_cmp_gt_i32_e64 s0, s21, v101
	s_wait_alu 0xf1ff
	v_cndmask_b32_e64 v18, 0, v18, s0
	v_cmp_gt_i32_e64 s0, s21, v100
	s_wait_alu 0xf1ff
	s_delay_alu instid0(VALU_DEP_1) | instskip(SKIP_2) | instid1(VALU_DEP_1)
	v_cndmask_b32_e64 v19, 0, v19, s0
	v_cmp_gt_i32_e64 s0, s21, v99
	s_wait_alu 0xf1ff
	v_cndmask_b32_e64 v20, 0, v20, s0
	s_wait_alu 0xfffe
	s_or_b32 exec_lo, exec_lo, s15
	global_load_b128 v[21:24], v[53:54], off offset:2048
	s_and_saveexec_b32 s15, vcc_lo
	s_cbranch_execz .LBB33_48
.LBB33_63:                              ;   in Loop: Header=BB33_42 Depth=1
	v_cmp_gt_i32_e64 s0, s21, v98
	s_wait_loadcnt 0x0
	s_wait_alu 0xf1ff
	s_delay_alu instid0(VALU_DEP_1) | instskip(SKIP_2) | instid1(VALU_DEP_1)
	v_cndmask_b32_e64 v21, 0, v21, s0
	v_cmp_gt_i32_e64 s0, s21, v101
	s_wait_alu 0xf1ff
	v_cndmask_b32_e64 v22, 0, v22, s0
	v_cmp_gt_i32_e64 s0, s21, v100
	s_wait_alu 0xf1ff
	s_delay_alu instid0(VALU_DEP_1) | instskip(SKIP_2) | instid1(VALU_DEP_1)
	v_cndmask_b32_e64 v23, 0, v23, s0
	v_cmp_gt_i32_e64 s0, s21, v99
	s_wait_alu 0xf1ff
	v_cndmask_b32_e64 v24, 0, v24, s0
	s_wait_alu 0xfffe
	s_or_b32 exec_lo, exec_lo, s15
	global_load_b128 v[25:28], v[53:54], off offset:2560
	s_and_saveexec_b32 s15, vcc_lo
	s_cbranch_execz .LBB33_49
.LBB33_64:                              ;   in Loop: Header=BB33_42 Depth=1
	v_cmp_gt_i32_e64 s0, s21, v98
	s_wait_loadcnt 0x0
	s_wait_alu 0xf1ff
	s_delay_alu instid0(VALU_DEP_1) | instskip(SKIP_2) | instid1(VALU_DEP_1)
	v_cndmask_b32_e64 v25, 0, v25, s0
	v_cmp_gt_i32_e64 s0, s21, v101
	s_wait_alu 0xf1ff
	v_cndmask_b32_e64 v26, 0, v26, s0
	v_cmp_gt_i32_e64 s0, s21, v100
	s_wait_alu 0xf1ff
	s_delay_alu instid0(VALU_DEP_1) | instskip(SKIP_2) | instid1(VALU_DEP_1)
	v_cndmask_b32_e64 v27, 0, v27, s0
	v_cmp_gt_i32_e64 s0, s21, v99
	s_wait_alu 0xf1ff
	v_cndmask_b32_e64 v28, 0, v28, s0
	s_wait_alu 0xfffe
	s_or_b32 exec_lo, exec_lo, s15
	global_load_b128 v[29:32], v[53:54], off offset:3072
	s_and_saveexec_b32 s15, vcc_lo
	s_cbranch_execz .LBB33_50
.LBB33_65:                              ;   in Loop: Header=BB33_42 Depth=1
	v_cmp_gt_i32_e64 s0, s21, v98
	s_wait_loadcnt 0x0
	s_wait_alu 0xf1ff
	s_delay_alu instid0(VALU_DEP_1) | instskip(SKIP_2) | instid1(VALU_DEP_1)
	v_cndmask_b32_e64 v29, 0, v29, s0
	v_cmp_gt_i32_e64 s0, s21, v101
	s_wait_alu 0xf1ff
	v_cndmask_b32_e64 v30, 0, v30, s0
	v_cmp_gt_i32_e64 s0, s21, v100
	s_wait_alu 0xf1ff
	s_delay_alu instid0(VALU_DEP_1) | instskip(SKIP_2) | instid1(VALU_DEP_1)
	v_cndmask_b32_e64 v31, 0, v31, s0
	v_cmp_gt_i32_e64 s0, s21, v99
	s_wait_alu 0xf1ff
	v_cndmask_b32_e64 v32, 0, v32, s0
	s_wait_alu 0xfffe
	s_or_b32 exec_lo, exec_lo, s15
	global_load_b128 v[33:36], v[53:54], off offset:3584
	s_and_saveexec_b32 s15, vcc_lo
	s_cbranch_execz .LBB33_51
.LBB33_66:                              ;   in Loop: Header=BB33_42 Depth=1
	v_cmp_gt_i32_e64 s0, s21, v98
	s_wait_loadcnt 0x0
	s_wait_alu 0xf1ff
	s_delay_alu instid0(VALU_DEP_1) | instskip(SKIP_2) | instid1(VALU_DEP_1)
	v_cndmask_b32_e64 v33, 0, v33, s0
	v_cmp_gt_i32_e64 s0, s21, v101
	s_wait_alu 0xf1ff
	v_cndmask_b32_e64 v34, 0, v34, s0
	v_cmp_gt_i32_e64 s0, s21, v100
	s_wait_alu 0xf1ff
	s_delay_alu instid0(VALU_DEP_1) | instskip(SKIP_2) | instid1(VALU_DEP_1)
	v_cndmask_b32_e64 v35, 0, v35, s0
	v_cmp_gt_i32_e64 s0, s21, v99
	s_wait_alu 0xf1ff
	v_cndmask_b32_e64 v36, 0, v36, s0
	s_wait_alu 0xfffe
	s_or_b32 exec_lo, exec_lo, s15
	global_load_b128 v[37:40], v[53:54], off offset:4096
	s_and_saveexec_b32 s15, vcc_lo
	s_cbranch_execz .LBB33_52
.LBB33_67:                              ;   in Loop: Header=BB33_42 Depth=1
	v_cmp_gt_i32_e64 s0, s21, v98
	s_wait_loadcnt 0x0
	s_wait_alu 0xf1ff
	s_delay_alu instid0(VALU_DEP_1) | instskip(SKIP_2) | instid1(VALU_DEP_1)
	v_cndmask_b32_e64 v37, 0, v37, s0
	v_cmp_gt_i32_e64 s0, s21, v101
	s_wait_alu 0xf1ff
	v_cndmask_b32_e64 v38, 0, v38, s0
	v_cmp_gt_i32_e64 s0, s21, v100
	s_wait_alu 0xf1ff
	s_delay_alu instid0(VALU_DEP_1) | instskip(SKIP_2) | instid1(VALU_DEP_1)
	v_cndmask_b32_e64 v39, 0, v39, s0
	v_cmp_gt_i32_e64 s0, s21, v99
	s_wait_alu 0xf1ff
	v_cndmask_b32_e64 v40, 0, v40, s0
	s_wait_alu 0xfffe
	s_or_b32 exec_lo, exec_lo, s15
	global_load_b128 v[41:44], v[53:54], off offset:4608
	s_and_saveexec_b32 s15, vcc_lo
	s_cbranch_execz .LBB33_53
.LBB33_68:                              ;   in Loop: Header=BB33_42 Depth=1
	v_cmp_gt_i32_e64 s0, s21, v98
	s_wait_loadcnt 0x0
	s_wait_alu 0xf1ff
	s_delay_alu instid0(VALU_DEP_1) | instskip(SKIP_2) | instid1(VALU_DEP_1)
	v_cndmask_b32_e64 v41, 0, v41, s0
	v_cmp_gt_i32_e64 s0, s21, v101
	s_wait_alu 0xf1ff
	v_cndmask_b32_e64 v42, 0, v42, s0
	v_cmp_gt_i32_e64 s0, s21, v100
	s_wait_alu 0xf1ff
	s_delay_alu instid0(VALU_DEP_1) | instskip(SKIP_2) | instid1(VALU_DEP_1)
	v_cndmask_b32_e64 v43, 0, v43, s0
	v_cmp_gt_i32_e64 s0, s21, v99
	s_wait_alu 0xf1ff
	v_cndmask_b32_e64 v44, 0, v44, s0
	s_wait_alu 0xfffe
	s_or_b32 exec_lo, exec_lo, s15
	global_load_b128 v[45:48], v[53:54], off offset:5120
	s_and_saveexec_b32 s15, vcc_lo
	s_cbranch_execz .LBB33_54
.LBB33_69:                              ;   in Loop: Header=BB33_42 Depth=1
	v_cmp_gt_i32_e64 s0, s21, v98
	s_wait_loadcnt 0x0
	s_wait_alu 0xf1ff
	s_delay_alu instid0(VALU_DEP_1) | instskip(SKIP_2) | instid1(VALU_DEP_1)
	v_cndmask_b32_e64 v45, 0, v45, s0
	v_cmp_gt_i32_e64 s0, s21, v101
	s_wait_alu 0xf1ff
	v_cndmask_b32_e64 v46, 0, v46, s0
	v_cmp_gt_i32_e64 s0, s21, v100
	s_wait_alu 0xf1ff
	s_delay_alu instid0(VALU_DEP_1) | instskip(SKIP_2) | instid1(VALU_DEP_1)
	v_cndmask_b32_e64 v47, 0, v47, s0
	v_cmp_gt_i32_e64 s0, s21, v99
	s_wait_alu 0xf1ff
	v_cndmask_b32_e64 v48, 0, v48, s0
	s_wait_alu 0xfffe
	s_or_b32 exec_lo, exec_lo, s15
	global_load_b128 v[49:52], v[53:54], off offset:5632
	s_and_saveexec_b32 s15, vcc_lo
	s_cbranch_execz .LBB33_55
.LBB33_70:                              ;   in Loop: Header=BB33_42 Depth=1
	v_cmp_gt_i32_e64 s0, s21, v98
	s_wait_loadcnt 0x0
	s_wait_alu 0xf1ff
	s_delay_alu instid0(VALU_DEP_1) | instskip(SKIP_2) | instid1(VALU_DEP_1)
	v_cndmask_b32_e64 v49, 0, v49, s0
	v_cmp_gt_i32_e64 s0, s21, v101
	s_wait_alu 0xf1ff
	v_cndmask_b32_e64 v50, 0, v50, s0
	v_cmp_gt_i32_e64 s0, s21, v100
	s_wait_alu 0xf1ff
	s_delay_alu instid0(VALU_DEP_1) | instskip(SKIP_2) | instid1(VALU_DEP_1)
	v_cndmask_b32_e64 v51, 0, v51, s0
	v_cmp_gt_i32_e64 s0, s21, v99
	s_wait_alu 0xf1ff
	v_cndmask_b32_e64 v52, 0, v52, s0
	s_wait_alu 0xfffe
	s_or_b32 exec_lo, exec_lo, s15
	global_load_b128 v[57:60], v[53:54], off offset:6144
	s_and_saveexec_b32 s15, vcc_lo
	s_cbranch_execz .LBB33_56
.LBB33_71:                              ;   in Loop: Header=BB33_42 Depth=1
	v_cmp_gt_i32_e64 s0, s21, v98
	s_wait_loadcnt 0x0
	s_wait_alu 0xf1ff
	s_delay_alu instid0(VALU_DEP_1) | instskip(SKIP_2) | instid1(VALU_DEP_1)
	v_cndmask_b32_e64 v57, 0, v57, s0
	v_cmp_gt_i32_e64 s0, s21, v101
	s_wait_alu 0xf1ff
	v_cndmask_b32_e64 v58, 0, v58, s0
	v_cmp_gt_i32_e64 s0, s21, v100
	s_wait_alu 0xf1ff
	s_delay_alu instid0(VALU_DEP_1) | instskip(SKIP_2) | instid1(VALU_DEP_1)
	v_cndmask_b32_e64 v59, 0, v59, s0
	v_cmp_gt_i32_e64 s0, s21, v99
	s_wait_alu 0xf1ff
	v_cndmask_b32_e64 v60, 0, v60, s0
	s_wait_alu 0xfffe
	s_or_b32 exec_lo, exec_lo, s15
	global_load_b128 v[61:64], v[53:54], off offset:6656
	s_and_saveexec_b32 s15, vcc_lo
	s_cbranch_execz .LBB33_57
.LBB33_72:                              ;   in Loop: Header=BB33_42 Depth=1
	v_cmp_gt_i32_e64 s0, s21, v98
	s_wait_loadcnt 0x0
	s_wait_alu 0xf1ff
	s_delay_alu instid0(VALU_DEP_1) | instskip(SKIP_2) | instid1(VALU_DEP_1)
	v_cndmask_b32_e64 v61, 0, v61, s0
	v_cmp_gt_i32_e64 s0, s21, v101
	s_wait_alu 0xf1ff
	v_cndmask_b32_e64 v62, 0, v62, s0
	v_cmp_gt_i32_e64 s0, s21, v100
	s_wait_alu 0xf1ff
	s_delay_alu instid0(VALU_DEP_1) | instskip(SKIP_2) | instid1(VALU_DEP_1)
	v_cndmask_b32_e64 v63, 0, v63, s0
	v_cmp_gt_i32_e64 s0, s21, v99
	s_wait_alu 0xf1ff
	v_cndmask_b32_e64 v64, 0, v64, s0
	s_wait_alu 0xfffe
	s_or_b32 exec_lo, exec_lo, s15
	global_load_b128 v[65:68], v[53:54], off offset:7168
	s_and_saveexec_b32 s15, vcc_lo
	s_cbranch_execz .LBB33_58
.LBB33_73:                              ;   in Loop: Header=BB33_42 Depth=1
	v_cmp_gt_i32_e64 s0, s21, v98
	s_wait_loadcnt 0x0
	s_wait_alu 0xf1ff
	s_delay_alu instid0(VALU_DEP_1) | instskip(SKIP_2) | instid1(VALU_DEP_1)
	v_cndmask_b32_e64 v65, 0, v65, s0
	v_cmp_gt_i32_e64 s0, s21, v101
	s_wait_alu 0xf1ff
	v_cndmask_b32_e64 v66, 0, v66, s0
	v_cmp_gt_i32_e64 s0, s21, v100
	s_wait_alu 0xf1ff
	s_delay_alu instid0(VALU_DEP_1) | instskip(SKIP_2) | instid1(VALU_DEP_1)
	v_cndmask_b32_e64 v67, 0, v67, s0
	v_cmp_gt_i32_e64 s0, s21, v99
	s_wait_alu 0xf1ff
	v_cndmask_b32_e64 v68, 0, v68, s0
	s_wait_alu 0xfffe
	s_or_b32 exec_lo, exec_lo, s15
	global_load_b128 v[53:56], v[53:54], off offset:7680
	s_and_saveexec_b32 s0, vcc_lo
	s_cbranch_execz .LBB33_40
.LBB33_74:                              ;   in Loop: Header=BB33_42 Depth=1
	v_cmp_gt_i32_e32 vcc_lo, s21, v98
	s_wait_loadcnt 0x0
	s_wait_alu 0xfffd
	v_cndmask_b32_e32 v53, 0, v53, vcc_lo
	v_cmp_gt_i32_e32 vcc_lo, s21, v101
	s_wait_alu 0xfffd
	v_cndmask_b32_e32 v54, 0, v54, vcc_lo
	v_cmp_gt_i32_e32 vcc_lo, s21, v100
	;; [unrolled: 3-line block ×3, first 2 shown]
	s_wait_alu 0xfffd
	v_cndmask_b32_e32 v56, 0, v56, vcc_lo
	s_branch .LBB33_40
.LBB33_75:
	s_or_b32 exec_lo, exec_lo, s12
.LBB33_76:
	s_wait_alu 0xfffe
	s_or_b32 exec_lo, exec_lo, s1
	ds_bpermute_b32 v1, v75, v92
	ds_bpermute_b32 v2, v75, v93
	;; [unrolled: 1-line block ×16, first 2 shown]
	s_mov_b32 s0, exec_lo
	s_wait_storecnt 0x0
	s_wait_loadcnt_dscnt 0x0
	s_barrier_signal -1
	s_barrier_wait -1
	v_dual_add_f32 v1, v92, v1 :: v_dual_add_f32 v2, v93, v2
	v_dual_add_f32 v3, v91, v3 :: v_dual_add_f32 v4, v90, v4
	;; [unrolled: 1-line block ×3, first 2 shown]
	ds_bpermute_b32 v17, v76, v1
	ds_bpermute_b32 v18, v76, v2
	v_dual_add_f32 v7, v87, v7 :: v_dual_add_f32 v8, v86, v8
	v_dual_add_f32 v9, v85, v9 :: v_dual_add_f32 v10, v84, v10
	;; [unrolled: 1-line block ×5, first 2 shown]
	ds_bpermute_b32 v19, v76, v3
	ds_bpermute_b32 v20, v76, v4
	;; [unrolled: 1-line block ×14, first 2 shown]
	s_wait_dscnt 0xe
	v_dual_add_f32 v1, v1, v17 :: v_dual_add_f32 v2, v2, v18
	v_and_b32_e32 v18, 28, v74
	v_lshrrev_b32_e32 v17, 2, v74
	s_wait_dscnt 0x0
	global_inv scope:SCOPE_SE
	v_dual_add_f32 v3, v3, v19 :: v_dual_add_f32 v4, v4, v20
	v_dual_add_f32 v5, v5, v21 :: v_dual_add_f32 v6, v6, v22
	;; [unrolled: 1-line block ×6, first 2 shown]
	v_dual_add_f32 v15, v15, v31 :: v_dual_and_b32 v20, 0x3c3, v0
	v_dual_add_f32 v16, v16, v32 :: v_dual_lshlrev_b32 v19, 9, v71
	v_add_nc_u32_e32 v18, 0x220, v18
	s_delay_alu instid0(VALU_DEP_3)
	v_cmpx_eq_u32_e32 64, v20
	s_cbranch_execz .LBB33_78
; %bb.77:
	s_delay_alu instid0(VALU_DEP_2) | instskip(NEXT) | instid1(VALU_DEP_1)
	v_add_nc_u32_e32 v20, v18, v19
	v_add_nc_u32_e32 v21, 0xfffffc00, v20
	;; [unrolled: 1-line block ×9, first 2 shown]
	ds_store_b32 v21, v1
	ds_store_b32 v22, v2
	;; [unrolled: 1-line block ×8, first 2 shown]
	v_add_nc_u32_e32 v21, 0xfffffd00, v20
	v_add_nc_u32_e32 v22, 0xfffffd20, v20
	;; [unrolled: 1-line block ×8, first 2 shown]
	ds_store_b32 v21, v9
	ds_store_b32 v22, v10
	ds_store_b32 v23, v11
	ds_store_b32 v24, v12
	ds_store_b32 v25, v13
	ds_store_b32 v26, v14
	ds_store_b32 v27, v15
	ds_store_b32 v20, v16
.LBB33_78:
	s_wait_alu 0xfffe
	s_or_b32 exec_lo, exec_lo, s0
	v_lshlrev_b32_e32 v17, 2, v17
	v_cmp_eq_u32_e32 vcc_lo, 0, v77
	s_wait_loadcnt_dscnt 0x0
	s_barrier_signal -1
	s_barrier_wait -1
	v_add3_u32 v17, 0x220, v19, v17
	global_inv scope:SCOPE_SE
	s_and_saveexec_b32 s0, s2
	s_cbranch_execz .LBB33_97
; %bb.79:
	s_and_saveexec_b32 s1, vcc_lo
	s_cbranch_execnz .LBB33_121
; %bb.80:
	s_wait_alu 0xfffe
	s_or_b32 exec_lo, exec_lo, s1
	s_and_saveexec_b32 s1, vcc_lo
	s_cbranch_execnz .LBB33_122
.LBB33_81:
	s_wait_alu 0xfffe
	s_or_b32 exec_lo, exec_lo, s1
	s_and_saveexec_b32 s1, vcc_lo
	s_cbranch_execnz .LBB33_123
.LBB33_82:
	s_wait_alu 0xfffe
	s_or_b32 exec_lo, exec_lo, s1
	s_and_saveexec_b32 s1, vcc_lo
	s_cbranch_execnz .LBB33_124
.LBB33_83:
	s_wait_alu 0xfffe
	s_or_b32 exec_lo, exec_lo, s1
	s_and_saveexec_b32 s1, vcc_lo
	s_cbranch_execnz .LBB33_125
.LBB33_84:
	s_wait_alu 0xfffe
	s_or_b32 exec_lo, exec_lo, s1
	s_and_saveexec_b32 s1, vcc_lo
	s_cbranch_execnz .LBB33_126
.LBB33_85:
	s_wait_alu 0xfffe
	s_or_b32 exec_lo, exec_lo, s1
	s_and_saveexec_b32 s1, vcc_lo
	s_cbranch_execnz .LBB33_127
.LBB33_86:
	s_wait_alu 0xfffe
	s_or_b32 exec_lo, exec_lo, s1
	s_and_saveexec_b32 s1, vcc_lo
	s_cbranch_execnz .LBB33_128
.LBB33_87:
	s_wait_alu 0xfffe
	s_or_b32 exec_lo, exec_lo, s1
	s_and_saveexec_b32 s1, vcc_lo
	s_cbranch_execnz .LBB33_129
.LBB33_88:
	s_wait_alu 0xfffe
	s_or_b32 exec_lo, exec_lo, s1
	s_and_saveexec_b32 s1, vcc_lo
	s_cbranch_execnz .LBB33_130
.LBB33_89:
	s_wait_alu 0xfffe
	s_or_b32 exec_lo, exec_lo, s1
	s_and_saveexec_b32 s1, vcc_lo
	s_cbranch_execnz .LBB33_131
.LBB33_90:
	s_wait_alu 0xfffe
	s_or_b32 exec_lo, exec_lo, s1
	s_and_saveexec_b32 s1, vcc_lo
	s_cbranch_execnz .LBB33_132
.LBB33_91:
	s_wait_alu 0xfffe
	s_or_b32 exec_lo, exec_lo, s1
	s_and_saveexec_b32 s1, vcc_lo
	s_cbranch_execnz .LBB33_133
.LBB33_92:
	s_wait_alu 0xfffe
	s_or_b32 exec_lo, exec_lo, s1
	s_and_saveexec_b32 s1, vcc_lo
	s_cbranch_execnz .LBB33_134
.LBB33_93:
	s_wait_alu 0xfffe
	s_or_b32 exec_lo, exec_lo, s1
	s_and_saveexec_b32 s1, vcc_lo
	s_cbranch_execnz .LBB33_135
.LBB33_94:
	s_wait_alu 0xfffe
	s_or_b32 exec_lo, exec_lo, s1
	s_and_saveexec_b32 s1, vcc_lo
	s_cbranch_execz .LBB33_96
.LBB33_95:
	ds_load_b32 v19, v17 offset:480
	s_wait_dscnt 0x0
	v_add_f32_e32 v16, v16, v19
.LBB33_96:
	s_wait_alu 0xfffe
	s_or_b32 exec_lo, exec_lo, s1
.LBB33_97:
	s_wait_alu 0xfffe
	s_or_b32 exec_lo, exec_lo, s0
	v_and_b32_e32 v19, 0x3e3, v0
	s_mov_b32 s1, exec_lo
	s_wait_loadcnt 0x0
	s_barrier_signal -1
	s_barrier_wait -1
	global_inv scope:SCOPE_SE
	v_cmpx_eq_u32_e32 32, v19
	s_cbranch_execz .LBB33_99
; %bb.98:
	ds_store_2addr_b32 v18, v1, v2 offset1:8
	ds_store_2addr_b32 v18, v3, v4 offset0:16 offset1:24
	ds_store_2addr_b32 v18, v5, v6 offset0:32 offset1:40
	;; [unrolled: 1-line block ×7, first 2 shown]
.LBB33_99:
	s_wait_alu 0xfffe
	s_or_b32 exec_lo, exec_lo, s1
	s_delay_alu instid0(SALU_CYCLE_1)
	s_mov_b32 s1, exec_lo
	s_wait_loadcnt_dscnt 0x0
	s_barrier_signal -1
	s_barrier_wait -1
	global_inv scope:SCOPE_SE
	v_cmpx_gt_u32_e32 32, v0
	s_cbranch_execz .LBB33_118
; %bb.100:
	s_and_saveexec_b32 s0, vcc_lo
	s_cbranch_execnz .LBB33_136
; %bb.101:
	s_wait_alu 0xfffe
	s_or_b32 exec_lo, exec_lo, s0
	s_and_saveexec_b32 s0, vcc_lo
	s_cbranch_execnz .LBB33_137
.LBB33_102:
	s_wait_alu 0xfffe
	s_or_b32 exec_lo, exec_lo, s0
	s_and_saveexec_b32 s0, vcc_lo
	s_cbranch_execnz .LBB33_138
.LBB33_103:
	s_wait_alu 0xfffe
	s_or_b32 exec_lo, exec_lo, s0
	s_and_saveexec_b32 s0, vcc_lo
	s_cbranch_execnz .LBB33_139
.LBB33_104:
	s_wait_alu 0xfffe
	s_or_b32 exec_lo, exec_lo, s0
	s_and_saveexec_b32 s0, vcc_lo
	s_cbranch_execnz .LBB33_140
.LBB33_105:
	s_wait_alu 0xfffe
	s_or_b32 exec_lo, exec_lo, s0
	s_and_saveexec_b32 s0, vcc_lo
	s_cbranch_execnz .LBB33_141
.LBB33_106:
	s_wait_alu 0xfffe
	s_or_b32 exec_lo, exec_lo, s0
	s_and_saveexec_b32 s0, vcc_lo
	s_cbranch_execnz .LBB33_142
.LBB33_107:
	s_wait_alu 0xfffe
	s_or_b32 exec_lo, exec_lo, s0
	s_and_saveexec_b32 s0, vcc_lo
	s_cbranch_execnz .LBB33_143
.LBB33_108:
	s_wait_alu 0xfffe
	s_or_b32 exec_lo, exec_lo, s0
	s_and_saveexec_b32 s0, vcc_lo
	s_cbranch_execnz .LBB33_144
.LBB33_109:
	s_wait_alu 0xfffe
	s_or_b32 exec_lo, exec_lo, s0
	s_and_saveexec_b32 s0, vcc_lo
	s_cbranch_execnz .LBB33_145
.LBB33_110:
	s_wait_alu 0xfffe
	s_or_b32 exec_lo, exec_lo, s0
	s_and_saveexec_b32 s0, vcc_lo
	s_cbranch_execnz .LBB33_146
.LBB33_111:
	s_wait_alu 0xfffe
	s_or_b32 exec_lo, exec_lo, s0
	s_and_saveexec_b32 s0, vcc_lo
	s_cbranch_execnz .LBB33_147
.LBB33_112:
	s_wait_alu 0xfffe
	s_or_b32 exec_lo, exec_lo, s0
	s_and_saveexec_b32 s0, vcc_lo
	s_cbranch_execnz .LBB33_148
.LBB33_113:
	s_wait_alu 0xfffe
	s_or_b32 exec_lo, exec_lo, s0
	s_and_saveexec_b32 s0, vcc_lo
	s_cbranch_execnz .LBB33_149
.LBB33_114:
	s_wait_alu 0xfffe
	s_or_b32 exec_lo, exec_lo, s0
	s_and_saveexec_b32 s0, vcc_lo
	s_cbranch_execnz .LBB33_150
.LBB33_115:
	s_wait_alu 0xfffe
	s_or_b32 exec_lo, exec_lo, s0
	s_and_saveexec_b32 s0, vcc_lo
	s_cbranch_execz .LBB33_117
.LBB33_116:
	ds_load_b32 v17, v17 offset:480
	s_wait_dscnt 0x0
	v_add_f32_e32 v16, v16, v17
.LBB33_117:
	s_wait_alu 0xfffe
	s_or_b32 exec_lo, exec_lo, s0
.LBB33_118:
	s_wait_alu 0xfffe
	s_or_b32 exec_lo, exec_lo, s1
	s_mov_b32 s21, 0
	s_wait_loadcnt 0x0
	s_barrier_signal -1
	s_barrier_wait -1
	global_inv scope:SCOPE_SE
	s_mov_b32 s0, exec_lo
	v_cmpx_eq_u32_e32 0, v19
	s_cbranch_execz .LBB33_120
; %bb.119:
	s_lshl_b32 s0, s4, 7
	s_mul_i32 s2, s8, s22
	s_wait_alu 0xfffe
	s_ashr_i32 s1, s0, 31
	s_ashr_i32 s3, s2, 31
	s_wait_alu 0xfffe
	s_lshl_b64 s[0:1], s[0:1], 2
	s_lshl_b64 s[2:3], s[2:3], 2
	s_wait_kmcnt 0x0
	s_wait_alu 0xfffe
	s_add_nc_u64 s[0:1], s[6:7], s[0:1]
	s_wait_alu 0xfffe
	s_add_nc_u64 s[0:1], s[0:1], s[2:3]
	;; [unrolled: 2-line block ×3, first 2 shown]
	s_clause 0xf
	global_store_b32 v0, v1, s[0:1]
	global_store_b32 v0, v2, s[0:1] offset:32
	global_store_b32 v0, v3, s[0:1] offset:64
	;; [unrolled: 1-line block ×15, first 2 shown]
.LBB33_120:
	s_nop 0
	s_sendmsg sendmsg(MSG_DEALLOC_VGPRS)
	s_endpgm
.LBB33_121:
	ds_load_b32 v19, v17
	s_wait_dscnt 0x0
	v_add_f32_e32 v1, v1, v19
	s_wait_alu 0xfffe
	s_or_b32 exec_lo, exec_lo, s1
	s_and_saveexec_b32 s1, vcc_lo
	s_cbranch_execz .LBB33_81
.LBB33_122:
	ds_load_b32 v19, v17 offset:32
	s_wait_dscnt 0x0
	v_add_f32_e32 v2, v2, v19
	s_wait_alu 0xfffe
	s_or_b32 exec_lo, exec_lo, s1
	s_and_saveexec_b32 s1, vcc_lo
	s_cbranch_execz .LBB33_82
.LBB33_123:
	ds_load_b32 v19, v17 offset:64
	s_wait_dscnt 0x0
	v_add_f32_e32 v3, v3, v19
	s_wait_alu 0xfffe
	s_or_b32 exec_lo, exec_lo, s1
	s_and_saveexec_b32 s1, vcc_lo
	s_cbranch_execz .LBB33_83
.LBB33_124:
	ds_load_b32 v19, v17 offset:96
	s_wait_dscnt 0x0
	v_add_f32_e32 v4, v4, v19
	s_wait_alu 0xfffe
	s_or_b32 exec_lo, exec_lo, s1
	s_and_saveexec_b32 s1, vcc_lo
	s_cbranch_execz .LBB33_84
.LBB33_125:
	ds_load_b32 v19, v17 offset:128
	s_wait_dscnt 0x0
	v_add_f32_e32 v5, v5, v19
	s_wait_alu 0xfffe
	s_or_b32 exec_lo, exec_lo, s1
	s_and_saveexec_b32 s1, vcc_lo
	s_cbranch_execz .LBB33_85
.LBB33_126:
	ds_load_b32 v19, v17 offset:160
	s_wait_dscnt 0x0
	v_add_f32_e32 v6, v6, v19
	s_wait_alu 0xfffe
	s_or_b32 exec_lo, exec_lo, s1
	s_and_saveexec_b32 s1, vcc_lo
	s_cbranch_execz .LBB33_86
.LBB33_127:
	ds_load_b32 v19, v17 offset:192
	s_wait_dscnt 0x0
	v_add_f32_e32 v7, v7, v19
	s_wait_alu 0xfffe
	s_or_b32 exec_lo, exec_lo, s1
	s_and_saveexec_b32 s1, vcc_lo
	s_cbranch_execz .LBB33_87
.LBB33_128:
	ds_load_b32 v19, v17 offset:224
	s_wait_dscnt 0x0
	v_add_f32_e32 v8, v8, v19
	s_wait_alu 0xfffe
	s_or_b32 exec_lo, exec_lo, s1
	s_and_saveexec_b32 s1, vcc_lo
	s_cbranch_execz .LBB33_88
.LBB33_129:
	ds_load_b32 v19, v17 offset:256
	s_wait_dscnt 0x0
	v_add_f32_e32 v9, v9, v19
	s_wait_alu 0xfffe
	s_or_b32 exec_lo, exec_lo, s1
	s_and_saveexec_b32 s1, vcc_lo
	s_cbranch_execz .LBB33_89
.LBB33_130:
	ds_load_b32 v19, v17 offset:288
	s_wait_dscnt 0x0
	v_add_f32_e32 v10, v10, v19
	s_wait_alu 0xfffe
	s_or_b32 exec_lo, exec_lo, s1
	s_and_saveexec_b32 s1, vcc_lo
	s_cbranch_execz .LBB33_90
.LBB33_131:
	ds_load_b32 v19, v17 offset:320
	s_wait_dscnt 0x0
	v_add_f32_e32 v11, v11, v19
	s_wait_alu 0xfffe
	s_or_b32 exec_lo, exec_lo, s1
	s_and_saveexec_b32 s1, vcc_lo
	s_cbranch_execz .LBB33_91
.LBB33_132:
	ds_load_b32 v19, v17 offset:352
	s_wait_dscnt 0x0
	v_add_f32_e32 v12, v12, v19
	s_wait_alu 0xfffe
	s_or_b32 exec_lo, exec_lo, s1
	s_and_saveexec_b32 s1, vcc_lo
	s_cbranch_execz .LBB33_92
.LBB33_133:
	ds_load_b32 v19, v17 offset:384
	s_wait_dscnt 0x0
	v_add_f32_e32 v13, v13, v19
	s_wait_alu 0xfffe
	s_or_b32 exec_lo, exec_lo, s1
	s_and_saveexec_b32 s1, vcc_lo
	s_cbranch_execz .LBB33_93
.LBB33_134:
	ds_load_b32 v19, v17 offset:416
	s_wait_dscnt 0x0
	v_add_f32_e32 v14, v14, v19
	s_wait_alu 0xfffe
	s_or_b32 exec_lo, exec_lo, s1
	s_and_saveexec_b32 s1, vcc_lo
	s_cbranch_execz .LBB33_94
.LBB33_135:
	ds_load_b32 v19, v17 offset:448
	s_wait_dscnt 0x0
	v_add_f32_e32 v15, v15, v19
	s_wait_alu 0xfffe
	s_or_b32 exec_lo, exec_lo, s1
	s_and_saveexec_b32 s1, vcc_lo
	s_cbranch_execnz .LBB33_95
	s_branch .LBB33_96
.LBB33_136:
	ds_load_b32 v18, v17
	s_wait_dscnt 0x0
	v_add_f32_e32 v1, v1, v18
	s_wait_alu 0xfffe
	s_or_b32 exec_lo, exec_lo, s0
	s_and_saveexec_b32 s0, vcc_lo
	s_cbranch_execz .LBB33_102
.LBB33_137:
	ds_load_b32 v18, v17 offset:32
	s_wait_dscnt 0x0
	v_add_f32_e32 v2, v2, v18
	s_wait_alu 0xfffe
	s_or_b32 exec_lo, exec_lo, s0
	s_and_saveexec_b32 s0, vcc_lo
	s_cbranch_execz .LBB33_103
.LBB33_138:
	ds_load_b32 v18, v17 offset:64
	s_wait_dscnt 0x0
	v_add_f32_e32 v3, v3, v18
	s_wait_alu 0xfffe
	s_or_b32 exec_lo, exec_lo, s0
	s_and_saveexec_b32 s0, vcc_lo
	s_cbranch_execz .LBB33_104
.LBB33_139:
	ds_load_b32 v18, v17 offset:96
	s_wait_dscnt 0x0
	v_add_f32_e32 v4, v4, v18
	s_wait_alu 0xfffe
	s_or_b32 exec_lo, exec_lo, s0
	s_and_saveexec_b32 s0, vcc_lo
	s_cbranch_execz .LBB33_105
.LBB33_140:
	ds_load_b32 v18, v17 offset:128
	s_wait_dscnt 0x0
	v_add_f32_e32 v5, v5, v18
	s_wait_alu 0xfffe
	s_or_b32 exec_lo, exec_lo, s0
	s_and_saveexec_b32 s0, vcc_lo
	s_cbranch_execz .LBB33_106
.LBB33_141:
	ds_load_b32 v18, v17 offset:160
	s_wait_dscnt 0x0
	v_add_f32_e32 v6, v6, v18
	s_wait_alu 0xfffe
	s_or_b32 exec_lo, exec_lo, s0
	s_and_saveexec_b32 s0, vcc_lo
	s_cbranch_execz .LBB33_107
.LBB33_142:
	ds_load_b32 v18, v17 offset:192
	s_wait_dscnt 0x0
	v_add_f32_e32 v7, v7, v18
	s_wait_alu 0xfffe
	s_or_b32 exec_lo, exec_lo, s0
	s_and_saveexec_b32 s0, vcc_lo
	s_cbranch_execz .LBB33_108
.LBB33_143:
	ds_load_b32 v18, v17 offset:224
	s_wait_dscnt 0x0
	v_add_f32_e32 v8, v8, v18
	s_wait_alu 0xfffe
	s_or_b32 exec_lo, exec_lo, s0
	s_and_saveexec_b32 s0, vcc_lo
	s_cbranch_execz .LBB33_109
.LBB33_144:
	ds_load_b32 v18, v17 offset:256
	s_wait_dscnt 0x0
	v_add_f32_e32 v9, v9, v18
	s_wait_alu 0xfffe
	s_or_b32 exec_lo, exec_lo, s0
	s_and_saveexec_b32 s0, vcc_lo
	s_cbranch_execz .LBB33_110
.LBB33_145:
	ds_load_b32 v18, v17 offset:288
	s_wait_dscnt 0x0
	v_add_f32_e32 v10, v10, v18
	s_wait_alu 0xfffe
	s_or_b32 exec_lo, exec_lo, s0
	s_and_saveexec_b32 s0, vcc_lo
	s_cbranch_execz .LBB33_111
.LBB33_146:
	ds_load_b32 v18, v17 offset:320
	s_wait_dscnt 0x0
	v_add_f32_e32 v11, v11, v18
	s_wait_alu 0xfffe
	s_or_b32 exec_lo, exec_lo, s0
	s_and_saveexec_b32 s0, vcc_lo
	s_cbranch_execz .LBB33_112
.LBB33_147:
	ds_load_b32 v18, v17 offset:352
	s_wait_dscnt 0x0
	v_add_f32_e32 v12, v12, v18
	s_wait_alu 0xfffe
	s_or_b32 exec_lo, exec_lo, s0
	s_and_saveexec_b32 s0, vcc_lo
	s_cbranch_execz .LBB33_113
.LBB33_148:
	ds_load_b32 v18, v17 offset:384
	s_wait_dscnt 0x0
	v_add_f32_e32 v13, v13, v18
	s_wait_alu 0xfffe
	s_or_b32 exec_lo, exec_lo, s0
	s_and_saveexec_b32 s0, vcc_lo
	s_cbranch_execz .LBB33_114
.LBB33_149:
	ds_load_b32 v18, v17 offset:416
	s_wait_dscnt 0x0
	v_add_f32_e32 v14, v14, v18
	s_wait_alu 0xfffe
	s_or_b32 exec_lo, exec_lo, s0
	s_and_saveexec_b32 s0, vcc_lo
	s_cbranch_execz .LBB33_115
.LBB33_150:
	ds_load_b32 v18, v17 offset:448
	s_wait_dscnt 0x0
	v_add_f32_e32 v15, v15, v18
	s_wait_alu 0xfffe
	s_or_b32 exec_lo, exec_lo, s0
	s_and_saveexec_b32 s0, vcc_lo
	s_cbranch_execnz .LBB33_116
	s_branch .LBB33_117
	.section	.rodata,"a",@progbits
	.p2align	6, 0x0
	.amdhsa_kernel _ZN4vllm25paged_attention_v2_kernelIffLi128ELi16ELi128ELNS_18Fp8KVCacheDataTypeE0ELb1ELi512EEEvPfS2_PT_PKS3_PKT0_S9_ifPKiSB_iPKfiiiSD_SD_iiiii
		.amdhsa_group_segment_fixed_size 544
		.amdhsa_private_segment_fixed_size 0
		.amdhsa_kernarg_size 400
		.amdhsa_user_sgpr_count 2
		.amdhsa_user_sgpr_dispatch_ptr 0
		.amdhsa_user_sgpr_queue_ptr 0
		.amdhsa_user_sgpr_kernarg_segment_ptr 1
		.amdhsa_user_sgpr_dispatch_id 0
		.amdhsa_user_sgpr_private_segment_size 0
		.amdhsa_wavefront_size32 1
		.amdhsa_uses_dynamic_stack 0
		.amdhsa_enable_private_segment 0
		.amdhsa_system_sgpr_workgroup_id_x 1
		.amdhsa_system_sgpr_workgroup_id_y 1
		.amdhsa_system_sgpr_workgroup_id_z 1
		.amdhsa_system_sgpr_workgroup_info 0
		.amdhsa_system_vgpr_workitem_id 0
		.amdhsa_next_free_vgpr 102
		.amdhsa_next_free_sgpr 44
		.amdhsa_reserve_vcc 1
		.amdhsa_float_round_mode_32 0
		.amdhsa_float_round_mode_16_64 0
		.amdhsa_float_denorm_mode_32 3
		.amdhsa_float_denorm_mode_16_64 3
		.amdhsa_fp16_overflow 0
		.amdhsa_workgroup_processor_mode 1
		.amdhsa_memory_ordered 1
		.amdhsa_forward_progress 1
		.amdhsa_inst_pref_size 79
		.amdhsa_round_robin_scheduling 0
		.amdhsa_exception_fp_ieee_invalid_op 0
		.amdhsa_exception_fp_denorm_src 0
		.amdhsa_exception_fp_ieee_div_zero 0
		.amdhsa_exception_fp_ieee_overflow 0
		.amdhsa_exception_fp_ieee_underflow 0
		.amdhsa_exception_fp_ieee_inexact 0
		.amdhsa_exception_int_div_zero 0
	.end_amdhsa_kernel
	.section	.text._ZN4vllm25paged_attention_v2_kernelIffLi128ELi16ELi128ELNS_18Fp8KVCacheDataTypeE0ELb1ELi512EEEvPfS2_PT_PKS3_PKT0_S9_ifPKiSB_iPKfiiiSD_SD_iiiii,"axG",@progbits,_ZN4vllm25paged_attention_v2_kernelIffLi128ELi16ELi128ELNS_18Fp8KVCacheDataTypeE0ELb1ELi512EEEvPfS2_PT_PKS3_PKT0_S9_ifPKiSB_iPKfiiiSD_SD_iiiii,comdat
.Lfunc_end33:
	.size	_ZN4vllm25paged_attention_v2_kernelIffLi128ELi16ELi128ELNS_18Fp8KVCacheDataTypeE0ELb1ELi512EEEvPfS2_PT_PKS3_PKT0_S9_ifPKiSB_iPKfiiiSD_SD_iiiii, .Lfunc_end33-_ZN4vllm25paged_attention_v2_kernelIffLi128ELi16ELi128ELNS_18Fp8KVCacheDataTypeE0ELb1ELi512EEEvPfS2_PT_PKS3_PKT0_S9_ifPKiSB_iPKfiiiSD_SD_iiiii
                                        ; -- End function
	.set _ZN4vllm25paged_attention_v2_kernelIffLi128ELi16ELi128ELNS_18Fp8KVCacheDataTypeE0ELb1ELi512EEEvPfS2_PT_PKS3_PKT0_S9_ifPKiSB_iPKfiiiSD_SD_iiiii.num_vgpr, 102
	.set _ZN4vllm25paged_attention_v2_kernelIffLi128ELi16ELi128ELNS_18Fp8KVCacheDataTypeE0ELb1ELi512EEEvPfS2_PT_PKS3_PKT0_S9_ifPKiSB_iPKfiiiSD_SD_iiiii.num_agpr, 0
	.set _ZN4vllm25paged_attention_v2_kernelIffLi128ELi16ELi128ELNS_18Fp8KVCacheDataTypeE0ELb1ELi512EEEvPfS2_PT_PKS3_PKT0_S9_ifPKiSB_iPKfiiiSD_SD_iiiii.numbered_sgpr, 44
	.set _ZN4vllm25paged_attention_v2_kernelIffLi128ELi16ELi128ELNS_18Fp8KVCacheDataTypeE0ELb1ELi512EEEvPfS2_PT_PKS3_PKT0_S9_ifPKiSB_iPKfiiiSD_SD_iiiii.num_named_barrier, 0
	.set _ZN4vllm25paged_attention_v2_kernelIffLi128ELi16ELi128ELNS_18Fp8KVCacheDataTypeE0ELb1ELi512EEEvPfS2_PT_PKS3_PKT0_S9_ifPKiSB_iPKfiiiSD_SD_iiiii.private_seg_size, 0
	.set _ZN4vllm25paged_attention_v2_kernelIffLi128ELi16ELi128ELNS_18Fp8KVCacheDataTypeE0ELb1ELi512EEEvPfS2_PT_PKS3_PKT0_S9_ifPKiSB_iPKfiiiSD_SD_iiiii.uses_vcc, 1
	.set _ZN4vllm25paged_attention_v2_kernelIffLi128ELi16ELi128ELNS_18Fp8KVCacheDataTypeE0ELb1ELi512EEEvPfS2_PT_PKS3_PKT0_S9_ifPKiSB_iPKfiiiSD_SD_iiiii.uses_flat_scratch, 0
	.set _ZN4vllm25paged_attention_v2_kernelIffLi128ELi16ELi128ELNS_18Fp8KVCacheDataTypeE0ELb1ELi512EEEvPfS2_PT_PKS3_PKT0_S9_ifPKiSB_iPKfiiiSD_SD_iiiii.has_dyn_sized_stack, 0
	.set _ZN4vllm25paged_attention_v2_kernelIffLi128ELi16ELi128ELNS_18Fp8KVCacheDataTypeE0ELb1ELi512EEEvPfS2_PT_PKS3_PKT0_S9_ifPKiSB_iPKfiiiSD_SD_iiiii.has_recursion, 0
	.set _ZN4vllm25paged_attention_v2_kernelIffLi128ELi16ELi128ELNS_18Fp8KVCacheDataTypeE0ELb1ELi512EEEvPfS2_PT_PKS3_PKT0_S9_ifPKiSB_iPKfiiiSD_SD_iiiii.has_indirect_call, 0
	.section	.AMDGPU.csdata,"",@progbits
; Kernel info:
; codeLenInByte = 10080
; TotalNumSgprs: 46
; NumVgprs: 102
; ScratchSize: 0
; MemoryBound: 0
; FloatMode: 240
; IeeeMode: 1
; LDSByteSize: 544 bytes/workgroup (compile time only)
; SGPRBlocks: 0
; VGPRBlocks: 12
; NumSGPRsForWavesPerEU: 46
; NumVGPRsForWavesPerEU: 102
; Occupancy: 12
; WaveLimiterHint : 1
; COMPUTE_PGM_RSRC2:SCRATCH_EN: 0
; COMPUTE_PGM_RSRC2:USER_SGPR: 2
; COMPUTE_PGM_RSRC2:TRAP_HANDLER: 0
; COMPUTE_PGM_RSRC2:TGID_X_EN: 1
; COMPUTE_PGM_RSRC2:TGID_Y_EN: 1
; COMPUTE_PGM_RSRC2:TGID_Z_EN: 1
; COMPUTE_PGM_RSRC2:TIDIG_COMP_CNT: 0
	.section	.text._ZN4vllm25paged_attention_v2_kernelIffLi192ELi16ELi128ELNS_18Fp8KVCacheDataTypeE0ELb1ELi512EEEvPfS2_PT_PKS3_PKT0_S9_ifPKiSB_iPKfiiiSD_SD_iiiii,"axG",@progbits,_ZN4vllm25paged_attention_v2_kernelIffLi192ELi16ELi128ELNS_18Fp8KVCacheDataTypeE0ELb1ELi512EEEvPfS2_PT_PKS3_PKT0_S9_ifPKiSB_iPKfiiiSD_SD_iiiii,comdat
	.protected	_ZN4vllm25paged_attention_v2_kernelIffLi192ELi16ELi128ELNS_18Fp8KVCacheDataTypeE0ELb1ELi512EEEvPfS2_PT_PKS3_PKT0_S9_ifPKiSB_iPKfiiiSD_SD_iiiii ; -- Begin function _ZN4vllm25paged_attention_v2_kernelIffLi192ELi16ELi128ELNS_18Fp8KVCacheDataTypeE0ELb1ELi512EEEvPfS2_PT_PKS3_PKT0_S9_ifPKiSB_iPKfiiiSD_SD_iiiii
	.globl	_ZN4vllm25paged_attention_v2_kernelIffLi192ELi16ELi128ELNS_18Fp8KVCacheDataTypeE0ELb1ELi512EEEvPfS2_PT_PKS3_PKT0_S9_ifPKiSB_iPKfiiiSD_SD_iiiii
	.p2align	8
	.type	_ZN4vllm25paged_attention_v2_kernelIffLi192ELi16ELi128ELNS_18Fp8KVCacheDataTypeE0ELb1ELi512EEEvPfS2_PT_PKS3_PKT0_S9_ifPKiSB_iPKfiiiSD_SD_iiiii,@function
_ZN4vllm25paged_attention_v2_kernelIffLi192ELi16ELi128ELNS_18Fp8KVCacheDataTypeE0ELb1ELi512EEEvPfS2_PT_PKS3_PKT0_S9_ifPKiSB_iPKfiiiSD_SD_iiiii: ; @_ZN4vllm25paged_attention_v2_kernelIffLi192ELi16ELi128ELNS_18Fp8KVCacheDataTypeE0ELb1ELi512EEEvPfS2_PT_PKS3_PKT0_S9_ifPKiSB_iPKfiiiSD_SD_iiiii
; %bb.0:
	s_load_b64 s[2:3], s[0:1], 0x40
	s_and_b32 s18, ttmp7, 0xffff
	s_lshr_b32 s30, ttmp7, 16
	s_lshl_b32 s4, s18, 2
	s_lshl_b32 s33, s30, 9
	s_wait_kmcnt 0x0
	s_load_b32 s31, s[2:3], s4 offset:0x0
	s_wait_kmcnt 0x0
	s_cmp_ge_i32 s33, s31
	s_cbranch_scc1 .LBB34_152
; %bb.1:
	s_clause 0x1
	s_load_b32 s19, s[0:1], 0x90
	s_load_b64 s[6:7], s[0:1], 0x30
	s_wait_kmcnt 0x0
	s_abs_i32 s5, s19
	s_abs_i32 s2, s6
	s_delay_alu instid0(SALU_CYCLE_1) | instskip(SKIP_1) | instid1(SALU_CYCLE_2)
	s_cvt_f32_u32 s3, s2
	s_sub_co_i32 s4, 0, s2
	v_rcp_iflag_f32_e32 v1, s3
	s_delay_alu instid0(TRANS32_DEP_1) | instskip(SKIP_2) | instid1(SALU_CYCLE_2)
	v_readfirstlane_b32 s3, v1
	s_mul_f32 s3, s3, 0x4f7ffffe
	s_wait_alu 0xfffe
	s_cvt_u32_f32 s3, s3
	s_wait_alu 0xfffe
	s_delay_alu instid0(SALU_CYCLE_2) | instskip(NEXT) | instid1(SALU_CYCLE_1)
	s_mul_i32 s4, s4, s3
	s_mul_hi_u32 s4, s3, s4
	s_delay_alu instid0(SALU_CYCLE_1)
	s_add_co_i32 s3, s3, s4
	s_xor_b32 s4, s19, s6
	s_wait_alu 0xfffe
	s_mul_hi_u32 s3, s5, s3
	s_ashr_i32 s4, s4, 31
	s_wait_alu 0xfffe
	s_mul_i32 s8, s3, s2
	s_delay_alu instid0(SALU_CYCLE_1)
	s_sub_co_i32 s5, s5, s8
	s_add_co_i32 s8, s3, 1
	s_sub_co_i32 s9, s5, s2
	s_cmp_ge_u32 s5, s2
	s_cselect_b32 s3, s8, s3
	s_cselect_b32 s5, s9, s5
	s_wait_alu 0xfffe
	s_add_co_i32 s8, s3, 1
	s_cmp_ge_u32 s5, s2
	s_cselect_b32 s2, s8, s3
	s_load_b64 s[8:9], s[0:1], 0x50
	s_xor_b32 s2, s2, s4
	s_mov_b32 s3, 0
	s_wait_alu 0xfffe
	s_sub_co_i32 s10, s2, s4
	s_mov_b32 s15, s3
	s_abs_i32 s20, s10
	s_delay_alu instid0(SALU_CYCLE_1) | instskip(SKIP_1) | instid1(SALU_CYCLE_2)
	s_cvt_f32_u32 s2, s20
	s_wait_alu 0xfffe
	v_rcp_iflag_f32_e32 v1, s2
	s_delay_alu instid0(TRANS32_DEP_1) | instskip(SKIP_2) | instid1(SALU_CYCLE_2)
	v_readfirstlane_b32 s2, v1
	s_mul_f32 s2, s2, 0x4f7ffffe
	s_wait_alu 0xfffe
	s_cvt_u32_f32 s4, s2
	s_sub_co_i32 s2, 0, s20
	s_wait_alu 0xfffe
	s_delay_alu instid0(SALU_CYCLE_1)
	s_mul_i32 s2, s2, s4
	s_wait_alu 0xfffe
	s_mul_hi_u32 s5, s4, s2
	s_abs_i32 s2, ttmp9
	s_add_co_i32 s4, s4, s5
	s_mov_b32 s5, s3
	s_wait_kmcnt 0x0
	s_cmp_eq_u64 s[8:9], 0
	s_cbranch_scc1 .LBB34_3
; %bb.2:
	s_mov_b32 s12, ttmp9
	s_ashr_i32 s13, ttmp9, 31
	s_delay_alu instid0(SALU_CYCLE_1) | instskip(NEXT) | instid1(SALU_CYCLE_1)
	s_lshl_b64 s[12:13], s[12:13], 2
	s_add_nc_u64 s[8:9], s[8:9], s[12:13]
	s_load_b32 s15, s[8:9], 0x0
.LBB34_3:
	s_load_b96 s[12:14], s[0:1], 0x58
	v_and_b32_e32 v1, 1, v0
	v_lshlrev_b32_e32 v2, 3, v0
	v_lshlrev_b32_e32 v3, 2, v0
	s_mul_u64 s[4:5], s[2:3], s[4:5]
	s_ashr_i32 s3, ttmp9, 31
	s_ashr_i32 s4, s10, 31
	s_mul_i32 s16, ttmp9, 0xc0
	s_mov_b32 s8, exec_lo
	v_cmpx_gt_u32_e32 0x60, v0
	s_cbranch_execz .LBB34_5
; %bb.4:
	s_load_b64 s[10:11], s[0:1], 0x18
	s_wait_kmcnt 0x0
	s_mul_i32 s22, s12, s18
	s_ashr_i32 s17, s16, 31
	s_ashr_i32 s23, s22, 31
	v_and_b32_e32 v6, 0xff8, v3
	s_lshl_b64 s[22:23], s[22:23], 2
	s_delay_alu instid0(VALU_DEP_1) | instskip(SKIP_2) | instid1(SALU_CYCLE_1)
	v_mad_u32_u24 v6, 0x180, v1, v6
	s_add_nc_u64 s[10:11], s[10:11], s[22:23]
	s_lshl_b64 s[22:23], s[16:17], 2
	s_add_nc_u64 s[10:11], s[10:11], s[22:23]
	global_load_b64 v[4:5], v2, s[10:11]
	s_wait_loadcnt 0x0
	ds_store_b64 v6, v[4:5]
.LBB34_5:
	s_or_b32 exec_lo, exec_lo, s8
	s_clause 0x1
	s_load_b128 s[8:11], s[0:1], 0x78
	s_load_b32 s22, s[0:1], 0x88
	s_wait_kmcnt 0x0
	s_mul_i32 s12, s5, s20
	s_xor_b32 s3, s3, s4
	s_sub_co_i32 s2, s2, s12
	s_add_co_i32 s4, s5, 1
	s_wait_alu 0xfffe
	s_sub_co_i32 s12, s2, s20
	s_cmp_ge_u32 s2, s20
	s_mov_b32 s24, -1
	s_cselect_b32 s4, s4, s5
	s_cselect_b32 s2, s12, s2
	s_add_co_i32 s5, s4, 1
	s_wait_alu 0xfffe
	s_cmp_ge_u32 s2, s20
	s_wait_dscnt 0x0
	s_cselect_b32 s2, s5, s4
	s_add_co_i32 s23, s31, -1
	s_wait_alu 0xfffe
	s_xor_b32 s2, s2, s3
	s_barrier_signal -1
	s_wait_alu 0xfffe
	s_sub_co_i32 s26, s2, s3
	s_barrier_wait -1
	s_abs_i32 s12, s11
	global_inv scope:SCOPE_SE
	s_cvt_f32_u32 s4, s12
                                        ; implicit-def: $sgpr17
	s_delay_alu instid0(SALU_CYCLE_3) | instskip(NEXT) | instid1(TRANS32_DEP_1)
	v_rcp_iflag_f32_e32 v4, s4
	v_readfirstlane_b32 s4, v4
	s_mul_f32 s2, s4, 0x4f7ffffe
	s_wait_alu 0xfffe
	s_delay_alu instid0(SALU_CYCLE_2) | instskip(SKIP_2) | instid1(SALU_CYCLE_1)
	s_cvt_u32_f32 s4, s2
	s_sub_co_i32 s2, 0, s12
	s_wait_alu 0xfffe
	s_mul_i32 s3, s2, s4
	s_abs_i32 s2, s23
	s_wait_alu 0xfffe
	s_mul_hi_u32 s5, s4, s3
	s_mov_b32 s3, 0
	s_wait_alu 0xfffe
	s_add_co_i32 s20, s4, s5
	s_cmp_lt_i32 s22, 0
	s_mov_b32 s21, s3
	s_cbranch_scc0 .LBB34_7
; %bb.6:
	s_mul_i32 s4, s8, s6
	s_mov_b32 s24, s3
	s_wait_alu 0xfffe
	s_add_co_i32 s4, s26, s4
	s_wait_alu 0xfffe
	s_mul_i32 s4, s4, s22
	s_wait_alu 0xfffe
	s_sub_co_i32 s17, 1, s4
.LBB34_7:
	s_mul_u64 s[4:5], s[2:3], s[20:21]
	s_ashr_i32 s3, s23, 31
	s_and_not1_b32 vcc_lo, exec_lo, s24
	s_ashr_i32 s11, s11, 31
	s_cbranch_vccnz .LBB34_9
; %bb.8:
	s_mul_i32 s4, s19, s8
	s_wait_alu 0xfffe
	s_add_co_i32 s4, s4, ttmp9
	s_wait_alu 0xfffe
	s_mul_i32 s4, s4, s22
	s_wait_alu 0xfffe
	s_add_co_i32 s17, s4, 1
.LBB34_9:
	s_clause 0x2
	s_load_b32 s4, s[0:1], 0x48
	s_load_b64 s[22:23], s[0:1], 0x38
	s_load_b32 s8, s[0:1], 0x98
	s_mul_i32 s6, s5, s12
	s_xor_b32 s3, s3, s11
	s_sub_co_i32 s2, s2, s6
	s_add_co_i32 s21, s5, 1
	v_lshrrev_b32_e32 v103, 5, v0
	v_mov_b32_e32 v6, 0xff7fffff
	v_mbcnt_lo_u32_b32 v5, -1, 0
	s_mul_i32 s26, s26, s14
	s_delay_alu instid0(VALU_DEP_3)
	v_lshl_add_u32 v104, v103, 4, s33
	s_wait_kmcnt 0x0
	s_mul_i32 s24, s4, s18
	s_wait_alu 0xfffe
	s_sub_co_i32 s4, s2, s12
	s_ashr_i32 s25, s24, 31
	s_cmp_ge_u32 s2, s12
	s_cselect_b32 s5, s21, s5
	s_wait_alu 0xfffe
	s_cselect_b32 s2, s4, s2
	s_add_co_i32 s4, s5, 1
	s_wait_alu 0xfffe
	s_cmp_ge_u32 s2, s12
	s_cselect_b32 s2, s4, s5
	s_add_co_i32 s4, s31, 15
	s_lshl_b32 s36, s30, 5
	s_wait_alu 0xfffe
	s_ashr_i32 s5, s4, 31
	v_or_b32_e32 v105, s36, v103
	s_wait_alu 0xfffe
	s_lshr_b32 s5, s5, 28
	s_wait_alu 0xfffe
	s_add_co_i32 s4, s4, s5
	s_add_co_i32 s5, s36, 32
	s_wait_alu 0xfffe
	s_ashr_i32 s34, s4, 4
	s_xor_b32 s4, s2, s3
	s_min_i32 s21, s5, s34
	v_lshlrev_b32_e32 v4, 2, v105
	v_cmp_gt_i32_e64 s2, s21, v105
	s_wait_alu 0xfffe
	s_sub_co_i32 s35, s4, s3
	s_and_saveexec_b32 s6, s2
	s_cbranch_execz .LBB34_21
; %bb.10:
	s_ashr_i32 s27, s26, 31
	s_sub_co_i32 s14, s35, s9
	s_lshl_b64 s[4:5], s[26:27], 2
	s_cmp_neq_f32 s15, 0
	s_load_b64 s[38:39], s[0:1], 0x20
	v_bfe_u32 v7, v0, 1, 4
	v_mul_u32_u24_e32 v8, 0x180, v1
	s_cselect_b32 vcc_lo, -1, 0
	s_abs_i32 s27, s10
	v_and_b32_e32 v2, 8, v2
	s_cvt_f32_u32 s3, s27
	v_lshlrev_b32_e32 v9, 4, v7
	s_lshl_b64 s[40:41], s[24:25], 2
	v_mov_b32_e32 v14, 0xff7fffff
	s_wait_alu 0xfffe
	v_rcp_iflag_f32_e32 v6, s3
	v_cmp_eq_u32_e64 s3, 0, v1
	v_lshlrev_b32_e32 v1, 2, v7
	v_subrev_nc_u32_e32 v12, s31, v7
	s_add_nc_u64 s[40:41], s[22:23], s[40:41]
	s_sub_co_i32 s37, 0, s27
	v_lshl_add_u32 v11, v103, 4, s33
	v_xor_b32_e32 v15, 1, v5
	v_add_nc_u32_e32 v12, 1, v12
	s_mov_b32 s28, 0
	v_readfirstlane_b32 s29, v6
	v_lshl_or_b32 v6, v103, 6, v1
	s_wait_kmcnt 0x0
	s_add_nc_u64 s[4:5], s[38:39], s[4:5]
	v_mov_b32_e32 v16, v105
	s_mul_f32 s29, s29, 0x4f7ffffe
	v_add_nc_u32_e32 v13, 0x320, v6
	v_mov_b32_e32 v6, 0xff7fffff
	s_wait_alu 0xfffe
	v_add_co_u32 v1, s4, s4, v9
	s_wait_alu 0xf1ff
	v_add_co_ci_u32_e64 v10, null, s5, 0, s4
	s_cvt_u32_f32 s5, s29
	v_add_co_u32 v9, s4, v1, v2
	s_wait_alu 0xf1ff
	v_add_co_ci_u32_e64 v10, null, 0, v10, s4
	v_add_co_u32 v1, s4, s40, v4
	s_wait_alu 0xfffe
	s_mul_i32 s37, s37, s5
	v_add_co_ci_u32_e64 v2, null, s41, 0, s4
	s_wait_alu 0xfffe
	s_mul_hi_u32 s4, s5, s37
	s_mov_b32 s29, s13
	s_wait_alu 0xfffe
	s_add_co_i32 s37, s5, s4
	s_branch .LBB34_13
.LBB34_11:                              ;   in Loop: Header=BB34_13 Depth=1
	s_or_b32 exec_lo, exec_lo, s38
.LBB34_12:                              ;   in Loop: Header=BB34_13 Depth=1
	s_wait_alu 0xfffe
	s_or_b32 exec_lo, exec_lo, s5
	v_add_nc_u32_e32 v16, 4, v16
	v_add_co_u32 v1, s5, v1, 16
	s_wait_alu 0xf1ff
	v_add_co_ci_u32_e64 v2, null, 0, v2, s5
	s_delay_alu instid0(VALU_DEP_3)
	v_cmp_le_i32_e64 s4, s21, v16
	v_add_nc_u32_e32 v11, 64, v11
	v_add_nc_u32_e32 v13, 0x100, v13
	s_or_b32 s28, s4, s28
	s_wait_alu 0xfffe
	s_and_not1_b32 exec_lo, exec_lo, s28
	s_cbranch_execz .LBB34_20
.LBB34_13:                              ; =>This Inner Loop Header: Depth=1
	v_sub_nc_u32_e32 v17, 0, v11
	s_delay_alu instid0(VALU_DEP_1) | instskip(SKIP_1) | instid1(VALU_DEP_1)
	v_max_i32_e32 v17, v11, v17
	s_wait_dscnt 0x0
	v_mul_hi_u32 v18, v17, s20
	s_delay_alu instid0(VALU_DEP_1) | instskip(NEXT) | instid1(VALU_DEP_1)
	v_mul_lo_u32 v19, v18, s12
	v_sub_nc_u32_e32 v17, v17, v19
	v_add_nc_u32_e32 v19, 1, v18
	s_delay_alu instid0(VALU_DEP_2) | instskip(SKIP_2) | instid1(VALU_DEP_1)
	v_subrev_nc_u32_e32 v20, s12, v17
	v_cmp_le_u32_e64 s4, s12, v17
	s_wait_alu 0xf1ff
	v_cndmask_b32_e64 v18, v18, v19, s4
	s_delay_alu instid0(VALU_DEP_3) | instskip(SKIP_1) | instid1(VALU_DEP_3)
	v_cndmask_b32_e64 v17, v17, v20, s4
	v_ashrrev_i32_e32 v19, 31, v11
	v_add_nc_u32_e32 v20, 1, v18
	s_delay_alu instid0(VALU_DEP_3) | instskip(NEXT) | instid1(VALU_DEP_3)
	v_cmp_le_u32_e64 s4, s12, v17
	v_xor_b32_e32 v19, s11, v19
	s_wait_alu 0xf1ff
	s_delay_alu instid0(VALU_DEP_2) | instskip(NEXT) | instid1(VALU_DEP_1)
	v_cndmask_b32_e64 v17, v18, v20, s4
	v_xor_b32_e32 v17, v17, v19
	s_delay_alu instid0(VALU_DEP_1) | instskip(NEXT) | instid1(VALU_DEP_1)
	v_sub_nc_u32_e32 v17, v17, v19
	v_add_nc_u32_e32 v18, s17, v17
	v_cmp_ge_i32_e64 s5, s14, v17
	s_delay_alu instid0(VALU_DEP_2) | instskip(NEXT) | instid1(VALU_DEP_1)
	v_sub_nc_u32_e32 v19, 0, v18
	v_max_i32_e32 v19, v18, v19
	v_ashrrev_i32_e32 v18, 31, v18
	s_wait_alu 0xfffe
	s_delay_alu instid0(VALU_DEP_2) | instskip(NEXT) | instid1(VALU_DEP_1)
	v_mul_hi_u32 v20, v19, s37
	v_mul_lo_u32 v20, v20, s27
	s_delay_alu instid0(VALU_DEP_1) | instskip(NEXT) | instid1(VALU_DEP_1)
	v_sub_nc_u32_e32 v19, v19, v20
	v_subrev_nc_u32_e32 v20, s27, v19
	v_cmp_le_u32_e64 s4, s27, v19
	s_wait_alu 0xf1ff
	s_delay_alu instid0(VALU_DEP_1) | instskip(NEXT) | instid1(VALU_DEP_1)
	v_cndmask_b32_e64 v19, v19, v20, s4
	v_subrev_nc_u32_e32 v20, s27, v19
	v_cmp_le_u32_e64 s4, s27, v19
	s_wait_alu 0xf1ff
	s_delay_alu instid0(VALU_DEP_1) | instskip(NEXT) | instid1(VALU_DEP_1)
	v_cndmask_b32_e64 v19, v19, v20, s4
	v_xor_b32_e32 v19, v19, v18
	s_delay_alu instid0(VALU_DEP_1) | instskip(NEXT) | instid1(VALU_DEP_1)
	v_sub_nc_u32_e32 v18, v19, v18
	v_cmp_ne_u32_e64 s4, 0, v18
	s_and_b32 s4, s4, s5
	s_wait_alu 0xfffe
	s_and_saveexec_b32 s5, s4
	s_wait_alu 0xfffe
	s_xor_b32 s4, exec_lo, s5
	s_cbranch_execz .LBB34_17
; %bb.14:                               ;   in Loop: Header=BB34_13 Depth=1
	s_and_saveexec_b32 s5, s3
; %bb.15:                               ;   in Loop: Header=BB34_13 Depth=1
	ds_store_b32 v13, v14
; %bb.16:                               ;   in Loop: Header=BB34_13 Depth=1
	s_wait_alu 0xfffe
	s_or_b32 exec_lo, exec_lo, s5
.LBB34_17:                              ;   in Loop: Header=BB34_13 Depth=1
	s_wait_alu 0xfffe
	s_and_not1_saveexec_b32 s5, s4
	s_cbranch_execz .LBB34_12
; %bb.18:                               ;   in Loop: Header=BB34_13 Depth=1
	global_load_b32 v17, v[1:2], off
	s_wait_loadcnt 0x0
	v_mad_co_i64_i32 v[17:18], null, v17, s29, 0
	s_delay_alu instid0(VALU_DEP_1) | instskip(NEXT) | instid1(VALU_DEP_1)
	v_lshlrev_b64_e32 v[17:18], 2, v[17:18]
	v_add_co_u32 v17, s4, v9, v17
	s_wait_alu 0xf1ff
	s_delay_alu instid0(VALU_DEP_2)
	v_add_co_ci_u32_e64 v18, null, v10, v18, s4
	v_cmp_gt_i32_e64 s4, 32, v15
	s_clause 0x1f
	global_load_b64 v[29:30], v[17:18], off offset:256
	global_load_b64 v[31:32], v[17:18], off offset:512
	;; [unrolled: 1-line block ×3, first 2 shown]
	global_load_b64 v[35:36], v[17:18], off
	global_load_b64 v[37:38], v[17:18], off offset:1024
	global_load_b64 v[39:40], v[17:18], off offset:1280
	;; [unrolled: 1-line block ×28, first 2 shown]
	s_clause 0xf
	global_load_b64 v[93:94], v[17:18], off offset:8192
	global_load_b64 v[95:96], v[17:18], off offset:8448
	;; [unrolled: 1-line block ×16, first 2 shown]
	ds_load_b128 v[17:20], v8
	ds_load_b128 v[21:24], v8 offset:16
	ds_load_b128 v[25:28], v8 offset:32
	s_wait_loadcnt_dscnt 0x2f02
	v_dual_mul_f32 v29, v19, v29 :: v_dual_mul_f32 v30, v20, v30
	s_wait_loadcnt 0x2c
	s_delay_alu instid0(VALU_DEP_1) | instskip(SKIP_3) | instid1(VALU_DEP_1)
	v_dual_fmac_f32 v29, v17, v35 :: v_dual_fmac_f32 v30, v18, v36
	ds_load_b128 v[17:20], v8 offset:48
	s_wait_dscnt 0x2
	v_dual_fmac_f32 v29, v21, v31 :: v_dual_fmac_f32 v30, v22, v32
	v_dual_fmac_f32 v29, v23, v33 :: v_dual_fmac_f32 v30, v24, v34
	ds_load_b128 v[21:24], v8 offset:64
	s_wait_loadcnt_dscnt 0x2b02
	v_dual_fmac_f32 v29, v25, v37 :: v_dual_fmac_f32 v30, v26, v38
	s_wait_loadcnt 0x2a
	s_delay_alu instid0(VALU_DEP_1) | instskip(SKIP_4) | instid1(VALU_DEP_1)
	v_dual_fmac_f32 v29, v27, v39 :: v_dual_fmac_f32 v30, v28, v40
	ds_load_b128 v[25:28], v8 offset:80
	s_wait_loadcnt_dscnt 0x2902
	v_dual_fmac_f32 v29, v17, v41 :: v_dual_fmac_f32 v30, v18, v42
	s_wait_loadcnt 0x28
	v_dual_fmac_f32 v29, v19, v43 :: v_dual_fmac_f32 v30, v20, v44
	ds_load_b128 v[17:20], v8 offset:96
	s_wait_loadcnt_dscnt 0x2702
	v_dual_fmac_f32 v29, v21, v45 :: v_dual_fmac_f32 v30, v22, v46
	s_wait_loadcnt 0x26
	s_delay_alu instid0(VALU_DEP_1) | instskip(SKIP_4) | instid1(VALU_DEP_1)
	v_dual_fmac_f32 v29, v23, v47 :: v_dual_fmac_f32 v30, v24, v48
	ds_load_b128 v[21:24], v8 offset:112
	s_wait_loadcnt_dscnt 0x2502
	v_dual_fmac_f32 v29, v25, v49 :: v_dual_fmac_f32 v30, v26, v50
	s_wait_loadcnt 0x24
	;; [unrolled: 11-line block ×9, first 2 shown]
	v_dual_fmac_f32 v29, v110, v23 :: v_dual_fmac_f32 v30, v111, v24
	ds_load_b128 v[21:24], v8 offset:352
	s_wait_loadcnt_dscnt 0x702
	v_dual_fmac_f32 v29, v112, v25 :: v_dual_fmac_f32 v30, v113, v26
	s_wait_loadcnt 0x6
	s_delay_alu instid0(VALU_DEP_1)
	v_dual_fmac_f32 v29, v114, v27 :: v_dual_fmac_f32 v30, v115, v28
	ds_load_b128 v[25:28], v8 offset:368
	s_wait_loadcnt_dscnt 0x502
	v_dual_fmac_f32 v29, v116, v17 :: v_dual_fmac_f32 v30, v117, v18
	s_wait_alu 0xf1ff
	v_cndmask_b32_e64 v17, v5, v15, s4
	s_wait_loadcnt 0x4
	s_delay_alu instid0(VALU_DEP_2) | instskip(SKIP_1) | instid1(VALU_DEP_1)
	v_dual_fmac_f32 v29, v118, v19 :: v_dual_fmac_f32 v30, v119, v20
	s_wait_loadcnt_dscnt 0x301
	v_dual_fmac_f32 v29, v120, v21 :: v_dual_fmac_f32 v30, v121, v22
	s_wait_loadcnt 0x2
	s_delay_alu instid0(VALU_DEP_1) | instskip(SKIP_1) | instid1(VALU_DEP_1)
	v_dual_fmac_f32 v29, v122, v23 :: v_dual_fmac_f32 v30, v123, v24
	s_wait_loadcnt_dscnt 0x100
	v_dual_fmac_f32 v29, v124, v25 :: v_dual_fmac_f32 v30, v125, v26
	s_wait_loadcnt 0x0
	s_delay_alu instid0(VALU_DEP_1) | instskip(NEXT) | instid1(VALU_DEP_1)
	v_dual_fmac_f32 v29, v126, v27 :: v_dual_fmac_f32 v30, v127, v28
	v_dual_add_f32 v17, v29, v30 :: v_dual_lshlrev_b32 v18, 2, v17
	ds_bpermute_b32 v18, v18, v17
	s_and_saveexec_b32 s38, s3
	s_cbranch_execz .LBB34_11
; %bb.19:                               ;   in Loop: Header=BB34_13 Depth=1
	s_wait_dscnt 0x0
	v_add_f32_e32 v17, v17, v18
	v_add_nc_u32_e32 v19, v12, v11
	s_delay_alu instid0(VALU_DEP_1) | instskip(NEXT) | instid1(VALU_DEP_1)
	v_cvt_f32_i32_e32 v19, v19
	v_mul_f32_e32 v19, s15, v19
	s_delay_alu instid0(VALU_DEP_1) | instskip(NEXT) | instid1(VALU_DEP_1)
	v_dual_cndmask_b32 v18, 0, v19 :: v_dual_max_num_f32 v19, v6, v6
	v_dual_fmac_f32 v18, s7, v17 :: v_dual_add_nc_u32 v17, v7, v11
	s_delay_alu instid0(VALU_DEP_1) | instskip(NEXT) | instid1(VALU_DEP_2)
	v_max_num_f32_e32 v19, v19, v18
	v_cmp_gt_i32_e64 s4, s31, v17
	s_wait_alu 0xf1ff
	s_delay_alu instid0(VALU_DEP_1) | instskip(NEXT) | instid1(VALU_DEP_3)
	v_cndmask_b32_e64 v17, 0, v18, s4
	v_cndmask_b32_e64 v6, v6, v19, s4
	ds_store_b32 v13, v17
	s_branch .LBB34_11
.LBB34_20:
	s_or_b32 exec_lo, exec_lo, s28
.LBB34_21:
	s_delay_alu instid0(SALU_CYCLE_1)
	s_or_b32 exec_lo, exec_lo, s6
	v_xor_b32_e32 v1, 16, v5
	v_xor_b32_e32 v7, 8, v5
	s_clause 0x2
	s_load_b128 s[4:7], s[0:1], 0x0
	s_load_b64 s[14:15], s[0:1], 0x10
	s_load_b64 s[28:29], s[0:1], 0x28
	v_max_num_f32_e32 v8, v6, v6
	v_and_b32_e32 v106, 31, v0
	v_cmp_gt_i32_e32 vcc_lo, 32, v1
	s_wait_alu 0xfffd
	v_cndmask_b32_e32 v1, v5, v1, vcc_lo
	v_cmp_gt_i32_e32 vcc_lo, 32, v7
	s_delay_alu instid0(VALU_DEP_2) | instskip(SKIP_4) | instid1(VALU_DEP_1)
	v_lshlrev_b32_e32 v2, 2, v1
	ds_bpermute_b32 v1, v2, v6
	s_wait_dscnt 0x0
	v_max_num_f32_e32 v1, v1, v1
	s_wait_alu 0xfffd
	v_dual_cndmask_b32 v6, v5, v7 :: v_dual_max_num_f32 v1, v8, v1
	s_delay_alu instid0(VALU_DEP_1)
	v_lshlrev_b32_e32 v6, 2, v6
	v_xor_b32_e32 v8, 4, v5
	ds_bpermute_b32 v7, v6, v1
	v_cmp_gt_i32_e32 vcc_lo, 32, v8
	s_wait_dscnt 0x0
	s_wait_alu 0xfffd
	v_dual_cndmask_b32 v8, v5, v8 :: v_dual_max_num_f32 v9, v7, v7
	s_delay_alu instid0(VALU_DEP_1) | instskip(SKIP_1) | instid1(VALU_DEP_1)
	v_max_num_f32_e32 v1, v1, v9
	v_xor_b32_e32 v9, 2, v5
	v_cmp_gt_i32_e32 vcc_lo, 32, v9
	s_wait_alu 0xfffd
	v_cndmask_b32_e32 v9, v5, v9, vcc_lo
	v_cmp_eq_u32_e32 vcc_lo, 0, v106
	s_delay_alu instid0(VALU_DEP_2) | instskip(SKIP_4) | instid1(VALU_DEP_1)
	v_lshlrev_b32_e32 v107, 2, v9
	v_lshlrev_b32_e32 v7, 2, v8
	ds_bpermute_b32 v8, v7, v1
	s_wait_dscnt 0x0
	v_max_num_f32_e32 v8, v8, v8
	v_dual_max_num_f32 v1, v1, v8 :: v_dual_lshlrev_b32 v8, 2, v103
	ds_bpermute_b32 v9, v107, v1
	s_and_saveexec_b32 s0, vcc_lo
	s_cbranch_execz .LBB34_23
; %bb.22:
	s_wait_dscnt 0x0
	v_max_num_f32_e32 v9, v9, v9
	v_max_num_f32_e32 v1, v1, v1
	s_delay_alu instid0(VALU_DEP_1)
	v_max_num_f32_e32 v1, v1, v9
	ds_store_b32 v8, v1 offset:768
.LBB34_23:
	s_or_b32 exec_lo, exec_lo, s0
	v_cmp_gt_u32_e64 s0, 4, v106
	v_mov_b32_e32 v1, 0xff7fffff
	s_wait_dscnt 0x0
	v_lshlrev_b32_e32 v9, 2, v106
	s_wait_loadcnt 0x0
	s_barrier_signal -1
	s_barrier_wait -1
	global_inv scope:SCOPE_SE
	s_and_saveexec_b32 s1, s0
; %bb.24:
	ds_load_b32 v1, v9 offset:768
; %bb.25:
	s_or_b32 exec_lo, exec_lo, s1
	s_wait_dscnt 0x0
	ds_bpermute_b32 v10, v107, v1
	v_xor_b32_e32 v11, 1, v5
	v_max_num_f32_e32 v1, v1, v1
	s_delay_alu instid0(VALU_DEP_2) | instskip(NEXT) | instid1(VALU_DEP_1)
	v_cmp_gt_i32_e64 s1, 32, v11
	v_cndmask_b32_e64 v5, v5, v11, s1
	s_sub_co_i32 s1, s21, s36
	s_wait_alu 0xfffe
	s_lshl_b32 s1, s1, 4
	s_wait_alu 0xfffe
	s_add_co_i32 s1, s1, s33
	s_wait_alu 0xfffe
	s_min_i32 s1, s1, s31
	s_wait_alu 0xfffe
	s_sub_co_i32 s27, s1, s33
	s_wait_dscnt 0x0
	v_max_num_f32_e32 v10, v10, v10
	v_lshlrev_b32_e32 v108, 2, v5
	s_wait_alu 0xfffe
	v_cmp_gt_i32_e64 s1, s27, v0
	s_delay_alu instid0(VALU_DEP_3) | instskip(SKIP_3) | instid1(VALU_DEP_1)
	v_dual_max_num_f32 v1, v1, v10 :: v_dual_mov_b32 v10, 0
	ds_bpermute_b32 v5, v108, v1
	s_wait_dscnt 0x0
	v_max_num_f32_e32 v5, v5, v5
	v_max_num_f32_e32 v1, v1, v5
	v_lshl_add_u32 v5, v0, 2, 0x320
	ds_bpermute_b32 v1, v10, v1
	s_and_saveexec_b32 s33, s1
	s_cbranch_execz .LBB34_29
; %bb.26:
	v_lshl_add_u32 v11, v0, 2, 0x320
	v_mov_b32_e32 v10, 0
	v_mov_b32_e32 v12, v0
	s_mov_b32 s36, 0
.LBB34_27:                              ; =>This Inner Loop Header: Depth=1
	ds_load_b32 v13, v11
	v_add_nc_u32_e32 v12, 0x80, v12
	s_delay_alu instid0(VALU_DEP_1) | instskip(SKIP_4) | instid1(VALU_DEP_1)
	v_cmp_le_i32_e64 s3, s27, v12
	s_wait_alu 0xfffe
	s_or_b32 s36, s3, s36
	s_wait_dscnt 0x0
	v_sub_f32_e32 v13, v13, v1
	v_mul_f32_e32 v13, 0x3fb8aa3b, v13
	s_delay_alu instid0(VALU_DEP_1)
	v_exp_f32_e32 v13, v13
	ds_store_b32 v11, v13
	v_dual_add_f32 v10, v10, v13 :: v_dual_add_nc_u32 v11, 0x200, v11
	s_wait_alu 0xfffe
	s_and_not1_b32 exec_lo, exec_lo, s36
	s_cbranch_execnz .LBB34_27
; %bb.28:
	s_or_b32 exec_lo, exec_lo, s36
.LBB34_29:
	s_wait_alu 0xfffe
	s_or_b32 exec_lo, exec_lo, s33
	ds_bpermute_b32 v2, v2, v10
	s_wait_dscnt 0x0
	v_add_f32_e32 v2, v10, v2
	ds_bpermute_b32 v6, v6, v2
	s_wait_dscnt 0x0
	v_add_f32_e32 v2, v2, v6
	ds_bpermute_b32 v6, v7, v2
	s_wait_dscnt 0x0
	v_add_f32_e32 v2, v2, v6
	ds_bpermute_b32 v6, v107, v2
	s_wait_dscnt 0x0
	v_add_f32_e32 v2, v2, v6
	ds_bpermute_b32 v6, v108, v2
	s_wait_dscnt 0x0
	v_add_f32_e32 v2, v2, v6
	s_and_saveexec_b32 s3, vcc_lo
; %bb.30:
	ds_store_b32 v8, v2 offset:784
; %bb.31:
	s_wait_alu 0xfffe
	s_or_b32 exec_lo, exec_lo, s3
	s_wait_loadcnt_dscnt 0x0
	s_barrier_signal -1
	s_barrier_wait -1
	global_inv scope:SCOPE_SE
	s_and_saveexec_b32 s3, s0
; %bb.32:
	ds_load_b32 v2, v9 offset:784
; %bb.33:
	s_wait_alu 0xfffe
	s_or_b32 exec_lo, exec_lo, s3
	s_wait_dscnt 0x0
	ds_bpermute_b32 v6, v107, v2
	s_wait_dscnt 0x0
	v_add_f32_e32 v2, v2, v6
	ds_bpermute_b32 v6, v108, v2
	s_wait_dscnt 0x0
	v_add_f32_e32 v2, v2, v6
	v_mov_b32_e32 v6, 0
	ds_bpermute_b32 v2, v6, v2
	s_and_saveexec_b32 s0, s1
	s_cbranch_execz .LBB34_36
; %bb.34:
	s_wait_dscnt 0x0
	v_add_f32_e32 v6, 0x358637bd, v2
	s_mov_b32 s1, 0
	s_delay_alu instid0(VALU_DEP_1) | instskip(SKIP_1) | instid1(VALU_DEP_2)
	v_div_scale_f32 v7, null, v6, v6, 1.0
	v_div_scale_f32 v10, vcc_lo, 1.0, v6, 1.0
	v_rcp_f32_e32 v8, v7
	s_delay_alu instid0(TRANS32_DEP_1) | instskip(NEXT) | instid1(VALU_DEP_1)
	v_fma_f32 v9, -v7, v8, 1.0
	v_fmac_f32_e32 v8, v9, v8
	s_delay_alu instid0(VALU_DEP_1) | instskip(NEXT) | instid1(VALU_DEP_1)
	v_mul_f32_e32 v9, v10, v8
	v_fma_f32 v11, -v7, v9, v10
	s_delay_alu instid0(VALU_DEP_1) | instskip(NEXT) | instid1(VALU_DEP_1)
	v_fmac_f32_e32 v9, v11, v8
	v_fma_f32 v7, -v7, v9, v10
	s_wait_alu 0xfffd
	s_delay_alu instid0(VALU_DEP_1) | instskip(NEXT) | instid1(VALU_DEP_1)
	v_div_fmas_f32 v7, v7, v8, v9
	v_div_fixup_f32 v6, v7, v6, 1.0
	v_mov_b32_e32 v7, v0
.LBB34_35:                              ; =>This Inner Loop Header: Depth=1
	ds_load_b32 v8, v5
	s_wait_dscnt 0x0
	v_dual_mul_f32 v8, v6, v8 :: v_dual_add_nc_u32 v7, 0x80, v7
	s_delay_alu instid0(VALU_DEP_1)
	v_cmp_le_i32_e32 vcc_lo, s27, v7
	ds_store_b32 v5, v8
	v_add_nc_u32_e32 v5, 0x200, v5
	s_wait_alu 0xfffe
	s_or_b32 s1, vcc_lo, s1
	s_wait_alu 0xfffe
	s_and_not1_b32 exec_lo, exec_lo, s1
	s_cbranch_execnz .LBB34_35
.LBB34_36:
	s_wait_alu 0xfffe
	s_or_b32 exec_lo, exec_lo, s0
	s_mul_i32 s0, s8, s18
	s_wait_loadcnt_dscnt 0x0
	s_wait_alu 0xfffe
	s_mul_i32 s18, s0, s19
	s_mov_b32 s0, exec_lo
	s_barrier_signal -1
	s_barrier_wait -1
	global_inv scope:SCOPE_SE
	v_cmpx_eq_u32_e32 0, v0
	s_cbranch_execz .LBB34_38
; %bb.37:
	s_ashr_i32 s19, s18, 31
	s_wait_alu 0xfffe
	s_mul_i32 s36, s8, ttmp9
	s_lshl_b32 s1, s30, 2
	s_lshl_b64 s[38:39], s[18:19], 2
	s_wait_alu 0xfffe
	s_ashr_i32 s37, s36, 31
	v_mov_b32_e32 v5, s1
	s_wait_kmcnt 0x0
	s_add_nc_u64 s[6:7], s[6:7], s[38:39]
	s_wait_alu 0xfffe
	s_lshl_b64 s[36:37], s[36:37], 2
	s_add_nc_u64 s[4:5], s[4:5], s[38:39]
	s_wait_alu 0xfffe
	s_add_nc_u64 s[6:7], s[6:7], s[36:37]
	s_add_nc_u64 s[4:5], s[4:5], s[36:37]
	s_clause 0x1
	global_store_b32 v5, v1, s[6:7]
	global_store_b32 v5, v2, s[4:5]
.LBB34_38:
	s_wait_alu 0xfffe
	s_or_b32 exec_lo, exec_lo, s0
	v_dual_mov_b32 v132, 0 :: v_dual_and_b32 v109, 3, v0
	v_dual_mov_b32 v133, 0 :: v_dual_mov_b32 v130, 0
	v_dual_mov_b32 v131, 0 :: v_dual_mov_b32 v128, 0
	;; [unrolled: 1-line block ×11, first 2 shown]
	v_mov_b32_e32 v111, 0
	s_wait_kmcnt 0x0
	s_and_saveexec_b32 s4, s2
	s_cbranch_execz .LBB34_92
; %bb.39:
	s_abs_i32 s5, s10
	v_dual_mov_b32 v113, 0 :: v_dual_lshlrev_b32 v2, 4, v0
	s_wait_alu 0xfffe
	s_cvt_f32_u32 s0, s5
	v_dual_mov_b32 v111, 0 :: v_dual_and_b32 v134, 12, v3
	v_dual_mov_b32 v110, 0 :: v_dual_lshlrev_b32 v3, 4, v109
	s_wait_alu 0xfffe
	v_rcp_iflag_f32_e32 v1, s0
	s_lshl_b64 s[0:1], s[24:25], 2
	s_ashr_i32 s27, s26, 31
	s_wait_alu 0xfffe
	s_add_nc_u64 s[0:1], s[22:23], s[0:1]
	s_lshl_b64 s[2:3], s[26:27], 2
	s_wait_alu 0xfffe
	v_add_co_u32 v101, s0, s0, v4
	s_wait_alu 0xf1ff
	v_add_co_ci_u32_e64 v102, null, s1, 0, s0
	s_add_nc_u64 s[2:3], s[28:29], s[2:3]
	v_readfirstlane_b32 s10, v1
	v_dual_mov_b32 v112, 0 :: v_dual_and_b32 v1, 0x1f0, v2
	v_lshl_or_b32 v2, v103, 6, v3
	s_mov_b32 s7, s13
	s_mul_f32 s10, s10, 0x4f7ffffe
	s_sub_co_i32 s13, 0, s5
	s_wait_alu 0xfffe
	v_add_co_u32 v135, s1, s2, v1
	s_cvt_u32_f32 s0, s10
	v_add_co_ci_u32_e64 v136, null, s3, 0, s1
	v_dual_mov_b32 v114, 0 :: v_dual_add_nc_u32 v137, 0x320, v2
	s_wait_alu 0xfffe
	s_mul_i32 s13, s13, s0
	v_dual_mov_b32 v115, 0 :: v_dual_mov_b32 v116, 0
	v_dual_mov_b32 v117, 0 :: v_dual_mov_b32 v118, 0
	;; [unrolled: 1-line block ×9, first 2 shown]
	v_mov_b32_e32 v133, 0
	s_wait_alu 0xfffe
	s_mul_hi_u32 s1, s0, s13
	s_sub_co_i32 s6, s35, s9
	s_add_co_i32 s9, s34, -1
	s_mov_b32 s10, 0
	s_wait_alu 0xfffe
	s_add_co_i32 s13, s0, s1
	s_branch .LBB34_42
.LBB34_40:                              ;   in Loop: Header=BB34_42 Depth=1
	s_wait_alu 0xfffe
	s_or_b32 exec_lo, exec_lo, s0
	s_wait_loadcnt_dscnt 0x1700
	v_mul_f32_e32 v5, v1, v5
	s_wait_loadcnt 0x6
	v_mul_f32_e32 v73, v1, v73
	s_wait_loadcnt 0x1
	v_mul_f32_e32 v97, v1, v97
	v_mul_f32_e32 v93, v1, v93
	;; [unrolled: 1-line block ×3, first 2 shown]
	v_fmac_f32_e32 v5, v2, v6
	v_mul_f32_e32 v85, v1, v85
	v_mul_f32_e32 v81, v1, v81
	;; [unrolled: 1-line block ×4, first 2 shown]
	v_fmac_f32_e32 v5, v3, v7
	v_mul_f32_e32 v61, v1, v61
	v_mul_f32_e32 v57, v1, v57
	;; [unrolled: 1-line block ×14, first 2 shown]
	s_wait_loadcnt 0x0
	v_mul_f32_e32 v1, v1, v77
	v_fmac_f32_e32 v5, v4, v8
	v_fmac_f32_e32 v73, v2, v74
	;; [unrolled: 1-line block ×4, first 2 shown]
	s_delay_alu instid0(VALU_DEP_4) | instskip(NEXT) | instid1(VALU_DEP_4)
	v_dual_fmac_f32 v1, v2, v78 :: v_dual_add_f32 v132, v132, v5
	v_fmac_f32_e32 v73, v3, v75
	s_delay_alu instid0(VALU_DEP_4)
	v_fmac_f32_e32 v65, v3, v67
	v_fmac_f32_e32 v57, v2, v58
	;; [unrolled: 1-line block ×9, first 2 shown]
	s_delay_alu instid0(VALU_DEP_4)
	v_dual_add_f32 v116, v116, v73 :: v_dual_fmac_f32 v93, v3, v95
	v_fmac_f32_e32 v49, v2, v50
	v_fmac_f32_e32 v57, v3, v59
	;; [unrolled: 1-line block ×9, first 2 shown]
	v_dual_add_f32 v118, v118, v65 :: v_dual_fmac_f32 v93, v4, v96
	s_delay_alu instid0(VALU_DEP_4)
	v_add_f32_e32 v110, v110, v1
	v_fmac_f32_e32 v97, v2, v98
	v_fmac_f32_e32 v53, v2, v54
	;; [unrolled: 1-line block ×5, first 2 shown]
	v_dual_fmac_f32 v89, v2, v90 :: v_dual_add_f32 v124, v124, v41
	v_fmac_f32_e32 v37, v2, v38
	v_fmac_f32_e32 v29, v2, v30
	;; [unrolled: 1-line block ×9, first 2 shown]
	v_dual_fmac_f32 v9, v2, v10 :: v_dual_add_f32 v112, v112, v93
	v_fmac_f32_e32 v69, v3, v71
	v_fmac_f32_e32 v61, v3, v63
	;; [unrolled: 1-line block ×5, first 2 shown]
	v_dual_add_f32 v120, v120, v57 :: v_dual_fmac_f32 v89, v3, v91
	v_fmac_f32_e32 v37, v3, v39
	v_fmac_f32_e32 v29, v3, v31
	v_dual_fmac_f32 v21, v3, v23 :: v_dual_add_f32 v126, v126, v33
	v_fmac_f32_e32 v85, v4, v88
	v_dual_fmac_f32 v97, v3, v99 :: v_dual_add_f32 v128, v128, v25
	v_fmac_f32_e32 v81, v3, v83
	v_fmac_f32_e32 v17, v3, v19
	;; [unrolled: 1-line block ×3, first 2 shown]
	v_dual_fmac_f32 v9, v3, v11 :: v_dual_add_f32 v114, v114, v85
	s_delay_alu instid0(VALU_DEP_4)
	v_fmac_f32_e32 v81, v4, v84
	v_fmac_f32_e32 v69, v4, v72
	;; [unrolled: 1-line block ×4, first 2 shown]
	v_dual_fmac_f32 v45, v4, v48 :: v_dual_add_f32 v122, v122, v49
	v_fmac_f32_e32 v89, v4, v92
	v_fmac_f32_e32 v37, v4, v40
	;; [unrolled: 1-line block ×8, first 2 shown]
	v_add_f32_e32 v113, v113, v89
	v_add_f32_e32 v115, v115, v81
	;; [unrolled: 1-line block ×13, first 2 shown]
.LBB34_41:                              ;   in Loop: Header=BB34_42 Depth=1
	s_or_b32 exec_lo, exec_lo, s19
	v_add_nc_u32_e32 v105, 4, v105
	v_add_co_u32 v101, s0, v101, 16
	s_wait_alu 0xf1ff
	v_add_co_ci_u32_e64 v102, null, 0, v102, s0
	s_delay_alu instid0(VALU_DEP_3)
	v_cmp_le_i32_e32 vcc_lo, s21, v105
	v_add_nc_u32_e32 v104, 64, v104
	v_add_nc_u32_e32 v137, 0x100, v137
	s_or_b32 s10, vcc_lo, s10
	s_wait_alu 0xfffe
	s_and_not1_b32 exec_lo, exec_lo, s10
	s_cbranch_execz .LBB34_91
.LBB34_42:                              ; =>This Inner Loop Header: Depth=1
	v_sub_nc_u32_e32 v1, 0, v104
	s_delay_alu instid0(VALU_DEP_1) | instskip(NEXT) | instid1(VALU_DEP_1)
	v_max_i32_e32 v1, v104, v1
	v_mul_hi_u32 v2, v1, s20
	s_delay_alu instid0(VALU_DEP_1) | instskip(NEXT) | instid1(VALU_DEP_1)
	v_mul_lo_u32 v3, v2, s12
	v_sub_nc_u32_e32 v1, v1, v3
	v_add_nc_u32_e32 v3, 1, v2
	s_delay_alu instid0(VALU_DEP_2) | instskip(SKIP_2) | instid1(VALU_DEP_2)
	v_subrev_nc_u32_e32 v4, s12, v1
	v_cmp_le_u32_e32 vcc_lo, s12, v1
	s_wait_alu 0xfffd
	v_dual_cndmask_b32 v2, v2, v3 :: v_dual_cndmask_b32 v1, v1, v4
	v_ashrrev_i32_e32 v3, 31, v104
	s_delay_alu instid0(VALU_DEP_2) | instskip(NEXT) | instid1(VALU_DEP_3)
	v_add_nc_u32_e32 v4, 1, v2
	v_cmp_le_u32_e32 vcc_lo, s12, v1
	s_delay_alu instid0(VALU_DEP_3) | instskip(SKIP_1) | instid1(VALU_DEP_3)
	v_xor_b32_e32 v3, s11, v3
	s_wait_alu 0xfffd
	v_cndmask_b32_e32 v1, v2, v4, vcc_lo
	s_delay_alu instid0(VALU_DEP_1) | instskip(NEXT) | instid1(VALU_DEP_1)
	v_xor_b32_e32 v1, v1, v3
	v_sub_nc_u32_e32 v1, v1, v3
	s_delay_alu instid0(VALU_DEP_1) | instskip(SKIP_1) | instid1(VALU_DEP_2)
	v_add_nc_u32_e32 v2, s17, v1
	v_cmp_lt_i32_e64 s0, s6, v1
	v_sub_nc_u32_e32 v3, 0, v2
	s_delay_alu instid0(VALU_DEP_1) | instskip(SKIP_1) | instid1(VALU_DEP_1)
	v_max_i32_e32 v3, v2, v3
	s_wait_alu 0xfffe
	v_mul_hi_u32 v4, v3, s13
	s_delay_alu instid0(VALU_DEP_1) | instskip(NEXT) | instid1(VALU_DEP_1)
	v_mul_lo_u32 v4, v4, s5
	v_sub_nc_u32_e32 v3, v3, v4
	s_delay_alu instid0(VALU_DEP_1) | instskip(SKIP_2) | instid1(VALU_DEP_2)
	v_subrev_nc_u32_e32 v4, s5, v3
	v_cmp_le_u32_e32 vcc_lo, s5, v3
	s_wait_alu 0xfffd
	v_cndmask_b32_e32 v3, v3, v4, vcc_lo
	v_ashrrev_i32_e32 v2, 31, v2
	s_delay_alu instid0(VALU_DEP_2) | instskip(SKIP_2) | instid1(VALU_DEP_2)
	v_subrev_nc_u32_e32 v4, s5, v3
	v_cmp_le_u32_e32 vcc_lo, s5, v3
	s_wait_alu 0xfffd
	v_cndmask_b32_e32 v3, v3, v4, vcc_lo
	s_delay_alu instid0(VALU_DEP_1) | instskip(NEXT) | instid1(VALU_DEP_1)
	v_xor_b32_e32 v3, v3, v2
	v_sub_nc_u32_e32 v2, v3, v2
	s_delay_alu instid0(VALU_DEP_1)
	v_cmp_eq_u32_e32 vcc_lo, 0, v2
	s_or_b32 s0, vcc_lo, s0
	s_wait_alu 0xfffe
	s_and_saveexec_b32 s19, s0
	s_cbranch_execz .LBB34_41
; %bb.43:                               ;   in Loop: Header=BB34_42 Depth=1
	global_load_b32 v1, v[101:102], off
	v_add_nc_u32_e32 v138, v134, v104
	s_delay_alu instid0(VALU_DEP_1) | instskip(SKIP_4) | instid1(VALU_DEP_1)
	v_add_nc_u32_e32 v141, 1, v138
	v_add_nc_u32_e32 v140, 2, v138
	v_add_nc_u32_e32 v139, 3, v138
	s_wait_loadcnt 0x0
	v_mad_co_i64_i32 v[1:2], null, v1, s7, 0
	v_lshlrev_b64_e32 v[1:2], 2, v[1:2]
	s_delay_alu instid0(VALU_DEP_1) | instskip(SKIP_1) | instid1(VALU_DEP_2)
	v_add_co_u32 v77, vcc_lo, v135, v1
	s_wait_alu 0xfffd
	v_add_co_ci_u32_e64 v78, null, v136, v2, vcc_lo
	ds_load_b128 v[1:4], v137
	v_cmp_eq_u32_e32 vcc_lo, s9, v105
	global_load_b128 v[5:8], v[77:78], off
	s_and_saveexec_b32 s1, vcc_lo
	s_cbranch_execnz .LBB34_67
; %bb.44:                               ;   in Loop: Header=BB34_42 Depth=1
	s_wait_alu 0xfffe
	s_or_b32 exec_lo, exec_lo, s1
	global_load_b128 v[9:12], v[77:78], off offset:512
	s_and_saveexec_b32 s1, vcc_lo
	s_cbranch_execnz .LBB34_68
.LBB34_45:                              ;   in Loop: Header=BB34_42 Depth=1
	s_wait_alu 0xfffe
	s_or_b32 exec_lo, exec_lo, s1
	global_load_b128 v[13:16], v[77:78], off offset:1024
	s_and_saveexec_b32 s1, vcc_lo
	s_cbranch_execnz .LBB34_69
.LBB34_46:                              ;   in Loop: Header=BB34_42 Depth=1
	s_wait_alu 0xfffe
	s_or_b32 exec_lo, exec_lo, s1
	global_load_b128 v[17:20], v[77:78], off offset:1536
	s_and_saveexec_b32 s1, vcc_lo
	s_cbranch_execnz .LBB34_70
.LBB34_47:                              ;   in Loop: Header=BB34_42 Depth=1
	s_wait_alu 0xfffe
	s_or_b32 exec_lo, exec_lo, s1
	global_load_b128 v[21:24], v[77:78], off offset:2048
	s_and_saveexec_b32 s1, vcc_lo
	s_cbranch_execnz .LBB34_71
.LBB34_48:                              ;   in Loop: Header=BB34_42 Depth=1
	s_wait_alu 0xfffe
	s_or_b32 exec_lo, exec_lo, s1
	global_load_b128 v[25:28], v[77:78], off offset:2560
	s_and_saveexec_b32 s1, vcc_lo
	s_cbranch_execnz .LBB34_72
.LBB34_49:                              ;   in Loop: Header=BB34_42 Depth=1
	s_wait_alu 0xfffe
	s_or_b32 exec_lo, exec_lo, s1
	global_load_b128 v[29:32], v[77:78], off offset:3072
	s_and_saveexec_b32 s1, vcc_lo
	s_cbranch_execnz .LBB34_73
.LBB34_50:                              ;   in Loop: Header=BB34_42 Depth=1
	s_wait_alu 0xfffe
	s_or_b32 exec_lo, exec_lo, s1
	global_load_b128 v[33:36], v[77:78], off offset:3584
	s_and_saveexec_b32 s1, vcc_lo
	s_cbranch_execnz .LBB34_74
.LBB34_51:                              ;   in Loop: Header=BB34_42 Depth=1
	s_wait_alu 0xfffe
	s_or_b32 exec_lo, exec_lo, s1
	global_load_b128 v[37:40], v[77:78], off offset:4096
	s_and_saveexec_b32 s1, vcc_lo
	s_cbranch_execnz .LBB34_75
.LBB34_52:                              ;   in Loop: Header=BB34_42 Depth=1
	s_wait_alu 0xfffe
	s_or_b32 exec_lo, exec_lo, s1
	global_load_b128 v[41:44], v[77:78], off offset:4608
	s_and_saveexec_b32 s1, vcc_lo
	s_cbranch_execnz .LBB34_76
.LBB34_53:                              ;   in Loop: Header=BB34_42 Depth=1
	s_wait_alu 0xfffe
	s_or_b32 exec_lo, exec_lo, s1
	global_load_b128 v[45:48], v[77:78], off offset:5120
	s_and_saveexec_b32 s1, vcc_lo
	s_cbranch_execnz .LBB34_77
.LBB34_54:                              ;   in Loop: Header=BB34_42 Depth=1
	s_wait_alu 0xfffe
	s_or_b32 exec_lo, exec_lo, s1
	global_load_b128 v[49:52], v[77:78], off offset:5632
	s_and_saveexec_b32 s1, vcc_lo
	s_cbranch_execnz .LBB34_78
.LBB34_55:                              ;   in Loop: Header=BB34_42 Depth=1
	s_wait_alu 0xfffe
	s_or_b32 exec_lo, exec_lo, s1
	global_load_b128 v[53:56], v[77:78], off offset:6144
	s_and_saveexec_b32 s1, vcc_lo
	s_cbranch_execnz .LBB34_79
.LBB34_56:                              ;   in Loop: Header=BB34_42 Depth=1
	s_wait_alu 0xfffe
	s_or_b32 exec_lo, exec_lo, s1
	global_load_b128 v[57:60], v[77:78], off offset:6656
	s_and_saveexec_b32 s1, vcc_lo
	s_cbranch_execnz .LBB34_80
.LBB34_57:                              ;   in Loop: Header=BB34_42 Depth=1
	s_wait_alu 0xfffe
	s_or_b32 exec_lo, exec_lo, s1
	global_load_b128 v[61:64], v[77:78], off offset:7168
	s_and_saveexec_b32 s1, vcc_lo
	s_cbranch_execnz .LBB34_81
.LBB34_58:                              ;   in Loop: Header=BB34_42 Depth=1
	s_wait_alu 0xfffe
	s_or_b32 exec_lo, exec_lo, s1
	global_load_b128 v[65:68], v[77:78], off offset:7680
	s_and_saveexec_b32 s1, vcc_lo
	s_cbranch_execnz .LBB34_82
.LBB34_59:                              ;   in Loop: Header=BB34_42 Depth=1
	s_wait_alu 0xfffe
	s_or_b32 exec_lo, exec_lo, s1
	global_load_b128 v[69:72], v[77:78], off offset:8192
	s_and_saveexec_b32 s1, vcc_lo
	s_cbranch_execnz .LBB34_83
.LBB34_60:                              ;   in Loop: Header=BB34_42 Depth=1
	s_wait_alu 0xfffe
	s_or_b32 exec_lo, exec_lo, s1
	global_load_b128 v[73:76], v[77:78], off offset:8704
	s_and_saveexec_b32 s1, vcc_lo
	s_cbranch_execnz .LBB34_84
.LBB34_61:                              ;   in Loop: Header=BB34_42 Depth=1
	s_wait_alu 0xfffe
	s_or_b32 exec_lo, exec_lo, s1
	global_load_b128 v[81:84], v[77:78], off offset:9216
	s_and_saveexec_b32 s22, vcc_lo
	s_cbranch_execnz .LBB34_85
.LBB34_62:                              ;   in Loop: Header=BB34_42 Depth=1
	s_or_b32 exec_lo, exec_lo, s22
	global_load_b128 v[85:88], v[77:78], off offset:9728
	s_and_saveexec_b32 s1, vcc_lo
	s_cbranch_execnz .LBB34_86
.LBB34_63:                              ;   in Loop: Header=BB34_42 Depth=1
	s_wait_alu 0xfffe
	s_or_b32 exec_lo, exec_lo, s1
	global_load_b128 v[89:92], v[77:78], off offset:10240
	s_and_saveexec_b32 s1, vcc_lo
	s_cbranch_execnz .LBB34_87
.LBB34_64:                              ;   in Loop: Header=BB34_42 Depth=1
	s_wait_alu 0xfffe
	s_or_b32 exec_lo, exec_lo, s1
	global_load_b128 v[93:96], v[77:78], off offset:10752
	s_and_saveexec_b32 s1, vcc_lo
	s_cbranch_execnz .LBB34_88
.LBB34_65:                              ;   in Loop: Header=BB34_42 Depth=1
	s_wait_alu 0xfffe
	s_or_b32 exec_lo, exec_lo, s1
	global_load_b128 v[97:100], v[77:78], off offset:11264
	s_and_saveexec_b32 s1, vcc_lo
	s_cbranch_execnz .LBB34_89
.LBB34_66:                              ;   in Loop: Header=BB34_42 Depth=1
	s_wait_alu 0xfffe
	s_or_b32 exec_lo, exec_lo, s1
	global_load_b128 v[77:80], v[77:78], off offset:11776
	s_and_saveexec_b32 s0, vcc_lo
	s_cbranch_execz .LBB34_40
	s_branch .LBB34_90
.LBB34_67:                              ;   in Loop: Header=BB34_42 Depth=1
	v_cmp_gt_i32_e64 s0, s31, v138
	s_wait_loadcnt 0x0
	s_wait_alu 0xf1ff
	s_delay_alu instid0(VALU_DEP_1) | instskip(SKIP_2) | instid1(VALU_DEP_1)
	v_cndmask_b32_e64 v5, 0, v5, s0
	v_cmp_gt_i32_e64 s0, s31, v141
	s_wait_alu 0xf1ff
	v_cndmask_b32_e64 v6, 0, v6, s0
	v_cmp_gt_i32_e64 s0, s31, v140
	s_wait_alu 0xf1ff
	s_delay_alu instid0(VALU_DEP_1) | instskip(SKIP_2) | instid1(VALU_DEP_1)
	v_cndmask_b32_e64 v7, 0, v7, s0
	v_cmp_gt_i32_e64 s0, s31, v139
	s_wait_alu 0xf1ff
	v_cndmask_b32_e64 v8, 0, v8, s0
	s_wait_alu 0xfffe
	s_or_b32 exec_lo, exec_lo, s1
	global_load_b128 v[9:12], v[77:78], off offset:512
	s_and_saveexec_b32 s1, vcc_lo
	s_cbranch_execz .LBB34_45
.LBB34_68:                              ;   in Loop: Header=BB34_42 Depth=1
	v_cmp_gt_i32_e64 s0, s31, v138
	s_wait_loadcnt 0x0
	s_wait_alu 0xf1ff
	s_delay_alu instid0(VALU_DEP_1) | instskip(SKIP_2) | instid1(VALU_DEP_1)
	v_cndmask_b32_e64 v9, 0, v9, s0
	v_cmp_gt_i32_e64 s0, s31, v141
	s_wait_alu 0xf1ff
	v_cndmask_b32_e64 v10, 0, v10, s0
	v_cmp_gt_i32_e64 s0, s31, v140
	s_wait_alu 0xf1ff
	s_delay_alu instid0(VALU_DEP_1) | instskip(SKIP_2) | instid1(VALU_DEP_1)
	v_cndmask_b32_e64 v11, 0, v11, s0
	v_cmp_gt_i32_e64 s0, s31, v139
	s_wait_alu 0xf1ff
	v_cndmask_b32_e64 v12, 0, v12, s0
	s_wait_alu 0xfffe
	s_or_b32 exec_lo, exec_lo, s1
	global_load_b128 v[13:16], v[77:78], off offset:1024
	s_and_saveexec_b32 s1, vcc_lo
	s_cbranch_execz .LBB34_46
.LBB34_69:                              ;   in Loop: Header=BB34_42 Depth=1
	v_cmp_gt_i32_e64 s0, s31, v138
	s_wait_loadcnt 0x0
	s_wait_alu 0xf1ff
	s_delay_alu instid0(VALU_DEP_1) | instskip(SKIP_2) | instid1(VALU_DEP_1)
	v_cndmask_b32_e64 v13, 0, v13, s0
	v_cmp_gt_i32_e64 s0, s31, v141
	s_wait_alu 0xf1ff
	v_cndmask_b32_e64 v14, 0, v14, s0
	v_cmp_gt_i32_e64 s0, s31, v140
	s_wait_alu 0xf1ff
	s_delay_alu instid0(VALU_DEP_1) | instskip(SKIP_2) | instid1(VALU_DEP_1)
	v_cndmask_b32_e64 v15, 0, v15, s0
	v_cmp_gt_i32_e64 s0, s31, v139
	s_wait_alu 0xf1ff
	v_cndmask_b32_e64 v16, 0, v16, s0
	s_wait_alu 0xfffe
	s_or_b32 exec_lo, exec_lo, s1
	global_load_b128 v[17:20], v[77:78], off offset:1536
	s_and_saveexec_b32 s1, vcc_lo
	s_cbranch_execz .LBB34_47
.LBB34_70:                              ;   in Loop: Header=BB34_42 Depth=1
	v_cmp_gt_i32_e64 s0, s31, v138
	s_wait_loadcnt 0x0
	s_wait_alu 0xf1ff
	s_delay_alu instid0(VALU_DEP_1) | instskip(SKIP_2) | instid1(VALU_DEP_1)
	v_cndmask_b32_e64 v17, 0, v17, s0
	v_cmp_gt_i32_e64 s0, s31, v141
	s_wait_alu 0xf1ff
	v_cndmask_b32_e64 v18, 0, v18, s0
	v_cmp_gt_i32_e64 s0, s31, v140
	s_wait_alu 0xf1ff
	s_delay_alu instid0(VALU_DEP_1) | instskip(SKIP_2) | instid1(VALU_DEP_1)
	v_cndmask_b32_e64 v19, 0, v19, s0
	v_cmp_gt_i32_e64 s0, s31, v139
	s_wait_alu 0xf1ff
	v_cndmask_b32_e64 v20, 0, v20, s0
	s_wait_alu 0xfffe
	s_or_b32 exec_lo, exec_lo, s1
	global_load_b128 v[21:24], v[77:78], off offset:2048
	s_and_saveexec_b32 s1, vcc_lo
	s_cbranch_execz .LBB34_48
.LBB34_71:                              ;   in Loop: Header=BB34_42 Depth=1
	v_cmp_gt_i32_e64 s0, s31, v138
	s_wait_loadcnt 0x0
	s_wait_alu 0xf1ff
	s_delay_alu instid0(VALU_DEP_1) | instskip(SKIP_2) | instid1(VALU_DEP_1)
	v_cndmask_b32_e64 v21, 0, v21, s0
	v_cmp_gt_i32_e64 s0, s31, v141
	s_wait_alu 0xf1ff
	v_cndmask_b32_e64 v22, 0, v22, s0
	v_cmp_gt_i32_e64 s0, s31, v140
	s_wait_alu 0xf1ff
	s_delay_alu instid0(VALU_DEP_1) | instskip(SKIP_2) | instid1(VALU_DEP_1)
	v_cndmask_b32_e64 v23, 0, v23, s0
	v_cmp_gt_i32_e64 s0, s31, v139
	s_wait_alu 0xf1ff
	v_cndmask_b32_e64 v24, 0, v24, s0
	s_wait_alu 0xfffe
	s_or_b32 exec_lo, exec_lo, s1
	global_load_b128 v[25:28], v[77:78], off offset:2560
	s_and_saveexec_b32 s1, vcc_lo
	s_cbranch_execz .LBB34_49
.LBB34_72:                              ;   in Loop: Header=BB34_42 Depth=1
	v_cmp_gt_i32_e64 s0, s31, v138
	s_wait_loadcnt 0x0
	s_wait_alu 0xf1ff
	s_delay_alu instid0(VALU_DEP_1) | instskip(SKIP_2) | instid1(VALU_DEP_1)
	v_cndmask_b32_e64 v25, 0, v25, s0
	v_cmp_gt_i32_e64 s0, s31, v141
	s_wait_alu 0xf1ff
	v_cndmask_b32_e64 v26, 0, v26, s0
	v_cmp_gt_i32_e64 s0, s31, v140
	s_wait_alu 0xf1ff
	s_delay_alu instid0(VALU_DEP_1) | instskip(SKIP_2) | instid1(VALU_DEP_1)
	v_cndmask_b32_e64 v27, 0, v27, s0
	v_cmp_gt_i32_e64 s0, s31, v139
	s_wait_alu 0xf1ff
	v_cndmask_b32_e64 v28, 0, v28, s0
	s_wait_alu 0xfffe
	s_or_b32 exec_lo, exec_lo, s1
	global_load_b128 v[29:32], v[77:78], off offset:3072
	s_and_saveexec_b32 s1, vcc_lo
	s_cbranch_execz .LBB34_50
.LBB34_73:                              ;   in Loop: Header=BB34_42 Depth=1
	v_cmp_gt_i32_e64 s0, s31, v138
	s_wait_loadcnt 0x0
	s_wait_alu 0xf1ff
	s_delay_alu instid0(VALU_DEP_1) | instskip(SKIP_2) | instid1(VALU_DEP_1)
	v_cndmask_b32_e64 v29, 0, v29, s0
	v_cmp_gt_i32_e64 s0, s31, v141
	s_wait_alu 0xf1ff
	v_cndmask_b32_e64 v30, 0, v30, s0
	v_cmp_gt_i32_e64 s0, s31, v140
	s_wait_alu 0xf1ff
	s_delay_alu instid0(VALU_DEP_1) | instskip(SKIP_2) | instid1(VALU_DEP_1)
	v_cndmask_b32_e64 v31, 0, v31, s0
	v_cmp_gt_i32_e64 s0, s31, v139
	s_wait_alu 0xf1ff
	v_cndmask_b32_e64 v32, 0, v32, s0
	s_wait_alu 0xfffe
	s_or_b32 exec_lo, exec_lo, s1
	global_load_b128 v[33:36], v[77:78], off offset:3584
	s_and_saveexec_b32 s1, vcc_lo
	s_cbranch_execz .LBB34_51
.LBB34_74:                              ;   in Loop: Header=BB34_42 Depth=1
	v_cmp_gt_i32_e64 s0, s31, v138
	s_wait_loadcnt 0x0
	s_wait_alu 0xf1ff
	s_delay_alu instid0(VALU_DEP_1) | instskip(SKIP_2) | instid1(VALU_DEP_1)
	v_cndmask_b32_e64 v33, 0, v33, s0
	v_cmp_gt_i32_e64 s0, s31, v141
	s_wait_alu 0xf1ff
	v_cndmask_b32_e64 v34, 0, v34, s0
	v_cmp_gt_i32_e64 s0, s31, v140
	s_wait_alu 0xf1ff
	s_delay_alu instid0(VALU_DEP_1) | instskip(SKIP_2) | instid1(VALU_DEP_1)
	v_cndmask_b32_e64 v35, 0, v35, s0
	v_cmp_gt_i32_e64 s0, s31, v139
	s_wait_alu 0xf1ff
	v_cndmask_b32_e64 v36, 0, v36, s0
	s_wait_alu 0xfffe
	s_or_b32 exec_lo, exec_lo, s1
	global_load_b128 v[37:40], v[77:78], off offset:4096
	s_and_saveexec_b32 s1, vcc_lo
	s_cbranch_execz .LBB34_52
.LBB34_75:                              ;   in Loop: Header=BB34_42 Depth=1
	v_cmp_gt_i32_e64 s0, s31, v138
	s_wait_loadcnt 0x0
	s_wait_alu 0xf1ff
	s_delay_alu instid0(VALU_DEP_1) | instskip(SKIP_2) | instid1(VALU_DEP_1)
	v_cndmask_b32_e64 v37, 0, v37, s0
	v_cmp_gt_i32_e64 s0, s31, v141
	s_wait_alu 0xf1ff
	v_cndmask_b32_e64 v38, 0, v38, s0
	v_cmp_gt_i32_e64 s0, s31, v140
	s_wait_alu 0xf1ff
	s_delay_alu instid0(VALU_DEP_1) | instskip(SKIP_2) | instid1(VALU_DEP_1)
	v_cndmask_b32_e64 v39, 0, v39, s0
	v_cmp_gt_i32_e64 s0, s31, v139
	s_wait_alu 0xf1ff
	v_cndmask_b32_e64 v40, 0, v40, s0
	s_wait_alu 0xfffe
	s_or_b32 exec_lo, exec_lo, s1
	global_load_b128 v[41:44], v[77:78], off offset:4608
	s_and_saveexec_b32 s1, vcc_lo
	s_cbranch_execz .LBB34_53
.LBB34_76:                              ;   in Loop: Header=BB34_42 Depth=1
	v_cmp_gt_i32_e64 s0, s31, v138
	s_wait_loadcnt 0x0
	s_wait_alu 0xf1ff
	s_delay_alu instid0(VALU_DEP_1) | instskip(SKIP_2) | instid1(VALU_DEP_1)
	v_cndmask_b32_e64 v41, 0, v41, s0
	v_cmp_gt_i32_e64 s0, s31, v141
	s_wait_alu 0xf1ff
	v_cndmask_b32_e64 v42, 0, v42, s0
	v_cmp_gt_i32_e64 s0, s31, v140
	s_wait_alu 0xf1ff
	s_delay_alu instid0(VALU_DEP_1) | instskip(SKIP_2) | instid1(VALU_DEP_1)
	v_cndmask_b32_e64 v43, 0, v43, s0
	v_cmp_gt_i32_e64 s0, s31, v139
	s_wait_alu 0xf1ff
	v_cndmask_b32_e64 v44, 0, v44, s0
	s_wait_alu 0xfffe
	s_or_b32 exec_lo, exec_lo, s1
	global_load_b128 v[45:48], v[77:78], off offset:5120
	s_and_saveexec_b32 s1, vcc_lo
	s_cbranch_execz .LBB34_54
.LBB34_77:                              ;   in Loop: Header=BB34_42 Depth=1
	v_cmp_gt_i32_e64 s0, s31, v138
	s_wait_loadcnt 0x0
	s_wait_alu 0xf1ff
	s_delay_alu instid0(VALU_DEP_1) | instskip(SKIP_2) | instid1(VALU_DEP_1)
	v_cndmask_b32_e64 v45, 0, v45, s0
	v_cmp_gt_i32_e64 s0, s31, v141
	s_wait_alu 0xf1ff
	v_cndmask_b32_e64 v46, 0, v46, s0
	v_cmp_gt_i32_e64 s0, s31, v140
	s_wait_alu 0xf1ff
	s_delay_alu instid0(VALU_DEP_1) | instskip(SKIP_2) | instid1(VALU_DEP_1)
	v_cndmask_b32_e64 v47, 0, v47, s0
	v_cmp_gt_i32_e64 s0, s31, v139
	s_wait_alu 0xf1ff
	v_cndmask_b32_e64 v48, 0, v48, s0
	s_wait_alu 0xfffe
	s_or_b32 exec_lo, exec_lo, s1
	global_load_b128 v[49:52], v[77:78], off offset:5632
	s_and_saveexec_b32 s1, vcc_lo
	s_cbranch_execz .LBB34_55
.LBB34_78:                              ;   in Loop: Header=BB34_42 Depth=1
	v_cmp_gt_i32_e64 s0, s31, v138
	s_wait_loadcnt 0x0
	s_wait_alu 0xf1ff
	s_delay_alu instid0(VALU_DEP_1) | instskip(SKIP_2) | instid1(VALU_DEP_1)
	v_cndmask_b32_e64 v49, 0, v49, s0
	v_cmp_gt_i32_e64 s0, s31, v141
	s_wait_alu 0xf1ff
	v_cndmask_b32_e64 v50, 0, v50, s0
	v_cmp_gt_i32_e64 s0, s31, v140
	s_wait_alu 0xf1ff
	s_delay_alu instid0(VALU_DEP_1) | instskip(SKIP_2) | instid1(VALU_DEP_1)
	v_cndmask_b32_e64 v51, 0, v51, s0
	v_cmp_gt_i32_e64 s0, s31, v139
	s_wait_alu 0xf1ff
	v_cndmask_b32_e64 v52, 0, v52, s0
	s_wait_alu 0xfffe
	s_or_b32 exec_lo, exec_lo, s1
	global_load_b128 v[53:56], v[77:78], off offset:6144
	s_and_saveexec_b32 s1, vcc_lo
	s_cbranch_execz .LBB34_56
.LBB34_79:                              ;   in Loop: Header=BB34_42 Depth=1
	v_cmp_gt_i32_e64 s0, s31, v138
	s_wait_loadcnt 0x0
	s_wait_alu 0xf1ff
	s_delay_alu instid0(VALU_DEP_1) | instskip(SKIP_2) | instid1(VALU_DEP_1)
	v_cndmask_b32_e64 v53, 0, v53, s0
	v_cmp_gt_i32_e64 s0, s31, v141
	s_wait_alu 0xf1ff
	v_cndmask_b32_e64 v54, 0, v54, s0
	v_cmp_gt_i32_e64 s0, s31, v140
	s_wait_alu 0xf1ff
	s_delay_alu instid0(VALU_DEP_1) | instskip(SKIP_2) | instid1(VALU_DEP_1)
	v_cndmask_b32_e64 v55, 0, v55, s0
	v_cmp_gt_i32_e64 s0, s31, v139
	s_wait_alu 0xf1ff
	v_cndmask_b32_e64 v56, 0, v56, s0
	s_wait_alu 0xfffe
	s_or_b32 exec_lo, exec_lo, s1
	global_load_b128 v[57:60], v[77:78], off offset:6656
	s_and_saveexec_b32 s1, vcc_lo
	s_cbranch_execz .LBB34_57
.LBB34_80:                              ;   in Loop: Header=BB34_42 Depth=1
	v_cmp_gt_i32_e64 s0, s31, v138
	s_wait_loadcnt 0x0
	s_wait_alu 0xf1ff
	s_delay_alu instid0(VALU_DEP_1) | instskip(SKIP_2) | instid1(VALU_DEP_1)
	v_cndmask_b32_e64 v57, 0, v57, s0
	v_cmp_gt_i32_e64 s0, s31, v141
	s_wait_alu 0xf1ff
	v_cndmask_b32_e64 v58, 0, v58, s0
	v_cmp_gt_i32_e64 s0, s31, v140
	s_wait_alu 0xf1ff
	s_delay_alu instid0(VALU_DEP_1) | instskip(SKIP_2) | instid1(VALU_DEP_1)
	v_cndmask_b32_e64 v59, 0, v59, s0
	v_cmp_gt_i32_e64 s0, s31, v139
	s_wait_alu 0xf1ff
	v_cndmask_b32_e64 v60, 0, v60, s0
	s_wait_alu 0xfffe
	s_or_b32 exec_lo, exec_lo, s1
	global_load_b128 v[61:64], v[77:78], off offset:7168
	s_and_saveexec_b32 s1, vcc_lo
	s_cbranch_execz .LBB34_58
.LBB34_81:                              ;   in Loop: Header=BB34_42 Depth=1
	v_cmp_gt_i32_e64 s0, s31, v138
	s_wait_loadcnt 0x0
	s_wait_alu 0xf1ff
	s_delay_alu instid0(VALU_DEP_1) | instskip(SKIP_2) | instid1(VALU_DEP_1)
	v_cndmask_b32_e64 v61, 0, v61, s0
	v_cmp_gt_i32_e64 s0, s31, v141
	s_wait_alu 0xf1ff
	v_cndmask_b32_e64 v62, 0, v62, s0
	v_cmp_gt_i32_e64 s0, s31, v140
	s_wait_alu 0xf1ff
	s_delay_alu instid0(VALU_DEP_1) | instskip(SKIP_2) | instid1(VALU_DEP_1)
	v_cndmask_b32_e64 v63, 0, v63, s0
	v_cmp_gt_i32_e64 s0, s31, v139
	s_wait_alu 0xf1ff
	v_cndmask_b32_e64 v64, 0, v64, s0
	s_wait_alu 0xfffe
	s_or_b32 exec_lo, exec_lo, s1
	global_load_b128 v[65:68], v[77:78], off offset:7680
	s_and_saveexec_b32 s1, vcc_lo
	s_cbranch_execz .LBB34_59
.LBB34_82:                              ;   in Loop: Header=BB34_42 Depth=1
	v_cmp_gt_i32_e64 s0, s31, v138
	s_wait_loadcnt 0x0
	s_wait_alu 0xf1ff
	s_delay_alu instid0(VALU_DEP_1) | instskip(SKIP_2) | instid1(VALU_DEP_1)
	v_cndmask_b32_e64 v65, 0, v65, s0
	v_cmp_gt_i32_e64 s0, s31, v141
	s_wait_alu 0xf1ff
	v_cndmask_b32_e64 v66, 0, v66, s0
	v_cmp_gt_i32_e64 s0, s31, v140
	s_wait_alu 0xf1ff
	s_delay_alu instid0(VALU_DEP_1) | instskip(SKIP_2) | instid1(VALU_DEP_1)
	v_cndmask_b32_e64 v67, 0, v67, s0
	v_cmp_gt_i32_e64 s0, s31, v139
	s_wait_alu 0xf1ff
	v_cndmask_b32_e64 v68, 0, v68, s0
	s_wait_alu 0xfffe
	s_or_b32 exec_lo, exec_lo, s1
	global_load_b128 v[69:72], v[77:78], off offset:8192
	s_and_saveexec_b32 s1, vcc_lo
	s_cbranch_execz .LBB34_60
.LBB34_83:                              ;   in Loop: Header=BB34_42 Depth=1
	v_cmp_gt_i32_e64 s0, s31, v138
	s_wait_loadcnt 0x0
	s_wait_alu 0xf1ff
	s_delay_alu instid0(VALU_DEP_1) | instskip(SKIP_2) | instid1(VALU_DEP_1)
	v_cndmask_b32_e64 v69, 0, v69, s0
	v_cmp_gt_i32_e64 s0, s31, v141
	s_wait_alu 0xf1ff
	v_cndmask_b32_e64 v70, 0, v70, s0
	v_cmp_gt_i32_e64 s0, s31, v140
	s_wait_alu 0xf1ff
	s_delay_alu instid0(VALU_DEP_1) | instskip(SKIP_2) | instid1(VALU_DEP_1)
	v_cndmask_b32_e64 v71, 0, v71, s0
	v_cmp_gt_i32_e64 s0, s31, v139
	s_wait_alu 0xf1ff
	v_cndmask_b32_e64 v72, 0, v72, s0
	s_wait_alu 0xfffe
	s_or_b32 exec_lo, exec_lo, s1
	global_load_b128 v[73:76], v[77:78], off offset:8704
	s_and_saveexec_b32 s1, vcc_lo
	s_cbranch_execz .LBB34_61
.LBB34_84:                              ;   in Loop: Header=BB34_42 Depth=1
	v_cmp_gt_i32_e64 s0, s31, v138
	s_wait_loadcnt 0x0
	s_wait_alu 0xf1ff
	s_delay_alu instid0(VALU_DEP_1) | instskip(SKIP_2) | instid1(VALU_DEP_1)
	v_cndmask_b32_e64 v73, 0, v73, s0
	v_cmp_gt_i32_e64 s0, s31, v141
	s_wait_alu 0xf1ff
	v_cndmask_b32_e64 v74, 0, v74, s0
	v_cmp_gt_i32_e64 s0, s31, v140
	s_wait_alu 0xf1ff
	s_delay_alu instid0(VALU_DEP_1) | instskip(SKIP_2) | instid1(VALU_DEP_1)
	v_cndmask_b32_e64 v75, 0, v75, s0
	v_cmp_gt_i32_e64 s0, s31, v139
	s_wait_alu 0xf1ff
	v_cndmask_b32_e64 v76, 0, v76, s0
	s_wait_alu 0xfffe
	s_or_b32 exec_lo, exec_lo, s1
	global_load_b128 v[81:84], v[77:78], off offset:9216
	s_and_saveexec_b32 s22, vcc_lo
	s_cbranch_execz .LBB34_62
.LBB34_85:                              ;   in Loop: Header=BB34_42 Depth=1
	v_cmp_gt_i32_e64 s0, s31, v138
	v_cmp_gt_i32_e64 s1, s31, v141
	;; [unrolled: 1-line block ×4, first 2 shown]
	s_wait_loadcnt 0x0
	s_wait_alu 0xf1ff
	v_cndmask_b32_e64 v81, 0, v81, s0
	v_cndmask_b32_e64 v82, 0, v82, s1
	;; [unrolled: 1-line block ×4, first 2 shown]
	s_or_b32 exec_lo, exec_lo, s22
	global_load_b128 v[85:88], v[77:78], off offset:9728
	s_and_saveexec_b32 s1, vcc_lo
	s_cbranch_execz .LBB34_63
.LBB34_86:                              ;   in Loop: Header=BB34_42 Depth=1
	v_cmp_gt_i32_e64 s0, s31, v138
	s_wait_loadcnt 0x0
	s_wait_alu 0xf1ff
	s_delay_alu instid0(VALU_DEP_1) | instskip(SKIP_2) | instid1(VALU_DEP_1)
	v_cndmask_b32_e64 v85, 0, v85, s0
	v_cmp_gt_i32_e64 s0, s31, v141
	s_wait_alu 0xf1ff
	v_cndmask_b32_e64 v86, 0, v86, s0
	v_cmp_gt_i32_e64 s0, s31, v140
	s_wait_alu 0xf1ff
	s_delay_alu instid0(VALU_DEP_1) | instskip(SKIP_2) | instid1(VALU_DEP_1)
	v_cndmask_b32_e64 v87, 0, v87, s0
	v_cmp_gt_i32_e64 s0, s31, v139
	s_wait_alu 0xf1ff
	v_cndmask_b32_e64 v88, 0, v88, s0
	s_wait_alu 0xfffe
	s_or_b32 exec_lo, exec_lo, s1
	global_load_b128 v[89:92], v[77:78], off offset:10240
	s_and_saveexec_b32 s1, vcc_lo
	s_cbranch_execz .LBB34_64
.LBB34_87:                              ;   in Loop: Header=BB34_42 Depth=1
	v_cmp_gt_i32_e64 s0, s31, v138
	s_wait_loadcnt 0x0
	s_wait_alu 0xf1ff
	s_delay_alu instid0(VALU_DEP_1) | instskip(SKIP_2) | instid1(VALU_DEP_1)
	v_cndmask_b32_e64 v89, 0, v89, s0
	v_cmp_gt_i32_e64 s0, s31, v141
	s_wait_alu 0xf1ff
	v_cndmask_b32_e64 v90, 0, v90, s0
	v_cmp_gt_i32_e64 s0, s31, v140
	s_wait_alu 0xf1ff
	s_delay_alu instid0(VALU_DEP_1) | instskip(SKIP_2) | instid1(VALU_DEP_1)
	v_cndmask_b32_e64 v91, 0, v91, s0
	v_cmp_gt_i32_e64 s0, s31, v139
	s_wait_alu 0xf1ff
	v_cndmask_b32_e64 v92, 0, v92, s0
	s_wait_alu 0xfffe
	s_or_b32 exec_lo, exec_lo, s1
	global_load_b128 v[93:96], v[77:78], off offset:10752
	s_and_saveexec_b32 s1, vcc_lo
	s_cbranch_execz .LBB34_65
.LBB34_88:                              ;   in Loop: Header=BB34_42 Depth=1
	v_cmp_gt_i32_e64 s0, s31, v138
	s_wait_loadcnt 0x0
	s_wait_alu 0xf1ff
	s_delay_alu instid0(VALU_DEP_1) | instskip(SKIP_2) | instid1(VALU_DEP_1)
	v_cndmask_b32_e64 v93, 0, v93, s0
	v_cmp_gt_i32_e64 s0, s31, v141
	s_wait_alu 0xf1ff
	v_cndmask_b32_e64 v94, 0, v94, s0
	v_cmp_gt_i32_e64 s0, s31, v140
	s_wait_alu 0xf1ff
	s_delay_alu instid0(VALU_DEP_1) | instskip(SKIP_2) | instid1(VALU_DEP_1)
	v_cndmask_b32_e64 v95, 0, v95, s0
	v_cmp_gt_i32_e64 s0, s31, v139
	s_wait_alu 0xf1ff
	v_cndmask_b32_e64 v96, 0, v96, s0
	s_wait_alu 0xfffe
	s_or_b32 exec_lo, exec_lo, s1
	global_load_b128 v[97:100], v[77:78], off offset:11264
	s_and_saveexec_b32 s1, vcc_lo
	s_cbranch_execz .LBB34_66
.LBB34_89:                              ;   in Loop: Header=BB34_42 Depth=1
	v_cmp_gt_i32_e64 s0, s31, v138
	s_wait_loadcnt 0x0
	s_wait_alu 0xf1ff
	s_delay_alu instid0(VALU_DEP_1) | instskip(SKIP_2) | instid1(VALU_DEP_1)
	v_cndmask_b32_e64 v97, 0, v97, s0
	v_cmp_gt_i32_e64 s0, s31, v141
	s_wait_alu 0xf1ff
	v_cndmask_b32_e64 v98, 0, v98, s0
	v_cmp_gt_i32_e64 s0, s31, v140
	s_wait_alu 0xf1ff
	s_delay_alu instid0(VALU_DEP_1) | instskip(SKIP_2) | instid1(VALU_DEP_1)
	v_cndmask_b32_e64 v99, 0, v99, s0
	v_cmp_gt_i32_e64 s0, s31, v139
	s_wait_alu 0xf1ff
	v_cndmask_b32_e64 v100, 0, v100, s0
	s_wait_alu 0xfffe
	s_or_b32 exec_lo, exec_lo, s1
	global_load_b128 v[77:80], v[77:78], off offset:11776
	s_and_saveexec_b32 s0, vcc_lo
	s_cbranch_execz .LBB34_40
.LBB34_90:                              ;   in Loop: Header=BB34_42 Depth=1
	v_cmp_gt_i32_e32 vcc_lo, s31, v138
	s_wait_loadcnt 0x0
	s_wait_alu 0xfffd
	v_cndmask_b32_e32 v77, 0, v77, vcc_lo
	v_cmp_gt_i32_e32 vcc_lo, s31, v141
	s_wait_alu 0xfffd
	v_cndmask_b32_e32 v78, 0, v78, vcc_lo
	v_cmp_gt_i32_e32 vcc_lo, s31, v140
	;; [unrolled: 3-line block ×3, first 2 shown]
	s_wait_alu 0xfffd
	v_cndmask_b32_e32 v80, 0, v80, vcc_lo
	s_branch .LBB34_40
.LBB34_91:
	s_or_b32 exec_lo, exec_lo, s10
.LBB34_92:
	s_wait_alu 0xfffe
	s_or_b32 exec_lo, exec_lo, s4
	ds_bpermute_b32 v1, v107, v132
	ds_bpermute_b32 v2, v107, v133
	;; [unrolled: 1-line block ×20, first 2 shown]
	s_wait_dscnt 0x12
	v_dual_add_f32 v1, v132, v1 :: v_dual_add_f32 v2, v133, v2
	s_wait_dscnt 0x10
	v_dual_add_f32 v3, v131, v3 :: v_dual_add_f32 v4, v130, v4
	;; [unrolled: 2-line block ×3, first 2 shown]
	ds_bpermute_b32 v19, v108, v1
	ds_bpermute_b32 v20, v108, v2
	ds_bpermute_b32 v21, v108, v3
	ds_bpermute_b32 v22, v108, v4
	s_wait_dscnt 0x11
	v_add_f32_e32 v11, v123, v11
	ds_bpermute_b32 v25, v108, v5
	ds_bpermute_b32 v26, v108, v6
	s_wait_dscnt 0x11
	v_dual_add_f32 v7, v127, v7 :: v_dual_add_f32 v8, v126, v8
	s_wait_dscnt 0xf
	v_dual_add_f32 v9, v125, v9 :: v_dual_add_f32 v10, v124, v10
	;; [unrolled: 2-line block ×3, first 2 shown]
	ds_bpermute_b32 v27, v108, v7
	s_wait_dscnt 0xb
	v_dual_add_f32 v15, v119, v15 :: v_dual_add_f32 v16, v118, v16
	s_wait_dscnt 0x9
	v_dual_add_f32 v17, v117, v17 :: v_dual_add_f32 v18, v116, v18
	s_wait_dscnt 0x7
	v_dual_add_f32 v23, v115, v23 :: v_dual_add_f32 v24, v114, v24
	s_wait_dscnt 0x5
	v_dual_add_f32 v1, v1, v19 :: v_dual_add_f32 v2, v2, v20
	s_wait_dscnt 0x4
	v_dual_add_f32 v3, v3, v21 :: v_dual_add_f32 v12, v122, v12
	s_wait_dscnt 0x3
	v_add_f32_e32 v4, v4, v22
	ds_bpermute_b32 v19, v107, v113
	ds_bpermute_b32 v20, v107, v112
	ds_bpermute_b32 v21, v107, v111
	ds_bpermute_b32 v22, v107, v110
	ds_bpermute_b32 v28, v108, v8
	ds_bpermute_b32 v29, v108, v9
	ds_bpermute_b32 v30, v108, v10
	ds_bpermute_b32 v31, v108, v11
	ds_bpermute_b32 v32, v108, v12
	ds_bpermute_b32 v33, v108, v13
	ds_bpermute_b32 v34, v108, v14
	ds_bpermute_b32 v35, v108, v15
	ds_bpermute_b32 v36, v108, v16
	ds_bpermute_b32 v37, v108, v17
	ds_bpermute_b32 v38, v108, v18
	s_wait_dscnt 0x10
	v_dual_add_f32 v5, v5, v25 :: v_dual_add_f32 v6, v6, v26
	s_wait_dscnt 0xf
	v_add_f32_e32 v7, v7, v27
	v_and_b32_e32 v27, 28, v106
	s_mov_b32 s0, exec_lo
	s_wait_dscnt 0xd
	v_dual_add_f32 v39, v113, v19 :: v_dual_add_f32 v40, v112, v20
	s_wait_dscnt 0xb
	v_dual_add_f32 v41, v111, v21 :: v_dual_add_f32 v42, v110, v22
	ds_bpermute_b32 v19, v108, v23
	ds_bpermute_b32 v20, v108, v24
	;; [unrolled: 1-line block ×6, first 2 shown]
	s_wait_dscnt 0xf
	v_dual_add_f32 v8, v8, v28 :: v_dual_add_f32 v9, v9, v29
	s_wait_dscnt 0xd
	v_dual_add_f32 v10, v10, v30 :: v_dual_add_f32 v11, v11, v31
	;; [unrolled: 2-line block ×5, first 2 shown]
	s_wait_dscnt 0x6
	v_add_f32_e32 v18, v18, v38
	v_and_b32_e32 v28, 0x3c3, v0
	s_wait_storecnt 0x0
	s_wait_loadcnt_dscnt 0x0
	s_barrier_signal -1
	v_dual_add_f32 v19, v23, v19 :: v_dual_add_f32 v20, v24, v20
	v_dual_add_f32 v21, v39, v21 :: v_dual_add_f32 v22, v40, v22
	;; [unrolled: 1-line block ×3, first 2 shown]
	v_lshrrev_b32_e32 v25, 2, v106
	v_add_nc_u32_e32 v26, 0x320, v27
	v_mul_u32_u24_e32 v27, 0x300, v103
	s_barrier_wait -1
	global_inv scope:SCOPE_SE
	v_cmpx_eq_u32_e32 64, v28
	s_cbranch_execz .LBB34_94
; %bb.93:
	v_add_nc_u32_e32 v28, v26, v27
	s_delay_alu instid0(VALU_DEP_1)
	v_add_nc_u32_e32 v29, 0xfffffa00, v28
	v_add_nc_u32_e32 v30, 0xfffffa20, v28
	v_add_nc_u32_e32 v31, 0xfffffa40, v28
	v_add_nc_u32_e32 v32, 0xfffffa60, v28
	v_add_nc_u32_e32 v33, 0xfffffa80, v28
	v_add_nc_u32_e32 v34, 0xfffffaa0, v28
	v_add_nc_u32_e32 v35, 0xfffffac0, v28
	v_add_nc_u32_e32 v36, 0xfffffae0, v28
	ds_store_b32 v29, v1
	ds_store_b32 v30, v2
	ds_store_b32 v31, v3
	ds_store_b32 v32, v4
	ds_store_b32 v33, v5
	ds_store_b32 v34, v6
	ds_store_b32 v35, v7
	ds_store_b32 v36, v8
	v_add_nc_u32_e32 v29, 0xfffffb00, v28
	v_add_nc_u32_e32 v30, 0xfffffb20, v28
	v_add_nc_u32_e32 v31, 0xfffffb40, v28
	v_add_nc_u32_e32 v32, 0xfffffb60, v28
	v_add_nc_u32_e32 v33, 0xfffffb80, v28
	v_add_nc_u32_e32 v34, 0xfffffba0, v28
	v_add_nc_u32_e32 v35, 0xfffffbc0, v28
	v_add_nc_u32_e32 v36, 0xfffffbe0, v28
	ds_store_b32 v29, v9
	ds_store_b32 v30, v10
	ds_store_b32 v31, v11
	ds_store_b32 v32, v12
	ds_store_b32 v33, v13
	ds_store_b32 v34, v14
	ds_store_b32 v35, v15
	ds_store_b32 v36, v16
	;; [unrolled: 16-line block ×3, first 2 shown]
.LBB34_94:
	s_wait_alu 0xfffe
	s_or_b32 exec_lo, exec_lo, s0
	v_lshlrev_b32_e32 v25, 2, v25
	s_mov_b32 s1, exec_lo
	v_cmp_eq_u32_e32 vcc_lo, 0, v109
	s_wait_loadcnt_dscnt 0x0
	s_barrier_signal -1
	v_add3_u32 v25, 0x320, v27, v25
	s_barrier_wait -1
	global_inv scope:SCOPE_SE
	v_cmpx_gt_u32_e32 64, v0
	s_cbranch_execz .LBB34_121
; %bb.95:
	s_and_saveexec_b32 s0, vcc_lo
	s_cbranch_execnz .LBB34_153
; %bb.96:
	s_wait_alu 0xfffe
	s_or_b32 exec_lo, exec_lo, s0
	s_and_saveexec_b32 s0, vcc_lo
	s_cbranch_execnz .LBB34_154
.LBB34_97:
	s_wait_alu 0xfffe
	s_or_b32 exec_lo, exec_lo, s0
	s_and_saveexec_b32 s0, vcc_lo
	s_cbranch_execnz .LBB34_155
.LBB34_98:
	s_wait_alu 0xfffe
	s_or_b32 exec_lo, exec_lo, s0
	s_and_saveexec_b32 s0, vcc_lo
	s_cbranch_execnz .LBB34_156
.LBB34_99:
	s_wait_alu 0xfffe
	s_or_b32 exec_lo, exec_lo, s0
	s_and_saveexec_b32 s0, vcc_lo
	s_cbranch_execnz .LBB34_157
.LBB34_100:
	s_wait_alu 0xfffe
	s_or_b32 exec_lo, exec_lo, s0
	s_and_saveexec_b32 s0, vcc_lo
	s_cbranch_execnz .LBB34_158
.LBB34_101:
	s_wait_alu 0xfffe
	s_or_b32 exec_lo, exec_lo, s0
	s_and_saveexec_b32 s0, vcc_lo
	s_cbranch_execnz .LBB34_159
.LBB34_102:
	s_wait_alu 0xfffe
	s_or_b32 exec_lo, exec_lo, s0
	s_and_saveexec_b32 s0, vcc_lo
	s_cbranch_execnz .LBB34_160
.LBB34_103:
	s_wait_alu 0xfffe
	s_or_b32 exec_lo, exec_lo, s0
	s_and_saveexec_b32 s0, vcc_lo
	s_cbranch_execnz .LBB34_161
.LBB34_104:
	s_wait_alu 0xfffe
	s_or_b32 exec_lo, exec_lo, s0
	s_and_saveexec_b32 s0, vcc_lo
	s_cbranch_execnz .LBB34_162
.LBB34_105:
	s_wait_alu 0xfffe
	s_or_b32 exec_lo, exec_lo, s0
	s_and_saveexec_b32 s0, vcc_lo
	s_cbranch_execnz .LBB34_163
.LBB34_106:
	s_wait_alu 0xfffe
	s_or_b32 exec_lo, exec_lo, s0
	s_and_saveexec_b32 s0, vcc_lo
	s_cbranch_execnz .LBB34_164
.LBB34_107:
	s_wait_alu 0xfffe
	s_or_b32 exec_lo, exec_lo, s0
	s_and_saveexec_b32 s0, vcc_lo
	s_cbranch_execnz .LBB34_165
.LBB34_108:
	s_wait_alu 0xfffe
	s_or_b32 exec_lo, exec_lo, s0
	s_and_saveexec_b32 s0, vcc_lo
	s_cbranch_execnz .LBB34_166
.LBB34_109:
	s_wait_alu 0xfffe
	s_or_b32 exec_lo, exec_lo, s0
	s_and_saveexec_b32 s0, vcc_lo
	s_cbranch_execnz .LBB34_167
.LBB34_110:
	s_wait_alu 0xfffe
	s_or_b32 exec_lo, exec_lo, s0
	s_and_saveexec_b32 s0, vcc_lo
	s_cbranch_execnz .LBB34_168
.LBB34_111:
	s_wait_alu 0xfffe
	s_or_b32 exec_lo, exec_lo, s0
	s_and_saveexec_b32 s0, vcc_lo
	s_cbranch_execnz .LBB34_169
.LBB34_112:
	s_wait_alu 0xfffe
	s_or_b32 exec_lo, exec_lo, s0
	s_and_saveexec_b32 s0, vcc_lo
	s_cbranch_execnz .LBB34_170
.LBB34_113:
	s_wait_alu 0xfffe
	s_or_b32 exec_lo, exec_lo, s0
	s_and_saveexec_b32 s0, vcc_lo
	s_cbranch_execnz .LBB34_171
.LBB34_114:
	s_wait_alu 0xfffe
	s_or_b32 exec_lo, exec_lo, s0
	s_and_saveexec_b32 s0, vcc_lo
	s_cbranch_execnz .LBB34_172
.LBB34_115:
	s_wait_alu 0xfffe
	s_or_b32 exec_lo, exec_lo, s0
	s_and_saveexec_b32 s0, vcc_lo
	s_cbranch_execnz .LBB34_173
.LBB34_116:
	s_wait_alu 0xfffe
	s_or_b32 exec_lo, exec_lo, s0
	s_and_saveexec_b32 s0, vcc_lo
	s_cbranch_execnz .LBB34_174
.LBB34_117:
	s_wait_alu 0xfffe
	s_or_b32 exec_lo, exec_lo, s0
	s_and_saveexec_b32 s0, vcc_lo
	s_cbranch_execnz .LBB34_175
.LBB34_118:
	s_wait_alu 0xfffe
	s_or_b32 exec_lo, exec_lo, s0
	s_and_saveexec_b32 s0, vcc_lo
	s_cbranch_execz .LBB34_120
.LBB34_119:
	ds_load_b32 v27, v25 offset:736
	s_wait_dscnt 0x0
	v_add_f32_e32 v24, v24, v27
.LBB34_120:
	s_wait_alu 0xfffe
	s_or_b32 exec_lo, exec_lo, s0
.LBB34_121:
	s_wait_alu 0xfffe
	s_or_b32 exec_lo, exec_lo, s1
	v_and_b32_e32 v27, 0x3e3, v0
	s_mov_b32 s1, exec_lo
	s_wait_loadcnt 0x0
	s_barrier_signal -1
	s_barrier_wait -1
	global_inv scope:SCOPE_SE
	v_cmpx_eq_u32_e32 32, v27
	s_cbranch_execz .LBB34_123
; %bb.122:
	ds_store_2addr_b32 v26, v1, v2 offset1:8
	ds_store_2addr_b32 v26, v3, v4 offset0:16 offset1:24
	ds_store_2addr_b32 v26, v5, v6 offset0:32 offset1:40
	;; [unrolled: 1-line block ×11, first 2 shown]
.LBB34_123:
	s_wait_alu 0xfffe
	s_or_b32 exec_lo, exec_lo, s1
	s_delay_alu instid0(SALU_CYCLE_1)
	s_mov_b32 s1, exec_lo
	s_wait_loadcnt_dscnt 0x0
	s_barrier_signal -1
	s_barrier_wait -1
	global_inv scope:SCOPE_SE
	v_cmpx_gt_u32_e32 32, v0
	s_cbranch_execz .LBB34_150
; %bb.124:
	s_and_saveexec_b32 s0, vcc_lo
	s_cbranch_execnz .LBB34_176
; %bb.125:
	s_wait_alu 0xfffe
	s_or_b32 exec_lo, exec_lo, s0
	s_and_saveexec_b32 s0, vcc_lo
	s_cbranch_execnz .LBB34_177
.LBB34_126:
	s_wait_alu 0xfffe
	s_or_b32 exec_lo, exec_lo, s0
	s_and_saveexec_b32 s0, vcc_lo
	s_cbranch_execnz .LBB34_178
.LBB34_127:
	s_wait_alu 0xfffe
	s_or_b32 exec_lo, exec_lo, s0
	s_and_saveexec_b32 s0, vcc_lo
	s_cbranch_execnz .LBB34_179
.LBB34_128:
	s_wait_alu 0xfffe
	s_or_b32 exec_lo, exec_lo, s0
	s_and_saveexec_b32 s0, vcc_lo
	s_cbranch_execnz .LBB34_180
.LBB34_129:
	s_wait_alu 0xfffe
	s_or_b32 exec_lo, exec_lo, s0
	s_and_saveexec_b32 s0, vcc_lo
	s_cbranch_execnz .LBB34_181
.LBB34_130:
	s_wait_alu 0xfffe
	s_or_b32 exec_lo, exec_lo, s0
	s_and_saveexec_b32 s0, vcc_lo
	s_cbranch_execnz .LBB34_182
.LBB34_131:
	s_wait_alu 0xfffe
	s_or_b32 exec_lo, exec_lo, s0
	s_and_saveexec_b32 s0, vcc_lo
	s_cbranch_execnz .LBB34_183
.LBB34_132:
	s_wait_alu 0xfffe
	s_or_b32 exec_lo, exec_lo, s0
	s_and_saveexec_b32 s0, vcc_lo
	s_cbranch_execnz .LBB34_184
.LBB34_133:
	s_wait_alu 0xfffe
	s_or_b32 exec_lo, exec_lo, s0
	s_and_saveexec_b32 s0, vcc_lo
	s_cbranch_execnz .LBB34_185
.LBB34_134:
	s_wait_alu 0xfffe
	s_or_b32 exec_lo, exec_lo, s0
	s_and_saveexec_b32 s0, vcc_lo
	s_cbranch_execnz .LBB34_186
.LBB34_135:
	s_wait_alu 0xfffe
	s_or_b32 exec_lo, exec_lo, s0
	s_and_saveexec_b32 s0, vcc_lo
	s_cbranch_execnz .LBB34_187
.LBB34_136:
	s_wait_alu 0xfffe
	s_or_b32 exec_lo, exec_lo, s0
	s_and_saveexec_b32 s0, vcc_lo
	s_cbranch_execnz .LBB34_188
.LBB34_137:
	s_wait_alu 0xfffe
	s_or_b32 exec_lo, exec_lo, s0
	s_and_saveexec_b32 s0, vcc_lo
	s_cbranch_execnz .LBB34_189
.LBB34_138:
	s_wait_alu 0xfffe
	s_or_b32 exec_lo, exec_lo, s0
	s_and_saveexec_b32 s0, vcc_lo
	s_cbranch_execnz .LBB34_190
.LBB34_139:
	s_wait_alu 0xfffe
	s_or_b32 exec_lo, exec_lo, s0
	s_and_saveexec_b32 s0, vcc_lo
	s_cbranch_execnz .LBB34_191
.LBB34_140:
	s_wait_alu 0xfffe
	s_or_b32 exec_lo, exec_lo, s0
	s_and_saveexec_b32 s0, vcc_lo
	s_cbranch_execnz .LBB34_192
.LBB34_141:
	s_wait_alu 0xfffe
	s_or_b32 exec_lo, exec_lo, s0
	s_and_saveexec_b32 s0, vcc_lo
	s_cbranch_execnz .LBB34_193
.LBB34_142:
	s_wait_alu 0xfffe
	s_or_b32 exec_lo, exec_lo, s0
	s_and_saveexec_b32 s0, vcc_lo
	s_cbranch_execnz .LBB34_194
.LBB34_143:
	s_wait_alu 0xfffe
	s_or_b32 exec_lo, exec_lo, s0
	s_and_saveexec_b32 s0, vcc_lo
	s_cbranch_execnz .LBB34_195
.LBB34_144:
	s_wait_alu 0xfffe
	s_or_b32 exec_lo, exec_lo, s0
	s_and_saveexec_b32 s0, vcc_lo
	s_cbranch_execnz .LBB34_196
.LBB34_145:
	s_wait_alu 0xfffe
	s_or_b32 exec_lo, exec_lo, s0
	s_and_saveexec_b32 s0, vcc_lo
	s_cbranch_execnz .LBB34_197
.LBB34_146:
	s_wait_alu 0xfffe
	s_or_b32 exec_lo, exec_lo, s0
	s_and_saveexec_b32 s0, vcc_lo
	s_cbranch_execnz .LBB34_198
.LBB34_147:
	s_wait_alu 0xfffe
	s_or_b32 exec_lo, exec_lo, s0
	s_and_saveexec_b32 s0, vcc_lo
	s_cbranch_execz .LBB34_149
.LBB34_148:
	ds_load_b32 v25, v25 offset:736
	s_wait_dscnt 0x0
	v_add_f32_e32 v24, v24, v25
.LBB34_149:
	s_wait_alu 0xfffe
	s_or_b32 exec_lo, exec_lo, s0
.LBB34_150:
	s_wait_alu 0xfffe
	s_or_b32 exec_lo, exec_lo, s1
	s_mov_b32 s1, 0
	s_wait_loadcnt 0x0
	s_barrier_signal -1
	s_barrier_wait -1
	global_inv scope:SCOPE_SE
	s_mov_b32 s0, exec_lo
	v_cmpx_eq_u32_e32 0, v27
	s_cbranch_execz .LBB34_152
; %bb.151:
	s_mul_i32 s2, s18, 0xc0
	s_mul_i32 s4, s8, s16
	s_wait_alu 0xfffe
	s_ashr_i32 s3, s2, 31
	s_ashr_i32 s5, s4, 31
	s_wait_alu 0xfffe
	s_lshl_b64 s[2:3], s[2:3], 2
	s_lshl_b64 s[4:5], s[4:5], 2
	s_wait_alu 0xfffe
	s_add_nc_u64 s[2:3], s[14:15], s[2:3]
	s_mul_i32 s0, s30, 0x300
	s_wait_alu 0xfffe
	s_add_nc_u64 s[2:3], s[2:3], s[4:5]
	s_wait_alu 0xfffe
	s_add_nc_u64 s[0:1], s[2:3], s[0:1]
	s_clause 0x17
	global_store_b32 v0, v1, s[0:1]
	global_store_b32 v0, v2, s[0:1] offset:32
	global_store_b32 v0, v3, s[0:1] offset:64
	;; [unrolled: 1-line block ×23, first 2 shown]
.LBB34_152:
	s_nop 0
	s_sendmsg sendmsg(MSG_DEALLOC_VGPRS)
	s_endpgm
.LBB34_153:
	ds_load_b32 v27, v25
	s_wait_dscnt 0x0
	v_add_f32_e32 v1, v1, v27
	s_wait_alu 0xfffe
	s_or_b32 exec_lo, exec_lo, s0
	s_and_saveexec_b32 s0, vcc_lo
	s_cbranch_execz .LBB34_97
.LBB34_154:
	ds_load_b32 v27, v25 offset:32
	s_wait_dscnt 0x0
	v_add_f32_e32 v2, v2, v27
	s_wait_alu 0xfffe
	s_or_b32 exec_lo, exec_lo, s0
	s_and_saveexec_b32 s0, vcc_lo
	s_cbranch_execz .LBB34_98
.LBB34_155:
	ds_load_b32 v27, v25 offset:64
	s_wait_dscnt 0x0
	v_add_f32_e32 v3, v3, v27
	s_wait_alu 0xfffe
	s_or_b32 exec_lo, exec_lo, s0
	s_and_saveexec_b32 s0, vcc_lo
	s_cbranch_execz .LBB34_99
.LBB34_156:
	ds_load_b32 v27, v25 offset:96
	s_wait_dscnt 0x0
	v_add_f32_e32 v4, v4, v27
	s_wait_alu 0xfffe
	s_or_b32 exec_lo, exec_lo, s0
	s_and_saveexec_b32 s0, vcc_lo
	s_cbranch_execz .LBB34_100
.LBB34_157:
	ds_load_b32 v27, v25 offset:128
	s_wait_dscnt 0x0
	v_add_f32_e32 v5, v5, v27
	s_wait_alu 0xfffe
	s_or_b32 exec_lo, exec_lo, s0
	s_and_saveexec_b32 s0, vcc_lo
	s_cbranch_execz .LBB34_101
.LBB34_158:
	ds_load_b32 v27, v25 offset:160
	s_wait_dscnt 0x0
	v_add_f32_e32 v6, v6, v27
	s_wait_alu 0xfffe
	s_or_b32 exec_lo, exec_lo, s0
	s_and_saveexec_b32 s0, vcc_lo
	s_cbranch_execz .LBB34_102
.LBB34_159:
	ds_load_b32 v27, v25 offset:192
	s_wait_dscnt 0x0
	v_add_f32_e32 v7, v7, v27
	s_wait_alu 0xfffe
	s_or_b32 exec_lo, exec_lo, s0
	s_and_saveexec_b32 s0, vcc_lo
	s_cbranch_execz .LBB34_103
.LBB34_160:
	ds_load_b32 v27, v25 offset:224
	s_wait_dscnt 0x0
	v_add_f32_e32 v8, v8, v27
	s_wait_alu 0xfffe
	s_or_b32 exec_lo, exec_lo, s0
	s_and_saveexec_b32 s0, vcc_lo
	s_cbranch_execz .LBB34_104
.LBB34_161:
	ds_load_b32 v27, v25 offset:256
	s_wait_dscnt 0x0
	v_add_f32_e32 v9, v9, v27
	s_wait_alu 0xfffe
	s_or_b32 exec_lo, exec_lo, s0
	s_and_saveexec_b32 s0, vcc_lo
	s_cbranch_execz .LBB34_105
.LBB34_162:
	ds_load_b32 v27, v25 offset:288
	s_wait_dscnt 0x0
	v_add_f32_e32 v10, v10, v27
	s_wait_alu 0xfffe
	s_or_b32 exec_lo, exec_lo, s0
	s_and_saveexec_b32 s0, vcc_lo
	s_cbranch_execz .LBB34_106
.LBB34_163:
	ds_load_b32 v27, v25 offset:320
	s_wait_dscnt 0x0
	v_add_f32_e32 v11, v11, v27
	s_wait_alu 0xfffe
	s_or_b32 exec_lo, exec_lo, s0
	s_and_saveexec_b32 s0, vcc_lo
	s_cbranch_execz .LBB34_107
.LBB34_164:
	ds_load_b32 v27, v25 offset:352
	s_wait_dscnt 0x0
	v_add_f32_e32 v12, v12, v27
	s_wait_alu 0xfffe
	s_or_b32 exec_lo, exec_lo, s0
	s_and_saveexec_b32 s0, vcc_lo
	s_cbranch_execz .LBB34_108
.LBB34_165:
	ds_load_b32 v27, v25 offset:384
	s_wait_dscnt 0x0
	v_add_f32_e32 v13, v13, v27
	s_wait_alu 0xfffe
	s_or_b32 exec_lo, exec_lo, s0
	s_and_saveexec_b32 s0, vcc_lo
	s_cbranch_execz .LBB34_109
.LBB34_166:
	ds_load_b32 v27, v25 offset:416
	s_wait_dscnt 0x0
	v_add_f32_e32 v14, v14, v27
	s_wait_alu 0xfffe
	s_or_b32 exec_lo, exec_lo, s0
	s_and_saveexec_b32 s0, vcc_lo
	s_cbranch_execz .LBB34_110
.LBB34_167:
	ds_load_b32 v27, v25 offset:448
	s_wait_dscnt 0x0
	v_add_f32_e32 v15, v15, v27
	s_wait_alu 0xfffe
	s_or_b32 exec_lo, exec_lo, s0
	s_and_saveexec_b32 s0, vcc_lo
	s_cbranch_execz .LBB34_111
.LBB34_168:
	ds_load_b32 v27, v25 offset:480
	s_wait_dscnt 0x0
	v_add_f32_e32 v16, v16, v27
	s_wait_alu 0xfffe
	s_or_b32 exec_lo, exec_lo, s0
	s_and_saveexec_b32 s0, vcc_lo
	s_cbranch_execz .LBB34_112
.LBB34_169:
	ds_load_b32 v27, v25 offset:512
	s_wait_dscnt 0x0
	v_add_f32_e32 v17, v17, v27
	s_wait_alu 0xfffe
	s_or_b32 exec_lo, exec_lo, s0
	s_and_saveexec_b32 s0, vcc_lo
	s_cbranch_execz .LBB34_113
.LBB34_170:
	ds_load_b32 v27, v25 offset:544
	s_wait_dscnt 0x0
	v_add_f32_e32 v18, v18, v27
	s_wait_alu 0xfffe
	s_or_b32 exec_lo, exec_lo, s0
	s_and_saveexec_b32 s0, vcc_lo
	s_cbranch_execz .LBB34_114
.LBB34_171:
	ds_load_b32 v27, v25 offset:576
	s_wait_dscnt 0x0
	v_add_f32_e32 v19, v19, v27
	s_wait_alu 0xfffe
	s_or_b32 exec_lo, exec_lo, s0
	s_and_saveexec_b32 s0, vcc_lo
	s_cbranch_execz .LBB34_115
.LBB34_172:
	ds_load_b32 v27, v25 offset:608
	s_wait_dscnt 0x0
	v_add_f32_e32 v20, v20, v27
	s_wait_alu 0xfffe
	s_or_b32 exec_lo, exec_lo, s0
	s_and_saveexec_b32 s0, vcc_lo
	s_cbranch_execz .LBB34_116
.LBB34_173:
	ds_load_b32 v27, v25 offset:640
	s_wait_dscnt 0x0
	v_add_f32_e32 v21, v21, v27
	s_wait_alu 0xfffe
	s_or_b32 exec_lo, exec_lo, s0
	s_and_saveexec_b32 s0, vcc_lo
	s_cbranch_execz .LBB34_117
.LBB34_174:
	ds_load_b32 v27, v25 offset:672
	s_wait_dscnt 0x0
	v_add_f32_e32 v22, v22, v27
	s_wait_alu 0xfffe
	s_or_b32 exec_lo, exec_lo, s0
	s_and_saveexec_b32 s0, vcc_lo
	s_cbranch_execz .LBB34_118
.LBB34_175:
	ds_load_b32 v27, v25 offset:704
	s_wait_dscnt 0x0
	v_add_f32_e32 v23, v23, v27
	s_wait_alu 0xfffe
	s_or_b32 exec_lo, exec_lo, s0
	s_and_saveexec_b32 s0, vcc_lo
	s_cbranch_execnz .LBB34_119
	s_branch .LBB34_120
.LBB34_176:
	ds_load_b32 v26, v25
	s_wait_dscnt 0x0
	v_add_f32_e32 v1, v1, v26
	s_wait_alu 0xfffe
	s_or_b32 exec_lo, exec_lo, s0
	s_and_saveexec_b32 s0, vcc_lo
	s_cbranch_execz .LBB34_126
.LBB34_177:
	ds_load_b32 v26, v25 offset:32
	s_wait_dscnt 0x0
	v_add_f32_e32 v2, v2, v26
	s_wait_alu 0xfffe
	s_or_b32 exec_lo, exec_lo, s0
	s_and_saveexec_b32 s0, vcc_lo
	s_cbranch_execz .LBB34_127
.LBB34_178:
	ds_load_b32 v26, v25 offset:64
	s_wait_dscnt 0x0
	v_add_f32_e32 v3, v3, v26
	s_wait_alu 0xfffe
	s_or_b32 exec_lo, exec_lo, s0
	s_and_saveexec_b32 s0, vcc_lo
	s_cbranch_execz .LBB34_128
.LBB34_179:
	ds_load_b32 v26, v25 offset:96
	s_wait_dscnt 0x0
	v_add_f32_e32 v4, v4, v26
	s_wait_alu 0xfffe
	s_or_b32 exec_lo, exec_lo, s0
	s_and_saveexec_b32 s0, vcc_lo
	s_cbranch_execz .LBB34_129
.LBB34_180:
	ds_load_b32 v26, v25 offset:128
	s_wait_dscnt 0x0
	v_add_f32_e32 v5, v5, v26
	s_wait_alu 0xfffe
	s_or_b32 exec_lo, exec_lo, s0
	s_and_saveexec_b32 s0, vcc_lo
	s_cbranch_execz .LBB34_130
.LBB34_181:
	ds_load_b32 v26, v25 offset:160
	s_wait_dscnt 0x0
	v_add_f32_e32 v6, v6, v26
	s_wait_alu 0xfffe
	s_or_b32 exec_lo, exec_lo, s0
	s_and_saveexec_b32 s0, vcc_lo
	s_cbranch_execz .LBB34_131
.LBB34_182:
	ds_load_b32 v26, v25 offset:192
	s_wait_dscnt 0x0
	v_add_f32_e32 v7, v7, v26
	s_wait_alu 0xfffe
	s_or_b32 exec_lo, exec_lo, s0
	s_and_saveexec_b32 s0, vcc_lo
	s_cbranch_execz .LBB34_132
.LBB34_183:
	ds_load_b32 v26, v25 offset:224
	s_wait_dscnt 0x0
	v_add_f32_e32 v8, v8, v26
	s_wait_alu 0xfffe
	s_or_b32 exec_lo, exec_lo, s0
	s_and_saveexec_b32 s0, vcc_lo
	s_cbranch_execz .LBB34_133
.LBB34_184:
	ds_load_b32 v26, v25 offset:256
	s_wait_dscnt 0x0
	v_add_f32_e32 v9, v9, v26
	s_wait_alu 0xfffe
	s_or_b32 exec_lo, exec_lo, s0
	s_and_saveexec_b32 s0, vcc_lo
	s_cbranch_execz .LBB34_134
.LBB34_185:
	ds_load_b32 v26, v25 offset:288
	s_wait_dscnt 0x0
	v_add_f32_e32 v10, v10, v26
	s_wait_alu 0xfffe
	s_or_b32 exec_lo, exec_lo, s0
	s_and_saveexec_b32 s0, vcc_lo
	s_cbranch_execz .LBB34_135
.LBB34_186:
	ds_load_b32 v26, v25 offset:320
	s_wait_dscnt 0x0
	v_add_f32_e32 v11, v11, v26
	s_wait_alu 0xfffe
	s_or_b32 exec_lo, exec_lo, s0
	s_and_saveexec_b32 s0, vcc_lo
	s_cbranch_execz .LBB34_136
.LBB34_187:
	ds_load_b32 v26, v25 offset:352
	s_wait_dscnt 0x0
	v_add_f32_e32 v12, v12, v26
	s_wait_alu 0xfffe
	s_or_b32 exec_lo, exec_lo, s0
	s_and_saveexec_b32 s0, vcc_lo
	s_cbranch_execz .LBB34_137
.LBB34_188:
	ds_load_b32 v26, v25 offset:384
	s_wait_dscnt 0x0
	v_add_f32_e32 v13, v13, v26
	s_wait_alu 0xfffe
	s_or_b32 exec_lo, exec_lo, s0
	s_and_saveexec_b32 s0, vcc_lo
	s_cbranch_execz .LBB34_138
.LBB34_189:
	ds_load_b32 v26, v25 offset:416
	s_wait_dscnt 0x0
	v_add_f32_e32 v14, v14, v26
	s_wait_alu 0xfffe
	s_or_b32 exec_lo, exec_lo, s0
	s_and_saveexec_b32 s0, vcc_lo
	s_cbranch_execz .LBB34_139
.LBB34_190:
	ds_load_b32 v26, v25 offset:448
	s_wait_dscnt 0x0
	v_add_f32_e32 v15, v15, v26
	s_wait_alu 0xfffe
	s_or_b32 exec_lo, exec_lo, s0
	s_and_saveexec_b32 s0, vcc_lo
	s_cbranch_execz .LBB34_140
.LBB34_191:
	ds_load_b32 v26, v25 offset:480
	s_wait_dscnt 0x0
	v_add_f32_e32 v16, v16, v26
	s_wait_alu 0xfffe
	s_or_b32 exec_lo, exec_lo, s0
	s_and_saveexec_b32 s0, vcc_lo
	s_cbranch_execz .LBB34_141
.LBB34_192:
	ds_load_b32 v26, v25 offset:512
	s_wait_dscnt 0x0
	v_add_f32_e32 v17, v17, v26
	s_wait_alu 0xfffe
	s_or_b32 exec_lo, exec_lo, s0
	s_and_saveexec_b32 s0, vcc_lo
	s_cbranch_execz .LBB34_142
.LBB34_193:
	ds_load_b32 v26, v25 offset:544
	s_wait_dscnt 0x0
	v_add_f32_e32 v18, v18, v26
	s_wait_alu 0xfffe
	s_or_b32 exec_lo, exec_lo, s0
	s_and_saveexec_b32 s0, vcc_lo
	s_cbranch_execz .LBB34_143
.LBB34_194:
	ds_load_b32 v26, v25 offset:576
	s_wait_dscnt 0x0
	v_add_f32_e32 v19, v19, v26
	s_wait_alu 0xfffe
	s_or_b32 exec_lo, exec_lo, s0
	s_and_saveexec_b32 s0, vcc_lo
	s_cbranch_execz .LBB34_144
.LBB34_195:
	ds_load_b32 v26, v25 offset:608
	s_wait_dscnt 0x0
	v_add_f32_e32 v20, v20, v26
	s_wait_alu 0xfffe
	s_or_b32 exec_lo, exec_lo, s0
	s_and_saveexec_b32 s0, vcc_lo
	s_cbranch_execz .LBB34_145
.LBB34_196:
	ds_load_b32 v26, v25 offset:640
	s_wait_dscnt 0x0
	v_add_f32_e32 v21, v21, v26
	s_wait_alu 0xfffe
	s_or_b32 exec_lo, exec_lo, s0
	s_and_saveexec_b32 s0, vcc_lo
	s_cbranch_execz .LBB34_146
.LBB34_197:
	ds_load_b32 v26, v25 offset:672
	s_wait_dscnt 0x0
	v_add_f32_e32 v22, v22, v26
	s_wait_alu 0xfffe
	s_or_b32 exec_lo, exec_lo, s0
	s_and_saveexec_b32 s0, vcc_lo
	s_cbranch_execz .LBB34_147
.LBB34_198:
	ds_load_b32 v26, v25 offset:704
	s_wait_dscnt 0x0
	v_add_f32_e32 v23, v23, v26
	s_wait_alu 0xfffe
	s_or_b32 exec_lo, exec_lo, s0
	s_and_saveexec_b32 s0, vcc_lo
	s_cbranch_execnz .LBB34_148
	s_branch .LBB34_149
	.section	.rodata,"a",@progbits
	.p2align	6, 0x0
	.amdhsa_kernel _ZN4vllm25paged_attention_v2_kernelIffLi192ELi16ELi128ELNS_18Fp8KVCacheDataTypeE0ELb1ELi512EEEvPfS2_PT_PKS3_PKT0_S9_ifPKiSB_iPKfiiiSD_SD_iiiii
		.amdhsa_group_segment_fixed_size 800
		.amdhsa_private_segment_fixed_size 0
		.amdhsa_kernarg_size 400
		.amdhsa_user_sgpr_count 2
		.amdhsa_user_sgpr_dispatch_ptr 0
		.amdhsa_user_sgpr_queue_ptr 0
		.amdhsa_user_sgpr_kernarg_segment_ptr 1
		.amdhsa_user_sgpr_dispatch_id 0
		.amdhsa_user_sgpr_private_segment_size 0
		.amdhsa_wavefront_size32 1
		.amdhsa_uses_dynamic_stack 0
		.amdhsa_enable_private_segment 0
		.amdhsa_system_sgpr_workgroup_id_x 1
		.amdhsa_system_sgpr_workgroup_id_y 1
		.amdhsa_system_sgpr_workgroup_id_z 1
		.amdhsa_system_sgpr_workgroup_info 0
		.amdhsa_system_vgpr_workitem_id 0
		.amdhsa_next_free_vgpr 142
		.amdhsa_next_free_sgpr 42
		.amdhsa_reserve_vcc 1
		.amdhsa_float_round_mode_32 0
		.amdhsa_float_round_mode_16_64 0
		.amdhsa_float_denorm_mode_32 3
		.amdhsa_float_denorm_mode_16_64 3
		.amdhsa_fp16_overflow 0
		.amdhsa_workgroup_processor_mode 1
		.amdhsa_memory_ordered 1
		.amdhsa_forward_progress 1
		.amdhsa_inst_pref_size 105
		.amdhsa_round_robin_scheduling 0
		.amdhsa_exception_fp_ieee_invalid_op 0
		.amdhsa_exception_fp_denorm_src 0
		.amdhsa_exception_fp_ieee_div_zero 0
		.amdhsa_exception_fp_ieee_overflow 0
		.amdhsa_exception_fp_ieee_underflow 0
		.amdhsa_exception_fp_ieee_inexact 0
		.amdhsa_exception_int_div_zero 0
	.end_amdhsa_kernel
	.section	.text._ZN4vllm25paged_attention_v2_kernelIffLi192ELi16ELi128ELNS_18Fp8KVCacheDataTypeE0ELb1ELi512EEEvPfS2_PT_PKS3_PKT0_S9_ifPKiSB_iPKfiiiSD_SD_iiiii,"axG",@progbits,_ZN4vllm25paged_attention_v2_kernelIffLi192ELi16ELi128ELNS_18Fp8KVCacheDataTypeE0ELb1ELi512EEEvPfS2_PT_PKS3_PKT0_S9_ifPKiSB_iPKfiiiSD_SD_iiiii,comdat
.Lfunc_end34:
	.size	_ZN4vllm25paged_attention_v2_kernelIffLi192ELi16ELi128ELNS_18Fp8KVCacheDataTypeE0ELb1ELi512EEEvPfS2_PT_PKS3_PKT0_S9_ifPKiSB_iPKfiiiSD_SD_iiiii, .Lfunc_end34-_ZN4vllm25paged_attention_v2_kernelIffLi192ELi16ELi128ELNS_18Fp8KVCacheDataTypeE0ELb1ELi512EEEvPfS2_PT_PKS3_PKT0_S9_ifPKiSB_iPKfiiiSD_SD_iiiii
                                        ; -- End function
	.set _ZN4vllm25paged_attention_v2_kernelIffLi192ELi16ELi128ELNS_18Fp8KVCacheDataTypeE0ELb1ELi512EEEvPfS2_PT_PKS3_PKT0_S9_ifPKiSB_iPKfiiiSD_SD_iiiii.num_vgpr, 142
	.set _ZN4vllm25paged_attention_v2_kernelIffLi192ELi16ELi128ELNS_18Fp8KVCacheDataTypeE0ELb1ELi512EEEvPfS2_PT_PKS3_PKT0_S9_ifPKiSB_iPKfiiiSD_SD_iiiii.num_agpr, 0
	.set _ZN4vllm25paged_attention_v2_kernelIffLi192ELi16ELi128ELNS_18Fp8KVCacheDataTypeE0ELb1ELi512EEEvPfS2_PT_PKS3_PKT0_S9_ifPKiSB_iPKfiiiSD_SD_iiiii.numbered_sgpr, 42
	.set _ZN4vllm25paged_attention_v2_kernelIffLi192ELi16ELi128ELNS_18Fp8KVCacheDataTypeE0ELb1ELi512EEEvPfS2_PT_PKS3_PKT0_S9_ifPKiSB_iPKfiiiSD_SD_iiiii.num_named_barrier, 0
	.set _ZN4vllm25paged_attention_v2_kernelIffLi192ELi16ELi128ELNS_18Fp8KVCacheDataTypeE0ELb1ELi512EEEvPfS2_PT_PKS3_PKT0_S9_ifPKiSB_iPKfiiiSD_SD_iiiii.private_seg_size, 0
	.set _ZN4vllm25paged_attention_v2_kernelIffLi192ELi16ELi128ELNS_18Fp8KVCacheDataTypeE0ELb1ELi512EEEvPfS2_PT_PKS3_PKT0_S9_ifPKiSB_iPKfiiiSD_SD_iiiii.uses_vcc, 1
	.set _ZN4vllm25paged_attention_v2_kernelIffLi192ELi16ELi128ELNS_18Fp8KVCacheDataTypeE0ELb1ELi512EEEvPfS2_PT_PKS3_PKT0_S9_ifPKiSB_iPKfiiiSD_SD_iiiii.uses_flat_scratch, 0
	.set _ZN4vllm25paged_attention_v2_kernelIffLi192ELi16ELi128ELNS_18Fp8KVCacheDataTypeE0ELb1ELi512EEEvPfS2_PT_PKS3_PKT0_S9_ifPKiSB_iPKfiiiSD_SD_iiiii.has_dyn_sized_stack, 0
	.set _ZN4vllm25paged_attention_v2_kernelIffLi192ELi16ELi128ELNS_18Fp8KVCacheDataTypeE0ELb1ELi512EEEvPfS2_PT_PKS3_PKT0_S9_ifPKiSB_iPKfiiiSD_SD_iiiii.has_recursion, 0
	.set _ZN4vllm25paged_attention_v2_kernelIffLi192ELi16ELi128ELNS_18Fp8KVCacheDataTypeE0ELb1ELi512EEEvPfS2_PT_PKS3_PKT0_S9_ifPKiSB_iPKfiiiSD_SD_iiiii.has_indirect_call, 0
	.section	.AMDGPU.csdata,"",@progbits
; Kernel info:
; codeLenInByte = 13316
; TotalNumSgprs: 44
; NumVgprs: 142
; ScratchSize: 0
; MemoryBound: 0
; FloatMode: 240
; IeeeMode: 1
; LDSByteSize: 800 bytes/workgroup (compile time only)
; SGPRBlocks: 0
; VGPRBlocks: 17
; NumSGPRsForWavesPerEU: 44
; NumVGPRsForWavesPerEU: 142
; Occupancy: 10
; WaveLimiterHint : 1
; COMPUTE_PGM_RSRC2:SCRATCH_EN: 0
; COMPUTE_PGM_RSRC2:USER_SGPR: 2
; COMPUTE_PGM_RSRC2:TRAP_HANDLER: 0
; COMPUTE_PGM_RSRC2:TGID_X_EN: 1
; COMPUTE_PGM_RSRC2:TGID_Y_EN: 1
; COMPUTE_PGM_RSRC2:TGID_Z_EN: 1
; COMPUTE_PGM_RSRC2:TIDIG_COMP_CNT: 0
	.section	.text._ZN4vllm25paged_attention_v2_kernelIffLi256ELi16ELi128ELNS_18Fp8KVCacheDataTypeE0ELb1ELi512EEEvPfS2_PT_PKS3_PKT0_S9_ifPKiSB_iPKfiiiSD_SD_iiiii,"axG",@progbits,_ZN4vllm25paged_attention_v2_kernelIffLi256ELi16ELi128ELNS_18Fp8KVCacheDataTypeE0ELb1ELi512EEEvPfS2_PT_PKS3_PKT0_S9_ifPKiSB_iPKfiiiSD_SD_iiiii,comdat
	.protected	_ZN4vllm25paged_attention_v2_kernelIffLi256ELi16ELi128ELNS_18Fp8KVCacheDataTypeE0ELb1ELi512EEEvPfS2_PT_PKS3_PKT0_S9_ifPKiSB_iPKfiiiSD_SD_iiiii ; -- Begin function _ZN4vllm25paged_attention_v2_kernelIffLi256ELi16ELi128ELNS_18Fp8KVCacheDataTypeE0ELb1ELi512EEEvPfS2_PT_PKS3_PKT0_S9_ifPKiSB_iPKfiiiSD_SD_iiiii
	.globl	_ZN4vllm25paged_attention_v2_kernelIffLi256ELi16ELi128ELNS_18Fp8KVCacheDataTypeE0ELb1ELi512EEEvPfS2_PT_PKS3_PKT0_S9_ifPKiSB_iPKfiiiSD_SD_iiiii
	.p2align	8
	.type	_ZN4vllm25paged_attention_v2_kernelIffLi256ELi16ELi128ELNS_18Fp8KVCacheDataTypeE0ELb1ELi512EEEvPfS2_PT_PKS3_PKT0_S9_ifPKiSB_iPKfiiiSD_SD_iiiii,@function
_ZN4vllm25paged_attention_v2_kernelIffLi256ELi16ELi128ELNS_18Fp8KVCacheDataTypeE0ELb1ELi512EEEvPfS2_PT_PKS3_PKT0_S9_ifPKiSB_iPKfiiiSD_SD_iiiii: ; @_ZN4vllm25paged_attention_v2_kernelIffLi256ELi16ELi128ELNS_18Fp8KVCacheDataTypeE0ELb1ELi512EEEvPfS2_PT_PKS3_PKT0_S9_ifPKiSB_iPKfiiiSD_SD_iiiii
; %bb.0:
	s_load_b64 s[2:3], s[0:1], 0x40
	s_and_b32 s18, ttmp7, 0xffff
	s_lshr_b32 s30, ttmp7, 16
	s_lshl_b32 s4, s18, 2
	s_lshl_b32 s33, s30, 9
	s_wait_kmcnt 0x0
	s_load_b32 s31, s[2:3], s4 offset:0x0
	s_wait_kmcnt 0x0
	s_cmp_ge_i32 s33, s31
	s_cbranch_scc1 .LBB35_184
; %bb.1:
	s_clause 0x1
	s_load_b32 s19, s[0:1], 0x90
	s_load_b64 s[6:7], s[0:1], 0x30
	s_wait_kmcnt 0x0
	s_abs_i32 s5, s19
	s_abs_i32 s2, s6
	s_delay_alu instid0(SALU_CYCLE_1) | instskip(SKIP_1) | instid1(SALU_CYCLE_2)
	s_cvt_f32_u32 s3, s2
	s_sub_co_i32 s4, 0, s2
	v_rcp_iflag_f32_e32 v1, s3
	s_delay_alu instid0(TRANS32_DEP_1) | instskip(SKIP_2) | instid1(SALU_CYCLE_2)
	v_readfirstlane_b32 s3, v1
	s_mul_f32 s3, s3, 0x4f7ffffe
	s_wait_alu 0xfffe
	s_cvt_u32_f32 s3, s3
	s_wait_alu 0xfffe
	s_delay_alu instid0(SALU_CYCLE_2) | instskip(NEXT) | instid1(SALU_CYCLE_1)
	s_mul_i32 s4, s4, s3
	s_mul_hi_u32 s4, s3, s4
	s_delay_alu instid0(SALU_CYCLE_1)
	s_add_co_i32 s3, s3, s4
	s_xor_b32 s4, s19, s6
	s_wait_alu 0xfffe
	s_mul_hi_u32 s3, s5, s3
	s_ashr_i32 s4, s4, 31
	s_wait_alu 0xfffe
	s_mul_i32 s8, s3, s2
	s_delay_alu instid0(SALU_CYCLE_1)
	s_sub_co_i32 s5, s5, s8
	s_add_co_i32 s8, s3, 1
	s_sub_co_i32 s9, s5, s2
	s_cmp_ge_u32 s5, s2
	s_cselect_b32 s3, s8, s3
	s_cselect_b32 s5, s9, s5
	s_wait_alu 0xfffe
	s_add_co_i32 s8, s3, 1
	s_cmp_ge_u32 s5, s2
	s_cselect_b32 s2, s8, s3
	s_load_b64 s[8:9], s[0:1], 0x50
	s_xor_b32 s2, s2, s4
	s_mov_b32 s3, 0
	s_wait_alu 0xfffe
	s_sub_co_i32 s10, s2, s4
	s_mov_b32 s15, s3
	s_abs_i32 s20, s10
	s_delay_alu instid0(SALU_CYCLE_1) | instskip(SKIP_1) | instid1(SALU_CYCLE_2)
	s_cvt_f32_u32 s2, s20
	s_wait_alu 0xfffe
	v_rcp_iflag_f32_e32 v1, s2
	s_delay_alu instid0(TRANS32_DEP_1) | instskip(SKIP_2) | instid1(SALU_CYCLE_2)
	v_readfirstlane_b32 s2, v1
	s_mul_f32 s2, s2, 0x4f7ffffe
	s_wait_alu 0xfffe
	s_cvt_u32_f32 s4, s2
	s_sub_co_i32 s2, 0, s20
	s_wait_alu 0xfffe
	s_delay_alu instid0(SALU_CYCLE_1)
	s_mul_i32 s2, s2, s4
	s_wait_alu 0xfffe
	s_mul_hi_u32 s5, s4, s2
	s_abs_i32 s2, ttmp9
	s_add_co_i32 s4, s4, s5
	s_mov_b32 s5, s3
	s_wait_kmcnt 0x0
	s_cmp_eq_u64 s[8:9], 0
	s_cbranch_scc1 .LBB35_3
; %bb.2:
	s_mov_b32 s12, ttmp9
	s_ashr_i32 s13, ttmp9, 31
	s_delay_alu instid0(SALU_CYCLE_1) | instskip(NEXT) | instid1(SALU_CYCLE_1)
	s_lshl_b64 s[12:13], s[12:13], 2
	s_add_nc_u64 s[8:9], s[8:9], s[12:13]
	s_load_b32 s15, s[8:9], 0x0
.LBB35_3:
	s_load_b96 s[12:14], s[0:1], 0x58
	v_and_b32_e32 v1, 1, v0
	v_lshlrev_b32_e32 v2, 3, v0
	v_lshlrev_b32_e32 v3, 2, v0
	s_mul_u64 s[4:5], s[2:3], s[4:5]
	s_ashr_i32 s3, ttmp9, 31
	s_ashr_i32 s4, s10, 31
	s_lshl_b32 s16, ttmp9, 8
	s_mov_b32 s8, exec_lo
	v_cmpx_gt_u32_e32 0x80, v0
	s_cbranch_execz .LBB35_5
; %bb.4:
	s_load_b64 s[10:11], s[0:1], 0x18
	s_wait_kmcnt 0x0
	s_mul_i32 s22, s12, s18
	s_ashr_i32 s17, s16, 31
	s_ashr_i32 s23, s22, 31
	v_and_b32_e32 v6, 0xff8, v3
	s_lshl_b64 s[22:23], s[22:23], 2
	s_delay_alu instid0(VALU_DEP_1) | instskip(SKIP_2) | instid1(SALU_CYCLE_1)
	v_lshl_add_u32 v6, v1, 9, v6
	s_add_nc_u64 s[10:11], s[10:11], s[22:23]
	s_lshl_b64 s[22:23], s[16:17], 2
	s_add_nc_u64 s[10:11], s[10:11], s[22:23]
	global_load_b64 v[4:5], v2, s[10:11]
	s_wait_loadcnt 0x0
	ds_store_b64 v6, v[4:5]
.LBB35_5:
	s_or_b32 exec_lo, exec_lo, s8
	s_clause 0x1
	s_load_b128 s[8:11], s[0:1], 0x78
	s_load_b32 s22, s[0:1], 0x88
	s_wait_kmcnt 0x0
	s_mul_i32 s12, s5, s20
	s_xor_b32 s3, s3, s4
	s_sub_co_i32 s2, s2, s12
	s_add_co_i32 s4, s5, 1
	s_wait_alu 0xfffe
	s_sub_co_i32 s12, s2, s20
	s_cmp_ge_u32 s2, s20
	s_mov_b32 s24, -1
	s_cselect_b32 s4, s4, s5
	s_cselect_b32 s2, s12, s2
	s_add_co_i32 s5, s4, 1
	s_wait_alu 0xfffe
	s_cmp_ge_u32 s2, s20
	s_wait_dscnt 0x0
	s_cselect_b32 s2, s5, s4
	s_add_co_i32 s23, s31, -1
	s_wait_alu 0xfffe
	s_xor_b32 s2, s2, s3
	s_barrier_signal -1
	s_wait_alu 0xfffe
	s_sub_co_i32 s26, s2, s3
	s_barrier_wait -1
	s_abs_i32 s12, s11
	global_inv scope:SCOPE_SE
	s_cvt_f32_u32 s4, s12
                                        ; implicit-def: $sgpr17
	s_delay_alu instid0(SALU_CYCLE_3) | instskip(NEXT) | instid1(TRANS32_DEP_1)
	v_rcp_iflag_f32_e32 v4, s4
	v_readfirstlane_b32 s4, v4
	s_mul_f32 s2, s4, 0x4f7ffffe
	s_wait_alu 0xfffe
	s_delay_alu instid0(SALU_CYCLE_2) | instskip(SKIP_2) | instid1(SALU_CYCLE_1)
	s_cvt_u32_f32 s4, s2
	s_sub_co_i32 s2, 0, s12
	s_wait_alu 0xfffe
	s_mul_i32 s3, s2, s4
	s_abs_i32 s2, s23
	s_wait_alu 0xfffe
	s_mul_hi_u32 s5, s4, s3
	s_mov_b32 s3, 0
	s_wait_alu 0xfffe
	s_add_co_i32 s20, s4, s5
	s_cmp_lt_i32 s22, 0
	s_mov_b32 s21, s3
	s_cbranch_scc0 .LBB35_7
; %bb.6:
	s_mul_i32 s4, s8, s6
	s_mov_b32 s24, s3
	s_wait_alu 0xfffe
	s_add_co_i32 s4, s26, s4
	s_wait_alu 0xfffe
	s_mul_i32 s4, s4, s22
	s_wait_alu 0xfffe
	s_sub_co_i32 s17, 1, s4
.LBB35_7:
	s_mul_u64 s[4:5], s[2:3], s[20:21]
	s_ashr_i32 s3, s23, 31
	s_and_not1_b32 vcc_lo, exec_lo, s24
	s_ashr_i32 s11, s11, 31
	s_cbranch_vccnz .LBB35_9
; %bb.8:
	s_mul_i32 s4, s19, s8
	s_wait_alu 0xfffe
	s_add_co_i32 s4, s4, ttmp9
	s_wait_alu 0xfffe
	s_mul_i32 s4, s4, s22
	s_wait_alu 0xfffe
	s_add_co_i32 s17, s4, 1
.LBB35_9:
	s_clause 0x2
	s_load_b32 s4, s[0:1], 0x48
	s_load_b64 s[22:23], s[0:1], 0x38
	s_load_b32 s8, s[0:1], 0x98
	s_mul_i32 s6, s5, s12
	s_xor_b32 s3, s3, s11
	s_sub_co_i32 s2, s2, s6
	s_add_co_i32 s21, s5, 1
	v_lshrrev_b32_e32 v135, 5, v0
	v_mov_b32_e32 v6, 0xff7fffff
	v_mbcnt_lo_u32_b32 v5, -1, 0
	s_mul_i32 s26, s26, s14
	s_delay_alu instid0(VALU_DEP_3)
	v_lshl_add_u32 v136, v135, 4, s33
	s_wait_kmcnt 0x0
	s_mul_i32 s24, s4, s18
	s_wait_alu 0xfffe
	s_sub_co_i32 s4, s2, s12
	s_ashr_i32 s25, s24, 31
	s_cmp_ge_u32 s2, s12
	s_cselect_b32 s5, s21, s5
	s_wait_alu 0xfffe
	s_cselect_b32 s2, s4, s2
	s_add_co_i32 s4, s5, 1
	s_wait_alu 0xfffe
	s_cmp_ge_u32 s2, s12
	s_cselect_b32 s2, s4, s5
	s_add_co_i32 s4, s31, 15
	s_lshl_b32 s36, s30, 5
	s_wait_alu 0xfffe
	s_ashr_i32 s5, s4, 31
	v_or_b32_e32 v137, s36, v135
	s_wait_alu 0xfffe
	s_lshr_b32 s5, s5, 28
	s_wait_alu 0xfffe
	s_add_co_i32 s4, s4, s5
	s_add_co_i32 s5, s36, 32
	s_wait_alu 0xfffe
	s_ashr_i32 s34, s4, 4
	s_xor_b32 s4, s2, s3
	s_min_i32 s21, s5, s34
	v_lshlrev_b32_e32 v4, 2, v137
	v_cmp_gt_i32_e64 s2, s21, v137
	s_wait_alu 0xfffe
	s_sub_co_i32 s35, s4, s3
	s_and_saveexec_b32 s6, s2
	s_cbranch_execz .LBB35_21
; %bb.10:
	s_ashr_i32 s27, s26, 31
	s_sub_co_i32 s14, s35, s9
	s_lshl_b64 s[4:5], s[26:27], 2
	s_cmp_neq_f32 s15, 0
	s_load_b64 s[38:39], s[0:1], 0x20
	v_bfe_u32 v7, v0, 1, 4
	v_lshlrev_b32_e32 v8, 9, v1
	s_cselect_b32 vcc_lo, -1, 0
	s_abs_i32 s27, s10
	v_and_b32_e32 v2, 8, v2
	s_cvt_f32_u32 s3, s27
	v_lshlrev_b32_e32 v9, 4, v7
	s_lshl_b64 s[40:41], s[24:25], 2
	v_mov_b32_e32 v14, 0xff7fffff
	s_wait_alu 0xfffe
	v_rcp_iflag_f32_e32 v6, s3
	v_cmp_eq_u32_e64 s3, 0, v1
	v_lshlrev_b32_e32 v1, 2, v7
	v_subrev_nc_u32_e32 v12, s31, v7
	s_add_nc_u64 s[40:41], s[22:23], s[40:41]
	s_sub_co_i32 s37, 0, s27
	v_lshl_add_u32 v11, v135, 4, s33
	v_xor_b32_e32 v15, 1, v5
	v_add_nc_u32_e32 v12, 1, v12
	s_mov_b32 s28, 0
	v_readfirstlane_b32 s29, v6
	v_lshl_or_b32 v6, v135, 6, v1
	s_wait_kmcnt 0x0
	s_add_nc_u64 s[4:5], s[38:39], s[4:5]
	v_mov_b32_e32 v16, v137
	s_mul_f32 s29, s29, 0x4f7ffffe
	v_add_nc_u32_e32 v13, 0x420, v6
	v_mov_b32_e32 v6, 0xff7fffff
	s_wait_alu 0xfffe
	v_add_co_u32 v1, s4, s4, v9
	s_wait_alu 0xf1ff
	v_add_co_ci_u32_e64 v10, null, s5, 0, s4
	s_cvt_u32_f32 s5, s29
	v_add_co_u32 v9, s4, v1, v2
	s_wait_alu 0xf1ff
	v_add_co_ci_u32_e64 v10, null, 0, v10, s4
	v_add_co_u32 v1, s4, s40, v4
	s_wait_alu 0xfffe
	s_mul_i32 s37, s37, s5
	v_add_co_ci_u32_e64 v2, null, s41, 0, s4
	s_wait_alu 0xfffe
	s_mul_hi_u32 s4, s5, s37
	s_mov_b32 s29, s13
	s_wait_alu 0xfffe
	s_add_co_i32 s37, s5, s4
	s_branch .LBB35_13
.LBB35_11:                              ;   in Loop: Header=BB35_13 Depth=1
	s_or_b32 exec_lo, exec_lo, s38
.LBB35_12:                              ;   in Loop: Header=BB35_13 Depth=1
	s_wait_alu 0xfffe
	s_or_b32 exec_lo, exec_lo, s5
	v_add_nc_u32_e32 v16, 4, v16
	v_add_co_u32 v1, s5, v1, 16
	s_wait_alu 0xf1ff
	v_add_co_ci_u32_e64 v2, null, 0, v2, s5
	s_delay_alu instid0(VALU_DEP_3)
	v_cmp_le_i32_e64 s4, s21, v16
	v_add_nc_u32_e32 v11, 64, v11
	v_add_nc_u32_e32 v13, 0x100, v13
	s_or_b32 s28, s4, s28
	s_wait_alu 0xfffe
	s_and_not1_b32 exec_lo, exec_lo, s28
	s_cbranch_execz .LBB35_20
.LBB35_13:                              ; =>This Inner Loop Header: Depth=1
	v_sub_nc_u32_e32 v17, 0, v11
	s_delay_alu instid0(VALU_DEP_1) | instskip(SKIP_1) | instid1(VALU_DEP_1)
	v_max_i32_e32 v17, v11, v17
	s_wait_dscnt 0x0
	v_mul_hi_u32 v18, v17, s20
	s_delay_alu instid0(VALU_DEP_1) | instskip(NEXT) | instid1(VALU_DEP_1)
	v_mul_lo_u32 v19, v18, s12
	v_sub_nc_u32_e32 v17, v17, v19
	v_add_nc_u32_e32 v19, 1, v18
	s_delay_alu instid0(VALU_DEP_2) | instskip(SKIP_2) | instid1(VALU_DEP_1)
	v_subrev_nc_u32_e32 v20, s12, v17
	v_cmp_le_u32_e64 s4, s12, v17
	s_wait_alu 0xf1ff
	v_cndmask_b32_e64 v18, v18, v19, s4
	s_delay_alu instid0(VALU_DEP_3) | instskip(SKIP_1) | instid1(VALU_DEP_3)
	v_cndmask_b32_e64 v17, v17, v20, s4
	v_ashrrev_i32_e32 v19, 31, v11
	v_add_nc_u32_e32 v20, 1, v18
	s_delay_alu instid0(VALU_DEP_3) | instskip(NEXT) | instid1(VALU_DEP_3)
	v_cmp_le_u32_e64 s4, s12, v17
	v_xor_b32_e32 v19, s11, v19
	s_wait_alu 0xf1ff
	s_delay_alu instid0(VALU_DEP_2) | instskip(NEXT) | instid1(VALU_DEP_1)
	v_cndmask_b32_e64 v17, v18, v20, s4
	v_xor_b32_e32 v17, v17, v19
	s_delay_alu instid0(VALU_DEP_1) | instskip(NEXT) | instid1(VALU_DEP_1)
	v_sub_nc_u32_e32 v17, v17, v19
	v_add_nc_u32_e32 v18, s17, v17
	v_cmp_ge_i32_e64 s5, s14, v17
	s_delay_alu instid0(VALU_DEP_2) | instskip(NEXT) | instid1(VALU_DEP_1)
	v_sub_nc_u32_e32 v19, 0, v18
	v_max_i32_e32 v19, v18, v19
	v_ashrrev_i32_e32 v18, 31, v18
	s_wait_alu 0xfffe
	s_delay_alu instid0(VALU_DEP_2) | instskip(NEXT) | instid1(VALU_DEP_1)
	v_mul_hi_u32 v20, v19, s37
	v_mul_lo_u32 v20, v20, s27
	s_delay_alu instid0(VALU_DEP_1) | instskip(NEXT) | instid1(VALU_DEP_1)
	v_sub_nc_u32_e32 v19, v19, v20
	v_subrev_nc_u32_e32 v20, s27, v19
	v_cmp_le_u32_e64 s4, s27, v19
	s_wait_alu 0xf1ff
	s_delay_alu instid0(VALU_DEP_1) | instskip(NEXT) | instid1(VALU_DEP_1)
	v_cndmask_b32_e64 v19, v19, v20, s4
	v_subrev_nc_u32_e32 v20, s27, v19
	v_cmp_le_u32_e64 s4, s27, v19
	s_wait_alu 0xf1ff
	s_delay_alu instid0(VALU_DEP_1) | instskip(NEXT) | instid1(VALU_DEP_1)
	v_cndmask_b32_e64 v19, v19, v20, s4
	v_xor_b32_e32 v19, v19, v18
	s_delay_alu instid0(VALU_DEP_1) | instskip(NEXT) | instid1(VALU_DEP_1)
	v_sub_nc_u32_e32 v18, v19, v18
	v_cmp_ne_u32_e64 s4, 0, v18
	s_and_b32 s4, s4, s5
	s_wait_alu 0xfffe
	s_and_saveexec_b32 s5, s4
	s_wait_alu 0xfffe
	s_xor_b32 s4, exec_lo, s5
	s_cbranch_execz .LBB35_17
; %bb.14:                               ;   in Loop: Header=BB35_13 Depth=1
	s_and_saveexec_b32 s5, s3
; %bb.15:                               ;   in Loop: Header=BB35_13 Depth=1
	ds_store_b32 v13, v14
; %bb.16:                               ;   in Loop: Header=BB35_13 Depth=1
	s_wait_alu 0xfffe
	s_or_b32 exec_lo, exec_lo, s5
.LBB35_17:                              ;   in Loop: Header=BB35_13 Depth=1
	s_wait_alu 0xfffe
	s_and_not1_saveexec_b32 s5, s4
	s_cbranch_execz .LBB35_12
; %bb.18:                               ;   in Loop: Header=BB35_13 Depth=1
	global_load_b32 v17, v[1:2], off
	s_wait_loadcnt 0x0
	v_mad_co_i64_i32 v[17:18], null, v17, s29, 0
	s_delay_alu instid0(VALU_DEP_1) | instskip(NEXT) | instid1(VALU_DEP_1)
	v_lshlrev_b64_e32 v[17:18], 2, v[17:18]
	v_add_co_u32 v25, s4, v9, v17
	s_wait_alu 0xf1ff
	s_delay_alu instid0(VALU_DEP_2)
	v_add_co_ci_u32_e64 v26, null, v10, v18, s4
	v_cmp_gt_i32_e64 s4, 32, v15
	s_clause 0x1f
	global_load_b64 v[29:30], v[25:26], off offset:256
	global_load_b64 v[31:32], v[25:26], off offset:512
	;; [unrolled: 1-line block ×3, first 2 shown]
	global_load_b64 v[35:36], v[25:26], off
	global_load_b64 v[37:38], v[25:26], off offset:1024
	global_load_b64 v[39:40], v[25:26], off offset:1280
	;; [unrolled: 1-line block ×28, first 2 shown]
	s_clause 0x1b
	global_load_b64 v[93:94], v[25:26], off offset:8192
	global_load_b64 v[95:96], v[25:26], off offset:8448
	;; [unrolled: 1-line block ×28, first 2 shown]
	ds_load_b128 v[17:20], v8
	s_clause 0x1
	global_load_b64 v[152:153], v[25:26], off offset:15360
	global_load_b64 v[154:155], v[25:26], off offset:15616
	ds_load_b128 v[21:24], v8 offset:16
	s_clause 0x1
	global_load_b64 v[156:157], v[25:26], off offset:15872
	global_load_b64 v[158:159], v[25:26], off offset:16128
	ds_load_b128 v[25:28], v8 offset:32
	s_wait_loadcnt_dscnt 0x3e02
	v_dual_mul_f32 v29, v19, v29 :: v_dual_mul_f32 v30, v20, v30
	s_wait_loadcnt 0x3c
	s_delay_alu instid0(VALU_DEP_1) | instskip(SKIP_3) | instid1(VALU_DEP_1)
	v_dual_fmac_f32 v29, v17, v35 :: v_dual_fmac_f32 v30, v18, v36
	ds_load_b128 v[17:20], v8 offset:48
	s_wait_dscnt 0x2
	v_dual_fmac_f32 v29, v21, v31 :: v_dual_fmac_f32 v30, v22, v32
	v_dual_fmac_f32 v29, v23, v33 :: v_dual_fmac_f32 v30, v24, v34
	ds_load_b128 v[21:24], v8 offset:64
	s_wait_loadcnt_dscnt 0x3b02
	v_dual_fmac_f32 v29, v25, v37 :: v_dual_fmac_f32 v30, v26, v38
	s_wait_loadcnt 0x3a
	s_delay_alu instid0(VALU_DEP_1) | instskip(SKIP_4) | instid1(VALU_DEP_1)
	v_dual_fmac_f32 v29, v27, v39 :: v_dual_fmac_f32 v30, v28, v40
	ds_load_b128 v[25:28], v8 offset:80
	s_wait_loadcnt_dscnt 0x3902
	v_dual_fmac_f32 v29, v17, v41 :: v_dual_fmac_f32 v30, v18, v42
	s_wait_loadcnt 0x38
	v_dual_fmac_f32 v29, v19, v43 :: v_dual_fmac_f32 v30, v20, v44
	ds_load_b128 v[17:20], v8 offset:96
	s_wait_loadcnt_dscnt 0x3702
	v_dual_fmac_f32 v29, v21, v45 :: v_dual_fmac_f32 v30, v22, v46
	s_wait_loadcnt 0x36
	s_delay_alu instid0(VALU_DEP_1) | instskip(SKIP_4) | instid1(VALU_DEP_1)
	v_dual_fmac_f32 v29, v23, v47 :: v_dual_fmac_f32 v30, v24, v48
	ds_load_b128 v[21:24], v8 offset:112
	s_wait_loadcnt_dscnt 0x3502
	v_dual_fmac_f32 v29, v25, v49 :: v_dual_fmac_f32 v30, v26, v50
	s_wait_loadcnt 0x34
	;; [unrolled: 11-line block ×14, first 2 shown]
	v_dual_fmac_f32 v29, v150, v27 :: v_dual_fmac_f32 v30, v151, v28
	s_wait_loadcnt_dscnt 0x301
	s_delay_alu instid0(VALU_DEP_1) | instskip(SKIP_3) | instid1(VALU_DEP_2)
	v_dual_fmac_f32 v29, v152, v17 :: v_dual_fmac_f32 v30, v153, v18
	s_wait_alu 0xf1ff
	v_cndmask_b32_e64 v17, v5, v15, s4
	s_wait_loadcnt 0x2
	v_dual_fmac_f32 v29, v154, v19 :: v_dual_fmac_f32 v30, v155, v20
	s_wait_loadcnt_dscnt 0x100
	s_delay_alu instid0(VALU_DEP_1) | instskip(SKIP_1) | instid1(VALU_DEP_1)
	v_dual_fmac_f32 v29, v156, v21 :: v_dual_fmac_f32 v30, v157, v22
	s_wait_loadcnt 0x0
	v_dual_fmac_f32 v29, v158, v23 :: v_dual_fmac_f32 v30, v159, v24
	s_delay_alu instid0(VALU_DEP_1)
	v_dual_add_f32 v17, v29, v30 :: v_dual_lshlrev_b32 v18, 2, v17
	ds_bpermute_b32 v18, v18, v17
	s_and_saveexec_b32 s38, s3
	s_cbranch_execz .LBB35_11
; %bb.19:                               ;   in Loop: Header=BB35_13 Depth=1
	s_wait_dscnt 0x0
	v_add_f32_e32 v17, v17, v18
	v_add_nc_u32_e32 v19, v12, v11
	s_delay_alu instid0(VALU_DEP_1) | instskip(NEXT) | instid1(VALU_DEP_1)
	v_cvt_f32_i32_e32 v19, v19
	v_mul_f32_e32 v19, s15, v19
	s_delay_alu instid0(VALU_DEP_1) | instskip(NEXT) | instid1(VALU_DEP_1)
	v_dual_cndmask_b32 v18, 0, v19 :: v_dual_max_num_f32 v19, v6, v6
	v_dual_fmac_f32 v18, s7, v17 :: v_dual_add_nc_u32 v17, v7, v11
	s_delay_alu instid0(VALU_DEP_1) | instskip(NEXT) | instid1(VALU_DEP_2)
	v_max_num_f32_e32 v19, v19, v18
	v_cmp_gt_i32_e64 s4, s31, v17
	s_wait_alu 0xf1ff
	s_delay_alu instid0(VALU_DEP_1) | instskip(NEXT) | instid1(VALU_DEP_3)
	v_cndmask_b32_e64 v17, 0, v18, s4
	v_cndmask_b32_e64 v6, v6, v19, s4
	ds_store_b32 v13, v17
	s_branch .LBB35_11
.LBB35_20:
	s_or_b32 exec_lo, exec_lo, s28
.LBB35_21:
	s_delay_alu instid0(SALU_CYCLE_1)
	s_or_b32 exec_lo, exec_lo, s6
	v_xor_b32_e32 v1, 16, v5
	v_xor_b32_e32 v7, 8, v5
	s_clause 0x2
	s_load_b128 s[4:7], s[0:1], 0x0
	s_load_b64 s[14:15], s[0:1], 0x10
	s_load_b64 s[28:29], s[0:1], 0x28
	v_max_num_f32_e32 v8, v6, v6
	v_and_b32_e32 v138, 31, v0
	v_cmp_gt_i32_e32 vcc_lo, 32, v1
	s_wait_alu 0xfffd
	v_cndmask_b32_e32 v1, v5, v1, vcc_lo
	v_cmp_gt_i32_e32 vcc_lo, 32, v7
	s_delay_alu instid0(VALU_DEP_2) | instskip(SKIP_4) | instid1(VALU_DEP_1)
	v_lshlrev_b32_e32 v2, 2, v1
	ds_bpermute_b32 v1, v2, v6
	s_wait_dscnt 0x0
	v_max_num_f32_e32 v1, v1, v1
	s_wait_alu 0xfffd
	v_dual_cndmask_b32 v6, v5, v7 :: v_dual_max_num_f32 v1, v8, v1
	s_delay_alu instid0(VALU_DEP_1)
	v_lshlrev_b32_e32 v6, 2, v6
	v_xor_b32_e32 v8, 4, v5
	ds_bpermute_b32 v7, v6, v1
	v_cmp_gt_i32_e32 vcc_lo, 32, v8
	s_wait_dscnt 0x0
	s_wait_alu 0xfffd
	v_dual_cndmask_b32 v8, v5, v8 :: v_dual_max_num_f32 v9, v7, v7
	s_delay_alu instid0(VALU_DEP_1) | instskip(SKIP_1) | instid1(VALU_DEP_1)
	v_max_num_f32_e32 v1, v1, v9
	v_xor_b32_e32 v9, 2, v5
	v_cmp_gt_i32_e32 vcc_lo, 32, v9
	s_wait_alu 0xfffd
	v_cndmask_b32_e32 v9, v5, v9, vcc_lo
	v_cmp_eq_u32_e32 vcc_lo, 0, v138
	s_delay_alu instid0(VALU_DEP_2) | instskip(SKIP_4) | instid1(VALU_DEP_1)
	v_lshlrev_b32_e32 v139, 2, v9
	v_lshlrev_b32_e32 v7, 2, v8
	ds_bpermute_b32 v8, v7, v1
	s_wait_dscnt 0x0
	v_max_num_f32_e32 v8, v8, v8
	v_dual_max_num_f32 v1, v1, v8 :: v_dual_lshlrev_b32 v8, 2, v135
	ds_bpermute_b32 v9, v139, v1
	s_and_saveexec_b32 s0, vcc_lo
	s_cbranch_execz .LBB35_23
; %bb.22:
	s_wait_dscnt 0x0
	v_max_num_f32_e32 v9, v9, v9
	v_max_num_f32_e32 v1, v1, v1
	s_delay_alu instid0(VALU_DEP_1)
	v_max_num_f32_e32 v1, v1, v9
	ds_store_b32 v8, v1 offset:1024
.LBB35_23:
	s_or_b32 exec_lo, exec_lo, s0
	v_cmp_gt_u32_e64 s0, 4, v138
	v_mov_b32_e32 v1, 0xff7fffff
	s_wait_dscnt 0x0
	v_lshlrev_b32_e32 v9, 2, v138
	s_wait_loadcnt 0x0
	s_barrier_signal -1
	s_barrier_wait -1
	global_inv scope:SCOPE_SE
	s_and_saveexec_b32 s1, s0
; %bb.24:
	ds_load_b32 v1, v9 offset:1024
; %bb.25:
	s_or_b32 exec_lo, exec_lo, s1
	s_wait_dscnt 0x0
	ds_bpermute_b32 v10, v139, v1
	v_xor_b32_e32 v11, 1, v5
	v_max_num_f32_e32 v1, v1, v1
	s_delay_alu instid0(VALU_DEP_2) | instskip(NEXT) | instid1(VALU_DEP_1)
	v_cmp_gt_i32_e64 s1, 32, v11
	v_cndmask_b32_e64 v5, v5, v11, s1
	s_sub_co_i32 s1, s21, s36
	s_wait_alu 0xfffe
	s_lshl_b32 s1, s1, 4
	s_wait_alu 0xfffe
	s_add_co_i32 s1, s1, s33
	s_wait_alu 0xfffe
	s_min_i32 s1, s1, s31
	s_wait_alu 0xfffe
	s_sub_co_i32 s27, s1, s33
	s_wait_dscnt 0x0
	v_max_num_f32_e32 v10, v10, v10
	v_lshlrev_b32_e32 v140, 2, v5
	s_wait_alu 0xfffe
	v_cmp_gt_i32_e64 s1, s27, v0
	s_delay_alu instid0(VALU_DEP_3) | instskip(SKIP_3) | instid1(VALU_DEP_1)
	v_dual_max_num_f32 v1, v1, v10 :: v_dual_mov_b32 v10, 0
	ds_bpermute_b32 v5, v140, v1
	s_wait_dscnt 0x0
	v_max_num_f32_e32 v5, v5, v5
	v_max_num_f32_e32 v1, v1, v5
	v_lshl_add_u32 v5, v0, 2, 0x420
	ds_bpermute_b32 v1, v10, v1
	s_and_saveexec_b32 s33, s1
	s_cbranch_execz .LBB35_29
; %bb.26:
	v_lshl_add_u32 v11, v0, 2, 0x420
	v_mov_b32_e32 v10, 0
	v_mov_b32_e32 v12, v0
	s_mov_b32 s36, 0
.LBB35_27:                              ; =>This Inner Loop Header: Depth=1
	ds_load_b32 v13, v11
	v_add_nc_u32_e32 v12, 0x80, v12
	s_delay_alu instid0(VALU_DEP_1) | instskip(SKIP_4) | instid1(VALU_DEP_1)
	v_cmp_le_i32_e64 s3, s27, v12
	s_wait_alu 0xfffe
	s_or_b32 s36, s3, s36
	s_wait_dscnt 0x0
	v_sub_f32_e32 v13, v13, v1
	v_mul_f32_e32 v13, 0x3fb8aa3b, v13
	s_delay_alu instid0(VALU_DEP_1)
	v_exp_f32_e32 v13, v13
	ds_store_b32 v11, v13
	v_dual_add_f32 v10, v10, v13 :: v_dual_add_nc_u32 v11, 0x200, v11
	s_wait_alu 0xfffe
	s_and_not1_b32 exec_lo, exec_lo, s36
	s_cbranch_execnz .LBB35_27
; %bb.28:
	s_or_b32 exec_lo, exec_lo, s36
.LBB35_29:
	s_wait_alu 0xfffe
	s_or_b32 exec_lo, exec_lo, s33
	ds_bpermute_b32 v2, v2, v10
	s_wait_dscnt 0x0
	v_add_f32_e32 v2, v10, v2
	ds_bpermute_b32 v6, v6, v2
	s_wait_dscnt 0x0
	v_add_f32_e32 v2, v2, v6
	;; [unrolled: 3-line block ×5, first 2 shown]
	s_and_saveexec_b32 s3, vcc_lo
; %bb.30:
	ds_store_b32 v8, v2 offset:1040
; %bb.31:
	s_wait_alu 0xfffe
	s_or_b32 exec_lo, exec_lo, s3
	s_wait_loadcnt_dscnt 0x0
	s_barrier_signal -1
	s_barrier_wait -1
	global_inv scope:SCOPE_SE
	s_and_saveexec_b32 s3, s0
; %bb.32:
	ds_load_b32 v2, v9 offset:1040
; %bb.33:
	s_wait_alu 0xfffe
	s_or_b32 exec_lo, exec_lo, s3
	s_wait_dscnt 0x0
	ds_bpermute_b32 v6, v139, v2
	s_wait_dscnt 0x0
	v_add_f32_e32 v2, v2, v6
	ds_bpermute_b32 v6, v140, v2
	s_wait_dscnt 0x0
	v_add_f32_e32 v2, v2, v6
	v_mov_b32_e32 v6, 0
	ds_bpermute_b32 v2, v6, v2
	s_and_saveexec_b32 s0, s1
	s_cbranch_execz .LBB35_36
; %bb.34:
	s_wait_dscnt 0x0
	v_add_f32_e32 v6, 0x358637bd, v2
	s_mov_b32 s1, 0
	s_delay_alu instid0(VALU_DEP_1) | instskip(SKIP_1) | instid1(VALU_DEP_2)
	v_div_scale_f32 v7, null, v6, v6, 1.0
	v_div_scale_f32 v10, vcc_lo, 1.0, v6, 1.0
	v_rcp_f32_e32 v8, v7
	s_delay_alu instid0(TRANS32_DEP_1) | instskip(NEXT) | instid1(VALU_DEP_1)
	v_fma_f32 v9, -v7, v8, 1.0
	v_fmac_f32_e32 v8, v9, v8
	s_delay_alu instid0(VALU_DEP_1) | instskip(NEXT) | instid1(VALU_DEP_1)
	v_mul_f32_e32 v9, v10, v8
	v_fma_f32 v11, -v7, v9, v10
	s_delay_alu instid0(VALU_DEP_1) | instskip(NEXT) | instid1(VALU_DEP_1)
	v_fmac_f32_e32 v9, v11, v8
	v_fma_f32 v7, -v7, v9, v10
	s_wait_alu 0xfffd
	s_delay_alu instid0(VALU_DEP_1) | instskip(NEXT) | instid1(VALU_DEP_1)
	v_div_fmas_f32 v7, v7, v8, v9
	v_div_fixup_f32 v6, v7, v6, 1.0
	v_mov_b32_e32 v7, v0
.LBB35_35:                              ; =>This Inner Loop Header: Depth=1
	ds_load_b32 v8, v5
	s_wait_dscnt 0x0
	v_dual_mul_f32 v8, v6, v8 :: v_dual_add_nc_u32 v7, 0x80, v7
	s_delay_alu instid0(VALU_DEP_1)
	v_cmp_le_i32_e32 vcc_lo, s27, v7
	ds_store_b32 v5, v8
	v_add_nc_u32_e32 v5, 0x200, v5
	s_wait_alu 0xfffe
	s_or_b32 s1, vcc_lo, s1
	s_wait_alu 0xfffe
	s_and_not1_b32 exec_lo, exec_lo, s1
	s_cbranch_execnz .LBB35_35
.LBB35_36:
	s_wait_alu 0xfffe
	s_or_b32 exec_lo, exec_lo, s0
	s_mul_i32 s0, s8, s18
	s_wait_loadcnt_dscnt 0x0
	s_wait_alu 0xfffe
	s_mul_i32 s18, s0, s19
	s_mov_b32 s0, exec_lo
	s_barrier_signal -1
	s_barrier_wait -1
	global_inv scope:SCOPE_SE
	v_cmpx_eq_u32_e32 0, v0
	s_cbranch_execz .LBB35_38
; %bb.37:
	s_ashr_i32 s19, s18, 31
	s_wait_alu 0xfffe
	s_mul_i32 s36, s8, ttmp9
	s_lshl_b32 s1, s30, 2
	s_lshl_b64 s[38:39], s[18:19], 2
	s_wait_alu 0xfffe
	s_ashr_i32 s37, s36, 31
	v_mov_b32_e32 v5, s1
	s_wait_kmcnt 0x0
	s_add_nc_u64 s[6:7], s[6:7], s[38:39]
	s_wait_alu 0xfffe
	s_lshl_b64 s[36:37], s[36:37], 2
	s_add_nc_u64 s[4:5], s[4:5], s[38:39]
	s_wait_alu 0xfffe
	s_add_nc_u64 s[6:7], s[6:7], s[36:37]
	s_add_nc_u64 s[4:5], s[4:5], s[36:37]
	s_clause 0x1
	global_store_b32 v5, v1, s[6:7]
	global_store_b32 v5, v2, s[4:5]
.LBB35_38:
	s_wait_alu 0xfffe
	s_or_b32 exec_lo, exec_lo, s0
	v_dual_mov_b32 v172, 0 :: v_dual_and_b32 v141, 3, v0
	v_dual_mov_b32 v173, 0 :: v_dual_mov_b32 v170, 0
	v_dual_mov_b32 v171, 0 :: v_dual_mov_b32 v168, 0
	;; [unrolled: 1-line block ×15, first 2 shown]
	v_mov_b32_e32 v143, 0
	s_wait_kmcnt 0x0
	s_and_saveexec_b32 s6, s2
	s_cbranch_execz .LBB35_108
; %bb.39:
	s_abs_i32 s7, s10
	s_ashr_i32 s27, s26, 31
	s_wait_alu 0xfffe
	s_cvt_f32_u32 s0, s7
	s_lshl_b64 s[2:3], s[26:27], 2
	v_dual_mov_b32 v142, 0 :: v_dual_lshlrev_b32 v5, 4, v141
	s_wait_alu 0xfffe
	v_rcp_iflag_f32_e32 v1, s0
	s_lshl_b64 s[0:1], s[24:25], 2
	s_add_nc_u64 s[4:5], s[28:29], s[2:3]
	s_wait_alu 0xfffe
	s_add_nc_u64 s[0:1], s[22:23], s[0:1]
	v_dual_mov_b32 v143, 0 :: v_dual_and_b32 v174, 12, v3
	s_wait_alu 0xfffe
	v_add_co_u32 v133, s0, s0, v4
	v_dual_mov_b32 v145, 0 :: v_dual_and_b32 v2, 0x7c, v3
	s_delay_alu instid0(TRANS32_DEP_1)
	v_readfirstlane_b32 s19, v1
	v_or_b32_e32 v3, 0xf80, v3
	v_lshl_or_b32 v1, v135, 6, v5
	s_wait_alu 0xf1ff
	v_add_co_ci_u32_e64 v134, null, s1, 0, s0
	s_mul_f32 s2, s19, 0x4f7ffffe
	s_sub_co_i32 s24, 0, s7
	v_dual_mov_b32 v144, 0 :: v_dual_lshlrev_b32 v175, 2, v2
	s_wait_alu 0xfffe
	s_cvt_u32_f32 s0, s2
	v_dual_mov_b32 v147, 0 :: v_dual_lshlrev_b32 v176, 2, v3
	v_dual_mov_b32 v146, 0 :: v_dual_add_nc_u32 v177, 0x420, v1
	s_wait_alu 0xfffe
	s_mul_i32 s24, s24, s0
	v_dual_mov_b32 v148, 0 :: v_dual_mov_b32 v149, 0
	v_dual_mov_b32 v150, 0 :: v_dual_mov_b32 v151, 0
	;; [unrolled: 1-line block ×13, first 2 shown]
	s_mul_hi_u32 s1, s0, s24
	s_sub_co_i32 s9, s35, s9
	s_mov_b32 s10, s13
	s_add_co_i32 s13, s34, -1
	s_mov_b32 s19, 0
	s_wait_alu 0xfffe
	s_add_co_i32 s22, s0, s1
	s_branch .LBB35_42
.LBB35_40:                              ;   in Loop: Header=BB35_42 Depth=1
	s_wait_alu 0xfffe
	s_or_b32 exec_lo, exec_lo, s0
	s_wait_loadcnt_dscnt 0x1600
	v_mul_f32_e32 v41, v1, v41
	v_mul_f32_e32 v5, v1, v5
	s_wait_loadcnt 0x6
	v_mul_f32_e32 v109, v1, v109
	v_mul_f32_e32 v97, v1, v97
	;; [unrolled: 1-line block ×3, first 2 shown]
	v_fmac_f32_e32 v41, v2, v42
	v_fmac_f32_e32 v5, v2, v6
	v_mul_f32_e32 v65, v1, v65
	s_wait_loadcnt 0x2
	v_mul_f32_e32 v125, v1, v125
	v_mul_f32_e32 v89, v1, v89
	v_fmac_f32_e32 v41, v3, v43
	v_fmac_f32_e32 v5, v3, v7
	;; [unrolled: 1-line block ×7, first 2 shown]
	v_mul_f32_e32 v57, v1, v57
	v_mul_f32_e32 v33, v1, v33
	;; [unrolled: 1-line block ×3, first 2 shown]
	v_add_f32_e32 v164, v164, v41
	v_fmac_f32_e32 v5, v4, v8
	v_fmac_f32_e32 v109, v3, v111
	s_wait_loadcnt 0x1
	v_mul_f32_e32 v129, v1, v129
	v_mul_f32_e32 v121, v1, v121
	v_mul_f32_e32 v117, v1, v117
	v_mul_f32_e32 v113, v1, v113
	v_mul_f32_e32 v105, v1, v105
	v_mul_f32_e32 v93, v1, v93
	v_mul_f32_e32 v85, v1, v85
	v_mul_f32_e32 v81, v1, v81
	v_fmac_f32_e32 v89, v2, v90
	v_fmac_f32_e32 v97, v3, v99
	v_mul_f32_e32 v77, v1, v77
	v_mul_f32_e32 v69, v1, v69
	;; [unrolled: 1-line block ×3, first 2 shown]
	v_fmac_f32_e32 v73, v3, v75
	v_fmac_f32_e32 v65, v3, v67
	v_mul_f32_e32 v53, v1, v53
	v_mul_f32_e32 v49, v1, v49
	;; [unrolled: 1-line block ×3, first 2 shown]
	v_fmac_f32_e32 v57, v2, v58
	v_mul_f32_e32 v37, v1, v37
	v_mul_f32_e32 v29, v1, v29
	;; [unrolled: 1-line block ×3, first 2 shown]
	v_fmac_f32_e32 v33, v2, v34
	v_fmac_f32_e32 v25, v2, v26
	v_mul_f32_e32 v17, v1, v17
	v_mul_f32_e32 v13, v1, v13
	;; [unrolled: 1-line block ×3, first 2 shown]
	s_wait_loadcnt 0x0
	v_mul_f32_e32 v1, v1, v101
	v_add_f32_e32 v172, v172, v5
	v_fmac_f32_e32 v109, v4, v112
	v_fmac_f32_e32 v125, v2, v126
	;; [unrolled: 1-line block ×5, first 2 shown]
	v_dual_fmac_f32 v117, v2, v118 :: v_dual_add_f32 v148, v148, v109
	s_delay_alu instid0(VALU_DEP_3)
	v_dual_fmac_f32 v125, v3, v127 :: v_dual_add_f32 v150, v150, v97
	v_fmac_f32_e32 v65, v4, v68
	v_fmac_f32_e32 v49, v2, v50
	;; [unrolled: 1-line block ×7, first 2 shown]
	v_dual_fmac_f32 v125, v4, v128 :: v_dual_add_f32 v158, v158, v65
	v_fmac_f32_e32 v129, v2, v130
	v_fmac_f32_e32 v93, v2, v94
	v_fmac_f32_e32 v85, v2, v86
	v_fmac_f32_e32 v81, v2, v82
	v_fmac_f32_e32 v89, v4, v92
	v_fmac_f32_e32 v121, v2, v122
	v_fmac_f32_e32 v77, v2, v78
	v_fmac_f32_e32 v69, v2, v70
	v_dual_fmac_f32 v61, v2, v62 :: v_dual_add_f32 v156, v156, v73
	v_fmac_f32_e32 v53, v2, v54
	v_fmac_f32_e32 v45, v2, v46
	;; [unrolled: 1-line block ×15, first 2 shown]
	v_dual_fmac_f32 v1, v3, v103 :: v_dual_add_f32 v144, v144, v125
	v_fmac_f32_e32 v93, v3, v95
	v_fmac_f32_e32 v85, v3, v87
	v_dual_fmac_f32 v81, v3, v83 :: v_dual_add_f32 v152, v152, v89
	v_fmac_f32_e32 v77, v3, v79
	v_fmac_f32_e32 v69, v3, v71
	;; [unrolled: 1-line block ×6, first 2 shown]
	v_dual_fmac_f32 v121, v3, v123 :: v_dual_add_f32 v160, v160, v57
	v_fmac_f32_e32 v37, v3, v39
	v_fmac_f32_e32 v29, v3, v31
	v_dual_fmac_f32 v21, v3, v23 :: v_dual_add_f32 v166, v166, v33
	v_fmac_f32_e32 v117, v4, v120
	v_dual_fmac_f32 v129, v3, v131 :: v_dual_add_f32 v168, v168, v25
	v_fmac_f32_e32 v13, v3, v15
	v_fmac_f32_e32 v9, v3, v11
	;; [unrolled: 1-line block ×5, first 2 shown]
	v_dual_fmac_f32 v105, v3, v107 :: v_dual_add_f32 v146, v146, v117
	v_fmac_f32_e32 v93, v4, v96
	v_fmac_f32_e32 v85, v4, v88
	;; [unrolled: 1-line block ×8, first 2 shown]
	v_dual_fmac_f32 v45, v4, v48 :: v_dual_add_f32 v162, v162, v49
	v_fmac_f32_e32 v121, v4, v124
	v_fmac_f32_e32 v37, v4, v40
	v_fmac_f32_e32 v29, v4, v32
	v_fmac_f32_e32 v21, v4, v24
	v_fmac_f32_e32 v13, v4, v16
	v_dual_fmac_f32 v9, v4, v12 :: v_dual_add_f32 v170, v170, v17
	v_dual_fmac_f32 v113, v4, v116 :: v_dual_add_f32 v142, v142, v1
	v_fmac_f32_e32 v105, v4, v108
	v_add_f32_e32 v145, v145, v121
	v_add_f32_e32 v151, v151, v93
	s_delay_alu instid0(VALU_DEP_4)
	v_add_f32_e32 v147, v147, v113
	v_add_f32_e32 v153, v153, v85
	;; [unrolled: 1-line block ×15, first 2 shown]
.LBB35_41:                              ;   in Loop: Header=BB35_42 Depth=1
	s_wait_alu 0xfffe
	s_or_b32 exec_lo, exec_lo, s23
	v_add_nc_u32_e32 v137, 4, v137
	v_add_co_u32 v133, s0, v133, 16
	s_wait_alu 0xf1ff
	v_add_co_ci_u32_e64 v134, null, 0, v134, s0
	s_delay_alu instid0(VALU_DEP_3) | instskip(SKIP_3) | instid1(SALU_CYCLE_1)
	v_cmp_le_i32_e32 vcc_lo, s21, v137
	v_add_nc_u32_e32 v136, 64, v136
	v_add_nc_u32_e32 v177, 0x100, v177
	s_or_b32 s19, vcc_lo, s19
	s_and_not1_b32 exec_lo, exec_lo, s19
	s_cbranch_execz .LBB35_107
.LBB35_42:                              ; =>This Inner Loop Header: Depth=1
	v_sub_nc_u32_e32 v1, 0, v136
	s_delay_alu instid0(VALU_DEP_1) | instskip(NEXT) | instid1(VALU_DEP_1)
	v_max_i32_e32 v1, v136, v1
	v_mul_hi_u32 v2, v1, s20
	s_delay_alu instid0(VALU_DEP_1) | instskip(NEXT) | instid1(VALU_DEP_1)
	v_mul_lo_u32 v3, v2, s12
	v_sub_nc_u32_e32 v1, v1, v3
	v_add_nc_u32_e32 v3, 1, v2
	s_delay_alu instid0(VALU_DEP_2) | instskip(SKIP_2) | instid1(VALU_DEP_2)
	v_subrev_nc_u32_e32 v4, s12, v1
	v_cmp_le_u32_e32 vcc_lo, s12, v1
	s_wait_alu 0xfffd
	v_dual_cndmask_b32 v2, v2, v3 :: v_dual_cndmask_b32 v1, v1, v4
	v_ashrrev_i32_e32 v3, 31, v136
	s_delay_alu instid0(VALU_DEP_2) | instskip(NEXT) | instid1(VALU_DEP_3)
	v_add_nc_u32_e32 v4, 1, v2
	v_cmp_le_u32_e32 vcc_lo, s12, v1
	s_delay_alu instid0(VALU_DEP_3) | instskip(SKIP_1) | instid1(VALU_DEP_3)
	v_xor_b32_e32 v3, s11, v3
	s_wait_alu 0xfffd
	v_cndmask_b32_e32 v1, v2, v4, vcc_lo
	s_delay_alu instid0(VALU_DEP_1) | instskip(NEXT) | instid1(VALU_DEP_1)
	v_xor_b32_e32 v1, v1, v3
	v_sub_nc_u32_e32 v1, v1, v3
	s_delay_alu instid0(VALU_DEP_1) | instskip(SKIP_1) | instid1(VALU_DEP_2)
	v_add_nc_u32_e32 v2, s17, v1
	v_cmp_lt_i32_e64 s0, s9, v1
	v_sub_nc_u32_e32 v3, 0, v2
	s_delay_alu instid0(VALU_DEP_1) | instskip(NEXT) | instid1(VALU_DEP_1)
	v_max_i32_e32 v3, v2, v3
	v_mul_hi_u32 v4, v3, s22
	s_delay_alu instid0(VALU_DEP_1) | instskip(NEXT) | instid1(VALU_DEP_1)
	v_mul_lo_u32 v4, v4, s7
	v_sub_nc_u32_e32 v3, v3, v4
	s_delay_alu instid0(VALU_DEP_1) | instskip(SKIP_2) | instid1(VALU_DEP_2)
	v_subrev_nc_u32_e32 v4, s7, v3
	v_cmp_le_u32_e32 vcc_lo, s7, v3
	s_wait_alu 0xfffd
	v_cndmask_b32_e32 v3, v3, v4, vcc_lo
	v_ashrrev_i32_e32 v2, 31, v2
	s_delay_alu instid0(VALU_DEP_2) | instskip(SKIP_2) | instid1(VALU_DEP_2)
	v_subrev_nc_u32_e32 v4, s7, v3
	v_cmp_le_u32_e32 vcc_lo, s7, v3
	s_wait_alu 0xfffd
	v_cndmask_b32_e32 v3, v3, v4, vcc_lo
	s_delay_alu instid0(VALU_DEP_1) | instskip(NEXT) | instid1(VALU_DEP_1)
	v_xor_b32_e32 v3, v3, v2
	v_sub_nc_u32_e32 v2, v3, v2
	s_delay_alu instid0(VALU_DEP_1)
	v_cmp_eq_u32_e32 vcc_lo, 0, v2
	s_or_b32 s0, vcc_lo, s0
	s_wait_alu 0xfffe
	s_and_saveexec_b32 s23, s0
	s_cbranch_execz .LBB35_41
; %bb.43:                               ;   in Loop: Header=BB35_42 Depth=1
	global_load_b32 v1, v[133:134], off
	v_add_nc_u32_e32 v178, v174, v136
	s_delay_alu instid0(VALU_DEP_1) | instskip(SKIP_4) | instid1(VALU_DEP_1)
	v_add_nc_u32_e32 v181, 1, v178
	v_add_nc_u32_e32 v180, 2, v178
	;; [unrolled: 1-line block ×3, first 2 shown]
	s_wait_loadcnt 0x0
	v_mad_co_i64_i32 v[1:2], null, v1, s10, 0
	v_lshlrev_b64_e32 v[1:2], 2, v[1:2]
	s_delay_alu instid0(VALU_DEP_1) | instskip(SKIP_1) | instid1(VALU_DEP_2)
	v_add_co_u32 v103, vcc_lo, s4, v1
	s_wait_alu 0xfffd
	v_add_co_ci_u32_e64 v104, null, s5, v2, vcc_lo
	ds_load_b128 v[1:4], v177
	v_add_co_u32 v101, vcc_lo, v103, v175
	s_wait_alu 0xfffd
	v_add_co_ci_u32_e64 v102, null, 0, v104, vcc_lo
	v_cmp_eq_u32_e32 vcc_lo, s13, v137
	global_load_b128 v[5:8], v[101:102], off
	s_and_saveexec_b32 s1, vcc_lo
	s_cbranch_execnz .LBB35_77
; %bb.44:                               ;   in Loop: Header=BB35_42 Depth=1
	s_wait_alu 0xfffe
	s_or_b32 exec_lo, exec_lo, s1
	global_load_b128 v[9:12], v[101:102], off offset:512
	s_and_saveexec_b32 s1, vcc_lo
	s_cbranch_execnz .LBB35_78
.LBB35_45:                              ;   in Loop: Header=BB35_42 Depth=1
	s_wait_alu 0xfffe
	s_or_b32 exec_lo, exec_lo, s1
	global_load_b128 v[13:16], v[101:102], off offset:1024
	s_and_saveexec_b32 s1, vcc_lo
	s_cbranch_execnz .LBB35_79
.LBB35_46:                              ;   in Loop: Header=BB35_42 Depth=1
	s_wait_alu 0xfffe
	s_or_b32 exec_lo, exec_lo, s1
	global_load_b128 v[17:20], v[101:102], off offset:1536
	s_and_saveexec_b32 s1, vcc_lo
	s_cbranch_execnz .LBB35_80
.LBB35_47:                              ;   in Loop: Header=BB35_42 Depth=1
	s_wait_alu 0xfffe
	s_or_b32 exec_lo, exec_lo, s1
	global_load_b128 v[21:24], v[101:102], off offset:2048
	s_and_saveexec_b32 s1, vcc_lo
	s_cbranch_execnz .LBB35_81
.LBB35_48:                              ;   in Loop: Header=BB35_42 Depth=1
	s_wait_alu 0xfffe
	s_or_b32 exec_lo, exec_lo, s1
	global_load_b128 v[25:28], v[101:102], off offset:2560
	s_and_saveexec_b32 s1, vcc_lo
	s_cbranch_execnz .LBB35_82
.LBB35_49:                              ;   in Loop: Header=BB35_42 Depth=1
	s_wait_alu 0xfffe
	s_or_b32 exec_lo, exec_lo, s1
	global_load_b128 v[29:32], v[101:102], off offset:3072
	s_and_saveexec_b32 s1, vcc_lo
	s_cbranch_execnz .LBB35_83
.LBB35_50:                              ;   in Loop: Header=BB35_42 Depth=1
	s_wait_alu 0xfffe
	s_or_b32 exec_lo, exec_lo, s1
	global_load_b128 v[33:36], v[101:102], off offset:3584
	s_and_saveexec_b32 s1, vcc_lo
	s_cbranch_execnz .LBB35_84
.LBB35_51:                              ;   in Loop: Header=BB35_42 Depth=1
	s_wait_alu 0xfffe
	s_or_b32 exec_lo, exec_lo, s1
	global_load_b128 v[37:40], v[101:102], off offset:4096
	s_and_saveexec_b32 s1, vcc_lo
	s_cbranch_execnz .LBB35_85
.LBB35_52:                              ;   in Loop: Header=BB35_42 Depth=1
	s_wait_alu 0xfffe
	s_or_b32 exec_lo, exec_lo, s1
	global_load_b128 v[41:44], v[101:102], off offset:4608
	s_and_saveexec_b32 s1, vcc_lo
	s_cbranch_execnz .LBB35_86
.LBB35_53:                              ;   in Loop: Header=BB35_42 Depth=1
	s_wait_alu 0xfffe
	s_or_b32 exec_lo, exec_lo, s1
	global_load_b128 v[45:48], v[101:102], off offset:5120
	s_and_saveexec_b32 s1, vcc_lo
	s_cbranch_execnz .LBB35_87
.LBB35_54:                              ;   in Loop: Header=BB35_42 Depth=1
	s_wait_alu 0xfffe
	s_or_b32 exec_lo, exec_lo, s1
	global_load_b128 v[49:52], v[101:102], off offset:5632
	s_and_saveexec_b32 s1, vcc_lo
	s_cbranch_execnz .LBB35_88
.LBB35_55:                              ;   in Loop: Header=BB35_42 Depth=1
	s_wait_alu 0xfffe
	s_or_b32 exec_lo, exec_lo, s1
	global_load_b128 v[53:56], v[101:102], off offset:6144
	s_and_saveexec_b32 s1, vcc_lo
	s_cbranch_execnz .LBB35_89
.LBB35_56:                              ;   in Loop: Header=BB35_42 Depth=1
	s_wait_alu 0xfffe
	s_or_b32 exec_lo, exec_lo, s1
	global_load_b128 v[57:60], v[101:102], off offset:6656
	s_and_saveexec_b32 s1, vcc_lo
	s_cbranch_execnz .LBB35_90
.LBB35_57:                              ;   in Loop: Header=BB35_42 Depth=1
	s_wait_alu 0xfffe
	s_or_b32 exec_lo, exec_lo, s1
	global_load_b128 v[61:64], v[101:102], off offset:7168
	s_and_saveexec_b32 s1, vcc_lo
	s_cbranch_execnz .LBB35_91
.LBB35_58:                              ;   in Loop: Header=BB35_42 Depth=1
	s_wait_alu 0xfffe
	s_or_b32 exec_lo, exec_lo, s1
	global_load_b128 v[65:68], v[101:102], off offset:7680
	s_and_saveexec_b32 s1, vcc_lo
	s_cbranch_execnz .LBB35_92
.LBB35_59:                              ;   in Loop: Header=BB35_42 Depth=1
	s_wait_alu 0xfffe
	s_or_b32 exec_lo, exec_lo, s1
	global_load_b128 v[69:72], v[101:102], off offset:8192
	s_and_saveexec_b32 s1, vcc_lo
	s_cbranch_execnz .LBB35_93
.LBB35_60:                              ;   in Loop: Header=BB35_42 Depth=1
	s_wait_alu 0xfffe
	s_or_b32 exec_lo, exec_lo, s1
	global_load_b128 v[73:76], v[101:102], off offset:8704
	s_and_saveexec_b32 s1, vcc_lo
	s_cbranch_execnz .LBB35_94
.LBB35_61:                              ;   in Loop: Header=BB35_42 Depth=1
	s_wait_alu 0xfffe
	s_or_b32 exec_lo, exec_lo, s1
	global_load_b128 v[77:80], v[101:102], off offset:9216
	s_and_saveexec_b32 s1, vcc_lo
	s_cbranch_execnz .LBB35_95
.LBB35_62:                              ;   in Loop: Header=BB35_42 Depth=1
	s_wait_alu 0xfffe
	s_or_b32 exec_lo, exec_lo, s1
	global_load_b128 v[81:84], v[101:102], off offset:9728
	s_and_saveexec_b32 s1, vcc_lo
	s_cbranch_execnz .LBB35_96
.LBB35_63:                              ;   in Loop: Header=BB35_42 Depth=1
	s_wait_alu 0xfffe
	s_or_b32 exec_lo, exec_lo, s1
	global_load_b128 v[85:88], v[101:102], off offset:10240
	s_and_saveexec_b32 s1, vcc_lo
	s_cbranch_execnz .LBB35_97
.LBB35_64:                              ;   in Loop: Header=BB35_42 Depth=1
	s_wait_alu 0xfffe
	s_or_b32 exec_lo, exec_lo, s1
	global_load_b128 v[89:92], v[101:102], off offset:10752
	s_and_saveexec_b32 s1, vcc_lo
	s_cbranch_execnz .LBB35_98
.LBB35_65:                              ;   in Loop: Header=BB35_42 Depth=1
	s_wait_alu 0xfffe
	s_or_b32 exec_lo, exec_lo, s1
	global_load_b128 v[93:96], v[101:102], off offset:11264
	s_and_saveexec_b32 s1, vcc_lo
	s_cbranch_execnz .LBB35_99
.LBB35_66:                              ;   in Loop: Header=BB35_42 Depth=1
	s_wait_alu 0xfffe
	s_or_b32 exec_lo, exec_lo, s1
	global_load_b128 v[97:100], v[101:102], off offset:11776
	s_and_saveexec_b32 s1, vcc_lo
	s_cbranch_execnz .LBB35_100
.LBB35_67:                              ;   in Loop: Header=BB35_42 Depth=1
	s_wait_alu 0xfffe
	s_or_b32 exec_lo, exec_lo, s1
	global_load_b128 v[105:108], v[101:102], off offset:12288
	s_and_saveexec_b32 s1, vcc_lo
	s_cbranch_execnz .LBB35_101
.LBB35_68:                              ;   in Loop: Header=BB35_42 Depth=1
	s_wait_alu 0xfffe
	s_or_b32 exec_lo, exec_lo, s1
	global_load_b128 v[109:112], v[101:102], off offset:12800
	s_and_saveexec_b32 s1, vcc_lo
	s_cbranch_execnz .LBB35_102
.LBB35_69:                              ;   in Loop: Header=BB35_42 Depth=1
	s_wait_alu 0xfffe
	s_or_b32 exec_lo, exec_lo, s1
	global_load_b128 v[113:116], v[101:102], off offset:13312
	s_and_saveexec_b32 s1, vcc_lo
	s_cbranch_execnz .LBB35_103
.LBB35_70:                              ;   in Loop: Header=BB35_42 Depth=1
	s_wait_alu 0xfffe
	s_or_b32 exec_lo, exec_lo, s1
	global_load_b128 v[117:120], v[101:102], off offset:13824
	s_and_saveexec_b32 s24, vcc_lo
	s_cbranch_execnz .LBB35_104
.LBB35_71:                              ;   in Loop: Header=BB35_42 Depth=1
	s_or_b32 exec_lo, exec_lo, s24
	global_load_b128 v[121:124], v[101:102], off offset:14336
	s_and_saveexec_b32 s1, vcc_lo
	s_cbranch_execnz .LBB35_105
.LBB35_72:                              ;   in Loop: Header=BB35_42 Depth=1
	s_wait_alu 0xfffe
	s_or_b32 exec_lo, exec_lo, s1
	global_load_b128 v[125:128], v[101:102], off offset:14848
	s_and_saveexec_b32 s1, vcc_lo
	s_cbranch_execnz .LBB35_106
.LBB35_73:                              ;   in Loop: Header=BB35_42 Depth=1
	s_wait_alu 0xfffe
	s_or_b32 exec_lo, exec_lo, s1
	global_load_b128 v[129:132], v[101:102], off offset:15360
	s_and_saveexec_b32 s1, vcc_lo
	s_cbranch_execz .LBB35_75
.LBB35_74:                              ;   in Loop: Header=BB35_42 Depth=1
	v_cmp_gt_i32_e64 s0, s31, v178
	s_wait_loadcnt 0x0
	s_wait_alu 0xf1ff
	s_delay_alu instid0(VALU_DEP_1) | instskip(SKIP_2) | instid1(VALU_DEP_1)
	v_cndmask_b32_e64 v129, 0, v129, s0
	v_cmp_gt_i32_e64 s0, s31, v181
	s_wait_alu 0xf1ff
	v_cndmask_b32_e64 v130, 0, v130, s0
	v_cmp_gt_i32_e64 s0, s31, v180
	s_wait_alu 0xf1ff
	s_delay_alu instid0(VALU_DEP_1) | instskip(SKIP_2) | instid1(VALU_DEP_1)
	v_cndmask_b32_e64 v131, 0, v131, s0
	v_cmp_gt_i32_e64 s0, s31, v179
	s_wait_alu 0xf1ff
	v_cndmask_b32_e64 v132, 0, v132, s0
.LBB35_75:                              ;   in Loop: Header=BB35_42 Depth=1
	s_wait_alu 0xfffe
	s_or_b32 exec_lo, exec_lo, s1
	v_add_co_u32 v101, s0, v103, v176
	s_wait_alu 0xf1ff
	v_add_co_ci_u32_e64 v102, null, 0, v104, s0
	global_load_b128 v[101:104], v[101:102], off
	s_and_saveexec_b32 s0, vcc_lo
	s_cbranch_execz .LBB35_40
; %bb.76:                               ;   in Loop: Header=BB35_42 Depth=1
	v_cmp_gt_i32_e32 vcc_lo, s31, v178
	s_wait_loadcnt 0x0
	s_wait_alu 0xfffd
	v_cndmask_b32_e32 v101, 0, v101, vcc_lo
	v_cmp_gt_i32_e32 vcc_lo, s31, v181
	s_wait_alu 0xfffd
	v_cndmask_b32_e32 v102, 0, v102, vcc_lo
	v_cmp_gt_i32_e32 vcc_lo, s31, v180
	;; [unrolled: 3-line block ×3, first 2 shown]
	s_wait_alu 0xfffd
	v_cndmask_b32_e32 v104, 0, v104, vcc_lo
	s_branch .LBB35_40
.LBB35_77:                              ;   in Loop: Header=BB35_42 Depth=1
	v_cmp_gt_i32_e64 s0, s31, v178
	s_wait_loadcnt 0x0
	s_wait_alu 0xf1ff
	s_delay_alu instid0(VALU_DEP_1) | instskip(SKIP_2) | instid1(VALU_DEP_1)
	v_cndmask_b32_e64 v5, 0, v5, s0
	v_cmp_gt_i32_e64 s0, s31, v181
	s_wait_alu 0xf1ff
	v_cndmask_b32_e64 v6, 0, v6, s0
	v_cmp_gt_i32_e64 s0, s31, v180
	s_wait_alu 0xf1ff
	s_delay_alu instid0(VALU_DEP_1) | instskip(SKIP_2) | instid1(VALU_DEP_1)
	v_cndmask_b32_e64 v7, 0, v7, s0
	v_cmp_gt_i32_e64 s0, s31, v179
	s_wait_alu 0xf1ff
	v_cndmask_b32_e64 v8, 0, v8, s0
	s_wait_alu 0xfffe
	s_or_b32 exec_lo, exec_lo, s1
	global_load_b128 v[9:12], v[101:102], off offset:512
	s_and_saveexec_b32 s1, vcc_lo
	s_cbranch_execz .LBB35_45
.LBB35_78:                              ;   in Loop: Header=BB35_42 Depth=1
	v_cmp_gt_i32_e64 s0, s31, v178
	s_wait_loadcnt 0x0
	s_wait_alu 0xf1ff
	s_delay_alu instid0(VALU_DEP_1) | instskip(SKIP_2) | instid1(VALU_DEP_1)
	v_cndmask_b32_e64 v9, 0, v9, s0
	v_cmp_gt_i32_e64 s0, s31, v181
	s_wait_alu 0xf1ff
	v_cndmask_b32_e64 v10, 0, v10, s0
	v_cmp_gt_i32_e64 s0, s31, v180
	s_wait_alu 0xf1ff
	s_delay_alu instid0(VALU_DEP_1) | instskip(SKIP_2) | instid1(VALU_DEP_1)
	v_cndmask_b32_e64 v11, 0, v11, s0
	v_cmp_gt_i32_e64 s0, s31, v179
	s_wait_alu 0xf1ff
	v_cndmask_b32_e64 v12, 0, v12, s0
	s_wait_alu 0xfffe
	s_or_b32 exec_lo, exec_lo, s1
	global_load_b128 v[13:16], v[101:102], off offset:1024
	s_and_saveexec_b32 s1, vcc_lo
	s_cbranch_execz .LBB35_46
.LBB35_79:                              ;   in Loop: Header=BB35_42 Depth=1
	v_cmp_gt_i32_e64 s0, s31, v178
	s_wait_loadcnt 0x0
	s_wait_alu 0xf1ff
	s_delay_alu instid0(VALU_DEP_1) | instskip(SKIP_2) | instid1(VALU_DEP_1)
	v_cndmask_b32_e64 v13, 0, v13, s0
	v_cmp_gt_i32_e64 s0, s31, v181
	s_wait_alu 0xf1ff
	v_cndmask_b32_e64 v14, 0, v14, s0
	v_cmp_gt_i32_e64 s0, s31, v180
	s_wait_alu 0xf1ff
	s_delay_alu instid0(VALU_DEP_1) | instskip(SKIP_2) | instid1(VALU_DEP_1)
	v_cndmask_b32_e64 v15, 0, v15, s0
	v_cmp_gt_i32_e64 s0, s31, v179
	s_wait_alu 0xf1ff
	v_cndmask_b32_e64 v16, 0, v16, s0
	s_wait_alu 0xfffe
	s_or_b32 exec_lo, exec_lo, s1
	global_load_b128 v[17:20], v[101:102], off offset:1536
	s_and_saveexec_b32 s1, vcc_lo
	s_cbranch_execz .LBB35_47
.LBB35_80:                              ;   in Loop: Header=BB35_42 Depth=1
	v_cmp_gt_i32_e64 s0, s31, v178
	s_wait_loadcnt 0x0
	s_wait_alu 0xf1ff
	s_delay_alu instid0(VALU_DEP_1) | instskip(SKIP_2) | instid1(VALU_DEP_1)
	v_cndmask_b32_e64 v17, 0, v17, s0
	v_cmp_gt_i32_e64 s0, s31, v181
	s_wait_alu 0xf1ff
	v_cndmask_b32_e64 v18, 0, v18, s0
	v_cmp_gt_i32_e64 s0, s31, v180
	s_wait_alu 0xf1ff
	s_delay_alu instid0(VALU_DEP_1) | instskip(SKIP_2) | instid1(VALU_DEP_1)
	v_cndmask_b32_e64 v19, 0, v19, s0
	v_cmp_gt_i32_e64 s0, s31, v179
	s_wait_alu 0xf1ff
	v_cndmask_b32_e64 v20, 0, v20, s0
	s_wait_alu 0xfffe
	s_or_b32 exec_lo, exec_lo, s1
	global_load_b128 v[21:24], v[101:102], off offset:2048
	s_and_saveexec_b32 s1, vcc_lo
	s_cbranch_execz .LBB35_48
.LBB35_81:                              ;   in Loop: Header=BB35_42 Depth=1
	v_cmp_gt_i32_e64 s0, s31, v178
	s_wait_loadcnt 0x0
	s_wait_alu 0xf1ff
	s_delay_alu instid0(VALU_DEP_1) | instskip(SKIP_2) | instid1(VALU_DEP_1)
	v_cndmask_b32_e64 v21, 0, v21, s0
	v_cmp_gt_i32_e64 s0, s31, v181
	s_wait_alu 0xf1ff
	v_cndmask_b32_e64 v22, 0, v22, s0
	v_cmp_gt_i32_e64 s0, s31, v180
	s_wait_alu 0xf1ff
	s_delay_alu instid0(VALU_DEP_1) | instskip(SKIP_2) | instid1(VALU_DEP_1)
	v_cndmask_b32_e64 v23, 0, v23, s0
	v_cmp_gt_i32_e64 s0, s31, v179
	s_wait_alu 0xf1ff
	v_cndmask_b32_e64 v24, 0, v24, s0
	s_wait_alu 0xfffe
	s_or_b32 exec_lo, exec_lo, s1
	global_load_b128 v[25:28], v[101:102], off offset:2560
	s_and_saveexec_b32 s1, vcc_lo
	s_cbranch_execz .LBB35_49
.LBB35_82:                              ;   in Loop: Header=BB35_42 Depth=1
	v_cmp_gt_i32_e64 s0, s31, v178
	s_wait_loadcnt 0x0
	s_wait_alu 0xf1ff
	s_delay_alu instid0(VALU_DEP_1) | instskip(SKIP_2) | instid1(VALU_DEP_1)
	v_cndmask_b32_e64 v25, 0, v25, s0
	v_cmp_gt_i32_e64 s0, s31, v181
	s_wait_alu 0xf1ff
	v_cndmask_b32_e64 v26, 0, v26, s0
	v_cmp_gt_i32_e64 s0, s31, v180
	s_wait_alu 0xf1ff
	s_delay_alu instid0(VALU_DEP_1) | instskip(SKIP_2) | instid1(VALU_DEP_1)
	v_cndmask_b32_e64 v27, 0, v27, s0
	v_cmp_gt_i32_e64 s0, s31, v179
	s_wait_alu 0xf1ff
	v_cndmask_b32_e64 v28, 0, v28, s0
	s_wait_alu 0xfffe
	s_or_b32 exec_lo, exec_lo, s1
	global_load_b128 v[29:32], v[101:102], off offset:3072
	s_and_saveexec_b32 s1, vcc_lo
	s_cbranch_execz .LBB35_50
.LBB35_83:                              ;   in Loop: Header=BB35_42 Depth=1
	v_cmp_gt_i32_e64 s0, s31, v178
	s_wait_loadcnt 0x0
	s_wait_alu 0xf1ff
	s_delay_alu instid0(VALU_DEP_1) | instskip(SKIP_2) | instid1(VALU_DEP_1)
	v_cndmask_b32_e64 v29, 0, v29, s0
	v_cmp_gt_i32_e64 s0, s31, v181
	s_wait_alu 0xf1ff
	v_cndmask_b32_e64 v30, 0, v30, s0
	v_cmp_gt_i32_e64 s0, s31, v180
	s_wait_alu 0xf1ff
	s_delay_alu instid0(VALU_DEP_1) | instskip(SKIP_2) | instid1(VALU_DEP_1)
	v_cndmask_b32_e64 v31, 0, v31, s0
	v_cmp_gt_i32_e64 s0, s31, v179
	s_wait_alu 0xf1ff
	v_cndmask_b32_e64 v32, 0, v32, s0
	s_wait_alu 0xfffe
	s_or_b32 exec_lo, exec_lo, s1
	global_load_b128 v[33:36], v[101:102], off offset:3584
	s_and_saveexec_b32 s1, vcc_lo
	s_cbranch_execz .LBB35_51
.LBB35_84:                              ;   in Loop: Header=BB35_42 Depth=1
	v_cmp_gt_i32_e64 s0, s31, v178
	s_wait_loadcnt 0x0
	s_wait_alu 0xf1ff
	s_delay_alu instid0(VALU_DEP_1) | instskip(SKIP_2) | instid1(VALU_DEP_1)
	v_cndmask_b32_e64 v33, 0, v33, s0
	v_cmp_gt_i32_e64 s0, s31, v181
	s_wait_alu 0xf1ff
	v_cndmask_b32_e64 v34, 0, v34, s0
	v_cmp_gt_i32_e64 s0, s31, v180
	s_wait_alu 0xf1ff
	s_delay_alu instid0(VALU_DEP_1) | instskip(SKIP_2) | instid1(VALU_DEP_1)
	v_cndmask_b32_e64 v35, 0, v35, s0
	v_cmp_gt_i32_e64 s0, s31, v179
	s_wait_alu 0xf1ff
	v_cndmask_b32_e64 v36, 0, v36, s0
	s_wait_alu 0xfffe
	s_or_b32 exec_lo, exec_lo, s1
	global_load_b128 v[37:40], v[101:102], off offset:4096
	s_and_saveexec_b32 s1, vcc_lo
	s_cbranch_execz .LBB35_52
.LBB35_85:                              ;   in Loop: Header=BB35_42 Depth=1
	v_cmp_gt_i32_e64 s0, s31, v178
	s_wait_loadcnt 0x0
	s_wait_alu 0xf1ff
	s_delay_alu instid0(VALU_DEP_1) | instskip(SKIP_2) | instid1(VALU_DEP_1)
	v_cndmask_b32_e64 v37, 0, v37, s0
	v_cmp_gt_i32_e64 s0, s31, v181
	s_wait_alu 0xf1ff
	v_cndmask_b32_e64 v38, 0, v38, s0
	v_cmp_gt_i32_e64 s0, s31, v180
	s_wait_alu 0xf1ff
	s_delay_alu instid0(VALU_DEP_1) | instskip(SKIP_2) | instid1(VALU_DEP_1)
	v_cndmask_b32_e64 v39, 0, v39, s0
	v_cmp_gt_i32_e64 s0, s31, v179
	s_wait_alu 0xf1ff
	v_cndmask_b32_e64 v40, 0, v40, s0
	s_wait_alu 0xfffe
	s_or_b32 exec_lo, exec_lo, s1
	global_load_b128 v[41:44], v[101:102], off offset:4608
	s_and_saveexec_b32 s1, vcc_lo
	s_cbranch_execz .LBB35_53
.LBB35_86:                              ;   in Loop: Header=BB35_42 Depth=1
	v_cmp_gt_i32_e64 s0, s31, v178
	s_wait_loadcnt 0x0
	s_wait_alu 0xf1ff
	s_delay_alu instid0(VALU_DEP_1) | instskip(SKIP_2) | instid1(VALU_DEP_1)
	v_cndmask_b32_e64 v41, 0, v41, s0
	v_cmp_gt_i32_e64 s0, s31, v181
	s_wait_alu 0xf1ff
	v_cndmask_b32_e64 v42, 0, v42, s0
	v_cmp_gt_i32_e64 s0, s31, v180
	s_wait_alu 0xf1ff
	s_delay_alu instid0(VALU_DEP_1) | instskip(SKIP_2) | instid1(VALU_DEP_1)
	v_cndmask_b32_e64 v43, 0, v43, s0
	v_cmp_gt_i32_e64 s0, s31, v179
	s_wait_alu 0xf1ff
	v_cndmask_b32_e64 v44, 0, v44, s0
	s_wait_alu 0xfffe
	s_or_b32 exec_lo, exec_lo, s1
	global_load_b128 v[45:48], v[101:102], off offset:5120
	s_and_saveexec_b32 s1, vcc_lo
	s_cbranch_execz .LBB35_54
.LBB35_87:                              ;   in Loop: Header=BB35_42 Depth=1
	v_cmp_gt_i32_e64 s0, s31, v178
	s_wait_loadcnt 0x0
	s_wait_alu 0xf1ff
	s_delay_alu instid0(VALU_DEP_1) | instskip(SKIP_2) | instid1(VALU_DEP_1)
	v_cndmask_b32_e64 v45, 0, v45, s0
	v_cmp_gt_i32_e64 s0, s31, v181
	s_wait_alu 0xf1ff
	v_cndmask_b32_e64 v46, 0, v46, s0
	v_cmp_gt_i32_e64 s0, s31, v180
	s_wait_alu 0xf1ff
	s_delay_alu instid0(VALU_DEP_1) | instskip(SKIP_2) | instid1(VALU_DEP_1)
	v_cndmask_b32_e64 v47, 0, v47, s0
	v_cmp_gt_i32_e64 s0, s31, v179
	s_wait_alu 0xf1ff
	v_cndmask_b32_e64 v48, 0, v48, s0
	s_wait_alu 0xfffe
	s_or_b32 exec_lo, exec_lo, s1
	global_load_b128 v[49:52], v[101:102], off offset:5632
	s_and_saveexec_b32 s1, vcc_lo
	s_cbranch_execz .LBB35_55
.LBB35_88:                              ;   in Loop: Header=BB35_42 Depth=1
	v_cmp_gt_i32_e64 s0, s31, v178
	s_wait_loadcnt 0x0
	s_wait_alu 0xf1ff
	s_delay_alu instid0(VALU_DEP_1) | instskip(SKIP_2) | instid1(VALU_DEP_1)
	v_cndmask_b32_e64 v49, 0, v49, s0
	v_cmp_gt_i32_e64 s0, s31, v181
	s_wait_alu 0xf1ff
	v_cndmask_b32_e64 v50, 0, v50, s0
	v_cmp_gt_i32_e64 s0, s31, v180
	s_wait_alu 0xf1ff
	s_delay_alu instid0(VALU_DEP_1) | instskip(SKIP_2) | instid1(VALU_DEP_1)
	v_cndmask_b32_e64 v51, 0, v51, s0
	v_cmp_gt_i32_e64 s0, s31, v179
	s_wait_alu 0xf1ff
	v_cndmask_b32_e64 v52, 0, v52, s0
	s_wait_alu 0xfffe
	s_or_b32 exec_lo, exec_lo, s1
	global_load_b128 v[53:56], v[101:102], off offset:6144
	s_and_saveexec_b32 s1, vcc_lo
	s_cbranch_execz .LBB35_56
.LBB35_89:                              ;   in Loop: Header=BB35_42 Depth=1
	v_cmp_gt_i32_e64 s0, s31, v178
	s_wait_loadcnt 0x0
	s_wait_alu 0xf1ff
	s_delay_alu instid0(VALU_DEP_1) | instskip(SKIP_2) | instid1(VALU_DEP_1)
	v_cndmask_b32_e64 v53, 0, v53, s0
	v_cmp_gt_i32_e64 s0, s31, v181
	s_wait_alu 0xf1ff
	v_cndmask_b32_e64 v54, 0, v54, s0
	v_cmp_gt_i32_e64 s0, s31, v180
	s_wait_alu 0xf1ff
	s_delay_alu instid0(VALU_DEP_1) | instskip(SKIP_2) | instid1(VALU_DEP_1)
	v_cndmask_b32_e64 v55, 0, v55, s0
	v_cmp_gt_i32_e64 s0, s31, v179
	s_wait_alu 0xf1ff
	v_cndmask_b32_e64 v56, 0, v56, s0
	s_wait_alu 0xfffe
	s_or_b32 exec_lo, exec_lo, s1
	global_load_b128 v[57:60], v[101:102], off offset:6656
	s_and_saveexec_b32 s1, vcc_lo
	s_cbranch_execz .LBB35_57
.LBB35_90:                              ;   in Loop: Header=BB35_42 Depth=1
	v_cmp_gt_i32_e64 s0, s31, v178
	s_wait_loadcnt 0x0
	s_wait_alu 0xf1ff
	s_delay_alu instid0(VALU_DEP_1) | instskip(SKIP_2) | instid1(VALU_DEP_1)
	v_cndmask_b32_e64 v57, 0, v57, s0
	v_cmp_gt_i32_e64 s0, s31, v181
	s_wait_alu 0xf1ff
	v_cndmask_b32_e64 v58, 0, v58, s0
	v_cmp_gt_i32_e64 s0, s31, v180
	s_wait_alu 0xf1ff
	s_delay_alu instid0(VALU_DEP_1) | instskip(SKIP_2) | instid1(VALU_DEP_1)
	v_cndmask_b32_e64 v59, 0, v59, s0
	v_cmp_gt_i32_e64 s0, s31, v179
	s_wait_alu 0xf1ff
	v_cndmask_b32_e64 v60, 0, v60, s0
	s_wait_alu 0xfffe
	s_or_b32 exec_lo, exec_lo, s1
	global_load_b128 v[61:64], v[101:102], off offset:7168
	s_and_saveexec_b32 s1, vcc_lo
	s_cbranch_execz .LBB35_58
.LBB35_91:                              ;   in Loop: Header=BB35_42 Depth=1
	v_cmp_gt_i32_e64 s0, s31, v178
	s_wait_loadcnt 0x0
	s_wait_alu 0xf1ff
	s_delay_alu instid0(VALU_DEP_1) | instskip(SKIP_2) | instid1(VALU_DEP_1)
	v_cndmask_b32_e64 v61, 0, v61, s0
	v_cmp_gt_i32_e64 s0, s31, v181
	s_wait_alu 0xf1ff
	v_cndmask_b32_e64 v62, 0, v62, s0
	v_cmp_gt_i32_e64 s0, s31, v180
	s_wait_alu 0xf1ff
	s_delay_alu instid0(VALU_DEP_1) | instskip(SKIP_2) | instid1(VALU_DEP_1)
	v_cndmask_b32_e64 v63, 0, v63, s0
	v_cmp_gt_i32_e64 s0, s31, v179
	s_wait_alu 0xf1ff
	v_cndmask_b32_e64 v64, 0, v64, s0
	s_wait_alu 0xfffe
	s_or_b32 exec_lo, exec_lo, s1
	global_load_b128 v[65:68], v[101:102], off offset:7680
	s_and_saveexec_b32 s1, vcc_lo
	s_cbranch_execz .LBB35_59
.LBB35_92:                              ;   in Loop: Header=BB35_42 Depth=1
	v_cmp_gt_i32_e64 s0, s31, v178
	s_wait_loadcnt 0x0
	s_wait_alu 0xf1ff
	s_delay_alu instid0(VALU_DEP_1) | instskip(SKIP_2) | instid1(VALU_DEP_1)
	v_cndmask_b32_e64 v65, 0, v65, s0
	v_cmp_gt_i32_e64 s0, s31, v181
	s_wait_alu 0xf1ff
	v_cndmask_b32_e64 v66, 0, v66, s0
	v_cmp_gt_i32_e64 s0, s31, v180
	s_wait_alu 0xf1ff
	s_delay_alu instid0(VALU_DEP_1) | instskip(SKIP_2) | instid1(VALU_DEP_1)
	v_cndmask_b32_e64 v67, 0, v67, s0
	v_cmp_gt_i32_e64 s0, s31, v179
	s_wait_alu 0xf1ff
	v_cndmask_b32_e64 v68, 0, v68, s0
	s_wait_alu 0xfffe
	s_or_b32 exec_lo, exec_lo, s1
	global_load_b128 v[69:72], v[101:102], off offset:8192
	s_and_saveexec_b32 s1, vcc_lo
	s_cbranch_execz .LBB35_60
.LBB35_93:                              ;   in Loop: Header=BB35_42 Depth=1
	v_cmp_gt_i32_e64 s0, s31, v178
	s_wait_loadcnt 0x0
	s_wait_alu 0xf1ff
	s_delay_alu instid0(VALU_DEP_1) | instskip(SKIP_2) | instid1(VALU_DEP_1)
	v_cndmask_b32_e64 v69, 0, v69, s0
	v_cmp_gt_i32_e64 s0, s31, v181
	s_wait_alu 0xf1ff
	v_cndmask_b32_e64 v70, 0, v70, s0
	v_cmp_gt_i32_e64 s0, s31, v180
	s_wait_alu 0xf1ff
	s_delay_alu instid0(VALU_DEP_1) | instskip(SKIP_2) | instid1(VALU_DEP_1)
	v_cndmask_b32_e64 v71, 0, v71, s0
	v_cmp_gt_i32_e64 s0, s31, v179
	s_wait_alu 0xf1ff
	v_cndmask_b32_e64 v72, 0, v72, s0
	s_wait_alu 0xfffe
	s_or_b32 exec_lo, exec_lo, s1
	global_load_b128 v[73:76], v[101:102], off offset:8704
	s_and_saveexec_b32 s1, vcc_lo
	s_cbranch_execz .LBB35_61
.LBB35_94:                              ;   in Loop: Header=BB35_42 Depth=1
	v_cmp_gt_i32_e64 s0, s31, v178
	s_wait_loadcnt 0x0
	s_wait_alu 0xf1ff
	s_delay_alu instid0(VALU_DEP_1) | instskip(SKIP_2) | instid1(VALU_DEP_1)
	v_cndmask_b32_e64 v73, 0, v73, s0
	v_cmp_gt_i32_e64 s0, s31, v181
	s_wait_alu 0xf1ff
	v_cndmask_b32_e64 v74, 0, v74, s0
	v_cmp_gt_i32_e64 s0, s31, v180
	s_wait_alu 0xf1ff
	s_delay_alu instid0(VALU_DEP_1) | instskip(SKIP_2) | instid1(VALU_DEP_1)
	v_cndmask_b32_e64 v75, 0, v75, s0
	v_cmp_gt_i32_e64 s0, s31, v179
	s_wait_alu 0xf1ff
	v_cndmask_b32_e64 v76, 0, v76, s0
	s_wait_alu 0xfffe
	s_or_b32 exec_lo, exec_lo, s1
	global_load_b128 v[77:80], v[101:102], off offset:9216
	s_and_saveexec_b32 s1, vcc_lo
	s_cbranch_execz .LBB35_62
.LBB35_95:                              ;   in Loop: Header=BB35_42 Depth=1
	v_cmp_gt_i32_e64 s0, s31, v178
	s_wait_loadcnt 0x0
	s_wait_alu 0xf1ff
	s_delay_alu instid0(VALU_DEP_1) | instskip(SKIP_2) | instid1(VALU_DEP_1)
	v_cndmask_b32_e64 v77, 0, v77, s0
	v_cmp_gt_i32_e64 s0, s31, v181
	s_wait_alu 0xf1ff
	v_cndmask_b32_e64 v78, 0, v78, s0
	v_cmp_gt_i32_e64 s0, s31, v180
	s_wait_alu 0xf1ff
	s_delay_alu instid0(VALU_DEP_1) | instskip(SKIP_2) | instid1(VALU_DEP_1)
	v_cndmask_b32_e64 v79, 0, v79, s0
	v_cmp_gt_i32_e64 s0, s31, v179
	s_wait_alu 0xf1ff
	v_cndmask_b32_e64 v80, 0, v80, s0
	s_wait_alu 0xfffe
	s_or_b32 exec_lo, exec_lo, s1
	global_load_b128 v[81:84], v[101:102], off offset:9728
	s_and_saveexec_b32 s1, vcc_lo
	s_cbranch_execz .LBB35_63
.LBB35_96:                              ;   in Loop: Header=BB35_42 Depth=1
	v_cmp_gt_i32_e64 s0, s31, v178
	s_wait_loadcnt 0x0
	s_wait_alu 0xf1ff
	s_delay_alu instid0(VALU_DEP_1) | instskip(SKIP_2) | instid1(VALU_DEP_1)
	v_cndmask_b32_e64 v81, 0, v81, s0
	v_cmp_gt_i32_e64 s0, s31, v181
	s_wait_alu 0xf1ff
	v_cndmask_b32_e64 v82, 0, v82, s0
	v_cmp_gt_i32_e64 s0, s31, v180
	s_wait_alu 0xf1ff
	s_delay_alu instid0(VALU_DEP_1) | instskip(SKIP_2) | instid1(VALU_DEP_1)
	v_cndmask_b32_e64 v83, 0, v83, s0
	v_cmp_gt_i32_e64 s0, s31, v179
	s_wait_alu 0xf1ff
	v_cndmask_b32_e64 v84, 0, v84, s0
	s_wait_alu 0xfffe
	s_or_b32 exec_lo, exec_lo, s1
	global_load_b128 v[85:88], v[101:102], off offset:10240
	s_and_saveexec_b32 s1, vcc_lo
	s_cbranch_execz .LBB35_64
.LBB35_97:                              ;   in Loop: Header=BB35_42 Depth=1
	v_cmp_gt_i32_e64 s0, s31, v178
	s_wait_loadcnt 0x0
	s_wait_alu 0xf1ff
	s_delay_alu instid0(VALU_DEP_1) | instskip(SKIP_2) | instid1(VALU_DEP_1)
	v_cndmask_b32_e64 v85, 0, v85, s0
	v_cmp_gt_i32_e64 s0, s31, v181
	s_wait_alu 0xf1ff
	v_cndmask_b32_e64 v86, 0, v86, s0
	v_cmp_gt_i32_e64 s0, s31, v180
	s_wait_alu 0xf1ff
	s_delay_alu instid0(VALU_DEP_1) | instskip(SKIP_2) | instid1(VALU_DEP_1)
	v_cndmask_b32_e64 v87, 0, v87, s0
	v_cmp_gt_i32_e64 s0, s31, v179
	s_wait_alu 0xf1ff
	v_cndmask_b32_e64 v88, 0, v88, s0
	s_wait_alu 0xfffe
	s_or_b32 exec_lo, exec_lo, s1
	global_load_b128 v[89:92], v[101:102], off offset:10752
	s_and_saveexec_b32 s1, vcc_lo
	s_cbranch_execz .LBB35_65
.LBB35_98:                              ;   in Loop: Header=BB35_42 Depth=1
	v_cmp_gt_i32_e64 s0, s31, v178
	s_wait_loadcnt 0x0
	s_wait_alu 0xf1ff
	s_delay_alu instid0(VALU_DEP_1) | instskip(SKIP_2) | instid1(VALU_DEP_1)
	v_cndmask_b32_e64 v89, 0, v89, s0
	v_cmp_gt_i32_e64 s0, s31, v181
	s_wait_alu 0xf1ff
	v_cndmask_b32_e64 v90, 0, v90, s0
	v_cmp_gt_i32_e64 s0, s31, v180
	s_wait_alu 0xf1ff
	s_delay_alu instid0(VALU_DEP_1) | instskip(SKIP_2) | instid1(VALU_DEP_1)
	v_cndmask_b32_e64 v91, 0, v91, s0
	v_cmp_gt_i32_e64 s0, s31, v179
	s_wait_alu 0xf1ff
	v_cndmask_b32_e64 v92, 0, v92, s0
	s_wait_alu 0xfffe
	s_or_b32 exec_lo, exec_lo, s1
	global_load_b128 v[93:96], v[101:102], off offset:11264
	s_and_saveexec_b32 s1, vcc_lo
	s_cbranch_execz .LBB35_66
.LBB35_99:                              ;   in Loop: Header=BB35_42 Depth=1
	v_cmp_gt_i32_e64 s0, s31, v178
	s_wait_loadcnt 0x0
	s_wait_alu 0xf1ff
	s_delay_alu instid0(VALU_DEP_1) | instskip(SKIP_2) | instid1(VALU_DEP_1)
	v_cndmask_b32_e64 v93, 0, v93, s0
	v_cmp_gt_i32_e64 s0, s31, v181
	s_wait_alu 0xf1ff
	v_cndmask_b32_e64 v94, 0, v94, s0
	v_cmp_gt_i32_e64 s0, s31, v180
	s_wait_alu 0xf1ff
	s_delay_alu instid0(VALU_DEP_1) | instskip(SKIP_2) | instid1(VALU_DEP_1)
	v_cndmask_b32_e64 v95, 0, v95, s0
	v_cmp_gt_i32_e64 s0, s31, v179
	s_wait_alu 0xf1ff
	v_cndmask_b32_e64 v96, 0, v96, s0
	s_wait_alu 0xfffe
	s_or_b32 exec_lo, exec_lo, s1
	global_load_b128 v[97:100], v[101:102], off offset:11776
	s_and_saveexec_b32 s1, vcc_lo
	s_cbranch_execz .LBB35_67
.LBB35_100:                             ;   in Loop: Header=BB35_42 Depth=1
	v_cmp_gt_i32_e64 s0, s31, v178
	s_wait_loadcnt 0x0
	s_wait_alu 0xf1ff
	s_delay_alu instid0(VALU_DEP_1) | instskip(SKIP_2) | instid1(VALU_DEP_1)
	v_cndmask_b32_e64 v97, 0, v97, s0
	v_cmp_gt_i32_e64 s0, s31, v181
	s_wait_alu 0xf1ff
	v_cndmask_b32_e64 v98, 0, v98, s0
	v_cmp_gt_i32_e64 s0, s31, v180
	s_wait_alu 0xf1ff
	s_delay_alu instid0(VALU_DEP_1) | instskip(SKIP_2) | instid1(VALU_DEP_1)
	v_cndmask_b32_e64 v99, 0, v99, s0
	v_cmp_gt_i32_e64 s0, s31, v179
	s_wait_alu 0xf1ff
	v_cndmask_b32_e64 v100, 0, v100, s0
	s_wait_alu 0xfffe
	s_or_b32 exec_lo, exec_lo, s1
	global_load_b128 v[105:108], v[101:102], off offset:12288
	s_and_saveexec_b32 s1, vcc_lo
	s_cbranch_execz .LBB35_68
.LBB35_101:                             ;   in Loop: Header=BB35_42 Depth=1
	v_cmp_gt_i32_e64 s0, s31, v178
	s_wait_loadcnt 0x0
	s_wait_alu 0xf1ff
	s_delay_alu instid0(VALU_DEP_1) | instskip(SKIP_2) | instid1(VALU_DEP_1)
	v_cndmask_b32_e64 v105, 0, v105, s0
	v_cmp_gt_i32_e64 s0, s31, v181
	s_wait_alu 0xf1ff
	v_cndmask_b32_e64 v106, 0, v106, s0
	v_cmp_gt_i32_e64 s0, s31, v180
	s_wait_alu 0xf1ff
	s_delay_alu instid0(VALU_DEP_1) | instskip(SKIP_2) | instid1(VALU_DEP_1)
	v_cndmask_b32_e64 v107, 0, v107, s0
	v_cmp_gt_i32_e64 s0, s31, v179
	s_wait_alu 0xf1ff
	v_cndmask_b32_e64 v108, 0, v108, s0
	s_wait_alu 0xfffe
	s_or_b32 exec_lo, exec_lo, s1
	global_load_b128 v[109:112], v[101:102], off offset:12800
	s_and_saveexec_b32 s1, vcc_lo
	s_cbranch_execz .LBB35_69
.LBB35_102:                             ;   in Loop: Header=BB35_42 Depth=1
	v_cmp_gt_i32_e64 s0, s31, v178
	s_wait_loadcnt 0x0
	s_wait_alu 0xf1ff
	s_delay_alu instid0(VALU_DEP_1) | instskip(SKIP_2) | instid1(VALU_DEP_1)
	v_cndmask_b32_e64 v109, 0, v109, s0
	v_cmp_gt_i32_e64 s0, s31, v181
	s_wait_alu 0xf1ff
	v_cndmask_b32_e64 v110, 0, v110, s0
	v_cmp_gt_i32_e64 s0, s31, v180
	s_wait_alu 0xf1ff
	s_delay_alu instid0(VALU_DEP_1) | instskip(SKIP_2) | instid1(VALU_DEP_1)
	v_cndmask_b32_e64 v111, 0, v111, s0
	v_cmp_gt_i32_e64 s0, s31, v179
	s_wait_alu 0xf1ff
	v_cndmask_b32_e64 v112, 0, v112, s0
	s_wait_alu 0xfffe
	s_or_b32 exec_lo, exec_lo, s1
	global_load_b128 v[113:116], v[101:102], off offset:13312
	s_and_saveexec_b32 s1, vcc_lo
	s_cbranch_execz .LBB35_70
.LBB35_103:                             ;   in Loop: Header=BB35_42 Depth=1
	v_cmp_gt_i32_e64 s0, s31, v178
	s_wait_loadcnt 0x0
	s_wait_alu 0xf1ff
	s_delay_alu instid0(VALU_DEP_1) | instskip(SKIP_2) | instid1(VALU_DEP_1)
	v_cndmask_b32_e64 v113, 0, v113, s0
	v_cmp_gt_i32_e64 s0, s31, v181
	s_wait_alu 0xf1ff
	v_cndmask_b32_e64 v114, 0, v114, s0
	v_cmp_gt_i32_e64 s0, s31, v180
	s_wait_alu 0xf1ff
	s_delay_alu instid0(VALU_DEP_1) | instskip(SKIP_2) | instid1(VALU_DEP_1)
	v_cndmask_b32_e64 v115, 0, v115, s0
	v_cmp_gt_i32_e64 s0, s31, v179
	s_wait_alu 0xf1ff
	v_cndmask_b32_e64 v116, 0, v116, s0
	s_wait_alu 0xfffe
	s_or_b32 exec_lo, exec_lo, s1
	global_load_b128 v[117:120], v[101:102], off offset:13824
	s_and_saveexec_b32 s24, vcc_lo
	s_cbranch_execz .LBB35_71
.LBB35_104:                             ;   in Loop: Header=BB35_42 Depth=1
	v_cmp_gt_i32_e64 s0, s31, v178
	v_cmp_gt_i32_e64 s1, s31, v181
	;; [unrolled: 1-line block ×4, first 2 shown]
	s_wait_loadcnt 0x0
	s_wait_alu 0xf1ff
	v_cndmask_b32_e64 v117, 0, v117, s0
	v_cndmask_b32_e64 v118, 0, v118, s1
	;; [unrolled: 1-line block ×4, first 2 shown]
	s_or_b32 exec_lo, exec_lo, s24
	global_load_b128 v[121:124], v[101:102], off offset:14336
	s_and_saveexec_b32 s1, vcc_lo
	s_cbranch_execz .LBB35_72
.LBB35_105:                             ;   in Loop: Header=BB35_42 Depth=1
	v_cmp_gt_i32_e64 s0, s31, v178
	s_wait_loadcnt 0x0
	s_wait_alu 0xf1ff
	s_delay_alu instid0(VALU_DEP_1) | instskip(SKIP_2) | instid1(VALU_DEP_1)
	v_cndmask_b32_e64 v121, 0, v121, s0
	v_cmp_gt_i32_e64 s0, s31, v181
	s_wait_alu 0xf1ff
	v_cndmask_b32_e64 v122, 0, v122, s0
	v_cmp_gt_i32_e64 s0, s31, v180
	s_wait_alu 0xf1ff
	s_delay_alu instid0(VALU_DEP_1) | instskip(SKIP_2) | instid1(VALU_DEP_1)
	v_cndmask_b32_e64 v123, 0, v123, s0
	v_cmp_gt_i32_e64 s0, s31, v179
	s_wait_alu 0xf1ff
	v_cndmask_b32_e64 v124, 0, v124, s0
	s_wait_alu 0xfffe
	s_or_b32 exec_lo, exec_lo, s1
	global_load_b128 v[125:128], v[101:102], off offset:14848
	s_and_saveexec_b32 s1, vcc_lo
	s_cbranch_execz .LBB35_73
.LBB35_106:                             ;   in Loop: Header=BB35_42 Depth=1
	v_cmp_gt_i32_e64 s0, s31, v178
	s_wait_loadcnt 0x0
	s_wait_alu 0xf1ff
	s_delay_alu instid0(VALU_DEP_1) | instskip(SKIP_2) | instid1(VALU_DEP_1)
	v_cndmask_b32_e64 v125, 0, v125, s0
	v_cmp_gt_i32_e64 s0, s31, v181
	s_wait_alu 0xf1ff
	v_cndmask_b32_e64 v126, 0, v126, s0
	v_cmp_gt_i32_e64 s0, s31, v180
	s_wait_alu 0xf1ff
	s_delay_alu instid0(VALU_DEP_1) | instskip(SKIP_2) | instid1(VALU_DEP_1)
	v_cndmask_b32_e64 v127, 0, v127, s0
	v_cmp_gt_i32_e64 s0, s31, v179
	s_wait_alu 0xf1ff
	v_cndmask_b32_e64 v128, 0, v128, s0
	s_wait_alu 0xfffe
	s_or_b32 exec_lo, exec_lo, s1
	global_load_b128 v[129:132], v[101:102], off offset:15360
	s_and_saveexec_b32 s1, vcc_lo
	s_cbranch_execnz .LBB35_74
	s_branch .LBB35_75
.LBB35_107:
	s_or_b32 exec_lo, exec_lo, s19
.LBB35_108:
	s_wait_alu 0xfffe
	s_or_b32 exec_lo, exec_lo, s6
	ds_bpermute_b32 v1, v139, v172
	ds_bpermute_b32 v2, v139, v173
	;; [unrolled: 1-line block ×20, first 2 shown]
	s_wait_dscnt 0x12
	v_dual_add_f32 v1, v172, v1 :: v_dual_add_f32 v2, v173, v2
	s_wait_dscnt 0x10
	v_dual_add_f32 v5, v169, v5 :: v_dual_add_f32 v6, v168, v6
	s_wait_dscnt 0xf
	v_add_f32_e32 v7, v167, v7
	s_wait_dscnt 0xd
	v_dual_add_f32 v3, v171, v3 :: v_dual_add_f32 v8, v166, v8
	s_wait_dscnt 0xc
	v_add_f32_e32 v9, v165, v9
	ds_bpermute_b32 v14, v140, v1
	ds_bpermute_b32 v15, v140, v2
	;; [unrolled: 1-line block ×5, first 2 shown]
	s_wait_dscnt 0x10
	v_add_f32_e32 v4, v170, v4
	ds_bpermute_b32 v16, v140, v3
	s_wait_dscnt 0x10
	v_add_f32_e32 v10, v164, v10
	ds_bpermute_b32 v22, v140, v9
	s_wait_dscnt 0xf
	v_dual_add_f32 v11, v163, v11 :: v_dual_add_f32 v12, v162, v12
	ds_bpermute_b32 v21, v140, v8
	ds_bpermute_b32 v17, v140, v4
	;; [unrolled: 1-line block ×5, first 2 shown]
	s_wait_dscnt 0x11
	v_add_f32_e32 v13, v161, v13
	ds_bpermute_b32 v38, v139, v143
	ds_bpermute_b32 v39, v139, v142
	s_mov_b32 s0, exec_lo
	s_wait_dscnt 0xc
	v_dual_add_f32 v1, v1, v14 :: v_dual_add_f32 v2, v2, v15
	s_wait_dscnt 0xa
	v_dual_add_f32 v5, v5, v18 :: v_dual_add_f32 v6, v6, v19
	s_wait_dscnt 0x9
	v_add_f32_e32 v7, v7, v20
	ds_bpermute_b32 v14, v139, v157
	ds_bpermute_b32 v15, v139, v156
	v_add_f32_e32 v19, v159, v27
	ds_bpermute_b32 v20, v139, v154
	ds_bpermute_b32 v27, v139, v151
	s_wait_dscnt 0xc
	v_add_f32_e32 v3, v3, v16
	ds_bpermute_b32 v16, v139, v155
	s_wait_dscnt 0xc
	v_add_f32_e32 v9, v9, v22
	ds_bpermute_b32 v22, v139, v153
	s_wait_dscnt 0x9
	v_dual_add_f32 v11, v11, v24 :: v_dual_add_f32 v18, v160, v26
	v_add_f32_e32 v8, v8, v21
	v_add_f32_e32 v10, v10, v23
	s_wait_dscnt 0x8
	v_dual_add_f32 v12, v12, v25 :: v_dual_add_f32 v21, v158, v28
	ds_bpermute_b32 v23, v140, v18
	ds_bpermute_b32 v24, v139, v152
	v_add_f32_e32 v4, v4, v17
	ds_bpermute_b32 v17, v140, v13
	s_wait_dscnt 0x8
	v_dual_add_f32 v39, v142, v39 :: v_dual_add_f32 v28, v157, v14
	s_wait_dscnt 0x7
	v_add_f32_e32 v29, v156, v15
	ds_bpermute_b32 v15, v139, v149
	s_wait_dscnt 0x6
	v_dual_add_f32 v20, v154, v20 :: v_dual_add_f32 v27, v151, v27
	ds_bpermute_b32 v25, v140, v19
	ds_bpermute_b32 v14, v139, v150
	s_wait_dscnt 0x7
	v_add_f32_e32 v30, v155, v16
	ds_bpermute_b32 v16, v139, v148
	s_wait_dscnt 0x7
	v_add_f32_e32 v22, v153, v22
	ds_bpermute_b32 v45, v140, v27
	ds_bpermute_b32 v26, v140, v21
	;; [unrolled: 1-line block ×5, first 2 shown]
	v_add_f32_e32 v34, v146, v34
	s_wait_dscnt 0xa
	v_add_f32_e32 v24, v152, v24
	v_add_f32_e32 v32, v147, v32
	v_dual_add_f32 v36, v145, v36 :: v_dual_add_f32 v37, v144, v37
	v_add_f32_e32 v38, v143, v38
	ds_bpermute_b32 v33, v140, v29
	s_wait_dscnt 0x9
	v_add_f32_e32 v44, v149, v15
	ds_bpermute_b32 v40, v140, v20
	ds_bpermute_b32 v43, v140, v24
	s_wait_dscnt 0x9
	v_dual_add_f32 v15, v19, v25 :: v_dual_add_f32 v42, v150, v14
	ds_bpermute_b32 v48, v140, v44
	s_wait_dscnt 0x9
	v_dual_add_f32 v46, v148, v16 :: v_dual_add_f32 v13, v13, v17
	s_wait_dscnt 0x8
	v_dual_add_f32 v14, v18, v23 :: v_dual_add_f32 v23, v27, v45
	ds_bpermute_b32 v51, v140, v34
	ds_bpermute_b32 v47, v140, v42
	;; [unrolled: 1-line block ×5, first 2 shown]
	s_wait_dscnt 0xb
	v_add_f32_e32 v17, v28, v31
	ds_bpermute_b32 v50, v140, v32
	s_wait_dscnt 0xb
	v_add_f32_e32 v19, v30, v35
	ds_bpermute_b32 v52, v140, v36
	s_wait_dscnt 0xb
	v_dual_add_f32 v16, v21, v26 :: v_dual_add_f32 v21, v22, v41
	ds_bpermute_b32 v54, v140, v38
	s_wait_dscnt 0xb
	v_add_f32_e32 v18, v29, v33
	s_wait_dscnt 0xa
	v_add_f32_e32 v20, v20, v40
	;; [unrolled: 2-line block ×4, first 2 shown]
	v_lshrrev_b32_e32 v33, 2, v138
	v_lshlrev_b32_e32 v35, 10, v135
	s_wait_storecnt 0x0
	s_wait_loadcnt_dscnt 0x0
	s_barrier_signal -1
	v_add_f32_e32 v28, v34, v51
	v_and_b32_e32 v34, 28, v138
	v_add_f32_e32 v24, v42, v47
	v_add_f32_e32 v26, v46, v49
	;; [unrolled: 1-line block ×3, first 2 shown]
	s_barrier_wait -1
	v_dual_add_f32 v27, v32, v50 :: v_dual_add_f32 v32, v39, v55
	v_add_f32_e32 v29, v36, v52
	v_and_b32_e32 v36, 0x3c3, v0
	v_add_nc_u32_e32 v34, 0x420, v34
	v_add_f32_e32 v31, v38, v54
	global_inv scope:SCOPE_SE
	v_cmpx_eq_u32_e32 64, v36
	s_cbranch_execz .LBB35_110
; %bb.109:
	v_add_nc_u32_e32 v36, v34, v35
	s_delay_alu instid0(VALU_DEP_1)
	v_add_nc_u32_e32 v37, 0xfffff800, v36
	v_add_nc_u32_e32 v38, 0xfffff820, v36
	v_add_nc_u32_e32 v39, 0xfffff840, v36
	v_add_nc_u32_e32 v40, 0xfffff860, v36
	v_add_nc_u32_e32 v41, 0xfffff880, v36
	v_add_nc_u32_e32 v42, 0xfffff8a0, v36
	v_add_nc_u32_e32 v43, 0xfffff8c0, v36
	v_add_nc_u32_e32 v44, 0xfffff8e0, v36
	ds_store_b32 v37, v1
	ds_store_b32 v38, v2
	ds_store_b32 v39, v3
	ds_store_b32 v40, v4
	ds_store_b32 v41, v5
	ds_store_b32 v42, v6
	ds_store_b32 v43, v7
	ds_store_b32 v44, v8
	v_add_nc_u32_e32 v37, 0xfffff900, v36
	v_add_nc_u32_e32 v38, 0xfffff920, v36
	v_add_nc_u32_e32 v39, 0xfffff940, v36
	v_add_nc_u32_e32 v40, 0xfffff960, v36
	v_add_nc_u32_e32 v41, 0xfffff980, v36
	v_add_nc_u32_e32 v42, 0xfffff9a0, v36
	v_add_nc_u32_e32 v43, 0xfffff9c0, v36
	v_add_nc_u32_e32 v44, 0xfffff9e0, v36
	ds_store_b32 v37, v9
	ds_store_b32 v38, v10
	ds_store_b32 v39, v11
	ds_store_b32 v40, v12
	ds_store_b32 v41, v13
	ds_store_b32 v42, v14
	ds_store_b32 v43, v15
	ds_store_b32 v44, v16
	;; [unrolled: 16-line block ×4, first 2 shown]
.LBB35_110:
	s_wait_alu 0xfffe
	s_or_b32 exec_lo, exec_lo, s0
	v_lshlrev_b32_e32 v33, 2, v33
	s_mov_b32 s1, exec_lo
	v_cmp_eq_u32_e32 vcc_lo, 0, v141
	s_wait_loadcnt_dscnt 0x0
	s_barrier_signal -1
	v_add3_u32 v33, 0x420, v35, v33
	s_barrier_wait -1
	global_inv scope:SCOPE_SE
	v_cmpx_gt_u32_e32 64, v0
	s_cbranch_execz .LBB35_145
; %bb.111:
	s_and_saveexec_b32 s0, vcc_lo
	s_cbranch_execnz .LBB35_185
; %bb.112:
	s_wait_alu 0xfffe
	s_or_b32 exec_lo, exec_lo, s0
	s_and_saveexec_b32 s0, vcc_lo
	s_cbranch_execnz .LBB35_186
.LBB35_113:
	s_wait_alu 0xfffe
	s_or_b32 exec_lo, exec_lo, s0
	s_and_saveexec_b32 s0, vcc_lo
	s_cbranch_execnz .LBB35_187
.LBB35_114:
	s_wait_alu 0xfffe
	s_or_b32 exec_lo, exec_lo, s0
	s_and_saveexec_b32 s0, vcc_lo
	s_cbranch_execnz .LBB35_188
.LBB35_115:
	s_wait_alu 0xfffe
	s_or_b32 exec_lo, exec_lo, s0
	s_and_saveexec_b32 s0, vcc_lo
	s_cbranch_execnz .LBB35_189
.LBB35_116:
	s_wait_alu 0xfffe
	s_or_b32 exec_lo, exec_lo, s0
	s_and_saveexec_b32 s0, vcc_lo
	s_cbranch_execnz .LBB35_190
.LBB35_117:
	s_wait_alu 0xfffe
	s_or_b32 exec_lo, exec_lo, s0
	s_and_saveexec_b32 s0, vcc_lo
	s_cbranch_execnz .LBB35_191
.LBB35_118:
	s_wait_alu 0xfffe
	s_or_b32 exec_lo, exec_lo, s0
	s_and_saveexec_b32 s0, vcc_lo
	s_cbranch_execnz .LBB35_192
.LBB35_119:
	s_wait_alu 0xfffe
	s_or_b32 exec_lo, exec_lo, s0
	s_and_saveexec_b32 s0, vcc_lo
	s_cbranch_execnz .LBB35_193
.LBB35_120:
	s_wait_alu 0xfffe
	s_or_b32 exec_lo, exec_lo, s0
	s_and_saveexec_b32 s0, vcc_lo
	s_cbranch_execnz .LBB35_194
.LBB35_121:
	s_wait_alu 0xfffe
	s_or_b32 exec_lo, exec_lo, s0
	s_and_saveexec_b32 s0, vcc_lo
	s_cbranch_execnz .LBB35_195
.LBB35_122:
	s_wait_alu 0xfffe
	s_or_b32 exec_lo, exec_lo, s0
	s_and_saveexec_b32 s0, vcc_lo
	s_cbranch_execnz .LBB35_196
.LBB35_123:
	s_wait_alu 0xfffe
	s_or_b32 exec_lo, exec_lo, s0
	s_and_saveexec_b32 s0, vcc_lo
	s_cbranch_execnz .LBB35_197
.LBB35_124:
	s_wait_alu 0xfffe
	s_or_b32 exec_lo, exec_lo, s0
	s_and_saveexec_b32 s0, vcc_lo
	s_cbranch_execnz .LBB35_198
.LBB35_125:
	s_wait_alu 0xfffe
	s_or_b32 exec_lo, exec_lo, s0
	s_and_saveexec_b32 s0, vcc_lo
	s_cbranch_execnz .LBB35_199
.LBB35_126:
	s_wait_alu 0xfffe
	s_or_b32 exec_lo, exec_lo, s0
	s_and_saveexec_b32 s0, vcc_lo
	s_cbranch_execnz .LBB35_200
.LBB35_127:
	s_wait_alu 0xfffe
	s_or_b32 exec_lo, exec_lo, s0
	s_and_saveexec_b32 s0, vcc_lo
	s_cbranch_execnz .LBB35_201
.LBB35_128:
	s_wait_alu 0xfffe
	s_or_b32 exec_lo, exec_lo, s0
	s_and_saveexec_b32 s0, vcc_lo
	s_cbranch_execnz .LBB35_202
.LBB35_129:
	s_wait_alu 0xfffe
	s_or_b32 exec_lo, exec_lo, s0
	s_and_saveexec_b32 s0, vcc_lo
	s_cbranch_execnz .LBB35_203
.LBB35_130:
	s_wait_alu 0xfffe
	s_or_b32 exec_lo, exec_lo, s0
	s_and_saveexec_b32 s0, vcc_lo
	s_cbranch_execnz .LBB35_204
.LBB35_131:
	s_wait_alu 0xfffe
	s_or_b32 exec_lo, exec_lo, s0
	s_and_saveexec_b32 s0, vcc_lo
	s_cbranch_execnz .LBB35_205
.LBB35_132:
	s_wait_alu 0xfffe
	s_or_b32 exec_lo, exec_lo, s0
	s_and_saveexec_b32 s0, vcc_lo
	s_cbranch_execnz .LBB35_206
.LBB35_133:
	s_wait_alu 0xfffe
	s_or_b32 exec_lo, exec_lo, s0
	s_and_saveexec_b32 s0, vcc_lo
	s_cbranch_execnz .LBB35_207
.LBB35_134:
	s_wait_alu 0xfffe
	s_or_b32 exec_lo, exec_lo, s0
	s_and_saveexec_b32 s0, vcc_lo
	s_cbranch_execnz .LBB35_208
.LBB35_135:
	s_wait_alu 0xfffe
	s_or_b32 exec_lo, exec_lo, s0
	s_and_saveexec_b32 s0, vcc_lo
	s_cbranch_execnz .LBB35_209
.LBB35_136:
	s_wait_alu 0xfffe
	s_or_b32 exec_lo, exec_lo, s0
	s_and_saveexec_b32 s0, vcc_lo
	s_cbranch_execnz .LBB35_210
.LBB35_137:
	s_wait_alu 0xfffe
	s_or_b32 exec_lo, exec_lo, s0
	s_and_saveexec_b32 s0, vcc_lo
	s_cbranch_execnz .LBB35_211
.LBB35_138:
	s_wait_alu 0xfffe
	s_or_b32 exec_lo, exec_lo, s0
	s_and_saveexec_b32 s0, vcc_lo
	s_cbranch_execnz .LBB35_212
.LBB35_139:
	s_wait_alu 0xfffe
	s_or_b32 exec_lo, exec_lo, s0
	s_and_saveexec_b32 s0, vcc_lo
	s_cbranch_execnz .LBB35_213
.LBB35_140:
	s_wait_alu 0xfffe
	s_or_b32 exec_lo, exec_lo, s0
	s_and_saveexec_b32 s0, vcc_lo
	s_cbranch_execnz .LBB35_214
.LBB35_141:
	s_wait_alu 0xfffe
	s_or_b32 exec_lo, exec_lo, s0
	s_and_saveexec_b32 s0, vcc_lo
	s_cbranch_execnz .LBB35_215
.LBB35_142:
	s_wait_alu 0xfffe
	s_or_b32 exec_lo, exec_lo, s0
	s_and_saveexec_b32 s0, vcc_lo
	s_cbranch_execz .LBB35_144
.LBB35_143:
	ds_load_b32 v35, v33 offset:992
	s_wait_dscnt 0x0
	v_add_f32_e32 v32, v32, v35
.LBB35_144:
	s_wait_alu 0xfffe
	s_or_b32 exec_lo, exec_lo, s0
.LBB35_145:
	s_wait_alu 0xfffe
	s_or_b32 exec_lo, exec_lo, s1
	v_and_b32_e32 v35, 0x3e3, v0
	s_mov_b32 s1, exec_lo
	s_wait_loadcnt 0x0
	s_barrier_signal -1
	s_barrier_wait -1
	global_inv scope:SCOPE_SE
	v_cmpx_eq_u32_e32 32, v35
	s_cbranch_execz .LBB35_147
; %bb.146:
	ds_store_2addr_b32 v34, v1, v2 offset1:8
	ds_store_2addr_b32 v34, v3, v4 offset0:16 offset1:24
	ds_store_2addr_b32 v34, v5, v6 offset0:32 offset1:40
	;; [unrolled: 1-line block ×15, first 2 shown]
.LBB35_147:
	s_wait_alu 0xfffe
	s_or_b32 exec_lo, exec_lo, s1
	s_delay_alu instid0(SALU_CYCLE_1)
	s_mov_b32 s1, exec_lo
	s_wait_loadcnt_dscnt 0x0
	s_barrier_signal -1
	s_barrier_wait -1
	global_inv scope:SCOPE_SE
	v_cmpx_gt_u32_e32 32, v0
	s_cbranch_execz .LBB35_182
; %bb.148:
	s_and_saveexec_b32 s0, vcc_lo
	s_cbranch_execnz .LBB35_216
; %bb.149:
	s_wait_alu 0xfffe
	s_or_b32 exec_lo, exec_lo, s0
	s_and_saveexec_b32 s0, vcc_lo
	s_cbranch_execnz .LBB35_217
.LBB35_150:
	s_wait_alu 0xfffe
	s_or_b32 exec_lo, exec_lo, s0
	s_and_saveexec_b32 s0, vcc_lo
	s_cbranch_execnz .LBB35_218
.LBB35_151:
	s_wait_alu 0xfffe
	s_or_b32 exec_lo, exec_lo, s0
	s_and_saveexec_b32 s0, vcc_lo
	s_cbranch_execnz .LBB35_219
.LBB35_152:
	s_wait_alu 0xfffe
	s_or_b32 exec_lo, exec_lo, s0
	s_and_saveexec_b32 s0, vcc_lo
	s_cbranch_execnz .LBB35_220
.LBB35_153:
	s_wait_alu 0xfffe
	s_or_b32 exec_lo, exec_lo, s0
	s_and_saveexec_b32 s0, vcc_lo
	s_cbranch_execnz .LBB35_221
.LBB35_154:
	s_wait_alu 0xfffe
	s_or_b32 exec_lo, exec_lo, s0
	s_and_saveexec_b32 s0, vcc_lo
	s_cbranch_execnz .LBB35_222
.LBB35_155:
	s_wait_alu 0xfffe
	s_or_b32 exec_lo, exec_lo, s0
	s_and_saveexec_b32 s0, vcc_lo
	s_cbranch_execnz .LBB35_223
.LBB35_156:
	s_wait_alu 0xfffe
	s_or_b32 exec_lo, exec_lo, s0
	s_and_saveexec_b32 s0, vcc_lo
	s_cbranch_execnz .LBB35_224
.LBB35_157:
	s_wait_alu 0xfffe
	s_or_b32 exec_lo, exec_lo, s0
	s_and_saveexec_b32 s0, vcc_lo
	s_cbranch_execnz .LBB35_225
.LBB35_158:
	s_wait_alu 0xfffe
	s_or_b32 exec_lo, exec_lo, s0
	s_and_saveexec_b32 s0, vcc_lo
	s_cbranch_execnz .LBB35_226
.LBB35_159:
	s_wait_alu 0xfffe
	s_or_b32 exec_lo, exec_lo, s0
	s_and_saveexec_b32 s0, vcc_lo
	s_cbranch_execnz .LBB35_227
.LBB35_160:
	s_wait_alu 0xfffe
	s_or_b32 exec_lo, exec_lo, s0
	s_and_saveexec_b32 s0, vcc_lo
	s_cbranch_execnz .LBB35_228
.LBB35_161:
	s_wait_alu 0xfffe
	s_or_b32 exec_lo, exec_lo, s0
	s_and_saveexec_b32 s0, vcc_lo
	s_cbranch_execnz .LBB35_229
.LBB35_162:
	s_wait_alu 0xfffe
	s_or_b32 exec_lo, exec_lo, s0
	s_and_saveexec_b32 s0, vcc_lo
	s_cbranch_execnz .LBB35_230
.LBB35_163:
	s_wait_alu 0xfffe
	s_or_b32 exec_lo, exec_lo, s0
	s_and_saveexec_b32 s0, vcc_lo
	s_cbranch_execnz .LBB35_231
.LBB35_164:
	s_wait_alu 0xfffe
	s_or_b32 exec_lo, exec_lo, s0
	s_and_saveexec_b32 s0, vcc_lo
	s_cbranch_execnz .LBB35_232
.LBB35_165:
	s_wait_alu 0xfffe
	s_or_b32 exec_lo, exec_lo, s0
	s_and_saveexec_b32 s0, vcc_lo
	s_cbranch_execnz .LBB35_233
.LBB35_166:
	s_wait_alu 0xfffe
	s_or_b32 exec_lo, exec_lo, s0
	s_and_saveexec_b32 s0, vcc_lo
	s_cbranch_execnz .LBB35_234
.LBB35_167:
	s_wait_alu 0xfffe
	s_or_b32 exec_lo, exec_lo, s0
	s_and_saveexec_b32 s0, vcc_lo
	s_cbranch_execnz .LBB35_235
.LBB35_168:
	s_wait_alu 0xfffe
	s_or_b32 exec_lo, exec_lo, s0
	s_and_saveexec_b32 s0, vcc_lo
	s_cbranch_execnz .LBB35_236
.LBB35_169:
	s_wait_alu 0xfffe
	s_or_b32 exec_lo, exec_lo, s0
	s_and_saveexec_b32 s0, vcc_lo
	s_cbranch_execnz .LBB35_237
.LBB35_170:
	s_wait_alu 0xfffe
	s_or_b32 exec_lo, exec_lo, s0
	s_and_saveexec_b32 s0, vcc_lo
	s_cbranch_execnz .LBB35_238
.LBB35_171:
	s_wait_alu 0xfffe
	s_or_b32 exec_lo, exec_lo, s0
	s_and_saveexec_b32 s0, vcc_lo
	s_cbranch_execnz .LBB35_239
.LBB35_172:
	s_wait_alu 0xfffe
	s_or_b32 exec_lo, exec_lo, s0
	s_and_saveexec_b32 s0, vcc_lo
	s_cbranch_execnz .LBB35_240
.LBB35_173:
	s_wait_alu 0xfffe
	s_or_b32 exec_lo, exec_lo, s0
	s_and_saveexec_b32 s0, vcc_lo
	s_cbranch_execnz .LBB35_241
.LBB35_174:
	s_wait_alu 0xfffe
	s_or_b32 exec_lo, exec_lo, s0
	s_and_saveexec_b32 s0, vcc_lo
	s_cbranch_execnz .LBB35_242
.LBB35_175:
	s_wait_alu 0xfffe
	s_or_b32 exec_lo, exec_lo, s0
	s_and_saveexec_b32 s0, vcc_lo
	s_cbranch_execnz .LBB35_243
.LBB35_176:
	s_wait_alu 0xfffe
	s_or_b32 exec_lo, exec_lo, s0
	s_and_saveexec_b32 s0, vcc_lo
	s_cbranch_execnz .LBB35_244
.LBB35_177:
	s_wait_alu 0xfffe
	s_or_b32 exec_lo, exec_lo, s0
	s_and_saveexec_b32 s0, vcc_lo
	s_cbranch_execnz .LBB35_245
.LBB35_178:
	s_wait_alu 0xfffe
	s_or_b32 exec_lo, exec_lo, s0
	s_and_saveexec_b32 s0, vcc_lo
	s_cbranch_execnz .LBB35_246
.LBB35_179:
	s_wait_alu 0xfffe
	s_or_b32 exec_lo, exec_lo, s0
	s_and_saveexec_b32 s0, vcc_lo
	s_cbranch_execz .LBB35_181
.LBB35_180:
	ds_load_b32 v33, v33 offset:992
	s_wait_dscnt 0x0
	v_add_f32_e32 v32, v32, v33
.LBB35_181:
	s_wait_alu 0xfffe
	s_or_b32 exec_lo, exec_lo, s0
.LBB35_182:
	s_wait_alu 0xfffe
	s_or_b32 exec_lo, exec_lo, s1
	s_mov_b32 s1, 0
	s_wait_loadcnt 0x0
	s_barrier_signal -1
	s_barrier_wait -1
	global_inv scope:SCOPE_SE
	s_mov_b32 s0, exec_lo
	v_cmpx_eq_u32_e32 0, v35
	s_cbranch_execz .LBB35_184
; %bb.183:
	s_lshl_b32 s2, s18, 8
	s_mul_i32 s4, s8, s16
	s_wait_alu 0xfffe
	s_ashr_i32 s3, s2, 31
	s_ashr_i32 s5, s4, 31
	s_wait_alu 0xfffe
	s_lshl_b64 s[2:3], s[2:3], 2
	s_lshl_b64 s[4:5], s[4:5], 2
	s_wait_alu 0xfffe
	s_add_nc_u64 s[2:3], s[14:15], s[2:3]
	s_lshl_b32 s0, s30, 10
	s_wait_alu 0xfffe
	s_add_nc_u64 s[2:3], s[2:3], s[4:5]
	s_wait_alu 0xfffe
	s_add_nc_u64 s[0:1], s[2:3], s[0:1]
	s_clause 0x1f
	global_store_b32 v0, v1, s[0:1]
	global_store_b32 v0, v2, s[0:1] offset:32
	global_store_b32 v0, v3, s[0:1] offset:64
	;; [unrolled: 1-line block ×31, first 2 shown]
.LBB35_184:
	s_nop 0
	s_sendmsg sendmsg(MSG_DEALLOC_VGPRS)
	s_endpgm
.LBB35_185:
	ds_load_b32 v35, v33
	s_wait_dscnt 0x0
	v_add_f32_e32 v1, v1, v35
	s_wait_alu 0xfffe
	s_or_b32 exec_lo, exec_lo, s0
	s_and_saveexec_b32 s0, vcc_lo
	s_cbranch_execz .LBB35_113
.LBB35_186:
	ds_load_b32 v35, v33 offset:32
	s_wait_dscnt 0x0
	v_add_f32_e32 v2, v2, v35
	s_wait_alu 0xfffe
	s_or_b32 exec_lo, exec_lo, s0
	s_and_saveexec_b32 s0, vcc_lo
	s_cbranch_execz .LBB35_114
.LBB35_187:
	ds_load_b32 v35, v33 offset:64
	s_wait_dscnt 0x0
	v_add_f32_e32 v3, v3, v35
	s_wait_alu 0xfffe
	s_or_b32 exec_lo, exec_lo, s0
	s_and_saveexec_b32 s0, vcc_lo
	s_cbranch_execz .LBB35_115
.LBB35_188:
	ds_load_b32 v35, v33 offset:96
	s_wait_dscnt 0x0
	v_add_f32_e32 v4, v4, v35
	s_wait_alu 0xfffe
	s_or_b32 exec_lo, exec_lo, s0
	s_and_saveexec_b32 s0, vcc_lo
	s_cbranch_execz .LBB35_116
.LBB35_189:
	ds_load_b32 v35, v33 offset:128
	s_wait_dscnt 0x0
	v_add_f32_e32 v5, v5, v35
	s_wait_alu 0xfffe
	s_or_b32 exec_lo, exec_lo, s0
	s_and_saveexec_b32 s0, vcc_lo
	s_cbranch_execz .LBB35_117
.LBB35_190:
	ds_load_b32 v35, v33 offset:160
	s_wait_dscnt 0x0
	v_add_f32_e32 v6, v6, v35
	s_wait_alu 0xfffe
	s_or_b32 exec_lo, exec_lo, s0
	s_and_saveexec_b32 s0, vcc_lo
	s_cbranch_execz .LBB35_118
.LBB35_191:
	ds_load_b32 v35, v33 offset:192
	s_wait_dscnt 0x0
	v_add_f32_e32 v7, v7, v35
	s_wait_alu 0xfffe
	s_or_b32 exec_lo, exec_lo, s0
	s_and_saveexec_b32 s0, vcc_lo
	s_cbranch_execz .LBB35_119
.LBB35_192:
	ds_load_b32 v35, v33 offset:224
	s_wait_dscnt 0x0
	v_add_f32_e32 v8, v8, v35
	s_wait_alu 0xfffe
	s_or_b32 exec_lo, exec_lo, s0
	s_and_saveexec_b32 s0, vcc_lo
	s_cbranch_execz .LBB35_120
.LBB35_193:
	ds_load_b32 v35, v33 offset:256
	s_wait_dscnt 0x0
	v_add_f32_e32 v9, v9, v35
	s_wait_alu 0xfffe
	s_or_b32 exec_lo, exec_lo, s0
	s_and_saveexec_b32 s0, vcc_lo
	s_cbranch_execz .LBB35_121
.LBB35_194:
	ds_load_b32 v35, v33 offset:288
	s_wait_dscnt 0x0
	v_add_f32_e32 v10, v10, v35
	s_wait_alu 0xfffe
	s_or_b32 exec_lo, exec_lo, s0
	s_and_saveexec_b32 s0, vcc_lo
	s_cbranch_execz .LBB35_122
.LBB35_195:
	ds_load_b32 v35, v33 offset:320
	s_wait_dscnt 0x0
	v_add_f32_e32 v11, v11, v35
	s_wait_alu 0xfffe
	s_or_b32 exec_lo, exec_lo, s0
	s_and_saveexec_b32 s0, vcc_lo
	s_cbranch_execz .LBB35_123
.LBB35_196:
	ds_load_b32 v35, v33 offset:352
	s_wait_dscnt 0x0
	v_add_f32_e32 v12, v12, v35
	s_wait_alu 0xfffe
	s_or_b32 exec_lo, exec_lo, s0
	s_and_saveexec_b32 s0, vcc_lo
	s_cbranch_execz .LBB35_124
.LBB35_197:
	ds_load_b32 v35, v33 offset:384
	s_wait_dscnt 0x0
	v_add_f32_e32 v13, v13, v35
	s_wait_alu 0xfffe
	s_or_b32 exec_lo, exec_lo, s0
	s_and_saveexec_b32 s0, vcc_lo
	s_cbranch_execz .LBB35_125
.LBB35_198:
	ds_load_b32 v35, v33 offset:416
	s_wait_dscnt 0x0
	v_add_f32_e32 v14, v14, v35
	s_wait_alu 0xfffe
	s_or_b32 exec_lo, exec_lo, s0
	s_and_saveexec_b32 s0, vcc_lo
	s_cbranch_execz .LBB35_126
.LBB35_199:
	ds_load_b32 v35, v33 offset:448
	s_wait_dscnt 0x0
	v_add_f32_e32 v15, v15, v35
	s_wait_alu 0xfffe
	s_or_b32 exec_lo, exec_lo, s0
	s_and_saveexec_b32 s0, vcc_lo
	s_cbranch_execz .LBB35_127
.LBB35_200:
	ds_load_b32 v35, v33 offset:480
	s_wait_dscnt 0x0
	v_add_f32_e32 v16, v16, v35
	s_wait_alu 0xfffe
	s_or_b32 exec_lo, exec_lo, s0
	s_and_saveexec_b32 s0, vcc_lo
	s_cbranch_execz .LBB35_128
.LBB35_201:
	ds_load_b32 v35, v33 offset:512
	s_wait_dscnt 0x0
	v_add_f32_e32 v17, v17, v35
	s_wait_alu 0xfffe
	s_or_b32 exec_lo, exec_lo, s0
	s_and_saveexec_b32 s0, vcc_lo
	s_cbranch_execz .LBB35_129
.LBB35_202:
	ds_load_b32 v35, v33 offset:544
	s_wait_dscnt 0x0
	v_add_f32_e32 v18, v18, v35
	s_wait_alu 0xfffe
	s_or_b32 exec_lo, exec_lo, s0
	s_and_saveexec_b32 s0, vcc_lo
	s_cbranch_execz .LBB35_130
.LBB35_203:
	ds_load_b32 v35, v33 offset:576
	s_wait_dscnt 0x0
	v_add_f32_e32 v19, v19, v35
	s_wait_alu 0xfffe
	s_or_b32 exec_lo, exec_lo, s0
	s_and_saveexec_b32 s0, vcc_lo
	s_cbranch_execz .LBB35_131
.LBB35_204:
	ds_load_b32 v35, v33 offset:608
	s_wait_dscnt 0x0
	v_add_f32_e32 v20, v20, v35
	s_wait_alu 0xfffe
	s_or_b32 exec_lo, exec_lo, s0
	s_and_saveexec_b32 s0, vcc_lo
	s_cbranch_execz .LBB35_132
.LBB35_205:
	ds_load_b32 v35, v33 offset:640
	s_wait_dscnt 0x0
	v_add_f32_e32 v21, v21, v35
	s_wait_alu 0xfffe
	s_or_b32 exec_lo, exec_lo, s0
	s_and_saveexec_b32 s0, vcc_lo
	s_cbranch_execz .LBB35_133
.LBB35_206:
	ds_load_b32 v35, v33 offset:672
	s_wait_dscnt 0x0
	v_add_f32_e32 v22, v22, v35
	s_wait_alu 0xfffe
	s_or_b32 exec_lo, exec_lo, s0
	s_and_saveexec_b32 s0, vcc_lo
	s_cbranch_execz .LBB35_134
.LBB35_207:
	ds_load_b32 v35, v33 offset:704
	s_wait_dscnt 0x0
	v_add_f32_e32 v23, v23, v35
	s_wait_alu 0xfffe
	s_or_b32 exec_lo, exec_lo, s0
	s_and_saveexec_b32 s0, vcc_lo
	s_cbranch_execz .LBB35_135
.LBB35_208:
	ds_load_b32 v35, v33 offset:736
	s_wait_dscnt 0x0
	v_add_f32_e32 v24, v24, v35
	s_wait_alu 0xfffe
	s_or_b32 exec_lo, exec_lo, s0
	s_and_saveexec_b32 s0, vcc_lo
	s_cbranch_execz .LBB35_136
.LBB35_209:
	ds_load_b32 v35, v33 offset:768
	s_wait_dscnt 0x0
	v_add_f32_e32 v25, v25, v35
	s_wait_alu 0xfffe
	s_or_b32 exec_lo, exec_lo, s0
	s_and_saveexec_b32 s0, vcc_lo
	s_cbranch_execz .LBB35_137
.LBB35_210:
	ds_load_b32 v35, v33 offset:800
	s_wait_dscnt 0x0
	v_add_f32_e32 v26, v26, v35
	s_wait_alu 0xfffe
	s_or_b32 exec_lo, exec_lo, s0
	s_and_saveexec_b32 s0, vcc_lo
	s_cbranch_execz .LBB35_138
.LBB35_211:
	ds_load_b32 v35, v33 offset:832
	s_wait_dscnt 0x0
	v_add_f32_e32 v27, v27, v35
	s_wait_alu 0xfffe
	s_or_b32 exec_lo, exec_lo, s0
	s_and_saveexec_b32 s0, vcc_lo
	s_cbranch_execz .LBB35_139
.LBB35_212:
	ds_load_b32 v35, v33 offset:864
	s_wait_dscnt 0x0
	v_add_f32_e32 v28, v28, v35
	s_wait_alu 0xfffe
	s_or_b32 exec_lo, exec_lo, s0
	s_and_saveexec_b32 s0, vcc_lo
	s_cbranch_execz .LBB35_140
.LBB35_213:
	ds_load_b32 v35, v33 offset:896
	s_wait_dscnt 0x0
	v_add_f32_e32 v29, v29, v35
	s_wait_alu 0xfffe
	s_or_b32 exec_lo, exec_lo, s0
	s_and_saveexec_b32 s0, vcc_lo
	s_cbranch_execz .LBB35_141
.LBB35_214:
	ds_load_b32 v35, v33 offset:928
	s_wait_dscnt 0x0
	v_add_f32_e32 v30, v30, v35
	s_wait_alu 0xfffe
	s_or_b32 exec_lo, exec_lo, s0
	s_and_saveexec_b32 s0, vcc_lo
	s_cbranch_execz .LBB35_142
.LBB35_215:
	ds_load_b32 v35, v33 offset:960
	s_wait_dscnt 0x0
	v_add_f32_e32 v31, v31, v35
	s_wait_alu 0xfffe
	s_or_b32 exec_lo, exec_lo, s0
	s_and_saveexec_b32 s0, vcc_lo
	s_cbranch_execnz .LBB35_143
	s_branch .LBB35_144
.LBB35_216:
	ds_load_b32 v34, v33
	s_wait_dscnt 0x0
	v_add_f32_e32 v1, v1, v34
	s_wait_alu 0xfffe
	s_or_b32 exec_lo, exec_lo, s0
	s_and_saveexec_b32 s0, vcc_lo
	s_cbranch_execz .LBB35_150
.LBB35_217:
	ds_load_b32 v34, v33 offset:32
	s_wait_dscnt 0x0
	v_add_f32_e32 v2, v2, v34
	s_wait_alu 0xfffe
	s_or_b32 exec_lo, exec_lo, s0
	s_and_saveexec_b32 s0, vcc_lo
	s_cbranch_execz .LBB35_151
.LBB35_218:
	ds_load_b32 v34, v33 offset:64
	s_wait_dscnt 0x0
	v_add_f32_e32 v3, v3, v34
	s_wait_alu 0xfffe
	s_or_b32 exec_lo, exec_lo, s0
	s_and_saveexec_b32 s0, vcc_lo
	s_cbranch_execz .LBB35_152
.LBB35_219:
	ds_load_b32 v34, v33 offset:96
	s_wait_dscnt 0x0
	v_add_f32_e32 v4, v4, v34
	s_wait_alu 0xfffe
	s_or_b32 exec_lo, exec_lo, s0
	s_and_saveexec_b32 s0, vcc_lo
	s_cbranch_execz .LBB35_153
.LBB35_220:
	ds_load_b32 v34, v33 offset:128
	s_wait_dscnt 0x0
	v_add_f32_e32 v5, v5, v34
	s_wait_alu 0xfffe
	s_or_b32 exec_lo, exec_lo, s0
	s_and_saveexec_b32 s0, vcc_lo
	s_cbranch_execz .LBB35_154
.LBB35_221:
	ds_load_b32 v34, v33 offset:160
	s_wait_dscnt 0x0
	v_add_f32_e32 v6, v6, v34
	s_wait_alu 0xfffe
	s_or_b32 exec_lo, exec_lo, s0
	s_and_saveexec_b32 s0, vcc_lo
	s_cbranch_execz .LBB35_155
.LBB35_222:
	ds_load_b32 v34, v33 offset:192
	s_wait_dscnt 0x0
	v_add_f32_e32 v7, v7, v34
	s_wait_alu 0xfffe
	s_or_b32 exec_lo, exec_lo, s0
	s_and_saveexec_b32 s0, vcc_lo
	s_cbranch_execz .LBB35_156
.LBB35_223:
	ds_load_b32 v34, v33 offset:224
	s_wait_dscnt 0x0
	v_add_f32_e32 v8, v8, v34
	s_wait_alu 0xfffe
	s_or_b32 exec_lo, exec_lo, s0
	s_and_saveexec_b32 s0, vcc_lo
	s_cbranch_execz .LBB35_157
.LBB35_224:
	ds_load_b32 v34, v33 offset:256
	s_wait_dscnt 0x0
	v_add_f32_e32 v9, v9, v34
	s_wait_alu 0xfffe
	s_or_b32 exec_lo, exec_lo, s0
	s_and_saveexec_b32 s0, vcc_lo
	s_cbranch_execz .LBB35_158
.LBB35_225:
	ds_load_b32 v34, v33 offset:288
	s_wait_dscnt 0x0
	v_add_f32_e32 v10, v10, v34
	s_wait_alu 0xfffe
	s_or_b32 exec_lo, exec_lo, s0
	s_and_saveexec_b32 s0, vcc_lo
	s_cbranch_execz .LBB35_159
.LBB35_226:
	ds_load_b32 v34, v33 offset:320
	s_wait_dscnt 0x0
	v_add_f32_e32 v11, v11, v34
	s_wait_alu 0xfffe
	s_or_b32 exec_lo, exec_lo, s0
	s_and_saveexec_b32 s0, vcc_lo
	s_cbranch_execz .LBB35_160
.LBB35_227:
	ds_load_b32 v34, v33 offset:352
	s_wait_dscnt 0x0
	v_add_f32_e32 v12, v12, v34
	s_wait_alu 0xfffe
	s_or_b32 exec_lo, exec_lo, s0
	s_and_saveexec_b32 s0, vcc_lo
	s_cbranch_execz .LBB35_161
.LBB35_228:
	ds_load_b32 v34, v33 offset:384
	s_wait_dscnt 0x0
	v_add_f32_e32 v13, v13, v34
	s_wait_alu 0xfffe
	s_or_b32 exec_lo, exec_lo, s0
	s_and_saveexec_b32 s0, vcc_lo
	s_cbranch_execz .LBB35_162
.LBB35_229:
	ds_load_b32 v34, v33 offset:416
	s_wait_dscnt 0x0
	v_add_f32_e32 v14, v14, v34
	s_wait_alu 0xfffe
	s_or_b32 exec_lo, exec_lo, s0
	s_and_saveexec_b32 s0, vcc_lo
	s_cbranch_execz .LBB35_163
.LBB35_230:
	ds_load_b32 v34, v33 offset:448
	s_wait_dscnt 0x0
	v_add_f32_e32 v15, v15, v34
	s_wait_alu 0xfffe
	s_or_b32 exec_lo, exec_lo, s0
	s_and_saveexec_b32 s0, vcc_lo
	s_cbranch_execz .LBB35_164
.LBB35_231:
	ds_load_b32 v34, v33 offset:480
	s_wait_dscnt 0x0
	v_add_f32_e32 v16, v16, v34
	s_wait_alu 0xfffe
	s_or_b32 exec_lo, exec_lo, s0
	s_and_saveexec_b32 s0, vcc_lo
	s_cbranch_execz .LBB35_165
.LBB35_232:
	ds_load_b32 v34, v33 offset:512
	s_wait_dscnt 0x0
	v_add_f32_e32 v17, v17, v34
	s_wait_alu 0xfffe
	s_or_b32 exec_lo, exec_lo, s0
	s_and_saveexec_b32 s0, vcc_lo
	s_cbranch_execz .LBB35_166
.LBB35_233:
	ds_load_b32 v34, v33 offset:544
	s_wait_dscnt 0x0
	v_add_f32_e32 v18, v18, v34
	s_wait_alu 0xfffe
	s_or_b32 exec_lo, exec_lo, s0
	s_and_saveexec_b32 s0, vcc_lo
	s_cbranch_execz .LBB35_167
.LBB35_234:
	ds_load_b32 v34, v33 offset:576
	s_wait_dscnt 0x0
	v_add_f32_e32 v19, v19, v34
	s_wait_alu 0xfffe
	s_or_b32 exec_lo, exec_lo, s0
	s_and_saveexec_b32 s0, vcc_lo
	s_cbranch_execz .LBB35_168
.LBB35_235:
	ds_load_b32 v34, v33 offset:608
	s_wait_dscnt 0x0
	v_add_f32_e32 v20, v20, v34
	s_wait_alu 0xfffe
	s_or_b32 exec_lo, exec_lo, s0
	s_and_saveexec_b32 s0, vcc_lo
	s_cbranch_execz .LBB35_169
.LBB35_236:
	ds_load_b32 v34, v33 offset:640
	s_wait_dscnt 0x0
	v_add_f32_e32 v21, v21, v34
	s_wait_alu 0xfffe
	s_or_b32 exec_lo, exec_lo, s0
	s_and_saveexec_b32 s0, vcc_lo
	s_cbranch_execz .LBB35_170
.LBB35_237:
	ds_load_b32 v34, v33 offset:672
	s_wait_dscnt 0x0
	v_add_f32_e32 v22, v22, v34
	s_wait_alu 0xfffe
	s_or_b32 exec_lo, exec_lo, s0
	s_and_saveexec_b32 s0, vcc_lo
	s_cbranch_execz .LBB35_171
.LBB35_238:
	ds_load_b32 v34, v33 offset:704
	s_wait_dscnt 0x0
	v_add_f32_e32 v23, v23, v34
	s_wait_alu 0xfffe
	s_or_b32 exec_lo, exec_lo, s0
	s_and_saveexec_b32 s0, vcc_lo
	s_cbranch_execz .LBB35_172
.LBB35_239:
	ds_load_b32 v34, v33 offset:736
	s_wait_dscnt 0x0
	v_add_f32_e32 v24, v24, v34
	s_wait_alu 0xfffe
	s_or_b32 exec_lo, exec_lo, s0
	s_and_saveexec_b32 s0, vcc_lo
	s_cbranch_execz .LBB35_173
.LBB35_240:
	ds_load_b32 v34, v33 offset:768
	s_wait_dscnt 0x0
	v_add_f32_e32 v25, v25, v34
	s_wait_alu 0xfffe
	s_or_b32 exec_lo, exec_lo, s0
	s_and_saveexec_b32 s0, vcc_lo
	s_cbranch_execz .LBB35_174
.LBB35_241:
	ds_load_b32 v34, v33 offset:800
	s_wait_dscnt 0x0
	v_add_f32_e32 v26, v26, v34
	s_wait_alu 0xfffe
	s_or_b32 exec_lo, exec_lo, s0
	s_and_saveexec_b32 s0, vcc_lo
	s_cbranch_execz .LBB35_175
.LBB35_242:
	ds_load_b32 v34, v33 offset:832
	s_wait_dscnt 0x0
	v_add_f32_e32 v27, v27, v34
	s_wait_alu 0xfffe
	s_or_b32 exec_lo, exec_lo, s0
	s_and_saveexec_b32 s0, vcc_lo
	s_cbranch_execz .LBB35_176
.LBB35_243:
	ds_load_b32 v34, v33 offset:864
	s_wait_dscnt 0x0
	v_add_f32_e32 v28, v28, v34
	s_wait_alu 0xfffe
	s_or_b32 exec_lo, exec_lo, s0
	s_and_saveexec_b32 s0, vcc_lo
	s_cbranch_execz .LBB35_177
.LBB35_244:
	ds_load_b32 v34, v33 offset:896
	s_wait_dscnt 0x0
	v_add_f32_e32 v29, v29, v34
	s_wait_alu 0xfffe
	s_or_b32 exec_lo, exec_lo, s0
	s_and_saveexec_b32 s0, vcc_lo
	s_cbranch_execz .LBB35_178
.LBB35_245:
	ds_load_b32 v34, v33 offset:928
	s_wait_dscnt 0x0
	v_add_f32_e32 v30, v30, v34
	s_wait_alu 0xfffe
	s_or_b32 exec_lo, exec_lo, s0
	s_and_saveexec_b32 s0, vcc_lo
	s_cbranch_execz .LBB35_179
.LBB35_246:
	ds_load_b32 v34, v33 offset:960
	s_wait_dscnt 0x0
	v_add_f32_e32 v31, v31, v34
	s_wait_alu 0xfffe
	s_or_b32 exec_lo, exec_lo, s0
	s_and_saveexec_b32 s0, vcc_lo
	s_cbranch_execnz .LBB35_180
	s_branch .LBB35_181
	.section	.rodata,"a",@progbits
	.p2align	6, 0x0
	.amdhsa_kernel _ZN4vllm25paged_attention_v2_kernelIffLi256ELi16ELi128ELNS_18Fp8KVCacheDataTypeE0ELb1ELi512EEEvPfS2_PT_PKS3_PKT0_S9_ifPKiSB_iPKfiiiSD_SD_iiiii
		.amdhsa_group_segment_fixed_size 1056
		.amdhsa_private_segment_fixed_size 0
		.amdhsa_kernarg_size 400
		.amdhsa_user_sgpr_count 2
		.amdhsa_user_sgpr_dispatch_ptr 0
		.amdhsa_user_sgpr_queue_ptr 0
		.amdhsa_user_sgpr_kernarg_segment_ptr 1
		.amdhsa_user_sgpr_dispatch_id 0
		.amdhsa_user_sgpr_private_segment_size 0
		.amdhsa_wavefront_size32 1
		.amdhsa_uses_dynamic_stack 0
		.amdhsa_enable_private_segment 0
		.amdhsa_system_sgpr_workgroup_id_x 1
		.amdhsa_system_sgpr_workgroup_id_y 1
		.amdhsa_system_sgpr_workgroup_id_z 1
		.amdhsa_system_sgpr_workgroup_info 0
		.amdhsa_system_vgpr_workitem_id 0
		.amdhsa_next_free_vgpr 182
		.amdhsa_next_free_sgpr 42
		.amdhsa_reserve_vcc 1
		.amdhsa_float_round_mode_32 0
		.amdhsa_float_round_mode_16_64 0
		.amdhsa_float_denorm_mode_32 3
		.amdhsa_float_denorm_mode_16_64 3
		.amdhsa_fp16_overflow 0
		.amdhsa_workgroup_processor_mode 1
		.amdhsa_memory_ordered 1
		.amdhsa_forward_progress 1
		.amdhsa_inst_pref_size 129
		.amdhsa_round_robin_scheduling 0
		.amdhsa_exception_fp_ieee_invalid_op 0
		.amdhsa_exception_fp_denorm_src 0
		.amdhsa_exception_fp_ieee_div_zero 0
		.amdhsa_exception_fp_ieee_overflow 0
		.amdhsa_exception_fp_ieee_underflow 0
		.amdhsa_exception_fp_ieee_inexact 0
		.amdhsa_exception_int_div_zero 0
	.end_amdhsa_kernel
	.section	.text._ZN4vllm25paged_attention_v2_kernelIffLi256ELi16ELi128ELNS_18Fp8KVCacheDataTypeE0ELb1ELi512EEEvPfS2_PT_PKS3_PKT0_S9_ifPKiSB_iPKfiiiSD_SD_iiiii,"axG",@progbits,_ZN4vllm25paged_attention_v2_kernelIffLi256ELi16ELi128ELNS_18Fp8KVCacheDataTypeE0ELb1ELi512EEEvPfS2_PT_PKS3_PKT0_S9_ifPKiSB_iPKfiiiSD_SD_iiiii,comdat
.Lfunc_end35:
	.size	_ZN4vllm25paged_attention_v2_kernelIffLi256ELi16ELi128ELNS_18Fp8KVCacheDataTypeE0ELb1ELi512EEEvPfS2_PT_PKS3_PKT0_S9_ifPKiSB_iPKfiiiSD_SD_iiiii, .Lfunc_end35-_ZN4vllm25paged_attention_v2_kernelIffLi256ELi16ELi128ELNS_18Fp8KVCacheDataTypeE0ELb1ELi512EEEvPfS2_PT_PKS3_PKT0_S9_ifPKiSB_iPKfiiiSD_SD_iiiii
                                        ; -- End function
	.set _ZN4vllm25paged_attention_v2_kernelIffLi256ELi16ELi128ELNS_18Fp8KVCacheDataTypeE0ELb1ELi512EEEvPfS2_PT_PKS3_PKT0_S9_ifPKiSB_iPKfiiiSD_SD_iiiii.num_vgpr, 182
	.set _ZN4vllm25paged_attention_v2_kernelIffLi256ELi16ELi128ELNS_18Fp8KVCacheDataTypeE0ELb1ELi512EEEvPfS2_PT_PKS3_PKT0_S9_ifPKiSB_iPKfiiiSD_SD_iiiii.num_agpr, 0
	.set _ZN4vllm25paged_attention_v2_kernelIffLi256ELi16ELi128ELNS_18Fp8KVCacheDataTypeE0ELb1ELi512EEEvPfS2_PT_PKS3_PKT0_S9_ifPKiSB_iPKfiiiSD_SD_iiiii.numbered_sgpr, 42
	.set _ZN4vllm25paged_attention_v2_kernelIffLi256ELi16ELi128ELNS_18Fp8KVCacheDataTypeE0ELb1ELi512EEEvPfS2_PT_PKS3_PKT0_S9_ifPKiSB_iPKfiiiSD_SD_iiiii.num_named_barrier, 0
	.set _ZN4vllm25paged_attention_v2_kernelIffLi256ELi16ELi128ELNS_18Fp8KVCacheDataTypeE0ELb1ELi512EEEvPfS2_PT_PKS3_PKT0_S9_ifPKiSB_iPKfiiiSD_SD_iiiii.private_seg_size, 0
	.set _ZN4vllm25paged_attention_v2_kernelIffLi256ELi16ELi128ELNS_18Fp8KVCacheDataTypeE0ELb1ELi512EEEvPfS2_PT_PKS3_PKT0_S9_ifPKiSB_iPKfiiiSD_SD_iiiii.uses_vcc, 1
	.set _ZN4vllm25paged_attention_v2_kernelIffLi256ELi16ELi128ELNS_18Fp8KVCacheDataTypeE0ELb1ELi512EEEvPfS2_PT_PKS3_PKT0_S9_ifPKiSB_iPKfiiiSD_SD_iiiii.uses_flat_scratch, 0
	.set _ZN4vllm25paged_attention_v2_kernelIffLi256ELi16ELi128ELNS_18Fp8KVCacheDataTypeE0ELb1ELi512EEEvPfS2_PT_PKS3_PKT0_S9_ifPKiSB_iPKfiiiSD_SD_iiiii.has_dyn_sized_stack, 0
	.set _ZN4vllm25paged_attention_v2_kernelIffLi256ELi16ELi128ELNS_18Fp8KVCacheDataTypeE0ELb1ELi512EEEvPfS2_PT_PKS3_PKT0_S9_ifPKiSB_iPKfiiiSD_SD_iiiii.has_recursion, 0
	.set _ZN4vllm25paged_attention_v2_kernelIffLi256ELi16ELi128ELNS_18Fp8KVCacheDataTypeE0ELb1ELi512EEEvPfS2_PT_PKS3_PKT0_S9_ifPKiSB_iPKfiiiSD_SD_iiiii.has_indirect_call, 0
	.section	.AMDGPU.csdata,"",@progbits
; Kernel info:
; codeLenInByte = 16424
; TotalNumSgprs: 44
; NumVgprs: 182
; ScratchSize: 0
; MemoryBound: 0
; FloatMode: 240
; IeeeMode: 1
; LDSByteSize: 1056 bytes/workgroup (compile time only)
; SGPRBlocks: 0
; VGPRBlocks: 22
; NumSGPRsForWavesPerEU: 44
; NumVGPRsForWavesPerEU: 182
; Occupancy: 8
; WaveLimiterHint : 1
; COMPUTE_PGM_RSRC2:SCRATCH_EN: 0
; COMPUTE_PGM_RSRC2:USER_SGPR: 2
; COMPUTE_PGM_RSRC2:TRAP_HANDLER: 0
; COMPUTE_PGM_RSRC2:TGID_X_EN: 1
; COMPUTE_PGM_RSRC2:TGID_Y_EN: 1
; COMPUTE_PGM_RSRC2:TGID_Z_EN: 1
; COMPUTE_PGM_RSRC2:TIDIG_COMP_CNT: 0
	.section	.text._ZN4vllm25paged_attention_v2_kernelIffLi32ELi16ELi128ELNS_18Fp8KVCacheDataTypeE0ELb0ELi512EEEvPfS2_PT_PKS3_PKT0_S9_ifPKiSB_iPKfiiiSD_SD_iiiii,"axG",@progbits,_ZN4vllm25paged_attention_v2_kernelIffLi32ELi16ELi128ELNS_18Fp8KVCacheDataTypeE0ELb0ELi512EEEvPfS2_PT_PKS3_PKT0_S9_ifPKiSB_iPKfiiiSD_SD_iiiii,comdat
	.protected	_ZN4vllm25paged_attention_v2_kernelIffLi32ELi16ELi128ELNS_18Fp8KVCacheDataTypeE0ELb0ELi512EEEvPfS2_PT_PKS3_PKT0_S9_ifPKiSB_iPKfiiiSD_SD_iiiii ; -- Begin function _ZN4vllm25paged_attention_v2_kernelIffLi32ELi16ELi128ELNS_18Fp8KVCacheDataTypeE0ELb0ELi512EEEvPfS2_PT_PKS3_PKT0_S9_ifPKiSB_iPKfiiiSD_SD_iiiii
	.globl	_ZN4vllm25paged_attention_v2_kernelIffLi32ELi16ELi128ELNS_18Fp8KVCacheDataTypeE0ELb0ELi512EEEvPfS2_PT_PKS3_PKT0_S9_ifPKiSB_iPKfiiiSD_SD_iiiii
	.p2align	8
	.type	_ZN4vllm25paged_attention_v2_kernelIffLi32ELi16ELi128ELNS_18Fp8KVCacheDataTypeE0ELb0ELi512EEEvPfS2_PT_PKS3_PKT0_S9_ifPKiSB_iPKfiiiSD_SD_iiiii,@function
_ZN4vllm25paged_attention_v2_kernelIffLi32ELi16ELi128ELNS_18Fp8KVCacheDataTypeE0ELb0ELi512EEEvPfS2_PT_PKS3_PKT0_S9_ifPKiSB_iPKfiiiSD_SD_iiiii: ; @_ZN4vllm25paged_attention_v2_kernelIffLi32ELi16ELi128ELNS_18Fp8KVCacheDataTypeE0ELb0ELi512EEEvPfS2_PT_PKS3_PKT0_S9_ifPKiSB_iPKfiiiSD_SD_iiiii
; %bb.0:
	s_load_b64 s[2:3], s[0:1], 0x40
	s_and_b32 s14, ttmp7, 0xffff
	s_lshr_b32 s27, ttmp7, 16
	s_lshl_b32 s4, s14, 2
	s_lshl_b32 s26, s27, 9
	s_wait_kmcnt 0x0
	s_load_b32 s24, s[2:3], s4 offset:0x0
	s_wait_kmcnt 0x0
	s_cmp_ge_i32 s26, s24
	s_cbranch_scc1 .LBB36_62
; %bb.1:
	s_clause 0x1
	s_load_b32 s15, s[0:1], 0x90
	s_load_b64 s[6:7], s[0:1], 0x30
	s_wait_kmcnt 0x0
	s_abs_i32 s5, s15
	s_abs_i32 s2, s6
	s_delay_alu instid0(SALU_CYCLE_1) | instskip(SKIP_1) | instid1(SALU_CYCLE_2)
	s_cvt_f32_u32 s3, s2
	s_sub_co_i32 s4, 0, s2
	v_rcp_iflag_f32_e32 v1, s3
	s_delay_alu instid0(TRANS32_DEP_1) | instskip(SKIP_2) | instid1(SALU_CYCLE_2)
	v_readfirstlane_b32 s3, v1
	s_mul_f32 s3, s3, 0x4f7ffffe
	s_wait_alu 0xfffe
	s_cvt_u32_f32 s3, s3
	s_wait_alu 0xfffe
	s_delay_alu instid0(SALU_CYCLE_2) | instskip(NEXT) | instid1(SALU_CYCLE_1)
	s_mul_i32 s4, s4, s3
	s_mul_hi_u32 s4, s3, s4
	s_delay_alu instid0(SALU_CYCLE_1)
	s_add_co_i32 s3, s3, s4
	s_xor_b32 s4, s15, s6
	s_wait_alu 0xfffe
	s_mul_hi_u32 s3, s5, s3
	s_ashr_i32 s4, s4, 31
	s_wait_alu 0xfffe
	s_mul_i32 s6, s3, s2
	s_delay_alu instid0(SALU_CYCLE_1)
	s_sub_co_i32 s5, s5, s6
	s_add_co_i32 s6, s3, 1
	s_sub_co_i32 s8, s5, s2
	s_cmp_ge_u32 s5, s2
	s_cselect_b32 s3, s6, s3
	s_cselect_b32 s5, s8, s5
	s_wait_alu 0xfffe
	s_add_co_i32 s6, s3, 1
	s_cmp_ge_u32 s5, s2
	s_load_b64 s[8:9], s[0:1], 0x50
	s_cselect_b32 s2, s6, s3
	s_mov_b32 s3, 0
	s_wait_alu 0xfffe
	s_xor_b32 s2, s2, s4
	s_mov_b32 s6, s3
	s_wait_alu 0xfffe
	s_sub_co_i32 s12, s2, s4
	s_delay_alu instid0(SALU_CYCLE_1) | instskip(NEXT) | instid1(SALU_CYCLE_1)
	s_abs_i32 s11, s12
	s_cvt_f32_u32 s2, s11
	s_wait_alu 0xfffe
	s_delay_alu instid0(SALU_CYCLE_2) | instskip(NEXT) | instid1(TRANS32_DEP_1)
	v_rcp_iflag_f32_e32 v1, s2
	v_readfirstlane_b32 s2, v1
	s_mul_f32 s2, s2, 0x4f7ffffe
	s_wait_alu 0xfffe
	s_delay_alu instid0(SALU_CYCLE_2) | instskip(SKIP_2) | instid1(SALU_CYCLE_1)
	s_cvt_u32_f32 s4, s2
	s_sub_co_i32 s2, 0, s11
	s_wait_alu 0xfffe
	s_mul_i32 s2, s2, s4
	s_wait_alu 0xfffe
	s_mul_hi_u32 s5, s4, s2
	s_abs_i32 s2, ttmp9
	s_add_co_i32 s4, s4, s5
	s_mov_b32 s5, s3
	s_wait_kmcnt 0x0
	s_cmp_eq_u64 s[8:9], 0
	s_cbranch_scc1 .LBB36_3
; %bb.2:
	s_mov_b32 s16, ttmp9
	s_ashr_i32 s17, ttmp9, 31
	s_delay_alu instid0(SALU_CYCLE_1) | instskip(NEXT) | instid1(SALU_CYCLE_1)
	s_lshl_b64 s[16:17], s[16:17], 2
	s_add_nc_u64 s[8:9], s[8:9], s[16:17]
	s_load_b32 s6, s[8:9], 0x0
.LBB36_3:
	s_load_b96 s[8:10], s[0:1], 0x58
	v_and_b32_e32 v17, 1, v0
	v_lshlrev_b32_e32 v1, 3, v0
	v_lshlrev_b32_e32 v19, 2, v0
	s_mul_u64 s[4:5], s[2:3], s[4:5]
	s_ashr_i32 s3, ttmp9, 31
	s_ashr_i32 s4, s12, 31
	s_lshl_b32 s12, ttmp9, 5
	s_mov_b32 s16, exec_lo
	v_cmpx_gt_u32_e32 16, v0
	s_cbranch_execz .LBB36_5
; %bb.4:
	s_load_b64 s[18:19], s[0:1], 0x18
	s_wait_kmcnt 0x0
	s_mul_i32 s20, s8, s14
	s_ashr_i32 s13, s12, 31
	s_ashr_i32 s21, s20, 31
	v_and_b32_e32 v4, 0xff8, v19
	s_lshl_b64 s[20:21], s[20:21], 2
	s_delay_alu instid0(VALU_DEP_1) | instskip(SKIP_2) | instid1(SALU_CYCLE_1)
	v_lshl_add_u32 v4, v17, 6, v4
	s_add_nc_u64 s[18:19], s[18:19], s[20:21]
	s_lshl_b64 s[20:21], s[12:13], 2
	s_add_nc_u64 s[18:19], s[18:19], s[20:21]
	global_load_b64 v[2:3], v1, s[18:19]
	s_wait_loadcnt 0x0
	ds_store_b64 v4, v[2:3]
.LBB36_5:
	s_or_b32 exec_lo, exec_lo, s16
	s_add_co_i32 s13, s24, 15
	s_wait_alu 0xfffe
	s_xor_b32 s3, s3, s4
	s_ashr_i32 s16, s13, 31
	s_wait_kmcnt 0x0
	s_lshl_b32 s8, s27, 5
	s_lshr_b32 s4, s16, 28
	s_mul_i32 s16, s5, s11
	s_add_co_i32 s13, s13, s4
	s_add_co_i32 s4, s8, 32
	s_ashr_i32 s28, s13, 4
	s_load_b32 s13, s[0:1], 0x48
	s_sub_co_i32 s2, s2, s16
	s_min_i32 s25, s4, s28
	s_add_co_i32 s4, s5, 1
	s_wait_alu 0xfffe
	s_sub_co_i32 s16, s2, s11
	s_cmp_ge_u32 s2, s11
	v_lshrrev_b32_e32 v23, 5, v0
	s_cselect_b32 s4, s4, s5
	s_cselect_b32 s2, s16, s2
	s_add_co_i32 s5, s4, 1
	s_wait_alu 0xfffe
	s_cmp_ge_u32 s2, s11
	v_or_b32_e32 v24, s8, v23
	s_cselect_b32 s2, s5, s4
	v_mbcnt_lo_u32_b32 v21, -1, 0
	s_wait_alu 0xfffe
	s_xor_b32 s2, s2, s3
	s_mov_b32 s4, exec_lo
	s_wait_alu 0xfffe
	s_sub_co_i32 s3, s2, s3
	v_cmp_gt_i32_e64 s2, s25, v24
	s_wait_dscnt 0x0
	s_barrier_signal -1
	s_wait_kmcnt 0x0
	s_mul_i32 s16, s13, s14
	s_barrier_wait -1
	s_ashr_i32 s17, s16, 31
	global_inv scope:SCOPE_SE
                                        ; implicit-def: $vgpr22
                                        ; implicit-def: $vgpr27
	v_cmpx_le_i32_e64 s25, v24
	s_xor_b32 s4, exec_lo, s4
; %bb.6:
	v_dual_mov_b32 v22, 0 :: v_dual_mov_b32 v27, 32
	v_mbcnt_lo_u32_b32 v21, -1, 0
                                        ; implicit-def: $vgpr1
                                        ; implicit-def: $vgpr17
; %bb.7:
	s_or_saveexec_b32 s11, s4
	s_clause 0x1
	s_load_b64 s[18:19], s[0:1], 0x38
	s_load_b32 s13, s[0:1], 0x98
	v_dual_mov_b32 v25, 0xff7fffff :: v_dual_lshlrev_b32 v20, 2, v24
	s_mul_i32 s20, s3, s10
	s_xor_b32 exec_lo, exec_lo, s11
	s_cbranch_execz .LBB36_13
; %bb.8:
	s_load_b64 s[4:5], s[0:1], 0x20
	v_xor_b32_e32 v26, 1, v21
	v_bfe_u32 v18, v0, 1, 4
	s_ashr_i32 s21, s20, 31
	v_dual_mov_b32 v22, 0 :: v_dual_and_b32 v25, 8, v1
	s_delay_alu instid0(VALU_DEP_3)
	v_cmp_gt_i32_e32 vcc_lo, 32, v26
	v_lshlrev_b32_e32 v13, 6, v17
	v_lshlrev_b32_e32 v28, 4, v18
	s_lshl_b64 s[22:23], s[20:21], 2
	s_cmp_neq_f32 s6, 0
	v_cndmask_b32_e32 v32, v21, v26, vcc_lo
	ds_load_b128 v[1:4], v13
	ds_load_b128 v[5:8], v13 offset:16
	ds_load_b128 v[9:12], v13 offset:32
	;; [unrolled: 1-line block ×3, first 2 shown]
	v_lshlrev_b32_e32 v31, 2, v18
	v_dual_mov_b32 v27, 32 :: v_dual_lshlrev_b32 v30, 4, v23
	s_mov_b32 s21, s9
	s_mov_b32 s10, 0
	s_delay_alu instid0(VALU_DEP_1) | instskip(SKIP_2) | instid1(SALU_CYCLE_1)
	v_add3_u32 v30, s26, v30, v18
	s_wait_kmcnt 0x0
	s_add_nc_u64 s[4:5], s[4:5], s[22:23]
	v_add_co_u32 v28, s3, s4, v28
	s_wait_alu 0xf1ff
	v_add_co_ci_u32_e64 v29, null, s5, 0, s3
	s_cselect_b32 s3, -1, 0
	v_add_co_u32 v26, vcc_lo, v28, v25
	s_lshl_b64 s[4:5], s[16:17], 2
	s_wait_alu 0xfffd
	v_add_co_ci_u32_e64 v28, null, 0, v29, vcc_lo
	v_dual_mov_b32 v32, v24 :: v_dual_lshlrev_b32 v29, 2, v32
	v_lshl_or_b32 v25, v23, 6, v31
	s_wait_alu 0xfffe
	s_add_nc_u64 s[4:5], s[18:19], s[4:5]
	v_cmp_eq_u32_e32 vcc_lo, 0, v17
	s_wait_alu 0xfffe
	v_add_co_u32 v17, s4, s4, v20
	v_add_nc_u32_e32 v31, 0xa0, v25
	s_wait_alu 0xf1ff
	v_add_co_ci_u32_e64 v18, null, s5, 0, s4
	v_mov_b32_e32 v25, 0xff7fffff
	s_sub_co_i32 s22, 1, s24
	s_branch .LBB36_10
.LBB36_9:                               ;   in Loop: Header=BB36_10 Depth=1
	s_wait_alu 0xfffe
	s_or_b32 exec_lo, exec_lo, s5
	v_add_nc_u32_e32 v32, 4, v32
	v_add_co_u32 v17, s5, v17, 16
	v_add_nc_u32_e32 v30, 64, v30
	v_add_nc_u32_e32 v31, 0x100, v31
	s_delay_alu instid0(VALU_DEP_4) | instskip(SKIP_3) | instid1(SALU_CYCLE_1)
	v_cmp_le_i32_e64 s4, s25, v32
	s_wait_alu 0xf1ff
	v_add_co_ci_u32_e64 v18, null, 0, v18, s5
	s_or_b32 s10, s4, s10
	s_and_not1_b32 exec_lo, exec_lo, s10
	s_cbranch_execz .LBB36_12
.LBB36_10:                              ; =>This Inner Loop Header: Depth=1
	global_load_b32 v33, v[17:18], off
	s_wait_loadcnt_dscnt 0x0
	v_mad_co_i64_i32 v[33:34], null, v33, s21, 0
	s_delay_alu instid0(VALU_DEP_1) | instskip(NEXT) | instid1(VALU_DEP_1)
	v_lshlrev_b64_e32 v[33:34], 2, v[33:34]
	v_add_co_u32 v33, s4, v26, v33
	s_wait_alu 0xf1ff
	s_delay_alu instid0(VALU_DEP_2)
	v_add_co_ci_u32_e64 v34, null, v28, v34, s4
	s_clause 0x7
	global_load_b64 v[35:36], v[33:34], off offset:256
	global_load_b64 v[37:38], v[33:34], off
	global_load_b64 v[39:40], v[33:34], off offset:512
	global_load_b64 v[41:42], v[33:34], off offset:768
	;; [unrolled: 1-line block ×6, first 2 shown]
	s_wait_loadcnt_dscnt 0x703
	v_dual_mul_f32 v35, v3, v35 :: v_dual_mul_f32 v36, v4, v36
	s_wait_loadcnt 0x6
	s_delay_alu instid0(VALU_DEP_1) | instskip(SKIP_1) | instid1(VALU_DEP_1)
	v_dual_fmac_f32 v35, v1, v37 :: v_dual_fmac_f32 v36, v2, v38
	s_wait_loadcnt_dscnt 0x502
	v_dual_fmac_f32 v35, v5, v39 :: v_dual_fmac_f32 v36, v6, v40
	s_wait_loadcnt 0x4
	s_delay_alu instid0(VALU_DEP_1) | instskip(SKIP_1) | instid1(VALU_DEP_1)
	v_dual_fmac_f32 v35, v7, v41 :: v_dual_fmac_f32 v36, v8, v42
	s_wait_loadcnt_dscnt 0x301
	v_dual_fmac_f32 v35, v9, v43 :: v_dual_fmac_f32 v36, v10, v44
	;; [unrolled: 5-line block ×3, first 2 shown]
	s_wait_loadcnt 0x0
	s_delay_alu instid0(VALU_DEP_1) | instskip(NEXT) | instid1(VALU_DEP_1)
	v_dual_fmac_f32 v35, v15, v33 :: v_dual_fmac_f32 v36, v16, v34
	v_add_f32_e32 v33, v35, v36
	ds_bpermute_b32 v34, v29, v33
	s_and_saveexec_b32 s5, vcc_lo
	s_cbranch_execz .LBB36_9
; %bb.11:                               ;   in Loop: Header=BB36_10 Depth=1
	s_wait_dscnt 0x0
	v_add_f32_e32 v33, v33, v34
	v_add_nc_u32_e32 v35, s22, v30
	v_cmp_gt_i32_e64 s4, s24, v30
	s_delay_alu instid0(VALU_DEP_2) | instskip(NEXT) | instid1(VALU_DEP_1)
	v_cvt_f32_i32_e32 v35, v35
	v_mul_f32_e32 v35, s6, v35
	s_delay_alu instid0(VALU_DEP_1) | instskip(SKIP_1) | instid1(VALU_DEP_2)
	v_cndmask_b32_e64 v34, 0, v35, s3
	v_max_num_f32_e32 v35, v25, v25
	v_fmac_f32_e32 v34, s7, v33
	s_delay_alu instid0(VALU_DEP_1) | instskip(SKIP_2) | instid1(VALU_DEP_2)
	v_max_num_f32_e32 v33, v35, v34
	s_wait_alu 0xf1ff
	v_cndmask_b32_e64 v34, 0, v34, s4
	v_cndmask_b32_e64 v25, v25, v33, s4
	ds_store_b32 v31, v34
	s_branch .LBB36_9
.LBB36_12:
	s_or_b32 exec_lo, exec_lo, s10
.LBB36_13:
	s_delay_alu instid0(SALU_CYCLE_1)
	s_or_b32 exec_lo, exec_lo, s11
	v_xor_b32_e32 v1, 16, v21
	v_xor_b32_e32 v3, 8, v21
	v_max_num_f32_e32 v5, v25, v25
	v_xor_b32_e32 v6, 2, v21
	s_clause 0x2
	s_load_b128 s[4:7], s[0:1], 0x0
	s_load_b64 s[10:11], s[0:1], 0x10
	s_load_b64 s[22:23], s[0:1], 0x28
	v_cmp_lt_i32_e32 vcc_lo, v1, v27
	s_wait_alu 0xfffd
	v_cndmask_b32_e32 v1, v21, v1, vcc_lo
	v_cmp_lt_i32_e32 vcc_lo, v3, v27
	s_wait_alu 0xfffd
	v_cndmask_b32_e32 v3, v21, v3, vcc_lo
	s_delay_alu instid0(VALU_DEP_1)
	v_lshlrev_b32_e32 v4, 2, v3
	v_lshlrev_b32_e32 v2, 2, v1
	ds_bpermute_b32 v1, v2, v25
	v_and_b32_e32 v25, 31, v0
	s_wait_dscnt 0x0
	v_max_num_f32_e32 v1, v1, v1
	s_delay_alu instid0(VALU_DEP_1)
	v_max_num_f32_e32 v1, v5, v1
	v_xor_b32_e32 v5, 4, v21
	ds_bpermute_b32 v3, v4, v1
	v_cmp_lt_i32_e32 vcc_lo, v5, v27
	s_wait_alu 0xfffd
	v_cndmask_b32_e32 v5, v21, v5, vcc_lo
	v_cmp_lt_i32_e32 vcc_lo, v6, v27
	s_wait_alu 0xfffd
	s_delay_alu instid0(VALU_DEP_2) | instskip(SKIP_1) | instid1(VALU_DEP_2)
	v_dual_cndmask_b32 v6, v21, v6 :: v_dual_lshlrev_b32 v5, 2, v5
	v_cmp_eq_u32_e32 vcc_lo, 0, v25
	v_lshlrev_b32_e32 v26, 2, v6
	v_lshlrev_b32_e32 v6, 2, v23
	s_wait_dscnt 0x0
	v_max_num_f32_e32 v3, v3, v3
	s_delay_alu instid0(VALU_DEP_1) | instskip(SKIP_3) | instid1(VALU_DEP_1)
	v_max_num_f32_e32 v1, v1, v3
	ds_bpermute_b32 v3, v5, v1
	s_wait_dscnt 0x0
	v_max_num_f32_e32 v3, v3, v3
	v_max_num_f32_e32 v1, v1, v3
	ds_bpermute_b32 v3, v26, v1
	s_and_saveexec_b32 s0, vcc_lo
	s_cbranch_execz .LBB36_15
; %bb.14:
	s_wait_dscnt 0x0
	v_max_num_f32_e32 v3, v3, v3
	v_max_num_f32_e32 v1, v1, v1
	s_delay_alu instid0(VALU_DEP_1)
	v_max_num_f32_e32 v1, v1, v3
	ds_store_b32 v6, v1 offset:128
.LBB36_15:
	s_or_b32 exec_lo, exec_lo, s0
	v_cmp_gt_u32_e64 s0, 4, v25
	v_mov_b32_e32 v1, 0xff7fffff
	v_lshlrev_b32_e32 v7, 2, v25
	s_wait_loadcnt_dscnt 0x0
	s_barrier_signal -1
	s_barrier_wait -1
	global_inv scope:SCOPE_SE
	s_and_saveexec_b32 s1, s0
; %bb.16:
	ds_load_b32 v1, v7 offset:128
; %bb.17:
	s_or_b32 exec_lo, exec_lo, s1
	s_wait_dscnt 0x0
	ds_bpermute_b32 v3, v26, v1
	v_xor_b32_e32 v8, 1, v21
	v_max_num_f32_e32 v1, v1, v1
	s_delay_alu instid0(VALU_DEP_2) | instskip(NEXT) | instid1(VALU_DEP_1)
	v_cmp_lt_i32_e64 s1, v8, v27
	v_cndmask_b32_e64 v8, v21, v8, s1
	s_sub_co_i32 s1, s25, s8
	s_wait_alu 0xfffe
	s_lshl_b32 s1, s1, 4
	s_delay_alu instid0(VALU_DEP_1)
	v_dual_mov_b32 v8, 0 :: v_dual_lshlrev_b32 v27, 2, v8
	s_wait_alu 0xfffe
	s_add_co_i32 s1, s1, s26
	s_wait_alu 0xfffe
	s_min_i32 s1, s1, s24
	s_wait_dscnt 0x0
	v_max_num_f32_e32 v3, v3, v3
	s_wait_alu 0xfffe
	s_sub_co_i32 s21, s1, s26
	s_wait_alu 0xfffe
	v_cmp_gt_i32_e64 s1, s21, v0
	v_max_num_f32_e32 v1, v1, v3
	ds_bpermute_b32 v3, v27, v1
	s_wait_dscnt 0x0
	v_max_num_f32_e32 v3, v3, v3
	s_delay_alu instid0(VALU_DEP_1)
	v_max_num_f32_e32 v1, v1, v3
	v_lshlrev_b32_e32 v3, 2, v22
	ds_bpermute_b32 v1, v3, v1
	v_lshl_add_u32 v3, v0, 2, 0xa0
	s_and_saveexec_b32 s29, s1
	s_cbranch_execz .LBB36_21
; %bb.18:
	v_lshl_add_u32 v9, v0, 2, 0xa0
	v_mov_b32_e32 v8, 0
	v_mov_b32_e32 v10, v0
	s_mov_b32 s30, 0
.LBB36_19:                              ; =>This Inner Loop Header: Depth=1
	ds_load_b32 v11, v9
	v_add_nc_u32_e32 v10, 0x80, v10
	s_delay_alu instid0(VALU_DEP_1) | instskip(SKIP_3) | instid1(VALU_DEP_1)
	v_cmp_le_i32_e64 s3, s21, v10
	s_or_b32 s30, s3, s30
	s_wait_dscnt 0x0
	v_sub_f32_e32 v11, v11, v1
	v_mul_f32_e32 v11, 0x3fb8aa3b, v11
	s_delay_alu instid0(VALU_DEP_1)
	v_exp_f32_e32 v11, v11
	ds_store_b32 v9, v11
	v_dual_add_f32 v8, v8, v11 :: v_dual_add_nc_u32 v9, 0x200, v9
	s_and_not1_b32 exec_lo, exec_lo, s30
	s_cbranch_execnz .LBB36_19
; %bb.20:
	s_or_b32 exec_lo, exec_lo, s30
.LBB36_21:
	s_delay_alu instid0(SALU_CYCLE_1)
	s_or_b32 exec_lo, exec_lo, s29
	ds_bpermute_b32 v2, v2, v8
	s_wait_dscnt 0x0
	v_add_f32_e32 v2, v8, v2
	ds_bpermute_b32 v4, v4, v2
	s_wait_dscnt 0x0
	v_add_f32_e32 v2, v2, v4
	;; [unrolled: 3-line block ×5, first 2 shown]
	s_and_saveexec_b32 s3, vcc_lo
; %bb.22:
	ds_store_b32 v6, v2 offset:144
; %bb.23:
	s_wait_alu 0xfffe
	s_or_b32 exec_lo, exec_lo, s3
	s_wait_loadcnt_dscnt 0x0
	s_barrier_signal -1
	s_barrier_wait -1
	global_inv scope:SCOPE_SE
	s_and_saveexec_b32 s3, s0
; %bb.24:
	ds_load_b32 v2, v7 offset:144
; %bb.25:
	s_wait_alu 0xfffe
	s_or_b32 exec_lo, exec_lo, s3
	s_wait_dscnt 0x0
	ds_bpermute_b32 v4, v26, v2
	s_wait_dscnt 0x0
	v_dual_add_f32 v2, v2, v4 :: v_dual_lshlrev_b32 v5, 2, v21
	ds_bpermute_b32 v4, v27, v2
	s_wait_dscnt 0x0
	v_add_f32_e32 v2, v2, v4
	v_and_b32_e32 v4, 0xffffff80, v5
	ds_bpermute_b32 v2, v4, v2
	s_and_saveexec_b32 s0, s1
	s_cbranch_execz .LBB36_28
; %bb.26:
	s_wait_dscnt 0x0
	v_add_f32_e32 v4, 0x358637bd, v2
	s_mov_b32 s1, 0
	s_delay_alu instid0(VALU_DEP_1) | instskip(SKIP_1) | instid1(VALU_DEP_2)
	v_div_scale_f32 v5, null, v4, v4, 1.0
	v_div_scale_f32 v8, vcc_lo, 1.0, v4, 1.0
	v_rcp_f32_e32 v6, v5
	s_delay_alu instid0(TRANS32_DEP_1) | instskip(NEXT) | instid1(VALU_DEP_1)
	v_fma_f32 v7, -v5, v6, 1.0
	v_fmac_f32_e32 v6, v7, v6
	s_delay_alu instid0(VALU_DEP_1) | instskip(NEXT) | instid1(VALU_DEP_1)
	v_mul_f32_e32 v7, v8, v6
	v_fma_f32 v9, -v5, v7, v8
	s_delay_alu instid0(VALU_DEP_1) | instskip(NEXT) | instid1(VALU_DEP_1)
	v_fmac_f32_e32 v7, v9, v6
	v_fma_f32 v5, -v5, v7, v8
	s_wait_alu 0xfffd
	s_delay_alu instid0(VALU_DEP_1) | instskip(NEXT) | instid1(VALU_DEP_1)
	v_div_fmas_f32 v5, v5, v6, v7
	v_div_fixup_f32 v4, v5, v4, 1.0
	v_mov_b32_e32 v5, v0
.LBB36_27:                              ; =>This Inner Loop Header: Depth=1
	ds_load_b32 v6, v3
	s_wait_dscnt 0x0
	v_dual_mul_f32 v6, v4, v6 :: v_dual_add_nc_u32 v5, 0x80, v5
	s_delay_alu instid0(VALU_DEP_1)
	v_cmp_le_i32_e32 vcc_lo, s21, v5
	ds_store_b32 v3, v6
	v_add_nc_u32_e32 v3, 0x200, v3
	s_wait_alu 0xfffe
	s_or_b32 s1, vcc_lo, s1
	s_wait_alu 0xfffe
	s_and_not1_b32 exec_lo, exec_lo, s1
	s_cbranch_execnz .LBB36_27
.LBB36_28:
	s_wait_alu 0xfffe
	s_or_b32 exec_lo, exec_lo, s0
	s_wait_kmcnt 0x0
	s_mul_i32 s0, s13, s14
	s_wait_loadcnt_dscnt 0x0
	s_wait_alu 0xfffe
	s_mul_i32 s14, s0, s15
	s_mov_b32 s0, exec_lo
	s_barrier_signal -1
	s_barrier_wait -1
	global_inv scope:SCOPE_SE
	v_cmpx_eq_u32_e32 0, v0
	s_cbranch_execz .LBB36_30
; %bb.29:
	s_ashr_i32 s15, s14, 31
	s_wait_alu 0xfffe
	s_mul_i32 s30, s13, ttmp9
	s_lshl_b32 s1, s27, 2
	s_lshl_b64 s[34:35], s[14:15], 2
	s_ashr_i32 s31, s30, 31
	s_wait_alu 0xfffe
	v_mov_b32_e32 v3, s1
	s_add_nc_u64 s[6:7], s[6:7], s[34:35]
	s_lshl_b64 s[30:31], s[30:31], 2
	s_add_nc_u64 s[4:5], s[4:5], s[34:35]
	s_wait_alu 0xfffe
	s_add_nc_u64 s[6:7], s[6:7], s[30:31]
	s_add_nc_u64 s[4:5], s[4:5], s[30:31]
	s_clause 0x1
	global_store_b32 v3, v1, s[6:7]
	global_store_b32 v3, v2, s[4:5]
.LBB36_30:
	s_wait_alu 0xfffe
	s_or_b32 exec_lo, exec_lo, s0
	v_dual_mov_b32 v30, 0 :: v_dual_mov_b32 v31, 0
	v_dual_mov_b32 v29, 0 :: v_dual_and_b32 v28, 3, v0
	v_mov_b32_e32 v32, 0
	s_and_saveexec_b32 s1, s2
	s_cbranch_execz .LBB36_42
; %bb.31:
	v_dual_mov_b32 v32, 0 :: v_dual_lshlrev_b32 v1, 4, v0
	s_ashr_i32 s21, s20, 31
	v_dual_mov_b32 v30, 0 :: v_dual_lshlrev_b32 v3, 4, v28
	s_delay_alu instid0(VALU_DEP_2)
	v_and_b32_e32 v1, 0x1f0, v1
	s_wait_alu 0xfffe
	s_lshl_b64 s[2:3], s[20:21], 2
	v_dual_mov_b32 v29, 0 :: v_dual_and_b32 v2, 12, v19
	s_wait_alu 0xfffe
	s_add_nc_u64 s[2:3], s[22:23], s[2:3]
	v_lshl_add_u32 v4, v23, 4, s26
	s_wait_alu 0xfffe
	v_add_co_u32 v33, s0, s2, v1
	s_wait_alu 0xf1ff
	v_add_co_ci_u32_e64 v34, null, s3, 0, s0
	s_lshl_b64 s[2:3], s[16:17], 2
	v_lshl_or_b32 v3, v23, 6, v3
	s_wait_alu 0xfffe
	s_add_nc_u64 s[2:3], s[18:19], s[2:3]
	v_add3_u32 v35, v4, v2, 3
	s_wait_alu 0xfffe
	v_add_co_u32 v21, s0, s2, v20
	v_dual_mov_b32 v31, 0 :: v_dual_add_nc_u32 v36, 0xa0, v3
	s_wait_alu 0xf1ff
	v_add_co_ci_u32_e64 v22, null, s3, 0, s0
	s_mov_b32 s2, s9
	s_add_co_i32 s28, s28, -1
	s_mov_b32 s3, 0
	s_branch .LBB36_33
.LBB36_32:                              ;   in Loop: Header=BB36_33 Depth=1
	s_wait_alu 0xfffe
	s_or_b32 exec_lo, exec_lo, s0
	s_wait_loadcnt_dscnt 0x200
	v_dual_mul_f32 v9, v1, v9 :: v_dual_add_nc_u32 v36, 0x100, v36
	v_mul_f32_e32 v5, v1, v5
	s_wait_loadcnt 0x1
	v_dual_mul_f32 v13, v1, v13 :: v_dual_add_nc_u32 v24, 4, v24
	s_delay_alu instid0(VALU_DEP_3)
	v_fmac_f32_e32 v9, v2, v10
	s_wait_loadcnt 0x0
	v_mul_f32_e32 v1, v1, v17
	v_fmac_f32_e32 v5, v2, v6
	v_add_co_u32 v21, s0, v21, 16
	v_fmac_f32_e32 v9, v3, v11
	s_delay_alu instid0(VALU_DEP_4) | instskip(NEXT) | instid1(VALU_DEP_4)
	v_fmac_f32_e32 v1, v2, v18
	v_fmac_f32_e32 v5, v3, v7
	v_cmp_le_i32_e32 vcc_lo, s25, v24
	v_add_nc_u32_e32 v35, 64, v35
	v_fmac_f32_e32 v9, v4, v12
	v_fmac_f32_e32 v13, v2, v14
	;; [unrolled: 1-line block ×4, first 2 shown]
	s_wait_alu 0xf1ff
	v_add_co_ci_u32_e64 v22, null, 0, v22, s0
	v_dual_add_f32 v32, v32, v9 :: v_dual_fmac_f32 v13, v3, v15
	s_delay_alu instid0(VALU_DEP_3) | instskip(SKIP_1) | instid1(VALU_DEP_2)
	v_dual_add_f32 v30, v30, v5 :: v_dual_fmac_f32 v1, v4, v20
	s_or_b32 s3, vcc_lo, s3
	v_fmac_f32_e32 v13, v4, v16
	s_delay_alu instid0(VALU_DEP_2) | instskip(NEXT) | instid1(VALU_DEP_2)
	v_add_f32_e32 v29, v29, v1
	v_add_f32_e32 v31, v31, v13
	s_wait_alu 0xfffe
	s_and_not1_b32 exec_lo, exec_lo, s3
	s_cbranch_execz .LBB36_41
.LBB36_33:                              ; =>This Inner Loop Header: Depth=1
	global_load_b32 v1, v[21:22], off
	v_add_nc_u32_e32 v37, -3, v35
	v_add_nc_u32_e32 v39, -2, v35
	;; [unrolled: 1-line block ×3, first 2 shown]
	s_wait_loadcnt 0x0
	s_wait_alu 0xfffe
	v_mad_co_i64_i32 v[1:2], null, v1, s2, 0
	s_delay_alu instid0(VALU_DEP_1) | instskip(NEXT) | instid1(VALU_DEP_1)
	v_lshlrev_b64_e32 v[1:2], 2, v[1:2]
	v_add_co_u32 v17, vcc_lo, v33, v1
	s_wait_alu 0xfffd
	s_delay_alu instid0(VALU_DEP_2)
	v_add_co_ci_u32_e64 v18, null, v34, v2, vcc_lo
	ds_load_b128 v[1:4], v36
	v_cmp_eq_u32_e32 vcc_lo, s28, v24
	global_load_b128 v[5:8], v[17:18], off
	s_and_saveexec_b32 s4, vcc_lo
	s_cbranch_execnz .LBB36_37
; %bb.34:                               ;   in Loop: Header=BB36_33 Depth=1
	s_wait_alu 0xfffe
	s_or_b32 exec_lo, exec_lo, s4
	global_load_b128 v[9:12], v[17:18], off offset:512
	s_and_saveexec_b32 s4, vcc_lo
	s_cbranch_execnz .LBB36_38
.LBB36_35:                              ;   in Loop: Header=BB36_33 Depth=1
	s_wait_alu 0xfffe
	s_or_b32 exec_lo, exec_lo, s4
	global_load_b128 v[13:16], v[17:18], off offset:1024
	s_and_saveexec_b32 s4, vcc_lo
	s_cbranch_execnz .LBB36_39
.LBB36_36:                              ;   in Loop: Header=BB36_33 Depth=1
	s_wait_alu 0xfffe
	s_or_b32 exec_lo, exec_lo, s4
	global_load_b128 v[17:20], v[17:18], off offset:1536
	s_and_saveexec_b32 s0, vcc_lo
	s_cbranch_execz .LBB36_32
	s_branch .LBB36_40
.LBB36_37:                              ;   in Loop: Header=BB36_33 Depth=1
	v_cmp_gt_i32_e64 s0, s24, v37
	s_wait_loadcnt 0x0
	s_wait_alu 0xf1ff
	s_delay_alu instid0(VALU_DEP_1) | instskip(SKIP_2) | instid1(VALU_DEP_1)
	v_cndmask_b32_e64 v5, 0, v5, s0
	v_cmp_gt_i32_e64 s0, s24, v39
	s_wait_alu 0xf1ff
	v_cndmask_b32_e64 v6, 0, v6, s0
	v_cmp_gt_i32_e64 s0, s24, v38
	s_wait_alu 0xf1ff
	s_delay_alu instid0(VALU_DEP_1) | instskip(SKIP_2) | instid1(VALU_DEP_1)
	v_cndmask_b32_e64 v7, 0, v7, s0
	v_cmp_gt_i32_e64 s0, s24, v35
	s_wait_alu 0xf1ff
	v_cndmask_b32_e64 v8, 0, v8, s0
	s_wait_alu 0xfffe
	s_or_b32 exec_lo, exec_lo, s4
	global_load_b128 v[9:12], v[17:18], off offset:512
	s_and_saveexec_b32 s4, vcc_lo
	s_cbranch_execz .LBB36_35
.LBB36_38:                              ;   in Loop: Header=BB36_33 Depth=1
	v_cmp_gt_i32_e64 s0, s24, v37
	s_wait_loadcnt 0x0
	s_wait_alu 0xf1ff
	s_delay_alu instid0(VALU_DEP_1) | instskip(SKIP_2) | instid1(VALU_DEP_1)
	v_cndmask_b32_e64 v9, 0, v9, s0
	v_cmp_gt_i32_e64 s0, s24, v39
	s_wait_alu 0xf1ff
	v_cndmask_b32_e64 v10, 0, v10, s0
	v_cmp_gt_i32_e64 s0, s24, v38
	s_wait_alu 0xf1ff
	s_delay_alu instid0(VALU_DEP_1) | instskip(SKIP_2) | instid1(VALU_DEP_1)
	v_cndmask_b32_e64 v11, 0, v11, s0
	v_cmp_gt_i32_e64 s0, s24, v35
	s_wait_alu 0xf1ff
	v_cndmask_b32_e64 v12, 0, v12, s0
	s_wait_alu 0xfffe
	s_or_b32 exec_lo, exec_lo, s4
	global_load_b128 v[13:16], v[17:18], off offset:1024
	s_and_saveexec_b32 s4, vcc_lo
	s_cbranch_execz .LBB36_36
.LBB36_39:                              ;   in Loop: Header=BB36_33 Depth=1
	v_cmp_gt_i32_e64 s0, s24, v37
	s_wait_loadcnt 0x0
	s_wait_alu 0xf1ff
	s_delay_alu instid0(VALU_DEP_1) | instskip(SKIP_2) | instid1(VALU_DEP_1)
	v_cndmask_b32_e64 v13, 0, v13, s0
	v_cmp_gt_i32_e64 s0, s24, v39
	s_wait_alu 0xf1ff
	v_cndmask_b32_e64 v14, 0, v14, s0
	v_cmp_gt_i32_e64 s0, s24, v38
	s_wait_alu 0xf1ff
	s_delay_alu instid0(VALU_DEP_1) | instskip(SKIP_2) | instid1(VALU_DEP_1)
	v_cndmask_b32_e64 v15, 0, v15, s0
	v_cmp_gt_i32_e64 s0, s24, v35
	s_wait_alu 0xf1ff
	v_cndmask_b32_e64 v16, 0, v16, s0
	s_wait_alu 0xfffe
	s_or_b32 exec_lo, exec_lo, s4
	global_load_b128 v[17:20], v[17:18], off offset:1536
	s_and_saveexec_b32 s0, vcc_lo
	s_cbranch_execz .LBB36_32
.LBB36_40:                              ;   in Loop: Header=BB36_33 Depth=1
	v_cmp_gt_i32_e32 vcc_lo, s24, v37
	s_wait_loadcnt 0x0
	s_wait_alu 0xfffd
	v_cndmask_b32_e32 v17, 0, v17, vcc_lo
	v_cmp_gt_i32_e32 vcc_lo, s24, v39
	s_wait_alu 0xfffd
	v_cndmask_b32_e32 v18, 0, v18, vcc_lo
	v_cmp_gt_i32_e32 vcc_lo, s24, v38
	;; [unrolled: 3-line block ×3, first 2 shown]
	s_wait_alu 0xfffd
	v_cndmask_b32_e32 v20, 0, v20, vcc_lo
	s_branch .LBB36_32
.LBB36_41:
	s_or_b32 exec_lo, exec_lo, s3
.LBB36_42:
	s_wait_alu 0xfffe
	s_or_b32 exec_lo, exec_lo, s1
	ds_bpermute_b32 v1, v26, v30
	ds_bpermute_b32 v2, v26, v32
	;; [unrolled: 1-line block ×4, first 2 shown]
	v_lshrrev_b32_e32 v5, 2, v25
	s_mov_b32 s0, exec_lo
	s_wait_storecnt 0x0
	s_wait_loadcnt_dscnt 0x0
	s_barrier_signal -1
	s_barrier_wait -1
	global_inv scope:SCOPE_SE
	v_dual_add_f32 v1, v30, v1 :: v_dual_add_f32 v2, v32, v2
	v_dual_add_f32 v3, v31, v3 :: v_dual_add_f32 v4, v29, v4
	ds_bpermute_b32 v7, v27, v1
	ds_bpermute_b32 v8, v27, v2
	;; [unrolled: 1-line block ×4, first 2 shown]
	v_and_b32_e32 v6, 28, v25
	v_and_b32_e32 v11, 0x3c3, v0
	s_wait_dscnt 0x3
	s_delay_alu instid0(VALU_DEP_2)
	v_dual_add_f32 v1, v1, v7 :: v_dual_add_nc_u32 v6, 0xa0, v6
	s_wait_dscnt 0x1
	v_dual_add_f32 v3, v3, v9 :: v_dual_add_f32 v2, v2, v8
	s_wait_dscnt 0x0
	v_add_f32_e32 v4, v4, v10
	v_cmpx_eq_u32_e32 64, v11
	s_cbranch_execz .LBB36_44
; %bb.43:
	v_lshl_add_u32 v7, v23, 7, v6
	s_delay_alu instid0(VALU_DEP_1)
	v_add_nc_u32_e32 v8, 0xffffff00, v7
	v_add_nc_u32_e32 v9, 0xffffff20, v7
	;; [unrolled: 1-line block ×4, first 2 shown]
	ds_store_b32 v8, v1
	ds_store_b32 v9, v2
	;; [unrolled: 1-line block ×4, first 2 shown]
.LBB36_44:
	s_wait_alu 0xfffe
	s_or_b32 exec_lo, exec_lo, s0
	v_and_b32_e32 v7, 0x3e0, v0
	v_lshlrev_b32_e32 v5, 2, v5
	s_mov_b32 s1, exec_lo
	v_cmp_eq_u32_e32 vcc_lo, 0, v28
	s_wait_loadcnt_dscnt 0x0
	v_lshlrev_b32_e32 v7, 2, v7
	s_barrier_signal -1
	s_barrier_wait -1
	global_inv scope:SCOPE_SE
	v_add3_u32 v5, 0xa0, v7, v5
	v_cmpx_gt_u32_e32 64, v0
	s_cbranch_execz .LBB36_51
; %bb.45:
	s_and_saveexec_b32 s0, vcc_lo
	s_cbranch_execnz .LBB36_63
; %bb.46:
	s_wait_alu 0xfffe
	s_or_b32 exec_lo, exec_lo, s0
	s_and_saveexec_b32 s0, vcc_lo
	s_cbranch_execnz .LBB36_64
.LBB36_47:
	s_wait_alu 0xfffe
	s_or_b32 exec_lo, exec_lo, s0
	s_and_saveexec_b32 s0, vcc_lo
	s_cbranch_execnz .LBB36_65
.LBB36_48:
	s_wait_alu 0xfffe
	s_or_b32 exec_lo, exec_lo, s0
	s_and_saveexec_b32 s0, vcc_lo
	s_cbranch_execz .LBB36_50
.LBB36_49:
	ds_load_b32 v7, v5 offset:96
	s_wait_dscnt 0x0
	v_add_f32_e32 v4, v4, v7
.LBB36_50:
	s_wait_alu 0xfffe
	s_or_b32 exec_lo, exec_lo, s0
.LBB36_51:
	s_wait_alu 0xfffe
	s_or_b32 exec_lo, exec_lo, s1
	v_and_b32_e32 v7, 0x3e3, v0
	s_mov_b32 s1, exec_lo
	s_wait_loadcnt 0x0
	s_barrier_signal -1
	s_barrier_wait -1
	global_inv scope:SCOPE_SE
	v_cmpx_eq_u32_e32 32, v7
	s_cbranch_execz .LBB36_53
; %bb.52:
	ds_store_2addr_b32 v6, v1, v2 offset1:8
	ds_store_2addr_b32 v6, v3, v4 offset0:16 offset1:24
.LBB36_53:
	s_wait_alu 0xfffe
	s_or_b32 exec_lo, exec_lo, s1
	s_delay_alu instid0(SALU_CYCLE_1)
	s_mov_b32 s1, exec_lo
	s_wait_loadcnt_dscnt 0x0
	s_barrier_signal -1
	s_barrier_wait -1
	global_inv scope:SCOPE_SE
	v_cmpx_gt_u32_e32 32, v0
	s_cbranch_execz .LBB36_60
; %bb.54:
	s_and_saveexec_b32 s0, vcc_lo
	s_cbranch_execnz .LBB36_66
; %bb.55:
	s_wait_alu 0xfffe
	s_or_b32 exec_lo, exec_lo, s0
	s_and_saveexec_b32 s0, vcc_lo
	s_cbranch_execnz .LBB36_67
.LBB36_56:
	s_wait_alu 0xfffe
	s_or_b32 exec_lo, exec_lo, s0
	s_and_saveexec_b32 s0, vcc_lo
	s_cbranch_execnz .LBB36_68
.LBB36_57:
	s_wait_alu 0xfffe
	s_or_b32 exec_lo, exec_lo, s0
	s_and_saveexec_b32 s0, vcc_lo
	s_cbranch_execz .LBB36_59
.LBB36_58:
	ds_load_b32 v5, v5 offset:96
	s_wait_dscnt 0x0
	v_add_f32_e32 v4, v4, v5
.LBB36_59:
	s_wait_alu 0xfffe
	s_or_b32 exec_lo, exec_lo, s0
.LBB36_60:
	s_wait_alu 0xfffe
	s_or_b32 exec_lo, exec_lo, s1
	s_mov_b32 s1, 0
	s_wait_loadcnt 0x0
	s_barrier_signal -1
	s_barrier_wait -1
	global_inv scope:SCOPE_SE
	s_mov_b32 s0, exec_lo
	v_cmpx_eq_u32_e32 0, v7
	s_cbranch_execz .LBB36_62
; %bb.61:
	s_lshl_b32 s2, s14, 5
	s_mul_i32 s4, s13, s12
	s_wait_alu 0xfffe
	s_ashr_i32 s3, s2, 31
	s_ashr_i32 s5, s4, 31
	s_wait_alu 0xfffe
	s_lshl_b64 s[2:3], s[2:3], 2
	s_lshl_b64 s[4:5], s[4:5], 2
	s_wait_alu 0xfffe
	s_add_nc_u64 s[2:3], s[10:11], s[2:3]
	s_lshl_b32 s0, s8, 2
	s_wait_alu 0xfffe
	s_add_nc_u64 s[2:3], s[2:3], s[4:5]
	s_wait_alu 0xfffe
	s_add_nc_u64 s[0:1], s[2:3], s[0:1]
	s_clause 0x3
	global_store_b32 v0, v1, s[0:1]
	global_store_b32 v0, v2, s[0:1] offset:32
	global_store_b32 v0, v3, s[0:1] offset:64
	;; [unrolled: 1-line block ×3, first 2 shown]
.LBB36_62:
	s_endpgm
.LBB36_63:
	ds_load_b32 v7, v5
	s_wait_dscnt 0x0
	v_add_f32_e32 v1, v1, v7
	s_wait_alu 0xfffe
	s_or_b32 exec_lo, exec_lo, s0
	s_and_saveexec_b32 s0, vcc_lo
	s_cbranch_execz .LBB36_47
.LBB36_64:
	ds_load_b32 v7, v5 offset:32
	s_wait_dscnt 0x0
	v_add_f32_e32 v2, v2, v7
	s_wait_alu 0xfffe
	s_or_b32 exec_lo, exec_lo, s0
	s_and_saveexec_b32 s0, vcc_lo
	s_cbranch_execz .LBB36_48
.LBB36_65:
	ds_load_b32 v7, v5 offset:64
	s_wait_dscnt 0x0
	v_add_f32_e32 v3, v3, v7
	s_wait_alu 0xfffe
	s_or_b32 exec_lo, exec_lo, s0
	s_and_saveexec_b32 s0, vcc_lo
	s_cbranch_execnz .LBB36_49
	s_branch .LBB36_50
.LBB36_66:
	ds_load_b32 v6, v5
	s_wait_dscnt 0x0
	v_add_f32_e32 v1, v1, v6
	s_wait_alu 0xfffe
	s_or_b32 exec_lo, exec_lo, s0
	s_and_saveexec_b32 s0, vcc_lo
	s_cbranch_execz .LBB36_56
.LBB36_67:
	ds_load_b32 v6, v5 offset:32
	s_wait_dscnt 0x0
	v_add_f32_e32 v2, v2, v6
	s_wait_alu 0xfffe
	s_or_b32 exec_lo, exec_lo, s0
	s_and_saveexec_b32 s0, vcc_lo
	s_cbranch_execz .LBB36_57
.LBB36_68:
	ds_load_b32 v6, v5 offset:64
	s_wait_dscnt 0x0
	v_add_f32_e32 v3, v3, v6
	s_wait_alu 0xfffe
	s_or_b32 exec_lo, exec_lo, s0
	s_and_saveexec_b32 s0, vcc_lo
	s_cbranch_execnz .LBB36_58
	s_branch .LBB36_59
	.section	.rodata,"a",@progbits
	.p2align	6, 0x0
	.amdhsa_kernel _ZN4vllm25paged_attention_v2_kernelIffLi32ELi16ELi128ELNS_18Fp8KVCacheDataTypeE0ELb0ELi512EEEvPfS2_PT_PKS3_PKT0_S9_ifPKiSB_iPKfiiiSD_SD_iiiii
		.amdhsa_group_segment_fixed_size 160
		.amdhsa_private_segment_fixed_size 0
		.amdhsa_kernarg_size 400
		.amdhsa_user_sgpr_count 2
		.amdhsa_user_sgpr_dispatch_ptr 0
		.amdhsa_user_sgpr_queue_ptr 0
		.amdhsa_user_sgpr_kernarg_segment_ptr 1
		.amdhsa_user_sgpr_dispatch_id 0
		.amdhsa_user_sgpr_private_segment_size 0
		.amdhsa_wavefront_size32 1
		.amdhsa_uses_dynamic_stack 0
		.amdhsa_enable_private_segment 0
		.amdhsa_system_sgpr_workgroup_id_x 1
		.amdhsa_system_sgpr_workgroup_id_y 1
		.amdhsa_system_sgpr_workgroup_id_z 1
		.amdhsa_system_sgpr_workgroup_info 0
		.amdhsa_system_vgpr_workitem_id 0
		.amdhsa_next_free_vgpr 49
		.amdhsa_next_free_sgpr 36
		.amdhsa_reserve_vcc 1
		.amdhsa_float_round_mode_32 0
		.amdhsa_float_round_mode_16_64 0
		.amdhsa_float_denorm_mode_32 3
		.amdhsa_float_denorm_mode_16_64 3
		.amdhsa_fp16_overflow 0
		.amdhsa_workgroup_processor_mode 1
		.amdhsa_memory_ordered 1
		.amdhsa_forward_progress 1
		.amdhsa_inst_pref_size 36
		.amdhsa_round_robin_scheduling 0
		.amdhsa_exception_fp_ieee_invalid_op 0
		.amdhsa_exception_fp_denorm_src 0
		.amdhsa_exception_fp_ieee_div_zero 0
		.amdhsa_exception_fp_ieee_overflow 0
		.amdhsa_exception_fp_ieee_underflow 0
		.amdhsa_exception_fp_ieee_inexact 0
		.amdhsa_exception_int_div_zero 0
	.end_amdhsa_kernel
	.section	.text._ZN4vllm25paged_attention_v2_kernelIffLi32ELi16ELi128ELNS_18Fp8KVCacheDataTypeE0ELb0ELi512EEEvPfS2_PT_PKS3_PKT0_S9_ifPKiSB_iPKfiiiSD_SD_iiiii,"axG",@progbits,_ZN4vllm25paged_attention_v2_kernelIffLi32ELi16ELi128ELNS_18Fp8KVCacheDataTypeE0ELb0ELi512EEEvPfS2_PT_PKS3_PKT0_S9_ifPKiSB_iPKfiiiSD_SD_iiiii,comdat
.Lfunc_end36:
	.size	_ZN4vllm25paged_attention_v2_kernelIffLi32ELi16ELi128ELNS_18Fp8KVCacheDataTypeE0ELb0ELi512EEEvPfS2_PT_PKS3_PKT0_S9_ifPKiSB_iPKfiiiSD_SD_iiiii, .Lfunc_end36-_ZN4vllm25paged_attention_v2_kernelIffLi32ELi16ELi128ELNS_18Fp8KVCacheDataTypeE0ELb0ELi512EEEvPfS2_PT_PKS3_PKT0_S9_ifPKiSB_iPKfiiiSD_SD_iiiii
                                        ; -- End function
	.set _ZN4vllm25paged_attention_v2_kernelIffLi32ELi16ELi128ELNS_18Fp8KVCacheDataTypeE0ELb0ELi512EEEvPfS2_PT_PKS3_PKT0_S9_ifPKiSB_iPKfiiiSD_SD_iiiii.num_vgpr, 49
	.set _ZN4vllm25paged_attention_v2_kernelIffLi32ELi16ELi128ELNS_18Fp8KVCacheDataTypeE0ELb0ELi512EEEvPfS2_PT_PKS3_PKT0_S9_ifPKiSB_iPKfiiiSD_SD_iiiii.num_agpr, 0
	.set _ZN4vllm25paged_attention_v2_kernelIffLi32ELi16ELi128ELNS_18Fp8KVCacheDataTypeE0ELb0ELi512EEEvPfS2_PT_PKS3_PKT0_S9_ifPKiSB_iPKfiiiSD_SD_iiiii.numbered_sgpr, 36
	.set _ZN4vllm25paged_attention_v2_kernelIffLi32ELi16ELi128ELNS_18Fp8KVCacheDataTypeE0ELb0ELi512EEEvPfS2_PT_PKS3_PKT0_S9_ifPKiSB_iPKfiiiSD_SD_iiiii.num_named_barrier, 0
	.set _ZN4vllm25paged_attention_v2_kernelIffLi32ELi16ELi128ELNS_18Fp8KVCacheDataTypeE0ELb0ELi512EEEvPfS2_PT_PKS3_PKT0_S9_ifPKiSB_iPKfiiiSD_SD_iiiii.private_seg_size, 0
	.set _ZN4vllm25paged_attention_v2_kernelIffLi32ELi16ELi128ELNS_18Fp8KVCacheDataTypeE0ELb0ELi512EEEvPfS2_PT_PKS3_PKT0_S9_ifPKiSB_iPKfiiiSD_SD_iiiii.uses_vcc, 1
	.set _ZN4vllm25paged_attention_v2_kernelIffLi32ELi16ELi128ELNS_18Fp8KVCacheDataTypeE0ELb0ELi512EEEvPfS2_PT_PKS3_PKT0_S9_ifPKiSB_iPKfiiiSD_SD_iiiii.uses_flat_scratch, 0
	.set _ZN4vllm25paged_attention_v2_kernelIffLi32ELi16ELi128ELNS_18Fp8KVCacheDataTypeE0ELb0ELi512EEEvPfS2_PT_PKS3_PKT0_S9_ifPKiSB_iPKfiiiSD_SD_iiiii.has_dyn_sized_stack, 0
	.set _ZN4vllm25paged_attention_v2_kernelIffLi32ELi16ELi128ELNS_18Fp8KVCacheDataTypeE0ELb0ELi512EEEvPfS2_PT_PKS3_PKT0_S9_ifPKiSB_iPKfiiiSD_SD_iiiii.has_recursion, 0
	.set _ZN4vllm25paged_attention_v2_kernelIffLi32ELi16ELi128ELNS_18Fp8KVCacheDataTypeE0ELb0ELi512EEEvPfS2_PT_PKS3_PKT0_S9_ifPKiSB_iPKfiiiSD_SD_iiiii.has_indirect_call, 0
	.section	.AMDGPU.csdata,"",@progbits
; Kernel info:
; codeLenInByte = 4572
; TotalNumSgprs: 38
; NumVgprs: 49
; ScratchSize: 0
; MemoryBound: 0
; FloatMode: 240
; IeeeMode: 1
; LDSByteSize: 160 bytes/workgroup (compile time only)
; SGPRBlocks: 0
; VGPRBlocks: 6
; NumSGPRsForWavesPerEU: 38
; NumVGPRsForWavesPerEU: 49
; Occupancy: 16
; WaveLimiterHint : 1
; COMPUTE_PGM_RSRC2:SCRATCH_EN: 0
; COMPUTE_PGM_RSRC2:USER_SGPR: 2
; COMPUTE_PGM_RSRC2:TRAP_HANDLER: 0
; COMPUTE_PGM_RSRC2:TGID_X_EN: 1
; COMPUTE_PGM_RSRC2:TGID_Y_EN: 1
; COMPUTE_PGM_RSRC2:TGID_Z_EN: 1
; COMPUTE_PGM_RSRC2:TIDIG_COMP_CNT: 0
	.section	.text._ZN4vllm25paged_attention_v2_kernelIffLi64ELi16ELi128ELNS_18Fp8KVCacheDataTypeE0ELb0ELi512EEEvPfS2_PT_PKS3_PKT0_S9_ifPKiSB_iPKfiiiSD_SD_iiiii,"axG",@progbits,_ZN4vllm25paged_attention_v2_kernelIffLi64ELi16ELi128ELNS_18Fp8KVCacheDataTypeE0ELb0ELi512EEEvPfS2_PT_PKS3_PKT0_S9_ifPKiSB_iPKfiiiSD_SD_iiiii,comdat
	.protected	_ZN4vllm25paged_attention_v2_kernelIffLi64ELi16ELi128ELNS_18Fp8KVCacheDataTypeE0ELb0ELi512EEEvPfS2_PT_PKS3_PKT0_S9_ifPKiSB_iPKfiiiSD_SD_iiiii ; -- Begin function _ZN4vllm25paged_attention_v2_kernelIffLi64ELi16ELi128ELNS_18Fp8KVCacheDataTypeE0ELb0ELi512EEEvPfS2_PT_PKS3_PKT0_S9_ifPKiSB_iPKfiiiSD_SD_iiiii
	.globl	_ZN4vllm25paged_attention_v2_kernelIffLi64ELi16ELi128ELNS_18Fp8KVCacheDataTypeE0ELb0ELi512EEEvPfS2_PT_PKS3_PKT0_S9_ifPKiSB_iPKfiiiSD_SD_iiiii
	.p2align	8
	.type	_ZN4vllm25paged_attention_v2_kernelIffLi64ELi16ELi128ELNS_18Fp8KVCacheDataTypeE0ELb0ELi512EEEvPfS2_PT_PKS3_PKT0_S9_ifPKiSB_iPKfiiiSD_SD_iiiii,@function
_ZN4vllm25paged_attention_v2_kernelIffLi64ELi16ELi128ELNS_18Fp8KVCacheDataTypeE0ELb0ELi512EEEvPfS2_PT_PKS3_PKT0_S9_ifPKiSB_iPKfiiiSD_SD_iiiii: ; @_ZN4vllm25paged_attention_v2_kernelIffLi64ELi16ELi128ELNS_18Fp8KVCacheDataTypeE0ELb0ELi512EEEvPfS2_PT_PKS3_PKT0_S9_ifPKiSB_iPKfiiiSD_SD_iiiii
; %bb.0:
	s_load_b64 s[2:3], s[0:1], 0x40
	s_and_b32 s27, ttmp7, 0xffff
	s_lshr_b32 s24, ttmp7, 16
	s_lshl_b32 s4, s27, 2
	s_lshl_b32 s26, s24, 9
	s_wait_kmcnt 0x0
	s_load_b32 s25, s[2:3], s4 offset:0x0
	s_wait_kmcnt 0x0
	s_cmp_ge_i32 s26, s25
	s_cbranch_scc1 .LBB37_78
; %bb.1:
	s_clause 0x1
	s_load_b32 s28, s[0:1], 0x90
	s_load_b64 s[6:7], s[0:1], 0x30
	s_wait_kmcnt 0x0
	s_abs_i32 s5, s28
	s_abs_i32 s2, s6
	s_delay_alu instid0(SALU_CYCLE_1) | instskip(SKIP_1) | instid1(SALU_CYCLE_2)
	s_cvt_f32_u32 s3, s2
	s_sub_co_i32 s4, 0, s2
	v_rcp_iflag_f32_e32 v1, s3
	s_delay_alu instid0(TRANS32_DEP_1) | instskip(SKIP_2) | instid1(SALU_CYCLE_2)
	v_readfirstlane_b32 s3, v1
	s_mul_f32 s3, s3, 0x4f7ffffe
	s_wait_alu 0xfffe
	s_cvt_u32_f32 s3, s3
	s_wait_alu 0xfffe
	s_delay_alu instid0(SALU_CYCLE_2) | instskip(NEXT) | instid1(SALU_CYCLE_1)
	s_mul_i32 s4, s4, s3
	s_mul_hi_u32 s4, s3, s4
	s_delay_alu instid0(SALU_CYCLE_1)
	s_add_co_i32 s3, s3, s4
	s_xor_b32 s4, s28, s6
	s_wait_alu 0xfffe
	s_mul_hi_u32 s3, s5, s3
	s_ashr_i32 s4, s4, 31
	s_wait_alu 0xfffe
	s_mul_i32 s6, s3, s2
	s_delay_alu instid0(SALU_CYCLE_1)
	s_sub_co_i32 s5, s5, s6
	s_add_co_i32 s6, s3, 1
	s_sub_co_i32 s8, s5, s2
	s_cmp_ge_u32 s5, s2
	s_cselect_b32 s3, s6, s3
	s_cselect_b32 s5, s8, s5
	s_wait_alu 0xfffe
	s_add_co_i32 s6, s3, 1
	s_cmp_ge_u32 s5, s2
	s_load_b64 s[8:9], s[0:1], 0x50
	s_cselect_b32 s2, s6, s3
	s_mov_b32 s5, 0
	s_wait_alu 0xfffe
	s_xor_b32 s2, s2, s4
	s_mov_b32 s10, s5
	s_wait_alu 0xfffe
	s_sub_co_i32 s11, s2, s4
	s_abs_i32 s4, ttmp9
	s_abs_i32 s6, s11
	s_delay_alu instid0(SALU_CYCLE_1) | instskip(SKIP_2) | instid1(SALU_CYCLE_1)
	s_cvt_f32_u32 s2, s6
	s_sub_co_i32 s3, 0, s6
	s_wait_alu 0xfffe
	v_rcp_iflag_f32_e32 v1, s2
	s_delay_alu instid0(TRANS32_DEP_1) | instskip(SKIP_2) | instid1(SALU_CYCLE_2)
	v_readfirstlane_b32 s2, v1
	s_mul_f32 s2, s2, 0x4f7ffffe
	s_wait_alu 0xfffe
	s_cvt_u32_f32 s2, s2
	s_wait_alu 0xfffe
	s_delay_alu instid0(SALU_CYCLE_2)
	s_mul_i32 s3, s3, s2
	s_wait_alu 0xfffe
	s_mul_hi_u32 s3, s2, s3
	s_wait_alu 0xfffe
	s_add_co_i32 s2, s2, s3
	s_mov_b32 s3, s5
	s_wait_kmcnt 0x0
	s_cmp_eq_u64 s[8:9], 0
	s_cbranch_scc1 .LBB37_3
; %bb.2:
	s_mov_b32 s12, ttmp9
	s_ashr_i32 s13, ttmp9, 31
	s_delay_alu instid0(SALU_CYCLE_1) | instskip(NEXT) | instid1(SALU_CYCLE_1)
	s_lshl_b64 s[12:13], s[12:13], 2
	s_add_nc_u64 s[8:9], s[8:9], s[12:13]
	s_load_b32 s10, s[8:9], 0x0
.LBB37_3:
	s_load_b96 s[12:14], s[0:1], 0x58
	s_mul_u64 s[2:3], s[4:5], s[2:3]
	v_and_b32_e32 v33, 1, v0
	v_cmp_gt_u32_e64 s2, 32, v0
	v_lshlrev_b32_e32 v1, 3, v0
	v_lshlrev_b32_e32 v35, 2, v0
	s_ashr_i32 s5, ttmp9, 31
	s_ashr_i32 s8, s11, 31
	s_lshl_b32 s16, ttmp9, 6
	s_wait_alu 0xfffe
	s_and_saveexec_b32 s9, s2
	s_cbranch_execz .LBB37_5
; %bb.4:
	s_load_b64 s[18:19], s[0:1], 0x18
	s_wait_kmcnt 0x0
	s_mul_i32 s20, s12, s27
	s_ashr_i32 s17, s16, 31
	s_ashr_i32 s21, s20, 31
	v_and_b32_e32 v4, 0xff8, v35
	s_lshl_b64 s[20:21], s[20:21], 2
	s_delay_alu instid0(VALU_DEP_1) | instskip(SKIP_2) | instid1(SALU_CYCLE_1)
	v_lshl_add_u32 v4, v33, 7, v4
	s_add_nc_u64 s[18:19], s[18:19], s[20:21]
	s_lshl_b64 s[20:21], s[16:17], 2
	s_add_nc_u64 s[18:19], s[18:19], s[20:21]
	global_load_b64 v[2:3], v1, s[18:19]
	s_wait_loadcnt 0x0
	ds_store_b64 v4, v[2:3]
.LBB37_5:
	s_or_b32 exec_lo, exec_lo, s9
	s_add_co_i32 s9, s25, 15
	s_xor_b32 s5, s5, s8
	s_ashr_i32 s11, s9, 31
	s_lshl_b32 s30, s24, 5
	s_lshr_b32 s8, s11, 28
	s_mul_i32 s11, s3, s6
	s_add_co_i32 s9, s9, s8
	s_add_co_i32 s8, s30, 32
	s_ashr_i32 s29, s9, 4
	s_load_b32 s9, s[0:1], 0x48
	s_sub_co_i32 s4, s4, s11
	s_min_i32 s17, s8, s29
	s_add_co_i32 s8, s3, 1
	s_sub_co_i32 s11, s4, s6
	s_cmp_ge_u32 s4, s6
	v_lshrrev_b32_e32 v39, 5, v0
	s_cselect_b32 s3, s8, s3
	s_cselect_b32 s4, s11, s4
	s_wait_alu 0xfffe
	s_add_co_i32 s8, s3, 1
	s_cmp_ge_u32 s4, s6
	v_or_b32_e32 v40, s30, v39
	s_cselect_b32 s3, s8, s3
	v_mbcnt_lo_u32_b32 v37, -1, 0
	s_wait_alu 0xfffe
	s_xor_b32 s3, s3, s5
	s_wait_dscnt 0x0
	s_wait_alu 0xfffe
	s_sub_co_i32 s4, s3, s5
	v_cmp_gt_i32_e64 s3, s17, v40
	s_mov_b32 s5, exec_lo
	s_barrier_signal -1
	s_wait_kmcnt 0x0
	s_mul_i32 s18, s9, s27
	s_barrier_wait -1
	s_ashr_i32 s19, s18, 31
	global_inv scope:SCOPE_SE
                                        ; implicit-def: $vgpr38
                                        ; implicit-def: $vgpr43
	v_cmpx_le_i32_e64 s17, v40
	s_xor_b32 s5, exec_lo, s5
; %bb.6:
	v_dual_mov_b32 v38, 0 :: v_dual_mov_b32 v43, 32
	v_mbcnt_lo_u32_b32 v37, -1, 0
                                        ; implicit-def: $vgpr1
                                        ; implicit-def: $vgpr33
; %bb.7:
	s_or_saveexec_b32 s8, s5
	s_clause 0x1
	s_load_b64 s[20:21], s[0:1], 0x38
	s_load_b32 s12, s[0:1], 0x98
	v_dual_mov_b32 v41, 0xff7fffff :: v_dual_lshlrev_b32 v36, 2, v40
	s_mul_i32 s14, s4, s14
	s_xor_b32 exec_lo, exec_lo, s8
	s_cbranch_execz .LBB37_13
; %bb.8:
	s_load_b64 s[4:5], s[0:1], 0x20
	v_bfe_u32 v34, v0, 1, 4
	s_ashr_i32 s15, s14, 31
	v_xor_b32_e32 v26, 1, v37
	s_lshl_b64 s[22:23], s[14:15], 2
	v_dual_mov_b32 v48, v40 :: v_dual_lshlrev_b32 v29, 7, v33
	v_dual_mov_b32 v38, 0 :: v_dual_lshlrev_b32 v27, 4, v34
	v_and_b32_e32 v25, 8, v1
	v_cmp_gt_i32_e32 vcc_lo, 32, v26
	ds_load_b128 v[1:4], v29
	ds_load_b128 v[5:8], v29 offset:16
	ds_load_b128 v[9:12], v29 offset:32
	;; [unrolled: 1-line block ×5, first 2 shown]
	v_lshlrev_b32_e32 v41, 2, v34
	s_cmp_neq_f32 s10, 0
	v_dual_cndmask_b32 v45, v37, v26 :: v_dual_lshlrev_b32 v46, 4, v39
	v_mov_b32_e32 v43, 32
	s_delay_alu instid0(VALU_DEP_3) | instskip(SKIP_1) | instid1(VALU_DEP_3)
	v_lshl_or_b32 v41, v39, 6, v41
	s_mov_b32 s11, s13
	v_add3_u32 v46, s26, v46, v34
	s_wait_kmcnt 0x0
	s_add_nc_u64 s[4:5], s[4:5], s[22:23]
	v_lshlrev_b32_e32 v45, 2, v45
	v_add_co_u32 v27, s4, s4, v27
	s_wait_alu 0xf1ff
	v_add_co_ci_u32_e64 v28, null, s5, 0, s4
	s_cselect_b32 s4, -1, 0
	v_add_co_u32 v42, vcc_lo, v27, v25
	s_wait_alu 0xfffd
	v_add_co_ci_u32_e64 v44, null, 0, v28, vcc_lo
	ds_load_b128 v[25:28], v29 offset:96
	ds_load_b128 v[29:32], v29 offset:112
	s_lshl_b64 s[22:23], s[18:19], 2
	v_cmp_eq_u32_e32 vcc_lo, 0, v33
	s_add_nc_u64 s[22:23], s[20:21], s[22:23]
	v_add_nc_u32_e32 v47, 0x120, v41
	v_add_co_u32 v33, s5, s22, v36
	s_wait_alu 0xf1ff
	v_add_co_ci_u32_e64 v34, null, s23, 0, s5
	v_mov_b32_e32 v41, 0xff7fffff
	s_mov_b32 s9, 0
	s_sub_co_i32 s15, 1, s25
	s_branch .LBB37_10
.LBB37_9:                               ;   in Loop: Header=BB37_10 Depth=1
	s_wait_alu 0xfffe
	s_or_b32 exec_lo, exec_lo, s6
	v_add_nc_u32_e32 v48, 4, v48
	v_add_co_u32 v33, s6, v33, 16
	v_add_nc_u32_e32 v46, 64, v46
	v_add_nc_u32_e32 v47, 0x100, v47
	s_delay_alu instid0(VALU_DEP_4) | instskip(SKIP_3) | instid1(SALU_CYCLE_1)
	v_cmp_le_i32_e64 s5, s17, v48
	s_wait_alu 0xf1ff
	v_add_co_ci_u32_e64 v34, null, 0, v34, s6
	s_or_b32 s9, s5, s9
	s_and_not1_b32 exec_lo, exec_lo, s9
	s_cbranch_execz .LBB37_12
.LBB37_10:                              ; =>This Inner Loop Header: Depth=1
	global_load_b32 v49, v[33:34], off
	s_wait_loadcnt_dscnt 0x0
	v_mad_co_i64_i32 v[49:50], null, v49, s11, 0
	s_delay_alu instid0(VALU_DEP_1) | instskip(NEXT) | instid1(VALU_DEP_1)
	v_lshlrev_b64_e32 v[49:50], 2, v[49:50]
	v_add_co_u32 v49, s5, v42, v49
	s_wait_alu 0xf1ff
	s_delay_alu instid0(VALU_DEP_2)
	v_add_co_ci_u32_e64 v50, null, v44, v50, s5
	s_clause 0xf
	global_load_b64 v[51:52], v[49:50], off offset:256
	global_load_b64 v[53:54], v[49:50], off
	global_load_b64 v[55:56], v[49:50], off offset:512
	global_load_b64 v[57:58], v[49:50], off offset:768
	;; [unrolled: 1-line block ×14, first 2 shown]
	s_wait_loadcnt_dscnt 0xf07
	v_dual_mul_f32 v51, v3, v51 :: v_dual_mul_f32 v52, v4, v52
	s_wait_loadcnt 0xe
	s_delay_alu instid0(VALU_DEP_1) | instskip(SKIP_1) | instid1(VALU_DEP_1)
	v_dual_fmac_f32 v51, v1, v53 :: v_dual_fmac_f32 v52, v2, v54
	s_wait_loadcnt_dscnt 0xd06
	v_dual_fmac_f32 v51, v5, v55 :: v_dual_fmac_f32 v52, v6, v56
	s_wait_loadcnt 0xc
	s_delay_alu instid0(VALU_DEP_1) | instskip(SKIP_1) | instid1(VALU_DEP_1)
	v_dual_fmac_f32 v51, v7, v57 :: v_dual_fmac_f32 v52, v8, v58
	s_wait_loadcnt_dscnt 0xb05
	v_dual_fmac_f32 v51, v9, v59 :: v_dual_fmac_f32 v52, v10, v60
	;; [unrolled: 5-line block ×7, first 2 shown]
	s_wait_loadcnt 0x0
	s_delay_alu instid0(VALU_DEP_1) | instskip(NEXT) | instid1(VALU_DEP_1)
	v_dual_fmac_f32 v51, v31, v49 :: v_dual_fmac_f32 v52, v32, v50
	v_add_f32_e32 v49, v51, v52
	ds_bpermute_b32 v50, v45, v49
	s_and_saveexec_b32 s6, vcc_lo
	s_cbranch_execz .LBB37_9
; %bb.11:                               ;   in Loop: Header=BB37_10 Depth=1
	s_wait_dscnt 0x0
	v_add_f32_e32 v49, v49, v50
	v_add_nc_u32_e32 v51, s15, v46
	v_cmp_gt_i32_e64 s5, s25, v46
	s_delay_alu instid0(VALU_DEP_2) | instskip(NEXT) | instid1(VALU_DEP_1)
	v_cvt_f32_i32_e32 v51, v51
	v_mul_f32_e32 v51, s10, v51
	s_wait_alu 0xfffe
	s_delay_alu instid0(VALU_DEP_1) | instskip(SKIP_1) | instid1(VALU_DEP_2)
	v_cndmask_b32_e64 v50, 0, v51, s4
	v_max_num_f32_e32 v51, v41, v41
	v_fmac_f32_e32 v50, s7, v49
	s_delay_alu instid0(VALU_DEP_1) | instskip(SKIP_2) | instid1(VALU_DEP_2)
	v_max_num_f32_e32 v49, v51, v50
	s_wait_alu 0xf1ff
	v_cndmask_b32_e64 v50, 0, v50, s5
	v_cndmask_b32_e64 v41, v41, v49, s5
	ds_store_b32 v47, v50
	s_branch .LBB37_9
.LBB37_12:
	s_or_b32 exec_lo, exec_lo, s9
.LBB37_13:
	s_delay_alu instid0(SALU_CYCLE_1)
	s_or_b32 exec_lo, exec_lo, s8
	v_xor_b32_e32 v1, 16, v37
	v_xor_b32_e32 v3, 8, v37
	v_max_num_f32_e32 v5, v41, v41
	v_xor_b32_e32 v6, 2, v37
	s_clause 0x2
	s_load_b128 s[8:11], s[0:1], 0x0
	s_load_b64 s[6:7], s[0:1], 0x10
	s_load_b64 s[22:23], s[0:1], 0x28
	v_cmp_lt_i32_e32 vcc_lo, v1, v43
	s_wait_alu 0xfffd
	v_cndmask_b32_e32 v1, v37, v1, vcc_lo
	v_cmp_lt_i32_e32 vcc_lo, v3, v43
	s_wait_alu 0xfffd
	v_cndmask_b32_e32 v3, v37, v3, vcc_lo
	s_delay_alu instid0(VALU_DEP_1)
	v_lshlrev_b32_e32 v4, 2, v3
	v_lshlrev_b32_e32 v2, 2, v1
	ds_bpermute_b32 v1, v2, v41
	v_and_b32_e32 v41, 31, v0
	s_wait_dscnt 0x0
	v_max_num_f32_e32 v1, v1, v1
	s_delay_alu instid0(VALU_DEP_1)
	v_max_num_f32_e32 v1, v5, v1
	v_xor_b32_e32 v5, 4, v37
	ds_bpermute_b32 v3, v4, v1
	v_cmp_lt_i32_e32 vcc_lo, v5, v43
	s_wait_alu 0xfffd
	v_cndmask_b32_e32 v5, v37, v5, vcc_lo
	v_cmp_lt_i32_e32 vcc_lo, v6, v43
	s_wait_alu 0xfffd
	s_delay_alu instid0(VALU_DEP_2) | instskip(SKIP_1) | instid1(VALU_DEP_2)
	v_dual_cndmask_b32 v6, v37, v6 :: v_dual_lshlrev_b32 v5, 2, v5
	v_cmp_eq_u32_e32 vcc_lo, 0, v41
	v_lshlrev_b32_e32 v42, 2, v6
	v_lshlrev_b32_e32 v6, 2, v39
	s_wait_dscnt 0x0
	v_max_num_f32_e32 v3, v3, v3
	s_delay_alu instid0(VALU_DEP_1) | instskip(SKIP_3) | instid1(VALU_DEP_1)
	v_max_num_f32_e32 v1, v1, v3
	ds_bpermute_b32 v3, v5, v1
	s_wait_dscnt 0x0
	v_max_num_f32_e32 v3, v3, v3
	v_max_num_f32_e32 v1, v1, v3
	ds_bpermute_b32 v3, v42, v1
	s_and_saveexec_b32 s0, vcc_lo
	s_cbranch_execz .LBB37_15
; %bb.14:
	s_wait_dscnt 0x0
	v_max_num_f32_e32 v3, v3, v3
	v_max_num_f32_e32 v1, v1, v1
	s_delay_alu instid0(VALU_DEP_1)
	v_max_num_f32_e32 v1, v1, v3
	ds_store_b32 v6, v1 offset:256
.LBB37_15:
	s_or_b32 exec_lo, exec_lo, s0
	v_cmp_gt_u32_e64 s0, 4, v41
	v_mov_b32_e32 v1, 0xff7fffff
	v_lshlrev_b32_e32 v7, 2, v41
	s_wait_loadcnt_dscnt 0x0
	s_barrier_signal -1
	s_barrier_wait -1
	global_inv scope:SCOPE_SE
	s_and_saveexec_b32 s1, s0
; %bb.16:
	ds_load_b32 v1, v7 offset:256
; %bb.17:
	s_or_b32 exec_lo, exec_lo, s1
	s_wait_dscnt 0x0
	ds_bpermute_b32 v3, v42, v1
	v_xor_b32_e32 v8, 1, v37
	v_max_num_f32_e32 v1, v1, v1
	s_delay_alu instid0(VALU_DEP_2) | instskip(NEXT) | instid1(VALU_DEP_1)
	v_cmp_lt_i32_e64 s1, v8, v43
	v_cndmask_b32_e64 v8, v37, v8, s1
	s_sub_co_i32 s1, s17, s30
	s_wait_alu 0xfffe
	s_lshl_b32 s1, s1, 4
	s_delay_alu instid0(VALU_DEP_1)
	v_dual_mov_b32 v8, 0 :: v_dual_lshlrev_b32 v43, 2, v8
	s_wait_alu 0xfffe
	s_add_co_i32 s1, s1, s26
	s_wait_alu 0xfffe
	s_min_i32 s1, s1, s25
	s_wait_dscnt 0x0
	v_max_num_f32_e32 v3, v3, v3
	s_wait_alu 0xfffe
	s_sub_co_i32 s5, s1, s26
	s_wait_alu 0xfffe
	v_cmp_gt_i32_e64 s1, s5, v0
	v_max_num_f32_e32 v1, v1, v3
	ds_bpermute_b32 v3, v43, v1
	s_wait_dscnt 0x0
	v_max_num_f32_e32 v3, v3, v3
	s_delay_alu instid0(VALU_DEP_1)
	v_max_num_f32_e32 v1, v1, v3
	v_lshlrev_b32_e32 v3, 2, v38
	ds_bpermute_b32 v1, v3, v1
	v_lshl_add_u32 v3, v0, 2, 0x120
	s_and_saveexec_b32 s15, s1
	s_cbranch_execz .LBB37_21
; %bb.18:
	v_lshl_add_u32 v9, v0, 2, 0x120
	v_mov_b32_e32 v8, 0
	v_mov_b32_e32 v10, v0
	s_mov_b32 s30, 0
.LBB37_19:                              ; =>This Inner Loop Header: Depth=1
	ds_load_b32 v11, v9
	v_add_nc_u32_e32 v10, 0x80, v10
	s_delay_alu instid0(VALU_DEP_1) | instskip(SKIP_4) | instid1(VALU_DEP_1)
	v_cmp_le_i32_e64 s4, s5, v10
	s_wait_alu 0xfffe
	s_or_b32 s30, s4, s30
	s_wait_dscnt 0x0
	v_sub_f32_e32 v11, v11, v1
	v_mul_f32_e32 v11, 0x3fb8aa3b, v11
	s_delay_alu instid0(VALU_DEP_1)
	v_exp_f32_e32 v11, v11
	ds_store_b32 v9, v11
	v_dual_add_f32 v8, v8, v11 :: v_dual_add_nc_u32 v9, 0x200, v9
	s_wait_alu 0xfffe
	s_and_not1_b32 exec_lo, exec_lo, s30
	s_cbranch_execnz .LBB37_19
; %bb.20:
	s_or_b32 exec_lo, exec_lo, s30
.LBB37_21:
	s_wait_alu 0xfffe
	s_or_b32 exec_lo, exec_lo, s15
	ds_bpermute_b32 v2, v2, v8
	s_wait_dscnt 0x0
	v_add_f32_e32 v2, v8, v2
	ds_bpermute_b32 v4, v4, v2
	s_wait_dscnt 0x0
	v_add_f32_e32 v2, v2, v4
	;; [unrolled: 3-line block ×5, first 2 shown]
	s_and_saveexec_b32 s4, vcc_lo
; %bb.22:
	ds_store_b32 v6, v2 offset:272
; %bb.23:
	s_wait_alu 0xfffe
	s_or_b32 exec_lo, exec_lo, s4
	s_wait_loadcnt_dscnt 0x0
	s_barrier_signal -1
	s_barrier_wait -1
	global_inv scope:SCOPE_SE
	s_and_saveexec_b32 s4, s0
; %bb.24:
	ds_load_b32 v2, v7 offset:272
; %bb.25:
	s_wait_alu 0xfffe
	s_or_b32 exec_lo, exec_lo, s4
	s_wait_dscnt 0x0
	ds_bpermute_b32 v4, v42, v2
	s_wait_dscnt 0x0
	v_dual_add_f32 v2, v2, v4 :: v_dual_lshlrev_b32 v5, 2, v37
	ds_bpermute_b32 v4, v43, v2
	s_wait_dscnt 0x0
	v_add_f32_e32 v2, v2, v4
	v_and_b32_e32 v4, 0xffffff80, v5
	ds_bpermute_b32 v2, v4, v2
	s_and_saveexec_b32 s0, s1
	s_cbranch_execz .LBB37_28
; %bb.26:
	s_wait_dscnt 0x0
	v_add_f32_e32 v4, 0x358637bd, v2
	s_mov_b32 s1, 0
	s_delay_alu instid0(VALU_DEP_1) | instskip(SKIP_1) | instid1(VALU_DEP_2)
	v_div_scale_f32 v5, null, v4, v4, 1.0
	v_div_scale_f32 v8, vcc_lo, 1.0, v4, 1.0
	v_rcp_f32_e32 v6, v5
	s_delay_alu instid0(TRANS32_DEP_1) | instskip(NEXT) | instid1(VALU_DEP_1)
	v_fma_f32 v7, -v5, v6, 1.0
	v_fmac_f32_e32 v6, v7, v6
	s_delay_alu instid0(VALU_DEP_1) | instskip(NEXT) | instid1(VALU_DEP_1)
	v_mul_f32_e32 v7, v8, v6
	v_fma_f32 v9, -v5, v7, v8
	s_delay_alu instid0(VALU_DEP_1) | instskip(NEXT) | instid1(VALU_DEP_1)
	v_fmac_f32_e32 v7, v9, v6
	v_fma_f32 v5, -v5, v7, v8
	s_wait_alu 0xfffd
	s_delay_alu instid0(VALU_DEP_1) | instskip(NEXT) | instid1(VALU_DEP_1)
	v_div_fmas_f32 v5, v5, v6, v7
	v_div_fixup_f32 v4, v5, v4, 1.0
	v_mov_b32_e32 v5, v0
.LBB37_27:                              ; =>This Inner Loop Header: Depth=1
	ds_load_b32 v6, v3
	s_wait_dscnt 0x0
	v_dual_mul_f32 v6, v4, v6 :: v_dual_add_nc_u32 v5, 0x80, v5
	s_delay_alu instid0(VALU_DEP_1)
	v_cmp_le_i32_e32 vcc_lo, s5, v5
	ds_store_b32 v3, v6
	v_add_nc_u32_e32 v3, 0x200, v3
	s_wait_alu 0xfffe
	s_or_b32 s1, vcc_lo, s1
	s_wait_alu 0xfffe
	s_and_not1_b32 exec_lo, exec_lo, s1
	s_cbranch_execnz .LBB37_27
.LBB37_28:
	s_wait_alu 0xfffe
	s_or_b32 exec_lo, exec_lo, s0
	s_wait_kmcnt 0x0
	s_mul_i32 s0, s12, s27
	s_wait_loadcnt_dscnt 0x0
	s_wait_alu 0xfffe
	s_mul_i32 s4, s0, s28
	s_mov_b32 s0, exec_lo
	s_barrier_signal -1
	s_barrier_wait -1
	global_inv scope:SCOPE_SE
	v_cmpx_eq_u32_e32 0, v0
	s_cbranch_execz .LBB37_30
; %bb.29:
	s_wait_alu 0xfffe
	s_ashr_i32 s5, s4, 31
	s_mul_i32 s30, s12, ttmp9
	s_lshl_b32 s1, s24, 2
	s_wait_alu 0xfffe
	s_lshl_b64 s[34:35], s[4:5], 2
	s_ashr_i32 s31, s30, 31
	v_mov_b32_e32 v3, s1
	s_add_nc_u64 s[10:11], s[10:11], s[34:35]
	s_wait_alu 0xfffe
	s_lshl_b64 s[30:31], s[30:31], 2
	s_add_nc_u64 s[8:9], s[8:9], s[34:35]
	s_wait_alu 0xfffe
	s_add_nc_u64 s[10:11], s[10:11], s[30:31]
	s_add_nc_u64 s[8:9], s[8:9], s[30:31]
	s_clause 0x1
	global_store_b32 v3, v1, s[10:11]
	global_store_b32 v3, v2, s[8:9]
.LBB37_30:
	s_wait_alu 0xfffe
	s_or_b32 exec_lo, exec_lo, s0
	v_dual_mov_b32 v50, 0 :: v_dual_mov_b32 v51, 0
	v_dual_mov_b32 v49, 0 :: v_dual_and_b32 v44, 3, v0
	v_dual_mov_b32 v52, 0 :: v_dual_mov_b32 v47, 0
	v_dual_mov_b32 v48, 0 :: v_dual_mov_b32 v45, 0
	v_mov_b32_e32 v46, 0
	s_and_saveexec_b32 s1, s3
	s_cbranch_execz .LBB37_50
; %bb.31:
	v_dual_mov_b32 v46, 0 :: v_dual_lshlrev_b32 v1, 4, v0
	s_ashr_i32 s15, s14, 31
	v_dual_mov_b32 v48, 0 :: v_dual_lshlrev_b32 v3, 4, v44
	s_delay_alu instid0(VALU_DEP_2)
	v_dual_mov_b32 v52, 0 :: v_dual_and_b32 v1, 0x1f0, v1
	s_wait_alu 0xfffe
	s_lshl_b64 s[8:9], s[14:15], 2
	v_dual_mov_b32 v45, 0 :: v_dual_and_b32 v2, 12, v35
	s_add_nc_u64 s[8:9], s[22:23], s[8:9]
	v_lshl_add_u32 v4, v39, 4, s26
	v_add_co_u32 v53, s0, s8, v1
	s_wait_alu 0xf1ff
	v_add_co_ci_u32_e64 v54, null, s9, 0, s0
	s_lshl_b64 s[8:9], s[18:19], 2
	v_lshl_or_b32 v3, v39, 6, v3
	s_wait_alu 0xfffe
	s_add_nc_u64 s[8:9], s[20:21], s[8:9]
	v_add3_u32 v55, v4, v2, 3
	s_wait_alu 0xfffe
	v_add_co_u32 v37, s0, s8, v36
	v_dual_mov_b32 v47, 0 :: v_dual_add_nc_u32 v56, 0x120, v3
	s_wait_alu 0xf1ff
	v_add_co_ci_u32_e64 v38, null, s9, 0, s0
	v_dual_mov_b32 v49, 0 :: v_dual_mov_b32 v50, 0
	v_mov_b32_e32 v51, 0
	s_mov_b32 s3, s13
	s_add_co_i32 s29, s29, -1
	s_mov_b32 s5, 0
	s_branch .LBB37_33
.LBB37_32:                              ;   in Loop: Header=BB37_33 Depth=1
	s_wait_alu 0xfffe
	s_or_b32 exec_lo, exec_lo, s0
	s_wait_loadcnt_dscnt 0x300
	v_mul_f32_e32 v21, v1, v21
	v_mul_f32_e32 v9, v1, v9
	;; [unrolled: 1-line block ×3, first 2 shown]
	s_wait_loadcnt 0x1
	v_dual_mul_f32 v29, v1, v29 :: v_dual_add_nc_u32 v40, 4, v40
	v_fmac_f32_e32 v21, v2, v22
	v_fmac_f32_e32 v9, v2, v10
	;; [unrolled: 1-line block ×3, first 2 shown]
	v_dual_mul_f32 v25, v1, v25 :: v_dual_add_nc_u32 v56, 0x100, v56
	s_delay_alu instid0(VALU_DEP_4)
	v_fmac_f32_e32 v21, v3, v23
	v_mul_f32_e32 v17, v1, v17
	v_mul_f32_e32 v13, v1, v13
	s_wait_loadcnt 0x0
	v_mul_f32_e32 v1, v1, v33
	v_fmac_f32_e32 v9, v3, v11
	v_fmac_f32_e32 v21, v4, v24
	;; [unrolled: 1-line block ×5, first 2 shown]
	s_delay_alu instid0(VALU_DEP_4)
	v_dual_fmac_f32 v13, v2, v14 :: v_dual_add_f32 v48, v48, v21
	v_fmac_f32_e32 v1, v2, v34
	v_fmac_f32_e32 v9, v4, v12
	;; [unrolled: 1-line block ×7, first 2 shown]
	v_dual_fmac_f32 v1, v3, v35 :: v_dual_add_f32 v52, v52, v9
	s_delay_alu instid0(VALU_DEP_4) | instskip(SKIP_3) | instid1(VALU_DEP_4)
	v_dual_add_f32 v50, v50, v5 :: v_dual_fmac_f32 v29, v4, v32
	v_fmac_f32_e32 v25, v3, v27
	v_fmac_f32_e32 v17, v4, v20
	;; [unrolled: 1-line block ×3, first 2 shown]
	v_dual_fmac_f32 v1, v4, v36 :: v_dual_add_f32 v46, v46, v29
	s_delay_alu instid0(VALU_DEP_4) | instskip(SKIP_3) | instid1(VALU_DEP_4)
	v_fmac_f32_e32 v25, v4, v28
	v_cmp_le_i32_e32 vcc_lo, s17, v40
	v_add_co_u32 v37, s0, v37, 16
	v_add_f32_e32 v49, v49, v17
	v_add_f32_e32 v47, v47, v25
	;; [unrolled: 1-line block ×4, first 2 shown]
	v_add_nc_u32_e32 v55, 64, v55
	s_wait_alu 0xf1ff
	v_add_co_ci_u32_e64 v38, null, 0, v38, s0
	s_or_b32 s5, vcc_lo, s5
	s_wait_alu 0xfffe
	s_and_not1_b32 exec_lo, exec_lo, s5
	s_cbranch_execz .LBB37_49
.LBB37_33:                              ; =>This Inner Loop Header: Depth=1
	global_load_b32 v1, v[37:38], off
	v_add_nc_u32_e32 v57, -3, v55
	v_add_nc_u32_e32 v59, -2, v55
	;; [unrolled: 1-line block ×3, first 2 shown]
	s_wait_loadcnt 0x0
	s_wait_alu 0xfffe
	v_mad_co_i64_i32 v[1:2], null, v1, s3, 0
	s_delay_alu instid0(VALU_DEP_1) | instskip(NEXT) | instid1(VALU_DEP_1)
	v_lshlrev_b64_e32 v[1:2], 2, v[1:2]
	v_add_co_u32 v33, vcc_lo, v53, v1
	s_wait_alu 0xfffd
	s_delay_alu instid0(VALU_DEP_2)
	v_add_co_ci_u32_e64 v34, null, v54, v2, vcc_lo
	ds_load_b128 v[1:4], v56
	v_cmp_eq_u32_e32 vcc_lo, s29, v40
	global_load_b128 v[5:8], v[33:34], off
	s_and_saveexec_b32 s8, vcc_lo
	s_cbranch_execnz .LBB37_41
; %bb.34:                               ;   in Loop: Header=BB37_33 Depth=1
	s_wait_alu 0xfffe
	s_or_b32 exec_lo, exec_lo, s8
	global_load_b128 v[9:12], v[33:34], off offset:512
	s_and_saveexec_b32 s8, vcc_lo
	s_cbranch_execnz .LBB37_42
.LBB37_35:                              ;   in Loop: Header=BB37_33 Depth=1
	s_wait_alu 0xfffe
	s_or_b32 exec_lo, exec_lo, s8
	global_load_b128 v[13:16], v[33:34], off offset:1024
	s_and_saveexec_b32 s8, vcc_lo
	s_cbranch_execnz .LBB37_43
.LBB37_36:                              ;   in Loop: Header=BB37_33 Depth=1
	s_wait_alu 0xfffe
	s_or_b32 exec_lo, exec_lo, s8
	global_load_b128 v[17:20], v[33:34], off offset:1536
	s_and_saveexec_b32 s8, vcc_lo
	s_cbranch_execnz .LBB37_44
.LBB37_37:                              ;   in Loop: Header=BB37_33 Depth=1
	s_wait_alu 0xfffe
	s_or_b32 exec_lo, exec_lo, s8
	global_load_b128 v[21:24], v[33:34], off offset:2048
	s_and_saveexec_b32 s8, vcc_lo
	s_cbranch_execnz .LBB37_45
.LBB37_38:                              ;   in Loop: Header=BB37_33 Depth=1
	s_wait_alu 0xfffe
	s_or_b32 exec_lo, exec_lo, s8
	global_load_b128 v[25:28], v[33:34], off offset:2560
	s_and_saveexec_b32 s8, vcc_lo
	s_cbranch_execnz .LBB37_46
.LBB37_39:                              ;   in Loop: Header=BB37_33 Depth=1
	s_wait_alu 0xfffe
	s_or_b32 exec_lo, exec_lo, s8
	global_load_b128 v[29:32], v[33:34], off offset:3072
	s_and_saveexec_b32 s8, vcc_lo
	s_cbranch_execnz .LBB37_47
.LBB37_40:                              ;   in Loop: Header=BB37_33 Depth=1
	s_wait_alu 0xfffe
	s_or_b32 exec_lo, exec_lo, s8
	global_load_b128 v[33:36], v[33:34], off offset:3584
	s_and_saveexec_b32 s0, vcc_lo
	s_cbranch_execz .LBB37_32
	s_branch .LBB37_48
.LBB37_41:                              ;   in Loop: Header=BB37_33 Depth=1
	v_cmp_gt_i32_e64 s0, s25, v57
	s_wait_loadcnt 0x0
	s_wait_alu 0xf1ff
	s_delay_alu instid0(VALU_DEP_1) | instskip(SKIP_2) | instid1(VALU_DEP_1)
	v_cndmask_b32_e64 v5, 0, v5, s0
	v_cmp_gt_i32_e64 s0, s25, v59
	s_wait_alu 0xf1ff
	v_cndmask_b32_e64 v6, 0, v6, s0
	v_cmp_gt_i32_e64 s0, s25, v58
	s_wait_alu 0xf1ff
	s_delay_alu instid0(VALU_DEP_1) | instskip(SKIP_2) | instid1(VALU_DEP_1)
	v_cndmask_b32_e64 v7, 0, v7, s0
	v_cmp_gt_i32_e64 s0, s25, v55
	s_wait_alu 0xf1ff
	v_cndmask_b32_e64 v8, 0, v8, s0
	s_wait_alu 0xfffe
	s_or_b32 exec_lo, exec_lo, s8
	global_load_b128 v[9:12], v[33:34], off offset:512
	s_and_saveexec_b32 s8, vcc_lo
	s_cbranch_execz .LBB37_35
.LBB37_42:                              ;   in Loop: Header=BB37_33 Depth=1
	v_cmp_gt_i32_e64 s0, s25, v57
	s_wait_loadcnt 0x0
	s_wait_alu 0xf1ff
	s_delay_alu instid0(VALU_DEP_1) | instskip(SKIP_2) | instid1(VALU_DEP_1)
	v_cndmask_b32_e64 v9, 0, v9, s0
	v_cmp_gt_i32_e64 s0, s25, v59
	s_wait_alu 0xf1ff
	v_cndmask_b32_e64 v10, 0, v10, s0
	v_cmp_gt_i32_e64 s0, s25, v58
	s_wait_alu 0xf1ff
	s_delay_alu instid0(VALU_DEP_1) | instskip(SKIP_2) | instid1(VALU_DEP_1)
	v_cndmask_b32_e64 v11, 0, v11, s0
	v_cmp_gt_i32_e64 s0, s25, v55
	s_wait_alu 0xf1ff
	v_cndmask_b32_e64 v12, 0, v12, s0
	s_wait_alu 0xfffe
	s_or_b32 exec_lo, exec_lo, s8
	global_load_b128 v[13:16], v[33:34], off offset:1024
	s_and_saveexec_b32 s8, vcc_lo
	s_cbranch_execz .LBB37_36
.LBB37_43:                              ;   in Loop: Header=BB37_33 Depth=1
	v_cmp_gt_i32_e64 s0, s25, v57
	s_wait_loadcnt 0x0
	s_wait_alu 0xf1ff
	s_delay_alu instid0(VALU_DEP_1) | instskip(SKIP_2) | instid1(VALU_DEP_1)
	v_cndmask_b32_e64 v13, 0, v13, s0
	v_cmp_gt_i32_e64 s0, s25, v59
	s_wait_alu 0xf1ff
	v_cndmask_b32_e64 v14, 0, v14, s0
	v_cmp_gt_i32_e64 s0, s25, v58
	s_wait_alu 0xf1ff
	s_delay_alu instid0(VALU_DEP_1) | instskip(SKIP_2) | instid1(VALU_DEP_1)
	v_cndmask_b32_e64 v15, 0, v15, s0
	v_cmp_gt_i32_e64 s0, s25, v55
	s_wait_alu 0xf1ff
	v_cndmask_b32_e64 v16, 0, v16, s0
	s_wait_alu 0xfffe
	s_or_b32 exec_lo, exec_lo, s8
	global_load_b128 v[17:20], v[33:34], off offset:1536
	s_and_saveexec_b32 s8, vcc_lo
	s_cbranch_execz .LBB37_37
.LBB37_44:                              ;   in Loop: Header=BB37_33 Depth=1
	v_cmp_gt_i32_e64 s0, s25, v57
	s_wait_loadcnt 0x0
	s_wait_alu 0xf1ff
	s_delay_alu instid0(VALU_DEP_1) | instskip(SKIP_2) | instid1(VALU_DEP_1)
	v_cndmask_b32_e64 v17, 0, v17, s0
	v_cmp_gt_i32_e64 s0, s25, v59
	s_wait_alu 0xf1ff
	v_cndmask_b32_e64 v18, 0, v18, s0
	v_cmp_gt_i32_e64 s0, s25, v58
	s_wait_alu 0xf1ff
	s_delay_alu instid0(VALU_DEP_1) | instskip(SKIP_2) | instid1(VALU_DEP_1)
	v_cndmask_b32_e64 v19, 0, v19, s0
	v_cmp_gt_i32_e64 s0, s25, v55
	s_wait_alu 0xf1ff
	v_cndmask_b32_e64 v20, 0, v20, s0
	s_wait_alu 0xfffe
	s_or_b32 exec_lo, exec_lo, s8
	global_load_b128 v[21:24], v[33:34], off offset:2048
	s_and_saveexec_b32 s8, vcc_lo
	s_cbranch_execz .LBB37_38
.LBB37_45:                              ;   in Loop: Header=BB37_33 Depth=1
	v_cmp_gt_i32_e64 s0, s25, v57
	s_wait_loadcnt 0x0
	s_wait_alu 0xf1ff
	s_delay_alu instid0(VALU_DEP_1) | instskip(SKIP_2) | instid1(VALU_DEP_1)
	v_cndmask_b32_e64 v21, 0, v21, s0
	v_cmp_gt_i32_e64 s0, s25, v59
	s_wait_alu 0xf1ff
	v_cndmask_b32_e64 v22, 0, v22, s0
	v_cmp_gt_i32_e64 s0, s25, v58
	s_wait_alu 0xf1ff
	s_delay_alu instid0(VALU_DEP_1) | instskip(SKIP_2) | instid1(VALU_DEP_1)
	v_cndmask_b32_e64 v23, 0, v23, s0
	v_cmp_gt_i32_e64 s0, s25, v55
	s_wait_alu 0xf1ff
	v_cndmask_b32_e64 v24, 0, v24, s0
	s_wait_alu 0xfffe
	s_or_b32 exec_lo, exec_lo, s8
	global_load_b128 v[25:28], v[33:34], off offset:2560
	s_and_saveexec_b32 s8, vcc_lo
	s_cbranch_execz .LBB37_39
.LBB37_46:                              ;   in Loop: Header=BB37_33 Depth=1
	v_cmp_gt_i32_e64 s0, s25, v57
	s_wait_loadcnt 0x0
	s_wait_alu 0xf1ff
	s_delay_alu instid0(VALU_DEP_1) | instskip(SKIP_2) | instid1(VALU_DEP_1)
	v_cndmask_b32_e64 v25, 0, v25, s0
	v_cmp_gt_i32_e64 s0, s25, v59
	s_wait_alu 0xf1ff
	v_cndmask_b32_e64 v26, 0, v26, s0
	v_cmp_gt_i32_e64 s0, s25, v58
	s_wait_alu 0xf1ff
	s_delay_alu instid0(VALU_DEP_1) | instskip(SKIP_2) | instid1(VALU_DEP_1)
	v_cndmask_b32_e64 v27, 0, v27, s0
	v_cmp_gt_i32_e64 s0, s25, v55
	s_wait_alu 0xf1ff
	v_cndmask_b32_e64 v28, 0, v28, s0
	s_wait_alu 0xfffe
	s_or_b32 exec_lo, exec_lo, s8
	global_load_b128 v[29:32], v[33:34], off offset:3072
	s_and_saveexec_b32 s8, vcc_lo
	s_cbranch_execz .LBB37_40
.LBB37_47:                              ;   in Loop: Header=BB37_33 Depth=1
	v_cmp_gt_i32_e64 s0, s25, v57
	s_wait_loadcnt 0x0
	s_wait_alu 0xf1ff
	s_delay_alu instid0(VALU_DEP_1) | instskip(SKIP_2) | instid1(VALU_DEP_1)
	v_cndmask_b32_e64 v29, 0, v29, s0
	v_cmp_gt_i32_e64 s0, s25, v59
	s_wait_alu 0xf1ff
	v_cndmask_b32_e64 v30, 0, v30, s0
	v_cmp_gt_i32_e64 s0, s25, v58
	s_wait_alu 0xf1ff
	s_delay_alu instid0(VALU_DEP_1) | instskip(SKIP_2) | instid1(VALU_DEP_1)
	v_cndmask_b32_e64 v31, 0, v31, s0
	v_cmp_gt_i32_e64 s0, s25, v55
	s_wait_alu 0xf1ff
	v_cndmask_b32_e64 v32, 0, v32, s0
	s_wait_alu 0xfffe
	s_or_b32 exec_lo, exec_lo, s8
	global_load_b128 v[33:36], v[33:34], off offset:3584
	s_and_saveexec_b32 s0, vcc_lo
	s_cbranch_execz .LBB37_32
.LBB37_48:                              ;   in Loop: Header=BB37_33 Depth=1
	v_cmp_gt_i32_e32 vcc_lo, s25, v57
	s_wait_loadcnt 0x0
	s_wait_alu 0xfffd
	v_cndmask_b32_e32 v33, 0, v33, vcc_lo
	v_cmp_gt_i32_e32 vcc_lo, s25, v59
	s_wait_alu 0xfffd
	v_cndmask_b32_e32 v34, 0, v34, vcc_lo
	v_cmp_gt_i32_e32 vcc_lo, s25, v58
	;; [unrolled: 3-line block ×3, first 2 shown]
	s_wait_alu 0xfffd
	v_cndmask_b32_e32 v36, 0, v36, vcc_lo
	s_branch .LBB37_32
.LBB37_49:
	s_or_b32 exec_lo, exec_lo, s5
.LBB37_50:
	s_wait_alu 0xfffe
	s_or_b32 exec_lo, exec_lo, s1
	ds_bpermute_b32 v1, v42, v50
	ds_bpermute_b32 v2, v42, v52
	;; [unrolled: 1-line block ×8, first 2 shown]
	v_lshrrev_b32_e32 v9, 2, v41
	s_mov_b32 s0, exec_lo
	s_wait_storecnt 0x0
	s_wait_loadcnt_dscnt 0x0
	s_barrier_signal -1
	s_barrier_wait -1
	global_inv scope:SCOPE_SE
	v_dual_add_f32 v1, v50, v1 :: v_dual_add_f32 v2, v52, v2
	v_dual_add_f32 v3, v51, v3 :: v_dual_add_f32 v4, v49, v4
	;; [unrolled: 1-line block ×4, first 2 shown]
	ds_bpermute_b32 v12, v43, v1
	ds_bpermute_b32 v13, v43, v2
	;; [unrolled: 1-line block ×8, first 2 shown]
	v_and_b32_e32 v10, 28, v41
	v_lshlrev_b32_e32 v11, 8, v39
	v_and_b32_e32 v20, 0x3c3, v0
	s_wait_dscnt 0x7
	s_delay_alu instid0(VALU_DEP_3)
	v_dual_add_f32 v1, v1, v12 :: v_dual_add_nc_u32 v10, 0x120, v10
	s_wait_dscnt 0x5
	v_dual_add_f32 v2, v2, v13 :: v_dual_add_f32 v3, v3, v14
	s_wait_dscnt 0x3
	v_dual_add_f32 v4, v4, v15 :: v_dual_add_f32 v5, v5, v16
	;; [unrolled: 2-line block ×3, first 2 shown]
	s_wait_dscnt 0x0
	v_add_f32_e32 v8, v8, v19
	v_cmpx_eq_u32_e32 64, v20
	s_cbranch_execz .LBB37_52
; %bb.51:
	v_add_nc_u32_e32 v12, v10, v11
	s_delay_alu instid0(VALU_DEP_1)
	v_add_nc_u32_e32 v13, 0xfffffe00, v12
	v_add_nc_u32_e32 v14, 0xfffffe20, v12
	;; [unrolled: 1-line block ×8, first 2 shown]
	ds_store_b32 v13, v1
	ds_store_b32 v14, v2
	;; [unrolled: 1-line block ×8, first 2 shown]
.LBB37_52:
	s_wait_alu 0xfffe
	s_or_b32 exec_lo, exec_lo, s0
	v_lshlrev_b32_e32 v9, 2, v9
	s_mov_b32 s1, exec_lo
	v_cmp_eq_u32_e32 vcc_lo, 0, v44
	s_wait_loadcnt_dscnt 0x0
	s_barrier_signal -1
	v_add3_u32 v9, 0x120, v11, v9
	s_barrier_wait -1
	global_inv scope:SCOPE_SE
	v_cmpx_gt_u32_e32 64, v0
	s_cbranch_execz .LBB37_63
; %bb.53:
	s_and_saveexec_b32 s0, vcc_lo
	s_cbranch_execnz .LBB37_79
; %bb.54:
	s_wait_alu 0xfffe
	s_or_b32 exec_lo, exec_lo, s0
	s_and_saveexec_b32 s0, vcc_lo
	s_cbranch_execnz .LBB37_80
.LBB37_55:
	s_wait_alu 0xfffe
	s_or_b32 exec_lo, exec_lo, s0
	s_and_saveexec_b32 s0, vcc_lo
	s_cbranch_execnz .LBB37_81
.LBB37_56:
	s_wait_alu 0xfffe
	s_or_b32 exec_lo, exec_lo, s0
	s_and_saveexec_b32 s0, vcc_lo
	s_cbranch_execnz .LBB37_82
.LBB37_57:
	s_wait_alu 0xfffe
	s_or_b32 exec_lo, exec_lo, s0
	s_and_saveexec_b32 s0, vcc_lo
	s_cbranch_execnz .LBB37_83
.LBB37_58:
	s_wait_alu 0xfffe
	s_or_b32 exec_lo, exec_lo, s0
	s_and_saveexec_b32 s0, vcc_lo
	s_cbranch_execnz .LBB37_84
.LBB37_59:
	s_wait_alu 0xfffe
	s_or_b32 exec_lo, exec_lo, s0
	s_and_saveexec_b32 s0, vcc_lo
	s_cbranch_execnz .LBB37_85
.LBB37_60:
	s_wait_alu 0xfffe
	s_or_b32 exec_lo, exec_lo, s0
	s_and_saveexec_b32 s0, vcc_lo
	s_cbranch_execz .LBB37_62
.LBB37_61:
	ds_load_b32 v11, v9 offset:224
	s_wait_dscnt 0x0
	v_add_f32_e32 v8, v8, v11
.LBB37_62:
	s_wait_alu 0xfffe
	s_or_b32 exec_lo, exec_lo, s0
.LBB37_63:
	s_wait_alu 0xfffe
	s_or_b32 exec_lo, exec_lo, s1
	v_and_b32_e32 v11, 0x3e3, v0
	s_mov_b32 s1, exec_lo
	s_wait_loadcnt 0x0
	s_barrier_signal -1
	s_barrier_wait -1
	global_inv scope:SCOPE_SE
	v_cmpx_eq_u32_e32 32, v11
	s_cbranch_execz .LBB37_65
; %bb.64:
	ds_store_2addr_b32 v10, v1, v2 offset1:8
	ds_store_2addr_b32 v10, v3, v4 offset0:16 offset1:24
	ds_store_2addr_b32 v10, v5, v6 offset0:32 offset1:40
	;; [unrolled: 1-line block ×3, first 2 shown]
.LBB37_65:
	s_wait_alu 0xfffe
	s_or_b32 exec_lo, exec_lo, s1
	s_wait_loadcnt_dscnt 0x0
	s_barrier_signal -1
	s_barrier_wait -1
	global_inv scope:SCOPE_SE
	s_and_saveexec_b32 s0, s2
	s_cbranch_execz .LBB37_76
; %bb.66:
	s_and_saveexec_b32 s1, vcc_lo
	s_cbranch_execnz .LBB37_86
; %bb.67:
	s_wait_alu 0xfffe
	s_or_b32 exec_lo, exec_lo, s1
	s_and_saveexec_b32 s1, vcc_lo
	s_cbranch_execnz .LBB37_87
.LBB37_68:
	s_wait_alu 0xfffe
	s_or_b32 exec_lo, exec_lo, s1
	s_and_saveexec_b32 s1, vcc_lo
	s_cbranch_execnz .LBB37_88
.LBB37_69:
	s_wait_alu 0xfffe
	s_or_b32 exec_lo, exec_lo, s1
	s_and_saveexec_b32 s1, vcc_lo
	s_cbranch_execnz .LBB37_89
.LBB37_70:
	s_wait_alu 0xfffe
	s_or_b32 exec_lo, exec_lo, s1
	s_and_saveexec_b32 s1, vcc_lo
	s_cbranch_execnz .LBB37_90
.LBB37_71:
	s_wait_alu 0xfffe
	s_or_b32 exec_lo, exec_lo, s1
	s_and_saveexec_b32 s1, vcc_lo
	s_cbranch_execnz .LBB37_91
.LBB37_72:
	s_wait_alu 0xfffe
	s_or_b32 exec_lo, exec_lo, s1
	s_and_saveexec_b32 s1, vcc_lo
	s_cbranch_execnz .LBB37_92
.LBB37_73:
	s_wait_alu 0xfffe
	s_or_b32 exec_lo, exec_lo, s1
	s_and_saveexec_b32 s1, vcc_lo
	s_cbranch_execz .LBB37_75
.LBB37_74:
	ds_load_b32 v9, v9 offset:224
	s_wait_dscnt 0x0
	v_add_f32_e32 v8, v8, v9
.LBB37_75:
	s_wait_alu 0xfffe
	s_or_b32 exec_lo, exec_lo, s1
.LBB37_76:
	s_wait_alu 0xfffe
	s_or_b32 exec_lo, exec_lo, s0
	s_mov_b32 s1, 0
	s_wait_loadcnt 0x0
	s_barrier_signal -1
	s_barrier_wait -1
	global_inv scope:SCOPE_SE
	s_mov_b32 s0, exec_lo
	v_cmpx_eq_u32_e32 0, v11
	s_cbranch_execz .LBB37_78
; %bb.77:
	s_lshl_b32 s2, s4, 6
	s_mul_i32 s4, s12, s16
	s_wait_alu 0xfffe
	s_ashr_i32 s3, s2, 31
	s_ashr_i32 s5, s4, 31
	s_wait_alu 0xfffe
	s_lshl_b64 s[2:3], s[2:3], 2
	s_lshl_b64 s[4:5], s[4:5], 2
	s_wait_alu 0xfffe
	s_add_nc_u64 s[2:3], s[6:7], s[2:3]
	s_lshl_b32 s0, s24, 8
	s_wait_alu 0xfffe
	s_add_nc_u64 s[2:3], s[2:3], s[4:5]
	s_wait_alu 0xfffe
	s_add_nc_u64 s[0:1], s[2:3], s[0:1]
	s_clause 0x7
	global_store_b32 v0, v1, s[0:1]
	global_store_b32 v0, v2, s[0:1] offset:32
	global_store_b32 v0, v3, s[0:1] offset:64
	;; [unrolled: 1-line block ×7, first 2 shown]
.LBB37_78:
	s_endpgm
.LBB37_79:
	ds_load_b32 v11, v9
	s_wait_dscnt 0x0
	v_add_f32_e32 v1, v1, v11
	s_wait_alu 0xfffe
	s_or_b32 exec_lo, exec_lo, s0
	s_and_saveexec_b32 s0, vcc_lo
	s_cbranch_execz .LBB37_55
.LBB37_80:
	ds_load_b32 v11, v9 offset:32
	s_wait_dscnt 0x0
	v_add_f32_e32 v2, v2, v11
	s_wait_alu 0xfffe
	s_or_b32 exec_lo, exec_lo, s0
	s_and_saveexec_b32 s0, vcc_lo
	s_cbranch_execz .LBB37_56
.LBB37_81:
	ds_load_b32 v11, v9 offset:64
	s_wait_dscnt 0x0
	v_add_f32_e32 v3, v3, v11
	s_wait_alu 0xfffe
	s_or_b32 exec_lo, exec_lo, s0
	s_and_saveexec_b32 s0, vcc_lo
	s_cbranch_execz .LBB37_57
.LBB37_82:
	ds_load_b32 v11, v9 offset:96
	s_wait_dscnt 0x0
	v_add_f32_e32 v4, v4, v11
	s_wait_alu 0xfffe
	s_or_b32 exec_lo, exec_lo, s0
	s_and_saveexec_b32 s0, vcc_lo
	s_cbranch_execz .LBB37_58
.LBB37_83:
	ds_load_b32 v11, v9 offset:128
	s_wait_dscnt 0x0
	v_add_f32_e32 v5, v5, v11
	s_wait_alu 0xfffe
	s_or_b32 exec_lo, exec_lo, s0
	s_and_saveexec_b32 s0, vcc_lo
	s_cbranch_execz .LBB37_59
.LBB37_84:
	ds_load_b32 v11, v9 offset:160
	s_wait_dscnt 0x0
	v_add_f32_e32 v6, v6, v11
	s_wait_alu 0xfffe
	s_or_b32 exec_lo, exec_lo, s0
	s_and_saveexec_b32 s0, vcc_lo
	s_cbranch_execz .LBB37_60
.LBB37_85:
	ds_load_b32 v11, v9 offset:192
	s_wait_dscnt 0x0
	v_add_f32_e32 v7, v7, v11
	s_wait_alu 0xfffe
	s_or_b32 exec_lo, exec_lo, s0
	s_and_saveexec_b32 s0, vcc_lo
	s_cbranch_execnz .LBB37_61
	s_branch .LBB37_62
.LBB37_86:
	ds_load_b32 v10, v9
	s_wait_dscnt 0x0
	v_add_f32_e32 v1, v1, v10
	s_wait_alu 0xfffe
	s_or_b32 exec_lo, exec_lo, s1
	s_and_saveexec_b32 s1, vcc_lo
	s_cbranch_execz .LBB37_68
.LBB37_87:
	ds_load_b32 v10, v9 offset:32
	s_wait_dscnt 0x0
	v_add_f32_e32 v2, v2, v10
	s_wait_alu 0xfffe
	s_or_b32 exec_lo, exec_lo, s1
	s_and_saveexec_b32 s1, vcc_lo
	s_cbranch_execz .LBB37_69
.LBB37_88:
	ds_load_b32 v10, v9 offset:64
	s_wait_dscnt 0x0
	v_add_f32_e32 v3, v3, v10
	s_wait_alu 0xfffe
	s_or_b32 exec_lo, exec_lo, s1
	s_and_saveexec_b32 s1, vcc_lo
	s_cbranch_execz .LBB37_70
.LBB37_89:
	ds_load_b32 v10, v9 offset:96
	s_wait_dscnt 0x0
	v_add_f32_e32 v4, v4, v10
	s_wait_alu 0xfffe
	s_or_b32 exec_lo, exec_lo, s1
	s_and_saveexec_b32 s1, vcc_lo
	s_cbranch_execz .LBB37_71
.LBB37_90:
	ds_load_b32 v10, v9 offset:128
	s_wait_dscnt 0x0
	v_add_f32_e32 v5, v5, v10
	s_wait_alu 0xfffe
	s_or_b32 exec_lo, exec_lo, s1
	s_and_saveexec_b32 s1, vcc_lo
	s_cbranch_execz .LBB37_72
.LBB37_91:
	ds_load_b32 v10, v9 offset:160
	s_wait_dscnt 0x0
	v_add_f32_e32 v6, v6, v10
	s_wait_alu 0xfffe
	s_or_b32 exec_lo, exec_lo, s1
	s_and_saveexec_b32 s1, vcc_lo
	s_cbranch_execz .LBB37_73
.LBB37_92:
	ds_load_b32 v10, v9 offset:192
	s_wait_dscnt 0x0
	v_add_f32_e32 v7, v7, v10
	s_wait_alu 0xfffe
	s_or_b32 exec_lo, exec_lo, s1
	s_and_saveexec_b32 s1, vcc_lo
	s_cbranch_execnz .LBB37_74
	s_branch .LBB37_75
	.section	.rodata,"a",@progbits
	.p2align	6, 0x0
	.amdhsa_kernel _ZN4vllm25paged_attention_v2_kernelIffLi64ELi16ELi128ELNS_18Fp8KVCacheDataTypeE0ELb0ELi512EEEvPfS2_PT_PKS3_PKT0_S9_ifPKiSB_iPKfiiiSD_SD_iiiii
		.amdhsa_group_segment_fixed_size 288
		.amdhsa_private_segment_fixed_size 0
		.amdhsa_kernarg_size 400
		.amdhsa_user_sgpr_count 2
		.amdhsa_user_sgpr_dispatch_ptr 0
		.amdhsa_user_sgpr_queue_ptr 0
		.amdhsa_user_sgpr_kernarg_segment_ptr 1
		.amdhsa_user_sgpr_dispatch_id 0
		.amdhsa_user_sgpr_private_segment_size 0
		.amdhsa_wavefront_size32 1
		.amdhsa_uses_dynamic_stack 0
		.amdhsa_enable_private_segment 0
		.amdhsa_system_sgpr_workgroup_id_x 1
		.amdhsa_system_sgpr_workgroup_id_y 1
		.amdhsa_system_sgpr_workgroup_id_z 1
		.amdhsa_system_sgpr_workgroup_info 0
		.amdhsa_system_vgpr_workitem_id 0
		.amdhsa_next_free_vgpr 81
		.amdhsa_next_free_sgpr 36
		.amdhsa_reserve_vcc 1
		.amdhsa_float_round_mode_32 0
		.amdhsa_float_round_mode_16_64 0
		.amdhsa_float_denorm_mode_32 3
		.amdhsa_float_denorm_mode_16_64 3
		.amdhsa_fp16_overflow 0
		.amdhsa_workgroup_processor_mode 1
		.amdhsa_memory_ordered 1
		.amdhsa_forward_progress 1
		.amdhsa_inst_pref_size 48
		.amdhsa_round_robin_scheduling 0
		.amdhsa_exception_fp_ieee_invalid_op 0
		.amdhsa_exception_fp_denorm_src 0
		.amdhsa_exception_fp_ieee_div_zero 0
		.amdhsa_exception_fp_ieee_overflow 0
		.amdhsa_exception_fp_ieee_underflow 0
		.amdhsa_exception_fp_ieee_inexact 0
		.amdhsa_exception_int_div_zero 0
	.end_amdhsa_kernel
	.section	.text._ZN4vllm25paged_attention_v2_kernelIffLi64ELi16ELi128ELNS_18Fp8KVCacheDataTypeE0ELb0ELi512EEEvPfS2_PT_PKS3_PKT0_S9_ifPKiSB_iPKfiiiSD_SD_iiiii,"axG",@progbits,_ZN4vllm25paged_attention_v2_kernelIffLi64ELi16ELi128ELNS_18Fp8KVCacheDataTypeE0ELb0ELi512EEEvPfS2_PT_PKS3_PKT0_S9_ifPKiSB_iPKfiiiSD_SD_iiiii,comdat
.Lfunc_end37:
	.size	_ZN4vllm25paged_attention_v2_kernelIffLi64ELi16ELi128ELNS_18Fp8KVCacheDataTypeE0ELb0ELi512EEEvPfS2_PT_PKS3_PKT0_S9_ifPKiSB_iPKfiiiSD_SD_iiiii, .Lfunc_end37-_ZN4vllm25paged_attention_v2_kernelIffLi64ELi16ELi128ELNS_18Fp8KVCacheDataTypeE0ELb0ELi512EEEvPfS2_PT_PKS3_PKT0_S9_ifPKiSB_iPKfiiiSD_SD_iiiii
                                        ; -- End function
	.set _ZN4vllm25paged_attention_v2_kernelIffLi64ELi16ELi128ELNS_18Fp8KVCacheDataTypeE0ELb0ELi512EEEvPfS2_PT_PKS3_PKT0_S9_ifPKiSB_iPKfiiiSD_SD_iiiii.num_vgpr, 81
	.set _ZN4vllm25paged_attention_v2_kernelIffLi64ELi16ELi128ELNS_18Fp8KVCacheDataTypeE0ELb0ELi512EEEvPfS2_PT_PKS3_PKT0_S9_ifPKiSB_iPKfiiiSD_SD_iiiii.num_agpr, 0
	.set _ZN4vllm25paged_attention_v2_kernelIffLi64ELi16ELi128ELNS_18Fp8KVCacheDataTypeE0ELb0ELi512EEEvPfS2_PT_PKS3_PKT0_S9_ifPKiSB_iPKfiiiSD_SD_iiiii.numbered_sgpr, 36
	.set _ZN4vllm25paged_attention_v2_kernelIffLi64ELi16ELi128ELNS_18Fp8KVCacheDataTypeE0ELb0ELi512EEEvPfS2_PT_PKS3_PKT0_S9_ifPKiSB_iPKfiiiSD_SD_iiiii.num_named_barrier, 0
	.set _ZN4vllm25paged_attention_v2_kernelIffLi64ELi16ELi128ELNS_18Fp8KVCacheDataTypeE0ELb0ELi512EEEvPfS2_PT_PKS3_PKT0_S9_ifPKiSB_iPKfiiiSD_SD_iiiii.private_seg_size, 0
	.set _ZN4vllm25paged_attention_v2_kernelIffLi64ELi16ELi128ELNS_18Fp8KVCacheDataTypeE0ELb0ELi512EEEvPfS2_PT_PKS3_PKT0_S9_ifPKiSB_iPKfiiiSD_SD_iiiii.uses_vcc, 1
	.set _ZN4vllm25paged_attention_v2_kernelIffLi64ELi16ELi128ELNS_18Fp8KVCacheDataTypeE0ELb0ELi512EEEvPfS2_PT_PKS3_PKT0_S9_ifPKiSB_iPKfiiiSD_SD_iiiii.uses_flat_scratch, 0
	.set _ZN4vllm25paged_attention_v2_kernelIffLi64ELi16ELi128ELNS_18Fp8KVCacheDataTypeE0ELb0ELi512EEEvPfS2_PT_PKS3_PKT0_S9_ifPKiSB_iPKfiiiSD_SD_iiiii.has_dyn_sized_stack, 0
	.set _ZN4vllm25paged_attention_v2_kernelIffLi64ELi16ELi128ELNS_18Fp8KVCacheDataTypeE0ELb0ELi512EEEvPfS2_PT_PKS3_PKT0_S9_ifPKiSB_iPKfiiiSD_SD_iiiii.has_recursion, 0
	.set _ZN4vllm25paged_attention_v2_kernelIffLi64ELi16ELi128ELNS_18Fp8KVCacheDataTypeE0ELb0ELi512EEEvPfS2_PT_PKS3_PKT0_S9_ifPKiSB_iPKfiiiSD_SD_iiiii.has_indirect_call, 0
	.section	.AMDGPU.csdata,"",@progbits
; Kernel info:
; codeLenInByte = 6108
; TotalNumSgprs: 38
; NumVgprs: 81
; ScratchSize: 0
; MemoryBound: 0
; FloatMode: 240
; IeeeMode: 1
; LDSByteSize: 288 bytes/workgroup (compile time only)
; SGPRBlocks: 0
; VGPRBlocks: 10
; NumSGPRsForWavesPerEU: 38
; NumVGPRsForWavesPerEU: 81
; Occupancy: 16
; WaveLimiterHint : 1
; COMPUTE_PGM_RSRC2:SCRATCH_EN: 0
; COMPUTE_PGM_RSRC2:USER_SGPR: 2
; COMPUTE_PGM_RSRC2:TRAP_HANDLER: 0
; COMPUTE_PGM_RSRC2:TGID_X_EN: 1
; COMPUTE_PGM_RSRC2:TGID_Y_EN: 1
; COMPUTE_PGM_RSRC2:TGID_Z_EN: 1
; COMPUTE_PGM_RSRC2:TIDIG_COMP_CNT: 0
	.section	.text._ZN4vllm25paged_attention_v2_kernelIffLi80ELi16ELi128ELNS_18Fp8KVCacheDataTypeE0ELb0ELi512EEEvPfS2_PT_PKS3_PKT0_S9_ifPKiSB_iPKfiiiSD_SD_iiiii,"axG",@progbits,_ZN4vllm25paged_attention_v2_kernelIffLi80ELi16ELi128ELNS_18Fp8KVCacheDataTypeE0ELb0ELi512EEEvPfS2_PT_PKS3_PKT0_S9_ifPKiSB_iPKfiiiSD_SD_iiiii,comdat
	.protected	_ZN4vllm25paged_attention_v2_kernelIffLi80ELi16ELi128ELNS_18Fp8KVCacheDataTypeE0ELb0ELi512EEEvPfS2_PT_PKS3_PKT0_S9_ifPKiSB_iPKfiiiSD_SD_iiiii ; -- Begin function _ZN4vllm25paged_attention_v2_kernelIffLi80ELi16ELi128ELNS_18Fp8KVCacheDataTypeE0ELb0ELi512EEEvPfS2_PT_PKS3_PKT0_S9_ifPKiSB_iPKfiiiSD_SD_iiiii
	.globl	_ZN4vllm25paged_attention_v2_kernelIffLi80ELi16ELi128ELNS_18Fp8KVCacheDataTypeE0ELb0ELi512EEEvPfS2_PT_PKS3_PKT0_S9_ifPKiSB_iPKfiiiSD_SD_iiiii
	.p2align	8
	.type	_ZN4vllm25paged_attention_v2_kernelIffLi80ELi16ELi128ELNS_18Fp8KVCacheDataTypeE0ELb0ELi512EEEvPfS2_PT_PKS3_PKT0_S9_ifPKiSB_iPKfiiiSD_SD_iiiii,@function
_ZN4vllm25paged_attention_v2_kernelIffLi80ELi16ELi128ELNS_18Fp8KVCacheDataTypeE0ELb0ELi512EEEvPfS2_PT_PKS3_PKT0_S9_ifPKiSB_iPKfiiiSD_SD_iiiii: ; @_ZN4vllm25paged_attention_v2_kernelIffLi80ELi16ELi128ELNS_18Fp8KVCacheDataTypeE0ELb0ELi512EEEvPfS2_PT_PKS3_PKT0_S9_ifPKiSB_iPKfiiiSD_SD_iiiii
; %bb.0:
	s_load_b64 s[2:3], s[0:1], 0x40
	s_and_b32 s14, ttmp7, 0xffff
	s_lshr_b32 s24, ttmp7, 16
	s_lshl_b32 s4, s14, 2
	s_lshl_b32 s26, s24, 9
	s_wait_kmcnt 0x0
	s_load_b32 s25, s[2:3], s4 offset:0x0
	s_wait_kmcnt 0x0
	s_cmp_ge_i32 s26, s25
	s_cbranch_scc1 .LBB38_86
; %bb.1:
	s_clause 0x1
	s_load_b32 s15, s[0:1], 0x90
	s_load_b64 s[6:7], s[0:1], 0x30
	s_wait_kmcnt 0x0
	s_abs_i32 s5, s15
	s_abs_i32 s2, s6
	s_delay_alu instid0(SALU_CYCLE_1) | instskip(SKIP_1) | instid1(SALU_CYCLE_2)
	s_cvt_f32_u32 s3, s2
	s_sub_co_i32 s4, 0, s2
	v_rcp_iflag_f32_e32 v1, s3
	s_delay_alu instid0(TRANS32_DEP_1) | instskip(SKIP_2) | instid1(SALU_CYCLE_2)
	v_readfirstlane_b32 s3, v1
	s_mul_f32 s3, s3, 0x4f7ffffe
	s_wait_alu 0xfffe
	s_cvt_u32_f32 s3, s3
	s_wait_alu 0xfffe
	s_delay_alu instid0(SALU_CYCLE_2) | instskip(NEXT) | instid1(SALU_CYCLE_1)
	s_mul_i32 s4, s4, s3
	s_mul_hi_u32 s4, s3, s4
	s_delay_alu instid0(SALU_CYCLE_1)
	s_add_co_i32 s3, s3, s4
	s_xor_b32 s4, s15, s6
	s_wait_alu 0xfffe
	s_mul_hi_u32 s3, s5, s3
	s_ashr_i32 s4, s4, 31
	s_wait_alu 0xfffe
	s_mul_i32 s6, s3, s2
	s_delay_alu instid0(SALU_CYCLE_1)
	s_sub_co_i32 s5, s5, s6
	s_add_co_i32 s6, s3, 1
	s_sub_co_i32 s8, s5, s2
	s_cmp_ge_u32 s5, s2
	s_cselect_b32 s3, s6, s3
	s_cselect_b32 s5, s8, s5
	s_wait_alu 0xfffe
	s_add_co_i32 s6, s3, 1
	s_cmp_ge_u32 s5, s2
	s_load_b64 s[8:9], s[0:1], 0x50
	s_cselect_b32 s2, s6, s3
	s_mov_b32 s3, 0
	s_wait_alu 0xfffe
	s_xor_b32 s2, s2, s4
	s_mov_b32 s6, s3
	s_wait_alu 0xfffe
	s_sub_co_i32 s12, s2, s4
	s_delay_alu instid0(SALU_CYCLE_1) | instskip(NEXT) | instid1(SALU_CYCLE_1)
	s_abs_i32 s11, s12
	s_cvt_f32_u32 s2, s11
	s_wait_alu 0xfffe
	s_delay_alu instid0(SALU_CYCLE_2) | instskip(NEXT) | instid1(TRANS32_DEP_1)
	v_rcp_iflag_f32_e32 v1, s2
	v_readfirstlane_b32 s2, v1
	s_mul_f32 s2, s2, 0x4f7ffffe
	s_wait_alu 0xfffe
	s_delay_alu instid0(SALU_CYCLE_2) | instskip(SKIP_2) | instid1(SALU_CYCLE_1)
	s_cvt_u32_f32 s4, s2
	s_sub_co_i32 s2, 0, s11
	s_wait_alu 0xfffe
	s_mul_i32 s2, s2, s4
	s_wait_alu 0xfffe
	s_mul_hi_u32 s5, s4, s2
	s_abs_i32 s2, ttmp9
	s_add_co_i32 s4, s4, s5
	s_mov_b32 s5, s3
	s_wait_kmcnt 0x0
	s_cmp_eq_u64 s[8:9], 0
	s_cbranch_scc1 .LBB38_3
; %bb.2:
	s_mov_b32 s16, ttmp9
	s_ashr_i32 s17, ttmp9, 31
	s_delay_alu instid0(SALU_CYCLE_1) | instskip(NEXT) | instid1(SALU_CYCLE_1)
	s_lshl_b64 s[16:17], s[16:17], 2
	s_add_nc_u64 s[8:9], s[8:9], s[16:17]
	s_load_b32 s6, s[8:9], 0x0
.LBB38_3:
	s_load_b96 s[8:10], s[0:1], 0x58
	v_and_b32_e32 v41, 1, v0
	v_lshlrev_b32_e32 v1, 3, v0
	v_lshlrev_b32_e32 v43, 2, v0
	s_mul_u64 s[4:5], s[2:3], s[4:5]
	s_ashr_i32 s3, ttmp9, 31
	s_ashr_i32 s4, s12, 31
	s_mul_i32 s12, ttmp9, 0x50
	s_mov_b32 s16, exec_lo
	v_cmpx_gt_u32_e32 40, v0
	s_cbranch_execz .LBB38_5
; %bb.4:
	s_load_b64 s[18:19], s[0:1], 0x18
	s_wait_kmcnt 0x0
	s_mul_i32 s20, s8, s14
	s_ashr_i32 s13, s12, 31
	s_ashr_i32 s21, s20, 31
	v_and_b32_e32 v4, 0xff8, v43
	s_lshl_b64 s[20:21], s[20:21], 2
	s_delay_alu instid0(VALU_DEP_1) | instskip(SKIP_2) | instid1(SALU_CYCLE_1)
	v_mad_u32_u24 v4, 0xa0, v41, v4
	s_add_nc_u64 s[18:19], s[18:19], s[20:21]
	s_lshl_b64 s[20:21], s[12:13], 2
	s_add_nc_u64 s[18:19], s[18:19], s[20:21]
	global_load_b64 v[2:3], v1, s[18:19]
	s_wait_loadcnt 0x0
	ds_store_b64 v4, v[2:3]
.LBB38_5:
	s_or_b32 exec_lo, exec_lo, s16
	s_wait_kmcnt 0x0
	s_add_co_i32 s8, s25, 15
	s_wait_alu 0xfffe
	s_xor_b32 s3, s3, s4
	s_ashr_i32 s13, s8, 31
	s_lshl_b32 s28, s24, 5
	s_lshr_b32 s4, s13, 28
	s_mul_i32 s13, s5, s11
	s_add_co_i32 s8, s8, s4
	s_add_co_i32 s4, s28, 32
	s_ashr_i32 s27, s8, 4
	s_load_b32 s8, s[0:1], 0x48
	s_sub_co_i32 s2, s2, s13
	s_min_i32 s13, s4, s27
	s_add_co_i32 s4, s5, 1
	s_wait_alu 0xfffe
	s_sub_co_i32 s16, s2, s11
	s_cmp_ge_u32 s2, s11
	v_lshrrev_b32_e32 v47, 5, v0
	s_cselect_b32 s4, s4, s5
	s_cselect_b32 s2, s16, s2
	s_add_co_i32 s5, s4, 1
	s_wait_alu 0xfffe
	s_cmp_ge_u32 s2, s11
	v_or_b32_e32 v48, s28, v47
	s_cselect_b32 s2, s5, s4
	v_mbcnt_lo_u32_b32 v45, -1, 0
	s_wait_alu 0xfffe
	s_xor_b32 s2, s2, s3
	s_mov_b32 s4, exec_lo
	s_wait_alu 0xfffe
	s_sub_co_i32 s3, s2, s3
	v_cmp_gt_i32_e64 s2, s13, v48
	s_wait_dscnt 0x0
	s_barrier_signal -1
	s_wait_kmcnt 0x0
	s_mul_i32 s16, s8, s14
	s_barrier_wait -1
	s_ashr_i32 s17, s16, 31
	global_inv scope:SCOPE_SE
                                        ; implicit-def: $vgpr46
                                        ; implicit-def: $vgpr51
	v_cmpx_le_i32_e64 s13, v48
	s_xor_b32 s4, exec_lo, s4
; %bb.6:
	v_dual_mov_b32 v46, 0 :: v_dual_mov_b32 v51, 32
	v_mbcnt_lo_u32_b32 v45, -1, 0
                                        ; implicit-def: $vgpr1
                                        ; implicit-def: $vgpr41
; %bb.7:
	s_or_saveexec_b32 s11, s4
	s_clause 0x1
	s_load_b64 s[18:19], s[0:1], 0x38
	s_load_b32 s8, s[0:1], 0x98
	v_dual_mov_b32 v49, 0xff7fffff :: v_dual_lshlrev_b32 v44, 2, v48
	s_mul_i32 s20, s3, s10
	s_xor_b32 exec_lo, exec_lo, s11
	s_cbranch_execz .LBB38_13
; %bb.8:
	s_load_b64 s[4:5], s[0:1], 0x20
	v_bfe_u32 v42, v0, 1, 4
	s_ashr_i32 s21, s20, 31
	v_dual_mov_b32 v46, 0 :: v_dual_and_b32 v33, 8, v1
	s_lshl_b64 s[22:23], s[20:21], 2
	s_delay_alu instid0(VALU_DEP_2)
	v_lshlrev_b32_e32 v25, 4, v42
	v_xor_b32_e32 v34, 1, v45
	v_mul_u32_u24_e32 v37, 0xa0, v41
	ds_load_b128 v[1:4], v37
	ds_load_b128 v[5:8], v37 offset:16
	ds_load_b128 v[9:12], v37 offset:32
	ds_load_b128 v[13:16], v37 offset:48
	ds_load_b128 v[17:20], v37 offset:64
	ds_load_b128 v[21:24], v37 offset:80
	v_dual_mov_b32 v56, v48 :: v_dual_lshlrev_b32 v49, 2, v42
	s_cmp_neq_f32 s6, 0
	v_mov_b32_e32 v51, 32
	s_mov_b32 s21, s9
	s_delay_alu instid0(VALU_DEP_2)
	v_lshl_or_b32 v49, v47, 6, v49
	s_wait_kmcnt 0x0
	s_add_nc_u64 s[4:5], s[4:5], s[22:23]
	s_mov_b32 s10, 0
	v_add_co_u32 v35, s3, s4, v25
	s_wait_alu 0xf1ff
	v_add_co_ci_u32_e64 v36, null, s5, 0, s3
	ds_load_b128 v[25:28], v37 offset:96
	ds_load_b128 v[29:32], v37 offset:112
	v_add_co_u32 v50, vcc_lo, v35, v33
	s_delay_alu instid0(VALU_DEP_1)
	v_add_co_ci_u32_e64 v52, null, 0, v36, vcc_lo
	v_cmp_gt_i32_e32 vcc_lo, 32, v34
	s_cselect_b32 s3, -1, 0
	s_lshl_b64 s[4:5], s[16:17], 2
	v_lshlrev_b32_e32 v54, 4, v47
	s_wait_alu 0xfffe
	s_add_nc_u64 s[4:5], s[18:19], s[4:5]
	s_wait_alu 0xfffd
	v_cndmask_b32_e32 v53, v45, v34, vcc_lo
	ds_load_b128 v[33:36], v37 offset:128
	ds_load_b128 v[37:40], v37 offset:144
	v_cmp_eq_u32_e32 vcc_lo, 0, v41
	s_wait_alu 0xfffe
	v_add_co_u32 v41, s4, s4, v44
	v_lshlrev_b32_e32 v53, 2, v53
	v_add3_u32 v54, s26, v54, v42
	v_add_nc_u32_e32 v55, 0x160, v49
	s_wait_alu 0xf1ff
	v_add_co_ci_u32_e64 v42, null, s5, 0, s4
	v_mov_b32_e32 v49, 0xff7fffff
	s_sub_co_i32 s22, 1, s25
	s_branch .LBB38_10
.LBB38_9:                               ;   in Loop: Header=BB38_10 Depth=1
	s_wait_alu 0xfffe
	s_or_b32 exec_lo, exec_lo, s5
	v_add_nc_u32_e32 v56, 4, v56
	v_add_co_u32 v41, s5, v41, 16
	v_add_nc_u32_e32 v54, 64, v54
	v_add_nc_u32_e32 v55, 0x100, v55
	s_delay_alu instid0(VALU_DEP_4) | instskip(SKIP_3) | instid1(SALU_CYCLE_1)
	v_cmp_le_i32_e64 s4, s13, v56
	s_wait_alu 0xf1ff
	v_add_co_ci_u32_e64 v42, null, 0, v42, s5
	s_or_b32 s10, s4, s10
	s_and_not1_b32 exec_lo, exec_lo, s10
	s_cbranch_execz .LBB38_12
.LBB38_10:                              ; =>This Inner Loop Header: Depth=1
	global_load_b32 v57, v[41:42], off
	s_wait_loadcnt_dscnt 0x0
	v_mad_co_i64_i32 v[57:58], null, v57, s21, 0
	s_delay_alu instid0(VALU_DEP_1) | instskip(NEXT) | instid1(VALU_DEP_1)
	v_lshlrev_b64_e32 v[57:58], 2, v[57:58]
	v_add_co_u32 v57, s4, v50, v57
	s_wait_alu 0xf1ff
	s_delay_alu instid0(VALU_DEP_2)
	v_add_co_ci_u32_e64 v58, null, v52, v58, s4
	s_clause 0x13
	global_load_b64 v[59:60], v[57:58], off offset:256
	global_load_b64 v[61:62], v[57:58], off
	global_load_b64 v[63:64], v[57:58], off offset:512
	global_load_b64 v[65:66], v[57:58], off offset:768
	;; [unrolled: 1-line block ×18, first 2 shown]
	s_wait_loadcnt_dscnt 0x1309
	v_dual_mul_f32 v59, v3, v59 :: v_dual_mul_f32 v60, v4, v60
	s_wait_loadcnt 0x12
	s_delay_alu instid0(VALU_DEP_1) | instskip(SKIP_1) | instid1(VALU_DEP_1)
	v_dual_fmac_f32 v59, v1, v61 :: v_dual_fmac_f32 v60, v2, v62
	s_wait_loadcnt_dscnt 0x1108
	v_dual_fmac_f32 v59, v5, v63 :: v_dual_fmac_f32 v60, v6, v64
	s_wait_loadcnt 0x10
	s_delay_alu instid0(VALU_DEP_1) | instskip(SKIP_1) | instid1(VALU_DEP_1)
	v_dual_fmac_f32 v59, v7, v65 :: v_dual_fmac_f32 v60, v8, v66
	s_wait_loadcnt_dscnt 0xf07
	v_dual_fmac_f32 v59, v9, v67 :: v_dual_fmac_f32 v60, v10, v68
	s_wait_loadcnt 0xe
	s_delay_alu instid0(VALU_DEP_1) | instskip(SKIP_1) | instid1(VALU_DEP_1)
	v_dual_fmac_f32 v59, v11, v69 :: v_dual_fmac_f32 v60, v12, v70
	s_wait_loadcnt_dscnt 0xd06
	v_dual_fmac_f32 v59, v13, v71 :: v_dual_fmac_f32 v60, v14, v72
	s_wait_loadcnt 0xc
	s_delay_alu instid0(VALU_DEP_1) | instskip(SKIP_1) | instid1(VALU_DEP_1)
	v_dual_fmac_f32 v59, v15, v73 :: v_dual_fmac_f32 v60, v16, v74
	s_wait_loadcnt_dscnt 0xb05
	v_dual_fmac_f32 v59, v17, v75 :: v_dual_fmac_f32 v60, v18, v76
	s_wait_loadcnt 0xa
	s_delay_alu instid0(VALU_DEP_1) | instskip(SKIP_1) | instid1(VALU_DEP_1)
	v_dual_fmac_f32 v59, v19, v77 :: v_dual_fmac_f32 v60, v20, v78
	s_wait_loadcnt_dscnt 0x904
	v_dual_fmac_f32 v59, v21, v79 :: v_dual_fmac_f32 v60, v22, v80
	s_wait_loadcnt 0x8
	s_delay_alu instid0(VALU_DEP_1) | instskip(SKIP_1) | instid1(VALU_DEP_1)
	v_dual_fmac_f32 v59, v23, v81 :: v_dual_fmac_f32 v60, v24, v82
	s_wait_loadcnt_dscnt 0x703
	v_dual_fmac_f32 v59, v25, v83 :: v_dual_fmac_f32 v60, v26, v84
	s_wait_loadcnt 0x6
	s_delay_alu instid0(VALU_DEP_1) | instskip(SKIP_1) | instid1(VALU_DEP_1)
	v_dual_fmac_f32 v59, v27, v85 :: v_dual_fmac_f32 v60, v28, v86
	s_wait_loadcnt_dscnt 0x502
	v_dual_fmac_f32 v59, v29, v87 :: v_dual_fmac_f32 v60, v30, v88
	s_wait_loadcnt 0x4
	s_delay_alu instid0(VALU_DEP_1) | instskip(SKIP_1) | instid1(VALU_DEP_1)
	v_dual_fmac_f32 v59, v31, v89 :: v_dual_fmac_f32 v60, v32, v90
	s_wait_loadcnt_dscnt 0x301
	v_dual_fmac_f32 v59, v33, v91 :: v_dual_fmac_f32 v60, v34, v92
	s_wait_loadcnt 0x2
	s_delay_alu instid0(VALU_DEP_1) | instskip(SKIP_1) | instid1(VALU_DEP_1)
	v_dual_fmac_f32 v59, v35, v93 :: v_dual_fmac_f32 v60, v36, v94
	s_wait_loadcnt_dscnt 0x100
	v_dual_fmac_f32 v59, v37, v95 :: v_dual_fmac_f32 v60, v38, v96
	s_wait_loadcnt 0x0
	s_delay_alu instid0(VALU_DEP_1) | instskip(NEXT) | instid1(VALU_DEP_1)
	v_dual_fmac_f32 v59, v39, v57 :: v_dual_fmac_f32 v60, v40, v58
	v_add_f32_e32 v57, v59, v60
	ds_bpermute_b32 v58, v53, v57
	s_and_saveexec_b32 s5, vcc_lo
	s_cbranch_execz .LBB38_9
; %bb.11:                               ;   in Loop: Header=BB38_10 Depth=1
	s_wait_dscnt 0x0
	v_add_f32_e32 v57, v57, v58
	v_add_nc_u32_e32 v59, s22, v54
	v_cmp_gt_i32_e64 s4, s25, v54
	s_delay_alu instid0(VALU_DEP_2) | instskip(NEXT) | instid1(VALU_DEP_1)
	v_cvt_f32_i32_e32 v59, v59
	v_mul_f32_e32 v59, s6, v59
	s_delay_alu instid0(VALU_DEP_1) | instskip(SKIP_1) | instid1(VALU_DEP_2)
	v_cndmask_b32_e64 v58, 0, v59, s3
	v_max_num_f32_e32 v59, v49, v49
	v_fmac_f32_e32 v58, s7, v57
	s_delay_alu instid0(VALU_DEP_1) | instskip(SKIP_2) | instid1(VALU_DEP_2)
	v_max_num_f32_e32 v57, v59, v58
	s_wait_alu 0xf1ff
	v_cndmask_b32_e64 v58, 0, v58, s4
	v_cndmask_b32_e64 v49, v49, v57, s4
	ds_store_b32 v55, v58
	s_branch .LBB38_9
.LBB38_12:
	s_or_b32 exec_lo, exec_lo, s10
.LBB38_13:
	s_delay_alu instid0(SALU_CYCLE_1)
	s_or_b32 exec_lo, exec_lo, s11
	v_xor_b32_e32 v1, 16, v45
	v_xor_b32_e32 v3, 8, v45
	v_max_num_f32_e32 v5, v49, v49
	v_xor_b32_e32 v6, 2, v45
	s_clause 0x2
	s_load_b128 s[4:7], s[0:1], 0x0
	s_load_b64 s[10:11], s[0:1], 0x10
	s_load_b64 s[22:23], s[0:1], 0x28
	v_cmp_lt_i32_e32 vcc_lo, v1, v51
	s_wait_alu 0xfffd
	v_cndmask_b32_e32 v1, v45, v1, vcc_lo
	v_cmp_lt_i32_e32 vcc_lo, v3, v51
	s_wait_alu 0xfffd
	v_cndmask_b32_e32 v3, v45, v3, vcc_lo
	s_delay_alu instid0(VALU_DEP_1)
	v_lshlrev_b32_e32 v4, 2, v3
	v_lshlrev_b32_e32 v2, 2, v1
	ds_bpermute_b32 v1, v2, v49
	v_and_b32_e32 v49, 31, v0
	s_wait_dscnt 0x0
	v_max_num_f32_e32 v1, v1, v1
	s_delay_alu instid0(VALU_DEP_1)
	v_max_num_f32_e32 v1, v5, v1
	v_xor_b32_e32 v5, 4, v45
	ds_bpermute_b32 v3, v4, v1
	v_cmp_lt_i32_e32 vcc_lo, v5, v51
	s_wait_alu 0xfffd
	v_cndmask_b32_e32 v5, v45, v5, vcc_lo
	v_cmp_lt_i32_e32 vcc_lo, v6, v51
	s_wait_alu 0xfffd
	s_delay_alu instid0(VALU_DEP_2) | instskip(SKIP_1) | instid1(VALU_DEP_2)
	v_dual_cndmask_b32 v6, v45, v6 :: v_dual_lshlrev_b32 v5, 2, v5
	v_cmp_eq_u32_e32 vcc_lo, 0, v49
	v_lshlrev_b32_e32 v50, 2, v6
	v_lshlrev_b32_e32 v6, 2, v47
	s_wait_dscnt 0x0
	v_max_num_f32_e32 v3, v3, v3
	s_delay_alu instid0(VALU_DEP_1) | instskip(SKIP_3) | instid1(VALU_DEP_1)
	v_max_num_f32_e32 v1, v1, v3
	ds_bpermute_b32 v3, v5, v1
	s_wait_dscnt 0x0
	v_max_num_f32_e32 v3, v3, v3
	v_max_num_f32_e32 v1, v1, v3
	ds_bpermute_b32 v3, v50, v1
	s_and_saveexec_b32 s0, vcc_lo
	s_cbranch_execz .LBB38_15
; %bb.14:
	s_wait_dscnt 0x0
	v_max_num_f32_e32 v3, v3, v3
	v_max_num_f32_e32 v1, v1, v1
	s_delay_alu instid0(VALU_DEP_1)
	v_max_num_f32_e32 v1, v1, v3
	ds_store_b32 v6, v1 offset:320
.LBB38_15:
	s_or_b32 exec_lo, exec_lo, s0
	v_cmp_gt_u32_e64 s0, 4, v49
	v_mov_b32_e32 v1, 0xff7fffff
	v_lshlrev_b32_e32 v7, 2, v49
	s_wait_loadcnt_dscnt 0x0
	s_barrier_signal -1
	s_barrier_wait -1
	global_inv scope:SCOPE_SE
	s_and_saveexec_b32 s1, s0
; %bb.16:
	ds_load_b32 v1, v7 offset:320
; %bb.17:
	s_or_b32 exec_lo, exec_lo, s1
	s_wait_dscnt 0x0
	ds_bpermute_b32 v3, v50, v1
	v_xor_b32_e32 v8, 1, v45
	v_max_num_f32_e32 v1, v1, v1
	s_delay_alu instid0(VALU_DEP_2) | instskip(NEXT) | instid1(VALU_DEP_1)
	v_cmp_lt_i32_e64 s1, v8, v51
	v_cndmask_b32_e64 v8, v45, v8, s1
	s_sub_co_i32 s1, s13, s28
	s_wait_alu 0xfffe
	s_lshl_b32 s1, s1, 4
	s_delay_alu instid0(VALU_DEP_1)
	v_dual_mov_b32 v8, 0 :: v_dual_lshlrev_b32 v51, 2, v8
	s_wait_alu 0xfffe
	s_add_co_i32 s1, s1, s26
	s_wait_alu 0xfffe
	s_min_i32 s1, s1, s25
	s_wait_dscnt 0x0
	v_max_num_f32_e32 v3, v3, v3
	s_wait_alu 0xfffe
	s_sub_co_i32 s21, s1, s26
	s_wait_alu 0xfffe
	v_cmp_gt_i32_e64 s1, s21, v0
	v_max_num_f32_e32 v1, v1, v3
	ds_bpermute_b32 v3, v51, v1
	s_wait_dscnt 0x0
	v_max_num_f32_e32 v3, v3, v3
	s_delay_alu instid0(VALU_DEP_1)
	v_max_num_f32_e32 v1, v1, v3
	v_lshlrev_b32_e32 v3, 2, v46
	ds_bpermute_b32 v1, v3, v1
	v_lshl_add_u32 v3, v0, 2, 0x160
	s_and_saveexec_b32 s28, s1
	s_cbranch_execz .LBB38_21
; %bb.18:
	v_lshl_add_u32 v9, v0, 2, 0x160
	v_mov_b32_e32 v8, 0
	v_mov_b32_e32 v10, v0
	s_mov_b32 s29, 0
.LBB38_19:                              ; =>This Inner Loop Header: Depth=1
	ds_load_b32 v11, v9
	v_add_nc_u32_e32 v10, 0x80, v10
	s_delay_alu instid0(VALU_DEP_1) | instskip(SKIP_4) | instid1(VALU_DEP_1)
	v_cmp_le_i32_e64 s3, s21, v10
	s_wait_alu 0xfffe
	s_or_b32 s29, s3, s29
	s_wait_dscnt 0x0
	v_sub_f32_e32 v11, v11, v1
	v_mul_f32_e32 v11, 0x3fb8aa3b, v11
	s_delay_alu instid0(VALU_DEP_1)
	v_exp_f32_e32 v11, v11
	ds_store_b32 v9, v11
	v_dual_add_f32 v8, v8, v11 :: v_dual_add_nc_u32 v9, 0x200, v9
	s_wait_alu 0xfffe
	s_and_not1_b32 exec_lo, exec_lo, s29
	s_cbranch_execnz .LBB38_19
; %bb.20:
	s_or_b32 exec_lo, exec_lo, s29
.LBB38_21:
	s_wait_alu 0xfffe
	s_or_b32 exec_lo, exec_lo, s28
	ds_bpermute_b32 v2, v2, v8
	s_wait_dscnt 0x0
	v_add_f32_e32 v2, v8, v2
	ds_bpermute_b32 v4, v4, v2
	s_wait_dscnt 0x0
	v_add_f32_e32 v2, v2, v4
	;; [unrolled: 3-line block ×5, first 2 shown]
	s_and_saveexec_b32 s3, vcc_lo
; %bb.22:
	ds_store_b32 v6, v2 offset:336
; %bb.23:
	s_wait_alu 0xfffe
	s_or_b32 exec_lo, exec_lo, s3
	s_wait_loadcnt_dscnt 0x0
	s_barrier_signal -1
	s_barrier_wait -1
	global_inv scope:SCOPE_SE
	s_and_saveexec_b32 s3, s0
; %bb.24:
	ds_load_b32 v2, v7 offset:336
; %bb.25:
	s_wait_alu 0xfffe
	s_or_b32 exec_lo, exec_lo, s3
	s_wait_dscnt 0x0
	ds_bpermute_b32 v4, v50, v2
	s_wait_dscnt 0x0
	v_dual_add_f32 v2, v2, v4 :: v_dual_lshlrev_b32 v5, 2, v45
	ds_bpermute_b32 v4, v51, v2
	s_wait_dscnt 0x0
	v_add_f32_e32 v2, v2, v4
	v_and_b32_e32 v4, 0xffffff80, v5
	ds_bpermute_b32 v2, v4, v2
	s_and_saveexec_b32 s0, s1
	s_cbranch_execz .LBB38_28
; %bb.26:
	s_wait_dscnt 0x0
	v_add_f32_e32 v4, 0x358637bd, v2
	s_mov_b32 s1, 0
	s_delay_alu instid0(VALU_DEP_1) | instskip(SKIP_1) | instid1(VALU_DEP_2)
	v_div_scale_f32 v5, null, v4, v4, 1.0
	v_div_scale_f32 v8, vcc_lo, 1.0, v4, 1.0
	v_rcp_f32_e32 v6, v5
	s_delay_alu instid0(TRANS32_DEP_1) | instskip(NEXT) | instid1(VALU_DEP_1)
	v_fma_f32 v7, -v5, v6, 1.0
	v_fmac_f32_e32 v6, v7, v6
	s_delay_alu instid0(VALU_DEP_1) | instskip(NEXT) | instid1(VALU_DEP_1)
	v_mul_f32_e32 v7, v8, v6
	v_fma_f32 v9, -v5, v7, v8
	s_delay_alu instid0(VALU_DEP_1) | instskip(NEXT) | instid1(VALU_DEP_1)
	v_fmac_f32_e32 v7, v9, v6
	v_fma_f32 v5, -v5, v7, v8
	s_wait_alu 0xfffd
	s_delay_alu instid0(VALU_DEP_1) | instskip(NEXT) | instid1(VALU_DEP_1)
	v_div_fmas_f32 v5, v5, v6, v7
	v_div_fixup_f32 v4, v5, v4, 1.0
	v_mov_b32_e32 v5, v0
.LBB38_27:                              ; =>This Inner Loop Header: Depth=1
	ds_load_b32 v6, v3
	s_wait_dscnt 0x0
	v_dual_mul_f32 v6, v4, v6 :: v_dual_add_nc_u32 v5, 0x80, v5
	s_delay_alu instid0(VALU_DEP_1)
	v_cmp_le_i32_e32 vcc_lo, s21, v5
	ds_store_b32 v3, v6
	v_add_nc_u32_e32 v3, 0x200, v3
	s_wait_alu 0xfffe
	s_or_b32 s1, vcc_lo, s1
	s_wait_alu 0xfffe
	s_and_not1_b32 exec_lo, exec_lo, s1
	s_cbranch_execnz .LBB38_27
.LBB38_28:
	s_wait_alu 0xfffe
	s_or_b32 exec_lo, exec_lo, s0
	s_wait_kmcnt 0x0
	s_mul_i32 s0, s8, s14
	s_wait_loadcnt_dscnt 0x0
	s_wait_alu 0xfffe
	s_mul_i32 s14, s0, s15
	s_mov_b32 s0, exec_lo
	s_barrier_signal -1
	s_barrier_wait -1
	global_inv scope:SCOPE_SE
	v_cmpx_eq_u32_e32 0, v0
	s_cbranch_execz .LBB38_30
; %bb.29:
	s_ashr_i32 s15, s14, 31
	s_wait_alu 0xfffe
	s_mul_i32 s28, s8, ttmp9
	s_lshl_b32 s1, s24, 2
	s_lshl_b64 s[30:31], s[14:15], 2
	s_wait_alu 0xfffe
	s_ashr_i32 s29, s28, 31
	v_mov_b32_e32 v3, s1
	s_add_nc_u64 s[6:7], s[6:7], s[30:31]
	s_wait_alu 0xfffe
	s_lshl_b64 s[28:29], s[28:29], 2
	s_add_nc_u64 s[4:5], s[4:5], s[30:31]
	s_wait_alu 0xfffe
	s_add_nc_u64 s[6:7], s[6:7], s[28:29]
	s_add_nc_u64 s[4:5], s[4:5], s[28:29]
	s_clause 0x1
	global_store_b32 v3, v1, s[6:7]
	global_store_b32 v3, v2, s[4:5]
.LBB38_30:
	s_wait_alu 0xfffe
	s_or_b32 exec_lo, exec_lo, s0
	v_dual_mov_b32 v60, 0 :: v_dual_mov_b32 v61, 0
	v_dual_mov_b32 v59, 0 :: v_dual_and_b32 v52, 3, v0
	v_dual_mov_b32 v62, 0 :: v_dual_mov_b32 v57, 0
	v_dual_mov_b32 v58, 0 :: v_dual_mov_b32 v55, 0
	;; [unrolled: 1-line block ×3, first 2 shown]
	v_mov_b32_e32 v54, 0
	s_and_saveexec_b32 s1, s2
	s_cbranch_execz .LBB38_54
; %bb.31:
	v_dual_mov_b32 v54, 0 :: v_dual_lshlrev_b32 v1, 4, v0
	s_ashr_i32 s21, s20, 31
	v_dual_mov_b32 v56, 0 :: v_dual_lshlrev_b32 v3, 4, v52
	s_delay_alu instid0(VALU_DEP_2)
	v_dual_mov_b32 v58, 0 :: v_dual_and_b32 v1, 0x1f0, v1
	s_wait_alu 0xfffe
	s_lshl_b64 s[2:3], s[20:21], 2
	v_dual_mov_b32 v53, 0 :: v_dual_and_b32 v2, 12, v43
	s_wait_alu 0xfffe
	s_add_nc_u64 s[2:3], s[22:23], s[2:3]
	v_lshl_add_u32 v4, v47, 4, s26
	s_wait_alu 0xfffe
	v_add_co_u32 v63, s0, s2, v1
	s_wait_alu 0xf1ff
	v_add_co_ci_u32_e64 v64, null, s3, 0, s0
	s_lshl_b64 s[2:3], s[16:17], 2
	v_lshl_or_b32 v3, v47, 6, v3
	s_wait_alu 0xfffe
	s_add_nc_u64 s[2:3], s[18:19], s[2:3]
	v_add3_u32 v65, v4, v2, 3
	s_wait_alu 0xfffe
	v_add_co_u32 v45, s0, s2, v44
	v_dual_mov_b32 v55, 0 :: v_dual_add_nc_u32 v66, 0x160, v3
	s_wait_alu 0xf1ff
	v_add_co_ci_u32_e64 v46, null, s3, 0, s0
	v_dual_mov_b32 v57, 0 :: v_dual_mov_b32 v62, 0
	v_dual_mov_b32 v59, 0 :: v_dual_mov_b32 v60, 0
	v_mov_b32_e32 v61, 0
	s_mov_b32 s2, s9
	s_add_co_i32 s27, s27, -1
	s_mov_b32 s3, 0
	s_branch .LBB38_33
.LBB38_32:                              ;   in Loop: Header=BB38_33 Depth=1
	s_wait_alu 0xfffe
	s_or_b32 exec_lo, exec_lo, s0
	s_wait_loadcnt_dscnt 0x800
	v_mul_f32_e32 v9, v1, v9
	s_wait_loadcnt 0x3
	v_mul_f32_e32 v29, v1, v29
	v_mul_f32_e32 v21, v1, v21
	v_mul_f32_e32 v5, v1, v5
	s_wait_loadcnt 0x1
	v_dual_mul_f32 v41, v1, v41 :: v_dual_add_nc_u32 v48, 4, v48
	v_fmac_f32_e32 v9, v2, v10
	v_fmac_f32_e32 v29, v2, v30
	;; [unrolled: 1-line block ×4, first 2 shown]
	v_dual_mul_f32 v33, v1, v33 :: v_dual_add_nc_u32 v66, 0x100, v66
	v_fmac_f32_e32 v9, v3, v11
	v_mul_f32_e32 v25, v1, v25
	v_fmac_f32_e32 v21, v3, v23
	v_mul_f32_e32 v17, v1, v17
	v_mul_f32_e32 v13, v1, v13
	v_fmac_f32_e32 v9, v4, v12
	v_fmac_f32_e32 v29, v3, v31
	s_wait_loadcnt 0x0
	v_mul_f32_e32 v1, v1, v37
	v_fmac_f32_e32 v5, v3, v7
	v_fmac_f32_e32 v25, v2, v26
	v_dual_add_f32 v62, v62, v9 :: v_dual_fmac_f32 v29, v4, v32
	v_fmac_f32_e32 v41, v2, v42
	v_fmac_f32_e32 v21, v4, v24
	;; [unrolled: 1-line block ×3, first 2 shown]
	s_delay_alu instid0(VALU_DEP_4) | instskip(NEXT) | instid1(VALU_DEP_3)
	v_dual_fmac_f32 v13, v2, v14 :: v_dual_add_f32 v56, v56, v29
	v_dual_fmac_f32 v41, v3, v43 :: v_dual_add_f32 v58, v58, v21
	v_fmac_f32_e32 v1, v2, v38
	v_fmac_f32_e32 v5, v4, v8
	;; [unrolled: 1-line block ×7, first 2 shown]
	v_dual_fmac_f32 v1, v3, v39 :: v_dual_add_f32 v60, v60, v5
	s_delay_alu instid0(VALU_DEP_4) | instskip(SKIP_3) | instid1(VALU_DEP_4)
	v_dual_fmac_f32 v33, v3, v35 :: v_dual_add_f32 v54, v54, v41
	v_fmac_f32_e32 v25, v4, v28
	v_fmac_f32_e32 v17, v4, v20
	;; [unrolled: 1-line block ×5, first 2 shown]
	v_cmp_le_i32_e32 vcc_lo, s13, v48
	v_add_co_u32 v45, s0, v45, 16
	s_delay_alu instid0(VALU_DEP_4)
	v_add_f32_e32 v55, v55, v33
	v_add_f32_e32 v57, v57, v25
	v_add_f32_e32 v59, v59, v17
	v_add_f32_e32 v61, v61, v13
	v_add_f32_e32 v53, v53, v1
	v_add_nc_u32_e32 v65, 64, v65
	s_wait_alu 0xf1ff
	v_add_co_ci_u32_e64 v46, null, 0, v46, s0
	s_or_b32 s3, vcc_lo, s3
	s_wait_alu 0xfffe
	s_and_not1_b32 exec_lo, exec_lo, s3
	s_cbranch_execz .LBB38_53
.LBB38_33:                              ; =>This Inner Loop Header: Depth=1
	global_load_b32 v1, v[45:46], off
	v_add_nc_u32_e32 v67, -3, v65
	v_add_nc_u32_e32 v69, -2, v65
	;; [unrolled: 1-line block ×3, first 2 shown]
	s_wait_loadcnt 0x0
	s_wait_alu 0xfffe
	v_mad_co_i64_i32 v[1:2], null, v1, s2, 0
	s_delay_alu instid0(VALU_DEP_1) | instskip(NEXT) | instid1(VALU_DEP_1)
	v_lshlrev_b64_e32 v[1:2], 2, v[1:2]
	v_add_co_u32 v37, vcc_lo, v63, v1
	s_wait_alu 0xfffd
	s_delay_alu instid0(VALU_DEP_2)
	v_add_co_ci_u32_e64 v38, null, v64, v2, vcc_lo
	ds_load_b128 v[1:4], v66
	v_cmp_eq_u32_e32 vcc_lo, s27, v48
	global_load_b128 v[5:8], v[37:38], off
	s_and_saveexec_b32 s4, vcc_lo
	s_cbranch_execnz .LBB38_43
; %bb.34:                               ;   in Loop: Header=BB38_33 Depth=1
	s_wait_alu 0xfffe
	s_or_b32 exec_lo, exec_lo, s4
	global_load_b128 v[9:12], v[37:38], off offset:512
	s_and_saveexec_b32 s4, vcc_lo
	s_cbranch_execnz .LBB38_44
.LBB38_35:                              ;   in Loop: Header=BB38_33 Depth=1
	s_wait_alu 0xfffe
	s_or_b32 exec_lo, exec_lo, s4
	global_load_b128 v[13:16], v[37:38], off offset:1024
	s_and_saveexec_b32 s4, vcc_lo
	s_cbranch_execnz .LBB38_45
.LBB38_36:                              ;   in Loop: Header=BB38_33 Depth=1
	s_wait_alu 0xfffe
	s_or_b32 exec_lo, exec_lo, s4
	global_load_b128 v[17:20], v[37:38], off offset:1536
	s_and_saveexec_b32 s4, vcc_lo
	s_cbranch_execnz .LBB38_46
.LBB38_37:                              ;   in Loop: Header=BB38_33 Depth=1
	s_wait_alu 0xfffe
	s_or_b32 exec_lo, exec_lo, s4
	global_load_b128 v[21:24], v[37:38], off offset:2048
	s_and_saveexec_b32 s4, vcc_lo
	s_cbranch_execnz .LBB38_47
.LBB38_38:                              ;   in Loop: Header=BB38_33 Depth=1
	s_wait_alu 0xfffe
	s_or_b32 exec_lo, exec_lo, s4
	global_load_b128 v[25:28], v[37:38], off offset:2560
	s_and_saveexec_b32 s4, vcc_lo
	s_cbranch_execnz .LBB38_48
.LBB38_39:                              ;   in Loop: Header=BB38_33 Depth=1
	s_wait_alu 0xfffe
	s_or_b32 exec_lo, exec_lo, s4
	global_load_b128 v[29:32], v[37:38], off offset:3072
	s_and_saveexec_b32 s4, vcc_lo
	s_cbranch_execnz .LBB38_49
.LBB38_40:                              ;   in Loop: Header=BB38_33 Depth=1
	s_wait_alu 0xfffe
	s_or_b32 exec_lo, exec_lo, s4
	global_load_b128 v[33:36], v[37:38], off offset:3584
	s_and_saveexec_b32 s4, vcc_lo
	s_cbranch_execnz .LBB38_50
.LBB38_41:                              ;   in Loop: Header=BB38_33 Depth=1
	s_wait_alu 0xfffe
	s_or_b32 exec_lo, exec_lo, s4
	global_load_b128 v[41:44], v[37:38], off offset:4096
	s_and_saveexec_b32 s4, vcc_lo
	s_cbranch_execnz .LBB38_51
.LBB38_42:                              ;   in Loop: Header=BB38_33 Depth=1
	s_wait_alu 0xfffe
	s_or_b32 exec_lo, exec_lo, s4
	global_load_b128 v[37:40], v[37:38], off offset:4608
	s_and_saveexec_b32 s0, vcc_lo
	s_cbranch_execz .LBB38_32
	s_branch .LBB38_52
.LBB38_43:                              ;   in Loop: Header=BB38_33 Depth=1
	v_cmp_gt_i32_e64 s0, s25, v67
	s_wait_loadcnt 0x0
	s_wait_alu 0xf1ff
	s_delay_alu instid0(VALU_DEP_1) | instskip(SKIP_2) | instid1(VALU_DEP_1)
	v_cndmask_b32_e64 v5, 0, v5, s0
	v_cmp_gt_i32_e64 s0, s25, v69
	s_wait_alu 0xf1ff
	v_cndmask_b32_e64 v6, 0, v6, s0
	v_cmp_gt_i32_e64 s0, s25, v68
	s_wait_alu 0xf1ff
	s_delay_alu instid0(VALU_DEP_1) | instskip(SKIP_2) | instid1(VALU_DEP_1)
	v_cndmask_b32_e64 v7, 0, v7, s0
	v_cmp_gt_i32_e64 s0, s25, v65
	s_wait_alu 0xf1ff
	v_cndmask_b32_e64 v8, 0, v8, s0
	s_wait_alu 0xfffe
	s_or_b32 exec_lo, exec_lo, s4
	global_load_b128 v[9:12], v[37:38], off offset:512
	s_and_saveexec_b32 s4, vcc_lo
	s_cbranch_execz .LBB38_35
.LBB38_44:                              ;   in Loop: Header=BB38_33 Depth=1
	v_cmp_gt_i32_e64 s0, s25, v67
	s_wait_loadcnt 0x0
	s_wait_alu 0xf1ff
	s_delay_alu instid0(VALU_DEP_1) | instskip(SKIP_2) | instid1(VALU_DEP_1)
	v_cndmask_b32_e64 v9, 0, v9, s0
	v_cmp_gt_i32_e64 s0, s25, v69
	s_wait_alu 0xf1ff
	v_cndmask_b32_e64 v10, 0, v10, s0
	v_cmp_gt_i32_e64 s0, s25, v68
	s_wait_alu 0xf1ff
	s_delay_alu instid0(VALU_DEP_1) | instskip(SKIP_2) | instid1(VALU_DEP_1)
	v_cndmask_b32_e64 v11, 0, v11, s0
	v_cmp_gt_i32_e64 s0, s25, v65
	s_wait_alu 0xf1ff
	v_cndmask_b32_e64 v12, 0, v12, s0
	s_wait_alu 0xfffe
	s_or_b32 exec_lo, exec_lo, s4
	global_load_b128 v[13:16], v[37:38], off offset:1024
	s_and_saveexec_b32 s4, vcc_lo
	s_cbranch_execz .LBB38_36
.LBB38_45:                              ;   in Loop: Header=BB38_33 Depth=1
	v_cmp_gt_i32_e64 s0, s25, v67
	s_wait_loadcnt 0x0
	s_wait_alu 0xf1ff
	s_delay_alu instid0(VALU_DEP_1) | instskip(SKIP_2) | instid1(VALU_DEP_1)
	v_cndmask_b32_e64 v13, 0, v13, s0
	v_cmp_gt_i32_e64 s0, s25, v69
	s_wait_alu 0xf1ff
	v_cndmask_b32_e64 v14, 0, v14, s0
	v_cmp_gt_i32_e64 s0, s25, v68
	s_wait_alu 0xf1ff
	s_delay_alu instid0(VALU_DEP_1) | instskip(SKIP_2) | instid1(VALU_DEP_1)
	v_cndmask_b32_e64 v15, 0, v15, s0
	v_cmp_gt_i32_e64 s0, s25, v65
	s_wait_alu 0xf1ff
	v_cndmask_b32_e64 v16, 0, v16, s0
	s_wait_alu 0xfffe
	s_or_b32 exec_lo, exec_lo, s4
	global_load_b128 v[17:20], v[37:38], off offset:1536
	s_and_saveexec_b32 s4, vcc_lo
	s_cbranch_execz .LBB38_37
.LBB38_46:                              ;   in Loop: Header=BB38_33 Depth=1
	v_cmp_gt_i32_e64 s0, s25, v67
	s_wait_loadcnt 0x0
	s_wait_alu 0xf1ff
	s_delay_alu instid0(VALU_DEP_1) | instskip(SKIP_2) | instid1(VALU_DEP_1)
	v_cndmask_b32_e64 v17, 0, v17, s0
	v_cmp_gt_i32_e64 s0, s25, v69
	s_wait_alu 0xf1ff
	v_cndmask_b32_e64 v18, 0, v18, s0
	v_cmp_gt_i32_e64 s0, s25, v68
	s_wait_alu 0xf1ff
	s_delay_alu instid0(VALU_DEP_1) | instskip(SKIP_2) | instid1(VALU_DEP_1)
	v_cndmask_b32_e64 v19, 0, v19, s0
	v_cmp_gt_i32_e64 s0, s25, v65
	s_wait_alu 0xf1ff
	v_cndmask_b32_e64 v20, 0, v20, s0
	s_wait_alu 0xfffe
	s_or_b32 exec_lo, exec_lo, s4
	global_load_b128 v[21:24], v[37:38], off offset:2048
	s_and_saveexec_b32 s4, vcc_lo
	s_cbranch_execz .LBB38_38
.LBB38_47:                              ;   in Loop: Header=BB38_33 Depth=1
	v_cmp_gt_i32_e64 s0, s25, v67
	s_wait_loadcnt 0x0
	s_wait_alu 0xf1ff
	s_delay_alu instid0(VALU_DEP_1) | instskip(SKIP_2) | instid1(VALU_DEP_1)
	v_cndmask_b32_e64 v21, 0, v21, s0
	v_cmp_gt_i32_e64 s0, s25, v69
	s_wait_alu 0xf1ff
	v_cndmask_b32_e64 v22, 0, v22, s0
	v_cmp_gt_i32_e64 s0, s25, v68
	s_wait_alu 0xf1ff
	s_delay_alu instid0(VALU_DEP_1) | instskip(SKIP_2) | instid1(VALU_DEP_1)
	v_cndmask_b32_e64 v23, 0, v23, s0
	v_cmp_gt_i32_e64 s0, s25, v65
	s_wait_alu 0xf1ff
	v_cndmask_b32_e64 v24, 0, v24, s0
	s_wait_alu 0xfffe
	s_or_b32 exec_lo, exec_lo, s4
	global_load_b128 v[25:28], v[37:38], off offset:2560
	s_and_saveexec_b32 s4, vcc_lo
	s_cbranch_execz .LBB38_39
.LBB38_48:                              ;   in Loop: Header=BB38_33 Depth=1
	v_cmp_gt_i32_e64 s0, s25, v67
	s_wait_loadcnt 0x0
	s_wait_alu 0xf1ff
	s_delay_alu instid0(VALU_DEP_1) | instskip(SKIP_2) | instid1(VALU_DEP_1)
	v_cndmask_b32_e64 v25, 0, v25, s0
	v_cmp_gt_i32_e64 s0, s25, v69
	s_wait_alu 0xf1ff
	v_cndmask_b32_e64 v26, 0, v26, s0
	v_cmp_gt_i32_e64 s0, s25, v68
	s_wait_alu 0xf1ff
	s_delay_alu instid0(VALU_DEP_1) | instskip(SKIP_2) | instid1(VALU_DEP_1)
	v_cndmask_b32_e64 v27, 0, v27, s0
	v_cmp_gt_i32_e64 s0, s25, v65
	s_wait_alu 0xf1ff
	v_cndmask_b32_e64 v28, 0, v28, s0
	s_wait_alu 0xfffe
	s_or_b32 exec_lo, exec_lo, s4
	global_load_b128 v[29:32], v[37:38], off offset:3072
	s_and_saveexec_b32 s4, vcc_lo
	s_cbranch_execz .LBB38_40
.LBB38_49:                              ;   in Loop: Header=BB38_33 Depth=1
	v_cmp_gt_i32_e64 s0, s25, v67
	s_wait_loadcnt 0x0
	s_wait_alu 0xf1ff
	s_delay_alu instid0(VALU_DEP_1) | instskip(SKIP_2) | instid1(VALU_DEP_1)
	v_cndmask_b32_e64 v29, 0, v29, s0
	v_cmp_gt_i32_e64 s0, s25, v69
	s_wait_alu 0xf1ff
	v_cndmask_b32_e64 v30, 0, v30, s0
	v_cmp_gt_i32_e64 s0, s25, v68
	s_wait_alu 0xf1ff
	s_delay_alu instid0(VALU_DEP_1) | instskip(SKIP_2) | instid1(VALU_DEP_1)
	v_cndmask_b32_e64 v31, 0, v31, s0
	v_cmp_gt_i32_e64 s0, s25, v65
	s_wait_alu 0xf1ff
	v_cndmask_b32_e64 v32, 0, v32, s0
	s_wait_alu 0xfffe
	s_or_b32 exec_lo, exec_lo, s4
	global_load_b128 v[33:36], v[37:38], off offset:3584
	s_and_saveexec_b32 s4, vcc_lo
	s_cbranch_execz .LBB38_41
.LBB38_50:                              ;   in Loop: Header=BB38_33 Depth=1
	v_cmp_gt_i32_e64 s0, s25, v67
	s_wait_loadcnt 0x0
	s_wait_alu 0xf1ff
	s_delay_alu instid0(VALU_DEP_1) | instskip(SKIP_2) | instid1(VALU_DEP_1)
	v_cndmask_b32_e64 v33, 0, v33, s0
	v_cmp_gt_i32_e64 s0, s25, v69
	s_wait_alu 0xf1ff
	v_cndmask_b32_e64 v34, 0, v34, s0
	v_cmp_gt_i32_e64 s0, s25, v68
	s_wait_alu 0xf1ff
	s_delay_alu instid0(VALU_DEP_1) | instskip(SKIP_2) | instid1(VALU_DEP_1)
	v_cndmask_b32_e64 v35, 0, v35, s0
	v_cmp_gt_i32_e64 s0, s25, v65
	s_wait_alu 0xf1ff
	v_cndmask_b32_e64 v36, 0, v36, s0
	s_wait_alu 0xfffe
	s_or_b32 exec_lo, exec_lo, s4
	global_load_b128 v[41:44], v[37:38], off offset:4096
	s_and_saveexec_b32 s4, vcc_lo
	s_cbranch_execz .LBB38_42
.LBB38_51:                              ;   in Loop: Header=BB38_33 Depth=1
	v_cmp_gt_i32_e64 s0, s25, v67
	s_wait_loadcnt 0x0
	s_wait_alu 0xf1ff
	s_delay_alu instid0(VALU_DEP_1) | instskip(SKIP_2) | instid1(VALU_DEP_1)
	v_cndmask_b32_e64 v41, 0, v41, s0
	v_cmp_gt_i32_e64 s0, s25, v69
	s_wait_alu 0xf1ff
	v_cndmask_b32_e64 v42, 0, v42, s0
	v_cmp_gt_i32_e64 s0, s25, v68
	s_wait_alu 0xf1ff
	s_delay_alu instid0(VALU_DEP_1) | instskip(SKIP_2) | instid1(VALU_DEP_1)
	v_cndmask_b32_e64 v43, 0, v43, s0
	v_cmp_gt_i32_e64 s0, s25, v65
	s_wait_alu 0xf1ff
	v_cndmask_b32_e64 v44, 0, v44, s0
	s_wait_alu 0xfffe
	s_or_b32 exec_lo, exec_lo, s4
	global_load_b128 v[37:40], v[37:38], off offset:4608
	s_and_saveexec_b32 s0, vcc_lo
	s_cbranch_execz .LBB38_32
.LBB38_52:                              ;   in Loop: Header=BB38_33 Depth=1
	v_cmp_gt_i32_e32 vcc_lo, s25, v67
	s_wait_loadcnt 0x0
	s_wait_alu 0xfffd
	v_cndmask_b32_e32 v37, 0, v37, vcc_lo
	v_cmp_gt_i32_e32 vcc_lo, s25, v69
	s_wait_alu 0xfffd
	v_cndmask_b32_e32 v38, 0, v38, vcc_lo
	v_cmp_gt_i32_e32 vcc_lo, s25, v68
	;; [unrolled: 3-line block ×3, first 2 shown]
	s_wait_alu 0xfffd
	v_cndmask_b32_e32 v40, 0, v40, vcc_lo
	s_branch .LBB38_32
.LBB38_53:
	s_or_b32 exec_lo, exec_lo, s3
.LBB38_54:
	s_wait_alu 0xfffe
	s_or_b32 exec_lo, exec_lo, s1
	ds_bpermute_b32 v1, v50, v60
	ds_bpermute_b32 v2, v50, v62
	;; [unrolled: 1-line block ×10, first 2 shown]
	v_lshrrev_b32_e32 v11, 2, v49
	v_mul_u32_u24_e32 v13, 0x140, v47
	s_mov_b32 s0, exec_lo
	s_wait_storecnt 0x0
	s_wait_loadcnt_dscnt 0x0
	s_barrier_signal -1
	s_barrier_wait -1
	global_inv scope:SCOPE_SE
	v_dual_add_f32 v1, v60, v1 :: v_dual_add_f32 v2, v62, v2
	v_dual_add_f32 v3, v61, v3 :: v_dual_add_f32 v4, v59, v4
	;; [unrolled: 1-line block ×5, first 2 shown]
	ds_bpermute_b32 v14, v51, v1
	ds_bpermute_b32 v15, v51, v2
	;; [unrolled: 1-line block ×10, first 2 shown]
	v_and_b32_e32 v12, 28, v49
	s_wait_dscnt 0x9
	v_dual_add_f32 v1, v1, v14 :: v_dual_and_b32 v24, 0x3c3, v0
	s_delay_alu instid0(VALU_DEP_2)
	v_add_nc_u32_e32 v12, 0x160, v12
	s_wait_dscnt 0x7
	v_dual_add_f32 v2, v2, v15 :: v_dual_add_f32 v3, v3, v16
	s_wait_dscnt 0x5
	v_dual_add_f32 v4, v4, v17 :: v_dual_add_f32 v5, v5, v18
	;; [unrolled: 2-line block ×4, first 2 shown]
	s_wait_dscnt 0x0
	v_add_f32_e32 v10, v10, v23
	v_cmpx_eq_u32_e32 64, v24
	s_cbranch_execz .LBB38_56
; %bb.55:
	v_add_nc_u32_e32 v14, v12, v13
	s_delay_alu instid0(VALU_DEP_1)
	v_add_nc_u32_e32 v15, 0xfffffd80, v14
	v_add_nc_u32_e32 v16, 0xfffffda0, v14
	;; [unrolled: 1-line block ×10, first 2 shown]
	ds_store_b32 v15, v1
	ds_store_b32 v16, v2
	;; [unrolled: 1-line block ×10, first 2 shown]
.LBB38_56:
	s_wait_alu 0xfffe
	s_or_b32 exec_lo, exec_lo, s0
	v_lshlrev_b32_e32 v11, 2, v11
	s_mov_b32 s1, exec_lo
	v_cmp_eq_u32_e32 vcc_lo, 0, v52
	s_wait_loadcnt_dscnt 0x0
	s_barrier_signal -1
	v_add3_u32 v11, 0x160, v13, v11
	s_barrier_wait -1
	global_inv scope:SCOPE_SE
	v_cmpx_gt_u32_e32 64, v0
	s_cbranch_execz .LBB38_69
; %bb.57:
	s_and_saveexec_b32 s0, vcc_lo
	s_cbranch_execnz .LBB38_87
; %bb.58:
	s_wait_alu 0xfffe
	s_or_b32 exec_lo, exec_lo, s0
	s_and_saveexec_b32 s0, vcc_lo
	s_cbranch_execnz .LBB38_88
.LBB38_59:
	s_wait_alu 0xfffe
	s_or_b32 exec_lo, exec_lo, s0
	s_and_saveexec_b32 s0, vcc_lo
	s_cbranch_execnz .LBB38_89
.LBB38_60:
	s_wait_alu 0xfffe
	s_or_b32 exec_lo, exec_lo, s0
	s_and_saveexec_b32 s0, vcc_lo
	s_cbranch_execnz .LBB38_90
.LBB38_61:
	s_wait_alu 0xfffe
	s_or_b32 exec_lo, exec_lo, s0
	s_and_saveexec_b32 s0, vcc_lo
	s_cbranch_execnz .LBB38_91
.LBB38_62:
	s_wait_alu 0xfffe
	s_or_b32 exec_lo, exec_lo, s0
	s_and_saveexec_b32 s0, vcc_lo
	s_cbranch_execnz .LBB38_92
.LBB38_63:
	s_wait_alu 0xfffe
	s_or_b32 exec_lo, exec_lo, s0
	s_and_saveexec_b32 s0, vcc_lo
	s_cbranch_execnz .LBB38_93
.LBB38_64:
	s_wait_alu 0xfffe
	s_or_b32 exec_lo, exec_lo, s0
	s_and_saveexec_b32 s0, vcc_lo
	s_cbranch_execnz .LBB38_94
.LBB38_65:
	s_wait_alu 0xfffe
	s_or_b32 exec_lo, exec_lo, s0
	s_and_saveexec_b32 s0, vcc_lo
	s_cbranch_execnz .LBB38_95
.LBB38_66:
	s_wait_alu 0xfffe
	s_or_b32 exec_lo, exec_lo, s0
	s_and_saveexec_b32 s0, vcc_lo
	s_cbranch_execz .LBB38_68
.LBB38_67:
	ds_load_b32 v13, v11 offset:288
	s_wait_dscnt 0x0
	v_add_f32_e32 v10, v10, v13
.LBB38_68:
	s_wait_alu 0xfffe
	s_or_b32 exec_lo, exec_lo, s0
.LBB38_69:
	s_wait_alu 0xfffe
	s_or_b32 exec_lo, exec_lo, s1
	v_and_b32_e32 v13, 0x3e3, v0
	s_mov_b32 s1, exec_lo
	s_wait_loadcnt 0x0
	s_barrier_signal -1
	s_barrier_wait -1
	global_inv scope:SCOPE_SE
	v_cmpx_eq_u32_e32 32, v13
	s_cbranch_execz .LBB38_71
; %bb.70:
	ds_store_2addr_b32 v12, v1, v2 offset1:8
	ds_store_2addr_b32 v12, v3, v4 offset0:16 offset1:24
	ds_store_2addr_b32 v12, v5, v6 offset0:32 offset1:40
	;; [unrolled: 1-line block ×4, first 2 shown]
.LBB38_71:
	s_wait_alu 0xfffe
	s_or_b32 exec_lo, exec_lo, s1
	s_delay_alu instid0(SALU_CYCLE_1)
	s_mov_b32 s1, exec_lo
	s_wait_loadcnt_dscnt 0x0
	s_barrier_signal -1
	s_barrier_wait -1
	global_inv scope:SCOPE_SE
	v_cmpx_gt_u32_e32 32, v0
	s_cbranch_execz .LBB38_84
; %bb.72:
	s_and_saveexec_b32 s0, vcc_lo
	s_cbranch_execnz .LBB38_96
; %bb.73:
	s_wait_alu 0xfffe
	s_or_b32 exec_lo, exec_lo, s0
	s_and_saveexec_b32 s0, vcc_lo
	s_cbranch_execnz .LBB38_97
.LBB38_74:
	s_wait_alu 0xfffe
	s_or_b32 exec_lo, exec_lo, s0
	s_and_saveexec_b32 s0, vcc_lo
	s_cbranch_execnz .LBB38_98
.LBB38_75:
	s_wait_alu 0xfffe
	s_or_b32 exec_lo, exec_lo, s0
	s_and_saveexec_b32 s0, vcc_lo
	s_cbranch_execnz .LBB38_99
.LBB38_76:
	s_wait_alu 0xfffe
	s_or_b32 exec_lo, exec_lo, s0
	s_and_saveexec_b32 s0, vcc_lo
	s_cbranch_execnz .LBB38_100
.LBB38_77:
	s_wait_alu 0xfffe
	s_or_b32 exec_lo, exec_lo, s0
	s_and_saveexec_b32 s0, vcc_lo
	s_cbranch_execnz .LBB38_101
.LBB38_78:
	s_wait_alu 0xfffe
	s_or_b32 exec_lo, exec_lo, s0
	s_and_saveexec_b32 s0, vcc_lo
	s_cbranch_execnz .LBB38_102
.LBB38_79:
	s_wait_alu 0xfffe
	s_or_b32 exec_lo, exec_lo, s0
	s_and_saveexec_b32 s0, vcc_lo
	s_cbranch_execnz .LBB38_103
.LBB38_80:
	s_wait_alu 0xfffe
	s_or_b32 exec_lo, exec_lo, s0
	s_and_saveexec_b32 s0, vcc_lo
	s_cbranch_execnz .LBB38_104
.LBB38_81:
	s_wait_alu 0xfffe
	s_or_b32 exec_lo, exec_lo, s0
	s_and_saveexec_b32 s0, vcc_lo
	s_cbranch_execz .LBB38_83
.LBB38_82:
	ds_load_b32 v11, v11 offset:288
	s_wait_dscnt 0x0
	v_add_f32_e32 v10, v10, v11
.LBB38_83:
	s_wait_alu 0xfffe
	s_or_b32 exec_lo, exec_lo, s0
.LBB38_84:
	s_wait_alu 0xfffe
	s_or_b32 exec_lo, exec_lo, s1
	s_mov_b32 s1, 0
	s_wait_loadcnt 0x0
	s_barrier_signal -1
	s_barrier_wait -1
	global_inv scope:SCOPE_SE
	s_mov_b32 s0, exec_lo
	v_cmpx_eq_u32_e32 0, v13
	s_cbranch_execz .LBB38_86
; %bb.85:
	s_mul_i32 s2, s14, 0x50
	s_mul_i32 s4, s8, s12
	s_wait_alu 0xfffe
	s_ashr_i32 s3, s2, 31
	s_ashr_i32 s5, s4, 31
	s_wait_alu 0xfffe
	s_lshl_b64 s[2:3], s[2:3], 2
	s_lshl_b64 s[4:5], s[4:5], 2
	s_wait_alu 0xfffe
	s_add_nc_u64 s[2:3], s[10:11], s[2:3]
	s_mul_i32 s0, s24, 0x140
	s_wait_alu 0xfffe
	s_add_nc_u64 s[2:3], s[2:3], s[4:5]
	s_wait_alu 0xfffe
	s_add_nc_u64 s[0:1], s[2:3], s[0:1]
	s_clause 0x9
	global_store_b32 v0, v1, s[0:1]
	global_store_b32 v0, v2, s[0:1] offset:32
	global_store_b32 v0, v3, s[0:1] offset:64
	global_store_b32 v0, v4, s[0:1] offset:96
	global_store_b32 v0, v5, s[0:1] offset:128
	global_store_b32 v0, v6, s[0:1] offset:160
	global_store_b32 v0, v7, s[0:1] offset:192
	global_store_b32 v0, v8, s[0:1] offset:224
	global_store_b32 v0, v9, s[0:1] offset:256
	global_store_b32 v0, v10, s[0:1] offset:288
.LBB38_86:
	s_nop 0
	s_sendmsg sendmsg(MSG_DEALLOC_VGPRS)
	s_endpgm
.LBB38_87:
	ds_load_b32 v13, v11
	s_wait_dscnt 0x0
	v_add_f32_e32 v1, v1, v13
	s_wait_alu 0xfffe
	s_or_b32 exec_lo, exec_lo, s0
	s_and_saveexec_b32 s0, vcc_lo
	s_cbranch_execz .LBB38_59
.LBB38_88:
	ds_load_b32 v13, v11 offset:32
	s_wait_dscnt 0x0
	v_add_f32_e32 v2, v2, v13
	s_wait_alu 0xfffe
	s_or_b32 exec_lo, exec_lo, s0
	s_and_saveexec_b32 s0, vcc_lo
	s_cbranch_execz .LBB38_60
.LBB38_89:
	ds_load_b32 v13, v11 offset:64
	s_wait_dscnt 0x0
	v_add_f32_e32 v3, v3, v13
	s_wait_alu 0xfffe
	s_or_b32 exec_lo, exec_lo, s0
	s_and_saveexec_b32 s0, vcc_lo
	s_cbranch_execz .LBB38_61
.LBB38_90:
	ds_load_b32 v13, v11 offset:96
	s_wait_dscnt 0x0
	v_add_f32_e32 v4, v4, v13
	s_wait_alu 0xfffe
	s_or_b32 exec_lo, exec_lo, s0
	s_and_saveexec_b32 s0, vcc_lo
	s_cbranch_execz .LBB38_62
.LBB38_91:
	ds_load_b32 v13, v11 offset:128
	s_wait_dscnt 0x0
	v_add_f32_e32 v5, v5, v13
	s_wait_alu 0xfffe
	s_or_b32 exec_lo, exec_lo, s0
	s_and_saveexec_b32 s0, vcc_lo
	s_cbranch_execz .LBB38_63
.LBB38_92:
	ds_load_b32 v13, v11 offset:160
	s_wait_dscnt 0x0
	v_add_f32_e32 v6, v6, v13
	s_wait_alu 0xfffe
	s_or_b32 exec_lo, exec_lo, s0
	s_and_saveexec_b32 s0, vcc_lo
	s_cbranch_execz .LBB38_64
.LBB38_93:
	ds_load_b32 v13, v11 offset:192
	s_wait_dscnt 0x0
	v_add_f32_e32 v7, v7, v13
	s_wait_alu 0xfffe
	s_or_b32 exec_lo, exec_lo, s0
	s_and_saveexec_b32 s0, vcc_lo
	s_cbranch_execz .LBB38_65
.LBB38_94:
	ds_load_b32 v13, v11 offset:224
	s_wait_dscnt 0x0
	v_add_f32_e32 v8, v8, v13
	s_wait_alu 0xfffe
	s_or_b32 exec_lo, exec_lo, s0
	s_and_saveexec_b32 s0, vcc_lo
	s_cbranch_execz .LBB38_66
.LBB38_95:
	ds_load_b32 v13, v11 offset:256
	s_wait_dscnt 0x0
	v_add_f32_e32 v9, v9, v13
	s_wait_alu 0xfffe
	s_or_b32 exec_lo, exec_lo, s0
	s_and_saveexec_b32 s0, vcc_lo
	s_cbranch_execnz .LBB38_67
	s_branch .LBB38_68
.LBB38_96:
	ds_load_b32 v12, v11
	s_wait_dscnt 0x0
	v_add_f32_e32 v1, v1, v12
	s_wait_alu 0xfffe
	s_or_b32 exec_lo, exec_lo, s0
	s_and_saveexec_b32 s0, vcc_lo
	s_cbranch_execz .LBB38_74
.LBB38_97:
	ds_load_b32 v12, v11 offset:32
	s_wait_dscnt 0x0
	v_add_f32_e32 v2, v2, v12
	s_wait_alu 0xfffe
	s_or_b32 exec_lo, exec_lo, s0
	s_and_saveexec_b32 s0, vcc_lo
	s_cbranch_execz .LBB38_75
.LBB38_98:
	ds_load_b32 v12, v11 offset:64
	s_wait_dscnt 0x0
	v_add_f32_e32 v3, v3, v12
	s_wait_alu 0xfffe
	s_or_b32 exec_lo, exec_lo, s0
	s_and_saveexec_b32 s0, vcc_lo
	s_cbranch_execz .LBB38_76
.LBB38_99:
	ds_load_b32 v12, v11 offset:96
	s_wait_dscnt 0x0
	v_add_f32_e32 v4, v4, v12
	s_wait_alu 0xfffe
	s_or_b32 exec_lo, exec_lo, s0
	s_and_saveexec_b32 s0, vcc_lo
	s_cbranch_execz .LBB38_77
.LBB38_100:
	ds_load_b32 v12, v11 offset:128
	s_wait_dscnt 0x0
	v_add_f32_e32 v5, v5, v12
	s_wait_alu 0xfffe
	s_or_b32 exec_lo, exec_lo, s0
	s_and_saveexec_b32 s0, vcc_lo
	s_cbranch_execz .LBB38_78
.LBB38_101:
	ds_load_b32 v12, v11 offset:160
	s_wait_dscnt 0x0
	v_add_f32_e32 v6, v6, v12
	s_wait_alu 0xfffe
	s_or_b32 exec_lo, exec_lo, s0
	s_and_saveexec_b32 s0, vcc_lo
	s_cbranch_execz .LBB38_79
.LBB38_102:
	ds_load_b32 v12, v11 offset:192
	s_wait_dscnt 0x0
	v_add_f32_e32 v7, v7, v12
	s_wait_alu 0xfffe
	s_or_b32 exec_lo, exec_lo, s0
	s_and_saveexec_b32 s0, vcc_lo
	s_cbranch_execz .LBB38_80
.LBB38_103:
	ds_load_b32 v12, v11 offset:224
	s_wait_dscnt 0x0
	v_add_f32_e32 v8, v8, v12
	s_wait_alu 0xfffe
	s_or_b32 exec_lo, exec_lo, s0
	s_and_saveexec_b32 s0, vcc_lo
	s_cbranch_execz .LBB38_81
.LBB38_104:
	ds_load_b32 v12, v11 offset:256
	s_wait_dscnt 0x0
	v_add_f32_e32 v9, v9, v12
	s_wait_alu 0xfffe
	s_or_b32 exec_lo, exec_lo, s0
	s_and_saveexec_b32 s0, vcc_lo
	s_cbranch_execnz .LBB38_82
	s_branch .LBB38_83
	.section	.rodata,"a",@progbits
	.p2align	6, 0x0
	.amdhsa_kernel _ZN4vllm25paged_attention_v2_kernelIffLi80ELi16ELi128ELNS_18Fp8KVCacheDataTypeE0ELb0ELi512EEEvPfS2_PT_PKS3_PKT0_S9_ifPKiSB_iPKfiiiSD_SD_iiiii
		.amdhsa_group_segment_fixed_size 352
		.amdhsa_private_segment_fixed_size 0
		.amdhsa_kernarg_size 400
		.amdhsa_user_sgpr_count 2
		.amdhsa_user_sgpr_dispatch_ptr 0
		.amdhsa_user_sgpr_queue_ptr 0
		.amdhsa_user_sgpr_kernarg_segment_ptr 1
		.amdhsa_user_sgpr_dispatch_id 0
		.amdhsa_user_sgpr_private_segment_size 0
		.amdhsa_wavefront_size32 1
		.amdhsa_uses_dynamic_stack 0
		.amdhsa_enable_private_segment 0
		.amdhsa_system_sgpr_workgroup_id_x 1
		.amdhsa_system_sgpr_workgroup_id_y 1
		.amdhsa_system_sgpr_workgroup_id_z 1
		.amdhsa_system_sgpr_workgroup_info 0
		.amdhsa_system_vgpr_workitem_id 0
		.amdhsa_next_free_vgpr 97
		.amdhsa_next_free_sgpr 32
		.amdhsa_reserve_vcc 1
		.amdhsa_float_round_mode_32 0
		.amdhsa_float_round_mode_16_64 0
		.amdhsa_float_denorm_mode_32 3
		.amdhsa_float_denorm_mode_16_64 3
		.amdhsa_fp16_overflow 0
		.amdhsa_workgroup_processor_mode 1
		.amdhsa_memory_ordered 1
		.amdhsa_forward_progress 1
		.amdhsa_inst_pref_size 55
		.amdhsa_round_robin_scheduling 0
		.amdhsa_exception_fp_ieee_invalid_op 0
		.amdhsa_exception_fp_denorm_src 0
		.amdhsa_exception_fp_ieee_div_zero 0
		.amdhsa_exception_fp_ieee_overflow 0
		.amdhsa_exception_fp_ieee_underflow 0
		.amdhsa_exception_fp_ieee_inexact 0
		.amdhsa_exception_int_div_zero 0
	.end_amdhsa_kernel
	.section	.text._ZN4vllm25paged_attention_v2_kernelIffLi80ELi16ELi128ELNS_18Fp8KVCacheDataTypeE0ELb0ELi512EEEvPfS2_PT_PKS3_PKT0_S9_ifPKiSB_iPKfiiiSD_SD_iiiii,"axG",@progbits,_ZN4vllm25paged_attention_v2_kernelIffLi80ELi16ELi128ELNS_18Fp8KVCacheDataTypeE0ELb0ELi512EEEvPfS2_PT_PKS3_PKT0_S9_ifPKiSB_iPKfiiiSD_SD_iiiii,comdat
.Lfunc_end38:
	.size	_ZN4vllm25paged_attention_v2_kernelIffLi80ELi16ELi128ELNS_18Fp8KVCacheDataTypeE0ELb0ELi512EEEvPfS2_PT_PKS3_PKT0_S9_ifPKiSB_iPKfiiiSD_SD_iiiii, .Lfunc_end38-_ZN4vllm25paged_attention_v2_kernelIffLi80ELi16ELi128ELNS_18Fp8KVCacheDataTypeE0ELb0ELi512EEEvPfS2_PT_PKS3_PKT0_S9_ifPKiSB_iPKfiiiSD_SD_iiiii
                                        ; -- End function
	.set _ZN4vllm25paged_attention_v2_kernelIffLi80ELi16ELi128ELNS_18Fp8KVCacheDataTypeE0ELb0ELi512EEEvPfS2_PT_PKS3_PKT0_S9_ifPKiSB_iPKfiiiSD_SD_iiiii.num_vgpr, 97
	.set _ZN4vllm25paged_attention_v2_kernelIffLi80ELi16ELi128ELNS_18Fp8KVCacheDataTypeE0ELb0ELi512EEEvPfS2_PT_PKS3_PKT0_S9_ifPKiSB_iPKfiiiSD_SD_iiiii.num_agpr, 0
	.set _ZN4vllm25paged_attention_v2_kernelIffLi80ELi16ELi128ELNS_18Fp8KVCacheDataTypeE0ELb0ELi512EEEvPfS2_PT_PKS3_PKT0_S9_ifPKiSB_iPKfiiiSD_SD_iiiii.numbered_sgpr, 32
	.set _ZN4vllm25paged_attention_v2_kernelIffLi80ELi16ELi128ELNS_18Fp8KVCacheDataTypeE0ELb0ELi512EEEvPfS2_PT_PKS3_PKT0_S9_ifPKiSB_iPKfiiiSD_SD_iiiii.num_named_barrier, 0
	.set _ZN4vllm25paged_attention_v2_kernelIffLi80ELi16ELi128ELNS_18Fp8KVCacheDataTypeE0ELb0ELi512EEEvPfS2_PT_PKS3_PKT0_S9_ifPKiSB_iPKfiiiSD_SD_iiiii.private_seg_size, 0
	.set _ZN4vllm25paged_attention_v2_kernelIffLi80ELi16ELi128ELNS_18Fp8KVCacheDataTypeE0ELb0ELi512EEEvPfS2_PT_PKS3_PKT0_S9_ifPKiSB_iPKfiiiSD_SD_iiiii.uses_vcc, 1
	.set _ZN4vllm25paged_attention_v2_kernelIffLi80ELi16ELi128ELNS_18Fp8KVCacheDataTypeE0ELb0ELi512EEEvPfS2_PT_PKS3_PKT0_S9_ifPKiSB_iPKfiiiSD_SD_iiiii.uses_flat_scratch, 0
	.set _ZN4vllm25paged_attention_v2_kernelIffLi80ELi16ELi128ELNS_18Fp8KVCacheDataTypeE0ELb0ELi512EEEvPfS2_PT_PKS3_PKT0_S9_ifPKiSB_iPKfiiiSD_SD_iiiii.has_dyn_sized_stack, 0
	.set _ZN4vllm25paged_attention_v2_kernelIffLi80ELi16ELi128ELNS_18Fp8KVCacheDataTypeE0ELb0ELi512EEEvPfS2_PT_PKS3_PKT0_S9_ifPKiSB_iPKfiiiSD_SD_iiiii.has_recursion, 0
	.set _ZN4vllm25paged_attention_v2_kernelIffLi80ELi16ELi128ELNS_18Fp8KVCacheDataTypeE0ELb0ELi512EEEvPfS2_PT_PKS3_PKT0_S9_ifPKiSB_iPKfiiiSD_SD_iiiii.has_indirect_call, 0
	.section	.AMDGPU.csdata,"",@progbits
; Kernel info:
; codeLenInByte = 6948
; TotalNumSgprs: 34
; NumVgprs: 97
; ScratchSize: 0
; MemoryBound: 0
; FloatMode: 240
; IeeeMode: 1
; LDSByteSize: 352 bytes/workgroup (compile time only)
; SGPRBlocks: 0
; VGPRBlocks: 12
; NumSGPRsForWavesPerEU: 34
; NumVGPRsForWavesPerEU: 97
; Occupancy: 12
; WaveLimiterHint : 1
; COMPUTE_PGM_RSRC2:SCRATCH_EN: 0
; COMPUTE_PGM_RSRC2:USER_SGPR: 2
; COMPUTE_PGM_RSRC2:TRAP_HANDLER: 0
; COMPUTE_PGM_RSRC2:TGID_X_EN: 1
; COMPUTE_PGM_RSRC2:TGID_Y_EN: 1
; COMPUTE_PGM_RSRC2:TGID_Z_EN: 1
; COMPUTE_PGM_RSRC2:TIDIG_COMP_CNT: 0
	.section	.text._ZN4vllm25paged_attention_v2_kernelIffLi96ELi16ELi128ELNS_18Fp8KVCacheDataTypeE0ELb0ELi512EEEvPfS2_PT_PKS3_PKT0_S9_ifPKiSB_iPKfiiiSD_SD_iiiii,"axG",@progbits,_ZN4vllm25paged_attention_v2_kernelIffLi96ELi16ELi128ELNS_18Fp8KVCacheDataTypeE0ELb0ELi512EEEvPfS2_PT_PKS3_PKT0_S9_ifPKiSB_iPKfiiiSD_SD_iiiii,comdat
	.protected	_ZN4vllm25paged_attention_v2_kernelIffLi96ELi16ELi128ELNS_18Fp8KVCacheDataTypeE0ELb0ELi512EEEvPfS2_PT_PKS3_PKT0_S9_ifPKiSB_iPKfiiiSD_SD_iiiii ; -- Begin function _ZN4vllm25paged_attention_v2_kernelIffLi96ELi16ELi128ELNS_18Fp8KVCacheDataTypeE0ELb0ELi512EEEvPfS2_PT_PKS3_PKT0_S9_ifPKiSB_iPKfiiiSD_SD_iiiii
	.globl	_ZN4vllm25paged_attention_v2_kernelIffLi96ELi16ELi128ELNS_18Fp8KVCacheDataTypeE0ELb0ELi512EEEvPfS2_PT_PKS3_PKT0_S9_ifPKiSB_iPKfiiiSD_SD_iiiii
	.p2align	8
	.type	_ZN4vllm25paged_attention_v2_kernelIffLi96ELi16ELi128ELNS_18Fp8KVCacheDataTypeE0ELb0ELi512EEEvPfS2_PT_PKS3_PKT0_S9_ifPKiSB_iPKfiiiSD_SD_iiiii,@function
_ZN4vllm25paged_attention_v2_kernelIffLi96ELi16ELi128ELNS_18Fp8KVCacheDataTypeE0ELb0ELi512EEEvPfS2_PT_PKS3_PKT0_S9_ifPKiSB_iPKfiiiSD_SD_iiiii: ; @_ZN4vllm25paged_attention_v2_kernelIffLi96ELi16ELi128ELNS_18Fp8KVCacheDataTypeE0ELb0ELi512EEEvPfS2_PT_PKS3_PKT0_S9_ifPKiSB_iPKfiiiSD_SD_iiiii
; %bb.0:
	s_load_b64 s[2:3], s[0:1], 0x40
	s_and_b32 s14, ttmp7, 0xffff
	s_lshr_b32 s24, ttmp7, 16
	s_lshl_b32 s4, s14, 2
	s_lshl_b32 s26, s24, 9
	s_wait_kmcnt 0x0
	s_load_b32 s25, s[2:3], s4 offset:0x0
	s_wait_kmcnt 0x0
	s_cmp_ge_i32 s26, s25
	s_cbranch_scc1 .LBB39_94
; %bb.1:
	s_clause 0x1
	s_load_b32 s15, s[0:1], 0x90
	s_load_b64 s[6:7], s[0:1], 0x30
	s_wait_kmcnt 0x0
	s_abs_i32 s5, s15
	s_abs_i32 s2, s6
	s_delay_alu instid0(SALU_CYCLE_1) | instskip(SKIP_1) | instid1(SALU_CYCLE_2)
	s_cvt_f32_u32 s3, s2
	s_sub_co_i32 s4, 0, s2
	v_rcp_iflag_f32_e32 v1, s3
	s_delay_alu instid0(TRANS32_DEP_1) | instskip(SKIP_2) | instid1(SALU_CYCLE_2)
	v_readfirstlane_b32 s3, v1
	s_mul_f32 s3, s3, 0x4f7ffffe
	s_wait_alu 0xfffe
	s_cvt_u32_f32 s3, s3
	s_wait_alu 0xfffe
	s_delay_alu instid0(SALU_CYCLE_2) | instskip(NEXT) | instid1(SALU_CYCLE_1)
	s_mul_i32 s4, s4, s3
	s_mul_hi_u32 s4, s3, s4
	s_delay_alu instid0(SALU_CYCLE_1)
	s_add_co_i32 s3, s3, s4
	s_xor_b32 s4, s15, s6
	s_wait_alu 0xfffe
	s_mul_hi_u32 s3, s5, s3
	s_ashr_i32 s4, s4, 31
	s_wait_alu 0xfffe
	s_mul_i32 s6, s3, s2
	s_delay_alu instid0(SALU_CYCLE_1)
	s_sub_co_i32 s5, s5, s6
	s_add_co_i32 s6, s3, 1
	s_sub_co_i32 s8, s5, s2
	s_cmp_ge_u32 s5, s2
	s_cselect_b32 s3, s6, s3
	s_cselect_b32 s5, s8, s5
	s_wait_alu 0xfffe
	s_add_co_i32 s6, s3, 1
	s_cmp_ge_u32 s5, s2
	s_load_b64 s[8:9], s[0:1], 0x50
	s_cselect_b32 s2, s6, s3
	s_mov_b32 s3, 0
	s_wait_alu 0xfffe
	s_xor_b32 s2, s2, s4
	s_mov_b32 s6, s3
	s_wait_alu 0xfffe
	s_sub_co_i32 s12, s2, s4
	s_delay_alu instid0(SALU_CYCLE_1) | instskip(NEXT) | instid1(SALU_CYCLE_1)
	s_abs_i32 s11, s12
	s_cvt_f32_u32 s2, s11
	s_wait_alu 0xfffe
	s_delay_alu instid0(SALU_CYCLE_2) | instskip(NEXT) | instid1(TRANS32_DEP_1)
	v_rcp_iflag_f32_e32 v1, s2
	v_readfirstlane_b32 s2, v1
	s_mul_f32 s2, s2, 0x4f7ffffe
	s_wait_alu 0xfffe
	s_delay_alu instid0(SALU_CYCLE_2) | instskip(SKIP_2) | instid1(SALU_CYCLE_1)
	s_cvt_u32_f32 s4, s2
	s_sub_co_i32 s2, 0, s11
	s_wait_alu 0xfffe
	s_mul_i32 s2, s2, s4
	s_wait_alu 0xfffe
	s_mul_hi_u32 s5, s4, s2
	s_abs_i32 s2, ttmp9
	s_add_co_i32 s4, s4, s5
	s_mov_b32 s5, s3
	s_wait_kmcnt 0x0
	s_cmp_eq_u64 s[8:9], 0
	s_cbranch_scc1 .LBB39_3
; %bb.2:
	s_mov_b32 s16, ttmp9
	s_ashr_i32 s17, ttmp9, 31
	s_delay_alu instid0(SALU_CYCLE_1) | instskip(NEXT) | instid1(SALU_CYCLE_1)
	s_lshl_b64 s[16:17], s[16:17], 2
	s_add_nc_u64 s[8:9], s[8:9], s[16:17]
	s_load_b32 s6, s[8:9], 0x0
.LBB39_3:
	s_load_b96 s[8:10], s[0:1], 0x58
	v_and_b32_e32 v49, 1, v0
	v_lshlrev_b32_e32 v1, 3, v0
	v_lshlrev_b32_e32 v51, 2, v0
	s_mul_u64 s[4:5], s[2:3], s[4:5]
	s_ashr_i32 s3, ttmp9, 31
	s_ashr_i32 s4, s12, 31
	s_mul_i32 s12, ttmp9, 0x60
	s_mov_b32 s16, exec_lo
	v_cmpx_gt_u32_e32 48, v0
	s_cbranch_execz .LBB39_5
; %bb.4:
	s_load_b64 s[18:19], s[0:1], 0x18
	s_wait_kmcnt 0x0
	s_mul_i32 s20, s8, s14
	s_ashr_i32 s13, s12, 31
	s_ashr_i32 s21, s20, 31
	v_and_b32_e32 v4, 0xff8, v51
	s_lshl_b64 s[20:21], s[20:21], 2
	s_delay_alu instid0(VALU_DEP_1) | instskip(SKIP_2) | instid1(SALU_CYCLE_1)
	v_mad_u32_u24 v4, 0xc0, v49, v4
	s_add_nc_u64 s[18:19], s[18:19], s[20:21]
	s_lshl_b64 s[20:21], s[12:13], 2
	s_add_nc_u64 s[18:19], s[18:19], s[20:21]
	global_load_b64 v[2:3], v1, s[18:19]
	s_wait_loadcnt 0x0
	ds_store_b64 v4, v[2:3]
.LBB39_5:
	s_or_b32 exec_lo, exec_lo, s16
	s_wait_kmcnt 0x0
	s_add_co_i32 s8, s25, 15
	s_wait_alu 0xfffe
	s_xor_b32 s3, s3, s4
	s_ashr_i32 s13, s8, 31
	s_lshl_b32 s28, s24, 5
	s_lshr_b32 s4, s13, 28
	s_mul_i32 s13, s5, s11
	s_add_co_i32 s8, s8, s4
	s_add_co_i32 s4, s28, 32
	s_ashr_i32 s27, s8, 4
	s_load_b32 s8, s[0:1], 0x48
	s_sub_co_i32 s2, s2, s13
	s_min_i32 s13, s4, s27
	s_add_co_i32 s4, s5, 1
	s_wait_alu 0xfffe
	s_sub_co_i32 s16, s2, s11
	s_cmp_ge_u32 s2, s11
	v_lshrrev_b32_e32 v55, 5, v0
	s_cselect_b32 s4, s4, s5
	s_cselect_b32 s2, s16, s2
	s_add_co_i32 s5, s4, 1
	s_wait_alu 0xfffe
	s_cmp_ge_u32 s2, s11
	v_or_b32_e32 v56, s28, v55
	s_cselect_b32 s2, s5, s4
	v_mbcnt_lo_u32_b32 v53, -1, 0
	s_wait_alu 0xfffe
	s_xor_b32 s2, s2, s3
	s_mov_b32 s4, exec_lo
	s_wait_alu 0xfffe
	s_sub_co_i32 s3, s2, s3
	v_cmp_gt_i32_e64 s2, s13, v56
	s_wait_dscnt 0x0
	s_barrier_signal -1
	s_wait_kmcnt 0x0
	s_mul_i32 s16, s8, s14
	s_barrier_wait -1
	s_ashr_i32 s17, s16, 31
	global_inv scope:SCOPE_SE
                                        ; implicit-def: $vgpr54
                                        ; implicit-def: $vgpr59
	v_cmpx_le_i32_e64 s13, v56
	s_xor_b32 s4, exec_lo, s4
; %bb.6:
	v_dual_mov_b32 v54, 0 :: v_dual_mov_b32 v59, 32
	v_mbcnt_lo_u32_b32 v53, -1, 0
                                        ; implicit-def: $vgpr1
                                        ; implicit-def: $vgpr49
; %bb.7:
	s_or_saveexec_b32 s11, s4
	s_clause 0x1
	s_load_b64 s[18:19], s[0:1], 0x38
	s_load_b32 s8, s[0:1], 0x98
	v_dual_mov_b32 v57, 0xff7fffff :: v_dual_lshlrev_b32 v52, 2, v56
	s_mul_i32 s20, s3, s10
	s_xor_b32 exec_lo, exec_lo, s11
	s_cbranch_execz .LBB39_13
; %bb.8:
	s_load_b64 s[4:5], s[0:1], 0x20
	v_bfe_u32 v50, v0, 1, 4
	s_ashr_i32 s21, s20, 31
	v_dual_mov_b32 v54, 0 :: v_dual_and_b32 v33, 8, v1
	s_lshl_b64 s[22:23], s[20:21], 2
	s_delay_alu instid0(VALU_DEP_2)
	v_lshlrev_b32_e32 v25, 4, v50
	v_xor_b32_e32 v41, 1, v53
	v_mul_u32_u24_e32 v45, 0xc0, v49
	ds_load_b128 v[1:4], v45
	ds_load_b128 v[5:8], v45 offset:16
	ds_load_b128 v[9:12], v45 offset:32
	;; [unrolled: 1-line block ×5, first 2 shown]
	v_dual_mov_b32 v64, v56 :: v_dual_lshlrev_b32 v57, 2, v50
	s_cmp_neq_f32 s6, 0
	v_mov_b32_e32 v59, 32
	s_mov_b32 s21, s9
	s_delay_alu instid0(VALU_DEP_2)
	v_lshl_or_b32 v57, v55, 6, v57
	s_wait_kmcnt 0x0
	s_add_nc_u64 s[4:5], s[4:5], s[22:23]
	s_mov_b32 s10, 0
	v_add_co_u32 v34, s3, s4, v25
	s_wait_alu 0xf1ff
	v_add_co_ci_u32_e64 v35, null, s5, 0, s3
	ds_load_b128 v[25:28], v45 offset:96
	ds_load_b128 v[29:32], v45 offset:112
	v_add_co_u32 v58, vcc_lo, v34, v33
	s_delay_alu instid0(VALU_DEP_1)
	v_add_co_ci_u32_e64 v60, null, 0, v35, vcc_lo
	v_cmp_gt_i32_e32 vcc_lo, 32, v41
	ds_load_b128 v[33:36], v45 offset:128
	ds_load_b128 v[37:40], v45 offset:144
	s_cselect_b32 s3, -1, 0
	s_lshl_b64 s[4:5], s[16:17], 2
	s_wait_alu 0xfffd
	v_dual_cndmask_b32 v61, v53, v41 :: v_dual_lshlrev_b32 v62, 4, v55
	ds_load_b128 v[41:44], v45 offset:160
	ds_load_b128 v[45:48], v45 offset:176
	s_wait_alu 0xfffe
	s_add_nc_u64 s[4:5], s[18:19], s[4:5]
	v_cmp_eq_u32_e32 vcc_lo, 0, v49
	s_wait_alu 0xfffe
	v_add_co_u32 v49, s4, s4, v52
	v_lshlrev_b32_e32 v61, 2, v61
	v_add3_u32 v62, s26, v62, v50
	v_add_nc_u32_e32 v63, 0x1a0, v57
	s_wait_alu 0xf1ff
	v_add_co_ci_u32_e64 v50, null, s5, 0, s4
	v_mov_b32_e32 v57, 0xff7fffff
	s_sub_co_i32 s22, 1, s25
	s_branch .LBB39_10
.LBB39_9:                               ;   in Loop: Header=BB39_10 Depth=1
	s_wait_alu 0xfffe
	s_or_b32 exec_lo, exec_lo, s5
	v_add_nc_u32_e32 v64, 4, v64
	v_add_co_u32 v49, s5, v49, 16
	v_add_nc_u32_e32 v62, 64, v62
	v_add_nc_u32_e32 v63, 0x100, v63
	s_delay_alu instid0(VALU_DEP_4) | instskip(SKIP_3) | instid1(SALU_CYCLE_1)
	v_cmp_le_i32_e64 s4, s13, v64
	s_wait_alu 0xf1ff
	v_add_co_ci_u32_e64 v50, null, 0, v50, s5
	s_or_b32 s10, s4, s10
	s_and_not1_b32 exec_lo, exec_lo, s10
	s_cbranch_execz .LBB39_12
.LBB39_10:                              ; =>This Inner Loop Header: Depth=1
	global_load_b32 v65, v[49:50], off
	s_wait_loadcnt_dscnt 0x0
	v_mad_co_i64_i32 v[65:66], null, v65, s21, 0
	s_delay_alu instid0(VALU_DEP_1) | instskip(NEXT) | instid1(VALU_DEP_1)
	v_lshlrev_b64_e32 v[65:66], 2, v[65:66]
	v_add_co_u32 v65, s4, v58, v65
	s_wait_alu 0xf1ff
	s_delay_alu instid0(VALU_DEP_2)
	v_add_co_ci_u32_e64 v66, null, v60, v66, s4
	s_clause 0x17
	global_load_b64 v[67:68], v[65:66], off offset:256
	global_load_b64 v[69:70], v[65:66], off offset:512
	;; [unrolled: 1-line block ×3, first 2 shown]
	global_load_b64 v[73:74], v[65:66], off
	global_load_b64 v[75:76], v[65:66], off offset:1024
	global_load_b64 v[77:78], v[65:66], off offset:1280
	;; [unrolled: 1-line block ×20, first 2 shown]
	s_wait_loadcnt_dscnt 0x170b
	v_dual_mul_f32 v67, v3, v67 :: v_dual_mul_f32 v68, v4, v68
	s_wait_loadcnt 0x14
	s_delay_alu instid0(VALU_DEP_1) | instskip(SKIP_1) | instid1(VALU_DEP_1)
	v_dual_fmac_f32 v67, v1, v73 :: v_dual_fmac_f32 v68, v2, v74
	s_wait_dscnt 0xa
	v_dual_fmac_f32 v67, v5, v69 :: v_dual_fmac_f32 v68, v6, v70
	s_delay_alu instid0(VALU_DEP_1) | instskip(SKIP_1) | instid1(VALU_DEP_1)
	v_dual_fmac_f32 v67, v7, v71 :: v_dual_fmac_f32 v68, v8, v72
	s_wait_loadcnt_dscnt 0x1309
	v_dual_fmac_f32 v67, v9, v75 :: v_dual_fmac_f32 v68, v10, v76
	s_wait_loadcnt 0x12
	s_delay_alu instid0(VALU_DEP_1) | instskip(SKIP_1) | instid1(VALU_DEP_1)
	v_dual_fmac_f32 v67, v11, v77 :: v_dual_fmac_f32 v68, v12, v78
	s_wait_loadcnt_dscnt 0x1108
	v_dual_fmac_f32 v67, v13, v79 :: v_dual_fmac_f32 v68, v14, v80
	s_wait_loadcnt 0x10
	;; [unrolled: 5-line block ×10, first 2 shown]
	s_delay_alu instid0(VALU_DEP_1) | instskip(NEXT) | instid1(VALU_DEP_1)
	v_dual_fmac_f32 v67, v47, v65 :: v_dual_fmac_f32 v68, v48, v66
	v_add_f32_e32 v65, v67, v68
	ds_bpermute_b32 v66, v61, v65
	s_and_saveexec_b32 s5, vcc_lo
	s_cbranch_execz .LBB39_9
; %bb.11:                               ;   in Loop: Header=BB39_10 Depth=1
	s_wait_dscnt 0x0
	v_add_f32_e32 v65, v65, v66
	v_add_nc_u32_e32 v67, s22, v62
	v_cmp_gt_i32_e64 s4, s25, v62
	s_delay_alu instid0(VALU_DEP_2) | instskip(NEXT) | instid1(VALU_DEP_1)
	v_cvt_f32_i32_e32 v67, v67
	v_mul_f32_e32 v67, s6, v67
	s_delay_alu instid0(VALU_DEP_1) | instskip(SKIP_1) | instid1(VALU_DEP_2)
	v_cndmask_b32_e64 v66, 0, v67, s3
	v_max_num_f32_e32 v67, v57, v57
	v_fmac_f32_e32 v66, s7, v65
	s_delay_alu instid0(VALU_DEP_1) | instskip(SKIP_2) | instid1(VALU_DEP_2)
	v_max_num_f32_e32 v65, v67, v66
	s_wait_alu 0xf1ff
	v_cndmask_b32_e64 v66, 0, v66, s4
	v_cndmask_b32_e64 v57, v57, v65, s4
	ds_store_b32 v63, v66
	s_branch .LBB39_9
.LBB39_12:
	s_or_b32 exec_lo, exec_lo, s10
.LBB39_13:
	s_delay_alu instid0(SALU_CYCLE_1)
	s_or_b32 exec_lo, exec_lo, s11
	v_xor_b32_e32 v1, 16, v53
	v_xor_b32_e32 v3, 8, v53
	v_max_num_f32_e32 v5, v57, v57
	v_xor_b32_e32 v6, 2, v53
	s_clause 0x2
	s_load_b128 s[4:7], s[0:1], 0x0
	s_load_b64 s[10:11], s[0:1], 0x10
	s_load_b64 s[22:23], s[0:1], 0x28
	v_cmp_lt_i32_e32 vcc_lo, v1, v59
	s_wait_alu 0xfffd
	v_cndmask_b32_e32 v1, v53, v1, vcc_lo
	v_cmp_lt_i32_e32 vcc_lo, v3, v59
	s_wait_alu 0xfffd
	v_cndmask_b32_e32 v3, v53, v3, vcc_lo
	s_delay_alu instid0(VALU_DEP_1)
	v_lshlrev_b32_e32 v4, 2, v3
	v_lshlrev_b32_e32 v2, 2, v1
	ds_bpermute_b32 v1, v2, v57
	v_and_b32_e32 v57, 31, v0
	s_wait_dscnt 0x0
	v_max_num_f32_e32 v1, v1, v1
	s_delay_alu instid0(VALU_DEP_1)
	v_max_num_f32_e32 v1, v5, v1
	v_xor_b32_e32 v5, 4, v53
	ds_bpermute_b32 v3, v4, v1
	v_cmp_lt_i32_e32 vcc_lo, v5, v59
	s_wait_alu 0xfffd
	v_cndmask_b32_e32 v5, v53, v5, vcc_lo
	v_cmp_lt_i32_e32 vcc_lo, v6, v59
	s_wait_alu 0xfffd
	s_delay_alu instid0(VALU_DEP_2) | instskip(SKIP_1) | instid1(VALU_DEP_2)
	v_dual_cndmask_b32 v6, v53, v6 :: v_dual_lshlrev_b32 v5, 2, v5
	v_cmp_eq_u32_e32 vcc_lo, 0, v57
	v_lshlrev_b32_e32 v58, 2, v6
	v_lshlrev_b32_e32 v6, 2, v55
	s_wait_dscnt 0x0
	v_max_num_f32_e32 v3, v3, v3
	s_delay_alu instid0(VALU_DEP_1) | instskip(SKIP_3) | instid1(VALU_DEP_1)
	v_max_num_f32_e32 v1, v1, v3
	ds_bpermute_b32 v3, v5, v1
	s_wait_dscnt 0x0
	v_max_num_f32_e32 v3, v3, v3
	v_max_num_f32_e32 v1, v1, v3
	ds_bpermute_b32 v3, v58, v1
	s_and_saveexec_b32 s0, vcc_lo
	s_cbranch_execz .LBB39_15
; %bb.14:
	s_wait_dscnt 0x0
	v_max_num_f32_e32 v3, v3, v3
	v_max_num_f32_e32 v1, v1, v1
	s_delay_alu instid0(VALU_DEP_1)
	v_max_num_f32_e32 v1, v1, v3
	ds_store_b32 v6, v1 offset:384
.LBB39_15:
	s_or_b32 exec_lo, exec_lo, s0
	v_cmp_gt_u32_e64 s0, 4, v57
	v_mov_b32_e32 v1, 0xff7fffff
	v_lshlrev_b32_e32 v7, 2, v57
	s_wait_loadcnt_dscnt 0x0
	s_barrier_signal -1
	s_barrier_wait -1
	global_inv scope:SCOPE_SE
	s_and_saveexec_b32 s1, s0
; %bb.16:
	ds_load_b32 v1, v7 offset:384
; %bb.17:
	s_or_b32 exec_lo, exec_lo, s1
	s_wait_dscnt 0x0
	ds_bpermute_b32 v3, v58, v1
	v_xor_b32_e32 v8, 1, v53
	v_max_num_f32_e32 v1, v1, v1
	s_delay_alu instid0(VALU_DEP_2) | instskip(NEXT) | instid1(VALU_DEP_1)
	v_cmp_lt_i32_e64 s1, v8, v59
	v_cndmask_b32_e64 v8, v53, v8, s1
	s_sub_co_i32 s1, s13, s28
	s_wait_alu 0xfffe
	s_lshl_b32 s1, s1, 4
	s_delay_alu instid0(VALU_DEP_1)
	v_dual_mov_b32 v8, 0 :: v_dual_lshlrev_b32 v59, 2, v8
	s_wait_alu 0xfffe
	s_add_co_i32 s1, s1, s26
	s_wait_alu 0xfffe
	s_min_i32 s1, s1, s25
	s_wait_dscnt 0x0
	v_max_num_f32_e32 v3, v3, v3
	s_wait_alu 0xfffe
	s_sub_co_i32 s21, s1, s26
	s_wait_alu 0xfffe
	v_cmp_gt_i32_e64 s1, s21, v0
	v_max_num_f32_e32 v1, v1, v3
	ds_bpermute_b32 v3, v59, v1
	s_wait_dscnt 0x0
	v_max_num_f32_e32 v3, v3, v3
	s_delay_alu instid0(VALU_DEP_1)
	v_max_num_f32_e32 v1, v1, v3
	v_lshlrev_b32_e32 v3, 2, v54
	ds_bpermute_b32 v1, v3, v1
	v_lshl_add_u32 v3, v0, 2, 0x1a0
	s_and_saveexec_b32 s28, s1
	s_cbranch_execz .LBB39_21
; %bb.18:
	v_lshl_add_u32 v9, v0, 2, 0x1a0
	v_mov_b32_e32 v8, 0
	v_mov_b32_e32 v10, v0
	s_mov_b32 s29, 0
.LBB39_19:                              ; =>This Inner Loop Header: Depth=1
	ds_load_b32 v11, v9
	v_add_nc_u32_e32 v10, 0x80, v10
	s_delay_alu instid0(VALU_DEP_1) | instskip(SKIP_4) | instid1(VALU_DEP_1)
	v_cmp_le_i32_e64 s3, s21, v10
	s_wait_alu 0xfffe
	s_or_b32 s29, s3, s29
	s_wait_dscnt 0x0
	v_sub_f32_e32 v11, v11, v1
	v_mul_f32_e32 v11, 0x3fb8aa3b, v11
	s_delay_alu instid0(VALU_DEP_1)
	v_exp_f32_e32 v11, v11
	ds_store_b32 v9, v11
	v_dual_add_f32 v8, v8, v11 :: v_dual_add_nc_u32 v9, 0x200, v9
	s_wait_alu 0xfffe
	s_and_not1_b32 exec_lo, exec_lo, s29
	s_cbranch_execnz .LBB39_19
; %bb.20:
	s_or_b32 exec_lo, exec_lo, s29
.LBB39_21:
	s_wait_alu 0xfffe
	s_or_b32 exec_lo, exec_lo, s28
	ds_bpermute_b32 v2, v2, v8
	s_wait_dscnt 0x0
	v_add_f32_e32 v2, v8, v2
	ds_bpermute_b32 v4, v4, v2
	s_wait_dscnt 0x0
	v_add_f32_e32 v2, v2, v4
	;; [unrolled: 3-line block ×5, first 2 shown]
	s_and_saveexec_b32 s3, vcc_lo
; %bb.22:
	ds_store_b32 v6, v2 offset:400
; %bb.23:
	s_wait_alu 0xfffe
	s_or_b32 exec_lo, exec_lo, s3
	s_wait_loadcnt_dscnt 0x0
	s_barrier_signal -1
	s_barrier_wait -1
	global_inv scope:SCOPE_SE
	s_and_saveexec_b32 s3, s0
; %bb.24:
	ds_load_b32 v2, v7 offset:400
; %bb.25:
	s_wait_alu 0xfffe
	s_or_b32 exec_lo, exec_lo, s3
	s_wait_dscnt 0x0
	ds_bpermute_b32 v4, v58, v2
	s_wait_dscnt 0x0
	v_dual_add_f32 v2, v2, v4 :: v_dual_lshlrev_b32 v5, 2, v53
	ds_bpermute_b32 v4, v59, v2
	s_wait_dscnt 0x0
	v_add_f32_e32 v2, v2, v4
	v_and_b32_e32 v4, 0xffffff80, v5
	ds_bpermute_b32 v2, v4, v2
	s_and_saveexec_b32 s0, s1
	s_cbranch_execz .LBB39_28
; %bb.26:
	s_wait_dscnt 0x0
	v_add_f32_e32 v4, 0x358637bd, v2
	s_mov_b32 s1, 0
	s_delay_alu instid0(VALU_DEP_1) | instskip(SKIP_1) | instid1(VALU_DEP_2)
	v_div_scale_f32 v5, null, v4, v4, 1.0
	v_div_scale_f32 v8, vcc_lo, 1.0, v4, 1.0
	v_rcp_f32_e32 v6, v5
	s_delay_alu instid0(TRANS32_DEP_1) | instskip(NEXT) | instid1(VALU_DEP_1)
	v_fma_f32 v7, -v5, v6, 1.0
	v_fmac_f32_e32 v6, v7, v6
	s_delay_alu instid0(VALU_DEP_1) | instskip(NEXT) | instid1(VALU_DEP_1)
	v_mul_f32_e32 v7, v8, v6
	v_fma_f32 v9, -v5, v7, v8
	s_delay_alu instid0(VALU_DEP_1) | instskip(NEXT) | instid1(VALU_DEP_1)
	v_fmac_f32_e32 v7, v9, v6
	v_fma_f32 v5, -v5, v7, v8
	s_wait_alu 0xfffd
	s_delay_alu instid0(VALU_DEP_1) | instskip(NEXT) | instid1(VALU_DEP_1)
	v_div_fmas_f32 v5, v5, v6, v7
	v_div_fixup_f32 v4, v5, v4, 1.0
	v_mov_b32_e32 v5, v0
.LBB39_27:                              ; =>This Inner Loop Header: Depth=1
	ds_load_b32 v6, v3
	s_wait_dscnt 0x0
	v_dual_mul_f32 v6, v4, v6 :: v_dual_add_nc_u32 v5, 0x80, v5
	s_delay_alu instid0(VALU_DEP_1)
	v_cmp_le_i32_e32 vcc_lo, s21, v5
	ds_store_b32 v3, v6
	v_add_nc_u32_e32 v3, 0x200, v3
	s_wait_alu 0xfffe
	s_or_b32 s1, vcc_lo, s1
	s_wait_alu 0xfffe
	s_and_not1_b32 exec_lo, exec_lo, s1
	s_cbranch_execnz .LBB39_27
.LBB39_28:
	s_wait_alu 0xfffe
	s_or_b32 exec_lo, exec_lo, s0
	s_wait_kmcnt 0x0
	s_mul_i32 s0, s8, s14
	s_wait_loadcnt_dscnt 0x0
	s_wait_alu 0xfffe
	s_mul_i32 s14, s0, s15
	s_mov_b32 s0, exec_lo
	s_barrier_signal -1
	s_barrier_wait -1
	global_inv scope:SCOPE_SE
	v_cmpx_eq_u32_e32 0, v0
	s_cbranch_execz .LBB39_30
; %bb.29:
	s_ashr_i32 s15, s14, 31
	s_wait_alu 0xfffe
	s_mul_i32 s28, s8, ttmp9
	s_lshl_b32 s1, s24, 2
	s_lshl_b64 s[30:31], s[14:15], 2
	s_wait_alu 0xfffe
	s_ashr_i32 s29, s28, 31
	v_mov_b32_e32 v3, s1
	s_add_nc_u64 s[6:7], s[6:7], s[30:31]
	s_wait_alu 0xfffe
	s_lshl_b64 s[28:29], s[28:29], 2
	s_add_nc_u64 s[4:5], s[4:5], s[30:31]
	s_wait_alu 0xfffe
	s_add_nc_u64 s[6:7], s[6:7], s[28:29]
	s_add_nc_u64 s[4:5], s[4:5], s[28:29]
	s_clause 0x1
	global_store_b32 v3, v1, s[6:7]
	global_store_b32 v3, v2, s[4:5]
.LBB39_30:
	s_wait_alu 0xfffe
	s_or_b32 exec_lo, exec_lo, s0
	v_dual_mov_b32 v70, 0 :: v_dual_mov_b32 v71, 0
	v_dual_mov_b32 v69, 0 :: v_dual_and_b32 v60, 3, v0
	v_dual_mov_b32 v72, 0 :: v_dual_mov_b32 v67, 0
	v_dual_mov_b32 v68, 0 :: v_dual_mov_b32 v65, 0
	;; [unrolled: 1-line block ×4, first 2 shown]
	v_mov_b32_e32 v62, 0
	s_and_saveexec_b32 s1, s2
	s_cbranch_execz .LBB39_58
; %bb.31:
	v_dual_mov_b32 v62, 0 :: v_dual_lshlrev_b32 v1, 4, v0
	s_ashr_i32 s21, s20, 31
	v_dual_mov_b32 v64, 0 :: v_dual_lshlrev_b32 v3, 4, v60
	s_delay_alu instid0(VALU_DEP_2)
	v_dual_mov_b32 v66, 0 :: v_dual_and_b32 v1, 0x1f0, v1
	s_wait_alu 0xfffe
	s_lshl_b64 s[2:3], s[20:21], 2
	v_dual_mov_b32 v61, 0 :: v_dual_and_b32 v2, 12, v51
	s_wait_alu 0xfffe
	s_add_nc_u64 s[2:3], s[22:23], s[2:3]
	v_lshl_add_u32 v4, v55, 4, s26
	s_wait_alu 0xfffe
	v_add_co_u32 v73, s0, s2, v1
	s_wait_alu 0xf1ff
	v_add_co_ci_u32_e64 v74, null, s3, 0, s0
	s_lshl_b64 s[2:3], s[16:17], 2
	v_lshl_or_b32 v3, v55, 6, v3
	s_wait_alu 0xfffe
	s_add_nc_u64 s[2:3], s[18:19], s[2:3]
	v_add3_u32 v75, v4, v2, 3
	s_wait_alu 0xfffe
	v_add_co_u32 v53, s0, s2, v52
	v_dual_mov_b32 v63, 0 :: v_dual_add_nc_u32 v76, 0x1a0, v3
	s_wait_alu 0xf1ff
	v_add_co_ci_u32_e64 v54, null, s3, 0, s0
	v_dual_mov_b32 v65, 0 :: v_dual_mov_b32 v68, 0
	v_dual_mov_b32 v67, 0 :: v_dual_mov_b32 v72, 0
	;; [unrolled: 1-line block ×3, first 2 shown]
	v_mov_b32_e32 v71, 0
	s_mov_b32 s2, s9
	s_add_co_i32 s27, s27, -1
	s_mov_b32 s3, 0
	s_branch .LBB39_33
.LBB39_32:                              ;   in Loop: Header=BB39_33 Depth=1
	s_wait_alu 0xfffe
	s_or_b32 exec_lo, exec_lo, s0
	s_wait_loadcnt_dscnt 0xa00
	v_mul_f32_e32 v9, v1, v9
	s_wait_loadcnt 0x3
	v_mul_f32_e32 v37, v1, v37
	v_mul_f32_e32 v29, v1, v29
	;; [unrolled: 1-line block ×4, first 2 shown]
	v_fmac_f32_e32 v9, v2, v10
	s_wait_loadcnt 0x1
	v_dual_mul_f32 v49, v1, v49 :: v_dual_add_nc_u32 v56, 4, v56
	v_fmac_f32_e32 v29, v2, v30
	v_fmac_f32_e32 v21, v2, v22
	;; [unrolled: 1-line block ×4, first 2 shown]
	v_dual_mul_f32 v45, v1, v45 :: v_dual_add_nc_u32 v76, 0x100, v76
	v_mul_f32_e32 v33, v1, v33
	s_delay_alu instid0(VALU_DEP_4) | instskip(SKIP_3) | instid1(VALU_DEP_4)
	v_fmac_f32_e32 v9, v4, v12
	v_fmac_f32_e32 v37, v2, v38
	v_mul_f32_e32 v25, v1, v25
	v_fmac_f32_e32 v29, v3, v31
	v_dual_fmac_f32 v21, v3, v23 :: v_dual_add_f32 v72, v72, v9
	s_delay_alu instid0(VALU_DEP_4)
	v_fmac_f32_e32 v37, v3, v39
	v_mul_f32_e32 v17, v1, v17
	v_mul_f32_e32 v13, v1, v13
	s_wait_loadcnt 0x0
	v_mul_f32_e32 v1, v1, v41
	v_fmac_f32_e32 v5, v3, v7
	v_fmac_f32_e32 v37, v4, v40
	;; [unrolled: 1-line block ×6, first 2 shown]
	s_delay_alu instid0(VALU_DEP_4)
	v_dual_add_f32 v64, v64, v37 :: v_dual_fmac_f32 v49, v3, v51
	v_fmac_f32_e32 v21, v4, v24
	v_fmac_f32_e32 v45, v2, v46
	;; [unrolled: 1-line block ×7, first 2 shown]
	v_dual_fmac_f32 v25, v3, v27 :: v_dual_add_f32 v66, v66, v29
	s_delay_alu instid0(VALU_DEP_3) | instskip(SKIP_3) | instid1(VALU_DEP_4)
	v_dual_fmac_f32 v49, v4, v52 :: v_dual_add_f32 v70, v70, v5
	v_dual_add_f32 v68, v68, v21 :: v_dual_fmac_f32 v45, v3, v47
	v_fmac_f32_e32 v17, v3, v19
	v_fmac_f32_e32 v13, v3, v15
	v_dual_fmac_f32 v1, v3, v43 :: v_dual_add_f32 v62, v62, v49
	s_delay_alu instid0(VALU_DEP_4)
	v_fmac_f32_e32 v45, v4, v48
	v_fmac_f32_e32 v33, v4, v36
	;; [unrolled: 1-line block ×6, first 2 shown]
	v_cmp_le_i32_e32 vcc_lo, s13, v56
	v_add_co_u32 v53, s0, v53, 16
	v_add_f32_e32 v63, v63, v45
	v_add_f32_e32 v65, v65, v33
	;; [unrolled: 1-line block ×6, first 2 shown]
	v_add_nc_u32_e32 v75, 64, v75
	s_wait_alu 0xf1ff
	v_add_co_ci_u32_e64 v54, null, 0, v54, s0
	s_or_b32 s3, vcc_lo, s3
	s_wait_alu 0xfffe
	s_and_not1_b32 exec_lo, exec_lo, s3
	s_cbranch_execz .LBB39_57
.LBB39_33:                              ; =>This Inner Loop Header: Depth=1
	global_load_b32 v1, v[53:54], off
	v_add_nc_u32_e32 v77, -3, v75
	v_add_nc_u32_e32 v79, -2, v75
	;; [unrolled: 1-line block ×3, first 2 shown]
	s_wait_loadcnt 0x0
	s_wait_alu 0xfffe
	v_mad_co_i64_i32 v[1:2], null, v1, s2, 0
	s_delay_alu instid0(VALU_DEP_1) | instskip(NEXT) | instid1(VALU_DEP_1)
	v_lshlrev_b64_e32 v[1:2], 2, v[1:2]
	v_add_co_u32 v41, vcc_lo, v73, v1
	s_wait_alu 0xfffd
	s_delay_alu instid0(VALU_DEP_2)
	v_add_co_ci_u32_e64 v42, null, v74, v2, vcc_lo
	ds_load_b128 v[1:4], v76
	v_cmp_eq_u32_e32 vcc_lo, s27, v56
	global_load_b128 v[5:8], v[41:42], off
	s_and_saveexec_b32 s4, vcc_lo
	s_cbranch_execnz .LBB39_45
; %bb.34:                               ;   in Loop: Header=BB39_33 Depth=1
	s_wait_alu 0xfffe
	s_or_b32 exec_lo, exec_lo, s4
	global_load_b128 v[9:12], v[41:42], off offset:512
	s_and_saveexec_b32 s4, vcc_lo
	s_cbranch_execnz .LBB39_46
.LBB39_35:                              ;   in Loop: Header=BB39_33 Depth=1
	s_wait_alu 0xfffe
	s_or_b32 exec_lo, exec_lo, s4
	global_load_b128 v[13:16], v[41:42], off offset:1024
	s_and_saveexec_b32 s4, vcc_lo
	s_cbranch_execnz .LBB39_47
.LBB39_36:                              ;   in Loop: Header=BB39_33 Depth=1
	s_wait_alu 0xfffe
	s_or_b32 exec_lo, exec_lo, s4
	global_load_b128 v[17:20], v[41:42], off offset:1536
	s_and_saveexec_b32 s4, vcc_lo
	s_cbranch_execnz .LBB39_48
.LBB39_37:                              ;   in Loop: Header=BB39_33 Depth=1
	s_wait_alu 0xfffe
	s_or_b32 exec_lo, exec_lo, s4
	global_load_b128 v[21:24], v[41:42], off offset:2048
	s_and_saveexec_b32 s4, vcc_lo
	s_cbranch_execnz .LBB39_49
.LBB39_38:                              ;   in Loop: Header=BB39_33 Depth=1
	s_wait_alu 0xfffe
	s_or_b32 exec_lo, exec_lo, s4
	global_load_b128 v[25:28], v[41:42], off offset:2560
	s_and_saveexec_b32 s4, vcc_lo
	s_cbranch_execnz .LBB39_50
.LBB39_39:                              ;   in Loop: Header=BB39_33 Depth=1
	s_wait_alu 0xfffe
	s_or_b32 exec_lo, exec_lo, s4
	global_load_b128 v[29:32], v[41:42], off offset:3072
	s_and_saveexec_b32 s4, vcc_lo
	s_cbranch_execnz .LBB39_51
.LBB39_40:                              ;   in Loop: Header=BB39_33 Depth=1
	s_wait_alu 0xfffe
	s_or_b32 exec_lo, exec_lo, s4
	global_load_b128 v[33:36], v[41:42], off offset:3584
	s_and_saveexec_b32 s4, vcc_lo
	s_cbranch_execnz .LBB39_52
.LBB39_41:                              ;   in Loop: Header=BB39_33 Depth=1
	s_wait_alu 0xfffe
	s_or_b32 exec_lo, exec_lo, s4
	global_load_b128 v[37:40], v[41:42], off offset:4096
	s_and_saveexec_b32 s4, vcc_lo
	s_cbranch_execnz .LBB39_53
.LBB39_42:                              ;   in Loop: Header=BB39_33 Depth=1
	s_wait_alu 0xfffe
	s_or_b32 exec_lo, exec_lo, s4
	global_load_b128 v[45:48], v[41:42], off offset:4608
	s_and_saveexec_b32 s4, vcc_lo
	s_cbranch_execnz .LBB39_54
.LBB39_43:                              ;   in Loop: Header=BB39_33 Depth=1
	s_wait_alu 0xfffe
	s_or_b32 exec_lo, exec_lo, s4
	global_load_b128 v[49:52], v[41:42], off offset:5120
	s_and_saveexec_b32 s4, vcc_lo
	s_cbranch_execnz .LBB39_55
.LBB39_44:                              ;   in Loop: Header=BB39_33 Depth=1
	s_wait_alu 0xfffe
	s_or_b32 exec_lo, exec_lo, s4
	global_load_b128 v[41:44], v[41:42], off offset:5632
	s_and_saveexec_b32 s0, vcc_lo
	s_cbranch_execz .LBB39_32
	s_branch .LBB39_56
.LBB39_45:                              ;   in Loop: Header=BB39_33 Depth=1
	v_cmp_gt_i32_e64 s0, s25, v77
	s_wait_loadcnt 0x0
	s_wait_alu 0xf1ff
	s_delay_alu instid0(VALU_DEP_1) | instskip(SKIP_2) | instid1(VALU_DEP_1)
	v_cndmask_b32_e64 v5, 0, v5, s0
	v_cmp_gt_i32_e64 s0, s25, v79
	s_wait_alu 0xf1ff
	v_cndmask_b32_e64 v6, 0, v6, s0
	v_cmp_gt_i32_e64 s0, s25, v78
	s_wait_alu 0xf1ff
	s_delay_alu instid0(VALU_DEP_1) | instskip(SKIP_2) | instid1(VALU_DEP_1)
	v_cndmask_b32_e64 v7, 0, v7, s0
	v_cmp_gt_i32_e64 s0, s25, v75
	s_wait_alu 0xf1ff
	v_cndmask_b32_e64 v8, 0, v8, s0
	s_wait_alu 0xfffe
	s_or_b32 exec_lo, exec_lo, s4
	global_load_b128 v[9:12], v[41:42], off offset:512
	s_and_saveexec_b32 s4, vcc_lo
	s_cbranch_execz .LBB39_35
.LBB39_46:                              ;   in Loop: Header=BB39_33 Depth=1
	v_cmp_gt_i32_e64 s0, s25, v77
	s_wait_loadcnt 0x0
	s_wait_alu 0xf1ff
	s_delay_alu instid0(VALU_DEP_1) | instskip(SKIP_2) | instid1(VALU_DEP_1)
	v_cndmask_b32_e64 v9, 0, v9, s0
	v_cmp_gt_i32_e64 s0, s25, v79
	s_wait_alu 0xf1ff
	v_cndmask_b32_e64 v10, 0, v10, s0
	v_cmp_gt_i32_e64 s0, s25, v78
	s_wait_alu 0xf1ff
	s_delay_alu instid0(VALU_DEP_1) | instskip(SKIP_2) | instid1(VALU_DEP_1)
	v_cndmask_b32_e64 v11, 0, v11, s0
	v_cmp_gt_i32_e64 s0, s25, v75
	s_wait_alu 0xf1ff
	v_cndmask_b32_e64 v12, 0, v12, s0
	s_wait_alu 0xfffe
	s_or_b32 exec_lo, exec_lo, s4
	global_load_b128 v[13:16], v[41:42], off offset:1024
	s_and_saveexec_b32 s4, vcc_lo
	s_cbranch_execz .LBB39_36
.LBB39_47:                              ;   in Loop: Header=BB39_33 Depth=1
	v_cmp_gt_i32_e64 s0, s25, v77
	s_wait_loadcnt 0x0
	s_wait_alu 0xf1ff
	s_delay_alu instid0(VALU_DEP_1) | instskip(SKIP_2) | instid1(VALU_DEP_1)
	v_cndmask_b32_e64 v13, 0, v13, s0
	v_cmp_gt_i32_e64 s0, s25, v79
	s_wait_alu 0xf1ff
	v_cndmask_b32_e64 v14, 0, v14, s0
	v_cmp_gt_i32_e64 s0, s25, v78
	s_wait_alu 0xf1ff
	s_delay_alu instid0(VALU_DEP_1) | instskip(SKIP_2) | instid1(VALU_DEP_1)
	v_cndmask_b32_e64 v15, 0, v15, s0
	v_cmp_gt_i32_e64 s0, s25, v75
	s_wait_alu 0xf1ff
	v_cndmask_b32_e64 v16, 0, v16, s0
	s_wait_alu 0xfffe
	s_or_b32 exec_lo, exec_lo, s4
	global_load_b128 v[17:20], v[41:42], off offset:1536
	s_and_saveexec_b32 s4, vcc_lo
	s_cbranch_execz .LBB39_37
.LBB39_48:                              ;   in Loop: Header=BB39_33 Depth=1
	v_cmp_gt_i32_e64 s0, s25, v77
	s_wait_loadcnt 0x0
	s_wait_alu 0xf1ff
	s_delay_alu instid0(VALU_DEP_1) | instskip(SKIP_2) | instid1(VALU_DEP_1)
	v_cndmask_b32_e64 v17, 0, v17, s0
	v_cmp_gt_i32_e64 s0, s25, v79
	s_wait_alu 0xf1ff
	v_cndmask_b32_e64 v18, 0, v18, s0
	v_cmp_gt_i32_e64 s0, s25, v78
	s_wait_alu 0xf1ff
	s_delay_alu instid0(VALU_DEP_1) | instskip(SKIP_2) | instid1(VALU_DEP_1)
	v_cndmask_b32_e64 v19, 0, v19, s0
	v_cmp_gt_i32_e64 s0, s25, v75
	s_wait_alu 0xf1ff
	v_cndmask_b32_e64 v20, 0, v20, s0
	s_wait_alu 0xfffe
	s_or_b32 exec_lo, exec_lo, s4
	global_load_b128 v[21:24], v[41:42], off offset:2048
	s_and_saveexec_b32 s4, vcc_lo
	s_cbranch_execz .LBB39_38
.LBB39_49:                              ;   in Loop: Header=BB39_33 Depth=1
	v_cmp_gt_i32_e64 s0, s25, v77
	s_wait_loadcnt 0x0
	s_wait_alu 0xf1ff
	s_delay_alu instid0(VALU_DEP_1) | instskip(SKIP_2) | instid1(VALU_DEP_1)
	v_cndmask_b32_e64 v21, 0, v21, s0
	v_cmp_gt_i32_e64 s0, s25, v79
	s_wait_alu 0xf1ff
	v_cndmask_b32_e64 v22, 0, v22, s0
	v_cmp_gt_i32_e64 s0, s25, v78
	s_wait_alu 0xf1ff
	s_delay_alu instid0(VALU_DEP_1) | instskip(SKIP_2) | instid1(VALU_DEP_1)
	v_cndmask_b32_e64 v23, 0, v23, s0
	v_cmp_gt_i32_e64 s0, s25, v75
	s_wait_alu 0xf1ff
	v_cndmask_b32_e64 v24, 0, v24, s0
	s_wait_alu 0xfffe
	s_or_b32 exec_lo, exec_lo, s4
	global_load_b128 v[25:28], v[41:42], off offset:2560
	s_and_saveexec_b32 s4, vcc_lo
	s_cbranch_execz .LBB39_39
.LBB39_50:                              ;   in Loop: Header=BB39_33 Depth=1
	v_cmp_gt_i32_e64 s0, s25, v77
	s_wait_loadcnt 0x0
	s_wait_alu 0xf1ff
	s_delay_alu instid0(VALU_DEP_1) | instskip(SKIP_2) | instid1(VALU_DEP_1)
	v_cndmask_b32_e64 v25, 0, v25, s0
	v_cmp_gt_i32_e64 s0, s25, v79
	s_wait_alu 0xf1ff
	v_cndmask_b32_e64 v26, 0, v26, s0
	v_cmp_gt_i32_e64 s0, s25, v78
	s_wait_alu 0xf1ff
	s_delay_alu instid0(VALU_DEP_1) | instskip(SKIP_2) | instid1(VALU_DEP_1)
	v_cndmask_b32_e64 v27, 0, v27, s0
	v_cmp_gt_i32_e64 s0, s25, v75
	s_wait_alu 0xf1ff
	v_cndmask_b32_e64 v28, 0, v28, s0
	s_wait_alu 0xfffe
	s_or_b32 exec_lo, exec_lo, s4
	global_load_b128 v[29:32], v[41:42], off offset:3072
	s_and_saveexec_b32 s4, vcc_lo
	s_cbranch_execz .LBB39_40
.LBB39_51:                              ;   in Loop: Header=BB39_33 Depth=1
	v_cmp_gt_i32_e64 s0, s25, v77
	s_wait_loadcnt 0x0
	s_wait_alu 0xf1ff
	s_delay_alu instid0(VALU_DEP_1) | instskip(SKIP_2) | instid1(VALU_DEP_1)
	v_cndmask_b32_e64 v29, 0, v29, s0
	v_cmp_gt_i32_e64 s0, s25, v79
	s_wait_alu 0xf1ff
	v_cndmask_b32_e64 v30, 0, v30, s0
	v_cmp_gt_i32_e64 s0, s25, v78
	s_wait_alu 0xf1ff
	s_delay_alu instid0(VALU_DEP_1) | instskip(SKIP_2) | instid1(VALU_DEP_1)
	v_cndmask_b32_e64 v31, 0, v31, s0
	v_cmp_gt_i32_e64 s0, s25, v75
	s_wait_alu 0xf1ff
	v_cndmask_b32_e64 v32, 0, v32, s0
	s_wait_alu 0xfffe
	s_or_b32 exec_lo, exec_lo, s4
	global_load_b128 v[33:36], v[41:42], off offset:3584
	s_and_saveexec_b32 s4, vcc_lo
	s_cbranch_execz .LBB39_41
.LBB39_52:                              ;   in Loop: Header=BB39_33 Depth=1
	v_cmp_gt_i32_e64 s0, s25, v77
	s_wait_loadcnt 0x0
	s_wait_alu 0xf1ff
	s_delay_alu instid0(VALU_DEP_1) | instskip(SKIP_2) | instid1(VALU_DEP_1)
	v_cndmask_b32_e64 v33, 0, v33, s0
	v_cmp_gt_i32_e64 s0, s25, v79
	s_wait_alu 0xf1ff
	v_cndmask_b32_e64 v34, 0, v34, s0
	v_cmp_gt_i32_e64 s0, s25, v78
	s_wait_alu 0xf1ff
	s_delay_alu instid0(VALU_DEP_1) | instskip(SKIP_2) | instid1(VALU_DEP_1)
	v_cndmask_b32_e64 v35, 0, v35, s0
	v_cmp_gt_i32_e64 s0, s25, v75
	s_wait_alu 0xf1ff
	v_cndmask_b32_e64 v36, 0, v36, s0
	s_wait_alu 0xfffe
	s_or_b32 exec_lo, exec_lo, s4
	global_load_b128 v[37:40], v[41:42], off offset:4096
	s_and_saveexec_b32 s4, vcc_lo
	s_cbranch_execz .LBB39_42
.LBB39_53:                              ;   in Loop: Header=BB39_33 Depth=1
	v_cmp_gt_i32_e64 s0, s25, v77
	s_wait_loadcnt 0x0
	s_wait_alu 0xf1ff
	s_delay_alu instid0(VALU_DEP_1) | instskip(SKIP_2) | instid1(VALU_DEP_1)
	v_cndmask_b32_e64 v37, 0, v37, s0
	v_cmp_gt_i32_e64 s0, s25, v79
	s_wait_alu 0xf1ff
	v_cndmask_b32_e64 v38, 0, v38, s0
	v_cmp_gt_i32_e64 s0, s25, v78
	s_wait_alu 0xf1ff
	s_delay_alu instid0(VALU_DEP_1) | instskip(SKIP_2) | instid1(VALU_DEP_1)
	v_cndmask_b32_e64 v39, 0, v39, s0
	v_cmp_gt_i32_e64 s0, s25, v75
	s_wait_alu 0xf1ff
	v_cndmask_b32_e64 v40, 0, v40, s0
	s_wait_alu 0xfffe
	s_or_b32 exec_lo, exec_lo, s4
	global_load_b128 v[45:48], v[41:42], off offset:4608
	s_and_saveexec_b32 s4, vcc_lo
	s_cbranch_execz .LBB39_43
.LBB39_54:                              ;   in Loop: Header=BB39_33 Depth=1
	v_cmp_gt_i32_e64 s0, s25, v77
	s_wait_loadcnt 0x0
	s_wait_alu 0xf1ff
	s_delay_alu instid0(VALU_DEP_1) | instskip(SKIP_2) | instid1(VALU_DEP_1)
	v_cndmask_b32_e64 v45, 0, v45, s0
	v_cmp_gt_i32_e64 s0, s25, v79
	s_wait_alu 0xf1ff
	v_cndmask_b32_e64 v46, 0, v46, s0
	v_cmp_gt_i32_e64 s0, s25, v78
	s_wait_alu 0xf1ff
	s_delay_alu instid0(VALU_DEP_1) | instskip(SKIP_2) | instid1(VALU_DEP_1)
	v_cndmask_b32_e64 v47, 0, v47, s0
	v_cmp_gt_i32_e64 s0, s25, v75
	s_wait_alu 0xf1ff
	v_cndmask_b32_e64 v48, 0, v48, s0
	s_wait_alu 0xfffe
	s_or_b32 exec_lo, exec_lo, s4
	global_load_b128 v[49:52], v[41:42], off offset:5120
	s_and_saveexec_b32 s4, vcc_lo
	s_cbranch_execz .LBB39_44
.LBB39_55:                              ;   in Loop: Header=BB39_33 Depth=1
	v_cmp_gt_i32_e64 s0, s25, v77
	s_wait_loadcnt 0x0
	s_wait_alu 0xf1ff
	s_delay_alu instid0(VALU_DEP_1) | instskip(SKIP_2) | instid1(VALU_DEP_1)
	v_cndmask_b32_e64 v49, 0, v49, s0
	v_cmp_gt_i32_e64 s0, s25, v79
	s_wait_alu 0xf1ff
	v_cndmask_b32_e64 v50, 0, v50, s0
	v_cmp_gt_i32_e64 s0, s25, v78
	s_wait_alu 0xf1ff
	s_delay_alu instid0(VALU_DEP_1) | instskip(SKIP_2) | instid1(VALU_DEP_1)
	v_cndmask_b32_e64 v51, 0, v51, s0
	v_cmp_gt_i32_e64 s0, s25, v75
	s_wait_alu 0xf1ff
	v_cndmask_b32_e64 v52, 0, v52, s0
	s_wait_alu 0xfffe
	s_or_b32 exec_lo, exec_lo, s4
	global_load_b128 v[41:44], v[41:42], off offset:5632
	s_and_saveexec_b32 s0, vcc_lo
	s_cbranch_execz .LBB39_32
.LBB39_56:                              ;   in Loop: Header=BB39_33 Depth=1
	v_cmp_gt_i32_e32 vcc_lo, s25, v77
	s_wait_loadcnt 0x0
	s_wait_alu 0xfffd
	v_cndmask_b32_e32 v41, 0, v41, vcc_lo
	v_cmp_gt_i32_e32 vcc_lo, s25, v79
	s_wait_alu 0xfffd
	v_cndmask_b32_e32 v42, 0, v42, vcc_lo
	v_cmp_gt_i32_e32 vcc_lo, s25, v78
	;; [unrolled: 3-line block ×3, first 2 shown]
	s_wait_alu 0xfffd
	v_cndmask_b32_e32 v44, 0, v44, vcc_lo
	s_branch .LBB39_32
.LBB39_57:
	s_or_b32 exec_lo, exec_lo, s3
.LBB39_58:
	s_wait_alu 0xfffe
	s_or_b32 exec_lo, exec_lo, s1
	ds_bpermute_b32 v1, v58, v70
	ds_bpermute_b32 v2, v58, v72
	;; [unrolled: 1-line block ×12, first 2 shown]
	s_mov_b32 s0, exec_lo
	s_wait_storecnt 0x0
	s_wait_loadcnt_dscnt 0x0
	s_barrier_signal -1
	s_barrier_wait -1
	global_inv scope:SCOPE_SE
	v_dual_add_f32 v1, v70, v1 :: v_dual_add_f32 v2, v72, v2
	v_dual_add_f32 v3, v71, v3 :: v_dual_add_f32 v4, v69, v4
	;; [unrolled: 1-line block ×6, first 2 shown]
	ds_bpermute_b32 v13, v59, v1
	ds_bpermute_b32 v14, v59, v2
	;; [unrolled: 1-line block ×12, first 2 shown]
	s_wait_dscnt 0xa
	v_dual_add_f32 v1, v1, v13 :: v_dual_add_f32 v2, v2, v14
	s_wait_dscnt 0x9
	v_dual_add_f32 v3, v3, v15 :: v_dual_and_b32 v14, 28, v57
	s_wait_dscnt 0x7
	v_dual_add_f32 v4, v4, v16 :: v_dual_add_f32 v5, v5, v17
	s_wait_dscnt 0x5
	v_dual_add_f32 v6, v6, v18 :: v_dual_add_f32 v7, v7, v19
	;; [unrolled: 2-line block ×4, first 2 shown]
	v_and_b32_e32 v16, 0x3c3, v0
	s_wait_dscnt 0x0
	v_add_f32_e32 v12, v12, v24
	v_lshrrev_b32_e32 v13, 2, v57
	v_add_nc_u32_e32 v14, 0x1a0, v14
	v_mul_u32_u24_e32 v15, 0x180, v55
	v_cmpx_eq_u32_e32 64, v16
	s_cbranch_execz .LBB39_60
; %bb.59:
	s_delay_alu instid0(VALU_DEP_2) | instskip(NEXT) | instid1(VALU_DEP_1)
	v_add_nc_u32_e32 v16, v14, v15
	v_add_nc_u32_e32 v17, 0xfffffd00, v16
	v_add_nc_u32_e32 v18, 0xfffffd20, v16
	v_add_nc_u32_e32 v19, 0xfffffd40, v16
	v_add_nc_u32_e32 v20, 0xfffffd60, v16
	v_add_nc_u32_e32 v21, 0xfffffd80, v16
	v_add_nc_u32_e32 v22, 0xfffffda0, v16
	v_add_nc_u32_e32 v23, 0xfffffdc0, v16
	v_add_nc_u32_e32 v24, 0xfffffde0, v16
	v_add_nc_u32_e32 v25, 0xfffffe00, v16
	v_add_nc_u32_e32 v26, 0xfffffe20, v16
	v_add_nc_u32_e32 v27, 0xfffffe40, v16
	v_add_nc_u32_e32 v16, 0xfffffe60, v16
	ds_store_b32 v17, v1
	ds_store_b32 v18, v2
	;; [unrolled: 1-line block ×12, first 2 shown]
.LBB39_60:
	s_wait_alu 0xfffe
	s_or_b32 exec_lo, exec_lo, s0
	v_lshlrev_b32_e32 v13, 2, v13
	s_mov_b32 s1, exec_lo
	v_cmp_eq_u32_e32 vcc_lo, 0, v60
	s_wait_loadcnt_dscnt 0x0
	s_barrier_signal -1
	v_add3_u32 v13, 0x1a0, v15, v13
	s_barrier_wait -1
	global_inv scope:SCOPE_SE
	v_cmpx_gt_u32_e32 64, v0
	s_cbranch_execz .LBB39_75
; %bb.61:
	s_and_saveexec_b32 s0, vcc_lo
	s_cbranch_execnz .LBB39_95
; %bb.62:
	s_wait_alu 0xfffe
	s_or_b32 exec_lo, exec_lo, s0
	s_and_saveexec_b32 s0, vcc_lo
	s_cbranch_execnz .LBB39_96
.LBB39_63:
	s_wait_alu 0xfffe
	s_or_b32 exec_lo, exec_lo, s0
	s_and_saveexec_b32 s0, vcc_lo
	s_cbranch_execnz .LBB39_97
.LBB39_64:
	s_wait_alu 0xfffe
	s_or_b32 exec_lo, exec_lo, s0
	s_and_saveexec_b32 s0, vcc_lo
	s_cbranch_execnz .LBB39_98
.LBB39_65:
	s_wait_alu 0xfffe
	s_or_b32 exec_lo, exec_lo, s0
	s_and_saveexec_b32 s0, vcc_lo
	s_cbranch_execnz .LBB39_99
.LBB39_66:
	s_wait_alu 0xfffe
	s_or_b32 exec_lo, exec_lo, s0
	s_and_saveexec_b32 s0, vcc_lo
	s_cbranch_execnz .LBB39_100
.LBB39_67:
	s_wait_alu 0xfffe
	s_or_b32 exec_lo, exec_lo, s0
	s_and_saveexec_b32 s0, vcc_lo
	s_cbranch_execnz .LBB39_101
.LBB39_68:
	s_wait_alu 0xfffe
	s_or_b32 exec_lo, exec_lo, s0
	s_and_saveexec_b32 s0, vcc_lo
	s_cbranch_execnz .LBB39_102
.LBB39_69:
	s_wait_alu 0xfffe
	s_or_b32 exec_lo, exec_lo, s0
	s_and_saveexec_b32 s0, vcc_lo
	s_cbranch_execnz .LBB39_103
.LBB39_70:
	s_wait_alu 0xfffe
	s_or_b32 exec_lo, exec_lo, s0
	s_and_saveexec_b32 s0, vcc_lo
	s_cbranch_execnz .LBB39_104
.LBB39_71:
	s_wait_alu 0xfffe
	s_or_b32 exec_lo, exec_lo, s0
	s_and_saveexec_b32 s0, vcc_lo
	s_cbranch_execnz .LBB39_105
.LBB39_72:
	s_wait_alu 0xfffe
	s_or_b32 exec_lo, exec_lo, s0
	s_and_saveexec_b32 s0, vcc_lo
	s_cbranch_execz .LBB39_74
.LBB39_73:
	ds_load_b32 v15, v13 offset:352
	s_wait_dscnt 0x0
	v_add_f32_e32 v12, v12, v15
.LBB39_74:
	s_wait_alu 0xfffe
	s_or_b32 exec_lo, exec_lo, s0
.LBB39_75:
	s_wait_alu 0xfffe
	s_or_b32 exec_lo, exec_lo, s1
	v_and_b32_e32 v15, 0x3e3, v0
	s_mov_b32 s1, exec_lo
	s_wait_loadcnt 0x0
	s_barrier_signal -1
	s_barrier_wait -1
	global_inv scope:SCOPE_SE
	v_cmpx_eq_u32_e32 32, v15
	s_cbranch_execz .LBB39_77
; %bb.76:
	ds_store_2addr_b32 v14, v1, v2 offset1:8
	ds_store_2addr_b32 v14, v3, v4 offset0:16 offset1:24
	ds_store_2addr_b32 v14, v5, v6 offset0:32 offset1:40
	;; [unrolled: 1-line block ×5, first 2 shown]
.LBB39_77:
	s_wait_alu 0xfffe
	s_or_b32 exec_lo, exec_lo, s1
	s_delay_alu instid0(SALU_CYCLE_1)
	s_mov_b32 s1, exec_lo
	s_wait_loadcnt_dscnt 0x0
	s_barrier_signal -1
	s_barrier_wait -1
	global_inv scope:SCOPE_SE
	v_cmpx_gt_u32_e32 32, v0
	s_cbranch_execz .LBB39_92
; %bb.78:
	s_and_saveexec_b32 s0, vcc_lo
	s_cbranch_execnz .LBB39_106
; %bb.79:
	s_wait_alu 0xfffe
	s_or_b32 exec_lo, exec_lo, s0
	s_and_saveexec_b32 s0, vcc_lo
	s_cbranch_execnz .LBB39_107
.LBB39_80:
	s_wait_alu 0xfffe
	s_or_b32 exec_lo, exec_lo, s0
	s_and_saveexec_b32 s0, vcc_lo
	s_cbranch_execnz .LBB39_108
.LBB39_81:
	s_wait_alu 0xfffe
	s_or_b32 exec_lo, exec_lo, s0
	s_and_saveexec_b32 s0, vcc_lo
	s_cbranch_execnz .LBB39_109
.LBB39_82:
	s_wait_alu 0xfffe
	s_or_b32 exec_lo, exec_lo, s0
	s_and_saveexec_b32 s0, vcc_lo
	s_cbranch_execnz .LBB39_110
.LBB39_83:
	s_wait_alu 0xfffe
	s_or_b32 exec_lo, exec_lo, s0
	s_and_saveexec_b32 s0, vcc_lo
	s_cbranch_execnz .LBB39_111
.LBB39_84:
	s_wait_alu 0xfffe
	s_or_b32 exec_lo, exec_lo, s0
	s_and_saveexec_b32 s0, vcc_lo
	s_cbranch_execnz .LBB39_112
.LBB39_85:
	s_wait_alu 0xfffe
	s_or_b32 exec_lo, exec_lo, s0
	s_and_saveexec_b32 s0, vcc_lo
	s_cbranch_execnz .LBB39_113
.LBB39_86:
	s_wait_alu 0xfffe
	s_or_b32 exec_lo, exec_lo, s0
	s_and_saveexec_b32 s0, vcc_lo
	s_cbranch_execnz .LBB39_114
.LBB39_87:
	s_wait_alu 0xfffe
	s_or_b32 exec_lo, exec_lo, s0
	s_and_saveexec_b32 s0, vcc_lo
	s_cbranch_execnz .LBB39_115
.LBB39_88:
	s_wait_alu 0xfffe
	s_or_b32 exec_lo, exec_lo, s0
	s_and_saveexec_b32 s0, vcc_lo
	s_cbranch_execnz .LBB39_116
.LBB39_89:
	s_wait_alu 0xfffe
	s_or_b32 exec_lo, exec_lo, s0
	s_and_saveexec_b32 s0, vcc_lo
	s_cbranch_execz .LBB39_91
.LBB39_90:
	ds_load_b32 v13, v13 offset:352
	s_wait_dscnt 0x0
	v_add_f32_e32 v12, v12, v13
.LBB39_91:
	s_wait_alu 0xfffe
	s_or_b32 exec_lo, exec_lo, s0
.LBB39_92:
	s_wait_alu 0xfffe
	s_or_b32 exec_lo, exec_lo, s1
	s_mov_b32 s1, 0
	s_wait_loadcnt 0x0
	s_barrier_signal -1
	s_barrier_wait -1
	global_inv scope:SCOPE_SE
	s_mov_b32 s0, exec_lo
	v_cmpx_eq_u32_e32 0, v15
	s_cbranch_execz .LBB39_94
; %bb.93:
	s_mul_i32 s2, s14, 0x60
	s_mul_i32 s4, s8, s12
	s_wait_alu 0xfffe
	s_ashr_i32 s3, s2, 31
	s_ashr_i32 s5, s4, 31
	s_wait_alu 0xfffe
	s_lshl_b64 s[2:3], s[2:3], 2
	s_lshl_b64 s[4:5], s[4:5], 2
	s_wait_alu 0xfffe
	s_add_nc_u64 s[2:3], s[10:11], s[2:3]
	s_mul_i32 s0, s24, 0x180
	s_wait_alu 0xfffe
	s_add_nc_u64 s[2:3], s[2:3], s[4:5]
	s_wait_alu 0xfffe
	s_add_nc_u64 s[0:1], s[2:3], s[0:1]
	s_clause 0xb
	global_store_b32 v0, v1, s[0:1]
	global_store_b32 v0, v2, s[0:1] offset:32
	global_store_b32 v0, v3, s[0:1] offset:64
	;; [unrolled: 1-line block ×11, first 2 shown]
.LBB39_94:
	s_nop 0
	s_sendmsg sendmsg(MSG_DEALLOC_VGPRS)
	s_endpgm
.LBB39_95:
	ds_load_b32 v15, v13
	s_wait_dscnt 0x0
	v_add_f32_e32 v1, v1, v15
	s_wait_alu 0xfffe
	s_or_b32 exec_lo, exec_lo, s0
	s_and_saveexec_b32 s0, vcc_lo
	s_cbranch_execz .LBB39_63
.LBB39_96:
	ds_load_b32 v15, v13 offset:32
	s_wait_dscnt 0x0
	v_add_f32_e32 v2, v2, v15
	s_wait_alu 0xfffe
	s_or_b32 exec_lo, exec_lo, s0
	s_and_saveexec_b32 s0, vcc_lo
	s_cbranch_execz .LBB39_64
.LBB39_97:
	ds_load_b32 v15, v13 offset:64
	s_wait_dscnt 0x0
	v_add_f32_e32 v3, v3, v15
	s_wait_alu 0xfffe
	s_or_b32 exec_lo, exec_lo, s0
	s_and_saveexec_b32 s0, vcc_lo
	s_cbranch_execz .LBB39_65
.LBB39_98:
	ds_load_b32 v15, v13 offset:96
	s_wait_dscnt 0x0
	v_add_f32_e32 v4, v4, v15
	s_wait_alu 0xfffe
	s_or_b32 exec_lo, exec_lo, s0
	s_and_saveexec_b32 s0, vcc_lo
	s_cbranch_execz .LBB39_66
.LBB39_99:
	ds_load_b32 v15, v13 offset:128
	s_wait_dscnt 0x0
	v_add_f32_e32 v5, v5, v15
	s_wait_alu 0xfffe
	s_or_b32 exec_lo, exec_lo, s0
	s_and_saveexec_b32 s0, vcc_lo
	s_cbranch_execz .LBB39_67
.LBB39_100:
	ds_load_b32 v15, v13 offset:160
	s_wait_dscnt 0x0
	v_add_f32_e32 v6, v6, v15
	s_wait_alu 0xfffe
	s_or_b32 exec_lo, exec_lo, s0
	s_and_saveexec_b32 s0, vcc_lo
	s_cbranch_execz .LBB39_68
.LBB39_101:
	ds_load_b32 v15, v13 offset:192
	s_wait_dscnt 0x0
	v_add_f32_e32 v7, v7, v15
	s_wait_alu 0xfffe
	s_or_b32 exec_lo, exec_lo, s0
	s_and_saveexec_b32 s0, vcc_lo
	s_cbranch_execz .LBB39_69
.LBB39_102:
	ds_load_b32 v15, v13 offset:224
	s_wait_dscnt 0x0
	v_add_f32_e32 v8, v8, v15
	s_wait_alu 0xfffe
	s_or_b32 exec_lo, exec_lo, s0
	s_and_saveexec_b32 s0, vcc_lo
	s_cbranch_execz .LBB39_70
.LBB39_103:
	ds_load_b32 v15, v13 offset:256
	s_wait_dscnt 0x0
	v_add_f32_e32 v9, v9, v15
	s_wait_alu 0xfffe
	s_or_b32 exec_lo, exec_lo, s0
	s_and_saveexec_b32 s0, vcc_lo
	s_cbranch_execz .LBB39_71
.LBB39_104:
	ds_load_b32 v15, v13 offset:288
	s_wait_dscnt 0x0
	v_add_f32_e32 v10, v10, v15
	s_wait_alu 0xfffe
	s_or_b32 exec_lo, exec_lo, s0
	s_and_saveexec_b32 s0, vcc_lo
	s_cbranch_execz .LBB39_72
.LBB39_105:
	ds_load_b32 v15, v13 offset:320
	s_wait_dscnt 0x0
	v_add_f32_e32 v11, v11, v15
	s_wait_alu 0xfffe
	s_or_b32 exec_lo, exec_lo, s0
	s_and_saveexec_b32 s0, vcc_lo
	s_cbranch_execnz .LBB39_73
	s_branch .LBB39_74
.LBB39_106:
	ds_load_b32 v14, v13
	s_wait_dscnt 0x0
	v_add_f32_e32 v1, v1, v14
	s_wait_alu 0xfffe
	s_or_b32 exec_lo, exec_lo, s0
	s_and_saveexec_b32 s0, vcc_lo
	s_cbranch_execz .LBB39_80
.LBB39_107:
	ds_load_b32 v14, v13 offset:32
	s_wait_dscnt 0x0
	v_add_f32_e32 v2, v2, v14
	s_wait_alu 0xfffe
	s_or_b32 exec_lo, exec_lo, s0
	s_and_saveexec_b32 s0, vcc_lo
	s_cbranch_execz .LBB39_81
.LBB39_108:
	ds_load_b32 v14, v13 offset:64
	s_wait_dscnt 0x0
	v_add_f32_e32 v3, v3, v14
	s_wait_alu 0xfffe
	s_or_b32 exec_lo, exec_lo, s0
	s_and_saveexec_b32 s0, vcc_lo
	s_cbranch_execz .LBB39_82
.LBB39_109:
	ds_load_b32 v14, v13 offset:96
	s_wait_dscnt 0x0
	v_add_f32_e32 v4, v4, v14
	s_wait_alu 0xfffe
	s_or_b32 exec_lo, exec_lo, s0
	s_and_saveexec_b32 s0, vcc_lo
	s_cbranch_execz .LBB39_83
.LBB39_110:
	ds_load_b32 v14, v13 offset:128
	s_wait_dscnt 0x0
	v_add_f32_e32 v5, v5, v14
	s_wait_alu 0xfffe
	s_or_b32 exec_lo, exec_lo, s0
	s_and_saveexec_b32 s0, vcc_lo
	s_cbranch_execz .LBB39_84
.LBB39_111:
	ds_load_b32 v14, v13 offset:160
	s_wait_dscnt 0x0
	v_add_f32_e32 v6, v6, v14
	s_wait_alu 0xfffe
	s_or_b32 exec_lo, exec_lo, s0
	s_and_saveexec_b32 s0, vcc_lo
	s_cbranch_execz .LBB39_85
.LBB39_112:
	ds_load_b32 v14, v13 offset:192
	s_wait_dscnt 0x0
	v_add_f32_e32 v7, v7, v14
	s_wait_alu 0xfffe
	s_or_b32 exec_lo, exec_lo, s0
	s_and_saveexec_b32 s0, vcc_lo
	s_cbranch_execz .LBB39_86
.LBB39_113:
	ds_load_b32 v14, v13 offset:224
	s_wait_dscnt 0x0
	v_add_f32_e32 v8, v8, v14
	s_wait_alu 0xfffe
	s_or_b32 exec_lo, exec_lo, s0
	s_and_saveexec_b32 s0, vcc_lo
	s_cbranch_execz .LBB39_87
.LBB39_114:
	ds_load_b32 v14, v13 offset:256
	s_wait_dscnt 0x0
	v_add_f32_e32 v9, v9, v14
	s_wait_alu 0xfffe
	s_or_b32 exec_lo, exec_lo, s0
	s_and_saveexec_b32 s0, vcc_lo
	s_cbranch_execz .LBB39_88
.LBB39_115:
	ds_load_b32 v14, v13 offset:288
	s_wait_dscnt 0x0
	v_add_f32_e32 v10, v10, v14
	s_wait_alu 0xfffe
	s_or_b32 exec_lo, exec_lo, s0
	s_and_saveexec_b32 s0, vcc_lo
	s_cbranch_execz .LBB39_89
.LBB39_116:
	ds_load_b32 v14, v13 offset:320
	s_wait_dscnt 0x0
	v_add_f32_e32 v11, v11, v14
	s_wait_alu 0xfffe
	s_or_b32 exec_lo, exec_lo, s0
	s_and_saveexec_b32 s0, vcc_lo
	s_cbranch_execnz .LBB39_90
	s_branch .LBB39_91
	.section	.rodata,"a",@progbits
	.p2align	6, 0x0
	.amdhsa_kernel _ZN4vllm25paged_attention_v2_kernelIffLi96ELi16ELi128ELNS_18Fp8KVCacheDataTypeE0ELb0ELi512EEEvPfS2_PT_PKS3_PKT0_S9_ifPKiSB_iPKfiiiSD_SD_iiiii
		.amdhsa_group_segment_fixed_size 416
		.amdhsa_private_segment_fixed_size 0
		.amdhsa_kernarg_size 400
		.amdhsa_user_sgpr_count 2
		.amdhsa_user_sgpr_dispatch_ptr 0
		.amdhsa_user_sgpr_queue_ptr 0
		.amdhsa_user_sgpr_kernarg_segment_ptr 1
		.amdhsa_user_sgpr_dispatch_id 0
		.amdhsa_user_sgpr_private_segment_size 0
		.amdhsa_wavefront_size32 1
		.amdhsa_uses_dynamic_stack 0
		.amdhsa_enable_private_segment 0
		.amdhsa_system_sgpr_workgroup_id_x 1
		.amdhsa_system_sgpr_workgroup_id_y 1
		.amdhsa_system_sgpr_workgroup_id_z 1
		.amdhsa_system_sgpr_workgroup_info 0
		.amdhsa_system_vgpr_workitem_id 0
		.amdhsa_next_free_vgpr 113
		.amdhsa_next_free_sgpr 32
		.amdhsa_reserve_vcc 1
		.amdhsa_float_round_mode_32 0
		.amdhsa_float_round_mode_16_64 0
		.amdhsa_float_denorm_mode_32 3
		.amdhsa_float_denorm_mode_16_64 3
		.amdhsa_fp16_overflow 0
		.amdhsa_workgroup_processor_mode 1
		.amdhsa_memory_ordered 1
		.amdhsa_forward_progress 1
		.amdhsa_inst_pref_size 61
		.amdhsa_round_robin_scheduling 0
		.amdhsa_exception_fp_ieee_invalid_op 0
		.amdhsa_exception_fp_denorm_src 0
		.amdhsa_exception_fp_ieee_div_zero 0
		.amdhsa_exception_fp_ieee_overflow 0
		.amdhsa_exception_fp_ieee_underflow 0
		.amdhsa_exception_fp_ieee_inexact 0
		.amdhsa_exception_int_div_zero 0
	.end_amdhsa_kernel
	.section	.text._ZN4vllm25paged_attention_v2_kernelIffLi96ELi16ELi128ELNS_18Fp8KVCacheDataTypeE0ELb0ELi512EEEvPfS2_PT_PKS3_PKT0_S9_ifPKiSB_iPKfiiiSD_SD_iiiii,"axG",@progbits,_ZN4vllm25paged_attention_v2_kernelIffLi96ELi16ELi128ELNS_18Fp8KVCacheDataTypeE0ELb0ELi512EEEvPfS2_PT_PKS3_PKT0_S9_ifPKiSB_iPKfiiiSD_SD_iiiii,comdat
.Lfunc_end39:
	.size	_ZN4vllm25paged_attention_v2_kernelIffLi96ELi16ELi128ELNS_18Fp8KVCacheDataTypeE0ELb0ELi512EEEvPfS2_PT_PKS3_PKT0_S9_ifPKiSB_iPKfiiiSD_SD_iiiii, .Lfunc_end39-_ZN4vllm25paged_attention_v2_kernelIffLi96ELi16ELi128ELNS_18Fp8KVCacheDataTypeE0ELb0ELi512EEEvPfS2_PT_PKS3_PKT0_S9_ifPKiSB_iPKfiiiSD_SD_iiiii
                                        ; -- End function
	.set _ZN4vllm25paged_attention_v2_kernelIffLi96ELi16ELi128ELNS_18Fp8KVCacheDataTypeE0ELb0ELi512EEEvPfS2_PT_PKS3_PKT0_S9_ifPKiSB_iPKfiiiSD_SD_iiiii.num_vgpr, 113
	.set _ZN4vllm25paged_attention_v2_kernelIffLi96ELi16ELi128ELNS_18Fp8KVCacheDataTypeE0ELb0ELi512EEEvPfS2_PT_PKS3_PKT0_S9_ifPKiSB_iPKfiiiSD_SD_iiiii.num_agpr, 0
	.set _ZN4vllm25paged_attention_v2_kernelIffLi96ELi16ELi128ELNS_18Fp8KVCacheDataTypeE0ELb0ELi512EEEvPfS2_PT_PKS3_PKT0_S9_ifPKiSB_iPKfiiiSD_SD_iiiii.numbered_sgpr, 32
	.set _ZN4vllm25paged_attention_v2_kernelIffLi96ELi16ELi128ELNS_18Fp8KVCacheDataTypeE0ELb0ELi512EEEvPfS2_PT_PKS3_PKT0_S9_ifPKiSB_iPKfiiiSD_SD_iiiii.num_named_barrier, 0
	.set _ZN4vllm25paged_attention_v2_kernelIffLi96ELi16ELi128ELNS_18Fp8KVCacheDataTypeE0ELb0ELi512EEEvPfS2_PT_PKS3_PKT0_S9_ifPKiSB_iPKfiiiSD_SD_iiiii.private_seg_size, 0
	.set _ZN4vllm25paged_attention_v2_kernelIffLi96ELi16ELi128ELNS_18Fp8KVCacheDataTypeE0ELb0ELi512EEEvPfS2_PT_PKS3_PKT0_S9_ifPKiSB_iPKfiiiSD_SD_iiiii.uses_vcc, 1
	.set _ZN4vllm25paged_attention_v2_kernelIffLi96ELi16ELi128ELNS_18Fp8KVCacheDataTypeE0ELb0ELi512EEEvPfS2_PT_PKS3_PKT0_S9_ifPKiSB_iPKfiiiSD_SD_iiiii.uses_flat_scratch, 0
	.set _ZN4vllm25paged_attention_v2_kernelIffLi96ELi16ELi128ELNS_18Fp8KVCacheDataTypeE0ELb0ELi512EEEvPfS2_PT_PKS3_PKT0_S9_ifPKiSB_iPKfiiiSD_SD_iiiii.has_dyn_sized_stack, 0
	.set _ZN4vllm25paged_attention_v2_kernelIffLi96ELi16ELi128ELNS_18Fp8KVCacheDataTypeE0ELb0ELi512EEEvPfS2_PT_PKS3_PKT0_S9_ifPKiSB_iPKfiiiSD_SD_iiiii.has_recursion, 0
	.set _ZN4vllm25paged_attention_v2_kernelIffLi96ELi16ELi128ELNS_18Fp8KVCacheDataTypeE0ELb0ELi512EEEvPfS2_PT_PKS3_PKT0_S9_ifPKiSB_iPKfiiiSD_SD_iiiii.has_indirect_call, 0
	.section	.AMDGPU.csdata,"",@progbits
; Kernel info:
; codeLenInByte = 7728
; TotalNumSgprs: 34
; NumVgprs: 113
; ScratchSize: 0
; MemoryBound: 0
; FloatMode: 240
; IeeeMode: 1
; LDSByteSize: 416 bytes/workgroup (compile time only)
; SGPRBlocks: 0
; VGPRBlocks: 14
; NumSGPRsForWavesPerEU: 34
; NumVGPRsForWavesPerEU: 113
; Occupancy: 12
; WaveLimiterHint : 1
; COMPUTE_PGM_RSRC2:SCRATCH_EN: 0
; COMPUTE_PGM_RSRC2:USER_SGPR: 2
; COMPUTE_PGM_RSRC2:TRAP_HANDLER: 0
; COMPUTE_PGM_RSRC2:TGID_X_EN: 1
; COMPUTE_PGM_RSRC2:TGID_Y_EN: 1
; COMPUTE_PGM_RSRC2:TGID_Z_EN: 1
; COMPUTE_PGM_RSRC2:TIDIG_COMP_CNT: 0
	.section	.text._ZN4vllm25paged_attention_v2_kernelIffLi112ELi16ELi128ELNS_18Fp8KVCacheDataTypeE0ELb0ELi512EEEvPfS2_PT_PKS3_PKT0_S9_ifPKiSB_iPKfiiiSD_SD_iiiii,"axG",@progbits,_ZN4vllm25paged_attention_v2_kernelIffLi112ELi16ELi128ELNS_18Fp8KVCacheDataTypeE0ELb0ELi512EEEvPfS2_PT_PKS3_PKT0_S9_ifPKiSB_iPKfiiiSD_SD_iiiii,comdat
	.protected	_ZN4vllm25paged_attention_v2_kernelIffLi112ELi16ELi128ELNS_18Fp8KVCacheDataTypeE0ELb0ELi512EEEvPfS2_PT_PKS3_PKT0_S9_ifPKiSB_iPKfiiiSD_SD_iiiii ; -- Begin function _ZN4vllm25paged_attention_v2_kernelIffLi112ELi16ELi128ELNS_18Fp8KVCacheDataTypeE0ELb0ELi512EEEvPfS2_PT_PKS3_PKT0_S9_ifPKiSB_iPKfiiiSD_SD_iiiii
	.globl	_ZN4vllm25paged_attention_v2_kernelIffLi112ELi16ELi128ELNS_18Fp8KVCacheDataTypeE0ELb0ELi512EEEvPfS2_PT_PKS3_PKT0_S9_ifPKiSB_iPKfiiiSD_SD_iiiii
	.p2align	8
	.type	_ZN4vllm25paged_attention_v2_kernelIffLi112ELi16ELi128ELNS_18Fp8KVCacheDataTypeE0ELb0ELi512EEEvPfS2_PT_PKS3_PKT0_S9_ifPKiSB_iPKfiiiSD_SD_iiiii,@function
_ZN4vllm25paged_attention_v2_kernelIffLi112ELi16ELi128ELNS_18Fp8KVCacheDataTypeE0ELb0ELi512EEEvPfS2_PT_PKS3_PKT0_S9_ifPKiSB_iPKfiiiSD_SD_iiiii: ; @_ZN4vllm25paged_attention_v2_kernelIffLi112ELi16ELi128ELNS_18Fp8KVCacheDataTypeE0ELb0ELi512EEEvPfS2_PT_PKS3_PKT0_S9_ifPKiSB_iPKfiiiSD_SD_iiiii
; %bb.0:
	s_load_b64 s[2:3], s[0:1], 0x40
	s_and_b32 s14, ttmp7, 0xffff
	s_lshr_b32 s24, ttmp7, 16
	s_lshl_b32 s4, s14, 2
	s_lshl_b32 s26, s24, 9
	s_wait_kmcnt 0x0
	s_load_b32 s25, s[2:3], s4 offset:0x0
	s_wait_kmcnt 0x0
	s_cmp_ge_i32 s26, s25
	s_cbranch_scc1 .LBB40_102
; %bb.1:
	s_clause 0x1
	s_load_b32 s15, s[0:1], 0x90
	s_load_b64 s[6:7], s[0:1], 0x30
	s_wait_kmcnt 0x0
	s_abs_i32 s5, s15
	s_abs_i32 s2, s6
	s_delay_alu instid0(SALU_CYCLE_1) | instskip(SKIP_1) | instid1(SALU_CYCLE_2)
	s_cvt_f32_u32 s3, s2
	s_sub_co_i32 s4, 0, s2
	v_rcp_iflag_f32_e32 v1, s3
	s_delay_alu instid0(TRANS32_DEP_1) | instskip(SKIP_2) | instid1(SALU_CYCLE_2)
	v_readfirstlane_b32 s3, v1
	s_mul_f32 s3, s3, 0x4f7ffffe
	s_wait_alu 0xfffe
	s_cvt_u32_f32 s3, s3
	s_wait_alu 0xfffe
	s_delay_alu instid0(SALU_CYCLE_2) | instskip(NEXT) | instid1(SALU_CYCLE_1)
	s_mul_i32 s4, s4, s3
	s_mul_hi_u32 s4, s3, s4
	s_delay_alu instid0(SALU_CYCLE_1)
	s_add_co_i32 s3, s3, s4
	s_xor_b32 s4, s15, s6
	s_wait_alu 0xfffe
	s_mul_hi_u32 s3, s5, s3
	s_ashr_i32 s4, s4, 31
	s_wait_alu 0xfffe
	s_mul_i32 s6, s3, s2
	s_delay_alu instid0(SALU_CYCLE_1)
	s_sub_co_i32 s5, s5, s6
	s_add_co_i32 s6, s3, 1
	s_sub_co_i32 s8, s5, s2
	s_cmp_ge_u32 s5, s2
	s_cselect_b32 s3, s6, s3
	s_cselect_b32 s5, s8, s5
	s_wait_alu 0xfffe
	s_add_co_i32 s6, s3, 1
	s_cmp_ge_u32 s5, s2
	s_load_b64 s[8:9], s[0:1], 0x50
	s_cselect_b32 s2, s6, s3
	s_mov_b32 s3, 0
	s_wait_alu 0xfffe
	s_xor_b32 s2, s2, s4
	s_mov_b32 s6, s3
	s_wait_alu 0xfffe
	s_sub_co_i32 s12, s2, s4
	s_delay_alu instid0(SALU_CYCLE_1) | instskip(NEXT) | instid1(SALU_CYCLE_1)
	s_abs_i32 s11, s12
	s_cvt_f32_u32 s2, s11
	s_wait_alu 0xfffe
	s_delay_alu instid0(SALU_CYCLE_2) | instskip(NEXT) | instid1(TRANS32_DEP_1)
	v_rcp_iflag_f32_e32 v1, s2
	v_readfirstlane_b32 s2, v1
	s_mul_f32 s2, s2, 0x4f7ffffe
	s_wait_alu 0xfffe
	s_delay_alu instid0(SALU_CYCLE_2) | instskip(SKIP_2) | instid1(SALU_CYCLE_1)
	s_cvt_u32_f32 s4, s2
	s_sub_co_i32 s2, 0, s11
	s_wait_alu 0xfffe
	s_mul_i32 s2, s2, s4
	s_wait_alu 0xfffe
	s_mul_hi_u32 s5, s4, s2
	s_abs_i32 s2, ttmp9
	s_add_co_i32 s4, s4, s5
	s_mov_b32 s5, s3
	s_wait_kmcnt 0x0
	s_cmp_eq_u64 s[8:9], 0
	s_cbranch_scc1 .LBB40_3
; %bb.2:
	s_mov_b32 s16, ttmp9
	s_ashr_i32 s17, ttmp9, 31
	s_delay_alu instid0(SALU_CYCLE_1) | instskip(NEXT) | instid1(SALU_CYCLE_1)
	s_lshl_b64 s[16:17], s[16:17], 2
	s_add_nc_u64 s[8:9], s[8:9], s[16:17]
	s_load_b32 s6, s[8:9], 0x0
.LBB40_3:
	s_load_b96 s[8:10], s[0:1], 0x58
	v_and_b32_e32 v57, 1, v0
	v_lshlrev_b32_e32 v1, 3, v0
	v_lshlrev_b32_e32 v59, 2, v0
	s_mul_u64 s[4:5], s[2:3], s[4:5]
	s_ashr_i32 s3, ttmp9, 31
	s_ashr_i32 s4, s12, 31
	s_mul_i32 s12, ttmp9, 0x70
	s_mov_b32 s16, exec_lo
	v_cmpx_gt_u32_e32 56, v0
	s_cbranch_execz .LBB40_5
; %bb.4:
	s_load_b64 s[18:19], s[0:1], 0x18
	s_wait_kmcnt 0x0
	s_mul_i32 s20, s8, s14
	s_ashr_i32 s13, s12, 31
	s_ashr_i32 s21, s20, 31
	v_and_b32_e32 v4, 0xff8, v59
	s_lshl_b64 s[20:21], s[20:21], 2
	s_delay_alu instid0(VALU_DEP_1) | instskip(SKIP_2) | instid1(SALU_CYCLE_1)
	v_mad_u32_u24 v4, 0xe0, v57, v4
	s_add_nc_u64 s[18:19], s[18:19], s[20:21]
	s_lshl_b64 s[20:21], s[12:13], 2
	s_add_nc_u64 s[18:19], s[18:19], s[20:21]
	global_load_b64 v[2:3], v1, s[18:19]
	s_wait_loadcnt 0x0
	ds_store_b64 v4, v[2:3]
.LBB40_5:
	s_or_b32 exec_lo, exec_lo, s16
	s_wait_kmcnt 0x0
	s_add_co_i32 s8, s25, 15
	s_wait_alu 0xfffe
	s_xor_b32 s3, s3, s4
	s_ashr_i32 s13, s8, 31
	s_lshl_b32 s28, s24, 5
	s_lshr_b32 s4, s13, 28
	s_mul_i32 s13, s5, s11
	s_add_co_i32 s8, s8, s4
	s_add_co_i32 s4, s28, 32
	s_ashr_i32 s27, s8, 4
	s_load_b32 s8, s[0:1], 0x48
	s_sub_co_i32 s2, s2, s13
	s_min_i32 s13, s4, s27
	s_add_co_i32 s4, s5, 1
	s_wait_alu 0xfffe
	s_sub_co_i32 s16, s2, s11
	s_cmp_ge_u32 s2, s11
	v_lshrrev_b32_e32 v63, 5, v0
	s_cselect_b32 s4, s4, s5
	s_cselect_b32 s2, s16, s2
	s_add_co_i32 s5, s4, 1
	s_wait_alu 0xfffe
	s_cmp_ge_u32 s2, s11
	v_or_b32_e32 v64, s28, v63
	s_cselect_b32 s2, s5, s4
	v_mbcnt_lo_u32_b32 v61, -1, 0
	s_wait_alu 0xfffe
	s_xor_b32 s2, s2, s3
	s_mov_b32 s4, exec_lo
	s_wait_alu 0xfffe
	s_sub_co_i32 s3, s2, s3
	v_cmp_gt_i32_e64 s2, s13, v64
	s_wait_dscnt 0x0
	s_barrier_signal -1
	s_wait_kmcnt 0x0
	s_mul_i32 s16, s8, s14
	s_barrier_wait -1
	s_ashr_i32 s17, s16, 31
	global_inv scope:SCOPE_SE
                                        ; implicit-def: $vgpr62
                                        ; implicit-def: $vgpr67
	v_cmpx_le_i32_e64 s13, v64
	s_xor_b32 s4, exec_lo, s4
; %bb.6:
	v_dual_mov_b32 v62, 0 :: v_dual_mov_b32 v67, 32
	v_mbcnt_lo_u32_b32 v61, -1, 0
                                        ; implicit-def: $vgpr1
                                        ; implicit-def: $vgpr57
; %bb.7:
	s_or_saveexec_b32 s11, s4
	s_clause 0x1
	s_load_b64 s[18:19], s[0:1], 0x38
	s_load_b32 s8, s[0:1], 0x98
	v_dual_mov_b32 v65, 0xff7fffff :: v_dual_lshlrev_b32 v60, 2, v64
	s_mul_i32 s20, s3, s10
	s_xor_b32 exec_lo, exec_lo, s11
	s_cbranch_execz .LBB40_13
; %bb.8:
	s_load_b64 s[4:5], s[0:1], 0x20
	v_bfe_u32 v58, v0, 1, 4
	s_ashr_i32 s21, s20, 31
	v_dual_mov_b32 v62, 0 :: v_dual_and_b32 v33, 8, v1
	s_lshl_b64 s[22:23], s[20:21], 2
	s_delay_alu instid0(VALU_DEP_2)
	v_lshlrev_b32_e32 v25, 4, v58
	v_xor_b32_e32 v49, 1, v61
	v_mul_u32_u24_e32 v53, 0xe0, v57
	ds_load_b128 v[1:4], v53
	ds_load_b128 v[5:8], v53 offset:16
	ds_load_b128 v[9:12], v53 offset:32
	;; [unrolled: 1-line block ×5, first 2 shown]
	v_dual_mov_b32 v72, v64 :: v_dual_lshlrev_b32 v65, 2, v58
	s_cmp_neq_f32 s6, 0
	v_dual_mov_b32 v67, 32 :: v_dual_lshlrev_b32 v70, 4, v63
	s_delay_alu instid0(VALU_DEP_2)
	v_lshl_or_b32 v65, v63, 6, v65
	s_wait_kmcnt 0x0
	s_add_nc_u64 s[4:5], s[4:5], s[22:23]
	s_mov_b32 s21, s9
	v_add_co_u32 v34, s3, s4, v25
	s_wait_alu 0xf1ff
	v_add_co_ci_u32_e64 v35, null, s5, 0, s3
	ds_load_b128 v[25:28], v53 offset:96
	ds_load_b128 v[29:32], v53 offset:112
	v_add_co_u32 v66, vcc_lo, v34, v33
	s_delay_alu instid0(VALU_DEP_1)
	v_add_co_ci_u32_e64 v68, null, 0, v35, vcc_lo
	v_cmp_gt_i32_e32 vcc_lo, 32, v49
	ds_load_b128 v[33:36], v53 offset:128
	ds_load_b128 v[37:40], v53 offset:144
	ds_load_b128 v[41:44], v53 offset:160
	ds_load_b128 v[45:48], v53 offset:176
	s_cselect_b32 s3, -1, 0
	s_lshl_b64 s[4:5], s[16:17], 2
	v_add3_u32 v70, s26, v70, v58
	s_wait_alu 0xfffd
	v_cndmask_b32_e32 v69, v61, v49, vcc_lo
	ds_load_b128 v[49:52], v53 offset:192
	ds_load_b128 v[53:56], v53 offset:208
	s_wait_alu 0xfffe
	s_add_nc_u64 s[4:5], s[18:19], s[4:5]
	v_cmp_eq_u32_e32 vcc_lo, 0, v57
	s_wait_alu 0xfffe
	v_add_co_u32 v57, s4, s4, v60
	v_lshlrev_b32_e32 v69, 2, v69
	v_add_nc_u32_e32 v71, 0x1e0, v65
	s_wait_alu 0xf1ff
	v_add_co_ci_u32_e64 v58, null, s5, 0, s4
	v_mov_b32_e32 v65, 0xff7fffff
	s_mov_b32 s10, 0
	s_sub_co_i32 s22, 1, s25
	s_branch .LBB40_10
.LBB40_9:                               ;   in Loop: Header=BB40_10 Depth=1
	s_wait_alu 0xfffe
	s_or_b32 exec_lo, exec_lo, s5
	v_add_nc_u32_e32 v72, 4, v72
	v_add_co_u32 v57, s5, v57, 16
	v_add_nc_u32_e32 v70, 64, v70
	v_add_nc_u32_e32 v71, 0x100, v71
	s_delay_alu instid0(VALU_DEP_4) | instskip(SKIP_3) | instid1(SALU_CYCLE_1)
	v_cmp_le_i32_e64 s4, s13, v72
	s_wait_alu 0xf1ff
	v_add_co_ci_u32_e64 v58, null, 0, v58, s5
	s_or_b32 s10, s4, s10
	s_and_not1_b32 exec_lo, exec_lo, s10
	s_cbranch_execz .LBB40_12
.LBB40_10:                              ; =>This Inner Loop Header: Depth=1
	global_load_b32 v73, v[57:58], off
	s_wait_loadcnt_dscnt 0x0
	v_mad_co_i64_i32 v[73:74], null, v73, s21, 0
	s_delay_alu instid0(VALU_DEP_1) | instskip(NEXT) | instid1(VALU_DEP_1)
	v_lshlrev_b64_e32 v[73:74], 2, v[73:74]
	v_add_co_u32 v73, s4, v66, v73
	s_wait_alu 0xf1ff
	s_delay_alu instid0(VALU_DEP_2)
	v_add_co_ci_u32_e64 v74, null, v68, v74, s4
	s_clause 0x18
	global_load_b64 v[75:76], v[73:74], off offset:256
	global_load_b64 v[77:78], v[73:74], off offset:512
	global_load_b64 v[79:80], v[73:74], off offset:768
	global_load_b64 v[81:82], v[73:74], off
	global_load_b64 v[83:84], v[73:74], off offset:1024
	global_load_b64 v[85:86], v[73:74], off offset:1280
	global_load_b64 v[87:88], v[73:74], off offset:1536
	global_load_b64 v[89:90], v[73:74], off offset:1792
	global_load_b64 v[91:92], v[73:74], off offset:2048
	global_load_b64 v[93:94], v[73:74], off offset:2304
	global_load_b64 v[95:96], v[73:74], off offset:2560
	global_load_b64 v[97:98], v[73:74], off offset:2816
	global_load_b64 v[99:100], v[73:74], off offset:3072
	global_load_b64 v[101:102], v[73:74], off offset:3328
	global_load_b64 v[103:104], v[73:74], off offset:3584
	global_load_b64 v[105:106], v[73:74], off offset:3840
	global_load_b64 v[107:108], v[73:74], off offset:4096
	global_load_b64 v[109:110], v[73:74], off offset:4352
	global_load_b64 v[111:112], v[73:74], off offset:4608
	global_load_b64 v[113:114], v[73:74], off offset:4864
	global_load_b64 v[115:116], v[73:74], off offset:5120
	global_load_b64 v[117:118], v[73:74], off offset:5376
	global_load_b64 v[119:120], v[73:74], off offset:5632
	global_load_b64 v[121:122], v[73:74], off offset:5888
	global_load_b64 v[123:124], v[73:74], off offset:6144
	s_wait_loadcnt_dscnt 0x180d
	v_dual_mul_f32 v125, v3, v75 :: v_dual_mul_f32 v126, v4, v76
	global_load_b64 v[75:76], v[73:74], off offset:6400
	s_wait_loadcnt 0x16
	v_dual_fmac_f32 v125, v1, v81 :: v_dual_fmac_f32 v126, v2, v82
	s_clause 0x1
	global_load_b64 v[81:82], v[73:74], off offset:6656
	global_load_b64 v[73:74], v[73:74], off offset:6912
	s_wait_dscnt 0xc
	v_dual_fmac_f32 v125, v5, v77 :: v_dual_fmac_f32 v126, v6, v78
	s_delay_alu instid0(VALU_DEP_1) | instskip(SKIP_1) | instid1(VALU_DEP_1)
	v_dual_fmac_f32 v125, v7, v79 :: v_dual_fmac_f32 v126, v8, v80
	s_wait_loadcnt_dscnt 0x170b
	v_dual_fmac_f32 v125, v9, v83 :: v_dual_fmac_f32 v126, v10, v84
	s_wait_loadcnt 0x16
	s_delay_alu instid0(VALU_DEP_1) | instskip(SKIP_1) | instid1(VALU_DEP_1)
	v_dual_fmac_f32 v125, v11, v85 :: v_dual_fmac_f32 v126, v12, v86
	s_wait_loadcnt_dscnt 0x150a
	v_dual_fmac_f32 v125, v13, v87 :: v_dual_fmac_f32 v126, v14, v88
	s_wait_loadcnt 0x14
	;; [unrolled: 5-line block ×12, first 2 shown]
	s_delay_alu instid0(VALU_DEP_1) | instskip(NEXT) | instid1(VALU_DEP_1)
	v_dual_fmac_f32 v125, v55, v73 :: v_dual_fmac_f32 v126, v56, v74
	v_add_f32_e32 v73, v125, v126
	ds_bpermute_b32 v74, v69, v73
	s_and_saveexec_b32 s5, vcc_lo
	s_cbranch_execz .LBB40_9
; %bb.11:                               ;   in Loop: Header=BB40_10 Depth=1
	s_wait_dscnt 0x0
	v_add_f32_e32 v73, v73, v74
	v_add_nc_u32_e32 v75, s22, v70
	v_cmp_gt_i32_e64 s4, s25, v70
	s_delay_alu instid0(VALU_DEP_2) | instskip(NEXT) | instid1(VALU_DEP_1)
	v_cvt_f32_i32_e32 v75, v75
	v_mul_f32_e32 v75, s6, v75
	s_delay_alu instid0(VALU_DEP_1) | instskip(SKIP_1) | instid1(VALU_DEP_2)
	v_cndmask_b32_e64 v74, 0, v75, s3
	v_max_num_f32_e32 v75, v65, v65
	v_fmac_f32_e32 v74, s7, v73
	s_delay_alu instid0(VALU_DEP_1) | instskip(SKIP_2) | instid1(VALU_DEP_2)
	v_max_num_f32_e32 v73, v75, v74
	s_wait_alu 0xf1ff
	v_cndmask_b32_e64 v74, 0, v74, s4
	v_cndmask_b32_e64 v65, v65, v73, s4
	ds_store_b32 v71, v74
	s_branch .LBB40_9
.LBB40_12:
	s_or_b32 exec_lo, exec_lo, s10
.LBB40_13:
	s_delay_alu instid0(SALU_CYCLE_1)
	s_or_b32 exec_lo, exec_lo, s11
	v_xor_b32_e32 v1, 16, v61
	v_xor_b32_e32 v3, 8, v61
	v_max_num_f32_e32 v5, v65, v65
	v_xor_b32_e32 v6, 2, v61
	s_clause 0x2
	s_load_b128 s[4:7], s[0:1], 0x0
	s_load_b64 s[10:11], s[0:1], 0x10
	s_load_b64 s[22:23], s[0:1], 0x28
	v_cmp_lt_i32_e32 vcc_lo, v1, v67
	s_wait_alu 0xfffd
	v_cndmask_b32_e32 v1, v61, v1, vcc_lo
	v_cmp_lt_i32_e32 vcc_lo, v3, v67
	s_wait_alu 0xfffd
	v_cndmask_b32_e32 v3, v61, v3, vcc_lo
	s_delay_alu instid0(VALU_DEP_1)
	v_lshlrev_b32_e32 v4, 2, v3
	v_lshlrev_b32_e32 v2, 2, v1
	ds_bpermute_b32 v1, v2, v65
	v_and_b32_e32 v65, 31, v0
	s_wait_dscnt 0x0
	v_max_num_f32_e32 v1, v1, v1
	s_delay_alu instid0(VALU_DEP_1)
	v_max_num_f32_e32 v1, v5, v1
	v_xor_b32_e32 v5, 4, v61
	ds_bpermute_b32 v3, v4, v1
	v_cmp_lt_i32_e32 vcc_lo, v5, v67
	s_wait_alu 0xfffd
	v_cndmask_b32_e32 v5, v61, v5, vcc_lo
	v_cmp_lt_i32_e32 vcc_lo, v6, v67
	s_wait_alu 0xfffd
	s_delay_alu instid0(VALU_DEP_2) | instskip(SKIP_1) | instid1(VALU_DEP_2)
	v_dual_cndmask_b32 v6, v61, v6 :: v_dual_lshlrev_b32 v5, 2, v5
	v_cmp_eq_u32_e32 vcc_lo, 0, v65
	v_lshlrev_b32_e32 v66, 2, v6
	v_lshlrev_b32_e32 v6, 2, v63
	s_wait_dscnt 0x0
	v_max_num_f32_e32 v3, v3, v3
	s_delay_alu instid0(VALU_DEP_1) | instskip(SKIP_3) | instid1(VALU_DEP_1)
	v_max_num_f32_e32 v1, v1, v3
	ds_bpermute_b32 v3, v5, v1
	s_wait_dscnt 0x0
	v_max_num_f32_e32 v3, v3, v3
	v_max_num_f32_e32 v1, v1, v3
	ds_bpermute_b32 v3, v66, v1
	s_and_saveexec_b32 s0, vcc_lo
	s_cbranch_execz .LBB40_15
; %bb.14:
	s_wait_dscnt 0x0
	v_max_num_f32_e32 v3, v3, v3
	v_max_num_f32_e32 v1, v1, v1
	s_delay_alu instid0(VALU_DEP_1)
	v_max_num_f32_e32 v1, v1, v3
	ds_store_b32 v6, v1 offset:448
.LBB40_15:
	s_or_b32 exec_lo, exec_lo, s0
	v_cmp_gt_u32_e64 s0, 4, v65
	v_mov_b32_e32 v1, 0xff7fffff
	v_lshlrev_b32_e32 v7, 2, v65
	s_wait_loadcnt_dscnt 0x0
	s_barrier_signal -1
	s_barrier_wait -1
	global_inv scope:SCOPE_SE
	s_and_saveexec_b32 s1, s0
; %bb.16:
	ds_load_b32 v1, v7 offset:448
; %bb.17:
	s_or_b32 exec_lo, exec_lo, s1
	s_wait_dscnt 0x0
	ds_bpermute_b32 v3, v66, v1
	v_xor_b32_e32 v8, 1, v61
	v_max_num_f32_e32 v1, v1, v1
	s_delay_alu instid0(VALU_DEP_2) | instskip(NEXT) | instid1(VALU_DEP_1)
	v_cmp_lt_i32_e64 s1, v8, v67
	v_cndmask_b32_e64 v8, v61, v8, s1
	s_sub_co_i32 s1, s13, s28
	s_wait_alu 0xfffe
	s_lshl_b32 s1, s1, 4
	s_delay_alu instid0(VALU_DEP_1)
	v_dual_mov_b32 v8, 0 :: v_dual_lshlrev_b32 v67, 2, v8
	s_wait_alu 0xfffe
	s_add_co_i32 s1, s1, s26
	s_wait_alu 0xfffe
	s_min_i32 s1, s1, s25
	s_wait_dscnt 0x0
	v_max_num_f32_e32 v3, v3, v3
	s_wait_alu 0xfffe
	s_sub_co_i32 s21, s1, s26
	s_wait_alu 0xfffe
	v_cmp_gt_i32_e64 s1, s21, v0
	v_max_num_f32_e32 v1, v1, v3
	ds_bpermute_b32 v3, v67, v1
	s_wait_dscnt 0x0
	v_max_num_f32_e32 v3, v3, v3
	s_delay_alu instid0(VALU_DEP_1)
	v_max_num_f32_e32 v1, v1, v3
	v_lshlrev_b32_e32 v3, 2, v62
	ds_bpermute_b32 v1, v3, v1
	v_lshl_add_u32 v3, v0, 2, 0x1e0
	s_and_saveexec_b32 s28, s1
	s_cbranch_execz .LBB40_21
; %bb.18:
	v_lshl_add_u32 v9, v0, 2, 0x1e0
	v_mov_b32_e32 v8, 0
	v_mov_b32_e32 v10, v0
	s_mov_b32 s29, 0
.LBB40_19:                              ; =>This Inner Loop Header: Depth=1
	ds_load_b32 v11, v9
	v_add_nc_u32_e32 v10, 0x80, v10
	s_delay_alu instid0(VALU_DEP_1) | instskip(SKIP_4) | instid1(VALU_DEP_1)
	v_cmp_le_i32_e64 s3, s21, v10
	s_wait_alu 0xfffe
	s_or_b32 s29, s3, s29
	s_wait_dscnt 0x0
	v_sub_f32_e32 v11, v11, v1
	v_mul_f32_e32 v11, 0x3fb8aa3b, v11
	s_delay_alu instid0(VALU_DEP_1)
	v_exp_f32_e32 v11, v11
	ds_store_b32 v9, v11
	v_dual_add_f32 v8, v8, v11 :: v_dual_add_nc_u32 v9, 0x200, v9
	s_wait_alu 0xfffe
	s_and_not1_b32 exec_lo, exec_lo, s29
	s_cbranch_execnz .LBB40_19
; %bb.20:
	s_or_b32 exec_lo, exec_lo, s29
.LBB40_21:
	s_wait_alu 0xfffe
	s_or_b32 exec_lo, exec_lo, s28
	ds_bpermute_b32 v2, v2, v8
	s_wait_dscnt 0x0
	v_add_f32_e32 v2, v8, v2
	ds_bpermute_b32 v4, v4, v2
	s_wait_dscnt 0x0
	v_add_f32_e32 v2, v2, v4
	;; [unrolled: 3-line block ×5, first 2 shown]
	s_and_saveexec_b32 s3, vcc_lo
; %bb.22:
	ds_store_b32 v6, v2 offset:464
; %bb.23:
	s_wait_alu 0xfffe
	s_or_b32 exec_lo, exec_lo, s3
	s_wait_loadcnt_dscnt 0x0
	s_barrier_signal -1
	s_barrier_wait -1
	global_inv scope:SCOPE_SE
	s_and_saveexec_b32 s3, s0
; %bb.24:
	ds_load_b32 v2, v7 offset:464
; %bb.25:
	s_wait_alu 0xfffe
	s_or_b32 exec_lo, exec_lo, s3
	s_wait_dscnt 0x0
	ds_bpermute_b32 v4, v66, v2
	s_wait_dscnt 0x0
	v_dual_add_f32 v2, v2, v4 :: v_dual_lshlrev_b32 v5, 2, v61
	ds_bpermute_b32 v4, v67, v2
	s_wait_dscnt 0x0
	v_add_f32_e32 v2, v2, v4
	v_and_b32_e32 v4, 0xffffff80, v5
	ds_bpermute_b32 v2, v4, v2
	s_and_saveexec_b32 s0, s1
	s_cbranch_execz .LBB40_28
; %bb.26:
	s_wait_dscnt 0x0
	v_add_f32_e32 v4, 0x358637bd, v2
	s_mov_b32 s1, 0
	s_delay_alu instid0(VALU_DEP_1) | instskip(SKIP_1) | instid1(VALU_DEP_2)
	v_div_scale_f32 v5, null, v4, v4, 1.0
	v_div_scale_f32 v8, vcc_lo, 1.0, v4, 1.0
	v_rcp_f32_e32 v6, v5
	s_delay_alu instid0(TRANS32_DEP_1) | instskip(NEXT) | instid1(VALU_DEP_1)
	v_fma_f32 v7, -v5, v6, 1.0
	v_fmac_f32_e32 v6, v7, v6
	s_delay_alu instid0(VALU_DEP_1) | instskip(NEXT) | instid1(VALU_DEP_1)
	v_mul_f32_e32 v7, v8, v6
	v_fma_f32 v9, -v5, v7, v8
	s_delay_alu instid0(VALU_DEP_1) | instskip(NEXT) | instid1(VALU_DEP_1)
	v_fmac_f32_e32 v7, v9, v6
	v_fma_f32 v5, -v5, v7, v8
	s_wait_alu 0xfffd
	s_delay_alu instid0(VALU_DEP_1) | instskip(NEXT) | instid1(VALU_DEP_1)
	v_div_fmas_f32 v5, v5, v6, v7
	v_div_fixup_f32 v4, v5, v4, 1.0
	v_mov_b32_e32 v5, v0
.LBB40_27:                              ; =>This Inner Loop Header: Depth=1
	ds_load_b32 v6, v3
	s_wait_dscnt 0x0
	v_dual_mul_f32 v6, v4, v6 :: v_dual_add_nc_u32 v5, 0x80, v5
	s_delay_alu instid0(VALU_DEP_1)
	v_cmp_le_i32_e32 vcc_lo, s21, v5
	ds_store_b32 v3, v6
	v_add_nc_u32_e32 v3, 0x200, v3
	s_wait_alu 0xfffe
	s_or_b32 s1, vcc_lo, s1
	s_wait_alu 0xfffe
	s_and_not1_b32 exec_lo, exec_lo, s1
	s_cbranch_execnz .LBB40_27
.LBB40_28:
	s_wait_alu 0xfffe
	s_or_b32 exec_lo, exec_lo, s0
	s_wait_kmcnt 0x0
	s_mul_i32 s0, s8, s14
	s_wait_loadcnt_dscnt 0x0
	s_wait_alu 0xfffe
	s_mul_i32 s14, s0, s15
	s_mov_b32 s0, exec_lo
	s_barrier_signal -1
	s_barrier_wait -1
	global_inv scope:SCOPE_SE
	v_cmpx_eq_u32_e32 0, v0
	s_cbranch_execz .LBB40_30
; %bb.29:
	s_ashr_i32 s15, s14, 31
	s_wait_alu 0xfffe
	s_mul_i32 s28, s8, ttmp9
	s_lshl_b32 s1, s24, 2
	s_lshl_b64 s[30:31], s[14:15], 2
	s_wait_alu 0xfffe
	s_ashr_i32 s29, s28, 31
	v_mov_b32_e32 v3, s1
	s_add_nc_u64 s[6:7], s[6:7], s[30:31]
	s_wait_alu 0xfffe
	s_lshl_b64 s[28:29], s[28:29], 2
	s_add_nc_u64 s[4:5], s[4:5], s[30:31]
	s_wait_alu 0xfffe
	s_add_nc_u64 s[6:7], s[6:7], s[28:29]
	s_add_nc_u64 s[4:5], s[4:5], s[28:29]
	s_clause 0x1
	global_store_b32 v3, v1, s[6:7]
	global_store_b32 v3, v2, s[4:5]
.LBB40_30:
	s_wait_alu 0xfffe
	s_or_b32 exec_lo, exec_lo, s0
	v_dual_mov_b32 v80, 0 :: v_dual_mov_b32 v81, 0
	v_dual_mov_b32 v79, 0 :: v_dual_and_b32 v68, 3, v0
	v_dual_mov_b32 v82, 0 :: v_dual_mov_b32 v77, 0
	v_dual_mov_b32 v78, 0 :: v_dual_mov_b32 v75, 0
	;; [unrolled: 1-line block ×5, first 2 shown]
	v_mov_b32_e32 v70, 0
	s_and_saveexec_b32 s1, s2
	s_cbranch_execz .LBB40_62
; %bb.31:
	v_dual_mov_b32 v70, 0 :: v_dual_lshlrev_b32 v1, 4, v0
	s_ashr_i32 s21, s20, 31
	v_dual_mov_b32 v72, 0 :: v_dual_lshlrev_b32 v3, 4, v68
	s_delay_alu instid0(VALU_DEP_2)
	v_dual_mov_b32 v74, 0 :: v_dual_and_b32 v1, 0x1f0, v1
	s_wait_alu 0xfffe
	s_lshl_b64 s[2:3], s[20:21], 2
	v_dual_mov_b32 v69, 0 :: v_dual_and_b32 v2, 12, v59
	s_wait_alu 0xfffe
	s_add_nc_u64 s[2:3], s[22:23], s[2:3]
	v_lshl_add_u32 v4, v63, 4, s26
	s_wait_alu 0xfffe
	v_add_co_u32 v83, s0, s2, v1
	s_wait_alu 0xf1ff
	v_add_co_ci_u32_e64 v84, null, s3, 0, s0
	s_lshl_b64 s[2:3], s[16:17], 2
	v_lshl_or_b32 v3, v63, 6, v3
	s_wait_alu 0xfffe
	s_add_nc_u64 s[2:3], s[18:19], s[2:3]
	v_add3_u32 v85, v4, v2, 3
	s_wait_alu 0xfffe
	v_add_co_u32 v61, s0, s2, v60
	v_dual_mov_b32 v71, 0 :: v_dual_add_nc_u32 v86, 0x1e0, v3
	s_wait_alu 0xf1ff
	v_add_co_ci_u32_e64 v62, null, s3, 0, s0
	v_dual_mov_b32 v73, 0 :: v_dual_mov_b32 v76, 0
	v_dual_mov_b32 v75, 0 :: v_dual_mov_b32 v78, 0
	;; [unrolled: 1-line block ×4, first 2 shown]
	v_mov_b32_e32 v81, 0
	s_mov_b32 s2, s9
	s_add_co_i32 s27, s27, -1
	s_mov_b32 s3, 0
	s_branch .LBB40_33
.LBB40_32:                              ;   in Loop: Header=BB40_33 Depth=1
	s_wait_alu 0xfffe
	s_or_b32 exec_lo, exec_lo, s0
	s_wait_loadcnt_dscnt 0xd00
	v_mul_f32_e32 v5, v1, v5
	s_wait_loadcnt 0x9
	v_mul_f32_e32 v21, v1, v21
	s_wait_loadcnt 0x3
	v_mul_f32_e32 v49, v1, v49
	v_mul_f32_e32 v37, v1, v37
	;; [unrolled: 1-line block ×3, first 2 shown]
	v_fmac_f32_e32 v5, v2, v6
	v_fmac_f32_e32 v21, v2, v22
	s_wait_loadcnt 0x1
	v_dual_mul_f32 v57, v1, v57 :: v_dual_add_nc_u32 v64, 4, v64
	v_fmac_f32_e32 v37, v2, v38
	v_fmac_f32_e32 v5, v3, v7
	;; [unrolled: 1-line block ×4, first 2 shown]
	v_mul_f32_e32 v9, v1, v9
	v_dual_mul_f32 v53, v1, v53 :: v_dual_add_nc_u32 v86, 0x100, v86
	v_fmac_f32_e32 v5, v4, v8
	v_fmac_f32_e32 v49, v2, v50
	;; [unrolled: 1-line block ×3, first 2 shown]
	v_mul_f32_e32 v41, v1, v41
	v_mul_f32_e32 v33, v1, v33
	s_delay_alu instid0(VALU_DEP_4) | instskip(NEXT) | instid1(VALU_DEP_4)
	v_dual_add_f32 v80, v80, v5 :: v_dual_fmac_f32 v49, v3, v51
	v_add_f32_e32 v78, v78, v21
	v_mul_f32_e32 v25, v1, v25
	v_fmac_f32_e32 v37, v3, v39
	v_fmac_f32_e32 v29, v3, v31
	;; [unrolled: 1-line block ×4, first 2 shown]
	v_mul_f32_e32 v17, v1, v17
	v_mul_f32_e32 v13, v1, v13
	s_wait_loadcnt 0x0
	v_mul_f32_e32 v1, v1, v45
	v_fmac_f32_e32 v9, v2, v10
	v_dual_fmac_f32 v41, v2, v42 :: v_dual_add_f32 v72, v72, v49
	v_fmac_f32_e32 v33, v2, v34
	v_fmac_f32_e32 v25, v2, v26
	;; [unrolled: 1-line block ×11, first 2 shown]
	v_dual_fmac_f32 v25, v3, v27 :: v_dual_add_f32 v74, v74, v37
	v_fmac_f32_e32 v57, v4, v60
	v_dual_add_f32 v76, v76, v29 :: v_dual_fmac_f32 v53, v3, v55
	v_fmac_f32_e32 v17, v3, v19
	v_fmac_f32_e32 v13, v3, v15
	;; [unrolled: 1-line block ×4, first 2 shown]
	v_dual_fmac_f32 v41, v3, v43 :: v_dual_add_f32 v70, v70, v57
	v_fmac_f32_e32 v53, v4, v56
	v_fmac_f32_e32 v33, v4, v36
	;; [unrolled: 1-line block ×5, first 2 shown]
	v_dual_fmac_f32 v1, v4, v48 :: v_dual_add_f32 v82, v82, v9
	v_fmac_f32_e32 v41, v4, v44
	v_cmp_le_i32_e32 vcc_lo, s13, v64
	v_add_co_u32 v61, s0, v61, 16
	v_add_f32_e32 v71, v71, v53
	s_delay_alu instid0(VALU_DEP_4)
	v_add_f32_e32 v73, v73, v41
	v_add_f32_e32 v75, v75, v33
	v_add_f32_e32 v77, v77, v25
	v_add_f32_e32 v79, v79, v17
	v_add_f32_e32 v81, v81, v13
	v_add_f32_e32 v69, v69, v1
	v_add_nc_u32_e32 v85, 64, v85
	s_wait_alu 0xf1ff
	v_add_co_ci_u32_e64 v62, null, 0, v62, s0
	s_or_b32 s3, vcc_lo, s3
	s_wait_alu 0xfffe
	s_and_not1_b32 exec_lo, exec_lo, s3
	s_cbranch_execz .LBB40_61
.LBB40_33:                              ; =>This Inner Loop Header: Depth=1
	global_load_b32 v1, v[61:62], off
	v_add_nc_u32_e32 v87, -3, v85
	v_add_nc_u32_e32 v89, -2, v85
	v_add_nc_u32_e32 v88, -1, v85
	s_wait_loadcnt 0x0
	s_wait_alu 0xfffe
	v_mad_co_i64_i32 v[1:2], null, v1, s2, 0
	s_delay_alu instid0(VALU_DEP_1) | instskip(NEXT) | instid1(VALU_DEP_1)
	v_lshlrev_b64_e32 v[1:2], 2, v[1:2]
	v_add_co_u32 v45, vcc_lo, v83, v1
	s_wait_alu 0xfffd
	s_delay_alu instid0(VALU_DEP_2)
	v_add_co_ci_u32_e64 v46, null, v84, v2, vcc_lo
	ds_load_b128 v[1:4], v86
	v_cmp_eq_u32_e32 vcc_lo, s27, v64
	global_load_b128 v[5:8], v[45:46], off
	s_and_saveexec_b32 s4, vcc_lo
	s_cbranch_execnz .LBB40_47
; %bb.34:                               ;   in Loop: Header=BB40_33 Depth=1
	s_wait_alu 0xfffe
	s_or_b32 exec_lo, exec_lo, s4
	global_load_b128 v[9:12], v[45:46], off offset:512
	s_and_saveexec_b32 s4, vcc_lo
	s_cbranch_execnz .LBB40_48
.LBB40_35:                              ;   in Loop: Header=BB40_33 Depth=1
	s_wait_alu 0xfffe
	s_or_b32 exec_lo, exec_lo, s4
	global_load_b128 v[13:16], v[45:46], off offset:1024
	s_and_saveexec_b32 s4, vcc_lo
	s_cbranch_execnz .LBB40_49
.LBB40_36:                              ;   in Loop: Header=BB40_33 Depth=1
	s_wait_alu 0xfffe
	s_or_b32 exec_lo, exec_lo, s4
	global_load_b128 v[17:20], v[45:46], off offset:1536
	s_and_saveexec_b32 s4, vcc_lo
	s_cbranch_execnz .LBB40_50
.LBB40_37:                              ;   in Loop: Header=BB40_33 Depth=1
	s_wait_alu 0xfffe
	s_or_b32 exec_lo, exec_lo, s4
	global_load_b128 v[21:24], v[45:46], off offset:2048
	s_and_saveexec_b32 s4, vcc_lo
	s_cbranch_execnz .LBB40_51
.LBB40_38:                              ;   in Loop: Header=BB40_33 Depth=1
	s_wait_alu 0xfffe
	s_or_b32 exec_lo, exec_lo, s4
	global_load_b128 v[25:28], v[45:46], off offset:2560
	s_and_saveexec_b32 s4, vcc_lo
	s_cbranch_execnz .LBB40_52
.LBB40_39:                              ;   in Loop: Header=BB40_33 Depth=1
	s_wait_alu 0xfffe
	s_or_b32 exec_lo, exec_lo, s4
	global_load_b128 v[29:32], v[45:46], off offset:3072
	s_and_saveexec_b32 s4, vcc_lo
	s_cbranch_execnz .LBB40_53
.LBB40_40:                              ;   in Loop: Header=BB40_33 Depth=1
	s_wait_alu 0xfffe
	s_or_b32 exec_lo, exec_lo, s4
	global_load_b128 v[33:36], v[45:46], off offset:3584
	s_and_saveexec_b32 s4, vcc_lo
	s_cbranch_execnz .LBB40_54
.LBB40_41:                              ;   in Loop: Header=BB40_33 Depth=1
	s_wait_alu 0xfffe
	s_or_b32 exec_lo, exec_lo, s4
	global_load_b128 v[37:40], v[45:46], off offset:4096
	s_and_saveexec_b32 s4, vcc_lo
	s_cbranch_execnz .LBB40_55
.LBB40_42:                              ;   in Loop: Header=BB40_33 Depth=1
	s_wait_alu 0xfffe
	s_or_b32 exec_lo, exec_lo, s4
	global_load_b128 v[41:44], v[45:46], off offset:4608
	s_and_saveexec_b32 s4, vcc_lo
	s_cbranch_execnz .LBB40_56
.LBB40_43:                              ;   in Loop: Header=BB40_33 Depth=1
	s_wait_alu 0xfffe
	s_or_b32 exec_lo, exec_lo, s4
	global_load_b128 v[49:52], v[45:46], off offset:5120
	s_and_saveexec_b32 s4, vcc_lo
	s_cbranch_execnz .LBB40_57
.LBB40_44:                              ;   in Loop: Header=BB40_33 Depth=1
	s_wait_alu 0xfffe
	s_or_b32 exec_lo, exec_lo, s4
	global_load_b128 v[53:56], v[45:46], off offset:5632
	s_and_saveexec_b32 s4, vcc_lo
	s_cbranch_execnz .LBB40_58
.LBB40_45:                              ;   in Loop: Header=BB40_33 Depth=1
	s_wait_alu 0xfffe
	s_or_b32 exec_lo, exec_lo, s4
	global_load_b128 v[57:60], v[45:46], off offset:6144
	s_and_saveexec_b32 s4, vcc_lo
	s_cbranch_execnz .LBB40_59
.LBB40_46:                              ;   in Loop: Header=BB40_33 Depth=1
	s_wait_alu 0xfffe
	s_or_b32 exec_lo, exec_lo, s4
	global_load_b128 v[45:48], v[45:46], off offset:6656
	s_and_saveexec_b32 s0, vcc_lo
	s_cbranch_execz .LBB40_32
	s_branch .LBB40_60
.LBB40_47:                              ;   in Loop: Header=BB40_33 Depth=1
	v_cmp_gt_i32_e64 s0, s25, v87
	s_wait_loadcnt 0x0
	s_wait_alu 0xf1ff
	s_delay_alu instid0(VALU_DEP_1) | instskip(SKIP_2) | instid1(VALU_DEP_1)
	v_cndmask_b32_e64 v5, 0, v5, s0
	v_cmp_gt_i32_e64 s0, s25, v89
	s_wait_alu 0xf1ff
	v_cndmask_b32_e64 v6, 0, v6, s0
	v_cmp_gt_i32_e64 s0, s25, v88
	s_wait_alu 0xf1ff
	s_delay_alu instid0(VALU_DEP_1) | instskip(SKIP_2) | instid1(VALU_DEP_1)
	v_cndmask_b32_e64 v7, 0, v7, s0
	v_cmp_gt_i32_e64 s0, s25, v85
	s_wait_alu 0xf1ff
	v_cndmask_b32_e64 v8, 0, v8, s0
	s_wait_alu 0xfffe
	s_or_b32 exec_lo, exec_lo, s4
	global_load_b128 v[9:12], v[45:46], off offset:512
	s_and_saveexec_b32 s4, vcc_lo
	s_cbranch_execz .LBB40_35
.LBB40_48:                              ;   in Loop: Header=BB40_33 Depth=1
	v_cmp_gt_i32_e64 s0, s25, v87
	s_wait_loadcnt 0x0
	s_wait_alu 0xf1ff
	s_delay_alu instid0(VALU_DEP_1) | instskip(SKIP_2) | instid1(VALU_DEP_1)
	v_cndmask_b32_e64 v9, 0, v9, s0
	v_cmp_gt_i32_e64 s0, s25, v89
	s_wait_alu 0xf1ff
	v_cndmask_b32_e64 v10, 0, v10, s0
	v_cmp_gt_i32_e64 s0, s25, v88
	s_wait_alu 0xf1ff
	s_delay_alu instid0(VALU_DEP_1) | instskip(SKIP_2) | instid1(VALU_DEP_1)
	v_cndmask_b32_e64 v11, 0, v11, s0
	v_cmp_gt_i32_e64 s0, s25, v85
	s_wait_alu 0xf1ff
	v_cndmask_b32_e64 v12, 0, v12, s0
	s_wait_alu 0xfffe
	s_or_b32 exec_lo, exec_lo, s4
	global_load_b128 v[13:16], v[45:46], off offset:1024
	s_and_saveexec_b32 s4, vcc_lo
	s_cbranch_execz .LBB40_36
.LBB40_49:                              ;   in Loop: Header=BB40_33 Depth=1
	v_cmp_gt_i32_e64 s0, s25, v87
	s_wait_loadcnt 0x0
	s_wait_alu 0xf1ff
	s_delay_alu instid0(VALU_DEP_1) | instskip(SKIP_2) | instid1(VALU_DEP_1)
	v_cndmask_b32_e64 v13, 0, v13, s0
	v_cmp_gt_i32_e64 s0, s25, v89
	s_wait_alu 0xf1ff
	v_cndmask_b32_e64 v14, 0, v14, s0
	v_cmp_gt_i32_e64 s0, s25, v88
	s_wait_alu 0xf1ff
	s_delay_alu instid0(VALU_DEP_1) | instskip(SKIP_2) | instid1(VALU_DEP_1)
	v_cndmask_b32_e64 v15, 0, v15, s0
	v_cmp_gt_i32_e64 s0, s25, v85
	s_wait_alu 0xf1ff
	v_cndmask_b32_e64 v16, 0, v16, s0
	s_wait_alu 0xfffe
	s_or_b32 exec_lo, exec_lo, s4
	global_load_b128 v[17:20], v[45:46], off offset:1536
	s_and_saveexec_b32 s4, vcc_lo
	s_cbranch_execz .LBB40_37
.LBB40_50:                              ;   in Loop: Header=BB40_33 Depth=1
	v_cmp_gt_i32_e64 s0, s25, v87
	s_wait_loadcnt 0x0
	s_wait_alu 0xf1ff
	s_delay_alu instid0(VALU_DEP_1) | instskip(SKIP_2) | instid1(VALU_DEP_1)
	v_cndmask_b32_e64 v17, 0, v17, s0
	v_cmp_gt_i32_e64 s0, s25, v89
	s_wait_alu 0xf1ff
	v_cndmask_b32_e64 v18, 0, v18, s0
	v_cmp_gt_i32_e64 s0, s25, v88
	s_wait_alu 0xf1ff
	s_delay_alu instid0(VALU_DEP_1) | instskip(SKIP_2) | instid1(VALU_DEP_1)
	v_cndmask_b32_e64 v19, 0, v19, s0
	v_cmp_gt_i32_e64 s0, s25, v85
	s_wait_alu 0xf1ff
	v_cndmask_b32_e64 v20, 0, v20, s0
	s_wait_alu 0xfffe
	s_or_b32 exec_lo, exec_lo, s4
	global_load_b128 v[21:24], v[45:46], off offset:2048
	s_and_saveexec_b32 s4, vcc_lo
	s_cbranch_execz .LBB40_38
.LBB40_51:                              ;   in Loop: Header=BB40_33 Depth=1
	v_cmp_gt_i32_e64 s0, s25, v87
	s_wait_loadcnt 0x0
	s_wait_alu 0xf1ff
	s_delay_alu instid0(VALU_DEP_1) | instskip(SKIP_2) | instid1(VALU_DEP_1)
	v_cndmask_b32_e64 v21, 0, v21, s0
	v_cmp_gt_i32_e64 s0, s25, v89
	s_wait_alu 0xf1ff
	v_cndmask_b32_e64 v22, 0, v22, s0
	v_cmp_gt_i32_e64 s0, s25, v88
	s_wait_alu 0xf1ff
	s_delay_alu instid0(VALU_DEP_1) | instskip(SKIP_2) | instid1(VALU_DEP_1)
	v_cndmask_b32_e64 v23, 0, v23, s0
	v_cmp_gt_i32_e64 s0, s25, v85
	s_wait_alu 0xf1ff
	v_cndmask_b32_e64 v24, 0, v24, s0
	s_wait_alu 0xfffe
	s_or_b32 exec_lo, exec_lo, s4
	global_load_b128 v[25:28], v[45:46], off offset:2560
	s_and_saveexec_b32 s4, vcc_lo
	s_cbranch_execz .LBB40_39
.LBB40_52:                              ;   in Loop: Header=BB40_33 Depth=1
	v_cmp_gt_i32_e64 s0, s25, v87
	s_wait_loadcnt 0x0
	s_wait_alu 0xf1ff
	s_delay_alu instid0(VALU_DEP_1) | instskip(SKIP_2) | instid1(VALU_DEP_1)
	v_cndmask_b32_e64 v25, 0, v25, s0
	v_cmp_gt_i32_e64 s0, s25, v89
	s_wait_alu 0xf1ff
	v_cndmask_b32_e64 v26, 0, v26, s0
	v_cmp_gt_i32_e64 s0, s25, v88
	s_wait_alu 0xf1ff
	s_delay_alu instid0(VALU_DEP_1) | instskip(SKIP_2) | instid1(VALU_DEP_1)
	v_cndmask_b32_e64 v27, 0, v27, s0
	v_cmp_gt_i32_e64 s0, s25, v85
	s_wait_alu 0xf1ff
	v_cndmask_b32_e64 v28, 0, v28, s0
	s_wait_alu 0xfffe
	s_or_b32 exec_lo, exec_lo, s4
	global_load_b128 v[29:32], v[45:46], off offset:3072
	s_and_saveexec_b32 s4, vcc_lo
	s_cbranch_execz .LBB40_40
.LBB40_53:                              ;   in Loop: Header=BB40_33 Depth=1
	v_cmp_gt_i32_e64 s0, s25, v87
	s_wait_loadcnt 0x0
	s_wait_alu 0xf1ff
	s_delay_alu instid0(VALU_DEP_1) | instskip(SKIP_2) | instid1(VALU_DEP_1)
	v_cndmask_b32_e64 v29, 0, v29, s0
	v_cmp_gt_i32_e64 s0, s25, v89
	s_wait_alu 0xf1ff
	v_cndmask_b32_e64 v30, 0, v30, s0
	v_cmp_gt_i32_e64 s0, s25, v88
	s_wait_alu 0xf1ff
	s_delay_alu instid0(VALU_DEP_1) | instskip(SKIP_2) | instid1(VALU_DEP_1)
	v_cndmask_b32_e64 v31, 0, v31, s0
	v_cmp_gt_i32_e64 s0, s25, v85
	s_wait_alu 0xf1ff
	v_cndmask_b32_e64 v32, 0, v32, s0
	s_wait_alu 0xfffe
	s_or_b32 exec_lo, exec_lo, s4
	global_load_b128 v[33:36], v[45:46], off offset:3584
	s_and_saveexec_b32 s4, vcc_lo
	s_cbranch_execz .LBB40_41
.LBB40_54:                              ;   in Loop: Header=BB40_33 Depth=1
	v_cmp_gt_i32_e64 s0, s25, v87
	s_wait_loadcnt 0x0
	s_wait_alu 0xf1ff
	s_delay_alu instid0(VALU_DEP_1) | instskip(SKIP_2) | instid1(VALU_DEP_1)
	v_cndmask_b32_e64 v33, 0, v33, s0
	v_cmp_gt_i32_e64 s0, s25, v89
	s_wait_alu 0xf1ff
	v_cndmask_b32_e64 v34, 0, v34, s0
	v_cmp_gt_i32_e64 s0, s25, v88
	s_wait_alu 0xf1ff
	s_delay_alu instid0(VALU_DEP_1) | instskip(SKIP_2) | instid1(VALU_DEP_1)
	v_cndmask_b32_e64 v35, 0, v35, s0
	v_cmp_gt_i32_e64 s0, s25, v85
	s_wait_alu 0xf1ff
	v_cndmask_b32_e64 v36, 0, v36, s0
	s_wait_alu 0xfffe
	s_or_b32 exec_lo, exec_lo, s4
	global_load_b128 v[37:40], v[45:46], off offset:4096
	s_and_saveexec_b32 s4, vcc_lo
	s_cbranch_execz .LBB40_42
.LBB40_55:                              ;   in Loop: Header=BB40_33 Depth=1
	v_cmp_gt_i32_e64 s0, s25, v87
	s_wait_loadcnt 0x0
	s_wait_alu 0xf1ff
	s_delay_alu instid0(VALU_DEP_1) | instskip(SKIP_2) | instid1(VALU_DEP_1)
	v_cndmask_b32_e64 v37, 0, v37, s0
	v_cmp_gt_i32_e64 s0, s25, v89
	s_wait_alu 0xf1ff
	v_cndmask_b32_e64 v38, 0, v38, s0
	v_cmp_gt_i32_e64 s0, s25, v88
	s_wait_alu 0xf1ff
	s_delay_alu instid0(VALU_DEP_1) | instskip(SKIP_2) | instid1(VALU_DEP_1)
	v_cndmask_b32_e64 v39, 0, v39, s0
	v_cmp_gt_i32_e64 s0, s25, v85
	s_wait_alu 0xf1ff
	v_cndmask_b32_e64 v40, 0, v40, s0
	s_wait_alu 0xfffe
	s_or_b32 exec_lo, exec_lo, s4
	global_load_b128 v[41:44], v[45:46], off offset:4608
	s_and_saveexec_b32 s4, vcc_lo
	s_cbranch_execz .LBB40_43
.LBB40_56:                              ;   in Loop: Header=BB40_33 Depth=1
	v_cmp_gt_i32_e64 s0, s25, v87
	s_wait_loadcnt 0x0
	s_wait_alu 0xf1ff
	s_delay_alu instid0(VALU_DEP_1) | instskip(SKIP_2) | instid1(VALU_DEP_1)
	v_cndmask_b32_e64 v41, 0, v41, s0
	v_cmp_gt_i32_e64 s0, s25, v89
	s_wait_alu 0xf1ff
	v_cndmask_b32_e64 v42, 0, v42, s0
	v_cmp_gt_i32_e64 s0, s25, v88
	s_wait_alu 0xf1ff
	s_delay_alu instid0(VALU_DEP_1) | instskip(SKIP_2) | instid1(VALU_DEP_1)
	v_cndmask_b32_e64 v43, 0, v43, s0
	v_cmp_gt_i32_e64 s0, s25, v85
	s_wait_alu 0xf1ff
	v_cndmask_b32_e64 v44, 0, v44, s0
	s_wait_alu 0xfffe
	s_or_b32 exec_lo, exec_lo, s4
	global_load_b128 v[49:52], v[45:46], off offset:5120
	s_and_saveexec_b32 s4, vcc_lo
	s_cbranch_execz .LBB40_44
.LBB40_57:                              ;   in Loop: Header=BB40_33 Depth=1
	v_cmp_gt_i32_e64 s0, s25, v87
	s_wait_loadcnt 0x0
	s_wait_alu 0xf1ff
	s_delay_alu instid0(VALU_DEP_1) | instskip(SKIP_2) | instid1(VALU_DEP_1)
	v_cndmask_b32_e64 v49, 0, v49, s0
	v_cmp_gt_i32_e64 s0, s25, v89
	s_wait_alu 0xf1ff
	v_cndmask_b32_e64 v50, 0, v50, s0
	v_cmp_gt_i32_e64 s0, s25, v88
	s_wait_alu 0xf1ff
	s_delay_alu instid0(VALU_DEP_1) | instskip(SKIP_2) | instid1(VALU_DEP_1)
	v_cndmask_b32_e64 v51, 0, v51, s0
	v_cmp_gt_i32_e64 s0, s25, v85
	s_wait_alu 0xf1ff
	v_cndmask_b32_e64 v52, 0, v52, s0
	s_wait_alu 0xfffe
	s_or_b32 exec_lo, exec_lo, s4
	global_load_b128 v[53:56], v[45:46], off offset:5632
	s_and_saveexec_b32 s4, vcc_lo
	s_cbranch_execz .LBB40_45
.LBB40_58:                              ;   in Loop: Header=BB40_33 Depth=1
	v_cmp_gt_i32_e64 s0, s25, v87
	s_wait_loadcnt 0x0
	s_wait_alu 0xf1ff
	s_delay_alu instid0(VALU_DEP_1) | instskip(SKIP_2) | instid1(VALU_DEP_1)
	v_cndmask_b32_e64 v53, 0, v53, s0
	v_cmp_gt_i32_e64 s0, s25, v89
	s_wait_alu 0xf1ff
	v_cndmask_b32_e64 v54, 0, v54, s0
	v_cmp_gt_i32_e64 s0, s25, v88
	s_wait_alu 0xf1ff
	s_delay_alu instid0(VALU_DEP_1) | instskip(SKIP_2) | instid1(VALU_DEP_1)
	v_cndmask_b32_e64 v55, 0, v55, s0
	v_cmp_gt_i32_e64 s0, s25, v85
	s_wait_alu 0xf1ff
	v_cndmask_b32_e64 v56, 0, v56, s0
	s_wait_alu 0xfffe
	s_or_b32 exec_lo, exec_lo, s4
	global_load_b128 v[57:60], v[45:46], off offset:6144
	s_and_saveexec_b32 s4, vcc_lo
	s_cbranch_execz .LBB40_46
.LBB40_59:                              ;   in Loop: Header=BB40_33 Depth=1
	v_cmp_gt_i32_e64 s0, s25, v87
	s_wait_loadcnt 0x0
	s_wait_alu 0xf1ff
	s_delay_alu instid0(VALU_DEP_1) | instskip(SKIP_2) | instid1(VALU_DEP_1)
	v_cndmask_b32_e64 v57, 0, v57, s0
	v_cmp_gt_i32_e64 s0, s25, v89
	s_wait_alu 0xf1ff
	v_cndmask_b32_e64 v58, 0, v58, s0
	v_cmp_gt_i32_e64 s0, s25, v88
	s_wait_alu 0xf1ff
	s_delay_alu instid0(VALU_DEP_1) | instskip(SKIP_2) | instid1(VALU_DEP_1)
	v_cndmask_b32_e64 v59, 0, v59, s0
	v_cmp_gt_i32_e64 s0, s25, v85
	s_wait_alu 0xf1ff
	v_cndmask_b32_e64 v60, 0, v60, s0
	s_wait_alu 0xfffe
	s_or_b32 exec_lo, exec_lo, s4
	global_load_b128 v[45:48], v[45:46], off offset:6656
	s_and_saveexec_b32 s0, vcc_lo
	s_cbranch_execz .LBB40_32
.LBB40_60:                              ;   in Loop: Header=BB40_33 Depth=1
	v_cmp_gt_i32_e32 vcc_lo, s25, v87
	s_wait_loadcnt 0x0
	s_wait_alu 0xfffd
	v_cndmask_b32_e32 v45, 0, v45, vcc_lo
	v_cmp_gt_i32_e32 vcc_lo, s25, v89
	s_wait_alu 0xfffd
	v_cndmask_b32_e32 v46, 0, v46, vcc_lo
	v_cmp_gt_i32_e32 vcc_lo, s25, v88
	;; [unrolled: 3-line block ×3, first 2 shown]
	s_wait_alu 0xfffd
	v_cndmask_b32_e32 v48, 0, v48, vcc_lo
	s_branch .LBB40_32
.LBB40_61:
	s_or_b32 exec_lo, exec_lo, s3
.LBB40_62:
	s_wait_alu 0xfffe
	s_or_b32 exec_lo, exec_lo, s1
	ds_bpermute_b32 v1, v66, v80
	ds_bpermute_b32 v2, v66, v82
	;; [unrolled: 1-line block ×14, first 2 shown]
	s_mov_b32 s0, exec_lo
	s_wait_storecnt 0x0
	s_wait_loadcnt_dscnt 0x0
	s_barrier_signal -1
	s_barrier_wait -1
	global_inv scope:SCOPE_SE
	v_dual_add_f32 v1, v80, v1 :: v_dual_add_f32 v2, v82, v2
	v_dual_add_f32 v3, v81, v3 :: v_dual_add_f32 v4, v79, v4
	;; [unrolled: 1-line block ×4, first 2 shown]
	ds_bpermute_b32 v15, v67, v1
	ds_bpermute_b32 v16, v67, v2
	v_dual_add_f32 v9, v74, v9 :: v_dual_add_f32 v10, v73, v10
	v_dual_add_f32 v11, v72, v11 :: v_dual_add_f32 v12, v71, v12
	;; [unrolled: 1-line block ×3, first 2 shown]
	ds_bpermute_b32 v17, v67, v3
	ds_bpermute_b32 v18, v67, v4
	ds_bpermute_b32 v19, v67, v5
	ds_bpermute_b32 v20, v67, v6
	ds_bpermute_b32 v21, v67, v7
	ds_bpermute_b32 v22, v67, v8
	ds_bpermute_b32 v23, v67, v9
	ds_bpermute_b32 v24, v67, v10
	ds_bpermute_b32 v25, v67, v11
	ds_bpermute_b32 v26, v67, v12
	ds_bpermute_b32 v27, v67, v13
	ds_bpermute_b32 v28, v67, v14
	s_wait_dscnt 0xc
	v_dual_add_f32 v1, v1, v15 :: v_dual_add_f32 v2, v2, v16
	v_and_b32_e32 v16, 28, v65
	v_lshrrev_b32_e32 v15, 2, v65
	s_wait_dscnt 0xa
	v_dual_add_f32 v3, v3, v17 :: v_dual_add_f32 v4, v4, v18
	s_wait_dscnt 0x8
	v_dual_add_f32 v5, v5, v19 :: v_dual_add_f32 v6, v6, v20
	;; [unrolled: 2-line block ×5, first 2 shown]
	s_wait_dscnt 0x1
	v_dual_add_f32 v13, v13, v27 :: v_dual_and_b32 v18, 0x3c3, v0
	s_wait_dscnt 0x0
	v_add_f32_e32 v14, v14, v28
	v_add_nc_u32_e32 v16, 0x1e0, v16
	v_mul_u32_u24_e32 v17, 0x1c0, v63
	v_cmpx_eq_u32_e32 64, v18
	s_cbranch_execz .LBB40_64
; %bb.63:
	s_delay_alu instid0(VALU_DEP_2) | instskip(NEXT) | instid1(VALU_DEP_1)
	v_add_nc_u32_e32 v18, v16, v17
	v_add_nc_u32_e32 v19, 0xfffffc80, v18
	;; [unrolled: 1-line block ×9, first 2 shown]
	ds_store_b32 v19, v1
	ds_store_b32 v20, v2
	;; [unrolled: 1-line block ×8, first 2 shown]
	v_add_nc_u32_e32 v19, 0xfffffd80, v18
	v_add_nc_u32_e32 v20, 0xfffffda0, v18
	;; [unrolled: 1-line block ×6, first 2 shown]
	ds_store_b32 v19, v9
	ds_store_b32 v20, v10
	;; [unrolled: 1-line block ×6, first 2 shown]
.LBB40_64:
	s_wait_alu 0xfffe
	s_or_b32 exec_lo, exec_lo, s0
	v_lshlrev_b32_e32 v15, 2, v15
	s_mov_b32 s1, exec_lo
	v_cmp_eq_u32_e32 vcc_lo, 0, v68
	s_wait_loadcnt_dscnt 0x0
	s_barrier_signal -1
	v_add3_u32 v15, 0x1e0, v17, v15
	s_barrier_wait -1
	global_inv scope:SCOPE_SE
	v_cmpx_gt_u32_e32 64, v0
	s_cbranch_execz .LBB40_81
; %bb.65:
	s_and_saveexec_b32 s0, vcc_lo
	s_cbranch_execnz .LBB40_103
; %bb.66:
	s_wait_alu 0xfffe
	s_or_b32 exec_lo, exec_lo, s0
	s_and_saveexec_b32 s0, vcc_lo
	s_cbranch_execnz .LBB40_104
.LBB40_67:
	s_wait_alu 0xfffe
	s_or_b32 exec_lo, exec_lo, s0
	s_and_saveexec_b32 s0, vcc_lo
	s_cbranch_execnz .LBB40_105
.LBB40_68:
	s_wait_alu 0xfffe
	s_or_b32 exec_lo, exec_lo, s0
	s_and_saveexec_b32 s0, vcc_lo
	s_cbranch_execnz .LBB40_106
.LBB40_69:
	s_wait_alu 0xfffe
	s_or_b32 exec_lo, exec_lo, s0
	s_and_saveexec_b32 s0, vcc_lo
	s_cbranch_execnz .LBB40_107
.LBB40_70:
	s_wait_alu 0xfffe
	s_or_b32 exec_lo, exec_lo, s0
	s_and_saveexec_b32 s0, vcc_lo
	s_cbranch_execnz .LBB40_108
.LBB40_71:
	s_wait_alu 0xfffe
	s_or_b32 exec_lo, exec_lo, s0
	s_and_saveexec_b32 s0, vcc_lo
	s_cbranch_execnz .LBB40_109
.LBB40_72:
	s_wait_alu 0xfffe
	s_or_b32 exec_lo, exec_lo, s0
	s_and_saveexec_b32 s0, vcc_lo
	s_cbranch_execnz .LBB40_110
.LBB40_73:
	s_wait_alu 0xfffe
	s_or_b32 exec_lo, exec_lo, s0
	s_and_saveexec_b32 s0, vcc_lo
	s_cbranch_execnz .LBB40_111
.LBB40_74:
	s_wait_alu 0xfffe
	s_or_b32 exec_lo, exec_lo, s0
	s_and_saveexec_b32 s0, vcc_lo
	s_cbranch_execnz .LBB40_112
.LBB40_75:
	s_wait_alu 0xfffe
	s_or_b32 exec_lo, exec_lo, s0
	s_and_saveexec_b32 s0, vcc_lo
	s_cbranch_execnz .LBB40_113
.LBB40_76:
	s_wait_alu 0xfffe
	s_or_b32 exec_lo, exec_lo, s0
	s_and_saveexec_b32 s0, vcc_lo
	s_cbranch_execnz .LBB40_114
.LBB40_77:
	s_wait_alu 0xfffe
	s_or_b32 exec_lo, exec_lo, s0
	s_and_saveexec_b32 s0, vcc_lo
	s_cbranch_execnz .LBB40_115
.LBB40_78:
	s_wait_alu 0xfffe
	s_or_b32 exec_lo, exec_lo, s0
	s_and_saveexec_b32 s0, vcc_lo
	s_cbranch_execz .LBB40_80
.LBB40_79:
	ds_load_b32 v17, v15 offset:416
	s_wait_dscnt 0x0
	v_add_f32_e32 v14, v14, v17
.LBB40_80:
	s_wait_alu 0xfffe
	s_or_b32 exec_lo, exec_lo, s0
.LBB40_81:
	s_wait_alu 0xfffe
	s_or_b32 exec_lo, exec_lo, s1
	v_and_b32_e32 v17, 0x3e3, v0
	s_mov_b32 s1, exec_lo
	s_wait_loadcnt 0x0
	s_barrier_signal -1
	s_barrier_wait -1
	global_inv scope:SCOPE_SE
	v_cmpx_eq_u32_e32 32, v17
	s_cbranch_execz .LBB40_83
; %bb.82:
	ds_store_2addr_b32 v16, v1, v2 offset1:8
	ds_store_2addr_b32 v16, v3, v4 offset0:16 offset1:24
	ds_store_2addr_b32 v16, v5, v6 offset0:32 offset1:40
	;; [unrolled: 1-line block ×6, first 2 shown]
.LBB40_83:
	s_wait_alu 0xfffe
	s_or_b32 exec_lo, exec_lo, s1
	s_delay_alu instid0(SALU_CYCLE_1)
	s_mov_b32 s1, exec_lo
	s_wait_loadcnt_dscnt 0x0
	s_barrier_signal -1
	s_barrier_wait -1
	global_inv scope:SCOPE_SE
	v_cmpx_gt_u32_e32 32, v0
	s_cbranch_execz .LBB40_100
; %bb.84:
	s_and_saveexec_b32 s0, vcc_lo
	s_cbranch_execnz .LBB40_116
; %bb.85:
	s_wait_alu 0xfffe
	s_or_b32 exec_lo, exec_lo, s0
	s_and_saveexec_b32 s0, vcc_lo
	s_cbranch_execnz .LBB40_117
.LBB40_86:
	s_wait_alu 0xfffe
	s_or_b32 exec_lo, exec_lo, s0
	s_and_saveexec_b32 s0, vcc_lo
	s_cbranch_execnz .LBB40_118
.LBB40_87:
	s_wait_alu 0xfffe
	s_or_b32 exec_lo, exec_lo, s0
	s_and_saveexec_b32 s0, vcc_lo
	s_cbranch_execnz .LBB40_119
.LBB40_88:
	s_wait_alu 0xfffe
	s_or_b32 exec_lo, exec_lo, s0
	s_and_saveexec_b32 s0, vcc_lo
	s_cbranch_execnz .LBB40_120
.LBB40_89:
	s_wait_alu 0xfffe
	s_or_b32 exec_lo, exec_lo, s0
	s_and_saveexec_b32 s0, vcc_lo
	s_cbranch_execnz .LBB40_121
.LBB40_90:
	s_wait_alu 0xfffe
	s_or_b32 exec_lo, exec_lo, s0
	s_and_saveexec_b32 s0, vcc_lo
	s_cbranch_execnz .LBB40_122
.LBB40_91:
	s_wait_alu 0xfffe
	s_or_b32 exec_lo, exec_lo, s0
	s_and_saveexec_b32 s0, vcc_lo
	s_cbranch_execnz .LBB40_123
.LBB40_92:
	s_wait_alu 0xfffe
	s_or_b32 exec_lo, exec_lo, s0
	s_and_saveexec_b32 s0, vcc_lo
	s_cbranch_execnz .LBB40_124
.LBB40_93:
	s_wait_alu 0xfffe
	s_or_b32 exec_lo, exec_lo, s0
	s_and_saveexec_b32 s0, vcc_lo
	s_cbranch_execnz .LBB40_125
.LBB40_94:
	s_wait_alu 0xfffe
	s_or_b32 exec_lo, exec_lo, s0
	s_and_saveexec_b32 s0, vcc_lo
	s_cbranch_execnz .LBB40_126
.LBB40_95:
	s_wait_alu 0xfffe
	s_or_b32 exec_lo, exec_lo, s0
	s_and_saveexec_b32 s0, vcc_lo
	s_cbranch_execnz .LBB40_127
.LBB40_96:
	s_wait_alu 0xfffe
	s_or_b32 exec_lo, exec_lo, s0
	s_and_saveexec_b32 s0, vcc_lo
	s_cbranch_execnz .LBB40_128
.LBB40_97:
	s_wait_alu 0xfffe
	s_or_b32 exec_lo, exec_lo, s0
	s_and_saveexec_b32 s0, vcc_lo
	s_cbranch_execz .LBB40_99
.LBB40_98:
	ds_load_b32 v15, v15 offset:416
	s_wait_dscnt 0x0
	v_add_f32_e32 v14, v14, v15
.LBB40_99:
	s_wait_alu 0xfffe
	s_or_b32 exec_lo, exec_lo, s0
.LBB40_100:
	s_wait_alu 0xfffe
	s_or_b32 exec_lo, exec_lo, s1
	s_mov_b32 s1, 0
	s_wait_loadcnt 0x0
	s_barrier_signal -1
	s_barrier_wait -1
	global_inv scope:SCOPE_SE
	s_mov_b32 s0, exec_lo
	v_cmpx_eq_u32_e32 0, v17
	s_cbranch_execz .LBB40_102
; %bb.101:
	s_mul_i32 s2, s14, 0x70
	s_mul_i32 s4, s8, s12
	s_wait_alu 0xfffe
	s_ashr_i32 s3, s2, 31
	s_ashr_i32 s5, s4, 31
	s_wait_alu 0xfffe
	s_lshl_b64 s[2:3], s[2:3], 2
	s_lshl_b64 s[4:5], s[4:5], 2
	s_wait_alu 0xfffe
	s_add_nc_u64 s[2:3], s[10:11], s[2:3]
	s_mul_i32 s0, s24, 0x1c0
	s_wait_alu 0xfffe
	s_add_nc_u64 s[2:3], s[2:3], s[4:5]
	s_wait_alu 0xfffe
	s_add_nc_u64 s[0:1], s[2:3], s[0:1]
	s_clause 0xd
	global_store_b32 v0, v1, s[0:1]
	global_store_b32 v0, v2, s[0:1] offset:32
	global_store_b32 v0, v3, s[0:1] offset:64
	;; [unrolled: 1-line block ×13, first 2 shown]
.LBB40_102:
	s_nop 0
	s_sendmsg sendmsg(MSG_DEALLOC_VGPRS)
	s_endpgm
.LBB40_103:
	ds_load_b32 v17, v15
	s_wait_dscnt 0x0
	v_add_f32_e32 v1, v1, v17
	s_wait_alu 0xfffe
	s_or_b32 exec_lo, exec_lo, s0
	s_and_saveexec_b32 s0, vcc_lo
	s_cbranch_execz .LBB40_67
.LBB40_104:
	ds_load_b32 v17, v15 offset:32
	s_wait_dscnt 0x0
	v_add_f32_e32 v2, v2, v17
	s_wait_alu 0xfffe
	s_or_b32 exec_lo, exec_lo, s0
	s_and_saveexec_b32 s0, vcc_lo
	s_cbranch_execz .LBB40_68
.LBB40_105:
	ds_load_b32 v17, v15 offset:64
	s_wait_dscnt 0x0
	v_add_f32_e32 v3, v3, v17
	s_wait_alu 0xfffe
	s_or_b32 exec_lo, exec_lo, s0
	s_and_saveexec_b32 s0, vcc_lo
	s_cbranch_execz .LBB40_69
.LBB40_106:
	ds_load_b32 v17, v15 offset:96
	s_wait_dscnt 0x0
	v_add_f32_e32 v4, v4, v17
	s_wait_alu 0xfffe
	s_or_b32 exec_lo, exec_lo, s0
	s_and_saveexec_b32 s0, vcc_lo
	s_cbranch_execz .LBB40_70
.LBB40_107:
	ds_load_b32 v17, v15 offset:128
	s_wait_dscnt 0x0
	v_add_f32_e32 v5, v5, v17
	s_wait_alu 0xfffe
	s_or_b32 exec_lo, exec_lo, s0
	s_and_saveexec_b32 s0, vcc_lo
	s_cbranch_execz .LBB40_71
.LBB40_108:
	ds_load_b32 v17, v15 offset:160
	s_wait_dscnt 0x0
	v_add_f32_e32 v6, v6, v17
	s_wait_alu 0xfffe
	s_or_b32 exec_lo, exec_lo, s0
	s_and_saveexec_b32 s0, vcc_lo
	s_cbranch_execz .LBB40_72
.LBB40_109:
	ds_load_b32 v17, v15 offset:192
	s_wait_dscnt 0x0
	v_add_f32_e32 v7, v7, v17
	s_wait_alu 0xfffe
	s_or_b32 exec_lo, exec_lo, s0
	s_and_saveexec_b32 s0, vcc_lo
	s_cbranch_execz .LBB40_73
.LBB40_110:
	ds_load_b32 v17, v15 offset:224
	s_wait_dscnt 0x0
	v_add_f32_e32 v8, v8, v17
	s_wait_alu 0xfffe
	s_or_b32 exec_lo, exec_lo, s0
	s_and_saveexec_b32 s0, vcc_lo
	s_cbranch_execz .LBB40_74
.LBB40_111:
	ds_load_b32 v17, v15 offset:256
	s_wait_dscnt 0x0
	v_add_f32_e32 v9, v9, v17
	s_wait_alu 0xfffe
	s_or_b32 exec_lo, exec_lo, s0
	s_and_saveexec_b32 s0, vcc_lo
	s_cbranch_execz .LBB40_75
.LBB40_112:
	ds_load_b32 v17, v15 offset:288
	s_wait_dscnt 0x0
	v_add_f32_e32 v10, v10, v17
	s_wait_alu 0xfffe
	s_or_b32 exec_lo, exec_lo, s0
	s_and_saveexec_b32 s0, vcc_lo
	s_cbranch_execz .LBB40_76
.LBB40_113:
	ds_load_b32 v17, v15 offset:320
	s_wait_dscnt 0x0
	v_add_f32_e32 v11, v11, v17
	s_wait_alu 0xfffe
	s_or_b32 exec_lo, exec_lo, s0
	s_and_saveexec_b32 s0, vcc_lo
	s_cbranch_execz .LBB40_77
.LBB40_114:
	ds_load_b32 v17, v15 offset:352
	s_wait_dscnt 0x0
	v_add_f32_e32 v12, v12, v17
	s_wait_alu 0xfffe
	s_or_b32 exec_lo, exec_lo, s0
	s_and_saveexec_b32 s0, vcc_lo
	s_cbranch_execz .LBB40_78
.LBB40_115:
	ds_load_b32 v17, v15 offset:384
	s_wait_dscnt 0x0
	v_add_f32_e32 v13, v13, v17
	s_wait_alu 0xfffe
	s_or_b32 exec_lo, exec_lo, s0
	s_and_saveexec_b32 s0, vcc_lo
	s_cbranch_execnz .LBB40_79
	s_branch .LBB40_80
.LBB40_116:
	ds_load_b32 v16, v15
	s_wait_dscnt 0x0
	v_add_f32_e32 v1, v1, v16
	s_wait_alu 0xfffe
	s_or_b32 exec_lo, exec_lo, s0
	s_and_saveexec_b32 s0, vcc_lo
	s_cbranch_execz .LBB40_86
.LBB40_117:
	ds_load_b32 v16, v15 offset:32
	s_wait_dscnt 0x0
	v_add_f32_e32 v2, v2, v16
	s_wait_alu 0xfffe
	s_or_b32 exec_lo, exec_lo, s0
	s_and_saveexec_b32 s0, vcc_lo
	s_cbranch_execz .LBB40_87
.LBB40_118:
	ds_load_b32 v16, v15 offset:64
	s_wait_dscnt 0x0
	v_add_f32_e32 v3, v3, v16
	s_wait_alu 0xfffe
	s_or_b32 exec_lo, exec_lo, s0
	s_and_saveexec_b32 s0, vcc_lo
	s_cbranch_execz .LBB40_88
.LBB40_119:
	ds_load_b32 v16, v15 offset:96
	s_wait_dscnt 0x0
	v_add_f32_e32 v4, v4, v16
	s_wait_alu 0xfffe
	s_or_b32 exec_lo, exec_lo, s0
	s_and_saveexec_b32 s0, vcc_lo
	s_cbranch_execz .LBB40_89
.LBB40_120:
	ds_load_b32 v16, v15 offset:128
	s_wait_dscnt 0x0
	v_add_f32_e32 v5, v5, v16
	s_wait_alu 0xfffe
	s_or_b32 exec_lo, exec_lo, s0
	s_and_saveexec_b32 s0, vcc_lo
	s_cbranch_execz .LBB40_90
.LBB40_121:
	ds_load_b32 v16, v15 offset:160
	s_wait_dscnt 0x0
	v_add_f32_e32 v6, v6, v16
	s_wait_alu 0xfffe
	s_or_b32 exec_lo, exec_lo, s0
	s_and_saveexec_b32 s0, vcc_lo
	s_cbranch_execz .LBB40_91
.LBB40_122:
	ds_load_b32 v16, v15 offset:192
	s_wait_dscnt 0x0
	v_add_f32_e32 v7, v7, v16
	s_wait_alu 0xfffe
	s_or_b32 exec_lo, exec_lo, s0
	s_and_saveexec_b32 s0, vcc_lo
	s_cbranch_execz .LBB40_92
.LBB40_123:
	ds_load_b32 v16, v15 offset:224
	s_wait_dscnt 0x0
	v_add_f32_e32 v8, v8, v16
	s_wait_alu 0xfffe
	s_or_b32 exec_lo, exec_lo, s0
	s_and_saveexec_b32 s0, vcc_lo
	s_cbranch_execz .LBB40_93
.LBB40_124:
	ds_load_b32 v16, v15 offset:256
	s_wait_dscnt 0x0
	v_add_f32_e32 v9, v9, v16
	s_wait_alu 0xfffe
	s_or_b32 exec_lo, exec_lo, s0
	s_and_saveexec_b32 s0, vcc_lo
	s_cbranch_execz .LBB40_94
.LBB40_125:
	ds_load_b32 v16, v15 offset:288
	s_wait_dscnt 0x0
	v_add_f32_e32 v10, v10, v16
	s_wait_alu 0xfffe
	s_or_b32 exec_lo, exec_lo, s0
	s_and_saveexec_b32 s0, vcc_lo
	s_cbranch_execz .LBB40_95
.LBB40_126:
	ds_load_b32 v16, v15 offset:320
	s_wait_dscnt 0x0
	v_add_f32_e32 v11, v11, v16
	s_wait_alu 0xfffe
	s_or_b32 exec_lo, exec_lo, s0
	s_and_saveexec_b32 s0, vcc_lo
	s_cbranch_execz .LBB40_96
.LBB40_127:
	ds_load_b32 v16, v15 offset:352
	s_wait_dscnt 0x0
	v_add_f32_e32 v12, v12, v16
	s_wait_alu 0xfffe
	s_or_b32 exec_lo, exec_lo, s0
	s_and_saveexec_b32 s0, vcc_lo
	s_cbranch_execz .LBB40_97
.LBB40_128:
	ds_load_b32 v16, v15 offset:384
	s_wait_dscnt 0x0
	v_add_f32_e32 v13, v13, v16
	s_wait_alu 0xfffe
	s_or_b32 exec_lo, exec_lo, s0
	s_and_saveexec_b32 s0, vcc_lo
	s_cbranch_execnz .LBB40_98
	s_branch .LBB40_99
	.section	.rodata,"a",@progbits
	.p2align	6, 0x0
	.amdhsa_kernel _ZN4vllm25paged_attention_v2_kernelIffLi112ELi16ELi128ELNS_18Fp8KVCacheDataTypeE0ELb0ELi512EEEvPfS2_PT_PKS3_PKT0_S9_ifPKiSB_iPKfiiiSD_SD_iiiii
		.amdhsa_group_segment_fixed_size 480
		.amdhsa_private_segment_fixed_size 0
		.amdhsa_kernarg_size 400
		.amdhsa_user_sgpr_count 2
		.amdhsa_user_sgpr_dispatch_ptr 0
		.amdhsa_user_sgpr_queue_ptr 0
		.amdhsa_user_sgpr_kernarg_segment_ptr 1
		.amdhsa_user_sgpr_dispatch_id 0
		.amdhsa_user_sgpr_private_segment_size 0
		.amdhsa_wavefront_size32 1
		.amdhsa_uses_dynamic_stack 0
		.amdhsa_enable_private_segment 0
		.amdhsa_system_sgpr_workgroup_id_x 1
		.amdhsa_system_sgpr_workgroup_id_y 1
		.amdhsa_system_sgpr_workgroup_id_z 1
		.amdhsa_system_sgpr_workgroup_info 0
		.amdhsa_system_vgpr_workitem_id 0
		.amdhsa_next_free_vgpr 127
		.amdhsa_next_free_sgpr 32
		.amdhsa_reserve_vcc 1
		.amdhsa_float_round_mode_32 0
		.amdhsa_float_round_mode_16_64 0
		.amdhsa_float_denorm_mode_32 3
		.amdhsa_float_denorm_mode_16_64 3
		.amdhsa_fp16_overflow 0
		.amdhsa_workgroup_processor_mode 1
		.amdhsa_memory_ordered 1
		.amdhsa_forward_progress 1
		.amdhsa_inst_pref_size 67
		.amdhsa_round_robin_scheduling 0
		.amdhsa_exception_fp_ieee_invalid_op 0
		.amdhsa_exception_fp_denorm_src 0
		.amdhsa_exception_fp_ieee_div_zero 0
		.amdhsa_exception_fp_ieee_overflow 0
		.amdhsa_exception_fp_ieee_underflow 0
		.amdhsa_exception_fp_ieee_inexact 0
		.amdhsa_exception_int_div_zero 0
	.end_amdhsa_kernel
	.section	.text._ZN4vllm25paged_attention_v2_kernelIffLi112ELi16ELi128ELNS_18Fp8KVCacheDataTypeE0ELb0ELi512EEEvPfS2_PT_PKS3_PKT0_S9_ifPKiSB_iPKfiiiSD_SD_iiiii,"axG",@progbits,_ZN4vllm25paged_attention_v2_kernelIffLi112ELi16ELi128ELNS_18Fp8KVCacheDataTypeE0ELb0ELi512EEEvPfS2_PT_PKS3_PKT0_S9_ifPKiSB_iPKfiiiSD_SD_iiiii,comdat
.Lfunc_end40:
	.size	_ZN4vllm25paged_attention_v2_kernelIffLi112ELi16ELi128ELNS_18Fp8KVCacheDataTypeE0ELb0ELi512EEEvPfS2_PT_PKS3_PKT0_S9_ifPKiSB_iPKfiiiSD_SD_iiiii, .Lfunc_end40-_ZN4vllm25paged_attention_v2_kernelIffLi112ELi16ELi128ELNS_18Fp8KVCacheDataTypeE0ELb0ELi512EEEvPfS2_PT_PKS3_PKT0_S9_ifPKiSB_iPKfiiiSD_SD_iiiii
                                        ; -- End function
	.set _ZN4vllm25paged_attention_v2_kernelIffLi112ELi16ELi128ELNS_18Fp8KVCacheDataTypeE0ELb0ELi512EEEvPfS2_PT_PKS3_PKT0_S9_ifPKiSB_iPKfiiiSD_SD_iiiii.num_vgpr, 127
	.set _ZN4vllm25paged_attention_v2_kernelIffLi112ELi16ELi128ELNS_18Fp8KVCacheDataTypeE0ELb0ELi512EEEvPfS2_PT_PKS3_PKT0_S9_ifPKiSB_iPKfiiiSD_SD_iiiii.num_agpr, 0
	.set _ZN4vllm25paged_attention_v2_kernelIffLi112ELi16ELi128ELNS_18Fp8KVCacheDataTypeE0ELb0ELi512EEEvPfS2_PT_PKS3_PKT0_S9_ifPKiSB_iPKfiiiSD_SD_iiiii.numbered_sgpr, 32
	.set _ZN4vllm25paged_attention_v2_kernelIffLi112ELi16ELi128ELNS_18Fp8KVCacheDataTypeE0ELb0ELi512EEEvPfS2_PT_PKS3_PKT0_S9_ifPKiSB_iPKfiiiSD_SD_iiiii.num_named_barrier, 0
	.set _ZN4vllm25paged_attention_v2_kernelIffLi112ELi16ELi128ELNS_18Fp8KVCacheDataTypeE0ELb0ELi512EEEvPfS2_PT_PKS3_PKT0_S9_ifPKiSB_iPKfiiiSD_SD_iiiii.private_seg_size, 0
	.set _ZN4vllm25paged_attention_v2_kernelIffLi112ELi16ELi128ELNS_18Fp8KVCacheDataTypeE0ELb0ELi512EEEvPfS2_PT_PKS3_PKT0_S9_ifPKiSB_iPKfiiiSD_SD_iiiii.uses_vcc, 1
	.set _ZN4vllm25paged_attention_v2_kernelIffLi112ELi16ELi128ELNS_18Fp8KVCacheDataTypeE0ELb0ELi512EEEvPfS2_PT_PKS3_PKT0_S9_ifPKiSB_iPKfiiiSD_SD_iiiii.uses_flat_scratch, 0
	.set _ZN4vllm25paged_attention_v2_kernelIffLi112ELi16ELi128ELNS_18Fp8KVCacheDataTypeE0ELb0ELi512EEEvPfS2_PT_PKS3_PKT0_S9_ifPKiSB_iPKfiiiSD_SD_iiiii.has_dyn_sized_stack, 0
	.set _ZN4vllm25paged_attention_v2_kernelIffLi112ELi16ELi128ELNS_18Fp8KVCacheDataTypeE0ELb0ELi512EEEvPfS2_PT_PKS3_PKT0_S9_ifPKiSB_iPKfiiiSD_SD_iiiii.has_recursion, 0
	.set _ZN4vllm25paged_attention_v2_kernelIffLi112ELi16ELi128ELNS_18Fp8KVCacheDataTypeE0ELb0ELi512EEEvPfS2_PT_PKS3_PKT0_S9_ifPKiSB_iPKfiiiSD_SD_iiiii.has_indirect_call, 0
	.section	.AMDGPU.csdata,"",@progbits
; Kernel info:
; codeLenInByte = 8500
; TotalNumSgprs: 34
; NumVgprs: 127
; ScratchSize: 0
; MemoryBound: 0
; FloatMode: 240
; IeeeMode: 1
; LDSByteSize: 480 bytes/workgroup (compile time only)
; SGPRBlocks: 0
; VGPRBlocks: 15
; NumSGPRsForWavesPerEU: 34
; NumVGPRsForWavesPerEU: 127
; Occupancy: 10
; WaveLimiterHint : 1
; COMPUTE_PGM_RSRC2:SCRATCH_EN: 0
; COMPUTE_PGM_RSRC2:USER_SGPR: 2
; COMPUTE_PGM_RSRC2:TRAP_HANDLER: 0
; COMPUTE_PGM_RSRC2:TGID_X_EN: 1
; COMPUTE_PGM_RSRC2:TGID_Y_EN: 1
; COMPUTE_PGM_RSRC2:TGID_Z_EN: 1
; COMPUTE_PGM_RSRC2:TIDIG_COMP_CNT: 0
	.section	.text._ZN4vllm25paged_attention_v2_kernelIffLi120ELi16ELi128ELNS_18Fp8KVCacheDataTypeE0ELb0ELi512EEEvPfS2_PT_PKS3_PKT0_S9_ifPKiSB_iPKfiiiSD_SD_iiiii,"axG",@progbits,_ZN4vllm25paged_attention_v2_kernelIffLi120ELi16ELi128ELNS_18Fp8KVCacheDataTypeE0ELb0ELi512EEEvPfS2_PT_PKS3_PKT0_S9_ifPKiSB_iPKfiiiSD_SD_iiiii,comdat
	.protected	_ZN4vllm25paged_attention_v2_kernelIffLi120ELi16ELi128ELNS_18Fp8KVCacheDataTypeE0ELb0ELi512EEEvPfS2_PT_PKS3_PKT0_S9_ifPKiSB_iPKfiiiSD_SD_iiiii ; -- Begin function _ZN4vllm25paged_attention_v2_kernelIffLi120ELi16ELi128ELNS_18Fp8KVCacheDataTypeE0ELb0ELi512EEEvPfS2_PT_PKS3_PKT0_S9_ifPKiSB_iPKfiiiSD_SD_iiiii
	.globl	_ZN4vllm25paged_attention_v2_kernelIffLi120ELi16ELi128ELNS_18Fp8KVCacheDataTypeE0ELb0ELi512EEEvPfS2_PT_PKS3_PKT0_S9_ifPKiSB_iPKfiiiSD_SD_iiiii
	.p2align	8
	.type	_ZN4vllm25paged_attention_v2_kernelIffLi120ELi16ELi128ELNS_18Fp8KVCacheDataTypeE0ELb0ELi512EEEvPfS2_PT_PKS3_PKT0_S9_ifPKiSB_iPKfiiiSD_SD_iiiii,@function
_ZN4vllm25paged_attention_v2_kernelIffLi120ELi16ELi128ELNS_18Fp8KVCacheDataTypeE0ELb0ELi512EEEvPfS2_PT_PKS3_PKT0_S9_ifPKiSB_iPKfiiiSD_SD_iiiii: ; @_ZN4vllm25paged_attention_v2_kernelIffLi120ELi16ELi128ELNS_18Fp8KVCacheDataTypeE0ELb0ELi512EEEvPfS2_PT_PKS3_PKT0_S9_ifPKiSB_iPKfiiiSD_SD_iiiii
; %bb.0:
	s_load_b64 s[2:3], s[0:1], 0x40
	s_and_b32 s14, ttmp7, 0xffff
	s_lshr_b32 s24, ttmp7, 16
	s_lshl_b32 s4, s14, 2
	s_lshl_b32 s26, s24, 9
	s_wait_kmcnt 0x0
	s_load_b32 s25, s[2:3], s4 offset:0x0
	s_wait_kmcnt 0x0
	s_cmp_ge_i32 s26, s25
	s_cbranch_scc1 .LBB41_106
; %bb.1:
	s_clause 0x1
	s_load_b32 s15, s[0:1], 0x90
	s_load_b64 s[6:7], s[0:1], 0x30
	s_wait_kmcnt 0x0
	s_abs_i32 s5, s15
	s_abs_i32 s2, s6
	s_delay_alu instid0(SALU_CYCLE_1) | instskip(SKIP_1) | instid1(SALU_CYCLE_2)
	s_cvt_f32_u32 s3, s2
	s_sub_co_i32 s4, 0, s2
	v_rcp_iflag_f32_e32 v1, s3
	s_delay_alu instid0(TRANS32_DEP_1) | instskip(SKIP_2) | instid1(SALU_CYCLE_2)
	v_readfirstlane_b32 s3, v1
	s_mul_f32 s3, s3, 0x4f7ffffe
	s_wait_alu 0xfffe
	s_cvt_u32_f32 s3, s3
	s_wait_alu 0xfffe
	s_delay_alu instid0(SALU_CYCLE_2) | instskip(NEXT) | instid1(SALU_CYCLE_1)
	s_mul_i32 s4, s4, s3
	s_mul_hi_u32 s4, s3, s4
	s_delay_alu instid0(SALU_CYCLE_1)
	s_add_co_i32 s3, s3, s4
	s_xor_b32 s4, s15, s6
	s_wait_alu 0xfffe
	s_mul_hi_u32 s3, s5, s3
	s_ashr_i32 s4, s4, 31
	s_wait_alu 0xfffe
	s_mul_i32 s6, s3, s2
	s_delay_alu instid0(SALU_CYCLE_1)
	s_sub_co_i32 s5, s5, s6
	s_add_co_i32 s6, s3, 1
	s_sub_co_i32 s8, s5, s2
	s_cmp_ge_u32 s5, s2
	s_cselect_b32 s3, s6, s3
	s_cselect_b32 s5, s8, s5
	s_wait_alu 0xfffe
	s_add_co_i32 s6, s3, 1
	s_cmp_ge_u32 s5, s2
	s_load_b64 s[8:9], s[0:1], 0x50
	s_cselect_b32 s2, s6, s3
	s_mov_b32 s3, 0
	s_wait_alu 0xfffe
	s_xor_b32 s2, s2, s4
	s_mov_b32 s6, s3
	s_wait_alu 0xfffe
	s_sub_co_i32 s12, s2, s4
	s_delay_alu instid0(SALU_CYCLE_1) | instskip(NEXT) | instid1(SALU_CYCLE_1)
	s_abs_i32 s11, s12
	s_cvt_f32_u32 s2, s11
	s_wait_alu 0xfffe
	s_delay_alu instid0(SALU_CYCLE_2) | instskip(NEXT) | instid1(TRANS32_DEP_1)
	v_rcp_iflag_f32_e32 v1, s2
	v_readfirstlane_b32 s2, v1
	s_mul_f32 s2, s2, 0x4f7ffffe
	s_wait_alu 0xfffe
	s_delay_alu instid0(SALU_CYCLE_2) | instskip(SKIP_2) | instid1(SALU_CYCLE_1)
	s_cvt_u32_f32 s4, s2
	s_sub_co_i32 s2, 0, s11
	s_wait_alu 0xfffe
	s_mul_i32 s2, s2, s4
	s_wait_alu 0xfffe
	s_mul_hi_u32 s5, s4, s2
	s_abs_i32 s2, ttmp9
	s_add_co_i32 s4, s4, s5
	s_mov_b32 s5, s3
	s_wait_kmcnt 0x0
	s_cmp_eq_u64 s[8:9], 0
	s_cbranch_scc1 .LBB41_3
; %bb.2:
	s_mov_b32 s16, ttmp9
	s_ashr_i32 s17, ttmp9, 31
	s_delay_alu instid0(SALU_CYCLE_1) | instskip(NEXT) | instid1(SALU_CYCLE_1)
	s_lshl_b64 s[16:17], s[16:17], 2
	s_add_nc_u64 s[8:9], s[8:9], s[16:17]
	s_load_b32 s6, s[8:9], 0x0
.LBB41_3:
	s_load_b96 s[8:10], s[0:1], 0x58
	v_and_b32_e32 v61, 1, v0
	v_lshlrev_b32_e32 v1, 3, v0
	v_lshlrev_b32_e32 v63, 2, v0
	s_mul_u64 s[4:5], s[2:3], s[4:5]
	s_ashr_i32 s3, ttmp9, 31
	s_ashr_i32 s4, s12, 31
	s_mul_i32 s12, ttmp9, 0x78
	s_mov_b32 s16, exec_lo
	v_cmpx_gt_u32_e32 60, v0
	s_cbranch_execz .LBB41_5
; %bb.4:
	s_load_b64 s[18:19], s[0:1], 0x18
	s_wait_kmcnt 0x0
	s_mul_i32 s20, s8, s14
	s_ashr_i32 s13, s12, 31
	s_ashr_i32 s21, s20, 31
	v_and_b32_e32 v4, 0xff8, v63
	s_lshl_b64 s[20:21], s[20:21], 2
	s_delay_alu instid0(VALU_DEP_1) | instskip(SKIP_2) | instid1(SALU_CYCLE_1)
	v_mad_u32_u24 v4, 0xf0, v61, v4
	s_add_nc_u64 s[18:19], s[18:19], s[20:21]
	s_lshl_b64 s[20:21], s[12:13], 2
	s_add_nc_u64 s[18:19], s[18:19], s[20:21]
	global_load_b64 v[2:3], v1, s[18:19]
	s_wait_loadcnt 0x0
	ds_store_b64 v4, v[2:3]
.LBB41_5:
	s_or_b32 exec_lo, exec_lo, s16
	s_wait_kmcnt 0x0
	s_add_co_i32 s8, s25, 15
	s_wait_alu 0xfffe
	s_xor_b32 s3, s3, s4
	s_ashr_i32 s13, s8, 31
	s_lshl_b32 s28, s24, 5
	s_lshr_b32 s4, s13, 28
	s_mul_i32 s13, s5, s11
	s_add_co_i32 s8, s8, s4
	s_add_co_i32 s4, s28, 32
	s_ashr_i32 s27, s8, 4
	s_load_b32 s8, s[0:1], 0x48
	s_sub_co_i32 s2, s2, s13
	s_min_i32 s13, s4, s27
	s_add_co_i32 s4, s5, 1
	s_wait_alu 0xfffe
	s_sub_co_i32 s16, s2, s11
	s_cmp_ge_u32 s2, s11
	v_lshrrev_b32_e32 v67, 5, v0
	s_cselect_b32 s4, s4, s5
	s_cselect_b32 s2, s16, s2
	s_add_co_i32 s5, s4, 1
	s_wait_alu 0xfffe
	s_cmp_ge_u32 s2, s11
	v_or_b32_e32 v68, s28, v67
	s_cselect_b32 s2, s5, s4
	v_mbcnt_lo_u32_b32 v65, -1, 0
	s_wait_alu 0xfffe
	s_xor_b32 s2, s2, s3
	s_mov_b32 s4, exec_lo
	s_wait_alu 0xfffe
	s_sub_co_i32 s3, s2, s3
	v_cmp_gt_i32_e64 s2, s13, v68
	s_wait_dscnt 0x0
	s_barrier_signal -1
	s_wait_kmcnt 0x0
	s_mul_i32 s16, s8, s14
	s_barrier_wait -1
	s_ashr_i32 s17, s16, 31
	global_inv scope:SCOPE_SE
                                        ; implicit-def: $vgpr66
                                        ; implicit-def: $vgpr71
	v_cmpx_le_i32_e64 s13, v68
	s_xor_b32 s4, exec_lo, s4
; %bb.6:
	v_dual_mov_b32 v66, 0 :: v_dual_mov_b32 v71, 32
	v_mbcnt_lo_u32_b32 v65, -1, 0
                                        ; implicit-def: $vgpr1
                                        ; implicit-def: $vgpr61
; %bb.7:
	s_or_saveexec_b32 s11, s4
	s_clause 0x1
	s_load_b64 s[18:19], s[0:1], 0x38
	s_load_b32 s8, s[0:1], 0x98
	v_dual_mov_b32 v69, 0xff7fffff :: v_dual_lshlrev_b32 v64, 2, v68
	s_mul_i32 s20, s3, s10
	s_xor_b32 exec_lo, exec_lo, s11
	s_cbranch_execz .LBB41_13
; %bb.8:
	s_load_b64 s[4:5], s[0:1], 0x20
	v_bfe_u32 v62, v0, 1, 4
	s_ashr_i32 s21, s20, 31
	v_dual_mov_b32 v66, 0 :: v_dual_and_b32 v33, 8, v1
	s_lshl_b64 s[22:23], s[20:21], 2
	s_delay_alu instid0(VALU_DEP_2)
	v_lshlrev_b32_e32 v25, 4, v62
	v_xor_b32_e32 v49, 1, v65
	v_mul_u32_u24_e32 v57, 0xf0, v61
	ds_load_b128 v[1:4], v57
	ds_load_b128 v[5:8], v57 offset:16
	ds_load_b128 v[9:12], v57 offset:32
	ds_load_b128 v[13:16], v57 offset:48
	ds_load_b128 v[17:20], v57 offset:64
	ds_load_b128 v[21:24], v57 offset:80
	v_dual_mov_b32 v76, v68 :: v_dual_lshlrev_b32 v69, 2, v62
	s_cmp_neq_f32 s6, 0
	v_dual_mov_b32 v71, 32 :: v_dual_lshlrev_b32 v74, 4, v67
	s_delay_alu instid0(VALU_DEP_2)
	v_lshl_or_b32 v69, v67, 6, v69
	s_wait_kmcnt 0x0
	s_add_nc_u64 s[4:5], s[4:5], s[22:23]
	s_mov_b32 s21, s9
	v_add_co_u32 v34, s3, s4, v25
	s_wait_alu 0xf1ff
	v_add_co_ci_u32_e64 v35, null, s5, 0, s3
	ds_load_b128 v[25:28], v57 offset:96
	ds_load_b128 v[29:32], v57 offset:112
	v_add_co_u32 v70, vcc_lo, v34, v33
	s_delay_alu instid0(VALU_DEP_1)
	v_add_co_ci_u32_e64 v72, null, 0, v35, vcc_lo
	v_cmp_gt_i32_e32 vcc_lo, 32, v49
	ds_load_b128 v[33:36], v57 offset:128
	ds_load_b128 v[37:40], v57 offset:144
	;; [unrolled: 1-line block ×4, first 2 shown]
	s_cselect_b32 s3, -1, 0
	s_lshl_b64 s[4:5], s[16:17], 2
	v_add3_u32 v74, s26, v74, v62
	s_wait_alu 0xfffd
	v_cndmask_b32_e32 v73, v65, v49, vcc_lo
	ds_load_b128 v[49:52], v57 offset:192
	ds_load_b128 v[53:56], v57 offset:208
	ds_load_b128 v[57:60], v57 offset:224
	s_wait_alu 0xfffe
	s_add_nc_u64 s[4:5], s[18:19], s[4:5]
	v_cmp_eq_u32_e32 vcc_lo, 0, v61
	s_wait_alu 0xfffe
	v_add_co_u32 v61, s4, s4, v64
	v_lshlrev_b32_e32 v73, 2, v73
	v_add_nc_u32_e32 v75, 0x200, v69
	s_wait_alu 0xf1ff
	v_add_co_ci_u32_e64 v62, null, s5, 0, s4
	v_mov_b32_e32 v69, 0xff7fffff
	s_mov_b32 s10, 0
	s_sub_co_i32 s22, 1, s25
	s_branch .LBB41_10
.LBB41_9:                               ;   in Loop: Header=BB41_10 Depth=1
	s_wait_alu 0xfffe
	s_or_b32 exec_lo, exec_lo, s5
	v_add_nc_u32_e32 v76, 4, v76
	v_add_co_u32 v61, s5, v61, 16
	v_add_nc_u32_e32 v74, 64, v74
	v_add_nc_u32_e32 v75, 0x100, v75
	s_delay_alu instid0(VALU_DEP_4) | instskip(SKIP_3) | instid1(SALU_CYCLE_1)
	v_cmp_le_i32_e64 s4, s13, v76
	s_wait_alu 0xf1ff
	v_add_co_ci_u32_e64 v62, null, 0, v62, s5
	s_or_b32 s10, s4, s10
	s_and_not1_b32 exec_lo, exec_lo, s10
	s_cbranch_execz .LBB41_12
.LBB41_10:                              ; =>This Inner Loop Header: Depth=1
	global_load_b32 v77, v[61:62], off
	s_wait_loadcnt_dscnt 0x0
	v_mad_co_i64_i32 v[77:78], null, v77, s21, 0
	s_delay_alu instid0(VALU_DEP_1) | instskip(NEXT) | instid1(VALU_DEP_1)
	v_lshlrev_b64_e32 v[77:78], 2, v[77:78]
	v_add_co_u32 v77, s4, v70, v77
	s_wait_alu 0xf1ff
	s_delay_alu instid0(VALU_DEP_2)
	v_add_co_ci_u32_e64 v78, null, v72, v78, s4
	s_clause 0x16
	global_load_b64 v[79:80], v[77:78], off offset:256
	global_load_b64 v[81:82], v[77:78], off offset:512
	;; [unrolled: 1-line block ×3, first 2 shown]
	global_load_b64 v[85:86], v[77:78], off
	global_load_b64 v[87:88], v[77:78], off offset:1024
	global_load_b64 v[89:90], v[77:78], off offset:1280
	;; [unrolled: 1-line block ×19, first 2 shown]
	s_wait_loadcnt_dscnt 0x160e
	v_dual_mul_f32 v125, v3, v79 :: v_dual_mul_f32 v126, v4, v80
	global_load_b64 v[79:80], v[77:78], off offset:5888
	s_wait_loadcnt 0x14
	v_dual_fmac_f32 v125, v1, v85 :: v_dual_fmac_f32 v126, v2, v86
	global_load_b64 v[85:86], v[77:78], off offset:6144
	s_wait_dscnt 0xd
	v_dual_fmac_f32 v125, v5, v81 :: v_dual_fmac_f32 v126, v6, v82
	global_load_b64 v[81:82], v[77:78], off offset:6400
	v_dual_fmac_f32 v125, v7, v83 :: v_dual_fmac_f32 v126, v8, v84
	global_load_b64 v[83:84], v[77:78], off offset:6656
	s_wait_loadcnt_dscnt 0x160c
	v_dual_fmac_f32 v125, v9, v87 :: v_dual_fmac_f32 v126, v10, v88
	global_load_b64 v[87:88], v[77:78], off offset:6912
	s_wait_loadcnt 0x16
	v_dual_fmac_f32 v125, v11, v89 :: v_dual_fmac_f32 v126, v12, v90
	s_clause 0x1
	global_load_b64 v[89:90], v[77:78], off offset:7168
	global_load_b64 v[77:78], v[77:78], off offset:7424
	s_wait_loadcnt_dscnt 0x170b
	v_dual_fmac_f32 v125, v13, v91 :: v_dual_fmac_f32 v126, v14, v92
	s_wait_loadcnt 0x16
	s_delay_alu instid0(VALU_DEP_1) | instskip(SKIP_1) | instid1(VALU_DEP_1)
	v_dual_fmac_f32 v125, v15, v93 :: v_dual_fmac_f32 v126, v16, v94
	s_wait_loadcnt_dscnt 0x150a
	v_dual_fmac_f32 v125, v17, v95 :: v_dual_fmac_f32 v126, v18, v96
	s_wait_loadcnt 0x14
	s_delay_alu instid0(VALU_DEP_1) | instskip(SKIP_1) | instid1(VALU_DEP_1)
	v_dual_fmac_f32 v125, v19, v97 :: v_dual_fmac_f32 v126, v20, v98
	;; [unrolled: 5-line block ×11, first 2 shown]
	s_wait_loadcnt_dscnt 0x100
	v_dual_fmac_f32 v125, v57, v89 :: v_dual_fmac_f32 v126, v58, v90
	s_wait_loadcnt 0x0
	s_delay_alu instid0(VALU_DEP_1) | instskip(NEXT) | instid1(VALU_DEP_1)
	v_dual_fmac_f32 v125, v59, v77 :: v_dual_fmac_f32 v126, v60, v78
	v_add_f32_e32 v77, v125, v126
	ds_bpermute_b32 v78, v73, v77
	s_and_saveexec_b32 s5, vcc_lo
	s_cbranch_execz .LBB41_9
; %bb.11:                               ;   in Loop: Header=BB41_10 Depth=1
	s_wait_dscnt 0x0
	v_add_f32_e32 v77, v77, v78
	v_add_nc_u32_e32 v79, s22, v74
	v_cmp_gt_i32_e64 s4, s25, v74
	s_delay_alu instid0(VALU_DEP_2) | instskip(NEXT) | instid1(VALU_DEP_1)
	v_cvt_f32_i32_e32 v79, v79
	v_mul_f32_e32 v79, s6, v79
	s_delay_alu instid0(VALU_DEP_1) | instskip(SKIP_1) | instid1(VALU_DEP_2)
	v_cndmask_b32_e64 v78, 0, v79, s3
	v_max_num_f32_e32 v79, v69, v69
	v_fmac_f32_e32 v78, s7, v77
	s_delay_alu instid0(VALU_DEP_1) | instskip(SKIP_2) | instid1(VALU_DEP_2)
	v_max_num_f32_e32 v77, v79, v78
	s_wait_alu 0xf1ff
	v_cndmask_b32_e64 v78, 0, v78, s4
	v_cndmask_b32_e64 v69, v69, v77, s4
	ds_store_b32 v75, v78
	s_branch .LBB41_9
.LBB41_12:
	s_or_b32 exec_lo, exec_lo, s10
.LBB41_13:
	s_delay_alu instid0(SALU_CYCLE_1)
	s_or_b32 exec_lo, exec_lo, s11
	v_xor_b32_e32 v1, 16, v65
	v_xor_b32_e32 v3, 8, v65
	v_max_num_f32_e32 v5, v69, v69
	v_xor_b32_e32 v6, 2, v65
	s_clause 0x2
	s_load_b128 s[4:7], s[0:1], 0x0
	s_load_b64 s[10:11], s[0:1], 0x10
	s_load_b64 s[22:23], s[0:1], 0x28
	v_cmp_lt_i32_e32 vcc_lo, v1, v71
	s_wait_alu 0xfffd
	v_cndmask_b32_e32 v1, v65, v1, vcc_lo
	v_cmp_lt_i32_e32 vcc_lo, v3, v71
	s_wait_alu 0xfffd
	v_cndmask_b32_e32 v3, v65, v3, vcc_lo
	s_delay_alu instid0(VALU_DEP_1)
	v_lshlrev_b32_e32 v4, 2, v3
	v_lshlrev_b32_e32 v2, 2, v1
	ds_bpermute_b32 v1, v2, v69
	v_and_b32_e32 v69, 31, v0
	s_wait_dscnt 0x0
	v_max_num_f32_e32 v1, v1, v1
	s_delay_alu instid0(VALU_DEP_1)
	v_max_num_f32_e32 v1, v5, v1
	v_xor_b32_e32 v5, 4, v65
	ds_bpermute_b32 v3, v4, v1
	v_cmp_lt_i32_e32 vcc_lo, v5, v71
	s_wait_alu 0xfffd
	v_cndmask_b32_e32 v5, v65, v5, vcc_lo
	v_cmp_lt_i32_e32 vcc_lo, v6, v71
	s_wait_alu 0xfffd
	s_delay_alu instid0(VALU_DEP_2) | instskip(SKIP_1) | instid1(VALU_DEP_2)
	v_dual_cndmask_b32 v6, v65, v6 :: v_dual_lshlrev_b32 v5, 2, v5
	v_cmp_eq_u32_e32 vcc_lo, 0, v69
	v_lshlrev_b32_e32 v70, 2, v6
	v_lshlrev_b32_e32 v6, 2, v67
	s_wait_dscnt 0x0
	v_max_num_f32_e32 v3, v3, v3
	s_delay_alu instid0(VALU_DEP_1) | instskip(SKIP_3) | instid1(VALU_DEP_1)
	v_max_num_f32_e32 v1, v1, v3
	ds_bpermute_b32 v3, v5, v1
	s_wait_dscnt 0x0
	v_max_num_f32_e32 v3, v3, v3
	v_max_num_f32_e32 v1, v1, v3
	ds_bpermute_b32 v3, v70, v1
	s_and_saveexec_b32 s0, vcc_lo
	s_cbranch_execz .LBB41_15
; %bb.14:
	s_wait_dscnt 0x0
	v_max_num_f32_e32 v3, v3, v3
	v_max_num_f32_e32 v1, v1, v1
	s_delay_alu instid0(VALU_DEP_1)
	v_max_num_f32_e32 v1, v1, v3
	ds_store_b32 v6, v1 offset:480
.LBB41_15:
	s_or_b32 exec_lo, exec_lo, s0
	v_cmp_gt_u32_e64 s0, 4, v69
	v_mov_b32_e32 v1, 0xff7fffff
	v_lshlrev_b32_e32 v7, 2, v69
	s_wait_loadcnt_dscnt 0x0
	s_barrier_signal -1
	s_barrier_wait -1
	global_inv scope:SCOPE_SE
	s_and_saveexec_b32 s1, s0
; %bb.16:
	ds_load_b32 v1, v7 offset:480
; %bb.17:
	s_or_b32 exec_lo, exec_lo, s1
	s_wait_dscnt 0x0
	ds_bpermute_b32 v3, v70, v1
	v_xor_b32_e32 v8, 1, v65
	v_max_num_f32_e32 v1, v1, v1
	s_delay_alu instid0(VALU_DEP_2) | instskip(NEXT) | instid1(VALU_DEP_1)
	v_cmp_lt_i32_e64 s1, v8, v71
	v_cndmask_b32_e64 v8, v65, v8, s1
	s_sub_co_i32 s1, s13, s28
	s_wait_alu 0xfffe
	s_lshl_b32 s1, s1, 4
	s_delay_alu instid0(VALU_DEP_1)
	v_dual_mov_b32 v8, 0 :: v_dual_lshlrev_b32 v71, 2, v8
	s_wait_alu 0xfffe
	s_add_co_i32 s1, s1, s26
	s_wait_alu 0xfffe
	s_min_i32 s1, s1, s25
	s_wait_dscnt 0x0
	v_max_num_f32_e32 v3, v3, v3
	s_wait_alu 0xfffe
	s_sub_co_i32 s21, s1, s26
	s_wait_alu 0xfffe
	v_cmp_gt_i32_e64 s1, s21, v0
	v_max_num_f32_e32 v1, v1, v3
	ds_bpermute_b32 v3, v71, v1
	s_wait_dscnt 0x0
	v_max_num_f32_e32 v3, v3, v3
	s_delay_alu instid0(VALU_DEP_1)
	v_max_num_f32_e32 v1, v1, v3
	v_lshlrev_b32_e32 v3, 2, v66
	ds_bpermute_b32 v1, v3, v1
	v_lshl_add_u32 v3, v0, 2, 0x200
	s_and_saveexec_b32 s28, s1
	s_cbranch_execz .LBB41_21
; %bb.18:
	v_lshl_add_u32 v9, v0, 2, 0x200
	v_mov_b32_e32 v8, 0
	v_mov_b32_e32 v10, v0
	s_mov_b32 s29, 0
.LBB41_19:                              ; =>This Inner Loop Header: Depth=1
	ds_load_b32 v11, v9
	v_add_nc_u32_e32 v10, 0x80, v10
	s_delay_alu instid0(VALU_DEP_1) | instskip(SKIP_4) | instid1(VALU_DEP_1)
	v_cmp_le_i32_e64 s3, s21, v10
	s_wait_alu 0xfffe
	s_or_b32 s29, s3, s29
	s_wait_dscnt 0x0
	v_sub_f32_e32 v11, v11, v1
	v_mul_f32_e32 v11, 0x3fb8aa3b, v11
	s_delay_alu instid0(VALU_DEP_1)
	v_exp_f32_e32 v11, v11
	ds_store_b32 v9, v11
	v_dual_add_f32 v8, v8, v11 :: v_dual_add_nc_u32 v9, 0x200, v9
	s_wait_alu 0xfffe
	s_and_not1_b32 exec_lo, exec_lo, s29
	s_cbranch_execnz .LBB41_19
; %bb.20:
	s_or_b32 exec_lo, exec_lo, s29
.LBB41_21:
	s_wait_alu 0xfffe
	s_or_b32 exec_lo, exec_lo, s28
	ds_bpermute_b32 v2, v2, v8
	s_wait_dscnt 0x0
	v_add_f32_e32 v2, v8, v2
	ds_bpermute_b32 v4, v4, v2
	s_wait_dscnt 0x0
	v_add_f32_e32 v2, v2, v4
	ds_bpermute_b32 v4, v5, v2
	s_wait_dscnt 0x0
	v_add_f32_e32 v2, v2, v4
	ds_bpermute_b32 v4, v70, v2
	s_wait_dscnt 0x0
	v_add_f32_e32 v2, v2, v4
	ds_bpermute_b32 v4, v71, v2
	s_wait_dscnt 0x0
	v_add_f32_e32 v2, v2, v4
	s_and_saveexec_b32 s3, vcc_lo
; %bb.22:
	ds_store_b32 v6, v2 offset:496
; %bb.23:
	s_wait_alu 0xfffe
	s_or_b32 exec_lo, exec_lo, s3
	s_wait_loadcnt_dscnt 0x0
	s_barrier_signal -1
	s_barrier_wait -1
	global_inv scope:SCOPE_SE
	s_and_saveexec_b32 s3, s0
; %bb.24:
	ds_load_b32 v2, v7 offset:496
; %bb.25:
	s_wait_alu 0xfffe
	s_or_b32 exec_lo, exec_lo, s3
	s_wait_dscnt 0x0
	ds_bpermute_b32 v4, v70, v2
	s_wait_dscnt 0x0
	v_dual_add_f32 v2, v2, v4 :: v_dual_lshlrev_b32 v5, 2, v65
	ds_bpermute_b32 v4, v71, v2
	s_wait_dscnt 0x0
	v_add_f32_e32 v2, v2, v4
	v_and_b32_e32 v4, 0xffffff80, v5
	ds_bpermute_b32 v2, v4, v2
	s_and_saveexec_b32 s0, s1
	s_cbranch_execz .LBB41_28
; %bb.26:
	s_wait_dscnt 0x0
	v_add_f32_e32 v4, 0x358637bd, v2
	s_mov_b32 s1, 0
	s_delay_alu instid0(VALU_DEP_1) | instskip(SKIP_1) | instid1(VALU_DEP_2)
	v_div_scale_f32 v5, null, v4, v4, 1.0
	v_div_scale_f32 v8, vcc_lo, 1.0, v4, 1.0
	v_rcp_f32_e32 v6, v5
	s_delay_alu instid0(TRANS32_DEP_1) | instskip(NEXT) | instid1(VALU_DEP_1)
	v_fma_f32 v7, -v5, v6, 1.0
	v_fmac_f32_e32 v6, v7, v6
	s_delay_alu instid0(VALU_DEP_1) | instskip(NEXT) | instid1(VALU_DEP_1)
	v_mul_f32_e32 v7, v8, v6
	v_fma_f32 v9, -v5, v7, v8
	s_delay_alu instid0(VALU_DEP_1) | instskip(NEXT) | instid1(VALU_DEP_1)
	v_fmac_f32_e32 v7, v9, v6
	v_fma_f32 v5, -v5, v7, v8
	s_wait_alu 0xfffd
	s_delay_alu instid0(VALU_DEP_1) | instskip(NEXT) | instid1(VALU_DEP_1)
	v_div_fmas_f32 v5, v5, v6, v7
	v_div_fixup_f32 v4, v5, v4, 1.0
	v_mov_b32_e32 v5, v0
.LBB41_27:                              ; =>This Inner Loop Header: Depth=1
	ds_load_b32 v6, v3
	s_wait_dscnt 0x0
	v_dual_mul_f32 v6, v4, v6 :: v_dual_add_nc_u32 v5, 0x80, v5
	s_delay_alu instid0(VALU_DEP_1)
	v_cmp_le_i32_e32 vcc_lo, s21, v5
	ds_store_b32 v3, v6
	v_add_nc_u32_e32 v3, 0x200, v3
	s_wait_alu 0xfffe
	s_or_b32 s1, vcc_lo, s1
	s_wait_alu 0xfffe
	s_and_not1_b32 exec_lo, exec_lo, s1
	s_cbranch_execnz .LBB41_27
.LBB41_28:
	s_wait_alu 0xfffe
	s_or_b32 exec_lo, exec_lo, s0
	s_wait_kmcnt 0x0
	s_mul_i32 s0, s8, s14
	s_wait_loadcnt_dscnt 0x0
	s_wait_alu 0xfffe
	s_mul_i32 s14, s0, s15
	s_mov_b32 s0, exec_lo
	s_barrier_signal -1
	s_barrier_wait -1
	global_inv scope:SCOPE_SE
	v_cmpx_eq_u32_e32 0, v0
	s_cbranch_execz .LBB41_30
; %bb.29:
	s_ashr_i32 s15, s14, 31
	s_wait_alu 0xfffe
	s_mul_i32 s28, s8, ttmp9
	s_lshl_b32 s1, s24, 2
	s_lshl_b64 s[30:31], s[14:15], 2
	s_wait_alu 0xfffe
	s_ashr_i32 s29, s28, 31
	v_mov_b32_e32 v3, s1
	s_add_nc_u64 s[6:7], s[6:7], s[30:31]
	s_wait_alu 0xfffe
	s_lshl_b64 s[28:29], s[28:29], 2
	s_add_nc_u64 s[4:5], s[4:5], s[30:31]
	s_wait_alu 0xfffe
	s_add_nc_u64 s[6:7], s[6:7], s[28:29]
	s_add_nc_u64 s[4:5], s[4:5], s[28:29]
	s_clause 0x1
	global_store_b32 v3, v1, s[6:7]
	global_store_b32 v3, v2, s[4:5]
.LBB41_30:
	s_wait_alu 0xfffe
	s_or_b32 exec_lo, exec_lo, s0
	v_dual_mov_b32 v85, 0 :: v_dual_and_b32 v72, 3, v0
	v_dual_mov_b32 v87, 0 :: v_dual_mov_b32 v86, 0
	v_dual_mov_b32 v84, 0 :: v_dual_mov_b32 v83, 0
	;; [unrolled: 1-line block ×7, first 2 shown]
	s_and_saveexec_b32 s1, s2
	s_cbranch_execz .LBB41_64
; %bb.31:
	v_dual_mov_b32 v74, 0 :: v_dual_lshlrev_b32 v1, 4, v0
	s_ashr_i32 s21, s20, 31
	v_dual_mov_b32 v76, 0 :: v_dual_lshlrev_b32 v3, 4, v72
	s_delay_alu instid0(VALU_DEP_2)
	v_dual_mov_b32 v78, 0 :: v_dual_and_b32 v1, 0x1f0, v1
	s_wait_alu 0xfffe
	s_lshl_b64 s[2:3], s[20:21], 2
	v_dual_mov_b32 v73, 0 :: v_dual_and_b32 v2, 12, v63
	s_wait_alu 0xfffe
	s_add_nc_u64 s[2:3], s[22:23], s[2:3]
	v_lshl_add_u32 v4, v67, 4, s26
	s_wait_alu 0xfffe
	v_add_co_u32 v88, s0, s2, v1
	s_wait_alu 0xf1ff
	v_add_co_ci_u32_e64 v89, null, s3, 0, s0
	s_lshl_b64 s[2:3], s[16:17], 2
	v_lshl_or_b32 v3, v67, 6, v3
	s_wait_alu 0xfffe
	s_add_nc_u64 s[2:3], s[18:19], s[2:3]
	v_add3_u32 v90, v4, v2, 3
	s_wait_alu 0xfffe
	v_add_co_u32 v65, s0, s2, v64
	v_dual_mov_b32 v80, 0 :: v_dual_add_nc_u32 v91, 0x200, v3
	s_wait_alu 0xf1ff
	v_add_co_ci_u32_e64 v66, null, s3, 0, s0
	v_dual_mov_b32 v75, 0 :: v_dual_mov_b32 v82, 0
	v_dual_mov_b32 v77, 0 :: v_dual_mov_b32 v84, 0
	;; [unrolled: 1-line block ×3, first 2 shown]
	v_mov_b32_e32 v81, 0
	v_mov_b32_e32 v83, 0
	;; [unrolled: 1-line block ×4, first 2 shown]
	s_mov_b32 s2, s9
	s_add_co_i32 s27, s27, -1
	s_mov_b32 s3, 0
	s_branch .LBB41_33
.LBB41_32:                              ;   in Loop: Header=BB41_33 Depth=1
	s_wait_alu 0xfffe
	s_or_b32 exec_lo, exec_lo, s0
	s_wait_loadcnt_dscnt 0xb00
	v_mul_f32_e32 v17, v1, v17
	s_wait_loadcnt 0x9
	v_mul_f32_e32 v25, v1, v25
	s_wait_loadcnt 0x3
	v_mul_f32_e32 v53, v1, v53
	v_mul_f32_e32 v41, v1, v41
	;; [unrolled: 1-line block ×3, first 2 shown]
	v_fmac_f32_e32 v17, v2, v18
	v_fmac_f32_e32 v25, v2, v26
	s_wait_loadcnt 0x1
	v_dual_mul_f32 v61, v1, v61 :: v_dual_add_nc_u32 v68, 4, v68
	v_fmac_f32_e32 v41, v2, v42
	v_fmac_f32_e32 v17, v3, v19
	;; [unrolled: 1-line block ×4, first 2 shown]
	v_mul_f32_e32 v13, v1, v13
	v_dual_mul_f32 v57, v1, v57 :: v_dual_add_nc_u32 v90, 64, v90
	v_fmac_f32_e32 v17, v4, v20
	v_fmac_f32_e32 v53, v2, v54
	;; [unrolled: 1-line block ×3, first 2 shown]
	v_mul_f32_e32 v45, v1, v45
	s_delay_alu instid0(VALU_DEP_4) | instskip(NEXT) | instid1(VALU_DEP_3)
	v_dual_fmac_f32 v41, v3, v43 :: v_dual_add_f32 v84, v84, v17
	v_dual_fmac_f32 v53, v3, v55 :: v_dual_add_f32 v82, v82, v25
	v_mul_f32_e32 v37, v1, v37
	v_mul_f32_e32 v29, v1, v29
	;; [unrolled: 1-line block ×3, first 2 shown]
	s_delay_alu instid0(VALU_DEP_4)
	v_fmac_f32_e32 v53, v4, v56
	v_fmac_f32_e32 v61, v2, v62
	;; [unrolled: 1-line block ×3, first 2 shown]
	v_mul_f32_e32 v9, v1, v9
	v_mul_f32_e32 v5, v1, v5
	s_wait_loadcnt 0x0
	v_mul_f32_e32 v1, v1, v49
	v_fmac_f32_e32 v13, v2, v14
	v_fmac_f32_e32 v45, v2, v46
	;; [unrolled: 1-line block ×3, first 2 shown]
	v_dual_add_f32 v76, v76, v53 :: v_dual_fmac_f32 v61, v3, v63
	v_fmac_f32_e32 v37, v2, v38
	v_fmac_f32_e32 v29, v2, v30
	;; [unrolled: 1-line block ×8, first 2 shown]
	v_dual_fmac_f32 v13, v3, v15 :: v_dual_add_f32 v78, v78, v41
	v_fmac_f32_e32 v61, v4, v64
	v_fmac_f32_e32 v37, v3, v39
	v_fmac_f32_e32 v29, v3, v31
	v_dual_fmac_f32 v21, v3, v23 :: v_dual_add_f32 v80, v80, v33
	s_delay_alu instid0(VALU_DEP_4)
	v_dual_fmac_f32 v57, v3, v59 :: v_dual_add_f32 v74, v74, v61
	v_fmac_f32_e32 v9, v3, v11
	v_fmac_f32_e32 v5, v3, v7
	;; [unrolled: 1-line block ×11, first 2 shown]
	v_dual_fmac_f32 v1, v4, v52 :: v_dual_add_f32 v86, v86, v13
	v_fmac_f32_e32 v45, v4, v48
	v_cmp_le_i32_e32 vcc_lo, s13, v68
	v_add_co_u32 v65, s0, v65, 16
	v_add_f32_e32 v75, v75, v57
	s_delay_alu instid0(VALU_DEP_4)
	v_add_f32_e32 v77, v77, v45
	v_add_f32_e32 v79, v79, v37
	;; [unrolled: 1-line block ×7, first 2 shown]
	v_add_nc_u32_e32 v91, 0x100, v91
	s_wait_alu 0xf1ff
	v_add_co_ci_u32_e64 v66, null, 0, v66, s0
	s_or_b32 s3, vcc_lo, s3
	s_wait_alu 0xfffe
	s_and_not1_b32 exec_lo, exec_lo, s3
	s_cbranch_execz .LBB41_63
.LBB41_33:                              ; =>This Inner Loop Header: Depth=1
	global_load_b32 v1, v[65:66], off
	v_add_nc_u32_e32 v92, -3, v90
	v_add_nc_u32_e32 v94, -2, v90
	;; [unrolled: 1-line block ×3, first 2 shown]
	s_wait_loadcnt 0x0
	s_wait_alu 0xfffe
	v_mad_co_i64_i32 v[1:2], null, v1, s2, 0
	s_delay_alu instid0(VALU_DEP_1) | instskip(NEXT) | instid1(VALU_DEP_1)
	v_lshlrev_b64_e32 v[1:2], 2, v[1:2]
	v_add_co_u32 v49, vcc_lo, v88, v1
	s_wait_alu 0xfffd
	s_delay_alu instid0(VALU_DEP_2)
	v_add_co_ci_u32_e64 v50, null, v89, v2, vcc_lo
	ds_load_b128 v[1:4], v91
	v_cmp_eq_u32_e32 vcc_lo, s27, v68
	global_load_b128 v[5:8], v[49:50], off
	s_and_saveexec_b32 s4, vcc_lo
	s_cbranch_execnz .LBB41_48
; %bb.34:                               ;   in Loop: Header=BB41_33 Depth=1
	s_wait_alu 0xfffe
	s_or_b32 exec_lo, exec_lo, s4
	global_load_b128 v[9:12], v[49:50], off offset:512
	s_and_saveexec_b32 s4, vcc_lo
	s_cbranch_execnz .LBB41_49
.LBB41_35:                              ;   in Loop: Header=BB41_33 Depth=1
	s_wait_alu 0xfffe
	s_or_b32 exec_lo, exec_lo, s4
	global_load_b128 v[13:16], v[49:50], off offset:1024
	s_and_saveexec_b32 s4, vcc_lo
	s_cbranch_execnz .LBB41_50
.LBB41_36:                              ;   in Loop: Header=BB41_33 Depth=1
	s_wait_alu 0xfffe
	s_or_b32 exec_lo, exec_lo, s4
	global_load_b128 v[17:20], v[49:50], off offset:1536
	s_and_saveexec_b32 s4, vcc_lo
	s_cbranch_execnz .LBB41_51
.LBB41_37:                              ;   in Loop: Header=BB41_33 Depth=1
	s_wait_alu 0xfffe
	s_or_b32 exec_lo, exec_lo, s4
	global_load_b128 v[21:24], v[49:50], off offset:2048
	s_and_saveexec_b32 s4, vcc_lo
	s_cbranch_execnz .LBB41_52
.LBB41_38:                              ;   in Loop: Header=BB41_33 Depth=1
	s_wait_alu 0xfffe
	s_or_b32 exec_lo, exec_lo, s4
	global_load_b128 v[25:28], v[49:50], off offset:2560
	s_and_saveexec_b32 s4, vcc_lo
	s_cbranch_execnz .LBB41_53
.LBB41_39:                              ;   in Loop: Header=BB41_33 Depth=1
	s_wait_alu 0xfffe
	s_or_b32 exec_lo, exec_lo, s4
	global_load_b128 v[29:32], v[49:50], off offset:3072
	s_and_saveexec_b32 s4, vcc_lo
	s_cbranch_execnz .LBB41_54
.LBB41_40:                              ;   in Loop: Header=BB41_33 Depth=1
	s_wait_alu 0xfffe
	s_or_b32 exec_lo, exec_lo, s4
	global_load_b128 v[33:36], v[49:50], off offset:3584
	s_and_saveexec_b32 s4, vcc_lo
	s_cbranch_execnz .LBB41_55
.LBB41_41:                              ;   in Loop: Header=BB41_33 Depth=1
	s_wait_alu 0xfffe
	s_or_b32 exec_lo, exec_lo, s4
	global_load_b128 v[37:40], v[49:50], off offset:4096
	s_and_saveexec_b32 s4, vcc_lo
	s_cbranch_execnz .LBB41_56
.LBB41_42:                              ;   in Loop: Header=BB41_33 Depth=1
	s_wait_alu 0xfffe
	s_or_b32 exec_lo, exec_lo, s4
	global_load_b128 v[41:44], v[49:50], off offset:4608
	s_and_saveexec_b32 s4, vcc_lo
	s_cbranch_execnz .LBB41_57
.LBB41_43:                              ;   in Loop: Header=BB41_33 Depth=1
	s_wait_alu 0xfffe
	s_or_b32 exec_lo, exec_lo, s4
	global_load_b128 v[45:48], v[49:50], off offset:5120
	s_and_saveexec_b32 s4, vcc_lo
	s_cbranch_execnz .LBB41_58
.LBB41_44:                              ;   in Loop: Header=BB41_33 Depth=1
	s_wait_alu 0xfffe
	s_or_b32 exec_lo, exec_lo, s4
	global_load_b128 v[53:56], v[49:50], off offset:5632
	s_and_saveexec_b32 s4, vcc_lo
	s_cbranch_execnz .LBB41_59
.LBB41_45:                              ;   in Loop: Header=BB41_33 Depth=1
	s_wait_alu 0xfffe
	s_or_b32 exec_lo, exec_lo, s4
	global_load_b128 v[57:60], v[49:50], off offset:6144
	s_and_saveexec_b32 s4, vcc_lo
	s_cbranch_execnz .LBB41_60
.LBB41_46:                              ;   in Loop: Header=BB41_33 Depth=1
	s_wait_alu 0xfffe
	s_or_b32 exec_lo, exec_lo, s4
	global_load_b128 v[61:64], v[49:50], off offset:6656
	s_and_saveexec_b32 s4, vcc_lo
	s_cbranch_execnz .LBB41_61
.LBB41_47:                              ;   in Loop: Header=BB41_33 Depth=1
	s_wait_alu 0xfffe
	s_or_b32 exec_lo, exec_lo, s4
	global_load_b128 v[49:52], v[49:50], off offset:7168
	s_and_saveexec_b32 s0, vcc_lo
	s_cbranch_execz .LBB41_32
	s_branch .LBB41_62
.LBB41_48:                              ;   in Loop: Header=BB41_33 Depth=1
	v_cmp_gt_i32_e64 s0, s25, v92
	s_wait_loadcnt 0x0
	s_wait_alu 0xf1ff
	s_delay_alu instid0(VALU_DEP_1) | instskip(SKIP_2) | instid1(VALU_DEP_1)
	v_cndmask_b32_e64 v5, 0, v5, s0
	v_cmp_gt_i32_e64 s0, s25, v94
	s_wait_alu 0xf1ff
	v_cndmask_b32_e64 v6, 0, v6, s0
	v_cmp_gt_i32_e64 s0, s25, v93
	s_wait_alu 0xf1ff
	s_delay_alu instid0(VALU_DEP_1) | instskip(SKIP_2) | instid1(VALU_DEP_1)
	v_cndmask_b32_e64 v7, 0, v7, s0
	v_cmp_gt_i32_e64 s0, s25, v90
	s_wait_alu 0xf1ff
	v_cndmask_b32_e64 v8, 0, v8, s0
	s_wait_alu 0xfffe
	s_or_b32 exec_lo, exec_lo, s4
	global_load_b128 v[9:12], v[49:50], off offset:512
	s_and_saveexec_b32 s4, vcc_lo
	s_cbranch_execz .LBB41_35
.LBB41_49:                              ;   in Loop: Header=BB41_33 Depth=1
	v_cmp_gt_i32_e64 s0, s25, v92
	s_wait_loadcnt 0x0
	s_wait_alu 0xf1ff
	s_delay_alu instid0(VALU_DEP_1) | instskip(SKIP_2) | instid1(VALU_DEP_1)
	v_cndmask_b32_e64 v9, 0, v9, s0
	v_cmp_gt_i32_e64 s0, s25, v94
	s_wait_alu 0xf1ff
	v_cndmask_b32_e64 v10, 0, v10, s0
	v_cmp_gt_i32_e64 s0, s25, v93
	s_wait_alu 0xf1ff
	s_delay_alu instid0(VALU_DEP_1) | instskip(SKIP_2) | instid1(VALU_DEP_1)
	v_cndmask_b32_e64 v11, 0, v11, s0
	v_cmp_gt_i32_e64 s0, s25, v90
	s_wait_alu 0xf1ff
	v_cndmask_b32_e64 v12, 0, v12, s0
	s_wait_alu 0xfffe
	s_or_b32 exec_lo, exec_lo, s4
	global_load_b128 v[13:16], v[49:50], off offset:1024
	s_and_saveexec_b32 s4, vcc_lo
	s_cbranch_execz .LBB41_36
.LBB41_50:                              ;   in Loop: Header=BB41_33 Depth=1
	v_cmp_gt_i32_e64 s0, s25, v92
	s_wait_loadcnt 0x0
	s_wait_alu 0xf1ff
	s_delay_alu instid0(VALU_DEP_1) | instskip(SKIP_2) | instid1(VALU_DEP_1)
	v_cndmask_b32_e64 v13, 0, v13, s0
	v_cmp_gt_i32_e64 s0, s25, v94
	s_wait_alu 0xf1ff
	v_cndmask_b32_e64 v14, 0, v14, s0
	v_cmp_gt_i32_e64 s0, s25, v93
	s_wait_alu 0xf1ff
	s_delay_alu instid0(VALU_DEP_1) | instskip(SKIP_2) | instid1(VALU_DEP_1)
	v_cndmask_b32_e64 v15, 0, v15, s0
	v_cmp_gt_i32_e64 s0, s25, v90
	s_wait_alu 0xf1ff
	v_cndmask_b32_e64 v16, 0, v16, s0
	s_wait_alu 0xfffe
	s_or_b32 exec_lo, exec_lo, s4
	global_load_b128 v[17:20], v[49:50], off offset:1536
	s_and_saveexec_b32 s4, vcc_lo
	s_cbranch_execz .LBB41_37
.LBB41_51:                              ;   in Loop: Header=BB41_33 Depth=1
	v_cmp_gt_i32_e64 s0, s25, v92
	s_wait_loadcnt 0x0
	s_wait_alu 0xf1ff
	s_delay_alu instid0(VALU_DEP_1) | instskip(SKIP_2) | instid1(VALU_DEP_1)
	v_cndmask_b32_e64 v17, 0, v17, s0
	v_cmp_gt_i32_e64 s0, s25, v94
	s_wait_alu 0xf1ff
	v_cndmask_b32_e64 v18, 0, v18, s0
	v_cmp_gt_i32_e64 s0, s25, v93
	s_wait_alu 0xf1ff
	s_delay_alu instid0(VALU_DEP_1) | instskip(SKIP_2) | instid1(VALU_DEP_1)
	v_cndmask_b32_e64 v19, 0, v19, s0
	v_cmp_gt_i32_e64 s0, s25, v90
	s_wait_alu 0xf1ff
	v_cndmask_b32_e64 v20, 0, v20, s0
	s_wait_alu 0xfffe
	s_or_b32 exec_lo, exec_lo, s4
	global_load_b128 v[21:24], v[49:50], off offset:2048
	s_and_saveexec_b32 s4, vcc_lo
	s_cbranch_execz .LBB41_38
.LBB41_52:                              ;   in Loop: Header=BB41_33 Depth=1
	v_cmp_gt_i32_e64 s0, s25, v92
	s_wait_loadcnt 0x0
	s_wait_alu 0xf1ff
	s_delay_alu instid0(VALU_DEP_1) | instskip(SKIP_2) | instid1(VALU_DEP_1)
	v_cndmask_b32_e64 v21, 0, v21, s0
	v_cmp_gt_i32_e64 s0, s25, v94
	s_wait_alu 0xf1ff
	v_cndmask_b32_e64 v22, 0, v22, s0
	v_cmp_gt_i32_e64 s0, s25, v93
	s_wait_alu 0xf1ff
	s_delay_alu instid0(VALU_DEP_1) | instskip(SKIP_2) | instid1(VALU_DEP_1)
	v_cndmask_b32_e64 v23, 0, v23, s0
	v_cmp_gt_i32_e64 s0, s25, v90
	s_wait_alu 0xf1ff
	v_cndmask_b32_e64 v24, 0, v24, s0
	s_wait_alu 0xfffe
	s_or_b32 exec_lo, exec_lo, s4
	global_load_b128 v[25:28], v[49:50], off offset:2560
	s_and_saveexec_b32 s4, vcc_lo
	s_cbranch_execz .LBB41_39
.LBB41_53:                              ;   in Loop: Header=BB41_33 Depth=1
	v_cmp_gt_i32_e64 s0, s25, v92
	s_wait_loadcnt 0x0
	s_wait_alu 0xf1ff
	s_delay_alu instid0(VALU_DEP_1) | instskip(SKIP_2) | instid1(VALU_DEP_1)
	v_cndmask_b32_e64 v25, 0, v25, s0
	v_cmp_gt_i32_e64 s0, s25, v94
	s_wait_alu 0xf1ff
	v_cndmask_b32_e64 v26, 0, v26, s0
	v_cmp_gt_i32_e64 s0, s25, v93
	s_wait_alu 0xf1ff
	s_delay_alu instid0(VALU_DEP_1) | instskip(SKIP_2) | instid1(VALU_DEP_1)
	v_cndmask_b32_e64 v27, 0, v27, s0
	v_cmp_gt_i32_e64 s0, s25, v90
	s_wait_alu 0xf1ff
	v_cndmask_b32_e64 v28, 0, v28, s0
	s_wait_alu 0xfffe
	s_or_b32 exec_lo, exec_lo, s4
	global_load_b128 v[29:32], v[49:50], off offset:3072
	s_and_saveexec_b32 s4, vcc_lo
	s_cbranch_execz .LBB41_40
.LBB41_54:                              ;   in Loop: Header=BB41_33 Depth=1
	v_cmp_gt_i32_e64 s0, s25, v92
	s_wait_loadcnt 0x0
	s_wait_alu 0xf1ff
	s_delay_alu instid0(VALU_DEP_1) | instskip(SKIP_2) | instid1(VALU_DEP_1)
	v_cndmask_b32_e64 v29, 0, v29, s0
	v_cmp_gt_i32_e64 s0, s25, v94
	s_wait_alu 0xf1ff
	v_cndmask_b32_e64 v30, 0, v30, s0
	v_cmp_gt_i32_e64 s0, s25, v93
	s_wait_alu 0xf1ff
	s_delay_alu instid0(VALU_DEP_1) | instskip(SKIP_2) | instid1(VALU_DEP_1)
	v_cndmask_b32_e64 v31, 0, v31, s0
	v_cmp_gt_i32_e64 s0, s25, v90
	s_wait_alu 0xf1ff
	v_cndmask_b32_e64 v32, 0, v32, s0
	s_wait_alu 0xfffe
	s_or_b32 exec_lo, exec_lo, s4
	global_load_b128 v[33:36], v[49:50], off offset:3584
	s_and_saveexec_b32 s4, vcc_lo
	s_cbranch_execz .LBB41_41
.LBB41_55:                              ;   in Loop: Header=BB41_33 Depth=1
	v_cmp_gt_i32_e64 s0, s25, v92
	s_wait_loadcnt 0x0
	s_wait_alu 0xf1ff
	s_delay_alu instid0(VALU_DEP_1) | instskip(SKIP_2) | instid1(VALU_DEP_1)
	v_cndmask_b32_e64 v33, 0, v33, s0
	v_cmp_gt_i32_e64 s0, s25, v94
	s_wait_alu 0xf1ff
	v_cndmask_b32_e64 v34, 0, v34, s0
	v_cmp_gt_i32_e64 s0, s25, v93
	s_wait_alu 0xf1ff
	s_delay_alu instid0(VALU_DEP_1) | instskip(SKIP_2) | instid1(VALU_DEP_1)
	v_cndmask_b32_e64 v35, 0, v35, s0
	v_cmp_gt_i32_e64 s0, s25, v90
	s_wait_alu 0xf1ff
	v_cndmask_b32_e64 v36, 0, v36, s0
	s_wait_alu 0xfffe
	s_or_b32 exec_lo, exec_lo, s4
	global_load_b128 v[37:40], v[49:50], off offset:4096
	s_and_saveexec_b32 s4, vcc_lo
	s_cbranch_execz .LBB41_42
.LBB41_56:                              ;   in Loop: Header=BB41_33 Depth=1
	v_cmp_gt_i32_e64 s0, s25, v92
	s_wait_loadcnt 0x0
	s_wait_alu 0xf1ff
	s_delay_alu instid0(VALU_DEP_1) | instskip(SKIP_2) | instid1(VALU_DEP_1)
	v_cndmask_b32_e64 v37, 0, v37, s0
	v_cmp_gt_i32_e64 s0, s25, v94
	s_wait_alu 0xf1ff
	v_cndmask_b32_e64 v38, 0, v38, s0
	v_cmp_gt_i32_e64 s0, s25, v93
	s_wait_alu 0xf1ff
	s_delay_alu instid0(VALU_DEP_1) | instskip(SKIP_2) | instid1(VALU_DEP_1)
	v_cndmask_b32_e64 v39, 0, v39, s0
	v_cmp_gt_i32_e64 s0, s25, v90
	s_wait_alu 0xf1ff
	v_cndmask_b32_e64 v40, 0, v40, s0
	s_wait_alu 0xfffe
	s_or_b32 exec_lo, exec_lo, s4
	global_load_b128 v[41:44], v[49:50], off offset:4608
	s_and_saveexec_b32 s4, vcc_lo
	s_cbranch_execz .LBB41_43
.LBB41_57:                              ;   in Loop: Header=BB41_33 Depth=1
	v_cmp_gt_i32_e64 s0, s25, v92
	s_wait_loadcnt 0x0
	s_wait_alu 0xf1ff
	s_delay_alu instid0(VALU_DEP_1) | instskip(SKIP_2) | instid1(VALU_DEP_1)
	v_cndmask_b32_e64 v41, 0, v41, s0
	v_cmp_gt_i32_e64 s0, s25, v94
	s_wait_alu 0xf1ff
	v_cndmask_b32_e64 v42, 0, v42, s0
	v_cmp_gt_i32_e64 s0, s25, v93
	s_wait_alu 0xf1ff
	s_delay_alu instid0(VALU_DEP_1) | instskip(SKIP_2) | instid1(VALU_DEP_1)
	v_cndmask_b32_e64 v43, 0, v43, s0
	v_cmp_gt_i32_e64 s0, s25, v90
	s_wait_alu 0xf1ff
	v_cndmask_b32_e64 v44, 0, v44, s0
	s_wait_alu 0xfffe
	s_or_b32 exec_lo, exec_lo, s4
	global_load_b128 v[45:48], v[49:50], off offset:5120
	s_and_saveexec_b32 s4, vcc_lo
	s_cbranch_execz .LBB41_44
.LBB41_58:                              ;   in Loop: Header=BB41_33 Depth=1
	v_cmp_gt_i32_e64 s0, s25, v92
	s_wait_loadcnt 0x0
	s_wait_alu 0xf1ff
	s_delay_alu instid0(VALU_DEP_1) | instskip(SKIP_2) | instid1(VALU_DEP_1)
	v_cndmask_b32_e64 v45, 0, v45, s0
	v_cmp_gt_i32_e64 s0, s25, v94
	s_wait_alu 0xf1ff
	v_cndmask_b32_e64 v46, 0, v46, s0
	v_cmp_gt_i32_e64 s0, s25, v93
	s_wait_alu 0xf1ff
	s_delay_alu instid0(VALU_DEP_1) | instskip(SKIP_2) | instid1(VALU_DEP_1)
	v_cndmask_b32_e64 v47, 0, v47, s0
	v_cmp_gt_i32_e64 s0, s25, v90
	s_wait_alu 0xf1ff
	v_cndmask_b32_e64 v48, 0, v48, s0
	s_wait_alu 0xfffe
	s_or_b32 exec_lo, exec_lo, s4
	global_load_b128 v[53:56], v[49:50], off offset:5632
	s_and_saveexec_b32 s4, vcc_lo
	s_cbranch_execz .LBB41_45
.LBB41_59:                              ;   in Loop: Header=BB41_33 Depth=1
	v_cmp_gt_i32_e64 s0, s25, v92
	s_wait_loadcnt 0x0
	s_wait_alu 0xf1ff
	s_delay_alu instid0(VALU_DEP_1) | instskip(SKIP_2) | instid1(VALU_DEP_1)
	v_cndmask_b32_e64 v53, 0, v53, s0
	v_cmp_gt_i32_e64 s0, s25, v94
	s_wait_alu 0xf1ff
	v_cndmask_b32_e64 v54, 0, v54, s0
	v_cmp_gt_i32_e64 s0, s25, v93
	s_wait_alu 0xf1ff
	s_delay_alu instid0(VALU_DEP_1) | instskip(SKIP_2) | instid1(VALU_DEP_1)
	v_cndmask_b32_e64 v55, 0, v55, s0
	v_cmp_gt_i32_e64 s0, s25, v90
	s_wait_alu 0xf1ff
	v_cndmask_b32_e64 v56, 0, v56, s0
	s_wait_alu 0xfffe
	s_or_b32 exec_lo, exec_lo, s4
	global_load_b128 v[57:60], v[49:50], off offset:6144
	s_and_saveexec_b32 s4, vcc_lo
	s_cbranch_execz .LBB41_46
.LBB41_60:                              ;   in Loop: Header=BB41_33 Depth=1
	v_cmp_gt_i32_e64 s0, s25, v92
	s_wait_loadcnt 0x0
	s_wait_alu 0xf1ff
	s_delay_alu instid0(VALU_DEP_1) | instskip(SKIP_2) | instid1(VALU_DEP_1)
	v_cndmask_b32_e64 v57, 0, v57, s0
	v_cmp_gt_i32_e64 s0, s25, v94
	s_wait_alu 0xf1ff
	v_cndmask_b32_e64 v58, 0, v58, s0
	v_cmp_gt_i32_e64 s0, s25, v93
	s_wait_alu 0xf1ff
	s_delay_alu instid0(VALU_DEP_1) | instskip(SKIP_2) | instid1(VALU_DEP_1)
	v_cndmask_b32_e64 v59, 0, v59, s0
	v_cmp_gt_i32_e64 s0, s25, v90
	s_wait_alu 0xf1ff
	v_cndmask_b32_e64 v60, 0, v60, s0
	s_wait_alu 0xfffe
	s_or_b32 exec_lo, exec_lo, s4
	global_load_b128 v[61:64], v[49:50], off offset:6656
	s_and_saveexec_b32 s4, vcc_lo
	s_cbranch_execz .LBB41_47
.LBB41_61:                              ;   in Loop: Header=BB41_33 Depth=1
	v_cmp_gt_i32_e64 s0, s25, v92
	s_wait_loadcnt 0x0
	s_wait_alu 0xf1ff
	s_delay_alu instid0(VALU_DEP_1) | instskip(SKIP_2) | instid1(VALU_DEP_1)
	v_cndmask_b32_e64 v61, 0, v61, s0
	v_cmp_gt_i32_e64 s0, s25, v94
	s_wait_alu 0xf1ff
	v_cndmask_b32_e64 v62, 0, v62, s0
	v_cmp_gt_i32_e64 s0, s25, v93
	s_wait_alu 0xf1ff
	s_delay_alu instid0(VALU_DEP_1) | instskip(SKIP_2) | instid1(VALU_DEP_1)
	v_cndmask_b32_e64 v63, 0, v63, s0
	v_cmp_gt_i32_e64 s0, s25, v90
	s_wait_alu 0xf1ff
	v_cndmask_b32_e64 v64, 0, v64, s0
	s_wait_alu 0xfffe
	s_or_b32 exec_lo, exec_lo, s4
	global_load_b128 v[49:52], v[49:50], off offset:7168
	s_and_saveexec_b32 s0, vcc_lo
	s_cbranch_execz .LBB41_32
.LBB41_62:                              ;   in Loop: Header=BB41_33 Depth=1
	v_cmp_gt_i32_e32 vcc_lo, s25, v92
	s_wait_loadcnt 0x0
	s_wait_alu 0xfffd
	v_cndmask_b32_e32 v49, 0, v49, vcc_lo
	v_cmp_gt_i32_e32 vcc_lo, s25, v94
	s_wait_alu 0xfffd
	v_cndmask_b32_e32 v50, 0, v50, vcc_lo
	v_cmp_gt_i32_e32 vcc_lo, s25, v93
	;; [unrolled: 3-line block ×3, first 2 shown]
	s_wait_alu 0xfffd
	v_cndmask_b32_e32 v52, 0, v52, vcc_lo
	s_branch .LBB41_32
.LBB41_63:
	s_or_b32 exec_lo, exec_lo, s3
.LBB41_64:
	s_wait_alu 0xfffe
	s_or_b32 exec_lo, exec_lo, s1
	ds_bpermute_b32 v1, v70, v85
	ds_bpermute_b32 v2, v70, v87
	;; [unrolled: 1-line block ×15, first 2 shown]
	s_mov_b32 s0, exec_lo
	s_wait_storecnt 0x0
	s_wait_loadcnt_dscnt 0x0
	s_barrier_signal -1
	s_barrier_wait -1
	global_inv scope:SCOPE_SE
	v_dual_add_f32 v1, v85, v1 :: v_dual_add_f32 v2, v87, v2
	v_dual_add_f32 v3, v86, v3 :: v_dual_add_f32 v4, v84, v4
	;; [unrolled: 1-line block ×3, first 2 shown]
	ds_bpermute_b32 v17, v71, v2
	v_dual_add_f32 v7, v81, v7 :: v_dual_add_f32 v8, v80, v8
	v_dual_add_f32 v9, v79, v9 :: v_dual_add_f32 v10, v78, v10
	;; [unrolled: 1-line block ×4, first 2 shown]
	v_add_f32_e32 v15, v73, v15
	ds_bpermute_b32 v16, v71, v1
	ds_bpermute_b32 v18, v71, v3
	;; [unrolled: 1-line block ×13, first 2 shown]
	s_wait_dscnt 0xd
	v_add_f32_e32 v2, v2, v17
	ds_bpermute_b32 v30, v71, v15
	v_and_b32_e32 v17, 28, v69
	s_wait_dscnt 0xd
	v_add_f32_e32 v1, v1, v16
	s_wait_dscnt 0xb
	v_dual_add_f32 v3, v3, v18 :: v_dual_add_f32 v4, v4, v19
	s_wait_dscnt 0x9
	v_dual_add_f32 v5, v5, v20 :: v_dual_add_f32 v6, v6, v21
	s_wait_dscnt 0x7
	v_dual_add_f32 v7, v7, v22 :: v_dual_add_f32 v8, v8, v23
	s_wait_dscnt 0x5
	v_dual_add_f32 v9, v9, v24 :: v_dual_add_f32 v10, v10, v25
	s_wait_dscnt 0x3
	v_dual_add_f32 v11, v11, v26 :: v_dual_add_f32 v12, v12, v27
	s_wait_dscnt 0x1
	v_dual_add_f32 v13, v13, v28 :: v_dual_add_f32 v14, v14, v29
	v_and_b32_e32 v19, 0x3c3, v0
	s_wait_dscnt 0x0
	v_add_f32_e32 v15, v15, v30
	v_lshrrev_b32_e32 v16, 2, v69
	v_add_nc_u32_e32 v17, 0x200, v17
	v_mul_u32_u24_e32 v18, 0x1e0, v67
	v_cmpx_eq_u32_e32 64, v19
	s_cbranch_execz .LBB41_66
; %bb.65:
	s_delay_alu instid0(VALU_DEP_2) | instskip(NEXT) | instid1(VALU_DEP_1)
	v_add_nc_u32_e32 v19, v17, v18
	v_add_nc_u32_e32 v20, 0xfffffc40, v19
	;; [unrolled: 1-line block ×9, first 2 shown]
	ds_store_b32 v20, v1
	ds_store_b32 v21, v2
	;; [unrolled: 1-line block ×8, first 2 shown]
	v_add_nc_u32_e32 v20, 0xfffffd40, v19
	v_add_nc_u32_e32 v21, 0xfffffd60, v19
	;; [unrolled: 1-line block ×7, first 2 shown]
	ds_store_b32 v20, v9
	ds_store_b32 v21, v10
	;; [unrolled: 1-line block ×7, first 2 shown]
.LBB41_66:
	s_wait_alu 0xfffe
	s_or_b32 exec_lo, exec_lo, s0
	v_lshlrev_b32_e32 v16, 2, v16
	s_mov_b32 s1, exec_lo
	v_cmp_eq_u32_e32 vcc_lo, 0, v72
	s_wait_loadcnt_dscnt 0x0
	s_barrier_signal -1
	v_add3_u32 v16, 0x200, v18, v16
	s_barrier_wait -1
	global_inv scope:SCOPE_SE
	v_cmpx_gt_u32_e32 64, v0
	s_cbranch_execz .LBB41_84
; %bb.67:
	s_and_saveexec_b32 s0, vcc_lo
	s_cbranch_execnz .LBB41_107
; %bb.68:
	s_wait_alu 0xfffe
	s_or_b32 exec_lo, exec_lo, s0
	s_and_saveexec_b32 s0, vcc_lo
	s_cbranch_execnz .LBB41_108
.LBB41_69:
	s_wait_alu 0xfffe
	s_or_b32 exec_lo, exec_lo, s0
	s_and_saveexec_b32 s0, vcc_lo
	s_cbranch_execnz .LBB41_109
.LBB41_70:
	s_wait_alu 0xfffe
	s_or_b32 exec_lo, exec_lo, s0
	s_and_saveexec_b32 s0, vcc_lo
	s_cbranch_execnz .LBB41_110
.LBB41_71:
	s_wait_alu 0xfffe
	s_or_b32 exec_lo, exec_lo, s0
	s_and_saveexec_b32 s0, vcc_lo
	s_cbranch_execnz .LBB41_111
.LBB41_72:
	s_wait_alu 0xfffe
	s_or_b32 exec_lo, exec_lo, s0
	s_and_saveexec_b32 s0, vcc_lo
	s_cbranch_execnz .LBB41_112
.LBB41_73:
	s_wait_alu 0xfffe
	s_or_b32 exec_lo, exec_lo, s0
	s_and_saveexec_b32 s0, vcc_lo
	s_cbranch_execnz .LBB41_113
.LBB41_74:
	s_wait_alu 0xfffe
	s_or_b32 exec_lo, exec_lo, s0
	s_and_saveexec_b32 s0, vcc_lo
	s_cbranch_execnz .LBB41_114
.LBB41_75:
	s_wait_alu 0xfffe
	s_or_b32 exec_lo, exec_lo, s0
	s_and_saveexec_b32 s0, vcc_lo
	s_cbranch_execnz .LBB41_115
.LBB41_76:
	s_wait_alu 0xfffe
	s_or_b32 exec_lo, exec_lo, s0
	s_and_saveexec_b32 s0, vcc_lo
	s_cbranch_execnz .LBB41_116
.LBB41_77:
	s_wait_alu 0xfffe
	s_or_b32 exec_lo, exec_lo, s0
	s_and_saveexec_b32 s0, vcc_lo
	s_cbranch_execnz .LBB41_117
.LBB41_78:
	s_wait_alu 0xfffe
	s_or_b32 exec_lo, exec_lo, s0
	s_and_saveexec_b32 s0, vcc_lo
	s_cbranch_execnz .LBB41_118
.LBB41_79:
	s_wait_alu 0xfffe
	s_or_b32 exec_lo, exec_lo, s0
	s_and_saveexec_b32 s0, vcc_lo
	s_cbranch_execnz .LBB41_119
.LBB41_80:
	s_wait_alu 0xfffe
	s_or_b32 exec_lo, exec_lo, s0
	s_and_saveexec_b32 s0, vcc_lo
	s_cbranch_execnz .LBB41_120
.LBB41_81:
	s_wait_alu 0xfffe
	s_or_b32 exec_lo, exec_lo, s0
	s_and_saveexec_b32 s0, vcc_lo
	s_cbranch_execz .LBB41_83
.LBB41_82:
	ds_load_b32 v18, v16 offset:448
	s_wait_dscnt 0x0
	v_add_f32_e32 v15, v15, v18
.LBB41_83:
	s_wait_alu 0xfffe
	s_or_b32 exec_lo, exec_lo, s0
.LBB41_84:
	s_wait_alu 0xfffe
	s_or_b32 exec_lo, exec_lo, s1
	v_and_b32_e32 v18, 0x3e3, v0
	s_mov_b32 s1, exec_lo
	s_wait_loadcnt 0x0
	s_barrier_signal -1
	s_barrier_wait -1
	global_inv scope:SCOPE_SE
	v_cmpx_eq_u32_e32 32, v18
	s_cbranch_execz .LBB41_86
; %bb.85:
	ds_store_2addr_b32 v17, v1, v2 offset1:8
	ds_store_2addr_b32 v17, v3, v4 offset0:16 offset1:24
	ds_store_2addr_b32 v17, v5, v6 offset0:32 offset1:40
	;; [unrolled: 1-line block ×6, first 2 shown]
	ds_store_b32 v17, v15 offset:448
.LBB41_86:
	s_wait_alu 0xfffe
	s_or_b32 exec_lo, exec_lo, s1
	s_delay_alu instid0(SALU_CYCLE_1)
	s_mov_b32 s1, exec_lo
	s_wait_loadcnt_dscnt 0x0
	s_barrier_signal -1
	s_barrier_wait -1
	global_inv scope:SCOPE_SE
	v_cmpx_gt_u32_e32 32, v0
	s_cbranch_execz .LBB41_104
; %bb.87:
	s_and_saveexec_b32 s0, vcc_lo
	s_cbranch_execnz .LBB41_121
; %bb.88:
	s_wait_alu 0xfffe
	s_or_b32 exec_lo, exec_lo, s0
	s_and_saveexec_b32 s0, vcc_lo
	s_cbranch_execnz .LBB41_122
.LBB41_89:
	s_wait_alu 0xfffe
	s_or_b32 exec_lo, exec_lo, s0
	s_and_saveexec_b32 s0, vcc_lo
	s_cbranch_execnz .LBB41_123
.LBB41_90:
	s_wait_alu 0xfffe
	s_or_b32 exec_lo, exec_lo, s0
	s_and_saveexec_b32 s0, vcc_lo
	s_cbranch_execnz .LBB41_124
.LBB41_91:
	s_wait_alu 0xfffe
	s_or_b32 exec_lo, exec_lo, s0
	s_and_saveexec_b32 s0, vcc_lo
	s_cbranch_execnz .LBB41_125
.LBB41_92:
	s_wait_alu 0xfffe
	s_or_b32 exec_lo, exec_lo, s0
	s_and_saveexec_b32 s0, vcc_lo
	s_cbranch_execnz .LBB41_126
.LBB41_93:
	s_wait_alu 0xfffe
	s_or_b32 exec_lo, exec_lo, s0
	s_and_saveexec_b32 s0, vcc_lo
	s_cbranch_execnz .LBB41_127
.LBB41_94:
	s_wait_alu 0xfffe
	s_or_b32 exec_lo, exec_lo, s0
	s_and_saveexec_b32 s0, vcc_lo
	s_cbranch_execnz .LBB41_128
.LBB41_95:
	s_wait_alu 0xfffe
	s_or_b32 exec_lo, exec_lo, s0
	s_and_saveexec_b32 s0, vcc_lo
	s_cbranch_execnz .LBB41_129
.LBB41_96:
	s_wait_alu 0xfffe
	s_or_b32 exec_lo, exec_lo, s0
	s_and_saveexec_b32 s0, vcc_lo
	s_cbranch_execnz .LBB41_130
.LBB41_97:
	s_wait_alu 0xfffe
	s_or_b32 exec_lo, exec_lo, s0
	s_and_saveexec_b32 s0, vcc_lo
	s_cbranch_execnz .LBB41_131
.LBB41_98:
	s_wait_alu 0xfffe
	s_or_b32 exec_lo, exec_lo, s0
	s_and_saveexec_b32 s0, vcc_lo
	s_cbranch_execnz .LBB41_132
.LBB41_99:
	s_wait_alu 0xfffe
	s_or_b32 exec_lo, exec_lo, s0
	s_and_saveexec_b32 s0, vcc_lo
	s_cbranch_execnz .LBB41_133
.LBB41_100:
	s_wait_alu 0xfffe
	s_or_b32 exec_lo, exec_lo, s0
	s_and_saveexec_b32 s0, vcc_lo
	s_cbranch_execnz .LBB41_134
.LBB41_101:
	s_wait_alu 0xfffe
	s_or_b32 exec_lo, exec_lo, s0
	s_and_saveexec_b32 s0, vcc_lo
	s_cbranch_execz .LBB41_103
.LBB41_102:
	ds_load_b32 v16, v16 offset:448
	s_wait_dscnt 0x0
	v_add_f32_e32 v15, v15, v16
.LBB41_103:
	s_wait_alu 0xfffe
	s_or_b32 exec_lo, exec_lo, s0
.LBB41_104:
	s_wait_alu 0xfffe
	s_or_b32 exec_lo, exec_lo, s1
	s_mov_b32 s1, 0
	s_wait_loadcnt 0x0
	s_barrier_signal -1
	s_barrier_wait -1
	global_inv scope:SCOPE_SE
	s_mov_b32 s0, exec_lo
	v_cmpx_eq_u32_e32 0, v18
	s_cbranch_execz .LBB41_106
; %bb.105:
	s_mul_i32 s2, s14, 0x78
	s_mul_i32 s4, s8, s12
	s_wait_alu 0xfffe
	s_ashr_i32 s3, s2, 31
	s_ashr_i32 s5, s4, 31
	s_wait_alu 0xfffe
	s_lshl_b64 s[2:3], s[2:3], 2
	s_lshl_b64 s[4:5], s[4:5], 2
	s_wait_alu 0xfffe
	s_add_nc_u64 s[2:3], s[10:11], s[2:3]
	s_mul_i32 s0, s24, 0x1e0
	s_wait_alu 0xfffe
	s_add_nc_u64 s[2:3], s[2:3], s[4:5]
	s_wait_alu 0xfffe
	s_add_nc_u64 s[0:1], s[2:3], s[0:1]
	s_clause 0xe
	global_store_b32 v0, v1, s[0:1]
	global_store_b32 v0, v2, s[0:1] offset:32
	global_store_b32 v0, v3, s[0:1] offset:64
	;; [unrolled: 1-line block ×14, first 2 shown]
.LBB41_106:
	s_nop 0
	s_sendmsg sendmsg(MSG_DEALLOC_VGPRS)
	s_endpgm
.LBB41_107:
	ds_load_b32 v18, v16
	s_wait_dscnt 0x0
	v_add_f32_e32 v1, v1, v18
	s_wait_alu 0xfffe
	s_or_b32 exec_lo, exec_lo, s0
	s_and_saveexec_b32 s0, vcc_lo
	s_cbranch_execz .LBB41_69
.LBB41_108:
	ds_load_b32 v18, v16 offset:32
	s_wait_dscnt 0x0
	v_add_f32_e32 v2, v2, v18
	s_wait_alu 0xfffe
	s_or_b32 exec_lo, exec_lo, s0
	s_and_saveexec_b32 s0, vcc_lo
	s_cbranch_execz .LBB41_70
.LBB41_109:
	ds_load_b32 v18, v16 offset:64
	s_wait_dscnt 0x0
	v_add_f32_e32 v3, v3, v18
	s_wait_alu 0xfffe
	s_or_b32 exec_lo, exec_lo, s0
	s_and_saveexec_b32 s0, vcc_lo
	s_cbranch_execz .LBB41_71
.LBB41_110:
	ds_load_b32 v18, v16 offset:96
	s_wait_dscnt 0x0
	v_add_f32_e32 v4, v4, v18
	s_wait_alu 0xfffe
	s_or_b32 exec_lo, exec_lo, s0
	s_and_saveexec_b32 s0, vcc_lo
	s_cbranch_execz .LBB41_72
.LBB41_111:
	ds_load_b32 v18, v16 offset:128
	s_wait_dscnt 0x0
	v_add_f32_e32 v5, v5, v18
	s_wait_alu 0xfffe
	s_or_b32 exec_lo, exec_lo, s0
	s_and_saveexec_b32 s0, vcc_lo
	s_cbranch_execz .LBB41_73
.LBB41_112:
	ds_load_b32 v18, v16 offset:160
	s_wait_dscnt 0x0
	v_add_f32_e32 v6, v6, v18
	s_wait_alu 0xfffe
	s_or_b32 exec_lo, exec_lo, s0
	s_and_saveexec_b32 s0, vcc_lo
	s_cbranch_execz .LBB41_74
.LBB41_113:
	ds_load_b32 v18, v16 offset:192
	s_wait_dscnt 0x0
	v_add_f32_e32 v7, v7, v18
	s_wait_alu 0xfffe
	s_or_b32 exec_lo, exec_lo, s0
	s_and_saveexec_b32 s0, vcc_lo
	s_cbranch_execz .LBB41_75
.LBB41_114:
	ds_load_b32 v18, v16 offset:224
	s_wait_dscnt 0x0
	v_add_f32_e32 v8, v8, v18
	s_wait_alu 0xfffe
	s_or_b32 exec_lo, exec_lo, s0
	s_and_saveexec_b32 s0, vcc_lo
	s_cbranch_execz .LBB41_76
.LBB41_115:
	ds_load_b32 v18, v16 offset:256
	s_wait_dscnt 0x0
	v_add_f32_e32 v9, v9, v18
	s_wait_alu 0xfffe
	s_or_b32 exec_lo, exec_lo, s0
	s_and_saveexec_b32 s0, vcc_lo
	s_cbranch_execz .LBB41_77
.LBB41_116:
	ds_load_b32 v18, v16 offset:288
	s_wait_dscnt 0x0
	v_add_f32_e32 v10, v10, v18
	s_wait_alu 0xfffe
	s_or_b32 exec_lo, exec_lo, s0
	s_and_saveexec_b32 s0, vcc_lo
	s_cbranch_execz .LBB41_78
.LBB41_117:
	ds_load_b32 v18, v16 offset:320
	s_wait_dscnt 0x0
	v_add_f32_e32 v11, v11, v18
	s_wait_alu 0xfffe
	s_or_b32 exec_lo, exec_lo, s0
	s_and_saveexec_b32 s0, vcc_lo
	s_cbranch_execz .LBB41_79
.LBB41_118:
	ds_load_b32 v18, v16 offset:352
	s_wait_dscnt 0x0
	v_add_f32_e32 v12, v12, v18
	s_wait_alu 0xfffe
	s_or_b32 exec_lo, exec_lo, s0
	s_and_saveexec_b32 s0, vcc_lo
	s_cbranch_execz .LBB41_80
.LBB41_119:
	ds_load_b32 v18, v16 offset:384
	s_wait_dscnt 0x0
	v_add_f32_e32 v13, v13, v18
	s_wait_alu 0xfffe
	s_or_b32 exec_lo, exec_lo, s0
	s_and_saveexec_b32 s0, vcc_lo
	s_cbranch_execz .LBB41_81
.LBB41_120:
	ds_load_b32 v18, v16 offset:416
	s_wait_dscnt 0x0
	v_add_f32_e32 v14, v14, v18
	s_wait_alu 0xfffe
	s_or_b32 exec_lo, exec_lo, s0
	s_and_saveexec_b32 s0, vcc_lo
	s_cbranch_execnz .LBB41_82
	s_branch .LBB41_83
.LBB41_121:
	ds_load_b32 v17, v16
	s_wait_dscnt 0x0
	v_add_f32_e32 v1, v1, v17
	s_wait_alu 0xfffe
	s_or_b32 exec_lo, exec_lo, s0
	s_and_saveexec_b32 s0, vcc_lo
	s_cbranch_execz .LBB41_89
.LBB41_122:
	ds_load_b32 v17, v16 offset:32
	s_wait_dscnt 0x0
	v_add_f32_e32 v2, v2, v17
	s_wait_alu 0xfffe
	s_or_b32 exec_lo, exec_lo, s0
	s_and_saveexec_b32 s0, vcc_lo
	s_cbranch_execz .LBB41_90
.LBB41_123:
	ds_load_b32 v17, v16 offset:64
	s_wait_dscnt 0x0
	v_add_f32_e32 v3, v3, v17
	s_wait_alu 0xfffe
	s_or_b32 exec_lo, exec_lo, s0
	s_and_saveexec_b32 s0, vcc_lo
	s_cbranch_execz .LBB41_91
.LBB41_124:
	ds_load_b32 v17, v16 offset:96
	s_wait_dscnt 0x0
	v_add_f32_e32 v4, v4, v17
	s_wait_alu 0xfffe
	s_or_b32 exec_lo, exec_lo, s0
	s_and_saveexec_b32 s0, vcc_lo
	s_cbranch_execz .LBB41_92
.LBB41_125:
	ds_load_b32 v17, v16 offset:128
	s_wait_dscnt 0x0
	v_add_f32_e32 v5, v5, v17
	s_wait_alu 0xfffe
	s_or_b32 exec_lo, exec_lo, s0
	s_and_saveexec_b32 s0, vcc_lo
	s_cbranch_execz .LBB41_93
.LBB41_126:
	ds_load_b32 v17, v16 offset:160
	s_wait_dscnt 0x0
	v_add_f32_e32 v6, v6, v17
	s_wait_alu 0xfffe
	s_or_b32 exec_lo, exec_lo, s0
	s_and_saveexec_b32 s0, vcc_lo
	s_cbranch_execz .LBB41_94
.LBB41_127:
	ds_load_b32 v17, v16 offset:192
	s_wait_dscnt 0x0
	v_add_f32_e32 v7, v7, v17
	s_wait_alu 0xfffe
	s_or_b32 exec_lo, exec_lo, s0
	s_and_saveexec_b32 s0, vcc_lo
	s_cbranch_execz .LBB41_95
.LBB41_128:
	ds_load_b32 v17, v16 offset:224
	s_wait_dscnt 0x0
	v_add_f32_e32 v8, v8, v17
	s_wait_alu 0xfffe
	s_or_b32 exec_lo, exec_lo, s0
	s_and_saveexec_b32 s0, vcc_lo
	s_cbranch_execz .LBB41_96
.LBB41_129:
	ds_load_b32 v17, v16 offset:256
	s_wait_dscnt 0x0
	v_add_f32_e32 v9, v9, v17
	s_wait_alu 0xfffe
	s_or_b32 exec_lo, exec_lo, s0
	s_and_saveexec_b32 s0, vcc_lo
	s_cbranch_execz .LBB41_97
.LBB41_130:
	ds_load_b32 v17, v16 offset:288
	s_wait_dscnt 0x0
	v_add_f32_e32 v10, v10, v17
	s_wait_alu 0xfffe
	s_or_b32 exec_lo, exec_lo, s0
	s_and_saveexec_b32 s0, vcc_lo
	s_cbranch_execz .LBB41_98
.LBB41_131:
	ds_load_b32 v17, v16 offset:320
	s_wait_dscnt 0x0
	v_add_f32_e32 v11, v11, v17
	s_wait_alu 0xfffe
	s_or_b32 exec_lo, exec_lo, s0
	s_and_saveexec_b32 s0, vcc_lo
	s_cbranch_execz .LBB41_99
.LBB41_132:
	ds_load_b32 v17, v16 offset:352
	s_wait_dscnt 0x0
	v_add_f32_e32 v12, v12, v17
	s_wait_alu 0xfffe
	s_or_b32 exec_lo, exec_lo, s0
	s_and_saveexec_b32 s0, vcc_lo
	s_cbranch_execz .LBB41_100
.LBB41_133:
	ds_load_b32 v17, v16 offset:384
	s_wait_dscnt 0x0
	v_add_f32_e32 v13, v13, v17
	s_wait_alu 0xfffe
	s_or_b32 exec_lo, exec_lo, s0
	s_and_saveexec_b32 s0, vcc_lo
	s_cbranch_execz .LBB41_101
.LBB41_134:
	ds_load_b32 v17, v16 offset:416
	s_wait_dscnt 0x0
	v_add_f32_e32 v14, v14, v17
	s_wait_alu 0xfffe
	s_or_b32 exec_lo, exec_lo, s0
	s_and_saveexec_b32 s0, vcc_lo
	s_cbranch_execnz .LBB41_102
	s_branch .LBB41_103
	.section	.rodata,"a",@progbits
	.p2align	6, 0x0
	.amdhsa_kernel _ZN4vllm25paged_attention_v2_kernelIffLi120ELi16ELi128ELNS_18Fp8KVCacheDataTypeE0ELb0ELi512EEEvPfS2_PT_PKS3_PKT0_S9_ifPKiSB_iPKfiiiSD_SD_iiiii
		.amdhsa_group_segment_fixed_size 512
		.amdhsa_private_segment_fixed_size 0
		.amdhsa_kernarg_size 400
		.amdhsa_user_sgpr_count 2
		.amdhsa_user_sgpr_dispatch_ptr 0
		.amdhsa_user_sgpr_queue_ptr 0
		.amdhsa_user_sgpr_kernarg_segment_ptr 1
		.amdhsa_user_sgpr_dispatch_id 0
		.amdhsa_user_sgpr_private_segment_size 0
		.amdhsa_wavefront_size32 1
		.amdhsa_uses_dynamic_stack 0
		.amdhsa_enable_private_segment 0
		.amdhsa_system_sgpr_workgroup_id_x 1
		.amdhsa_system_sgpr_workgroup_id_y 1
		.amdhsa_system_sgpr_workgroup_id_z 1
		.amdhsa_system_sgpr_workgroup_info 0
		.amdhsa_system_vgpr_workitem_id 0
		.amdhsa_next_free_vgpr 127
		.amdhsa_next_free_sgpr 32
		.amdhsa_reserve_vcc 1
		.amdhsa_float_round_mode_32 0
		.amdhsa_float_round_mode_16_64 0
		.amdhsa_float_denorm_mode_32 3
		.amdhsa_float_denorm_mode_16_64 3
		.amdhsa_fp16_overflow 0
		.amdhsa_workgroup_processor_mode 1
		.amdhsa_memory_ordered 1
		.amdhsa_forward_progress 1
		.amdhsa_inst_pref_size 70
		.amdhsa_round_robin_scheduling 0
		.amdhsa_exception_fp_ieee_invalid_op 0
		.amdhsa_exception_fp_denorm_src 0
		.amdhsa_exception_fp_ieee_div_zero 0
		.amdhsa_exception_fp_ieee_overflow 0
		.amdhsa_exception_fp_ieee_underflow 0
		.amdhsa_exception_fp_ieee_inexact 0
		.amdhsa_exception_int_div_zero 0
	.end_amdhsa_kernel
	.section	.text._ZN4vllm25paged_attention_v2_kernelIffLi120ELi16ELi128ELNS_18Fp8KVCacheDataTypeE0ELb0ELi512EEEvPfS2_PT_PKS3_PKT0_S9_ifPKiSB_iPKfiiiSD_SD_iiiii,"axG",@progbits,_ZN4vllm25paged_attention_v2_kernelIffLi120ELi16ELi128ELNS_18Fp8KVCacheDataTypeE0ELb0ELi512EEEvPfS2_PT_PKS3_PKT0_S9_ifPKiSB_iPKfiiiSD_SD_iiiii,comdat
.Lfunc_end41:
	.size	_ZN4vllm25paged_attention_v2_kernelIffLi120ELi16ELi128ELNS_18Fp8KVCacheDataTypeE0ELb0ELi512EEEvPfS2_PT_PKS3_PKT0_S9_ifPKiSB_iPKfiiiSD_SD_iiiii, .Lfunc_end41-_ZN4vllm25paged_attention_v2_kernelIffLi120ELi16ELi128ELNS_18Fp8KVCacheDataTypeE0ELb0ELi512EEEvPfS2_PT_PKS3_PKT0_S9_ifPKiSB_iPKfiiiSD_SD_iiiii
                                        ; -- End function
	.set _ZN4vllm25paged_attention_v2_kernelIffLi120ELi16ELi128ELNS_18Fp8KVCacheDataTypeE0ELb0ELi512EEEvPfS2_PT_PKS3_PKT0_S9_ifPKiSB_iPKfiiiSD_SD_iiiii.num_vgpr, 127
	.set _ZN4vllm25paged_attention_v2_kernelIffLi120ELi16ELi128ELNS_18Fp8KVCacheDataTypeE0ELb0ELi512EEEvPfS2_PT_PKS3_PKT0_S9_ifPKiSB_iPKfiiiSD_SD_iiiii.num_agpr, 0
	.set _ZN4vllm25paged_attention_v2_kernelIffLi120ELi16ELi128ELNS_18Fp8KVCacheDataTypeE0ELb0ELi512EEEvPfS2_PT_PKS3_PKT0_S9_ifPKiSB_iPKfiiiSD_SD_iiiii.numbered_sgpr, 32
	.set _ZN4vllm25paged_attention_v2_kernelIffLi120ELi16ELi128ELNS_18Fp8KVCacheDataTypeE0ELb0ELi512EEEvPfS2_PT_PKS3_PKT0_S9_ifPKiSB_iPKfiiiSD_SD_iiiii.num_named_barrier, 0
	.set _ZN4vllm25paged_attention_v2_kernelIffLi120ELi16ELi128ELNS_18Fp8KVCacheDataTypeE0ELb0ELi512EEEvPfS2_PT_PKS3_PKT0_S9_ifPKiSB_iPKfiiiSD_SD_iiiii.private_seg_size, 0
	.set _ZN4vllm25paged_attention_v2_kernelIffLi120ELi16ELi128ELNS_18Fp8KVCacheDataTypeE0ELb0ELi512EEEvPfS2_PT_PKS3_PKT0_S9_ifPKiSB_iPKfiiiSD_SD_iiiii.uses_vcc, 1
	.set _ZN4vllm25paged_attention_v2_kernelIffLi120ELi16ELi128ELNS_18Fp8KVCacheDataTypeE0ELb0ELi512EEEvPfS2_PT_PKS3_PKT0_S9_ifPKiSB_iPKfiiiSD_SD_iiiii.uses_flat_scratch, 0
	.set _ZN4vllm25paged_attention_v2_kernelIffLi120ELi16ELi128ELNS_18Fp8KVCacheDataTypeE0ELb0ELi512EEEvPfS2_PT_PKS3_PKT0_S9_ifPKiSB_iPKfiiiSD_SD_iiiii.has_dyn_sized_stack, 0
	.set _ZN4vllm25paged_attention_v2_kernelIffLi120ELi16ELi128ELNS_18Fp8KVCacheDataTypeE0ELb0ELi512EEEvPfS2_PT_PKS3_PKT0_S9_ifPKiSB_iPKfiiiSD_SD_iiiii.has_recursion, 0
	.set _ZN4vllm25paged_attention_v2_kernelIffLi120ELi16ELi128ELNS_18Fp8KVCacheDataTypeE0ELb0ELi512EEEvPfS2_PT_PKS3_PKT0_S9_ifPKiSB_iPKfiiiSD_SD_iiiii.has_indirect_call, 0
	.section	.AMDGPU.csdata,"",@progbits
; Kernel info:
; codeLenInByte = 8896
; TotalNumSgprs: 34
; NumVgprs: 127
; ScratchSize: 0
; MemoryBound: 0
; FloatMode: 240
; IeeeMode: 1
; LDSByteSize: 512 bytes/workgroup (compile time only)
; SGPRBlocks: 0
; VGPRBlocks: 15
; NumSGPRsForWavesPerEU: 34
; NumVGPRsForWavesPerEU: 127
; Occupancy: 10
; WaveLimiterHint : 1
; COMPUTE_PGM_RSRC2:SCRATCH_EN: 0
; COMPUTE_PGM_RSRC2:USER_SGPR: 2
; COMPUTE_PGM_RSRC2:TRAP_HANDLER: 0
; COMPUTE_PGM_RSRC2:TGID_X_EN: 1
; COMPUTE_PGM_RSRC2:TGID_Y_EN: 1
; COMPUTE_PGM_RSRC2:TGID_Z_EN: 1
; COMPUTE_PGM_RSRC2:TIDIG_COMP_CNT: 0
	.section	.text._ZN4vllm25paged_attention_v2_kernelIffLi128ELi16ELi128ELNS_18Fp8KVCacheDataTypeE0ELb0ELi512EEEvPfS2_PT_PKS3_PKT0_S9_ifPKiSB_iPKfiiiSD_SD_iiiii,"axG",@progbits,_ZN4vllm25paged_attention_v2_kernelIffLi128ELi16ELi128ELNS_18Fp8KVCacheDataTypeE0ELb0ELi512EEEvPfS2_PT_PKS3_PKT0_S9_ifPKiSB_iPKfiiiSD_SD_iiiii,comdat
	.protected	_ZN4vllm25paged_attention_v2_kernelIffLi128ELi16ELi128ELNS_18Fp8KVCacheDataTypeE0ELb0ELi512EEEvPfS2_PT_PKS3_PKT0_S9_ifPKiSB_iPKfiiiSD_SD_iiiii ; -- Begin function _ZN4vllm25paged_attention_v2_kernelIffLi128ELi16ELi128ELNS_18Fp8KVCacheDataTypeE0ELb0ELi512EEEvPfS2_PT_PKS3_PKT0_S9_ifPKiSB_iPKfiiiSD_SD_iiiii
	.globl	_ZN4vllm25paged_attention_v2_kernelIffLi128ELi16ELi128ELNS_18Fp8KVCacheDataTypeE0ELb0ELi512EEEvPfS2_PT_PKS3_PKT0_S9_ifPKiSB_iPKfiiiSD_SD_iiiii
	.p2align	8
	.type	_ZN4vllm25paged_attention_v2_kernelIffLi128ELi16ELi128ELNS_18Fp8KVCacheDataTypeE0ELb0ELi512EEEvPfS2_PT_PKS3_PKT0_S9_ifPKiSB_iPKfiiiSD_SD_iiiii,@function
_ZN4vllm25paged_attention_v2_kernelIffLi128ELi16ELi128ELNS_18Fp8KVCacheDataTypeE0ELb0ELi512EEEvPfS2_PT_PKS3_PKT0_S9_ifPKiSB_iPKfiiiSD_SD_iiiii: ; @_ZN4vllm25paged_attention_v2_kernelIffLi128ELi16ELi128ELNS_18Fp8KVCacheDataTypeE0ELb0ELi512EEEvPfS2_PT_PKS3_PKT0_S9_ifPKiSB_iPKfiiiSD_SD_iiiii
; %bb.0:
	s_load_b64 s[2:3], s[0:1], 0x40
	s_and_b32 s27, ttmp7, 0xffff
	s_lshr_b32 s26, ttmp7, 16
	s_lshl_b32 s4, s27, 2
	s_lshl_b32 s16, s26, 9
	s_wait_kmcnt 0x0
	s_load_b32 s17, s[2:3], s4 offset:0x0
	s_wait_kmcnt 0x0
	s_cmp_ge_i32 s16, s17
	s_cbranch_scc1 .LBB42_110
; %bb.1:
	s_clause 0x1
	s_load_b32 s28, s[0:1], 0x90
	s_load_b64 s[6:7], s[0:1], 0x30
	s_wait_kmcnt 0x0
	s_abs_i32 s5, s28
	s_abs_i32 s2, s6
	s_delay_alu instid0(SALU_CYCLE_1) | instskip(SKIP_1) | instid1(SALU_CYCLE_2)
	s_cvt_f32_u32 s3, s2
	s_sub_co_i32 s4, 0, s2
	v_rcp_iflag_f32_e32 v1, s3
	s_delay_alu instid0(TRANS32_DEP_1) | instskip(SKIP_2) | instid1(SALU_CYCLE_2)
	v_readfirstlane_b32 s3, v1
	s_mul_f32 s3, s3, 0x4f7ffffe
	s_wait_alu 0xfffe
	s_cvt_u32_f32 s3, s3
	s_wait_alu 0xfffe
	s_delay_alu instid0(SALU_CYCLE_2) | instskip(NEXT) | instid1(SALU_CYCLE_1)
	s_mul_i32 s4, s4, s3
	s_mul_hi_u32 s4, s3, s4
	s_delay_alu instid0(SALU_CYCLE_1)
	s_add_co_i32 s3, s3, s4
	s_xor_b32 s4, s28, s6
	s_wait_alu 0xfffe
	s_mul_hi_u32 s3, s5, s3
	s_ashr_i32 s4, s4, 31
	s_wait_alu 0xfffe
	s_mul_i32 s6, s3, s2
	s_delay_alu instid0(SALU_CYCLE_1)
	s_sub_co_i32 s5, s5, s6
	s_add_co_i32 s6, s3, 1
	s_sub_co_i32 s8, s5, s2
	s_cmp_ge_u32 s5, s2
	s_cselect_b32 s3, s6, s3
	s_cselect_b32 s5, s8, s5
	s_wait_alu 0xfffe
	s_add_co_i32 s6, s3, 1
	s_cmp_ge_u32 s5, s2
	s_load_b64 s[8:9], s[0:1], 0x50
	s_cselect_b32 s2, s6, s3
	s_mov_b32 s5, 0
	s_wait_alu 0xfffe
	s_xor_b32 s2, s2, s4
	s_mov_b32 s10, s5
	s_wait_alu 0xfffe
	s_sub_co_i32 s11, s2, s4
	s_abs_i32 s4, ttmp9
	s_abs_i32 s6, s11
	s_delay_alu instid0(SALU_CYCLE_1) | instskip(SKIP_2) | instid1(SALU_CYCLE_1)
	s_cvt_f32_u32 s2, s6
	s_sub_co_i32 s3, 0, s6
	s_wait_alu 0xfffe
	v_rcp_iflag_f32_e32 v1, s2
	s_delay_alu instid0(TRANS32_DEP_1) | instskip(SKIP_2) | instid1(SALU_CYCLE_2)
	v_readfirstlane_b32 s2, v1
	s_mul_f32 s2, s2, 0x4f7ffffe
	s_wait_alu 0xfffe
	s_cvt_u32_f32 s2, s2
	s_wait_alu 0xfffe
	s_delay_alu instid0(SALU_CYCLE_2)
	s_mul_i32 s3, s3, s2
	s_wait_alu 0xfffe
	s_mul_hi_u32 s3, s2, s3
	s_wait_alu 0xfffe
	s_add_co_i32 s2, s2, s3
	s_mov_b32 s3, s5
	s_wait_kmcnt 0x0
	s_cmp_eq_u64 s[8:9], 0
	s_cbranch_scc1 .LBB42_3
; %bb.2:
	s_mov_b32 s12, ttmp9
	s_ashr_i32 s13, ttmp9, 31
	s_delay_alu instid0(SALU_CYCLE_1) | instskip(NEXT) | instid1(SALU_CYCLE_1)
	s_lshl_b64 s[12:13], s[12:13], 2
	s_add_nc_u64 s[8:9], s[8:9], s[12:13]
	s_load_b32 s10, s[8:9], 0x0
.LBB42_3:
	s_load_b96 s[12:14], s[0:1], 0x58
	s_mul_u64 s[2:3], s[4:5], s[2:3]
	v_and_b32_e32 v65, 1, v0
	v_cmp_gt_u32_e64 s2, 64, v0
	v_lshlrev_b32_e32 v1, 3, v0
	v_lshlrev_b32_e32 v67, 2, v0
	s_ashr_i32 s5, ttmp9, 31
	s_ashr_i32 s8, s11, 31
	s_lshl_b32 s18, ttmp9, 7
	s_wait_alu 0xfffe
	s_and_saveexec_b32 s9, s2
	s_cbranch_execz .LBB42_5
; %bb.4:
	s_load_b64 s[20:21], s[0:1], 0x18
	s_wait_kmcnt 0x0
	s_mul_i32 s22, s12, s27
	s_ashr_i32 s19, s18, 31
	s_ashr_i32 s23, s22, 31
	v_and_b32_e32 v4, 0xff8, v67
	s_lshl_b64 s[22:23], s[22:23], 2
	s_delay_alu instid0(VALU_DEP_1) | instskip(SKIP_2) | instid1(SALU_CYCLE_1)
	v_lshl_add_u32 v4, v65, 8, v4
	s_add_nc_u64 s[20:21], s[20:21], s[22:23]
	s_lshl_b64 s[22:23], s[18:19], 2
	s_add_nc_u64 s[20:21], s[20:21], s[22:23]
	global_load_b64 v[2:3], v1, s[20:21]
	s_wait_loadcnt 0x0
	ds_store_b64 v4, v[2:3]
.LBB42_5:
	s_or_b32 exec_lo, exec_lo, s9
	s_add_co_i32 s9, s17, 15
	s_xor_b32 s5, s5, s8
	s_ashr_i32 s11, s9, 31
	s_lshl_b32 s30, s26, 5
	s_lshr_b32 s8, s11, 28
	s_mul_i32 s11, s3, s6
	s_add_co_i32 s9, s9, s8
	s_add_co_i32 s8, s30, 32
	s_ashr_i32 s29, s9, 4
	s_load_b32 s9, s[0:1], 0x48
	s_sub_co_i32 s4, s4, s11
	s_min_i32 s19, s8, s29
	s_add_co_i32 s8, s3, 1
	s_sub_co_i32 s11, s4, s6
	s_cmp_ge_u32 s4, s6
	v_lshrrev_b32_e32 v71, 5, v0
	s_cselect_b32 s3, s8, s3
	s_cselect_b32 s4, s11, s4
	s_wait_alu 0xfffe
	s_add_co_i32 s8, s3, 1
	s_cmp_ge_u32 s4, s6
	v_or_b32_e32 v72, s30, v71
	s_cselect_b32 s3, s8, s3
	v_mbcnt_lo_u32_b32 v69, -1, 0
	s_wait_alu 0xfffe
	s_xor_b32 s3, s3, s5
	s_wait_dscnt 0x0
	s_wait_alu 0xfffe
	s_sub_co_i32 s4, s3, s5
	v_cmp_gt_i32_e64 s3, s19, v72
	s_mov_b32 s5, exec_lo
	s_barrier_signal -1
	s_wait_kmcnt 0x0
	s_mul_i32 s20, s9, s27
	s_barrier_wait -1
	s_ashr_i32 s21, s20, 31
	global_inv scope:SCOPE_SE
                                        ; implicit-def: $vgpr70
                                        ; implicit-def: $vgpr75
	v_cmpx_le_i32_e64 s19, v72
	s_xor_b32 s5, exec_lo, s5
; %bb.6:
	v_dual_mov_b32 v70, 0 :: v_dual_mov_b32 v75, 32
	v_mbcnt_lo_u32_b32 v69, -1, 0
                                        ; implicit-def: $vgpr1
                                        ; implicit-def: $vgpr65
; %bb.7:
	s_or_saveexec_b32 s8, s5
	s_clause 0x1
	s_load_b64 s[22:23], s[0:1], 0x38
	s_load_b32 s12, s[0:1], 0x98
	v_dual_mov_b32 v73, 0xff7fffff :: v_dual_lshlrev_b32 v68, 2, v72
	s_mul_i32 s14, s4, s14
	s_xor_b32 exec_lo, exec_lo, s8
	s_cbranch_execz .LBB42_13
; %bb.8:
	s_load_b64 s[4:5], s[0:1], 0x20
	v_bfe_u32 v66, v0, 1, 4
	s_ashr_i32 s15, s14, 31
	v_dual_mov_b32 v70, 0 :: v_dual_and_b32 v33, 8, v1
	s_lshl_b64 s[24:25], s[14:15], 2
	s_delay_alu instid0(VALU_DEP_2)
	v_lshlrev_b32_e32 v25, 4, v66
	v_xor_b32_e32 v49, 1, v69
	v_dual_mov_b32 v80, v72 :: v_dual_lshlrev_b32 v61, 8, v65
	ds_load_b128 v[1:4], v61
	ds_load_b128 v[5:8], v61 offset:16
	ds_load_b128 v[9:12], v61 offset:32
	;; [unrolled: 1-line block ×5, first 2 shown]
	v_lshlrev_b32_e32 v73, 2, v66
	s_cmp_neq_f32 s10, 0
	v_dual_mov_b32 v75, 32 :: v_dual_lshlrev_b32 v78, 4, v71
	s_mov_b32 s11, s13
	s_delay_alu instid0(VALU_DEP_2)
	v_lshl_or_b32 v73, v71, 6, v73
	s_wait_kmcnt 0x0
	s_add_nc_u64 s[4:5], s[4:5], s[24:25]
	s_mov_b32 s9, 0
	v_add_co_u32 v34, s4, s4, v25
	s_wait_alu 0xf1ff
	v_add_co_ci_u32_e64 v35, null, s5, 0, s4
	ds_load_b128 v[25:28], v61 offset:96
	ds_load_b128 v[29:32], v61 offset:112
	v_add_co_u32 v74, vcc_lo, v34, v33
	s_delay_alu instid0(VALU_DEP_1)
	v_add_co_ci_u32_e64 v76, null, 0, v35, vcc_lo
	v_cmp_gt_i32_e32 vcc_lo, 32, v49
	ds_load_b128 v[33:36], v61 offset:128
	ds_load_b128 v[37:40], v61 offset:144
	;; [unrolled: 1-line block ×4, first 2 shown]
	s_cselect_b32 s4, -1, 0
	s_lshl_b64 s[24:25], s[20:21], 2
	v_add3_u32 v78, s16, v78, v66
	s_wait_alu 0xfffd
	v_cndmask_b32_e32 v77, v69, v49, vcc_lo
	ds_load_b128 v[49:52], v61 offset:192
	ds_load_b128 v[53:56], v61 offset:208
	;; [unrolled: 1-line block ×4, first 2 shown]
	s_add_nc_u64 s[24:25], s[22:23], s[24:25]
	v_cmp_eq_u32_e32 vcc_lo, 0, v65
	v_add_co_u32 v65, s5, s24, v68
	v_lshlrev_b32_e32 v77, 2, v77
	v_add_nc_u32_e32 v79, 0x220, v73
	s_wait_alu 0xf1ff
	v_add_co_ci_u32_e64 v66, null, s25, 0, s5
	v_mov_b32_e32 v73, 0xff7fffff
	s_sub_co_i32 s15, 1, s17
	s_branch .LBB42_10
.LBB42_9:                               ;   in Loop: Header=BB42_10 Depth=1
	s_wait_alu 0xfffe
	s_or_b32 exec_lo, exec_lo, s6
	v_add_nc_u32_e32 v80, 4, v80
	v_add_co_u32 v65, s6, v65, 16
	v_add_nc_u32_e32 v78, 64, v78
	v_add_nc_u32_e32 v79, 0x100, v79
	s_delay_alu instid0(VALU_DEP_4) | instskip(SKIP_3) | instid1(SALU_CYCLE_1)
	v_cmp_le_i32_e64 s5, s19, v80
	s_wait_alu 0xf1ff
	v_add_co_ci_u32_e64 v66, null, 0, v66, s6
	s_or_b32 s9, s5, s9
	s_and_not1_b32 exec_lo, exec_lo, s9
	s_cbranch_execz .LBB42_12
.LBB42_10:                              ; =>This Inner Loop Header: Depth=1
	global_load_b32 v81, v[65:66], off
	s_wait_loadcnt_dscnt 0x0
	v_mad_co_i64_i32 v[81:82], null, v81, s11, 0
	s_delay_alu instid0(VALU_DEP_1) | instskip(NEXT) | instid1(VALU_DEP_1)
	v_lshlrev_b64_e32 v[81:82], 2, v[81:82]
	v_add_co_u32 v81, s5, v74, v81
	s_wait_alu 0xf1ff
	s_delay_alu instid0(VALU_DEP_2)
	v_add_co_ci_u32_e64 v82, null, v76, v82, s5
	s_clause 0x14
	global_load_b64 v[83:84], v[81:82], off offset:256
	global_load_b64 v[85:86], v[81:82], off offset:512
	;; [unrolled: 1-line block ×3, first 2 shown]
	global_load_b64 v[89:90], v[81:82], off
	global_load_b64 v[91:92], v[81:82], off offset:1024
	global_load_b64 v[93:94], v[81:82], off offset:1280
	;; [unrolled: 1-line block ×17, first 2 shown]
	s_wait_loadcnt_dscnt 0x140f
	v_dual_mul_f32 v125, v3, v83 :: v_dual_mul_f32 v126, v4, v84
	global_load_b64 v[83:84], v[81:82], off offset:5376
	s_wait_loadcnt 0x12
	v_dual_fmac_f32 v125, v1, v89 :: v_dual_fmac_f32 v126, v2, v90
	global_load_b64 v[89:90], v[81:82], off offset:5632
	s_wait_dscnt 0xe
	v_dual_fmac_f32 v125, v5, v85 :: v_dual_fmac_f32 v126, v6, v86
	global_load_b64 v[85:86], v[81:82], off offset:5888
	v_dual_fmac_f32 v125, v7, v87 :: v_dual_fmac_f32 v126, v8, v88
	global_load_b64 v[87:88], v[81:82], off offset:6144
	s_wait_loadcnt_dscnt 0x140d
	v_dual_fmac_f32 v125, v9, v91 :: v_dual_fmac_f32 v126, v10, v92
	global_load_b64 v[91:92], v[81:82], off offset:6400
	s_wait_loadcnt 0x14
	v_dual_fmac_f32 v125, v11, v93 :: v_dual_fmac_f32 v126, v12, v94
	global_load_b64 v[93:94], v[81:82], off offset:6656
	s_wait_loadcnt_dscnt 0x140c
	v_dual_fmac_f32 v125, v13, v95 :: v_dual_fmac_f32 v126, v14, v96
	global_load_b64 v[95:96], v[81:82], off offset:6912
	s_wait_loadcnt 0x14
	;; [unrolled: 6-line block ×3, first 2 shown]
	v_dual_fmac_f32 v125, v19, v101 :: v_dual_fmac_f32 v126, v20, v102
	s_clause 0x1
	global_load_b64 v[101:102], v[81:82], off offset:7680
	global_load_b64 v[81:82], v[81:82], off offset:7936
	s_wait_loadcnt_dscnt 0x150a
	v_dual_fmac_f32 v125, v21, v103 :: v_dual_fmac_f32 v126, v22, v104
	s_wait_loadcnt 0x14
	s_delay_alu instid0(VALU_DEP_1) | instskip(SKIP_1) | instid1(VALU_DEP_1)
	v_dual_fmac_f32 v125, v23, v105 :: v_dual_fmac_f32 v126, v24, v106
	s_wait_loadcnt_dscnt 0x1309
	v_dual_fmac_f32 v125, v25, v107 :: v_dual_fmac_f32 v126, v26, v108
	s_wait_loadcnt 0x12
	s_delay_alu instid0(VALU_DEP_1) | instskip(SKIP_1) | instid1(VALU_DEP_1)
	v_dual_fmac_f32 v125, v27, v109 :: v_dual_fmac_f32 v126, v28, v110
	;; [unrolled: 5-line block ×10, first 2 shown]
	s_wait_loadcnt_dscnt 0x100
	v_dual_fmac_f32 v125, v61, v101 :: v_dual_fmac_f32 v126, v62, v102
	s_wait_loadcnt 0x0
	s_delay_alu instid0(VALU_DEP_1) | instskip(NEXT) | instid1(VALU_DEP_1)
	v_dual_fmac_f32 v125, v63, v81 :: v_dual_fmac_f32 v126, v64, v82
	v_add_f32_e32 v81, v125, v126
	ds_bpermute_b32 v82, v77, v81
	s_and_saveexec_b32 s6, vcc_lo
	s_cbranch_execz .LBB42_9
; %bb.11:                               ;   in Loop: Header=BB42_10 Depth=1
	s_wait_dscnt 0x0
	v_add_f32_e32 v81, v81, v82
	v_add_nc_u32_e32 v83, s15, v78
	v_cmp_gt_i32_e64 s5, s17, v78
	s_delay_alu instid0(VALU_DEP_2) | instskip(NEXT) | instid1(VALU_DEP_1)
	v_cvt_f32_i32_e32 v83, v83
	v_mul_f32_e32 v83, s10, v83
	s_wait_alu 0xfffe
	s_delay_alu instid0(VALU_DEP_1) | instskip(SKIP_1) | instid1(VALU_DEP_2)
	v_cndmask_b32_e64 v82, 0, v83, s4
	v_max_num_f32_e32 v83, v73, v73
	v_fmac_f32_e32 v82, s7, v81
	s_delay_alu instid0(VALU_DEP_1) | instskip(SKIP_2) | instid1(VALU_DEP_2)
	v_max_num_f32_e32 v81, v83, v82
	s_wait_alu 0xf1ff
	v_cndmask_b32_e64 v82, 0, v82, s5
	v_cndmask_b32_e64 v73, v73, v81, s5
	ds_store_b32 v79, v82
	s_branch .LBB42_9
.LBB42_12:
	s_or_b32 exec_lo, exec_lo, s9
.LBB42_13:
	s_delay_alu instid0(SALU_CYCLE_1)
	s_or_b32 exec_lo, exec_lo, s8
	v_xor_b32_e32 v1, 16, v69
	v_xor_b32_e32 v3, 8, v69
	v_max_num_f32_e32 v5, v73, v73
	v_xor_b32_e32 v6, 2, v69
	s_clause 0x2
	s_load_b128 s[8:11], s[0:1], 0x0
	s_load_b64 s[6:7], s[0:1], 0x10
	s_load_b64 s[24:25], s[0:1], 0x28
	v_cmp_lt_i32_e32 vcc_lo, v1, v75
	s_wait_alu 0xfffd
	v_cndmask_b32_e32 v1, v69, v1, vcc_lo
	v_cmp_lt_i32_e32 vcc_lo, v3, v75
	s_wait_alu 0xfffd
	v_cndmask_b32_e32 v3, v69, v3, vcc_lo
	s_delay_alu instid0(VALU_DEP_1)
	v_lshlrev_b32_e32 v4, 2, v3
	v_lshlrev_b32_e32 v2, 2, v1
	ds_bpermute_b32 v1, v2, v73
	v_and_b32_e32 v73, 31, v0
	s_wait_dscnt 0x0
	v_max_num_f32_e32 v1, v1, v1
	s_delay_alu instid0(VALU_DEP_1)
	v_max_num_f32_e32 v1, v5, v1
	v_xor_b32_e32 v5, 4, v69
	ds_bpermute_b32 v3, v4, v1
	v_cmp_lt_i32_e32 vcc_lo, v5, v75
	s_wait_alu 0xfffd
	v_cndmask_b32_e32 v5, v69, v5, vcc_lo
	v_cmp_lt_i32_e32 vcc_lo, v6, v75
	s_wait_alu 0xfffd
	s_delay_alu instid0(VALU_DEP_2) | instskip(SKIP_1) | instid1(VALU_DEP_2)
	v_dual_cndmask_b32 v6, v69, v6 :: v_dual_lshlrev_b32 v5, 2, v5
	v_cmp_eq_u32_e32 vcc_lo, 0, v73
	v_lshlrev_b32_e32 v74, 2, v6
	v_lshlrev_b32_e32 v6, 2, v71
	s_wait_dscnt 0x0
	v_max_num_f32_e32 v3, v3, v3
	s_delay_alu instid0(VALU_DEP_1) | instskip(SKIP_3) | instid1(VALU_DEP_1)
	v_max_num_f32_e32 v1, v1, v3
	ds_bpermute_b32 v3, v5, v1
	s_wait_dscnt 0x0
	v_max_num_f32_e32 v3, v3, v3
	v_max_num_f32_e32 v1, v1, v3
	ds_bpermute_b32 v3, v74, v1
	s_and_saveexec_b32 s0, vcc_lo
	s_cbranch_execz .LBB42_15
; %bb.14:
	s_wait_dscnt 0x0
	v_max_num_f32_e32 v3, v3, v3
	v_max_num_f32_e32 v1, v1, v1
	s_delay_alu instid0(VALU_DEP_1)
	v_max_num_f32_e32 v1, v1, v3
	ds_store_b32 v6, v1 offset:512
.LBB42_15:
	s_or_b32 exec_lo, exec_lo, s0
	v_cmp_gt_u32_e64 s0, 4, v73
	v_mov_b32_e32 v1, 0xff7fffff
	v_lshlrev_b32_e32 v7, 2, v73
	s_wait_loadcnt_dscnt 0x0
	s_barrier_signal -1
	s_barrier_wait -1
	global_inv scope:SCOPE_SE
	s_and_saveexec_b32 s1, s0
; %bb.16:
	ds_load_b32 v1, v7 offset:512
; %bb.17:
	s_or_b32 exec_lo, exec_lo, s1
	s_wait_dscnt 0x0
	ds_bpermute_b32 v3, v74, v1
	v_xor_b32_e32 v8, 1, v69
	v_max_num_f32_e32 v1, v1, v1
	s_delay_alu instid0(VALU_DEP_2) | instskip(NEXT) | instid1(VALU_DEP_1)
	v_cmp_lt_i32_e64 s1, v8, v75
	v_cndmask_b32_e64 v8, v69, v8, s1
	s_sub_co_i32 s1, s19, s30
	s_wait_alu 0xfffe
	s_lshl_b32 s1, s1, 4
	s_delay_alu instid0(VALU_DEP_1)
	v_dual_mov_b32 v8, 0 :: v_dual_lshlrev_b32 v75, 2, v8
	s_wait_alu 0xfffe
	s_add_co_i32 s1, s1, s16
	s_wait_alu 0xfffe
	s_min_i32 s1, s1, s17
	s_wait_dscnt 0x0
	v_max_num_f32_e32 v3, v3, v3
	s_wait_alu 0xfffe
	s_sub_co_i32 s5, s1, s16
	s_wait_alu 0xfffe
	v_cmp_gt_i32_e64 s1, s5, v0
	v_max_num_f32_e32 v1, v1, v3
	ds_bpermute_b32 v3, v75, v1
	s_wait_dscnt 0x0
	v_max_num_f32_e32 v3, v3, v3
	s_delay_alu instid0(VALU_DEP_1)
	v_max_num_f32_e32 v1, v1, v3
	v_lshlrev_b32_e32 v3, 2, v70
	ds_bpermute_b32 v1, v3, v1
	v_lshl_add_u32 v3, v0, 2, 0x220
	s_and_saveexec_b32 s15, s1
	s_cbranch_execz .LBB42_21
; %bb.18:
	v_lshl_add_u32 v9, v0, 2, 0x220
	v_mov_b32_e32 v8, 0
	v_mov_b32_e32 v10, v0
	s_mov_b32 s30, 0
.LBB42_19:                              ; =>This Inner Loop Header: Depth=1
	ds_load_b32 v11, v9
	v_add_nc_u32_e32 v10, 0x80, v10
	s_delay_alu instid0(VALU_DEP_1) | instskip(SKIP_4) | instid1(VALU_DEP_1)
	v_cmp_le_i32_e64 s4, s5, v10
	s_wait_alu 0xfffe
	s_or_b32 s30, s4, s30
	s_wait_dscnt 0x0
	v_sub_f32_e32 v11, v11, v1
	v_mul_f32_e32 v11, 0x3fb8aa3b, v11
	s_delay_alu instid0(VALU_DEP_1)
	v_exp_f32_e32 v11, v11
	ds_store_b32 v9, v11
	v_dual_add_f32 v8, v8, v11 :: v_dual_add_nc_u32 v9, 0x200, v9
	s_wait_alu 0xfffe
	s_and_not1_b32 exec_lo, exec_lo, s30
	s_cbranch_execnz .LBB42_19
; %bb.20:
	s_or_b32 exec_lo, exec_lo, s30
.LBB42_21:
	s_wait_alu 0xfffe
	s_or_b32 exec_lo, exec_lo, s15
	ds_bpermute_b32 v2, v2, v8
	s_wait_dscnt 0x0
	v_add_f32_e32 v2, v8, v2
	ds_bpermute_b32 v4, v4, v2
	s_wait_dscnt 0x0
	v_add_f32_e32 v2, v2, v4
	;; [unrolled: 3-line block ×5, first 2 shown]
	s_and_saveexec_b32 s4, vcc_lo
; %bb.22:
	ds_store_b32 v6, v2 offset:528
; %bb.23:
	s_wait_alu 0xfffe
	s_or_b32 exec_lo, exec_lo, s4
	s_wait_loadcnt_dscnt 0x0
	s_barrier_signal -1
	s_barrier_wait -1
	global_inv scope:SCOPE_SE
	s_and_saveexec_b32 s4, s0
; %bb.24:
	ds_load_b32 v2, v7 offset:528
; %bb.25:
	s_wait_alu 0xfffe
	s_or_b32 exec_lo, exec_lo, s4
	s_wait_dscnt 0x0
	ds_bpermute_b32 v4, v74, v2
	s_wait_dscnt 0x0
	v_dual_add_f32 v2, v2, v4 :: v_dual_lshlrev_b32 v5, 2, v69
	ds_bpermute_b32 v4, v75, v2
	s_wait_dscnt 0x0
	v_add_f32_e32 v2, v2, v4
	v_and_b32_e32 v4, 0xffffff80, v5
	ds_bpermute_b32 v2, v4, v2
	s_and_saveexec_b32 s0, s1
	s_cbranch_execz .LBB42_28
; %bb.26:
	s_wait_dscnt 0x0
	v_add_f32_e32 v4, 0x358637bd, v2
	s_mov_b32 s1, 0
	s_delay_alu instid0(VALU_DEP_1) | instskip(SKIP_1) | instid1(VALU_DEP_2)
	v_div_scale_f32 v5, null, v4, v4, 1.0
	v_div_scale_f32 v8, vcc_lo, 1.0, v4, 1.0
	v_rcp_f32_e32 v6, v5
	s_delay_alu instid0(TRANS32_DEP_1) | instskip(NEXT) | instid1(VALU_DEP_1)
	v_fma_f32 v7, -v5, v6, 1.0
	v_fmac_f32_e32 v6, v7, v6
	s_delay_alu instid0(VALU_DEP_1) | instskip(NEXT) | instid1(VALU_DEP_1)
	v_mul_f32_e32 v7, v8, v6
	v_fma_f32 v9, -v5, v7, v8
	s_delay_alu instid0(VALU_DEP_1) | instskip(NEXT) | instid1(VALU_DEP_1)
	v_fmac_f32_e32 v7, v9, v6
	v_fma_f32 v5, -v5, v7, v8
	s_wait_alu 0xfffd
	s_delay_alu instid0(VALU_DEP_1) | instskip(NEXT) | instid1(VALU_DEP_1)
	v_div_fmas_f32 v5, v5, v6, v7
	v_div_fixup_f32 v4, v5, v4, 1.0
	v_mov_b32_e32 v5, v0
.LBB42_27:                              ; =>This Inner Loop Header: Depth=1
	ds_load_b32 v6, v3
	s_wait_dscnt 0x0
	v_dual_mul_f32 v6, v4, v6 :: v_dual_add_nc_u32 v5, 0x80, v5
	s_delay_alu instid0(VALU_DEP_1)
	v_cmp_le_i32_e32 vcc_lo, s5, v5
	ds_store_b32 v3, v6
	v_add_nc_u32_e32 v3, 0x200, v3
	s_wait_alu 0xfffe
	s_or_b32 s1, vcc_lo, s1
	s_wait_alu 0xfffe
	s_and_not1_b32 exec_lo, exec_lo, s1
	s_cbranch_execnz .LBB42_27
.LBB42_28:
	s_wait_alu 0xfffe
	s_or_b32 exec_lo, exec_lo, s0
	s_wait_kmcnt 0x0
	s_mul_i32 s0, s12, s27
	s_wait_loadcnt_dscnt 0x0
	s_wait_alu 0xfffe
	s_mul_i32 s4, s0, s28
	s_mov_b32 s0, exec_lo
	s_barrier_signal -1
	s_barrier_wait -1
	global_inv scope:SCOPE_SE
	v_cmpx_eq_u32_e32 0, v0
	s_cbranch_execz .LBB42_30
; %bb.29:
	s_wait_alu 0xfffe
	s_ashr_i32 s5, s4, 31
	s_mul_i32 s30, s12, ttmp9
	s_lshl_b32 s1, s26, 2
	s_wait_alu 0xfffe
	s_lshl_b64 s[34:35], s[4:5], 2
	s_ashr_i32 s31, s30, 31
	v_mov_b32_e32 v3, s1
	s_add_nc_u64 s[10:11], s[10:11], s[34:35]
	s_wait_alu 0xfffe
	s_lshl_b64 s[26:27], s[30:31], 2
	s_add_nc_u64 s[8:9], s[8:9], s[34:35]
	s_add_nc_u64 s[10:11], s[10:11], s[26:27]
	;; [unrolled: 1-line block ×3, first 2 shown]
	s_clause 0x1
	global_store_b32 v3, v1, s[10:11]
	global_store_b32 v3, v2, s[8:9]
.LBB42_30:
	s_wait_alu 0xfffe
	s_or_b32 exec_lo, exec_lo, s0
	v_dual_mov_b32 v90, 0 :: v_dual_mov_b32 v91, 0
	v_dual_mov_b32 v89, 0 :: v_dual_and_b32 v76, 3, v0
	v_dual_mov_b32 v92, 0 :: v_dual_mov_b32 v87, 0
	v_dual_mov_b32 v88, 0 :: v_dual_mov_b32 v85, 0
	;; [unrolled: 1-line block ×6, first 2 shown]
	v_mov_b32_e32 v78, 0
	s_and_saveexec_b32 s1, s3
	s_cbranch_execz .LBB42_66
; %bb.31:
	v_dual_mov_b32 v78, 0 :: v_dual_lshlrev_b32 v1, 4, v0
	s_ashr_i32 s15, s14, 31
	v_dual_mov_b32 v80, 0 :: v_dual_lshlrev_b32 v3, 4, v76
	s_delay_alu instid0(VALU_DEP_2)
	v_dual_mov_b32 v82, 0 :: v_dual_and_b32 v1, 0x1f0, v1
	s_wait_alu 0xfffe
	s_lshl_b64 s[8:9], s[14:15], 2
	v_dual_mov_b32 v77, 0 :: v_dual_and_b32 v2, 12, v67
	s_add_nc_u64 s[8:9], s[24:25], s[8:9]
	v_lshl_add_u32 v4, v71, 4, s16
	v_add_co_u32 v93, s0, s8, v1
	s_wait_alu 0xf1ff
	v_add_co_ci_u32_e64 v94, null, s9, 0, s0
	s_lshl_b64 s[8:9], s[20:21], 2
	v_lshl_or_b32 v3, v71, 6, v3
	s_wait_alu 0xfffe
	s_add_nc_u64 s[8:9], s[22:23], s[8:9]
	v_add3_u32 v95, v4, v2, 3
	s_wait_alu 0xfffe
	v_add_co_u32 v69, s0, s8, v68
	v_dual_mov_b32 v79, 0 :: v_dual_add_nc_u32 v96, 0x220, v3
	s_wait_alu 0xf1ff
	v_add_co_ci_u32_e64 v70, null, s9, 0, s0
	v_dual_mov_b32 v81, 0 :: v_dual_mov_b32 v84, 0
	v_dual_mov_b32 v83, 0 :: v_dual_mov_b32 v86, 0
	;; [unrolled: 1-line block ×5, first 2 shown]
	v_mov_b32_e32 v91, 0
	s_mov_b32 s3, s13
	s_add_co_i32 s29, s29, -1
	s_mov_b32 s5, 0
	s_branch .LBB42_33
.LBB42_32:                              ;   in Loop: Header=BB42_33 Depth=1
	s_wait_alu 0xfffe
	s_or_b32 exec_lo, exec_lo, s0
	s_wait_loadcnt_dscnt 0xb00
	v_mul_f32_e32 v21, v1, v21
	s_wait_loadcnt 0x9
	v_mul_f32_e32 v29, v1, v29
	s_wait_loadcnt 0x3
	v_mul_f32_e32 v57, v1, v57
	v_mul_f32_e32 v45, v1, v45
	;; [unrolled: 1-line block ×3, first 2 shown]
	v_fmac_f32_e32 v21, v2, v22
	v_fmac_f32_e32 v29, v2, v30
	v_mul_f32_e32 v9, v1, v9
	v_mul_f32_e32 v5, v1, v5
	s_wait_loadcnt 0x1
	v_dual_mul_f32 v65, v1, v65 :: v_dual_add_nc_u32 v72, 4, v72
	v_fmac_f32_e32 v21, v3, v23
	v_fmac_f32_e32 v29, v3, v31
	;; [unrolled: 1-line block ×9, first 2 shown]
	v_dual_mul_f32 v61, v1, v61 :: v_dual_add_nc_u32 v96, 0x100, v96
	s_delay_alu instid0(VALU_DEP_4) | instskip(NEXT) | instid1(VALU_DEP_4)
	v_dual_add_f32 v88, v88, v21 :: v_dual_fmac_f32 v57, v3, v59
	v_add_f32_e32 v86, v86, v29
	v_mul_f32_e32 v49, v1, v49
	v_mul_f32_e32 v41, v1, v41
	v_fmac_f32_e32 v45, v3, v47
	v_fmac_f32_e32 v57, v4, v60
	v_fmac_f32_e32 v65, v2, v66
	v_mul_f32_e32 v33, v1, v33
	v_mul_f32_e32 v25, v1, v25
	v_fmac_f32_e32 v37, v3, v39
	v_mul_f32_e32 v17, v1, v17
	v_mul_f32_e32 v13, v1, v13
	s_wait_loadcnt 0x0
	v_mul_f32_e32 v1, v1, v53
	v_fmac_f32_e32 v9, v3, v11
	v_fmac_f32_e32 v5, v3, v7
	v_fmac_f32_e32 v41, v2, v42
	v_fmac_f32_e32 v45, v4, v48
	v_dual_add_f32 v80, v80, v57 :: v_dual_fmac_f32 v65, v3, v67
	v_fmac_f32_e32 v33, v2, v34
	v_fmac_f32_e32 v25, v2, v26
	;; [unrolled: 1-line block ×10, first 2 shown]
	v_dual_fmac_f32 v41, v3, v43 :: v_dual_add_f32 v82, v82, v45
	v_fmac_f32_e32 v65, v4, v68
	v_fmac_f32_e32 v33, v3, v35
	v_dual_fmac_f32 v25, v3, v27 :: v_dual_add_f32 v84, v84, v37
	v_fmac_f32_e32 v17, v3, v19
	v_fmac_f32_e32 v13, v3, v15
	v_dual_fmac_f32 v1, v3, v55 :: v_dual_add_f32 v92, v92, v9
	v_dual_fmac_f32 v49, v3, v51 :: v_dual_add_f32 v90, v90, v5
	;; [unrolled: 1-line block ×3, first 2 shown]
	v_fmac_f32_e32 v41, v4, v44
	s_delay_alu instid0(VALU_DEP_3) | instskip(SKIP_1) | instid1(VALU_DEP_4)
	v_fmac_f32_e32 v49, v4, v52
	v_fmac_f32_e32 v33, v4, v36
	;; [unrolled: 1-line block ×7, first 2 shown]
	v_cmp_le_i32_e32 vcc_lo, s19, v72
	v_add_co_u32 v69, s0, v69, 16
	v_add_f32_e32 v79, v79, v61
	v_add_f32_e32 v81, v81, v49
	;; [unrolled: 1-line block ×8, first 2 shown]
	v_add_nc_u32_e32 v95, 64, v95
	s_wait_alu 0xf1ff
	v_add_co_ci_u32_e64 v70, null, 0, v70, s0
	s_or_b32 s5, vcc_lo, s5
	s_wait_alu 0xfffe
	s_and_not1_b32 exec_lo, exec_lo, s5
	s_cbranch_execz .LBB42_65
.LBB42_33:                              ; =>This Inner Loop Header: Depth=1
	global_load_b32 v1, v[69:70], off
	v_add_nc_u32_e32 v97, -3, v95
	v_add_nc_u32_e32 v99, -2, v95
	;; [unrolled: 1-line block ×3, first 2 shown]
	s_wait_loadcnt 0x0
	s_wait_alu 0xfffe
	v_mad_co_i64_i32 v[1:2], null, v1, s3, 0
	s_delay_alu instid0(VALU_DEP_1) | instskip(NEXT) | instid1(VALU_DEP_1)
	v_lshlrev_b64_e32 v[1:2], 2, v[1:2]
	v_add_co_u32 v53, vcc_lo, v93, v1
	s_wait_alu 0xfffd
	s_delay_alu instid0(VALU_DEP_2)
	v_add_co_ci_u32_e64 v54, null, v94, v2, vcc_lo
	ds_load_b128 v[1:4], v96
	v_cmp_eq_u32_e32 vcc_lo, s29, v72
	global_load_b128 v[5:8], v[53:54], off
	s_and_saveexec_b32 s8, vcc_lo
	s_cbranch_execnz .LBB42_49
; %bb.34:                               ;   in Loop: Header=BB42_33 Depth=1
	s_wait_alu 0xfffe
	s_or_b32 exec_lo, exec_lo, s8
	global_load_b128 v[9:12], v[53:54], off offset:512
	s_and_saveexec_b32 s8, vcc_lo
	s_cbranch_execnz .LBB42_50
.LBB42_35:                              ;   in Loop: Header=BB42_33 Depth=1
	s_wait_alu 0xfffe
	s_or_b32 exec_lo, exec_lo, s8
	global_load_b128 v[13:16], v[53:54], off offset:1024
	s_and_saveexec_b32 s8, vcc_lo
	s_cbranch_execnz .LBB42_51
.LBB42_36:                              ;   in Loop: Header=BB42_33 Depth=1
	s_wait_alu 0xfffe
	s_or_b32 exec_lo, exec_lo, s8
	global_load_b128 v[17:20], v[53:54], off offset:1536
	s_and_saveexec_b32 s8, vcc_lo
	s_cbranch_execnz .LBB42_52
.LBB42_37:                              ;   in Loop: Header=BB42_33 Depth=1
	s_wait_alu 0xfffe
	s_or_b32 exec_lo, exec_lo, s8
	global_load_b128 v[21:24], v[53:54], off offset:2048
	s_and_saveexec_b32 s8, vcc_lo
	s_cbranch_execnz .LBB42_53
.LBB42_38:                              ;   in Loop: Header=BB42_33 Depth=1
	s_wait_alu 0xfffe
	s_or_b32 exec_lo, exec_lo, s8
	global_load_b128 v[25:28], v[53:54], off offset:2560
	s_and_saveexec_b32 s8, vcc_lo
	s_cbranch_execnz .LBB42_54
.LBB42_39:                              ;   in Loop: Header=BB42_33 Depth=1
	s_wait_alu 0xfffe
	s_or_b32 exec_lo, exec_lo, s8
	global_load_b128 v[29:32], v[53:54], off offset:3072
	s_and_saveexec_b32 s8, vcc_lo
	s_cbranch_execnz .LBB42_55
.LBB42_40:                              ;   in Loop: Header=BB42_33 Depth=1
	s_wait_alu 0xfffe
	s_or_b32 exec_lo, exec_lo, s8
	global_load_b128 v[33:36], v[53:54], off offset:3584
	s_and_saveexec_b32 s8, vcc_lo
	s_cbranch_execnz .LBB42_56
.LBB42_41:                              ;   in Loop: Header=BB42_33 Depth=1
	s_wait_alu 0xfffe
	s_or_b32 exec_lo, exec_lo, s8
	global_load_b128 v[37:40], v[53:54], off offset:4096
	s_and_saveexec_b32 s8, vcc_lo
	s_cbranch_execnz .LBB42_57
.LBB42_42:                              ;   in Loop: Header=BB42_33 Depth=1
	s_wait_alu 0xfffe
	s_or_b32 exec_lo, exec_lo, s8
	global_load_b128 v[41:44], v[53:54], off offset:4608
	s_and_saveexec_b32 s8, vcc_lo
	s_cbranch_execnz .LBB42_58
.LBB42_43:                              ;   in Loop: Header=BB42_33 Depth=1
	s_wait_alu 0xfffe
	s_or_b32 exec_lo, exec_lo, s8
	global_load_b128 v[45:48], v[53:54], off offset:5120
	s_and_saveexec_b32 s8, vcc_lo
	s_cbranch_execnz .LBB42_59
.LBB42_44:                              ;   in Loop: Header=BB42_33 Depth=1
	s_wait_alu 0xfffe
	s_or_b32 exec_lo, exec_lo, s8
	global_load_b128 v[49:52], v[53:54], off offset:5632
	s_and_saveexec_b32 s8, vcc_lo
	s_cbranch_execnz .LBB42_60
.LBB42_45:                              ;   in Loop: Header=BB42_33 Depth=1
	s_wait_alu 0xfffe
	s_or_b32 exec_lo, exec_lo, s8
	global_load_b128 v[57:60], v[53:54], off offset:6144
	s_and_saveexec_b32 s8, vcc_lo
	s_cbranch_execnz .LBB42_61
.LBB42_46:                              ;   in Loop: Header=BB42_33 Depth=1
	s_wait_alu 0xfffe
	s_or_b32 exec_lo, exec_lo, s8
	global_load_b128 v[61:64], v[53:54], off offset:6656
	s_and_saveexec_b32 s8, vcc_lo
	s_cbranch_execnz .LBB42_62
.LBB42_47:                              ;   in Loop: Header=BB42_33 Depth=1
	s_wait_alu 0xfffe
	s_or_b32 exec_lo, exec_lo, s8
	global_load_b128 v[65:68], v[53:54], off offset:7168
	s_and_saveexec_b32 s8, vcc_lo
	s_cbranch_execnz .LBB42_63
.LBB42_48:                              ;   in Loop: Header=BB42_33 Depth=1
	s_wait_alu 0xfffe
	s_or_b32 exec_lo, exec_lo, s8
	global_load_b128 v[53:56], v[53:54], off offset:7680
	s_and_saveexec_b32 s0, vcc_lo
	s_cbranch_execz .LBB42_32
	s_branch .LBB42_64
.LBB42_49:                              ;   in Loop: Header=BB42_33 Depth=1
	v_cmp_gt_i32_e64 s0, s17, v97
	s_wait_loadcnt 0x0
	s_wait_alu 0xf1ff
	s_delay_alu instid0(VALU_DEP_1) | instskip(SKIP_2) | instid1(VALU_DEP_1)
	v_cndmask_b32_e64 v5, 0, v5, s0
	v_cmp_gt_i32_e64 s0, s17, v99
	s_wait_alu 0xf1ff
	v_cndmask_b32_e64 v6, 0, v6, s0
	v_cmp_gt_i32_e64 s0, s17, v98
	s_wait_alu 0xf1ff
	s_delay_alu instid0(VALU_DEP_1) | instskip(SKIP_2) | instid1(VALU_DEP_1)
	v_cndmask_b32_e64 v7, 0, v7, s0
	v_cmp_gt_i32_e64 s0, s17, v95
	s_wait_alu 0xf1ff
	v_cndmask_b32_e64 v8, 0, v8, s0
	s_wait_alu 0xfffe
	s_or_b32 exec_lo, exec_lo, s8
	global_load_b128 v[9:12], v[53:54], off offset:512
	s_and_saveexec_b32 s8, vcc_lo
	s_cbranch_execz .LBB42_35
.LBB42_50:                              ;   in Loop: Header=BB42_33 Depth=1
	v_cmp_gt_i32_e64 s0, s17, v97
	s_wait_loadcnt 0x0
	s_wait_alu 0xf1ff
	s_delay_alu instid0(VALU_DEP_1) | instskip(SKIP_2) | instid1(VALU_DEP_1)
	v_cndmask_b32_e64 v9, 0, v9, s0
	v_cmp_gt_i32_e64 s0, s17, v99
	s_wait_alu 0xf1ff
	v_cndmask_b32_e64 v10, 0, v10, s0
	v_cmp_gt_i32_e64 s0, s17, v98
	s_wait_alu 0xf1ff
	s_delay_alu instid0(VALU_DEP_1) | instskip(SKIP_2) | instid1(VALU_DEP_1)
	v_cndmask_b32_e64 v11, 0, v11, s0
	v_cmp_gt_i32_e64 s0, s17, v95
	s_wait_alu 0xf1ff
	v_cndmask_b32_e64 v12, 0, v12, s0
	s_wait_alu 0xfffe
	s_or_b32 exec_lo, exec_lo, s8
	global_load_b128 v[13:16], v[53:54], off offset:1024
	s_and_saveexec_b32 s8, vcc_lo
	s_cbranch_execz .LBB42_36
.LBB42_51:                              ;   in Loop: Header=BB42_33 Depth=1
	v_cmp_gt_i32_e64 s0, s17, v97
	s_wait_loadcnt 0x0
	s_wait_alu 0xf1ff
	s_delay_alu instid0(VALU_DEP_1) | instskip(SKIP_2) | instid1(VALU_DEP_1)
	v_cndmask_b32_e64 v13, 0, v13, s0
	v_cmp_gt_i32_e64 s0, s17, v99
	s_wait_alu 0xf1ff
	v_cndmask_b32_e64 v14, 0, v14, s0
	v_cmp_gt_i32_e64 s0, s17, v98
	s_wait_alu 0xf1ff
	s_delay_alu instid0(VALU_DEP_1) | instskip(SKIP_2) | instid1(VALU_DEP_1)
	v_cndmask_b32_e64 v15, 0, v15, s0
	v_cmp_gt_i32_e64 s0, s17, v95
	s_wait_alu 0xf1ff
	v_cndmask_b32_e64 v16, 0, v16, s0
	s_wait_alu 0xfffe
	s_or_b32 exec_lo, exec_lo, s8
	global_load_b128 v[17:20], v[53:54], off offset:1536
	s_and_saveexec_b32 s8, vcc_lo
	s_cbranch_execz .LBB42_37
.LBB42_52:                              ;   in Loop: Header=BB42_33 Depth=1
	v_cmp_gt_i32_e64 s0, s17, v97
	s_wait_loadcnt 0x0
	s_wait_alu 0xf1ff
	s_delay_alu instid0(VALU_DEP_1) | instskip(SKIP_2) | instid1(VALU_DEP_1)
	v_cndmask_b32_e64 v17, 0, v17, s0
	v_cmp_gt_i32_e64 s0, s17, v99
	s_wait_alu 0xf1ff
	v_cndmask_b32_e64 v18, 0, v18, s0
	v_cmp_gt_i32_e64 s0, s17, v98
	s_wait_alu 0xf1ff
	s_delay_alu instid0(VALU_DEP_1) | instskip(SKIP_2) | instid1(VALU_DEP_1)
	v_cndmask_b32_e64 v19, 0, v19, s0
	v_cmp_gt_i32_e64 s0, s17, v95
	s_wait_alu 0xf1ff
	v_cndmask_b32_e64 v20, 0, v20, s0
	s_wait_alu 0xfffe
	s_or_b32 exec_lo, exec_lo, s8
	global_load_b128 v[21:24], v[53:54], off offset:2048
	s_and_saveexec_b32 s8, vcc_lo
	s_cbranch_execz .LBB42_38
.LBB42_53:                              ;   in Loop: Header=BB42_33 Depth=1
	v_cmp_gt_i32_e64 s0, s17, v97
	s_wait_loadcnt 0x0
	s_wait_alu 0xf1ff
	s_delay_alu instid0(VALU_DEP_1) | instskip(SKIP_2) | instid1(VALU_DEP_1)
	v_cndmask_b32_e64 v21, 0, v21, s0
	v_cmp_gt_i32_e64 s0, s17, v99
	s_wait_alu 0xf1ff
	v_cndmask_b32_e64 v22, 0, v22, s0
	v_cmp_gt_i32_e64 s0, s17, v98
	s_wait_alu 0xf1ff
	s_delay_alu instid0(VALU_DEP_1) | instskip(SKIP_2) | instid1(VALU_DEP_1)
	v_cndmask_b32_e64 v23, 0, v23, s0
	v_cmp_gt_i32_e64 s0, s17, v95
	s_wait_alu 0xf1ff
	v_cndmask_b32_e64 v24, 0, v24, s0
	s_wait_alu 0xfffe
	s_or_b32 exec_lo, exec_lo, s8
	global_load_b128 v[25:28], v[53:54], off offset:2560
	s_and_saveexec_b32 s8, vcc_lo
	s_cbranch_execz .LBB42_39
.LBB42_54:                              ;   in Loop: Header=BB42_33 Depth=1
	v_cmp_gt_i32_e64 s0, s17, v97
	s_wait_loadcnt 0x0
	s_wait_alu 0xf1ff
	s_delay_alu instid0(VALU_DEP_1) | instskip(SKIP_2) | instid1(VALU_DEP_1)
	v_cndmask_b32_e64 v25, 0, v25, s0
	v_cmp_gt_i32_e64 s0, s17, v99
	s_wait_alu 0xf1ff
	v_cndmask_b32_e64 v26, 0, v26, s0
	v_cmp_gt_i32_e64 s0, s17, v98
	s_wait_alu 0xf1ff
	s_delay_alu instid0(VALU_DEP_1) | instskip(SKIP_2) | instid1(VALU_DEP_1)
	v_cndmask_b32_e64 v27, 0, v27, s0
	v_cmp_gt_i32_e64 s0, s17, v95
	s_wait_alu 0xf1ff
	v_cndmask_b32_e64 v28, 0, v28, s0
	s_wait_alu 0xfffe
	s_or_b32 exec_lo, exec_lo, s8
	global_load_b128 v[29:32], v[53:54], off offset:3072
	s_and_saveexec_b32 s8, vcc_lo
	s_cbranch_execz .LBB42_40
.LBB42_55:                              ;   in Loop: Header=BB42_33 Depth=1
	v_cmp_gt_i32_e64 s0, s17, v97
	s_wait_loadcnt 0x0
	s_wait_alu 0xf1ff
	s_delay_alu instid0(VALU_DEP_1) | instskip(SKIP_2) | instid1(VALU_DEP_1)
	v_cndmask_b32_e64 v29, 0, v29, s0
	v_cmp_gt_i32_e64 s0, s17, v99
	s_wait_alu 0xf1ff
	v_cndmask_b32_e64 v30, 0, v30, s0
	v_cmp_gt_i32_e64 s0, s17, v98
	s_wait_alu 0xf1ff
	s_delay_alu instid0(VALU_DEP_1) | instskip(SKIP_2) | instid1(VALU_DEP_1)
	v_cndmask_b32_e64 v31, 0, v31, s0
	v_cmp_gt_i32_e64 s0, s17, v95
	s_wait_alu 0xf1ff
	v_cndmask_b32_e64 v32, 0, v32, s0
	s_wait_alu 0xfffe
	s_or_b32 exec_lo, exec_lo, s8
	global_load_b128 v[33:36], v[53:54], off offset:3584
	s_and_saveexec_b32 s8, vcc_lo
	s_cbranch_execz .LBB42_41
.LBB42_56:                              ;   in Loop: Header=BB42_33 Depth=1
	v_cmp_gt_i32_e64 s0, s17, v97
	s_wait_loadcnt 0x0
	s_wait_alu 0xf1ff
	s_delay_alu instid0(VALU_DEP_1) | instskip(SKIP_2) | instid1(VALU_DEP_1)
	v_cndmask_b32_e64 v33, 0, v33, s0
	v_cmp_gt_i32_e64 s0, s17, v99
	s_wait_alu 0xf1ff
	v_cndmask_b32_e64 v34, 0, v34, s0
	v_cmp_gt_i32_e64 s0, s17, v98
	s_wait_alu 0xf1ff
	s_delay_alu instid0(VALU_DEP_1) | instskip(SKIP_2) | instid1(VALU_DEP_1)
	v_cndmask_b32_e64 v35, 0, v35, s0
	v_cmp_gt_i32_e64 s0, s17, v95
	s_wait_alu 0xf1ff
	v_cndmask_b32_e64 v36, 0, v36, s0
	s_wait_alu 0xfffe
	s_or_b32 exec_lo, exec_lo, s8
	global_load_b128 v[37:40], v[53:54], off offset:4096
	s_and_saveexec_b32 s8, vcc_lo
	s_cbranch_execz .LBB42_42
.LBB42_57:                              ;   in Loop: Header=BB42_33 Depth=1
	v_cmp_gt_i32_e64 s0, s17, v97
	s_wait_loadcnt 0x0
	s_wait_alu 0xf1ff
	s_delay_alu instid0(VALU_DEP_1) | instskip(SKIP_2) | instid1(VALU_DEP_1)
	v_cndmask_b32_e64 v37, 0, v37, s0
	v_cmp_gt_i32_e64 s0, s17, v99
	s_wait_alu 0xf1ff
	v_cndmask_b32_e64 v38, 0, v38, s0
	v_cmp_gt_i32_e64 s0, s17, v98
	s_wait_alu 0xf1ff
	s_delay_alu instid0(VALU_DEP_1) | instskip(SKIP_2) | instid1(VALU_DEP_1)
	v_cndmask_b32_e64 v39, 0, v39, s0
	v_cmp_gt_i32_e64 s0, s17, v95
	s_wait_alu 0xf1ff
	v_cndmask_b32_e64 v40, 0, v40, s0
	s_wait_alu 0xfffe
	s_or_b32 exec_lo, exec_lo, s8
	global_load_b128 v[41:44], v[53:54], off offset:4608
	s_and_saveexec_b32 s8, vcc_lo
	s_cbranch_execz .LBB42_43
.LBB42_58:                              ;   in Loop: Header=BB42_33 Depth=1
	v_cmp_gt_i32_e64 s0, s17, v97
	s_wait_loadcnt 0x0
	s_wait_alu 0xf1ff
	s_delay_alu instid0(VALU_DEP_1) | instskip(SKIP_2) | instid1(VALU_DEP_1)
	v_cndmask_b32_e64 v41, 0, v41, s0
	v_cmp_gt_i32_e64 s0, s17, v99
	s_wait_alu 0xf1ff
	v_cndmask_b32_e64 v42, 0, v42, s0
	v_cmp_gt_i32_e64 s0, s17, v98
	s_wait_alu 0xf1ff
	s_delay_alu instid0(VALU_DEP_1) | instskip(SKIP_2) | instid1(VALU_DEP_1)
	v_cndmask_b32_e64 v43, 0, v43, s0
	v_cmp_gt_i32_e64 s0, s17, v95
	s_wait_alu 0xf1ff
	v_cndmask_b32_e64 v44, 0, v44, s0
	s_wait_alu 0xfffe
	s_or_b32 exec_lo, exec_lo, s8
	global_load_b128 v[45:48], v[53:54], off offset:5120
	s_and_saveexec_b32 s8, vcc_lo
	s_cbranch_execz .LBB42_44
.LBB42_59:                              ;   in Loop: Header=BB42_33 Depth=1
	v_cmp_gt_i32_e64 s0, s17, v97
	s_wait_loadcnt 0x0
	s_wait_alu 0xf1ff
	s_delay_alu instid0(VALU_DEP_1) | instskip(SKIP_2) | instid1(VALU_DEP_1)
	v_cndmask_b32_e64 v45, 0, v45, s0
	v_cmp_gt_i32_e64 s0, s17, v99
	s_wait_alu 0xf1ff
	v_cndmask_b32_e64 v46, 0, v46, s0
	v_cmp_gt_i32_e64 s0, s17, v98
	s_wait_alu 0xf1ff
	s_delay_alu instid0(VALU_DEP_1) | instskip(SKIP_2) | instid1(VALU_DEP_1)
	v_cndmask_b32_e64 v47, 0, v47, s0
	v_cmp_gt_i32_e64 s0, s17, v95
	s_wait_alu 0xf1ff
	v_cndmask_b32_e64 v48, 0, v48, s0
	s_wait_alu 0xfffe
	s_or_b32 exec_lo, exec_lo, s8
	global_load_b128 v[49:52], v[53:54], off offset:5632
	s_and_saveexec_b32 s8, vcc_lo
	s_cbranch_execz .LBB42_45
.LBB42_60:                              ;   in Loop: Header=BB42_33 Depth=1
	v_cmp_gt_i32_e64 s0, s17, v97
	s_wait_loadcnt 0x0
	s_wait_alu 0xf1ff
	s_delay_alu instid0(VALU_DEP_1) | instskip(SKIP_2) | instid1(VALU_DEP_1)
	v_cndmask_b32_e64 v49, 0, v49, s0
	v_cmp_gt_i32_e64 s0, s17, v99
	s_wait_alu 0xf1ff
	v_cndmask_b32_e64 v50, 0, v50, s0
	v_cmp_gt_i32_e64 s0, s17, v98
	s_wait_alu 0xf1ff
	s_delay_alu instid0(VALU_DEP_1) | instskip(SKIP_2) | instid1(VALU_DEP_1)
	v_cndmask_b32_e64 v51, 0, v51, s0
	v_cmp_gt_i32_e64 s0, s17, v95
	s_wait_alu 0xf1ff
	v_cndmask_b32_e64 v52, 0, v52, s0
	s_wait_alu 0xfffe
	s_or_b32 exec_lo, exec_lo, s8
	global_load_b128 v[57:60], v[53:54], off offset:6144
	s_and_saveexec_b32 s8, vcc_lo
	s_cbranch_execz .LBB42_46
.LBB42_61:                              ;   in Loop: Header=BB42_33 Depth=1
	v_cmp_gt_i32_e64 s0, s17, v97
	s_wait_loadcnt 0x0
	s_wait_alu 0xf1ff
	s_delay_alu instid0(VALU_DEP_1) | instskip(SKIP_2) | instid1(VALU_DEP_1)
	v_cndmask_b32_e64 v57, 0, v57, s0
	v_cmp_gt_i32_e64 s0, s17, v99
	s_wait_alu 0xf1ff
	v_cndmask_b32_e64 v58, 0, v58, s0
	v_cmp_gt_i32_e64 s0, s17, v98
	s_wait_alu 0xf1ff
	s_delay_alu instid0(VALU_DEP_1) | instskip(SKIP_2) | instid1(VALU_DEP_1)
	v_cndmask_b32_e64 v59, 0, v59, s0
	v_cmp_gt_i32_e64 s0, s17, v95
	s_wait_alu 0xf1ff
	v_cndmask_b32_e64 v60, 0, v60, s0
	s_wait_alu 0xfffe
	s_or_b32 exec_lo, exec_lo, s8
	global_load_b128 v[61:64], v[53:54], off offset:6656
	s_and_saveexec_b32 s8, vcc_lo
	s_cbranch_execz .LBB42_47
.LBB42_62:                              ;   in Loop: Header=BB42_33 Depth=1
	v_cmp_gt_i32_e64 s0, s17, v97
	s_wait_loadcnt 0x0
	s_wait_alu 0xf1ff
	s_delay_alu instid0(VALU_DEP_1) | instskip(SKIP_2) | instid1(VALU_DEP_1)
	v_cndmask_b32_e64 v61, 0, v61, s0
	v_cmp_gt_i32_e64 s0, s17, v99
	s_wait_alu 0xf1ff
	v_cndmask_b32_e64 v62, 0, v62, s0
	v_cmp_gt_i32_e64 s0, s17, v98
	s_wait_alu 0xf1ff
	s_delay_alu instid0(VALU_DEP_1) | instskip(SKIP_2) | instid1(VALU_DEP_1)
	v_cndmask_b32_e64 v63, 0, v63, s0
	v_cmp_gt_i32_e64 s0, s17, v95
	s_wait_alu 0xf1ff
	v_cndmask_b32_e64 v64, 0, v64, s0
	s_wait_alu 0xfffe
	s_or_b32 exec_lo, exec_lo, s8
	global_load_b128 v[65:68], v[53:54], off offset:7168
	s_and_saveexec_b32 s8, vcc_lo
	s_cbranch_execz .LBB42_48
.LBB42_63:                              ;   in Loop: Header=BB42_33 Depth=1
	v_cmp_gt_i32_e64 s0, s17, v97
	s_wait_loadcnt 0x0
	s_wait_alu 0xf1ff
	s_delay_alu instid0(VALU_DEP_1) | instskip(SKIP_2) | instid1(VALU_DEP_1)
	v_cndmask_b32_e64 v65, 0, v65, s0
	v_cmp_gt_i32_e64 s0, s17, v99
	s_wait_alu 0xf1ff
	v_cndmask_b32_e64 v66, 0, v66, s0
	v_cmp_gt_i32_e64 s0, s17, v98
	s_wait_alu 0xf1ff
	s_delay_alu instid0(VALU_DEP_1) | instskip(SKIP_2) | instid1(VALU_DEP_1)
	v_cndmask_b32_e64 v67, 0, v67, s0
	v_cmp_gt_i32_e64 s0, s17, v95
	s_wait_alu 0xf1ff
	v_cndmask_b32_e64 v68, 0, v68, s0
	s_wait_alu 0xfffe
	s_or_b32 exec_lo, exec_lo, s8
	global_load_b128 v[53:56], v[53:54], off offset:7680
	s_and_saveexec_b32 s0, vcc_lo
	s_cbranch_execz .LBB42_32
.LBB42_64:                              ;   in Loop: Header=BB42_33 Depth=1
	v_cmp_gt_i32_e32 vcc_lo, s17, v97
	s_wait_loadcnt 0x0
	s_wait_alu 0xfffd
	v_cndmask_b32_e32 v53, 0, v53, vcc_lo
	v_cmp_gt_i32_e32 vcc_lo, s17, v99
	s_wait_alu 0xfffd
	v_cndmask_b32_e32 v54, 0, v54, vcc_lo
	v_cmp_gt_i32_e32 vcc_lo, s17, v98
	;; [unrolled: 3-line block ×3, first 2 shown]
	s_wait_alu 0xfffd
	v_cndmask_b32_e32 v56, 0, v56, vcc_lo
	s_branch .LBB42_32
.LBB42_65:
	s_or_b32 exec_lo, exec_lo, s5
.LBB42_66:
	s_wait_alu 0xfffe
	s_or_b32 exec_lo, exec_lo, s1
	ds_bpermute_b32 v1, v74, v90
	ds_bpermute_b32 v2, v74, v92
	;; [unrolled: 1-line block ×16, first 2 shown]
	s_mov_b32 s0, exec_lo
	s_wait_storecnt 0x0
	s_wait_loadcnt_dscnt 0x0
	s_barrier_signal -1
	s_barrier_wait -1
	v_dual_add_f32 v1, v90, v1 :: v_dual_add_f32 v2, v92, v2
	v_dual_add_f32 v3, v91, v3 :: v_dual_add_f32 v4, v89, v4
	;; [unrolled: 1-line block ×3, first 2 shown]
	ds_bpermute_b32 v17, v75, v1
	ds_bpermute_b32 v18, v75, v2
	v_dual_add_f32 v7, v86, v7 :: v_dual_add_f32 v8, v85, v8
	v_dual_add_f32 v9, v84, v9 :: v_dual_add_f32 v10, v83, v10
	;; [unrolled: 1-line block ×5, first 2 shown]
	ds_bpermute_b32 v19, v75, v3
	ds_bpermute_b32 v20, v75, v4
	;; [unrolled: 1-line block ×14, first 2 shown]
	s_wait_dscnt 0xe
	v_dual_add_f32 v1, v1, v17 :: v_dual_add_f32 v2, v2, v18
	v_and_b32_e32 v18, 28, v73
	v_lshrrev_b32_e32 v17, 2, v73
	s_wait_dscnt 0x0
	global_inv scope:SCOPE_SE
	v_dual_add_f32 v3, v3, v19 :: v_dual_add_f32 v4, v4, v20
	v_dual_add_f32 v5, v5, v21 :: v_dual_add_f32 v6, v6, v22
	;; [unrolled: 1-line block ×6, first 2 shown]
	v_dual_add_f32 v15, v15, v31 :: v_dual_and_b32 v20, 0x3c3, v0
	v_dual_add_f32 v16, v16, v32 :: v_dual_lshlrev_b32 v19, 9, v71
	v_add_nc_u32_e32 v18, 0x220, v18
	s_delay_alu instid0(VALU_DEP_3)
	v_cmpx_eq_u32_e32 64, v20
	s_cbranch_execz .LBB42_68
; %bb.67:
	s_delay_alu instid0(VALU_DEP_2) | instskip(NEXT) | instid1(VALU_DEP_1)
	v_add_nc_u32_e32 v20, v18, v19
	v_add_nc_u32_e32 v21, 0xfffffc00, v20
	;; [unrolled: 1-line block ×9, first 2 shown]
	ds_store_b32 v21, v1
	ds_store_b32 v22, v2
	;; [unrolled: 1-line block ×8, first 2 shown]
	v_add_nc_u32_e32 v21, 0xfffffd00, v20
	v_add_nc_u32_e32 v22, 0xfffffd20, v20
	;; [unrolled: 1-line block ×8, first 2 shown]
	ds_store_b32 v21, v9
	ds_store_b32 v22, v10
	;; [unrolled: 1-line block ×8, first 2 shown]
.LBB42_68:
	s_wait_alu 0xfffe
	s_or_b32 exec_lo, exec_lo, s0
	v_lshlrev_b32_e32 v17, 2, v17
	v_cmp_eq_u32_e32 vcc_lo, 0, v76
	s_wait_loadcnt_dscnt 0x0
	s_barrier_signal -1
	s_barrier_wait -1
	v_add3_u32 v17, 0x220, v19, v17
	global_inv scope:SCOPE_SE
	s_and_saveexec_b32 s0, s2
	s_cbranch_execz .LBB42_87
; %bb.69:
	s_and_saveexec_b32 s1, vcc_lo
	s_cbranch_execnz .LBB42_111
; %bb.70:
	s_wait_alu 0xfffe
	s_or_b32 exec_lo, exec_lo, s1
	s_and_saveexec_b32 s1, vcc_lo
	s_cbranch_execnz .LBB42_112
.LBB42_71:
	s_wait_alu 0xfffe
	s_or_b32 exec_lo, exec_lo, s1
	s_and_saveexec_b32 s1, vcc_lo
	s_cbranch_execnz .LBB42_113
.LBB42_72:
	s_wait_alu 0xfffe
	s_or_b32 exec_lo, exec_lo, s1
	s_and_saveexec_b32 s1, vcc_lo
	s_cbranch_execnz .LBB42_114
.LBB42_73:
	s_wait_alu 0xfffe
	s_or_b32 exec_lo, exec_lo, s1
	s_and_saveexec_b32 s1, vcc_lo
	s_cbranch_execnz .LBB42_115
.LBB42_74:
	s_wait_alu 0xfffe
	s_or_b32 exec_lo, exec_lo, s1
	s_and_saveexec_b32 s1, vcc_lo
	s_cbranch_execnz .LBB42_116
.LBB42_75:
	s_wait_alu 0xfffe
	s_or_b32 exec_lo, exec_lo, s1
	s_and_saveexec_b32 s1, vcc_lo
	s_cbranch_execnz .LBB42_117
.LBB42_76:
	s_wait_alu 0xfffe
	s_or_b32 exec_lo, exec_lo, s1
	s_and_saveexec_b32 s1, vcc_lo
	s_cbranch_execnz .LBB42_118
.LBB42_77:
	s_wait_alu 0xfffe
	s_or_b32 exec_lo, exec_lo, s1
	s_and_saveexec_b32 s1, vcc_lo
	s_cbranch_execnz .LBB42_119
.LBB42_78:
	s_wait_alu 0xfffe
	s_or_b32 exec_lo, exec_lo, s1
	s_and_saveexec_b32 s1, vcc_lo
	s_cbranch_execnz .LBB42_120
.LBB42_79:
	s_wait_alu 0xfffe
	s_or_b32 exec_lo, exec_lo, s1
	s_and_saveexec_b32 s1, vcc_lo
	s_cbranch_execnz .LBB42_121
.LBB42_80:
	s_wait_alu 0xfffe
	s_or_b32 exec_lo, exec_lo, s1
	s_and_saveexec_b32 s1, vcc_lo
	s_cbranch_execnz .LBB42_122
.LBB42_81:
	s_wait_alu 0xfffe
	s_or_b32 exec_lo, exec_lo, s1
	s_and_saveexec_b32 s1, vcc_lo
	s_cbranch_execnz .LBB42_123
.LBB42_82:
	s_wait_alu 0xfffe
	s_or_b32 exec_lo, exec_lo, s1
	s_and_saveexec_b32 s1, vcc_lo
	s_cbranch_execnz .LBB42_124
.LBB42_83:
	s_wait_alu 0xfffe
	s_or_b32 exec_lo, exec_lo, s1
	s_and_saveexec_b32 s1, vcc_lo
	s_cbranch_execnz .LBB42_125
.LBB42_84:
	s_wait_alu 0xfffe
	s_or_b32 exec_lo, exec_lo, s1
	s_and_saveexec_b32 s1, vcc_lo
	s_cbranch_execz .LBB42_86
.LBB42_85:
	ds_load_b32 v19, v17 offset:480
	s_wait_dscnt 0x0
	v_add_f32_e32 v16, v16, v19
.LBB42_86:
	s_wait_alu 0xfffe
	s_or_b32 exec_lo, exec_lo, s1
.LBB42_87:
	s_wait_alu 0xfffe
	s_or_b32 exec_lo, exec_lo, s0
	v_and_b32_e32 v19, 0x3e3, v0
	s_mov_b32 s1, exec_lo
	s_wait_loadcnt 0x0
	s_barrier_signal -1
	s_barrier_wait -1
	global_inv scope:SCOPE_SE
	v_cmpx_eq_u32_e32 32, v19
	s_cbranch_execz .LBB42_89
; %bb.88:
	ds_store_2addr_b32 v18, v1, v2 offset1:8
	ds_store_2addr_b32 v18, v3, v4 offset0:16 offset1:24
	ds_store_2addr_b32 v18, v5, v6 offset0:32 offset1:40
	;; [unrolled: 1-line block ×7, first 2 shown]
.LBB42_89:
	s_wait_alu 0xfffe
	s_or_b32 exec_lo, exec_lo, s1
	s_delay_alu instid0(SALU_CYCLE_1)
	s_mov_b32 s1, exec_lo
	s_wait_loadcnt_dscnt 0x0
	s_barrier_signal -1
	s_barrier_wait -1
	global_inv scope:SCOPE_SE
	v_cmpx_gt_u32_e32 32, v0
	s_cbranch_execz .LBB42_108
; %bb.90:
	s_and_saveexec_b32 s0, vcc_lo
	s_cbranch_execnz .LBB42_126
; %bb.91:
	s_wait_alu 0xfffe
	s_or_b32 exec_lo, exec_lo, s0
	s_and_saveexec_b32 s0, vcc_lo
	s_cbranch_execnz .LBB42_127
.LBB42_92:
	s_wait_alu 0xfffe
	s_or_b32 exec_lo, exec_lo, s0
	s_and_saveexec_b32 s0, vcc_lo
	s_cbranch_execnz .LBB42_128
.LBB42_93:
	s_wait_alu 0xfffe
	s_or_b32 exec_lo, exec_lo, s0
	s_and_saveexec_b32 s0, vcc_lo
	s_cbranch_execnz .LBB42_129
.LBB42_94:
	s_wait_alu 0xfffe
	s_or_b32 exec_lo, exec_lo, s0
	s_and_saveexec_b32 s0, vcc_lo
	s_cbranch_execnz .LBB42_130
.LBB42_95:
	s_wait_alu 0xfffe
	s_or_b32 exec_lo, exec_lo, s0
	s_and_saveexec_b32 s0, vcc_lo
	s_cbranch_execnz .LBB42_131
.LBB42_96:
	s_wait_alu 0xfffe
	s_or_b32 exec_lo, exec_lo, s0
	s_and_saveexec_b32 s0, vcc_lo
	s_cbranch_execnz .LBB42_132
.LBB42_97:
	s_wait_alu 0xfffe
	s_or_b32 exec_lo, exec_lo, s0
	s_and_saveexec_b32 s0, vcc_lo
	s_cbranch_execnz .LBB42_133
.LBB42_98:
	s_wait_alu 0xfffe
	s_or_b32 exec_lo, exec_lo, s0
	s_and_saveexec_b32 s0, vcc_lo
	s_cbranch_execnz .LBB42_134
.LBB42_99:
	s_wait_alu 0xfffe
	s_or_b32 exec_lo, exec_lo, s0
	s_and_saveexec_b32 s0, vcc_lo
	s_cbranch_execnz .LBB42_135
.LBB42_100:
	s_wait_alu 0xfffe
	s_or_b32 exec_lo, exec_lo, s0
	s_and_saveexec_b32 s0, vcc_lo
	s_cbranch_execnz .LBB42_136
.LBB42_101:
	s_wait_alu 0xfffe
	s_or_b32 exec_lo, exec_lo, s0
	s_and_saveexec_b32 s0, vcc_lo
	s_cbranch_execnz .LBB42_137
.LBB42_102:
	s_wait_alu 0xfffe
	s_or_b32 exec_lo, exec_lo, s0
	s_and_saveexec_b32 s0, vcc_lo
	s_cbranch_execnz .LBB42_138
.LBB42_103:
	s_wait_alu 0xfffe
	s_or_b32 exec_lo, exec_lo, s0
	s_and_saveexec_b32 s0, vcc_lo
	s_cbranch_execnz .LBB42_139
.LBB42_104:
	s_wait_alu 0xfffe
	s_or_b32 exec_lo, exec_lo, s0
	s_and_saveexec_b32 s0, vcc_lo
	s_cbranch_execnz .LBB42_140
.LBB42_105:
	s_wait_alu 0xfffe
	s_or_b32 exec_lo, exec_lo, s0
	s_and_saveexec_b32 s0, vcc_lo
	s_cbranch_execz .LBB42_107
.LBB42_106:
	ds_load_b32 v17, v17 offset:480
	s_wait_dscnt 0x0
	v_add_f32_e32 v16, v16, v17
.LBB42_107:
	s_wait_alu 0xfffe
	s_or_b32 exec_lo, exec_lo, s0
.LBB42_108:
	s_wait_alu 0xfffe
	s_or_b32 exec_lo, exec_lo, s1
	s_mov_b32 s17, 0
	s_wait_loadcnt 0x0
	s_barrier_signal -1
	s_barrier_wait -1
	global_inv scope:SCOPE_SE
	s_mov_b32 s0, exec_lo
	v_cmpx_eq_u32_e32 0, v19
	s_cbranch_execz .LBB42_110
; %bb.109:
	s_lshl_b32 s0, s4, 7
	s_mul_i32 s2, s12, s18
	s_wait_alu 0xfffe
	s_ashr_i32 s1, s0, 31
	s_ashr_i32 s3, s2, 31
	s_wait_alu 0xfffe
	s_lshl_b64 s[0:1], s[0:1], 2
	s_lshl_b64 s[2:3], s[2:3], 2
	s_wait_alu 0xfffe
	s_add_nc_u64 s[0:1], s[6:7], s[0:1]
	s_wait_alu 0xfffe
	s_add_nc_u64 s[0:1], s[0:1], s[2:3]
	;; [unrolled: 2-line block ×3, first 2 shown]
	s_clause 0xf
	global_store_b32 v0, v1, s[0:1]
	global_store_b32 v0, v2, s[0:1] offset:32
	global_store_b32 v0, v3, s[0:1] offset:64
	;; [unrolled: 1-line block ×15, first 2 shown]
.LBB42_110:
	s_nop 0
	s_sendmsg sendmsg(MSG_DEALLOC_VGPRS)
	s_endpgm
.LBB42_111:
	ds_load_b32 v19, v17
	s_wait_dscnt 0x0
	v_add_f32_e32 v1, v1, v19
	s_wait_alu 0xfffe
	s_or_b32 exec_lo, exec_lo, s1
	s_and_saveexec_b32 s1, vcc_lo
	s_cbranch_execz .LBB42_71
.LBB42_112:
	ds_load_b32 v19, v17 offset:32
	s_wait_dscnt 0x0
	v_add_f32_e32 v2, v2, v19
	s_wait_alu 0xfffe
	s_or_b32 exec_lo, exec_lo, s1
	s_and_saveexec_b32 s1, vcc_lo
	s_cbranch_execz .LBB42_72
.LBB42_113:
	ds_load_b32 v19, v17 offset:64
	s_wait_dscnt 0x0
	v_add_f32_e32 v3, v3, v19
	s_wait_alu 0xfffe
	s_or_b32 exec_lo, exec_lo, s1
	s_and_saveexec_b32 s1, vcc_lo
	s_cbranch_execz .LBB42_73
.LBB42_114:
	ds_load_b32 v19, v17 offset:96
	s_wait_dscnt 0x0
	v_add_f32_e32 v4, v4, v19
	s_wait_alu 0xfffe
	s_or_b32 exec_lo, exec_lo, s1
	s_and_saveexec_b32 s1, vcc_lo
	s_cbranch_execz .LBB42_74
.LBB42_115:
	ds_load_b32 v19, v17 offset:128
	s_wait_dscnt 0x0
	v_add_f32_e32 v5, v5, v19
	s_wait_alu 0xfffe
	s_or_b32 exec_lo, exec_lo, s1
	s_and_saveexec_b32 s1, vcc_lo
	s_cbranch_execz .LBB42_75
.LBB42_116:
	ds_load_b32 v19, v17 offset:160
	s_wait_dscnt 0x0
	v_add_f32_e32 v6, v6, v19
	s_wait_alu 0xfffe
	s_or_b32 exec_lo, exec_lo, s1
	s_and_saveexec_b32 s1, vcc_lo
	s_cbranch_execz .LBB42_76
.LBB42_117:
	ds_load_b32 v19, v17 offset:192
	s_wait_dscnt 0x0
	v_add_f32_e32 v7, v7, v19
	s_wait_alu 0xfffe
	s_or_b32 exec_lo, exec_lo, s1
	s_and_saveexec_b32 s1, vcc_lo
	s_cbranch_execz .LBB42_77
.LBB42_118:
	ds_load_b32 v19, v17 offset:224
	s_wait_dscnt 0x0
	v_add_f32_e32 v8, v8, v19
	s_wait_alu 0xfffe
	s_or_b32 exec_lo, exec_lo, s1
	s_and_saveexec_b32 s1, vcc_lo
	s_cbranch_execz .LBB42_78
.LBB42_119:
	ds_load_b32 v19, v17 offset:256
	s_wait_dscnt 0x0
	v_add_f32_e32 v9, v9, v19
	s_wait_alu 0xfffe
	s_or_b32 exec_lo, exec_lo, s1
	s_and_saveexec_b32 s1, vcc_lo
	s_cbranch_execz .LBB42_79
.LBB42_120:
	ds_load_b32 v19, v17 offset:288
	s_wait_dscnt 0x0
	v_add_f32_e32 v10, v10, v19
	s_wait_alu 0xfffe
	s_or_b32 exec_lo, exec_lo, s1
	s_and_saveexec_b32 s1, vcc_lo
	s_cbranch_execz .LBB42_80
.LBB42_121:
	ds_load_b32 v19, v17 offset:320
	s_wait_dscnt 0x0
	v_add_f32_e32 v11, v11, v19
	s_wait_alu 0xfffe
	s_or_b32 exec_lo, exec_lo, s1
	s_and_saveexec_b32 s1, vcc_lo
	s_cbranch_execz .LBB42_81
.LBB42_122:
	ds_load_b32 v19, v17 offset:352
	s_wait_dscnt 0x0
	v_add_f32_e32 v12, v12, v19
	s_wait_alu 0xfffe
	s_or_b32 exec_lo, exec_lo, s1
	s_and_saveexec_b32 s1, vcc_lo
	s_cbranch_execz .LBB42_82
.LBB42_123:
	ds_load_b32 v19, v17 offset:384
	s_wait_dscnt 0x0
	v_add_f32_e32 v13, v13, v19
	s_wait_alu 0xfffe
	s_or_b32 exec_lo, exec_lo, s1
	s_and_saveexec_b32 s1, vcc_lo
	s_cbranch_execz .LBB42_83
.LBB42_124:
	ds_load_b32 v19, v17 offset:416
	s_wait_dscnt 0x0
	v_add_f32_e32 v14, v14, v19
	s_wait_alu 0xfffe
	s_or_b32 exec_lo, exec_lo, s1
	s_and_saveexec_b32 s1, vcc_lo
	s_cbranch_execz .LBB42_84
.LBB42_125:
	ds_load_b32 v19, v17 offset:448
	s_wait_dscnt 0x0
	v_add_f32_e32 v15, v15, v19
	s_wait_alu 0xfffe
	s_or_b32 exec_lo, exec_lo, s1
	s_and_saveexec_b32 s1, vcc_lo
	s_cbranch_execnz .LBB42_85
	s_branch .LBB42_86
.LBB42_126:
	ds_load_b32 v18, v17
	s_wait_dscnt 0x0
	v_add_f32_e32 v1, v1, v18
	s_wait_alu 0xfffe
	s_or_b32 exec_lo, exec_lo, s0
	s_and_saveexec_b32 s0, vcc_lo
	s_cbranch_execz .LBB42_92
.LBB42_127:
	ds_load_b32 v18, v17 offset:32
	s_wait_dscnt 0x0
	v_add_f32_e32 v2, v2, v18
	s_wait_alu 0xfffe
	s_or_b32 exec_lo, exec_lo, s0
	s_and_saveexec_b32 s0, vcc_lo
	s_cbranch_execz .LBB42_93
.LBB42_128:
	ds_load_b32 v18, v17 offset:64
	s_wait_dscnt 0x0
	v_add_f32_e32 v3, v3, v18
	s_wait_alu 0xfffe
	s_or_b32 exec_lo, exec_lo, s0
	s_and_saveexec_b32 s0, vcc_lo
	s_cbranch_execz .LBB42_94
.LBB42_129:
	ds_load_b32 v18, v17 offset:96
	s_wait_dscnt 0x0
	v_add_f32_e32 v4, v4, v18
	s_wait_alu 0xfffe
	s_or_b32 exec_lo, exec_lo, s0
	s_and_saveexec_b32 s0, vcc_lo
	s_cbranch_execz .LBB42_95
.LBB42_130:
	ds_load_b32 v18, v17 offset:128
	s_wait_dscnt 0x0
	v_add_f32_e32 v5, v5, v18
	s_wait_alu 0xfffe
	s_or_b32 exec_lo, exec_lo, s0
	s_and_saveexec_b32 s0, vcc_lo
	s_cbranch_execz .LBB42_96
.LBB42_131:
	ds_load_b32 v18, v17 offset:160
	s_wait_dscnt 0x0
	v_add_f32_e32 v6, v6, v18
	s_wait_alu 0xfffe
	s_or_b32 exec_lo, exec_lo, s0
	s_and_saveexec_b32 s0, vcc_lo
	s_cbranch_execz .LBB42_97
.LBB42_132:
	ds_load_b32 v18, v17 offset:192
	s_wait_dscnt 0x0
	v_add_f32_e32 v7, v7, v18
	s_wait_alu 0xfffe
	s_or_b32 exec_lo, exec_lo, s0
	s_and_saveexec_b32 s0, vcc_lo
	s_cbranch_execz .LBB42_98
.LBB42_133:
	ds_load_b32 v18, v17 offset:224
	s_wait_dscnt 0x0
	v_add_f32_e32 v8, v8, v18
	s_wait_alu 0xfffe
	s_or_b32 exec_lo, exec_lo, s0
	s_and_saveexec_b32 s0, vcc_lo
	s_cbranch_execz .LBB42_99
.LBB42_134:
	ds_load_b32 v18, v17 offset:256
	s_wait_dscnt 0x0
	v_add_f32_e32 v9, v9, v18
	s_wait_alu 0xfffe
	s_or_b32 exec_lo, exec_lo, s0
	s_and_saveexec_b32 s0, vcc_lo
	s_cbranch_execz .LBB42_100
.LBB42_135:
	ds_load_b32 v18, v17 offset:288
	s_wait_dscnt 0x0
	v_add_f32_e32 v10, v10, v18
	s_wait_alu 0xfffe
	s_or_b32 exec_lo, exec_lo, s0
	s_and_saveexec_b32 s0, vcc_lo
	s_cbranch_execz .LBB42_101
.LBB42_136:
	ds_load_b32 v18, v17 offset:320
	s_wait_dscnt 0x0
	v_add_f32_e32 v11, v11, v18
	s_wait_alu 0xfffe
	s_or_b32 exec_lo, exec_lo, s0
	s_and_saveexec_b32 s0, vcc_lo
	s_cbranch_execz .LBB42_102
.LBB42_137:
	ds_load_b32 v18, v17 offset:352
	s_wait_dscnt 0x0
	v_add_f32_e32 v12, v12, v18
	s_wait_alu 0xfffe
	s_or_b32 exec_lo, exec_lo, s0
	s_and_saveexec_b32 s0, vcc_lo
	s_cbranch_execz .LBB42_103
.LBB42_138:
	ds_load_b32 v18, v17 offset:384
	s_wait_dscnt 0x0
	v_add_f32_e32 v13, v13, v18
	s_wait_alu 0xfffe
	s_or_b32 exec_lo, exec_lo, s0
	s_and_saveexec_b32 s0, vcc_lo
	s_cbranch_execz .LBB42_104
.LBB42_139:
	ds_load_b32 v18, v17 offset:416
	s_wait_dscnt 0x0
	v_add_f32_e32 v14, v14, v18
	s_wait_alu 0xfffe
	s_or_b32 exec_lo, exec_lo, s0
	s_and_saveexec_b32 s0, vcc_lo
	s_cbranch_execz .LBB42_105
.LBB42_140:
	ds_load_b32 v18, v17 offset:448
	s_wait_dscnt 0x0
	v_add_f32_e32 v15, v15, v18
	s_wait_alu 0xfffe
	s_or_b32 exec_lo, exec_lo, s0
	s_and_saveexec_b32 s0, vcc_lo
	s_cbranch_execnz .LBB42_106
	s_branch .LBB42_107
	.section	.rodata,"a",@progbits
	.p2align	6, 0x0
	.amdhsa_kernel _ZN4vllm25paged_attention_v2_kernelIffLi128ELi16ELi128ELNS_18Fp8KVCacheDataTypeE0ELb0ELi512EEEvPfS2_PT_PKS3_PKT0_S9_ifPKiSB_iPKfiiiSD_SD_iiiii
		.amdhsa_group_segment_fixed_size 544
		.amdhsa_private_segment_fixed_size 0
		.amdhsa_kernarg_size 400
		.amdhsa_user_sgpr_count 2
		.amdhsa_user_sgpr_dispatch_ptr 0
		.amdhsa_user_sgpr_queue_ptr 0
		.amdhsa_user_sgpr_kernarg_segment_ptr 1
		.amdhsa_user_sgpr_dispatch_id 0
		.amdhsa_user_sgpr_private_segment_size 0
		.amdhsa_wavefront_size32 1
		.amdhsa_uses_dynamic_stack 0
		.amdhsa_enable_private_segment 0
		.amdhsa_system_sgpr_workgroup_id_x 1
		.amdhsa_system_sgpr_workgroup_id_y 1
		.amdhsa_system_sgpr_workgroup_id_z 1
		.amdhsa_system_sgpr_workgroup_info 0
		.amdhsa_system_vgpr_workitem_id 0
		.amdhsa_next_free_vgpr 127
		.amdhsa_next_free_sgpr 36
		.amdhsa_reserve_vcc 1
		.amdhsa_float_round_mode_32 0
		.amdhsa_float_round_mode_16_64 0
		.amdhsa_float_denorm_mode_32 3
		.amdhsa_float_denorm_mode_16_64 3
		.amdhsa_fp16_overflow 0
		.amdhsa_workgroup_processor_mode 1
		.amdhsa_memory_ordered 1
		.amdhsa_forward_progress 1
		.amdhsa_inst_pref_size 72
		.amdhsa_round_robin_scheduling 0
		.amdhsa_exception_fp_ieee_invalid_op 0
		.amdhsa_exception_fp_denorm_src 0
		.amdhsa_exception_fp_ieee_div_zero 0
		.amdhsa_exception_fp_ieee_overflow 0
		.amdhsa_exception_fp_ieee_underflow 0
		.amdhsa_exception_fp_ieee_inexact 0
		.amdhsa_exception_int_div_zero 0
	.end_amdhsa_kernel
	.section	.text._ZN4vllm25paged_attention_v2_kernelIffLi128ELi16ELi128ELNS_18Fp8KVCacheDataTypeE0ELb0ELi512EEEvPfS2_PT_PKS3_PKT0_S9_ifPKiSB_iPKfiiiSD_SD_iiiii,"axG",@progbits,_ZN4vllm25paged_attention_v2_kernelIffLi128ELi16ELi128ELNS_18Fp8KVCacheDataTypeE0ELb0ELi512EEEvPfS2_PT_PKS3_PKT0_S9_ifPKiSB_iPKfiiiSD_SD_iiiii,comdat
.Lfunc_end42:
	.size	_ZN4vllm25paged_attention_v2_kernelIffLi128ELi16ELi128ELNS_18Fp8KVCacheDataTypeE0ELb0ELi512EEEvPfS2_PT_PKS3_PKT0_S9_ifPKiSB_iPKfiiiSD_SD_iiiii, .Lfunc_end42-_ZN4vllm25paged_attention_v2_kernelIffLi128ELi16ELi128ELNS_18Fp8KVCacheDataTypeE0ELb0ELi512EEEvPfS2_PT_PKS3_PKT0_S9_ifPKiSB_iPKfiiiSD_SD_iiiii
                                        ; -- End function
	.set _ZN4vllm25paged_attention_v2_kernelIffLi128ELi16ELi128ELNS_18Fp8KVCacheDataTypeE0ELb0ELi512EEEvPfS2_PT_PKS3_PKT0_S9_ifPKiSB_iPKfiiiSD_SD_iiiii.num_vgpr, 127
	.set _ZN4vllm25paged_attention_v2_kernelIffLi128ELi16ELi128ELNS_18Fp8KVCacheDataTypeE0ELb0ELi512EEEvPfS2_PT_PKS3_PKT0_S9_ifPKiSB_iPKfiiiSD_SD_iiiii.num_agpr, 0
	.set _ZN4vllm25paged_attention_v2_kernelIffLi128ELi16ELi128ELNS_18Fp8KVCacheDataTypeE0ELb0ELi512EEEvPfS2_PT_PKS3_PKT0_S9_ifPKiSB_iPKfiiiSD_SD_iiiii.numbered_sgpr, 36
	.set _ZN4vllm25paged_attention_v2_kernelIffLi128ELi16ELi128ELNS_18Fp8KVCacheDataTypeE0ELb0ELi512EEEvPfS2_PT_PKS3_PKT0_S9_ifPKiSB_iPKfiiiSD_SD_iiiii.num_named_barrier, 0
	.set _ZN4vllm25paged_attention_v2_kernelIffLi128ELi16ELi128ELNS_18Fp8KVCacheDataTypeE0ELb0ELi512EEEvPfS2_PT_PKS3_PKT0_S9_ifPKiSB_iPKfiiiSD_SD_iiiii.private_seg_size, 0
	.set _ZN4vllm25paged_attention_v2_kernelIffLi128ELi16ELi128ELNS_18Fp8KVCacheDataTypeE0ELb0ELi512EEEvPfS2_PT_PKS3_PKT0_S9_ifPKiSB_iPKfiiiSD_SD_iiiii.uses_vcc, 1
	.set _ZN4vllm25paged_attention_v2_kernelIffLi128ELi16ELi128ELNS_18Fp8KVCacheDataTypeE0ELb0ELi512EEEvPfS2_PT_PKS3_PKT0_S9_ifPKiSB_iPKfiiiSD_SD_iiiii.uses_flat_scratch, 0
	.set _ZN4vllm25paged_attention_v2_kernelIffLi128ELi16ELi128ELNS_18Fp8KVCacheDataTypeE0ELb0ELi512EEEvPfS2_PT_PKS3_PKT0_S9_ifPKiSB_iPKfiiiSD_SD_iiiii.has_dyn_sized_stack, 0
	.set _ZN4vllm25paged_attention_v2_kernelIffLi128ELi16ELi128ELNS_18Fp8KVCacheDataTypeE0ELb0ELi512EEEvPfS2_PT_PKS3_PKT0_S9_ifPKiSB_iPKfiiiSD_SD_iiiii.has_recursion, 0
	.set _ZN4vllm25paged_attention_v2_kernelIffLi128ELi16ELi128ELNS_18Fp8KVCacheDataTypeE0ELb0ELi512EEEvPfS2_PT_PKS3_PKT0_S9_ifPKiSB_iPKfiiiSD_SD_iiiii.has_indirect_call, 0
	.section	.AMDGPU.csdata,"",@progbits
; Kernel info:
; codeLenInByte = 9192
; TotalNumSgprs: 38
; NumVgprs: 127
; ScratchSize: 0
; MemoryBound: 0
; FloatMode: 240
; IeeeMode: 1
; LDSByteSize: 544 bytes/workgroup (compile time only)
; SGPRBlocks: 0
; VGPRBlocks: 15
; NumSGPRsForWavesPerEU: 38
; NumVGPRsForWavesPerEU: 127
; Occupancy: 10
; WaveLimiterHint : 1
; COMPUTE_PGM_RSRC2:SCRATCH_EN: 0
; COMPUTE_PGM_RSRC2:USER_SGPR: 2
; COMPUTE_PGM_RSRC2:TRAP_HANDLER: 0
; COMPUTE_PGM_RSRC2:TGID_X_EN: 1
; COMPUTE_PGM_RSRC2:TGID_Y_EN: 1
; COMPUTE_PGM_RSRC2:TGID_Z_EN: 1
; COMPUTE_PGM_RSRC2:TIDIG_COMP_CNT: 0
	.section	.text._ZN4vllm25paged_attention_v2_kernelIffLi192ELi16ELi128ELNS_18Fp8KVCacheDataTypeE0ELb0ELi512EEEvPfS2_PT_PKS3_PKT0_S9_ifPKiSB_iPKfiiiSD_SD_iiiii,"axG",@progbits,_ZN4vllm25paged_attention_v2_kernelIffLi192ELi16ELi128ELNS_18Fp8KVCacheDataTypeE0ELb0ELi512EEEvPfS2_PT_PKS3_PKT0_S9_ifPKiSB_iPKfiiiSD_SD_iiiii,comdat
	.protected	_ZN4vllm25paged_attention_v2_kernelIffLi192ELi16ELi128ELNS_18Fp8KVCacheDataTypeE0ELb0ELi512EEEvPfS2_PT_PKS3_PKT0_S9_ifPKiSB_iPKfiiiSD_SD_iiiii ; -- Begin function _ZN4vllm25paged_attention_v2_kernelIffLi192ELi16ELi128ELNS_18Fp8KVCacheDataTypeE0ELb0ELi512EEEvPfS2_PT_PKS3_PKT0_S9_ifPKiSB_iPKfiiiSD_SD_iiiii
	.globl	_ZN4vllm25paged_attention_v2_kernelIffLi192ELi16ELi128ELNS_18Fp8KVCacheDataTypeE0ELb0ELi512EEEvPfS2_PT_PKS3_PKT0_S9_ifPKiSB_iPKfiiiSD_SD_iiiii
	.p2align	8
	.type	_ZN4vllm25paged_attention_v2_kernelIffLi192ELi16ELi128ELNS_18Fp8KVCacheDataTypeE0ELb0ELi512EEEvPfS2_PT_PKS3_PKT0_S9_ifPKiSB_iPKfiiiSD_SD_iiiii,@function
_ZN4vllm25paged_attention_v2_kernelIffLi192ELi16ELi128ELNS_18Fp8KVCacheDataTypeE0ELb0ELi512EEEvPfS2_PT_PKS3_PKT0_S9_ifPKiSB_iPKfiiiSD_SD_iiiii: ; @_ZN4vllm25paged_attention_v2_kernelIffLi192ELi16ELi128ELNS_18Fp8KVCacheDataTypeE0ELb0ELi512EEEvPfS2_PT_PKS3_PKT0_S9_ifPKiSB_iPKfiiiSD_SD_iiiii
; %bb.0:
	s_load_b64 s[2:3], s[0:1], 0x40
	s_and_b32 s14, ttmp7, 0xffff
	s_lshr_b32 s24, ttmp7, 16
	s_lshl_b32 s4, s14, 2
	s_lshl_b32 s26, s24, 9
	s_wait_kmcnt 0x0
	s_load_b32 s25, s[2:3], s4 offset:0x0
	s_wait_kmcnt 0x0
	s_cmp_ge_i32 s26, s25
	s_cbranch_scc1 .LBB43_142
; %bb.1:
	s_clause 0x1
	s_load_b32 s15, s[0:1], 0x90
	s_load_b64 s[6:7], s[0:1], 0x30
	s_wait_kmcnt 0x0
	s_abs_i32 s5, s15
	s_abs_i32 s2, s6
	s_delay_alu instid0(SALU_CYCLE_1) | instskip(SKIP_1) | instid1(SALU_CYCLE_2)
	s_cvt_f32_u32 s3, s2
	s_sub_co_i32 s4, 0, s2
	v_rcp_iflag_f32_e32 v1, s3
	s_delay_alu instid0(TRANS32_DEP_1) | instskip(SKIP_2) | instid1(SALU_CYCLE_2)
	v_readfirstlane_b32 s3, v1
	s_mul_f32 s3, s3, 0x4f7ffffe
	s_wait_alu 0xfffe
	s_cvt_u32_f32 s3, s3
	s_wait_alu 0xfffe
	s_delay_alu instid0(SALU_CYCLE_2) | instskip(NEXT) | instid1(SALU_CYCLE_1)
	s_mul_i32 s4, s4, s3
	s_mul_hi_u32 s4, s3, s4
	s_delay_alu instid0(SALU_CYCLE_1)
	s_add_co_i32 s3, s3, s4
	s_xor_b32 s4, s15, s6
	s_wait_alu 0xfffe
	s_mul_hi_u32 s3, s5, s3
	s_ashr_i32 s4, s4, 31
	s_wait_alu 0xfffe
	s_mul_i32 s6, s3, s2
	s_delay_alu instid0(SALU_CYCLE_1)
	s_sub_co_i32 s5, s5, s6
	s_add_co_i32 s6, s3, 1
	s_sub_co_i32 s8, s5, s2
	s_cmp_ge_u32 s5, s2
	s_cselect_b32 s3, s6, s3
	s_cselect_b32 s5, s8, s5
	s_wait_alu 0xfffe
	s_add_co_i32 s6, s3, 1
	s_cmp_ge_u32 s5, s2
	s_load_b64 s[8:9], s[0:1], 0x50
	s_cselect_b32 s2, s6, s3
	s_mov_b32 s3, 0
	s_wait_alu 0xfffe
	s_xor_b32 s2, s2, s4
	s_mov_b32 s6, s3
	s_wait_alu 0xfffe
	s_sub_co_i32 s12, s2, s4
	s_delay_alu instid0(SALU_CYCLE_1) | instskip(NEXT) | instid1(SALU_CYCLE_1)
	s_abs_i32 s11, s12
	s_cvt_f32_u32 s2, s11
	s_wait_alu 0xfffe
	s_delay_alu instid0(SALU_CYCLE_2) | instskip(NEXT) | instid1(TRANS32_DEP_1)
	v_rcp_iflag_f32_e32 v1, s2
	v_readfirstlane_b32 s2, v1
	s_mul_f32 s2, s2, 0x4f7ffffe
	s_wait_alu 0xfffe
	s_delay_alu instid0(SALU_CYCLE_2) | instskip(SKIP_2) | instid1(SALU_CYCLE_1)
	s_cvt_u32_f32 s4, s2
	s_sub_co_i32 s2, 0, s11
	s_wait_alu 0xfffe
	s_mul_i32 s2, s2, s4
	s_wait_alu 0xfffe
	s_mul_hi_u32 s5, s4, s2
	s_abs_i32 s2, ttmp9
	s_add_co_i32 s4, s4, s5
	s_mov_b32 s5, s3
	s_wait_kmcnt 0x0
	s_cmp_eq_u64 s[8:9], 0
	s_cbranch_scc1 .LBB43_3
; %bb.2:
	s_mov_b32 s16, ttmp9
	s_ashr_i32 s17, ttmp9, 31
	s_delay_alu instid0(SALU_CYCLE_1) | instskip(NEXT) | instid1(SALU_CYCLE_1)
	s_lshl_b64 s[16:17], s[16:17], 2
	s_add_nc_u64 s[8:9], s[8:9], s[16:17]
	s_load_b32 s6, s[8:9], 0x0
.LBB43_3:
	s_load_b96 s[8:10], s[0:1], 0x58
	v_and_b32_e32 v97, 1, v0
	v_lshlrev_b32_e32 v1, 3, v0
	v_lshlrev_b32_e32 v99, 2, v0
	s_mul_u64 s[4:5], s[2:3], s[4:5]
	s_ashr_i32 s3, ttmp9, 31
	s_ashr_i32 s4, s12, 31
	s_mul_i32 s12, ttmp9, 0xc0
	s_mov_b32 s16, exec_lo
	v_cmpx_gt_u32_e32 0x60, v0
	s_cbranch_execz .LBB43_5
; %bb.4:
	s_load_b64 s[18:19], s[0:1], 0x18
	s_wait_kmcnt 0x0
	s_mul_i32 s20, s8, s14
	s_ashr_i32 s13, s12, 31
	s_ashr_i32 s21, s20, 31
	v_and_b32_e32 v4, 0xff8, v99
	s_lshl_b64 s[20:21], s[20:21], 2
	s_delay_alu instid0(VALU_DEP_1) | instskip(SKIP_2) | instid1(SALU_CYCLE_1)
	v_mad_u32_u24 v4, 0x180, v97, v4
	s_add_nc_u64 s[18:19], s[18:19], s[20:21]
	s_lshl_b64 s[20:21], s[12:13], 2
	s_add_nc_u64 s[18:19], s[18:19], s[20:21]
	global_load_b64 v[2:3], v1, s[18:19]
	s_wait_loadcnt 0x0
	ds_store_b64 v4, v[2:3]
.LBB43_5:
	s_or_b32 exec_lo, exec_lo, s16
	s_wait_kmcnt 0x0
	s_add_co_i32 s8, s25, 15
	s_wait_alu 0xfffe
	s_xor_b32 s3, s3, s4
	s_ashr_i32 s13, s8, 31
	s_lshl_b32 s28, s24, 5
	s_lshr_b32 s4, s13, 28
	s_mul_i32 s13, s5, s11
	s_add_co_i32 s8, s8, s4
	s_add_co_i32 s4, s28, 32
	s_ashr_i32 s27, s8, 4
	s_load_b32 s8, s[0:1], 0x48
	s_sub_co_i32 s2, s2, s13
	s_min_i32 s13, s4, s27
	s_add_co_i32 s4, s5, 1
	s_wait_alu 0xfffe
	s_sub_co_i32 s16, s2, s11
	s_cmp_ge_u32 s2, s11
	v_lshrrev_b32_e32 v103, 5, v0
	s_cselect_b32 s4, s4, s5
	s_cselect_b32 s2, s16, s2
	s_add_co_i32 s5, s4, 1
	s_wait_alu 0xfffe
	s_cmp_ge_u32 s2, s11
	v_or_b32_e32 v104, s28, v103
	s_cselect_b32 s2, s5, s4
	v_mbcnt_lo_u32_b32 v101, -1, 0
	s_wait_alu 0xfffe
	s_xor_b32 s2, s2, s3
	s_mov_b32 s4, exec_lo
	s_wait_alu 0xfffe
	s_sub_co_i32 s3, s2, s3
	v_cmp_gt_i32_e64 s2, s13, v104
	s_wait_dscnt 0x0
	s_barrier_signal -1
	s_wait_kmcnt 0x0
	s_mul_i32 s16, s8, s14
	s_barrier_wait -1
	s_ashr_i32 s17, s16, 31
	global_inv scope:SCOPE_SE
                                        ; implicit-def: $vgpr102
                                        ; implicit-def: $vgpr107
	v_cmpx_le_i32_e64 s13, v104
	s_xor_b32 s4, exec_lo, s4
; %bb.6:
	v_dual_mov_b32 v102, 0 :: v_dual_mov_b32 v107, 32
	v_mbcnt_lo_u32_b32 v101, -1, 0
                                        ; implicit-def: $vgpr1
                                        ; implicit-def: $vgpr97
; %bb.7:
	s_or_saveexec_b32 s11, s4
	s_clause 0x1
	s_load_b64 s[18:19], s[0:1], 0x38
	s_load_b32 s8, s[0:1], 0x98
	v_mov_b32_e32 v108, 0xff7fffff
	v_lshlrev_b32_e32 v100, 2, v104
	s_mul_i32 s20, s3, s10
	s_xor_b32 exec_lo, exec_lo, s11
	s_cbranch_execz .LBB43_13
; %bb.8:
	s_load_b64 s[4:5], s[0:1], 0x20
	v_bfe_u32 v98, v0, 1, 4
	s_ashr_i32 s21, s20, 31
	v_dual_mov_b32 v102, 0 :: v_dual_and_b32 v33, 8, v1
	s_lshl_b64 s[22:23], s[20:21], 2
	s_delay_alu instid0(VALU_DEP_2)
	v_lshlrev_b32_e32 v25, 4, v98
	v_xor_b32_e32 v41, 1, v101
	v_mul_u32_u24_e32 v93, 0x180, v97
	ds_load_b128 v[1:4], v93
	ds_load_b128 v[5:8], v93 offset:16
	ds_load_b128 v[9:12], v93 offset:32
	;; [unrolled: 1-line block ×5, first 2 shown]
	s_cmp_neq_f32 s6, 0
	v_dual_mov_b32 v107, 32 :: v_dual_lshlrev_b32 v110, 4, v103
	s_mov_b32 s21, s9
	s_mov_b32 s10, 0
	v_mov_b32_e32 v112, v104
	s_wait_kmcnt 0x0
	s_add_nc_u64 s[4:5], s[4:5], s[22:23]
	v_add3_u32 v110, s26, v110, v98
	v_add_co_u32 v34, s3, s4, v25
	s_wait_alu 0xf1ff
	v_add_co_ci_u32_e64 v35, null, s5, 0, s3
	ds_load_b128 v[25:28], v93 offset:96
	ds_load_b128 v[29:32], v93 offset:112
	v_add_co_u32 v105, vcc_lo, v34, v33
	s_delay_alu instid0(VALU_DEP_1)
	v_add_co_ci_u32_e64 v106, null, 0, v35, vcc_lo
	v_cmp_gt_i32_e32 vcc_lo, 32, v41
	v_lshlrev_b32_e32 v108, 2, v98
	ds_load_b128 v[33:36], v93 offset:128
	ds_load_b128 v[37:40], v93 offset:144
	s_cselect_b32 s3, -1, 0
	s_lshl_b64 s[4:5], s[16:17], 2
	s_wait_alu 0xfffd
	v_cndmask_b32_e32 v109, v101, v41, vcc_lo
	ds_load_b128 v[41:44], v93 offset:160
	ds_load_b128 v[45:48], v93 offset:176
	;; [unrolled: 1-line block ×14, first 2 shown]
	v_lshl_or_b32 v108, v103, 6, v108
	s_wait_alu 0xfffe
	s_add_nc_u64 s[4:5], s[18:19], s[4:5]
	v_cmp_eq_u32_e32 vcc_lo, 0, v97
	s_wait_alu 0xfffe
	v_add_co_u32 v97, s4, s4, v100
	v_lshlrev_b32_e32 v109, 2, v109
	v_add_nc_u32_e32 v111, 0x320, v108
	s_wait_alu 0xf1ff
	v_add_co_ci_u32_e64 v98, null, s5, 0, s4
	v_mov_b32_e32 v108, 0xff7fffff
	s_sub_co_i32 s22, 1, s25
	s_branch .LBB43_10
.LBB43_9:                               ;   in Loop: Header=BB43_10 Depth=1
	s_wait_alu 0xfffe
	s_or_b32 exec_lo, exec_lo, s5
	v_add_nc_u32_e32 v112, 4, v112
	v_add_co_u32 v97, s5, v97, 16
	v_add_nc_u32_e32 v110, 64, v110
	v_add_nc_u32_e32 v111, 0x100, v111
	s_delay_alu instid0(VALU_DEP_4) | instskip(SKIP_3) | instid1(SALU_CYCLE_1)
	v_cmp_le_i32_e64 s4, s13, v112
	s_wait_alu 0xf1ff
	v_add_co_ci_u32_e64 v98, null, 0, v98, s5
	s_or_b32 s10, s4, s10
	s_and_not1_b32 exec_lo, exec_lo, s10
	s_cbranch_execz .LBB43_12
.LBB43_10:                              ; =>This Inner Loop Header: Depth=1
	global_load_b32 v113, v[97:98], off
	s_wait_loadcnt_dscnt 0x0
	v_mad_co_i64_i32 v[113:114], null, v113, s21, 0
	s_delay_alu instid0(VALU_DEP_1) | instskip(NEXT) | instid1(VALU_DEP_1)
	v_lshlrev_b64_e32 v[113:114], 2, v[113:114]
	v_add_co_u32 v113, s4, v105, v113
	s_wait_alu 0xf1ff
	s_delay_alu instid0(VALU_DEP_2)
	v_add_co_ci_u32_e64 v114, null, v106, v114, s4
	s_clause 0x10
	global_load_b64 v[115:116], v[113:114], off offset:256
	global_load_b64 v[117:118], v[113:114], off offset:512
	;; [unrolled: 1-line block ×3, first 2 shown]
	global_load_b64 v[121:122], v[113:114], off
	global_load_b64 v[123:124], v[113:114], off offset:1024
	global_load_b64 v[125:126], v[113:114], off offset:1280
	;; [unrolled: 1-line block ×13, first 2 shown]
	s_wait_loadcnt_dscnt 0x1017
	v_dual_mul_f32 v149, v3, v115 :: v_dual_mul_f32 v150, v4, v116
	global_load_b64 v[115:116], v[113:114], off offset:4352
	s_wait_loadcnt 0xe
	v_dual_fmac_f32 v149, v1, v121 :: v_dual_fmac_f32 v150, v2, v122
	global_load_b64 v[121:122], v[113:114], off offset:4608
	s_wait_dscnt 0x16
	v_dual_fmac_f32 v149, v5, v117 :: v_dual_fmac_f32 v150, v6, v118
	global_load_b64 v[117:118], v[113:114], off offset:4864
	v_dual_fmac_f32 v149, v7, v119 :: v_dual_fmac_f32 v150, v8, v120
	global_load_b64 v[119:120], v[113:114], off offset:5120
	s_wait_loadcnt_dscnt 0x1015
	v_dual_fmac_f32 v149, v9, v123 :: v_dual_fmac_f32 v150, v10, v124
	global_load_b64 v[123:124], v[113:114], off offset:5376
	s_wait_loadcnt 0x10
	v_dual_fmac_f32 v149, v11, v125 :: v_dual_fmac_f32 v150, v12, v126
	global_load_b64 v[125:126], v[113:114], off offset:5632
	s_wait_loadcnt_dscnt 0x1014
	v_dual_fmac_f32 v149, v13, v127 :: v_dual_fmac_f32 v150, v14, v128
	global_load_b64 v[127:128], v[113:114], off offset:5888
	s_wait_loadcnt 0x10
	v_dual_fmac_f32 v149, v15, v129 :: v_dual_fmac_f32 v150, v16, v130
	global_load_b64 v[129:130], v[113:114], off offset:6144
	s_wait_loadcnt_dscnt 0x1013
	v_dual_fmac_f32 v149, v17, v131 :: v_dual_fmac_f32 v150, v18, v132
	global_load_b64 v[131:132], v[113:114], off offset:6400
	s_wait_loadcnt 0x10
	v_dual_fmac_f32 v149, v19, v133 :: v_dual_fmac_f32 v150, v20, v134
	global_load_b64 v[133:134], v[113:114], off offset:6656
	s_wait_loadcnt_dscnt 0x1012
	v_dual_fmac_f32 v149, v21, v135 :: v_dual_fmac_f32 v150, v22, v136
	global_load_b64 v[135:136], v[113:114], off offset:6912
	s_wait_loadcnt 0x10
	v_dual_fmac_f32 v149, v23, v137 :: v_dual_fmac_f32 v150, v24, v138
	global_load_b64 v[137:138], v[113:114], off offset:7168
	s_wait_loadcnt_dscnt 0x1011
	v_dual_fmac_f32 v149, v25, v139 :: v_dual_fmac_f32 v150, v26, v140
	global_load_b64 v[139:140], v[113:114], off offset:7424
	s_wait_loadcnt 0x10
	v_dual_fmac_f32 v149, v27, v141 :: v_dual_fmac_f32 v150, v28, v142
	global_load_b64 v[141:142], v[113:114], off offset:7680
	s_wait_loadcnt_dscnt 0x1010
	v_dual_fmac_f32 v149, v29, v143 :: v_dual_fmac_f32 v150, v30, v144
	global_load_b64 v[143:144], v[113:114], off offset:7936
	s_wait_loadcnt 0x10
	v_dual_fmac_f32 v149, v31, v145 :: v_dual_fmac_f32 v150, v32, v146
	global_load_b64 v[145:146], v[113:114], off offset:8192
	s_wait_loadcnt_dscnt 0x100f
	v_dual_fmac_f32 v149, v33, v147 :: v_dual_fmac_f32 v150, v34, v148
	global_load_b64 v[147:148], v[113:114], off offset:8448
	s_wait_loadcnt 0x10
	v_dual_fmac_f32 v149, v35, v115 :: v_dual_fmac_f32 v150, v36, v116
	global_load_b64 v[115:116], v[113:114], off offset:8704
	s_wait_loadcnt_dscnt 0x100e
	v_dual_fmac_f32 v149, v37, v121 :: v_dual_fmac_f32 v150, v38, v122
	global_load_b64 v[121:122], v[113:114], off offset:8960
	s_wait_loadcnt 0x10
	v_dual_fmac_f32 v149, v39, v117 :: v_dual_fmac_f32 v150, v40, v118
	global_load_b64 v[117:118], v[113:114], off offset:9216
	s_wait_loadcnt_dscnt 0x100d
	v_dual_fmac_f32 v149, v41, v119 :: v_dual_fmac_f32 v150, v42, v120
	global_load_b64 v[119:120], v[113:114], off offset:9472
	s_wait_loadcnt 0x10
	v_dual_fmac_f32 v149, v43, v123 :: v_dual_fmac_f32 v150, v44, v124
	global_load_b64 v[123:124], v[113:114], off offset:9728
	s_wait_loadcnt_dscnt 0x100c
	v_dual_fmac_f32 v149, v45, v125 :: v_dual_fmac_f32 v150, v46, v126
	global_load_b64 v[125:126], v[113:114], off offset:9984
	s_wait_loadcnt 0x10
	v_dual_fmac_f32 v149, v47, v127 :: v_dual_fmac_f32 v150, v48, v128
	global_load_b64 v[127:128], v[113:114], off offset:10240
	s_wait_loadcnt_dscnt 0x100b
	v_dual_fmac_f32 v149, v49, v129 :: v_dual_fmac_f32 v150, v50, v130
	global_load_b64 v[129:130], v[113:114], off offset:10496
	s_wait_loadcnt 0x10
	v_dual_fmac_f32 v149, v51, v131 :: v_dual_fmac_f32 v150, v52, v132
	global_load_b64 v[131:132], v[113:114], off offset:10752
	s_wait_loadcnt_dscnt 0x100a
	v_dual_fmac_f32 v149, v53, v133 :: v_dual_fmac_f32 v150, v54, v134
	global_load_b64 v[133:134], v[113:114], off offset:11008
	s_wait_loadcnt 0x10
	v_dual_fmac_f32 v149, v55, v135 :: v_dual_fmac_f32 v150, v56, v136
	global_load_b64 v[135:136], v[113:114], off offset:11264
	s_wait_loadcnt_dscnt 0x1009
	v_dual_fmac_f32 v149, v57, v137 :: v_dual_fmac_f32 v150, v58, v138
	global_load_b64 v[137:138], v[113:114], off offset:11520
	s_wait_loadcnt 0x10
	v_dual_fmac_f32 v149, v59, v139 :: v_dual_fmac_f32 v150, v60, v140
	s_clause 0x1
	global_load_b64 v[139:140], v[113:114], off offset:11776
	global_load_b64 v[113:114], v[113:114], off offset:12032
	s_wait_loadcnt_dscnt 0x1108
	v_dual_fmac_f32 v149, v61, v141 :: v_dual_fmac_f32 v150, v62, v142
	s_wait_loadcnt 0x10
	s_delay_alu instid0(VALU_DEP_1) | instskip(SKIP_1) | instid1(VALU_DEP_1)
	v_dual_fmac_f32 v149, v63, v143 :: v_dual_fmac_f32 v150, v64, v144
	s_wait_loadcnt_dscnt 0xf07
	v_dual_fmac_f32 v149, v65, v145 :: v_dual_fmac_f32 v150, v66, v146
	s_wait_loadcnt 0xe
	s_delay_alu instid0(VALU_DEP_1) | instskip(SKIP_1) | instid1(VALU_DEP_1)
	v_dual_fmac_f32 v149, v67, v147 :: v_dual_fmac_f32 v150, v68, v148
	;; [unrolled: 5-line block ×8, first 2 shown]
	s_wait_loadcnt_dscnt 0x100
	v_dual_fmac_f32 v149, v93, v139 :: v_dual_fmac_f32 v150, v94, v140
	s_wait_loadcnt 0x0
	s_delay_alu instid0(VALU_DEP_1) | instskip(NEXT) | instid1(VALU_DEP_1)
	v_dual_fmac_f32 v149, v95, v113 :: v_dual_fmac_f32 v150, v96, v114
	v_add_f32_e32 v113, v149, v150
	ds_bpermute_b32 v114, v109, v113
	s_and_saveexec_b32 s5, vcc_lo
	s_cbranch_execz .LBB43_9
; %bb.11:                               ;   in Loop: Header=BB43_10 Depth=1
	s_wait_dscnt 0x0
	v_add_f32_e32 v113, v113, v114
	v_add_nc_u32_e32 v115, s22, v110
	v_cmp_gt_i32_e64 s4, s25, v110
	s_delay_alu instid0(VALU_DEP_2) | instskip(NEXT) | instid1(VALU_DEP_1)
	v_cvt_f32_i32_e32 v115, v115
	v_mul_f32_e32 v115, s6, v115
	s_delay_alu instid0(VALU_DEP_1) | instskip(NEXT) | instid1(VALU_DEP_1)
	v_cndmask_b32_e64 v114, 0, v115, s3
	v_dual_max_num_f32 v115, v108, v108 :: v_dual_fmac_f32 v114, s7, v113
	s_delay_alu instid0(VALU_DEP_1) | instskip(SKIP_2) | instid1(VALU_DEP_2)
	v_max_num_f32_e32 v113, v115, v114
	s_wait_alu 0xf1ff
	v_cndmask_b32_e64 v114, 0, v114, s4
	v_cndmask_b32_e64 v108, v108, v113, s4
	ds_store_b32 v111, v114
	s_branch .LBB43_9
.LBB43_12:
	s_or_b32 exec_lo, exec_lo, s10
.LBB43_13:
	s_delay_alu instid0(SALU_CYCLE_1)
	s_or_b32 exec_lo, exec_lo, s11
	v_xor_b32_e32 v1, 16, v101
	v_xor_b32_e32 v3, 8, v101
	;; [unrolled: 1-line block ×3, first 2 shown]
	s_clause 0x2
	s_load_b128 s[4:7], s[0:1], 0x0
	s_load_b64 s[10:11], s[0:1], 0x10
	s_load_b64 s[22:23], s[0:1], 0x28
	v_and_b32_e32 v105, 31, v0
	v_cmp_lt_i32_e32 vcc_lo, v1, v107
	v_max_num_f32_e32 v5, v108, v108
	s_wait_alu 0xfffd
	v_cndmask_b32_e32 v1, v101, v1, vcc_lo
	v_cmp_lt_i32_e32 vcc_lo, v3, v107
	s_wait_alu 0xfffd
	v_cndmask_b32_e32 v3, v101, v3, vcc_lo
	s_delay_alu instid0(VALU_DEP_1) | instskip(SKIP_4) | instid1(VALU_DEP_1)
	v_lshlrev_b32_e32 v4, 2, v3
	v_lshlrev_b32_e32 v2, 2, v1
	ds_bpermute_b32 v1, v2, v108
	s_wait_dscnt 0x0
	v_max_num_f32_e32 v1, v1, v1
	v_max_num_f32_e32 v1, v5, v1
	v_xor_b32_e32 v5, 4, v101
	ds_bpermute_b32 v3, v4, v1
	v_cmp_lt_i32_e32 vcc_lo, v5, v107
	s_wait_alu 0xfffd
	v_cndmask_b32_e32 v5, v101, v5, vcc_lo
	v_cmp_lt_i32_e32 vcc_lo, v6, v107
	s_wait_alu 0xfffd
	s_delay_alu instid0(VALU_DEP_2) | instskip(SKIP_1) | instid1(VALU_DEP_2)
	v_dual_cndmask_b32 v6, v101, v6 :: v_dual_lshlrev_b32 v5, 2, v5
	v_cmp_eq_u32_e32 vcc_lo, 0, v105
	v_lshlrev_b32_e32 v106, 2, v6
	v_lshlrev_b32_e32 v6, 2, v103
	s_wait_dscnt 0x0
	v_max_num_f32_e32 v3, v3, v3
	s_delay_alu instid0(VALU_DEP_1) | instskip(SKIP_3) | instid1(VALU_DEP_1)
	v_max_num_f32_e32 v1, v1, v3
	ds_bpermute_b32 v3, v5, v1
	s_wait_dscnt 0x0
	v_max_num_f32_e32 v3, v3, v3
	v_max_num_f32_e32 v1, v1, v3
	ds_bpermute_b32 v3, v106, v1
	s_and_saveexec_b32 s0, vcc_lo
	s_cbranch_execz .LBB43_15
; %bb.14:
	s_wait_dscnt 0x0
	v_max_num_f32_e32 v3, v3, v3
	v_max_num_f32_e32 v1, v1, v1
	s_delay_alu instid0(VALU_DEP_1)
	v_max_num_f32_e32 v1, v1, v3
	ds_store_b32 v6, v1 offset:768
.LBB43_15:
	s_or_b32 exec_lo, exec_lo, s0
	v_cmp_gt_u32_e64 s0, 4, v105
	v_mov_b32_e32 v1, 0xff7fffff
	v_lshlrev_b32_e32 v7, 2, v105
	s_wait_loadcnt_dscnt 0x0
	s_barrier_signal -1
	s_barrier_wait -1
	global_inv scope:SCOPE_SE
	s_and_saveexec_b32 s1, s0
; %bb.16:
	ds_load_b32 v1, v7 offset:768
; %bb.17:
	s_or_b32 exec_lo, exec_lo, s1
	s_wait_dscnt 0x0
	ds_bpermute_b32 v3, v106, v1
	v_xor_b32_e32 v8, 1, v101
	v_max_num_f32_e32 v1, v1, v1
	s_delay_alu instid0(VALU_DEP_2) | instskip(NEXT) | instid1(VALU_DEP_1)
	v_cmp_lt_i32_e64 s1, v8, v107
	v_cndmask_b32_e64 v8, v101, v8, s1
	s_sub_co_i32 s1, s13, s28
	s_wait_alu 0xfffe
	s_lshl_b32 s1, s1, 4
	s_delay_alu instid0(VALU_DEP_1)
	v_dual_mov_b32 v8, 0 :: v_dual_lshlrev_b32 v107, 2, v8
	s_wait_alu 0xfffe
	s_add_co_i32 s1, s1, s26
	s_wait_alu 0xfffe
	s_min_i32 s1, s1, s25
	s_wait_dscnt 0x0
	v_max_num_f32_e32 v3, v3, v3
	s_wait_alu 0xfffe
	s_sub_co_i32 s21, s1, s26
	s_wait_alu 0xfffe
	v_cmp_gt_i32_e64 s1, s21, v0
	v_max_num_f32_e32 v1, v1, v3
	ds_bpermute_b32 v3, v107, v1
	s_wait_dscnt 0x0
	v_max_num_f32_e32 v3, v3, v3
	s_delay_alu instid0(VALU_DEP_1)
	v_max_num_f32_e32 v1, v1, v3
	v_lshlrev_b32_e32 v3, 2, v102
	ds_bpermute_b32 v1, v3, v1
	v_lshl_add_u32 v3, v0, 2, 0x320
	s_and_saveexec_b32 s28, s1
	s_cbranch_execz .LBB43_21
; %bb.18:
	v_lshl_add_u32 v9, v0, 2, 0x320
	v_mov_b32_e32 v8, 0
	v_mov_b32_e32 v10, v0
	s_mov_b32 s29, 0
.LBB43_19:                              ; =>This Inner Loop Header: Depth=1
	ds_load_b32 v11, v9
	v_add_nc_u32_e32 v10, 0x80, v10
	s_delay_alu instid0(VALU_DEP_1) | instskip(SKIP_4) | instid1(VALU_DEP_1)
	v_cmp_le_i32_e64 s3, s21, v10
	s_wait_alu 0xfffe
	s_or_b32 s29, s3, s29
	s_wait_dscnt 0x0
	v_sub_f32_e32 v11, v11, v1
	v_mul_f32_e32 v11, 0x3fb8aa3b, v11
	s_delay_alu instid0(VALU_DEP_1)
	v_exp_f32_e32 v11, v11
	ds_store_b32 v9, v11
	v_dual_add_f32 v8, v8, v11 :: v_dual_add_nc_u32 v9, 0x200, v9
	s_wait_alu 0xfffe
	s_and_not1_b32 exec_lo, exec_lo, s29
	s_cbranch_execnz .LBB43_19
; %bb.20:
	s_or_b32 exec_lo, exec_lo, s29
.LBB43_21:
	s_wait_alu 0xfffe
	s_or_b32 exec_lo, exec_lo, s28
	ds_bpermute_b32 v2, v2, v8
	s_wait_dscnt 0x0
	v_add_f32_e32 v2, v8, v2
	ds_bpermute_b32 v4, v4, v2
	s_wait_dscnt 0x0
	v_add_f32_e32 v2, v2, v4
	;; [unrolled: 3-line block ×5, first 2 shown]
	s_and_saveexec_b32 s3, vcc_lo
; %bb.22:
	ds_store_b32 v6, v2 offset:784
; %bb.23:
	s_wait_alu 0xfffe
	s_or_b32 exec_lo, exec_lo, s3
	s_wait_loadcnt_dscnt 0x0
	s_barrier_signal -1
	s_barrier_wait -1
	global_inv scope:SCOPE_SE
	s_and_saveexec_b32 s3, s0
; %bb.24:
	ds_load_b32 v2, v7 offset:784
; %bb.25:
	s_wait_alu 0xfffe
	s_or_b32 exec_lo, exec_lo, s3
	s_wait_dscnt 0x0
	ds_bpermute_b32 v4, v106, v2
	s_wait_dscnt 0x0
	v_dual_add_f32 v2, v2, v4 :: v_dual_lshlrev_b32 v5, 2, v101
	ds_bpermute_b32 v4, v107, v2
	s_wait_dscnt 0x0
	v_add_f32_e32 v2, v2, v4
	v_and_b32_e32 v4, 0xffffff80, v5
	ds_bpermute_b32 v2, v4, v2
	s_and_saveexec_b32 s0, s1
	s_cbranch_execz .LBB43_28
; %bb.26:
	s_wait_dscnt 0x0
	v_add_f32_e32 v4, 0x358637bd, v2
	s_mov_b32 s1, 0
	s_delay_alu instid0(VALU_DEP_1) | instskip(SKIP_1) | instid1(VALU_DEP_2)
	v_div_scale_f32 v5, null, v4, v4, 1.0
	v_div_scale_f32 v8, vcc_lo, 1.0, v4, 1.0
	v_rcp_f32_e32 v6, v5
	s_delay_alu instid0(TRANS32_DEP_1) | instskip(NEXT) | instid1(VALU_DEP_1)
	v_fma_f32 v7, -v5, v6, 1.0
	v_fmac_f32_e32 v6, v7, v6
	s_delay_alu instid0(VALU_DEP_1) | instskip(NEXT) | instid1(VALU_DEP_1)
	v_mul_f32_e32 v7, v8, v6
	v_fma_f32 v9, -v5, v7, v8
	s_delay_alu instid0(VALU_DEP_1) | instskip(NEXT) | instid1(VALU_DEP_1)
	v_fmac_f32_e32 v7, v9, v6
	v_fma_f32 v5, -v5, v7, v8
	s_wait_alu 0xfffd
	s_delay_alu instid0(VALU_DEP_1) | instskip(NEXT) | instid1(VALU_DEP_1)
	v_div_fmas_f32 v5, v5, v6, v7
	v_div_fixup_f32 v4, v5, v4, 1.0
	v_mov_b32_e32 v5, v0
.LBB43_27:                              ; =>This Inner Loop Header: Depth=1
	ds_load_b32 v6, v3
	s_wait_dscnt 0x0
	v_dual_mul_f32 v6, v4, v6 :: v_dual_add_nc_u32 v5, 0x80, v5
	s_delay_alu instid0(VALU_DEP_1)
	v_cmp_le_i32_e32 vcc_lo, s21, v5
	ds_store_b32 v3, v6
	v_add_nc_u32_e32 v3, 0x200, v3
	s_wait_alu 0xfffe
	s_or_b32 s1, vcc_lo, s1
	s_wait_alu 0xfffe
	s_and_not1_b32 exec_lo, exec_lo, s1
	s_cbranch_execnz .LBB43_27
.LBB43_28:
	s_wait_alu 0xfffe
	s_or_b32 exec_lo, exec_lo, s0
	s_wait_kmcnt 0x0
	s_mul_i32 s0, s8, s14
	s_wait_loadcnt_dscnt 0x0
	s_wait_alu 0xfffe
	s_mul_i32 s14, s0, s15
	s_mov_b32 s0, exec_lo
	s_barrier_signal -1
	s_barrier_wait -1
	global_inv scope:SCOPE_SE
	v_cmpx_eq_u32_e32 0, v0
	s_cbranch_execz .LBB43_30
; %bb.29:
	s_ashr_i32 s15, s14, 31
	s_wait_alu 0xfffe
	s_mul_i32 s28, s8, ttmp9
	s_lshl_b32 s1, s24, 2
	s_lshl_b64 s[30:31], s[14:15], 2
	s_wait_alu 0xfffe
	s_ashr_i32 s29, s28, 31
	v_mov_b32_e32 v3, s1
	s_add_nc_u64 s[6:7], s[6:7], s[30:31]
	s_wait_alu 0xfffe
	s_lshl_b64 s[28:29], s[28:29], 2
	s_add_nc_u64 s[4:5], s[4:5], s[30:31]
	s_wait_alu 0xfffe
	s_add_nc_u64 s[6:7], s[6:7], s[28:29]
	s_add_nc_u64 s[4:5], s[4:5], s[28:29]
	s_clause 0x1
	global_store_b32 v3, v1, s[6:7]
	global_store_b32 v3, v2, s[4:5]
.LBB43_30:
	s_wait_alu 0xfffe
	s_or_b32 exec_lo, exec_lo, s0
	v_dual_mov_b32 v130, 0 :: v_dual_mov_b32 v131, 0
	v_dual_mov_b32 v129, 0 :: v_dual_and_b32 v108, 3, v0
	v_dual_mov_b32 v132, 0 :: v_dual_mov_b32 v127, 0
	v_dual_mov_b32 v128, 0 :: v_dual_mov_b32 v125, 0
	;; [unrolled: 1-line block ×10, first 2 shown]
	v_mov_b32_e32 v110, 0
	s_and_saveexec_b32 s1, s2
	s_cbranch_execz .LBB43_82
; %bb.31:
	v_dual_mov_b32 v110, 0 :: v_dual_lshlrev_b32 v1, 4, v0
	s_ashr_i32 s21, s20, 31
	v_dual_mov_b32 v112, 0 :: v_dual_lshlrev_b32 v3, 4, v108
	s_delay_alu instid0(VALU_DEP_2)
	v_dual_mov_b32 v114, 0 :: v_dual_and_b32 v1, 0x1f0, v1
	s_wait_alu 0xfffe
	s_lshl_b64 s[2:3], s[20:21], 2
	v_dual_mov_b32 v109, 0 :: v_dual_and_b32 v2, 12, v99
	s_wait_alu 0xfffe
	s_add_nc_u64 s[2:3], s[22:23], s[2:3]
	v_lshl_add_u32 v4, v103, 4, s26
	s_wait_alu 0xfffe
	v_add_co_u32 v133, s0, s2, v1
	s_wait_alu 0xf1ff
	v_add_co_ci_u32_e64 v134, null, s3, 0, s0
	s_lshl_b64 s[2:3], s[16:17], 2
	v_lshl_or_b32 v3, v103, 6, v3
	s_wait_alu 0xfffe
	s_add_nc_u64 s[2:3], s[18:19], s[2:3]
	v_add3_u32 v135, v4, v2, 3
	s_wait_alu 0xfffe
	v_add_co_u32 v101, s0, s2, v100
	v_dual_mov_b32 v111, 0 :: v_dual_add_nc_u32 v136, 0x320, v3
	s_wait_alu 0xf1ff
	v_add_co_ci_u32_e64 v102, null, s3, 0, s0
	v_dual_mov_b32 v113, 0 :: v_dual_mov_b32 v116, 0
	v_dual_mov_b32 v115, 0 :: v_dual_mov_b32 v118, 0
	;; [unrolled: 1-line block ×9, first 2 shown]
	v_mov_b32_e32 v131, 0
	s_mov_b32 s2, s9
	s_add_co_i32 s4, s27, -1
	s_mov_b32 s3, 0
	s_branch .LBB43_33
.LBB43_32:                              ;   in Loop: Header=BB43_33 Depth=1
	s_wait_alu 0xfffe
	s_or_b32 exec_lo, exec_lo, s0
	s_wait_loadcnt_dscnt 0xb00
	v_mul_f32_e32 v53, v1, v53
	s_wait_loadcnt 0x9
	v_mul_f32_e32 v61, v1, v61
	v_mul_f32_e32 v21, v1, v21
	s_wait_loadcnt 0x3
	v_mul_f32_e32 v89, v1, v89
	v_mul_f32_e32 v81, v1, v81
	v_fmac_f32_e32 v53, v2, v54
	v_fmac_f32_e32 v61, v2, v62
	;; [unrolled: 1-line block ×3, first 2 shown]
	v_mul_f32_e32 v69, v1, v69
	v_mul_f32_e32 v37, v1, v37
	v_fmac_f32_e32 v53, v3, v55
	v_fmac_f32_e32 v61, v3, v63
	v_mul_f32_e32 v29, v1, v29
	v_fmac_f32_e32 v21, v3, v23
	v_mul_f32_e32 v9, v1, v9
	v_fmac_f32_e32 v53, v4, v56
	v_fmac_f32_e32 v89, v2, v90
	s_wait_loadcnt 0x1
	v_dual_mul_f32 v97, v1, v97 :: v_dual_add_nc_u32 v104, 4, v104
	v_fmac_f32_e32 v69, v2, v70
	v_fmac_f32_e32 v61, v4, v64
	v_mul_f32_e32 v45, v1, v45
	v_dual_add_f32 v120, v120, v53 :: v_dual_fmac_f32 v89, v3, v91
	v_fmac_f32_e32 v37, v2, v38
	v_fmac_f32_e32 v29, v2, v30
	;; [unrolled: 1-line block ×5, first 2 shown]
	v_dual_mul_f32 v93, v1, v93 :: v_dual_add_nc_u32 v136, 0x100, v136
	v_mul_f32_e32 v85, v1, v85
	v_mul_f32_e32 v73, v1, v73
	;; [unrolled: 1-line block ×3, first 2 shown]
	v_fmac_f32_e32 v69, v3, v71
	v_mul_f32_e32 v57, v1, v57
	v_dual_add_f32 v118, v118, v61 :: v_dual_fmac_f32 v89, v4, v92
	v_fmac_f32_e32 v97, v2, v98
	v_mul_f32_e32 v49, v1, v49
	v_mul_f32_e32 v41, v1, v41
	v_fmac_f32_e32 v45, v2, v46
	v_mul_f32_e32 v33, v1, v33
	v_mul_f32_e32 v25, v1, v25
	v_fmac_f32_e32 v37, v3, v39
	v_fmac_f32_e32 v29, v3, v31
	v_mul_f32_e32 v17, v1, v17
	v_dual_add_f32 v128, v128, v21 :: v_dual_fmac_f32 v81, v3, v83
	v_mul_f32_e32 v13, v1, v13
	v_mul_f32_e32 v5, v1, v5
	s_wait_loadcnt 0x0
	v_mul_f32_e32 v1, v1, v77
	v_dual_fmac_f32 v9, v3, v11 :: v_dual_add_f32 v112, v112, v89
	v_fmac_f32_e32 v65, v2, v66
	v_fmac_f32_e32 v81, v4, v84
	;; [unrolled: 1-line block ×20, first 2 shown]
	v_dual_fmac_f32 v65, v3, v67 :: v_dual_add_f32 v114, v114, v81
	v_dual_fmac_f32 v97, v4, v100 :: v_dual_add_f32 v126, v126, v29
	v_dual_add_f32 v116, v116, v69 :: v_dual_fmac_f32 v93, v3, v95
	v_fmac_f32_e32 v57, v3, v59
	v_fmac_f32_e32 v49, v3, v51
	;; [unrolled: 1-line block ×5, first 2 shown]
	v_dual_fmac_f32 v25, v3, v27 :: v_dual_add_f32 v124, v124, v37
	s_delay_alu instid0(VALU_DEP_3)
	v_dual_fmac_f32 v85, v3, v87 :: v_dual_add_f32 v122, v122, v45
	v_fmac_f32_e32 v17, v3, v19
	v_fmac_f32_e32 v13, v3, v15
	;; [unrolled: 1-line block ×3, first 2 shown]
	v_dual_fmac_f32 v1, v3, v79 :: v_dual_add_f32 v132, v132, v9
	v_fmac_f32_e32 v73, v3, v75
	v_dual_fmac_f32 v85, v4, v88 :: v_dual_add_f32 v110, v110, v97
	v_fmac_f32_e32 v65, v4, v68
	v_fmac_f32_e32 v57, v4, v60
	s_delay_alu instid0(VALU_DEP_4)
	v_fmac_f32_e32 v73, v4, v76
	v_fmac_f32_e32 v49, v4, v52
	;; [unrolled: 1-line block ×10, first 2 shown]
	v_cmp_le_i32_e32 vcc_lo, s13, v104
	v_add_co_u32 v101, s0, v101, 16
	v_add_f32_e32 v113, v113, v85
	v_add_f32_e32 v115, v115, v73
	v_add_f32_e32 v117, v117, v65
	v_add_f32_e32 v119, v119, v57
	v_add_f32_e32 v121, v121, v49
	v_add_f32_e32 v123, v123, v41
	v_add_f32_e32 v125, v125, v33
	v_add_f32_e32 v127, v127, v25
	v_add_f32_e32 v129, v129, v17
	v_add_f32_e32 v131, v131, v13
	v_add_f32_e32 v130, v130, v5
	v_add_f32_e32 v111, v111, v93
	v_add_f32_e32 v109, v109, v1
	v_add_nc_u32_e32 v135, 64, v135
	s_wait_alu 0xf1ff
	v_add_co_ci_u32_e64 v102, null, 0, v102, s0
	s_or_b32 s3, vcc_lo, s3
	s_wait_alu 0xfffe
	s_and_not1_b32 exec_lo, exec_lo, s3
	s_cbranch_execz .LBB43_81
.LBB43_33:                              ; =>This Inner Loop Header: Depth=1
	global_load_b32 v1, v[101:102], off
	v_add_nc_u32_e32 v137, -3, v135
	v_add_nc_u32_e32 v139, -2, v135
	;; [unrolled: 1-line block ×3, first 2 shown]
	s_wait_loadcnt 0x0
	s_wait_alu 0xfffe
	v_mad_co_i64_i32 v[1:2], null, v1, s2, 0
	s_delay_alu instid0(VALU_DEP_1) | instskip(NEXT) | instid1(VALU_DEP_1)
	v_lshlrev_b64_e32 v[1:2], 2, v[1:2]
	v_add_co_u32 v77, vcc_lo, v133, v1
	s_wait_alu 0xfffd
	s_delay_alu instid0(VALU_DEP_2)
	v_add_co_ci_u32_e64 v78, null, v134, v2, vcc_lo
	ds_load_b128 v[1:4], v136
	v_cmp_eq_u32_e32 vcc_lo, s4, v104
	global_load_b128 v[5:8], v[77:78], off
	s_and_saveexec_b32 s5, vcc_lo
	s_cbranch_execnz .LBB43_57
; %bb.34:                               ;   in Loop: Header=BB43_33 Depth=1
	s_wait_alu 0xfffe
	s_or_b32 exec_lo, exec_lo, s5
	global_load_b128 v[9:12], v[77:78], off offset:512
	s_and_saveexec_b32 s5, vcc_lo
	s_cbranch_execnz .LBB43_58
.LBB43_35:                              ;   in Loop: Header=BB43_33 Depth=1
	s_wait_alu 0xfffe
	s_or_b32 exec_lo, exec_lo, s5
	global_load_b128 v[13:16], v[77:78], off offset:1024
	s_and_saveexec_b32 s5, vcc_lo
	s_cbranch_execnz .LBB43_59
.LBB43_36:                              ;   in Loop: Header=BB43_33 Depth=1
	s_wait_alu 0xfffe
	s_or_b32 exec_lo, exec_lo, s5
	global_load_b128 v[17:20], v[77:78], off offset:1536
	s_and_saveexec_b32 s5, vcc_lo
	s_cbranch_execnz .LBB43_60
.LBB43_37:                              ;   in Loop: Header=BB43_33 Depth=1
	s_wait_alu 0xfffe
	s_or_b32 exec_lo, exec_lo, s5
	global_load_b128 v[21:24], v[77:78], off offset:2048
	s_and_saveexec_b32 s5, vcc_lo
	s_cbranch_execnz .LBB43_61
.LBB43_38:                              ;   in Loop: Header=BB43_33 Depth=1
	s_wait_alu 0xfffe
	s_or_b32 exec_lo, exec_lo, s5
	global_load_b128 v[25:28], v[77:78], off offset:2560
	s_and_saveexec_b32 s5, vcc_lo
	s_cbranch_execnz .LBB43_62
.LBB43_39:                              ;   in Loop: Header=BB43_33 Depth=1
	s_wait_alu 0xfffe
	s_or_b32 exec_lo, exec_lo, s5
	global_load_b128 v[29:32], v[77:78], off offset:3072
	s_and_saveexec_b32 s5, vcc_lo
	s_cbranch_execnz .LBB43_63
.LBB43_40:                              ;   in Loop: Header=BB43_33 Depth=1
	s_wait_alu 0xfffe
	s_or_b32 exec_lo, exec_lo, s5
	global_load_b128 v[33:36], v[77:78], off offset:3584
	s_and_saveexec_b32 s5, vcc_lo
	s_cbranch_execnz .LBB43_64
.LBB43_41:                              ;   in Loop: Header=BB43_33 Depth=1
	s_wait_alu 0xfffe
	s_or_b32 exec_lo, exec_lo, s5
	global_load_b128 v[37:40], v[77:78], off offset:4096
	s_and_saveexec_b32 s5, vcc_lo
	s_cbranch_execnz .LBB43_65
.LBB43_42:                              ;   in Loop: Header=BB43_33 Depth=1
	s_wait_alu 0xfffe
	s_or_b32 exec_lo, exec_lo, s5
	global_load_b128 v[41:44], v[77:78], off offset:4608
	s_and_saveexec_b32 s5, vcc_lo
	s_cbranch_execnz .LBB43_66
.LBB43_43:                              ;   in Loop: Header=BB43_33 Depth=1
	s_wait_alu 0xfffe
	s_or_b32 exec_lo, exec_lo, s5
	global_load_b128 v[45:48], v[77:78], off offset:5120
	s_and_saveexec_b32 s5, vcc_lo
	s_cbranch_execnz .LBB43_67
.LBB43_44:                              ;   in Loop: Header=BB43_33 Depth=1
	s_wait_alu 0xfffe
	s_or_b32 exec_lo, exec_lo, s5
	global_load_b128 v[49:52], v[77:78], off offset:5632
	s_and_saveexec_b32 s5, vcc_lo
	s_cbranch_execnz .LBB43_68
.LBB43_45:                              ;   in Loop: Header=BB43_33 Depth=1
	s_wait_alu 0xfffe
	s_or_b32 exec_lo, exec_lo, s5
	global_load_b128 v[53:56], v[77:78], off offset:6144
	s_and_saveexec_b32 s5, vcc_lo
	s_cbranch_execnz .LBB43_69
.LBB43_46:                              ;   in Loop: Header=BB43_33 Depth=1
	s_wait_alu 0xfffe
	s_or_b32 exec_lo, exec_lo, s5
	global_load_b128 v[57:60], v[77:78], off offset:6656
	s_and_saveexec_b32 s5, vcc_lo
	s_cbranch_execnz .LBB43_70
.LBB43_47:                              ;   in Loop: Header=BB43_33 Depth=1
	s_wait_alu 0xfffe
	s_or_b32 exec_lo, exec_lo, s5
	global_load_b128 v[61:64], v[77:78], off offset:7168
	s_and_saveexec_b32 s5, vcc_lo
	s_cbranch_execnz .LBB43_71
.LBB43_48:                              ;   in Loop: Header=BB43_33 Depth=1
	s_wait_alu 0xfffe
	s_or_b32 exec_lo, exec_lo, s5
	global_load_b128 v[65:68], v[77:78], off offset:7680
	s_and_saveexec_b32 s5, vcc_lo
	s_cbranch_execnz .LBB43_72
.LBB43_49:                              ;   in Loop: Header=BB43_33 Depth=1
	s_wait_alu 0xfffe
	s_or_b32 exec_lo, exec_lo, s5
	global_load_b128 v[69:72], v[77:78], off offset:8192
	s_and_saveexec_b32 s5, vcc_lo
	s_cbranch_execnz .LBB43_73
.LBB43_50:                              ;   in Loop: Header=BB43_33 Depth=1
	s_wait_alu 0xfffe
	s_or_b32 exec_lo, exec_lo, s5
	global_load_b128 v[73:76], v[77:78], off offset:8704
	s_and_saveexec_b32 s5, vcc_lo
	s_cbranch_execnz .LBB43_74
.LBB43_51:                              ;   in Loop: Header=BB43_33 Depth=1
	s_wait_alu 0xfffe
	s_or_b32 exec_lo, exec_lo, s5
	global_load_b128 v[81:84], v[77:78], off offset:9216
	s_and_saveexec_b32 s5, vcc_lo
	s_cbranch_execnz .LBB43_75
.LBB43_52:                              ;   in Loop: Header=BB43_33 Depth=1
	s_wait_alu 0xfffe
	s_or_b32 exec_lo, exec_lo, s5
	global_load_b128 v[85:88], v[77:78], off offset:9728
	s_and_saveexec_b32 s5, vcc_lo
	s_cbranch_execnz .LBB43_76
.LBB43_53:                              ;   in Loop: Header=BB43_33 Depth=1
	s_wait_alu 0xfffe
	s_or_b32 exec_lo, exec_lo, s5
	global_load_b128 v[89:92], v[77:78], off offset:10240
	s_and_saveexec_b32 s5, vcc_lo
	s_cbranch_execnz .LBB43_77
.LBB43_54:                              ;   in Loop: Header=BB43_33 Depth=1
	s_wait_alu 0xfffe
	s_or_b32 exec_lo, exec_lo, s5
	global_load_b128 v[93:96], v[77:78], off offset:10752
	s_and_saveexec_b32 s5, vcc_lo
	s_cbranch_execnz .LBB43_78
.LBB43_55:                              ;   in Loop: Header=BB43_33 Depth=1
	s_wait_alu 0xfffe
	s_or_b32 exec_lo, exec_lo, s5
	global_load_b128 v[97:100], v[77:78], off offset:11264
	s_and_saveexec_b32 s5, vcc_lo
	s_cbranch_execnz .LBB43_79
.LBB43_56:                              ;   in Loop: Header=BB43_33 Depth=1
	s_wait_alu 0xfffe
	s_or_b32 exec_lo, exec_lo, s5
	global_load_b128 v[77:80], v[77:78], off offset:11776
	s_and_saveexec_b32 s0, vcc_lo
	s_cbranch_execz .LBB43_32
	s_branch .LBB43_80
.LBB43_57:                              ;   in Loop: Header=BB43_33 Depth=1
	v_cmp_gt_i32_e64 s0, s25, v137
	s_wait_loadcnt 0x0
	s_wait_alu 0xf1ff
	s_delay_alu instid0(VALU_DEP_1) | instskip(SKIP_2) | instid1(VALU_DEP_1)
	v_cndmask_b32_e64 v5, 0, v5, s0
	v_cmp_gt_i32_e64 s0, s25, v139
	s_wait_alu 0xf1ff
	v_cndmask_b32_e64 v6, 0, v6, s0
	v_cmp_gt_i32_e64 s0, s25, v138
	s_wait_alu 0xf1ff
	s_delay_alu instid0(VALU_DEP_1) | instskip(SKIP_2) | instid1(VALU_DEP_1)
	v_cndmask_b32_e64 v7, 0, v7, s0
	v_cmp_gt_i32_e64 s0, s25, v135
	s_wait_alu 0xf1ff
	v_cndmask_b32_e64 v8, 0, v8, s0
	s_wait_alu 0xfffe
	s_or_b32 exec_lo, exec_lo, s5
	global_load_b128 v[9:12], v[77:78], off offset:512
	s_and_saveexec_b32 s5, vcc_lo
	s_cbranch_execz .LBB43_35
.LBB43_58:                              ;   in Loop: Header=BB43_33 Depth=1
	v_cmp_gt_i32_e64 s0, s25, v137
	s_wait_loadcnt 0x0
	s_wait_alu 0xf1ff
	s_delay_alu instid0(VALU_DEP_1) | instskip(SKIP_2) | instid1(VALU_DEP_1)
	v_cndmask_b32_e64 v9, 0, v9, s0
	v_cmp_gt_i32_e64 s0, s25, v139
	s_wait_alu 0xf1ff
	v_cndmask_b32_e64 v10, 0, v10, s0
	v_cmp_gt_i32_e64 s0, s25, v138
	s_wait_alu 0xf1ff
	s_delay_alu instid0(VALU_DEP_1) | instskip(SKIP_2) | instid1(VALU_DEP_1)
	v_cndmask_b32_e64 v11, 0, v11, s0
	v_cmp_gt_i32_e64 s0, s25, v135
	s_wait_alu 0xf1ff
	v_cndmask_b32_e64 v12, 0, v12, s0
	s_wait_alu 0xfffe
	s_or_b32 exec_lo, exec_lo, s5
	global_load_b128 v[13:16], v[77:78], off offset:1024
	s_and_saveexec_b32 s5, vcc_lo
	s_cbranch_execz .LBB43_36
.LBB43_59:                              ;   in Loop: Header=BB43_33 Depth=1
	v_cmp_gt_i32_e64 s0, s25, v137
	s_wait_loadcnt 0x0
	s_wait_alu 0xf1ff
	s_delay_alu instid0(VALU_DEP_1) | instskip(SKIP_2) | instid1(VALU_DEP_1)
	v_cndmask_b32_e64 v13, 0, v13, s0
	v_cmp_gt_i32_e64 s0, s25, v139
	s_wait_alu 0xf1ff
	v_cndmask_b32_e64 v14, 0, v14, s0
	v_cmp_gt_i32_e64 s0, s25, v138
	s_wait_alu 0xf1ff
	s_delay_alu instid0(VALU_DEP_1) | instskip(SKIP_2) | instid1(VALU_DEP_1)
	v_cndmask_b32_e64 v15, 0, v15, s0
	v_cmp_gt_i32_e64 s0, s25, v135
	s_wait_alu 0xf1ff
	v_cndmask_b32_e64 v16, 0, v16, s0
	s_wait_alu 0xfffe
	s_or_b32 exec_lo, exec_lo, s5
	global_load_b128 v[17:20], v[77:78], off offset:1536
	s_and_saveexec_b32 s5, vcc_lo
	s_cbranch_execz .LBB43_37
.LBB43_60:                              ;   in Loop: Header=BB43_33 Depth=1
	v_cmp_gt_i32_e64 s0, s25, v137
	s_wait_loadcnt 0x0
	s_wait_alu 0xf1ff
	s_delay_alu instid0(VALU_DEP_1) | instskip(SKIP_2) | instid1(VALU_DEP_1)
	v_cndmask_b32_e64 v17, 0, v17, s0
	v_cmp_gt_i32_e64 s0, s25, v139
	s_wait_alu 0xf1ff
	v_cndmask_b32_e64 v18, 0, v18, s0
	v_cmp_gt_i32_e64 s0, s25, v138
	s_wait_alu 0xf1ff
	s_delay_alu instid0(VALU_DEP_1) | instskip(SKIP_2) | instid1(VALU_DEP_1)
	v_cndmask_b32_e64 v19, 0, v19, s0
	v_cmp_gt_i32_e64 s0, s25, v135
	s_wait_alu 0xf1ff
	v_cndmask_b32_e64 v20, 0, v20, s0
	s_wait_alu 0xfffe
	s_or_b32 exec_lo, exec_lo, s5
	global_load_b128 v[21:24], v[77:78], off offset:2048
	s_and_saveexec_b32 s5, vcc_lo
	s_cbranch_execz .LBB43_38
.LBB43_61:                              ;   in Loop: Header=BB43_33 Depth=1
	v_cmp_gt_i32_e64 s0, s25, v137
	s_wait_loadcnt 0x0
	s_wait_alu 0xf1ff
	s_delay_alu instid0(VALU_DEP_1) | instskip(SKIP_2) | instid1(VALU_DEP_1)
	v_cndmask_b32_e64 v21, 0, v21, s0
	v_cmp_gt_i32_e64 s0, s25, v139
	s_wait_alu 0xf1ff
	v_cndmask_b32_e64 v22, 0, v22, s0
	v_cmp_gt_i32_e64 s0, s25, v138
	s_wait_alu 0xf1ff
	s_delay_alu instid0(VALU_DEP_1) | instskip(SKIP_2) | instid1(VALU_DEP_1)
	v_cndmask_b32_e64 v23, 0, v23, s0
	v_cmp_gt_i32_e64 s0, s25, v135
	s_wait_alu 0xf1ff
	v_cndmask_b32_e64 v24, 0, v24, s0
	s_wait_alu 0xfffe
	s_or_b32 exec_lo, exec_lo, s5
	global_load_b128 v[25:28], v[77:78], off offset:2560
	s_and_saveexec_b32 s5, vcc_lo
	s_cbranch_execz .LBB43_39
.LBB43_62:                              ;   in Loop: Header=BB43_33 Depth=1
	v_cmp_gt_i32_e64 s0, s25, v137
	s_wait_loadcnt 0x0
	s_wait_alu 0xf1ff
	s_delay_alu instid0(VALU_DEP_1) | instskip(SKIP_2) | instid1(VALU_DEP_1)
	v_cndmask_b32_e64 v25, 0, v25, s0
	v_cmp_gt_i32_e64 s0, s25, v139
	s_wait_alu 0xf1ff
	v_cndmask_b32_e64 v26, 0, v26, s0
	v_cmp_gt_i32_e64 s0, s25, v138
	s_wait_alu 0xf1ff
	s_delay_alu instid0(VALU_DEP_1) | instskip(SKIP_2) | instid1(VALU_DEP_1)
	v_cndmask_b32_e64 v27, 0, v27, s0
	v_cmp_gt_i32_e64 s0, s25, v135
	s_wait_alu 0xf1ff
	v_cndmask_b32_e64 v28, 0, v28, s0
	s_wait_alu 0xfffe
	s_or_b32 exec_lo, exec_lo, s5
	global_load_b128 v[29:32], v[77:78], off offset:3072
	s_and_saveexec_b32 s5, vcc_lo
	s_cbranch_execz .LBB43_40
.LBB43_63:                              ;   in Loop: Header=BB43_33 Depth=1
	v_cmp_gt_i32_e64 s0, s25, v137
	s_wait_loadcnt 0x0
	s_wait_alu 0xf1ff
	s_delay_alu instid0(VALU_DEP_1) | instskip(SKIP_2) | instid1(VALU_DEP_1)
	v_cndmask_b32_e64 v29, 0, v29, s0
	v_cmp_gt_i32_e64 s0, s25, v139
	s_wait_alu 0xf1ff
	v_cndmask_b32_e64 v30, 0, v30, s0
	v_cmp_gt_i32_e64 s0, s25, v138
	s_wait_alu 0xf1ff
	s_delay_alu instid0(VALU_DEP_1) | instskip(SKIP_2) | instid1(VALU_DEP_1)
	v_cndmask_b32_e64 v31, 0, v31, s0
	v_cmp_gt_i32_e64 s0, s25, v135
	s_wait_alu 0xf1ff
	v_cndmask_b32_e64 v32, 0, v32, s0
	s_wait_alu 0xfffe
	s_or_b32 exec_lo, exec_lo, s5
	global_load_b128 v[33:36], v[77:78], off offset:3584
	s_and_saveexec_b32 s5, vcc_lo
	s_cbranch_execz .LBB43_41
.LBB43_64:                              ;   in Loop: Header=BB43_33 Depth=1
	v_cmp_gt_i32_e64 s0, s25, v137
	s_wait_loadcnt 0x0
	s_wait_alu 0xf1ff
	s_delay_alu instid0(VALU_DEP_1) | instskip(SKIP_2) | instid1(VALU_DEP_1)
	v_cndmask_b32_e64 v33, 0, v33, s0
	v_cmp_gt_i32_e64 s0, s25, v139
	s_wait_alu 0xf1ff
	v_cndmask_b32_e64 v34, 0, v34, s0
	v_cmp_gt_i32_e64 s0, s25, v138
	s_wait_alu 0xf1ff
	s_delay_alu instid0(VALU_DEP_1) | instskip(SKIP_2) | instid1(VALU_DEP_1)
	v_cndmask_b32_e64 v35, 0, v35, s0
	v_cmp_gt_i32_e64 s0, s25, v135
	s_wait_alu 0xf1ff
	v_cndmask_b32_e64 v36, 0, v36, s0
	s_wait_alu 0xfffe
	s_or_b32 exec_lo, exec_lo, s5
	global_load_b128 v[37:40], v[77:78], off offset:4096
	s_and_saveexec_b32 s5, vcc_lo
	s_cbranch_execz .LBB43_42
.LBB43_65:                              ;   in Loop: Header=BB43_33 Depth=1
	v_cmp_gt_i32_e64 s0, s25, v137
	s_wait_loadcnt 0x0
	s_wait_alu 0xf1ff
	s_delay_alu instid0(VALU_DEP_1) | instskip(SKIP_2) | instid1(VALU_DEP_1)
	v_cndmask_b32_e64 v37, 0, v37, s0
	v_cmp_gt_i32_e64 s0, s25, v139
	s_wait_alu 0xf1ff
	v_cndmask_b32_e64 v38, 0, v38, s0
	v_cmp_gt_i32_e64 s0, s25, v138
	s_wait_alu 0xf1ff
	s_delay_alu instid0(VALU_DEP_1) | instskip(SKIP_2) | instid1(VALU_DEP_1)
	v_cndmask_b32_e64 v39, 0, v39, s0
	v_cmp_gt_i32_e64 s0, s25, v135
	s_wait_alu 0xf1ff
	v_cndmask_b32_e64 v40, 0, v40, s0
	s_wait_alu 0xfffe
	s_or_b32 exec_lo, exec_lo, s5
	global_load_b128 v[41:44], v[77:78], off offset:4608
	s_and_saveexec_b32 s5, vcc_lo
	s_cbranch_execz .LBB43_43
.LBB43_66:                              ;   in Loop: Header=BB43_33 Depth=1
	v_cmp_gt_i32_e64 s0, s25, v137
	s_wait_loadcnt 0x0
	s_wait_alu 0xf1ff
	s_delay_alu instid0(VALU_DEP_1) | instskip(SKIP_2) | instid1(VALU_DEP_1)
	v_cndmask_b32_e64 v41, 0, v41, s0
	v_cmp_gt_i32_e64 s0, s25, v139
	s_wait_alu 0xf1ff
	v_cndmask_b32_e64 v42, 0, v42, s0
	v_cmp_gt_i32_e64 s0, s25, v138
	s_wait_alu 0xf1ff
	s_delay_alu instid0(VALU_DEP_1) | instskip(SKIP_2) | instid1(VALU_DEP_1)
	v_cndmask_b32_e64 v43, 0, v43, s0
	v_cmp_gt_i32_e64 s0, s25, v135
	s_wait_alu 0xf1ff
	v_cndmask_b32_e64 v44, 0, v44, s0
	s_wait_alu 0xfffe
	s_or_b32 exec_lo, exec_lo, s5
	global_load_b128 v[45:48], v[77:78], off offset:5120
	s_and_saveexec_b32 s5, vcc_lo
	s_cbranch_execz .LBB43_44
.LBB43_67:                              ;   in Loop: Header=BB43_33 Depth=1
	v_cmp_gt_i32_e64 s0, s25, v137
	s_wait_loadcnt 0x0
	s_wait_alu 0xf1ff
	s_delay_alu instid0(VALU_DEP_1) | instskip(SKIP_2) | instid1(VALU_DEP_1)
	v_cndmask_b32_e64 v45, 0, v45, s0
	v_cmp_gt_i32_e64 s0, s25, v139
	s_wait_alu 0xf1ff
	v_cndmask_b32_e64 v46, 0, v46, s0
	v_cmp_gt_i32_e64 s0, s25, v138
	s_wait_alu 0xf1ff
	s_delay_alu instid0(VALU_DEP_1) | instskip(SKIP_2) | instid1(VALU_DEP_1)
	v_cndmask_b32_e64 v47, 0, v47, s0
	v_cmp_gt_i32_e64 s0, s25, v135
	s_wait_alu 0xf1ff
	v_cndmask_b32_e64 v48, 0, v48, s0
	s_wait_alu 0xfffe
	s_or_b32 exec_lo, exec_lo, s5
	global_load_b128 v[49:52], v[77:78], off offset:5632
	s_and_saveexec_b32 s5, vcc_lo
	s_cbranch_execz .LBB43_45
.LBB43_68:                              ;   in Loop: Header=BB43_33 Depth=1
	v_cmp_gt_i32_e64 s0, s25, v137
	s_wait_loadcnt 0x0
	s_wait_alu 0xf1ff
	s_delay_alu instid0(VALU_DEP_1) | instskip(SKIP_2) | instid1(VALU_DEP_1)
	v_cndmask_b32_e64 v49, 0, v49, s0
	v_cmp_gt_i32_e64 s0, s25, v139
	s_wait_alu 0xf1ff
	v_cndmask_b32_e64 v50, 0, v50, s0
	v_cmp_gt_i32_e64 s0, s25, v138
	s_wait_alu 0xf1ff
	s_delay_alu instid0(VALU_DEP_1) | instskip(SKIP_2) | instid1(VALU_DEP_1)
	v_cndmask_b32_e64 v51, 0, v51, s0
	v_cmp_gt_i32_e64 s0, s25, v135
	s_wait_alu 0xf1ff
	v_cndmask_b32_e64 v52, 0, v52, s0
	s_wait_alu 0xfffe
	s_or_b32 exec_lo, exec_lo, s5
	global_load_b128 v[53:56], v[77:78], off offset:6144
	s_and_saveexec_b32 s5, vcc_lo
	s_cbranch_execz .LBB43_46
.LBB43_69:                              ;   in Loop: Header=BB43_33 Depth=1
	v_cmp_gt_i32_e64 s0, s25, v137
	s_wait_loadcnt 0x0
	s_wait_alu 0xf1ff
	s_delay_alu instid0(VALU_DEP_1) | instskip(SKIP_2) | instid1(VALU_DEP_1)
	v_cndmask_b32_e64 v53, 0, v53, s0
	v_cmp_gt_i32_e64 s0, s25, v139
	s_wait_alu 0xf1ff
	v_cndmask_b32_e64 v54, 0, v54, s0
	v_cmp_gt_i32_e64 s0, s25, v138
	s_wait_alu 0xf1ff
	s_delay_alu instid0(VALU_DEP_1) | instskip(SKIP_2) | instid1(VALU_DEP_1)
	v_cndmask_b32_e64 v55, 0, v55, s0
	v_cmp_gt_i32_e64 s0, s25, v135
	s_wait_alu 0xf1ff
	v_cndmask_b32_e64 v56, 0, v56, s0
	s_wait_alu 0xfffe
	s_or_b32 exec_lo, exec_lo, s5
	global_load_b128 v[57:60], v[77:78], off offset:6656
	s_and_saveexec_b32 s5, vcc_lo
	s_cbranch_execz .LBB43_47
.LBB43_70:                              ;   in Loop: Header=BB43_33 Depth=1
	v_cmp_gt_i32_e64 s0, s25, v137
	s_wait_loadcnt 0x0
	s_wait_alu 0xf1ff
	s_delay_alu instid0(VALU_DEP_1) | instskip(SKIP_2) | instid1(VALU_DEP_1)
	v_cndmask_b32_e64 v57, 0, v57, s0
	v_cmp_gt_i32_e64 s0, s25, v139
	s_wait_alu 0xf1ff
	v_cndmask_b32_e64 v58, 0, v58, s0
	v_cmp_gt_i32_e64 s0, s25, v138
	s_wait_alu 0xf1ff
	s_delay_alu instid0(VALU_DEP_1) | instskip(SKIP_2) | instid1(VALU_DEP_1)
	v_cndmask_b32_e64 v59, 0, v59, s0
	v_cmp_gt_i32_e64 s0, s25, v135
	s_wait_alu 0xf1ff
	v_cndmask_b32_e64 v60, 0, v60, s0
	s_wait_alu 0xfffe
	s_or_b32 exec_lo, exec_lo, s5
	global_load_b128 v[61:64], v[77:78], off offset:7168
	s_and_saveexec_b32 s5, vcc_lo
	s_cbranch_execz .LBB43_48
.LBB43_71:                              ;   in Loop: Header=BB43_33 Depth=1
	v_cmp_gt_i32_e64 s0, s25, v137
	s_wait_loadcnt 0x0
	s_wait_alu 0xf1ff
	s_delay_alu instid0(VALU_DEP_1) | instskip(SKIP_2) | instid1(VALU_DEP_1)
	v_cndmask_b32_e64 v61, 0, v61, s0
	v_cmp_gt_i32_e64 s0, s25, v139
	s_wait_alu 0xf1ff
	v_cndmask_b32_e64 v62, 0, v62, s0
	v_cmp_gt_i32_e64 s0, s25, v138
	s_wait_alu 0xf1ff
	s_delay_alu instid0(VALU_DEP_1) | instskip(SKIP_2) | instid1(VALU_DEP_1)
	v_cndmask_b32_e64 v63, 0, v63, s0
	v_cmp_gt_i32_e64 s0, s25, v135
	s_wait_alu 0xf1ff
	v_cndmask_b32_e64 v64, 0, v64, s0
	s_wait_alu 0xfffe
	s_or_b32 exec_lo, exec_lo, s5
	global_load_b128 v[65:68], v[77:78], off offset:7680
	s_and_saveexec_b32 s5, vcc_lo
	s_cbranch_execz .LBB43_49
.LBB43_72:                              ;   in Loop: Header=BB43_33 Depth=1
	v_cmp_gt_i32_e64 s0, s25, v137
	s_wait_loadcnt 0x0
	s_wait_alu 0xf1ff
	s_delay_alu instid0(VALU_DEP_1) | instskip(SKIP_2) | instid1(VALU_DEP_1)
	v_cndmask_b32_e64 v65, 0, v65, s0
	v_cmp_gt_i32_e64 s0, s25, v139
	s_wait_alu 0xf1ff
	v_cndmask_b32_e64 v66, 0, v66, s0
	v_cmp_gt_i32_e64 s0, s25, v138
	s_wait_alu 0xf1ff
	s_delay_alu instid0(VALU_DEP_1) | instskip(SKIP_2) | instid1(VALU_DEP_1)
	v_cndmask_b32_e64 v67, 0, v67, s0
	v_cmp_gt_i32_e64 s0, s25, v135
	s_wait_alu 0xf1ff
	v_cndmask_b32_e64 v68, 0, v68, s0
	s_wait_alu 0xfffe
	s_or_b32 exec_lo, exec_lo, s5
	global_load_b128 v[69:72], v[77:78], off offset:8192
	s_and_saveexec_b32 s5, vcc_lo
	s_cbranch_execz .LBB43_50
.LBB43_73:                              ;   in Loop: Header=BB43_33 Depth=1
	v_cmp_gt_i32_e64 s0, s25, v137
	s_wait_loadcnt 0x0
	s_wait_alu 0xf1ff
	s_delay_alu instid0(VALU_DEP_1) | instskip(SKIP_2) | instid1(VALU_DEP_1)
	v_cndmask_b32_e64 v69, 0, v69, s0
	v_cmp_gt_i32_e64 s0, s25, v139
	s_wait_alu 0xf1ff
	v_cndmask_b32_e64 v70, 0, v70, s0
	v_cmp_gt_i32_e64 s0, s25, v138
	s_wait_alu 0xf1ff
	s_delay_alu instid0(VALU_DEP_1) | instskip(SKIP_2) | instid1(VALU_DEP_1)
	v_cndmask_b32_e64 v71, 0, v71, s0
	v_cmp_gt_i32_e64 s0, s25, v135
	s_wait_alu 0xf1ff
	v_cndmask_b32_e64 v72, 0, v72, s0
	s_wait_alu 0xfffe
	s_or_b32 exec_lo, exec_lo, s5
	global_load_b128 v[73:76], v[77:78], off offset:8704
	s_and_saveexec_b32 s5, vcc_lo
	s_cbranch_execz .LBB43_51
.LBB43_74:                              ;   in Loop: Header=BB43_33 Depth=1
	v_cmp_gt_i32_e64 s0, s25, v137
	s_wait_loadcnt 0x0
	s_wait_alu 0xf1ff
	s_delay_alu instid0(VALU_DEP_1) | instskip(SKIP_2) | instid1(VALU_DEP_1)
	v_cndmask_b32_e64 v73, 0, v73, s0
	v_cmp_gt_i32_e64 s0, s25, v139
	s_wait_alu 0xf1ff
	v_cndmask_b32_e64 v74, 0, v74, s0
	v_cmp_gt_i32_e64 s0, s25, v138
	s_wait_alu 0xf1ff
	s_delay_alu instid0(VALU_DEP_1) | instskip(SKIP_2) | instid1(VALU_DEP_1)
	v_cndmask_b32_e64 v75, 0, v75, s0
	v_cmp_gt_i32_e64 s0, s25, v135
	s_wait_alu 0xf1ff
	v_cndmask_b32_e64 v76, 0, v76, s0
	s_wait_alu 0xfffe
	s_or_b32 exec_lo, exec_lo, s5
	global_load_b128 v[81:84], v[77:78], off offset:9216
	s_and_saveexec_b32 s5, vcc_lo
	s_cbranch_execz .LBB43_52
.LBB43_75:                              ;   in Loop: Header=BB43_33 Depth=1
	v_cmp_gt_i32_e64 s0, s25, v137
	s_wait_loadcnt 0x0
	s_wait_alu 0xf1ff
	s_delay_alu instid0(VALU_DEP_1) | instskip(SKIP_2) | instid1(VALU_DEP_1)
	v_cndmask_b32_e64 v81, 0, v81, s0
	v_cmp_gt_i32_e64 s0, s25, v139
	s_wait_alu 0xf1ff
	v_cndmask_b32_e64 v82, 0, v82, s0
	v_cmp_gt_i32_e64 s0, s25, v138
	s_wait_alu 0xf1ff
	s_delay_alu instid0(VALU_DEP_1) | instskip(SKIP_2) | instid1(VALU_DEP_1)
	v_cndmask_b32_e64 v83, 0, v83, s0
	v_cmp_gt_i32_e64 s0, s25, v135
	s_wait_alu 0xf1ff
	v_cndmask_b32_e64 v84, 0, v84, s0
	s_wait_alu 0xfffe
	s_or_b32 exec_lo, exec_lo, s5
	global_load_b128 v[85:88], v[77:78], off offset:9728
	s_and_saveexec_b32 s5, vcc_lo
	s_cbranch_execz .LBB43_53
.LBB43_76:                              ;   in Loop: Header=BB43_33 Depth=1
	v_cmp_gt_i32_e64 s0, s25, v137
	s_wait_loadcnt 0x0
	s_wait_alu 0xf1ff
	s_delay_alu instid0(VALU_DEP_1) | instskip(SKIP_2) | instid1(VALU_DEP_1)
	v_cndmask_b32_e64 v85, 0, v85, s0
	v_cmp_gt_i32_e64 s0, s25, v139
	s_wait_alu 0xf1ff
	v_cndmask_b32_e64 v86, 0, v86, s0
	v_cmp_gt_i32_e64 s0, s25, v138
	s_wait_alu 0xf1ff
	s_delay_alu instid0(VALU_DEP_1) | instskip(SKIP_2) | instid1(VALU_DEP_1)
	v_cndmask_b32_e64 v87, 0, v87, s0
	v_cmp_gt_i32_e64 s0, s25, v135
	s_wait_alu 0xf1ff
	v_cndmask_b32_e64 v88, 0, v88, s0
	s_wait_alu 0xfffe
	s_or_b32 exec_lo, exec_lo, s5
	global_load_b128 v[89:92], v[77:78], off offset:10240
	s_and_saveexec_b32 s5, vcc_lo
	s_cbranch_execz .LBB43_54
.LBB43_77:                              ;   in Loop: Header=BB43_33 Depth=1
	v_cmp_gt_i32_e64 s0, s25, v137
	s_wait_loadcnt 0x0
	s_wait_alu 0xf1ff
	s_delay_alu instid0(VALU_DEP_1) | instskip(SKIP_2) | instid1(VALU_DEP_1)
	v_cndmask_b32_e64 v89, 0, v89, s0
	v_cmp_gt_i32_e64 s0, s25, v139
	s_wait_alu 0xf1ff
	v_cndmask_b32_e64 v90, 0, v90, s0
	v_cmp_gt_i32_e64 s0, s25, v138
	s_wait_alu 0xf1ff
	s_delay_alu instid0(VALU_DEP_1) | instskip(SKIP_2) | instid1(VALU_DEP_1)
	v_cndmask_b32_e64 v91, 0, v91, s0
	v_cmp_gt_i32_e64 s0, s25, v135
	s_wait_alu 0xf1ff
	v_cndmask_b32_e64 v92, 0, v92, s0
	s_wait_alu 0xfffe
	s_or_b32 exec_lo, exec_lo, s5
	global_load_b128 v[93:96], v[77:78], off offset:10752
	s_and_saveexec_b32 s5, vcc_lo
	s_cbranch_execz .LBB43_55
.LBB43_78:                              ;   in Loop: Header=BB43_33 Depth=1
	v_cmp_gt_i32_e64 s0, s25, v137
	s_wait_loadcnt 0x0
	s_wait_alu 0xf1ff
	s_delay_alu instid0(VALU_DEP_1) | instskip(SKIP_2) | instid1(VALU_DEP_1)
	v_cndmask_b32_e64 v93, 0, v93, s0
	v_cmp_gt_i32_e64 s0, s25, v139
	s_wait_alu 0xf1ff
	v_cndmask_b32_e64 v94, 0, v94, s0
	v_cmp_gt_i32_e64 s0, s25, v138
	s_wait_alu 0xf1ff
	s_delay_alu instid0(VALU_DEP_1) | instskip(SKIP_2) | instid1(VALU_DEP_1)
	v_cndmask_b32_e64 v95, 0, v95, s0
	v_cmp_gt_i32_e64 s0, s25, v135
	s_wait_alu 0xf1ff
	v_cndmask_b32_e64 v96, 0, v96, s0
	s_wait_alu 0xfffe
	s_or_b32 exec_lo, exec_lo, s5
	global_load_b128 v[97:100], v[77:78], off offset:11264
	s_and_saveexec_b32 s5, vcc_lo
	s_cbranch_execz .LBB43_56
.LBB43_79:                              ;   in Loop: Header=BB43_33 Depth=1
	v_cmp_gt_i32_e64 s0, s25, v137
	s_wait_loadcnt 0x0
	s_wait_alu 0xf1ff
	s_delay_alu instid0(VALU_DEP_1) | instskip(SKIP_2) | instid1(VALU_DEP_1)
	v_cndmask_b32_e64 v97, 0, v97, s0
	v_cmp_gt_i32_e64 s0, s25, v139
	s_wait_alu 0xf1ff
	v_cndmask_b32_e64 v98, 0, v98, s0
	v_cmp_gt_i32_e64 s0, s25, v138
	s_wait_alu 0xf1ff
	s_delay_alu instid0(VALU_DEP_1) | instskip(SKIP_2) | instid1(VALU_DEP_1)
	v_cndmask_b32_e64 v99, 0, v99, s0
	v_cmp_gt_i32_e64 s0, s25, v135
	s_wait_alu 0xf1ff
	v_cndmask_b32_e64 v100, 0, v100, s0
	s_wait_alu 0xfffe
	s_or_b32 exec_lo, exec_lo, s5
	global_load_b128 v[77:80], v[77:78], off offset:11776
	s_and_saveexec_b32 s0, vcc_lo
	s_cbranch_execz .LBB43_32
.LBB43_80:                              ;   in Loop: Header=BB43_33 Depth=1
	v_cmp_gt_i32_e32 vcc_lo, s25, v137
	s_wait_loadcnt 0x0
	s_wait_alu 0xfffd
	v_cndmask_b32_e32 v77, 0, v77, vcc_lo
	v_cmp_gt_i32_e32 vcc_lo, s25, v139
	s_wait_alu 0xfffd
	v_cndmask_b32_e32 v78, 0, v78, vcc_lo
	v_cmp_gt_i32_e32 vcc_lo, s25, v138
	;; [unrolled: 3-line block ×3, first 2 shown]
	s_wait_alu 0xfffd
	v_cndmask_b32_e32 v80, 0, v80, vcc_lo
	s_branch .LBB43_32
.LBB43_81:
	s_or_b32 exec_lo, exec_lo, s3
.LBB43_82:
	s_wait_alu 0xfffe
	s_or_b32 exec_lo, exec_lo, s1
	ds_bpermute_b32 v1, v106, v130
	ds_bpermute_b32 v2, v106, v132
	;; [unrolled: 1-line block ×20, first 2 shown]
	s_wait_dscnt 0x12
	v_dual_add_f32 v1, v130, v1 :: v_dual_add_f32 v2, v132, v2
	s_wait_dscnt 0x10
	v_dual_add_f32 v3, v131, v3 :: v_dual_add_f32 v4, v129, v4
	s_wait_dscnt 0xe
	v_dual_add_f32 v5, v128, v5 :: v_dual_add_f32 v6, v127, v6
	ds_bpermute_b32 v19, v107, v1
	ds_bpermute_b32 v20, v107, v2
	;; [unrolled: 1-line block ×4, first 2 shown]
	s_wait_dscnt 0x11
	v_add_f32_e32 v11, v122, v11
	ds_bpermute_b32 v25, v107, v5
	ds_bpermute_b32 v26, v107, v6
	s_wait_dscnt 0x11
	v_dual_add_f32 v7, v126, v7 :: v_dual_add_f32 v8, v125, v8
	s_wait_dscnt 0xf
	v_dual_add_f32 v9, v124, v9 :: v_dual_add_f32 v10, v123, v10
	;; [unrolled: 2-line block ×3, first 2 shown]
	ds_bpermute_b32 v27, v107, v7
	s_wait_dscnt 0xb
	v_dual_add_f32 v15, v118, v15 :: v_dual_add_f32 v16, v117, v16
	s_wait_dscnt 0x9
	v_dual_add_f32 v17, v116, v17 :: v_dual_add_f32 v18, v115, v18
	;; [unrolled: 2-line block ×5, first 2 shown]
	s_wait_dscnt 0x3
	v_add_f32_e32 v4, v4, v22
	ds_bpermute_b32 v19, v106, v112
	ds_bpermute_b32 v20, v106, v111
	;; [unrolled: 1-line block ×15, first 2 shown]
	s_wait_dscnt 0x10
	v_dual_add_f32 v5, v5, v25 :: v_dual_add_f32 v6, v6, v26
	s_wait_dscnt 0xf
	v_add_f32_e32 v7, v7, v27
	s_mov_b32 s0, exec_lo
	s_wait_storecnt 0x0
	s_wait_loadcnt_dscnt 0x0
	v_dual_add_f32 v39, v112, v19 :: v_dual_add_f32 v40, v111, v20
	v_dual_add_f32 v41, v110, v21 :: v_dual_add_f32 v42, v109, v22
	ds_bpermute_b32 v19, v107, v23
	ds_bpermute_b32 v20, v107, v24
	;; [unrolled: 1-line block ×6, first 2 shown]
	v_dual_add_f32 v8, v8, v28 :: v_dual_and_b32 v27, 28, v105
	v_dual_add_f32 v9, v9, v29 :: v_dual_add_f32 v10, v10, v30
	v_dual_add_f32 v11, v11, v31 :: v_dual_add_f32 v12, v12, v32
	;; [unrolled: 1-line block ×5, first 2 shown]
	v_and_b32_e32 v28, 0x3c3, v0
	s_barrier_signal -1
	s_wait_dscnt 0x4
	v_dual_add_f32 v19, v23, v19 :: v_dual_add_f32 v20, v24, v20
	s_wait_dscnt 0x2
	v_dual_add_f32 v21, v39, v21 :: v_dual_add_f32 v22, v40, v22
	s_wait_dscnt 0x0
	v_dual_add_f32 v23, v41, v25 :: v_dual_add_f32 v24, v42, v26
	v_lshrrev_b32_e32 v25, 2, v105
	v_add_nc_u32_e32 v26, 0x320, v27
	v_mul_u32_u24_e32 v27, 0x300, v103
	s_barrier_wait -1
	global_inv scope:SCOPE_SE
	v_cmpx_eq_u32_e32 64, v28
	s_cbranch_execz .LBB43_84
; %bb.83:
	v_add_nc_u32_e32 v28, v26, v27
	s_delay_alu instid0(VALU_DEP_1)
	v_add_nc_u32_e32 v29, 0xfffffa00, v28
	v_add_nc_u32_e32 v30, 0xfffffa20, v28
	v_add_nc_u32_e32 v31, 0xfffffa40, v28
	v_add_nc_u32_e32 v32, 0xfffffa60, v28
	v_add_nc_u32_e32 v33, 0xfffffa80, v28
	v_add_nc_u32_e32 v34, 0xfffffaa0, v28
	v_add_nc_u32_e32 v35, 0xfffffac0, v28
	v_add_nc_u32_e32 v36, 0xfffffae0, v28
	ds_store_b32 v29, v1
	ds_store_b32 v30, v2
	ds_store_b32 v31, v3
	ds_store_b32 v32, v4
	ds_store_b32 v33, v5
	ds_store_b32 v34, v6
	ds_store_b32 v35, v7
	ds_store_b32 v36, v8
	v_add_nc_u32_e32 v29, 0xfffffb00, v28
	v_add_nc_u32_e32 v30, 0xfffffb20, v28
	v_add_nc_u32_e32 v31, 0xfffffb40, v28
	v_add_nc_u32_e32 v32, 0xfffffb60, v28
	v_add_nc_u32_e32 v33, 0xfffffb80, v28
	v_add_nc_u32_e32 v34, 0xfffffba0, v28
	v_add_nc_u32_e32 v35, 0xfffffbc0, v28
	v_add_nc_u32_e32 v36, 0xfffffbe0, v28
	ds_store_b32 v29, v9
	ds_store_b32 v30, v10
	ds_store_b32 v31, v11
	ds_store_b32 v32, v12
	ds_store_b32 v33, v13
	ds_store_b32 v34, v14
	ds_store_b32 v35, v15
	ds_store_b32 v36, v16
	;; [unrolled: 16-line block ×3, first 2 shown]
.LBB43_84:
	s_wait_alu 0xfffe
	s_or_b32 exec_lo, exec_lo, s0
	v_lshlrev_b32_e32 v25, 2, v25
	s_mov_b32 s1, exec_lo
	v_cmp_eq_u32_e32 vcc_lo, 0, v108
	s_wait_loadcnt_dscnt 0x0
	s_barrier_signal -1
	v_add3_u32 v25, 0x320, v27, v25
	s_barrier_wait -1
	global_inv scope:SCOPE_SE
	v_cmpx_gt_u32_e32 64, v0
	s_cbranch_execz .LBB43_111
; %bb.85:
	s_and_saveexec_b32 s0, vcc_lo
	s_cbranch_execnz .LBB43_143
; %bb.86:
	s_wait_alu 0xfffe
	s_or_b32 exec_lo, exec_lo, s0
	s_and_saveexec_b32 s0, vcc_lo
	s_cbranch_execnz .LBB43_144
.LBB43_87:
	s_wait_alu 0xfffe
	s_or_b32 exec_lo, exec_lo, s0
	s_and_saveexec_b32 s0, vcc_lo
	s_cbranch_execnz .LBB43_145
.LBB43_88:
	s_wait_alu 0xfffe
	s_or_b32 exec_lo, exec_lo, s0
	s_and_saveexec_b32 s0, vcc_lo
	s_cbranch_execnz .LBB43_146
.LBB43_89:
	s_wait_alu 0xfffe
	s_or_b32 exec_lo, exec_lo, s0
	s_and_saveexec_b32 s0, vcc_lo
	s_cbranch_execnz .LBB43_147
.LBB43_90:
	s_wait_alu 0xfffe
	s_or_b32 exec_lo, exec_lo, s0
	s_and_saveexec_b32 s0, vcc_lo
	s_cbranch_execnz .LBB43_148
.LBB43_91:
	s_wait_alu 0xfffe
	s_or_b32 exec_lo, exec_lo, s0
	s_and_saveexec_b32 s0, vcc_lo
	s_cbranch_execnz .LBB43_149
.LBB43_92:
	s_wait_alu 0xfffe
	s_or_b32 exec_lo, exec_lo, s0
	s_and_saveexec_b32 s0, vcc_lo
	s_cbranch_execnz .LBB43_150
.LBB43_93:
	s_wait_alu 0xfffe
	s_or_b32 exec_lo, exec_lo, s0
	s_and_saveexec_b32 s0, vcc_lo
	s_cbranch_execnz .LBB43_151
.LBB43_94:
	s_wait_alu 0xfffe
	s_or_b32 exec_lo, exec_lo, s0
	s_and_saveexec_b32 s0, vcc_lo
	s_cbranch_execnz .LBB43_152
.LBB43_95:
	s_wait_alu 0xfffe
	s_or_b32 exec_lo, exec_lo, s0
	s_and_saveexec_b32 s0, vcc_lo
	s_cbranch_execnz .LBB43_153
.LBB43_96:
	s_wait_alu 0xfffe
	s_or_b32 exec_lo, exec_lo, s0
	s_and_saveexec_b32 s0, vcc_lo
	s_cbranch_execnz .LBB43_154
.LBB43_97:
	s_wait_alu 0xfffe
	s_or_b32 exec_lo, exec_lo, s0
	s_and_saveexec_b32 s0, vcc_lo
	s_cbranch_execnz .LBB43_155
.LBB43_98:
	s_wait_alu 0xfffe
	s_or_b32 exec_lo, exec_lo, s0
	s_and_saveexec_b32 s0, vcc_lo
	s_cbranch_execnz .LBB43_156
.LBB43_99:
	s_wait_alu 0xfffe
	s_or_b32 exec_lo, exec_lo, s0
	s_and_saveexec_b32 s0, vcc_lo
	s_cbranch_execnz .LBB43_157
.LBB43_100:
	s_wait_alu 0xfffe
	s_or_b32 exec_lo, exec_lo, s0
	s_and_saveexec_b32 s0, vcc_lo
	s_cbranch_execnz .LBB43_158
.LBB43_101:
	s_wait_alu 0xfffe
	s_or_b32 exec_lo, exec_lo, s0
	s_and_saveexec_b32 s0, vcc_lo
	s_cbranch_execnz .LBB43_159
.LBB43_102:
	s_wait_alu 0xfffe
	s_or_b32 exec_lo, exec_lo, s0
	s_and_saveexec_b32 s0, vcc_lo
	s_cbranch_execnz .LBB43_160
.LBB43_103:
	s_wait_alu 0xfffe
	s_or_b32 exec_lo, exec_lo, s0
	s_and_saveexec_b32 s0, vcc_lo
	s_cbranch_execnz .LBB43_161
.LBB43_104:
	s_wait_alu 0xfffe
	s_or_b32 exec_lo, exec_lo, s0
	s_and_saveexec_b32 s0, vcc_lo
	s_cbranch_execnz .LBB43_162
.LBB43_105:
	s_wait_alu 0xfffe
	s_or_b32 exec_lo, exec_lo, s0
	s_and_saveexec_b32 s0, vcc_lo
	s_cbranch_execnz .LBB43_163
.LBB43_106:
	s_wait_alu 0xfffe
	s_or_b32 exec_lo, exec_lo, s0
	s_and_saveexec_b32 s0, vcc_lo
	s_cbranch_execnz .LBB43_164
.LBB43_107:
	s_wait_alu 0xfffe
	s_or_b32 exec_lo, exec_lo, s0
	s_and_saveexec_b32 s0, vcc_lo
	s_cbranch_execnz .LBB43_165
.LBB43_108:
	s_wait_alu 0xfffe
	s_or_b32 exec_lo, exec_lo, s0
	s_and_saveexec_b32 s0, vcc_lo
	s_cbranch_execz .LBB43_110
.LBB43_109:
	ds_load_b32 v27, v25 offset:736
	s_wait_dscnt 0x0
	v_add_f32_e32 v24, v24, v27
.LBB43_110:
	s_wait_alu 0xfffe
	s_or_b32 exec_lo, exec_lo, s0
.LBB43_111:
	s_wait_alu 0xfffe
	s_or_b32 exec_lo, exec_lo, s1
	v_and_b32_e32 v27, 0x3e3, v0
	s_mov_b32 s1, exec_lo
	s_wait_loadcnt 0x0
	s_barrier_signal -1
	s_barrier_wait -1
	global_inv scope:SCOPE_SE
	v_cmpx_eq_u32_e32 32, v27
	s_cbranch_execz .LBB43_113
; %bb.112:
	ds_store_2addr_b32 v26, v1, v2 offset1:8
	ds_store_2addr_b32 v26, v3, v4 offset0:16 offset1:24
	ds_store_2addr_b32 v26, v5, v6 offset0:32 offset1:40
	;; [unrolled: 1-line block ×11, first 2 shown]
.LBB43_113:
	s_wait_alu 0xfffe
	s_or_b32 exec_lo, exec_lo, s1
	s_delay_alu instid0(SALU_CYCLE_1)
	s_mov_b32 s1, exec_lo
	s_wait_loadcnt_dscnt 0x0
	s_barrier_signal -1
	s_barrier_wait -1
	global_inv scope:SCOPE_SE
	v_cmpx_gt_u32_e32 32, v0
	s_cbranch_execz .LBB43_140
; %bb.114:
	s_and_saveexec_b32 s0, vcc_lo
	s_cbranch_execnz .LBB43_166
; %bb.115:
	s_wait_alu 0xfffe
	s_or_b32 exec_lo, exec_lo, s0
	s_and_saveexec_b32 s0, vcc_lo
	s_cbranch_execnz .LBB43_167
.LBB43_116:
	s_wait_alu 0xfffe
	s_or_b32 exec_lo, exec_lo, s0
	s_and_saveexec_b32 s0, vcc_lo
	s_cbranch_execnz .LBB43_168
.LBB43_117:
	s_wait_alu 0xfffe
	s_or_b32 exec_lo, exec_lo, s0
	s_and_saveexec_b32 s0, vcc_lo
	s_cbranch_execnz .LBB43_169
.LBB43_118:
	s_wait_alu 0xfffe
	s_or_b32 exec_lo, exec_lo, s0
	s_and_saveexec_b32 s0, vcc_lo
	s_cbranch_execnz .LBB43_170
.LBB43_119:
	s_wait_alu 0xfffe
	s_or_b32 exec_lo, exec_lo, s0
	s_and_saveexec_b32 s0, vcc_lo
	s_cbranch_execnz .LBB43_171
.LBB43_120:
	s_wait_alu 0xfffe
	s_or_b32 exec_lo, exec_lo, s0
	s_and_saveexec_b32 s0, vcc_lo
	s_cbranch_execnz .LBB43_172
.LBB43_121:
	s_wait_alu 0xfffe
	s_or_b32 exec_lo, exec_lo, s0
	s_and_saveexec_b32 s0, vcc_lo
	s_cbranch_execnz .LBB43_173
.LBB43_122:
	s_wait_alu 0xfffe
	s_or_b32 exec_lo, exec_lo, s0
	s_and_saveexec_b32 s0, vcc_lo
	s_cbranch_execnz .LBB43_174
.LBB43_123:
	s_wait_alu 0xfffe
	s_or_b32 exec_lo, exec_lo, s0
	s_and_saveexec_b32 s0, vcc_lo
	s_cbranch_execnz .LBB43_175
.LBB43_124:
	s_wait_alu 0xfffe
	s_or_b32 exec_lo, exec_lo, s0
	s_and_saveexec_b32 s0, vcc_lo
	s_cbranch_execnz .LBB43_176
.LBB43_125:
	s_wait_alu 0xfffe
	s_or_b32 exec_lo, exec_lo, s0
	s_and_saveexec_b32 s0, vcc_lo
	s_cbranch_execnz .LBB43_177
.LBB43_126:
	s_wait_alu 0xfffe
	s_or_b32 exec_lo, exec_lo, s0
	s_and_saveexec_b32 s0, vcc_lo
	s_cbranch_execnz .LBB43_178
.LBB43_127:
	s_wait_alu 0xfffe
	s_or_b32 exec_lo, exec_lo, s0
	s_and_saveexec_b32 s0, vcc_lo
	s_cbranch_execnz .LBB43_179
.LBB43_128:
	s_wait_alu 0xfffe
	s_or_b32 exec_lo, exec_lo, s0
	s_and_saveexec_b32 s0, vcc_lo
	s_cbranch_execnz .LBB43_180
.LBB43_129:
	s_wait_alu 0xfffe
	s_or_b32 exec_lo, exec_lo, s0
	s_and_saveexec_b32 s0, vcc_lo
	s_cbranch_execnz .LBB43_181
.LBB43_130:
	s_wait_alu 0xfffe
	s_or_b32 exec_lo, exec_lo, s0
	s_and_saveexec_b32 s0, vcc_lo
	s_cbranch_execnz .LBB43_182
.LBB43_131:
	s_wait_alu 0xfffe
	s_or_b32 exec_lo, exec_lo, s0
	s_and_saveexec_b32 s0, vcc_lo
	s_cbranch_execnz .LBB43_183
.LBB43_132:
	s_wait_alu 0xfffe
	s_or_b32 exec_lo, exec_lo, s0
	s_and_saveexec_b32 s0, vcc_lo
	s_cbranch_execnz .LBB43_184
.LBB43_133:
	s_wait_alu 0xfffe
	s_or_b32 exec_lo, exec_lo, s0
	s_and_saveexec_b32 s0, vcc_lo
	s_cbranch_execnz .LBB43_185
.LBB43_134:
	s_wait_alu 0xfffe
	s_or_b32 exec_lo, exec_lo, s0
	s_and_saveexec_b32 s0, vcc_lo
	s_cbranch_execnz .LBB43_186
.LBB43_135:
	s_wait_alu 0xfffe
	s_or_b32 exec_lo, exec_lo, s0
	s_and_saveexec_b32 s0, vcc_lo
	s_cbranch_execnz .LBB43_187
.LBB43_136:
	s_wait_alu 0xfffe
	s_or_b32 exec_lo, exec_lo, s0
	s_and_saveexec_b32 s0, vcc_lo
	s_cbranch_execnz .LBB43_188
.LBB43_137:
	s_wait_alu 0xfffe
	s_or_b32 exec_lo, exec_lo, s0
	s_and_saveexec_b32 s0, vcc_lo
	s_cbranch_execz .LBB43_139
.LBB43_138:
	ds_load_b32 v25, v25 offset:736
	s_wait_dscnt 0x0
	v_add_f32_e32 v24, v24, v25
.LBB43_139:
	s_wait_alu 0xfffe
	s_or_b32 exec_lo, exec_lo, s0
.LBB43_140:
	s_wait_alu 0xfffe
	s_or_b32 exec_lo, exec_lo, s1
	s_mov_b32 s1, 0
	s_wait_loadcnt 0x0
	s_barrier_signal -1
	s_barrier_wait -1
	global_inv scope:SCOPE_SE
	s_mov_b32 s0, exec_lo
	v_cmpx_eq_u32_e32 0, v27
	s_cbranch_execz .LBB43_142
; %bb.141:
	s_mul_i32 s2, s14, 0xc0
	s_mul_i32 s4, s8, s12
	s_wait_alu 0xfffe
	s_ashr_i32 s3, s2, 31
	s_ashr_i32 s5, s4, 31
	s_wait_alu 0xfffe
	s_lshl_b64 s[2:3], s[2:3], 2
	s_lshl_b64 s[4:5], s[4:5], 2
	s_wait_alu 0xfffe
	s_add_nc_u64 s[2:3], s[10:11], s[2:3]
	s_mul_i32 s0, s24, 0x300
	s_wait_alu 0xfffe
	s_add_nc_u64 s[2:3], s[2:3], s[4:5]
	s_wait_alu 0xfffe
	s_add_nc_u64 s[0:1], s[2:3], s[0:1]
	s_clause 0x17
	global_store_b32 v0, v1, s[0:1]
	global_store_b32 v0, v2, s[0:1] offset:32
	global_store_b32 v0, v3, s[0:1] offset:64
	;; [unrolled: 1-line block ×23, first 2 shown]
.LBB43_142:
	s_nop 0
	s_sendmsg sendmsg(MSG_DEALLOC_VGPRS)
	s_endpgm
.LBB43_143:
	ds_load_b32 v27, v25
	s_wait_dscnt 0x0
	v_add_f32_e32 v1, v1, v27
	s_wait_alu 0xfffe
	s_or_b32 exec_lo, exec_lo, s0
	s_and_saveexec_b32 s0, vcc_lo
	s_cbranch_execz .LBB43_87
.LBB43_144:
	ds_load_b32 v27, v25 offset:32
	s_wait_dscnt 0x0
	v_add_f32_e32 v2, v2, v27
	s_wait_alu 0xfffe
	s_or_b32 exec_lo, exec_lo, s0
	s_and_saveexec_b32 s0, vcc_lo
	s_cbranch_execz .LBB43_88
.LBB43_145:
	ds_load_b32 v27, v25 offset:64
	s_wait_dscnt 0x0
	v_add_f32_e32 v3, v3, v27
	s_wait_alu 0xfffe
	s_or_b32 exec_lo, exec_lo, s0
	s_and_saveexec_b32 s0, vcc_lo
	s_cbranch_execz .LBB43_89
.LBB43_146:
	ds_load_b32 v27, v25 offset:96
	s_wait_dscnt 0x0
	v_add_f32_e32 v4, v4, v27
	s_wait_alu 0xfffe
	s_or_b32 exec_lo, exec_lo, s0
	s_and_saveexec_b32 s0, vcc_lo
	s_cbranch_execz .LBB43_90
.LBB43_147:
	ds_load_b32 v27, v25 offset:128
	s_wait_dscnt 0x0
	v_add_f32_e32 v5, v5, v27
	s_wait_alu 0xfffe
	s_or_b32 exec_lo, exec_lo, s0
	s_and_saveexec_b32 s0, vcc_lo
	s_cbranch_execz .LBB43_91
.LBB43_148:
	ds_load_b32 v27, v25 offset:160
	s_wait_dscnt 0x0
	v_add_f32_e32 v6, v6, v27
	s_wait_alu 0xfffe
	s_or_b32 exec_lo, exec_lo, s0
	s_and_saveexec_b32 s0, vcc_lo
	s_cbranch_execz .LBB43_92
.LBB43_149:
	ds_load_b32 v27, v25 offset:192
	s_wait_dscnt 0x0
	v_add_f32_e32 v7, v7, v27
	s_wait_alu 0xfffe
	s_or_b32 exec_lo, exec_lo, s0
	s_and_saveexec_b32 s0, vcc_lo
	s_cbranch_execz .LBB43_93
.LBB43_150:
	ds_load_b32 v27, v25 offset:224
	s_wait_dscnt 0x0
	v_add_f32_e32 v8, v8, v27
	s_wait_alu 0xfffe
	s_or_b32 exec_lo, exec_lo, s0
	s_and_saveexec_b32 s0, vcc_lo
	s_cbranch_execz .LBB43_94
.LBB43_151:
	ds_load_b32 v27, v25 offset:256
	s_wait_dscnt 0x0
	v_add_f32_e32 v9, v9, v27
	s_wait_alu 0xfffe
	s_or_b32 exec_lo, exec_lo, s0
	s_and_saveexec_b32 s0, vcc_lo
	s_cbranch_execz .LBB43_95
.LBB43_152:
	ds_load_b32 v27, v25 offset:288
	s_wait_dscnt 0x0
	v_add_f32_e32 v10, v10, v27
	s_wait_alu 0xfffe
	s_or_b32 exec_lo, exec_lo, s0
	s_and_saveexec_b32 s0, vcc_lo
	s_cbranch_execz .LBB43_96
.LBB43_153:
	ds_load_b32 v27, v25 offset:320
	s_wait_dscnt 0x0
	v_add_f32_e32 v11, v11, v27
	s_wait_alu 0xfffe
	s_or_b32 exec_lo, exec_lo, s0
	s_and_saveexec_b32 s0, vcc_lo
	s_cbranch_execz .LBB43_97
.LBB43_154:
	ds_load_b32 v27, v25 offset:352
	s_wait_dscnt 0x0
	v_add_f32_e32 v12, v12, v27
	s_wait_alu 0xfffe
	s_or_b32 exec_lo, exec_lo, s0
	s_and_saveexec_b32 s0, vcc_lo
	s_cbranch_execz .LBB43_98
.LBB43_155:
	ds_load_b32 v27, v25 offset:384
	s_wait_dscnt 0x0
	v_add_f32_e32 v13, v13, v27
	s_wait_alu 0xfffe
	s_or_b32 exec_lo, exec_lo, s0
	s_and_saveexec_b32 s0, vcc_lo
	s_cbranch_execz .LBB43_99
.LBB43_156:
	ds_load_b32 v27, v25 offset:416
	s_wait_dscnt 0x0
	v_add_f32_e32 v14, v14, v27
	s_wait_alu 0xfffe
	s_or_b32 exec_lo, exec_lo, s0
	s_and_saveexec_b32 s0, vcc_lo
	s_cbranch_execz .LBB43_100
.LBB43_157:
	ds_load_b32 v27, v25 offset:448
	s_wait_dscnt 0x0
	v_add_f32_e32 v15, v15, v27
	s_wait_alu 0xfffe
	s_or_b32 exec_lo, exec_lo, s0
	s_and_saveexec_b32 s0, vcc_lo
	s_cbranch_execz .LBB43_101
.LBB43_158:
	ds_load_b32 v27, v25 offset:480
	s_wait_dscnt 0x0
	v_add_f32_e32 v16, v16, v27
	s_wait_alu 0xfffe
	s_or_b32 exec_lo, exec_lo, s0
	s_and_saveexec_b32 s0, vcc_lo
	s_cbranch_execz .LBB43_102
.LBB43_159:
	ds_load_b32 v27, v25 offset:512
	s_wait_dscnt 0x0
	v_add_f32_e32 v17, v17, v27
	s_wait_alu 0xfffe
	s_or_b32 exec_lo, exec_lo, s0
	s_and_saveexec_b32 s0, vcc_lo
	s_cbranch_execz .LBB43_103
.LBB43_160:
	ds_load_b32 v27, v25 offset:544
	s_wait_dscnt 0x0
	v_add_f32_e32 v18, v18, v27
	s_wait_alu 0xfffe
	s_or_b32 exec_lo, exec_lo, s0
	s_and_saveexec_b32 s0, vcc_lo
	s_cbranch_execz .LBB43_104
.LBB43_161:
	ds_load_b32 v27, v25 offset:576
	s_wait_dscnt 0x0
	v_add_f32_e32 v19, v19, v27
	s_wait_alu 0xfffe
	s_or_b32 exec_lo, exec_lo, s0
	s_and_saveexec_b32 s0, vcc_lo
	s_cbranch_execz .LBB43_105
.LBB43_162:
	ds_load_b32 v27, v25 offset:608
	s_wait_dscnt 0x0
	v_add_f32_e32 v20, v20, v27
	s_wait_alu 0xfffe
	s_or_b32 exec_lo, exec_lo, s0
	s_and_saveexec_b32 s0, vcc_lo
	s_cbranch_execz .LBB43_106
.LBB43_163:
	ds_load_b32 v27, v25 offset:640
	s_wait_dscnt 0x0
	v_add_f32_e32 v21, v21, v27
	s_wait_alu 0xfffe
	s_or_b32 exec_lo, exec_lo, s0
	s_and_saveexec_b32 s0, vcc_lo
	s_cbranch_execz .LBB43_107
.LBB43_164:
	ds_load_b32 v27, v25 offset:672
	s_wait_dscnt 0x0
	v_add_f32_e32 v22, v22, v27
	s_wait_alu 0xfffe
	s_or_b32 exec_lo, exec_lo, s0
	s_and_saveexec_b32 s0, vcc_lo
	s_cbranch_execz .LBB43_108
.LBB43_165:
	ds_load_b32 v27, v25 offset:704
	s_wait_dscnt 0x0
	v_add_f32_e32 v23, v23, v27
	s_wait_alu 0xfffe
	s_or_b32 exec_lo, exec_lo, s0
	s_and_saveexec_b32 s0, vcc_lo
	s_cbranch_execnz .LBB43_109
	s_branch .LBB43_110
.LBB43_166:
	ds_load_b32 v26, v25
	s_wait_dscnt 0x0
	v_add_f32_e32 v1, v1, v26
	s_wait_alu 0xfffe
	s_or_b32 exec_lo, exec_lo, s0
	s_and_saveexec_b32 s0, vcc_lo
	s_cbranch_execz .LBB43_116
.LBB43_167:
	ds_load_b32 v26, v25 offset:32
	s_wait_dscnt 0x0
	v_add_f32_e32 v2, v2, v26
	s_wait_alu 0xfffe
	s_or_b32 exec_lo, exec_lo, s0
	s_and_saveexec_b32 s0, vcc_lo
	s_cbranch_execz .LBB43_117
.LBB43_168:
	ds_load_b32 v26, v25 offset:64
	s_wait_dscnt 0x0
	v_add_f32_e32 v3, v3, v26
	s_wait_alu 0xfffe
	s_or_b32 exec_lo, exec_lo, s0
	s_and_saveexec_b32 s0, vcc_lo
	s_cbranch_execz .LBB43_118
.LBB43_169:
	ds_load_b32 v26, v25 offset:96
	s_wait_dscnt 0x0
	v_add_f32_e32 v4, v4, v26
	s_wait_alu 0xfffe
	s_or_b32 exec_lo, exec_lo, s0
	s_and_saveexec_b32 s0, vcc_lo
	s_cbranch_execz .LBB43_119
.LBB43_170:
	ds_load_b32 v26, v25 offset:128
	s_wait_dscnt 0x0
	v_add_f32_e32 v5, v5, v26
	s_wait_alu 0xfffe
	s_or_b32 exec_lo, exec_lo, s0
	s_and_saveexec_b32 s0, vcc_lo
	s_cbranch_execz .LBB43_120
.LBB43_171:
	ds_load_b32 v26, v25 offset:160
	s_wait_dscnt 0x0
	v_add_f32_e32 v6, v6, v26
	s_wait_alu 0xfffe
	s_or_b32 exec_lo, exec_lo, s0
	s_and_saveexec_b32 s0, vcc_lo
	s_cbranch_execz .LBB43_121
.LBB43_172:
	ds_load_b32 v26, v25 offset:192
	s_wait_dscnt 0x0
	v_add_f32_e32 v7, v7, v26
	s_wait_alu 0xfffe
	s_or_b32 exec_lo, exec_lo, s0
	s_and_saveexec_b32 s0, vcc_lo
	s_cbranch_execz .LBB43_122
.LBB43_173:
	ds_load_b32 v26, v25 offset:224
	s_wait_dscnt 0x0
	v_add_f32_e32 v8, v8, v26
	s_wait_alu 0xfffe
	s_or_b32 exec_lo, exec_lo, s0
	s_and_saveexec_b32 s0, vcc_lo
	s_cbranch_execz .LBB43_123
.LBB43_174:
	ds_load_b32 v26, v25 offset:256
	s_wait_dscnt 0x0
	v_add_f32_e32 v9, v9, v26
	s_wait_alu 0xfffe
	s_or_b32 exec_lo, exec_lo, s0
	s_and_saveexec_b32 s0, vcc_lo
	s_cbranch_execz .LBB43_124
.LBB43_175:
	ds_load_b32 v26, v25 offset:288
	s_wait_dscnt 0x0
	v_add_f32_e32 v10, v10, v26
	s_wait_alu 0xfffe
	s_or_b32 exec_lo, exec_lo, s0
	s_and_saveexec_b32 s0, vcc_lo
	s_cbranch_execz .LBB43_125
.LBB43_176:
	ds_load_b32 v26, v25 offset:320
	s_wait_dscnt 0x0
	v_add_f32_e32 v11, v11, v26
	s_wait_alu 0xfffe
	s_or_b32 exec_lo, exec_lo, s0
	s_and_saveexec_b32 s0, vcc_lo
	s_cbranch_execz .LBB43_126
.LBB43_177:
	ds_load_b32 v26, v25 offset:352
	s_wait_dscnt 0x0
	v_add_f32_e32 v12, v12, v26
	s_wait_alu 0xfffe
	s_or_b32 exec_lo, exec_lo, s0
	s_and_saveexec_b32 s0, vcc_lo
	s_cbranch_execz .LBB43_127
.LBB43_178:
	ds_load_b32 v26, v25 offset:384
	s_wait_dscnt 0x0
	v_add_f32_e32 v13, v13, v26
	s_wait_alu 0xfffe
	s_or_b32 exec_lo, exec_lo, s0
	s_and_saveexec_b32 s0, vcc_lo
	s_cbranch_execz .LBB43_128
.LBB43_179:
	ds_load_b32 v26, v25 offset:416
	s_wait_dscnt 0x0
	v_add_f32_e32 v14, v14, v26
	s_wait_alu 0xfffe
	s_or_b32 exec_lo, exec_lo, s0
	s_and_saveexec_b32 s0, vcc_lo
	s_cbranch_execz .LBB43_129
.LBB43_180:
	ds_load_b32 v26, v25 offset:448
	s_wait_dscnt 0x0
	v_add_f32_e32 v15, v15, v26
	s_wait_alu 0xfffe
	s_or_b32 exec_lo, exec_lo, s0
	s_and_saveexec_b32 s0, vcc_lo
	s_cbranch_execz .LBB43_130
.LBB43_181:
	ds_load_b32 v26, v25 offset:480
	s_wait_dscnt 0x0
	v_add_f32_e32 v16, v16, v26
	s_wait_alu 0xfffe
	s_or_b32 exec_lo, exec_lo, s0
	s_and_saveexec_b32 s0, vcc_lo
	s_cbranch_execz .LBB43_131
.LBB43_182:
	ds_load_b32 v26, v25 offset:512
	s_wait_dscnt 0x0
	v_add_f32_e32 v17, v17, v26
	s_wait_alu 0xfffe
	s_or_b32 exec_lo, exec_lo, s0
	s_and_saveexec_b32 s0, vcc_lo
	s_cbranch_execz .LBB43_132
.LBB43_183:
	ds_load_b32 v26, v25 offset:544
	s_wait_dscnt 0x0
	v_add_f32_e32 v18, v18, v26
	s_wait_alu 0xfffe
	s_or_b32 exec_lo, exec_lo, s0
	s_and_saveexec_b32 s0, vcc_lo
	s_cbranch_execz .LBB43_133
.LBB43_184:
	ds_load_b32 v26, v25 offset:576
	s_wait_dscnt 0x0
	v_add_f32_e32 v19, v19, v26
	s_wait_alu 0xfffe
	s_or_b32 exec_lo, exec_lo, s0
	s_and_saveexec_b32 s0, vcc_lo
	s_cbranch_execz .LBB43_134
.LBB43_185:
	ds_load_b32 v26, v25 offset:608
	s_wait_dscnt 0x0
	v_add_f32_e32 v20, v20, v26
	s_wait_alu 0xfffe
	s_or_b32 exec_lo, exec_lo, s0
	s_and_saveexec_b32 s0, vcc_lo
	s_cbranch_execz .LBB43_135
.LBB43_186:
	ds_load_b32 v26, v25 offset:640
	s_wait_dscnt 0x0
	v_add_f32_e32 v21, v21, v26
	s_wait_alu 0xfffe
	s_or_b32 exec_lo, exec_lo, s0
	s_and_saveexec_b32 s0, vcc_lo
	s_cbranch_execz .LBB43_136
.LBB43_187:
	ds_load_b32 v26, v25 offset:672
	s_wait_dscnt 0x0
	v_add_f32_e32 v22, v22, v26
	s_wait_alu 0xfffe
	s_or_b32 exec_lo, exec_lo, s0
	s_and_saveexec_b32 s0, vcc_lo
	s_cbranch_execz .LBB43_137
.LBB43_188:
	ds_load_b32 v26, v25 offset:704
	s_wait_dscnt 0x0
	v_add_f32_e32 v23, v23, v26
	s_wait_alu 0xfffe
	s_or_b32 exec_lo, exec_lo, s0
	s_and_saveexec_b32 s0, vcc_lo
	s_cbranch_execnz .LBB43_138
	s_branch .LBB43_139
	.section	.rodata,"a",@progbits
	.p2align	6, 0x0
	.amdhsa_kernel _ZN4vllm25paged_attention_v2_kernelIffLi192ELi16ELi128ELNS_18Fp8KVCacheDataTypeE0ELb0ELi512EEEvPfS2_PT_PKS3_PKT0_S9_ifPKiSB_iPKfiiiSD_SD_iiiii
		.amdhsa_group_segment_fixed_size 800
		.amdhsa_private_segment_fixed_size 0
		.amdhsa_kernarg_size 400
		.amdhsa_user_sgpr_count 2
		.amdhsa_user_sgpr_dispatch_ptr 0
		.amdhsa_user_sgpr_queue_ptr 0
		.amdhsa_user_sgpr_kernarg_segment_ptr 1
		.amdhsa_user_sgpr_dispatch_id 0
		.amdhsa_user_sgpr_private_segment_size 0
		.amdhsa_wavefront_size32 1
		.amdhsa_uses_dynamic_stack 0
		.amdhsa_enable_private_segment 0
		.amdhsa_system_sgpr_workgroup_id_x 1
		.amdhsa_system_sgpr_workgroup_id_y 1
		.amdhsa_system_sgpr_workgroup_id_z 1
		.amdhsa_system_sgpr_workgroup_info 0
		.amdhsa_system_vgpr_workitem_id 0
		.amdhsa_next_free_vgpr 151
		.amdhsa_next_free_sgpr 32
		.amdhsa_reserve_vcc 1
		.amdhsa_float_round_mode_32 0
		.amdhsa_float_round_mode_16_64 0
		.amdhsa_float_denorm_mode_32 3
		.amdhsa_float_denorm_mode_16_64 3
		.amdhsa_fp16_overflow 0
		.amdhsa_workgroup_processor_mode 1
		.amdhsa_memory_ordered 1
		.amdhsa_forward_progress 1
		.amdhsa_inst_pref_size 97
		.amdhsa_round_robin_scheduling 0
		.amdhsa_exception_fp_ieee_invalid_op 0
		.amdhsa_exception_fp_denorm_src 0
		.amdhsa_exception_fp_ieee_div_zero 0
		.amdhsa_exception_fp_ieee_overflow 0
		.amdhsa_exception_fp_ieee_underflow 0
		.amdhsa_exception_fp_ieee_inexact 0
		.amdhsa_exception_int_div_zero 0
	.end_amdhsa_kernel
	.section	.text._ZN4vllm25paged_attention_v2_kernelIffLi192ELi16ELi128ELNS_18Fp8KVCacheDataTypeE0ELb0ELi512EEEvPfS2_PT_PKS3_PKT0_S9_ifPKiSB_iPKfiiiSD_SD_iiiii,"axG",@progbits,_ZN4vllm25paged_attention_v2_kernelIffLi192ELi16ELi128ELNS_18Fp8KVCacheDataTypeE0ELb0ELi512EEEvPfS2_PT_PKS3_PKT0_S9_ifPKiSB_iPKfiiiSD_SD_iiiii,comdat
.Lfunc_end43:
	.size	_ZN4vllm25paged_attention_v2_kernelIffLi192ELi16ELi128ELNS_18Fp8KVCacheDataTypeE0ELb0ELi512EEEvPfS2_PT_PKS3_PKT0_S9_ifPKiSB_iPKfiiiSD_SD_iiiii, .Lfunc_end43-_ZN4vllm25paged_attention_v2_kernelIffLi192ELi16ELi128ELNS_18Fp8KVCacheDataTypeE0ELb0ELi512EEEvPfS2_PT_PKS3_PKT0_S9_ifPKiSB_iPKfiiiSD_SD_iiiii
                                        ; -- End function
	.set _ZN4vllm25paged_attention_v2_kernelIffLi192ELi16ELi128ELNS_18Fp8KVCacheDataTypeE0ELb0ELi512EEEvPfS2_PT_PKS3_PKT0_S9_ifPKiSB_iPKfiiiSD_SD_iiiii.num_vgpr, 151
	.set _ZN4vllm25paged_attention_v2_kernelIffLi192ELi16ELi128ELNS_18Fp8KVCacheDataTypeE0ELb0ELi512EEEvPfS2_PT_PKS3_PKT0_S9_ifPKiSB_iPKfiiiSD_SD_iiiii.num_agpr, 0
	.set _ZN4vllm25paged_attention_v2_kernelIffLi192ELi16ELi128ELNS_18Fp8KVCacheDataTypeE0ELb0ELi512EEEvPfS2_PT_PKS3_PKT0_S9_ifPKiSB_iPKfiiiSD_SD_iiiii.numbered_sgpr, 32
	.set _ZN4vllm25paged_attention_v2_kernelIffLi192ELi16ELi128ELNS_18Fp8KVCacheDataTypeE0ELb0ELi512EEEvPfS2_PT_PKS3_PKT0_S9_ifPKiSB_iPKfiiiSD_SD_iiiii.num_named_barrier, 0
	.set _ZN4vllm25paged_attention_v2_kernelIffLi192ELi16ELi128ELNS_18Fp8KVCacheDataTypeE0ELb0ELi512EEEvPfS2_PT_PKS3_PKT0_S9_ifPKiSB_iPKfiiiSD_SD_iiiii.private_seg_size, 0
	.set _ZN4vllm25paged_attention_v2_kernelIffLi192ELi16ELi128ELNS_18Fp8KVCacheDataTypeE0ELb0ELi512EEEvPfS2_PT_PKS3_PKT0_S9_ifPKiSB_iPKfiiiSD_SD_iiiii.uses_vcc, 1
	.set _ZN4vllm25paged_attention_v2_kernelIffLi192ELi16ELi128ELNS_18Fp8KVCacheDataTypeE0ELb0ELi512EEEvPfS2_PT_PKS3_PKT0_S9_ifPKiSB_iPKfiiiSD_SD_iiiii.uses_flat_scratch, 0
	.set _ZN4vllm25paged_attention_v2_kernelIffLi192ELi16ELi128ELNS_18Fp8KVCacheDataTypeE0ELb0ELi512EEEvPfS2_PT_PKS3_PKT0_S9_ifPKiSB_iPKfiiiSD_SD_iiiii.has_dyn_sized_stack, 0
	.set _ZN4vllm25paged_attention_v2_kernelIffLi192ELi16ELi128ELNS_18Fp8KVCacheDataTypeE0ELb0ELi512EEEvPfS2_PT_PKS3_PKT0_S9_ifPKiSB_iPKfiiiSD_SD_iiiii.has_recursion, 0
	.set _ZN4vllm25paged_attention_v2_kernelIffLi192ELi16ELi128ELNS_18Fp8KVCacheDataTypeE0ELb0ELi512EEEvPfS2_PT_PKS3_PKT0_S9_ifPKiSB_iPKfiiiSD_SD_iiiii.has_indirect_call, 0
	.section	.AMDGPU.csdata,"",@progbits
; Kernel info:
; codeLenInByte = 12360
; TotalNumSgprs: 34
; NumVgprs: 151
; ScratchSize: 0
; MemoryBound: 0
; FloatMode: 240
; IeeeMode: 1
; LDSByteSize: 800 bytes/workgroup (compile time only)
; SGPRBlocks: 0
; VGPRBlocks: 18
; NumSGPRsForWavesPerEU: 34
; NumVGPRsForWavesPerEU: 151
; Occupancy: 9
; WaveLimiterHint : 1
; COMPUTE_PGM_RSRC2:SCRATCH_EN: 0
; COMPUTE_PGM_RSRC2:USER_SGPR: 2
; COMPUTE_PGM_RSRC2:TRAP_HANDLER: 0
; COMPUTE_PGM_RSRC2:TGID_X_EN: 1
; COMPUTE_PGM_RSRC2:TGID_Y_EN: 1
; COMPUTE_PGM_RSRC2:TGID_Z_EN: 1
; COMPUTE_PGM_RSRC2:TIDIG_COMP_CNT: 0
	.section	.text._ZN4vllm25paged_attention_v2_kernelIffLi256ELi16ELi128ELNS_18Fp8KVCacheDataTypeE0ELb0ELi512EEEvPfS2_PT_PKS3_PKT0_S9_ifPKiSB_iPKfiiiSD_SD_iiiii,"axG",@progbits,_ZN4vllm25paged_attention_v2_kernelIffLi256ELi16ELi128ELNS_18Fp8KVCacheDataTypeE0ELb0ELi512EEEvPfS2_PT_PKS3_PKT0_S9_ifPKiSB_iPKfiiiSD_SD_iiiii,comdat
	.protected	_ZN4vllm25paged_attention_v2_kernelIffLi256ELi16ELi128ELNS_18Fp8KVCacheDataTypeE0ELb0ELi512EEEvPfS2_PT_PKS3_PKT0_S9_ifPKiSB_iPKfiiiSD_SD_iiiii ; -- Begin function _ZN4vllm25paged_attention_v2_kernelIffLi256ELi16ELi128ELNS_18Fp8KVCacheDataTypeE0ELb0ELi512EEEvPfS2_PT_PKS3_PKT0_S9_ifPKiSB_iPKfiiiSD_SD_iiiii
	.globl	_ZN4vllm25paged_attention_v2_kernelIffLi256ELi16ELi128ELNS_18Fp8KVCacheDataTypeE0ELb0ELi512EEEvPfS2_PT_PKS3_PKT0_S9_ifPKiSB_iPKfiiiSD_SD_iiiii
	.p2align	8
	.type	_ZN4vllm25paged_attention_v2_kernelIffLi256ELi16ELi128ELNS_18Fp8KVCacheDataTypeE0ELb0ELi512EEEvPfS2_PT_PKS3_PKT0_S9_ifPKiSB_iPKfiiiSD_SD_iiiii,@function
_ZN4vllm25paged_attention_v2_kernelIffLi256ELi16ELi128ELNS_18Fp8KVCacheDataTypeE0ELb0ELi512EEEvPfS2_PT_PKS3_PKT0_S9_ifPKiSB_iPKfiiiSD_SD_iiiii: ; @_ZN4vllm25paged_attention_v2_kernelIffLi256ELi16ELi128ELNS_18Fp8KVCacheDataTypeE0ELb0ELi512EEEvPfS2_PT_PKS3_PKT0_S9_ifPKiSB_iPKfiiiSD_SD_iiiii
; %bb.0:
	s_load_b64 s[2:3], s[0:1], 0x40
	s_and_b32 s14, ttmp7, 0xffff
	s_lshr_b32 s24, ttmp7, 16
	s_lshl_b32 s4, s14, 2
	s_lshl_b32 s26, s24, 9
	s_wait_kmcnt 0x0
	s_load_b32 s25, s[2:3], s4 offset:0x0
	s_wait_kmcnt 0x0
	s_cmp_ge_i32 s26, s25
	s_cbranch_scc1 .LBB44_174
; %bb.1:
	s_clause 0x1
	s_load_b32 s15, s[0:1], 0x90
	s_load_b64 s[6:7], s[0:1], 0x30
	s_wait_kmcnt 0x0
	s_abs_i32 s5, s15
	s_abs_i32 s2, s6
	s_delay_alu instid0(SALU_CYCLE_1) | instskip(SKIP_1) | instid1(SALU_CYCLE_2)
	s_cvt_f32_u32 s3, s2
	s_sub_co_i32 s4, 0, s2
	v_rcp_iflag_f32_e32 v1, s3
	s_delay_alu instid0(TRANS32_DEP_1) | instskip(SKIP_2) | instid1(SALU_CYCLE_2)
	v_readfirstlane_b32 s3, v1
	s_mul_f32 s3, s3, 0x4f7ffffe
	s_wait_alu 0xfffe
	s_cvt_u32_f32 s3, s3
	s_wait_alu 0xfffe
	s_delay_alu instid0(SALU_CYCLE_2) | instskip(NEXT) | instid1(SALU_CYCLE_1)
	s_mul_i32 s4, s4, s3
	s_mul_hi_u32 s4, s3, s4
	s_delay_alu instid0(SALU_CYCLE_1)
	s_add_co_i32 s3, s3, s4
	s_xor_b32 s4, s15, s6
	s_wait_alu 0xfffe
	s_mul_hi_u32 s3, s5, s3
	s_ashr_i32 s4, s4, 31
	s_wait_alu 0xfffe
	s_mul_i32 s6, s3, s2
	s_delay_alu instid0(SALU_CYCLE_1)
	s_sub_co_i32 s5, s5, s6
	s_add_co_i32 s6, s3, 1
	s_sub_co_i32 s8, s5, s2
	s_cmp_ge_u32 s5, s2
	s_cselect_b32 s3, s6, s3
	s_cselect_b32 s5, s8, s5
	s_wait_alu 0xfffe
	s_add_co_i32 s6, s3, 1
	s_cmp_ge_u32 s5, s2
	s_load_b64 s[8:9], s[0:1], 0x50
	s_cselect_b32 s2, s6, s3
	s_mov_b32 s3, 0
	s_wait_alu 0xfffe
	s_xor_b32 s2, s2, s4
	s_mov_b32 s6, s3
	s_wait_alu 0xfffe
	s_sub_co_i32 s12, s2, s4
	s_delay_alu instid0(SALU_CYCLE_1) | instskip(NEXT) | instid1(SALU_CYCLE_1)
	s_abs_i32 s11, s12
	s_cvt_f32_u32 s2, s11
	s_wait_alu 0xfffe
	s_delay_alu instid0(SALU_CYCLE_2) | instskip(NEXT) | instid1(TRANS32_DEP_1)
	v_rcp_iflag_f32_e32 v1, s2
	v_readfirstlane_b32 s2, v1
	s_mul_f32 s2, s2, 0x4f7ffffe
	s_wait_alu 0xfffe
	s_delay_alu instid0(SALU_CYCLE_2) | instskip(SKIP_2) | instid1(SALU_CYCLE_1)
	s_cvt_u32_f32 s4, s2
	s_sub_co_i32 s2, 0, s11
	s_wait_alu 0xfffe
	s_mul_i32 s2, s2, s4
	s_wait_alu 0xfffe
	s_mul_hi_u32 s5, s4, s2
	s_abs_i32 s2, ttmp9
	s_add_co_i32 s4, s4, s5
	s_mov_b32 s5, s3
	s_wait_kmcnt 0x0
	s_cmp_eq_u64 s[8:9], 0
	s_cbranch_scc1 .LBB44_3
; %bb.2:
	s_mov_b32 s16, ttmp9
	s_ashr_i32 s17, ttmp9, 31
	s_delay_alu instid0(SALU_CYCLE_1) | instskip(NEXT) | instid1(SALU_CYCLE_1)
	s_lshl_b64 s[16:17], s[16:17], 2
	s_add_nc_u64 s[8:9], s[8:9], s[16:17]
	s_load_b32 s6, s[8:9], 0x0
.LBB44_3:
	s_load_b96 s[8:10], s[0:1], 0x58
	v_and_b32_e32 v129, 1, v0
	v_lshlrev_b32_e32 v1, 3, v0
	v_lshlrev_b32_e32 v133, 2, v0
	s_mul_u64 s[4:5], s[2:3], s[4:5]
	s_ashr_i32 s3, ttmp9, 31
	s_ashr_i32 s4, s12, 31
	s_lshl_b32 s12, ttmp9, 8
	s_mov_b32 s16, exec_lo
	v_cmpx_gt_u32_e32 0x80, v0
	s_cbranch_execz .LBB44_5
; %bb.4:
	s_load_b64 s[18:19], s[0:1], 0x18
	s_wait_kmcnt 0x0
	s_mul_i32 s20, s8, s14
	s_ashr_i32 s13, s12, 31
	s_ashr_i32 s21, s20, 31
	v_and_b32_e32 v4, 0xff8, v133
	s_lshl_b64 s[20:21], s[20:21], 2
	s_delay_alu instid0(VALU_DEP_1) | instskip(SKIP_2) | instid1(SALU_CYCLE_1)
	v_lshl_add_u32 v4, v129, 9, v4
	s_add_nc_u64 s[18:19], s[18:19], s[20:21]
	s_lshl_b64 s[20:21], s[12:13], 2
	s_add_nc_u64 s[18:19], s[18:19], s[20:21]
	global_load_b64 v[2:3], v1, s[18:19]
	s_wait_loadcnt 0x0
	ds_store_b64 v4, v[2:3]
.LBB44_5:
	s_or_b32 exec_lo, exec_lo, s16
	s_wait_kmcnt 0x0
	s_add_co_i32 s8, s25, 15
	s_wait_alu 0xfffe
	s_xor_b32 s3, s3, s4
	s_ashr_i32 s13, s8, 31
	s_lshl_b32 s28, s24, 5
	s_lshr_b32 s4, s13, 28
	s_mul_i32 s13, s5, s11
	s_add_co_i32 s8, s8, s4
	s_add_co_i32 s4, s28, 32
	s_ashr_i32 s27, s8, 4
	s_load_b32 s8, s[0:1], 0x48
	s_sub_co_i32 s2, s2, s13
	s_min_i32 s13, s4, s27
	s_add_co_i32 s4, s5, 1
	s_wait_alu 0xfffe
	s_sub_co_i32 s16, s2, s11
	s_cmp_ge_u32 s2, s11
	v_lshrrev_b32_e32 v135, 5, v0
	s_cselect_b32 s4, s4, s5
	s_cselect_b32 s2, s16, s2
	s_add_co_i32 s5, s4, 1
	s_wait_alu 0xfffe
	s_cmp_ge_u32 s2, s11
	v_or_b32_e32 v136, s28, v135
	s_cselect_b32 s2, s5, s4
	v_mbcnt_lo_u32_b32 v140, -1, 0
	s_wait_alu 0xfffe
	s_xor_b32 s2, s2, s3
	s_mov_b32 s4, exec_lo
	s_wait_alu 0xfffe
	s_sub_co_i32 s3, s2, s3
	v_cmp_gt_i32_e64 s2, s13, v136
	s_wait_dscnt 0x0
	s_barrier_signal -1
	s_wait_kmcnt 0x0
	s_mul_i32 s16, s8, s14
	s_barrier_wait -1
	s_ashr_i32 s17, s16, 31
	global_inv scope:SCOPE_SE
                                        ; implicit-def: $vgpr141
                                        ; implicit-def: $vgpr139
	v_cmpx_le_i32_e64 s13, v136
	s_xor_b32 s4, exec_lo, s4
; %bb.6:
	v_mov_b32_e32 v141, 0
	v_mbcnt_lo_u32_b32 v140, -1, 0
	v_mov_b32_e32 v139, 32
                                        ; implicit-def: $vgpr1
                                        ; implicit-def: $vgpr129
; %bb.7:
	s_or_saveexec_b32 s11, s4
	s_clause 0x1
	s_load_b64 s[18:19], s[0:1], 0x38
	s_load_b32 s8, s[0:1], 0x98
	v_mov_b32_e32 v142, 0xff7fffff
	v_lshlrev_b32_e32 v134, 2, v136
	s_mul_i32 s20, s3, s10
	s_xor_b32 exec_lo, exec_lo, s11
	s_cbranch_execz .LBB44_13
; %bb.8:
	s_load_b64 s[4:5], s[0:1], 0x20
	v_bfe_u32 v130, v0, 1, 4
	s_ashr_i32 s21, s20, 31
	v_and_b32_e32 v33, 8, v1
	s_lshl_b64 s[22:23], s[20:21], 2
	v_dual_mov_b32 v139, 32 :: v_dual_lshlrev_b32 v142, 4, v135
	v_lshlrev_b32_e32 v25, 4, v130
	v_xor_b32_e32 v41, 1, v140
	v_dual_mov_b32 v146, v136 :: v_dual_lshlrev_b32 v125, 9, v129
	s_delay_alu instid0(VALU_DEP_4)
	v_add3_u32 v144, s26, v142, v130
	v_mov_b32_e32 v142, 0xff7fffff
	ds_load_b128 v[1:4], v125
	ds_load_b128 v[5:8], v125 offset:16
	ds_load_b128 v[9:12], v125 offset:32
	;; [unrolled: 1-line block ×5, first 2 shown]
	v_lshlrev_b32_e32 v131, 2, v130
	s_cmp_neq_f32 s6, 0
	s_mov_b32 s21, s9
	s_mov_b32 s10, 0
	s_delay_alu instid0(VALU_DEP_1) | instskip(SKIP_2) | instid1(SALU_CYCLE_1)
	v_lshl_or_b32 v131, v135, 6, v131
	s_wait_kmcnt 0x0
	s_add_nc_u64 s[4:5], s[4:5], s[22:23]
	v_add_co_u32 v34, s3, s4, v25
	s_wait_alu 0xf1ff
	v_add_co_ci_u32_e64 v35, null, s5, 0, s3
	ds_load_b128 v[25:28], v125 offset:96
	ds_load_b128 v[29:32], v125 offset:112
	v_add_co_u32 v137, vcc_lo, v34, v33
	s_delay_alu instid0(VALU_DEP_1)
	v_add_co_ci_u32_e64 v138, null, 0, v35, vcc_lo
	v_cmp_gt_i32_e32 vcc_lo, 32, v41
	v_mov_b32_e32 v141, 0
	ds_load_b128 v[33:36], v125 offset:128
	ds_load_b128 v[37:40], v125 offset:144
	s_cselect_b32 s3, -1, 0
	s_lshl_b64 s[4:5], s[16:17], 2
	s_wait_alu 0xfffd
	v_cndmask_b32_e32 v132, v140, v41, vcc_lo
	ds_load_b128 v[41:44], v125 offset:160
	ds_load_b128 v[45:48], v125 offset:176
	ds_load_b128 v[49:52], v125 offset:192
	ds_load_b128 v[53:56], v125 offset:208
	ds_load_b128 v[57:60], v125 offset:224
	ds_load_b128 v[61:64], v125 offset:240
	ds_load_b128 v[65:68], v125 offset:256
	ds_load_b128 v[69:72], v125 offset:272
	ds_load_b128 v[73:76], v125 offset:288
	ds_load_b128 v[77:80], v125 offset:304
	ds_load_b128 v[81:84], v125 offset:320
	ds_load_b128 v[85:88], v125 offset:336
	ds_load_b128 v[89:92], v125 offset:352
	ds_load_b128 v[93:96], v125 offset:368
	ds_load_b128 v[97:100], v125 offset:384
	ds_load_b128 v[101:104], v125 offset:400
	ds_load_b128 v[105:108], v125 offset:416
	ds_load_b128 v[109:112], v125 offset:432
	ds_load_b128 v[113:116], v125 offset:448
	ds_load_b128 v[117:120], v125 offset:464
	ds_load_b128 v[121:124], v125 offset:480
	ds_load_b128 v[125:128], v125 offset:496
	s_wait_alu 0xfffe
	s_add_nc_u64 s[4:5], s[18:19], s[4:5]
	v_cmp_eq_u32_e32 vcc_lo, 0, v129
	s_wait_alu 0xfffe
	v_add_co_u32 v129, s4, s4, v134
	v_lshlrev_b32_e32 v143, 2, v132
	v_add_nc_u32_e32 v145, 0x420, v131
	s_wait_alu 0xf1ff
	v_add_co_ci_u32_e64 v130, null, s5, 0, s4
	s_sub_co_i32 s22, 1, s25
	s_branch .LBB44_10
.LBB44_9:                               ;   in Loop: Header=BB44_10 Depth=1
	s_wait_alu 0xfffe
	s_or_b32 exec_lo, exec_lo, s5
	v_add_nc_u32_e32 v146, 4, v146
	v_add_co_u32 v129, s5, v129, 16
	v_add_nc_u32_e32 v144, 64, v144
	v_add_nc_u32_e32 v145, 0x100, v145
	s_delay_alu instid0(VALU_DEP_4) | instskip(SKIP_3) | instid1(SALU_CYCLE_1)
	v_cmp_le_i32_e64 s4, s13, v146
	s_wait_alu 0xf1ff
	v_add_co_ci_u32_e64 v130, null, 0, v130, s5
	s_or_b32 s10, s4, s10
	s_and_not1_b32 exec_lo, exec_lo, s10
	s_cbranch_execz .LBB44_12
.LBB44_10:                              ; =>This Inner Loop Header: Depth=1
	global_load_b32 v131, v[129:130], off
	s_wait_loadcnt_dscnt 0x0
	v_mad_co_i64_i32 v[131:132], null, v131, s21, 0
	s_delay_alu instid0(VALU_DEP_1) | instskip(NEXT) | instid1(VALU_DEP_1)
	v_lshlrev_b64_e32 v[131:132], 2, v[131:132]
	v_add_co_u32 v131, s4, v137, v131
	s_wait_alu 0xf1ff
	s_delay_alu instid0(VALU_DEP_2)
	v_add_co_ci_u32_e64 v132, null, v138, v132, s4
	s_clause 0xa
	global_load_b64 v[147:148], v[131:132], off offset:256
	global_load_b64 v[149:150], v[131:132], off
	global_load_b64 v[151:152], v[131:132], off offset:512
	global_load_b64 v[153:154], v[131:132], off offset:768
	;; [unrolled: 1-line block ×9, first 2 shown]
	s_wait_loadcnt_dscnt 0xa1f
	v_dual_mul_f32 v147, v3, v147 :: v_dual_mul_f32 v148, v4, v148
	s_wait_loadcnt 0x9
	s_delay_alu instid0(VALU_DEP_1)
	v_dual_fmac_f32 v147, v1, v149 :: v_dual_fmac_f32 v148, v2, v150
	global_load_b64 v[149:150], v[131:132], off offset:2816
	s_wait_loadcnt_dscnt 0x91e
	v_dual_fmac_f32 v147, v5, v151 :: v_dual_fmac_f32 v148, v6, v152
	global_load_b64 v[151:152], v[131:132], off offset:3072
	s_wait_loadcnt 0x9
	v_dual_fmac_f32 v147, v7, v153 :: v_dual_fmac_f32 v148, v8, v154
	global_load_b64 v[153:154], v[131:132], off offset:3328
	s_wait_loadcnt_dscnt 0x91d
	v_dual_fmac_f32 v147, v9, v155 :: v_dual_fmac_f32 v148, v10, v156
	global_load_b64 v[155:156], v[131:132], off offset:3584
	s_wait_loadcnt 0x9
	;; [unrolled: 6-line block ×25, first 2 shown]
	v_dual_fmac_f32 v147, v103, v149 :: v_dual_fmac_f32 v148, v104, v150
	global_load_b64 v[149:150], v[131:132], off offset:15616
	s_wait_loadcnt_dscnt 0x905
	v_dual_fmac_f32 v147, v105, v151 :: v_dual_fmac_f32 v148, v106, v152
	s_clause 0x1
	global_load_b64 v[151:152], v[131:132], off offset:15872
	global_load_b64 v[131:132], v[131:132], off offset:16128
	s_wait_loadcnt 0xa
	v_dual_fmac_f32 v147, v107, v153 :: v_dual_fmac_f32 v148, v108, v154
	s_wait_loadcnt_dscnt 0x904
	s_delay_alu instid0(VALU_DEP_1) | instskip(SKIP_1) | instid1(VALU_DEP_1)
	v_dual_fmac_f32 v147, v109, v155 :: v_dual_fmac_f32 v148, v110, v156
	s_wait_loadcnt 0x8
	v_dual_fmac_f32 v147, v111, v157 :: v_dual_fmac_f32 v148, v112, v158
	s_wait_loadcnt_dscnt 0x703
	s_delay_alu instid0(VALU_DEP_1) | instskip(SKIP_1) | instid1(VALU_DEP_1)
	v_dual_fmac_f32 v147, v113, v159 :: v_dual_fmac_f32 v148, v114, v160
	;; [unrolled: 5-line block ×5, first 2 shown]
	s_wait_loadcnt 0x0
	v_dual_fmac_f32 v147, v127, v131 :: v_dual_fmac_f32 v148, v128, v132
	s_delay_alu instid0(VALU_DEP_1)
	v_add_f32_e32 v131, v147, v148
	ds_bpermute_b32 v132, v143, v131
	s_and_saveexec_b32 s5, vcc_lo
	s_cbranch_execz .LBB44_9
; %bb.11:                               ;   in Loop: Header=BB44_10 Depth=1
	s_wait_dscnt 0x0
	v_add_f32_e32 v131, v131, v132
	v_add_nc_u32_e32 v147, s22, v144
	v_cmp_gt_i32_e64 s4, s25, v144
	s_delay_alu instid0(VALU_DEP_2) | instskip(NEXT) | instid1(VALU_DEP_1)
	v_cvt_f32_i32_e32 v147, v147
	v_mul_f32_e32 v147, s6, v147
	s_delay_alu instid0(VALU_DEP_1) | instskip(NEXT) | instid1(VALU_DEP_1)
	v_cndmask_b32_e64 v132, 0, v147, s3
	v_dual_max_num_f32 v147, v142, v142 :: v_dual_fmac_f32 v132, s7, v131
	s_delay_alu instid0(VALU_DEP_1) | instskip(SKIP_2) | instid1(VALU_DEP_2)
	v_max_num_f32_e32 v131, v147, v132
	s_wait_alu 0xf1ff
	v_cndmask_b32_e64 v132, 0, v132, s4
	v_cndmask_b32_e64 v142, v142, v131, s4
	ds_store_b32 v145, v132
	s_branch .LBB44_9
.LBB44_12:
	s_or_b32 exec_lo, exec_lo, s10
.LBB44_13:
	s_delay_alu instid0(SALU_CYCLE_1)
	s_or_b32 exec_lo, exec_lo, s11
	v_xor_b32_e32 v1, 16, v140
	v_xor_b32_e32 v3, 8, v140
	v_xor_b32_e32 v6, 2, v140
	s_clause 0x2
	s_load_b128 s[4:7], s[0:1], 0x0
	s_load_b64 s[10:11], s[0:1], 0x10
	s_load_b64 s[22:23], s[0:1], 0x28
	v_and_b32_e32 v137, 31, v0
	v_cmp_lt_i32_e32 vcc_lo, v1, v139
	v_max_num_f32_e32 v5, v142, v142
	s_wait_alu 0xfffd
	v_cndmask_b32_e32 v1, v140, v1, vcc_lo
	v_cmp_lt_i32_e32 vcc_lo, v3, v139
	s_wait_alu 0xfffd
	v_cndmask_b32_e32 v3, v140, v3, vcc_lo
	s_delay_alu instid0(VALU_DEP_1) | instskip(SKIP_4) | instid1(VALU_DEP_1)
	v_lshlrev_b32_e32 v4, 2, v3
	v_lshlrev_b32_e32 v2, 2, v1
	ds_bpermute_b32 v1, v2, v142
	s_wait_dscnt 0x0
	v_max_num_f32_e32 v1, v1, v1
	v_max_num_f32_e32 v1, v5, v1
	v_xor_b32_e32 v5, 4, v140
	s_delay_alu instid0(VALU_DEP_1) | instskip(SKIP_4) | instid1(VALU_DEP_2)
	v_cmp_lt_i32_e32 vcc_lo, v5, v139
	s_wait_alu 0xfffd
	v_cndmask_b32_e32 v5, v140, v5, vcc_lo
	v_cmp_lt_i32_e32 vcc_lo, v6, v139
	s_wait_alu 0xfffd
	v_dual_cndmask_b32 v6, v140, v6 :: v_dual_lshlrev_b32 v5, 2, v5
	v_cmp_eq_u32_e32 vcc_lo, 0, v137
	s_delay_alu instid0(VALU_DEP_2) | instskip(SKIP_4) | instid1(VALU_DEP_1)
	v_lshlrev_b32_e32 v138, 2, v6
	v_lshlrev_b32_e32 v6, 2, v135
	ds_bpermute_b32 v3, v4, v1
	s_wait_dscnt 0x0
	v_max_num_f32_e32 v3, v3, v3
	v_max_num_f32_e32 v1, v1, v3
	ds_bpermute_b32 v3, v5, v1
	s_wait_dscnt 0x0
	v_max_num_f32_e32 v3, v3, v3
	s_delay_alu instid0(VALU_DEP_1)
	v_max_num_f32_e32 v1, v1, v3
	ds_bpermute_b32 v3, v138, v1
	s_and_saveexec_b32 s0, vcc_lo
	s_cbranch_execz .LBB44_15
; %bb.14:
	s_wait_dscnt 0x0
	v_max_num_f32_e32 v3, v3, v3
	v_max_num_f32_e32 v1, v1, v1
	s_delay_alu instid0(VALU_DEP_1)
	v_max_num_f32_e32 v1, v1, v3
	ds_store_b32 v6, v1 offset:1024
.LBB44_15:
	s_or_b32 exec_lo, exec_lo, s0
	v_cmp_gt_u32_e64 s0, 4, v137
	v_mov_b32_e32 v1, 0xff7fffff
	v_lshlrev_b32_e32 v7, 2, v137
	s_wait_loadcnt_dscnt 0x0
	s_barrier_signal -1
	s_barrier_wait -1
	global_inv scope:SCOPE_SE
	s_and_saveexec_b32 s1, s0
; %bb.16:
	ds_load_b32 v1, v7 offset:1024
; %bb.17:
	s_or_b32 exec_lo, exec_lo, s1
	s_wait_dscnt 0x0
	ds_bpermute_b32 v3, v138, v1
	v_xor_b32_e32 v8, 1, v140
	v_max_num_f32_e32 v1, v1, v1
	s_delay_alu instid0(VALU_DEP_2) | instskip(NEXT) | instid1(VALU_DEP_1)
	v_cmp_lt_i32_e64 s1, v8, v139
	v_cndmask_b32_e64 v8, v140, v8, s1
	s_sub_co_i32 s1, s13, s28
	s_wait_alu 0xfffe
	s_lshl_b32 s1, s1, 4
	s_delay_alu instid0(VALU_DEP_1)
	v_dual_mov_b32 v8, 0 :: v_dual_lshlrev_b32 v139, 2, v8
	s_wait_alu 0xfffe
	s_add_co_i32 s1, s1, s26
	s_wait_alu 0xfffe
	s_min_i32 s1, s1, s25
	s_wait_dscnt 0x0
	v_max_num_f32_e32 v3, v3, v3
	s_wait_alu 0xfffe
	s_sub_co_i32 s21, s1, s26
	s_wait_alu 0xfffe
	v_cmp_gt_i32_e64 s1, s21, v0
	v_max_num_f32_e32 v1, v1, v3
	ds_bpermute_b32 v3, v139, v1
	s_wait_dscnt 0x0
	v_max_num_f32_e32 v3, v3, v3
	s_delay_alu instid0(VALU_DEP_1)
	v_max_num_f32_e32 v1, v1, v3
	v_lshlrev_b32_e32 v3, 2, v141
	ds_bpermute_b32 v1, v3, v1
	v_lshl_add_u32 v3, v0, 2, 0x420
	s_and_saveexec_b32 s28, s1
	s_cbranch_execz .LBB44_21
; %bb.18:
	v_lshl_add_u32 v9, v0, 2, 0x420
	v_mov_b32_e32 v8, 0
	v_mov_b32_e32 v10, v0
	s_mov_b32 s29, 0
.LBB44_19:                              ; =>This Inner Loop Header: Depth=1
	ds_load_b32 v11, v9
	v_add_nc_u32_e32 v10, 0x80, v10
	s_delay_alu instid0(VALU_DEP_1) | instskip(SKIP_4) | instid1(VALU_DEP_1)
	v_cmp_le_i32_e64 s3, s21, v10
	s_wait_alu 0xfffe
	s_or_b32 s29, s3, s29
	s_wait_dscnt 0x0
	v_sub_f32_e32 v11, v11, v1
	v_mul_f32_e32 v11, 0x3fb8aa3b, v11
	s_delay_alu instid0(VALU_DEP_1)
	v_exp_f32_e32 v11, v11
	ds_store_b32 v9, v11
	v_dual_add_f32 v8, v8, v11 :: v_dual_add_nc_u32 v9, 0x200, v9
	s_wait_alu 0xfffe
	s_and_not1_b32 exec_lo, exec_lo, s29
	s_cbranch_execnz .LBB44_19
; %bb.20:
	s_or_b32 exec_lo, exec_lo, s29
.LBB44_21:
	s_wait_alu 0xfffe
	s_or_b32 exec_lo, exec_lo, s28
	ds_bpermute_b32 v2, v2, v8
	s_wait_dscnt 0x0
	v_add_f32_e32 v2, v8, v2
	ds_bpermute_b32 v4, v4, v2
	s_wait_dscnt 0x0
	v_add_f32_e32 v2, v2, v4
	;; [unrolled: 3-line block ×5, first 2 shown]
	s_and_saveexec_b32 s3, vcc_lo
; %bb.22:
	ds_store_b32 v6, v2 offset:1040
; %bb.23:
	s_wait_alu 0xfffe
	s_or_b32 exec_lo, exec_lo, s3
	s_wait_loadcnt_dscnt 0x0
	s_barrier_signal -1
	s_barrier_wait -1
	global_inv scope:SCOPE_SE
	s_and_saveexec_b32 s3, s0
; %bb.24:
	ds_load_b32 v2, v7 offset:1040
; %bb.25:
	s_wait_alu 0xfffe
	s_or_b32 exec_lo, exec_lo, s3
	s_wait_dscnt 0x0
	ds_bpermute_b32 v4, v138, v2
	v_lshlrev_b32_e32 v5, 2, v140
	s_wait_dscnt 0x0
	v_add_f32_e32 v2, v2, v4
	ds_bpermute_b32 v4, v139, v2
	s_wait_dscnt 0x0
	v_add_f32_e32 v2, v2, v4
	v_and_b32_e32 v4, 0xffffff80, v5
	ds_bpermute_b32 v2, v4, v2
	s_and_saveexec_b32 s0, s1
	s_cbranch_execz .LBB44_28
; %bb.26:
	s_wait_dscnt 0x0
	v_add_f32_e32 v4, 0x358637bd, v2
	s_mov_b32 s1, 0
	s_delay_alu instid0(VALU_DEP_1) | instskip(SKIP_1) | instid1(VALU_DEP_2)
	v_div_scale_f32 v5, null, v4, v4, 1.0
	v_div_scale_f32 v8, vcc_lo, 1.0, v4, 1.0
	v_rcp_f32_e32 v6, v5
	s_delay_alu instid0(TRANS32_DEP_1) | instskip(NEXT) | instid1(VALU_DEP_1)
	v_fma_f32 v7, -v5, v6, 1.0
	v_fmac_f32_e32 v6, v7, v6
	s_delay_alu instid0(VALU_DEP_1) | instskip(NEXT) | instid1(VALU_DEP_1)
	v_mul_f32_e32 v7, v8, v6
	v_fma_f32 v9, -v5, v7, v8
	s_delay_alu instid0(VALU_DEP_1) | instskip(NEXT) | instid1(VALU_DEP_1)
	v_fmac_f32_e32 v7, v9, v6
	v_fma_f32 v5, -v5, v7, v8
	s_wait_alu 0xfffd
	s_delay_alu instid0(VALU_DEP_1) | instskip(NEXT) | instid1(VALU_DEP_1)
	v_div_fmas_f32 v5, v5, v6, v7
	v_div_fixup_f32 v4, v5, v4, 1.0
	v_mov_b32_e32 v5, v0
.LBB44_27:                              ; =>This Inner Loop Header: Depth=1
	ds_load_b32 v6, v3
	s_wait_dscnt 0x0
	v_dual_mul_f32 v6, v4, v6 :: v_dual_add_nc_u32 v5, 0x80, v5
	s_delay_alu instid0(VALU_DEP_1)
	v_cmp_le_i32_e32 vcc_lo, s21, v5
	ds_store_b32 v3, v6
	v_add_nc_u32_e32 v3, 0x200, v3
	s_wait_alu 0xfffe
	s_or_b32 s1, vcc_lo, s1
	s_wait_alu 0xfffe
	s_and_not1_b32 exec_lo, exec_lo, s1
	s_cbranch_execnz .LBB44_27
.LBB44_28:
	s_wait_alu 0xfffe
	s_or_b32 exec_lo, exec_lo, s0
	s_wait_kmcnt 0x0
	s_mul_i32 s0, s8, s14
	s_wait_loadcnt_dscnt 0x0
	s_wait_alu 0xfffe
	s_mul_i32 s14, s0, s15
	s_mov_b32 s0, exec_lo
	s_barrier_signal -1
	s_barrier_wait -1
	global_inv scope:SCOPE_SE
	v_cmpx_eq_u32_e32 0, v0
	s_cbranch_execz .LBB44_30
; %bb.29:
	s_ashr_i32 s15, s14, 31
	s_wait_alu 0xfffe
	s_mul_i32 s28, s8, ttmp9
	s_lshl_b32 s1, s24, 2
	s_lshl_b64 s[30:31], s[14:15], 2
	s_wait_alu 0xfffe
	s_ashr_i32 s29, s28, 31
	v_mov_b32_e32 v3, s1
	s_add_nc_u64 s[6:7], s[6:7], s[30:31]
	s_wait_alu 0xfffe
	s_lshl_b64 s[28:29], s[28:29], 2
	s_add_nc_u64 s[4:5], s[4:5], s[30:31]
	s_wait_alu 0xfffe
	s_add_nc_u64 s[6:7], s[6:7], s[28:29]
	s_add_nc_u64 s[4:5], s[4:5], s[28:29]
	s_clause 0x1
	global_store_b32 v3, v1, s[6:7]
	global_store_b32 v3, v2, s[4:5]
.LBB44_30:
	s_wait_alu 0xfffe
	s_or_b32 exec_lo, exec_lo, s0
	v_dual_mov_b32 v170, 0 :: v_dual_mov_b32 v171, 0
	v_dual_mov_b32 v169, 0 :: v_dual_and_b32 v140, 3, v0
	v_dual_mov_b32 v172, 0 :: v_dual_mov_b32 v167, 0
	v_dual_mov_b32 v168, 0 :: v_dual_mov_b32 v165, 0
	;; [unrolled: 1-line block ×14, first 2 shown]
	v_mov_b32_e32 v142, 0
	s_and_saveexec_b32 s1, s2
	s_cbranch_execz .LBB44_98
; %bb.31:
	v_dual_mov_b32 v141, 0 :: v_dual_lshlrev_b32 v2, 4, v140
	s_lshl_b64 s[6:7], s[16:17], 2
	v_dual_mov_b32 v142, 0 :: v_dual_and_b32 v1, 12, v133
	v_lshl_add_u32 v3, v135, 4, s26
	v_dual_mov_b32 v143, 0 :: v_dual_and_b32 v4, 0x7c, v133
	v_lshl_or_b32 v2, v135, 6, v2
	v_or_b32_e32 v5, 0xf80, v133
	s_wait_alu 0xfffe
	s_add_nc_u64 s[6:7], s[18:19], s[6:7]
	s_ashr_i32 s21, s20, 31
	s_wait_alu 0xfffe
	v_add_co_u32 v133, s0, s6, v134
	v_add3_u32 v173, v3, v1, 3
	v_dual_mov_b32 v145, 0 :: v_dual_add_nc_u32 v174, 0x420, v2
	s_wait_alu 0xf1ff
	v_add_co_ci_u32_e64 v134, null, s7, 0, s0
	v_dual_mov_b32 v144, 0 :: v_dual_lshlrev_b32 v175, 2, v4
	v_dual_mov_b32 v147, 0 :: v_dual_lshlrev_b32 v176, 2, v5
	v_dual_mov_b32 v146, 0 :: v_dual_mov_b32 v149, 0
	v_dual_mov_b32 v148, 0 :: v_dual_mov_b32 v151, 0
	;; [unrolled: 1-line block ×12, first 2 shown]
	v_mov_b32_e32 v172, 0
	v_mov_b32_e32 v170, 0
	s_lshl_b64 s[2:3], s[20:21], 2
	s_mov_b32 s4, s9
	s_wait_alu 0xfffe
	s_add_nc_u64 s[2:3], s[22:23], s[2:3]
	s_add_co_i32 s6, s27, -1
	s_mov_b32 s5, 0
	s_branch .LBB44_33
.LBB44_32:                              ;   in Loop: Header=BB44_33 Depth=1
	s_wait_alu 0xfffe
	s_or_b32 exec_lo, exec_lo, s0
	s_wait_loadcnt_dscnt 0xb00
	v_mul_f32_e32 v85, v1, v85
	v_mul_f32_e32 v61, v1, v61
	;; [unrolled: 1-line block ×5, first 2 shown]
	v_fmac_f32_e32 v85, v2, v86
	s_wait_loadcnt 0x3
	v_mul_f32_e32 v121, v1, v121
	v_fmac_f32_e32 v61, v2, v62
	v_fmac_f32_e32 v53, v2, v54
	v_mul_f32_e32 v29, v1, v29
	v_fmac_f32_e32 v85, v3, v87
	v_fmac_f32_e32 v21, v2, v22
	;; [unrolled: 1-line block ×3, first 2 shown]
	v_mul_f32_e32 v113, v1, v113
	v_mul_f32_e32 v105, v1, v105
	;; [unrolled: 1-line block ×3, first 2 shown]
	v_fmac_f32_e32 v85, v4, v88
	v_fmac_f32_e32 v121, v2, v122
	v_mul_f32_e32 v69, v1, v69
	v_fmac_f32_e32 v61, v3, v63
	v_fmac_f32_e32 v53, v3, v55
	v_mul_f32_e32 v37, v1, v37
	v_fmac_f32_e32 v29, v2, v30
	v_fmac_f32_e32 v21, v3, v23
	;; [unrolled: 1-line block ×3, first 2 shown]
	s_wait_loadcnt 0x1
	v_dual_mul_f32 v129, v1, v129 :: v_dual_add_nc_u32 v136, 4, v136
	v_dual_fmac_f32 v93, v2, v94 :: v_dual_add_f32 v152, v152, v85
	v_fmac_f32_e32 v69, v2, v70
	v_fmac_f32_e32 v61, v4, v64
	;; [unrolled: 1-line block ×3, first 2 shown]
	v_mul_f32_e32 v45, v1, v45
	v_fmac_f32_e32 v53, v4, v56
	v_fmac_f32_e32 v113, v2, v114
	;; [unrolled: 1-line block ×6, first 2 shown]
	v_mul_f32_e32 v9, v1, v9
	v_fmac_f32_e32 v5, v4, v8
	v_dual_mul_f32 v125, v1, v125 :: v_dual_add_nc_u32 v174, 0x100, v174
	v_mul_f32_e32 v117, v1, v117
	v_mul_f32_e32 v109, v1, v109
	;; [unrolled: 1-line block ×5, first 2 shown]
	v_fmac_f32_e32 v93, v3, v95
	v_mul_f32_e32 v77, v1, v77
	v_mul_f32_e32 v73, v1, v73
	;; [unrolled: 1-line block ×3, first 2 shown]
	v_fmac_f32_e32 v69, v3, v71
	v_mul_f32_e32 v57, v1, v57
	v_dual_add_f32 v158, v158, v61 :: v_dual_fmac_f32 v121, v4, v124
	v_add_f32_e32 v170, v170, v5
	v_fmac_f32_e32 v129, v2, v130
	v_mul_f32_e32 v49, v1, v49
	v_mul_f32_e32 v41, v1, v41
	v_dual_fmac_f32 v45, v2, v46 :: v_dual_add_f32 v160, v160, v53
	v_mul_f32_e32 v33, v1, v33
	v_mul_f32_e32 v25, v1, v25
	v_fmac_f32_e32 v37, v3, v39
	v_fmac_f32_e32 v29, v4, v32
	;; [unrolled: 1-line block ×3, first 2 shown]
	v_mul_f32_e32 v17, v1, v17
	v_dual_add_f32 v168, v168, v21 :: v_dual_fmac_f32 v105, v3, v107
	v_mul_f32_e32 v13, v1, v13
	s_wait_loadcnt 0x0
	v_mul_f32_e32 v1, v1, v101
	v_dual_fmac_f32 v9, v2, v10 :: v_dual_add_f32 v144, v144, v121
	v_fmac_f32_e32 v105, v4, v108
	v_fmac_f32_e32 v125, v2, v126
	;; [unrolled: 1-line block ×19, first 2 shown]
	v_dual_add_f32 v166, v166, v29 :: v_dual_fmac_f32 v113, v4, v116
	v_fmac_f32_e32 v129, v3, v131
	v_fmac_f32_e32 v17, v2, v18
	;; [unrolled: 1-line block ×4, first 2 shown]
	v_dual_fmac_f32 v9, v3, v11 :: v_dual_add_f32 v146, v146, v113
	v_dual_fmac_f32 v129, v4, v132 :: v_dual_add_f32 v150, v150, v93
	v_dual_add_f32 v148, v148, v105 :: v_dual_fmac_f32 v125, v3, v127
	v_fmac_f32_e32 v97, v3, v99
	v_fmac_f32_e32 v89, v3, v91
	;; [unrolled: 1-line block ×5, first 2 shown]
	v_dual_fmac_f32 v65, v3, v67 :: v_dual_add_f32 v156, v156, v69
	v_fmac_f32_e32 v57, v3, v59
	v_fmac_f32_e32 v49, v3, v51
	;; [unrolled: 1-line block ×6, first 2 shown]
	v_dual_fmac_f32 v25, v3, v27 :: v_dual_add_f32 v164, v164, v37
	v_fmac_f32_e32 v17, v3, v19
	v_fmac_f32_e32 v13, v3, v15
	;; [unrolled: 1-line block ×4, first 2 shown]
	v_dual_fmac_f32 v109, v3, v111 :: v_dual_add_f32 v142, v142, v129
	v_fmac_f32_e32 v97, v4, v100
	v_fmac_f32_e32 v89, v4, v92
	;; [unrolled: 1-line block ×9, first 2 shown]
	v_dual_fmac_f32 v41, v4, v44 :: v_dual_add_f32 v162, v162, v45
	v_fmac_f32_e32 v117, v4, v120
	v_fmac_f32_e32 v33, v4, v36
	;; [unrolled: 1-line block ×6, first 2 shown]
	v_add_f32_e32 v172, v172, v9
	v_fmac_f32_e32 v109, v4, v112
	v_cmp_le_i32_e32 vcc_lo, s13, v136
	v_add_co_u32 v133, s0, v133, 16
	v_add_f32_e32 v145, v145, v117
	s_delay_alu instid0(VALU_DEP_4)
	v_add_f32_e32 v147, v147, v109
	v_add_f32_e32 v149, v149, v97
	;; [unrolled: 1-line block ×16, first 2 shown]
	v_add_nc_u32_e32 v173, 64, v173
	s_wait_alu 0xf1ff
	v_add_co_ci_u32_e64 v134, null, 0, v134, s0
	s_or_b32 s5, vcc_lo, s5
	s_wait_alu 0xfffe
	s_and_not1_b32 exec_lo, exec_lo, s5
	s_cbranch_execz .LBB44_97
.LBB44_33:                              ; =>This Inner Loop Header: Depth=1
	global_load_b32 v1, v[133:134], off
	v_add_nc_u32_e32 v177, -3, v173
	v_add_nc_u32_e32 v179, -2, v173
	v_add_nc_u32_e32 v178, -1, v173
	s_wait_loadcnt 0x0
	v_mad_co_i64_i32 v[1:2], null, v1, s4, 0
	s_delay_alu instid0(VALU_DEP_1) | instskip(SKIP_1) | instid1(VALU_DEP_1)
	v_lshlrev_b64_e32 v[1:2], 2, v[1:2]
	s_wait_alu 0xfffe
	v_add_co_u32 v103, vcc_lo, s2, v1
	s_wait_alu 0xfffd
	s_delay_alu instid0(VALU_DEP_2)
	v_add_co_ci_u32_e64 v104, null, s3, v2, vcc_lo
	ds_load_b128 v[1:4], v174
	v_add_co_u32 v101, vcc_lo, v103, v175
	s_wait_alu 0xfffd
	v_add_co_ci_u32_e64 v102, null, 0, v104, vcc_lo
	v_cmp_eq_u32_e32 vcc_lo, s6, v136
	global_load_b128 v[5:8], v[101:102], off
	s_and_saveexec_b32 s7, vcc_lo
	s_cbranch_execnz .LBB44_67
; %bb.34:                               ;   in Loop: Header=BB44_33 Depth=1
	s_wait_alu 0xfffe
	s_or_b32 exec_lo, exec_lo, s7
	global_load_b128 v[9:12], v[101:102], off offset:512
	s_and_saveexec_b32 s7, vcc_lo
	s_cbranch_execnz .LBB44_68
.LBB44_35:                              ;   in Loop: Header=BB44_33 Depth=1
	s_wait_alu 0xfffe
	s_or_b32 exec_lo, exec_lo, s7
	global_load_b128 v[13:16], v[101:102], off offset:1024
	s_and_saveexec_b32 s7, vcc_lo
	s_cbranch_execnz .LBB44_69
.LBB44_36:                              ;   in Loop: Header=BB44_33 Depth=1
	s_wait_alu 0xfffe
	s_or_b32 exec_lo, exec_lo, s7
	global_load_b128 v[17:20], v[101:102], off offset:1536
	s_and_saveexec_b32 s7, vcc_lo
	s_cbranch_execnz .LBB44_70
.LBB44_37:                              ;   in Loop: Header=BB44_33 Depth=1
	s_wait_alu 0xfffe
	s_or_b32 exec_lo, exec_lo, s7
	global_load_b128 v[21:24], v[101:102], off offset:2048
	s_and_saveexec_b32 s7, vcc_lo
	s_cbranch_execnz .LBB44_71
.LBB44_38:                              ;   in Loop: Header=BB44_33 Depth=1
	s_wait_alu 0xfffe
	s_or_b32 exec_lo, exec_lo, s7
	global_load_b128 v[25:28], v[101:102], off offset:2560
	s_and_saveexec_b32 s7, vcc_lo
	s_cbranch_execnz .LBB44_72
.LBB44_39:                              ;   in Loop: Header=BB44_33 Depth=1
	s_wait_alu 0xfffe
	s_or_b32 exec_lo, exec_lo, s7
	global_load_b128 v[29:32], v[101:102], off offset:3072
	s_and_saveexec_b32 s7, vcc_lo
	s_cbranch_execnz .LBB44_73
.LBB44_40:                              ;   in Loop: Header=BB44_33 Depth=1
	s_wait_alu 0xfffe
	s_or_b32 exec_lo, exec_lo, s7
	global_load_b128 v[33:36], v[101:102], off offset:3584
	s_and_saveexec_b32 s7, vcc_lo
	s_cbranch_execnz .LBB44_74
.LBB44_41:                              ;   in Loop: Header=BB44_33 Depth=1
	s_wait_alu 0xfffe
	s_or_b32 exec_lo, exec_lo, s7
	global_load_b128 v[37:40], v[101:102], off offset:4096
	s_and_saveexec_b32 s7, vcc_lo
	s_cbranch_execnz .LBB44_75
.LBB44_42:                              ;   in Loop: Header=BB44_33 Depth=1
	s_wait_alu 0xfffe
	s_or_b32 exec_lo, exec_lo, s7
	global_load_b128 v[41:44], v[101:102], off offset:4608
	s_and_saveexec_b32 s7, vcc_lo
	s_cbranch_execnz .LBB44_76
.LBB44_43:                              ;   in Loop: Header=BB44_33 Depth=1
	s_wait_alu 0xfffe
	s_or_b32 exec_lo, exec_lo, s7
	global_load_b128 v[45:48], v[101:102], off offset:5120
	s_and_saveexec_b32 s7, vcc_lo
	s_cbranch_execnz .LBB44_77
.LBB44_44:                              ;   in Loop: Header=BB44_33 Depth=1
	s_wait_alu 0xfffe
	s_or_b32 exec_lo, exec_lo, s7
	global_load_b128 v[49:52], v[101:102], off offset:5632
	s_and_saveexec_b32 s7, vcc_lo
	s_cbranch_execnz .LBB44_78
.LBB44_45:                              ;   in Loop: Header=BB44_33 Depth=1
	s_wait_alu 0xfffe
	s_or_b32 exec_lo, exec_lo, s7
	global_load_b128 v[53:56], v[101:102], off offset:6144
	s_and_saveexec_b32 s7, vcc_lo
	s_cbranch_execnz .LBB44_79
.LBB44_46:                              ;   in Loop: Header=BB44_33 Depth=1
	s_wait_alu 0xfffe
	s_or_b32 exec_lo, exec_lo, s7
	global_load_b128 v[57:60], v[101:102], off offset:6656
	s_and_saveexec_b32 s7, vcc_lo
	s_cbranch_execnz .LBB44_80
.LBB44_47:                              ;   in Loop: Header=BB44_33 Depth=1
	s_wait_alu 0xfffe
	s_or_b32 exec_lo, exec_lo, s7
	global_load_b128 v[61:64], v[101:102], off offset:7168
	s_and_saveexec_b32 s7, vcc_lo
	s_cbranch_execnz .LBB44_81
.LBB44_48:                              ;   in Loop: Header=BB44_33 Depth=1
	s_wait_alu 0xfffe
	s_or_b32 exec_lo, exec_lo, s7
	global_load_b128 v[65:68], v[101:102], off offset:7680
	s_and_saveexec_b32 s7, vcc_lo
	s_cbranch_execnz .LBB44_82
.LBB44_49:                              ;   in Loop: Header=BB44_33 Depth=1
	s_wait_alu 0xfffe
	s_or_b32 exec_lo, exec_lo, s7
	global_load_b128 v[69:72], v[101:102], off offset:8192
	s_and_saveexec_b32 s7, vcc_lo
	s_cbranch_execnz .LBB44_83
.LBB44_50:                              ;   in Loop: Header=BB44_33 Depth=1
	s_wait_alu 0xfffe
	s_or_b32 exec_lo, exec_lo, s7
	global_load_b128 v[73:76], v[101:102], off offset:8704
	s_and_saveexec_b32 s7, vcc_lo
	s_cbranch_execnz .LBB44_84
.LBB44_51:                              ;   in Loop: Header=BB44_33 Depth=1
	s_wait_alu 0xfffe
	s_or_b32 exec_lo, exec_lo, s7
	global_load_b128 v[77:80], v[101:102], off offset:9216
	s_and_saveexec_b32 s7, vcc_lo
	s_cbranch_execnz .LBB44_85
.LBB44_52:                              ;   in Loop: Header=BB44_33 Depth=1
	s_wait_alu 0xfffe
	s_or_b32 exec_lo, exec_lo, s7
	global_load_b128 v[81:84], v[101:102], off offset:9728
	s_and_saveexec_b32 s7, vcc_lo
	s_cbranch_execnz .LBB44_86
.LBB44_53:                              ;   in Loop: Header=BB44_33 Depth=1
	s_wait_alu 0xfffe
	s_or_b32 exec_lo, exec_lo, s7
	global_load_b128 v[85:88], v[101:102], off offset:10240
	s_and_saveexec_b32 s7, vcc_lo
	s_cbranch_execnz .LBB44_87
.LBB44_54:                              ;   in Loop: Header=BB44_33 Depth=1
	s_wait_alu 0xfffe
	s_or_b32 exec_lo, exec_lo, s7
	global_load_b128 v[89:92], v[101:102], off offset:10752
	s_and_saveexec_b32 s7, vcc_lo
	s_cbranch_execnz .LBB44_88
.LBB44_55:                              ;   in Loop: Header=BB44_33 Depth=1
	s_wait_alu 0xfffe
	s_or_b32 exec_lo, exec_lo, s7
	global_load_b128 v[93:96], v[101:102], off offset:11264
	s_and_saveexec_b32 s7, vcc_lo
	s_cbranch_execnz .LBB44_89
.LBB44_56:                              ;   in Loop: Header=BB44_33 Depth=1
	s_wait_alu 0xfffe
	s_or_b32 exec_lo, exec_lo, s7
	global_load_b128 v[97:100], v[101:102], off offset:11776
	s_and_saveexec_b32 s7, vcc_lo
	s_cbranch_execnz .LBB44_90
.LBB44_57:                              ;   in Loop: Header=BB44_33 Depth=1
	s_wait_alu 0xfffe
	s_or_b32 exec_lo, exec_lo, s7
	global_load_b128 v[105:108], v[101:102], off offset:12288
	s_and_saveexec_b32 s7, vcc_lo
	s_cbranch_execnz .LBB44_91
.LBB44_58:                              ;   in Loop: Header=BB44_33 Depth=1
	s_wait_alu 0xfffe
	s_or_b32 exec_lo, exec_lo, s7
	global_load_b128 v[109:112], v[101:102], off offset:12800
	s_and_saveexec_b32 s7, vcc_lo
	s_cbranch_execnz .LBB44_92
.LBB44_59:                              ;   in Loop: Header=BB44_33 Depth=1
	s_wait_alu 0xfffe
	s_or_b32 exec_lo, exec_lo, s7
	global_load_b128 v[113:116], v[101:102], off offset:13312
	s_and_saveexec_b32 s7, vcc_lo
	s_cbranch_execnz .LBB44_93
.LBB44_60:                              ;   in Loop: Header=BB44_33 Depth=1
	s_wait_alu 0xfffe
	s_or_b32 exec_lo, exec_lo, s7
	global_load_b128 v[117:120], v[101:102], off offset:13824
	s_and_saveexec_b32 s7, vcc_lo
	s_cbranch_execnz .LBB44_94
.LBB44_61:                              ;   in Loop: Header=BB44_33 Depth=1
	s_wait_alu 0xfffe
	s_or_b32 exec_lo, exec_lo, s7
	global_load_b128 v[121:124], v[101:102], off offset:14336
	s_and_saveexec_b32 s7, vcc_lo
	s_cbranch_execnz .LBB44_95
.LBB44_62:                              ;   in Loop: Header=BB44_33 Depth=1
	s_wait_alu 0xfffe
	s_or_b32 exec_lo, exec_lo, s7
	global_load_b128 v[125:128], v[101:102], off offset:14848
	s_and_saveexec_b32 s7, vcc_lo
	s_cbranch_execnz .LBB44_96
.LBB44_63:                              ;   in Loop: Header=BB44_33 Depth=1
	s_wait_alu 0xfffe
	s_or_b32 exec_lo, exec_lo, s7
	global_load_b128 v[129:132], v[101:102], off offset:15360
	s_and_saveexec_b32 s7, vcc_lo
	s_cbranch_execz .LBB44_65
.LBB44_64:                              ;   in Loop: Header=BB44_33 Depth=1
	v_cmp_gt_i32_e64 s0, s25, v177
	s_wait_loadcnt 0x0
	s_wait_alu 0xf1ff
	s_delay_alu instid0(VALU_DEP_1) | instskip(SKIP_2) | instid1(VALU_DEP_1)
	v_cndmask_b32_e64 v129, 0, v129, s0
	v_cmp_gt_i32_e64 s0, s25, v179
	s_wait_alu 0xf1ff
	v_cndmask_b32_e64 v130, 0, v130, s0
	v_cmp_gt_i32_e64 s0, s25, v178
	s_wait_alu 0xf1ff
	s_delay_alu instid0(VALU_DEP_1) | instskip(SKIP_2) | instid1(VALU_DEP_1)
	v_cndmask_b32_e64 v131, 0, v131, s0
	v_cmp_gt_i32_e64 s0, s25, v173
	s_wait_alu 0xf1ff
	v_cndmask_b32_e64 v132, 0, v132, s0
.LBB44_65:                              ;   in Loop: Header=BB44_33 Depth=1
	s_wait_alu 0xfffe
	s_or_b32 exec_lo, exec_lo, s7
	v_add_co_u32 v101, s0, v103, v176
	s_wait_alu 0xf1ff
	v_add_co_ci_u32_e64 v102, null, 0, v104, s0
	global_load_b128 v[101:104], v[101:102], off
	s_and_saveexec_b32 s0, vcc_lo
	s_cbranch_execz .LBB44_32
; %bb.66:                               ;   in Loop: Header=BB44_33 Depth=1
	v_cmp_gt_i32_e32 vcc_lo, s25, v177
	s_wait_loadcnt 0x0
	s_wait_alu 0xfffd
	v_cndmask_b32_e32 v101, 0, v101, vcc_lo
	v_cmp_gt_i32_e32 vcc_lo, s25, v179
	s_wait_alu 0xfffd
	v_cndmask_b32_e32 v102, 0, v102, vcc_lo
	v_cmp_gt_i32_e32 vcc_lo, s25, v178
	s_wait_alu 0xfffd
	v_cndmask_b32_e32 v103, 0, v103, vcc_lo
	v_cmp_gt_i32_e32 vcc_lo, s25, v173
	s_wait_alu 0xfffd
	v_cndmask_b32_e32 v104, 0, v104, vcc_lo
	s_branch .LBB44_32
.LBB44_67:                              ;   in Loop: Header=BB44_33 Depth=1
	v_cmp_gt_i32_e64 s0, s25, v177
	s_wait_loadcnt 0x0
	s_wait_alu 0xf1ff
	s_delay_alu instid0(VALU_DEP_1) | instskip(SKIP_2) | instid1(VALU_DEP_1)
	v_cndmask_b32_e64 v5, 0, v5, s0
	v_cmp_gt_i32_e64 s0, s25, v179
	s_wait_alu 0xf1ff
	v_cndmask_b32_e64 v6, 0, v6, s0
	v_cmp_gt_i32_e64 s0, s25, v178
	s_wait_alu 0xf1ff
	s_delay_alu instid0(VALU_DEP_1) | instskip(SKIP_2) | instid1(VALU_DEP_1)
	v_cndmask_b32_e64 v7, 0, v7, s0
	v_cmp_gt_i32_e64 s0, s25, v173
	s_wait_alu 0xf1ff
	v_cndmask_b32_e64 v8, 0, v8, s0
	s_wait_alu 0xfffe
	s_or_b32 exec_lo, exec_lo, s7
	global_load_b128 v[9:12], v[101:102], off offset:512
	s_and_saveexec_b32 s7, vcc_lo
	s_cbranch_execz .LBB44_35
.LBB44_68:                              ;   in Loop: Header=BB44_33 Depth=1
	v_cmp_gt_i32_e64 s0, s25, v177
	s_wait_loadcnt 0x0
	s_wait_alu 0xf1ff
	s_delay_alu instid0(VALU_DEP_1) | instskip(SKIP_2) | instid1(VALU_DEP_1)
	v_cndmask_b32_e64 v9, 0, v9, s0
	v_cmp_gt_i32_e64 s0, s25, v179
	s_wait_alu 0xf1ff
	v_cndmask_b32_e64 v10, 0, v10, s0
	v_cmp_gt_i32_e64 s0, s25, v178
	s_wait_alu 0xf1ff
	s_delay_alu instid0(VALU_DEP_1) | instskip(SKIP_2) | instid1(VALU_DEP_1)
	v_cndmask_b32_e64 v11, 0, v11, s0
	v_cmp_gt_i32_e64 s0, s25, v173
	s_wait_alu 0xf1ff
	v_cndmask_b32_e64 v12, 0, v12, s0
	s_wait_alu 0xfffe
	s_or_b32 exec_lo, exec_lo, s7
	global_load_b128 v[13:16], v[101:102], off offset:1024
	s_and_saveexec_b32 s7, vcc_lo
	s_cbranch_execz .LBB44_36
.LBB44_69:                              ;   in Loop: Header=BB44_33 Depth=1
	v_cmp_gt_i32_e64 s0, s25, v177
	s_wait_loadcnt 0x0
	s_wait_alu 0xf1ff
	s_delay_alu instid0(VALU_DEP_1) | instskip(SKIP_2) | instid1(VALU_DEP_1)
	v_cndmask_b32_e64 v13, 0, v13, s0
	v_cmp_gt_i32_e64 s0, s25, v179
	s_wait_alu 0xf1ff
	v_cndmask_b32_e64 v14, 0, v14, s0
	v_cmp_gt_i32_e64 s0, s25, v178
	s_wait_alu 0xf1ff
	s_delay_alu instid0(VALU_DEP_1) | instskip(SKIP_2) | instid1(VALU_DEP_1)
	v_cndmask_b32_e64 v15, 0, v15, s0
	v_cmp_gt_i32_e64 s0, s25, v173
	s_wait_alu 0xf1ff
	v_cndmask_b32_e64 v16, 0, v16, s0
	s_wait_alu 0xfffe
	s_or_b32 exec_lo, exec_lo, s7
	global_load_b128 v[17:20], v[101:102], off offset:1536
	s_and_saveexec_b32 s7, vcc_lo
	s_cbranch_execz .LBB44_37
.LBB44_70:                              ;   in Loop: Header=BB44_33 Depth=1
	v_cmp_gt_i32_e64 s0, s25, v177
	s_wait_loadcnt 0x0
	s_wait_alu 0xf1ff
	s_delay_alu instid0(VALU_DEP_1) | instskip(SKIP_2) | instid1(VALU_DEP_1)
	v_cndmask_b32_e64 v17, 0, v17, s0
	v_cmp_gt_i32_e64 s0, s25, v179
	s_wait_alu 0xf1ff
	v_cndmask_b32_e64 v18, 0, v18, s0
	v_cmp_gt_i32_e64 s0, s25, v178
	s_wait_alu 0xf1ff
	s_delay_alu instid0(VALU_DEP_1) | instskip(SKIP_2) | instid1(VALU_DEP_1)
	v_cndmask_b32_e64 v19, 0, v19, s0
	v_cmp_gt_i32_e64 s0, s25, v173
	s_wait_alu 0xf1ff
	v_cndmask_b32_e64 v20, 0, v20, s0
	s_wait_alu 0xfffe
	s_or_b32 exec_lo, exec_lo, s7
	global_load_b128 v[21:24], v[101:102], off offset:2048
	s_and_saveexec_b32 s7, vcc_lo
	s_cbranch_execz .LBB44_38
.LBB44_71:                              ;   in Loop: Header=BB44_33 Depth=1
	v_cmp_gt_i32_e64 s0, s25, v177
	s_wait_loadcnt 0x0
	s_wait_alu 0xf1ff
	s_delay_alu instid0(VALU_DEP_1) | instskip(SKIP_2) | instid1(VALU_DEP_1)
	v_cndmask_b32_e64 v21, 0, v21, s0
	v_cmp_gt_i32_e64 s0, s25, v179
	s_wait_alu 0xf1ff
	v_cndmask_b32_e64 v22, 0, v22, s0
	v_cmp_gt_i32_e64 s0, s25, v178
	s_wait_alu 0xf1ff
	s_delay_alu instid0(VALU_DEP_1) | instskip(SKIP_2) | instid1(VALU_DEP_1)
	v_cndmask_b32_e64 v23, 0, v23, s0
	v_cmp_gt_i32_e64 s0, s25, v173
	s_wait_alu 0xf1ff
	v_cndmask_b32_e64 v24, 0, v24, s0
	s_wait_alu 0xfffe
	s_or_b32 exec_lo, exec_lo, s7
	global_load_b128 v[25:28], v[101:102], off offset:2560
	s_and_saveexec_b32 s7, vcc_lo
	s_cbranch_execz .LBB44_39
.LBB44_72:                              ;   in Loop: Header=BB44_33 Depth=1
	v_cmp_gt_i32_e64 s0, s25, v177
	s_wait_loadcnt 0x0
	s_wait_alu 0xf1ff
	s_delay_alu instid0(VALU_DEP_1) | instskip(SKIP_2) | instid1(VALU_DEP_1)
	v_cndmask_b32_e64 v25, 0, v25, s0
	v_cmp_gt_i32_e64 s0, s25, v179
	s_wait_alu 0xf1ff
	v_cndmask_b32_e64 v26, 0, v26, s0
	v_cmp_gt_i32_e64 s0, s25, v178
	s_wait_alu 0xf1ff
	s_delay_alu instid0(VALU_DEP_1) | instskip(SKIP_2) | instid1(VALU_DEP_1)
	v_cndmask_b32_e64 v27, 0, v27, s0
	v_cmp_gt_i32_e64 s0, s25, v173
	s_wait_alu 0xf1ff
	v_cndmask_b32_e64 v28, 0, v28, s0
	s_wait_alu 0xfffe
	s_or_b32 exec_lo, exec_lo, s7
	global_load_b128 v[29:32], v[101:102], off offset:3072
	s_and_saveexec_b32 s7, vcc_lo
	s_cbranch_execz .LBB44_40
.LBB44_73:                              ;   in Loop: Header=BB44_33 Depth=1
	v_cmp_gt_i32_e64 s0, s25, v177
	s_wait_loadcnt 0x0
	s_wait_alu 0xf1ff
	s_delay_alu instid0(VALU_DEP_1) | instskip(SKIP_2) | instid1(VALU_DEP_1)
	v_cndmask_b32_e64 v29, 0, v29, s0
	v_cmp_gt_i32_e64 s0, s25, v179
	s_wait_alu 0xf1ff
	v_cndmask_b32_e64 v30, 0, v30, s0
	v_cmp_gt_i32_e64 s0, s25, v178
	s_wait_alu 0xf1ff
	s_delay_alu instid0(VALU_DEP_1) | instskip(SKIP_2) | instid1(VALU_DEP_1)
	v_cndmask_b32_e64 v31, 0, v31, s0
	v_cmp_gt_i32_e64 s0, s25, v173
	s_wait_alu 0xf1ff
	v_cndmask_b32_e64 v32, 0, v32, s0
	s_wait_alu 0xfffe
	s_or_b32 exec_lo, exec_lo, s7
	global_load_b128 v[33:36], v[101:102], off offset:3584
	s_and_saveexec_b32 s7, vcc_lo
	s_cbranch_execz .LBB44_41
.LBB44_74:                              ;   in Loop: Header=BB44_33 Depth=1
	v_cmp_gt_i32_e64 s0, s25, v177
	s_wait_loadcnt 0x0
	s_wait_alu 0xf1ff
	s_delay_alu instid0(VALU_DEP_1) | instskip(SKIP_2) | instid1(VALU_DEP_1)
	v_cndmask_b32_e64 v33, 0, v33, s0
	v_cmp_gt_i32_e64 s0, s25, v179
	s_wait_alu 0xf1ff
	v_cndmask_b32_e64 v34, 0, v34, s0
	v_cmp_gt_i32_e64 s0, s25, v178
	s_wait_alu 0xf1ff
	s_delay_alu instid0(VALU_DEP_1) | instskip(SKIP_2) | instid1(VALU_DEP_1)
	v_cndmask_b32_e64 v35, 0, v35, s0
	v_cmp_gt_i32_e64 s0, s25, v173
	s_wait_alu 0xf1ff
	v_cndmask_b32_e64 v36, 0, v36, s0
	s_wait_alu 0xfffe
	s_or_b32 exec_lo, exec_lo, s7
	global_load_b128 v[37:40], v[101:102], off offset:4096
	s_and_saveexec_b32 s7, vcc_lo
	s_cbranch_execz .LBB44_42
.LBB44_75:                              ;   in Loop: Header=BB44_33 Depth=1
	v_cmp_gt_i32_e64 s0, s25, v177
	s_wait_loadcnt 0x0
	s_wait_alu 0xf1ff
	s_delay_alu instid0(VALU_DEP_1) | instskip(SKIP_2) | instid1(VALU_DEP_1)
	v_cndmask_b32_e64 v37, 0, v37, s0
	v_cmp_gt_i32_e64 s0, s25, v179
	s_wait_alu 0xf1ff
	v_cndmask_b32_e64 v38, 0, v38, s0
	v_cmp_gt_i32_e64 s0, s25, v178
	s_wait_alu 0xf1ff
	s_delay_alu instid0(VALU_DEP_1) | instskip(SKIP_2) | instid1(VALU_DEP_1)
	v_cndmask_b32_e64 v39, 0, v39, s0
	v_cmp_gt_i32_e64 s0, s25, v173
	s_wait_alu 0xf1ff
	v_cndmask_b32_e64 v40, 0, v40, s0
	s_wait_alu 0xfffe
	s_or_b32 exec_lo, exec_lo, s7
	global_load_b128 v[41:44], v[101:102], off offset:4608
	s_and_saveexec_b32 s7, vcc_lo
	s_cbranch_execz .LBB44_43
.LBB44_76:                              ;   in Loop: Header=BB44_33 Depth=1
	v_cmp_gt_i32_e64 s0, s25, v177
	s_wait_loadcnt 0x0
	s_wait_alu 0xf1ff
	s_delay_alu instid0(VALU_DEP_1) | instskip(SKIP_2) | instid1(VALU_DEP_1)
	v_cndmask_b32_e64 v41, 0, v41, s0
	v_cmp_gt_i32_e64 s0, s25, v179
	s_wait_alu 0xf1ff
	v_cndmask_b32_e64 v42, 0, v42, s0
	v_cmp_gt_i32_e64 s0, s25, v178
	s_wait_alu 0xf1ff
	s_delay_alu instid0(VALU_DEP_1) | instskip(SKIP_2) | instid1(VALU_DEP_1)
	v_cndmask_b32_e64 v43, 0, v43, s0
	v_cmp_gt_i32_e64 s0, s25, v173
	s_wait_alu 0xf1ff
	v_cndmask_b32_e64 v44, 0, v44, s0
	s_wait_alu 0xfffe
	s_or_b32 exec_lo, exec_lo, s7
	global_load_b128 v[45:48], v[101:102], off offset:5120
	s_and_saveexec_b32 s7, vcc_lo
	s_cbranch_execz .LBB44_44
.LBB44_77:                              ;   in Loop: Header=BB44_33 Depth=1
	v_cmp_gt_i32_e64 s0, s25, v177
	s_wait_loadcnt 0x0
	s_wait_alu 0xf1ff
	s_delay_alu instid0(VALU_DEP_1) | instskip(SKIP_2) | instid1(VALU_DEP_1)
	v_cndmask_b32_e64 v45, 0, v45, s0
	v_cmp_gt_i32_e64 s0, s25, v179
	s_wait_alu 0xf1ff
	v_cndmask_b32_e64 v46, 0, v46, s0
	v_cmp_gt_i32_e64 s0, s25, v178
	s_wait_alu 0xf1ff
	s_delay_alu instid0(VALU_DEP_1) | instskip(SKIP_2) | instid1(VALU_DEP_1)
	v_cndmask_b32_e64 v47, 0, v47, s0
	v_cmp_gt_i32_e64 s0, s25, v173
	s_wait_alu 0xf1ff
	v_cndmask_b32_e64 v48, 0, v48, s0
	s_wait_alu 0xfffe
	s_or_b32 exec_lo, exec_lo, s7
	global_load_b128 v[49:52], v[101:102], off offset:5632
	s_and_saveexec_b32 s7, vcc_lo
	s_cbranch_execz .LBB44_45
.LBB44_78:                              ;   in Loop: Header=BB44_33 Depth=1
	v_cmp_gt_i32_e64 s0, s25, v177
	s_wait_loadcnt 0x0
	s_wait_alu 0xf1ff
	s_delay_alu instid0(VALU_DEP_1) | instskip(SKIP_2) | instid1(VALU_DEP_1)
	v_cndmask_b32_e64 v49, 0, v49, s0
	v_cmp_gt_i32_e64 s0, s25, v179
	s_wait_alu 0xf1ff
	v_cndmask_b32_e64 v50, 0, v50, s0
	v_cmp_gt_i32_e64 s0, s25, v178
	s_wait_alu 0xf1ff
	s_delay_alu instid0(VALU_DEP_1) | instskip(SKIP_2) | instid1(VALU_DEP_1)
	v_cndmask_b32_e64 v51, 0, v51, s0
	v_cmp_gt_i32_e64 s0, s25, v173
	s_wait_alu 0xf1ff
	v_cndmask_b32_e64 v52, 0, v52, s0
	s_wait_alu 0xfffe
	s_or_b32 exec_lo, exec_lo, s7
	global_load_b128 v[53:56], v[101:102], off offset:6144
	s_and_saveexec_b32 s7, vcc_lo
	s_cbranch_execz .LBB44_46
.LBB44_79:                              ;   in Loop: Header=BB44_33 Depth=1
	v_cmp_gt_i32_e64 s0, s25, v177
	s_wait_loadcnt 0x0
	s_wait_alu 0xf1ff
	s_delay_alu instid0(VALU_DEP_1) | instskip(SKIP_2) | instid1(VALU_DEP_1)
	v_cndmask_b32_e64 v53, 0, v53, s0
	v_cmp_gt_i32_e64 s0, s25, v179
	s_wait_alu 0xf1ff
	v_cndmask_b32_e64 v54, 0, v54, s0
	v_cmp_gt_i32_e64 s0, s25, v178
	s_wait_alu 0xf1ff
	s_delay_alu instid0(VALU_DEP_1) | instskip(SKIP_2) | instid1(VALU_DEP_1)
	v_cndmask_b32_e64 v55, 0, v55, s0
	v_cmp_gt_i32_e64 s0, s25, v173
	s_wait_alu 0xf1ff
	v_cndmask_b32_e64 v56, 0, v56, s0
	s_wait_alu 0xfffe
	s_or_b32 exec_lo, exec_lo, s7
	global_load_b128 v[57:60], v[101:102], off offset:6656
	s_and_saveexec_b32 s7, vcc_lo
	s_cbranch_execz .LBB44_47
.LBB44_80:                              ;   in Loop: Header=BB44_33 Depth=1
	v_cmp_gt_i32_e64 s0, s25, v177
	s_wait_loadcnt 0x0
	s_wait_alu 0xf1ff
	s_delay_alu instid0(VALU_DEP_1) | instskip(SKIP_2) | instid1(VALU_DEP_1)
	v_cndmask_b32_e64 v57, 0, v57, s0
	v_cmp_gt_i32_e64 s0, s25, v179
	s_wait_alu 0xf1ff
	v_cndmask_b32_e64 v58, 0, v58, s0
	v_cmp_gt_i32_e64 s0, s25, v178
	s_wait_alu 0xf1ff
	s_delay_alu instid0(VALU_DEP_1) | instskip(SKIP_2) | instid1(VALU_DEP_1)
	v_cndmask_b32_e64 v59, 0, v59, s0
	v_cmp_gt_i32_e64 s0, s25, v173
	s_wait_alu 0xf1ff
	v_cndmask_b32_e64 v60, 0, v60, s0
	s_wait_alu 0xfffe
	s_or_b32 exec_lo, exec_lo, s7
	global_load_b128 v[61:64], v[101:102], off offset:7168
	s_and_saveexec_b32 s7, vcc_lo
	s_cbranch_execz .LBB44_48
.LBB44_81:                              ;   in Loop: Header=BB44_33 Depth=1
	v_cmp_gt_i32_e64 s0, s25, v177
	s_wait_loadcnt 0x0
	s_wait_alu 0xf1ff
	s_delay_alu instid0(VALU_DEP_1) | instskip(SKIP_2) | instid1(VALU_DEP_1)
	v_cndmask_b32_e64 v61, 0, v61, s0
	v_cmp_gt_i32_e64 s0, s25, v179
	s_wait_alu 0xf1ff
	v_cndmask_b32_e64 v62, 0, v62, s0
	v_cmp_gt_i32_e64 s0, s25, v178
	s_wait_alu 0xf1ff
	s_delay_alu instid0(VALU_DEP_1) | instskip(SKIP_2) | instid1(VALU_DEP_1)
	v_cndmask_b32_e64 v63, 0, v63, s0
	v_cmp_gt_i32_e64 s0, s25, v173
	s_wait_alu 0xf1ff
	v_cndmask_b32_e64 v64, 0, v64, s0
	s_wait_alu 0xfffe
	s_or_b32 exec_lo, exec_lo, s7
	global_load_b128 v[65:68], v[101:102], off offset:7680
	s_and_saveexec_b32 s7, vcc_lo
	s_cbranch_execz .LBB44_49
.LBB44_82:                              ;   in Loop: Header=BB44_33 Depth=1
	v_cmp_gt_i32_e64 s0, s25, v177
	s_wait_loadcnt 0x0
	s_wait_alu 0xf1ff
	s_delay_alu instid0(VALU_DEP_1) | instskip(SKIP_2) | instid1(VALU_DEP_1)
	v_cndmask_b32_e64 v65, 0, v65, s0
	v_cmp_gt_i32_e64 s0, s25, v179
	s_wait_alu 0xf1ff
	v_cndmask_b32_e64 v66, 0, v66, s0
	v_cmp_gt_i32_e64 s0, s25, v178
	s_wait_alu 0xf1ff
	s_delay_alu instid0(VALU_DEP_1) | instskip(SKIP_2) | instid1(VALU_DEP_1)
	v_cndmask_b32_e64 v67, 0, v67, s0
	v_cmp_gt_i32_e64 s0, s25, v173
	s_wait_alu 0xf1ff
	v_cndmask_b32_e64 v68, 0, v68, s0
	s_wait_alu 0xfffe
	s_or_b32 exec_lo, exec_lo, s7
	global_load_b128 v[69:72], v[101:102], off offset:8192
	s_and_saveexec_b32 s7, vcc_lo
	s_cbranch_execz .LBB44_50
.LBB44_83:                              ;   in Loop: Header=BB44_33 Depth=1
	v_cmp_gt_i32_e64 s0, s25, v177
	s_wait_loadcnt 0x0
	s_wait_alu 0xf1ff
	s_delay_alu instid0(VALU_DEP_1) | instskip(SKIP_2) | instid1(VALU_DEP_1)
	v_cndmask_b32_e64 v69, 0, v69, s0
	v_cmp_gt_i32_e64 s0, s25, v179
	s_wait_alu 0xf1ff
	v_cndmask_b32_e64 v70, 0, v70, s0
	v_cmp_gt_i32_e64 s0, s25, v178
	s_wait_alu 0xf1ff
	s_delay_alu instid0(VALU_DEP_1) | instskip(SKIP_2) | instid1(VALU_DEP_1)
	v_cndmask_b32_e64 v71, 0, v71, s0
	v_cmp_gt_i32_e64 s0, s25, v173
	s_wait_alu 0xf1ff
	v_cndmask_b32_e64 v72, 0, v72, s0
	s_wait_alu 0xfffe
	s_or_b32 exec_lo, exec_lo, s7
	global_load_b128 v[73:76], v[101:102], off offset:8704
	s_and_saveexec_b32 s7, vcc_lo
	s_cbranch_execz .LBB44_51
.LBB44_84:                              ;   in Loop: Header=BB44_33 Depth=1
	v_cmp_gt_i32_e64 s0, s25, v177
	s_wait_loadcnt 0x0
	s_wait_alu 0xf1ff
	s_delay_alu instid0(VALU_DEP_1) | instskip(SKIP_2) | instid1(VALU_DEP_1)
	v_cndmask_b32_e64 v73, 0, v73, s0
	v_cmp_gt_i32_e64 s0, s25, v179
	s_wait_alu 0xf1ff
	v_cndmask_b32_e64 v74, 0, v74, s0
	v_cmp_gt_i32_e64 s0, s25, v178
	s_wait_alu 0xf1ff
	s_delay_alu instid0(VALU_DEP_1) | instskip(SKIP_2) | instid1(VALU_DEP_1)
	v_cndmask_b32_e64 v75, 0, v75, s0
	v_cmp_gt_i32_e64 s0, s25, v173
	s_wait_alu 0xf1ff
	v_cndmask_b32_e64 v76, 0, v76, s0
	s_wait_alu 0xfffe
	s_or_b32 exec_lo, exec_lo, s7
	global_load_b128 v[77:80], v[101:102], off offset:9216
	s_and_saveexec_b32 s7, vcc_lo
	s_cbranch_execz .LBB44_52
.LBB44_85:                              ;   in Loop: Header=BB44_33 Depth=1
	v_cmp_gt_i32_e64 s0, s25, v177
	s_wait_loadcnt 0x0
	s_wait_alu 0xf1ff
	s_delay_alu instid0(VALU_DEP_1) | instskip(SKIP_2) | instid1(VALU_DEP_1)
	v_cndmask_b32_e64 v77, 0, v77, s0
	v_cmp_gt_i32_e64 s0, s25, v179
	s_wait_alu 0xf1ff
	v_cndmask_b32_e64 v78, 0, v78, s0
	v_cmp_gt_i32_e64 s0, s25, v178
	s_wait_alu 0xf1ff
	s_delay_alu instid0(VALU_DEP_1) | instskip(SKIP_2) | instid1(VALU_DEP_1)
	v_cndmask_b32_e64 v79, 0, v79, s0
	v_cmp_gt_i32_e64 s0, s25, v173
	s_wait_alu 0xf1ff
	v_cndmask_b32_e64 v80, 0, v80, s0
	s_wait_alu 0xfffe
	s_or_b32 exec_lo, exec_lo, s7
	global_load_b128 v[81:84], v[101:102], off offset:9728
	s_and_saveexec_b32 s7, vcc_lo
	s_cbranch_execz .LBB44_53
.LBB44_86:                              ;   in Loop: Header=BB44_33 Depth=1
	v_cmp_gt_i32_e64 s0, s25, v177
	s_wait_loadcnt 0x0
	s_wait_alu 0xf1ff
	s_delay_alu instid0(VALU_DEP_1) | instskip(SKIP_2) | instid1(VALU_DEP_1)
	v_cndmask_b32_e64 v81, 0, v81, s0
	v_cmp_gt_i32_e64 s0, s25, v179
	s_wait_alu 0xf1ff
	v_cndmask_b32_e64 v82, 0, v82, s0
	v_cmp_gt_i32_e64 s0, s25, v178
	s_wait_alu 0xf1ff
	s_delay_alu instid0(VALU_DEP_1) | instskip(SKIP_2) | instid1(VALU_DEP_1)
	v_cndmask_b32_e64 v83, 0, v83, s0
	v_cmp_gt_i32_e64 s0, s25, v173
	s_wait_alu 0xf1ff
	v_cndmask_b32_e64 v84, 0, v84, s0
	s_wait_alu 0xfffe
	s_or_b32 exec_lo, exec_lo, s7
	global_load_b128 v[85:88], v[101:102], off offset:10240
	s_and_saveexec_b32 s7, vcc_lo
	s_cbranch_execz .LBB44_54
.LBB44_87:                              ;   in Loop: Header=BB44_33 Depth=1
	v_cmp_gt_i32_e64 s0, s25, v177
	s_wait_loadcnt 0x0
	s_wait_alu 0xf1ff
	s_delay_alu instid0(VALU_DEP_1) | instskip(SKIP_2) | instid1(VALU_DEP_1)
	v_cndmask_b32_e64 v85, 0, v85, s0
	v_cmp_gt_i32_e64 s0, s25, v179
	s_wait_alu 0xf1ff
	v_cndmask_b32_e64 v86, 0, v86, s0
	v_cmp_gt_i32_e64 s0, s25, v178
	s_wait_alu 0xf1ff
	s_delay_alu instid0(VALU_DEP_1) | instskip(SKIP_2) | instid1(VALU_DEP_1)
	v_cndmask_b32_e64 v87, 0, v87, s0
	v_cmp_gt_i32_e64 s0, s25, v173
	s_wait_alu 0xf1ff
	v_cndmask_b32_e64 v88, 0, v88, s0
	s_wait_alu 0xfffe
	s_or_b32 exec_lo, exec_lo, s7
	global_load_b128 v[89:92], v[101:102], off offset:10752
	s_and_saveexec_b32 s7, vcc_lo
	s_cbranch_execz .LBB44_55
.LBB44_88:                              ;   in Loop: Header=BB44_33 Depth=1
	v_cmp_gt_i32_e64 s0, s25, v177
	s_wait_loadcnt 0x0
	s_wait_alu 0xf1ff
	s_delay_alu instid0(VALU_DEP_1) | instskip(SKIP_2) | instid1(VALU_DEP_1)
	v_cndmask_b32_e64 v89, 0, v89, s0
	v_cmp_gt_i32_e64 s0, s25, v179
	s_wait_alu 0xf1ff
	v_cndmask_b32_e64 v90, 0, v90, s0
	v_cmp_gt_i32_e64 s0, s25, v178
	s_wait_alu 0xf1ff
	s_delay_alu instid0(VALU_DEP_1) | instskip(SKIP_2) | instid1(VALU_DEP_1)
	v_cndmask_b32_e64 v91, 0, v91, s0
	v_cmp_gt_i32_e64 s0, s25, v173
	s_wait_alu 0xf1ff
	v_cndmask_b32_e64 v92, 0, v92, s0
	s_wait_alu 0xfffe
	s_or_b32 exec_lo, exec_lo, s7
	global_load_b128 v[93:96], v[101:102], off offset:11264
	s_and_saveexec_b32 s7, vcc_lo
	s_cbranch_execz .LBB44_56
.LBB44_89:                              ;   in Loop: Header=BB44_33 Depth=1
	v_cmp_gt_i32_e64 s0, s25, v177
	s_wait_loadcnt 0x0
	s_wait_alu 0xf1ff
	s_delay_alu instid0(VALU_DEP_1) | instskip(SKIP_2) | instid1(VALU_DEP_1)
	v_cndmask_b32_e64 v93, 0, v93, s0
	v_cmp_gt_i32_e64 s0, s25, v179
	s_wait_alu 0xf1ff
	v_cndmask_b32_e64 v94, 0, v94, s0
	v_cmp_gt_i32_e64 s0, s25, v178
	s_wait_alu 0xf1ff
	s_delay_alu instid0(VALU_DEP_1) | instskip(SKIP_2) | instid1(VALU_DEP_1)
	v_cndmask_b32_e64 v95, 0, v95, s0
	v_cmp_gt_i32_e64 s0, s25, v173
	s_wait_alu 0xf1ff
	v_cndmask_b32_e64 v96, 0, v96, s0
	s_wait_alu 0xfffe
	s_or_b32 exec_lo, exec_lo, s7
	global_load_b128 v[97:100], v[101:102], off offset:11776
	s_and_saveexec_b32 s7, vcc_lo
	s_cbranch_execz .LBB44_57
.LBB44_90:                              ;   in Loop: Header=BB44_33 Depth=1
	v_cmp_gt_i32_e64 s0, s25, v177
	s_wait_loadcnt 0x0
	s_wait_alu 0xf1ff
	s_delay_alu instid0(VALU_DEP_1) | instskip(SKIP_2) | instid1(VALU_DEP_1)
	v_cndmask_b32_e64 v97, 0, v97, s0
	v_cmp_gt_i32_e64 s0, s25, v179
	s_wait_alu 0xf1ff
	v_cndmask_b32_e64 v98, 0, v98, s0
	v_cmp_gt_i32_e64 s0, s25, v178
	s_wait_alu 0xf1ff
	s_delay_alu instid0(VALU_DEP_1) | instskip(SKIP_2) | instid1(VALU_DEP_1)
	v_cndmask_b32_e64 v99, 0, v99, s0
	v_cmp_gt_i32_e64 s0, s25, v173
	s_wait_alu 0xf1ff
	v_cndmask_b32_e64 v100, 0, v100, s0
	s_wait_alu 0xfffe
	s_or_b32 exec_lo, exec_lo, s7
	global_load_b128 v[105:108], v[101:102], off offset:12288
	s_and_saveexec_b32 s7, vcc_lo
	s_cbranch_execz .LBB44_58
.LBB44_91:                              ;   in Loop: Header=BB44_33 Depth=1
	v_cmp_gt_i32_e64 s0, s25, v177
	s_wait_loadcnt 0x0
	s_wait_alu 0xf1ff
	s_delay_alu instid0(VALU_DEP_1) | instskip(SKIP_2) | instid1(VALU_DEP_1)
	v_cndmask_b32_e64 v105, 0, v105, s0
	v_cmp_gt_i32_e64 s0, s25, v179
	s_wait_alu 0xf1ff
	v_cndmask_b32_e64 v106, 0, v106, s0
	v_cmp_gt_i32_e64 s0, s25, v178
	s_wait_alu 0xf1ff
	s_delay_alu instid0(VALU_DEP_1) | instskip(SKIP_2) | instid1(VALU_DEP_1)
	v_cndmask_b32_e64 v107, 0, v107, s0
	v_cmp_gt_i32_e64 s0, s25, v173
	s_wait_alu 0xf1ff
	v_cndmask_b32_e64 v108, 0, v108, s0
	s_wait_alu 0xfffe
	s_or_b32 exec_lo, exec_lo, s7
	global_load_b128 v[109:112], v[101:102], off offset:12800
	s_and_saveexec_b32 s7, vcc_lo
	s_cbranch_execz .LBB44_59
.LBB44_92:                              ;   in Loop: Header=BB44_33 Depth=1
	v_cmp_gt_i32_e64 s0, s25, v177
	s_wait_loadcnt 0x0
	s_wait_alu 0xf1ff
	s_delay_alu instid0(VALU_DEP_1) | instskip(SKIP_2) | instid1(VALU_DEP_1)
	v_cndmask_b32_e64 v109, 0, v109, s0
	v_cmp_gt_i32_e64 s0, s25, v179
	s_wait_alu 0xf1ff
	v_cndmask_b32_e64 v110, 0, v110, s0
	v_cmp_gt_i32_e64 s0, s25, v178
	s_wait_alu 0xf1ff
	s_delay_alu instid0(VALU_DEP_1) | instskip(SKIP_2) | instid1(VALU_DEP_1)
	v_cndmask_b32_e64 v111, 0, v111, s0
	v_cmp_gt_i32_e64 s0, s25, v173
	s_wait_alu 0xf1ff
	v_cndmask_b32_e64 v112, 0, v112, s0
	s_wait_alu 0xfffe
	s_or_b32 exec_lo, exec_lo, s7
	global_load_b128 v[113:116], v[101:102], off offset:13312
	s_and_saveexec_b32 s7, vcc_lo
	s_cbranch_execz .LBB44_60
.LBB44_93:                              ;   in Loop: Header=BB44_33 Depth=1
	v_cmp_gt_i32_e64 s0, s25, v177
	s_wait_loadcnt 0x0
	s_wait_alu 0xf1ff
	s_delay_alu instid0(VALU_DEP_1) | instskip(SKIP_2) | instid1(VALU_DEP_1)
	v_cndmask_b32_e64 v113, 0, v113, s0
	v_cmp_gt_i32_e64 s0, s25, v179
	s_wait_alu 0xf1ff
	v_cndmask_b32_e64 v114, 0, v114, s0
	v_cmp_gt_i32_e64 s0, s25, v178
	s_wait_alu 0xf1ff
	s_delay_alu instid0(VALU_DEP_1) | instskip(SKIP_2) | instid1(VALU_DEP_1)
	v_cndmask_b32_e64 v115, 0, v115, s0
	v_cmp_gt_i32_e64 s0, s25, v173
	s_wait_alu 0xf1ff
	v_cndmask_b32_e64 v116, 0, v116, s0
	s_wait_alu 0xfffe
	s_or_b32 exec_lo, exec_lo, s7
	global_load_b128 v[117:120], v[101:102], off offset:13824
	s_and_saveexec_b32 s7, vcc_lo
	s_cbranch_execz .LBB44_61
.LBB44_94:                              ;   in Loop: Header=BB44_33 Depth=1
	v_cmp_gt_i32_e64 s0, s25, v177
	s_wait_loadcnt 0x0
	s_wait_alu 0xf1ff
	s_delay_alu instid0(VALU_DEP_1) | instskip(SKIP_2) | instid1(VALU_DEP_1)
	v_cndmask_b32_e64 v117, 0, v117, s0
	v_cmp_gt_i32_e64 s0, s25, v179
	s_wait_alu 0xf1ff
	v_cndmask_b32_e64 v118, 0, v118, s0
	v_cmp_gt_i32_e64 s0, s25, v178
	s_wait_alu 0xf1ff
	s_delay_alu instid0(VALU_DEP_1) | instskip(SKIP_2) | instid1(VALU_DEP_1)
	v_cndmask_b32_e64 v119, 0, v119, s0
	v_cmp_gt_i32_e64 s0, s25, v173
	s_wait_alu 0xf1ff
	v_cndmask_b32_e64 v120, 0, v120, s0
	s_wait_alu 0xfffe
	s_or_b32 exec_lo, exec_lo, s7
	global_load_b128 v[121:124], v[101:102], off offset:14336
	s_and_saveexec_b32 s7, vcc_lo
	s_cbranch_execz .LBB44_62
.LBB44_95:                              ;   in Loop: Header=BB44_33 Depth=1
	v_cmp_gt_i32_e64 s0, s25, v177
	s_wait_loadcnt 0x0
	s_wait_alu 0xf1ff
	s_delay_alu instid0(VALU_DEP_1) | instskip(SKIP_2) | instid1(VALU_DEP_1)
	v_cndmask_b32_e64 v121, 0, v121, s0
	v_cmp_gt_i32_e64 s0, s25, v179
	s_wait_alu 0xf1ff
	v_cndmask_b32_e64 v122, 0, v122, s0
	v_cmp_gt_i32_e64 s0, s25, v178
	s_wait_alu 0xf1ff
	s_delay_alu instid0(VALU_DEP_1) | instskip(SKIP_2) | instid1(VALU_DEP_1)
	v_cndmask_b32_e64 v123, 0, v123, s0
	v_cmp_gt_i32_e64 s0, s25, v173
	s_wait_alu 0xf1ff
	v_cndmask_b32_e64 v124, 0, v124, s0
	s_wait_alu 0xfffe
	s_or_b32 exec_lo, exec_lo, s7
	global_load_b128 v[125:128], v[101:102], off offset:14848
	s_and_saveexec_b32 s7, vcc_lo
	s_cbranch_execz .LBB44_63
.LBB44_96:                              ;   in Loop: Header=BB44_33 Depth=1
	v_cmp_gt_i32_e64 s0, s25, v177
	s_wait_loadcnt 0x0
	s_wait_alu 0xf1ff
	s_delay_alu instid0(VALU_DEP_1) | instskip(SKIP_2) | instid1(VALU_DEP_1)
	v_cndmask_b32_e64 v125, 0, v125, s0
	v_cmp_gt_i32_e64 s0, s25, v179
	s_wait_alu 0xf1ff
	v_cndmask_b32_e64 v126, 0, v126, s0
	v_cmp_gt_i32_e64 s0, s25, v178
	s_wait_alu 0xf1ff
	s_delay_alu instid0(VALU_DEP_1) | instskip(SKIP_2) | instid1(VALU_DEP_1)
	v_cndmask_b32_e64 v127, 0, v127, s0
	v_cmp_gt_i32_e64 s0, s25, v173
	s_wait_alu 0xf1ff
	v_cndmask_b32_e64 v128, 0, v128, s0
	s_wait_alu 0xfffe
	s_or_b32 exec_lo, exec_lo, s7
	global_load_b128 v[129:132], v[101:102], off offset:15360
	s_and_saveexec_b32 s7, vcc_lo
	s_cbranch_execnz .LBB44_64
	s_branch .LBB44_65
.LBB44_97:
	s_or_b32 exec_lo, exec_lo, s5
.LBB44_98:
	s_wait_alu 0xfffe
	s_or_b32 exec_lo, exec_lo, s1
	ds_bpermute_b32 v1, v138, v170
	ds_bpermute_b32 v2, v138, v172
	;; [unrolled: 1-line block ×20, first 2 shown]
	s_wait_dscnt 0x12
	v_dual_add_f32 v1, v170, v1 :: v_dual_add_f32 v2, v172, v2
	s_wait_dscnt 0x10
	v_dual_add_f32 v3, v171, v3 :: v_dual_add_f32 v4, v169, v4
	;; [unrolled: 2-line block ×3, first 2 shown]
	s_wait_dscnt 0xd
	v_add_f32_e32 v7, v166, v7
	s_wait_dscnt 0xc
	v_add_f32_e32 v9, v164, v9
	ds_bpermute_b32 v14, v139, v1
	ds_bpermute_b32 v15, v139, v2
	;; [unrolled: 1-line block ×3, first 2 shown]
	s_wait_dscnt 0xe
	v_add_f32_e32 v8, v165, v8
	ds_bpermute_b32 v18, v139, v5
	ds_bpermute_b32 v19, v139, v6
	;; [unrolled: 1-line block ×3, first 2 shown]
	s_wait_dscnt 0x10
	v_add_f32_e32 v10, v163, v10
	ds_bpermute_b32 v22, v139, v9
	ds_bpermute_b32 v17, v139, v4
	s_wait_dscnt 0x10
	v_dual_add_f32 v11, v162, v11 :: v_dual_add_f32 v12, v161, v12
	ds_bpermute_b32 v21, v139, v8
	ds_bpermute_b32 v23, v139, v10
	s_wait_dscnt 0xf
	v_add_f32_e32 v13, v160, v13
	ds_bpermute_b32 v24, v139, v11
	ds_bpermute_b32 v25, v139, v12
	;; [unrolled: 1-line block ×4, first 2 shown]
	s_mov_b32 s0, exec_lo
	s_wait_dscnt 0xc
	v_dual_add_f32 v1, v1, v14 :: v_dual_add_f32 v2, v2, v15
	s_wait_dscnt 0xb
	v_add_f32_e32 v3, v3, v16
	ds_bpermute_b32 v15, v138, v155
	ds_bpermute_b32 v16, v138, v154
	s_wait_dscnt 0xb
	v_dual_add_f32 v5, v5, v18 :: v_dual_add_f32 v6, v6, v19
	s_wait_dscnt 0xa
	v_add_f32_e32 v7, v7, v20
	ds_bpermute_b32 v14, v138, v156
	s_wait_dscnt 0xa
	v_add_f32_e32 v9, v9, v22
	v_dual_add_f32 v18, v159, v26 :: v_dual_add_f32 v19, v158, v27
	ds_bpermute_b32 v20, v138, v153
	ds_bpermute_b32 v22, v138, v152
	;; [unrolled: 1-line block ×3, first 2 shown]
	s_wait_dscnt 0x9
	v_dual_add_f32 v8, v8, v21 :: v_dual_add_f32 v11, v11, v24
	s_wait_dscnt 0x8
	v_dual_add_f32 v12, v12, v25 :: v_dual_add_f32 v21, v157, v28
	ds_bpermute_b32 v24, v138, v151
	ds_bpermute_b32 v25, v139, v19
	v_add_f32_e32 v4, v4, v17
	v_add_f32_e32 v10, v10, v23
	s_wait_dscnt 0x6
	v_dual_add_f32 v29, v155, v15 :: v_dual_add_f32 v30, v154, v16
	ds_bpermute_b32 v15, v138, v148
	ds_bpermute_b32 v16, v138, v147
	;; [unrolled: 1-line block ×3, first 2 shown]
	s_wait_dscnt 0x8
	v_add_f32_e32 v28, v156, v14
	ds_bpermute_b32 v14, v138, v149
	ds_bpermute_b32 v35, v139, v30
	;; [unrolled: 1-line block ×3, first 2 shown]
	s_wait_dscnt 0xa
	v_add_f32_e32 v20, v153, v20
	s_wait_dscnt 0x8
	v_dual_add_f32 v22, v152, v22 :: v_dual_add_f32 v27, v150, v27
	ds_bpermute_b32 v26, v139, v21
	ds_bpermute_b32 v31, v139, v28
	v_add_f32_e32 v34, v145, v34
	ds_bpermute_b32 v41, v139, v22
	ds_bpermute_b32 v45, v139, v27
	s_wait_dscnt 0xb
	v_dual_add_f32 v24, v151, v24 :: v_dual_add_f32 v39, v141, v39
	v_add_f32_e32 v32, v146, v32
	v_dual_add_f32 v36, v144, v36 :: v_dual_add_f32 v37, v143, v37
	s_wait_dscnt 0x9
	v_add_f32_e32 v44, v148, v15
	s_wait_dscnt 0x8
	v_add_f32_e32 v46, v147, v16
	v_dual_add_f32 v38, v142, v38 :: v_dual_add_f32 v15, v19, v25
	s_wait_dscnt 0x5
	v_dual_add_f32 v42, v149, v14 :: v_dual_add_f32 v19, v30, v35
	ds_bpermute_b32 v51, v139, v34
	ds_bpermute_b32 v33, v139, v29
	ds_bpermute_b32 v40, v139, v20
	ds_bpermute_b32 v43, v139, v24
	ds_bpermute_b32 v47, v139, v42
	ds_bpermute_b32 v50, v139, v32
	ds_bpermute_b32 v53, v139, v37
	v_add_f32_e32 v13, v13, v17
	ds_bpermute_b32 v48, v139, v44
	s_wait_dscnt 0xc
	v_add_f32_e32 v14, v18, v23
	ds_bpermute_b32 v55, v139, v39
	s_wait_dscnt 0xb
	v_dual_add_f32 v16, v21, v26 :: v_dual_add_f32 v17, v28, v31
	ds_bpermute_b32 v49, v139, v46
	s_wait_dscnt 0xb
	v_add_f32_e32 v21, v22, v41
	ds_bpermute_b32 v52, v139, v36
	s_wait_dscnt 0xb
	v_add_f32_e32 v23, v27, v45
	ds_bpermute_b32 v54, v139, v38
	v_lshlrev_b32_e32 v35, 10, v135
	s_wait_storecnt 0x0
	s_wait_loadcnt_dscnt 0x0
	v_add_f32_e32 v28, v34, v51
	v_and_b32_e32 v34, 28, v137
	v_add_f32_e32 v18, v29, v33
	v_add_f32_e32 v20, v20, v40
	;; [unrolled: 1-line block ×3, first 2 shown]
	v_dual_add_f32 v24, v42, v47 :: v_dual_add_f32 v27, v32, v50
	v_dual_add_f32 v30, v37, v53 :: v_dual_add_f32 v25, v44, v48
	v_lshrrev_b32_e32 v33, 2, v137
	v_add_f32_e32 v32, v39, v55
	v_add_nc_u32_e32 v34, 0x420, v34
	s_barrier_signal -1
	v_add_f32_e32 v26, v46, v49
	s_barrier_wait -1
	v_add_f32_e32 v29, v36, v52
	v_dual_add_f32 v31, v38, v54 :: v_dual_and_b32 v36, 0x3c3, v0
	global_inv scope:SCOPE_SE
	v_cmpx_eq_u32_e32 64, v36
	s_cbranch_execz .LBB44_100
; %bb.99:
	v_add_nc_u32_e32 v36, v34, v35
	s_delay_alu instid0(VALU_DEP_1)
	v_add_nc_u32_e32 v37, 0xfffff800, v36
	v_add_nc_u32_e32 v38, 0xfffff820, v36
	v_add_nc_u32_e32 v39, 0xfffff840, v36
	v_add_nc_u32_e32 v40, 0xfffff860, v36
	v_add_nc_u32_e32 v41, 0xfffff880, v36
	v_add_nc_u32_e32 v42, 0xfffff8a0, v36
	v_add_nc_u32_e32 v43, 0xfffff8c0, v36
	v_add_nc_u32_e32 v44, 0xfffff8e0, v36
	ds_store_b32 v37, v1
	ds_store_b32 v38, v2
	ds_store_b32 v39, v3
	ds_store_b32 v40, v4
	ds_store_b32 v41, v5
	ds_store_b32 v42, v6
	ds_store_b32 v43, v7
	ds_store_b32 v44, v8
	v_add_nc_u32_e32 v37, 0xfffff900, v36
	v_add_nc_u32_e32 v38, 0xfffff920, v36
	v_add_nc_u32_e32 v39, 0xfffff940, v36
	v_add_nc_u32_e32 v40, 0xfffff960, v36
	v_add_nc_u32_e32 v41, 0xfffff980, v36
	v_add_nc_u32_e32 v42, 0xfffff9a0, v36
	v_add_nc_u32_e32 v43, 0xfffff9c0, v36
	v_add_nc_u32_e32 v44, 0xfffff9e0, v36
	ds_store_b32 v37, v9
	ds_store_b32 v38, v10
	ds_store_b32 v39, v11
	ds_store_b32 v40, v12
	ds_store_b32 v41, v13
	ds_store_b32 v42, v14
	ds_store_b32 v43, v15
	ds_store_b32 v44, v16
	;; [unrolled: 16-line block ×4, first 2 shown]
.LBB44_100:
	s_wait_alu 0xfffe
	s_or_b32 exec_lo, exec_lo, s0
	v_lshlrev_b32_e32 v33, 2, v33
	s_mov_b32 s1, exec_lo
	v_cmp_eq_u32_e32 vcc_lo, 0, v140
	s_wait_loadcnt_dscnt 0x0
	s_barrier_signal -1
	v_add3_u32 v33, 0x420, v35, v33
	s_barrier_wait -1
	global_inv scope:SCOPE_SE
	v_cmpx_gt_u32_e32 64, v0
	s_cbranch_execz .LBB44_135
; %bb.101:
	s_and_saveexec_b32 s0, vcc_lo
	s_cbranch_execnz .LBB44_175
; %bb.102:
	s_wait_alu 0xfffe
	s_or_b32 exec_lo, exec_lo, s0
	s_and_saveexec_b32 s0, vcc_lo
	s_cbranch_execnz .LBB44_176
.LBB44_103:
	s_wait_alu 0xfffe
	s_or_b32 exec_lo, exec_lo, s0
	s_and_saveexec_b32 s0, vcc_lo
	s_cbranch_execnz .LBB44_177
.LBB44_104:
	s_wait_alu 0xfffe
	s_or_b32 exec_lo, exec_lo, s0
	s_and_saveexec_b32 s0, vcc_lo
	s_cbranch_execnz .LBB44_178
.LBB44_105:
	s_wait_alu 0xfffe
	s_or_b32 exec_lo, exec_lo, s0
	s_and_saveexec_b32 s0, vcc_lo
	s_cbranch_execnz .LBB44_179
.LBB44_106:
	s_wait_alu 0xfffe
	s_or_b32 exec_lo, exec_lo, s0
	s_and_saveexec_b32 s0, vcc_lo
	s_cbranch_execnz .LBB44_180
.LBB44_107:
	s_wait_alu 0xfffe
	s_or_b32 exec_lo, exec_lo, s0
	s_and_saveexec_b32 s0, vcc_lo
	s_cbranch_execnz .LBB44_181
.LBB44_108:
	s_wait_alu 0xfffe
	s_or_b32 exec_lo, exec_lo, s0
	s_and_saveexec_b32 s0, vcc_lo
	s_cbranch_execnz .LBB44_182
.LBB44_109:
	s_wait_alu 0xfffe
	s_or_b32 exec_lo, exec_lo, s0
	s_and_saveexec_b32 s0, vcc_lo
	s_cbranch_execnz .LBB44_183
.LBB44_110:
	s_wait_alu 0xfffe
	s_or_b32 exec_lo, exec_lo, s0
	s_and_saveexec_b32 s0, vcc_lo
	s_cbranch_execnz .LBB44_184
.LBB44_111:
	s_wait_alu 0xfffe
	s_or_b32 exec_lo, exec_lo, s0
	s_and_saveexec_b32 s0, vcc_lo
	s_cbranch_execnz .LBB44_185
.LBB44_112:
	s_wait_alu 0xfffe
	s_or_b32 exec_lo, exec_lo, s0
	s_and_saveexec_b32 s0, vcc_lo
	s_cbranch_execnz .LBB44_186
.LBB44_113:
	s_wait_alu 0xfffe
	s_or_b32 exec_lo, exec_lo, s0
	s_and_saveexec_b32 s0, vcc_lo
	s_cbranch_execnz .LBB44_187
.LBB44_114:
	s_wait_alu 0xfffe
	s_or_b32 exec_lo, exec_lo, s0
	s_and_saveexec_b32 s0, vcc_lo
	s_cbranch_execnz .LBB44_188
.LBB44_115:
	s_wait_alu 0xfffe
	s_or_b32 exec_lo, exec_lo, s0
	s_and_saveexec_b32 s0, vcc_lo
	s_cbranch_execnz .LBB44_189
.LBB44_116:
	s_wait_alu 0xfffe
	s_or_b32 exec_lo, exec_lo, s0
	s_and_saveexec_b32 s0, vcc_lo
	s_cbranch_execnz .LBB44_190
.LBB44_117:
	s_wait_alu 0xfffe
	s_or_b32 exec_lo, exec_lo, s0
	s_and_saveexec_b32 s0, vcc_lo
	s_cbranch_execnz .LBB44_191
.LBB44_118:
	s_wait_alu 0xfffe
	s_or_b32 exec_lo, exec_lo, s0
	s_and_saveexec_b32 s0, vcc_lo
	s_cbranch_execnz .LBB44_192
.LBB44_119:
	s_wait_alu 0xfffe
	s_or_b32 exec_lo, exec_lo, s0
	s_and_saveexec_b32 s0, vcc_lo
	s_cbranch_execnz .LBB44_193
.LBB44_120:
	s_wait_alu 0xfffe
	s_or_b32 exec_lo, exec_lo, s0
	s_and_saveexec_b32 s0, vcc_lo
	s_cbranch_execnz .LBB44_194
.LBB44_121:
	s_wait_alu 0xfffe
	s_or_b32 exec_lo, exec_lo, s0
	s_and_saveexec_b32 s0, vcc_lo
	s_cbranch_execnz .LBB44_195
.LBB44_122:
	s_wait_alu 0xfffe
	s_or_b32 exec_lo, exec_lo, s0
	s_and_saveexec_b32 s0, vcc_lo
	s_cbranch_execnz .LBB44_196
.LBB44_123:
	s_wait_alu 0xfffe
	s_or_b32 exec_lo, exec_lo, s0
	s_and_saveexec_b32 s0, vcc_lo
	s_cbranch_execnz .LBB44_197
.LBB44_124:
	s_wait_alu 0xfffe
	s_or_b32 exec_lo, exec_lo, s0
	s_and_saveexec_b32 s0, vcc_lo
	s_cbranch_execnz .LBB44_198
.LBB44_125:
	s_wait_alu 0xfffe
	s_or_b32 exec_lo, exec_lo, s0
	s_and_saveexec_b32 s0, vcc_lo
	s_cbranch_execnz .LBB44_199
.LBB44_126:
	s_wait_alu 0xfffe
	s_or_b32 exec_lo, exec_lo, s0
	s_and_saveexec_b32 s0, vcc_lo
	s_cbranch_execnz .LBB44_200
.LBB44_127:
	s_wait_alu 0xfffe
	s_or_b32 exec_lo, exec_lo, s0
	s_and_saveexec_b32 s0, vcc_lo
	s_cbranch_execnz .LBB44_201
.LBB44_128:
	s_wait_alu 0xfffe
	s_or_b32 exec_lo, exec_lo, s0
	s_and_saveexec_b32 s0, vcc_lo
	s_cbranch_execnz .LBB44_202
.LBB44_129:
	s_wait_alu 0xfffe
	s_or_b32 exec_lo, exec_lo, s0
	s_and_saveexec_b32 s0, vcc_lo
	s_cbranch_execnz .LBB44_203
.LBB44_130:
	s_wait_alu 0xfffe
	s_or_b32 exec_lo, exec_lo, s0
	s_and_saveexec_b32 s0, vcc_lo
	s_cbranch_execnz .LBB44_204
.LBB44_131:
	s_wait_alu 0xfffe
	s_or_b32 exec_lo, exec_lo, s0
	s_and_saveexec_b32 s0, vcc_lo
	s_cbranch_execnz .LBB44_205
.LBB44_132:
	s_wait_alu 0xfffe
	s_or_b32 exec_lo, exec_lo, s0
	s_and_saveexec_b32 s0, vcc_lo
	s_cbranch_execz .LBB44_134
.LBB44_133:
	ds_load_b32 v35, v33 offset:992
	s_wait_dscnt 0x0
	v_add_f32_e32 v32, v32, v35
.LBB44_134:
	s_wait_alu 0xfffe
	s_or_b32 exec_lo, exec_lo, s0
.LBB44_135:
	s_wait_alu 0xfffe
	s_or_b32 exec_lo, exec_lo, s1
	v_and_b32_e32 v35, 0x3e3, v0
	s_mov_b32 s1, exec_lo
	s_wait_loadcnt 0x0
	s_barrier_signal -1
	s_barrier_wait -1
	global_inv scope:SCOPE_SE
	v_cmpx_eq_u32_e32 32, v35
	s_cbranch_execz .LBB44_137
; %bb.136:
	ds_store_2addr_b32 v34, v1, v2 offset1:8
	ds_store_2addr_b32 v34, v3, v4 offset0:16 offset1:24
	ds_store_2addr_b32 v34, v5, v6 offset0:32 offset1:40
	;; [unrolled: 1-line block ×15, first 2 shown]
.LBB44_137:
	s_wait_alu 0xfffe
	s_or_b32 exec_lo, exec_lo, s1
	s_delay_alu instid0(SALU_CYCLE_1)
	s_mov_b32 s1, exec_lo
	s_wait_loadcnt_dscnt 0x0
	s_barrier_signal -1
	s_barrier_wait -1
	global_inv scope:SCOPE_SE
	v_cmpx_gt_u32_e32 32, v0
	s_cbranch_execz .LBB44_172
; %bb.138:
	s_and_saveexec_b32 s0, vcc_lo
	s_cbranch_execnz .LBB44_206
; %bb.139:
	s_wait_alu 0xfffe
	s_or_b32 exec_lo, exec_lo, s0
	s_and_saveexec_b32 s0, vcc_lo
	s_cbranch_execnz .LBB44_207
.LBB44_140:
	s_wait_alu 0xfffe
	s_or_b32 exec_lo, exec_lo, s0
	s_and_saveexec_b32 s0, vcc_lo
	s_cbranch_execnz .LBB44_208
.LBB44_141:
	s_wait_alu 0xfffe
	s_or_b32 exec_lo, exec_lo, s0
	s_and_saveexec_b32 s0, vcc_lo
	s_cbranch_execnz .LBB44_209
.LBB44_142:
	s_wait_alu 0xfffe
	s_or_b32 exec_lo, exec_lo, s0
	s_and_saveexec_b32 s0, vcc_lo
	s_cbranch_execnz .LBB44_210
.LBB44_143:
	s_wait_alu 0xfffe
	s_or_b32 exec_lo, exec_lo, s0
	s_and_saveexec_b32 s0, vcc_lo
	s_cbranch_execnz .LBB44_211
.LBB44_144:
	s_wait_alu 0xfffe
	s_or_b32 exec_lo, exec_lo, s0
	s_and_saveexec_b32 s0, vcc_lo
	s_cbranch_execnz .LBB44_212
.LBB44_145:
	s_wait_alu 0xfffe
	s_or_b32 exec_lo, exec_lo, s0
	s_and_saveexec_b32 s0, vcc_lo
	s_cbranch_execnz .LBB44_213
.LBB44_146:
	s_wait_alu 0xfffe
	s_or_b32 exec_lo, exec_lo, s0
	s_and_saveexec_b32 s0, vcc_lo
	s_cbranch_execnz .LBB44_214
.LBB44_147:
	s_wait_alu 0xfffe
	s_or_b32 exec_lo, exec_lo, s0
	s_and_saveexec_b32 s0, vcc_lo
	s_cbranch_execnz .LBB44_215
.LBB44_148:
	s_wait_alu 0xfffe
	s_or_b32 exec_lo, exec_lo, s0
	s_and_saveexec_b32 s0, vcc_lo
	s_cbranch_execnz .LBB44_216
.LBB44_149:
	s_wait_alu 0xfffe
	s_or_b32 exec_lo, exec_lo, s0
	s_and_saveexec_b32 s0, vcc_lo
	s_cbranch_execnz .LBB44_217
.LBB44_150:
	s_wait_alu 0xfffe
	s_or_b32 exec_lo, exec_lo, s0
	s_and_saveexec_b32 s0, vcc_lo
	s_cbranch_execnz .LBB44_218
.LBB44_151:
	s_wait_alu 0xfffe
	s_or_b32 exec_lo, exec_lo, s0
	s_and_saveexec_b32 s0, vcc_lo
	s_cbranch_execnz .LBB44_219
.LBB44_152:
	s_wait_alu 0xfffe
	s_or_b32 exec_lo, exec_lo, s0
	s_and_saveexec_b32 s0, vcc_lo
	s_cbranch_execnz .LBB44_220
.LBB44_153:
	s_wait_alu 0xfffe
	s_or_b32 exec_lo, exec_lo, s0
	s_and_saveexec_b32 s0, vcc_lo
	s_cbranch_execnz .LBB44_221
.LBB44_154:
	s_wait_alu 0xfffe
	s_or_b32 exec_lo, exec_lo, s0
	s_and_saveexec_b32 s0, vcc_lo
	s_cbranch_execnz .LBB44_222
.LBB44_155:
	s_wait_alu 0xfffe
	s_or_b32 exec_lo, exec_lo, s0
	s_and_saveexec_b32 s0, vcc_lo
	s_cbranch_execnz .LBB44_223
.LBB44_156:
	s_wait_alu 0xfffe
	s_or_b32 exec_lo, exec_lo, s0
	s_and_saveexec_b32 s0, vcc_lo
	s_cbranch_execnz .LBB44_224
.LBB44_157:
	s_wait_alu 0xfffe
	s_or_b32 exec_lo, exec_lo, s0
	s_and_saveexec_b32 s0, vcc_lo
	s_cbranch_execnz .LBB44_225
.LBB44_158:
	s_wait_alu 0xfffe
	s_or_b32 exec_lo, exec_lo, s0
	s_and_saveexec_b32 s0, vcc_lo
	s_cbranch_execnz .LBB44_226
.LBB44_159:
	s_wait_alu 0xfffe
	s_or_b32 exec_lo, exec_lo, s0
	s_and_saveexec_b32 s0, vcc_lo
	s_cbranch_execnz .LBB44_227
.LBB44_160:
	s_wait_alu 0xfffe
	s_or_b32 exec_lo, exec_lo, s0
	s_and_saveexec_b32 s0, vcc_lo
	s_cbranch_execnz .LBB44_228
.LBB44_161:
	s_wait_alu 0xfffe
	s_or_b32 exec_lo, exec_lo, s0
	s_and_saveexec_b32 s0, vcc_lo
	s_cbranch_execnz .LBB44_229
.LBB44_162:
	s_wait_alu 0xfffe
	s_or_b32 exec_lo, exec_lo, s0
	s_and_saveexec_b32 s0, vcc_lo
	s_cbranch_execnz .LBB44_230
.LBB44_163:
	s_wait_alu 0xfffe
	s_or_b32 exec_lo, exec_lo, s0
	s_and_saveexec_b32 s0, vcc_lo
	s_cbranch_execnz .LBB44_231
.LBB44_164:
	s_wait_alu 0xfffe
	s_or_b32 exec_lo, exec_lo, s0
	s_and_saveexec_b32 s0, vcc_lo
	s_cbranch_execnz .LBB44_232
.LBB44_165:
	s_wait_alu 0xfffe
	s_or_b32 exec_lo, exec_lo, s0
	s_and_saveexec_b32 s0, vcc_lo
	s_cbranch_execnz .LBB44_233
.LBB44_166:
	s_wait_alu 0xfffe
	s_or_b32 exec_lo, exec_lo, s0
	s_and_saveexec_b32 s0, vcc_lo
	s_cbranch_execnz .LBB44_234
.LBB44_167:
	s_wait_alu 0xfffe
	s_or_b32 exec_lo, exec_lo, s0
	s_and_saveexec_b32 s0, vcc_lo
	s_cbranch_execnz .LBB44_235
.LBB44_168:
	s_wait_alu 0xfffe
	s_or_b32 exec_lo, exec_lo, s0
	s_and_saveexec_b32 s0, vcc_lo
	s_cbranch_execnz .LBB44_236
.LBB44_169:
	s_wait_alu 0xfffe
	s_or_b32 exec_lo, exec_lo, s0
	s_and_saveexec_b32 s0, vcc_lo
	s_cbranch_execz .LBB44_171
.LBB44_170:
	ds_load_b32 v33, v33 offset:992
	s_wait_dscnt 0x0
	v_add_f32_e32 v32, v32, v33
.LBB44_171:
	s_wait_alu 0xfffe
	s_or_b32 exec_lo, exec_lo, s0
.LBB44_172:
	s_wait_alu 0xfffe
	s_or_b32 exec_lo, exec_lo, s1
	s_mov_b32 s1, 0
	s_wait_loadcnt 0x0
	s_barrier_signal -1
	s_barrier_wait -1
	global_inv scope:SCOPE_SE
	s_mov_b32 s0, exec_lo
	v_cmpx_eq_u32_e32 0, v35
	s_cbranch_execz .LBB44_174
; %bb.173:
	s_lshl_b32 s2, s14, 8
	s_mul_i32 s4, s8, s12
	s_wait_alu 0xfffe
	s_ashr_i32 s3, s2, 31
	s_ashr_i32 s5, s4, 31
	s_wait_alu 0xfffe
	s_lshl_b64 s[2:3], s[2:3], 2
	s_lshl_b64 s[4:5], s[4:5], 2
	s_wait_alu 0xfffe
	s_add_nc_u64 s[2:3], s[10:11], s[2:3]
	s_lshl_b32 s0, s24, 10
	s_wait_alu 0xfffe
	s_add_nc_u64 s[2:3], s[2:3], s[4:5]
	s_wait_alu 0xfffe
	s_add_nc_u64 s[0:1], s[2:3], s[0:1]
	s_clause 0x1f
	global_store_b32 v0, v1, s[0:1]
	global_store_b32 v0, v2, s[0:1] offset:32
	global_store_b32 v0, v3, s[0:1] offset:64
	;; [unrolled: 1-line block ×31, first 2 shown]
.LBB44_174:
	s_nop 0
	s_sendmsg sendmsg(MSG_DEALLOC_VGPRS)
	s_endpgm
.LBB44_175:
	ds_load_b32 v35, v33
	s_wait_dscnt 0x0
	v_add_f32_e32 v1, v1, v35
	s_wait_alu 0xfffe
	s_or_b32 exec_lo, exec_lo, s0
	s_and_saveexec_b32 s0, vcc_lo
	s_cbranch_execz .LBB44_103
.LBB44_176:
	ds_load_b32 v35, v33 offset:32
	s_wait_dscnt 0x0
	v_add_f32_e32 v2, v2, v35
	s_wait_alu 0xfffe
	s_or_b32 exec_lo, exec_lo, s0
	s_and_saveexec_b32 s0, vcc_lo
	s_cbranch_execz .LBB44_104
.LBB44_177:
	ds_load_b32 v35, v33 offset:64
	s_wait_dscnt 0x0
	v_add_f32_e32 v3, v3, v35
	s_wait_alu 0xfffe
	s_or_b32 exec_lo, exec_lo, s0
	s_and_saveexec_b32 s0, vcc_lo
	s_cbranch_execz .LBB44_105
.LBB44_178:
	ds_load_b32 v35, v33 offset:96
	s_wait_dscnt 0x0
	v_add_f32_e32 v4, v4, v35
	s_wait_alu 0xfffe
	s_or_b32 exec_lo, exec_lo, s0
	s_and_saveexec_b32 s0, vcc_lo
	s_cbranch_execz .LBB44_106
.LBB44_179:
	ds_load_b32 v35, v33 offset:128
	s_wait_dscnt 0x0
	v_add_f32_e32 v5, v5, v35
	s_wait_alu 0xfffe
	s_or_b32 exec_lo, exec_lo, s0
	s_and_saveexec_b32 s0, vcc_lo
	s_cbranch_execz .LBB44_107
.LBB44_180:
	ds_load_b32 v35, v33 offset:160
	s_wait_dscnt 0x0
	v_add_f32_e32 v6, v6, v35
	s_wait_alu 0xfffe
	s_or_b32 exec_lo, exec_lo, s0
	s_and_saveexec_b32 s0, vcc_lo
	s_cbranch_execz .LBB44_108
.LBB44_181:
	ds_load_b32 v35, v33 offset:192
	s_wait_dscnt 0x0
	v_add_f32_e32 v7, v7, v35
	s_wait_alu 0xfffe
	s_or_b32 exec_lo, exec_lo, s0
	s_and_saveexec_b32 s0, vcc_lo
	s_cbranch_execz .LBB44_109
.LBB44_182:
	ds_load_b32 v35, v33 offset:224
	s_wait_dscnt 0x0
	v_add_f32_e32 v8, v8, v35
	s_wait_alu 0xfffe
	s_or_b32 exec_lo, exec_lo, s0
	s_and_saveexec_b32 s0, vcc_lo
	s_cbranch_execz .LBB44_110
.LBB44_183:
	ds_load_b32 v35, v33 offset:256
	s_wait_dscnt 0x0
	v_add_f32_e32 v9, v9, v35
	s_wait_alu 0xfffe
	s_or_b32 exec_lo, exec_lo, s0
	s_and_saveexec_b32 s0, vcc_lo
	s_cbranch_execz .LBB44_111
.LBB44_184:
	ds_load_b32 v35, v33 offset:288
	s_wait_dscnt 0x0
	v_add_f32_e32 v10, v10, v35
	s_wait_alu 0xfffe
	s_or_b32 exec_lo, exec_lo, s0
	s_and_saveexec_b32 s0, vcc_lo
	s_cbranch_execz .LBB44_112
.LBB44_185:
	ds_load_b32 v35, v33 offset:320
	s_wait_dscnt 0x0
	v_add_f32_e32 v11, v11, v35
	s_wait_alu 0xfffe
	s_or_b32 exec_lo, exec_lo, s0
	s_and_saveexec_b32 s0, vcc_lo
	s_cbranch_execz .LBB44_113
.LBB44_186:
	ds_load_b32 v35, v33 offset:352
	s_wait_dscnt 0x0
	v_add_f32_e32 v12, v12, v35
	s_wait_alu 0xfffe
	s_or_b32 exec_lo, exec_lo, s0
	s_and_saveexec_b32 s0, vcc_lo
	s_cbranch_execz .LBB44_114
.LBB44_187:
	ds_load_b32 v35, v33 offset:384
	s_wait_dscnt 0x0
	v_add_f32_e32 v13, v13, v35
	s_wait_alu 0xfffe
	s_or_b32 exec_lo, exec_lo, s0
	s_and_saveexec_b32 s0, vcc_lo
	s_cbranch_execz .LBB44_115
.LBB44_188:
	ds_load_b32 v35, v33 offset:416
	s_wait_dscnt 0x0
	v_add_f32_e32 v14, v14, v35
	s_wait_alu 0xfffe
	s_or_b32 exec_lo, exec_lo, s0
	s_and_saveexec_b32 s0, vcc_lo
	s_cbranch_execz .LBB44_116
.LBB44_189:
	ds_load_b32 v35, v33 offset:448
	s_wait_dscnt 0x0
	v_add_f32_e32 v15, v15, v35
	s_wait_alu 0xfffe
	s_or_b32 exec_lo, exec_lo, s0
	s_and_saveexec_b32 s0, vcc_lo
	s_cbranch_execz .LBB44_117
.LBB44_190:
	ds_load_b32 v35, v33 offset:480
	s_wait_dscnt 0x0
	v_add_f32_e32 v16, v16, v35
	s_wait_alu 0xfffe
	s_or_b32 exec_lo, exec_lo, s0
	s_and_saveexec_b32 s0, vcc_lo
	s_cbranch_execz .LBB44_118
.LBB44_191:
	ds_load_b32 v35, v33 offset:512
	s_wait_dscnt 0x0
	v_add_f32_e32 v17, v17, v35
	s_wait_alu 0xfffe
	s_or_b32 exec_lo, exec_lo, s0
	s_and_saveexec_b32 s0, vcc_lo
	s_cbranch_execz .LBB44_119
.LBB44_192:
	ds_load_b32 v35, v33 offset:544
	s_wait_dscnt 0x0
	v_add_f32_e32 v18, v18, v35
	s_wait_alu 0xfffe
	s_or_b32 exec_lo, exec_lo, s0
	s_and_saveexec_b32 s0, vcc_lo
	s_cbranch_execz .LBB44_120
.LBB44_193:
	ds_load_b32 v35, v33 offset:576
	s_wait_dscnt 0x0
	v_add_f32_e32 v19, v19, v35
	s_wait_alu 0xfffe
	s_or_b32 exec_lo, exec_lo, s0
	s_and_saveexec_b32 s0, vcc_lo
	s_cbranch_execz .LBB44_121
.LBB44_194:
	ds_load_b32 v35, v33 offset:608
	s_wait_dscnt 0x0
	v_add_f32_e32 v20, v20, v35
	s_wait_alu 0xfffe
	s_or_b32 exec_lo, exec_lo, s0
	s_and_saveexec_b32 s0, vcc_lo
	s_cbranch_execz .LBB44_122
.LBB44_195:
	ds_load_b32 v35, v33 offset:640
	s_wait_dscnt 0x0
	v_add_f32_e32 v21, v21, v35
	s_wait_alu 0xfffe
	s_or_b32 exec_lo, exec_lo, s0
	s_and_saveexec_b32 s0, vcc_lo
	s_cbranch_execz .LBB44_123
.LBB44_196:
	ds_load_b32 v35, v33 offset:672
	s_wait_dscnt 0x0
	v_add_f32_e32 v22, v22, v35
	s_wait_alu 0xfffe
	s_or_b32 exec_lo, exec_lo, s0
	s_and_saveexec_b32 s0, vcc_lo
	s_cbranch_execz .LBB44_124
.LBB44_197:
	ds_load_b32 v35, v33 offset:704
	s_wait_dscnt 0x0
	v_add_f32_e32 v23, v23, v35
	s_wait_alu 0xfffe
	s_or_b32 exec_lo, exec_lo, s0
	s_and_saveexec_b32 s0, vcc_lo
	s_cbranch_execz .LBB44_125
.LBB44_198:
	ds_load_b32 v35, v33 offset:736
	s_wait_dscnt 0x0
	v_add_f32_e32 v24, v24, v35
	s_wait_alu 0xfffe
	s_or_b32 exec_lo, exec_lo, s0
	s_and_saveexec_b32 s0, vcc_lo
	s_cbranch_execz .LBB44_126
.LBB44_199:
	ds_load_b32 v35, v33 offset:768
	s_wait_dscnt 0x0
	v_add_f32_e32 v25, v25, v35
	s_wait_alu 0xfffe
	s_or_b32 exec_lo, exec_lo, s0
	s_and_saveexec_b32 s0, vcc_lo
	s_cbranch_execz .LBB44_127
.LBB44_200:
	ds_load_b32 v35, v33 offset:800
	s_wait_dscnt 0x0
	v_add_f32_e32 v26, v26, v35
	s_wait_alu 0xfffe
	s_or_b32 exec_lo, exec_lo, s0
	s_and_saveexec_b32 s0, vcc_lo
	s_cbranch_execz .LBB44_128
.LBB44_201:
	ds_load_b32 v35, v33 offset:832
	s_wait_dscnt 0x0
	v_add_f32_e32 v27, v27, v35
	s_wait_alu 0xfffe
	s_or_b32 exec_lo, exec_lo, s0
	s_and_saveexec_b32 s0, vcc_lo
	s_cbranch_execz .LBB44_129
.LBB44_202:
	ds_load_b32 v35, v33 offset:864
	s_wait_dscnt 0x0
	v_add_f32_e32 v28, v28, v35
	s_wait_alu 0xfffe
	s_or_b32 exec_lo, exec_lo, s0
	s_and_saveexec_b32 s0, vcc_lo
	s_cbranch_execz .LBB44_130
.LBB44_203:
	ds_load_b32 v35, v33 offset:896
	s_wait_dscnt 0x0
	v_add_f32_e32 v29, v29, v35
	s_wait_alu 0xfffe
	s_or_b32 exec_lo, exec_lo, s0
	s_and_saveexec_b32 s0, vcc_lo
	s_cbranch_execz .LBB44_131
.LBB44_204:
	ds_load_b32 v35, v33 offset:928
	s_wait_dscnt 0x0
	v_add_f32_e32 v30, v30, v35
	s_wait_alu 0xfffe
	s_or_b32 exec_lo, exec_lo, s0
	s_and_saveexec_b32 s0, vcc_lo
	s_cbranch_execz .LBB44_132
.LBB44_205:
	ds_load_b32 v35, v33 offset:960
	s_wait_dscnt 0x0
	v_add_f32_e32 v31, v31, v35
	s_wait_alu 0xfffe
	s_or_b32 exec_lo, exec_lo, s0
	s_and_saveexec_b32 s0, vcc_lo
	s_cbranch_execnz .LBB44_133
	s_branch .LBB44_134
.LBB44_206:
	ds_load_b32 v34, v33
	s_wait_dscnt 0x0
	v_add_f32_e32 v1, v1, v34
	s_wait_alu 0xfffe
	s_or_b32 exec_lo, exec_lo, s0
	s_and_saveexec_b32 s0, vcc_lo
	s_cbranch_execz .LBB44_140
.LBB44_207:
	ds_load_b32 v34, v33 offset:32
	s_wait_dscnt 0x0
	v_add_f32_e32 v2, v2, v34
	s_wait_alu 0xfffe
	s_or_b32 exec_lo, exec_lo, s0
	s_and_saveexec_b32 s0, vcc_lo
	s_cbranch_execz .LBB44_141
.LBB44_208:
	ds_load_b32 v34, v33 offset:64
	s_wait_dscnt 0x0
	v_add_f32_e32 v3, v3, v34
	s_wait_alu 0xfffe
	s_or_b32 exec_lo, exec_lo, s0
	s_and_saveexec_b32 s0, vcc_lo
	s_cbranch_execz .LBB44_142
.LBB44_209:
	ds_load_b32 v34, v33 offset:96
	s_wait_dscnt 0x0
	v_add_f32_e32 v4, v4, v34
	s_wait_alu 0xfffe
	s_or_b32 exec_lo, exec_lo, s0
	s_and_saveexec_b32 s0, vcc_lo
	s_cbranch_execz .LBB44_143
.LBB44_210:
	ds_load_b32 v34, v33 offset:128
	s_wait_dscnt 0x0
	v_add_f32_e32 v5, v5, v34
	s_wait_alu 0xfffe
	s_or_b32 exec_lo, exec_lo, s0
	s_and_saveexec_b32 s0, vcc_lo
	s_cbranch_execz .LBB44_144
.LBB44_211:
	ds_load_b32 v34, v33 offset:160
	s_wait_dscnt 0x0
	v_add_f32_e32 v6, v6, v34
	s_wait_alu 0xfffe
	s_or_b32 exec_lo, exec_lo, s0
	s_and_saveexec_b32 s0, vcc_lo
	s_cbranch_execz .LBB44_145
.LBB44_212:
	ds_load_b32 v34, v33 offset:192
	s_wait_dscnt 0x0
	v_add_f32_e32 v7, v7, v34
	s_wait_alu 0xfffe
	s_or_b32 exec_lo, exec_lo, s0
	s_and_saveexec_b32 s0, vcc_lo
	s_cbranch_execz .LBB44_146
.LBB44_213:
	ds_load_b32 v34, v33 offset:224
	s_wait_dscnt 0x0
	v_add_f32_e32 v8, v8, v34
	s_wait_alu 0xfffe
	s_or_b32 exec_lo, exec_lo, s0
	s_and_saveexec_b32 s0, vcc_lo
	s_cbranch_execz .LBB44_147
.LBB44_214:
	ds_load_b32 v34, v33 offset:256
	s_wait_dscnt 0x0
	v_add_f32_e32 v9, v9, v34
	s_wait_alu 0xfffe
	s_or_b32 exec_lo, exec_lo, s0
	s_and_saveexec_b32 s0, vcc_lo
	s_cbranch_execz .LBB44_148
.LBB44_215:
	ds_load_b32 v34, v33 offset:288
	s_wait_dscnt 0x0
	v_add_f32_e32 v10, v10, v34
	s_wait_alu 0xfffe
	s_or_b32 exec_lo, exec_lo, s0
	s_and_saveexec_b32 s0, vcc_lo
	s_cbranch_execz .LBB44_149
.LBB44_216:
	ds_load_b32 v34, v33 offset:320
	s_wait_dscnt 0x0
	v_add_f32_e32 v11, v11, v34
	s_wait_alu 0xfffe
	s_or_b32 exec_lo, exec_lo, s0
	s_and_saveexec_b32 s0, vcc_lo
	s_cbranch_execz .LBB44_150
.LBB44_217:
	ds_load_b32 v34, v33 offset:352
	s_wait_dscnt 0x0
	v_add_f32_e32 v12, v12, v34
	s_wait_alu 0xfffe
	s_or_b32 exec_lo, exec_lo, s0
	s_and_saveexec_b32 s0, vcc_lo
	s_cbranch_execz .LBB44_151
.LBB44_218:
	ds_load_b32 v34, v33 offset:384
	s_wait_dscnt 0x0
	v_add_f32_e32 v13, v13, v34
	s_wait_alu 0xfffe
	s_or_b32 exec_lo, exec_lo, s0
	s_and_saveexec_b32 s0, vcc_lo
	s_cbranch_execz .LBB44_152
.LBB44_219:
	ds_load_b32 v34, v33 offset:416
	s_wait_dscnt 0x0
	v_add_f32_e32 v14, v14, v34
	s_wait_alu 0xfffe
	s_or_b32 exec_lo, exec_lo, s0
	s_and_saveexec_b32 s0, vcc_lo
	s_cbranch_execz .LBB44_153
.LBB44_220:
	ds_load_b32 v34, v33 offset:448
	s_wait_dscnt 0x0
	v_add_f32_e32 v15, v15, v34
	s_wait_alu 0xfffe
	s_or_b32 exec_lo, exec_lo, s0
	s_and_saveexec_b32 s0, vcc_lo
	s_cbranch_execz .LBB44_154
.LBB44_221:
	ds_load_b32 v34, v33 offset:480
	s_wait_dscnt 0x0
	v_add_f32_e32 v16, v16, v34
	s_wait_alu 0xfffe
	s_or_b32 exec_lo, exec_lo, s0
	s_and_saveexec_b32 s0, vcc_lo
	s_cbranch_execz .LBB44_155
.LBB44_222:
	ds_load_b32 v34, v33 offset:512
	s_wait_dscnt 0x0
	v_add_f32_e32 v17, v17, v34
	s_wait_alu 0xfffe
	s_or_b32 exec_lo, exec_lo, s0
	s_and_saveexec_b32 s0, vcc_lo
	s_cbranch_execz .LBB44_156
.LBB44_223:
	ds_load_b32 v34, v33 offset:544
	s_wait_dscnt 0x0
	v_add_f32_e32 v18, v18, v34
	s_wait_alu 0xfffe
	s_or_b32 exec_lo, exec_lo, s0
	s_and_saveexec_b32 s0, vcc_lo
	s_cbranch_execz .LBB44_157
.LBB44_224:
	ds_load_b32 v34, v33 offset:576
	s_wait_dscnt 0x0
	v_add_f32_e32 v19, v19, v34
	s_wait_alu 0xfffe
	s_or_b32 exec_lo, exec_lo, s0
	s_and_saveexec_b32 s0, vcc_lo
	s_cbranch_execz .LBB44_158
.LBB44_225:
	ds_load_b32 v34, v33 offset:608
	s_wait_dscnt 0x0
	v_add_f32_e32 v20, v20, v34
	s_wait_alu 0xfffe
	s_or_b32 exec_lo, exec_lo, s0
	s_and_saveexec_b32 s0, vcc_lo
	s_cbranch_execz .LBB44_159
.LBB44_226:
	ds_load_b32 v34, v33 offset:640
	s_wait_dscnt 0x0
	v_add_f32_e32 v21, v21, v34
	s_wait_alu 0xfffe
	s_or_b32 exec_lo, exec_lo, s0
	s_and_saveexec_b32 s0, vcc_lo
	s_cbranch_execz .LBB44_160
.LBB44_227:
	ds_load_b32 v34, v33 offset:672
	s_wait_dscnt 0x0
	v_add_f32_e32 v22, v22, v34
	s_wait_alu 0xfffe
	s_or_b32 exec_lo, exec_lo, s0
	s_and_saveexec_b32 s0, vcc_lo
	s_cbranch_execz .LBB44_161
.LBB44_228:
	ds_load_b32 v34, v33 offset:704
	s_wait_dscnt 0x0
	v_add_f32_e32 v23, v23, v34
	s_wait_alu 0xfffe
	s_or_b32 exec_lo, exec_lo, s0
	s_and_saveexec_b32 s0, vcc_lo
	s_cbranch_execz .LBB44_162
.LBB44_229:
	ds_load_b32 v34, v33 offset:736
	s_wait_dscnt 0x0
	v_add_f32_e32 v24, v24, v34
	s_wait_alu 0xfffe
	s_or_b32 exec_lo, exec_lo, s0
	s_and_saveexec_b32 s0, vcc_lo
	s_cbranch_execz .LBB44_163
.LBB44_230:
	ds_load_b32 v34, v33 offset:768
	s_wait_dscnt 0x0
	v_add_f32_e32 v25, v25, v34
	s_wait_alu 0xfffe
	s_or_b32 exec_lo, exec_lo, s0
	s_and_saveexec_b32 s0, vcc_lo
	s_cbranch_execz .LBB44_164
.LBB44_231:
	ds_load_b32 v34, v33 offset:800
	s_wait_dscnt 0x0
	v_add_f32_e32 v26, v26, v34
	s_wait_alu 0xfffe
	s_or_b32 exec_lo, exec_lo, s0
	s_and_saveexec_b32 s0, vcc_lo
	s_cbranch_execz .LBB44_165
.LBB44_232:
	ds_load_b32 v34, v33 offset:832
	s_wait_dscnt 0x0
	v_add_f32_e32 v27, v27, v34
	s_wait_alu 0xfffe
	s_or_b32 exec_lo, exec_lo, s0
	s_and_saveexec_b32 s0, vcc_lo
	s_cbranch_execz .LBB44_166
.LBB44_233:
	ds_load_b32 v34, v33 offset:864
	s_wait_dscnt 0x0
	v_add_f32_e32 v28, v28, v34
	s_wait_alu 0xfffe
	s_or_b32 exec_lo, exec_lo, s0
	s_and_saveexec_b32 s0, vcc_lo
	s_cbranch_execz .LBB44_167
.LBB44_234:
	ds_load_b32 v34, v33 offset:896
	s_wait_dscnt 0x0
	v_add_f32_e32 v29, v29, v34
	s_wait_alu 0xfffe
	s_or_b32 exec_lo, exec_lo, s0
	s_and_saveexec_b32 s0, vcc_lo
	s_cbranch_execz .LBB44_168
.LBB44_235:
	ds_load_b32 v34, v33 offset:928
	s_wait_dscnt 0x0
	v_add_f32_e32 v30, v30, v34
	s_wait_alu 0xfffe
	s_or_b32 exec_lo, exec_lo, s0
	s_and_saveexec_b32 s0, vcc_lo
	s_cbranch_execz .LBB44_169
.LBB44_236:
	ds_load_b32 v34, v33 offset:960
	s_wait_dscnt 0x0
	v_add_f32_e32 v31, v31, v34
	s_wait_alu 0xfffe
	s_or_b32 exec_lo, exec_lo, s0
	s_and_saveexec_b32 s0, vcc_lo
	s_cbranch_execnz .LBB44_170
	s_branch .LBB44_171
	.section	.rodata,"a",@progbits
	.p2align	6, 0x0
	.amdhsa_kernel _ZN4vllm25paged_attention_v2_kernelIffLi256ELi16ELi128ELNS_18Fp8KVCacheDataTypeE0ELb0ELi512EEEvPfS2_PT_PKS3_PKT0_S9_ifPKiSB_iPKfiiiSD_SD_iiiii
		.amdhsa_group_segment_fixed_size 1056
		.amdhsa_private_segment_fixed_size 0
		.amdhsa_kernarg_size 400
		.amdhsa_user_sgpr_count 2
		.amdhsa_user_sgpr_dispatch_ptr 0
		.amdhsa_user_sgpr_queue_ptr 0
		.amdhsa_user_sgpr_kernarg_segment_ptr 1
		.amdhsa_user_sgpr_dispatch_id 0
		.amdhsa_user_sgpr_private_segment_size 0
		.amdhsa_wavefront_size32 1
		.amdhsa_uses_dynamic_stack 0
		.amdhsa_enable_private_segment 0
		.amdhsa_system_sgpr_workgroup_id_x 1
		.amdhsa_system_sgpr_workgroup_id_y 1
		.amdhsa_system_sgpr_workgroup_id_z 1
		.amdhsa_system_sgpr_workgroup_info 0
		.amdhsa_system_vgpr_workitem_id 0
		.amdhsa_next_free_vgpr 180
		.amdhsa_next_free_sgpr 32
		.amdhsa_reserve_vcc 1
		.amdhsa_float_round_mode_32 0
		.amdhsa_float_round_mode_16_64 0
		.amdhsa_float_denorm_mode_32 3
		.amdhsa_float_denorm_mode_16_64 3
		.amdhsa_fp16_overflow 0
		.amdhsa_workgroup_processor_mode 1
		.amdhsa_memory_ordered 1
		.amdhsa_forward_progress 1
		.amdhsa_inst_pref_size 121
		.amdhsa_round_robin_scheduling 0
		.amdhsa_exception_fp_ieee_invalid_op 0
		.amdhsa_exception_fp_denorm_src 0
		.amdhsa_exception_fp_ieee_div_zero 0
		.amdhsa_exception_fp_ieee_overflow 0
		.amdhsa_exception_fp_ieee_underflow 0
		.amdhsa_exception_fp_ieee_inexact 0
		.amdhsa_exception_int_div_zero 0
	.end_amdhsa_kernel
	.section	.text._ZN4vllm25paged_attention_v2_kernelIffLi256ELi16ELi128ELNS_18Fp8KVCacheDataTypeE0ELb0ELi512EEEvPfS2_PT_PKS3_PKT0_S9_ifPKiSB_iPKfiiiSD_SD_iiiii,"axG",@progbits,_ZN4vllm25paged_attention_v2_kernelIffLi256ELi16ELi128ELNS_18Fp8KVCacheDataTypeE0ELb0ELi512EEEvPfS2_PT_PKS3_PKT0_S9_ifPKiSB_iPKfiiiSD_SD_iiiii,comdat
.Lfunc_end44:
	.size	_ZN4vllm25paged_attention_v2_kernelIffLi256ELi16ELi128ELNS_18Fp8KVCacheDataTypeE0ELb0ELi512EEEvPfS2_PT_PKS3_PKT0_S9_ifPKiSB_iPKfiiiSD_SD_iiiii, .Lfunc_end44-_ZN4vllm25paged_attention_v2_kernelIffLi256ELi16ELi128ELNS_18Fp8KVCacheDataTypeE0ELb0ELi512EEEvPfS2_PT_PKS3_PKT0_S9_ifPKiSB_iPKfiiiSD_SD_iiiii
                                        ; -- End function
	.set _ZN4vllm25paged_attention_v2_kernelIffLi256ELi16ELi128ELNS_18Fp8KVCacheDataTypeE0ELb0ELi512EEEvPfS2_PT_PKS3_PKT0_S9_ifPKiSB_iPKfiiiSD_SD_iiiii.num_vgpr, 180
	.set _ZN4vllm25paged_attention_v2_kernelIffLi256ELi16ELi128ELNS_18Fp8KVCacheDataTypeE0ELb0ELi512EEEvPfS2_PT_PKS3_PKT0_S9_ifPKiSB_iPKfiiiSD_SD_iiiii.num_agpr, 0
	.set _ZN4vllm25paged_attention_v2_kernelIffLi256ELi16ELi128ELNS_18Fp8KVCacheDataTypeE0ELb0ELi512EEEvPfS2_PT_PKS3_PKT0_S9_ifPKiSB_iPKfiiiSD_SD_iiiii.numbered_sgpr, 32
	.set _ZN4vllm25paged_attention_v2_kernelIffLi256ELi16ELi128ELNS_18Fp8KVCacheDataTypeE0ELb0ELi512EEEvPfS2_PT_PKS3_PKT0_S9_ifPKiSB_iPKfiiiSD_SD_iiiii.num_named_barrier, 0
	.set _ZN4vllm25paged_attention_v2_kernelIffLi256ELi16ELi128ELNS_18Fp8KVCacheDataTypeE0ELb0ELi512EEEvPfS2_PT_PKS3_PKT0_S9_ifPKiSB_iPKfiiiSD_SD_iiiii.private_seg_size, 0
	.set _ZN4vllm25paged_attention_v2_kernelIffLi256ELi16ELi128ELNS_18Fp8KVCacheDataTypeE0ELb0ELi512EEEvPfS2_PT_PKS3_PKT0_S9_ifPKiSB_iPKfiiiSD_SD_iiiii.uses_vcc, 1
	.set _ZN4vllm25paged_attention_v2_kernelIffLi256ELi16ELi128ELNS_18Fp8KVCacheDataTypeE0ELb0ELi512EEEvPfS2_PT_PKS3_PKT0_S9_ifPKiSB_iPKfiiiSD_SD_iiiii.uses_flat_scratch, 0
	.set _ZN4vllm25paged_attention_v2_kernelIffLi256ELi16ELi128ELNS_18Fp8KVCacheDataTypeE0ELb0ELi512EEEvPfS2_PT_PKS3_PKT0_S9_ifPKiSB_iPKfiiiSD_SD_iiiii.has_dyn_sized_stack, 0
	.set _ZN4vllm25paged_attention_v2_kernelIffLi256ELi16ELi128ELNS_18Fp8KVCacheDataTypeE0ELb0ELi512EEEvPfS2_PT_PKS3_PKT0_S9_ifPKiSB_iPKfiiiSD_SD_iiiii.has_recursion, 0
	.set _ZN4vllm25paged_attention_v2_kernelIffLi256ELi16ELi128ELNS_18Fp8KVCacheDataTypeE0ELb0ELi512EEEvPfS2_PT_PKS3_PKT0_S9_ifPKiSB_iPKfiiiSD_SD_iiiii.has_indirect_call, 0
	.section	.AMDGPU.csdata,"",@progbits
; Kernel info:
; codeLenInByte = 15436
; TotalNumSgprs: 34
; NumVgprs: 180
; ScratchSize: 0
; MemoryBound: 0
; FloatMode: 240
; IeeeMode: 1
; LDSByteSize: 1056 bytes/workgroup (compile time only)
; SGPRBlocks: 0
; VGPRBlocks: 22
; NumSGPRsForWavesPerEU: 34
; NumVGPRsForWavesPerEU: 180
; Occupancy: 8
; WaveLimiterHint : 1
; COMPUTE_PGM_RSRC2:SCRATCH_EN: 0
; COMPUTE_PGM_RSRC2:USER_SGPR: 2
; COMPUTE_PGM_RSRC2:TRAP_HANDLER: 0
; COMPUTE_PGM_RSRC2:TGID_X_EN: 1
; COMPUTE_PGM_RSRC2:TGID_Y_EN: 1
; COMPUTE_PGM_RSRC2:TGID_Z_EN: 1
; COMPUTE_PGM_RSRC2:TIDIG_COMP_CNT: 0
	.section	.text._ZN4vllm25paged_attention_v2_kernelIffLi32ELi32ELi128ELNS_18Fp8KVCacheDataTypeE0ELb1ELi512EEEvPfS2_PT_PKS3_PKT0_S9_ifPKiSB_iPKfiiiSD_SD_iiiii,"axG",@progbits,_ZN4vllm25paged_attention_v2_kernelIffLi32ELi32ELi128ELNS_18Fp8KVCacheDataTypeE0ELb1ELi512EEEvPfS2_PT_PKS3_PKT0_S9_ifPKiSB_iPKfiiiSD_SD_iiiii,comdat
	.protected	_ZN4vllm25paged_attention_v2_kernelIffLi32ELi32ELi128ELNS_18Fp8KVCacheDataTypeE0ELb1ELi512EEEvPfS2_PT_PKS3_PKT0_S9_ifPKiSB_iPKfiiiSD_SD_iiiii ; -- Begin function _ZN4vllm25paged_attention_v2_kernelIffLi32ELi32ELi128ELNS_18Fp8KVCacheDataTypeE0ELb1ELi512EEEvPfS2_PT_PKS3_PKT0_S9_ifPKiSB_iPKfiiiSD_SD_iiiii
	.globl	_ZN4vllm25paged_attention_v2_kernelIffLi32ELi32ELi128ELNS_18Fp8KVCacheDataTypeE0ELb1ELi512EEEvPfS2_PT_PKS3_PKT0_S9_ifPKiSB_iPKfiiiSD_SD_iiiii
	.p2align	8
	.type	_ZN4vllm25paged_attention_v2_kernelIffLi32ELi32ELi128ELNS_18Fp8KVCacheDataTypeE0ELb1ELi512EEEvPfS2_PT_PKS3_PKT0_S9_ifPKiSB_iPKfiiiSD_SD_iiiii,@function
_ZN4vllm25paged_attention_v2_kernelIffLi32ELi32ELi128ELNS_18Fp8KVCacheDataTypeE0ELb1ELi512EEEvPfS2_PT_PKS3_PKT0_S9_ifPKiSB_iPKfiiiSD_SD_iiiii: ; @_ZN4vllm25paged_attention_v2_kernelIffLi32ELi32ELi128ELNS_18Fp8KVCacheDataTypeE0ELb1ELi512EEEvPfS2_PT_PKS3_PKT0_S9_ifPKiSB_iPKfiiiSD_SD_iiiii
; %bb.0:
	s_load_b64 s[2:3], s[0:1], 0x40
	s_and_b32 s20, ttmp7, 0xffff
	s_lshr_b32 s30, ttmp7, 16
	s_lshl_b32 s4, s20, 2
	s_lshl_b32 s34, s30, 9
	s_wait_kmcnt 0x0
	s_load_b32 s31, s[2:3], s4 offset:0x0
	s_wait_kmcnt 0x0
	s_cmp_ge_i32 s34, s31
	s_cbranch_scc1 .LBB45_84
; %bb.1:
	s_clause 0x1
	s_load_b32 s21, s[0:1], 0x90
	s_load_b64 s[8:9], s[0:1], 0x30
	s_wait_kmcnt 0x0
	s_abs_i32 s5, s21
	s_abs_i32 s2, s8
	s_delay_alu instid0(SALU_CYCLE_1) | instskip(SKIP_1) | instid1(SALU_CYCLE_2)
	s_cvt_f32_u32 s3, s2
	s_sub_co_i32 s4, 0, s2
	v_rcp_iflag_f32_e32 v1, s3
	s_delay_alu instid0(TRANS32_DEP_1) | instskip(SKIP_2) | instid1(SALU_CYCLE_2)
	v_readfirstlane_b32 s3, v1
	s_mul_f32 s3, s3, 0x4f7ffffe
	s_wait_alu 0xfffe
	s_cvt_u32_f32 s3, s3
	s_wait_alu 0xfffe
	s_delay_alu instid0(SALU_CYCLE_2) | instskip(NEXT) | instid1(SALU_CYCLE_1)
	s_mul_i32 s4, s4, s3
	s_mul_hi_u32 s4, s3, s4
	s_delay_alu instid0(SALU_CYCLE_1)
	s_add_co_i32 s3, s3, s4
	s_xor_b32 s4, s21, s8
	s_wait_alu 0xfffe
	s_mul_hi_u32 s3, s5, s3
	s_ashr_i32 s4, s4, 31
	s_wait_alu 0xfffe
	s_mul_i32 s6, s3, s2
	s_delay_alu instid0(SALU_CYCLE_1)
	s_sub_co_i32 s5, s5, s6
	s_add_co_i32 s6, s3, 1
	s_sub_co_i32 s7, s5, s2
	s_cmp_ge_u32 s5, s2
	s_cselect_b32 s3, s6, s3
	s_cselect_b32 s5, s7, s5
	s_wait_alu 0xfffe
	s_add_co_i32 s6, s3, 1
	s_cmp_ge_u32 s5, s2
	s_cselect_b32 s2, s6, s3
	s_load_b64 s[6:7], s[0:1], 0x50
	s_xor_b32 s2, s2, s4
	s_mov_b32 s3, 0
	s_wait_alu 0xfffe
	s_sub_co_i32 s16, s2, s4
	s_mov_b32 s15, s3
	s_abs_i32 s18, s16
	s_delay_alu instid0(SALU_CYCLE_1) | instskip(SKIP_1) | instid1(SALU_CYCLE_2)
	s_cvt_f32_u32 s2, s18
	s_wait_alu 0xfffe
	v_rcp_iflag_f32_e32 v1, s2
	s_delay_alu instid0(TRANS32_DEP_1) | instskip(SKIP_2) | instid1(SALU_CYCLE_2)
	v_readfirstlane_b32 s2, v1
	s_mul_f32 s2, s2, 0x4f7ffffe
	s_wait_alu 0xfffe
	s_cvt_u32_f32 s4, s2
	s_sub_co_i32 s2, 0, s18
	s_wait_alu 0xfffe
	s_delay_alu instid0(SALU_CYCLE_1)
	s_mul_i32 s2, s2, s4
	s_wait_alu 0xfffe
	s_mul_hi_u32 s5, s4, s2
	s_abs_i32 s2, ttmp9
	s_add_co_i32 s4, s4, s5
	s_mov_b32 s5, s3
	s_wait_kmcnt 0x0
	s_cmp_eq_u64 s[6:7], 0
	s_cbranch_scc1 .LBB45_3
; %bb.2:
	s_mov_b32 s10, ttmp9
	s_ashr_i32 s11, ttmp9, 31
	s_delay_alu instid0(SALU_CYCLE_1) | instskip(NEXT) | instid1(SALU_CYCLE_1)
	s_lshl_b64 s[10:11], s[10:11], 2
	s_add_nc_u64 s[6:7], s[6:7], s[10:11]
	s_load_b32 s15, s[6:7], 0x0
.LBB45_3:
	s_load_b96 s[12:14], s[0:1], 0x58
	v_lshlrev_b32_e32 v35, 4, v0
	s_mul_u64 s[10:11], s[2:3], s[4:5]
	s_ashr_i32 s3, ttmp9, 31
	s_ashr_i32 s10, s16, 31
	s_lshl_b32 s16, ttmp9, 5
	s_mov_b32 s4, exec_lo
	v_cmpx_gt_u32_e32 8, v0
	s_cbranch_execz .LBB45_5
; %bb.4:
	s_load_b64 s[6:7], s[0:1], 0x18
	s_wait_kmcnt 0x0
	s_mul_i32 s22, s12, s20
	s_ashr_i32 s17, s16, 31
	s_ashr_i32 s23, s22, 31
	s_delay_alu instid0(SALU_CYCLE_1) | instskip(NEXT) | instid1(SALU_CYCLE_1)
	s_lshl_b64 s[22:23], s[22:23], 2
	s_add_nc_u64 s[6:7], s[6:7], s[22:23]
	s_lshl_b64 s[22:23], s[16:17], 2
	s_delay_alu instid0(SALU_CYCLE_1)
	s_add_nc_u64 s[6:7], s[6:7], s[22:23]
	global_load_b128 v[1:4], v35, s[6:7]
	s_wait_loadcnt 0x0
	ds_store_b128 v35, v[1:4]
.LBB45_5:
	s_or_b32 exec_lo, exec_lo, s4
	s_clause 0x1
	s_load_b128 s[4:7], s[0:1], 0x78
	s_load_b32 s22, s[0:1], 0x88
	s_wait_kmcnt 0x0
	s_mul_i32 s12, s11, s18
	s_xor_b32 s3, s3, s10
	s_sub_co_i32 s2, s2, s12
	s_add_co_i32 s10, s11, 1
	s_wait_alu 0xfffe
	s_sub_co_i32 s12, s2, s18
	s_cmp_ge_u32 s2, s18
	s_mov_b32 s24, -1
	s_cselect_b32 s10, s10, s11
	s_cselect_b32 s2, s12, s2
	s_add_co_i32 s11, s10, 1
	s_wait_alu 0xfffe
	s_cmp_ge_u32 s2, s18
	s_wait_dscnt 0x0
	s_cselect_b32 s2, s11, s10
	s_add_co_i32 s23, s31, -1
	s_wait_alu 0xfffe
	s_xor_b32 s2, s2, s3
	s_barrier_signal -1
	s_wait_alu 0xfffe
	s_sub_co_i32 s26, s2, s3
	s_barrier_wait -1
	s_abs_i32 s12, s7
	global_inv scope:SCOPE_SE
	s_cvt_f32_u32 s10, s12
                                        ; implicit-def: $sgpr17
	s_delay_alu instid0(SALU_CYCLE_3) | instskip(NEXT) | instid1(TRANS32_DEP_1)
	v_rcp_iflag_f32_e32 v1, s10
	v_readfirstlane_b32 s10, v1
	s_mul_f32 s2, s10, 0x4f7ffffe
	s_wait_alu 0xfffe
	s_delay_alu instid0(SALU_CYCLE_2) | instskip(SKIP_2) | instid1(SALU_CYCLE_1)
	s_cvt_u32_f32 s10, s2
	s_sub_co_i32 s2, 0, s12
	s_wait_alu 0xfffe
	s_mul_i32 s3, s2, s10
	s_abs_i32 s2, s23
	s_wait_alu 0xfffe
	s_mul_hi_u32 s11, s10, s3
	s_mov_b32 s3, 0
	s_wait_alu 0xfffe
	s_add_co_i32 s18, s10, s11
	s_cmp_lt_i32 s22, 0
	s_mov_b32 s19, s3
	s_cbranch_scc0 .LBB45_7
; %bb.6:
	s_mul_i32 s8, s4, s8
	s_mov_b32 s24, s3
	s_add_co_i32 s8, s26, s8
	s_delay_alu instid0(SALU_CYCLE_1) | instskip(NEXT) | instid1(SALU_CYCLE_1)
	s_mul_i32 s8, s8, s22
	s_sub_co_i32 s17, 1, s8
.LBB45_7:
	s_mul_u64 s[10:11], s[2:3], s[18:19]
	s_ashr_i32 s3, s23, 31
	s_and_not1_b32 vcc_lo, exec_lo, s24
	s_ashr_i32 s19, s7, 31
	s_cbranch_vccnz .LBB45_9
; %bb.8:
	s_mul_i32 s4, s21, s4
	s_delay_alu instid0(SALU_CYCLE_1) | instskip(NEXT) | instid1(SALU_CYCLE_1)
	s_add_co_i32 s4, s4, ttmp9
	s_mul_i32 s4, s4, s22
	s_delay_alu instid0(SALU_CYCLE_1)
	s_add_co_i32 s17, s4, 1
.LBB45_9:
	s_clause 0x2
	s_load_b32 s4, s[0:1], 0x48
	s_load_b64 s[22:23], s[0:1], 0x38
	s_load_b32 s7, s[0:1], 0x98
	s_mul_i32 s8, s11, s12
	s_xor_b32 s3, s3, s19
	s_sub_co_i32 s2, s2, s8
	s_add_co_i32 s10, s11, 1
	v_lshrrev_b32_e32 v39, 5, v0
	v_and_b32_e32 v40, 31, v0
	v_mov_b32_e32 v38, 0xff7fffff
	s_mul_i32 s26, s26, s14
	s_delay_alu instid0(VALU_DEP_3) | instskip(NEXT) | instid1(VALU_DEP_3)
	v_lshl_add_u32 v42, v39, 5, s34
	v_lshlrev_b32_e32 v37, 2, v40
	s_wait_kmcnt 0x0
	s_mul_i32 s24, s4, s20
	s_wait_alu 0xfffe
	s_sub_co_i32 s4, s2, s12
	s_ashr_i32 s25, s24, 31
	s_cmp_ge_u32 s2, s12
	s_cselect_b32 s8, s10, s11
	s_cselect_b32 s2, s4, s2
	s_add_co_i32 s4, s8, 1
	s_wait_alu 0xfffe
	s_cmp_ge_u32 s2, s12
	s_cselect_b32 s2, s4, s8
	s_add_co_i32 s4, s31, 31
	s_lshl_b32 s37, s30, 4
	s_ashr_i32 s8, s4, 31
	v_add_nc_u32_e32 v41, s37, v39
	s_lshr_b32 s8, s8, 27
	s_delay_alu instid0(SALU_CYCLE_1)
	s_add_co_i32 s4, s4, s8
	s_add_co_i32 s8, s37, 16
	s_ashr_i32 s35, s4, 5
	s_wait_alu 0xfffe
	s_xor_b32 s4, s2, s3
	s_min_i32 s33, s8, s35
	v_lshlrev_b32_e32 v36, 2, v41
	v_cmp_gt_i32_e64 s2, s33, v41
	s_sub_co_i32 s36, s4, s3
	s_and_saveexec_b32 s8, s2
	s_cbranch_execz .LBB45_17
; %bb.10:
	s_ashr_i32 s27, s26, 31
	s_wait_alu 0xfffe
	s_sub_co_i32 s10, s36, s5
	s_lshl_b64 s[28:29], s[26:27], 2
	s_cmp_neq_f32 s15, 0
	s_load_b64 s[38:39], s[0:1], 0x20
	v_subrev_nc_u32_e32 v38, s31, v40
	v_mov_b32_e32 v29, 0
	s_cselect_b32 vcc_lo, -1, 0
	s_abs_i32 s11, s6
	v_dual_mov_b32 v48, 0xff7fffff :: v_dual_lshlrev_b32 v33, 4, v40
	s_wait_alu 0xfffe
	s_cvt_f32_u32 s3, s11
	v_add_nc_u32_e32 v46, 1, v38
	ds_load_b128 v[1:4], v29
	ds_load_b128 v[5:8], v29 offset:16
	ds_load_b128 v[9:12], v29 offset:32
	;; [unrolled: 1-line block ×3, first 2 shown]
	s_lshl_b64 s[40:41], s[24:25], 2
	s_wait_alu 0xfffe
	v_rcp_iflag_f32_e32 v17, s3
	v_lshl_or_b32 v47, v39, 7, v37
	s_add_nc_u64 s[40:41], s[22:23], s[40:41]
	s_sub_co_i32 s4, 0, s11
	v_lshl_add_u32 v45, v39, 5, s34
	v_dual_mov_b32 v38, 0xff7fffff :: v_dual_mov_b32 v49, v41
	v_add_nc_u32_e32 v47, 0xa0, v47
	s_mov_b32 s14, s13
	s_wait_kmcnt 0x0
	s_add_nc_u64 s[28:29], s[38:39], s[28:29]
	v_readfirstlane_b32 s3, v17
	ds_load_b128 v[17:20], v29 offset:64
	ds_load_b128 v[21:24], v29 offset:80
	;; [unrolled: 1-line block ×4, first 2 shown]
	v_add_co_u32 v43, s27, s28, v33
	s_delay_alu instid0(VALU_DEP_1)
	v_add_co_ci_u32_e64 v44, null, s29, 0, s27
	s_mul_f32 s3, s3, 0x4f7ffffe
	v_add_co_u32 v33, s27, s40, v36
	s_wait_alu 0xf1ff
	v_add_co_ci_u32_e64 v34, null, s41, 0, s27
	s_wait_alu 0xfffe
	s_cvt_u32_f32 s3, s3
	s_mov_b32 s27, 0
	s_wait_alu 0xfffe
	s_delay_alu instid0(SALU_CYCLE_1) | instskip(NEXT) | instid1(SALU_CYCLE_1)
	s_mul_i32 s4, s4, s3
	s_mul_hi_u32 s4, s3, s4
	s_delay_alu instid0(SALU_CYCLE_1)
	s_add_co_i32 s28, s3, s4
	s_branch .LBB45_12
.LBB45_11:                              ;   in Loop: Header=BB45_12 Depth=1
	s_wait_alu 0xfffe
	s_or_b32 exec_lo, exec_lo, s4
	v_add_nc_u32_e32 v49, 4, v49
	v_add_co_u32 v33, s4, v33, 16
	s_wait_alu 0xf1ff
	v_add_co_ci_u32_e64 v34, null, 0, v34, s4
	s_delay_alu instid0(VALU_DEP_3)
	v_cmp_le_i32_e64 s3, s33, v49
	v_add_nc_u32_e32 v45, 0x80, v45
	v_add_nc_u32_e32 v47, 0x200, v47
	s_or_b32 s27, s3, s27
	s_wait_alu 0xfffe
	s_and_not1_b32 exec_lo, exec_lo, s27
	s_cbranch_execz .LBB45_16
.LBB45_12:                              ; =>This Inner Loop Header: Depth=1
	v_sub_nc_u32_e32 v50, 0, v45
	s_delay_alu instid0(VALU_DEP_1) | instskip(NEXT) | instid1(VALU_DEP_1)
	v_max_i32_e32 v50, v45, v50
	v_mul_hi_u32 v51, v50, s18
	s_delay_alu instid0(VALU_DEP_1) | instskip(NEXT) | instid1(VALU_DEP_1)
	v_mul_lo_u32 v52, v51, s12
	v_sub_nc_u32_e32 v50, v50, v52
	v_add_nc_u32_e32 v52, 1, v51
	s_delay_alu instid0(VALU_DEP_2) | instskip(SKIP_2) | instid1(VALU_DEP_1)
	v_subrev_nc_u32_e32 v53, s12, v50
	v_cmp_le_u32_e64 s3, s12, v50
	s_wait_alu 0xf1ff
	v_cndmask_b32_e64 v51, v51, v52, s3
	s_delay_alu instid0(VALU_DEP_3) | instskip(SKIP_1) | instid1(VALU_DEP_3)
	v_cndmask_b32_e64 v50, v50, v53, s3
	v_ashrrev_i32_e32 v52, 31, v45
	v_add_nc_u32_e32 v53, 1, v51
	s_delay_alu instid0(VALU_DEP_3) | instskip(NEXT) | instid1(VALU_DEP_3)
	v_cmp_le_u32_e64 s3, s12, v50
	v_xor_b32_e32 v52, s19, v52
	s_wait_alu 0xf1ff
	s_delay_alu instid0(VALU_DEP_2) | instskip(NEXT) | instid1(VALU_DEP_1)
	v_cndmask_b32_e64 v50, v51, v53, s3
	v_xor_b32_e32 v50, v50, v52
	s_delay_alu instid0(VALU_DEP_1) | instskip(NEXT) | instid1(VALU_DEP_1)
	v_sub_nc_u32_e32 v50, v50, v52
	v_add_nc_u32_e32 v51, s17, v50
	v_cmp_ge_i32_e64 s4, s10, v50
	s_delay_alu instid0(VALU_DEP_2) | instskip(NEXT) | instid1(VALU_DEP_1)
	v_sub_nc_u32_e32 v52, 0, v51
	v_max_i32_e32 v52, v51, v52
	v_ashrrev_i32_e32 v51, 31, v51
	s_wait_alu 0xfffe
	s_delay_alu instid0(VALU_DEP_2) | instskip(NEXT) | instid1(VALU_DEP_1)
	v_mul_hi_u32 v53, v52, s28
	v_mul_lo_u32 v53, v53, s11
	s_delay_alu instid0(VALU_DEP_1) | instskip(NEXT) | instid1(VALU_DEP_1)
	v_sub_nc_u32_e32 v52, v52, v53
	v_subrev_nc_u32_e32 v53, s11, v52
	v_cmp_le_u32_e64 s3, s11, v52
	s_wait_alu 0xf1ff
	s_delay_alu instid0(VALU_DEP_1) | instskip(NEXT) | instid1(VALU_DEP_1)
	v_cndmask_b32_e64 v52, v52, v53, s3
	v_subrev_nc_u32_e32 v53, s11, v52
	v_cmp_le_u32_e64 s3, s11, v52
	s_wait_alu 0xf1ff
	s_delay_alu instid0(VALU_DEP_1) | instskip(NEXT) | instid1(VALU_DEP_1)
	v_cndmask_b32_e64 v52, v52, v53, s3
	v_xor_b32_e32 v52, v52, v51
	s_delay_alu instid0(VALU_DEP_1) | instskip(NEXT) | instid1(VALU_DEP_1)
	v_sub_nc_u32_e32 v51, v52, v51
	v_cmp_ne_u32_e64 s3, 0, v51
	s_and_b32 s3, s3, s4
	s_wait_alu 0xfffe
	s_and_saveexec_b32 s4, s3
	s_wait_alu 0xfffe
	s_xor_b32 s3, exec_lo, s4
; %bb.13:                               ;   in Loop: Header=BB45_12 Depth=1
	ds_store_b32 v47, v48
; %bb.14:                               ;   in Loop: Header=BB45_12 Depth=1
	s_wait_alu 0xfffe
	s_and_not1_saveexec_b32 s4, s3
	s_cbranch_execz .LBB45_11
; %bb.15:                               ;   in Loop: Header=BB45_12 Depth=1
	global_load_b32 v50, v[33:34], off
	s_wait_loadcnt 0x0
	v_mad_co_i64_i32 v[50:51], null, v50, s14, 0
	s_delay_alu instid0(VALU_DEP_1) | instskip(NEXT) | instid1(VALU_DEP_1)
	v_lshlrev_b64_e32 v[50:51], 2, v[50:51]
	v_add_co_u32 v78, s3, v43, v50
	s_wait_alu 0xf1ff
	s_delay_alu instid0(VALU_DEP_2)
	v_add_co_ci_u32_e64 v79, null, v44, v51, s3
	s_clause 0x7
	global_load_b128 v[50:53], v[78:79], off offset:512
	global_load_b128 v[54:57], v[78:79], off
	global_load_b128 v[58:61], v[78:79], off offset:1024
	global_load_b128 v[62:65], v[78:79], off offset:1536
	;; [unrolled: 1-line block ×6, first 2 shown]
	s_wait_loadcnt_dscnt 0x706
	v_dual_mul_f32 v50, v5, v50 :: v_dual_mul_f32 v51, v6, v51
	v_dual_mul_f32 v52, v7, v52 :: v_dual_mul_f32 v53, v8, v53
	s_wait_loadcnt 0x6
	s_delay_alu instid0(VALU_DEP_2) | instskip(NEXT) | instid1(VALU_DEP_2)
	v_dual_fmac_f32 v50, v1, v54 :: v_dual_fmac_f32 v51, v2, v55
	v_fmac_f32_e32 v52, v3, v56
	v_add_nc_u32_e32 v54, v46, v45
	s_wait_loadcnt_dscnt 0x505
	s_delay_alu instid0(VALU_DEP_3) | instskip(NEXT) | instid1(VALU_DEP_3)
	v_dual_fmac_f32 v53, v4, v57 :: v_dual_fmac_f32 v50, v9, v58
	v_dual_fmac_f32 v51, v10, v59 :: v_dual_fmac_f32 v52, v11, v60
	s_delay_alu instid0(VALU_DEP_3) | instskip(SKIP_1) | instid1(VALU_DEP_3)
	v_cvt_f32_i32_e32 v54, v54
	s_wait_loadcnt_dscnt 0x404
	v_dual_fmac_f32 v53, v12, v61 :: v_dual_fmac_f32 v50, v13, v62
	s_delay_alu instid0(VALU_DEP_3) | instskip(SKIP_1) | instid1(VALU_DEP_2)
	v_dual_fmac_f32 v51, v14, v63 :: v_dual_fmac_f32 v52, v15, v64
	s_wait_loadcnt_dscnt 0x303
	v_dual_fmac_f32 v53, v16, v65 :: v_dual_fmac_f32 v50, v17, v66
	s_delay_alu instid0(VALU_DEP_2) | instskip(SKIP_1) | instid1(VALU_DEP_2)
	v_dual_fmac_f32 v51, v18, v67 :: v_dual_fmac_f32 v52, v19, v68
	s_wait_loadcnt_dscnt 0x202
	v_dual_fmac_f32 v53, v20, v69 :: v_dual_fmac_f32 v50, v21, v70
	s_delay_alu instid0(VALU_DEP_2) | instskip(SKIP_1) | instid1(VALU_DEP_2)
	;; [unrolled: 4-line block ×3, first 2 shown]
	v_dual_fmac_f32 v51, v26, v75 :: v_dual_fmac_f32 v52, v27, v76
	s_wait_loadcnt_dscnt 0x0
	v_dual_fmac_f32 v53, v28, v77 :: v_dual_fmac_f32 v50, v29, v78
	s_delay_alu instid0(VALU_DEP_2) | instskip(NEXT) | instid1(VALU_DEP_1)
	v_dual_fmac_f32 v51, v30, v79 :: v_dual_fmac_f32 v52, v31, v80
	v_dual_fmac_f32 v53, v32, v81 :: v_dual_add_f32 v50, v50, v51
	v_mul_f32_e32 v51, s15, v54
	s_delay_alu instid0(VALU_DEP_1) | instskip(SKIP_1) | instid1(VALU_DEP_2)
	v_dual_add_f32 v50, v52, v50 :: v_dual_cndmask_b32 v51, 0, v51
	v_max_num_f32_e32 v52, v38, v38
	v_add_f32_e32 v50, v53, v50
	s_delay_alu instid0(VALU_DEP_1) | instskip(NEXT) | instid1(VALU_DEP_1)
	v_dual_fmac_f32 v51, s9, v50 :: v_dual_add_nc_u32 v50, v40, v45
	v_max_num_f32_e32 v52, v52, v51
	s_delay_alu instid0(VALU_DEP_2) | instskip(SKIP_1) | instid1(VALU_DEP_1)
	v_cmp_gt_i32_e64 s3, s31, v50
	s_wait_alu 0xf1ff
	v_cndmask_b32_e64 v50, 0, v51, s3
	s_delay_alu instid0(VALU_DEP_3)
	v_cndmask_b32_e64 v38, v38, v52, s3
	ds_store_b32 v47, v50
	s_branch .LBB45_11
.LBB45_16:
	s_or_b32 exec_lo, exec_lo, s27
.LBB45_17:
	s_delay_alu instid0(SALU_CYCLE_1)
	s_or_b32 exec_lo, exec_lo, s8
	s_wait_dscnt 0x7
	v_mbcnt_lo_u32_b32 v1, -1, 0
	s_clause 0x2
	s_load_b128 s[8:11], s[0:1], 0x0
	s_load_b64 s[14:15], s[0:1], 0x10
	s_load_b64 s[28:29], s[0:1], 0x28
	v_xor_b32_e32 v2, 16, v1
	v_xor_b32_e32 v4, 8, v1
	s_delay_alu instid0(VALU_DEP_2) | instskip(SKIP_2) | instid1(VALU_DEP_3)
	v_cmp_gt_i32_e32 vcc_lo, 32, v2
	s_wait_alu 0xfffd
	v_cndmask_b32_e32 v2, v1, v2, vcc_lo
	v_cmp_gt_i32_e32 vcc_lo, 32, v4
	s_wait_dscnt 0x6
	v_max_num_f32_e32 v5, v38, v38
	s_delay_alu instid0(VALU_DEP_3)
	v_lshlrev_b32_e32 v2, 2, v2
	s_wait_alu 0xfffd
	v_cndmask_b32_e32 v4, v1, v4, vcc_lo
	ds_bpermute_b32 v3, v2, v38
	s_wait_dscnt 0x0
	v_dual_max_num_f32 v6, v3, v3 :: v_dual_lshlrev_b32 v3, 2, v4
	s_delay_alu instid0(VALU_DEP_1)
	v_max_num_f32_e32 v4, v5, v6
	v_xor_b32_e32 v6, 4, v1
	ds_bpermute_b32 v5, v3, v4
	v_cmp_gt_i32_e32 vcc_lo, 32, v6
	s_wait_alu 0xfffd
	v_cndmask_b32_e32 v6, v1, v6, vcc_lo
	s_wait_dscnt 0x0
	v_max_num_f32_e32 v5, v5, v5
	s_delay_alu instid0(VALU_DEP_2) | instskip(SKIP_1) | instid1(VALU_DEP_3)
	v_lshlrev_b32_e32 v45, 2, v6
	v_xor_b32_e32 v6, 2, v1
	v_max_num_f32_e32 v4, v4, v5
	s_delay_alu instid0(VALU_DEP_2) | instskip(SKIP_3) | instid1(VALU_DEP_1)
	v_cmp_gt_i32_e32 vcc_lo, 32, v6
	ds_bpermute_b32 v5, v45, v4
	s_wait_alu 0xfffd
	v_cndmask_b32_e32 v6, v1, v6, vcc_lo
	v_lshlrev_b32_e32 v44, 2, v6
	v_xor_b32_e32 v6, 1, v1
	s_delay_alu instid0(VALU_DEP_1)
	v_cmp_gt_i32_e32 vcc_lo, 32, v6
	s_wait_alu 0xfffd
	v_cndmask_b32_e32 v6, v1, v6, vcc_lo
	v_cmp_eq_u32_e32 vcc_lo, 0, v40
	s_wait_dscnt 0x0
	v_max_num_f32_e32 v5, v5, v5
	s_delay_alu instid0(VALU_DEP_1) | instskip(SKIP_3) | instid1(VALU_DEP_1)
	v_dual_max_num_f32 v4, v4, v5 :: v_dual_lshlrev_b32 v43, 2, v6
	ds_bpermute_b32 v5, v44, v4
	s_wait_dscnt 0x0
	v_max_num_f32_e32 v5, v5, v5
	v_max_num_f32_e32 v1, v4, v5
	v_lshlrev_b32_e32 v5, 2, v39
	ds_bpermute_b32 v4, v43, v1
	s_and_saveexec_b32 s0, vcc_lo
	s_cbranch_execz .LBB45_19
; %bb.18:
	s_wait_dscnt 0x0
	v_dual_max_num_f32 v4, v4, v4 :: v_dual_max_num_f32 v1, v1, v1
	s_delay_alu instid0(VALU_DEP_1)
	v_max_num_f32_e32 v1, v1, v4
	ds_store_b32 v5, v1 offset:128
.LBB45_19:
	s_or_b32 exec_lo, exec_lo, s0
	v_cmp_gt_u32_e64 s0, 4, v40
	v_mov_b32_e32 v1, 0xff7fffff
	s_wait_loadcnt_dscnt 0x0
	s_barrier_signal -1
	s_barrier_wait -1
	global_inv scope:SCOPE_SE
	s_and_saveexec_b32 s1, s0
; %bb.20:
	ds_load_b32 v1, v37 offset:128
; %bb.21:
	s_or_b32 exec_lo, exec_lo, s1
	s_wait_dscnt 0x0
	ds_bpermute_b32 v4, v44, v1
	v_max_num_f32_e32 v1, v1, v1
	s_sub_co_i32 s1, s33, s37
	v_mov_b32_e32 v6, 0
	s_lshl_b32 s1, s1, 5
	s_delay_alu instid0(SALU_CYCLE_1) | instskip(NEXT) | instid1(SALU_CYCLE_1)
	s_add_co_i32 s1, s1, s34
	s_min_i32 s1, s1, s31
	s_delay_alu instid0(SALU_CYCLE_1) | instskip(SKIP_4) | instid1(VALU_DEP_1)
	s_sub_co_i32 s4, s1, s34
	s_wait_alu 0xfffe
	v_cmp_gt_i32_e64 s1, s4, v0
	s_wait_dscnt 0x0
	v_max_num_f32_e32 v4, v4, v4
	v_max_num_f32_e32 v1, v1, v4
	ds_bpermute_b32 v4, v43, v1
	s_wait_dscnt 0x0
	v_max_num_f32_e32 v4, v4, v4
	s_delay_alu instid0(VALU_DEP_1)
	v_max_num_f32_e32 v1, v1, v4
	v_lshl_add_u32 v4, v0, 2, 0xa0
	ds_bpermute_b32 v1, v6, v1
	s_and_saveexec_b32 s27, s1
	s_cbranch_execz .LBB45_25
; %bb.22:
	v_lshl_add_u32 v7, v0, 2, 0xa0
	v_mov_b32_e32 v6, 0
	v_mov_b32_e32 v8, v0
	s_mov_b32 s34, 0
.LBB45_23:                              ; =>This Inner Loop Header: Depth=1
	ds_load_b32 v9, v7
	v_add_nc_u32_e32 v8, 0x80, v8
	s_delay_alu instid0(VALU_DEP_1) | instskip(SKIP_4) | instid1(VALU_DEP_1)
	v_cmp_le_i32_e64 s3, s4, v8
	s_wait_alu 0xfffe
	s_or_b32 s34, s3, s34
	s_wait_dscnt 0x0
	v_sub_f32_e32 v9, v9, v1
	v_mul_f32_e32 v9, 0x3fb8aa3b, v9
	s_delay_alu instid0(VALU_DEP_1)
	v_exp_f32_e32 v9, v9
	ds_store_b32 v7, v9
	v_dual_add_f32 v6, v6, v9 :: v_dual_add_nc_u32 v7, 0x200, v7
	s_wait_alu 0xfffe
	s_and_not1_b32 exec_lo, exec_lo, s34
	s_cbranch_execnz .LBB45_23
; %bb.24:
	s_or_b32 exec_lo, exec_lo, s34
.LBB45_25:
	s_wait_alu 0xfffe
	s_or_b32 exec_lo, exec_lo, s27
	ds_bpermute_b32 v2, v2, v6
	s_wait_dscnt 0x0
	v_add_f32_e32 v2, v6, v2
	ds_bpermute_b32 v3, v3, v2
	s_wait_dscnt 0x0
	v_add_f32_e32 v2, v2, v3
	;; [unrolled: 3-line block ×5, first 2 shown]
	s_and_saveexec_b32 s3, vcc_lo
; %bb.26:
	ds_store_b32 v5, v2 offset:144
; %bb.27:
	s_wait_alu 0xfffe
	s_or_b32 exec_lo, exec_lo, s3
	s_wait_loadcnt_dscnt 0x0
	s_barrier_signal -1
	s_barrier_wait -1
	global_inv scope:SCOPE_SE
	s_and_saveexec_b32 s3, s0
; %bb.28:
	ds_load_b32 v2, v37 offset:144
; %bb.29:
	s_wait_alu 0xfffe
	s_or_b32 exec_lo, exec_lo, s3
	s_wait_dscnt 0x0
	ds_bpermute_b32 v3, v44, v2
	s_wait_dscnt 0x0
	v_add_f32_e32 v2, v2, v3
	ds_bpermute_b32 v3, v43, v2
	s_wait_dscnt 0x0
	v_dual_add_f32 v2, v2, v3 :: v_dual_mov_b32 v3, 0
	ds_bpermute_b32 v2, v3, v2
	s_and_saveexec_b32 s0, s1
	s_cbranch_execz .LBB45_32
; %bb.30:
	s_wait_dscnt 0x0
	v_add_f32_e32 v3, 0x358637bd, v2
	s_mov_b32 s1, 0
	s_delay_alu instid0(VALU_DEP_1) | instskip(SKIP_1) | instid1(VALU_DEP_2)
	v_div_scale_f32 v5, null, v3, v3, 1.0
	v_div_scale_f32 v8, vcc_lo, 1.0, v3, 1.0
	v_rcp_f32_e32 v6, v5
	s_delay_alu instid0(TRANS32_DEP_1) | instskip(NEXT) | instid1(VALU_DEP_1)
	v_fma_f32 v7, -v5, v6, 1.0
	v_fmac_f32_e32 v6, v7, v6
	s_delay_alu instid0(VALU_DEP_1) | instskip(NEXT) | instid1(VALU_DEP_1)
	v_mul_f32_e32 v7, v8, v6
	v_fma_f32 v9, -v5, v7, v8
	s_delay_alu instid0(VALU_DEP_1) | instskip(NEXT) | instid1(VALU_DEP_1)
	v_fmac_f32_e32 v7, v9, v6
	v_fma_f32 v5, -v5, v7, v8
	s_wait_alu 0xfffd
	s_delay_alu instid0(VALU_DEP_1) | instskip(NEXT) | instid1(VALU_DEP_1)
	v_div_fmas_f32 v5, v5, v6, v7
	v_div_fixup_f32 v3, v5, v3, 1.0
	v_mov_b32_e32 v5, v0
.LBB45_31:                              ; =>This Inner Loop Header: Depth=1
	ds_load_b32 v6, v4
	s_wait_dscnt 0x0
	v_dual_mul_f32 v6, v3, v6 :: v_dual_add_nc_u32 v5, 0x80, v5
	s_delay_alu instid0(VALU_DEP_1) | instskip(SKIP_3) | instid1(SALU_CYCLE_1)
	v_cmp_le_i32_e32 vcc_lo, s4, v5
	ds_store_b32 v4, v6
	v_add_nc_u32_e32 v4, 0x200, v4
	s_or_b32 s1, vcc_lo, s1
	s_and_not1_b32 exec_lo, exec_lo, s1
	s_cbranch_execnz .LBB45_31
.LBB45_32:
	s_or_b32 exec_lo, exec_lo, s0
	s_mul_i32 s0, s7, s20
	s_wait_loadcnt_dscnt 0x0
	s_mul_i32 s20, s0, s21
	s_mov_b32 s0, exec_lo
	s_barrier_signal -1
	s_barrier_wait -1
	global_inv scope:SCOPE_SE
	v_cmpx_eq_u32_e32 0, v0
	s_cbranch_execz .LBB45_34
; %bb.33:
	s_ashr_i32 s21, s20, 31
	s_mul_i32 s38, s7, ttmp9
	s_lshl_b32 s1, s30, 2
	s_lshl_b64 s[40:41], s[20:21], 2
	s_ashr_i32 s39, s38, 31
	v_mov_b32_e32 v3, s1
	s_wait_kmcnt 0x0
	s_wait_alu 0xfffe
	s_add_nc_u64 s[10:11], s[10:11], s[40:41]
	s_lshl_b64 s[38:39], s[38:39], 2
	s_add_nc_u64 s[8:9], s[8:9], s[40:41]
	s_wait_alu 0xfffe
	s_add_nc_u64 s[10:11], s[10:11], s[38:39]
	s_add_nc_u64 s[8:9], s[8:9], s[38:39]
	s_clause 0x1
	global_store_b32 v3, v1, s[10:11]
	global_store_b32 v3, v2, s[8:9]
.LBB45_34:
	s_or_b32 exec_lo, exec_lo, s0
	v_dual_mov_b32 v53, 0 :: v_dual_and_b32 v46, 7, v0
	v_dual_mov_b32 v54, 0 :: v_dual_mov_b32 v51, 0
	v_dual_mov_b32 v52, 0 :: v_dual_mov_b32 v49, 0
	;; [unrolled: 1-line block ×3, first 2 shown]
	v_mov_b32_e32 v48, 0
	s_and_saveexec_b32 s1, s2
	s_cbranch_execz .LBB45_56
; %bb.35:
	s_abs_i32 s2, s6
	v_dual_mov_b32 v49, 0 :: v_dual_lshlrev_b32 v4, 4, v46
	s_wait_alu 0xfffe
	s_cvt_f32_u32 s0, s2
	s_ashr_i32 s27, s26, 31
	s_wait_kmcnt 0x0
	s_lshl_b64 s[8:9], s[24:25], 2
	v_dual_mov_b32 v48, 0 :: v_dual_and_b32 v3, 0x1f0, v35
	s_wait_alu 0xfffe
	v_rcp_iflag_f32_e32 v1, s0
	s_lshl_b64 s[10:11], s[26:27], 2
	s_add_nc_u64 s[8:9], s[22:23], s[8:9]
	v_dual_mov_b32 v47, 0 :: v_dual_lshlrev_b32 v2, 2, v0
	s_wait_alu 0xfffe
	s_add_nc_u64 s[10:11], s[28:29], s[10:11]
	v_add_co_u32 v37, s6, s8, v36
	s_sub_co_i32 s3, s36, s5
	s_sub_co_i32 s5, 0, s2
	s_delay_alu instid0(TRANS32_DEP_1)
	v_readfirstlane_b32 s0, v1
	v_lshl_or_b32 v1, v39, 7, v4
	v_add_co_ci_u32_e64 v38, null, s9, 0, s6
	s_wait_alu 0xfffe
	v_add_co_u32 v56, s6, s10, v3
	s_mul_f32 s0, s0, 0x4f7ffffe
	v_dual_mov_b32 v50, 0 :: v_dual_and_b32 v55, 28, v2
	v_add_co_ci_u32_e64 v57, null, s11, 0, s6
	s_wait_alu 0xfffe
	s_cvt_u32_f32 s0, s0
	v_dual_mov_b32 v51, 0 :: v_dual_add_nc_u32 v58, 0xa0, v1
	v_dual_mov_b32 v52, 0 :: v_dual_mov_b32 v53, 0
	s_wait_alu 0xfffe
	s_mul_i32 s5, s5, s0
	v_mov_b32_e32 v54, 0
	s_wait_alu 0xfffe
	s_mul_hi_u32 s6, s0, s5
	s_mov_b32 s4, s13
	s_add_co_i32 s35, s35, -1
	s_mov_b32 s5, 0
	s_wait_alu 0xfffe
	s_add_co_i32 s6, s0, s6
	s_branch .LBB45_38
.LBB45_36:                              ;   in Loop: Header=BB45_38 Depth=1
	s_wait_alu 0xfffe
	s_or_b32 exec_lo, exec_lo, s0
	s_wait_loadcnt_dscnt 0x500
	v_mul_f32_e32 v13, v1, v13
	s_wait_loadcnt 0x3
	v_mul_f32_e32 v21, v1, v21
	s_wait_loadcnt 0x1
	v_mul_f32_e32 v29, v1, v29
	v_mul_f32_e32 v9, v1, v9
	;; [unrolled: 1-line block ×3, first 2 shown]
	v_fmac_f32_e32 v13, v2, v14
	v_fmac_f32_e32 v21, v2, v22
	v_mul_f32_e32 v17, v1, v17
	v_mul_f32_e32 v5, v1, v5
	s_wait_loadcnt 0x0
	v_mul_f32_e32 v1, v1, v33
	v_fmac_f32_e32 v13, v3, v15
	v_fmac_f32_e32 v21, v3, v23
	;; [unrolled: 1-line block ×9, first 2 shown]
	s_delay_alu instid0(VALU_DEP_4) | instskip(NEXT) | instid1(VALU_DEP_3)
	v_dual_fmac_f32 v9, v3, v11 :: v_dual_add_f32 v52, v52, v13
	v_dual_fmac_f32 v29, v3, v31 :: v_dual_add_f32 v50, v50, v21
	v_fmac_f32_e32 v17, v3, v19
	v_fmac_f32_e32 v5, v3, v7
	;; [unrolled: 1-line block ×3, first 2 shown]
	s_delay_alu instid0(VALU_DEP_4) | instskip(SKIP_4) | instid1(VALU_DEP_4)
	v_fmac_f32_e32 v29, v4, v32
	v_fmac_f32_e32 v25, v2, v26
	;; [unrolled: 1-line block ×5, first 2 shown]
	v_dual_add_f32 v48, v48, v29 :: v_dual_fmac_f32 v25, v3, v27
	s_delay_alu instid0(VALU_DEP_4) | instskip(NEXT) | instid1(VALU_DEP_4)
	v_dual_add_f32 v54, v54, v9 :: v_dual_fmac_f32 v1, v4, v36
	v_add_f32_e32 v51, v51, v17
	s_delay_alu instid0(VALU_DEP_4) | instskip(NEXT) | instid1(VALU_DEP_4)
	v_add_f32_e32 v53, v53, v5
	v_fmac_f32_e32 v25, v4, v28
	s_delay_alu instid0(VALU_DEP_4) | instskip(NEXT) | instid1(VALU_DEP_2)
	v_add_f32_e32 v47, v47, v1
	v_add_f32_e32 v49, v49, v25
.LBB45_37:                              ;   in Loop: Header=BB45_38 Depth=1
	s_wait_alu 0xfffe
	s_or_b32 exec_lo, exec_lo, s8
	v_add_nc_u32_e32 v41, 4, v41
	v_add_co_u32 v37, s0, v37, 16
	s_wait_alu 0xf1ff
	v_add_co_ci_u32_e64 v38, null, 0, v38, s0
	s_delay_alu instid0(VALU_DEP_3)
	v_cmp_le_i32_e32 vcc_lo, s33, v41
	v_add_nc_u32_e32 v42, 0x80, v42
	v_add_nc_u32_e32 v58, 0x200, v58
	s_or_b32 s5, vcc_lo, s5
	s_wait_alu 0xfffe
	s_and_not1_b32 exec_lo, exec_lo, s5
	s_cbranch_execz .LBB45_55
.LBB45_38:                              ; =>This Inner Loop Header: Depth=1
	v_sub_nc_u32_e32 v1, 0, v42
	s_delay_alu instid0(VALU_DEP_1) | instskip(NEXT) | instid1(VALU_DEP_1)
	v_max_i32_e32 v1, v42, v1
	v_mul_hi_u32 v2, v1, s18
	s_delay_alu instid0(VALU_DEP_1) | instskip(NEXT) | instid1(VALU_DEP_1)
	v_mul_lo_u32 v3, v2, s12
	v_sub_nc_u32_e32 v1, v1, v3
	v_add_nc_u32_e32 v3, 1, v2
	s_delay_alu instid0(VALU_DEP_2) | instskip(SKIP_2) | instid1(VALU_DEP_2)
	v_subrev_nc_u32_e32 v4, s12, v1
	v_cmp_le_u32_e32 vcc_lo, s12, v1
	s_wait_alu 0xfffd
	v_dual_cndmask_b32 v2, v2, v3 :: v_dual_cndmask_b32 v1, v1, v4
	v_ashrrev_i32_e32 v3, 31, v42
	s_delay_alu instid0(VALU_DEP_2) | instskip(NEXT) | instid1(VALU_DEP_3)
	v_add_nc_u32_e32 v4, 1, v2
	v_cmp_le_u32_e32 vcc_lo, s12, v1
	s_delay_alu instid0(VALU_DEP_3) | instskip(SKIP_1) | instid1(VALU_DEP_3)
	v_xor_b32_e32 v3, s19, v3
	s_wait_alu 0xfffd
	v_cndmask_b32_e32 v1, v2, v4, vcc_lo
	s_delay_alu instid0(VALU_DEP_1) | instskip(NEXT) | instid1(VALU_DEP_1)
	v_xor_b32_e32 v1, v1, v3
	v_sub_nc_u32_e32 v1, v1, v3
	s_delay_alu instid0(VALU_DEP_1) | instskip(SKIP_1) | instid1(VALU_DEP_2)
	v_add_nc_u32_e32 v2, s17, v1
	v_cmp_lt_i32_e64 s0, s3, v1
	v_sub_nc_u32_e32 v3, 0, v2
	s_delay_alu instid0(VALU_DEP_1) | instskip(SKIP_1) | instid1(VALU_DEP_1)
	v_max_i32_e32 v3, v2, v3
	s_wait_alu 0xfffe
	v_mul_hi_u32 v4, v3, s6
	s_delay_alu instid0(VALU_DEP_1) | instskip(NEXT) | instid1(VALU_DEP_1)
	v_mul_lo_u32 v4, v4, s2
	v_sub_nc_u32_e32 v3, v3, v4
	s_delay_alu instid0(VALU_DEP_1) | instskip(SKIP_2) | instid1(VALU_DEP_2)
	v_subrev_nc_u32_e32 v4, s2, v3
	v_cmp_le_u32_e32 vcc_lo, s2, v3
	s_wait_alu 0xfffd
	v_cndmask_b32_e32 v3, v3, v4, vcc_lo
	v_ashrrev_i32_e32 v2, 31, v2
	s_delay_alu instid0(VALU_DEP_2) | instskip(SKIP_2) | instid1(VALU_DEP_2)
	v_subrev_nc_u32_e32 v4, s2, v3
	v_cmp_le_u32_e32 vcc_lo, s2, v3
	s_wait_alu 0xfffd
	v_cndmask_b32_e32 v3, v3, v4, vcc_lo
	s_delay_alu instid0(VALU_DEP_1) | instskip(NEXT) | instid1(VALU_DEP_1)
	v_xor_b32_e32 v3, v3, v2
	v_sub_nc_u32_e32 v2, v3, v2
	s_delay_alu instid0(VALU_DEP_1)
	v_cmp_eq_u32_e32 vcc_lo, 0, v2
	s_or_b32 s0, vcc_lo, s0
	s_wait_alu 0xfffe
	s_and_saveexec_b32 s8, s0
	s_cbranch_execz .LBB45_37
; %bb.39:                               ;   in Loop: Header=BB45_38 Depth=1
	global_load_b32 v1, v[37:38], off
	v_add_nc_u32_e32 v59, v55, v42
	s_delay_alu instid0(VALU_DEP_1) | instskip(SKIP_4) | instid1(VALU_DEP_1)
	v_add_nc_u32_e32 v62, 1, v59
	v_add_nc_u32_e32 v61, 2, v59
	;; [unrolled: 1-line block ×3, first 2 shown]
	s_wait_loadcnt 0x0
	v_mad_co_i64_i32 v[1:2], null, v1, s4, 0
	v_lshlrev_b64_e32 v[1:2], 2, v[1:2]
	s_delay_alu instid0(VALU_DEP_1) | instskip(SKIP_1) | instid1(VALU_DEP_2)
	v_add_co_u32 v33, vcc_lo, v56, v1
	s_wait_alu 0xfffd
	v_add_co_ci_u32_e64 v34, null, v57, v2, vcc_lo
	ds_load_b128 v[1:4], v58
	v_cmp_eq_u32_e32 vcc_lo, s35, v41
	global_load_b128 v[5:8], v[33:34], off
	s_and_saveexec_b32 s9, vcc_lo
	s_cbranch_execnz .LBB45_47
; %bb.40:                               ;   in Loop: Header=BB45_38 Depth=1
	s_wait_alu 0xfffe
	s_or_b32 exec_lo, exec_lo, s9
	global_load_b128 v[9:12], v[33:34], off offset:512
	s_and_saveexec_b32 s9, vcc_lo
	s_cbranch_execnz .LBB45_48
.LBB45_41:                              ;   in Loop: Header=BB45_38 Depth=1
	s_wait_alu 0xfffe
	s_or_b32 exec_lo, exec_lo, s9
	global_load_b128 v[13:16], v[33:34], off offset:1024
	s_and_saveexec_b32 s9, vcc_lo
	s_cbranch_execnz .LBB45_49
.LBB45_42:                              ;   in Loop: Header=BB45_38 Depth=1
	s_wait_alu 0xfffe
	s_or_b32 exec_lo, exec_lo, s9
	global_load_b128 v[17:20], v[33:34], off offset:1536
	s_and_saveexec_b32 s9, vcc_lo
	s_cbranch_execnz .LBB45_50
.LBB45_43:                              ;   in Loop: Header=BB45_38 Depth=1
	s_wait_alu 0xfffe
	s_or_b32 exec_lo, exec_lo, s9
	global_load_b128 v[21:24], v[33:34], off offset:2048
	s_and_saveexec_b32 s9, vcc_lo
	s_cbranch_execnz .LBB45_51
.LBB45_44:                              ;   in Loop: Header=BB45_38 Depth=1
	s_wait_alu 0xfffe
	s_or_b32 exec_lo, exec_lo, s9
	global_load_b128 v[25:28], v[33:34], off offset:2560
	s_and_saveexec_b32 s9, vcc_lo
	s_cbranch_execnz .LBB45_52
.LBB45_45:                              ;   in Loop: Header=BB45_38 Depth=1
	s_wait_alu 0xfffe
	s_or_b32 exec_lo, exec_lo, s9
	global_load_b128 v[29:32], v[33:34], off offset:3072
	s_and_saveexec_b32 s9, vcc_lo
	s_cbranch_execnz .LBB45_53
.LBB45_46:                              ;   in Loop: Header=BB45_38 Depth=1
	s_wait_alu 0xfffe
	s_or_b32 exec_lo, exec_lo, s9
	global_load_b128 v[33:36], v[33:34], off offset:3584
	s_and_saveexec_b32 s0, vcc_lo
	s_cbranch_execz .LBB45_36
	s_branch .LBB45_54
.LBB45_47:                              ;   in Loop: Header=BB45_38 Depth=1
	v_cmp_gt_i32_e64 s0, s31, v59
	s_wait_loadcnt 0x0
	s_wait_alu 0xf1ff
	s_delay_alu instid0(VALU_DEP_1) | instskip(SKIP_2) | instid1(VALU_DEP_1)
	v_cndmask_b32_e64 v5, 0, v5, s0
	v_cmp_gt_i32_e64 s0, s31, v62
	s_wait_alu 0xf1ff
	v_cndmask_b32_e64 v6, 0, v6, s0
	v_cmp_gt_i32_e64 s0, s31, v61
	s_wait_alu 0xf1ff
	s_delay_alu instid0(VALU_DEP_1) | instskip(SKIP_2) | instid1(VALU_DEP_1)
	v_cndmask_b32_e64 v7, 0, v7, s0
	v_cmp_gt_i32_e64 s0, s31, v60
	s_wait_alu 0xf1ff
	v_cndmask_b32_e64 v8, 0, v8, s0
	s_wait_alu 0xfffe
	s_or_b32 exec_lo, exec_lo, s9
	global_load_b128 v[9:12], v[33:34], off offset:512
	s_and_saveexec_b32 s9, vcc_lo
	s_cbranch_execz .LBB45_41
.LBB45_48:                              ;   in Loop: Header=BB45_38 Depth=1
	v_cmp_gt_i32_e64 s0, s31, v59
	s_wait_loadcnt 0x0
	s_wait_alu 0xf1ff
	s_delay_alu instid0(VALU_DEP_1) | instskip(SKIP_2) | instid1(VALU_DEP_1)
	v_cndmask_b32_e64 v9, 0, v9, s0
	v_cmp_gt_i32_e64 s0, s31, v62
	s_wait_alu 0xf1ff
	v_cndmask_b32_e64 v10, 0, v10, s0
	v_cmp_gt_i32_e64 s0, s31, v61
	s_wait_alu 0xf1ff
	s_delay_alu instid0(VALU_DEP_1) | instskip(SKIP_2) | instid1(VALU_DEP_1)
	v_cndmask_b32_e64 v11, 0, v11, s0
	v_cmp_gt_i32_e64 s0, s31, v60
	s_wait_alu 0xf1ff
	v_cndmask_b32_e64 v12, 0, v12, s0
	s_wait_alu 0xfffe
	s_or_b32 exec_lo, exec_lo, s9
	global_load_b128 v[13:16], v[33:34], off offset:1024
	s_and_saveexec_b32 s9, vcc_lo
	s_cbranch_execz .LBB45_42
.LBB45_49:                              ;   in Loop: Header=BB45_38 Depth=1
	v_cmp_gt_i32_e64 s0, s31, v59
	s_wait_loadcnt 0x0
	s_wait_alu 0xf1ff
	s_delay_alu instid0(VALU_DEP_1) | instskip(SKIP_2) | instid1(VALU_DEP_1)
	v_cndmask_b32_e64 v13, 0, v13, s0
	v_cmp_gt_i32_e64 s0, s31, v62
	s_wait_alu 0xf1ff
	v_cndmask_b32_e64 v14, 0, v14, s0
	v_cmp_gt_i32_e64 s0, s31, v61
	s_wait_alu 0xf1ff
	s_delay_alu instid0(VALU_DEP_1) | instskip(SKIP_2) | instid1(VALU_DEP_1)
	v_cndmask_b32_e64 v15, 0, v15, s0
	v_cmp_gt_i32_e64 s0, s31, v60
	s_wait_alu 0xf1ff
	v_cndmask_b32_e64 v16, 0, v16, s0
	s_wait_alu 0xfffe
	s_or_b32 exec_lo, exec_lo, s9
	global_load_b128 v[17:20], v[33:34], off offset:1536
	s_and_saveexec_b32 s9, vcc_lo
	s_cbranch_execz .LBB45_43
.LBB45_50:                              ;   in Loop: Header=BB45_38 Depth=1
	v_cmp_gt_i32_e64 s0, s31, v59
	s_wait_loadcnt 0x0
	s_wait_alu 0xf1ff
	s_delay_alu instid0(VALU_DEP_1) | instskip(SKIP_2) | instid1(VALU_DEP_1)
	v_cndmask_b32_e64 v17, 0, v17, s0
	v_cmp_gt_i32_e64 s0, s31, v62
	s_wait_alu 0xf1ff
	v_cndmask_b32_e64 v18, 0, v18, s0
	v_cmp_gt_i32_e64 s0, s31, v61
	s_wait_alu 0xf1ff
	s_delay_alu instid0(VALU_DEP_1) | instskip(SKIP_2) | instid1(VALU_DEP_1)
	v_cndmask_b32_e64 v19, 0, v19, s0
	v_cmp_gt_i32_e64 s0, s31, v60
	s_wait_alu 0xf1ff
	v_cndmask_b32_e64 v20, 0, v20, s0
	s_wait_alu 0xfffe
	s_or_b32 exec_lo, exec_lo, s9
	global_load_b128 v[21:24], v[33:34], off offset:2048
	s_and_saveexec_b32 s9, vcc_lo
	s_cbranch_execz .LBB45_44
.LBB45_51:                              ;   in Loop: Header=BB45_38 Depth=1
	v_cmp_gt_i32_e64 s0, s31, v59
	s_wait_loadcnt 0x0
	s_wait_alu 0xf1ff
	s_delay_alu instid0(VALU_DEP_1) | instskip(SKIP_2) | instid1(VALU_DEP_1)
	v_cndmask_b32_e64 v21, 0, v21, s0
	v_cmp_gt_i32_e64 s0, s31, v62
	s_wait_alu 0xf1ff
	v_cndmask_b32_e64 v22, 0, v22, s0
	v_cmp_gt_i32_e64 s0, s31, v61
	s_wait_alu 0xf1ff
	s_delay_alu instid0(VALU_DEP_1) | instskip(SKIP_2) | instid1(VALU_DEP_1)
	v_cndmask_b32_e64 v23, 0, v23, s0
	v_cmp_gt_i32_e64 s0, s31, v60
	s_wait_alu 0xf1ff
	v_cndmask_b32_e64 v24, 0, v24, s0
	s_wait_alu 0xfffe
	s_or_b32 exec_lo, exec_lo, s9
	global_load_b128 v[25:28], v[33:34], off offset:2560
	s_and_saveexec_b32 s9, vcc_lo
	s_cbranch_execz .LBB45_45
.LBB45_52:                              ;   in Loop: Header=BB45_38 Depth=1
	v_cmp_gt_i32_e64 s0, s31, v59
	s_wait_loadcnt 0x0
	s_wait_alu 0xf1ff
	s_delay_alu instid0(VALU_DEP_1) | instskip(SKIP_2) | instid1(VALU_DEP_1)
	v_cndmask_b32_e64 v25, 0, v25, s0
	v_cmp_gt_i32_e64 s0, s31, v62
	s_wait_alu 0xf1ff
	v_cndmask_b32_e64 v26, 0, v26, s0
	v_cmp_gt_i32_e64 s0, s31, v61
	s_wait_alu 0xf1ff
	s_delay_alu instid0(VALU_DEP_1) | instskip(SKIP_2) | instid1(VALU_DEP_1)
	v_cndmask_b32_e64 v27, 0, v27, s0
	v_cmp_gt_i32_e64 s0, s31, v60
	s_wait_alu 0xf1ff
	v_cndmask_b32_e64 v28, 0, v28, s0
	s_wait_alu 0xfffe
	s_or_b32 exec_lo, exec_lo, s9
	global_load_b128 v[29:32], v[33:34], off offset:3072
	s_and_saveexec_b32 s9, vcc_lo
	s_cbranch_execz .LBB45_46
.LBB45_53:                              ;   in Loop: Header=BB45_38 Depth=1
	v_cmp_gt_i32_e64 s0, s31, v59
	s_wait_loadcnt 0x0
	s_wait_alu 0xf1ff
	s_delay_alu instid0(VALU_DEP_1) | instskip(SKIP_2) | instid1(VALU_DEP_1)
	v_cndmask_b32_e64 v29, 0, v29, s0
	v_cmp_gt_i32_e64 s0, s31, v62
	s_wait_alu 0xf1ff
	v_cndmask_b32_e64 v30, 0, v30, s0
	v_cmp_gt_i32_e64 s0, s31, v61
	s_wait_alu 0xf1ff
	s_delay_alu instid0(VALU_DEP_1) | instskip(SKIP_2) | instid1(VALU_DEP_1)
	v_cndmask_b32_e64 v31, 0, v31, s0
	v_cmp_gt_i32_e64 s0, s31, v60
	s_wait_alu 0xf1ff
	v_cndmask_b32_e64 v32, 0, v32, s0
	s_wait_alu 0xfffe
	s_or_b32 exec_lo, exec_lo, s9
	global_load_b128 v[33:36], v[33:34], off offset:3584
	s_and_saveexec_b32 s0, vcc_lo
	s_cbranch_execz .LBB45_36
.LBB45_54:                              ;   in Loop: Header=BB45_38 Depth=1
	v_cmp_gt_i32_e32 vcc_lo, s31, v59
	s_wait_loadcnt 0x0
	s_wait_alu 0xfffd
	v_cndmask_b32_e32 v33, 0, v33, vcc_lo
	v_cmp_gt_i32_e32 vcc_lo, s31, v62
	s_wait_alu 0xfffd
	v_cndmask_b32_e32 v34, 0, v34, vcc_lo
	v_cmp_gt_i32_e32 vcc_lo, s31, v61
	;; [unrolled: 3-line block ×3, first 2 shown]
	s_wait_alu 0xfffd
	v_cndmask_b32_e32 v36, 0, v36, vcc_lo
	s_branch .LBB45_36
.LBB45_55:
	s_or_b32 exec_lo, exec_lo, s5
.LBB45_56:
	s_wait_alu 0xfffe
	s_or_b32 exec_lo, exec_lo, s1
	ds_bpermute_b32 v1, v45, v53
	ds_bpermute_b32 v2, v45, v54
	;; [unrolled: 1-line block ×8, first 2 shown]
	s_mov_b32 s0, exec_lo
	s_wait_storecnt 0x0
	s_wait_loadcnt_dscnt 0x0
	s_barrier_signal -1
	s_barrier_wait -1
	global_inv scope:SCOPE_SE
	v_dual_add_f32 v1, v53, v1 :: v_dual_add_f32 v2, v54, v2
	v_dual_add_f32 v3, v52, v3 :: v_dual_add_f32 v4, v51, v4
	;; [unrolled: 1-line block ×4, first 2 shown]
	ds_bpermute_b32 v9, v44, v1
	ds_bpermute_b32 v10, v44, v2
	;; [unrolled: 1-line block ×8, first 2 shown]
	s_wait_dscnt 0x6
	v_dual_add_f32 v1, v1, v9 :: v_dual_add_f32 v2, v2, v10
	s_wait_dscnt 0x4
	v_dual_add_f32 v3, v3, v11 :: v_dual_add_f32 v4, v4, v12
	;; [unrolled: 2-line block ×4, first 2 shown]
	ds_bpermute_b32 v11, v43, v1
	ds_bpermute_b32 v12, v43, v2
	;; [unrolled: 1-line block ×8, first 2 shown]
	v_lshrrev_b32_e32 v9, 3, v40
	v_and_b32_e32 v19, 0x3c7, v0
	s_delay_alu instid0(VALU_DEP_2)
	v_lshl_add_u32 v10, v9, 2, 0xa0
	s_wait_dscnt 0x6
	v_dual_add_f32 v1, v1, v11 :: v_dual_add_f32 v2, v2, v12
	s_wait_dscnt 0x4
	v_dual_add_f32 v3, v3, v13 :: v_dual_add_f32 v4, v4, v14
	s_wait_dscnt 0x2
	v_dual_add_f32 v5, v5, v15 :: v_dual_add_f32 v6, v6, v16
	s_wait_dscnt 0x0
	v_dual_add_f32 v7, v7, v17 :: v_dual_add_f32 v8, v8, v18
	v_cmpx_eq_u32_e32 64, v19
	s_cbranch_execz .LBB45_58
; %bb.57:
	v_lshl_add_u32 v11, v39, 7, v10
	s_delay_alu instid0(VALU_DEP_1)
	v_add_nc_u32_e32 v12, 0xffffff00, v11
	v_add_nc_u32_e32 v13, 0xffffff10, v11
	;; [unrolled: 1-line block ×8, first 2 shown]
	ds_store_b32 v12, v1
	ds_store_b32 v13, v2
	;; [unrolled: 1-line block ×8, first 2 shown]
.LBB45_58:
	s_wait_alu 0xfffe
	s_or_b32 exec_lo, exec_lo, s0
	v_and_b32_e32 v11, 0x3e0, v0
	v_lshlrev_b32_e32 v9, 2, v9
	s_mov_b32 s1, exec_lo
	v_cmp_eq_u32_e32 vcc_lo, 0, v46
	s_wait_loadcnt_dscnt 0x0
	v_lshlrev_b32_e32 v11, 2, v11
	s_barrier_signal -1
	s_barrier_wait -1
	global_inv scope:SCOPE_SE
	v_add3_u32 v9, 0xa0, v11, v9
	v_cmpx_gt_u32_e32 64, v0
	s_cbranch_execz .LBB45_69
; %bb.59:
	s_and_saveexec_b32 s0, vcc_lo
	s_cbranch_execnz .LBB45_85
; %bb.60:
	s_wait_alu 0xfffe
	s_or_b32 exec_lo, exec_lo, s0
	s_and_saveexec_b32 s0, vcc_lo
	s_cbranch_execnz .LBB45_86
.LBB45_61:
	s_wait_alu 0xfffe
	s_or_b32 exec_lo, exec_lo, s0
	s_and_saveexec_b32 s0, vcc_lo
	s_cbranch_execnz .LBB45_87
.LBB45_62:
	s_wait_alu 0xfffe
	s_or_b32 exec_lo, exec_lo, s0
	s_and_saveexec_b32 s0, vcc_lo
	s_cbranch_execnz .LBB45_88
.LBB45_63:
	s_wait_alu 0xfffe
	s_or_b32 exec_lo, exec_lo, s0
	s_and_saveexec_b32 s0, vcc_lo
	s_cbranch_execnz .LBB45_89
.LBB45_64:
	s_wait_alu 0xfffe
	s_or_b32 exec_lo, exec_lo, s0
	s_and_saveexec_b32 s0, vcc_lo
	s_cbranch_execnz .LBB45_90
.LBB45_65:
	s_wait_alu 0xfffe
	s_or_b32 exec_lo, exec_lo, s0
	s_and_saveexec_b32 s0, vcc_lo
	s_cbranch_execnz .LBB45_91
.LBB45_66:
	s_wait_alu 0xfffe
	s_or_b32 exec_lo, exec_lo, s0
	s_and_saveexec_b32 s0, vcc_lo
	s_cbranch_execz .LBB45_68
.LBB45_67:
	ds_load_b32 v11, v9 offset:112
	s_wait_dscnt 0x0
	v_add_f32_e32 v8, v8, v11
.LBB45_68:
	s_wait_alu 0xfffe
	s_or_b32 exec_lo, exec_lo, s0
.LBB45_69:
	s_wait_alu 0xfffe
	s_or_b32 exec_lo, exec_lo, s1
	v_and_b32_e32 v11, 0x3e7, v0
	s_mov_b32 s1, exec_lo
	s_wait_loadcnt 0x0
	s_barrier_signal -1
	s_barrier_wait -1
	global_inv scope:SCOPE_SE
	v_cmpx_eq_u32_e32 32, v11
	s_cbranch_execz .LBB45_71
; %bb.70:
	ds_store_2addr_b32 v10, v1, v2 offset1:4
	ds_store_2addr_b32 v10, v3, v4 offset0:8 offset1:12
	ds_store_2addr_b32 v10, v5, v6 offset0:16 offset1:20
	;; [unrolled: 1-line block ×3, first 2 shown]
.LBB45_71:
	s_wait_alu 0xfffe
	s_or_b32 exec_lo, exec_lo, s1
	s_delay_alu instid0(SALU_CYCLE_1)
	s_mov_b32 s1, exec_lo
	s_wait_loadcnt_dscnt 0x0
	s_barrier_signal -1
	s_barrier_wait -1
	global_inv scope:SCOPE_SE
	v_cmpx_gt_u32_e32 32, v0
	s_cbranch_execz .LBB45_82
; %bb.72:
	s_and_saveexec_b32 s0, vcc_lo
	s_cbranch_execnz .LBB45_92
; %bb.73:
	s_wait_alu 0xfffe
	s_or_b32 exec_lo, exec_lo, s0
	s_and_saveexec_b32 s0, vcc_lo
	s_cbranch_execnz .LBB45_93
.LBB45_74:
	s_wait_alu 0xfffe
	s_or_b32 exec_lo, exec_lo, s0
	s_and_saveexec_b32 s0, vcc_lo
	s_cbranch_execnz .LBB45_94
.LBB45_75:
	s_wait_alu 0xfffe
	s_or_b32 exec_lo, exec_lo, s0
	s_and_saveexec_b32 s0, vcc_lo
	s_cbranch_execnz .LBB45_95
.LBB45_76:
	s_wait_alu 0xfffe
	s_or_b32 exec_lo, exec_lo, s0
	s_and_saveexec_b32 s0, vcc_lo
	s_cbranch_execnz .LBB45_96
.LBB45_77:
	s_wait_alu 0xfffe
	s_or_b32 exec_lo, exec_lo, s0
	s_and_saveexec_b32 s0, vcc_lo
	s_cbranch_execnz .LBB45_97
.LBB45_78:
	s_wait_alu 0xfffe
	s_or_b32 exec_lo, exec_lo, s0
	s_and_saveexec_b32 s0, vcc_lo
	s_cbranch_execnz .LBB45_98
.LBB45_79:
	s_wait_alu 0xfffe
	s_or_b32 exec_lo, exec_lo, s0
	s_and_saveexec_b32 s0, vcc_lo
	s_cbranch_execz .LBB45_81
.LBB45_80:
	ds_load_b32 v9, v9 offset:112
	s_wait_dscnt 0x0
	v_add_f32_e32 v8, v8, v9
.LBB45_81:
	s_wait_alu 0xfffe
	s_or_b32 exec_lo, exec_lo, s0
.LBB45_82:
	s_wait_alu 0xfffe
	s_or_b32 exec_lo, exec_lo, s1
	s_mov_b32 s1, 0
	s_wait_loadcnt 0x0
	s_barrier_signal -1
	s_barrier_wait -1
	global_inv scope:SCOPE_SE
	s_mov_b32 s0, exec_lo
	v_cmpx_eq_u32_e32 0, v11
	s_cbranch_execz .LBB45_84
; %bb.83:
	s_lshl_b32 s2, s20, 5
	s_mul_i32 s4, s7, s16
	s_wait_alu 0xfffe
	s_ashr_i32 s3, s2, 31
	s_ashr_i32 s5, s4, 31
	s_wait_alu 0xfffe
	s_lshl_b64 s[2:3], s[2:3], 2
	s_lshl_b64 s[4:5], s[4:5], 2
	s_wait_kmcnt 0x0
	s_wait_alu 0xfffe
	s_add_nc_u64 s[2:3], s[14:15], s[2:3]
	v_lshrrev_b32_e32 v0, 1, v0
	s_lshl_b32 s0, s30, 7
	s_wait_alu 0xfffe
	s_add_nc_u64 s[2:3], s[2:3], s[4:5]
	s_wait_alu 0xfffe
	s_add_nc_u64 s[0:1], s[2:3], s[0:1]
	s_clause 0x7
	global_store_b32 v0, v1, s[0:1]
	global_store_b32 v0, v2, s[0:1] offset:16
	global_store_b32 v0, v3, s[0:1] offset:32
	;; [unrolled: 1-line block ×7, first 2 shown]
.LBB45_84:
	s_endpgm
.LBB45_85:
	ds_load_b32 v11, v9
	s_wait_dscnt 0x0
	v_add_f32_e32 v1, v1, v11
	s_wait_alu 0xfffe
	s_or_b32 exec_lo, exec_lo, s0
	s_and_saveexec_b32 s0, vcc_lo
	s_cbranch_execz .LBB45_61
.LBB45_86:
	ds_load_b32 v11, v9 offset:16
	s_wait_dscnt 0x0
	v_add_f32_e32 v2, v2, v11
	s_wait_alu 0xfffe
	s_or_b32 exec_lo, exec_lo, s0
	s_and_saveexec_b32 s0, vcc_lo
	s_cbranch_execz .LBB45_62
.LBB45_87:
	ds_load_b32 v11, v9 offset:32
	s_wait_dscnt 0x0
	v_add_f32_e32 v3, v3, v11
	s_wait_alu 0xfffe
	s_or_b32 exec_lo, exec_lo, s0
	s_and_saveexec_b32 s0, vcc_lo
	s_cbranch_execz .LBB45_63
.LBB45_88:
	ds_load_b32 v11, v9 offset:48
	s_wait_dscnt 0x0
	v_add_f32_e32 v4, v4, v11
	s_wait_alu 0xfffe
	s_or_b32 exec_lo, exec_lo, s0
	s_and_saveexec_b32 s0, vcc_lo
	s_cbranch_execz .LBB45_64
.LBB45_89:
	ds_load_b32 v11, v9 offset:64
	s_wait_dscnt 0x0
	v_add_f32_e32 v5, v5, v11
	s_wait_alu 0xfffe
	s_or_b32 exec_lo, exec_lo, s0
	s_and_saveexec_b32 s0, vcc_lo
	s_cbranch_execz .LBB45_65
.LBB45_90:
	ds_load_b32 v11, v9 offset:80
	s_wait_dscnt 0x0
	v_add_f32_e32 v6, v6, v11
	s_wait_alu 0xfffe
	s_or_b32 exec_lo, exec_lo, s0
	s_and_saveexec_b32 s0, vcc_lo
	s_cbranch_execz .LBB45_66
.LBB45_91:
	ds_load_b32 v11, v9 offset:96
	s_wait_dscnt 0x0
	v_add_f32_e32 v7, v7, v11
	s_wait_alu 0xfffe
	s_or_b32 exec_lo, exec_lo, s0
	s_and_saveexec_b32 s0, vcc_lo
	s_cbranch_execnz .LBB45_67
	s_branch .LBB45_68
.LBB45_92:
	ds_load_b32 v10, v9
	s_wait_dscnt 0x0
	v_add_f32_e32 v1, v1, v10
	s_wait_alu 0xfffe
	s_or_b32 exec_lo, exec_lo, s0
	s_and_saveexec_b32 s0, vcc_lo
	s_cbranch_execz .LBB45_74
.LBB45_93:
	ds_load_b32 v10, v9 offset:16
	s_wait_dscnt 0x0
	v_add_f32_e32 v2, v2, v10
	s_wait_alu 0xfffe
	s_or_b32 exec_lo, exec_lo, s0
	s_and_saveexec_b32 s0, vcc_lo
	s_cbranch_execz .LBB45_75
.LBB45_94:
	ds_load_b32 v10, v9 offset:32
	s_wait_dscnt 0x0
	v_add_f32_e32 v3, v3, v10
	s_wait_alu 0xfffe
	s_or_b32 exec_lo, exec_lo, s0
	s_and_saveexec_b32 s0, vcc_lo
	s_cbranch_execz .LBB45_76
.LBB45_95:
	ds_load_b32 v10, v9 offset:48
	s_wait_dscnt 0x0
	v_add_f32_e32 v4, v4, v10
	s_wait_alu 0xfffe
	s_or_b32 exec_lo, exec_lo, s0
	s_and_saveexec_b32 s0, vcc_lo
	s_cbranch_execz .LBB45_77
.LBB45_96:
	ds_load_b32 v10, v9 offset:64
	s_wait_dscnt 0x0
	v_add_f32_e32 v5, v5, v10
	s_wait_alu 0xfffe
	s_or_b32 exec_lo, exec_lo, s0
	s_and_saveexec_b32 s0, vcc_lo
	s_cbranch_execz .LBB45_78
.LBB45_97:
	ds_load_b32 v10, v9 offset:80
	s_wait_dscnt 0x0
	v_add_f32_e32 v6, v6, v10
	s_wait_alu 0xfffe
	s_or_b32 exec_lo, exec_lo, s0
	s_and_saveexec_b32 s0, vcc_lo
	s_cbranch_execz .LBB45_79
.LBB45_98:
	ds_load_b32 v10, v9 offset:96
	s_wait_dscnt 0x0
	v_add_f32_e32 v7, v7, v10
	s_wait_alu 0xfffe
	s_or_b32 exec_lo, exec_lo, s0
	s_and_saveexec_b32 s0, vcc_lo
	s_cbranch_execnz .LBB45_80
	s_branch .LBB45_81
	.section	.rodata,"a",@progbits
	.p2align	6, 0x0
	.amdhsa_kernel _ZN4vllm25paged_attention_v2_kernelIffLi32ELi32ELi128ELNS_18Fp8KVCacheDataTypeE0ELb1ELi512EEEvPfS2_PT_PKS3_PKT0_S9_ifPKiSB_iPKfiiiSD_SD_iiiii
		.amdhsa_group_segment_fixed_size 160
		.amdhsa_private_segment_fixed_size 0
		.amdhsa_kernarg_size 400
		.amdhsa_user_sgpr_count 2
		.amdhsa_user_sgpr_dispatch_ptr 0
		.amdhsa_user_sgpr_queue_ptr 0
		.amdhsa_user_sgpr_kernarg_segment_ptr 1
		.amdhsa_user_sgpr_dispatch_id 0
		.amdhsa_user_sgpr_private_segment_size 0
		.amdhsa_wavefront_size32 1
		.amdhsa_uses_dynamic_stack 0
		.amdhsa_enable_private_segment 0
		.amdhsa_system_sgpr_workgroup_id_x 1
		.amdhsa_system_sgpr_workgroup_id_y 1
		.amdhsa_system_sgpr_workgroup_id_z 1
		.amdhsa_system_sgpr_workgroup_info 0
		.amdhsa_system_vgpr_workitem_id 0
		.amdhsa_next_free_vgpr 82
		.amdhsa_next_free_sgpr 42
		.amdhsa_reserve_vcc 1
		.amdhsa_float_round_mode_32 0
		.amdhsa_float_round_mode_16_64 0
		.amdhsa_float_denorm_mode_32 3
		.amdhsa_float_denorm_mode_16_64 3
		.amdhsa_fp16_overflow 0
		.amdhsa_workgroup_processor_mode 1
		.amdhsa_memory_ordered 1
		.amdhsa_forward_progress 1
		.amdhsa_inst_pref_size 55
		.amdhsa_round_robin_scheduling 0
		.amdhsa_exception_fp_ieee_invalid_op 0
		.amdhsa_exception_fp_denorm_src 0
		.amdhsa_exception_fp_ieee_div_zero 0
		.amdhsa_exception_fp_ieee_overflow 0
		.amdhsa_exception_fp_ieee_underflow 0
		.amdhsa_exception_fp_ieee_inexact 0
		.amdhsa_exception_int_div_zero 0
	.end_amdhsa_kernel
	.section	.text._ZN4vllm25paged_attention_v2_kernelIffLi32ELi32ELi128ELNS_18Fp8KVCacheDataTypeE0ELb1ELi512EEEvPfS2_PT_PKS3_PKT0_S9_ifPKiSB_iPKfiiiSD_SD_iiiii,"axG",@progbits,_ZN4vllm25paged_attention_v2_kernelIffLi32ELi32ELi128ELNS_18Fp8KVCacheDataTypeE0ELb1ELi512EEEvPfS2_PT_PKS3_PKT0_S9_ifPKiSB_iPKfiiiSD_SD_iiiii,comdat
.Lfunc_end45:
	.size	_ZN4vllm25paged_attention_v2_kernelIffLi32ELi32ELi128ELNS_18Fp8KVCacheDataTypeE0ELb1ELi512EEEvPfS2_PT_PKS3_PKT0_S9_ifPKiSB_iPKfiiiSD_SD_iiiii, .Lfunc_end45-_ZN4vllm25paged_attention_v2_kernelIffLi32ELi32ELi128ELNS_18Fp8KVCacheDataTypeE0ELb1ELi512EEEvPfS2_PT_PKS3_PKT0_S9_ifPKiSB_iPKfiiiSD_SD_iiiii
                                        ; -- End function
	.set _ZN4vllm25paged_attention_v2_kernelIffLi32ELi32ELi128ELNS_18Fp8KVCacheDataTypeE0ELb1ELi512EEEvPfS2_PT_PKS3_PKT0_S9_ifPKiSB_iPKfiiiSD_SD_iiiii.num_vgpr, 82
	.set _ZN4vllm25paged_attention_v2_kernelIffLi32ELi32ELi128ELNS_18Fp8KVCacheDataTypeE0ELb1ELi512EEEvPfS2_PT_PKS3_PKT0_S9_ifPKiSB_iPKfiiiSD_SD_iiiii.num_agpr, 0
	.set _ZN4vllm25paged_attention_v2_kernelIffLi32ELi32ELi128ELNS_18Fp8KVCacheDataTypeE0ELb1ELi512EEEvPfS2_PT_PKS3_PKT0_S9_ifPKiSB_iPKfiiiSD_SD_iiiii.numbered_sgpr, 42
	.set _ZN4vllm25paged_attention_v2_kernelIffLi32ELi32ELi128ELNS_18Fp8KVCacheDataTypeE0ELb1ELi512EEEvPfS2_PT_PKS3_PKT0_S9_ifPKiSB_iPKfiiiSD_SD_iiiii.num_named_barrier, 0
	.set _ZN4vllm25paged_attention_v2_kernelIffLi32ELi32ELi128ELNS_18Fp8KVCacheDataTypeE0ELb1ELi512EEEvPfS2_PT_PKS3_PKT0_S9_ifPKiSB_iPKfiiiSD_SD_iiiii.private_seg_size, 0
	.set _ZN4vllm25paged_attention_v2_kernelIffLi32ELi32ELi128ELNS_18Fp8KVCacheDataTypeE0ELb1ELi512EEEvPfS2_PT_PKS3_PKT0_S9_ifPKiSB_iPKfiiiSD_SD_iiiii.uses_vcc, 1
	.set _ZN4vllm25paged_attention_v2_kernelIffLi32ELi32ELi128ELNS_18Fp8KVCacheDataTypeE0ELb1ELi512EEEvPfS2_PT_PKS3_PKT0_S9_ifPKiSB_iPKfiiiSD_SD_iiiii.uses_flat_scratch, 0
	.set _ZN4vllm25paged_attention_v2_kernelIffLi32ELi32ELi128ELNS_18Fp8KVCacheDataTypeE0ELb1ELi512EEEvPfS2_PT_PKS3_PKT0_S9_ifPKiSB_iPKfiiiSD_SD_iiiii.has_dyn_sized_stack, 0
	.set _ZN4vllm25paged_attention_v2_kernelIffLi32ELi32ELi128ELNS_18Fp8KVCacheDataTypeE0ELb1ELi512EEEvPfS2_PT_PKS3_PKT0_S9_ifPKiSB_iPKfiiiSD_SD_iiiii.has_recursion, 0
	.set _ZN4vllm25paged_attention_v2_kernelIffLi32ELi32ELi128ELNS_18Fp8KVCacheDataTypeE0ELb1ELi512EEEvPfS2_PT_PKS3_PKT0_S9_ifPKiSB_iPKfiiiSD_SD_iiiii.has_indirect_call, 0
	.section	.AMDGPU.csdata,"",@progbits
; Kernel info:
; codeLenInByte = 6928
; TotalNumSgprs: 44
; NumVgprs: 82
; ScratchSize: 0
; MemoryBound: 0
; FloatMode: 240
; IeeeMode: 1
; LDSByteSize: 160 bytes/workgroup (compile time only)
; SGPRBlocks: 0
; VGPRBlocks: 10
; NumSGPRsForWavesPerEU: 44
; NumVGPRsForWavesPerEU: 82
; Occupancy: 16
; WaveLimiterHint : 1
; COMPUTE_PGM_RSRC2:SCRATCH_EN: 0
; COMPUTE_PGM_RSRC2:USER_SGPR: 2
; COMPUTE_PGM_RSRC2:TRAP_HANDLER: 0
; COMPUTE_PGM_RSRC2:TGID_X_EN: 1
; COMPUTE_PGM_RSRC2:TGID_Y_EN: 1
; COMPUTE_PGM_RSRC2:TGID_Z_EN: 1
; COMPUTE_PGM_RSRC2:TIDIG_COMP_CNT: 0
	.section	.text._ZN4vllm25paged_attention_v2_kernelIffLi64ELi32ELi128ELNS_18Fp8KVCacheDataTypeE0ELb1ELi512EEEvPfS2_PT_PKS3_PKT0_S9_ifPKiSB_iPKfiiiSD_SD_iiiii,"axG",@progbits,_ZN4vllm25paged_attention_v2_kernelIffLi64ELi32ELi128ELNS_18Fp8KVCacheDataTypeE0ELb1ELi512EEEvPfS2_PT_PKS3_PKT0_S9_ifPKiSB_iPKfiiiSD_SD_iiiii,comdat
	.protected	_ZN4vllm25paged_attention_v2_kernelIffLi64ELi32ELi128ELNS_18Fp8KVCacheDataTypeE0ELb1ELi512EEEvPfS2_PT_PKS3_PKT0_S9_ifPKiSB_iPKfiiiSD_SD_iiiii ; -- Begin function _ZN4vllm25paged_attention_v2_kernelIffLi64ELi32ELi128ELNS_18Fp8KVCacheDataTypeE0ELb1ELi512EEEvPfS2_PT_PKS3_PKT0_S9_ifPKiSB_iPKfiiiSD_SD_iiiii
	.globl	_ZN4vllm25paged_attention_v2_kernelIffLi64ELi32ELi128ELNS_18Fp8KVCacheDataTypeE0ELb1ELi512EEEvPfS2_PT_PKS3_PKT0_S9_ifPKiSB_iPKfiiiSD_SD_iiiii
	.p2align	8
	.type	_ZN4vllm25paged_attention_v2_kernelIffLi64ELi32ELi128ELNS_18Fp8KVCacheDataTypeE0ELb1ELi512EEEvPfS2_PT_PKS3_PKT0_S9_ifPKiSB_iPKfiiiSD_SD_iiiii,@function
_ZN4vllm25paged_attention_v2_kernelIffLi64ELi32ELi128ELNS_18Fp8KVCacheDataTypeE0ELb1ELi512EEEvPfS2_PT_PKS3_PKT0_S9_ifPKiSB_iPKfiiiSD_SD_iiiii: ; @_ZN4vllm25paged_attention_v2_kernelIffLi64ELi32ELi128ELNS_18Fp8KVCacheDataTypeE0ELb1ELi512EEEvPfS2_PT_PKS3_PKT0_S9_ifPKiSB_iPKfiiiSD_SD_iiiii
; %bb.0:
	s_load_b64 s[2:3], s[0:1], 0x40
	s_and_b32 s18, ttmp7, 0xffff
	s_lshr_b32 s30, ttmp7, 16
	s_lshl_b32 s4, s18, 2
	s_lshl_b32 s34, s30, 9
	s_wait_kmcnt 0x0
	s_load_b32 s31, s[2:3], s4 offset:0x0
	s_wait_kmcnt 0x0
	s_cmp_ge_i32 s34, s31
	s_cbranch_scc1 .LBB46_116
; %bb.1:
	s_clause 0x1
	s_load_b32 s19, s[0:1], 0x90
	s_load_b64 s[8:9], s[0:1], 0x30
	s_wait_kmcnt 0x0
	s_abs_i32 s5, s19
	s_abs_i32 s2, s8
	s_delay_alu instid0(SALU_CYCLE_1) | instskip(SKIP_1) | instid1(SALU_CYCLE_2)
	s_cvt_f32_u32 s3, s2
	s_sub_co_i32 s4, 0, s2
	v_rcp_iflag_f32_e32 v1, s3
	s_delay_alu instid0(TRANS32_DEP_1) | instskip(SKIP_2) | instid1(SALU_CYCLE_2)
	v_readfirstlane_b32 s3, v1
	s_mul_f32 s3, s3, 0x4f7ffffe
	s_wait_alu 0xfffe
	s_cvt_u32_f32 s3, s3
	s_wait_alu 0xfffe
	s_delay_alu instid0(SALU_CYCLE_2) | instskip(NEXT) | instid1(SALU_CYCLE_1)
	s_mul_i32 s4, s4, s3
	s_mul_hi_u32 s4, s3, s4
	s_delay_alu instid0(SALU_CYCLE_1)
	s_add_co_i32 s3, s3, s4
	s_xor_b32 s4, s19, s8
	s_wait_alu 0xfffe
	s_mul_hi_u32 s3, s5, s3
	s_ashr_i32 s4, s4, 31
	s_wait_alu 0xfffe
	s_mul_i32 s6, s3, s2
	s_delay_alu instid0(SALU_CYCLE_1)
	s_sub_co_i32 s5, s5, s6
	s_add_co_i32 s6, s3, 1
	s_sub_co_i32 s7, s5, s2
	s_cmp_ge_u32 s5, s2
	s_cselect_b32 s3, s6, s3
	s_cselect_b32 s5, s7, s5
	s_wait_alu 0xfffe
	s_add_co_i32 s6, s3, 1
	s_cmp_ge_u32 s5, s2
	s_cselect_b32 s2, s6, s3
	s_load_b64 s[6:7], s[0:1], 0x50
	s_xor_b32 s2, s2, s4
	s_mov_b32 s3, 0
	s_wait_alu 0xfffe
	s_sub_co_i32 s16, s2, s4
	s_mov_b32 s15, s3
	s_abs_i32 s20, s16
	s_delay_alu instid0(SALU_CYCLE_1) | instskip(SKIP_1) | instid1(SALU_CYCLE_2)
	s_cvt_f32_u32 s2, s20
	s_wait_alu 0xfffe
	v_rcp_iflag_f32_e32 v1, s2
	s_delay_alu instid0(TRANS32_DEP_1) | instskip(SKIP_2) | instid1(SALU_CYCLE_2)
	v_readfirstlane_b32 s2, v1
	s_mul_f32 s2, s2, 0x4f7ffffe
	s_wait_alu 0xfffe
	s_cvt_u32_f32 s4, s2
	s_sub_co_i32 s2, 0, s20
	s_wait_alu 0xfffe
	s_delay_alu instid0(SALU_CYCLE_1)
	s_mul_i32 s2, s2, s4
	s_wait_alu 0xfffe
	s_mul_hi_u32 s5, s4, s2
	s_abs_i32 s2, ttmp9
	s_add_co_i32 s4, s4, s5
	s_mov_b32 s5, s3
	s_wait_kmcnt 0x0
	s_cmp_eq_u64 s[6:7], 0
	s_cbranch_scc1 .LBB46_3
; %bb.2:
	s_mov_b32 s10, ttmp9
	s_ashr_i32 s11, ttmp9, 31
	s_delay_alu instid0(SALU_CYCLE_1) | instskip(NEXT) | instid1(SALU_CYCLE_1)
	s_lshl_b64 s[10:11], s[10:11], 2
	s_add_nc_u64 s[6:7], s[6:7], s[10:11]
	s_load_b32 s15, s[6:7], 0x0
.LBB46_3:
	s_load_b96 s[12:14], s[0:1], 0x58
	v_lshlrev_b32_e32 v67, 4, v0
	s_mul_u64 s[10:11], s[2:3], s[4:5]
	s_ashr_i32 s3, ttmp9, 31
	s_ashr_i32 s10, s16, 31
	s_lshl_b32 s16, ttmp9, 6
	s_mov_b32 s4, exec_lo
	v_cmpx_gt_u32_e32 16, v0
	s_cbranch_execz .LBB46_5
; %bb.4:
	s_load_b64 s[6:7], s[0:1], 0x18
	s_wait_kmcnt 0x0
	s_mul_i32 s22, s12, s18
	s_ashr_i32 s17, s16, 31
	s_ashr_i32 s23, s22, 31
	s_delay_alu instid0(SALU_CYCLE_1) | instskip(NEXT) | instid1(SALU_CYCLE_1)
	s_lshl_b64 s[22:23], s[22:23], 2
	s_add_nc_u64 s[6:7], s[6:7], s[22:23]
	s_lshl_b64 s[22:23], s[16:17], 2
	s_delay_alu instid0(SALU_CYCLE_1)
	s_add_nc_u64 s[6:7], s[6:7], s[22:23]
	global_load_b128 v[1:4], v67, s[6:7]
	s_wait_loadcnt 0x0
	ds_store_b128 v67, v[1:4]
.LBB46_5:
	s_or_b32 exec_lo, exec_lo, s4
	s_clause 0x1
	s_load_b128 s[4:7], s[0:1], 0x78
	s_load_b32 s22, s[0:1], 0x88
	s_wait_kmcnt 0x0
	s_mul_i32 s12, s11, s20
	s_xor_b32 s3, s3, s10
	s_sub_co_i32 s2, s2, s12
	s_add_co_i32 s10, s11, 1
	s_wait_alu 0xfffe
	s_sub_co_i32 s12, s2, s20
	s_cmp_ge_u32 s2, s20
	s_mov_b32 s24, -1
	s_cselect_b32 s10, s10, s11
	s_cselect_b32 s2, s12, s2
	s_add_co_i32 s11, s10, 1
	s_wait_alu 0xfffe
	s_cmp_ge_u32 s2, s20
	s_wait_dscnt 0x0
	s_cselect_b32 s2, s11, s10
	s_add_co_i32 s23, s31, -1
	s_wait_alu 0xfffe
	s_xor_b32 s2, s2, s3
	s_barrier_signal -1
	s_wait_alu 0xfffe
	s_sub_co_i32 s26, s2, s3
	s_barrier_wait -1
	s_abs_i32 s12, s7
	global_inv scope:SCOPE_SE
	s_cvt_f32_u32 s10, s12
                                        ; implicit-def: $sgpr17
	s_delay_alu instid0(SALU_CYCLE_3) | instskip(NEXT) | instid1(TRANS32_DEP_1)
	v_rcp_iflag_f32_e32 v1, s10
	v_readfirstlane_b32 s10, v1
	s_mul_f32 s2, s10, 0x4f7ffffe
	s_wait_alu 0xfffe
	s_delay_alu instid0(SALU_CYCLE_2) | instskip(SKIP_2) | instid1(SALU_CYCLE_1)
	s_cvt_u32_f32 s10, s2
	s_sub_co_i32 s2, 0, s12
	s_wait_alu 0xfffe
	s_mul_i32 s3, s2, s10
	s_abs_i32 s2, s23
	s_wait_alu 0xfffe
	s_mul_hi_u32 s11, s10, s3
	s_mov_b32 s3, 0
	s_wait_alu 0xfffe
	s_add_co_i32 s20, s10, s11
	s_cmp_lt_i32 s22, 0
	s_mov_b32 s21, s3
	s_cbranch_scc0 .LBB46_7
; %bb.6:
	s_mul_i32 s8, s4, s8
	s_mov_b32 s24, s3
	s_add_co_i32 s8, s26, s8
	s_delay_alu instid0(SALU_CYCLE_1) | instskip(NEXT) | instid1(SALU_CYCLE_1)
	s_mul_i32 s8, s8, s22
	s_sub_co_i32 s17, 1, s8
.LBB46_7:
	s_mul_u64 s[10:11], s[2:3], s[20:21]
	s_ashr_i32 s3, s23, 31
	s_and_not1_b32 vcc_lo, exec_lo, s24
	s_ashr_i32 s21, s7, 31
	s_cbranch_vccnz .LBB46_9
; %bb.8:
	s_mul_i32 s4, s19, s4
	s_delay_alu instid0(SALU_CYCLE_1) | instskip(NEXT) | instid1(SALU_CYCLE_1)
	s_add_co_i32 s4, s4, ttmp9
	s_mul_i32 s4, s4, s22
	s_delay_alu instid0(SALU_CYCLE_1)
	s_add_co_i32 s17, s4, 1
.LBB46_9:
	s_clause 0x2
	s_load_b32 s4, s[0:1], 0x48
	s_load_b64 s[22:23], s[0:1], 0x38
	s_load_b32 s7, s[0:1], 0x98
	s_mul_i32 s8, s11, s12
	s_xor_b32 s3, s3, s21
	s_sub_co_i32 s2, s2, s8
	s_add_co_i32 s10, s11, 1
	v_lshrrev_b32_e32 v71, 5, v0
	v_and_b32_e32 v72, 31, v0
	v_mov_b32_e32 v70, 0xff7fffff
	s_mul_i32 s26, s26, s14
	s_delay_alu instid0(VALU_DEP_3) | instskip(NEXT) | instid1(VALU_DEP_3)
	v_lshl_add_u32 v74, v71, 5, s34
	v_lshlrev_b32_e32 v69, 2, v72
	s_wait_kmcnt 0x0
	s_mul_i32 s24, s4, s18
	s_wait_alu 0xfffe
	s_sub_co_i32 s4, s2, s12
	s_ashr_i32 s25, s24, 31
	s_cmp_ge_u32 s2, s12
	s_cselect_b32 s8, s10, s11
	s_cselect_b32 s2, s4, s2
	s_add_co_i32 s4, s8, 1
	s_wait_alu 0xfffe
	s_cmp_ge_u32 s2, s12
	s_cselect_b32 s2, s4, s8
	s_add_co_i32 s4, s31, 31
	s_lshl_b32 s37, s30, 4
	s_ashr_i32 s8, s4, 31
	v_add_nc_u32_e32 v73, s37, v71
	s_lshr_b32 s8, s8, 27
	s_delay_alu instid0(SALU_CYCLE_1)
	s_add_co_i32 s4, s4, s8
	s_add_co_i32 s8, s37, 16
	s_ashr_i32 s35, s4, 5
	s_wait_alu 0xfffe
	s_xor_b32 s4, s2, s3
	s_min_i32 s33, s8, s35
	v_lshlrev_b32_e32 v68, 2, v73
	v_cmp_gt_i32_e64 s2, s33, v73
	s_sub_co_i32 s36, s4, s3
	s_and_saveexec_b32 s8, s2
	s_cbranch_execz .LBB46_17
; %bb.10:
	s_ashr_i32 s27, s26, 31
	s_load_b64 s[28:29], s[0:1], 0x20
	s_sub_co_i32 s10, s36, s5
	s_lshl_b64 s[38:39], s[26:27], 2
	s_cmp_neq_f32 s15, 0
	v_subrev_nc_u32_e32 v70, s31, v72
	v_mov_b32_e32 v61, 0
	v_dual_mov_b32 v80, 0xff7fffff :: v_dual_lshlrev_b32 v41, 4, v72
	s_cselect_b32 vcc_lo, -1, 0
	s_abs_i32 s11, s6
	v_add_nc_u32_e32 v78, 1, v70
	s_wait_alu 0xfffe
	s_cvt_f32_u32 s3, s11
	ds_load_b128 v[1:4], v61
	ds_load_b128 v[5:8], v61 offset:16
	ds_load_b128 v[9:12], v61 offset:32
	;; [unrolled: 1-line block ×9, first 2 shown]
	v_lshl_or_b32 v79, v71, 7, v69
	s_wait_alu 0xfffe
	v_rcp_iflag_f32_e32 v42, s3
	v_lshl_add_u32 v77, v71, 5, s34
	v_dual_mov_b32 v70, 0xff7fffff :: v_dual_mov_b32 v81, v73
	v_add_nc_u32_e32 v79, 0x120, v79
	s_wait_kmcnt 0x0
	s_add_nc_u64 s[28:29], s[28:29], s[38:39]
	s_mov_b32 s14, s13
	v_add_co_u32 v75, s4, s28, v41
	s_delay_alu instid0(VALU_DEP_1) | instskip(NEXT) | instid1(TRANS32_DEP_1)
	v_add_co_ci_u32_e64 v76, null, s29, 0, s4
	v_readfirstlane_b32 s3, v42
	ds_load_b128 v[41:44], v61 offset:160
	ds_load_b128 v[45:48], v61 offset:176
	;; [unrolled: 1-line block ×6, first 2 shown]
	s_lshl_b64 s[28:29], s[24:25], 2
	s_sub_co_i32 s4, 0, s11
	s_mul_f32 s3, s3, 0x4f7ffffe
	s_wait_alu 0xfffe
	s_add_nc_u64 s[28:29], s[22:23], s[28:29]
	s_wait_alu 0xfffe
	v_add_co_u32 v65, s27, s28, v68
	s_cvt_u32_f32 s3, s3
	v_add_co_ci_u32_e64 v66, null, s29, 0, s27
	s_mov_b32 s27, 0
	s_wait_alu 0xfffe
	s_mul_i32 s4, s4, s3
	s_wait_alu 0xfffe
	s_mul_hi_u32 s4, s3, s4
	s_wait_alu 0xfffe
	s_add_co_i32 s28, s3, s4
	s_branch .LBB46_12
.LBB46_11:                              ;   in Loop: Header=BB46_12 Depth=1
	s_wait_alu 0xfffe
	s_or_b32 exec_lo, exec_lo, s4
	v_add_nc_u32_e32 v81, 4, v81
	v_add_co_u32 v65, s4, v65, 16
	s_wait_alu 0xf1ff
	v_add_co_ci_u32_e64 v66, null, 0, v66, s4
	s_delay_alu instid0(VALU_DEP_3)
	v_cmp_le_i32_e64 s3, s33, v81
	v_add_nc_u32_e32 v77, 0x80, v77
	v_add_nc_u32_e32 v79, 0x200, v79
	s_or_b32 s27, s3, s27
	s_wait_alu 0xfffe
	s_and_not1_b32 exec_lo, exec_lo, s27
	s_cbranch_execz .LBB46_16
.LBB46_12:                              ; =>This Inner Loop Header: Depth=1
	v_sub_nc_u32_e32 v82, 0, v77
	s_delay_alu instid0(VALU_DEP_1) | instskip(NEXT) | instid1(VALU_DEP_1)
	v_max_i32_e32 v82, v77, v82
	v_mul_hi_u32 v83, v82, s20
	s_delay_alu instid0(VALU_DEP_1) | instskip(NEXT) | instid1(VALU_DEP_1)
	v_mul_lo_u32 v84, v83, s12
	v_sub_nc_u32_e32 v82, v82, v84
	v_add_nc_u32_e32 v84, 1, v83
	s_delay_alu instid0(VALU_DEP_2) | instskip(SKIP_2) | instid1(VALU_DEP_1)
	v_subrev_nc_u32_e32 v85, s12, v82
	v_cmp_le_u32_e64 s3, s12, v82
	s_wait_alu 0xf1ff
	v_cndmask_b32_e64 v83, v83, v84, s3
	s_delay_alu instid0(VALU_DEP_3) | instskip(SKIP_1) | instid1(VALU_DEP_3)
	v_cndmask_b32_e64 v82, v82, v85, s3
	v_ashrrev_i32_e32 v84, 31, v77
	v_add_nc_u32_e32 v85, 1, v83
	s_delay_alu instid0(VALU_DEP_3) | instskip(NEXT) | instid1(VALU_DEP_3)
	v_cmp_le_u32_e64 s3, s12, v82
	v_xor_b32_e32 v84, s21, v84
	s_wait_alu 0xf1ff
	s_delay_alu instid0(VALU_DEP_2) | instskip(NEXT) | instid1(VALU_DEP_1)
	v_cndmask_b32_e64 v82, v83, v85, s3
	v_xor_b32_e32 v82, v82, v84
	s_delay_alu instid0(VALU_DEP_1) | instskip(NEXT) | instid1(VALU_DEP_1)
	v_sub_nc_u32_e32 v82, v82, v84
	v_add_nc_u32_e32 v83, s17, v82
	v_cmp_ge_i32_e64 s4, s10, v82
	s_delay_alu instid0(VALU_DEP_2) | instskip(NEXT) | instid1(VALU_DEP_1)
	v_sub_nc_u32_e32 v84, 0, v83
	v_max_i32_e32 v84, v83, v84
	v_ashrrev_i32_e32 v83, 31, v83
	s_wait_alu 0xfffe
	s_delay_alu instid0(VALU_DEP_2) | instskip(NEXT) | instid1(VALU_DEP_1)
	v_mul_hi_u32 v85, v84, s28
	v_mul_lo_u32 v85, v85, s11
	s_delay_alu instid0(VALU_DEP_1) | instskip(NEXT) | instid1(VALU_DEP_1)
	v_sub_nc_u32_e32 v84, v84, v85
	v_subrev_nc_u32_e32 v85, s11, v84
	v_cmp_le_u32_e64 s3, s11, v84
	s_wait_alu 0xf1ff
	s_delay_alu instid0(VALU_DEP_1) | instskip(NEXT) | instid1(VALU_DEP_1)
	v_cndmask_b32_e64 v84, v84, v85, s3
	v_subrev_nc_u32_e32 v85, s11, v84
	v_cmp_le_u32_e64 s3, s11, v84
	s_wait_alu 0xf1ff
	s_delay_alu instid0(VALU_DEP_1) | instskip(NEXT) | instid1(VALU_DEP_1)
	v_cndmask_b32_e64 v84, v84, v85, s3
	v_xor_b32_e32 v84, v84, v83
	s_delay_alu instid0(VALU_DEP_1) | instskip(NEXT) | instid1(VALU_DEP_1)
	v_sub_nc_u32_e32 v83, v84, v83
	v_cmp_ne_u32_e64 s3, 0, v83
	s_and_b32 s3, s3, s4
	s_wait_alu 0xfffe
	s_and_saveexec_b32 s4, s3
	s_wait_alu 0xfffe
	s_xor_b32 s3, exec_lo, s4
; %bb.13:                               ;   in Loop: Header=BB46_12 Depth=1
	ds_store_b32 v79, v80
; %bb.14:                               ;   in Loop: Header=BB46_12 Depth=1
	s_wait_alu 0xfffe
	s_and_not1_saveexec_b32 s4, s3
	s_cbranch_execz .LBB46_11
; %bb.15:                               ;   in Loop: Header=BB46_12 Depth=1
	global_load_b32 v82, v[65:66], off
	s_wait_loadcnt 0x0
	v_mad_co_i64_i32 v[82:83], null, v82, s14, 0
	s_delay_alu instid0(VALU_DEP_1) | instskip(NEXT) | instid1(VALU_DEP_1)
	v_lshlrev_b64_e32 v[82:83], 2, v[82:83]
	v_add_co_u32 v118, s3, v75, v82
	s_wait_alu 0xf1ff
	s_delay_alu instid0(VALU_DEP_2)
	v_add_co_ci_u32_e64 v119, null, v76, v83, s3
	s_clause 0x8
	global_load_b128 v[82:85], v[118:119], off offset:512
	global_load_b128 v[86:89], v[118:119], off
	global_load_b128 v[90:93], v[118:119], off offset:1024
	global_load_b128 v[94:97], v[118:119], off offset:1536
	;; [unrolled: 1-line block ×7, first 2 shown]
	s_wait_loadcnt_dscnt 0x80e
	v_dual_mul_f32 v120, v5, v82 :: v_dual_mul_f32 v121, v6, v83
	v_dual_mul_f32 v122, v7, v84 :: v_dual_mul_f32 v123, v8, v85
	global_load_b128 v[82:85], v[118:119], off offset:4608
	s_wait_loadcnt 0x8
	v_dual_fmac_f32 v120, v1, v86 :: v_dual_fmac_f32 v121, v2, v87
	v_dual_fmac_f32 v122, v3, v88 :: v_dual_fmac_f32 v123, v4, v89
	global_load_b128 v[86:89], v[118:119], off offset:5120
	s_wait_loadcnt_dscnt 0x80d
	v_dual_fmac_f32 v120, v9, v90 :: v_dual_fmac_f32 v121, v10, v91
	v_dual_fmac_f32 v122, v11, v92 :: v_dual_fmac_f32 v123, v12, v93
	global_load_b128 v[90:93], v[118:119], off offset:5632
	s_wait_loadcnt_dscnt 0x80c
	;; [unrolled: 4-line block ×6, first 2 shown]
	v_dual_fmac_f32 v120, v29, v110 :: v_dual_fmac_f32 v121, v30, v111
	v_dual_fmac_f32 v122, v31, v112 :: v_dual_fmac_f32 v123, v32, v113
	s_wait_loadcnt_dscnt 0x707
	s_delay_alu instid0(VALU_DEP_2) | instskip(NEXT) | instid1(VALU_DEP_2)
	v_dual_fmac_f32 v120, v33, v114 :: v_dual_fmac_f32 v121, v34, v115
	v_dual_fmac_f32 v122, v35, v116 :: v_dual_fmac_f32 v123, v36, v117
	s_wait_loadcnt_dscnt 0x606
	s_delay_alu instid0(VALU_DEP_2) | instskip(NEXT) | instid1(VALU_DEP_2)
	v_dual_fmac_f32 v120, v37, v82 :: v_dual_fmac_f32 v121, v38, v83
	v_dual_fmac_f32 v122, v39, v84 :: v_dual_fmac_f32 v123, v40, v85
	v_max_num_f32_e32 v84, v70, v70
	s_wait_loadcnt_dscnt 0x505
	s_delay_alu instid0(VALU_DEP_3) | instskip(NEXT) | instid1(VALU_DEP_3)
	v_dual_fmac_f32 v120, v41, v86 :: v_dual_fmac_f32 v121, v42, v87
	v_dual_fmac_f32 v122, v43, v88 :: v_dual_fmac_f32 v123, v44, v89
	s_wait_loadcnt_dscnt 0x404
	s_delay_alu instid0(VALU_DEP_2) | instskip(NEXT) | instid1(VALU_DEP_2)
	v_dual_fmac_f32 v120, v45, v90 :: v_dual_fmac_f32 v121, v46, v91
	v_dual_fmac_f32 v122, v47, v92 :: v_dual_fmac_f32 v123, v48, v93
	s_wait_loadcnt_dscnt 0x303
	s_delay_alu instid0(VALU_DEP_2) | instskip(NEXT) | instid1(VALU_DEP_2)
	;; [unrolled: 4-line block ×5, first 2 shown]
	v_dual_fmac_f32 v120, v61, v106 :: v_dual_fmac_f32 v121, v62, v107
	v_dual_fmac_f32 v122, v63, v108 :: v_dual_fmac_f32 v123, v64, v109
	s_delay_alu instid0(VALU_DEP_2) | instskip(NEXT) | instid1(VALU_DEP_1)
	v_add_f32_e32 v83, v120, v121
	v_add_f32_e32 v83, v122, v83
	s_delay_alu instid0(VALU_DEP_1) | instskip(NEXT) | instid1(VALU_DEP_1)
	v_dual_add_f32 v83, v123, v83 :: v_dual_add_nc_u32 v82, v78, v77
	v_cvt_f32_i32_e32 v82, v82
	s_delay_alu instid0(VALU_DEP_1) | instskip(NEXT) | instid1(VALU_DEP_1)
	v_mul_f32_e32 v82, s15, v82
	v_cndmask_b32_e32 v82, 0, v82, vcc_lo
	s_delay_alu instid0(VALU_DEP_1) | instskip(NEXT) | instid1(VALU_DEP_1)
	v_dual_fmac_f32 v82, s9, v83 :: v_dual_add_nc_u32 v83, v72, v77
	v_max_num_f32_e32 v84, v84, v82
	s_delay_alu instid0(VALU_DEP_2) | instskip(SKIP_1) | instid1(VALU_DEP_1)
	v_cmp_gt_i32_e64 s3, s31, v83
	s_wait_alu 0xf1ff
	v_cndmask_b32_e64 v82, 0, v82, s3
	s_delay_alu instid0(VALU_DEP_3)
	v_cndmask_b32_e64 v70, v70, v84, s3
	ds_store_b32 v79, v82
	s_branch .LBB46_11
.LBB46_16:
	s_or_b32 exec_lo, exec_lo, s27
.LBB46_17:
	s_delay_alu instid0(SALU_CYCLE_1)
	s_or_b32 exec_lo, exec_lo, s8
	s_wait_dscnt 0xf
	v_mbcnt_lo_u32_b32 v1, -1, 0
	s_clause 0x2
	s_load_b128 s[8:11], s[0:1], 0x0
	s_load_b64 s[14:15], s[0:1], 0x10
	s_load_b64 s[28:29], s[0:1], 0x28
	v_xor_b32_e32 v2, 16, v1
	v_xor_b32_e32 v4, 8, v1
	s_delay_alu instid0(VALU_DEP_2) | instskip(SKIP_2) | instid1(VALU_DEP_3)
	v_cmp_gt_i32_e32 vcc_lo, 32, v2
	s_wait_alu 0xfffd
	v_cndmask_b32_e32 v2, v1, v2, vcc_lo
	v_cmp_gt_i32_e32 vcc_lo, 32, v4
	s_wait_dscnt 0xe
	v_max_num_f32_e32 v5, v70, v70
	s_delay_alu instid0(VALU_DEP_3)
	v_lshlrev_b32_e32 v2, 2, v2
	s_wait_alu 0xfffd
	v_cndmask_b32_e32 v4, v1, v4, vcc_lo
	ds_bpermute_b32 v3, v2, v70
	s_wait_dscnt 0x0
	v_dual_max_num_f32 v6, v3, v3 :: v_dual_lshlrev_b32 v3, 2, v4
	s_delay_alu instid0(VALU_DEP_1)
	v_max_num_f32_e32 v4, v5, v6
	v_xor_b32_e32 v6, 4, v1
	ds_bpermute_b32 v5, v3, v4
	v_cmp_gt_i32_e32 vcc_lo, 32, v6
	s_wait_alu 0xfffd
	v_cndmask_b32_e32 v6, v1, v6, vcc_lo
	s_wait_dscnt 0x0
	v_max_num_f32_e32 v5, v5, v5
	s_delay_alu instid0(VALU_DEP_2) | instskip(SKIP_1) | instid1(VALU_DEP_3)
	v_lshlrev_b32_e32 v77, 2, v6
	v_xor_b32_e32 v6, 2, v1
	v_max_num_f32_e32 v4, v4, v5
	s_delay_alu instid0(VALU_DEP_2) | instskip(SKIP_3) | instid1(VALU_DEP_1)
	v_cmp_gt_i32_e32 vcc_lo, 32, v6
	ds_bpermute_b32 v5, v77, v4
	s_wait_alu 0xfffd
	v_cndmask_b32_e32 v6, v1, v6, vcc_lo
	v_lshlrev_b32_e32 v76, 2, v6
	v_xor_b32_e32 v6, 1, v1
	s_delay_alu instid0(VALU_DEP_1)
	v_cmp_gt_i32_e32 vcc_lo, 32, v6
	s_wait_alu 0xfffd
	v_cndmask_b32_e32 v6, v1, v6, vcc_lo
	v_cmp_eq_u32_e32 vcc_lo, 0, v72
	s_wait_dscnt 0x0
	v_max_num_f32_e32 v5, v5, v5
	s_delay_alu instid0(VALU_DEP_1) | instskip(SKIP_3) | instid1(VALU_DEP_1)
	v_dual_max_num_f32 v4, v4, v5 :: v_dual_lshlrev_b32 v75, 2, v6
	ds_bpermute_b32 v5, v76, v4
	s_wait_dscnt 0x0
	v_max_num_f32_e32 v5, v5, v5
	v_max_num_f32_e32 v1, v4, v5
	v_lshlrev_b32_e32 v5, 2, v71
	ds_bpermute_b32 v4, v75, v1
	s_and_saveexec_b32 s0, vcc_lo
	s_cbranch_execz .LBB46_19
; %bb.18:
	s_wait_dscnt 0x0
	v_dual_max_num_f32 v4, v4, v4 :: v_dual_max_num_f32 v1, v1, v1
	s_delay_alu instid0(VALU_DEP_1)
	v_max_num_f32_e32 v1, v1, v4
	ds_store_b32 v5, v1 offset:256
.LBB46_19:
	s_or_b32 exec_lo, exec_lo, s0
	v_cmp_gt_u32_e64 s0, 4, v72
	v_mov_b32_e32 v1, 0xff7fffff
	s_wait_loadcnt_dscnt 0x0
	s_barrier_signal -1
	s_barrier_wait -1
	global_inv scope:SCOPE_SE
	s_and_saveexec_b32 s1, s0
; %bb.20:
	ds_load_b32 v1, v69 offset:256
; %bb.21:
	s_or_b32 exec_lo, exec_lo, s1
	s_wait_dscnt 0x0
	ds_bpermute_b32 v4, v76, v1
	v_max_num_f32_e32 v1, v1, v1
	s_sub_co_i32 s1, s33, s37
	v_mov_b32_e32 v6, 0
	s_lshl_b32 s1, s1, 5
	s_delay_alu instid0(SALU_CYCLE_1) | instskip(NEXT) | instid1(SALU_CYCLE_1)
	s_add_co_i32 s1, s1, s34
	s_min_i32 s1, s1, s31
	s_delay_alu instid0(SALU_CYCLE_1) | instskip(SKIP_4) | instid1(VALU_DEP_1)
	s_sub_co_i32 s4, s1, s34
	s_wait_alu 0xfffe
	v_cmp_gt_i32_e64 s1, s4, v0
	s_wait_dscnt 0x0
	v_max_num_f32_e32 v4, v4, v4
	v_max_num_f32_e32 v1, v1, v4
	ds_bpermute_b32 v4, v75, v1
	s_wait_dscnt 0x0
	v_max_num_f32_e32 v4, v4, v4
	s_delay_alu instid0(VALU_DEP_1)
	v_max_num_f32_e32 v1, v1, v4
	v_lshl_add_u32 v4, v0, 2, 0x120
	ds_bpermute_b32 v1, v6, v1
	s_and_saveexec_b32 s27, s1
	s_cbranch_execz .LBB46_25
; %bb.22:
	v_lshl_add_u32 v7, v0, 2, 0x120
	v_mov_b32_e32 v6, 0
	v_mov_b32_e32 v8, v0
	s_mov_b32 s34, 0
.LBB46_23:                              ; =>This Inner Loop Header: Depth=1
	ds_load_b32 v9, v7
	v_add_nc_u32_e32 v8, 0x80, v8
	s_delay_alu instid0(VALU_DEP_1) | instskip(SKIP_4) | instid1(VALU_DEP_1)
	v_cmp_le_i32_e64 s3, s4, v8
	s_wait_alu 0xfffe
	s_or_b32 s34, s3, s34
	s_wait_dscnt 0x0
	v_sub_f32_e32 v9, v9, v1
	v_mul_f32_e32 v9, 0x3fb8aa3b, v9
	s_delay_alu instid0(VALU_DEP_1)
	v_exp_f32_e32 v9, v9
	ds_store_b32 v7, v9
	v_dual_add_f32 v6, v6, v9 :: v_dual_add_nc_u32 v7, 0x200, v7
	s_wait_alu 0xfffe
	s_and_not1_b32 exec_lo, exec_lo, s34
	s_cbranch_execnz .LBB46_23
; %bb.24:
	s_or_b32 exec_lo, exec_lo, s34
.LBB46_25:
	s_wait_alu 0xfffe
	s_or_b32 exec_lo, exec_lo, s27
	ds_bpermute_b32 v2, v2, v6
	s_wait_dscnt 0x0
	v_add_f32_e32 v2, v6, v2
	ds_bpermute_b32 v3, v3, v2
	s_wait_dscnt 0x0
	v_add_f32_e32 v2, v2, v3
	;; [unrolled: 3-line block ×5, first 2 shown]
	s_and_saveexec_b32 s3, vcc_lo
; %bb.26:
	ds_store_b32 v5, v2 offset:272
; %bb.27:
	s_wait_alu 0xfffe
	s_or_b32 exec_lo, exec_lo, s3
	s_wait_loadcnt_dscnt 0x0
	s_barrier_signal -1
	s_barrier_wait -1
	global_inv scope:SCOPE_SE
	s_and_saveexec_b32 s3, s0
; %bb.28:
	ds_load_b32 v2, v69 offset:272
; %bb.29:
	s_wait_alu 0xfffe
	s_or_b32 exec_lo, exec_lo, s3
	s_wait_dscnt 0x0
	ds_bpermute_b32 v3, v76, v2
	s_wait_dscnt 0x0
	v_add_f32_e32 v2, v2, v3
	ds_bpermute_b32 v3, v75, v2
	s_wait_dscnt 0x0
	v_dual_add_f32 v2, v2, v3 :: v_dual_mov_b32 v3, 0
	ds_bpermute_b32 v2, v3, v2
	s_and_saveexec_b32 s0, s1
	s_cbranch_execz .LBB46_32
; %bb.30:
	s_wait_dscnt 0x0
	v_add_f32_e32 v3, 0x358637bd, v2
	s_mov_b32 s1, 0
	s_delay_alu instid0(VALU_DEP_1) | instskip(SKIP_1) | instid1(VALU_DEP_2)
	v_div_scale_f32 v5, null, v3, v3, 1.0
	v_div_scale_f32 v8, vcc_lo, 1.0, v3, 1.0
	v_rcp_f32_e32 v6, v5
	s_delay_alu instid0(TRANS32_DEP_1) | instskip(NEXT) | instid1(VALU_DEP_1)
	v_fma_f32 v7, -v5, v6, 1.0
	v_fmac_f32_e32 v6, v7, v6
	s_delay_alu instid0(VALU_DEP_1) | instskip(NEXT) | instid1(VALU_DEP_1)
	v_mul_f32_e32 v7, v8, v6
	v_fma_f32 v9, -v5, v7, v8
	s_delay_alu instid0(VALU_DEP_1) | instskip(NEXT) | instid1(VALU_DEP_1)
	v_fmac_f32_e32 v7, v9, v6
	v_fma_f32 v5, -v5, v7, v8
	s_wait_alu 0xfffd
	s_delay_alu instid0(VALU_DEP_1) | instskip(NEXT) | instid1(VALU_DEP_1)
	v_div_fmas_f32 v5, v5, v6, v7
	v_div_fixup_f32 v3, v5, v3, 1.0
	v_mov_b32_e32 v5, v0
.LBB46_31:                              ; =>This Inner Loop Header: Depth=1
	ds_load_b32 v6, v4
	s_wait_dscnt 0x0
	v_dual_mul_f32 v6, v3, v6 :: v_dual_add_nc_u32 v5, 0x80, v5
	s_delay_alu instid0(VALU_DEP_1) | instskip(SKIP_3) | instid1(SALU_CYCLE_1)
	v_cmp_le_i32_e32 vcc_lo, s4, v5
	ds_store_b32 v4, v6
	v_add_nc_u32_e32 v4, 0x200, v4
	s_or_b32 s1, vcc_lo, s1
	s_and_not1_b32 exec_lo, exec_lo, s1
	s_cbranch_execnz .LBB46_31
.LBB46_32:
	s_or_b32 exec_lo, exec_lo, s0
	s_mul_i32 s0, s7, s18
	s_wait_loadcnt_dscnt 0x0
	s_mul_i32 s18, s0, s19
	s_mov_b32 s0, exec_lo
	s_barrier_signal -1
	s_barrier_wait -1
	global_inv scope:SCOPE_SE
	v_cmpx_eq_u32_e32 0, v0
	s_cbranch_execz .LBB46_34
; %bb.33:
	s_ashr_i32 s19, s18, 31
	s_mul_i32 s38, s7, ttmp9
	s_lshl_b32 s1, s30, 2
	s_lshl_b64 s[40:41], s[18:19], 2
	s_ashr_i32 s39, s38, 31
	v_mov_b32_e32 v3, s1
	s_wait_kmcnt 0x0
	s_add_nc_u64 s[10:11], s[10:11], s[40:41]
	s_lshl_b64 s[38:39], s[38:39], 2
	s_add_nc_u64 s[8:9], s[8:9], s[40:41]
	s_wait_alu 0xfffe
	s_add_nc_u64 s[10:11], s[10:11], s[38:39]
	s_add_nc_u64 s[8:9], s[8:9], s[38:39]
	s_clause 0x1
	global_store_b32 v3, v1, s[10:11]
	global_store_b32 v3, v2, s[8:9]
.LBB46_34:
	s_or_b32 exec_lo, exec_lo, s0
	v_dual_mov_b32 v93, 0 :: v_dual_and_b32 v78, 7, v0
	v_dual_mov_b32 v94, 0 :: v_dual_mov_b32 v91, 0
	v_dual_mov_b32 v92, 0 :: v_dual_mov_b32 v89, 0
	;; [unrolled: 1-line block ×7, first 2 shown]
	v_mov_b32_e32 v80, 0
	s_and_saveexec_b32 s4, s2
	s_cbranch_execz .LBB46_72
; %bb.35:
	s_abs_i32 s6, s6
	v_dual_mov_b32 v81, 0 :: v_dual_lshlrev_b32 v4, 4, v78
	s_cvt_f32_u32 s0, s6
	s_ashr_i32 s27, s26, 31
	v_dual_mov_b32 v80, 0 :: v_dual_and_b32 v3, 0x1f0, v67
	s_wait_alu 0xfffe
	v_rcp_iflag_f32_e32 v1, s0
	s_lshl_b64 s[0:1], s[24:25], 2
	s_lshl_b64 s[2:3], s[26:27], 2
	s_wait_alu 0xfffe
	s_add_nc_u64 s[0:1], s[22:23], s[0:1]
	v_dual_mov_b32 v79, 0 :: v_dual_lshlrev_b32 v2, 2, v0
	s_wait_alu 0xfffe
	v_add_co_u32 v69, s0, s0, v68
	s_wait_alu 0xf1ff
	v_add_co_ci_u32_e64 v70, null, s1, 0, s0
	s_wait_kmcnt 0x0
	v_readfirstlane_b32 s10, v1
	v_lshl_or_b32 v1, v71, 7, v4
	s_add_nc_u64 s[2:3], s[28:29], s[2:3]
	s_sub_co_i32 s11, 0, s6
	s_wait_alu 0xfffe
	v_add_co_u32 v96, s1, s2, v3
	s_mul_f32 s10, s10, 0x4f7ffffe
	v_dual_mov_b32 v82, 0 :: v_dual_and_b32 v95, 28, v2
	v_add_co_ci_u32_e64 v97, null, s3, 0, s1
	s_wait_alu 0xfffe
	s_cvt_u32_f32 s0, s10
	v_dual_mov_b32 v83, 0 :: v_dual_add_nc_u32 v98, 0x120, v1
	v_dual_mov_b32 v84, 0 :: v_dual_mov_b32 v85, 0
	s_wait_alu 0xfffe
	s_mul_i32 s11, s11, s0
	v_dual_mov_b32 v86, 0 :: v_dual_mov_b32 v87, 0
	v_dual_mov_b32 v88, 0 :: v_dual_mov_b32 v89, 0
	;; [unrolled: 1-line block ×4, first 2 shown]
	v_mov_b32_e32 v94, 0
	s_wait_alu 0xfffe
	s_mul_hi_u32 s1, s0, s11
	s_sub_co_i32 s5, s36, s5
	s_mov_b32 s8, s13
	s_add_co_i32 s9, s35, -1
	s_mov_b32 s10, 0
	s_wait_alu 0xfffe
	s_add_co_i32 s11, s0, s1
	s_branch .LBB46_38
.LBB46_36:                              ;   in Loop: Header=BB46_38 Depth=1
	s_wait_alu 0xfffe
	s_or_b32 exec_lo, exec_lo, s0
	s_wait_loadcnt_dscnt 0x900
	v_mul_f32_e32 v29, v1, v29
	s_wait_loadcnt 0x5
	v_mul_f32_e32 v45, v1, v45
	v_mul_f32_e32 v21, v1, v21
	s_wait_loadcnt 0x3
	v_mul_f32_e32 v57, v1, v57
	v_mul_f32_e32 v9, v1, v9
	v_fmac_f32_e32 v29, v2, v30
	v_fmac_f32_e32 v45, v2, v46
	;; [unrolled: 1-line block ×3, first 2 shown]
	s_wait_loadcnt 0x1
	v_mul_f32_e32 v65, v1, v65
	v_mul_f32_e32 v13, v1, v13
	v_fmac_f32_e32 v29, v3, v31
	v_fmac_f32_e32 v45, v3, v47
	;; [unrolled: 1-line block ×4, first 2 shown]
	v_mul_f32_e32 v37, v1, v37
	v_fmac_f32_e32 v29, v4, v32
	v_fmac_f32_e32 v57, v2, v58
	;; [unrolled: 1-line block ×5, first 2 shown]
	s_delay_alu instid0(VALU_DEP_4)
	v_dual_add_f32 v88, v88, v29 :: v_dual_fmac_f32 v57, v3, v59
	v_fmac_f32_e32 v13, v2, v14
	v_fmac_f32_e32 v9, v3, v11
	v_mul_f32_e32 v61, v1, v61
	v_mul_f32_e32 v49, v1, v49
	;; [unrolled: 1-line block ×3, first 2 shown]
	v_add_f32_e32 v84, v84, v45
	v_mul_f32_e32 v33, v1, v33
	v_mul_f32_e32 v25, v1, v25
	v_fmac_f32_e32 v37, v2, v38
	v_dual_add_f32 v90, v90, v21 :: v_dual_fmac_f32 v57, v4, v60
	v_fmac_f32_e32 v65, v3, v67
	v_mul_f32_e32 v17, v1, v17
	v_mul_f32_e32 v5, v1, v5
	s_wait_loadcnt 0x0
	v_mul_f32_e32 v1, v1, v53
	v_fmac_f32_e32 v13, v3, v15
	v_fmac_f32_e32 v9, v4, v12
	;; [unrolled: 1-line block ×3, first 2 shown]
	v_dual_add_f32 v82, v82, v57 :: v_dual_fmac_f32 v65, v4, v68
	v_fmac_f32_e32 v33, v2, v34
	v_fmac_f32_e32 v25, v2, v26
	;; [unrolled: 1-line block ×8, first 2 shown]
	v_add_f32_e32 v94, v94, v9
	v_dual_fmac_f32 v61, v2, v62 :: v_dual_add_f32 v80, v80, v65
	v_fmac_f32_e32 v41, v3, v43
	v_fmac_f32_e32 v33, v3, v35
	;; [unrolled: 1-line block ×7, first 2 shown]
	v_dual_fmac_f32 v1, v3, v55 :: v_dual_add_f32 v92, v92, v13
	v_fmac_f32_e32 v49, v3, v51
	v_fmac_f32_e32 v41, v4, v44
	;; [unrolled: 1-line block ×3, first 2 shown]
	v_dual_fmac_f32 v25, v4, v28 :: v_dual_add_f32 v86, v86, v37
	v_fmac_f32_e32 v61, v4, v64
	v_fmac_f32_e32 v49, v4, v52
	v_fmac_f32_e32 v17, v4, v20
	v_fmac_f32_e32 v5, v4, v8
	v_fmac_f32_e32 v1, v4, v56
	v_add_f32_e32 v81, v81, v61
	v_add_f32_e32 v83, v83, v49
	;; [unrolled: 1-line block ×8, first 2 shown]
.LBB46_37:                              ;   in Loop: Header=BB46_38 Depth=1
	s_wait_alu 0xfffe
	s_or_b32 exec_lo, exec_lo, s13
	v_add_nc_u32_e32 v73, 4, v73
	v_add_co_u32 v69, s0, v69, 16
	s_wait_alu 0xf1ff
	v_add_co_ci_u32_e64 v70, null, 0, v70, s0
	s_delay_alu instid0(VALU_DEP_3)
	v_cmp_le_i32_e32 vcc_lo, s33, v73
	v_add_nc_u32_e32 v74, 0x80, v74
	v_add_nc_u32_e32 v98, 0x200, v98
	s_or_b32 s10, vcc_lo, s10
	s_wait_alu 0xfffe
	s_and_not1_b32 exec_lo, exec_lo, s10
	s_cbranch_execz .LBB46_71
.LBB46_38:                              ; =>This Inner Loop Header: Depth=1
	v_sub_nc_u32_e32 v1, 0, v74
	s_delay_alu instid0(VALU_DEP_1) | instskip(NEXT) | instid1(VALU_DEP_1)
	v_max_i32_e32 v1, v74, v1
	v_mul_hi_u32 v2, v1, s20
	s_delay_alu instid0(VALU_DEP_1) | instskip(NEXT) | instid1(VALU_DEP_1)
	v_mul_lo_u32 v3, v2, s12
	v_sub_nc_u32_e32 v1, v1, v3
	v_add_nc_u32_e32 v3, 1, v2
	s_delay_alu instid0(VALU_DEP_2) | instskip(SKIP_2) | instid1(VALU_DEP_2)
	v_subrev_nc_u32_e32 v4, s12, v1
	v_cmp_le_u32_e32 vcc_lo, s12, v1
	s_wait_alu 0xfffd
	v_dual_cndmask_b32 v2, v2, v3 :: v_dual_cndmask_b32 v1, v1, v4
	v_ashrrev_i32_e32 v3, 31, v74
	s_delay_alu instid0(VALU_DEP_2) | instskip(NEXT) | instid1(VALU_DEP_3)
	v_add_nc_u32_e32 v4, 1, v2
	v_cmp_le_u32_e32 vcc_lo, s12, v1
	s_delay_alu instid0(VALU_DEP_3) | instskip(SKIP_1) | instid1(VALU_DEP_3)
	v_xor_b32_e32 v3, s21, v3
	s_wait_alu 0xfffd
	v_cndmask_b32_e32 v1, v2, v4, vcc_lo
	s_delay_alu instid0(VALU_DEP_1) | instskip(NEXT) | instid1(VALU_DEP_1)
	v_xor_b32_e32 v1, v1, v3
	v_sub_nc_u32_e32 v1, v1, v3
	s_delay_alu instid0(VALU_DEP_1) | instskip(SKIP_1) | instid1(VALU_DEP_2)
	v_add_nc_u32_e32 v2, s17, v1
	v_cmp_lt_i32_e64 s0, s5, v1
	v_sub_nc_u32_e32 v3, 0, v2
	s_delay_alu instid0(VALU_DEP_1) | instskip(SKIP_1) | instid1(VALU_DEP_1)
	v_max_i32_e32 v3, v2, v3
	s_wait_alu 0xfffe
	v_mul_hi_u32 v4, v3, s11
	s_delay_alu instid0(VALU_DEP_1) | instskip(NEXT) | instid1(VALU_DEP_1)
	v_mul_lo_u32 v4, v4, s6
	v_sub_nc_u32_e32 v3, v3, v4
	s_delay_alu instid0(VALU_DEP_1) | instskip(SKIP_2) | instid1(VALU_DEP_2)
	v_subrev_nc_u32_e32 v4, s6, v3
	v_cmp_le_u32_e32 vcc_lo, s6, v3
	s_wait_alu 0xfffd
	v_cndmask_b32_e32 v3, v3, v4, vcc_lo
	v_ashrrev_i32_e32 v2, 31, v2
	s_delay_alu instid0(VALU_DEP_2) | instskip(SKIP_2) | instid1(VALU_DEP_2)
	v_subrev_nc_u32_e32 v4, s6, v3
	v_cmp_le_u32_e32 vcc_lo, s6, v3
	s_wait_alu 0xfffd
	v_cndmask_b32_e32 v3, v3, v4, vcc_lo
	s_delay_alu instid0(VALU_DEP_1) | instskip(NEXT) | instid1(VALU_DEP_1)
	v_xor_b32_e32 v3, v3, v2
	v_sub_nc_u32_e32 v2, v3, v2
	s_delay_alu instid0(VALU_DEP_1)
	v_cmp_eq_u32_e32 vcc_lo, 0, v2
	s_or_b32 s0, vcc_lo, s0
	s_wait_alu 0xfffe
	s_and_saveexec_b32 s13, s0
	s_cbranch_execz .LBB46_37
; %bb.39:                               ;   in Loop: Header=BB46_38 Depth=1
	global_load_b32 v1, v[69:70], off
	v_add_nc_u32_e32 v99, v95, v74
	s_delay_alu instid0(VALU_DEP_1) | instskip(SKIP_4) | instid1(VALU_DEP_1)
	v_add_nc_u32_e32 v102, 1, v99
	v_add_nc_u32_e32 v101, 2, v99
	;; [unrolled: 1-line block ×3, first 2 shown]
	s_wait_loadcnt 0x0
	v_mad_co_i64_i32 v[1:2], null, v1, s8, 0
	v_lshlrev_b64_e32 v[1:2], 2, v[1:2]
	s_delay_alu instid0(VALU_DEP_1) | instskip(SKIP_1) | instid1(VALU_DEP_2)
	v_add_co_u32 v53, vcc_lo, v96, v1
	s_wait_alu 0xfffd
	v_add_co_ci_u32_e64 v54, null, v97, v2, vcc_lo
	ds_load_b128 v[1:4], v98
	v_cmp_eq_u32_e32 vcc_lo, s9, v73
	global_load_b128 v[5:8], v[53:54], off
	s_and_saveexec_b32 s1, vcc_lo
	s_cbranch_execnz .LBB46_55
; %bb.40:                               ;   in Loop: Header=BB46_38 Depth=1
	s_wait_alu 0xfffe
	s_or_b32 exec_lo, exec_lo, s1
	global_load_b128 v[9:12], v[53:54], off offset:512
	s_and_saveexec_b32 s1, vcc_lo
	s_cbranch_execnz .LBB46_56
.LBB46_41:                              ;   in Loop: Header=BB46_38 Depth=1
	s_wait_alu 0xfffe
	s_or_b32 exec_lo, exec_lo, s1
	global_load_b128 v[13:16], v[53:54], off offset:1024
	s_and_saveexec_b32 s1, vcc_lo
	s_cbranch_execnz .LBB46_57
.LBB46_42:                              ;   in Loop: Header=BB46_38 Depth=1
	s_wait_alu 0xfffe
	s_or_b32 exec_lo, exec_lo, s1
	global_load_b128 v[17:20], v[53:54], off offset:1536
	s_and_saveexec_b32 s1, vcc_lo
	s_cbranch_execnz .LBB46_58
.LBB46_43:                              ;   in Loop: Header=BB46_38 Depth=1
	s_wait_alu 0xfffe
	s_or_b32 exec_lo, exec_lo, s1
	global_load_b128 v[21:24], v[53:54], off offset:2048
	s_and_saveexec_b32 s1, vcc_lo
	s_cbranch_execnz .LBB46_59
.LBB46_44:                              ;   in Loop: Header=BB46_38 Depth=1
	s_wait_alu 0xfffe
	s_or_b32 exec_lo, exec_lo, s1
	global_load_b128 v[25:28], v[53:54], off offset:2560
	s_and_saveexec_b32 s1, vcc_lo
	s_cbranch_execnz .LBB46_60
.LBB46_45:                              ;   in Loop: Header=BB46_38 Depth=1
	s_wait_alu 0xfffe
	s_or_b32 exec_lo, exec_lo, s1
	global_load_b128 v[29:32], v[53:54], off offset:3072
	s_and_saveexec_b32 s1, vcc_lo
	s_cbranch_execnz .LBB46_61
.LBB46_46:                              ;   in Loop: Header=BB46_38 Depth=1
	s_wait_alu 0xfffe
	s_or_b32 exec_lo, exec_lo, s1
	global_load_b128 v[33:36], v[53:54], off offset:3584
	s_and_saveexec_b32 s1, vcc_lo
	s_cbranch_execnz .LBB46_62
.LBB46_47:                              ;   in Loop: Header=BB46_38 Depth=1
	s_wait_alu 0xfffe
	s_or_b32 exec_lo, exec_lo, s1
	global_load_b128 v[37:40], v[53:54], off offset:4096
	s_and_saveexec_b32 s1, vcc_lo
	s_cbranch_execnz .LBB46_63
.LBB46_48:                              ;   in Loop: Header=BB46_38 Depth=1
	s_wait_alu 0xfffe
	s_or_b32 exec_lo, exec_lo, s1
	global_load_b128 v[41:44], v[53:54], off offset:4608
	s_and_saveexec_b32 s1, vcc_lo
	s_cbranch_execnz .LBB46_64
.LBB46_49:                              ;   in Loop: Header=BB46_38 Depth=1
	s_wait_alu 0xfffe
	s_or_b32 exec_lo, exec_lo, s1
	global_load_b128 v[45:48], v[53:54], off offset:5120
	s_and_saveexec_b32 s1, vcc_lo
	s_cbranch_execnz .LBB46_65
.LBB46_50:                              ;   in Loop: Header=BB46_38 Depth=1
	s_wait_alu 0xfffe
	s_or_b32 exec_lo, exec_lo, s1
	global_load_b128 v[49:52], v[53:54], off offset:5632
	s_and_saveexec_b32 s1, vcc_lo
	s_cbranch_execnz .LBB46_66
.LBB46_51:                              ;   in Loop: Header=BB46_38 Depth=1
	s_wait_alu 0xfffe
	s_or_b32 exec_lo, exec_lo, s1
	global_load_b128 v[57:60], v[53:54], off offset:6144
	s_and_saveexec_b32 s1, vcc_lo
	s_cbranch_execnz .LBB46_67
.LBB46_52:                              ;   in Loop: Header=BB46_38 Depth=1
	s_wait_alu 0xfffe
	s_or_b32 exec_lo, exec_lo, s1
	global_load_b128 v[61:64], v[53:54], off offset:6656
	s_and_saveexec_b32 s19, vcc_lo
	s_cbranch_execnz .LBB46_68
.LBB46_53:                              ;   in Loop: Header=BB46_38 Depth=1
	s_or_b32 exec_lo, exec_lo, s19
	global_load_b128 v[65:68], v[53:54], off offset:7168
	s_and_saveexec_b32 s1, vcc_lo
	s_cbranch_execnz .LBB46_69
.LBB46_54:                              ;   in Loop: Header=BB46_38 Depth=1
	s_wait_alu 0xfffe
	s_or_b32 exec_lo, exec_lo, s1
	global_load_b128 v[53:56], v[53:54], off offset:7680
	s_and_saveexec_b32 s0, vcc_lo
	s_cbranch_execz .LBB46_36
	s_branch .LBB46_70
.LBB46_55:                              ;   in Loop: Header=BB46_38 Depth=1
	v_cmp_gt_i32_e64 s0, s31, v99
	s_wait_loadcnt 0x0
	s_wait_alu 0xf1ff
	s_delay_alu instid0(VALU_DEP_1) | instskip(SKIP_2) | instid1(VALU_DEP_1)
	v_cndmask_b32_e64 v5, 0, v5, s0
	v_cmp_gt_i32_e64 s0, s31, v102
	s_wait_alu 0xf1ff
	v_cndmask_b32_e64 v6, 0, v6, s0
	v_cmp_gt_i32_e64 s0, s31, v101
	s_wait_alu 0xf1ff
	s_delay_alu instid0(VALU_DEP_1) | instskip(SKIP_2) | instid1(VALU_DEP_1)
	v_cndmask_b32_e64 v7, 0, v7, s0
	v_cmp_gt_i32_e64 s0, s31, v100
	s_wait_alu 0xf1ff
	v_cndmask_b32_e64 v8, 0, v8, s0
	s_wait_alu 0xfffe
	s_or_b32 exec_lo, exec_lo, s1
	global_load_b128 v[9:12], v[53:54], off offset:512
	s_and_saveexec_b32 s1, vcc_lo
	s_cbranch_execz .LBB46_41
.LBB46_56:                              ;   in Loop: Header=BB46_38 Depth=1
	v_cmp_gt_i32_e64 s0, s31, v99
	s_wait_loadcnt 0x0
	s_wait_alu 0xf1ff
	s_delay_alu instid0(VALU_DEP_1) | instskip(SKIP_2) | instid1(VALU_DEP_1)
	v_cndmask_b32_e64 v9, 0, v9, s0
	v_cmp_gt_i32_e64 s0, s31, v102
	s_wait_alu 0xf1ff
	v_cndmask_b32_e64 v10, 0, v10, s0
	v_cmp_gt_i32_e64 s0, s31, v101
	s_wait_alu 0xf1ff
	s_delay_alu instid0(VALU_DEP_1) | instskip(SKIP_2) | instid1(VALU_DEP_1)
	v_cndmask_b32_e64 v11, 0, v11, s0
	v_cmp_gt_i32_e64 s0, s31, v100
	s_wait_alu 0xf1ff
	v_cndmask_b32_e64 v12, 0, v12, s0
	s_wait_alu 0xfffe
	s_or_b32 exec_lo, exec_lo, s1
	global_load_b128 v[13:16], v[53:54], off offset:1024
	s_and_saveexec_b32 s1, vcc_lo
	s_cbranch_execz .LBB46_42
.LBB46_57:                              ;   in Loop: Header=BB46_38 Depth=1
	v_cmp_gt_i32_e64 s0, s31, v99
	s_wait_loadcnt 0x0
	s_wait_alu 0xf1ff
	s_delay_alu instid0(VALU_DEP_1) | instskip(SKIP_2) | instid1(VALU_DEP_1)
	v_cndmask_b32_e64 v13, 0, v13, s0
	v_cmp_gt_i32_e64 s0, s31, v102
	s_wait_alu 0xf1ff
	v_cndmask_b32_e64 v14, 0, v14, s0
	v_cmp_gt_i32_e64 s0, s31, v101
	s_wait_alu 0xf1ff
	s_delay_alu instid0(VALU_DEP_1) | instskip(SKIP_2) | instid1(VALU_DEP_1)
	v_cndmask_b32_e64 v15, 0, v15, s0
	v_cmp_gt_i32_e64 s0, s31, v100
	s_wait_alu 0xf1ff
	v_cndmask_b32_e64 v16, 0, v16, s0
	s_wait_alu 0xfffe
	s_or_b32 exec_lo, exec_lo, s1
	global_load_b128 v[17:20], v[53:54], off offset:1536
	s_and_saveexec_b32 s1, vcc_lo
	s_cbranch_execz .LBB46_43
.LBB46_58:                              ;   in Loop: Header=BB46_38 Depth=1
	v_cmp_gt_i32_e64 s0, s31, v99
	s_wait_loadcnt 0x0
	s_wait_alu 0xf1ff
	s_delay_alu instid0(VALU_DEP_1) | instskip(SKIP_2) | instid1(VALU_DEP_1)
	v_cndmask_b32_e64 v17, 0, v17, s0
	v_cmp_gt_i32_e64 s0, s31, v102
	s_wait_alu 0xf1ff
	v_cndmask_b32_e64 v18, 0, v18, s0
	v_cmp_gt_i32_e64 s0, s31, v101
	s_wait_alu 0xf1ff
	s_delay_alu instid0(VALU_DEP_1) | instskip(SKIP_2) | instid1(VALU_DEP_1)
	v_cndmask_b32_e64 v19, 0, v19, s0
	v_cmp_gt_i32_e64 s0, s31, v100
	s_wait_alu 0xf1ff
	v_cndmask_b32_e64 v20, 0, v20, s0
	s_wait_alu 0xfffe
	s_or_b32 exec_lo, exec_lo, s1
	global_load_b128 v[21:24], v[53:54], off offset:2048
	s_and_saveexec_b32 s1, vcc_lo
	s_cbranch_execz .LBB46_44
.LBB46_59:                              ;   in Loop: Header=BB46_38 Depth=1
	v_cmp_gt_i32_e64 s0, s31, v99
	s_wait_loadcnt 0x0
	s_wait_alu 0xf1ff
	s_delay_alu instid0(VALU_DEP_1) | instskip(SKIP_2) | instid1(VALU_DEP_1)
	v_cndmask_b32_e64 v21, 0, v21, s0
	v_cmp_gt_i32_e64 s0, s31, v102
	s_wait_alu 0xf1ff
	v_cndmask_b32_e64 v22, 0, v22, s0
	v_cmp_gt_i32_e64 s0, s31, v101
	s_wait_alu 0xf1ff
	s_delay_alu instid0(VALU_DEP_1) | instskip(SKIP_2) | instid1(VALU_DEP_1)
	v_cndmask_b32_e64 v23, 0, v23, s0
	v_cmp_gt_i32_e64 s0, s31, v100
	s_wait_alu 0xf1ff
	v_cndmask_b32_e64 v24, 0, v24, s0
	s_wait_alu 0xfffe
	s_or_b32 exec_lo, exec_lo, s1
	global_load_b128 v[25:28], v[53:54], off offset:2560
	s_and_saveexec_b32 s1, vcc_lo
	s_cbranch_execz .LBB46_45
.LBB46_60:                              ;   in Loop: Header=BB46_38 Depth=1
	v_cmp_gt_i32_e64 s0, s31, v99
	s_wait_loadcnt 0x0
	s_wait_alu 0xf1ff
	s_delay_alu instid0(VALU_DEP_1) | instskip(SKIP_2) | instid1(VALU_DEP_1)
	v_cndmask_b32_e64 v25, 0, v25, s0
	v_cmp_gt_i32_e64 s0, s31, v102
	s_wait_alu 0xf1ff
	v_cndmask_b32_e64 v26, 0, v26, s0
	v_cmp_gt_i32_e64 s0, s31, v101
	s_wait_alu 0xf1ff
	s_delay_alu instid0(VALU_DEP_1) | instskip(SKIP_2) | instid1(VALU_DEP_1)
	v_cndmask_b32_e64 v27, 0, v27, s0
	v_cmp_gt_i32_e64 s0, s31, v100
	s_wait_alu 0xf1ff
	v_cndmask_b32_e64 v28, 0, v28, s0
	s_wait_alu 0xfffe
	s_or_b32 exec_lo, exec_lo, s1
	global_load_b128 v[29:32], v[53:54], off offset:3072
	s_and_saveexec_b32 s1, vcc_lo
	s_cbranch_execz .LBB46_46
.LBB46_61:                              ;   in Loop: Header=BB46_38 Depth=1
	v_cmp_gt_i32_e64 s0, s31, v99
	s_wait_loadcnt 0x0
	s_wait_alu 0xf1ff
	s_delay_alu instid0(VALU_DEP_1) | instskip(SKIP_2) | instid1(VALU_DEP_1)
	v_cndmask_b32_e64 v29, 0, v29, s0
	v_cmp_gt_i32_e64 s0, s31, v102
	s_wait_alu 0xf1ff
	v_cndmask_b32_e64 v30, 0, v30, s0
	v_cmp_gt_i32_e64 s0, s31, v101
	s_wait_alu 0xf1ff
	s_delay_alu instid0(VALU_DEP_1) | instskip(SKIP_2) | instid1(VALU_DEP_1)
	v_cndmask_b32_e64 v31, 0, v31, s0
	v_cmp_gt_i32_e64 s0, s31, v100
	s_wait_alu 0xf1ff
	v_cndmask_b32_e64 v32, 0, v32, s0
	s_wait_alu 0xfffe
	s_or_b32 exec_lo, exec_lo, s1
	global_load_b128 v[33:36], v[53:54], off offset:3584
	s_and_saveexec_b32 s1, vcc_lo
	s_cbranch_execz .LBB46_47
.LBB46_62:                              ;   in Loop: Header=BB46_38 Depth=1
	v_cmp_gt_i32_e64 s0, s31, v99
	s_wait_loadcnt 0x0
	s_wait_alu 0xf1ff
	s_delay_alu instid0(VALU_DEP_1) | instskip(SKIP_2) | instid1(VALU_DEP_1)
	v_cndmask_b32_e64 v33, 0, v33, s0
	v_cmp_gt_i32_e64 s0, s31, v102
	s_wait_alu 0xf1ff
	v_cndmask_b32_e64 v34, 0, v34, s0
	v_cmp_gt_i32_e64 s0, s31, v101
	s_wait_alu 0xf1ff
	s_delay_alu instid0(VALU_DEP_1) | instskip(SKIP_2) | instid1(VALU_DEP_1)
	v_cndmask_b32_e64 v35, 0, v35, s0
	v_cmp_gt_i32_e64 s0, s31, v100
	s_wait_alu 0xf1ff
	v_cndmask_b32_e64 v36, 0, v36, s0
	s_wait_alu 0xfffe
	s_or_b32 exec_lo, exec_lo, s1
	global_load_b128 v[37:40], v[53:54], off offset:4096
	s_and_saveexec_b32 s1, vcc_lo
	s_cbranch_execz .LBB46_48
.LBB46_63:                              ;   in Loop: Header=BB46_38 Depth=1
	v_cmp_gt_i32_e64 s0, s31, v99
	s_wait_loadcnt 0x0
	s_wait_alu 0xf1ff
	s_delay_alu instid0(VALU_DEP_1) | instskip(SKIP_2) | instid1(VALU_DEP_1)
	v_cndmask_b32_e64 v37, 0, v37, s0
	v_cmp_gt_i32_e64 s0, s31, v102
	s_wait_alu 0xf1ff
	v_cndmask_b32_e64 v38, 0, v38, s0
	v_cmp_gt_i32_e64 s0, s31, v101
	s_wait_alu 0xf1ff
	s_delay_alu instid0(VALU_DEP_1) | instskip(SKIP_2) | instid1(VALU_DEP_1)
	v_cndmask_b32_e64 v39, 0, v39, s0
	v_cmp_gt_i32_e64 s0, s31, v100
	s_wait_alu 0xf1ff
	v_cndmask_b32_e64 v40, 0, v40, s0
	s_wait_alu 0xfffe
	s_or_b32 exec_lo, exec_lo, s1
	global_load_b128 v[41:44], v[53:54], off offset:4608
	s_and_saveexec_b32 s1, vcc_lo
	s_cbranch_execz .LBB46_49
.LBB46_64:                              ;   in Loop: Header=BB46_38 Depth=1
	v_cmp_gt_i32_e64 s0, s31, v99
	s_wait_loadcnt 0x0
	s_wait_alu 0xf1ff
	s_delay_alu instid0(VALU_DEP_1) | instskip(SKIP_2) | instid1(VALU_DEP_1)
	v_cndmask_b32_e64 v41, 0, v41, s0
	v_cmp_gt_i32_e64 s0, s31, v102
	s_wait_alu 0xf1ff
	v_cndmask_b32_e64 v42, 0, v42, s0
	v_cmp_gt_i32_e64 s0, s31, v101
	s_wait_alu 0xf1ff
	s_delay_alu instid0(VALU_DEP_1) | instskip(SKIP_2) | instid1(VALU_DEP_1)
	v_cndmask_b32_e64 v43, 0, v43, s0
	v_cmp_gt_i32_e64 s0, s31, v100
	s_wait_alu 0xf1ff
	v_cndmask_b32_e64 v44, 0, v44, s0
	s_wait_alu 0xfffe
	s_or_b32 exec_lo, exec_lo, s1
	global_load_b128 v[45:48], v[53:54], off offset:5120
	s_and_saveexec_b32 s1, vcc_lo
	s_cbranch_execz .LBB46_50
.LBB46_65:                              ;   in Loop: Header=BB46_38 Depth=1
	v_cmp_gt_i32_e64 s0, s31, v99
	s_wait_loadcnt 0x0
	s_wait_alu 0xf1ff
	s_delay_alu instid0(VALU_DEP_1) | instskip(SKIP_2) | instid1(VALU_DEP_1)
	v_cndmask_b32_e64 v45, 0, v45, s0
	v_cmp_gt_i32_e64 s0, s31, v102
	s_wait_alu 0xf1ff
	v_cndmask_b32_e64 v46, 0, v46, s0
	v_cmp_gt_i32_e64 s0, s31, v101
	s_wait_alu 0xf1ff
	s_delay_alu instid0(VALU_DEP_1) | instskip(SKIP_2) | instid1(VALU_DEP_1)
	v_cndmask_b32_e64 v47, 0, v47, s0
	v_cmp_gt_i32_e64 s0, s31, v100
	s_wait_alu 0xf1ff
	v_cndmask_b32_e64 v48, 0, v48, s0
	s_wait_alu 0xfffe
	s_or_b32 exec_lo, exec_lo, s1
	global_load_b128 v[49:52], v[53:54], off offset:5632
	s_and_saveexec_b32 s1, vcc_lo
	s_cbranch_execz .LBB46_51
.LBB46_66:                              ;   in Loop: Header=BB46_38 Depth=1
	v_cmp_gt_i32_e64 s0, s31, v99
	s_wait_loadcnt 0x0
	s_wait_alu 0xf1ff
	s_delay_alu instid0(VALU_DEP_1) | instskip(SKIP_2) | instid1(VALU_DEP_1)
	v_cndmask_b32_e64 v49, 0, v49, s0
	v_cmp_gt_i32_e64 s0, s31, v102
	s_wait_alu 0xf1ff
	v_cndmask_b32_e64 v50, 0, v50, s0
	v_cmp_gt_i32_e64 s0, s31, v101
	s_wait_alu 0xf1ff
	s_delay_alu instid0(VALU_DEP_1) | instskip(SKIP_2) | instid1(VALU_DEP_1)
	v_cndmask_b32_e64 v51, 0, v51, s0
	v_cmp_gt_i32_e64 s0, s31, v100
	s_wait_alu 0xf1ff
	v_cndmask_b32_e64 v52, 0, v52, s0
	s_wait_alu 0xfffe
	s_or_b32 exec_lo, exec_lo, s1
	global_load_b128 v[57:60], v[53:54], off offset:6144
	s_and_saveexec_b32 s1, vcc_lo
	s_cbranch_execz .LBB46_52
.LBB46_67:                              ;   in Loop: Header=BB46_38 Depth=1
	v_cmp_gt_i32_e64 s0, s31, v99
	s_wait_loadcnt 0x0
	s_wait_alu 0xf1ff
	s_delay_alu instid0(VALU_DEP_1) | instskip(SKIP_2) | instid1(VALU_DEP_1)
	v_cndmask_b32_e64 v57, 0, v57, s0
	v_cmp_gt_i32_e64 s0, s31, v102
	s_wait_alu 0xf1ff
	v_cndmask_b32_e64 v58, 0, v58, s0
	v_cmp_gt_i32_e64 s0, s31, v101
	s_wait_alu 0xf1ff
	s_delay_alu instid0(VALU_DEP_1) | instskip(SKIP_2) | instid1(VALU_DEP_1)
	v_cndmask_b32_e64 v59, 0, v59, s0
	v_cmp_gt_i32_e64 s0, s31, v100
	s_wait_alu 0xf1ff
	v_cndmask_b32_e64 v60, 0, v60, s0
	s_wait_alu 0xfffe
	s_or_b32 exec_lo, exec_lo, s1
	global_load_b128 v[61:64], v[53:54], off offset:6656
	s_and_saveexec_b32 s19, vcc_lo
	s_cbranch_execz .LBB46_53
.LBB46_68:                              ;   in Loop: Header=BB46_38 Depth=1
	v_cmp_gt_i32_e64 s0, s31, v99
	v_cmp_gt_i32_e64 s1, s31, v102
	;; [unrolled: 1-line block ×4, first 2 shown]
	s_wait_loadcnt 0x0
	s_wait_alu 0xf1ff
	v_cndmask_b32_e64 v61, 0, v61, s0
	v_cndmask_b32_e64 v62, 0, v62, s1
	;; [unrolled: 1-line block ×4, first 2 shown]
	s_or_b32 exec_lo, exec_lo, s19
	global_load_b128 v[65:68], v[53:54], off offset:7168
	s_and_saveexec_b32 s1, vcc_lo
	s_cbranch_execz .LBB46_54
.LBB46_69:                              ;   in Loop: Header=BB46_38 Depth=1
	v_cmp_gt_i32_e64 s0, s31, v99
	s_wait_loadcnt 0x0
	s_wait_alu 0xf1ff
	s_delay_alu instid0(VALU_DEP_1) | instskip(SKIP_2) | instid1(VALU_DEP_1)
	v_cndmask_b32_e64 v65, 0, v65, s0
	v_cmp_gt_i32_e64 s0, s31, v102
	s_wait_alu 0xf1ff
	v_cndmask_b32_e64 v66, 0, v66, s0
	v_cmp_gt_i32_e64 s0, s31, v101
	s_wait_alu 0xf1ff
	s_delay_alu instid0(VALU_DEP_1) | instskip(SKIP_2) | instid1(VALU_DEP_1)
	v_cndmask_b32_e64 v67, 0, v67, s0
	v_cmp_gt_i32_e64 s0, s31, v100
	s_wait_alu 0xf1ff
	v_cndmask_b32_e64 v68, 0, v68, s0
	s_wait_alu 0xfffe
	s_or_b32 exec_lo, exec_lo, s1
	global_load_b128 v[53:56], v[53:54], off offset:7680
	s_and_saveexec_b32 s0, vcc_lo
	s_cbranch_execz .LBB46_36
.LBB46_70:                              ;   in Loop: Header=BB46_38 Depth=1
	v_cmp_gt_i32_e32 vcc_lo, s31, v99
	s_wait_loadcnt 0x0
	s_wait_alu 0xfffd
	v_cndmask_b32_e32 v53, 0, v53, vcc_lo
	v_cmp_gt_i32_e32 vcc_lo, s31, v102
	s_wait_alu 0xfffd
	v_cndmask_b32_e32 v54, 0, v54, vcc_lo
	v_cmp_gt_i32_e32 vcc_lo, s31, v101
	;; [unrolled: 3-line block ×3, first 2 shown]
	s_wait_alu 0xfffd
	v_cndmask_b32_e32 v56, 0, v56, vcc_lo
	s_branch .LBB46_36
.LBB46_71:
	s_or_b32 exec_lo, exec_lo, s10
.LBB46_72:
	s_wait_alu 0xfffe
	s_or_b32 exec_lo, exec_lo, s4
	ds_bpermute_b32 v1, v77, v93
	ds_bpermute_b32 v2, v77, v94
	;; [unrolled: 1-line block ×16, first 2 shown]
	s_mov_b32 s0, exec_lo
	s_wait_storecnt 0x0
	s_wait_loadcnt_dscnt 0x0
	s_barrier_signal -1
	s_barrier_wait -1
	v_dual_add_f32 v1, v93, v1 :: v_dual_add_f32 v2, v94, v2
	v_add_f32_e32 v3, v92, v3
	v_dual_add_f32 v5, v90, v5 :: v_dual_add_f32 v6, v89, v6
	v_add_f32_e32 v4, v91, v4
	ds_bpermute_b32 v17, v76, v1
	ds_bpermute_b32 v18, v76, v2
	;; [unrolled: 1-line block ×6, first 2 shown]
	v_dual_add_f32 v9, v86, v9 :: v_dual_add_f32 v10, v85, v10
	v_dual_add_f32 v7, v88, v7 :: v_dual_add_f32 v8, v87, v8
	v_dual_add_f32 v11, v84, v11 :: v_dual_add_f32 v12, v83, v12
	v_dual_add_f32 v13, v82, v13 :: v_dual_add_f32 v14, v81, v14
	v_add_f32_e32 v15, v80, v15
	ds_bpermute_b32 v25, v76, v9
	ds_bpermute_b32 v26, v76, v10
	v_add_f32_e32 v16, v79, v16
	ds_bpermute_b32 v23, v76, v7
	ds_bpermute_b32 v24, v76, v8
	;; [unrolled: 1-line block ×4, first 2 shown]
	s_wait_dscnt 0xa
	v_dual_add_f32 v1, v1, v17 :: v_dual_add_f32 v2, v2, v18
	s_wait_dscnt 0x7
	v_dual_add_f32 v3, v3, v19 :: v_dual_add_f32 v6, v6, v22
	ds_bpermute_b32 v17, v76, v13
	v_add_f32_e32 v5, v5, v21
	ds_bpermute_b32 v21, v76, v14
	ds_bpermute_b32 v22, v76, v15
	;; [unrolled: 1-line block ×3, first 2 shown]
	s_wait_dscnt 0xa
	v_add_f32_e32 v4, v4, v20
	ds_bpermute_b32 v18, v75, v1
	ds_bpermute_b32 v19, v75, v2
	;; [unrolled: 1-line block ×3, first 2 shown]
	s_wait_dscnt 0xb
	v_dual_add_f32 v9, v9, v25 :: v_dual_add_f32 v10, v10, v26
	ds_bpermute_b32 v30, v75, v6
	s_wait_dscnt 0xa
	v_dual_add_f32 v7, v7, v23 :: v_dual_add_f32 v8, v8, v24
	s_wait_dscnt 0x8
	v_dual_add_f32 v11, v11, v27 :: v_dual_add_f32 v12, v12, v28
	ds_bpermute_b32 v26, v75, v9
	ds_bpermute_b32 v23, v75, v4
	;; [unrolled: 1-line block ×4, first 2 shown]
	s_wait_dscnt 0xb
	v_add_f32_e32 v13, v13, v17
	ds_bpermute_b32 v17, v75, v10
	s_wait_dscnt 0xa
	v_dual_add_f32 v14, v14, v21 :: v_dual_add_f32 v15, v15, v22
	s_wait_dscnt 0x9
	v_add_f32_e32 v16, v16, v29
	ds_bpermute_b32 v25, v75, v8
	ds_bpermute_b32 v27, v75, v11
	;; [unrolled: 1-line block ×5, first 2 shown]
	s_wait_dscnt 0xd
	v_add_f32_e32 v1, v1, v18
	ds_bpermute_b32 v32, v75, v16
	s_wait_dscnt 0xd
	v_add_f32_e32 v2, v2, v19
	ds_bpermute_b32 v21, v75, v13
	s_wait_dscnt 0xc
	v_dual_add_f32 v3, v3, v20 :: v_dual_add_f32 v6, v6, v30
	s_wait_dscnt 0xa
	v_dual_add_f32 v9, v9, v26 :: v_dual_add_f32 v4, v4, v23
	s_wait_dscnt 0x9
	v_add_f32_e32 v5, v5, v24
	s_wait_dscnt 0x8
	v_dual_add_f32 v7, v7, v31 :: v_dual_and_b32 v20, 0x3c7, v0
	s_wait_dscnt 0x7
	v_add_f32_e32 v10, v10, v17
	v_lshrrev_b32_e32 v17, 3, v72
	v_lshlrev_b32_e32 v19, 8, v71
	s_wait_dscnt 0x0
	global_inv scope:SCOPE_SE
	v_dual_add_f32 v8, v8, v25 :: v_dual_add_f32 v11, v11, v27
	v_add_f32_e32 v12, v12, v28
	v_dual_add_f32 v14, v14, v22 :: v_dual_add_f32 v15, v15, v29
	v_lshl_add_u32 v18, v17, 2, 0x120
	v_dual_add_f32 v16, v16, v32 :: v_dual_add_f32 v13, v13, v21
	v_cmpx_eq_u32_e32 64, v20
	s_cbranch_execz .LBB46_74
; %bb.73:
	s_delay_alu instid0(VALU_DEP_3) | instskip(NEXT) | instid1(VALU_DEP_1)
	v_add_nc_u32_e32 v20, v18, v19
	v_add_nc_u32_e32 v21, 0xfffffe00, v20
	;; [unrolled: 1-line block ×9, first 2 shown]
	ds_store_b32 v21, v1
	ds_store_b32 v22, v2
	;; [unrolled: 1-line block ×8, first 2 shown]
	v_add_nc_u32_e32 v21, 0xfffffe80, v20
	v_add_nc_u32_e32 v22, 0xfffffe90, v20
	;; [unrolled: 1-line block ×8, first 2 shown]
	ds_store_b32 v21, v9
	ds_store_b32 v22, v10
	;; [unrolled: 1-line block ×8, first 2 shown]
.LBB46_74:
	s_wait_alu 0xfffe
	s_or_b32 exec_lo, exec_lo, s0
	v_lshlrev_b32_e32 v17, 2, v17
	s_mov_b32 s1, exec_lo
	v_cmp_eq_u32_e32 vcc_lo, 0, v78
	s_wait_loadcnt_dscnt 0x0
	s_barrier_signal -1
	v_add3_u32 v17, 0x120, v19, v17
	s_barrier_wait -1
	global_inv scope:SCOPE_SE
	v_cmpx_gt_u32_e32 64, v0
	s_cbranch_execz .LBB46_93
; %bb.75:
	s_and_saveexec_b32 s0, vcc_lo
	s_cbranch_execnz .LBB46_117
; %bb.76:
	s_wait_alu 0xfffe
	s_or_b32 exec_lo, exec_lo, s0
	s_and_saveexec_b32 s0, vcc_lo
	s_cbranch_execnz .LBB46_118
.LBB46_77:
	s_wait_alu 0xfffe
	s_or_b32 exec_lo, exec_lo, s0
	s_and_saveexec_b32 s0, vcc_lo
	s_cbranch_execnz .LBB46_119
.LBB46_78:
	s_wait_alu 0xfffe
	s_or_b32 exec_lo, exec_lo, s0
	s_and_saveexec_b32 s0, vcc_lo
	s_cbranch_execnz .LBB46_120
.LBB46_79:
	s_wait_alu 0xfffe
	s_or_b32 exec_lo, exec_lo, s0
	s_and_saveexec_b32 s0, vcc_lo
	s_cbranch_execnz .LBB46_121
.LBB46_80:
	s_wait_alu 0xfffe
	s_or_b32 exec_lo, exec_lo, s0
	s_and_saveexec_b32 s0, vcc_lo
	s_cbranch_execnz .LBB46_122
.LBB46_81:
	s_wait_alu 0xfffe
	s_or_b32 exec_lo, exec_lo, s0
	s_and_saveexec_b32 s0, vcc_lo
	s_cbranch_execnz .LBB46_123
.LBB46_82:
	s_wait_alu 0xfffe
	s_or_b32 exec_lo, exec_lo, s0
	s_and_saveexec_b32 s0, vcc_lo
	s_cbranch_execnz .LBB46_124
.LBB46_83:
	s_wait_alu 0xfffe
	s_or_b32 exec_lo, exec_lo, s0
	s_and_saveexec_b32 s0, vcc_lo
	s_cbranch_execnz .LBB46_125
.LBB46_84:
	s_wait_alu 0xfffe
	s_or_b32 exec_lo, exec_lo, s0
	s_and_saveexec_b32 s0, vcc_lo
	s_cbranch_execnz .LBB46_126
.LBB46_85:
	s_wait_alu 0xfffe
	s_or_b32 exec_lo, exec_lo, s0
	s_and_saveexec_b32 s0, vcc_lo
	s_cbranch_execnz .LBB46_127
.LBB46_86:
	s_wait_alu 0xfffe
	s_or_b32 exec_lo, exec_lo, s0
	s_and_saveexec_b32 s0, vcc_lo
	s_cbranch_execnz .LBB46_128
.LBB46_87:
	s_wait_alu 0xfffe
	s_or_b32 exec_lo, exec_lo, s0
	s_and_saveexec_b32 s0, vcc_lo
	s_cbranch_execnz .LBB46_129
.LBB46_88:
	s_wait_alu 0xfffe
	s_or_b32 exec_lo, exec_lo, s0
	s_and_saveexec_b32 s0, vcc_lo
	s_cbranch_execnz .LBB46_130
.LBB46_89:
	s_wait_alu 0xfffe
	s_or_b32 exec_lo, exec_lo, s0
	s_and_saveexec_b32 s0, vcc_lo
	s_cbranch_execnz .LBB46_131
.LBB46_90:
	s_wait_alu 0xfffe
	s_or_b32 exec_lo, exec_lo, s0
	s_and_saveexec_b32 s0, vcc_lo
	s_cbranch_execz .LBB46_92
.LBB46_91:
	ds_load_b32 v19, v17 offset:240
	s_wait_dscnt 0x0
	v_add_f32_e32 v16, v16, v19
.LBB46_92:
	s_wait_alu 0xfffe
	s_or_b32 exec_lo, exec_lo, s0
.LBB46_93:
	s_wait_alu 0xfffe
	s_or_b32 exec_lo, exec_lo, s1
	v_and_b32_e32 v19, 0x3e7, v0
	s_mov_b32 s1, exec_lo
	s_wait_loadcnt 0x0
	s_barrier_signal -1
	s_barrier_wait -1
	global_inv scope:SCOPE_SE
	v_cmpx_eq_u32_e32 32, v19
	s_cbranch_execz .LBB46_95
; %bb.94:
	ds_store_2addr_b32 v18, v1, v2 offset1:4
	ds_store_2addr_b32 v18, v3, v4 offset0:8 offset1:12
	ds_store_2addr_b32 v18, v5, v6 offset0:16 offset1:20
	;; [unrolled: 1-line block ×7, first 2 shown]
.LBB46_95:
	s_wait_alu 0xfffe
	s_or_b32 exec_lo, exec_lo, s1
	s_delay_alu instid0(SALU_CYCLE_1)
	s_mov_b32 s1, exec_lo
	s_wait_loadcnt_dscnt 0x0
	s_barrier_signal -1
	s_barrier_wait -1
	global_inv scope:SCOPE_SE
	v_cmpx_gt_u32_e32 32, v0
	s_cbranch_execz .LBB46_114
; %bb.96:
	s_and_saveexec_b32 s0, vcc_lo
	s_cbranch_execnz .LBB46_132
; %bb.97:
	s_wait_alu 0xfffe
	s_or_b32 exec_lo, exec_lo, s0
	s_and_saveexec_b32 s0, vcc_lo
	s_cbranch_execnz .LBB46_133
.LBB46_98:
	s_wait_alu 0xfffe
	s_or_b32 exec_lo, exec_lo, s0
	s_and_saveexec_b32 s0, vcc_lo
	s_cbranch_execnz .LBB46_134
.LBB46_99:
	s_wait_alu 0xfffe
	s_or_b32 exec_lo, exec_lo, s0
	s_and_saveexec_b32 s0, vcc_lo
	s_cbranch_execnz .LBB46_135
.LBB46_100:
	s_wait_alu 0xfffe
	s_or_b32 exec_lo, exec_lo, s0
	s_and_saveexec_b32 s0, vcc_lo
	s_cbranch_execnz .LBB46_136
.LBB46_101:
	s_wait_alu 0xfffe
	s_or_b32 exec_lo, exec_lo, s0
	s_and_saveexec_b32 s0, vcc_lo
	s_cbranch_execnz .LBB46_137
.LBB46_102:
	s_wait_alu 0xfffe
	s_or_b32 exec_lo, exec_lo, s0
	s_and_saveexec_b32 s0, vcc_lo
	s_cbranch_execnz .LBB46_138
.LBB46_103:
	s_wait_alu 0xfffe
	s_or_b32 exec_lo, exec_lo, s0
	s_and_saveexec_b32 s0, vcc_lo
	s_cbranch_execnz .LBB46_139
.LBB46_104:
	s_wait_alu 0xfffe
	s_or_b32 exec_lo, exec_lo, s0
	s_and_saveexec_b32 s0, vcc_lo
	s_cbranch_execnz .LBB46_140
.LBB46_105:
	s_wait_alu 0xfffe
	s_or_b32 exec_lo, exec_lo, s0
	s_and_saveexec_b32 s0, vcc_lo
	s_cbranch_execnz .LBB46_141
.LBB46_106:
	s_wait_alu 0xfffe
	s_or_b32 exec_lo, exec_lo, s0
	s_and_saveexec_b32 s0, vcc_lo
	s_cbranch_execnz .LBB46_142
.LBB46_107:
	s_wait_alu 0xfffe
	s_or_b32 exec_lo, exec_lo, s0
	s_and_saveexec_b32 s0, vcc_lo
	s_cbranch_execnz .LBB46_143
.LBB46_108:
	s_wait_alu 0xfffe
	s_or_b32 exec_lo, exec_lo, s0
	s_and_saveexec_b32 s0, vcc_lo
	s_cbranch_execnz .LBB46_144
.LBB46_109:
	s_wait_alu 0xfffe
	s_or_b32 exec_lo, exec_lo, s0
	s_and_saveexec_b32 s0, vcc_lo
	s_cbranch_execnz .LBB46_145
.LBB46_110:
	s_wait_alu 0xfffe
	s_or_b32 exec_lo, exec_lo, s0
	s_and_saveexec_b32 s0, vcc_lo
	s_cbranch_execnz .LBB46_146
.LBB46_111:
	s_wait_alu 0xfffe
	s_or_b32 exec_lo, exec_lo, s0
	s_and_saveexec_b32 s0, vcc_lo
	s_cbranch_execz .LBB46_113
.LBB46_112:
	ds_load_b32 v17, v17 offset:240
	s_wait_dscnt 0x0
	v_add_f32_e32 v16, v16, v17
.LBB46_113:
	s_wait_alu 0xfffe
	s_or_b32 exec_lo, exec_lo, s0
.LBB46_114:
	s_wait_alu 0xfffe
	s_or_b32 exec_lo, exec_lo, s1
	s_mov_b32 s1, 0
	s_wait_loadcnt 0x0
	s_barrier_signal -1
	s_barrier_wait -1
	global_inv scope:SCOPE_SE
	s_mov_b32 s0, exec_lo
	v_cmpx_eq_u32_e32 0, v19
	s_cbranch_execz .LBB46_116
; %bb.115:
	s_lshl_b32 s2, s18, 6
	s_mul_i32 s4, s7, s16
	s_wait_alu 0xfffe
	s_ashr_i32 s3, s2, 31
	s_ashr_i32 s5, s4, 31
	s_wait_alu 0xfffe
	s_lshl_b64 s[2:3], s[2:3], 2
	s_lshl_b64 s[4:5], s[4:5], 2
	s_wait_kmcnt 0x0
	s_wait_alu 0xfffe
	s_add_nc_u64 s[2:3], s[14:15], s[2:3]
	v_lshrrev_b32_e32 v0, 1, v0
	s_lshl_b32 s0, s30, 8
	s_wait_alu 0xfffe
	s_add_nc_u64 s[2:3], s[2:3], s[4:5]
	s_wait_alu 0xfffe
	s_add_nc_u64 s[0:1], s[2:3], s[0:1]
	s_clause 0xf
	global_store_b32 v0, v1, s[0:1]
	global_store_b32 v0, v2, s[0:1] offset:16
	global_store_b32 v0, v3, s[0:1] offset:32
	;; [unrolled: 1-line block ×15, first 2 shown]
.LBB46_116:
	s_nop 0
	s_sendmsg sendmsg(MSG_DEALLOC_VGPRS)
	s_endpgm
.LBB46_117:
	ds_load_b32 v19, v17
	s_wait_dscnt 0x0
	v_add_f32_e32 v1, v1, v19
	s_wait_alu 0xfffe
	s_or_b32 exec_lo, exec_lo, s0
	s_and_saveexec_b32 s0, vcc_lo
	s_cbranch_execz .LBB46_77
.LBB46_118:
	ds_load_b32 v19, v17 offset:16
	s_wait_dscnt 0x0
	v_add_f32_e32 v2, v2, v19
	s_wait_alu 0xfffe
	s_or_b32 exec_lo, exec_lo, s0
	s_and_saveexec_b32 s0, vcc_lo
	s_cbranch_execz .LBB46_78
.LBB46_119:
	ds_load_b32 v19, v17 offset:32
	s_wait_dscnt 0x0
	v_add_f32_e32 v3, v3, v19
	s_wait_alu 0xfffe
	s_or_b32 exec_lo, exec_lo, s0
	s_and_saveexec_b32 s0, vcc_lo
	s_cbranch_execz .LBB46_79
.LBB46_120:
	ds_load_b32 v19, v17 offset:48
	s_wait_dscnt 0x0
	v_add_f32_e32 v4, v4, v19
	s_wait_alu 0xfffe
	s_or_b32 exec_lo, exec_lo, s0
	s_and_saveexec_b32 s0, vcc_lo
	s_cbranch_execz .LBB46_80
.LBB46_121:
	ds_load_b32 v19, v17 offset:64
	s_wait_dscnt 0x0
	v_add_f32_e32 v5, v5, v19
	s_wait_alu 0xfffe
	s_or_b32 exec_lo, exec_lo, s0
	s_and_saveexec_b32 s0, vcc_lo
	s_cbranch_execz .LBB46_81
.LBB46_122:
	ds_load_b32 v19, v17 offset:80
	s_wait_dscnt 0x0
	v_add_f32_e32 v6, v6, v19
	s_wait_alu 0xfffe
	s_or_b32 exec_lo, exec_lo, s0
	s_and_saveexec_b32 s0, vcc_lo
	s_cbranch_execz .LBB46_82
.LBB46_123:
	ds_load_b32 v19, v17 offset:96
	s_wait_dscnt 0x0
	v_add_f32_e32 v7, v7, v19
	s_wait_alu 0xfffe
	s_or_b32 exec_lo, exec_lo, s0
	s_and_saveexec_b32 s0, vcc_lo
	s_cbranch_execz .LBB46_83
.LBB46_124:
	ds_load_b32 v19, v17 offset:112
	s_wait_dscnt 0x0
	v_add_f32_e32 v8, v8, v19
	s_wait_alu 0xfffe
	s_or_b32 exec_lo, exec_lo, s0
	s_and_saveexec_b32 s0, vcc_lo
	s_cbranch_execz .LBB46_84
.LBB46_125:
	ds_load_b32 v19, v17 offset:128
	s_wait_dscnt 0x0
	v_add_f32_e32 v9, v9, v19
	s_wait_alu 0xfffe
	s_or_b32 exec_lo, exec_lo, s0
	s_and_saveexec_b32 s0, vcc_lo
	s_cbranch_execz .LBB46_85
.LBB46_126:
	ds_load_b32 v19, v17 offset:144
	s_wait_dscnt 0x0
	v_add_f32_e32 v10, v10, v19
	s_wait_alu 0xfffe
	s_or_b32 exec_lo, exec_lo, s0
	s_and_saveexec_b32 s0, vcc_lo
	s_cbranch_execz .LBB46_86
.LBB46_127:
	ds_load_b32 v19, v17 offset:160
	s_wait_dscnt 0x0
	v_add_f32_e32 v11, v11, v19
	s_wait_alu 0xfffe
	s_or_b32 exec_lo, exec_lo, s0
	s_and_saveexec_b32 s0, vcc_lo
	s_cbranch_execz .LBB46_87
.LBB46_128:
	ds_load_b32 v19, v17 offset:176
	s_wait_dscnt 0x0
	v_add_f32_e32 v12, v12, v19
	s_wait_alu 0xfffe
	s_or_b32 exec_lo, exec_lo, s0
	s_and_saveexec_b32 s0, vcc_lo
	s_cbranch_execz .LBB46_88
.LBB46_129:
	ds_load_b32 v19, v17 offset:192
	s_wait_dscnt 0x0
	v_add_f32_e32 v13, v13, v19
	s_wait_alu 0xfffe
	s_or_b32 exec_lo, exec_lo, s0
	s_and_saveexec_b32 s0, vcc_lo
	s_cbranch_execz .LBB46_89
.LBB46_130:
	ds_load_b32 v19, v17 offset:208
	s_wait_dscnt 0x0
	v_add_f32_e32 v14, v14, v19
	s_wait_alu 0xfffe
	s_or_b32 exec_lo, exec_lo, s0
	s_and_saveexec_b32 s0, vcc_lo
	s_cbranch_execz .LBB46_90
.LBB46_131:
	ds_load_b32 v19, v17 offset:224
	s_wait_dscnt 0x0
	v_add_f32_e32 v15, v15, v19
	s_wait_alu 0xfffe
	s_or_b32 exec_lo, exec_lo, s0
	s_and_saveexec_b32 s0, vcc_lo
	s_cbranch_execnz .LBB46_91
	s_branch .LBB46_92
.LBB46_132:
	ds_load_b32 v18, v17
	s_wait_dscnt 0x0
	v_add_f32_e32 v1, v1, v18
	s_wait_alu 0xfffe
	s_or_b32 exec_lo, exec_lo, s0
	s_and_saveexec_b32 s0, vcc_lo
	s_cbranch_execz .LBB46_98
.LBB46_133:
	ds_load_b32 v18, v17 offset:16
	s_wait_dscnt 0x0
	v_add_f32_e32 v2, v2, v18
	s_wait_alu 0xfffe
	s_or_b32 exec_lo, exec_lo, s0
	s_and_saveexec_b32 s0, vcc_lo
	s_cbranch_execz .LBB46_99
.LBB46_134:
	ds_load_b32 v18, v17 offset:32
	s_wait_dscnt 0x0
	v_add_f32_e32 v3, v3, v18
	s_wait_alu 0xfffe
	s_or_b32 exec_lo, exec_lo, s0
	s_and_saveexec_b32 s0, vcc_lo
	s_cbranch_execz .LBB46_100
.LBB46_135:
	ds_load_b32 v18, v17 offset:48
	s_wait_dscnt 0x0
	v_add_f32_e32 v4, v4, v18
	s_wait_alu 0xfffe
	s_or_b32 exec_lo, exec_lo, s0
	s_and_saveexec_b32 s0, vcc_lo
	s_cbranch_execz .LBB46_101
.LBB46_136:
	ds_load_b32 v18, v17 offset:64
	s_wait_dscnt 0x0
	v_add_f32_e32 v5, v5, v18
	s_wait_alu 0xfffe
	s_or_b32 exec_lo, exec_lo, s0
	s_and_saveexec_b32 s0, vcc_lo
	s_cbranch_execz .LBB46_102
.LBB46_137:
	ds_load_b32 v18, v17 offset:80
	s_wait_dscnt 0x0
	v_add_f32_e32 v6, v6, v18
	s_wait_alu 0xfffe
	s_or_b32 exec_lo, exec_lo, s0
	s_and_saveexec_b32 s0, vcc_lo
	s_cbranch_execz .LBB46_103
.LBB46_138:
	ds_load_b32 v18, v17 offset:96
	s_wait_dscnt 0x0
	v_add_f32_e32 v7, v7, v18
	s_wait_alu 0xfffe
	s_or_b32 exec_lo, exec_lo, s0
	s_and_saveexec_b32 s0, vcc_lo
	s_cbranch_execz .LBB46_104
.LBB46_139:
	ds_load_b32 v18, v17 offset:112
	s_wait_dscnt 0x0
	v_add_f32_e32 v8, v8, v18
	s_wait_alu 0xfffe
	s_or_b32 exec_lo, exec_lo, s0
	s_and_saveexec_b32 s0, vcc_lo
	s_cbranch_execz .LBB46_105
.LBB46_140:
	ds_load_b32 v18, v17 offset:128
	s_wait_dscnt 0x0
	v_add_f32_e32 v9, v9, v18
	s_wait_alu 0xfffe
	s_or_b32 exec_lo, exec_lo, s0
	s_and_saveexec_b32 s0, vcc_lo
	s_cbranch_execz .LBB46_106
.LBB46_141:
	ds_load_b32 v18, v17 offset:144
	s_wait_dscnt 0x0
	v_add_f32_e32 v10, v10, v18
	s_wait_alu 0xfffe
	s_or_b32 exec_lo, exec_lo, s0
	s_and_saveexec_b32 s0, vcc_lo
	s_cbranch_execz .LBB46_107
.LBB46_142:
	ds_load_b32 v18, v17 offset:160
	s_wait_dscnt 0x0
	v_add_f32_e32 v11, v11, v18
	s_wait_alu 0xfffe
	s_or_b32 exec_lo, exec_lo, s0
	s_and_saveexec_b32 s0, vcc_lo
	s_cbranch_execz .LBB46_108
.LBB46_143:
	ds_load_b32 v18, v17 offset:176
	s_wait_dscnt 0x0
	v_add_f32_e32 v12, v12, v18
	s_wait_alu 0xfffe
	s_or_b32 exec_lo, exec_lo, s0
	s_and_saveexec_b32 s0, vcc_lo
	s_cbranch_execz .LBB46_109
.LBB46_144:
	ds_load_b32 v18, v17 offset:192
	s_wait_dscnt 0x0
	v_add_f32_e32 v13, v13, v18
	s_wait_alu 0xfffe
	s_or_b32 exec_lo, exec_lo, s0
	s_and_saveexec_b32 s0, vcc_lo
	s_cbranch_execz .LBB46_110
.LBB46_145:
	ds_load_b32 v18, v17 offset:208
	s_wait_dscnt 0x0
	v_add_f32_e32 v14, v14, v18
	s_wait_alu 0xfffe
	s_or_b32 exec_lo, exec_lo, s0
	s_and_saveexec_b32 s0, vcc_lo
	s_cbranch_execz .LBB46_111
.LBB46_146:
	ds_load_b32 v18, v17 offset:224
	s_wait_dscnt 0x0
	v_add_f32_e32 v15, v15, v18
	s_wait_alu 0xfffe
	s_or_b32 exec_lo, exec_lo, s0
	s_and_saveexec_b32 s0, vcc_lo
	s_cbranch_execnz .LBB46_112
	s_branch .LBB46_113
	.section	.rodata,"a",@progbits
	.p2align	6, 0x0
	.amdhsa_kernel _ZN4vllm25paged_attention_v2_kernelIffLi64ELi32ELi128ELNS_18Fp8KVCacheDataTypeE0ELb1ELi512EEEvPfS2_PT_PKS3_PKT0_S9_ifPKiSB_iPKfiiiSD_SD_iiiii
		.amdhsa_group_segment_fixed_size 288
		.amdhsa_private_segment_fixed_size 0
		.amdhsa_kernarg_size 400
		.amdhsa_user_sgpr_count 2
		.amdhsa_user_sgpr_dispatch_ptr 0
		.amdhsa_user_sgpr_queue_ptr 0
		.amdhsa_user_sgpr_kernarg_segment_ptr 1
		.amdhsa_user_sgpr_dispatch_id 0
		.amdhsa_user_sgpr_private_segment_size 0
		.amdhsa_wavefront_size32 1
		.amdhsa_uses_dynamic_stack 0
		.amdhsa_enable_private_segment 0
		.amdhsa_system_sgpr_workgroup_id_x 1
		.amdhsa_system_sgpr_workgroup_id_y 1
		.amdhsa_system_sgpr_workgroup_id_z 1
		.amdhsa_system_sgpr_workgroup_info 0
		.amdhsa_system_vgpr_workitem_id 0
		.amdhsa_next_free_vgpr 124
		.amdhsa_next_free_sgpr 42
		.amdhsa_reserve_vcc 1
		.amdhsa_float_round_mode_32 0
		.amdhsa_float_round_mode_16_64 0
		.amdhsa_float_denorm_mode_32 3
		.amdhsa_float_denorm_mode_16_64 3
		.amdhsa_fp16_overflow 0
		.amdhsa_workgroup_processor_mode 1
		.amdhsa_memory_ordered 1
		.amdhsa_forward_progress 1
		.amdhsa_inst_pref_size 78
		.amdhsa_round_robin_scheduling 0
		.amdhsa_exception_fp_ieee_invalid_op 0
		.amdhsa_exception_fp_denorm_src 0
		.amdhsa_exception_fp_ieee_div_zero 0
		.amdhsa_exception_fp_ieee_overflow 0
		.amdhsa_exception_fp_ieee_underflow 0
		.amdhsa_exception_fp_ieee_inexact 0
		.amdhsa_exception_int_div_zero 0
	.end_amdhsa_kernel
	.section	.text._ZN4vllm25paged_attention_v2_kernelIffLi64ELi32ELi128ELNS_18Fp8KVCacheDataTypeE0ELb1ELi512EEEvPfS2_PT_PKS3_PKT0_S9_ifPKiSB_iPKfiiiSD_SD_iiiii,"axG",@progbits,_ZN4vllm25paged_attention_v2_kernelIffLi64ELi32ELi128ELNS_18Fp8KVCacheDataTypeE0ELb1ELi512EEEvPfS2_PT_PKS3_PKT0_S9_ifPKiSB_iPKfiiiSD_SD_iiiii,comdat
.Lfunc_end46:
	.size	_ZN4vllm25paged_attention_v2_kernelIffLi64ELi32ELi128ELNS_18Fp8KVCacheDataTypeE0ELb1ELi512EEEvPfS2_PT_PKS3_PKT0_S9_ifPKiSB_iPKfiiiSD_SD_iiiii, .Lfunc_end46-_ZN4vllm25paged_attention_v2_kernelIffLi64ELi32ELi128ELNS_18Fp8KVCacheDataTypeE0ELb1ELi512EEEvPfS2_PT_PKS3_PKT0_S9_ifPKiSB_iPKfiiiSD_SD_iiiii
                                        ; -- End function
	.set _ZN4vllm25paged_attention_v2_kernelIffLi64ELi32ELi128ELNS_18Fp8KVCacheDataTypeE0ELb1ELi512EEEvPfS2_PT_PKS3_PKT0_S9_ifPKiSB_iPKfiiiSD_SD_iiiii.num_vgpr, 124
	.set _ZN4vllm25paged_attention_v2_kernelIffLi64ELi32ELi128ELNS_18Fp8KVCacheDataTypeE0ELb1ELi512EEEvPfS2_PT_PKS3_PKT0_S9_ifPKiSB_iPKfiiiSD_SD_iiiii.num_agpr, 0
	.set _ZN4vllm25paged_attention_v2_kernelIffLi64ELi32ELi128ELNS_18Fp8KVCacheDataTypeE0ELb1ELi512EEEvPfS2_PT_PKS3_PKT0_S9_ifPKiSB_iPKfiiiSD_SD_iiiii.numbered_sgpr, 42
	.set _ZN4vllm25paged_attention_v2_kernelIffLi64ELi32ELi128ELNS_18Fp8KVCacheDataTypeE0ELb1ELi512EEEvPfS2_PT_PKS3_PKT0_S9_ifPKiSB_iPKfiiiSD_SD_iiiii.num_named_barrier, 0
	.set _ZN4vllm25paged_attention_v2_kernelIffLi64ELi32ELi128ELNS_18Fp8KVCacheDataTypeE0ELb1ELi512EEEvPfS2_PT_PKS3_PKT0_S9_ifPKiSB_iPKfiiiSD_SD_iiiii.private_seg_size, 0
	.set _ZN4vllm25paged_attention_v2_kernelIffLi64ELi32ELi128ELNS_18Fp8KVCacheDataTypeE0ELb1ELi512EEEvPfS2_PT_PKS3_PKT0_S9_ifPKiSB_iPKfiiiSD_SD_iiiii.uses_vcc, 1
	.set _ZN4vllm25paged_attention_v2_kernelIffLi64ELi32ELi128ELNS_18Fp8KVCacheDataTypeE0ELb1ELi512EEEvPfS2_PT_PKS3_PKT0_S9_ifPKiSB_iPKfiiiSD_SD_iiiii.uses_flat_scratch, 0
	.set _ZN4vllm25paged_attention_v2_kernelIffLi64ELi32ELi128ELNS_18Fp8KVCacheDataTypeE0ELb1ELi512EEEvPfS2_PT_PKS3_PKT0_S9_ifPKiSB_iPKfiiiSD_SD_iiiii.has_dyn_sized_stack, 0
	.set _ZN4vllm25paged_attention_v2_kernelIffLi64ELi32ELi128ELNS_18Fp8KVCacheDataTypeE0ELb1ELi512EEEvPfS2_PT_PKS3_PKT0_S9_ifPKiSB_iPKfiiiSD_SD_iiiii.has_recursion, 0
	.set _ZN4vllm25paged_attention_v2_kernelIffLi64ELi32ELi128ELNS_18Fp8KVCacheDataTypeE0ELb1ELi512EEEvPfS2_PT_PKS3_PKT0_S9_ifPKiSB_iPKfiiiSD_SD_iiiii.has_indirect_call, 0
	.section	.AMDGPU.csdata,"",@progbits
; Kernel info:
; codeLenInByte = 9956
; TotalNumSgprs: 44
; NumVgprs: 124
; ScratchSize: 0
; MemoryBound: 0
; FloatMode: 240
; IeeeMode: 1
; LDSByteSize: 288 bytes/workgroup (compile time only)
; SGPRBlocks: 0
; VGPRBlocks: 15
; NumSGPRsForWavesPerEU: 44
; NumVGPRsForWavesPerEU: 124
; Occupancy: 10
; WaveLimiterHint : 1
; COMPUTE_PGM_RSRC2:SCRATCH_EN: 0
; COMPUTE_PGM_RSRC2:USER_SGPR: 2
; COMPUTE_PGM_RSRC2:TRAP_HANDLER: 0
; COMPUTE_PGM_RSRC2:TGID_X_EN: 1
; COMPUTE_PGM_RSRC2:TGID_Y_EN: 1
; COMPUTE_PGM_RSRC2:TGID_Z_EN: 1
; COMPUTE_PGM_RSRC2:TIDIG_COMP_CNT: 0
	.section	.text._ZN4vllm25paged_attention_v2_kernelIffLi80ELi32ELi128ELNS_18Fp8KVCacheDataTypeE0ELb1ELi512EEEvPfS2_PT_PKS3_PKT0_S9_ifPKiSB_iPKfiiiSD_SD_iiiii,"axG",@progbits,_ZN4vllm25paged_attention_v2_kernelIffLi80ELi32ELi128ELNS_18Fp8KVCacheDataTypeE0ELb1ELi512EEEvPfS2_PT_PKS3_PKT0_S9_ifPKiSB_iPKfiiiSD_SD_iiiii,comdat
	.protected	_ZN4vllm25paged_attention_v2_kernelIffLi80ELi32ELi128ELNS_18Fp8KVCacheDataTypeE0ELb1ELi512EEEvPfS2_PT_PKS3_PKT0_S9_ifPKiSB_iPKfiiiSD_SD_iiiii ; -- Begin function _ZN4vllm25paged_attention_v2_kernelIffLi80ELi32ELi128ELNS_18Fp8KVCacheDataTypeE0ELb1ELi512EEEvPfS2_PT_PKS3_PKT0_S9_ifPKiSB_iPKfiiiSD_SD_iiiii
	.globl	_ZN4vllm25paged_attention_v2_kernelIffLi80ELi32ELi128ELNS_18Fp8KVCacheDataTypeE0ELb1ELi512EEEvPfS2_PT_PKS3_PKT0_S9_ifPKiSB_iPKfiiiSD_SD_iiiii
	.p2align	8
	.type	_ZN4vllm25paged_attention_v2_kernelIffLi80ELi32ELi128ELNS_18Fp8KVCacheDataTypeE0ELb1ELi512EEEvPfS2_PT_PKS3_PKT0_S9_ifPKiSB_iPKfiiiSD_SD_iiiii,@function
_ZN4vllm25paged_attention_v2_kernelIffLi80ELi32ELi128ELNS_18Fp8KVCacheDataTypeE0ELb1ELi512EEEvPfS2_PT_PKS3_PKT0_S9_ifPKiSB_iPKfiiiSD_SD_iiiii: ; @_ZN4vllm25paged_attention_v2_kernelIffLi80ELi32ELi128ELNS_18Fp8KVCacheDataTypeE0ELb1ELi512EEEvPfS2_PT_PKS3_PKT0_S9_ifPKiSB_iPKfiiiSD_SD_iiiii
; %bb.0:
	s_load_b64 s[2:3], s[0:1], 0x40
	s_and_b32 s18, ttmp7, 0xffff
	s_lshr_b32 s30, ttmp7, 16
	s_lshl_b32 s4, s18, 2
	s_lshl_b32 s34, s30, 9
	s_wait_kmcnt 0x0
	s_load_b32 s31, s[2:3], s4 offset:0x0
	s_wait_kmcnt 0x0
	s_cmp_ge_i32 s34, s31
	s_cbranch_scc1 .LBB47_132
; %bb.1:
	s_clause 0x1
	s_load_b32 s19, s[0:1], 0x90
	s_load_b64 s[8:9], s[0:1], 0x30
	s_wait_kmcnt 0x0
	s_abs_i32 s5, s19
	s_abs_i32 s2, s8
	s_delay_alu instid0(SALU_CYCLE_1) | instskip(SKIP_1) | instid1(SALU_CYCLE_2)
	s_cvt_f32_u32 s3, s2
	s_sub_co_i32 s4, 0, s2
	v_rcp_iflag_f32_e32 v1, s3
	s_delay_alu instid0(TRANS32_DEP_1) | instskip(SKIP_2) | instid1(SALU_CYCLE_2)
	v_readfirstlane_b32 s3, v1
	s_mul_f32 s3, s3, 0x4f7ffffe
	s_wait_alu 0xfffe
	s_cvt_u32_f32 s3, s3
	s_wait_alu 0xfffe
	s_delay_alu instid0(SALU_CYCLE_2) | instskip(NEXT) | instid1(SALU_CYCLE_1)
	s_mul_i32 s4, s4, s3
	s_mul_hi_u32 s4, s3, s4
	s_delay_alu instid0(SALU_CYCLE_1)
	s_add_co_i32 s3, s3, s4
	s_xor_b32 s4, s19, s8
	s_wait_alu 0xfffe
	s_mul_hi_u32 s3, s5, s3
	s_ashr_i32 s4, s4, 31
	s_wait_alu 0xfffe
	s_mul_i32 s6, s3, s2
	s_delay_alu instid0(SALU_CYCLE_1)
	s_sub_co_i32 s5, s5, s6
	s_add_co_i32 s6, s3, 1
	s_sub_co_i32 s7, s5, s2
	s_cmp_ge_u32 s5, s2
	s_cselect_b32 s3, s6, s3
	s_cselect_b32 s5, s7, s5
	s_wait_alu 0xfffe
	s_add_co_i32 s6, s3, 1
	s_cmp_ge_u32 s5, s2
	s_cselect_b32 s2, s6, s3
	s_load_b64 s[6:7], s[0:1], 0x50
	s_xor_b32 s2, s2, s4
	s_mov_b32 s3, 0
	s_wait_alu 0xfffe
	s_sub_co_i32 s16, s2, s4
	s_mov_b32 s15, s3
	s_abs_i32 s20, s16
	s_delay_alu instid0(SALU_CYCLE_1) | instskip(SKIP_1) | instid1(SALU_CYCLE_2)
	s_cvt_f32_u32 s2, s20
	s_wait_alu 0xfffe
	v_rcp_iflag_f32_e32 v1, s2
	s_delay_alu instid0(TRANS32_DEP_1) | instskip(SKIP_2) | instid1(SALU_CYCLE_2)
	v_readfirstlane_b32 s2, v1
	s_mul_f32 s2, s2, 0x4f7ffffe
	s_wait_alu 0xfffe
	s_cvt_u32_f32 s4, s2
	s_sub_co_i32 s2, 0, s20
	s_wait_alu 0xfffe
	s_delay_alu instid0(SALU_CYCLE_1)
	s_mul_i32 s2, s2, s4
	s_wait_alu 0xfffe
	s_mul_hi_u32 s5, s4, s2
	s_abs_i32 s2, ttmp9
	s_add_co_i32 s4, s4, s5
	s_mov_b32 s5, s3
	s_wait_kmcnt 0x0
	s_cmp_eq_u64 s[6:7], 0
	s_cbranch_scc1 .LBB47_3
; %bb.2:
	s_mov_b32 s10, ttmp9
	s_ashr_i32 s11, ttmp9, 31
	s_delay_alu instid0(SALU_CYCLE_1) | instskip(NEXT) | instid1(SALU_CYCLE_1)
	s_lshl_b64 s[10:11], s[10:11], 2
	s_add_nc_u64 s[6:7], s[6:7], s[10:11]
	s_load_b32 s15, s[6:7], 0x0
.LBB47_3:
	s_load_b96 s[12:14], s[0:1], 0x58
	v_lshlrev_b32_e32 v83, 4, v0
	s_mul_u64 s[10:11], s[2:3], s[4:5]
	s_ashr_i32 s3, ttmp9, 31
	s_ashr_i32 s10, s16, 31
	s_mul_i32 s16, ttmp9, 0x50
	s_mov_b32 s4, exec_lo
	v_cmpx_gt_u32_e32 20, v0
	s_cbranch_execz .LBB47_5
; %bb.4:
	s_load_b64 s[6:7], s[0:1], 0x18
	s_wait_kmcnt 0x0
	s_mul_i32 s22, s12, s18
	s_ashr_i32 s17, s16, 31
	s_ashr_i32 s23, s22, 31
	s_delay_alu instid0(SALU_CYCLE_1) | instskip(NEXT) | instid1(SALU_CYCLE_1)
	s_lshl_b64 s[22:23], s[22:23], 2
	s_add_nc_u64 s[6:7], s[6:7], s[22:23]
	s_lshl_b64 s[22:23], s[16:17], 2
	s_delay_alu instid0(SALU_CYCLE_1)
	s_add_nc_u64 s[6:7], s[6:7], s[22:23]
	global_load_b128 v[1:4], v83, s[6:7]
	s_wait_loadcnt 0x0
	ds_store_b128 v83, v[1:4]
.LBB47_5:
	s_or_b32 exec_lo, exec_lo, s4
	s_clause 0x1
	s_load_b128 s[4:7], s[0:1], 0x78
	s_load_b32 s22, s[0:1], 0x88
	s_wait_kmcnt 0x0
	s_mul_i32 s12, s11, s20
	s_xor_b32 s3, s3, s10
	s_sub_co_i32 s2, s2, s12
	s_add_co_i32 s10, s11, 1
	s_wait_alu 0xfffe
	s_sub_co_i32 s12, s2, s20
	s_cmp_ge_u32 s2, s20
	s_mov_b32 s24, -1
	s_cselect_b32 s10, s10, s11
	s_cselect_b32 s2, s12, s2
	s_add_co_i32 s11, s10, 1
	s_wait_alu 0xfffe
	s_cmp_ge_u32 s2, s20
	s_wait_dscnt 0x0
	s_cselect_b32 s2, s11, s10
	s_add_co_i32 s23, s31, -1
	s_wait_alu 0xfffe
	s_xor_b32 s2, s2, s3
	s_barrier_signal -1
	s_wait_alu 0xfffe
	s_sub_co_i32 s26, s2, s3
	s_barrier_wait -1
	s_abs_i32 s12, s7
	global_inv scope:SCOPE_SE
	s_cvt_f32_u32 s10, s12
                                        ; implicit-def: $sgpr17
	s_delay_alu instid0(SALU_CYCLE_3) | instskip(NEXT) | instid1(TRANS32_DEP_1)
	v_rcp_iflag_f32_e32 v1, s10
	v_readfirstlane_b32 s10, v1
	s_mul_f32 s2, s10, 0x4f7ffffe
	s_wait_alu 0xfffe
	s_delay_alu instid0(SALU_CYCLE_2) | instskip(SKIP_2) | instid1(SALU_CYCLE_1)
	s_cvt_u32_f32 s10, s2
	s_sub_co_i32 s2, 0, s12
	s_wait_alu 0xfffe
	s_mul_i32 s3, s2, s10
	s_abs_i32 s2, s23
	s_wait_alu 0xfffe
	s_mul_hi_u32 s11, s10, s3
	s_mov_b32 s3, 0
	s_wait_alu 0xfffe
	s_add_co_i32 s20, s10, s11
	s_cmp_lt_i32 s22, 0
	s_mov_b32 s21, s3
	s_cbranch_scc0 .LBB47_7
; %bb.6:
	s_mul_i32 s8, s4, s8
	s_mov_b32 s24, s3
	s_add_co_i32 s8, s26, s8
	s_delay_alu instid0(SALU_CYCLE_1) | instskip(NEXT) | instid1(SALU_CYCLE_1)
	s_mul_i32 s8, s8, s22
	s_sub_co_i32 s17, 1, s8
.LBB47_7:
	s_mul_u64 s[10:11], s[2:3], s[20:21]
	s_ashr_i32 s3, s23, 31
	s_and_not1_b32 vcc_lo, exec_lo, s24
	s_ashr_i32 s21, s7, 31
	s_cbranch_vccnz .LBB47_9
; %bb.8:
	s_mul_i32 s4, s19, s4
	s_delay_alu instid0(SALU_CYCLE_1) | instskip(NEXT) | instid1(SALU_CYCLE_1)
	s_add_co_i32 s4, s4, ttmp9
	s_mul_i32 s4, s4, s22
	s_delay_alu instid0(SALU_CYCLE_1)
	s_add_co_i32 s17, s4, 1
.LBB47_9:
	s_clause 0x2
	s_load_b32 s4, s[0:1], 0x48
	s_load_b64 s[22:23], s[0:1], 0x38
	s_load_b32 s7, s[0:1], 0x98
	s_mul_i32 s8, s11, s12
	s_xor_b32 s3, s3, s21
	s_sub_co_i32 s2, s2, s8
	s_add_co_i32 s10, s11, 1
	v_lshrrev_b32_e32 v87, 5, v0
	v_and_b32_e32 v88, 31, v0
	v_mov_b32_e32 v92, 0xff7fffff
	s_mul_i32 s26, s26, s14
	s_delay_alu instid0(VALU_DEP_3) | instskip(NEXT) | instid1(VALU_DEP_3)
	v_lshl_add_u32 v90, v87, 5, s34
	v_lshlrev_b32_e32 v85, 2, v88
	s_wait_kmcnt 0x0
	s_mul_i32 s24, s4, s18
	s_wait_alu 0xfffe
	s_sub_co_i32 s4, s2, s12
	s_ashr_i32 s25, s24, 31
	s_cmp_ge_u32 s2, s12
	s_cselect_b32 s8, s10, s11
	s_cselect_b32 s2, s4, s2
	s_add_co_i32 s4, s8, 1
	s_wait_alu 0xfffe
	s_cmp_ge_u32 s2, s12
	s_cselect_b32 s2, s4, s8
	s_add_co_i32 s4, s31, 31
	s_lshl_b32 s37, s30, 4
	s_ashr_i32 s8, s4, 31
	v_add_nc_u32_e32 v89, s37, v87
	s_lshr_b32 s8, s8, 27
	s_delay_alu instid0(SALU_CYCLE_1)
	s_add_co_i32 s4, s4, s8
	s_add_co_i32 s8, s37, 16
	s_ashr_i32 s35, s4, 5
	s_wait_alu 0xfffe
	s_xor_b32 s4, s2, s3
	s_min_i32 s33, s8, s35
	v_lshlrev_b32_e32 v84, 2, v89
	v_cmp_gt_i32_e64 s2, s33, v89
	s_sub_co_i32 s36, s4, s3
	s_and_saveexec_b32 s8, s2
	s_cbranch_execz .LBB47_17
; %bb.10:
	s_ashr_i32 s27, s26, 31
	s_load_b64 s[28:29], s[0:1], 0x20
	s_sub_co_i32 s10, s36, s5
	s_lshl_b64 s[38:39], s[26:27], 2
	s_cmp_neq_f32 s15, 0
	v_subrev_nc_u32_e32 v92, s31, v88
	v_mov_b32_e32 v77, 0
	v_dual_mov_b32 v96, 0xff7fffff :: v_dual_lshlrev_b32 v41, 4, v88
	s_cselect_b32 vcc_lo, -1, 0
	s_abs_i32 s11, s6
	v_add_nc_u32_e32 v94, 1, v92
	s_wait_alu 0xfffe
	s_cvt_f32_u32 s3, s11
	ds_load_b128 v[1:4], v77
	ds_load_b128 v[5:8], v77 offset:16
	ds_load_b128 v[9:12], v77 offset:32
	;; [unrolled: 1-line block ×9, first 2 shown]
	v_lshl_or_b32 v95, v87, 7, v85
	s_wait_alu 0xfffe
	v_rcp_iflag_f32_e32 v42, s3
	v_lshl_add_u32 v93, v87, 5, s34
	v_dual_mov_b32 v92, 0xff7fffff :: v_dual_mov_b32 v97, v89
	v_add_nc_u32_e32 v95, 0x160, v95
	s_wait_kmcnt 0x0
	s_add_nc_u64 s[28:29], s[28:29], s[38:39]
	s_mov_b32 s14, s13
	v_add_co_u32 v86, s4, s28, v41
	s_delay_alu instid0(VALU_DEP_1) | instskip(NEXT) | instid1(TRANS32_DEP_1)
	v_add_co_ci_u32_e64 v91, null, s29, 0, s4
	v_readfirstlane_b32 s3, v42
	ds_load_b128 v[41:44], v77 offset:160
	ds_load_b128 v[45:48], v77 offset:176
	;; [unrolled: 1-line block ×10, first 2 shown]
	s_lshl_b64 s[28:29], s[24:25], 2
	s_sub_co_i32 s4, 0, s11
	s_mul_f32 s3, s3, 0x4f7ffffe
	s_wait_alu 0xfffe
	s_add_nc_u64 s[28:29], s[22:23], s[28:29]
	s_wait_alu 0xfffe
	v_add_co_u32 v81, s27, s28, v84
	s_cvt_u32_f32 s3, s3
	v_add_co_ci_u32_e64 v82, null, s29, 0, s27
	s_mov_b32 s27, 0
	s_wait_alu 0xfffe
	s_mul_i32 s4, s4, s3
	s_wait_alu 0xfffe
	s_mul_hi_u32 s4, s3, s4
	s_wait_alu 0xfffe
	s_add_co_i32 s28, s3, s4
	s_branch .LBB47_12
.LBB47_11:                              ;   in Loop: Header=BB47_12 Depth=1
	s_wait_alu 0xfffe
	s_or_b32 exec_lo, exec_lo, s4
	v_add_nc_u32_e32 v97, 4, v97
	v_add_co_u32 v81, s4, v81, 16
	s_wait_alu 0xf1ff
	v_add_co_ci_u32_e64 v82, null, 0, v82, s4
	s_delay_alu instid0(VALU_DEP_3)
	v_cmp_le_i32_e64 s3, s33, v97
	v_add_nc_u32_e32 v93, 0x80, v93
	v_add_nc_u32_e32 v95, 0x200, v95
	s_or_b32 s27, s3, s27
	s_wait_alu 0xfffe
	s_and_not1_b32 exec_lo, exec_lo, s27
	s_cbranch_execz .LBB47_16
.LBB47_12:                              ; =>This Inner Loop Header: Depth=1
	v_sub_nc_u32_e32 v98, 0, v93
	s_delay_alu instid0(VALU_DEP_1) | instskip(NEXT) | instid1(VALU_DEP_1)
	v_max_i32_e32 v98, v93, v98
	v_mul_hi_u32 v99, v98, s20
	s_delay_alu instid0(VALU_DEP_1) | instskip(NEXT) | instid1(VALU_DEP_1)
	v_mul_lo_u32 v100, v99, s12
	v_sub_nc_u32_e32 v98, v98, v100
	v_add_nc_u32_e32 v100, 1, v99
	s_delay_alu instid0(VALU_DEP_2) | instskip(SKIP_2) | instid1(VALU_DEP_1)
	v_subrev_nc_u32_e32 v101, s12, v98
	v_cmp_le_u32_e64 s3, s12, v98
	s_wait_alu 0xf1ff
	v_cndmask_b32_e64 v99, v99, v100, s3
	s_delay_alu instid0(VALU_DEP_3) | instskip(SKIP_1) | instid1(VALU_DEP_3)
	v_cndmask_b32_e64 v98, v98, v101, s3
	v_ashrrev_i32_e32 v100, 31, v93
	v_add_nc_u32_e32 v101, 1, v99
	s_delay_alu instid0(VALU_DEP_3) | instskip(NEXT) | instid1(VALU_DEP_3)
	v_cmp_le_u32_e64 s3, s12, v98
	v_xor_b32_e32 v100, s21, v100
	s_wait_alu 0xf1ff
	s_delay_alu instid0(VALU_DEP_2) | instskip(NEXT) | instid1(VALU_DEP_1)
	v_cndmask_b32_e64 v98, v99, v101, s3
	v_xor_b32_e32 v98, v98, v100
	s_delay_alu instid0(VALU_DEP_1) | instskip(NEXT) | instid1(VALU_DEP_1)
	v_sub_nc_u32_e32 v98, v98, v100
	v_add_nc_u32_e32 v99, s17, v98
	v_cmp_ge_i32_e64 s4, s10, v98
	s_delay_alu instid0(VALU_DEP_2) | instskip(NEXT) | instid1(VALU_DEP_1)
	v_sub_nc_u32_e32 v100, 0, v99
	v_max_i32_e32 v100, v99, v100
	v_ashrrev_i32_e32 v99, 31, v99
	s_wait_alu 0xfffe
	s_delay_alu instid0(VALU_DEP_2) | instskip(NEXT) | instid1(VALU_DEP_1)
	v_mul_hi_u32 v101, v100, s28
	v_mul_lo_u32 v101, v101, s11
	s_delay_alu instid0(VALU_DEP_1) | instskip(NEXT) | instid1(VALU_DEP_1)
	v_sub_nc_u32_e32 v100, v100, v101
	v_subrev_nc_u32_e32 v101, s11, v100
	v_cmp_le_u32_e64 s3, s11, v100
	s_wait_alu 0xf1ff
	s_delay_alu instid0(VALU_DEP_1) | instskip(NEXT) | instid1(VALU_DEP_1)
	v_cndmask_b32_e64 v100, v100, v101, s3
	v_subrev_nc_u32_e32 v101, s11, v100
	v_cmp_le_u32_e64 s3, s11, v100
	s_wait_alu 0xf1ff
	s_delay_alu instid0(VALU_DEP_1) | instskip(NEXT) | instid1(VALU_DEP_1)
	v_cndmask_b32_e64 v100, v100, v101, s3
	v_xor_b32_e32 v100, v100, v99
	s_delay_alu instid0(VALU_DEP_1) | instskip(NEXT) | instid1(VALU_DEP_1)
	v_sub_nc_u32_e32 v99, v100, v99
	v_cmp_ne_u32_e64 s3, 0, v99
	s_and_b32 s3, s3, s4
	s_wait_alu 0xfffe
	s_and_saveexec_b32 s4, s3
	s_wait_alu 0xfffe
	s_xor_b32 s3, exec_lo, s4
; %bb.13:                               ;   in Loop: Header=BB47_12 Depth=1
	ds_store_b32 v95, v96
; %bb.14:                               ;   in Loop: Header=BB47_12 Depth=1
	s_wait_alu 0xfffe
	s_and_not1_saveexec_b32 s4, s3
	s_cbranch_execz .LBB47_11
; %bb.15:                               ;   in Loop: Header=BB47_12 Depth=1
	global_load_b32 v98, v[81:82], off
	s_wait_loadcnt 0x0
	v_mad_co_i64_i32 v[98:99], null, v98, s14, 0
	s_delay_alu instid0(VALU_DEP_1) | instskip(NEXT) | instid1(VALU_DEP_1)
	v_lshlrev_b64_e32 v[98:99], 2, v[98:99]
	v_add_co_u32 v142, s3, v86, v98
	s_wait_alu 0xf1ff
	s_delay_alu instid0(VALU_DEP_2)
	v_add_co_ci_u32_e64 v143, null, v91, v99, s3
	s_clause 0xa
	global_load_b128 v[98:101], v[142:143], off offset:512
	global_load_b128 v[102:105], v[142:143], off
	global_load_b128 v[106:109], v[142:143], off offset:1024
	global_load_b128 v[110:113], v[142:143], off offset:1536
	;; [unrolled: 1-line block ×9, first 2 shown]
	s_wait_loadcnt_dscnt 0xa12
	v_dual_mul_f32 v144, v5, v98 :: v_dual_mul_f32 v145, v6, v99
	v_dual_mul_f32 v146, v7, v100 :: v_dual_mul_f32 v147, v8, v101
	global_load_b128 v[98:101], v[142:143], off offset:5632
	s_wait_loadcnt 0xa
	v_dual_fmac_f32 v144, v1, v102 :: v_dual_fmac_f32 v145, v2, v103
	v_dual_fmac_f32 v146, v3, v104 :: v_dual_fmac_f32 v147, v4, v105
	global_load_b128 v[102:105], v[142:143], off offset:6144
	s_wait_loadcnt_dscnt 0xa11
	v_dual_fmac_f32 v144, v9, v106 :: v_dual_fmac_f32 v145, v10, v107
	v_dual_fmac_f32 v146, v11, v108 :: v_dual_fmac_f32 v147, v12, v109
	global_load_b128 v[106:109], v[142:143], off offset:6656
	s_wait_loadcnt_dscnt 0xa10
	v_dual_fmac_f32 v144, v13, v110 :: v_dual_fmac_f32 v145, v14, v111
	v_dual_fmac_f32 v146, v15, v112 :: v_dual_fmac_f32 v147, v16, v113
	global_load_b128 v[110:113], v[142:143], off offset:7168
	s_wait_loadcnt_dscnt 0xa0f
	v_dual_fmac_f32 v144, v17, v114 :: v_dual_fmac_f32 v145, v18, v115
	v_dual_fmac_f32 v146, v19, v116 :: v_dual_fmac_f32 v147, v20, v117
	global_load_b128 v[114:117], v[142:143], off offset:7680
	s_wait_loadcnt_dscnt 0xa0e
	v_dual_fmac_f32 v144, v21, v118 :: v_dual_fmac_f32 v145, v22, v119
	v_dual_fmac_f32 v146, v23, v120 :: v_dual_fmac_f32 v147, v24, v121
	global_load_b128 v[118:121], v[142:143], off offset:8192
	s_wait_loadcnt_dscnt 0xa0d
	v_dual_fmac_f32 v144, v25, v122 :: v_dual_fmac_f32 v145, v26, v123
	v_dual_fmac_f32 v146, v27, v124 :: v_dual_fmac_f32 v147, v28, v125
	global_load_b128 v[122:125], v[142:143], off offset:8704
	s_wait_loadcnt_dscnt 0xa0c
	v_dual_fmac_f32 v144, v29, v126 :: v_dual_fmac_f32 v145, v30, v127
	v_dual_fmac_f32 v146, v31, v128 :: v_dual_fmac_f32 v147, v32, v129
	global_load_b128 v[126:129], v[142:143], off offset:9216
	s_wait_loadcnt_dscnt 0xa0b
	v_dual_fmac_f32 v144, v33, v130 :: v_dual_fmac_f32 v145, v34, v131
	v_dual_fmac_f32 v146, v35, v132 :: v_dual_fmac_f32 v147, v36, v133
	global_load_b128 v[130:133], v[142:143], off offset:9728
	s_wait_loadcnt_dscnt 0xa0a
	v_dual_fmac_f32 v144, v37, v134 :: v_dual_fmac_f32 v145, v38, v135
	v_dual_fmac_f32 v146, v39, v136 :: v_dual_fmac_f32 v147, v40, v137
	s_wait_loadcnt_dscnt 0x909
	s_delay_alu instid0(VALU_DEP_2) | instskip(NEXT) | instid1(VALU_DEP_2)
	v_dual_fmac_f32 v144, v41, v138 :: v_dual_fmac_f32 v145, v42, v139
	v_dual_fmac_f32 v146, v43, v140 :: v_dual_fmac_f32 v147, v44, v141
	s_wait_loadcnt_dscnt 0x808
	s_delay_alu instid0(VALU_DEP_2) | instskip(NEXT) | instid1(VALU_DEP_2)
	v_dual_fmac_f32 v144, v45, v98 :: v_dual_fmac_f32 v145, v46, v99
	v_dual_fmac_f32 v146, v47, v100 :: v_dual_fmac_f32 v147, v48, v101
	v_max_num_f32_e32 v100, v92, v92
	s_wait_loadcnt_dscnt 0x707
	s_delay_alu instid0(VALU_DEP_3) | instskip(NEXT) | instid1(VALU_DEP_3)
	v_dual_fmac_f32 v144, v49, v102 :: v_dual_fmac_f32 v145, v50, v103
	v_dual_fmac_f32 v146, v51, v104 :: v_dual_fmac_f32 v147, v52, v105
	s_wait_loadcnt_dscnt 0x606
	s_delay_alu instid0(VALU_DEP_2) | instskip(NEXT) | instid1(VALU_DEP_2)
	v_dual_fmac_f32 v144, v53, v106 :: v_dual_fmac_f32 v145, v54, v107
	v_dual_fmac_f32 v146, v55, v108 :: v_dual_fmac_f32 v147, v56, v109
	s_wait_loadcnt_dscnt 0x505
	s_delay_alu instid0(VALU_DEP_2) | instskip(NEXT) | instid1(VALU_DEP_2)
	;; [unrolled: 4-line block ×7, first 2 shown]
	v_dual_fmac_f32 v144, v77, v130 :: v_dual_fmac_f32 v145, v78, v131
	v_dual_fmac_f32 v146, v79, v132 :: v_dual_fmac_f32 v147, v80, v133
	s_delay_alu instid0(VALU_DEP_2) | instskip(NEXT) | instid1(VALU_DEP_1)
	v_add_f32_e32 v99, v144, v145
	v_add_f32_e32 v99, v146, v99
	s_delay_alu instid0(VALU_DEP_1) | instskip(NEXT) | instid1(VALU_DEP_1)
	v_dual_add_f32 v99, v147, v99 :: v_dual_add_nc_u32 v98, v94, v93
	v_cvt_f32_i32_e32 v98, v98
	s_delay_alu instid0(VALU_DEP_1) | instskip(NEXT) | instid1(VALU_DEP_1)
	v_mul_f32_e32 v98, s15, v98
	v_cndmask_b32_e32 v98, 0, v98, vcc_lo
	s_delay_alu instid0(VALU_DEP_1) | instskip(NEXT) | instid1(VALU_DEP_1)
	v_dual_fmac_f32 v98, s9, v99 :: v_dual_add_nc_u32 v99, v88, v93
	v_max_num_f32_e32 v100, v100, v98
	s_delay_alu instid0(VALU_DEP_2) | instskip(SKIP_1) | instid1(VALU_DEP_1)
	v_cmp_gt_i32_e64 s3, s31, v99
	s_wait_alu 0xf1ff
	v_cndmask_b32_e64 v98, 0, v98, s3
	s_delay_alu instid0(VALU_DEP_3)
	v_cndmask_b32_e64 v92, v92, v100, s3
	ds_store_b32 v95, v98
	s_branch .LBB47_11
.LBB47_16:
	s_or_b32 exec_lo, exec_lo, s27
.LBB47_17:
	s_delay_alu instid0(SALU_CYCLE_1)
	s_or_b32 exec_lo, exec_lo, s8
	s_wait_dscnt 0x13
	v_mbcnt_lo_u32_b32 v1, -1, 0
	s_clause 0x2
	s_load_b128 s[8:11], s[0:1], 0x0
	s_load_b64 s[14:15], s[0:1], 0x10
	s_load_b64 s[28:29], s[0:1], 0x28
	s_wait_dscnt 0x12
	v_max_num_f32_e32 v5, v92, v92
	v_xor_b32_e32 v2, 16, v1
	v_xor_b32_e32 v4, 8, v1
	s_delay_alu instid0(VALU_DEP_2) | instskip(SKIP_2) | instid1(VALU_DEP_3)
	v_cmp_gt_i32_e32 vcc_lo, 32, v2
	s_wait_alu 0xfffd
	v_cndmask_b32_e32 v2, v1, v2, vcc_lo
	v_cmp_gt_i32_e32 vcc_lo, 32, v4
	s_delay_alu instid0(VALU_DEP_2)
	v_lshlrev_b32_e32 v2, 2, v2
	s_wait_alu 0xfffd
	v_cndmask_b32_e32 v4, v1, v4, vcc_lo
	ds_bpermute_b32 v3, v2, v92
	s_wait_dscnt 0x0
	v_dual_max_num_f32 v6, v3, v3 :: v_dual_lshlrev_b32 v3, 2, v4
	s_delay_alu instid0(VALU_DEP_1)
	v_max_num_f32_e32 v4, v5, v6
	v_xor_b32_e32 v6, 4, v1
	ds_bpermute_b32 v5, v3, v4
	v_cmp_gt_i32_e32 vcc_lo, 32, v6
	s_wait_alu 0xfffd
	v_cndmask_b32_e32 v6, v1, v6, vcc_lo
	s_delay_alu instid0(VALU_DEP_1) | instskip(SKIP_1) | instid1(VALU_DEP_1)
	v_lshlrev_b32_e32 v93, 2, v6
	v_xor_b32_e32 v6, 2, v1
	v_cmp_gt_i32_e32 vcc_lo, 32, v6
	s_wait_dscnt 0x0
	v_max_num_f32_e32 v5, v5, v5
	s_wait_alu 0xfffd
	v_cndmask_b32_e32 v6, v1, v6, vcc_lo
	s_delay_alu instid0(VALU_DEP_1) | instskip(SKIP_1) | instid1(VALU_DEP_1)
	v_lshlrev_b32_e32 v92, 2, v6
	v_xor_b32_e32 v6, 1, v1
	v_cmp_gt_i32_e32 vcc_lo, 32, v6
	s_wait_alu 0xfffd
	v_cndmask_b32_e32 v6, v1, v6, vcc_lo
	v_max_num_f32_e32 v4, v4, v5
	v_cmp_eq_u32_e32 vcc_lo, 0, v88
	s_delay_alu instid0(VALU_DEP_3) | instskip(SKIP_3) | instid1(VALU_DEP_1)
	v_lshlrev_b32_e32 v91, 2, v6
	ds_bpermute_b32 v5, v93, v4
	s_wait_dscnt 0x0
	v_max_num_f32_e32 v5, v5, v5
	v_max_num_f32_e32 v4, v4, v5
	ds_bpermute_b32 v5, v92, v4
	s_wait_dscnt 0x0
	v_max_num_f32_e32 v5, v5, v5
	s_delay_alu instid0(VALU_DEP_1)
	v_max_num_f32_e32 v1, v4, v5
	v_lshlrev_b32_e32 v5, 2, v87
	ds_bpermute_b32 v4, v91, v1
	s_and_saveexec_b32 s0, vcc_lo
	s_cbranch_execz .LBB47_19
; %bb.18:
	s_wait_dscnt 0x0
	v_dual_max_num_f32 v4, v4, v4 :: v_dual_max_num_f32 v1, v1, v1
	s_delay_alu instid0(VALU_DEP_1)
	v_max_num_f32_e32 v1, v1, v4
	ds_store_b32 v5, v1 offset:320
.LBB47_19:
	s_or_b32 exec_lo, exec_lo, s0
	v_cmp_gt_u32_e64 s0, 4, v88
	v_mov_b32_e32 v1, 0xff7fffff
	s_wait_loadcnt_dscnt 0x0
	s_barrier_signal -1
	s_barrier_wait -1
	global_inv scope:SCOPE_SE
	s_and_saveexec_b32 s1, s0
; %bb.20:
	ds_load_b32 v1, v85 offset:320
; %bb.21:
	s_or_b32 exec_lo, exec_lo, s1
	s_wait_dscnt 0x0
	ds_bpermute_b32 v4, v92, v1
	v_max_num_f32_e32 v1, v1, v1
	s_sub_co_i32 s1, s33, s37
	v_mov_b32_e32 v6, 0
	s_lshl_b32 s1, s1, 5
	s_delay_alu instid0(SALU_CYCLE_1) | instskip(NEXT) | instid1(SALU_CYCLE_1)
	s_add_co_i32 s1, s1, s34
	s_min_i32 s1, s1, s31
	s_delay_alu instid0(SALU_CYCLE_1) | instskip(SKIP_4) | instid1(VALU_DEP_1)
	s_sub_co_i32 s4, s1, s34
	s_wait_alu 0xfffe
	v_cmp_gt_i32_e64 s1, s4, v0
	s_wait_dscnt 0x0
	v_max_num_f32_e32 v4, v4, v4
	v_max_num_f32_e32 v1, v1, v4
	ds_bpermute_b32 v4, v91, v1
	s_wait_dscnt 0x0
	v_max_num_f32_e32 v4, v4, v4
	s_delay_alu instid0(VALU_DEP_1)
	v_max_num_f32_e32 v1, v1, v4
	v_lshl_add_u32 v4, v0, 2, 0x160
	ds_bpermute_b32 v1, v6, v1
	s_and_saveexec_b32 s27, s1
	s_cbranch_execz .LBB47_25
; %bb.22:
	v_lshl_add_u32 v7, v0, 2, 0x160
	v_mov_b32_e32 v6, 0
	v_mov_b32_e32 v8, v0
	s_mov_b32 s34, 0
.LBB47_23:                              ; =>This Inner Loop Header: Depth=1
	ds_load_b32 v9, v7
	v_add_nc_u32_e32 v8, 0x80, v8
	s_delay_alu instid0(VALU_DEP_1) | instskip(SKIP_4) | instid1(VALU_DEP_1)
	v_cmp_le_i32_e64 s3, s4, v8
	s_wait_alu 0xfffe
	s_or_b32 s34, s3, s34
	s_wait_dscnt 0x0
	v_sub_f32_e32 v9, v9, v1
	v_mul_f32_e32 v9, 0x3fb8aa3b, v9
	s_delay_alu instid0(VALU_DEP_1)
	v_exp_f32_e32 v9, v9
	ds_store_b32 v7, v9
	v_dual_add_f32 v6, v6, v9 :: v_dual_add_nc_u32 v7, 0x200, v7
	s_wait_alu 0xfffe
	s_and_not1_b32 exec_lo, exec_lo, s34
	s_cbranch_execnz .LBB47_23
; %bb.24:
	s_or_b32 exec_lo, exec_lo, s34
.LBB47_25:
	s_wait_alu 0xfffe
	s_or_b32 exec_lo, exec_lo, s27
	ds_bpermute_b32 v2, v2, v6
	s_wait_dscnt 0x0
	v_add_f32_e32 v2, v6, v2
	ds_bpermute_b32 v3, v3, v2
	s_wait_dscnt 0x0
	v_add_f32_e32 v2, v2, v3
	;; [unrolled: 3-line block ×5, first 2 shown]
	s_and_saveexec_b32 s3, vcc_lo
; %bb.26:
	ds_store_b32 v5, v2 offset:336
; %bb.27:
	s_wait_alu 0xfffe
	s_or_b32 exec_lo, exec_lo, s3
	s_wait_loadcnt_dscnt 0x0
	s_barrier_signal -1
	s_barrier_wait -1
	global_inv scope:SCOPE_SE
	s_and_saveexec_b32 s3, s0
; %bb.28:
	ds_load_b32 v2, v85 offset:336
; %bb.29:
	s_wait_alu 0xfffe
	s_or_b32 exec_lo, exec_lo, s3
	s_wait_dscnt 0x0
	ds_bpermute_b32 v3, v92, v2
	s_wait_dscnt 0x0
	v_add_f32_e32 v2, v2, v3
	ds_bpermute_b32 v3, v91, v2
	s_wait_dscnt 0x0
	v_dual_add_f32 v2, v2, v3 :: v_dual_mov_b32 v3, 0
	ds_bpermute_b32 v2, v3, v2
	s_and_saveexec_b32 s0, s1
	s_cbranch_execz .LBB47_32
; %bb.30:
	s_wait_dscnt 0x0
	v_add_f32_e32 v3, 0x358637bd, v2
	s_mov_b32 s1, 0
	s_delay_alu instid0(VALU_DEP_1) | instskip(SKIP_1) | instid1(VALU_DEP_2)
	v_div_scale_f32 v5, null, v3, v3, 1.0
	v_div_scale_f32 v8, vcc_lo, 1.0, v3, 1.0
	v_rcp_f32_e32 v6, v5
	s_delay_alu instid0(TRANS32_DEP_1) | instskip(NEXT) | instid1(VALU_DEP_1)
	v_fma_f32 v7, -v5, v6, 1.0
	v_fmac_f32_e32 v6, v7, v6
	s_delay_alu instid0(VALU_DEP_1) | instskip(NEXT) | instid1(VALU_DEP_1)
	v_mul_f32_e32 v7, v8, v6
	v_fma_f32 v9, -v5, v7, v8
	s_delay_alu instid0(VALU_DEP_1) | instskip(NEXT) | instid1(VALU_DEP_1)
	v_fmac_f32_e32 v7, v9, v6
	v_fma_f32 v5, -v5, v7, v8
	s_wait_alu 0xfffd
	s_delay_alu instid0(VALU_DEP_1) | instskip(NEXT) | instid1(VALU_DEP_1)
	v_div_fmas_f32 v5, v5, v6, v7
	v_div_fixup_f32 v3, v5, v3, 1.0
	v_mov_b32_e32 v5, v0
.LBB47_31:                              ; =>This Inner Loop Header: Depth=1
	ds_load_b32 v6, v4
	s_wait_dscnt 0x0
	v_dual_mul_f32 v6, v3, v6 :: v_dual_add_nc_u32 v5, 0x80, v5
	s_delay_alu instid0(VALU_DEP_1) | instskip(SKIP_3) | instid1(SALU_CYCLE_1)
	v_cmp_le_i32_e32 vcc_lo, s4, v5
	ds_store_b32 v4, v6
	v_add_nc_u32_e32 v4, 0x200, v4
	s_or_b32 s1, vcc_lo, s1
	s_and_not1_b32 exec_lo, exec_lo, s1
	s_cbranch_execnz .LBB47_31
.LBB47_32:
	s_or_b32 exec_lo, exec_lo, s0
	s_mul_i32 s0, s7, s18
	s_wait_loadcnt_dscnt 0x0
	s_mul_i32 s18, s0, s19
	s_mov_b32 s0, exec_lo
	s_barrier_signal -1
	s_barrier_wait -1
	global_inv scope:SCOPE_SE
	v_cmpx_eq_u32_e32 0, v0
	s_cbranch_execz .LBB47_34
; %bb.33:
	s_ashr_i32 s19, s18, 31
	s_mul_i32 s38, s7, ttmp9
	s_lshl_b32 s1, s30, 2
	s_lshl_b64 s[40:41], s[18:19], 2
	s_ashr_i32 s39, s38, 31
	v_mov_b32_e32 v3, s1
	s_wait_kmcnt 0x0
	s_add_nc_u64 s[10:11], s[10:11], s[40:41]
	s_lshl_b64 s[38:39], s[38:39], 2
	s_add_nc_u64 s[8:9], s[8:9], s[40:41]
	s_wait_alu 0xfffe
	s_add_nc_u64 s[10:11], s[10:11], s[38:39]
	s_add_nc_u64 s[8:9], s[8:9], s[38:39]
	s_clause 0x1
	global_store_b32 v3, v1, s[10:11]
	global_store_b32 v3, v2, s[8:9]
.LBB47_34:
	s_or_b32 exec_lo, exec_lo, s0
	v_dual_mov_b32 v113, 0 :: v_dual_and_b32 v94, 7, v0
	v_dual_mov_b32 v114, 0 :: v_dual_mov_b32 v111, 0
	v_dual_mov_b32 v112, 0 :: v_dual_mov_b32 v109, 0
	;; [unrolled: 1-line block ×9, first 2 shown]
	v_mov_b32_e32 v96, 0
	s_and_saveexec_b32 s4, s2
	s_cbranch_execz .LBB47_80
; %bb.35:
	s_abs_i32 s6, s6
	v_dual_mov_b32 v97, 0 :: v_dual_lshlrev_b32 v4, 4, v94
	s_cvt_f32_u32 s0, s6
	s_ashr_i32 s27, s26, 31
	v_dual_mov_b32 v96, 0 :: v_dual_and_b32 v3, 0x1f0, v83
	s_wait_alu 0xfffe
	v_rcp_iflag_f32_e32 v1, s0
	s_lshl_b64 s[0:1], s[24:25], 2
	s_lshl_b64 s[2:3], s[26:27], 2
	s_wait_alu 0xfffe
	s_add_nc_u64 s[0:1], s[22:23], s[0:1]
	v_dual_mov_b32 v95, 0 :: v_dual_lshlrev_b32 v2, 2, v0
	s_wait_alu 0xfffe
	v_add_co_u32 v85, s0, s0, v84
	s_wait_alu 0xf1ff
	v_add_co_ci_u32_e64 v86, null, s1, 0, s0
	s_wait_kmcnt 0x0
	v_readfirstlane_b32 s10, v1
	v_lshl_or_b32 v1, v87, 7, v4
	s_add_nc_u64 s[2:3], s[28:29], s[2:3]
	s_sub_co_i32 s11, 0, s6
	s_wait_alu 0xfffe
	v_add_co_u32 v116, s1, s2, v3
	s_mul_f32 s10, s10, 0x4f7ffffe
	v_dual_mov_b32 v98, 0 :: v_dual_and_b32 v115, 28, v2
	v_add_co_ci_u32_e64 v117, null, s3, 0, s1
	s_wait_alu 0xfffe
	s_cvt_u32_f32 s0, s10
	v_dual_mov_b32 v99, 0 :: v_dual_add_nc_u32 v118, 0x160, v1
	v_dual_mov_b32 v100, 0 :: v_dual_mov_b32 v101, 0
	s_wait_alu 0xfffe
	s_mul_i32 s11, s11, s0
	v_dual_mov_b32 v102, 0 :: v_dual_mov_b32 v103, 0
	v_dual_mov_b32 v104, 0 :: v_dual_mov_b32 v105, 0
	;; [unrolled: 1-line block ×6, first 2 shown]
	v_mov_b32_e32 v114, 0
	s_wait_alu 0xfffe
	s_mul_hi_u32 s1, s0, s11
	s_sub_co_i32 s5, s36, s5
	s_mov_b32 s8, s13
	s_add_co_i32 s9, s35, -1
	s_mov_b32 s10, 0
	s_wait_alu 0xfffe
	s_add_co_i32 s11, s0, s1
	s_branch .LBB47_38
.LBB47_36:                              ;   in Loop: Header=BB47_38 Depth=1
	s_wait_alu 0xfffe
	s_or_b32 exec_lo, exec_lo, s0
	s_wait_loadcnt_dscnt 0x1100
	v_mul_f32_e32 v13, v1, v13
	s_wait_loadcnt 0x9
	v_mul_f32_e32 v45, v1, v45
	v_mul_f32_e32 v9, v1, v9
	s_wait_loadcnt 0x5
	v_mul_f32_e32 v61, v1, v61
	v_mul_f32_e32 v37, v1, v37
	v_fmac_f32_e32 v13, v2, v14
	v_fmac_f32_e32 v45, v2, v46
	;; [unrolled: 1-line block ×3, first 2 shown]
	s_wait_loadcnt 0x3
	v_mul_f32_e32 v73, v1, v73
	v_fmac_f32_e32 v37, v2, v38
	v_fmac_f32_e32 v13, v3, v15
	;; [unrolled: 1-line block ×4, first 2 shown]
	s_wait_loadcnt 0x1
	v_mul_f32_e32 v81, v1, v81
	v_mul_f32_e32 v29, v1, v29
	v_fmac_f32_e32 v13, v4, v16
	v_fmac_f32_e32 v61, v2, v62
	;; [unrolled: 1-line block ×6, first 2 shown]
	v_dual_add_f32 v112, v112, v13 :: v_dual_fmac_f32 v61, v3, v63
	v_mul_f32_e32 v53, v1, v53
	v_add_f32_e32 v104, v104, v45
	v_mul_f32_e32 v21, v1, v21
	v_fmac_f32_e32 v29, v2, v30
	v_fmac_f32_e32 v37, v4, v40
	v_dual_fmac_f32 v73, v3, v75 :: v_dual_add_f32 v114, v114, v9
	v_fmac_f32_e32 v61, v4, v64
	v_fmac_f32_e32 v81, v2, v82
	v_mul_f32_e32 v77, v1, v77
	v_mul_f32_e32 v69, v1, v69
	;; [unrolled: 1-line block ×3, first 2 shown]
	v_add_f32_e32 v100, v100, v61
	v_mul_f32_e32 v49, v1, v49
	v_mul_f32_e32 v41, v1, v41
	v_fmac_f32_e32 v53, v2, v54
	v_mul_f32_e32 v33, v1, v33
	v_mul_f32_e32 v25, v1, v25
	v_fmac_f32_e32 v21, v2, v22
	v_dual_fmac_f32 v29, v3, v31 :: v_dual_add_f32 v106, v106, v37
	v_fmac_f32_e32 v73, v4, v76
	v_fmac_f32_e32 v81, v3, v83
	v_mul_f32_e32 v17, v1, v17
	v_mul_f32_e32 v5, v1, v5
	s_wait_loadcnt 0x0
	v_mul_f32_e32 v1, v1, v65
	v_dual_add_f32 v98, v98, v73 :: v_dual_fmac_f32 v81, v4, v84
	v_fmac_f32_e32 v77, v2, v78
	v_fmac_f32_e32 v57, v2, v58
	;; [unrolled: 1-line block ×12, first 2 shown]
	v_dual_fmac_f32 v1, v2, v66 :: v_dual_add_f32 v96, v96, v81
	v_fmac_f32_e32 v57, v3, v59
	v_fmac_f32_e32 v49, v3, v51
	;; [unrolled: 1-line block ×8, first 2 shown]
	v_dual_add_f32 v108, v108, v29 :: v_dual_fmac_f32 v69, v3, v71
	v_fmac_f32_e32 v17, v3, v19
	v_fmac_f32_e32 v5, v3, v7
	;; [unrolled: 1-line block ×5, first 2 shown]
	v_dual_fmac_f32 v41, v4, v44 :: v_dual_add_f32 v102, v102, v53
	v_fmac_f32_e32 v77, v4, v80
	v_fmac_f32_e32 v33, v4, v36
	v_dual_fmac_f32 v25, v4, v28 :: v_dual_add_f32 v110, v110, v21
	v_fmac_f32_e32 v69, v4, v72
	v_fmac_f32_e32 v17, v4, v20
	;; [unrolled: 1-line block ×4, first 2 shown]
	v_add_f32_e32 v97, v97, v77
	v_add_f32_e32 v99, v99, v69
	;; [unrolled: 1-line block ×10, first 2 shown]
.LBB47_37:                              ;   in Loop: Header=BB47_38 Depth=1
	s_wait_alu 0xfffe
	s_or_b32 exec_lo, exec_lo, s13
	v_add_nc_u32_e32 v89, 4, v89
	v_add_co_u32 v85, s0, v85, 16
	s_wait_alu 0xf1ff
	v_add_co_ci_u32_e64 v86, null, 0, v86, s0
	s_delay_alu instid0(VALU_DEP_3)
	v_cmp_le_i32_e32 vcc_lo, s33, v89
	v_add_nc_u32_e32 v90, 0x80, v90
	v_add_nc_u32_e32 v118, 0x200, v118
	s_or_b32 s10, vcc_lo, s10
	s_wait_alu 0xfffe
	s_and_not1_b32 exec_lo, exec_lo, s10
	s_cbranch_execz .LBB47_79
.LBB47_38:                              ; =>This Inner Loop Header: Depth=1
	v_sub_nc_u32_e32 v1, 0, v90
	s_delay_alu instid0(VALU_DEP_1) | instskip(NEXT) | instid1(VALU_DEP_1)
	v_max_i32_e32 v1, v90, v1
	v_mul_hi_u32 v2, v1, s20
	s_delay_alu instid0(VALU_DEP_1) | instskip(NEXT) | instid1(VALU_DEP_1)
	v_mul_lo_u32 v3, v2, s12
	v_sub_nc_u32_e32 v1, v1, v3
	v_add_nc_u32_e32 v3, 1, v2
	s_delay_alu instid0(VALU_DEP_2) | instskip(SKIP_2) | instid1(VALU_DEP_2)
	v_subrev_nc_u32_e32 v4, s12, v1
	v_cmp_le_u32_e32 vcc_lo, s12, v1
	s_wait_alu 0xfffd
	v_dual_cndmask_b32 v2, v2, v3 :: v_dual_cndmask_b32 v1, v1, v4
	v_ashrrev_i32_e32 v3, 31, v90
	s_delay_alu instid0(VALU_DEP_2) | instskip(NEXT) | instid1(VALU_DEP_3)
	v_add_nc_u32_e32 v4, 1, v2
	v_cmp_le_u32_e32 vcc_lo, s12, v1
	s_delay_alu instid0(VALU_DEP_3) | instskip(SKIP_1) | instid1(VALU_DEP_3)
	v_xor_b32_e32 v3, s21, v3
	s_wait_alu 0xfffd
	v_cndmask_b32_e32 v1, v2, v4, vcc_lo
	s_delay_alu instid0(VALU_DEP_1) | instskip(NEXT) | instid1(VALU_DEP_1)
	v_xor_b32_e32 v1, v1, v3
	v_sub_nc_u32_e32 v1, v1, v3
	s_delay_alu instid0(VALU_DEP_1) | instskip(SKIP_1) | instid1(VALU_DEP_2)
	v_add_nc_u32_e32 v2, s17, v1
	v_cmp_lt_i32_e64 s0, s5, v1
	v_sub_nc_u32_e32 v3, 0, v2
	s_delay_alu instid0(VALU_DEP_1) | instskip(SKIP_1) | instid1(VALU_DEP_1)
	v_max_i32_e32 v3, v2, v3
	s_wait_alu 0xfffe
	v_mul_hi_u32 v4, v3, s11
	s_delay_alu instid0(VALU_DEP_1) | instskip(NEXT) | instid1(VALU_DEP_1)
	v_mul_lo_u32 v4, v4, s6
	v_sub_nc_u32_e32 v3, v3, v4
	s_delay_alu instid0(VALU_DEP_1) | instskip(SKIP_2) | instid1(VALU_DEP_2)
	v_subrev_nc_u32_e32 v4, s6, v3
	v_cmp_le_u32_e32 vcc_lo, s6, v3
	s_wait_alu 0xfffd
	v_cndmask_b32_e32 v3, v3, v4, vcc_lo
	v_ashrrev_i32_e32 v2, 31, v2
	s_delay_alu instid0(VALU_DEP_2) | instskip(SKIP_2) | instid1(VALU_DEP_2)
	v_subrev_nc_u32_e32 v4, s6, v3
	v_cmp_le_u32_e32 vcc_lo, s6, v3
	s_wait_alu 0xfffd
	v_cndmask_b32_e32 v3, v3, v4, vcc_lo
	s_delay_alu instid0(VALU_DEP_1) | instskip(NEXT) | instid1(VALU_DEP_1)
	v_xor_b32_e32 v3, v3, v2
	v_sub_nc_u32_e32 v2, v3, v2
	s_delay_alu instid0(VALU_DEP_1)
	v_cmp_eq_u32_e32 vcc_lo, 0, v2
	s_or_b32 s0, vcc_lo, s0
	s_wait_alu 0xfffe
	s_and_saveexec_b32 s13, s0
	s_cbranch_execz .LBB47_37
; %bb.39:                               ;   in Loop: Header=BB47_38 Depth=1
	global_load_b32 v1, v[85:86], off
	v_add_nc_u32_e32 v119, v115, v90
	s_delay_alu instid0(VALU_DEP_1) | instskip(SKIP_4) | instid1(VALU_DEP_1)
	v_add_nc_u32_e32 v122, 1, v119
	v_add_nc_u32_e32 v121, 2, v119
	;; [unrolled: 1-line block ×3, first 2 shown]
	s_wait_loadcnt 0x0
	v_mad_co_i64_i32 v[1:2], null, v1, s8, 0
	v_lshlrev_b64_e32 v[1:2], 2, v[1:2]
	s_delay_alu instid0(VALU_DEP_1) | instskip(SKIP_1) | instid1(VALU_DEP_2)
	v_add_co_u32 v65, vcc_lo, v116, v1
	s_wait_alu 0xfffd
	v_add_co_ci_u32_e64 v66, null, v117, v2, vcc_lo
	ds_load_b128 v[1:4], v118
	v_cmp_eq_u32_e32 vcc_lo, s9, v89
	global_load_b128 v[5:8], v[65:66], off
	s_and_saveexec_b32 s1, vcc_lo
	s_cbranch_execnz .LBB47_59
; %bb.40:                               ;   in Loop: Header=BB47_38 Depth=1
	s_wait_alu 0xfffe
	s_or_b32 exec_lo, exec_lo, s1
	global_load_b128 v[9:12], v[65:66], off offset:512
	s_and_saveexec_b32 s1, vcc_lo
	s_cbranch_execnz .LBB47_60
.LBB47_41:                              ;   in Loop: Header=BB47_38 Depth=1
	s_wait_alu 0xfffe
	s_or_b32 exec_lo, exec_lo, s1
	global_load_b128 v[13:16], v[65:66], off offset:1024
	s_and_saveexec_b32 s1, vcc_lo
	s_cbranch_execnz .LBB47_61
.LBB47_42:                              ;   in Loop: Header=BB47_38 Depth=1
	s_wait_alu 0xfffe
	s_or_b32 exec_lo, exec_lo, s1
	global_load_b128 v[17:20], v[65:66], off offset:1536
	s_and_saveexec_b32 s1, vcc_lo
	s_cbranch_execnz .LBB47_62
.LBB47_43:                              ;   in Loop: Header=BB47_38 Depth=1
	s_wait_alu 0xfffe
	s_or_b32 exec_lo, exec_lo, s1
	global_load_b128 v[21:24], v[65:66], off offset:2048
	s_and_saveexec_b32 s1, vcc_lo
	s_cbranch_execnz .LBB47_63
.LBB47_44:                              ;   in Loop: Header=BB47_38 Depth=1
	s_wait_alu 0xfffe
	s_or_b32 exec_lo, exec_lo, s1
	global_load_b128 v[25:28], v[65:66], off offset:2560
	s_and_saveexec_b32 s1, vcc_lo
	s_cbranch_execnz .LBB47_64
.LBB47_45:                              ;   in Loop: Header=BB47_38 Depth=1
	s_wait_alu 0xfffe
	s_or_b32 exec_lo, exec_lo, s1
	global_load_b128 v[29:32], v[65:66], off offset:3072
	s_and_saveexec_b32 s1, vcc_lo
	s_cbranch_execnz .LBB47_65
.LBB47_46:                              ;   in Loop: Header=BB47_38 Depth=1
	s_wait_alu 0xfffe
	s_or_b32 exec_lo, exec_lo, s1
	global_load_b128 v[33:36], v[65:66], off offset:3584
	s_and_saveexec_b32 s1, vcc_lo
	s_cbranch_execnz .LBB47_66
.LBB47_47:                              ;   in Loop: Header=BB47_38 Depth=1
	s_wait_alu 0xfffe
	s_or_b32 exec_lo, exec_lo, s1
	global_load_b128 v[37:40], v[65:66], off offset:4096
	s_and_saveexec_b32 s1, vcc_lo
	s_cbranch_execnz .LBB47_67
.LBB47_48:                              ;   in Loop: Header=BB47_38 Depth=1
	s_wait_alu 0xfffe
	s_or_b32 exec_lo, exec_lo, s1
	global_load_b128 v[41:44], v[65:66], off offset:4608
	s_and_saveexec_b32 s1, vcc_lo
	s_cbranch_execnz .LBB47_68
.LBB47_49:                              ;   in Loop: Header=BB47_38 Depth=1
	s_wait_alu 0xfffe
	s_or_b32 exec_lo, exec_lo, s1
	global_load_b128 v[45:48], v[65:66], off offset:5120
	s_and_saveexec_b32 s1, vcc_lo
	s_cbranch_execnz .LBB47_69
.LBB47_50:                              ;   in Loop: Header=BB47_38 Depth=1
	s_wait_alu 0xfffe
	s_or_b32 exec_lo, exec_lo, s1
	global_load_b128 v[49:52], v[65:66], off offset:5632
	s_and_saveexec_b32 s1, vcc_lo
	s_cbranch_execnz .LBB47_70
.LBB47_51:                              ;   in Loop: Header=BB47_38 Depth=1
	s_wait_alu 0xfffe
	s_or_b32 exec_lo, exec_lo, s1
	global_load_b128 v[53:56], v[65:66], off offset:6144
	s_and_saveexec_b32 s1, vcc_lo
	s_cbranch_execnz .LBB47_71
.LBB47_52:                              ;   in Loop: Header=BB47_38 Depth=1
	s_wait_alu 0xfffe
	s_or_b32 exec_lo, exec_lo, s1
	global_load_b128 v[57:60], v[65:66], off offset:6656
	s_and_saveexec_b32 s1, vcc_lo
	s_cbranch_execnz .LBB47_72
.LBB47_53:                              ;   in Loop: Header=BB47_38 Depth=1
	s_wait_alu 0xfffe
	s_or_b32 exec_lo, exec_lo, s1
	global_load_b128 v[61:64], v[65:66], off offset:7168
	s_and_saveexec_b32 s1, vcc_lo
	s_cbranch_execnz .LBB47_73
.LBB47_54:                              ;   in Loop: Header=BB47_38 Depth=1
	s_wait_alu 0xfffe
	s_or_b32 exec_lo, exec_lo, s1
	global_load_b128 v[69:72], v[65:66], off offset:7680
	s_and_saveexec_b32 s1, vcc_lo
	s_cbranch_execnz .LBB47_74
.LBB47_55:                              ;   in Loop: Header=BB47_38 Depth=1
	s_wait_alu 0xfffe
	s_or_b32 exec_lo, exec_lo, s1
	global_load_b128 v[73:76], v[65:66], off offset:8192
	s_and_saveexec_b32 s1, vcc_lo
	s_cbranch_execnz .LBB47_75
.LBB47_56:                              ;   in Loop: Header=BB47_38 Depth=1
	s_wait_alu 0xfffe
	s_or_b32 exec_lo, exec_lo, s1
	global_load_b128 v[77:80], v[65:66], off offset:8704
	s_and_saveexec_b32 s1, vcc_lo
	s_cbranch_execnz .LBB47_76
.LBB47_57:                              ;   in Loop: Header=BB47_38 Depth=1
	s_wait_alu 0xfffe
	s_or_b32 exec_lo, exec_lo, s1
	global_load_b128 v[81:84], v[65:66], off offset:9216
	s_and_saveexec_b32 s19, vcc_lo
	s_cbranch_execnz .LBB47_77
.LBB47_58:                              ;   in Loop: Header=BB47_38 Depth=1
	s_or_b32 exec_lo, exec_lo, s19
	global_load_b128 v[65:68], v[65:66], off offset:9728
	s_and_saveexec_b32 s0, vcc_lo
	s_cbranch_execz .LBB47_36
	s_branch .LBB47_78
.LBB47_59:                              ;   in Loop: Header=BB47_38 Depth=1
	v_cmp_gt_i32_e64 s0, s31, v119
	s_wait_loadcnt 0x0
	s_wait_alu 0xf1ff
	s_delay_alu instid0(VALU_DEP_1) | instskip(SKIP_2) | instid1(VALU_DEP_1)
	v_cndmask_b32_e64 v5, 0, v5, s0
	v_cmp_gt_i32_e64 s0, s31, v122
	s_wait_alu 0xf1ff
	v_cndmask_b32_e64 v6, 0, v6, s0
	v_cmp_gt_i32_e64 s0, s31, v121
	s_wait_alu 0xf1ff
	s_delay_alu instid0(VALU_DEP_1) | instskip(SKIP_2) | instid1(VALU_DEP_1)
	v_cndmask_b32_e64 v7, 0, v7, s0
	v_cmp_gt_i32_e64 s0, s31, v120
	s_wait_alu 0xf1ff
	v_cndmask_b32_e64 v8, 0, v8, s0
	s_wait_alu 0xfffe
	s_or_b32 exec_lo, exec_lo, s1
	global_load_b128 v[9:12], v[65:66], off offset:512
	s_and_saveexec_b32 s1, vcc_lo
	s_cbranch_execz .LBB47_41
.LBB47_60:                              ;   in Loop: Header=BB47_38 Depth=1
	v_cmp_gt_i32_e64 s0, s31, v119
	s_wait_loadcnt 0x0
	s_wait_alu 0xf1ff
	s_delay_alu instid0(VALU_DEP_1) | instskip(SKIP_2) | instid1(VALU_DEP_1)
	v_cndmask_b32_e64 v9, 0, v9, s0
	v_cmp_gt_i32_e64 s0, s31, v122
	s_wait_alu 0xf1ff
	v_cndmask_b32_e64 v10, 0, v10, s0
	v_cmp_gt_i32_e64 s0, s31, v121
	s_wait_alu 0xf1ff
	s_delay_alu instid0(VALU_DEP_1) | instskip(SKIP_2) | instid1(VALU_DEP_1)
	v_cndmask_b32_e64 v11, 0, v11, s0
	v_cmp_gt_i32_e64 s0, s31, v120
	s_wait_alu 0xf1ff
	v_cndmask_b32_e64 v12, 0, v12, s0
	s_wait_alu 0xfffe
	s_or_b32 exec_lo, exec_lo, s1
	global_load_b128 v[13:16], v[65:66], off offset:1024
	s_and_saveexec_b32 s1, vcc_lo
	s_cbranch_execz .LBB47_42
.LBB47_61:                              ;   in Loop: Header=BB47_38 Depth=1
	v_cmp_gt_i32_e64 s0, s31, v119
	s_wait_loadcnt 0x0
	s_wait_alu 0xf1ff
	s_delay_alu instid0(VALU_DEP_1) | instskip(SKIP_2) | instid1(VALU_DEP_1)
	v_cndmask_b32_e64 v13, 0, v13, s0
	v_cmp_gt_i32_e64 s0, s31, v122
	s_wait_alu 0xf1ff
	v_cndmask_b32_e64 v14, 0, v14, s0
	v_cmp_gt_i32_e64 s0, s31, v121
	s_wait_alu 0xf1ff
	s_delay_alu instid0(VALU_DEP_1) | instskip(SKIP_2) | instid1(VALU_DEP_1)
	v_cndmask_b32_e64 v15, 0, v15, s0
	v_cmp_gt_i32_e64 s0, s31, v120
	s_wait_alu 0xf1ff
	v_cndmask_b32_e64 v16, 0, v16, s0
	s_wait_alu 0xfffe
	s_or_b32 exec_lo, exec_lo, s1
	global_load_b128 v[17:20], v[65:66], off offset:1536
	s_and_saveexec_b32 s1, vcc_lo
	s_cbranch_execz .LBB47_43
.LBB47_62:                              ;   in Loop: Header=BB47_38 Depth=1
	v_cmp_gt_i32_e64 s0, s31, v119
	s_wait_loadcnt 0x0
	s_wait_alu 0xf1ff
	s_delay_alu instid0(VALU_DEP_1) | instskip(SKIP_2) | instid1(VALU_DEP_1)
	v_cndmask_b32_e64 v17, 0, v17, s0
	v_cmp_gt_i32_e64 s0, s31, v122
	s_wait_alu 0xf1ff
	v_cndmask_b32_e64 v18, 0, v18, s0
	v_cmp_gt_i32_e64 s0, s31, v121
	s_wait_alu 0xf1ff
	s_delay_alu instid0(VALU_DEP_1) | instskip(SKIP_2) | instid1(VALU_DEP_1)
	v_cndmask_b32_e64 v19, 0, v19, s0
	v_cmp_gt_i32_e64 s0, s31, v120
	s_wait_alu 0xf1ff
	v_cndmask_b32_e64 v20, 0, v20, s0
	s_wait_alu 0xfffe
	s_or_b32 exec_lo, exec_lo, s1
	global_load_b128 v[21:24], v[65:66], off offset:2048
	s_and_saveexec_b32 s1, vcc_lo
	s_cbranch_execz .LBB47_44
.LBB47_63:                              ;   in Loop: Header=BB47_38 Depth=1
	v_cmp_gt_i32_e64 s0, s31, v119
	s_wait_loadcnt 0x0
	s_wait_alu 0xf1ff
	s_delay_alu instid0(VALU_DEP_1) | instskip(SKIP_2) | instid1(VALU_DEP_1)
	v_cndmask_b32_e64 v21, 0, v21, s0
	v_cmp_gt_i32_e64 s0, s31, v122
	s_wait_alu 0xf1ff
	v_cndmask_b32_e64 v22, 0, v22, s0
	v_cmp_gt_i32_e64 s0, s31, v121
	s_wait_alu 0xf1ff
	s_delay_alu instid0(VALU_DEP_1) | instskip(SKIP_2) | instid1(VALU_DEP_1)
	v_cndmask_b32_e64 v23, 0, v23, s0
	v_cmp_gt_i32_e64 s0, s31, v120
	s_wait_alu 0xf1ff
	v_cndmask_b32_e64 v24, 0, v24, s0
	s_wait_alu 0xfffe
	s_or_b32 exec_lo, exec_lo, s1
	global_load_b128 v[25:28], v[65:66], off offset:2560
	s_and_saveexec_b32 s1, vcc_lo
	s_cbranch_execz .LBB47_45
.LBB47_64:                              ;   in Loop: Header=BB47_38 Depth=1
	v_cmp_gt_i32_e64 s0, s31, v119
	s_wait_loadcnt 0x0
	s_wait_alu 0xf1ff
	s_delay_alu instid0(VALU_DEP_1) | instskip(SKIP_2) | instid1(VALU_DEP_1)
	v_cndmask_b32_e64 v25, 0, v25, s0
	v_cmp_gt_i32_e64 s0, s31, v122
	s_wait_alu 0xf1ff
	v_cndmask_b32_e64 v26, 0, v26, s0
	v_cmp_gt_i32_e64 s0, s31, v121
	s_wait_alu 0xf1ff
	s_delay_alu instid0(VALU_DEP_1) | instskip(SKIP_2) | instid1(VALU_DEP_1)
	v_cndmask_b32_e64 v27, 0, v27, s0
	v_cmp_gt_i32_e64 s0, s31, v120
	s_wait_alu 0xf1ff
	v_cndmask_b32_e64 v28, 0, v28, s0
	s_wait_alu 0xfffe
	s_or_b32 exec_lo, exec_lo, s1
	global_load_b128 v[29:32], v[65:66], off offset:3072
	s_and_saveexec_b32 s1, vcc_lo
	s_cbranch_execz .LBB47_46
.LBB47_65:                              ;   in Loop: Header=BB47_38 Depth=1
	v_cmp_gt_i32_e64 s0, s31, v119
	s_wait_loadcnt 0x0
	s_wait_alu 0xf1ff
	s_delay_alu instid0(VALU_DEP_1) | instskip(SKIP_2) | instid1(VALU_DEP_1)
	v_cndmask_b32_e64 v29, 0, v29, s0
	v_cmp_gt_i32_e64 s0, s31, v122
	s_wait_alu 0xf1ff
	v_cndmask_b32_e64 v30, 0, v30, s0
	v_cmp_gt_i32_e64 s0, s31, v121
	s_wait_alu 0xf1ff
	s_delay_alu instid0(VALU_DEP_1) | instskip(SKIP_2) | instid1(VALU_DEP_1)
	v_cndmask_b32_e64 v31, 0, v31, s0
	v_cmp_gt_i32_e64 s0, s31, v120
	s_wait_alu 0xf1ff
	v_cndmask_b32_e64 v32, 0, v32, s0
	s_wait_alu 0xfffe
	s_or_b32 exec_lo, exec_lo, s1
	global_load_b128 v[33:36], v[65:66], off offset:3584
	s_and_saveexec_b32 s1, vcc_lo
	s_cbranch_execz .LBB47_47
.LBB47_66:                              ;   in Loop: Header=BB47_38 Depth=1
	v_cmp_gt_i32_e64 s0, s31, v119
	s_wait_loadcnt 0x0
	s_wait_alu 0xf1ff
	s_delay_alu instid0(VALU_DEP_1) | instskip(SKIP_2) | instid1(VALU_DEP_1)
	v_cndmask_b32_e64 v33, 0, v33, s0
	v_cmp_gt_i32_e64 s0, s31, v122
	s_wait_alu 0xf1ff
	v_cndmask_b32_e64 v34, 0, v34, s0
	v_cmp_gt_i32_e64 s0, s31, v121
	s_wait_alu 0xf1ff
	s_delay_alu instid0(VALU_DEP_1) | instskip(SKIP_2) | instid1(VALU_DEP_1)
	v_cndmask_b32_e64 v35, 0, v35, s0
	v_cmp_gt_i32_e64 s0, s31, v120
	s_wait_alu 0xf1ff
	v_cndmask_b32_e64 v36, 0, v36, s0
	s_wait_alu 0xfffe
	s_or_b32 exec_lo, exec_lo, s1
	global_load_b128 v[37:40], v[65:66], off offset:4096
	s_and_saveexec_b32 s1, vcc_lo
	s_cbranch_execz .LBB47_48
.LBB47_67:                              ;   in Loop: Header=BB47_38 Depth=1
	v_cmp_gt_i32_e64 s0, s31, v119
	s_wait_loadcnt 0x0
	s_wait_alu 0xf1ff
	s_delay_alu instid0(VALU_DEP_1) | instskip(SKIP_2) | instid1(VALU_DEP_1)
	v_cndmask_b32_e64 v37, 0, v37, s0
	v_cmp_gt_i32_e64 s0, s31, v122
	s_wait_alu 0xf1ff
	v_cndmask_b32_e64 v38, 0, v38, s0
	v_cmp_gt_i32_e64 s0, s31, v121
	s_wait_alu 0xf1ff
	s_delay_alu instid0(VALU_DEP_1) | instskip(SKIP_2) | instid1(VALU_DEP_1)
	v_cndmask_b32_e64 v39, 0, v39, s0
	v_cmp_gt_i32_e64 s0, s31, v120
	s_wait_alu 0xf1ff
	v_cndmask_b32_e64 v40, 0, v40, s0
	s_wait_alu 0xfffe
	s_or_b32 exec_lo, exec_lo, s1
	global_load_b128 v[41:44], v[65:66], off offset:4608
	s_and_saveexec_b32 s1, vcc_lo
	s_cbranch_execz .LBB47_49
.LBB47_68:                              ;   in Loop: Header=BB47_38 Depth=1
	v_cmp_gt_i32_e64 s0, s31, v119
	s_wait_loadcnt 0x0
	s_wait_alu 0xf1ff
	s_delay_alu instid0(VALU_DEP_1) | instskip(SKIP_2) | instid1(VALU_DEP_1)
	v_cndmask_b32_e64 v41, 0, v41, s0
	v_cmp_gt_i32_e64 s0, s31, v122
	s_wait_alu 0xf1ff
	v_cndmask_b32_e64 v42, 0, v42, s0
	v_cmp_gt_i32_e64 s0, s31, v121
	s_wait_alu 0xf1ff
	s_delay_alu instid0(VALU_DEP_1) | instskip(SKIP_2) | instid1(VALU_DEP_1)
	v_cndmask_b32_e64 v43, 0, v43, s0
	v_cmp_gt_i32_e64 s0, s31, v120
	s_wait_alu 0xf1ff
	v_cndmask_b32_e64 v44, 0, v44, s0
	s_wait_alu 0xfffe
	s_or_b32 exec_lo, exec_lo, s1
	global_load_b128 v[45:48], v[65:66], off offset:5120
	s_and_saveexec_b32 s1, vcc_lo
	s_cbranch_execz .LBB47_50
.LBB47_69:                              ;   in Loop: Header=BB47_38 Depth=1
	v_cmp_gt_i32_e64 s0, s31, v119
	s_wait_loadcnt 0x0
	s_wait_alu 0xf1ff
	s_delay_alu instid0(VALU_DEP_1) | instskip(SKIP_2) | instid1(VALU_DEP_1)
	v_cndmask_b32_e64 v45, 0, v45, s0
	v_cmp_gt_i32_e64 s0, s31, v122
	s_wait_alu 0xf1ff
	v_cndmask_b32_e64 v46, 0, v46, s0
	v_cmp_gt_i32_e64 s0, s31, v121
	s_wait_alu 0xf1ff
	s_delay_alu instid0(VALU_DEP_1) | instskip(SKIP_2) | instid1(VALU_DEP_1)
	v_cndmask_b32_e64 v47, 0, v47, s0
	v_cmp_gt_i32_e64 s0, s31, v120
	s_wait_alu 0xf1ff
	v_cndmask_b32_e64 v48, 0, v48, s0
	s_wait_alu 0xfffe
	s_or_b32 exec_lo, exec_lo, s1
	global_load_b128 v[49:52], v[65:66], off offset:5632
	s_and_saveexec_b32 s1, vcc_lo
	s_cbranch_execz .LBB47_51
.LBB47_70:                              ;   in Loop: Header=BB47_38 Depth=1
	v_cmp_gt_i32_e64 s0, s31, v119
	s_wait_loadcnt 0x0
	s_wait_alu 0xf1ff
	s_delay_alu instid0(VALU_DEP_1) | instskip(SKIP_2) | instid1(VALU_DEP_1)
	v_cndmask_b32_e64 v49, 0, v49, s0
	v_cmp_gt_i32_e64 s0, s31, v122
	s_wait_alu 0xf1ff
	v_cndmask_b32_e64 v50, 0, v50, s0
	v_cmp_gt_i32_e64 s0, s31, v121
	s_wait_alu 0xf1ff
	s_delay_alu instid0(VALU_DEP_1) | instskip(SKIP_2) | instid1(VALU_DEP_1)
	v_cndmask_b32_e64 v51, 0, v51, s0
	v_cmp_gt_i32_e64 s0, s31, v120
	s_wait_alu 0xf1ff
	v_cndmask_b32_e64 v52, 0, v52, s0
	s_wait_alu 0xfffe
	s_or_b32 exec_lo, exec_lo, s1
	global_load_b128 v[53:56], v[65:66], off offset:6144
	s_and_saveexec_b32 s1, vcc_lo
	s_cbranch_execz .LBB47_52
.LBB47_71:                              ;   in Loop: Header=BB47_38 Depth=1
	v_cmp_gt_i32_e64 s0, s31, v119
	s_wait_loadcnt 0x0
	s_wait_alu 0xf1ff
	s_delay_alu instid0(VALU_DEP_1) | instskip(SKIP_2) | instid1(VALU_DEP_1)
	v_cndmask_b32_e64 v53, 0, v53, s0
	v_cmp_gt_i32_e64 s0, s31, v122
	s_wait_alu 0xf1ff
	v_cndmask_b32_e64 v54, 0, v54, s0
	v_cmp_gt_i32_e64 s0, s31, v121
	s_wait_alu 0xf1ff
	s_delay_alu instid0(VALU_DEP_1) | instskip(SKIP_2) | instid1(VALU_DEP_1)
	v_cndmask_b32_e64 v55, 0, v55, s0
	v_cmp_gt_i32_e64 s0, s31, v120
	s_wait_alu 0xf1ff
	v_cndmask_b32_e64 v56, 0, v56, s0
	s_wait_alu 0xfffe
	s_or_b32 exec_lo, exec_lo, s1
	global_load_b128 v[57:60], v[65:66], off offset:6656
	s_and_saveexec_b32 s1, vcc_lo
	s_cbranch_execz .LBB47_53
.LBB47_72:                              ;   in Loop: Header=BB47_38 Depth=1
	v_cmp_gt_i32_e64 s0, s31, v119
	s_wait_loadcnt 0x0
	s_wait_alu 0xf1ff
	s_delay_alu instid0(VALU_DEP_1) | instskip(SKIP_2) | instid1(VALU_DEP_1)
	v_cndmask_b32_e64 v57, 0, v57, s0
	v_cmp_gt_i32_e64 s0, s31, v122
	s_wait_alu 0xf1ff
	v_cndmask_b32_e64 v58, 0, v58, s0
	v_cmp_gt_i32_e64 s0, s31, v121
	s_wait_alu 0xf1ff
	s_delay_alu instid0(VALU_DEP_1) | instskip(SKIP_2) | instid1(VALU_DEP_1)
	v_cndmask_b32_e64 v59, 0, v59, s0
	v_cmp_gt_i32_e64 s0, s31, v120
	s_wait_alu 0xf1ff
	v_cndmask_b32_e64 v60, 0, v60, s0
	s_wait_alu 0xfffe
	s_or_b32 exec_lo, exec_lo, s1
	global_load_b128 v[61:64], v[65:66], off offset:7168
	s_and_saveexec_b32 s1, vcc_lo
	s_cbranch_execz .LBB47_54
.LBB47_73:                              ;   in Loop: Header=BB47_38 Depth=1
	v_cmp_gt_i32_e64 s0, s31, v119
	s_wait_loadcnt 0x0
	s_wait_alu 0xf1ff
	s_delay_alu instid0(VALU_DEP_1) | instskip(SKIP_2) | instid1(VALU_DEP_1)
	v_cndmask_b32_e64 v61, 0, v61, s0
	v_cmp_gt_i32_e64 s0, s31, v122
	s_wait_alu 0xf1ff
	v_cndmask_b32_e64 v62, 0, v62, s0
	v_cmp_gt_i32_e64 s0, s31, v121
	s_wait_alu 0xf1ff
	s_delay_alu instid0(VALU_DEP_1) | instskip(SKIP_2) | instid1(VALU_DEP_1)
	v_cndmask_b32_e64 v63, 0, v63, s0
	v_cmp_gt_i32_e64 s0, s31, v120
	s_wait_alu 0xf1ff
	v_cndmask_b32_e64 v64, 0, v64, s0
	s_wait_alu 0xfffe
	s_or_b32 exec_lo, exec_lo, s1
	global_load_b128 v[69:72], v[65:66], off offset:7680
	s_and_saveexec_b32 s1, vcc_lo
	s_cbranch_execz .LBB47_55
.LBB47_74:                              ;   in Loop: Header=BB47_38 Depth=1
	v_cmp_gt_i32_e64 s0, s31, v119
	s_wait_loadcnt 0x0
	s_wait_alu 0xf1ff
	s_delay_alu instid0(VALU_DEP_1) | instskip(SKIP_2) | instid1(VALU_DEP_1)
	v_cndmask_b32_e64 v69, 0, v69, s0
	v_cmp_gt_i32_e64 s0, s31, v122
	s_wait_alu 0xf1ff
	v_cndmask_b32_e64 v70, 0, v70, s0
	v_cmp_gt_i32_e64 s0, s31, v121
	s_wait_alu 0xf1ff
	s_delay_alu instid0(VALU_DEP_1) | instskip(SKIP_2) | instid1(VALU_DEP_1)
	v_cndmask_b32_e64 v71, 0, v71, s0
	v_cmp_gt_i32_e64 s0, s31, v120
	s_wait_alu 0xf1ff
	v_cndmask_b32_e64 v72, 0, v72, s0
	s_wait_alu 0xfffe
	s_or_b32 exec_lo, exec_lo, s1
	global_load_b128 v[73:76], v[65:66], off offset:8192
	s_and_saveexec_b32 s1, vcc_lo
	s_cbranch_execz .LBB47_56
.LBB47_75:                              ;   in Loop: Header=BB47_38 Depth=1
	v_cmp_gt_i32_e64 s0, s31, v119
	s_wait_loadcnt 0x0
	s_wait_alu 0xf1ff
	s_delay_alu instid0(VALU_DEP_1) | instskip(SKIP_2) | instid1(VALU_DEP_1)
	v_cndmask_b32_e64 v73, 0, v73, s0
	v_cmp_gt_i32_e64 s0, s31, v122
	s_wait_alu 0xf1ff
	v_cndmask_b32_e64 v74, 0, v74, s0
	v_cmp_gt_i32_e64 s0, s31, v121
	s_wait_alu 0xf1ff
	s_delay_alu instid0(VALU_DEP_1) | instskip(SKIP_2) | instid1(VALU_DEP_1)
	v_cndmask_b32_e64 v75, 0, v75, s0
	v_cmp_gt_i32_e64 s0, s31, v120
	s_wait_alu 0xf1ff
	v_cndmask_b32_e64 v76, 0, v76, s0
	s_wait_alu 0xfffe
	s_or_b32 exec_lo, exec_lo, s1
	global_load_b128 v[77:80], v[65:66], off offset:8704
	s_and_saveexec_b32 s1, vcc_lo
	s_cbranch_execz .LBB47_57
.LBB47_76:                              ;   in Loop: Header=BB47_38 Depth=1
	v_cmp_gt_i32_e64 s0, s31, v119
	s_wait_loadcnt 0x0
	s_wait_alu 0xf1ff
	s_delay_alu instid0(VALU_DEP_1) | instskip(SKIP_2) | instid1(VALU_DEP_1)
	v_cndmask_b32_e64 v77, 0, v77, s0
	v_cmp_gt_i32_e64 s0, s31, v122
	s_wait_alu 0xf1ff
	v_cndmask_b32_e64 v78, 0, v78, s0
	v_cmp_gt_i32_e64 s0, s31, v121
	s_wait_alu 0xf1ff
	s_delay_alu instid0(VALU_DEP_1) | instskip(SKIP_2) | instid1(VALU_DEP_1)
	v_cndmask_b32_e64 v79, 0, v79, s0
	v_cmp_gt_i32_e64 s0, s31, v120
	s_wait_alu 0xf1ff
	v_cndmask_b32_e64 v80, 0, v80, s0
	s_wait_alu 0xfffe
	s_or_b32 exec_lo, exec_lo, s1
	global_load_b128 v[81:84], v[65:66], off offset:9216
	s_and_saveexec_b32 s19, vcc_lo
	s_cbranch_execz .LBB47_58
.LBB47_77:                              ;   in Loop: Header=BB47_38 Depth=1
	v_cmp_gt_i32_e64 s0, s31, v119
	v_cmp_gt_i32_e64 s1, s31, v122
	;; [unrolled: 1-line block ×4, first 2 shown]
	s_wait_loadcnt 0x0
	s_wait_alu 0xf1ff
	v_cndmask_b32_e64 v81, 0, v81, s0
	v_cndmask_b32_e64 v82, 0, v82, s1
	;; [unrolled: 1-line block ×4, first 2 shown]
	s_or_b32 exec_lo, exec_lo, s19
	global_load_b128 v[65:68], v[65:66], off offset:9728
	s_and_saveexec_b32 s0, vcc_lo
	s_cbranch_execz .LBB47_36
.LBB47_78:                              ;   in Loop: Header=BB47_38 Depth=1
	v_cmp_gt_i32_e32 vcc_lo, s31, v119
	s_wait_loadcnt 0x0
	s_wait_alu 0xfffd
	v_cndmask_b32_e32 v65, 0, v65, vcc_lo
	v_cmp_gt_i32_e32 vcc_lo, s31, v122
	s_wait_alu 0xfffd
	v_cndmask_b32_e32 v66, 0, v66, vcc_lo
	v_cmp_gt_i32_e32 vcc_lo, s31, v121
	;; [unrolled: 3-line block ×3, first 2 shown]
	s_wait_alu 0xfffd
	v_cndmask_b32_e32 v68, 0, v68, vcc_lo
	s_branch .LBB47_36
.LBB47_79:
	s_or_b32 exec_lo, exec_lo, s10
.LBB47_80:
	s_wait_alu 0xfffe
	s_or_b32 exec_lo, exec_lo, s4
	ds_bpermute_b32 v7, v93, v108
	ds_bpermute_b32 v8, v93, v107
	;; [unrolled: 1-line block ×19, first 2 shown]
	s_mov_b32 s0, exec_lo
	s_wait_dscnt 0x11
	v_dual_add_f32 v7, v108, v7 :: v_dual_add_f32 v8, v107, v8
	s_wait_dscnt 0xf
	v_dual_add_f32 v1, v113, v1 :: v_dual_add_f32 v2, v114, v2
	;; [unrolled: 2-line block ×3, first 2 shown]
	ds_bpermute_b32 v18, v92, v7
	s_wait_dscnt 0xc
	v_dual_add_f32 v9, v106, v9 :: v_dual_add_f32 v10, v105, v10
	ds_bpermute_b32 v27, v92, v8
	ds_bpermute_b32 v12, v92, v1
	;; [unrolled: 1-line block ×7, first 2 shown]
	s_wait_dscnt 0xd
	v_dual_add_f32 v11, v104, v11 :: v_dual_add_f32 v20, v102, v20
	s_wait_dscnt 0xa
	v_dual_add_f32 v21, v101, v21 :: v_dual_add_f32 v24, v98, v24
	v_dual_add_f32 v5, v110, v5 :: v_dual_add_f32 v6, v109, v6
	;; [unrolled: 1-line block ×3, first 2 shown]
	s_wait_dscnt 0x8
	v_dual_add_f32 v23, v99, v23 :: v_dual_add_f32 v26, v96, v26
	s_wait_dscnt 0x7
	v_add_f32_e32 v7, v7, v18
	ds_bpermute_b32 v18, v93, v95
	ds_bpermute_b32 v33, v92, v21
	s_wait_dscnt 0x8
	v_add_f32_e32 v8, v8, v27
	ds_bpermute_b32 v27, v92, v11
	v_add_f32_e32 v25, v97, v25
	ds_bpermute_b32 v16, v92, v5
	ds_bpermute_b32 v17, v92, v6
	s_wait_dscnt 0x9
	v_dual_add_f32 v1, v1, v12 :: v_dual_add_f32 v2, v2, v13
	s_wait_dscnt 0x7
	v_dual_add_f32 v3, v3, v14 :: v_dual_add_f32 v4, v4, v15
	ds_bpermute_b32 v31, v92, v19
	ds_bpermute_b32 v32, v92, v20
	;; [unrolled: 1-line block ×5, first 2 shown]
	s_wait_dscnt 0xa
	v_dual_add_f32 v9, v9, v28 :: v_dual_add_f32 v10, v10, v29
	ds_bpermute_b32 v29, v92, v26
	ds_bpermute_b32 v13, v91, v2
	s_wait_dscnt 0xb
	v_add_f32_e32 v18, v95, v18
	ds_bpermute_b32 v28, v92, v25
	ds_bpermute_b32 v15, v91, v4
	s_wait_dscnt 0xb
	v_add_f32_e32 v11, v11, v27
	v_add_f32_e32 v21, v21, v33
	ds_bpermute_b32 v37, v92, v18
	s_wait_dscnt 0xa
	v_dual_add_f32 v5, v5, v16 :: v_dual_add_f32 v6, v6, v17
	ds_bpermute_b32 v14, v91, v3
	ds_bpermute_b32 v12, v91, v1
	;; [unrolled: 1-line block ×3, first 2 shown]
	s_wait_dscnt 0xb
	v_dual_add_f32 v19, v19, v31 :: v_dual_add_f32 v20, v20, v32
	ds_bpermute_b32 v39, v91, v11
	s_wait_dscnt 0xa
	v_dual_add_f32 v22, v22, v34 :: v_dual_add_f32 v23, v23, v35
	s_wait_dscnt 0x9
	v_add_f32_e32 v24, v24, v36
	ds_bpermute_b32 v34, v91, v21
	s_wait_dscnt 0x9
	v_add_f32_e32 v26, v26, v29
	ds_bpermute_b32 v16, v91, v5
	ds_bpermute_b32 v17, v91, v6
	s_wait_dscnt 0x9
	v_dual_add_f32 v25, v25, v28 :: v_dual_add_f32 v2, v2, v13
	ds_bpermute_b32 v27, v91, v8
	ds_bpermute_b32 v31, v91, v9
	s_wait_dscnt 0x9
	v_dual_add_f32 v29, v18, v37 :: v_dual_add_f32 v4, v4, v15
	ds_bpermute_b32 v38, v91, v10
	ds_bpermute_b32 v32, v91, v19
	;; [unrolled: 1-line block ×9, first 2 shown]
	s_wait_dscnt 0x11
	v_add_f32_e32 v3, v3, v14
	s_wait_dscnt 0xd
	v_dual_add_f32 v11, v11, v39 :: v_dual_add_f32 v14, v21, v34
	v_lshrrev_b32_e32 v21, 3, v88
	s_wait_dscnt 0xb
	v_dual_add_f32 v1, v1, v12 :: v_dual_add_f32 v6, v6, v17
	v_add_f32_e32 v5, v5, v16
	s_wait_dscnt 0xa
	v_dual_add_f32 v7, v7, v30 :: v_dual_add_f32 v8, v8, v27
	s_wait_dscnt 0x9
	v_add_f32_e32 v9, v9, v31
	s_wait_storecnt 0x0
	s_wait_loadcnt_dscnt 0x0
	v_add_f32_e32 v10, v10, v38
	v_dual_add_f32 v12, v19, v32 :: v_dual_add_f32 v13, v20, v33
	v_dual_add_f32 v15, v22, v35 :: v_dual_add_f32 v16, v23, v36
	;; [unrolled: 1-line block ×3, first 2 shown]
	v_dual_add_f32 v19, v26, v37 :: v_dual_and_b32 v24, 0x3c7, v0
	v_add_f32_e32 v20, v29, v40
	v_lshl_add_u32 v22, v21, 2, 0x160
	v_mul_u32_u24_e32 v23, 0x140, v87
	s_barrier_signal -1
	s_barrier_wait -1
	global_inv scope:SCOPE_SE
	v_cmpx_eq_u32_e32 64, v24
	s_cbranch_execz .LBB47_82
; %bb.81:
	v_add_nc_u32_e32 v24, v22, v23
	s_delay_alu instid0(VALU_DEP_1)
	v_add_nc_u32_e32 v25, 0xfffffd80, v24
	v_add_nc_u32_e32 v26, 0xfffffd90, v24
	;; [unrolled: 1-line block ×8, first 2 shown]
	ds_store_b32 v25, v1
	ds_store_b32 v26, v2
	;; [unrolled: 1-line block ×8, first 2 shown]
	v_add_nc_u32_e32 v25, 0xfffffe00, v24
	v_add_nc_u32_e32 v26, 0xfffffe10, v24
	;; [unrolled: 1-line block ×12, first 2 shown]
	ds_store_b32 v25, v9
	ds_store_b32 v26, v10
	;; [unrolled: 1-line block ×12, first 2 shown]
.LBB47_82:
	s_wait_alu 0xfffe
	s_or_b32 exec_lo, exec_lo, s0
	v_lshlrev_b32_e32 v21, 2, v21
	s_mov_b32 s1, exec_lo
	v_cmp_eq_u32_e32 vcc_lo, 0, v94
	s_wait_loadcnt_dscnt 0x0
	s_barrier_signal -1
	v_add3_u32 v21, 0x160, v23, v21
	s_barrier_wait -1
	global_inv scope:SCOPE_SE
	v_cmpx_gt_u32_e32 64, v0
	s_cbranch_execz .LBB47_105
; %bb.83:
	s_and_saveexec_b32 s0, vcc_lo
	s_cbranch_execnz .LBB47_133
; %bb.84:
	s_wait_alu 0xfffe
	s_or_b32 exec_lo, exec_lo, s0
	s_and_saveexec_b32 s0, vcc_lo
	s_cbranch_execnz .LBB47_134
.LBB47_85:
	s_wait_alu 0xfffe
	s_or_b32 exec_lo, exec_lo, s0
	s_and_saveexec_b32 s0, vcc_lo
	s_cbranch_execnz .LBB47_135
.LBB47_86:
	s_wait_alu 0xfffe
	s_or_b32 exec_lo, exec_lo, s0
	s_and_saveexec_b32 s0, vcc_lo
	s_cbranch_execnz .LBB47_136
.LBB47_87:
	s_wait_alu 0xfffe
	s_or_b32 exec_lo, exec_lo, s0
	s_and_saveexec_b32 s0, vcc_lo
	s_cbranch_execnz .LBB47_137
.LBB47_88:
	s_wait_alu 0xfffe
	s_or_b32 exec_lo, exec_lo, s0
	s_and_saveexec_b32 s0, vcc_lo
	s_cbranch_execnz .LBB47_138
.LBB47_89:
	s_wait_alu 0xfffe
	s_or_b32 exec_lo, exec_lo, s0
	s_and_saveexec_b32 s0, vcc_lo
	s_cbranch_execnz .LBB47_139
.LBB47_90:
	s_wait_alu 0xfffe
	s_or_b32 exec_lo, exec_lo, s0
	s_and_saveexec_b32 s0, vcc_lo
	s_cbranch_execnz .LBB47_140
.LBB47_91:
	s_wait_alu 0xfffe
	s_or_b32 exec_lo, exec_lo, s0
	s_and_saveexec_b32 s0, vcc_lo
	s_cbranch_execnz .LBB47_141
.LBB47_92:
	s_wait_alu 0xfffe
	s_or_b32 exec_lo, exec_lo, s0
	s_and_saveexec_b32 s0, vcc_lo
	s_cbranch_execnz .LBB47_142
.LBB47_93:
	s_wait_alu 0xfffe
	s_or_b32 exec_lo, exec_lo, s0
	s_and_saveexec_b32 s0, vcc_lo
	s_cbranch_execnz .LBB47_143
.LBB47_94:
	s_wait_alu 0xfffe
	s_or_b32 exec_lo, exec_lo, s0
	s_and_saveexec_b32 s0, vcc_lo
	s_cbranch_execnz .LBB47_144
.LBB47_95:
	s_wait_alu 0xfffe
	s_or_b32 exec_lo, exec_lo, s0
	s_and_saveexec_b32 s0, vcc_lo
	s_cbranch_execnz .LBB47_145
.LBB47_96:
	s_wait_alu 0xfffe
	s_or_b32 exec_lo, exec_lo, s0
	s_and_saveexec_b32 s0, vcc_lo
	s_cbranch_execnz .LBB47_146
.LBB47_97:
	s_wait_alu 0xfffe
	s_or_b32 exec_lo, exec_lo, s0
	s_and_saveexec_b32 s0, vcc_lo
	s_cbranch_execnz .LBB47_147
.LBB47_98:
	s_wait_alu 0xfffe
	s_or_b32 exec_lo, exec_lo, s0
	s_and_saveexec_b32 s0, vcc_lo
	s_cbranch_execnz .LBB47_148
.LBB47_99:
	s_wait_alu 0xfffe
	s_or_b32 exec_lo, exec_lo, s0
	s_and_saveexec_b32 s0, vcc_lo
	s_cbranch_execnz .LBB47_149
.LBB47_100:
	s_wait_alu 0xfffe
	s_or_b32 exec_lo, exec_lo, s0
	s_and_saveexec_b32 s0, vcc_lo
	s_cbranch_execnz .LBB47_150
.LBB47_101:
	s_wait_alu 0xfffe
	s_or_b32 exec_lo, exec_lo, s0
	s_and_saveexec_b32 s0, vcc_lo
	s_cbranch_execnz .LBB47_151
.LBB47_102:
	s_wait_alu 0xfffe
	s_or_b32 exec_lo, exec_lo, s0
	s_and_saveexec_b32 s0, vcc_lo
	s_cbranch_execz .LBB47_104
.LBB47_103:
	ds_load_b32 v23, v21 offset:304
	s_wait_dscnt 0x0
	v_add_f32_e32 v20, v20, v23
.LBB47_104:
	s_wait_alu 0xfffe
	s_or_b32 exec_lo, exec_lo, s0
.LBB47_105:
	s_wait_alu 0xfffe
	s_or_b32 exec_lo, exec_lo, s1
	v_and_b32_e32 v23, 0x3e7, v0
	s_mov_b32 s1, exec_lo
	s_wait_loadcnt 0x0
	s_barrier_signal -1
	s_barrier_wait -1
	global_inv scope:SCOPE_SE
	v_cmpx_eq_u32_e32 32, v23
	s_cbranch_execz .LBB47_107
; %bb.106:
	ds_store_2addr_b32 v22, v1, v2 offset1:4
	ds_store_2addr_b32 v22, v3, v4 offset0:8 offset1:12
	ds_store_2addr_b32 v22, v5, v6 offset0:16 offset1:20
	ds_store_2addr_b32 v22, v7, v8 offset0:24 offset1:28
	ds_store_2addr_b32 v22, v9, v10 offset0:32 offset1:36
	ds_store_2addr_b32 v22, v11, v12 offset0:40 offset1:44
	ds_store_2addr_b32 v22, v13, v14 offset0:48 offset1:52
	ds_store_2addr_b32 v22, v15, v16 offset0:56 offset1:60
	ds_store_2addr_b32 v22, v17, v18 offset0:64 offset1:68
	ds_store_2addr_b32 v22, v19, v20 offset0:72 offset1:76
.LBB47_107:
	s_wait_alu 0xfffe
	s_or_b32 exec_lo, exec_lo, s1
	s_delay_alu instid0(SALU_CYCLE_1)
	s_mov_b32 s1, exec_lo
	s_wait_loadcnt_dscnt 0x0
	s_barrier_signal -1
	s_barrier_wait -1
	global_inv scope:SCOPE_SE
	v_cmpx_gt_u32_e32 32, v0
	s_cbranch_execz .LBB47_130
; %bb.108:
	s_and_saveexec_b32 s0, vcc_lo
	s_cbranch_execnz .LBB47_152
; %bb.109:
	s_wait_alu 0xfffe
	s_or_b32 exec_lo, exec_lo, s0
	s_and_saveexec_b32 s0, vcc_lo
	s_cbranch_execnz .LBB47_153
.LBB47_110:
	s_wait_alu 0xfffe
	s_or_b32 exec_lo, exec_lo, s0
	s_and_saveexec_b32 s0, vcc_lo
	s_cbranch_execnz .LBB47_154
.LBB47_111:
	s_wait_alu 0xfffe
	s_or_b32 exec_lo, exec_lo, s0
	s_and_saveexec_b32 s0, vcc_lo
	s_cbranch_execnz .LBB47_155
.LBB47_112:
	s_wait_alu 0xfffe
	s_or_b32 exec_lo, exec_lo, s0
	s_and_saveexec_b32 s0, vcc_lo
	s_cbranch_execnz .LBB47_156
.LBB47_113:
	s_wait_alu 0xfffe
	s_or_b32 exec_lo, exec_lo, s0
	s_and_saveexec_b32 s0, vcc_lo
	s_cbranch_execnz .LBB47_157
.LBB47_114:
	s_wait_alu 0xfffe
	s_or_b32 exec_lo, exec_lo, s0
	s_and_saveexec_b32 s0, vcc_lo
	s_cbranch_execnz .LBB47_158
.LBB47_115:
	s_wait_alu 0xfffe
	s_or_b32 exec_lo, exec_lo, s0
	s_and_saveexec_b32 s0, vcc_lo
	s_cbranch_execnz .LBB47_159
.LBB47_116:
	s_wait_alu 0xfffe
	s_or_b32 exec_lo, exec_lo, s0
	s_and_saveexec_b32 s0, vcc_lo
	s_cbranch_execnz .LBB47_160
.LBB47_117:
	s_wait_alu 0xfffe
	s_or_b32 exec_lo, exec_lo, s0
	s_and_saveexec_b32 s0, vcc_lo
	s_cbranch_execnz .LBB47_161
.LBB47_118:
	s_wait_alu 0xfffe
	s_or_b32 exec_lo, exec_lo, s0
	s_and_saveexec_b32 s0, vcc_lo
	s_cbranch_execnz .LBB47_162
.LBB47_119:
	s_wait_alu 0xfffe
	s_or_b32 exec_lo, exec_lo, s0
	s_and_saveexec_b32 s0, vcc_lo
	s_cbranch_execnz .LBB47_163
.LBB47_120:
	s_wait_alu 0xfffe
	s_or_b32 exec_lo, exec_lo, s0
	s_and_saveexec_b32 s0, vcc_lo
	s_cbranch_execnz .LBB47_164
.LBB47_121:
	s_wait_alu 0xfffe
	s_or_b32 exec_lo, exec_lo, s0
	s_and_saveexec_b32 s0, vcc_lo
	s_cbranch_execnz .LBB47_165
.LBB47_122:
	s_wait_alu 0xfffe
	s_or_b32 exec_lo, exec_lo, s0
	s_and_saveexec_b32 s0, vcc_lo
	s_cbranch_execnz .LBB47_166
.LBB47_123:
	s_wait_alu 0xfffe
	s_or_b32 exec_lo, exec_lo, s0
	s_and_saveexec_b32 s0, vcc_lo
	s_cbranch_execnz .LBB47_167
.LBB47_124:
	s_wait_alu 0xfffe
	s_or_b32 exec_lo, exec_lo, s0
	s_and_saveexec_b32 s0, vcc_lo
	s_cbranch_execnz .LBB47_168
.LBB47_125:
	s_wait_alu 0xfffe
	s_or_b32 exec_lo, exec_lo, s0
	s_and_saveexec_b32 s0, vcc_lo
	s_cbranch_execnz .LBB47_169
.LBB47_126:
	s_wait_alu 0xfffe
	s_or_b32 exec_lo, exec_lo, s0
	s_and_saveexec_b32 s0, vcc_lo
	s_cbranch_execnz .LBB47_170
.LBB47_127:
	s_wait_alu 0xfffe
	s_or_b32 exec_lo, exec_lo, s0
	s_and_saveexec_b32 s0, vcc_lo
	s_cbranch_execz .LBB47_129
.LBB47_128:
	ds_load_b32 v21, v21 offset:304
	s_wait_dscnt 0x0
	v_add_f32_e32 v20, v20, v21
.LBB47_129:
	s_wait_alu 0xfffe
	s_or_b32 exec_lo, exec_lo, s0
.LBB47_130:
	s_wait_alu 0xfffe
	s_or_b32 exec_lo, exec_lo, s1
	s_mov_b32 s1, 0
	s_wait_loadcnt 0x0
	s_barrier_signal -1
	s_barrier_wait -1
	global_inv scope:SCOPE_SE
	s_mov_b32 s0, exec_lo
	v_cmpx_eq_u32_e32 0, v23
	s_cbranch_execz .LBB47_132
; %bb.131:
	s_mul_i32 s2, s18, 0x50
	s_mul_i32 s4, s7, s16
	s_wait_alu 0xfffe
	s_ashr_i32 s3, s2, 31
	s_ashr_i32 s5, s4, 31
	s_wait_alu 0xfffe
	s_lshl_b64 s[2:3], s[2:3], 2
	s_lshl_b64 s[4:5], s[4:5], 2
	s_wait_kmcnt 0x0
	s_wait_alu 0xfffe
	s_add_nc_u64 s[2:3], s[14:15], s[2:3]
	v_lshrrev_b32_e32 v0, 1, v0
	s_mul_i32 s0, s30, 0x140
	s_wait_alu 0xfffe
	s_add_nc_u64 s[2:3], s[2:3], s[4:5]
	s_wait_alu 0xfffe
	s_add_nc_u64 s[0:1], s[2:3], s[0:1]
	s_clause 0x13
	global_store_b32 v0, v1, s[0:1]
	global_store_b32 v0, v2, s[0:1] offset:16
	global_store_b32 v0, v3, s[0:1] offset:32
	;; [unrolled: 1-line block ×19, first 2 shown]
.LBB47_132:
	s_nop 0
	s_sendmsg sendmsg(MSG_DEALLOC_VGPRS)
	s_endpgm
.LBB47_133:
	ds_load_b32 v23, v21
	s_wait_dscnt 0x0
	v_add_f32_e32 v1, v1, v23
	s_wait_alu 0xfffe
	s_or_b32 exec_lo, exec_lo, s0
	s_and_saveexec_b32 s0, vcc_lo
	s_cbranch_execz .LBB47_85
.LBB47_134:
	ds_load_b32 v23, v21 offset:16
	s_wait_dscnt 0x0
	v_add_f32_e32 v2, v2, v23
	s_wait_alu 0xfffe
	s_or_b32 exec_lo, exec_lo, s0
	s_and_saveexec_b32 s0, vcc_lo
	s_cbranch_execz .LBB47_86
.LBB47_135:
	ds_load_b32 v23, v21 offset:32
	s_wait_dscnt 0x0
	v_add_f32_e32 v3, v3, v23
	s_wait_alu 0xfffe
	s_or_b32 exec_lo, exec_lo, s0
	s_and_saveexec_b32 s0, vcc_lo
	s_cbranch_execz .LBB47_87
.LBB47_136:
	ds_load_b32 v23, v21 offset:48
	s_wait_dscnt 0x0
	v_add_f32_e32 v4, v4, v23
	s_wait_alu 0xfffe
	s_or_b32 exec_lo, exec_lo, s0
	s_and_saveexec_b32 s0, vcc_lo
	s_cbranch_execz .LBB47_88
.LBB47_137:
	ds_load_b32 v23, v21 offset:64
	s_wait_dscnt 0x0
	v_add_f32_e32 v5, v5, v23
	s_wait_alu 0xfffe
	s_or_b32 exec_lo, exec_lo, s0
	s_and_saveexec_b32 s0, vcc_lo
	s_cbranch_execz .LBB47_89
.LBB47_138:
	ds_load_b32 v23, v21 offset:80
	s_wait_dscnt 0x0
	v_add_f32_e32 v6, v6, v23
	s_wait_alu 0xfffe
	s_or_b32 exec_lo, exec_lo, s0
	s_and_saveexec_b32 s0, vcc_lo
	s_cbranch_execz .LBB47_90
.LBB47_139:
	ds_load_b32 v23, v21 offset:96
	s_wait_dscnt 0x0
	v_add_f32_e32 v7, v7, v23
	s_wait_alu 0xfffe
	s_or_b32 exec_lo, exec_lo, s0
	s_and_saveexec_b32 s0, vcc_lo
	s_cbranch_execz .LBB47_91
.LBB47_140:
	ds_load_b32 v23, v21 offset:112
	s_wait_dscnt 0x0
	v_add_f32_e32 v8, v8, v23
	s_wait_alu 0xfffe
	s_or_b32 exec_lo, exec_lo, s0
	s_and_saveexec_b32 s0, vcc_lo
	s_cbranch_execz .LBB47_92
.LBB47_141:
	ds_load_b32 v23, v21 offset:128
	s_wait_dscnt 0x0
	v_add_f32_e32 v9, v9, v23
	s_wait_alu 0xfffe
	s_or_b32 exec_lo, exec_lo, s0
	s_and_saveexec_b32 s0, vcc_lo
	s_cbranch_execz .LBB47_93
.LBB47_142:
	ds_load_b32 v23, v21 offset:144
	s_wait_dscnt 0x0
	v_add_f32_e32 v10, v10, v23
	s_wait_alu 0xfffe
	s_or_b32 exec_lo, exec_lo, s0
	s_and_saveexec_b32 s0, vcc_lo
	s_cbranch_execz .LBB47_94
.LBB47_143:
	ds_load_b32 v23, v21 offset:160
	s_wait_dscnt 0x0
	v_add_f32_e32 v11, v11, v23
	s_wait_alu 0xfffe
	s_or_b32 exec_lo, exec_lo, s0
	s_and_saveexec_b32 s0, vcc_lo
	s_cbranch_execz .LBB47_95
.LBB47_144:
	ds_load_b32 v23, v21 offset:176
	s_wait_dscnt 0x0
	v_add_f32_e32 v12, v12, v23
	s_wait_alu 0xfffe
	s_or_b32 exec_lo, exec_lo, s0
	s_and_saveexec_b32 s0, vcc_lo
	s_cbranch_execz .LBB47_96
.LBB47_145:
	ds_load_b32 v23, v21 offset:192
	s_wait_dscnt 0x0
	v_add_f32_e32 v13, v13, v23
	s_wait_alu 0xfffe
	s_or_b32 exec_lo, exec_lo, s0
	s_and_saveexec_b32 s0, vcc_lo
	s_cbranch_execz .LBB47_97
.LBB47_146:
	ds_load_b32 v23, v21 offset:208
	s_wait_dscnt 0x0
	v_add_f32_e32 v14, v14, v23
	s_wait_alu 0xfffe
	s_or_b32 exec_lo, exec_lo, s0
	s_and_saveexec_b32 s0, vcc_lo
	s_cbranch_execz .LBB47_98
.LBB47_147:
	ds_load_b32 v23, v21 offset:224
	s_wait_dscnt 0x0
	v_add_f32_e32 v15, v15, v23
	s_wait_alu 0xfffe
	s_or_b32 exec_lo, exec_lo, s0
	s_and_saveexec_b32 s0, vcc_lo
	s_cbranch_execz .LBB47_99
.LBB47_148:
	ds_load_b32 v23, v21 offset:240
	s_wait_dscnt 0x0
	v_add_f32_e32 v16, v16, v23
	s_wait_alu 0xfffe
	s_or_b32 exec_lo, exec_lo, s0
	s_and_saveexec_b32 s0, vcc_lo
	s_cbranch_execz .LBB47_100
.LBB47_149:
	ds_load_b32 v23, v21 offset:256
	s_wait_dscnt 0x0
	v_add_f32_e32 v17, v17, v23
	s_wait_alu 0xfffe
	s_or_b32 exec_lo, exec_lo, s0
	s_and_saveexec_b32 s0, vcc_lo
	s_cbranch_execz .LBB47_101
.LBB47_150:
	ds_load_b32 v23, v21 offset:272
	s_wait_dscnt 0x0
	v_add_f32_e32 v18, v18, v23
	s_wait_alu 0xfffe
	s_or_b32 exec_lo, exec_lo, s0
	s_and_saveexec_b32 s0, vcc_lo
	s_cbranch_execz .LBB47_102
.LBB47_151:
	ds_load_b32 v23, v21 offset:288
	s_wait_dscnt 0x0
	v_add_f32_e32 v19, v19, v23
	s_wait_alu 0xfffe
	s_or_b32 exec_lo, exec_lo, s0
	s_and_saveexec_b32 s0, vcc_lo
	s_cbranch_execnz .LBB47_103
	s_branch .LBB47_104
.LBB47_152:
	ds_load_b32 v22, v21
	s_wait_dscnt 0x0
	v_add_f32_e32 v1, v1, v22
	s_wait_alu 0xfffe
	s_or_b32 exec_lo, exec_lo, s0
	s_and_saveexec_b32 s0, vcc_lo
	s_cbranch_execz .LBB47_110
.LBB47_153:
	ds_load_b32 v22, v21 offset:16
	s_wait_dscnt 0x0
	v_add_f32_e32 v2, v2, v22
	s_wait_alu 0xfffe
	s_or_b32 exec_lo, exec_lo, s0
	s_and_saveexec_b32 s0, vcc_lo
	s_cbranch_execz .LBB47_111
.LBB47_154:
	ds_load_b32 v22, v21 offset:32
	s_wait_dscnt 0x0
	v_add_f32_e32 v3, v3, v22
	s_wait_alu 0xfffe
	s_or_b32 exec_lo, exec_lo, s0
	s_and_saveexec_b32 s0, vcc_lo
	s_cbranch_execz .LBB47_112
.LBB47_155:
	ds_load_b32 v22, v21 offset:48
	s_wait_dscnt 0x0
	v_add_f32_e32 v4, v4, v22
	s_wait_alu 0xfffe
	s_or_b32 exec_lo, exec_lo, s0
	s_and_saveexec_b32 s0, vcc_lo
	s_cbranch_execz .LBB47_113
.LBB47_156:
	ds_load_b32 v22, v21 offset:64
	s_wait_dscnt 0x0
	v_add_f32_e32 v5, v5, v22
	s_wait_alu 0xfffe
	s_or_b32 exec_lo, exec_lo, s0
	s_and_saveexec_b32 s0, vcc_lo
	s_cbranch_execz .LBB47_114
.LBB47_157:
	ds_load_b32 v22, v21 offset:80
	s_wait_dscnt 0x0
	v_add_f32_e32 v6, v6, v22
	s_wait_alu 0xfffe
	s_or_b32 exec_lo, exec_lo, s0
	s_and_saveexec_b32 s0, vcc_lo
	s_cbranch_execz .LBB47_115
.LBB47_158:
	ds_load_b32 v22, v21 offset:96
	s_wait_dscnt 0x0
	v_add_f32_e32 v7, v7, v22
	s_wait_alu 0xfffe
	s_or_b32 exec_lo, exec_lo, s0
	s_and_saveexec_b32 s0, vcc_lo
	s_cbranch_execz .LBB47_116
.LBB47_159:
	ds_load_b32 v22, v21 offset:112
	s_wait_dscnt 0x0
	v_add_f32_e32 v8, v8, v22
	s_wait_alu 0xfffe
	s_or_b32 exec_lo, exec_lo, s0
	s_and_saveexec_b32 s0, vcc_lo
	s_cbranch_execz .LBB47_117
.LBB47_160:
	ds_load_b32 v22, v21 offset:128
	s_wait_dscnt 0x0
	v_add_f32_e32 v9, v9, v22
	s_wait_alu 0xfffe
	s_or_b32 exec_lo, exec_lo, s0
	s_and_saveexec_b32 s0, vcc_lo
	s_cbranch_execz .LBB47_118
.LBB47_161:
	ds_load_b32 v22, v21 offset:144
	s_wait_dscnt 0x0
	v_add_f32_e32 v10, v10, v22
	s_wait_alu 0xfffe
	s_or_b32 exec_lo, exec_lo, s0
	s_and_saveexec_b32 s0, vcc_lo
	s_cbranch_execz .LBB47_119
.LBB47_162:
	ds_load_b32 v22, v21 offset:160
	s_wait_dscnt 0x0
	v_add_f32_e32 v11, v11, v22
	s_wait_alu 0xfffe
	s_or_b32 exec_lo, exec_lo, s0
	s_and_saveexec_b32 s0, vcc_lo
	s_cbranch_execz .LBB47_120
.LBB47_163:
	ds_load_b32 v22, v21 offset:176
	s_wait_dscnt 0x0
	v_add_f32_e32 v12, v12, v22
	s_wait_alu 0xfffe
	s_or_b32 exec_lo, exec_lo, s0
	s_and_saveexec_b32 s0, vcc_lo
	s_cbranch_execz .LBB47_121
.LBB47_164:
	ds_load_b32 v22, v21 offset:192
	s_wait_dscnt 0x0
	v_add_f32_e32 v13, v13, v22
	s_wait_alu 0xfffe
	s_or_b32 exec_lo, exec_lo, s0
	s_and_saveexec_b32 s0, vcc_lo
	s_cbranch_execz .LBB47_122
.LBB47_165:
	ds_load_b32 v22, v21 offset:208
	s_wait_dscnt 0x0
	v_add_f32_e32 v14, v14, v22
	s_wait_alu 0xfffe
	s_or_b32 exec_lo, exec_lo, s0
	s_and_saveexec_b32 s0, vcc_lo
	s_cbranch_execz .LBB47_123
.LBB47_166:
	ds_load_b32 v22, v21 offset:224
	s_wait_dscnt 0x0
	v_add_f32_e32 v15, v15, v22
	s_wait_alu 0xfffe
	s_or_b32 exec_lo, exec_lo, s0
	s_and_saveexec_b32 s0, vcc_lo
	s_cbranch_execz .LBB47_124
.LBB47_167:
	ds_load_b32 v22, v21 offset:240
	s_wait_dscnt 0x0
	v_add_f32_e32 v16, v16, v22
	s_wait_alu 0xfffe
	s_or_b32 exec_lo, exec_lo, s0
	s_and_saveexec_b32 s0, vcc_lo
	s_cbranch_execz .LBB47_125
.LBB47_168:
	ds_load_b32 v22, v21 offset:256
	s_wait_dscnt 0x0
	v_add_f32_e32 v17, v17, v22
	s_wait_alu 0xfffe
	s_or_b32 exec_lo, exec_lo, s0
	s_and_saveexec_b32 s0, vcc_lo
	s_cbranch_execz .LBB47_126
.LBB47_169:
	ds_load_b32 v22, v21 offset:272
	s_wait_dscnt 0x0
	v_add_f32_e32 v18, v18, v22
	s_wait_alu 0xfffe
	s_or_b32 exec_lo, exec_lo, s0
	s_and_saveexec_b32 s0, vcc_lo
	s_cbranch_execz .LBB47_127
.LBB47_170:
	ds_load_b32 v22, v21 offset:288
	s_wait_dscnt 0x0
	v_add_f32_e32 v19, v19, v22
	s_wait_alu 0xfffe
	s_or_b32 exec_lo, exec_lo, s0
	s_and_saveexec_b32 s0, vcc_lo
	s_cbranch_execnz .LBB47_128
	s_branch .LBB47_129
	.section	.rodata,"a",@progbits
	.p2align	6, 0x0
	.amdhsa_kernel _ZN4vllm25paged_attention_v2_kernelIffLi80ELi32ELi128ELNS_18Fp8KVCacheDataTypeE0ELb1ELi512EEEvPfS2_PT_PKS3_PKT0_S9_ifPKiSB_iPKfiiiSD_SD_iiiii
		.amdhsa_group_segment_fixed_size 352
		.amdhsa_private_segment_fixed_size 0
		.amdhsa_kernarg_size 400
		.amdhsa_user_sgpr_count 2
		.amdhsa_user_sgpr_dispatch_ptr 0
		.amdhsa_user_sgpr_queue_ptr 0
		.amdhsa_user_sgpr_kernarg_segment_ptr 1
		.amdhsa_user_sgpr_dispatch_id 0
		.amdhsa_user_sgpr_private_segment_size 0
		.amdhsa_wavefront_size32 1
		.amdhsa_uses_dynamic_stack 0
		.amdhsa_enable_private_segment 0
		.amdhsa_system_sgpr_workgroup_id_x 1
		.amdhsa_system_sgpr_workgroup_id_y 1
		.amdhsa_system_sgpr_workgroup_id_z 1
		.amdhsa_system_sgpr_workgroup_info 0
		.amdhsa_system_vgpr_workitem_id 0
		.amdhsa_next_free_vgpr 148
		.amdhsa_next_free_sgpr 42
		.amdhsa_reserve_vcc 1
		.amdhsa_float_round_mode_32 0
		.amdhsa_float_round_mode_16_64 0
		.amdhsa_float_denorm_mode_32 3
		.amdhsa_float_denorm_mode_16_64 3
		.amdhsa_fp16_overflow 0
		.amdhsa_workgroup_processor_mode 1
		.amdhsa_memory_ordered 1
		.amdhsa_forward_progress 1
		.amdhsa_inst_pref_size 91
		.amdhsa_round_robin_scheduling 0
		.amdhsa_exception_fp_ieee_invalid_op 0
		.amdhsa_exception_fp_denorm_src 0
		.amdhsa_exception_fp_ieee_div_zero 0
		.amdhsa_exception_fp_ieee_overflow 0
		.amdhsa_exception_fp_ieee_underflow 0
		.amdhsa_exception_fp_ieee_inexact 0
		.amdhsa_exception_int_div_zero 0
	.end_amdhsa_kernel
	.section	.text._ZN4vllm25paged_attention_v2_kernelIffLi80ELi32ELi128ELNS_18Fp8KVCacheDataTypeE0ELb1ELi512EEEvPfS2_PT_PKS3_PKT0_S9_ifPKiSB_iPKfiiiSD_SD_iiiii,"axG",@progbits,_ZN4vllm25paged_attention_v2_kernelIffLi80ELi32ELi128ELNS_18Fp8KVCacheDataTypeE0ELb1ELi512EEEvPfS2_PT_PKS3_PKT0_S9_ifPKiSB_iPKfiiiSD_SD_iiiii,comdat
.Lfunc_end47:
	.size	_ZN4vllm25paged_attention_v2_kernelIffLi80ELi32ELi128ELNS_18Fp8KVCacheDataTypeE0ELb1ELi512EEEvPfS2_PT_PKS3_PKT0_S9_ifPKiSB_iPKfiiiSD_SD_iiiii, .Lfunc_end47-_ZN4vllm25paged_attention_v2_kernelIffLi80ELi32ELi128ELNS_18Fp8KVCacheDataTypeE0ELb1ELi512EEEvPfS2_PT_PKS3_PKT0_S9_ifPKiSB_iPKfiiiSD_SD_iiiii
                                        ; -- End function
	.set _ZN4vllm25paged_attention_v2_kernelIffLi80ELi32ELi128ELNS_18Fp8KVCacheDataTypeE0ELb1ELi512EEEvPfS2_PT_PKS3_PKT0_S9_ifPKiSB_iPKfiiiSD_SD_iiiii.num_vgpr, 148
	.set _ZN4vllm25paged_attention_v2_kernelIffLi80ELi32ELi128ELNS_18Fp8KVCacheDataTypeE0ELb1ELi512EEEvPfS2_PT_PKS3_PKT0_S9_ifPKiSB_iPKfiiiSD_SD_iiiii.num_agpr, 0
	.set _ZN4vllm25paged_attention_v2_kernelIffLi80ELi32ELi128ELNS_18Fp8KVCacheDataTypeE0ELb1ELi512EEEvPfS2_PT_PKS3_PKT0_S9_ifPKiSB_iPKfiiiSD_SD_iiiii.numbered_sgpr, 42
	.set _ZN4vllm25paged_attention_v2_kernelIffLi80ELi32ELi128ELNS_18Fp8KVCacheDataTypeE0ELb1ELi512EEEvPfS2_PT_PKS3_PKT0_S9_ifPKiSB_iPKfiiiSD_SD_iiiii.num_named_barrier, 0
	.set _ZN4vllm25paged_attention_v2_kernelIffLi80ELi32ELi128ELNS_18Fp8KVCacheDataTypeE0ELb1ELi512EEEvPfS2_PT_PKS3_PKT0_S9_ifPKiSB_iPKfiiiSD_SD_iiiii.private_seg_size, 0
	.set _ZN4vllm25paged_attention_v2_kernelIffLi80ELi32ELi128ELNS_18Fp8KVCacheDataTypeE0ELb1ELi512EEEvPfS2_PT_PKS3_PKT0_S9_ifPKiSB_iPKfiiiSD_SD_iiiii.uses_vcc, 1
	.set _ZN4vllm25paged_attention_v2_kernelIffLi80ELi32ELi128ELNS_18Fp8KVCacheDataTypeE0ELb1ELi512EEEvPfS2_PT_PKS3_PKT0_S9_ifPKiSB_iPKfiiiSD_SD_iiiii.uses_flat_scratch, 0
	.set _ZN4vllm25paged_attention_v2_kernelIffLi80ELi32ELi128ELNS_18Fp8KVCacheDataTypeE0ELb1ELi512EEEvPfS2_PT_PKS3_PKT0_S9_ifPKiSB_iPKfiiiSD_SD_iiiii.has_dyn_sized_stack, 0
	.set _ZN4vllm25paged_attention_v2_kernelIffLi80ELi32ELi128ELNS_18Fp8KVCacheDataTypeE0ELb1ELi512EEEvPfS2_PT_PKS3_PKT0_S9_ifPKiSB_iPKfiiiSD_SD_iiiii.has_recursion, 0
	.set _ZN4vllm25paged_attention_v2_kernelIffLi80ELi32ELi128ELNS_18Fp8KVCacheDataTypeE0ELb1ELi512EEEvPfS2_PT_PKS3_PKT0_S9_ifPKiSB_iPKfiiiSD_SD_iiiii.has_indirect_call, 0
	.section	.AMDGPU.csdata,"",@progbits
; Kernel info:
; codeLenInByte = 11536
; TotalNumSgprs: 44
; NumVgprs: 148
; ScratchSize: 0
; MemoryBound: 0
; FloatMode: 240
; IeeeMode: 1
; LDSByteSize: 352 bytes/workgroup (compile time only)
; SGPRBlocks: 0
; VGPRBlocks: 18
; NumSGPRsForWavesPerEU: 44
; NumVGPRsForWavesPerEU: 148
; Occupancy: 9
; WaveLimiterHint : 1
; COMPUTE_PGM_RSRC2:SCRATCH_EN: 0
; COMPUTE_PGM_RSRC2:USER_SGPR: 2
; COMPUTE_PGM_RSRC2:TRAP_HANDLER: 0
; COMPUTE_PGM_RSRC2:TGID_X_EN: 1
; COMPUTE_PGM_RSRC2:TGID_Y_EN: 1
; COMPUTE_PGM_RSRC2:TGID_Z_EN: 1
; COMPUTE_PGM_RSRC2:TIDIG_COMP_CNT: 0
	.section	.text._ZN4vllm25paged_attention_v2_kernelIffLi96ELi32ELi128ELNS_18Fp8KVCacheDataTypeE0ELb1ELi512EEEvPfS2_PT_PKS3_PKT0_S9_ifPKiSB_iPKfiiiSD_SD_iiiii,"axG",@progbits,_ZN4vllm25paged_attention_v2_kernelIffLi96ELi32ELi128ELNS_18Fp8KVCacheDataTypeE0ELb1ELi512EEEvPfS2_PT_PKS3_PKT0_S9_ifPKiSB_iPKfiiiSD_SD_iiiii,comdat
	.protected	_ZN4vllm25paged_attention_v2_kernelIffLi96ELi32ELi128ELNS_18Fp8KVCacheDataTypeE0ELb1ELi512EEEvPfS2_PT_PKS3_PKT0_S9_ifPKiSB_iPKfiiiSD_SD_iiiii ; -- Begin function _ZN4vllm25paged_attention_v2_kernelIffLi96ELi32ELi128ELNS_18Fp8KVCacheDataTypeE0ELb1ELi512EEEvPfS2_PT_PKS3_PKT0_S9_ifPKiSB_iPKfiiiSD_SD_iiiii
	.globl	_ZN4vllm25paged_attention_v2_kernelIffLi96ELi32ELi128ELNS_18Fp8KVCacheDataTypeE0ELb1ELi512EEEvPfS2_PT_PKS3_PKT0_S9_ifPKiSB_iPKfiiiSD_SD_iiiii
	.p2align	8
	.type	_ZN4vllm25paged_attention_v2_kernelIffLi96ELi32ELi128ELNS_18Fp8KVCacheDataTypeE0ELb1ELi512EEEvPfS2_PT_PKS3_PKT0_S9_ifPKiSB_iPKfiiiSD_SD_iiiii,@function
_ZN4vllm25paged_attention_v2_kernelIffLi96ELi32ELi128ELNS_18Fp8KVCacheDataTypeE0ELb1ELi512EEEvPfS2_PT_PKS3_PKT0_S9_ifPKiSB_iPKfiiiSD_SD_iiiii: ; @_ZN4vllm25paged_attention_v2_kernelIffLi96ELi32ELi128ELNS_18Fp8KVCacheDataTypeE0ELb1ELi512EEEvPfS2_PT_PKS3_PKT0_S9_ifPKiSB_iPKfiiiSD_SD_iiiii
; %bb.0:
	s_load_b64 s[2:3], s[0:1], 0x40
	s_and_b32 s18, ttmp7, 0xffff
	s_lshr_b32 s30, ttmp7, 16
	s_lshl_b32 s4, s18, 2
	s_lshl_b32 s34, s30, 9
	s_wait_kmcnt 0x0
	s_load_b32 s31, s[2:3], s4 offset:0x0
	s_wait_kmcnt 0x0
	s_cmp_ge_i32 s34, s31
	s_cbranch_scc1 .LBB48_148
; %bb.1:
	s_clause 0x1
	s_load_b32 s19, s[0:1], 0x90
	s_load_b64 s[8:9], s[0:1], 0x30
	s_wait_kmcnt 0x0
	s_abs_i32 s5, s19
	s_abs_i32 s2, s8
	s_delay_alu instid0(SALU_CYCLE_1) | instskip(SKIP_1) | instid1(SALU_CYCLE_2)
	s_cvt_f32_u32 s3, s2
	s_sub_co_i32 s4, 0, s2
	v_rcp_iflag_f32_e32 v1, s3
	s_delay_alu instid0(TRANS32_DEP_1) | instskip(SKIP_2) | instid1(SALU_CYCLE_2)
	v_readfirstlane_b32 s3, v1
	s_mul_f32 s3, s3, 0x4f7ffffe
	s_wait_alu 0xfffe
	s_cvt_u32_f32 s3, s3
	s_wait_alu 0xfffe
	s_delay_alu instid0(SALU_CYCLE_2) | instskip(NEXT) | instid1(SALU_CYCLE_1)
	s_mul_i32 s4, s4, s3
	s_mul_hi_u32 s4, s3, s4
	s_delay_alu instid0(SALU_CYCLE_1)
	s_add_co_i32 s3, s3, s4
	s_xor_b32 s4, s19, s8
	s_wait_alu 0xfffe
	s_mul_hi_u32 s3, s5, s3
	s_ashr_i32 s4, s4, 31
	s_wait_alu 0xfffe
	s_mul_i32 s6, s3, s2
	s_delay_alu instid0(SALU_CYCLE_1)
	s_sub_co_i32 s5, s5, s6
	s_add_co_i32 s6, s3, 1
	s_sub_co_i32 s7, s5, s2
	s_cmp_ge_u32 s5, s2
	s_cselect_b32 s3, s6, s3
	s_cselect_b32 s5, s7, s5
	s_wait_alu 0xfffe
	s_add_co_i32 s6, s3, 1
	s_cmp_ge_u32 s5, s2
	s_cselect_b32 s2, s6, s3
	s_load_b64 s[6:7], s[0:1], 0x50
	s_xor_b32 s2, s2, s4
	s_mov_b32 s3, 0
	s_wait_alu 0xfffe
	s_sub_co_i32 s16, s2, s4
	s_mov_b32 s15, s3
	s_abs_i32 s20, s16
	s_delay_alu instid0(SALU_CYCLE_1) | instskip(SKIP_1) | instid1(SALU_CYCLE_2)
	s_cvt_f32_u32 s2, s20
	s_wait_alu 0xfffe
	v_rcp_iflag_f32_e32 v1, s2
	s_delay_alu instid0(TRANS32_DEP_1) | instskip(SKIP_2) | instid1(SALU_CYCLE_2)
	v_readfirstlane_b32 s2, v1
	s_mul_f32 s2, s2, 0x4f7ffffe
	s_wait_alu 0xfffe
	s_cvt_u32_f32 s4, s2
	s_sub_co_i32 s2, 0, s20
	s_wait_alu 0xfffe
	s_delay_alu instid0(SALU_CYCLE_1)
	s_mul_i32 s2, s2, s4
	s_wait_alu 0xfffe
	s_mul_hi_u32 s5, s4, s2
	s_abs_i32 s2, ttmp9
	s_add_co_i32 s4, s4, s5
	s_mov_b32 s5, s3
	s_wait_kmcnt 0x0
	s_cmp_eq_u64 s[6:7], 0
	s_cbranch_scc1 .LBB48_3
; %bb.2:
	s_mov_b32 s10, ttmp9
	s_ashr_i32 s11, ttmp9, 31
	s_delay_alu instid0(SALU_CYCLE_1) | instskip(NEXT) | instid1(SALU_CYCLE_1)
	s_lshl_b64 s[10:11], s[10:11], 2
	s_add_nc_u64 s[6:7], s[6:7], s[10:11]
	s_load_b32 s15, s[6:7], 0x0
.LBB48_3:
	s_load_b96 s[12:14], s[0:1], 0x58
	v_lshlrev_b32_e32 v99, 4, v0
	s_mul_u64 s[10:11], s[2:3], s[4:5]
	s_ashr_i32 s3, ttmp9, 31
	s_ashr_i32 s10, s16, 31
	s_mul_i32 s16, ttmp9, 0x60
	s_mov_b32 s4, exec_lo
	v_cmpx_gt_u32_e32 24, v0
	s_cbranch_execz .LBB48_5
; %bb.4:
	s_load_b64 s[6:7], s[0:1], 0x18
	s_wait_kmcnt 0x0
	s_mul_i32 s22, s12, s18
	s_ashr_i32 s17, s16, 31
	s_ashr_i32 s23, s22, 31
	s_delay_alu instid0(SALU_CYCLE_1) | instskip(NEXT) | instid1(SALU_CYCLE_1)
	s_lshl_b64 s[22:23], s[22:23], 2
	s_add_nc_u64 s[6:7], s[6:7], s[22:23]
	s_lshl_b64 s[22:23], s[16:17], 2
	s_delay_alu instid0(SALU_CYCLE_1)
	s_add_nc_u64 s[6:7], s[6:7], s[22:23]
	global_load_b128 v[1:4], v99, s[6:7]
	s_wait_loadcnt 0x0
	ds_store_b128 v99, v[1:4]
.LBB48_5:
	s_or_b32 exec_lo, exec_lo, s4
	s_clause 0x1
	s_load_b128 s[4:7], s[0:1], 0x78
	s_load_b32 s22, s[0:1], 0x88
	s_wait_kmcnt 0x0
	s_mul_i32 s12, s11, s20
	s_xor_b32 s3, s3, s10
	s_sub_co_i32 s2, s2, s12
	s_add_co_i32 s10, s11, 1
	s_wait_alu 0xfffe
	s_sub_co_i32 s12, s2, s20
	s_cmp_ge_u32 s2, s20
	s_mov_b32 s24, -1
	s_cselect_b32 s10, s10, s11
	s_cselect_b32 s2, s12, s2
	s_add_co_i32 s11, s10, 1
	s_wait_alu 0xfffe
	s_cmp_ge_u32 s2, s20
	s_wait_dscnt 0x0
	s_cselect_b32 s2, s11, s10
	s_add_co_i32 s23, s31, -1
	s_wait_alu 0xfffe
	s_xor_b32 s2, s2, s3
	s_barrier_signal -1
	s_wait_alu 0xfffe
	s_sub_co_i32 s26, s2, s3
	s_barrier_wait -1
	s_abs_i32 s12, s7
	global_inv scope:SCOPE_SE
	s_cvt_f32_u32 s10, s12
                                        ; implicit-def: $sgpr17
	s_delay_alu instid0(SALU_CYCLE_3) | instskip(NEXT) | instid1(TRANS32_DEP_1)
	v_rcp_iflag_f32_e32 v1, s10
	v_readfirstlane_b32 s10, v1
	s_mul_f32 s2, s10, 0x4f7ffffe
	s_wait_alu 0xfffe
	s_delay_alu instid0(SALU_CYCLE_2) | instskip(SKIP_2) | instid1(SALU_CYCLE_1)
	s_cvt_u32_f32 s10, s2
	s_sub_co_i32 s2, 0, s12
	s_wait_alu 0xfffe
	s_mul_i32 s3, s2, s10
	s_abs_i32 s2, s23
	s_wait_alu 0xfffe
	s_mul_hi_u32 s11, s10, s3
	s_mov_b32 s3, 0
	s_wait_alu 0xfffe
	s_add_co_i32 s20, s10, s11
	s_cmp_lt_i32 s22, 0
	s_mov_b32 s21, s3
	s_cbranch_scc0 .LBB48_7
; %bb.6:
	s_mul_i32 s8, s4, s8
	s_mov_b32 s24, s3
	s_add_co_i32 s8, s26, s8
	s_delay_alu instid0(SALU_CYCLE_1) | instskip(NEXT) | instid1(SALU_CYCLE_1)
	s_mul_i32 s8, s8, s22
	s_sub_co_i32 s17, 1, s8
.LBB48_7:
	s_mul_u64 s[10:11], s[2:3], s[20:21]
	s_ashr_i32 s3, s23, 31
	s_and_not1_b32 vcc_lo, exec_lo, s24
	s_ashr_i32 s21, s7, 31
	s_cbranch_vccnz .LBB48_9
; %bb.8:
	s_mul_i32 s4, s19, s4
	s_delay_alu instid0(SALU_CYCLE_1) | instskip(NEXT) | instid1(SALU_CYCLE_1)
	s_add_co_i32 s4, s4, ttmp9
	s_mul_i32 s4, s4, s22
	s_delay_alu instid0(SALU_CYCLE_1)
	s_add_co_i32 s17, s4, 1
.LBB48_9:
	s_clause 0x2
	s_load_b32 s4, s[0:1], 0x48
	s_load_b64 s[22:23], s[0:1], 0x38
	s_load_b32 s7, s[0:1], 0x98
	s_mul_i32 s8, s11, s12
	s_xor_b32 s3, s3, s21
	s_sub_co_i32 s2, s2, s8
	s_add_co_i32 s10, s11, 1
	v_lshrrev_b32_e32 v103, 5, v0
	v_and_b32_e32 v104, 31, v0
	v_mov_b32_e32 v108, 0xff7fffff
	s_mul_i32 s26, s26, s14
	s_delay_alu instid0(VALU_DEP_3) | instskip(NEXT) | instid1(VALU_DEP_3)
	v_lshl_add_u32 v106, v103, 5, s34
	v_lshlrev_b32_e32 v101, 2, v104
	s_wait_kmcnt 0x0
	s_mul_i32 s24, s4, s18
	s_wait_alu 0xfffe
	s_sub_co_i32 s4, s2, s12
	s_ashr_i32 s25, s24, 31
	s_cmp_ge_u32 s2, s12
	s_cselect_b32 s8, s10, s11
	s_cselect_b32 s2, s4, s2
	s_add_co_i32 s4, s8, 1
	s_wait_alu 0xfffe
	s_cmp_ge_u32 s2, s12
	s_cselect_b32 s2, s4, s8
	s_add_co_i32 s4, s31, 31
	s_lshl_b32 s37, s30, 4
	s_ashr_i32 s8, s4, 31
	v_add_nc_u32_e32 v105, s37, v103
	s_lshr_b32 s8, s8, 27
	s_delay_alu instid0(SALU_CYCLE_1)
	s_add_co_i32 s4, s4, s8
	s_add_co_i32 s8, s37, 16
	s_ashr_i32 s35, s4, 5
	s_wait_alu 0xfffe
	s_xor_b32 s4, s2, s3
	s_min_i32 s33, s8, s35
	v_lshlrev_b32_e32 v100, 2, v105
	v_cmp_gt_i32_e64 s2, s33, v105
	s_sub_co_i32 s36, s4, s3
	s_and_saveexec_b32 s8, s2
	s_cbranch_execz .LBB48_17
; %bb.10:
	s_ashr_i32 s27, s26, 31
	s_load_b64 s[28:29], s[0:1], 0x20
	s_sub_co_i32 s10, s36, s5
	s_lshl_b64 s[38:39], s[26:27], 2
	s_cmp_neq_f32 s15, 0
	v_dual_mov_b32 v112, 0xff7fffff :: v_dual_lshlrev_b32 v41, 4, v104
	v_subrev_nc_u32_e32 v108, s31, v104
	s_cselect_b32 vcc_lo, -1, 0
	s_abs_i32 s11, s6
	v_mov_b32_e32 v93, 0
	s_wait_alu 0xfffe
	s_cvt_f32_u32 s3, s11
	v_add_nc_u32_e32 v110, 1, v108
	ds_load_b128 v[1:4], v93
	ds_load_b128 v[5:8], v93 offset:16
	s_wait_alu 0xfffe
	v_rcp_iflag_f32_e32 v42, s3
	ds_load_b128 v[9:12], v93 offset:32
	ds_load_b128 v[13:16], v93 offset:48
	;; [unrolled: 1-line block ×8, first 2 shown]
	v_lshl_or_b32 v111, v103, 7, v101
	v_lshl_add_u32 v109, v103, 5, s34
	v_dual_mov_b32 v108, 0xff7fffff :: v_dual_mov_b32 v113, v105
	s_wait_kmcnt 0x0
	s_add_nc_u64 s[28:29], s[28:29], s[38:39]
	v_add_nc_u32_e32 v111, 0x1a0, v111
	v_add_co_u32 v102, s4, s28, v41
	v_readfirstlane_b32 s3, v42
	ds_load_b128 v[41:44], v93 offset:160
	ds_load_b128 v[45:48], v93 offset:176
	;; [unrolled: 1-line block ×14, first 2 shown]
	v_add_co_ci_u32_e64 v107, null, s29, 0, s4
	s_mul_f32 s3, s3, 0x4f7ffffe
	s_lshl_b64 s[28:29], s[24:25], 2
	s_sub_co_i32 s4, 0, s11
	s_wait_alu 0xfffe
	s_add_nc_u64 s[28:29], s[22:23], s[28:29]
	s_cvt_u32_f32 s3, s3
	s_wait_alu 0xfffe
	v_add_co_u32 v97, s27, s28, v100
	s_delay_alu instid0(VALU_DEP_1)
	v_add_co_ci_u32_e64 v98, null, s29, 0, s27
	s_mul_i32 s4, s4, s3
	s_mov_b32 s14, s13
	s_wait_alu 0xfffe
	s_mul_hi_u32 s4, s3, s4
	s_mov_b32 s27, 0
	s_wait_alu 0xfffe
	s_add_co_i32 s28, s3, s4
	s_branch .LBB48_12
.LBB48_11:                              ;   in Loop: Header=BB48_12 Depth=1
	s_wait_alu 0xfffe
	s_or_b32 exec_lo, exec_lo, s4
	v_add_nc_u32_e32 v113, 4, v113
	v_add_co_u32 v97, s4, v97, 16
	s_wait_alu 0xf1ff
	v_add_co_ci_u32_e64 v98, null, 0, v98, s4
	s_delay_alu instid0(VALU_DEP_3)
	v_cmp_le_i32_e64 s3, s33, v113
	v_add_nc_u32_e32 v109, 0x80, v109
	v_add_nc_u32_e32 v111, 0x200, v111
	s_or_b32 s27, s3, s27
	s_wait_alu 0xfffe
	s_and_not1_b32 exec_lo, exec_lo, s27
	s_cbranch_execz .LBB48_16
.LBB48_12:                              ; =>This Inner Loop Header: Depth=1
	v_sub_nc_u32_e32 v114, 0, v109
	s_delay_alu instid0(VALU_DEP_1) | instskip(NEXT) | instid1(VALU_DEP_1)
	v_max_i32_e32 v114, v109, v114
	v_mul_hi_u32 v115, v114, s20
	s_delay_alu instid0(VALU_DEP_1) | instskip(NEXT) | instid1(VALU_DEP_1)
	v_mul_lo_u32 v116, v115, s12
	v_sub_nc_u32_e32 v114, v114, v116
	v_add_nc_u32_e32 v116, 1, v115
	s_delay_alu instid0(VALU_DEP_2) | instskip(SKIP_2) | instid1(VALU_DEP_1)
	v_subrev_nc_u32_e32 v117, s12, v114
	v_cmp_le_u32_e64 s3, s12, v114
	s_wait_alu 0xf1ff
	v_cndmask_b32_e64 v115, v115, v116, s3
	s_delay_alu instid0(VALU_DEP_3) | instskip(SKIP_1) | instid1(VALU_DEP_3)
	v_cndmask_b32_e64 v114, v114, v117, s3
	v_ashrrev_i32_e32 v116, 31, v109
	v_add_nc_u32_e32 v117, 1, v115
	s_delay_alu instid0(VALU_DEP_3) | instskip(NEXT) | instid1(VALU_DEP_3)
	v_cmp_le_u32_e64 s3, s12, v114
	v_xor_b32_e32 v116, s21, v116
	s_wait_alu 0xf1ff
	s_delay_alu instid0(VALU_DEP_2) | instskip(NEXT) | instid1(VALU_DEP_1)
	v_cndmask_b32_e64 v114, v115, v117, s3
	v_xor_b32_e32 v114, v114, v116
	s_delay_alu instid0(VALU_DEP_1) | instskip(NEXT) | instid1(VALU_DEP_1)
	v_sub_nc_u32_e32 v114, v114, v116
	v_add_nc_u32_e32 v115, s17, v114
	v_cmp_ge_i32_e64 s4, s10, v114
	s_delay_alu instid0(VALU_DEP_2) | instskip(NEXT) | instid1(VALU_DEP_1)
	v_sub_nc_u32_e32 v116, 0, v115
	v_max_i32_e32 v116, v115, v116
	v_ashrrev_i32_e32 v115, 31, v115
	s_wait_alu 0xfffe
	s_delay_alu instid0(VALU_DEP_2) | instskip(NEXT) | instid1(VALU_DEP_1)
	v_mul_hi_u32 v117, v116, s28
	v_mul_lo_u32 v117, v117, s11
	s_delay_alu instid0(VALU_DEP_1) | instskip(NEXT) | instid1(VALU_DEP_1)
	v_sub_nc_u32_e32 v116, v116, v117
	v_subrev_nc_u32_e32 v117, s11, v116
	v_cmp_le_u32_e64 s3, s11, v116
	s_wait_alu 0xf1ff
	s_delay_alu instid0(VALU_DEP_1) | instskip(NEXT) | instid1(VALU_DEP_1)
	v_cndmask_b32_e64 v116, v116, v117, s3
	v_subrev_nc_u32_e32 v117, s11, v116
	v_cmp_le_u32_e64 s3, s11, v116
	s_wait_alu 0xf1ff
	s_delay_alu instid0(VALU_DEP_1) | instskip(NEXT) | instid1(VALU_DEP_1)
	v_cndmask_b32_e64 v116, v116, v117, s3
	v_xor_b32_e32 v116, v116, v115
	s_delay_alu instid0(VALU_DEP_1) | instskip(NEXT) | instid1(VALU_DEP_1)
	v_sub_nc_u32_e32 v115, v116, v115
	v_cmp_ne_u32_e64 s3, 0, v115
	s_and_b32 s3, s3, s4
	s_wait_alu 0xfffe
	s_and_saveexec_b32 s4, s3
	s_wait_alu 0xfffe
	s_xor_b32 s3, exec_lo, s4
; %bb.13:                               ;   in Loop: Header=BB48_12 Depth=1
	ds_store_b32 v111, v112
; %bb.14:                               ;   in Loop: Header=BB48_12 Depth=1
	s_wait_alu 0xfffe
	s_and_not1_saveexec_b32 s4, s3
	s_cbranch_execz .LBB48_11
; %bb.15:                               ;   in Loop: Header=BB48_12 Depth=1
	global_load_b32 v114, v[97:98], off
	s_wait_loadcnt 0x0
	v_mad_co_i64_i32 v[114:115], null, v114, s14, 0
	s_delay_alu instid0(VALU_DEP_1) | instskip(NEXT) | instid1(VALU_DEP_1)
	v_lshlrev_b64_e32 v[114:115], 2, v[114:115]
	v_add_co_u32 v142, s3, v102, v114
	s_wait_alu 0xf1ff
	s_delay_alu instid0(VALU_DEP_2)
	v_add_co_ci_u32_e64 v143, null, v107, v115, s3
	s_clause 0x6
	global_load_b128 v[114:117], v[142:143], off offset:512
	global_load_b128 v[118:121], v[142:143], off
	global_load_b128 v[122:125], v[142:143], off offset:1024
	global_load_b128 v[126:129], v[142:143], off offset:1536
	;; [unrolled: 1-line block ×5, first 2 shown]
	s_wait_loadcnt_dscnt 0x616
	v_dual_mul_f32 v144, v5, v114 :: v_dual_mul_f32 v145, v6, v115
	v_dual_mul_f32 v146, v7, v116 :: v_dual_mul_f32 v147, v8, v117
	global_load_b128 v[114:117], v[142:143], off offset:3584
	s_wait_loadcnt 0x6
	v_dual_fmac_f32 v144, v1, v118 :: v_dual_fmac_f32 v145, v2, v119
	v_dual_fmac_f32 v146, v3, v120 :: v_dual_fmac_f32 v147, v4, v121
	global_load_b128 v[118:121], v[142:143], off offset:4096
	s_wait_loadcnt_dscnt 0x615
	v_dual_fmac_f32 v144, v9, v122 :: v_dual_fmac_f32 v145, v10, v123
	v_dual_fmac_f32 v146, v11, v124 :: v_dual_fmac_f32 v147, v12, v125
	global_load_b128 v[122:125], v[142:143], off offset:4608
	s_wait_loadcnt_dscnt 0x614
	;; [unrolled: 4-line block ×16, first 2 shown]
	v_dual_fmac_f32 v144, v69, v126 :: v_dual_fmac_f32 v145, v70, v127
	v_dual_fmac_f32 v146, v71, v128 :: v_dual_fmac_f32 v147, v72, v129
	s_wait_loadcnt_dscnt 0x505
	s_delay_alu instid0(VALU_DEP_2) | instskip(NEXT) | instid1(VALU_DEP_2)
	v_dual_fmac_f32 v144, v73, v130 :: v_dual_fmac_f32 v145, v74, v131
	v_dual_fmac_f32 v146, v75, v132 :: v_dual_fmac_f32 v147, v76, v133
	s_wait_loadcnt_dscnt 0x404
	s_delay_alu instid0(VALU_DEP_2) | instskip(NEXT) | instid1(VALU_DEP_2)
	;; [unrolled: 4-line block ×4, first 2 shown]
	v_dual_fmac_f32 v144, v85, v114 :: v_dual_fmac_f32 v145, v86, v115
	v_dual_fmac_f32 v146, v87, v116 :: v_dual_fmac_f32 v147, v88, v117
	v_max_num_f32_e32 v116, v108, v108
	s_wait_loadcnt_dscnt 0x101
	s_delay_alu instid0(VALU_DEP_3) | instskip(NEXT) | instid1(VALU_DEP_3)
	v_dual_fmac_f32 v144, v89, v118 :: v_dual_fmac_f32 v145, v90, v119
	v_dual_fmac_f32 v146, v91, v120 :: v_dual_fmac_f32 v147, v92, v121
	s_wait_loadcnt_dscnt 0x0
	s_delay_alu instid0(VALU_DEP_2) | instskip(NEXT) | instid1(VALU_DEP_2)
	v_dual_fmac_f32 v144, v93, v122 :: v_dual_fmac_f32 v145, v94, v123
	v_dual_fmac_f32 v146, v95, v124 :: v_dual_fmac_f32 v147, v96, v125
	s_delay_alu instid0(VALU_DEP_2) | instskip(NEXT) | instid1(VALU_DEP_1)
	v_add_f32_e32 v115, v144, v145
	v_add_f32_e32 v115, v146, v115
	s_delay_alu instid0(VALU_DEP_1) | instskip(NEXT) | instid1(VALU_DEP_1)
	v_dual_add_f32 v115, v147, v115 :: v_dual_add_nc_u32 v114, v110, v109
	v_cvt_f32_i32_e32 v114, v114
	s_delay_alu instid0(VALU_DEP_1) | instskip(NEXT) | instid1(VALU_DEP_1)
	v_mul_f32_e32 v114, s15, v114
	v_cndmask_b32_e32 v114, 0, v114, vcc_lo
	s_delay_alu instid0(VALU_DEP_1) | instskip(NEXT) | instid1(VALU_DEP_1)
	v_dual_fmac_f32 v114, s9, v115 :: v_dual_add_nc_u32 v115, v104, v109
	v_max_num_f32_e32 v116, v116, v114
	s_delay_alu instid0(VALU_DEP_2) | instskip(SKIP_1) | instid1(VALU_DEP_1)
	v_cmp_gt_i32_e64 s3, s31, v115
	s_wait_alu 0xf1ff
	v_cndmask_b32_e64 v114, 0, v114, s3
	s_delay_alu instid0(VALU_DEP_3)
	v_cndmask_b32_e64 v108, v108, v116, s3
	ds_store_b32 v111, v114
	s_branch .LBB48_11
.LBB48_16:
	s_or_b32 exec_lo, exec_lo, s27
.LBB48_17:
	s_delay_alu instid0(SALU_CYCLE_1)
	s_or_b32 exec_lo, exec_lo, s8
	s_wait_dscnt 0x17
	v_mbcnt_lo_u32_b32 v1, -1, 0
	s_clause 0x2
	s_load_b128 s[8:11], s[0:1], 0x0
	s_load_b64 s[14:15], s[0:1], 0x10
	s_load_b64 s[28:29], s[0:1], 0x28
	s_wait_dscnt 0x16
	v_max_num_f32_e32 v5, v108, v108
	v_xor_b32_e32 v2, 16, v1
	v_xor_b32_e32 v4, 8, v1
	s_delay_alu instid0(VALU_DEP_2) | instskip(SKIP_2) | instid1(VALU_DEP_3)
	v_cmp_gt_i32_e32 vcc_lo, 32, v2
	s_wait_alu 0xfffd
	v_cndmask_b32_e32 v2, v1, v2, vcc_lo
	v_cmp_gt_i32_e32 vcc_lo, 32, v4
	s_delay_alu instid0(VALU_DEP_2)
	v_lshlrev_b32_e32 v2, 2, v2
	s_wait_alu 0xfffd
	v_cndmask_b32_e32 v4, v1, v4, vcc_lo
	ds_bpermute_b32 v3, v2, v108
	s_wait_dscnt 0x0
	v_dual_max_num_f32 v6, v3, v3 :: v_dual_lshlrev_b32 v3, 2, v4
	s_delay_alu instid0(VALU_DEP_1)
	v_max_num_f32_e32 v4, v5, v6
	v_xor_b32_e32 v6, 4, v1
	ds_bpermute_b32 v5, v3, v4
	v_cmp_gt_i32_e32 vcc_lo, 32, v6
	s_wait_alu 0xfffd
	v_cndmask_b32_e32 v6, v1, v6, vcc_lo
	s_delay_alu instid0(VALU_DEP_1) | instskip(SKIP_1) | instid1(VALU_DEP_1)
	v_lshlrev_b32_e32 v109, 2, v6
	v_xor_b32_e32 v6, 2, v1
	v_cmp_gt_i32_e32 vcc_lo, 32, v6
	s_wait_dscnt 0x0
	v_max_num_f32_e32 v5, v5, v5
	s_wait_alu 0xfffd
	v_cndmask_b32_e32 v6, v1, v6, vcc_lo
	s_delay_alu instid0(VALU_DEP_1) | instskip(SKIP_1) | instid1(VALU_DEP_1)
	v_lshlrev_b32_e32 v108, 2, v6
	v_xor_b32_e32 v6, 1, v1
	v_cmp_gt_i32_e32 vcc_lo, 32, v6
	s_wait_alu 0xfffd
	v_cndmask_b32_e32 v6, v1, v6, vcc_lo
	v_max_num_f32_e32 v4, v4, v5
	v_cmp_eq_u32_e32 vcc_lo, 0, v104
	s_delay_alu instid0(VALU_DEP_3) | instskip(SKIP_3) | instid1(VALU_DEP_1)
	v_lshlrev_b32_e32 v107, 2, v6
	ds_bpermute_b32 v5, v109, v4
	s_wait_dscnt 0x0
	v_max_num_f32_e32 v5, v5, v5
	v_max_num_f32_e32 v4, v4, v5
	ds_bpermute_b32 v5, v108, v4
	s_wait_dscnt 0x0
	v_max_num_f32_e32 v5, v5, v5
	s_delay_alu instid0(VALU_DEP_1)
	v_max_num_f32_e32 v1, v4, v5
	v_lshlrev_b32_e32 v5, 2, v103
	ds_bpermute_b32 v4, v107, v1
	s_and_saveexec_b32 s0, vcc_lo
	s_cbranch_execz .LBB48_19
; %bb.18:
	s_wait_dscnt 0x0
	v_dual_max_num_f32 v4, v4, v4 :: v_dual_max_num_f32 v1, v1, v1
	s_delay_alu instid0(VALU_DEP_1)
	v_max_num_f32_e32 v1, v1, v4
	ds_store_b32 v5, v1 offset:384
.LBB48_19:
	s_or_b32 exec_lo, exec_lo, s0
	v_cmp_gt_u32_e64 s0, 4, v104
	v_mov_b32_e32 v1, 0xff7fffff
	s_wait_loadcnt_dscnt 0x0
	s_barrier_signal -1
	s_barrier_wait -1
	global_inv scope:SCOPE_SE
	s_and_saveexec_b32 s1, s0
; %bb.20:
	ds_load_b32 v1, v101 offset:384
; %bb.21:
	s_or_b32 exec_lo, exec_lo, s1
	s_wait_dscnt 0x0
	ds_bpermute_b32 v4, v108, v1
	v_max_num_f32_e32 v1, v1, v1
	s_sub_co_i32 s1, s33, s37
	v_mov_b32_e32 v6, 0
	s_lshl_b32 s1, s1, 5
	s_delay_alu instid0(SALU_CYCLE_1) | instskip(NEXT) | instid1(SALU_CYCLE_1)
	s_add_co_i32 s1, s1, s34
	s_min_i32 s1, s1, s31
	s_delay_alu instid0(SALU_CYCLE_1) | instskip(SKIP_4) | instid1(VALU_DEP_1)
	s_sub_co_i32 s4, s1, s34
	s_wait_alu 0xfffe
	v_cmp_gt_i32_e64 s1, s4, v0
	s_wait_dscnt 0x0
	v_max_num_f32_e32 v4, v4, v4
	v_max_num_f32_e32 v1, v1, v4
	ds_bpermute_b32 v4, v107, v1
	s_wait_dscnt 0x0
	v_max_num_f32_e32 v4, v4, v4
	s_delay_alu instid0(VALU_DEP_1)
	v_max_num_f32_e32 v1, v1, v4
	v_lshl_add_u32 v4, v0, 2, 0x1a0
	ds_bpermute_b32 v1, v6, v1
	s_and_saveexec_b32 s27, s1
	s_cbranch_execz .LBB48_25
; %bb.22:
	v_lshl_add_u32 v7, v0, 2, 0x1a0
	v_mov_b32_e32 v6, 0
	v_mov_b32_e32 v8, v0
	s_mov_b32 s34, 0
.LBB48_23:                              ; =>This Inner Loop Header: Depth=1
	ds_load_b32 v9, v7
	v_add_nc_u32_e32 v8, 0x80, v8
	s_delay_alu instid0(VALU_DEP_1) | instskip(SKIP_4) | instid1(VALU_DEP_1)
	v_cmp_le_i32_e64 s3, s4, v8
	s_wait_alu 0xfffe
	s_or_b32 s34, s3, s34
	s_wait_dscnt 0x0
	v_sub_f32_e32 v9, v9, v1
	v_mul_f32_e32 v9, 0x3fb8aa3b, v9
	s_delay_alu instid0(VALU_DEP_1)
	v_exp_f32_e32 v9, v9
	ds_store_b32 v7, v9
	v_dual_add_f32 v6, v6, v9 :: v_dual_add_nc_u32 v7, 0x200, v7
	s_wait_alu 0xfffe
	s_and_not1_b32 exec_lo, exec_lo, s34
	s_cbranch_execnz .LBB48_23
; %bb.24:
	s_or_b32 exec_lo, exec_lo, s34
.LBB48_25:
	s_wait_alu 0xfffe
	s_or_b32 exec_lo, exec_lo, s27
	ds_bpermute_b32 v2, v2, v6
	s_wait_dscnt 0x0
	v_add_f32_e32 v2, v6, v2
	ds_bpermute_b32 v3, v3, v2
	s_wait_dscnt 0x0
	v_add_f32_e32 v2, v2, v3
	;; [unrolled: 3-line block ×5, first 2 shown]
	s_and_saveexec_b32 s3, vcc_lo
; %bb.26:
	ds_store_b32 v5, v2 offset:400
; %bb.27:
	s_wait_alu 0xfffe
	s_or_b32 exec_lo, exec_lo, s3
	s_wait_loadcnt_dscnt 0x0
	s_barrier_signal -1
	s_barrier_wait -1
	global_inv scope:SCOPE_SE
	s_and_saveexec_b32 s3, s0
; %bb.28:
	ds_load_b32 v2, v101 offset:400
; %bb.29:
	s_wait_alu 0xfffe
	s_or_b32 exec_lo, exec_lo, s3
	s_wait_dscnt 0x0
	ds_bpermute_b32 v3, v108, v2
	s_wait_dscnt 0x0
	v_add_f32_e32 v2, v2, v3
	ds_bpermute_b32 v3, v107, v2
	s_wait_dscnt 0x0
	v_dual_add_f32 v2, v2, v3 :: v_dual_mov_b32 v3, 0
	ds_bpermute_b32 v2, v3, v2
	s_and_saveexec_b32 s0, s1
	s_cbranch_execz .LBB48_32
; %bb.30:
	s_wait_dscnt 0x0
	v_add_f32_e32 v3, 0x358637bd, v2
	s_mov_b32 s1, 0
	s_delay_alu instid0(VALU_DEP_1) | instskip(SKIP_1) | instid1(VALU_DEP_2)
	v_div_scale_f32 v5, null, v3, v3, 1.0
	v_div_scale_f32 v8, vcc_lo, 1.0, v3, 1.0
	v_rcp_f32_e32 v6, v5
	s_delay_alu instid0(TRANS32_DEP_1) | instskip(NEXT) | instid1(VALU_DEP_1)
	v_fma_f32 v7, -v5, v6, 1.0
	v_fmac_f32_e32 v6, v7, v6
	s_delay_alu instid0(VALU_DEP_1) | instskip(NEXT) | instid1(VALU_DEP_1)
	v_mul_f32_e32 v7, v8, v6
	v_fma_f32 v9, -v5, v7, v8
	s_delay_alu instid0(VALU_DEP_1) | instskip(NEXT) | instid1(VALU_DEP_1)
	v_fmac_f32_e32 v7, v9, v6
	v_fma_f32 v5, -v5, v7, v8
	s_wait_alu 0xfffd
	s_delay_alu instid0(VALU_DEP_1) | instskip(NEXT) | instid1(VALU_DEP_1)
	v_div_fmas_f32 v5, v5, v6, v7
	v_div_fixup_f32 v3, v5, v3, 1.0
	v_mov_b32_e32 v5, v0
.LBB48_31:                              ; =>This Inner Loop Header: Depth=1
	ds_load_b32 v6, v4
	s_wait_dscnt 0x0
	v_dual_mul_f32 v6, v3, v6 :: v_dual_add_nc_u32 v5, 0x80, v5
	s_delay_alu instid0(VALU_DEP_1) | instskip(SKIP_3) | instid1(SALU_CYCLE_1)
	v_cmp_le_i32_e32 vcc_lo, s4, v5
	ds_store_b32 v4, v6
	v_add_nc_u32_e32 v4, 0x200, v4
	s_or_b32 s1, vcc_lo, s1
	s_and_not1_b32 exec_lo, exec_lo, s1
	s_cbranch_execnz .LBB48_31
.LBB48_32:
	s_or_b32 exec_lo, exec_lo, s0
	s_mul_i32 s0, s7, s18
	s_wait_loadcnt_dscnt 0x0
	s_mul_i32 s18, s0, s19
	s_mov_b32 s0, exec_lo
	s_barrier_signal -1
	s_barrier_wait -1
	global_inv scope:SCOPE_SE
	v_cmpx_eq_u32_e32 0, v0
	s_cbranch_execz .LBB48_34
; %bb.33:
	s_ashr_i32 s19, s18, 31
	s_mul_i32 s38, s7, ttmp9
	s_lshl_b32 s1, s30, 2
	s_lshl_b64 s[40:41], s[18:19], 2
	s_ashr_i32 s39, s38, 31
	v_mov_b32_e32 v3, s1
	s_wait_kmcnt 0x0
	s_add_nc_u64 s[10:11], s[10:11], s[40:41]
	s_lshl_b64 s[38:39], s[38:39], 2
	s_add_nc_u64 s[8:9], s[8:9], s[40:41]
	s_wait_alu 0xfffe
	s_add_nc_u64 s[10:11], s[10:11], s[38:39]
	s_add_nc_u64 s[8:9], s[8:9], s[38:39]
	s_clause 0x1
	global_store_b32 v3, v1, s[10:11]
	global_store_b32 v3, v2, s[8:9]
.LBB48_34:
	s_or_b32 exec_lo, exec_lo, s0
	v_dual_mov_b32 v133, 0 :: v_dual_and_b32 v110, 7, v0
	v_dual_mov_b32 v134, 0 :: v_dual_mov_b32 v131, 0
	v_dual_mov_b32 v132, 0 :: v_dual_mov_b32 v129, 0
	;; [unrolled: 1-line block ×11, first 2 shown]
	v_mov_b32_e32 v112, 0
	s_and_saveexec_b32 s1, s2
	s_cbranch_execz .LBB48_88
; %bb.35:
	s_abs_i32 s2, s6
	v_dual_mov_b32 v113, 0 :: v_dual_lshlrev_b32 v4, 4, v110
	s_wait_alu 0xfffe
	s_cvt_f32_u32 s0, s2
	s_ashr_i32 s27, s26, 31
	s_wait_kmcnt 0x0
	s_lshl_b64 s[8:9], s[24:25], 2
	v_dual_mov_b32 v112, 0 :: v_dual_and_b32 v3, 0x1f0, v99
	s_wait_alu 0xfffe
	v_rcp_iflag_f32_e32 v1, s0
	s_lshl_b64 s[10:11], s[26:27], 2
	s_add_nc_u64 s[8:9], s[22:23], s[8:9]
	v_dual_mov_b32 v111, 0 :: v_dual_lshlrev_b32 v2, 2, v0
	s_wait_alu 0xfffe
	s_add_nc_u64 s[10:11], s[28:29], s[10:11]
	v_add_co_u32 v101, s8, s8, v100
	s_sub_co_i32 s6, 0, s2
	v_add_co_ci_u32_e64 v102, null, s9, 0, s8
	s_delay_alu instid0(TRANS32_DEP_1)
	v_readfirstlane_b32 s0, v1
	v_lshl_or_b32 v1, v103, 7, v4
	s_wait_alu 0xfffe
	v_add_co_u32 v136, s8, s10, v3
	v_dual_mov_b32 v114, 0 :: v_dual_and_b32 v135, 28, v2
	s_mul_f32 s0, s0, 0x4f7ffffe
	v_add_co_ci_u32_e64 v137, null, s11, 0, s8
	v_dual_mov_b32 v115, 0 :: v_dual_add_nc_u32 v138, 0x1a0, v1
	s_wait_alu 0xfffe
	s_cvt_u32_f32 s0, s0
	v_dual_mov_b32 v116, 0 :: v_dual_mov_b32 v117, 0
	v_dual_mov_b32 v118, 0 :: v_dual_mov_b32 v119, 0
	s_wait_alu 0xfffe
	s_mul_i32 s6, s6, s0
	v_dual_mov_b32 v120, 0 :: v_dual_mov_b32 v121, 0
	v_dual_mov_b32 v122, 0 :: v_dual_mov_b32 v123, 0
	;; [unrolled: 1-line block ×7, first 2 shown]
	v_mov_b32_e32 v134, 0
	s_mul_hi_u32 s8, s0, s6
	s_sub_co_i32 s3, s36, s5
	s_mov_b32 s4, s13
	s_add_co_i32 s5, s35, -1
	s_mov_b32 s6, 0
	s_wait_alu 0xfffe
	s_add_co_i32 s8, s0, s8
	s_branch .LBB48_38
.LBB48_36:                              ;   in Loop: Header=BB48_38 Depth=1
	s_wait_alu 0xfffe
	s_or_b32 exec_lo, exec_lo, s0
	s_wait_loadcnt_dscnt 0x1100
	v_mul_f32_e32 v29, v1, v29
	s_wait_loadcnt 0x9
	v_mul_f32_e32 v61, v1, v61
	s_wait_loadcnt 0x5
	v_mul_f32_e32 v81, v1, v81
	v_mul_f32_e32 v53, v1, v53
	s_wait_loadcnt 0x3
	v_mul_f32_e32 v89, v1, v89
	v_fmac_f32_e32 v29, v2, v30
	v_fmac_f32_e32 v61, v2, v62
	v_mul_f32_e32 v21, v1, v21
	v_fmac_f32_e32 v53, v2, v54
	s_wait_loadcnt 0x1
	v_mul_f32_e32 v97, v1, v97
	v_fmac_f32_e32 v29, v3, v31
	v_fmac_f32_e32 v61, v3, v63
	v_mul_f32_e32 v45, v1, v45
	v_fmac_f32_e32 v53, v3, v55
	v_fmac_f32_e32 v21, v2, v22
	v_fmac_f32_e32 v29, v4, v32
	v_fmac_f32_e32 v81, v2, v82
	v_fmac_f32_e32 v61, v4, v64
	v_fmac_f32_e32 v89, v2, v90
	v_mul_f32_e32 v13, v1, v13
	s_delay_alu instid0(VALU_DEP_4)
	v_dual_add_f32 v128, v128, v29 :: v_dual_fmac_f32 v81, v3, v83
	v_mul_f32_e32 v69, v1, v69
	v_dual_add_f32 v120, v120, v61 :: v_dual_fmac_f32 v45, v2, v46
	v_fmac_f32_e32 v53, v4, v56
	v_fmac_f32_e32 v89, v3, v91
	;; [unrolled: 1-line block ×4, first 2 shown]
	v_mul_f32_e32 v37, v1, v37
	v_fmac_f32_e32 v21, v3, v23
	v_fmac_f32_e32 v13, v2, v14
	v_mul_f32_e32 v93, v1, v93
	v_mul_f32_e32 v85, v1, v85
	;; [unrolled: 1-line block ×4, first 2 shown]
	v_dual_fmac_f32 v69, v2, v70 :: v_dual_add_f32 v116, v116, v81
	v_mul_f32_e32 v57, v1, v57
	v_mul_f32_e32 v49, v1, v49
	;; [unrolled: 1-line block ×3, first 2 shown]
	v_dual_fmac_f32 v45, v3, v47 :: v_dual_add_f32 v122, v122, v53
	v_fmac_f32_e32 v89, v4, v92
	v_fmac_f32_e32 v97, v3, v99
	v_mul_f32_e32 v33, v1, v33
	v_mul_f32_e32 v25, v1, v25
	v_fmac_f32_e32 v37, v2, v38
	v_fmac_f32_e32 v21, v4, v24
	v_mul_f32_e32 v17, v1, v17
	v_mul_f32_e32 v9, v1, v9
	;; [unrolled: 1-line block ×3, first 2 shown]
	s_wait_loadcnt 0x0
	v_mul_f32_e32 v1, v1, v77
	v_dual_fmac_f32 v13, v3, v15 :: v_dual_add_f32 v114, v114, v89
	v_dual_fmac_f32 v97, v4, v100 :: v_dual_add_f32 v130, v130, v21
	v_fmac_f32_e32 v93, v2, v94
	v_fmac_f32_e32 v65, v2, v66
	;; [unrolled: 1-line block ×16, first 2 shown]
	v_dual_fmac_f32 v73, v2, v74 :: v_dual_add_f32 v112, v112, v97
	v_fmac_f32_e32 v65, v3, v67
	v_fmac_f32_e32 v69, v4, v72
	;; [unrolled: 1-line block ×5, first 2 shown]
	v_dual_fmac_f32 v41, v3, v43 :: v_dual_add_f32 v124, v124, v45
	v_fmac_f32_e32 v33, v3, v35
	v_fmac_f32_e32 v25, v3, v27
	;; [unrolled: 1-line block ×7, first 2 shown]
	v_dual_fmac_f32 v1, v3, v79 :: v_dual_add_f32 v132, v132, v13
	v_fmac_f32_e32 v73, v3, v75
	v_dual_fmac_f32 v65, v4, v68 :: v_dual_add_f32 v118, v118, v69
	v_fmac_f32_e32 v57, v4, v60
	v_fmac_f32_e32 v49, v4, v52
	s_delay_alu instid0(VALU_DEP_4)
	v_fmac_f32_e32 v73, v4, v76
	v_fmac_f32_e32 v41, v4, v44
	;; [unrolled: 1-line block ×3, first 2 shown]
	v_dual_fmac_f32 v25, v4, v28 :: v_dual_add_f32 v126, v126, v37
	v_fmac_f32_e32 v85, v4, v88
	v_fmac_f32_e32 v17, v4, v20
	;; [unrolled: 1-line block ×6, first 2 shown]
	v_add_f32_e32 v115, v115, v85
	v_add_f32_e32 v117, v117, v73
	;; [unrolled: 1-line block ×13, first 2 shown]
.LBB48_37:                              ;   in Loop: Header=BB48_38 Depth=1
	s_wait_alu 0xfffe
	s_or_b32 exec_lo, exec_lo, s9
	v_add_nc_u32_e32 v105, 4, v105
	v_add_co_u32 v101, s0, v101, 16
	s_wait_alu 0xf1ff
	v_add_co_ci_u32_e64 v102, null, 0, v102, s0
	s_delay_alu instid0(VALU_DEP_3) | instskip(SKIP_3) | instid1(SALU_CYCLE_1)
	v_cmp_le_i32_e32 vcc_lo, s33, v105
	v_add_nc_u32_e32 v106, 0x80, v106
	v_add_nc_u32_e32 v138, 0x200, v138
	s_or_b32 s6, vcc_lo, s6
	s_and_not1_b32 exec_lo, exec_lo, s6
	s_cbranch_execz .LBB48_87
.LBB48_38:                              ; =>This Inner Loop Header: Depth=1
	v_sub_nc_u32_e32 v1, 0, v106
	s_delay_alu instid0(VALU_DEP_1) | instskip(NEXT) | instid1(VALU_DEP_1)
	v_max_i32_e32 v1, v106, v1
	v_mul_hi_u32 v2, v1, s20
	s_delay_alu instid0(VALU_DEP_1) | instskip(NEXT) | instid1(VALU_DEP_1)
	v_mul_lo_u32 v3, v2, s12
	v_sub_nc_u32_e32 v1, v1, v3
	v_add_nc_u32_e32 v3, 1, v2
	s_delay_alu instid0(VALU_DEP_2) | instskip(SKIP_2) | instid1(VALU_DEP_2)
	v_subrev_nc_u32_e32 v4, s12, v1
	v_cmp_le_u32_e32 vcc_lo, s12, v1
	s_wait_alu 0xfffd
	v_dual_cndmask_b32 v2, v2, v3 :: v_dual_cndmask_b32 v1, v1, v4
	v_ashrrev_i32_e32 v3, 31, v106
	s_delay_alu instid0(VALU_DEP_2) | instskip(NEXT) | instid1(VALU_DEP_3)
	v_add_nc_u32_e32 v4, 1, v2
	v_cmp_le_u32_e32 vcc_lo, s12, v1
	s_delay_alu instid0(VALU_DEP_3) | instskip(SKIP_1) | instid1(VALU_DEP_3)
	v_xor_b32_e32 v3, s21, v3
	s_wait_alu 0xfffd
	v_cndmask_b32_e32 v1, v2, v4, vcc_lo
	s_delay_alu instid0(VALU_DEP_1) | instskip(NEXT) | instid1(VALU_DEP_1)
	v_xor_b32_e32 v1, v1, v3
	v_sub_nc_u32_e32 v1, v1, v3
	s_delay_alu instid0(VALU_DEP_1) | instskip(SKIP_1) | instid1(VALU_DEP_2)
	v_add_nc_u32_e32 v2, s17, v1
	v_cmp_lt_i32_e64 s0, s3, v1
	v_sub_nc_u32_e32 v3, 0, v2
	s_delay_alu instid0(VALU_DEP_1) | instskip(SKIP_1) | instid1(VALU_DEP_1)
	v_max_i32_e32 v3, v2, v3
	s_wait_alu 0xfffe
	v_mul_hi_u32 v4, v3, s8
	s_delay_alu instid0(VALU_DEP_1) | instskip(NEXT) | instid1(VALU_DEP_1)
	v_mul_lo_u32 v4, v4, s2
	v_sub_nc_u32_e32 v3, v3, v4
	s_delay_alu instid0(VALU_DEP_1) | instskip(SKIP_2) | instid1(VALU_DEP_2)
	v_subrev_nc_u32_e32 v4, s2, v3
	v_cmp_le_u32_e32 vcc_lo, s2, v3
	s_wait_alu 0xfffd
	v_cndmask_b32_e32 v3, v3, v4, vcc_lo
	v_ashrrev_i32_e32 v2, 31, v2
	s_delay_alu instid0(VALU_DEP_2) | instskip(SKIP_2) | instid1(VALU_DEP_2)
	v_subrev_nc_u32_e32 v4, s2, v3
	v_cmp_le_u32_e32 vcc_lo, s2, v3
	s_wait_alu 0xfffd
	v_cndmask_b32_e32 v3, v3, v4, vcc_lo
	s_delay_alu instid0(VALU_DEP_1) | instskip(NEXT) | instid1(VALU_DEP_1)
	v_xor_b32_e32 v3, v3, v2
	v_sub_nc_u32_e32 v2, v3, v2
	s_delay_alu instid0(VALU_DEP_1)
	v_cmp_eq_u32_e32 vcc_lo, 0, v2
	s_or_b32 s0, vcc_lo, s0
	s_wait_alu 0xfffe
	s_and_saveexec_b32 s9, s0
	s_cbranch_execz .LBB48_37
; %bb.39:                               ;   in Loop: Header=BB48_38 Depth=1
	global_load_b32 v1, v[101:102], off
	v_add_nc_u32_e32 v139, v135, v106
	s_delay_alu instid0(VALU_DEP_1) | instskip(SKIP_4) | instid1(VALU_DEP_1)
	v_add_nc_u32_e32 v142, 1, v139
	v_add_nc_u32_e32 v141, 2, v139
	;; [unrolled: 1-line block ×3, first 2 shown]
	s_wait_loadcnt 0x0
	v_mad_co_i64_i32 v[1:2], null, v1, s4, 0
	v_lshlrev_b64_e32 v[1:2], 2, v[1:2]
	s_delay_alu instid0(VALU_DEP_1) | instskip(SKIP_1) | instid1(VALU_DEP_2)
	v_add_co_u32 v77, vcc_lo, v136, v1
	s_wait_alu 0xfffd
	v_add_co_ci_u32_e64 v78, null, v137, v2, vcc_lo
	ds_load_b128 v[1:4], v138
	v_cmp_eq_u32_e32 vcc_lo, s5, v105
	global_load_b128 v[5:8], v[77:78], off
	s_and_saveexec_b32 s10, vcc_lo
	s_cbranch_execnz .LBB48_63
; %bb.40:                               ;   in Loop: Header=BB48_38 Depth=1
	s_wait_alu 0xfffe
	s_or_b32 exec_lo, exec_lo, s10
	global_load_b128 v[9:12], v[77:78], off offset:512
	s_and_saveexec_b32 s10, vcc_lo
	s_cbranch_execnz .LBB48_64
.LBB48_41:                              ;   in Loop: Header=BB48_38 Depth=1
	s_wait_alu 0xfffe
	s_or_b32 exec_lo, exec_lo, s10
	global_load_b128 v[13:16], v[77:78], off offset:1024
	s_and_saveexec_b32 s10, vcc_lo
	s_cbranch_execnz .LBB48_65
.LBB48_42:                              ;   in Loop: Header=BB48_38 Depth=1
	s_wait_alu 0xfffe
	s_or_b32 exec_lo, exec_lo, s10
	global_load_b128 v[17:20], v[77:78], off offset:1536
	s_and_saveexec_b32 s10, vcc_lo
	s_cbranch_execnz .LBB48_66
.LBB48_43:                              ;   in Loop: Header=BB48_38 Depth=1
	s_wait_alu 0xfffe
	s_or_b32 exec_lo, exec_lo, s10
	global_load_b128 v[21:24], v[77:78], off offset:2048
	s_and_saveexec_b32 s10, vcc_lo
	s_cbranch_execnz .LBB48_67
.LBB48_44:                              ;   in Loop: Header=BB48_38 Depth=1
	s_wait_alu 0xfffe
	s_or_b32 exec_lo, exec_lo, s10
	global_load_b128 v[25:28], v[77:78], off offset:2560
	s_and_saveexec_b32 s10, vcc_lo
	s_cbranch_execnz .LBB48_68
.LBB48_45:                              ;   in Loop: Header=BB48_38 Depth=1
	s_wait_alu 0xfffe
	s_or_b32 exec_lo, exec_lo, s10
	global_load_b128 v[29:32], v[77:78], off offset:3072
	s_and_saveexec_b32 s10, vcc_lo
	s_cbranch_execnz .LBB48_69
.LBB48_46:                              ;   in Loop: Header=BB48_38 Depth=1
	s_wait_alu 0xfffe
	s_or_b32 exec_lo, exec_lo, s10
	global_load_b128 v[33:36], v[77:78], off offset:3584
	s_and_saveexec_b32 s10, vcc_lo
	s_cbranch_execnz .LBB48_70
.LBB48_47:                              ;   in Loop: Header=BB48_38 Depth=1
	s_wait_alu 0xfffe
	s_or_b32 exec_lo, exec_lo, s10
	global_load_b128 v[37:40], v[77:78], off offset:4096
	s_and_saveexec_b32 s10, vcc_lo
	s_cbranch_execnz .LBB48_71
.LBB48_48:                              ;   in Loop: Header=BB48_38 Depth=1
	s_wait_alu 0xfffe
	s_or_b32 exec_lo, exec_lo, s10
	global_load_b128 v[41:44], v[77:78], off offset:4608
	s_and_saveexec_b32 s10, vcc_lo
	s_cbranch_execnz .LBB48_72
.LBB48_49:                              ;   in Loop: Header=BB48_38 Depth=1
	s_wait_alu 0xfffe
	s_or_b32 exec_lo, exec_lo, s10
	global_load_b128 v[45:48], v[77:78], off offset:5120
	s_and_saveexec_b32 s10, vcc_lo
	s_cbranch_execnz .LBB48_73
.LBB48_50:                              ;   in Loop: Header=BB48_38 Depth=1
	s_wait_alu 0xfffe
	s_or_b32 exec_lo, exec_lo, s10
	global_load_b128 v[49:52], v[77:78], off offset:5632
	s_and_saveexec_b32 s10, vcc_lo
	s_cbranch_execnz .LBB48_74
.LBB48_51:                              ;   in Loop: Header=BB48_38 Depth=1
	s_wait_alu 0xfffe
	s_or_b32 exec_lo, exec_lo, s10
	global_load_b128 v[53:56], v[77:78], off offset:6144
	s_and_saveexec_b32 s10, vcc_lo
	s_cbranch_execnz .LBB48_75
.LBB48_52:                              ;   in Loop: Header=BB48_38 Depth=1
	s_wait_alu 0xfffe
	s_or_b32 exec_lo, exec_lo, s10
	global_load_b128 v[57:60], v[77:78], off offset:6656
	s_and_saveexec_b32 s10, vcc_lo
	s_cbranch_execnz .LBB48_76
.LBB48_53:                              ;   in Loop: Header=BB48_38 Depth=1
	s_wait_alu 0xfffe
	s_or_b32 exec_lo, exec_lo, s10
	global_load_b128 v[61:64], v[77:78], off offset:7168
	s_and_saveexec_b32 s10, vcc_lo
	s_cbranch_execnz .LBB48_77
.LBB48_54:                              ;   in Loop: Header=BB48_38 Depth=1
	s_wait_alu 0xfffe
	s_or_b32 exec_lo, exec_lo, s10
	global_load_b128 v[65:68], v[77:78], off offset:7680
	s_and_saveexec_b32 s10, vcc_lo
	s_cbranch_execnz .LBB48_78
.LBB48_55:                              ;   in Loop: Header=BB48_38 Depth=1
	s_wait_alu 0xfffe
	s_or_b32 exec_lo, exec_lo, s10
	global_load_b128 v[69:72], v[77:78], off offset:8192
	s_and_saveexec_b32 s10, vcc_lo
	s_cbranch_execnz .LBB48_79
.LBB48_56:                              ;   in Loop: Header=BB48_38 Depth=1
	s_wait_alu 0xfffe
	s_or_b32 exec_lo, exec_lo, s10
	global_load_b128 v[73:76], v[77:78], off offset:8704
	s_and_saveexec_b32 s10, vcc_lo
	s_cbranch_execnz .LBB48_80
.LBB48_57:                              ;   in Loop: Header=BB48_38 Depth=1
	s_wait_alu 0xfffe
	s_or_b32 exec_lo, exec_lo, s10
	global_load_b128 v[81:84], v[77:78], off offset:9216
	s_and_saveexec_b32 s10, vcc_lo
	s_cbranch_execnz .LBB48_81
.LBB48_58:                              ;   in Loop: Header=BB48_38 Depth=1
	s_wait_alu 0xfffe
	s_or_b32 exec_lo, exec_lo, s10
	global_load_b128 v[85:88], v[77:78], off offset:9728
	s_and_saveexec_b32 s10, vcc_lo
	s_cbranch_execnz .LBB48_82
.LBB48_59:                              ;   in Loop: Header=BB48_38 Depth=1
	s_wait_alu 0xfffe
	s_or_b32 exec_lo, exec_lo, s10
	global_load_b128 v[89:92], v[77:78], off offset:10240
	s_and_saveexec_b32 s10, vcc_lo
	s_cbranch_execnz .LBB48_83
.LBB48_60:                              ;   in Loop: Header=BB48_38 Depth=1
	s_wait_alu 0xfffe
	s_or_b32 exec_lo, exec_lo, s10
	global_load_b128 v[93:96], v[77:78], off offset:10752
	s_and_saveexec_b32 s10, vcc_lo
	s_cbranch_execnz .LBB48_84
.LBB48_61:                              ;   in Loop: Header=BB48_38 Depth=1
	s_wait_alu 0xfffe
	s_or_b32 exec_lo, exec_lo, s10
	global_load_b128 v[97:100], v[77:78], off offset:11264
	s_and_saveexec_b32 s10, vcc_lo
	s_cbranch_execnz .LBB48_85
.LBB48_62:                              ;   in Loop: Header=BB48_38 Depth=1
	s_wait_alu 0xfffe
	s_or_b32 exec_lo, exec_lo, s10
	global_load_b128 v[77:80], v[77:78], off offset:11776
	s_and_saveexec_b32 s0, vcc_lo
	s_cbranch_execz .LBB48_36
	s_branch .LBB48_86
.LBB48_63:                              ;   in Loop: Header=BB48_38 Depth=1
	v_cmp_gt_i32_e64 s0, s31, v139
	s_wait_loadcnt 0x0
	s_wait_alu 0xf1ff
	s_delay_alu instid0(VALU_DEP_1) | instskip(SKIP_2) | instid1(VALU_DEP_1)
	v_cndmask_b32_e64 v5, 0, v5, s0
	v_cmp_gt_i32_e64 s0, s31, v142
	s_wait_alu 0xf1ff
	v_cndmask_b32_e64 v6, 0, v6, s0
	v_cmp_gt_i32_e64 s0, s31, v141
	s_wait_alu 0xf1ff
	s_delay_alu instid0(VALU_DEP_1) | instskip(SKIP_2) | instid1(VALU_DEP_1)
	v_cndmask_b32_e64 v7, 0, v7, s0
	v_cmp_gt_i32_e64 s0, s31, v140
	s_wait_alu 0xf1ff
	v_cndmask_b32_e64 v8, 0, v8, s0
	s_wait_alu 0xfffe
	s_or_b32 exec_lo, exec_lo, s10
	global_load_b128 v[9:12], v[77:78], off offset:512
	s_and_saveexec_b32 s10, vcc_lo
	s_cbranch_execz .LBB48_41
.LBB48_64:                              ;   in Loop: Header=BB48_38 Depth=1
	v_cmp_gt_i32_e64 s0, s31, v139
	s_wait_loadcnt 0x0
	s_wait_alu 0xf1ff
	s_delay_alu instid0(VALU_DEP_1) | instskip(SKIP_2) | instid1(VALU_DEP_1)
	v_cndmask_b32_e64 v9, 0, v9, s0
	v_cmp_gt_i32_e64 s0, s31, v142
	s_wait_alu 0xf1ff
	v_cndmask_b32_e64 v10, 0, v10, s0
	v_cmp_gt_i32_e64 s0, s31, v141
	s_wait_alu 0xf1ff
	s_delay_alu instid0(VALU_DEP_1) | instskip(SKIP_2) | instid1(VALU_DEP_1)
	v_cndmask_b32_e64 v11, 0, v11, s0
	v_cmp_gt_i32_e64 s0, s31, v140
	s_wait_alu 0xf1ff
	v_cndmask_b32_e64 v12, 0, v12, s0
	s_wait_alu 0xfffe
	s_or_b32 exec_lo, exec_lo, s10
	global_load_b128 v[13:16], v[77:78], off offset:1024
	s_and_saveexec_b32 s10, vcc_lo
	s_cbranch_execz .LBB48_42
.LBB48_65:                              ;   in Loop: Header=BB48_38 Depth=1
	v_cmp_gt_i32_e64 s0, s31, v139
	s_wait_loadcnt 0x0
	s_wait_alu 0xf1ff
	s_delay_alu instid0(VALU_DEP_1) | instskip(SKIP_2) | instid1(VALU_DEP_1)
	v_cndmask_b32_e64 v13, 0, v13, s0
	v_cmp_gt_i32_e64 s0, s31, v142
	s_wait_alu 0xf1ff
	v_cndmask_b32_e64 v14, 0, v14, s0
	v_cmp_gt_i32_e64 s0, s31, v141
	s_wait_alu 0xf1ff
	s_delay_alu instid0(VALU_DEP_1) | instskip(SKIP_2) | instid1(VALU_DEP_1)
	v_cndmask_b32_e64 v15, 0, v15, s0
	v_cmp_gt_i32_e64 s0, s31, v140
	s_wait_alu 0xf1ff
	v_cndmask_b32_e64 v16, 0, v16, s0
	s_wait_alu 0xfffe
	s_or_b32 exec_lo, exec_lo, s10
	global_load_b128 v[17:20], v[77:78], off offset:1536
	s_and_saveexec_b32 s10, vcc_lo
	s_cbranch_execz .LBB48_43
.LBB48_66:                              ;   in Loop: Header=BB48_38 Depth=1
	v_cmp_gt_i32_e64 s0, s31, v139
	s_wait_loadcnt 0x0
	s_wait_alu 0xf1ff
	s_delay_alu instid0(VALU_DEP_1) | instskip(SKIP_2) | instid1(VALU_DEP_1)
	v_cndmask_b32_e64 v17, 0, v17, s0
	v_cmp_gt_i32_e64 s0, s31, v142
	s_wait_alu 0xf1ff
	v_cndmask_b32_e64 v18, 0, v18, s0
	v_cmp_gt_i32_e64 s0, s31, v141
	s_wait_alu 0xf1ff
	s_delay_alu instid0(VALU_DEP_1) | instskip(SKIP_2) | instid1(VALU_DEP_1)
	v_cndmask_b32_e64 v19, 0, v19, s0
	v_cmp_gt_i32_e64 s0, s31, v140
	s_wait_alu 0xf1ff
	v_cndmask_b32_e64 v20, 0, v20, s0
	s_wait_alu 0xfffe
	s_or_b32 exec_lo, exec_lo, s10
	global_load_b128 v[21:24], v[77:78], off offset:2048
	s_and_saveexec_b32 s10, vcc_lo
	s_cbranch_execz .LBB48_44
.LBB48_67:                              ;   in Loop: Header=BB48_38 Depth=1
	v_cmp_gt_i32_e64 s0, s31, v139
	s_wait_loadcnt 0x0
	s_wait_alu 0xf1ff
	s_delay_alu instid0(VALU_DEP_1) | instskip(SKIP_2) | instid1(VALU_DEP_1)
	v_cndmask_b32_e64 v21, 0, v21, s0
	v_cmp_gt_i32_e64 s0, s31, v142
	s_wait_alu 0xf1ff
	v_cndmask_b32_e64 v22, 0, v22, s0
	v_cmp_gt_i32_e64 s0, s31, v141
	s_wait_alu 0xf1ff
	s_delay_alu instid0(VALU_DEP_1) | instskip(SKIP_2) | instid1(VALU_DEP_1)
	v_cndmask_b32_e64 v23, 0, v23, s0
	v_cmp_gt_i32_e64 s0, s31, v140
	s_wait_alu 0xf1ff
	v_cndmask_b32_e64 v24, 0, v24, s0
	s_wait_alu 0xfffe
	s_or_b32 exec_lo, exec_lo, s10
	global_load_b128 v[25:28], v[77:78], off offset:2560
	s_and_saveexec_b32 s10, vcc_lo
	s_cbranch_execz .LBB48_45
.LBB48_68:                              ;   in Loop: Header=BB48_38 Depth=1
	v_cmp_gt_i32_e64 s0, s31, v139
	s_wait_loadcnt 0x0
	s_wait_alu 0xf1ff
	s_delay_alu instid0(VALU_DEP_1) | instskip(SKIP_2) | instid1(VALU_DEP_1)
	v_cndmask_b32_e64 v25, 0, v25, s0
	v_cmp_gt_i32_e64 s0, s31, v142
	s_wait_alu 0xf1ff
	v_cndmask_b32_e64 v26, 0, v26, s0
	v_cmp_gt_i32_e64 s0, s31, v141
	s_wait_alu 0xf1ff
	s_delay_alu instid0(VALU_DEP_1) | instskip(SKIP_2) | instid1(VALU_DEP_1)
	v_cndmask_b32_e64 v27, 0, v27, s0
	v_cmp_gt_i32_e64 s0, s31, v140
	s_wait_alu 0xf1ff
	v_cndmask_b32_e64 v28, 0, v28, s0
	s_wait_alu 0xfffe
	s_or_b32 exec_lo, exec_lo, s10
	global_load_b128 v[29:32], v[77:78], off offset:3072
	s_and_saveexec_b32 s10, vcc_lo
	s_cbranch_execz .LBB48_46
.LBB48_69:                              ;   in Loop: Header=BB48_38 Depth=1
	v_cmp_gt_i32_e64 s0, s31, v139
	s_wait_loadcnt 0x0
	s_wait_alu 0xf1ff
	s_delay_alu instid0(VALU_DEP_1) | instskip(SKIP_2) | instid1(VALU_DEP_1)
	v_cndmask_b32_e64 v29, 0, v29, s0
	v_cmp_gt_i32_e64 s0, s31, v142
	s_wait_alu 0xf1ff
	v_cndmask_b32_e64 v30, 0, v30, s0
	v_cmp_gt_i32_e64 s0, s31, v141
	s_wait_alu 0xf1ff
	s_delay_alu instid0(VALU_DEP_1) | instskip(SKIP_2) | instid1(VALU_DEP_1)
	v_cndmask_b32_e64 v31, 0, v31, s0
	v_cmp_gt_i32_e64 s0, s31, v140
	s_wait_alu 0xf1ff
	v_cndmask_b32_e64 v32, 0, v32, s0
	s_wait_alu 0xfffe
	s_or_b32 exec_lo, exec_lo, s10
	global_load_b128 v[33:36], v[77:78], off offset:3584
	s_and_saveexec_b32 s10, vcc_lo
	s_cbranch_execz .LBB48_47
.LBB48_70:                              ;   in Loop: Header=BB48_38 Depth=1
	v_cmp_gt_i32_e64 s0, s31, v139
	s_wait_loadcnt 0x0
	s_wait_alu 0xf1ff
	s_delay_alu instid0(VALU_DEP_1) | instskip(SKIP_2) | instid1(VALU_DEP_1)
	v_cndmask_b32_e64 v33, 0, v33, s0
	v_cmp_gt_i32_e64 s0, s31, v142
	s_wait_alu 0xf1ff
	v_cndmask_b32_e64 v34, 0, v34, s0
	v_cmp_gt_i32_e64 s0, s31, v141
	s_wait_alu 0xf1ff
	s_delay_alu instid0(VALU_DEP_1) | instskip(SKIP_2) | instid1(VALU_DEP_1)
	v_cndmask_b32_e64 v35, 0, v35, s0
	v_cmp_gt_i32_e64 s0, s31, v140
	s_wait_alu 0xf1ff
	v_cndmask_b32_e64 v36, 0, v36, s0
	s_wait_alu 0xfffe
	s_or_b32 exec_lo, exec_lo, s10
	global_load_b128 v[37:40], v[77:78], off offset:4096
	s_and_saveexec_b32 s10, vcc_lo
	s_cbranch_execz .LBB48_48
.LBB48_71:                              ;   in Loop: Header=BB48_38 Depth=1
	v_cmp_gt_i32_e64 s0, s31, v139
	s_wait_loadcnt 0x0
	s_wait_alu 0xf1ff
	s_delay_alu instid0(VALU_DEP_1) | instskip(SKIP_2) | instid1(VALU_DEP_1)
	v_cndmask_b32_e64 v37, 0, v37, s0
	v_cmp_gt_i32_e64 s0, s31, v142
	s_wait_alu 0xf1ff
	v_cndmask_b32_e64 v38, 0, v38, s0
	v_cmp_gt_i32_e64 s0, s31, v141
	s_wait_alu 0xf1ff
	s_delay_alu instid0(VALU_DEP_1) | instskip(SKIP_2) | instid1(VALU_DEP_1)
	v_cndmask_b32_e64 v39, 0, v39, s0
	v_cmp_gt_i32_e64 s0, s31, v140
	s_wait_alu 0xf1ff
	v_cndmask_b32_e64 v40, 0, v40, s0
	s_wait_alu 0xfffe
	s_or_b32 exec_lo, exec_lo, s10
	global_load_b128 v[41:44], v[77:78], off offset:4608
	s_and_saveexec_b32 s10, vcc_lo
	s_cbranch_execz .LBB48_49
.LBB48_72:                              ;   in Loop: Header=BB48_38 Depth=1
	v_cmp_gt_i32_e64 s0, s31, v139
	s_wait_loadcnt 0x0
	s_wait_alu 0xf1ff
	s_delay_alu instid0(VALU_DEP_1) | instskip(SKIP_2) | instid1(VALU_DEP_1)
	v_cndmask_b32_e64 v41, 0, v41, s0
	v_cmp_gt_i32_e64 s0, s31, v142
	s_wait_alu 0xf1ff
	v_cndmask_b32_e64 v42, 0, v42, s0
	v_cmp_gt_i32_e64 s0, s31, v141
	s_wait_alu 0xf1ff
	s_delay_alu instid0(VALU_DEP_1) | instskip(SKIP_2) | instid1(VALU_DEP_1)
	v_cndmask_b32_e64 v43, 0, v43, s0
	v_cmp_gt_i32_e64 s0, s31, v140
	s_wait_alu 0xf1ff
	v_cndmask_b32_e64 v44, 0, v44, s0
	s_wait_alu 0xfffe
	s_or_b32 exec_lo, exec_lo, s10
	global_load_b128 v[45:48], v[77:78], off offset:5120
	s_and_saveexec_b32 s10, vcc_lo
	s_cbranch_execz .LBB48_50
.LBB48_73:                              ;   in Loop: Header=BB48_38 Depth=1
	v_cmp_gt_i32_e64 s0, s31, v139
	s_wait_loadcnt 0x0
	s_wait_alu 0xf1ff
	s_delay_alu instid0(VALU_DEP_1) | instskip(SKIP_2) | instid1(VALU_DEP_1)
	v_cndmask_b32_e64 v45, 0, v45, s0
	v_cmp_gt_i32_e64 s0, s31, v142
	s_wait_alu 0xf1ff
	v_cndmask_b32_e64 v46, 0, v46, s0
	v_cmp_gt_i32_e64 s0, s31, v141
	s_wait_alu 0xf1ff
	s_delay_alu instid0(VALU_DEP_1) | instskip(SKIP_2) | instid1(VALU_DEP_1)
	v_cndmask_b32_e64 v47, 0, v47, s0
	v_cmp_gt_i32_e64 s0, s31, v140
	s_wait_alu 0xf1ff
	v_cndmask_b32_e64 v48, 0, v48, s0
	s_wait_alu 0xfffe
	s_or_b32 exec_lo, exec_lo, s10
	global_load_b128 v[49:52], v[77:78], off offset:5632
	s_and_saveexec_b32 s10, vcc_lo
	s_cbranch_execz .LBB48_51
.LBB48_74:                              ;   in Loop: Header=BB48_38 Depth=1
	v_cmp_gt_i32_e64 s0, s31, v139
	s_wait_loadcnt 0x0
	s_wait_alu 0xf1ff
	s_delay_alu instid0(VALU_DEP_1) | instskip(SKIP_2) | instid1(VALU_DEP_1)
	v_cndmask_b32_e64 v49, 0, v49, s0
	v_cmp_gt_i32_e64 s0, s31, v142
	s_wait_alu 0xf1ff
	v_cndmask_b32_e64 v50, 0, v50, s0
	v_cmp_gt_i32_e64 s0, s31, v141
	s_wait_alu 0xf1ff
	s_delay_alu instid0(VALU_DEP_1) | instskip(SKIP_2) | instid1(VALU_DEP_1)
	v_cndmask_b32_e64 v51, 0, v51, s0
	v_cmp_gt_i32_e64 s0, s31, v140
	s_wait_alu 0xf1ff
	v_cndmask_b32_e64 v52, 0, v52, s0
	s_wait_alu 0xfffe
	s_or_b32 exec_lo, exec_lo, s10
	global_load_b128 v[53:56], v[77:78], off offset:6144
	s_and_saveexec_b32 s10, vcc_lo
	s_cbranch_execz .LBB48_52
.LBB48_75:                              ;   in Loop: Header=BB48_38 Depth=1
	v_cmp_gt_i32_e64 s0, s31, v139
	s_wait_loadcnt 0x0
	s_wait_alu 0xf1ff
	s_delay_alu instid0(VALU_DEP_1) | instskip(SKIP_2) | instid1(VALU_DEP_1)
	v_cndmask_b32_e64 v53, 0, v53, s0
	v_cmp_gt_i32_e64 s0, s31, v142
	s_wait_alu 0xf1ff
	v_cndmask_b32_e64 v54, 0, v54, s0
	v_cmp_gt_i32_e64 s0, s31, v141
	s_wait_alu 0xf1ff
	s_delay_alu instid0(VALU_DEP_1) | instskip(SKIP_2) | instid1(VALU_DEP_1)
	v_cndmask_b32_e64 v55, 0, v55, s0
	v_cmp_gt_i32_e64 s0, s31, v140
	s_wait_alu 0xf1ff
	v_cndmask_b32_e64 v56, 0, v56, s0
	s_wait_alu 0xfffe
	s_or_b32 exec_lo, exec_lo, s10
	global_load_b128 v[57:60], v[77:78], off offset:6656
	s_and_saveexec_b32 s10, vcc_lo
	s_cbranch_execz .LBB48_53
.LBB48_76:                              ;   in Loop: Header=BB48_38 Depth=1
	v_cmp_gt_i32_e64 s0, s31, v139
	s_wait_loadcnt 0x0
	s_wait_alu 0xf1ff
	s_delay_alu instid0(VALU_DEP_1) | instskip(SKIP_2) | instid1(VALU_DEP_1)
	v_cndmask_b32_e64 v57, 0, v57, s0
	v_cmp_gt_i32_e64 s0, s31, v142
	s_wait_alu 0xf1ff
	v_cndmask_b32_e64 v58, 0, v58, s0
	v_cmp_gt_i32_e64 s0, s31, v141
	s_wait_alu 0xf1ff
	s_delay_alu instid0(VALU_DEP_1) | instskip(SKIP_2) | instid1(VALU_DEP_1)
	v_cndmask_b32_e64 v59, 0, v59, s0
	v_cmp_gt_i32_e64 s0, s31, v140
	s_wait_alu 0xf1ff
	v_cndmask_b32_e64 v60, 0, v60, s0
	s_wait_alu 0xfffe
	s_or_b32 exec_lo, exec_lo, s10
	global_load_b128 v[61:64], v[77:78], off offset:7168
	s_and_saveexec_b32 s10, vcc_lo
	s_cbranch_execz .LBB48_54
.LBB48_77:                              ;   in Loop: Header=BB48_38 Depth=1
	v_cmp_gt_i32_e64 s0, s31, v139
	s_wait_loadcnt 0x0
	s_wait_alu 0xf1ff
	s_delay_alu instid0(VALU_DEP_1) | instskip(SKIP_2) | instid1(VALU_DEP_1)
	v_cndmask_b32_e64 v61, 0, v61, s0
	v_cmp_gt_i32_e64 s0, s31, v142
	s_wait_alu 0xf1ff
	v_cndmask_b32_e64 v62, 0, v62, s0
	v_cmp_gt_i32_e64 s0, s31, v141
	s_wait_alu 0xf1ff
	s_delay_alu instid0(VALU_DEP_1) | instskip(SKIP_2) | instid1(VALU_DEP_1)
	v_cndmask_b32_e64 v63, 0, v63, s0
	v_cmp_gt_i32_e64 s0, s31, v140
	s_wait_alu 0xf1ff
	v_cndmask_b32_e64 v64, 0, v64, s0
	s_wait_alu 0xfffe
	s_or_b32 exec_lo, exec_lo, s10
	global_load_b128 v[65:68], v[77:78], off offset:7680
	s_and_saveexec_b32 s10, vcc_lo
	s_cbranch_execz .LBB48_55
.LBB48_78:                              ;   in Loop: Header=BB48_38 Depth=1
	v_cmp_gt_i32_e64 s0, s31, v139
	s_wait_loadcnt 0x0
	s_wait_alu 0xf1ff
	s_delay_alu instid0(VALU_DEP_1) | instskip(SKIP_2) | instid1(VALU_DEP_1)
	v_cndmask_b32_e64 v65, 0, v65, s0
	v_cmp_gt_i32_e64 s0, s31, v142
	s_wait_alu 0xf1ff
	v_cndmask_b32_e64 v66, 0, v66, s0
	v_cmp_gt_i32_e64 s0, s31, v141
	s_wait_alu 0xf1ff
	s_delay_alu instid0(VALU_DEP_1) | instskip(SKIP_2) | instid1(VALU_DEP_1)
	v_cndmask_b32_e64 v67, 0, v67, s0
	v_cmp_gt_i32_e64 s0, s31, v140
	s_wait_alu 0xf1ff
	v_cndmask_b32_e64 v68, 0, v68, s0
	s_wait_alu 0xfffe
	s_or_b32 exec_lo, exec_lo, s10
	global_load_b128 v[69:72], v[77:78], off offset:8192
	s_and_saveexec_b32 s10, vcc_lo
	s_cbranch_execz .LBB48_56
.LBB48_79:                              ;   in Loop: Header=BB48_38 Depth=1
	v_cmp_gt_i32_e64 s0, s31, v139
	s_wait_loadcnt 0x0
	s_wait_alu 0xf1ff
	s_delay_alu instid0(VALU_DEP_1) | instskip(SKIP_2) | instid1(VALU_DEP_1)
	v_cndmask_b32_e64 v69, 0, v69, s0
	v_cmp_gt_i32_e64 s0, s31, v142
	s_wait_alu 0xf1ff
	v_cndmask_b32_e64 v70, 0, v70, s0
	v_cmp_gt_i32_e64 s0, s31, v141
	s_wait_alu 0xf1ff
	s_delay_alu instid0(VALU_DEP_1) | instskip(SKIP_2) | instid1(VALU_DEP_1)
	v_cndmask_b32_e64 v71, 0, v71, s0
	v_cmp_gt_i32_e64 s0, s31, v140
	s_wait_alu 0xf1ff
	v_cndmask_b32_e64 v72, 0, v72, s0
	s_wait_alu 0xfffe
	s_or_b32 exec_lo, exec_lo, s10
	global_load_b128 v[73:76], v[77:78], off offset:8704
	s_and_saveexec_b32 s10, vcc_lo
	s_cbranch_execz .LBB48_57
.LBB48_80:                              ;   in Loop: Header=BB48_38 Depth=1
	v_cmp_gt_i32_e64 s0, s31, v139
	s_wait_loadcnt 0x0
	s_wait_alu 0xf1ff
	s_delay_alu instid0(VALU_DEP_1) | instskip(SKIP_2) | instid1(VALU_DEP_1)
	v_cndmask_b32_e64 v73, 0, v73, s0
	v_cmp_gt_i32_e64 s0, s31, v142
	s_wait_alu 0xf1ff
	v_cndmask_b32_e64 v74, 0, v74, s0
	v_cmp_gt_i32_e64 s0, s31, v141
	s_wait_alu 0xf1ff
	s_delay_alu instid0(VALU_DEP_1) | instskip(SKIP_2) | instid1(VALU_DEP_1)
	v_cndmask_b32_e64 v75, 0, v75, s0
	v_cmp_gt_i32_e64 s0, s31, v140
	s_wait_alu 0xf1ff
	v_cndmask_b32_e64 v76, 0, v76, s0
	s_wait_alu 0xfffe
	s_or_b32 exec_lo, exec_lo, s10
	global_load_b128 v[81:84], v[77:78], off offset:9216
	s_and_saveexec_b32 s10, vcc_lo
	s_cbranch_execz .LBB48_58
.LBB48_81:                              ;   in Loop: Header=BB48_38 Depth=1
	v_cmp_gt_i32_e64 s0, s31, v139
	s_wait_loadcnt 0x0
	s_wait_alu 0xf1ff
	s_delay_alu instid0(VALU_DEP_1) | instskip(SKIP_2) | instid1(VALU_DEP_1)
	v_cndmask_b32_e64 v81, 0, v81, s0
	v_cmp_gt_i32_e64 s0, s31, v142
	s_wait_alu 0xf1ff
	v_cndmask_b32_e64 v82, 0, v82, s0
	v_cmp_gt_i32_e64 s0, s31, v141
	s_wait_alu 0xf1ff
	s_delay_alu instid0(VALU_DEP_1) | instskip(SKIP_2) | instid1(VALU_DEP_1)
	v_cndmask_b32_e64 v83, 0, v83, s0
	v_cmp_gt_i32_e64 s0, s31, v140
	s_wait_alu 0xf1ff
	v_cndmask_b32_e64 v84, 0, v84, s0
	s_wait_alu 0xfffe
	s_or_b32 exec_lo, exec_lo, s10
	global_load_b128 v[85:88], v[77:78], off offset:9728
	s_and_saveexec_b32 s10, vcc_lo
	s_cbranch_execz .LBB48_59
.LBB48_82:                              ;   in Loop: Header=BB48_38 Depth=1
	v_cmp_gt_i32_e64 s0, s31, v139
	s_wait_loadcnt 0x0
	s_wait_alu 0xf1ff
	s_delay_alu instid0(VALU_DEP_1) | instskip(SKIP_2) | instid1(VALU_DEP_1)
	v_cndmask_b32_e64 v85, 0, v85, s0
	v_cmp_gt_i32_e64 s0, s31, v142
	s_wait_alu 0xf1ff
	v_cndmask_b32_e64 v86, 0, v86, s0
	v_cmp_gt_i32_e64 s0, s31, v141
	s_wait_alu 0xf1ff
	s_delay_alu instid0(VALU_DEP_1) | instskip(SKIP_2) | instid1(VALU_DEP_1)
	v_cndmask_b32_e64 v87, 0, v87, s0
	v_cmp_gt_i32_e64 s0, s31, v140
	s_wait_alu 0xf1ff
	v_cndmask_b32_e64 v88, 0, v88, s0
	s_wait_alu 0xfffe
	s_or_b32 exec_lo, exec_lo, s10
	global_load_b128 v[89:92], v[77:78], off offset:10240
	s_and_saveexec_b32 s10, vcc_lo
	s_cbranch_execz .LBB48_60
.LBB48_83:                              ;   in Loop: Header=BB48_38 Depth=1
	v_cmp_gt_i32_e64 s0, s31, v139
	s_wait_loadcnt 0x0
	s_wait_alu 0xf1ff
	s_delay_alu instid0(VALU_DEP_1) | instskip(SKIP_2) | instid1(VALU_DEP_1)
	v_cndmask_b32_e64 v89, 0, v89, s0
	v_cmp_gt_i32_e64 s0, s31, v142
	s_wait_alu 0xf1ff
	v_cndmask_b32_e64 v90, 0, v90, s0
	v_cmp_gt_i32_e64 s0, s31, v141
	s_wait_alu 0xf1ff
	s_delay_alu instid0(VALU_DEP_1) | instskip(SKIP_2) | instid1(VALU_DEP_1)
	v_cndmask_b32_e64 v91, 0, v91, s0
	v_cmp_gt_i32_e64 s0, s31, v140
	s_wait_alu 0xf1ff
	v_cndmask_b32_e64 v92, 0, v92, s0
	s_wait_alu 0xfffe
	s_or_b32 exec_lo, exec_lo, s10
	global_load_b128 v[93:96], v[77:78], off offset:10752
	s_and_saveexec_b32 s10, vcc_lo
	s_cbranch_execz .LBB48_61
.LBB48_84:                              ;   in Loop: Header=BB48_38 Depth=1
	v_cmp_gt_i32_e64 s0, s31, v139
	s_wait_loadcnt 0x0
	s_wait_alu 0xf1ff
	s_delay_alu instid0(VALU_DEP_1) | instskip(SKIP_2) | instid1(VALU_DEP_1)
	v_cndmask_b32_e64 v93, 0, v93, s0
	v_cmp_gt_i32_e64 s0, s31, v142
	s_wait_alu 0xf1ff
	v_cndmask_b32_e64 v94, 0, v94, s0
	v_cmp_gt_i32_e64 s0, s31, v141
	s_wait_alu 0xf1ff
	s_delay_alu instid0(VALU_DEP_1) | instskip(SKIP_2) | instid1(VALU_DEP_1)
	v_cndmask_b32_e64 v95, 0, v95, s0
	v_cmp_gt_i32_e64 s0, s31, v140
	s_wait_alu 0xf1ff
	v_cndmask_b32_e64 v96, 0, v96, s0
	s_wait_alu 0xfffe
	s_or_b32 exec_lo, exec_lo, s10
	global_load_b128 v[97:100], v[77:78], off offset:11264
	s_and_saveexec_b32 s10, vcc_lo
	s_cbranch_execz .LBB48_62
.LBB48_85:                              ;   in Loop: Header=BB48_38 Depth=1
	v_cmp_gt_i32_e64 s0, s31, v139
	s_wait_loadcnt 0x0
	s_wait_alu 0xf1ff
	s_delay_alu instid0(VALU_DEP_1) | instskip(SKIP_2) | instid1(VALU_DEP_1)
	v_cndmask_b32_e64 v97, 0, v97, s0
	v_cmp_gt_i32_e64 s0, s31, v142
	s_wait_alu 0xf1ff
	v_cndmask_b32_e64 v98, 0, v98, s0
	v_cmp_gt_i32_e64 s0, s31, v141
	s_wait_alu 0xf1ff
	s_delay_alu instid0(VALU_DEP_1) | instskip(SKIP_2) | instid1(VALU_DEP_1)
	v_cndmask_b32_e64 v99, 0, v99, s0
	v_cmp_gt_i32_e64 s0, s31, v140
	s_wait_alu 0xf1ff
	v_cndmask_b32_e64 v100, 0, v100, s0
	s_wait_alu 0xfffe
	s_or_b32 exec_lo, exec_lo, s10
	global_load_b128 v[77:80], v[77:78], off offset:11776
	s_and_saveexec_b32 s0, vcc_lo
	s_cbranch_execz .LBB48_36
.LBB48_86:                              ;   in Loop: Header=BB48_38 Depth=1
	v_cmp_gt_i32_e32 vcc_lo, s31, v139
	s_wait_loadcnt 0x0
	s_wait_alu 0xfffd
	v_cndmask_b32_e32 v77, 0, v77, vcc_lo
	v_cmp_gt_i32_e32 vcc_lo, s31, v142
	s_wait_alu 0xfffd
	v_cndmask_b32_e32 v78, 0, v78, vcc_lo
	v_cmp_gt_i32_e32 vcc_lo, s31, v141
	;; [unrolled: 3-line block ×3, first 2 shown]
	s_wait_alu 0xfffd
	v_cndmask_b32_e32 v80, 0, v80, vcc_lo
	s_branch .LBB48_36
.LBB48_87:
	s_or_b32 exec_lo, exec_lo, s6
.LBB48_88:
	s_wait_alu 0xfffe
	s_or_b32 exec_lo, exec_lo, s1
	ds_bpermute_b32 v1, v109, v133
	ds_bpermute_b32 v3, v109, v132
	;; [unrolled: 1-line block ×20, first 2 shown]
	s_wait_dscnt 0x13
	v_add_f32_e32 v1, v133, v1
	s_wait_dscnt 0x11
	v_dual_add_f32 v3, v132, v3 :: v_dual_add_f32 v2, v134, v2
	s_wait_dscnt 0xf
	v_dual_add_f32 v4, v131, v4 :: v_dual_add_f32 v7, v128, v7
	s_wait_dscnt 0xe
	v_add_f32_e32 v8, v127, v8
	ds_bpermute_b32 v19, v108, v1
	ds_bpermute_b32 v21, v108, v3
	;; [unrolled: 1-line block ×5, first 2 shown]
	s_wait_dscnt 0x12
	v_add_f32_e32 v11, v124, v11
	s_wait_dscnt 0x10
	v_dual_add_f32 v9, v126, v9 :: v_dual_add_f32 v10, v125, v10
	s_wait_dscnt 0xe
	v_dual_add_f32 v12, v123, v12 :: v_dual_add_f32 v13, v122, v13
	;; [unrolled: 2-line block ×3, first 2 shown]
	ds_bpermute_b32 v28, v108, v9
	ds_bpermute_b32 v32, v109, v114
	;; [unrolled: 1-line block ×5, first 2 shown]
	s_wait_dscnt 0xc
	v_dual_add_f32 v15, v120, v15 :: v_dual_add_f32 v18, v117, v18
	s_wait_dscnt 0xb
	v_add_f32_e32 v23, v116, v23
	s_wait_dscnt 0x9
	v_add_f32_e32 v1, v1, v19
	s_wait_dscnt 0x7
	v_dual_add_f32 v3, v3, v21 :: v_dual_add_f32 v2, v2, v20
	s_wait_dscnt 0x6
	v_add_f32_e32 v4, v4, v22
	s_wait_dscnt 0x5
	v_add_f32_e32 v8, v8, v27
	ds_bpermute_b32 v19, v107, v1
	ds_bpermute_b32 v21, v107, v3
	;; [unrolled: 1-line block ×5, first 2 shown]
	v_add_f32_e32 v31, v115, v31
	ds_bpermute_b32 v26, v108, v7
	s_wait_dscnt 0xa
	v_add_f32_e32 v9, v9, v28
	s_wait_dscnt 0x9
	v_add_f32_e32 v32, v114, v32
	;; [unrolled: 2-line block ×3, first 2 shown]
	ds_bpermute_b32 v29, v108, v10
	s_wait_dscnt 0x7
	v_dual_add_f32 v5, v5, v24 :: v_dual_add_f32 v6, v6, v25
	ds_bpermute_b32 v33, v108, v15
	ds_bpermute_b32 v37, v108, v18
	ds_bpermute_b32 v38, v108, v23
	ds_bpermute_b32 v39, v108, v31
	ds_bpermute_b32 v40, v108, v32
	ds_bpermute_b32 v24, v107, v5
	v_add_f32_e32 v14, v121, v14
	s_wait_dscnt 0xc
	v_dual_add_f32 v1, v1, v19 :: v_dual_add_f32 v16, v119, v16
	s_wait_dscnt 0xb
	v_add_f32_e32 v3, v3, v21
	ds_bpermute_b32 v19, v109, v113
	s_wait_dscnt 0xa
	v_dual_add_f32 v11, v11, v30 :: v_dual_add_f32 v2, v2, v20
	ds_bpermute_b32 v20, v108, v13
	ds_bpermute_b32 v30, v108, v14
	s_wait_dscnt 0xb
	v_add_f32_e32 v4, v4, v22
	ds_bpermute_b32 v21, v109, v112
	ds_bpermute_b32 v22, v109, v111
	;; [unrolled: 1-line block ×3, first 2 shown]
	v_add_f32_e32 v17, v118, v17
	ds_bpermute_b32 v25, v107, v6
	ds_bpermute_b32 v27, v107, v8
	s_wait_dscnt 0xe
	v_dual_add_f32 v7, v7, v26 :: v_dual_add_f32 v10, v10, v29
	s_wait_dscnt 0x9
	v_dual_add_f32 v15, v15, v33 :: v_dual_add_f32 v32, v32, v40
	v_add_f32_e32 v23, v23, v38
	ds_bpermute_b32 v26, v107, v7
	ds_bpermute_b32 v28, v107, v9
	;; [unrolled: 1-line block ×3, first 2 shown]
	s_wait_dscnt 0xa
	v_add_f32_e32 v19, v113, v19
	ds_bpermute_b32 v34, v107, v11
	ds_bpermute_b32 v33, v107, v12
	s_wait_dscnt 0xa
	v_dual_add_f32 v13, v13, v20 :: v_dual_add_f32 v14, v14, v30
	ds_bpermute_b32 v20, v108, v19
	s_wait_dscnt 0x9
	v_dual_add_f32 v21, v112, v21 :: v_dual_add_f32 v22, v111, v22
	ds_bpermute_b32 v36, v108, v17
	s_wait_dscnt 0x9
	v_add_f32_e32 v16, v16, v35
	ds_bpermute_b32 v35, v107, v13
	ds_bpermute_b32 v42, v107, v14
	ds_bpermute_b32 v41, v108, v22
	ds_bpermute_b32 v43, v107, v15
	ds_bpermute_b32 v45, v107, v32
	v_dual_add_f32 v5, v5, v24 :: v_dual_add_f32 v18, v18, v37
	s_wait_dscnt 0xd
	v_add_f32_e32 v6, v6, v25
	v_lshrrev_b32_e32 v25, 3, v104
	s_wait_dscnt 0xb
	v_add_f32_e32 v7, v7, v26
	s_wait_dscnt 0xa
	v_add_f32_e32 v9, v9, v28
	ds_bpermute_b32 v38, v107, v18
	v_add_f32_e32 v8, v8, v27
	s_wait_dscnt 0xa
	v_add_f32_e32 v10, v10, v29
	s_wait_dscnt 0x8
	;; [unrolled: 2-line block ×3, first 2 shown]
	v_add_f32_e32 v44, v19, v20
	ds_bpermute_b32 v30, v108, v21
	v_add_f32_e32 v31, v31, v39
	s_wait_dscnt 0x7
	v_add_f32_e32 v17, v17, v36
	ds_bpermute_b32 v36, v107, v16
	ds_bpermute_b32 v39, v107, v23
	v_add_f32_e32 v11, v11, v34
	s_wait_dscnt 0x6
	v_add_f32_e32 v41, v22, v41
	ds_bpermute_b32 v37, v107, v17
	ds_bpermute_b32 v22, v107, v44
	v_dual_add_f32 v13, v13, v35 :: v_dual_add_f32 v14, v14, v42
	ds_bpermute_b32 v46, v107, v41
	s_wait_dscnt 0x8
	v_add_f32_e32 v15, v15, v43
	v_lshl_add_u32 v26, v25, 2, 0x1a0
	v_mul_u32_u24_e32 v27, 0x180, v103
	s_wait_dscnt 0x6
	v_add_f32_e32 v18, v18, v38
	v_and_b32_e32 v28, 0x3c7, v0
	s_mov_b32 s0, exec_lo
	s_wait_storecnt 0x0
	s_wait_loadcnt_dscnt 0x0
	s_barrier_signal -1
	v_add_f32_e32 v30, v21, v30
	ds_bpermute_b32 v40, v107, v31
	v_add_f32_e32 v21, v32, v45
	v_dual_add_f32 v16, v16, v36 :: v_dual_add_f32 v19, v23, v39
	ds_bpermute_b32 v24, v107, v30
	s_barrier_wait -1
	v_dual_add_f32 v17, v17, v37 :: v_dual_add_f32 v22, v44, v22
	s_wait_dscnt 0x0
	global_inv scope:SCOPE_SE
	v_add_f32_e32 v20, v31, v40
	v_dual_add_f32 v23, v30, v24 :: v_dual_add_f32 v24, v41, v46
	v_cmpx_eq_u32_e32 64, v28
	s_cbranch_execz .LBB48_90
; %bb.89:
	v_add_nc_u32_e32 v28, v26, v27
	s_delay_alu instid0(VALU_DEP_1)
	v_add_nc_u32_e32 v29, 0xfffffd00, v28
	v_add_nc_u32_e32 v30, 0xfffffd10, v28
	v_add_nc_u32_e32 v31, 0xfffffd20, v28
	v_add_nc_u32_e32 v32, 0xfffffd30, v28
	v_add_nc_u32_e32 v33, 0xfffffd40, v28
	v_add_nc_u32_e32 v34, 0xfffffd50, v28
	v_add_nc_u32_e32 v35, 0xfffffd60, v28
	v_add_nc_u32_e32 v36, 0xfffffd70, v28
	ds_store_b32 v29, v1
	ds_store_b32 v30, v2
	ds_store_b32 v31, v3
	ds_store_b32 v32, v4
	ds_store_b32 v33, v5
	ds_store_b32 v34, v6
	ds_store_b32 v35, v7
	ds_store_b32 v36, v8
	v_add_nc_u32_e32 v29, 0xfffffd80, v28
	v_add_nc_u32_e32 v30, 0xfffffd90, v28
	v_add_nc_u32_e32 v31, 0xfffffda0, v28
	v_add_nc_u32_e32 v32, 0xfffffdb0, v28
	v_add_nc_u32_e32 v33, 0xfffffdc0, v28
	v_add_nc_u32_e32 v34, 0xfffffdd0, v28
	v_add_nc_u32_e32 v35, 0xfffffde0, v28
	v_add_nc_u32_e32 v36, 0xfffffdf0, v28
	ds_store_b32 v29, v9
	ds_store_b32 v30, v10
	ds_store_b32 v31, v11
	ds_store_b32 v32, v12
	ds_store_b32 v33, v13
	ds_store_b32 v34, v14
	ds_store_b32 v35, v15
	ds_store_b32 v36, v16
	;; [unrolled: 16-line block ×3, first 2 shown]
.LBB48_90:
	s_wait_alu 0xfffe
	s_or_b32 exec_lo, exec_lo, s0
	v_lshlrev_b32_e32 v25, 2, v25
	s_mov_b32 s1, exec_lo
	v_cmp_eq_u32_e32 vcc_lo, 0, v110
	s_wait_loadcnt_dscnt 0x0
	s_barrier_signal -1
	v_add3_u32 v25, 0x1a0, v27, v25
	s_barrier_wait -1
	global_inv scope:SCOPE_SE
	v_cmpx_gt_u32_e32 64, v0
	s_cbranch_execz .LBB48_117
; %bb.91:
	s_and_saveexec_b32 s0, vcc_lo
	s_cbranch_execnz .LBB48_149
; %bb.92:
	s_wait_alu 0xfffe
	s_or_b32 exec_lo, exec_lo, s0
	s_and_saveexec_b32 s0, vcc_lo
	s_cbranch_execnz .LBB48_150
.LBB48_93:
	s_wait_alu 0xfffe
	s_or_b32 exec_lo, exec_lo, s0
	s_and_saveexec_b32 s0, vcc_lo
	s_cbranch_execnz .LBB48_151
.LBB48_94:
	s_wait_alu 0xfffe
	s_or_b32 exec_lo, exec_lo, s0
	s_and_saveexec_b32 s0, vcc_lo
	s_cbranch_execnz .LBB48_152
.LBB48_95:
	s_wait_alu 0xfffe
	s_or_b32 exec_lo, exec_lo, s0
	s_and_saveexec_b32 s0, vcc_lo
	s_cbranch_execnz .LBB48_153
.LBB48_96:
	s_wait_alu 0xfffe
	s_or_b32 exec_lo, exec_lo, s0
	s_and_saveexec_b32 s0, vcc_lo
	s_cbranch_execnz .LBB48_154
.LBB48_97:
	s_wait_alu 0xfffe
	s_or_b32 exec_lo, exec_lo, s0
	s_and_saveexec_b32 s0, vcc_lo
	s_cbranch_execnz .LBB48_155
.LBB48_98:
	s_wait_alu 0xfffe
	s_or_b32 exec_lo, exec_lo, s0
	s_and_saveexec_b32 s0, vcc_lo
	s_cbranch_execnz .LBB48_156
.LBB48_99:
	s_wait_alu 0xfffe
	s_or_b32 exec_lo, exec_lo, s0
	s_and_saveexec_b32 s0, vcc_lo
	s_cbranch_execnz .LBB48_157
.LBB48_100:
	s_wait_alu 0xfffe
	s_or_b32 exec_lo, exec_lo, s0
	s_and_saveexec_b32 s0, vcc_lo
	s_cbranch_execnz .LBB48_158
.LBB48_101:
	s_wait_alu 0xfffe
	s_or_b32 exec_lo, exec_lo, s0
	s_and_saveexec_b32 s0, vcc_lo
	s_cbranch_execnz .LBB48_159
.LBB48_102:
	s_wait_alu 0xfffe
	s_or_b32 exec_lo, exec_lo, s0
	s_and_saveexec_b32 s0, vcc_lo
	s_cbranch_execnz .LBB48_160
.LBB48_103:
	s_wait_alu 0xfffe
	s_or_b32 exec_lo, exec_lo, s0
	s_and_saveexec_b32 s0, vcc_lo
	s_cbranch_execnz .LBB48_161
.LBB48_104:
	s_wait_alu 0xfffe
	s_or_b32 exec_lo, exec_lo, s0
	s_and_saveexec_b32 s0, vcc_lo
	s_cbranch_execnz .LBB48_162
.LBB48_105:
	s_wait_alu 0xfffe
	s_or_b32 exec_lo, exec_lo, s0
	s_and_saveexec_b32 s0, vcc_lo
	s_cbranch_execnz .LBB48_163
.LBB48_106:
	s_wait_alu 0xfffe
	s_or_b32 exec_lo, exec_lo, s0
	s_and_saveexec_b32 s0, vcc_lo
	s_cbranch_execnz .LBB48_164
.LBB48_107:
	s_wait_alu 0xfffe
	s_or_b32 exec_lo, exec_lo, s0
	s_and_saveexec_b32 s0, vcc_lo
	s_cbranch_execnz .LBB48_165
.LBB48_108:
	s_wait_alu 0xfffe
	s_or_b32 exec_lo, exec_lo, s0
	s_and_saveexec_b32 s0, vcc_lo
	s_cbranch_execnz .LBB48_166
.LBB48_109:
	s_wait_alu 0xfffe
	s_or_b32 exec_lo, exec_lo, s0
	s_and_saveexec_b32 s0, vcc_lo
	s_cbranch_execnz .LBB48_167
.LBB48_110:
	s_wait_alu 0xfffe
	s_or_b32 exec_lo, exec_lo, s0
	s_and_saveexec_b32 s0, vcc_lo
	s_cbranch_execnz .LBB48_168
.LBB48_111:
	s_wait_alu 0xfffe
	s_or_b32 exec_lo, exec_lo, s0
	s_and_saveexec_b32 s0, vcc_lo
	s_cbranch_execnz .LBB48_169
.LBB48_112:
	s_wait_alu 0xfffe
	s_or_b32 exec_lo, exec_lo, s0
	s_and_saveexec_b32 s0, vcc_lo
	s_cbranch_execnz .LBB48_170
.LBB48_113:
	s_wait_alu 0xfffe
	s_or_b32 exec_lo, exec_lo, s0
	s_and_saveexec_b32 s0, vcc_lo
	s_cbranch_execnz .LBB48_171
.LBB48_114:
	s_wait_alu 0xfffe
	s_or_b32 exec_lo, exec_lo, s0
	s_and_saveexec_b32 s0, vcc_lo
	s_cbranch_execz .LBB48_116
.LBB48_115:
	ds_load_b32 v27, v25 offset:368
	s_wait_dscnt 0x0
	v_add_f32_e32 v24, v24, v27
.LBB48_116:
	s_wait_alu 0xfffe
	s_or_b32 exec_lo, exec_lo, s0
.LBB48_117:
	s_wait_alu 0xfffe
	s_or_b32 exec_lo, exec_lo, s1
	v_and_b32_e32 v27, 0x3e7, v0
	s_mov_b32 s1, exec_lo
	s_wait_loadcnt 0x0
	s_barrier_signal -1
	s_barrier_wait -1
	global_inv scope:SCOPE_SE
	v_cmpx_eq_u32_e32 32, v27
	s_cbranch_execz .LBB48_119
; %bb.118:
	ds_store_2addr_b32 v26, v1, v2 offset1:4
	ds_store_2addr_b32 v26, v3, v4 offset0:8 offset1:12
	ds_store_2addr_b32 v26, v5, v6 offset0:16 offset1:20
	;; [unrolled: 1-line block ×11, first 2 shown]
.LBB48_119:
	s_wait_alu 0xfffe
	s_or_b32 exec_lo, exec_lo, s1
	s_delay_alu instid0(SALU_CYCLE_1)
	s_mov_b32 s1, exec_lo
	s_wait_loadcnt_dscnt 0x0
	s_barrier_signal -1
	s_barrier_wait -1
	global_inv scope:SCOPE_SE
	v_cmpx_gt_u32_e32 32, v0
	s_cbranch_execz .LBB48_146
; %bb.120:
	s_and_saveexec_b32 s0, vcc_lo
	s_cbranch_execnz .LBB48_172
; %bb.121:
	s_wait_alu 0xfffe
	s_or_b32 exec_lo, exec_lo, s0
	s_and_saveexec_b32 s0, vcc_lo
	s_cbranch_execnz .LBB48_173
.LBB48_122:
	s_wait_alu 0xfffe
	s_or_b32 exec_lo, exec_lo, s0
	s_and_saveexec_b32 s0, vcc_lo
	s_cbranch_execnz .LBB48_174
.LBB48_123:
	s_wait_alu 0xfffe
	s_or_b32 exec_lo, exec_lo, s0
	s_and_saveexec_b32 s0, vcc_lo
	s_cbranch_execnz .LBB48_175
.LBB48_124:
	s_wait_alu 0xfffe
	s_or_b32 exec_lo, exec_lo, s0
	s_and_saveexec_b32 s0, vcc_lo
	s_cbranch_execnz .LBB48_176
.LBB48_125:
	s_wait_alu 0xfffe
	s_or_b32 exec_lo, exec_lo, s0
	s_and_saveexec_b32 s0, vcc_lo
	s_cbranch_execnz .LBB48_177
.LBB48_126:
	s_wait_alu 0xfffe
	s_or_b32 exec_lo, exec_lo, s0
	s_and_saveexec_b32 s0, vcc_lo
	s_cbranch_execnz .LBB48_178
.LBB48_127:
	s_wait_alu 0xfffe
	s_or_b32 exec_lo, exec_lo, s0
	s_and_saveexec_b32 s0, vcc_lo
	s_cbranch_execnz .LBB48_179
.LBB48_128:
	s_wait_alu 0xfffe
	s_or_b32 exec_lo, exec_lo, s0
	s_and_saveexec_b32 s0, vcc_lo
	s_cbranch_execnz .LBB48_180
.LBB48_129:
	s_wait_alu 0xfffe
	s_or_b32 exec_lo, exec_lo, s0
	s_and_saveexec_b32 s0, vcc_lo
	s_cbranch_execnz .LBB48_181
.LBB48_130:
	s_wait_alu 0xfffe
	s_or_b32 exec_lo, exec_lo, s0
	s_and_saveexec_b32 s0, vcc_lo
	s_cbranch_execnz .LBB48_182
.LBB48_131:
	s_wait_alu 0xfffe
	s_or_b32 exec_lo, exec_lo, s0
	s_and_saveexec_b32 s0, vcc_lo
	s_cbranch_execnz .LBB48_183
.LBB48_132:
	s_wait_alu 0xfffe
	s_or_b32 exec_lo, exec_lo, s0
	s_and_saveexec_b32 s0, vcc_lo
	s_cbranch_execnz .LBB48_184
.LBB48_133:
	s_wait_alu 0xfffe
	s_or_b32 exec_lo, exec_lo, s0
	s_and_saveexec_b32 s0, vcc_lo
	s_cbranch_execnz .LBB48_185
.LBB48_134:
	s_wait_alu 0xfffe
	s_or_b32 exec_lo, exec_lo, s0
	s_and_saveexec_b32 s0, vcc_lo
	s_cbranch_execnz .LBB48_186
.LBB48_135:
	s_wait_alu 0xfffe
	s_or_b32 exec_lo, exec_lo, s0
	s_and_saveexec_b32 s0, vcc_lo
	s_cbranch_execnz .LBB48_187
.LBB48_136:
	s_wait_alu 0xfffe
	s_or_b32 exec_lo, exec_lo, s0
	s_and_saveexec_b32 s0, vcc_lo
	s_cbranch_execnz .LBB48_188
.LBB48_137:
	s_wait_alu 0xfffe
	s_or_b32 exec_lo, exec_lo, s0
	s_and_saveexec_b32 s0, vcc_lo
	s_cbranch_execnz .LBB48_189
.LBB48_138:
	s_wait_alu 0xfffe
	s_or_b32 exec_lo, exec_lo, s0
	s_and_saveexec_b32 s0, vcc_lo
	s_cbranch_execnz .LBB48_190
.LBB48_139:
	s_wait_alu 0xfffe
	s_or_b32 exec_lo, exec_lo, s0
	s_and_saveexec_b32 s0, vcc_lo
	s_cbranch_execnz .LBB48_191
.LBB48_140:
	s_wait_alu 0xfffe
	s_or_b32 exec_lo, exec_lo, s0
	s_and_saveexec_b32 s0, vcc_lo
	s_cbranch_execnz .LBB48_192
.LBB48_141:
	s_wait_alu 0xfffe
	s_or_b32 exec_lo, exec_lo, s0
	s_and_saveexec_b32 s0, vcc_lo
	s_cbranch_execnz .LBB48_193
.LBB48_142:
	s_wait_alu 0xfffe
	s_or_b32 exec_lo, exec_lo, s0
	s_and_saveexec_b32 s0, vcc_lo
	s_cbranch_execnz .LBB48_194
.LBB48_143:
	s_wait_alu 0xfffe
	s_or_b32 exec_lo, exec_lo, s0
	s_and_saveexec_b32 s0, vcc_lo
	s_cbranch_execz .LBB48_145
.LBB48_144:
	ds_load_b32 v25, v25 offset:368
	s_wait_dscnt 0x0
	v_add_f32_e32 v24, v24, v25
.LBB48_145:
	s_wait_alu 0xfffe
	s_or_b32 exec_lo, exec_lo, s0
.LBB48_146:
	s_wait_alu 0xfffe
	s_or_b32 exec_lo, exec_lo, s1
	s_mov_b32 s1, 0
	s_wait_loadcnt 0x0
	s_barrier_signal -1
	s_barrier_wait -1
	global_inv scope:SCOPE_SE
	s_mov_b32 s0, exec_lo
	v_cmpx_eq_u32_e32 0, v27
	s_cbranch_execz .LBB48_148
; %bb.147:
	s_mul_i32 s2, s18, 0x60
	s_mul_i32 s4, s7, s16
	s_wait_alu 0xfffe
	s_ashr_i32 s3, s2, 31
	s_ashr_i32 s5, s4, 31
	s_wait_alu 0xfffe
	s_lshl_b64 s[2:3], s[2:3], 2
	s_lshl_b64 s[4:5], s[4:5], 2
	s_wait_kmcnt 0x0
	s_wait_alu 0xfffe
	s_add_nc_u64 s[2:3], s[14:15], s[2:3]
	v_lshrrev_b32_e32 v0, 1, v0
	s_mul_i32 s0, s30, 0x180
	s_wait_alu 0xfffe
	s_add_nc_u64 s[2:3], s[2:3], s[4:5]
	s_wait_alu 0xfffe
	s_add_nc_u64 s[0:1], s[2:3], s[0:1]
	s_clause 0x17
	global_store_b32 v0, v1, s[0:1]
	global_store_b32 v0, v2, s[0:1] offset:16
	global_store_b32 v0, v3, s[0:1] offset:32
	;; [unrolled: 1-line block ×23, first 2 shown]
.LBB48_148:
	s_nop 0
	s_sendmsg sendmsg(MSG_DEALLOC_VGPRS)
	s_endpgm
.LBB48_149:
	ds_load_b32 v27, v25
	s_wait_dscnt 0x0
	v_add_f32_e32 v1, v1, v27
	s_wait_alu 0xfffe
	s_or_b32 exec_lo, exec_lo, s0
	s_and_saveexec_b32 s0, vcc_lo
	s_cbranch_execz .LBB48_93
.LBB48_150:
	ds_load_b32 v27, v25 offset:16
	s_wait_dscnt 0x0
	v_add_f32_e32 v2, v2, v27
	s_wait_alu 0xfffe
	s_or_b32 exec_lo, exec_lo, s0
	s_and_saveexec_b32 s0, vcc_lo
	s_cbranch_execz .LBB48_94
.LBB48_151:
	ds_load_b32 v27, v25 offset:32
	s_wait_dscnt 0x0
	v_add_f32_e32 v3, v3, v27
	s_wait_alu 0xfffe
	s_or_b32 exec_lo, exec_lo, s0
	s_and_saveexec_b32 s0, vcc_lo
	s_cbranch_execz .LBB48_95
.LBB48_152:
	ds_load_b32 v27, v25 offset:48
	s_wait_dscnt 0x0
	v_add_f32_e32 v4, v4, v27
	s_wait_alu 0xfffe
	s_or_b32 exec_lo, exec_lo, s0
	s_and_saveexec_b32 s0, vcc_lo
	s_cbranch_execz .LBB48_96
.LBB48_153:
	ds_load_b32 v27, v25 offset:64
	s_wait_dscnt 0x0
	v_add_f32_e32 v5, v5, v27
	s_wait_alu 0xfffe
	s_or_b32 exec_lo, exec_lo, s0
	s_and_saveexec_b32 s0, vcc_lo
	s_cbranch_execz .LBB48_97
.LBB48_154:
	ds_load_b32 v27, v25 offset:80
	s_wait_dscnt 0x0
	v_add_f32_e32 v6, v6, v27
	s_wait_alu 0xfffe
	s_or_b32 exec_lo, exec_lo, s0
	s_and_saveexec_b32 s0, vcc_lo
	s_cbranch_execz .LBB48_98
.LBB48_155:
	ds_load_b32 v27, v25 offset:96
	s_wait_dscnt 0x0
	v_add_f32_e32 v7, v7, v27
	s_wait_alu 0xfffe
	s_or_b32 exec_lo, exec_lo, s0
	s_and_saveexec_b32 s0, vcc_lo
	s_cbranch_execz .LBB48_99
.LBB48_156:
	ds_load_b32 v27, v25 offset:112
	s_wait_dscnt 0x0
	v_add_f32_e32 v8, v8, v27
	s_wait_alu 0xfffe
	s_or_b32 exec_lo, exec_lo, s0
	s_and_saveexec_b32 s0, vcc_lo
	s_cbranch_execz .LBB48_100
.LBB48_157:
	ds_load_b32 v27, v25 offset:128
	s_wait_dscnt 0x0
	v_add_f32_e32 v9, v9, v27
	s_wait_alu 0xfffe
	s_or_b32 exec_lo, exec_lo, s0
	s_and_saveexec_b32 s0, vcc_lo
	s_cbranch_execz .LBB48_101
.LBB48_158:
	ds_load_b32 v27, v25 offset:144
	s_wait_dscnt 0x0
	v_add_f32_e32 v10, v10, v27
	s_wait_alu 0xfffe
	s_or_b32 exec_lo, exec_lo, s0
	s_and_saveexec_b32 s0, vcc_lo
	s_cbranch_execz .LBB48_102
.LBB48_159:
	ds_load_b32 v27, v25 offset:160
	s_wait_dscnt 0x0
	v_add_f32_e32 v11, v11, v27
	s_wait_alu 0xfffe
	s_or_b32 exec_lo, exec_lo, s0
	s_and_saveexec_b32 s0, vcc_lo
	s_cbranch_execz .LBB48_103
.LBB48_160:
	ds_load_b32 v27, v25 offset:176
	s_wait_dscnt 0x0
	v_add_f32_e32 v12, v12, v27
	s_wait_alu 0xfffe
	s_or_b32 exec_lo, exec_lo, s0
	s_and_saveexec_b32 s0, vcc_lo
	s_cbranch_execz .LBB48_104
.LBB48_161:
	ds_load_b32 v27, v25 offset:192
	s_wait_dscnt 0x0
	v_add_f32_e32 v13, v13, v27
	s_wait_alu 0xfffe
	s_or_b32 exec_lo, exec_lo, s0
	s_and_saveexec_b32 s0, vcc_lo
	s_cbranch_execz .LBB48_105
.LBB48_162:
	ds_load_b32 v27, v25 offset:208
	s_wait_dscnt 0x0
	v_add_f32_e32 v14, v14, v27
	s_wait_alu 0xfffe
	s_or_b32 exec_lo, exec_lo, s0
	s_and_saveexec_b32 s0, vcc_lo
	s_cbranch_execz .LBB48_106
.LBB48_163:
	ds_load_b32 v27, v25 offset:224
	s_wait_dscnt 0x0
	v_add_f32_e32 v15, v15, v27
	s_wait_alu 0xfffe
	s_or_b32 exec_lo, exec_lo, s0
	s_and_saveexec_b32 s0, vcc_lo
	s_cbranch_execz .LBB48_107
.LBB48_164:
	ds_load_b32 v27, v25 offset:240
	s_wait_dscnt 0x0
	v_add_f32_e32 v16, v16, v27
	s_wait_alu 0xfffe
	s_or_b32 exec_lo, exec_lo, s0
	s_and_saveexec_b32 s0, vcc_lo
	s_cbranch_execz .LBB48_108
.LBB48_165:
	ds_load_b32 v27, v25 offset:256
	s_wait_dscnt 0x0
	v_add_f32_e32 v17, v17, v27
	s_wait_alu 0xfffe
	s_or_b32 exec_lo, exec_lo, s0
	s_and_saveexec_b32 s0, vcc_lo
	s_cbranch_execz .LBB48_109
.LBB48_166:
	ds_load_b32 v27, v25 offset:272
	s_wait_dscnt 0x0
	v_add_f32_e32 v18, v18, v27
	s_wait_alu 0xfffe
	s_or_b32 exec_lo, exec_lo, s0
	s_and_saveexec_b32 s0, vcc_lo
	s_cbranch_execz .LBB48_110
.LBB48_167:
	ds_load_b32 v27, v25 offset:288
	s_wait_dscnt 0x0
	v_add_f32_e32 v19, v19, v27
	s_wait_alu 0xfffe
	s_or_b32 exec_lo, exec_lo, s0
	s_and_saveexec_b32 s0, vcc_lo
	s_cbranch_execz .LBB48_111
.LBB48_168:
	ds_load_b32 v27, v25 offset:304
	s_wait_dscnt 0x0
	v_add_f32_e32 v20, v20, v27
	s_wait_alu 0xfffe
	s_or_b32 exec_lo, exec_lo, s0
	s_and_saveexec_b32 s0, vcc_lo
	s_cbranch_execz .LBB48_112
.LBB48_169:
	ds_load_b32 v27, v25 offset:320
	s_wait_dscnt 0x0
	v_add_f32_e32 v21, v21, v27
	s_wait_alu 0xfffe
	s_or_b32 exec_lo, exec_lo, s0
	s_and_saveexec_b32 s0, vcc_lo
	s_cbranch_execz .LBB48_113
.LBB48_170:
	ds_load_b32 v27, v25 offset:336
	s_wait_dscnt 0x0
	v_add_f32_e32 v22, v22, v27
	s_wait_alu 0xfffe
	s_or_b32 exec_lo, exec_lo, s0
	s_and_saveexec_b32 s0, vcc_lo
	s_cbranch_execz .LBB48_114
.LBB48_171:
	ds_load_b32 v27, v25 offset:352
	s_wait_dscnt 0x0
	v_add_f32_e32 v23, v23, v27
	s_wait_alu 0xfffe
	s_or_b32 exec_lo, exec_lo, s0
	s_and_saveexec_b32 s0, vcc_lo
	s_cbranch_execnz .LBB48_115
	s_branch .LBB48_116
.LBB48_172:
	ds_load_b32 v26, v25
	s_wait_dscnt 0x0
	v_add_f32_e32 v1, v1, v26
	s_wait_alu 0xfffe
	s_or_b32 exec_lo, exec_lo, s0
	s_and_saveexec_b32 s0, vcc_lo
	s_cbranch_execz .LBB48_122
.LBB48_173:
	ds_load_b32 v26, v25 offset:16
	s_wait_dscnt 0x0
	v_add_f32_e32 v2, v2, v26
	s_wait_alu 0xfffe
	s_or_b32 exec_lo, exec_lo, s0
	s_and_saveexec_b32 s0, vcc_lo
	s_cbranch_execz .LBB48_123
.LBB48_174:
	ds_load_b32 v26, v25 offset:32
	s_wait_dscnt 0x0
	v_add_f32_e32 v3, v3, v26
	s_wait_alu 0xfffe
	s_or_b32 exec_lo, exec_lo, s0
	s_and_saveexec_b32 s0, vcc_lo
	s_cbranch_execz .LBB48_124
.LBB48_175:
	ds_load_b32 v26, v25 offset:48
	s_wait_dscnt 0x0
	v_add_f32_e32 v4, v4, v26
	s_wait_alu 0xfffe
	s_or_b32 exec_lo, exec_lo, s0
	s_and_saveexec_b32 s0, vcc_lo
	s_cbranch_execz .LBB48_125
.LBB48_176:
	ds_load_b32 v26, v25 offset:64
	s_wait_dscnt 0x0
	v_add_f32_e32 v5, v5, v26
	s_wait_alu 0xfffe
	s_or_b32 exec_lo, exec_lo, s0
	s_and_saveexec_b32 s0, vcc_lo
	s_cbranch_execz .LBB48_126
.LBB48_177:
	ds_load_b32 v26, v25 offset:80
	s_wait_dscnt 0x0
	v_add_f32_e32 v6, v6, v26
	s_wait_alu 0xfffe
	s_or_b32 exec_lo, exec_lo, s0
	s_and_saveexec_b32 s0, vcc_lo
	s_cbranch_execz .LBB48_127
.LBB48_178:
	ds_load_b32 v26, v25 offset:96
	s_wait_dscnt 0x0
	v_add_f32_e32 v7, v7, v26
	s_wait_alu 0xfffe
	s_or_b32 exec_lo, exec_lo, s0
	s_and_saveexec_b32 s0, vcc_lo
	s_cbranch_execz .LBB48_128
.LBB48_179:
	ds_load_b32 v26, v25 offset:112
	s_wait_dscnt 0x0
	v_add_f32_e32 v8, v8, v26
	s_wait_alu 0xfffe
	s_or_b32 exec_lo, exec_lo, s0
	s_and_saveexec_b32 s0, vcc_lo
	s_cbranch_execz .LBB48_129
.LBB48_180:
	ds_load_b32 v26, v25 offset:128
	s_wait_dscnt 0x0
	v_add_f32_e32 v9, v9, v26
	s_wait_alu 0xfffe
	s_or_b32 exec_lo, exec_lo, s0
	s_and_saveexec_b32 s0, vcc_lo
	s_cbranch_execz .LBB48_130
.LBB48_181:
	ds_load_b32 v26, v25 offset:144
	s_wait_dscnt 0x0
	v_add_f32_e32 v10, v10, v26
	s_wait_alu 0xfffe
	s_or_b32 exec_lo, exec_lo, s0
	s_and_saveexec_b32 s0, vcc_lo
	s_cbranch_execz .LBB48_131
.LBB48_182:
	ds_load_b32 v26, v25 offset:160
	s_wait_dscnt 0x0
	v_add_f32_e32 v11, v11, v26
	s_wait_alu 0xfffe
	s_or_b32 exec_lo, exec_lo, s0
	s_and_saveexec_b32 s0, vcc_lo
	s_cbranch_execz .LBB48_132
.LBB48_183:
	ds_load_b32 v26, v25 offset:176
	s_wait_dscnt 0x0
	v_add_f32_e32 v12, v12, v26
	s_wait_alu 0xfffe
	s_or_b32 exec_lo, exec_lo, s0
	s_and_saveexec_b32 s0, vcc_lo
	s_cbranch_execz .LBB48_133
.LBB48_184:
	ds_load_b32 v26, v25 offset:192
	s_wait_dscnt 0x0
	v_add_f32_e32 v13, v13, v26
	s_wait_alu 0xfffe
	s_or_b32 exec_lo, exec_lo, s0
	s_and_saveexec_b32 s0, vcc_lo
	s_cbranch_execz .LBB48_134
.LBB48_185:
	ds_load_b32 v26, v25 offset:208
	s_wait_dscnt 0x0
	v_add_f32_e32 v14, v14, v26
	s_wait_alu 0xfffe
	s_or_b32 exec_lo, exec_lo, s0
	s_and_saveexec_b32 s0, vcc_lo
	s_cbranch_execz .LBB48_135
.LBB48_186:
	ds_load_b32 v26, v25 offset:224
	s_wait_dscnt 0x0
	v_add_f32_e32 v15, v15, v26
	s_wait_alu 0xfffe
	s_or_b32 exec_lo, exec_lo, s0
	s_and_saveexec_b32 s0, vcc_lo
	s_cbranch_execz .LBB48_136
.LBB48_187:
	ds_load_b32 v26, v25 offset:240
	s_wait_dscnt 0x0
	v_add_f32_e32 v16, v16, v26
	s_wait_alu 0xfffe
	s_or_b32 exec_lo, exec_lo, s0
	s_and_saveexec_b32 s0, vcc_lo
	s_cbranch_execz .LBB48_137
.LBB48_188:
	ds_load_b32 v26, v25 offset:256
	s_wait_dscnt 0x0
	v_add_f32_e32 v17, v17, v26
	s_wait_alu 0xfffe
	s_or_b32 exec_lo, exec_lo, s0
	s_and_saveexec_b32 s0, vcc_lo
	s_cbranch_execz .LBB48_138
.LBB48_189:
	ds_load_b32 v26, v25 offset:272
	s_wait_dscnt 0x0
	v_add_f32_e32 v18, v18, v26
	s_wait_alu 0xfffe
	s_or_b32 exec_lo, exec_lo, s0
	s_and_saveexec_b32 s0, vcc_lo
	s_cbranch_execz .LBB48_139
.LBB48_190:
	ds_load_b32 v26, v25 offset:288
	s_wait_dscnt 0x0
	v_add_f32_e32 v19, v19, v26
	s_wait_alu 0xfffe
	s_or_b32 exec_lo, exec_lo, s0
	s_and_saveexec_b32 s0, vcc_lo
	s_cbranch_execz .LBB48_140
.LBB48_191:
	ds_load_b32 v26, v25 offset:304
	s_wait_dscnt 0x0
	v_add_f32_e32 v20, v20, v26
	s_wait_alu 0xfffe
	s_or_b32 exec_lo, exec_lo, s0
	s_and_saveexec_b32 s0, vcc_lo
	s_cbranch_execz .LBB48_141
.LBB48_192:
	ds_load_b32 v26, v25 offset:320
	s_wait_dscnt 0x0
	v_add_f32_e32 v21, v21, v26
	s_wait_alu 0xfffe
	s_or_b32 exec_lo, exec_lo, s0
	s_and_saveexec_b32 s0, vcc_lo
	s_cbranch_execz .LBB48_142
.LBB48_193:
	ds_load_b32 v26, v25 offset:336
	s_wait_dscnt 0x0
	v_add_f32_e32 v22, v22, v26
	s_wait_alu 0xfffe
	s_or_b32 exec_lo, exec_lo, s0
	s_and_saveexec_b32 s0, vcc_lo
	s_cbranch_execz .LBB48_143
.LBB48_194:
	ds_load_b32 v26, v25 offset:352
	s_wait_dscnt 0x0
	v_add_f32_e32 v23, v23, v26
	s_wait_alu 0xfffe
	s_or_b32 exec_lo, exec_lo, s0
	s_and_saveexec_b32 s0, vcc_lo
	s_cbranch_execnz .LBB48_144
	s_branch .LBB48_145
	.section	.rodata,"a",@progbits
	.p2align	6, 0x0
	.amdhsa_kernel _ZN4vllm25paged_attention_v2_kernelIffLi96ELi32ELi128ELNS_18Fp8KVCacheDataTypeE0ELb1ELi512EEEvPfS2_PT_PKS3_PKT0_S9_ifPKiSB_iPKfiiiSD_SD_iiiii
		.amdhsa_group_segment_fixed_size 416
		.amdhsa_private_segment_fixed_size 0
		.amdhsa_kernarg_size 400
		.amdhsa_user_sgpr_count 2
		.amdhsa_user_sgpr_dispatch_ptr 0
		.amdhsa_user_sgpr_queue_ptr 0
		.amdhsa_user_sgpr_kernarg_segment_ptr 1
		.amdhsa_user_sgpr_dispatch_id 0
		.amdhsa_user_sgpr_private_segment_size 0
		.amdhsa_wavefront_size32 1
		.amdhsa_uses_dynamic_stack 0
		.amdhsa_enable_private_segment 0
		.amdhsa_system_sgpr_workgroup_id_x 1
		.amdhsa_system_sgpr_workgroup_id_y 1
		.amdhsa_system_sgpr_workgroup_id_z 1
		.amdhsa_system_sgpr_workgroup_info 0
		.amdhsa_system_vgpr_workitem_id 0
		.amdhsa_next_free_vgpr 148
		.amdhsa_next_free_sgpr 42
		.amdhsa_reserve_vcc 1
		.amdhsa_float_round_mode_32 0
		.amdhsa_float_round_mode_16_64 0
		.amdhsa_float_denorm_mode_32 3
		.amdhsa_float_denorm_mode_16_64 3
		.amdhsa_fp16_overflow 0
		.amdhsa_workgroup_processor_mode 1
		.amdhsa_memory_ordered 1
		.amdhsa_forward_progress 1
		.amdhsa_inst_pref_size 103
		.amdhsa_round_robin_scheduling 0
		.amdhsa_exception_fp_ieee_invalid_op 0
		.amdhsa_exception_fp_denorm_src 0
		.amdhsa_exception_fp_ieee_div_zero 0
		.amdhsa_exception_fp_ieee_overflow 0
		.amdhsa_exception_fp_ieee_underflow 0
		.amdhsa_exception_fp_ieee_inexact 0
		.amdhsa_exception_int_div_zero 0
	.end_amdhsa_kernel
	.section	.text._ZN4vllm25paged_attention_v2_kernelIffLi96ELi32ELi128ELNS_18Fp8KVCacheDataTypeE0ELb1ELi512EEEvPfS2_PT_PKS3_PKT0_S9_ifPKiSB_iPKfiiiSD_SD_iiiii,"axG",@progbits,_ZN4vllm25paged_attention_v2_kernelIffLi96ELi32ELi128ELNS_18Fp8KVCacheDataTypeE0ELb1ELi512EEEvPfS2_PT_PKS3_PKT0_S9_ifPKiSB_iPKfiiiSD_SD_iiiii,comdat
.Lfunc_end48:
	.size	_ZN4vllm25paged_attention_v2_kernelIffLi96ELi32ELi128ELNS_18Fp8KVCacheDataTypeE0ELb1ELi512EEEvPfS2_PT_PKS3_PKT0_S9_ifPKiSB_iPKfiiiSD_SD_iiiii, .Lfunc_end48-_ZN4vllm25paged_attention_v2_kernelIffLi96ELi32ELi128ELNS_18Fp8KVCacheDataTypeE0ELb1ELi512EEEvPfS2_PT_PKS3_PKT0_S9_ifPKiSB_iPKfiiiSD_SD_iiiii
                                        ; -- End function
	.set _ZN4vllm25paged_attention_v2_kernelIffLi96ELi32ELi128ELNS_18Fp8KVCacheDataTypeE0ELb1ELi512EEEvPfS2_PT_PKS3_PKT0_S9_ifPKiSB_iPKfiiiSD_SD_iiiii.num_vgpr, 148
	.set _ZN4vllm25paged_attention_v2_kernelIffLi96ELi32ELi128ELNS_18Fp8KVCacheDataTypeE0ELb1ELi512EEEvPfS2_PT_PKS3_PKT0_S9_ifPKiSB_iPKfiiiSD_SD_iiiii.num_agpr, 0
	.set _ZN4vllm25paged_attention_v2_kernelIffLi96ELi32ELi128ELNS_18Fp8KVCacheDataTypeE0ELb1ELi512EEEvPfS2_PT_PKS3_PKT0_S9_ifPKiSB_iPKfiiiSD_SD_iiiii.numbered_sgpr, 42
	.set _ZN4vllm25paged_attention_v2_kernelIffLi96ELi32ELi128ELNS_18Fp8KVCacheDataTypeE0ELb1ELi512EEEvPfS2_PT_PKS3_PKT0_S9_ifPKiSB_iPKfiiiSD_SD_iiiii.num_named_barrier, 0
	.set _ZN4vllm25paged_attention_v2_kernelIffLi96ELi32ELi128ELNS_18Fp8KVCacheDataTypeE0ELb1ELi512EEEvPfS2_PT_PKS3_PKT0_S9_ifPKiSB_iPKfiiiSD_SD_iiiii.private_seg_size, 0
	.set _ZN4vllm25paged_attention_v2_kernelIffLi96ELi32ELi128ELNS_18Fp8KVCacheDataTypeE0ELb1ELi512EEEvPfS2_PT_PKS3_PKT0_S9_ifPKiSB_iPKfiiiSD_SD_iiiii.uses_vcc, 1
	.set _ZN4vllm25paged_attention_v2_kernelIffLi96ELi32ELi128ELNS_18Fp8KVCacheDataTypeE0ELb1ELi512EEEvPfS2_PT_PKS3_PKT0_S9_ifPKiSB_iPKfiiiSD_SD_iiiii.uses_flat_scratch, 0
	.set _ZN4vllm25paged_attention_v2_kernelIffLi96ELi32ELi128ELNS_18Fp8KVCacheDataTypeE0ELb1ELi512EEEvPfS2_PT_PKS3_PKT0_S9_ifPKiSB_iPKfiiiSD_SD_iiiii.has_dyn_sized_stack, 0
	.set _ZN4vllm25paged_attention_v2_kernelIffLi96ELi32ELi128ELNS_18Fp8KVCacheDataTypeE0ELb1ELi512EEEvPfS2_PT_PKS3_PKT0_S9_ifPKiSB_iPKfiiiSD_SD_iiiii.has_recursion, 0
	.set _ZN4vllm25paged_attention_v2_kernelIffLi96ELi32ELi128ELNS_18Fp8KVCacheDataTypeE0ELb1ELi512EEEvPfS2_PT_PKS3_PKT0_S9_ifPKiSB_iPKfiiiSD_SD_iiiii.has_indirect_call, 0
	.section	.AMDGPU.csdata,"",@progbits
; Kernel info:
; codeLenInByte = 13116
; TotalNumSgprs: 44
; NumVgprs: 148
; ScratchSize: 0
; MemoryBound: 0
; FloatMode: 240
; IeeeMode: 1
; LDSByteSize: 416 bytes/workgroup (compile time only)
; SGPRBlocks: 0
; VGPRBlocks: 18
; NumSGPRsForWavesPerEU: 44
; NumVGPRsForWavesPerEU: 148
; Occupancy: 9
; WaveLimiterHint : 1
; COMPUTE_PGM_RSRC2:SCRATCH_EN: 0
; COMPUTE_PGM_RSRC2:USER_SGPR: 2
; COMPUTE_PGM_RSRC2:TRAP_HANDLER: 0
; COMPUTE_PGM_RSRC2:TGID_X_EN: 1
; COMPUTE_PGM_RSRC2:TGID_Y_EN: 1
; COMPUTE_PGM_RSRC2:TGID_Z_EN: 1
; COMPUTE_PGM_RSRC2:TIDIG_COMP_CNT: 0
	.section	.text._ZN4vllm25paged_attention_v2_kernelIffLi112ELi32ELi128ELNS_18Fp8KVCacheDataTypeE0ELb1ELi512EEEvPfS2_PT_PKS3_PKT0_S9_ifPKiSB_iPKfiiiSD_SD_iiiii,"axG",@progbits,_ZN4vllm25paged_attention_v2_kernelIffLi112ELi32ELi128ELNS_18Fp8KVCacheDataTypeE0ELb1ELi512EEEvPfS2_PT_PKS3_PKT0_S9_ifPKiSB_iPKfiiiSD_SD_iiiii,comdat
	.protected	_ZN4vllm25paged_attention_v2_kernelIffLi112ELi32ELi128ELNS_18Fp8KVCacheDataTypeE0ELb1ELi512EEEvPfS2_PT_PKS3_PKT0_S9_ifPKiSB_iPKfiiiSD_SD_iiiii ; -- Begin function _ZN4vllm25paged_attention_v2_kernelIffLi112ELi32ELi128ELNS_18Fp8KVCacheDataTypeE0ELb1ELi512EEEvPfS2_PT_PKS3_PKT0_S9_ifPKiSB_iPKfiiiSD_SD_iiiii
	.globl	_ZN4vllm25paged_attention_v2_kernelIffLi112ELi32ELi128ELNS_18Fp8KVCacheDataTypeE0ELb1ELi512EEEvPfS2_PT_PKS3_PKT0_S9_ifPKiSB_iPKfiiiSD_SD_iiiii
	.p2align	8
	.type	_ZN4vllm25paged_attention_v2_kernelIffLi112ELi32ELi128ELNS_18Fp8KVCacheDataTypeE0ELb1ELi512EEEvPfS2_PT_PKS3_PKT0_S9_ifPKiSB_iPKfiiiSD_SD_iiiii,@function
_ZN4vllm25paged_attention_v2_kernelIffLi112ELi32ELi128ELNS_18Fp8KVCacheDataTypeE0ELb1ELi512EEEvPfS2_PT_PKS3_PKT0_S9_ifPKiSB_iPKfiiiSD_SD_iiiii: ; @_ZN4vllm25paged_attention_v2_kernelIffLi112ELi32ELi128ELNS_18Fp8KVCacheDataTypeE0ELb1ELi512EEEvPfS2_PT_PKS3_PKT0_S9_ifPKiSB_iPKfiiiSD_SD_iiiii
; %bb.0:
	s_load_b64 s[2:3], s[0:1], 0x40
	s_and_b32 s18, ttmp7, 0xffff
	s_lshr_b32 s30, ttmp7, 16
	s_lshl_b32 s4, s18, 2
	s_lshl_b32 s34, s30, 9
	s_wait_kmcnt 0x0
	s_load_b32 s31, s[2:3], s4 offset:0x0
	s_wait_kmcnt 0x0
	s_cmp_ge_i32 s34, s31
	s_cbranch_scc1 .LBB49_164
; %bb.1:
	s_clause 0x1
	s_load_b32 s19, s[0:1], 0x90
	s_load_b64 s[8:9], s[0:1], 0x30
	s_wait_kmcnt 0x0
	s_abs_i32 s5, s19
	s_abs_i32 s2, s8
	s_delay_alu instid0(SALU_CYCLE_1) | instskip(SKIP_1) | instid1(SALU_CYCLE_2)
	s_cvt_f32_u32 s3, s2
	s_sub_co_i32 s4, 0, s2
	v_rcp_iflag_f32_e32 v1, s3
	s_delay_alu instid0(TRANS32_DEP_1) | instskip(SKIP_2) | instid1(SALU_CYCLE_2)
	v_readfirstlane_b32 s3, v1
	s_mul_f32 s3, s3, 0x4f7ffffe
	s_wait_alu 0xfffe
	s_cvt_u32_f32 s3, s3
	s_wait_alu 0xfffe
	s_delay_alu instid0(SALU_CYCLE_2) | instskip(NEXT) | instid1(SALU_CYCLE_1)
	s_mul_i32 s4, s4, s3
	s_mul_hi_u32 s4, s3, s4
	s_delay_alu instid0(SALU_CYCLE_1)
	s_add_co_i32 s3, s3, s4
	s_xor_b32 s4, s19, s8
	s_wait_alu 0xfffe
	s_mul_hi_u32 s3, s5, s3
	s_ashr_i32 s4, s4, 31
	s_wait_alu 0xfffe
	s_mul_i32 s6, s3, s2
	s_delay_alu instid0(SALU_CYCLE_1)
	s_sub_co_i32 s5, s5, s6
	s_add_co_i32 s6, s3, 1
	s_sub_co_i32 s7, s5, s2
	s_cmp_ge_u32 s5, s2
	s_cselect_b32 s3, s6, s3
	s_cselect_b32 s5, s7, s5
	s_wait_alu 0xfffe
	s_add_co_i32 s6, s3, 1
	s_cmp_ge_u32 s5, s2
	s_cselect_b32 s2, s6, s3
	s_load_b64 s[6:7], s[0:1], 0x50
	s_xor_b32 s2, s2, s4
	s_mov_b32 s3, 0
	s_wait_alu 0xfffe
	s_sub_co_i32 s16, s2, s4
	s_mov_b32 s15, s3
	s_abs_i32 s20, s16
	s_delay_alu instid0(SALU_CYCLE_1) | instskip(SKIP_1) | instid1(SALU_CYCLE_2)
	s_cvt_f32_u32 s2, s20
	s_wait_alu 0xfffe
	v_rcp_iflag_f32_e32 v1, s2
	s_delay_alu instid0(TRANS32_DEP_1) | instskip(SKIP_2) | instid1(SALU_CYCLE_2)
	v_readfirstlane_b32 s2, v1
	s_mul_f32 s2, s2, 0x4f7ffffe
	s_wait_alu 0xfffe
	s_cvt_u32_f32 s4, s2
	s_sub_co_i32 s2, 0, s20
	s_wait_alu 0xfffe
	s_delay_alu instid0(SALU_CYCLE_1)
	s_mul_i32 s2, s2, s4
	s_wait_alu 0xfffe
	s_mul_hi_u32 s5, s4, s2
	s_abs_i32 s2, ttmp9
	s_add_co_i32 s4, s4, s5
	s_mov_b32 s5, s3
	s_wait_kmcnt 0x0
	s_cmp_eq_u64 s[6:7], 0
	s_cbranch_scc1 .LBB49_3
; %bb.2:
	s_mov_b32 s10, ttmp9
	s_ashr_i32 s11, ttmp9, 31
	s_delay_alu instid0(SALU_CYCLE_1) | instskip(NEXT) | instid1(SALU_CYCLE_1)
	s_lshl_b64 s[10:11], s[10:11], 2
	s_add_nc_u64 s[6:7], s[6:7], s[10:11]
	s_load_b32 s15, s[6:7], 0x0
.LBB49_3:
	s_load_b96 s[12:14], s[0:1], 0x58
	v_lshlrev_b32_e32 v115, 4, v0
	s_mul_u64 s[10:11], s[2:3], s[4:5]
	s_ashr_i32 s3, ttmp9, 31
	s_ashr_i32 s10, s16, 31
	s_mul_i32 s16, ttmp9, 0x70
	s_mov_b32 s4, exec_lo
	v_cmpx_gt_u32_e32 28, v0
	s_cbranch_execz .LBB49_5
; %bb.4:
	s_load_b64 s[6:7], s[0:1], 0x18
	s_wait_kmcnt 0x0
	s_mul_i32 s22, s12, s18
	s_ashr_i32 s17, s16, 31
	s_ashr_i32 s23, s22, 31
	s_delay_alu instid0(SALU_CYCLE_1) | instskip(NEXT) | instid1(SALU_CYCLE_1)
	s_lshl_b64 s[22:23], s[22:23], 2
	s_add_nc_u64 s[6:7], s[6:7], s[22:23]
	s_lshl_b64 s[22:23], s[16:17], 2
	s_delay_alu instid0(SALU_CYCLE_1)
	s_add_nc_u64 s[6:7], s[6:7], s[22:23]
	global_load_b128 v[1:4], v115, s[6:7]
	s_wait_loadcnt 0x0
	ds_store_b128 v115, v[1:4]
.LBB49_5:
	s_or_b32 exec_lo, exec_lo, s4
	s_clause 0x1
	s_load_b128 s[4:7], s[0:1], 0x78
	s_load_b32 s22, s[0:1], 0x88
	s_wait_kmcnt 0x0
	s_mul_i32 s12, s11, s20
	s_xor_b32 s3, s3, s10
	s_sub_co_i32 s2, s2, s12
	s_add_co_i32 s10, s11, 1
	s_wait_alu 0xfffe
	s_sub_co_i32 s12, s2, s20
	s_cmp_ge_u32 s2, s20
	s_mov_b32 s24, -1
	s_cselect_b32 s10, s10, s11
	s_cselect_b32 s2, s12, s2
	s_add_co_i32 s11, s10, 1
	s_wait_alu 0xfffe
	s_cmp_ge_u32 s2, s20
	s_wait_dscnt 0x0
	s_cselect_b32 s2, s11, s10
	s_add_co_i32 s23, s31, -1
	s_wait_alu 0xfffe
	s_xor_b32 s2, s2, s3
	s_barrier_signal -1
	s_wait_alu 0xfffe
	s_sub_co_i32 s26, s2, s3
	s_barrier_wait -1
	s_abs_i32 s12, s7
	global_inv scope:SCOPE_SE
	s_cvt_f32_u32 s10, s12
                                        ; implicit-def: $sgpr17
	s_delay_alu instid0(SALU_CYCLE_3) | instskip(NEXT) | instid1(TRANS32_DEP_1)
	v_rcp_iflag_f32_e32 v1, s10
	v_readfirstlane_b32 s10, v1
	s_mul_f32 s2, s10, 0x4f7ffffe
	s_wait_alu 0xfffe
	s_delay_alu instid0(SALU_CYCLE_2) | instskip(SKIP_2) | instid1(SALU_CYCLE_1)
	s_cvt_u32_f32 s10, s2
	s_sub_co_i32 s2, 0, s12
	s_wait_alu 0xfffe
	s_mul_i32 s3, s2, s10
	s_abs_i32 s2, s23
	s_wait_alu 0xfffe
	s_mul_hi_u32 s11, s10, s3
	s_mov_b32 s3, 0
	s_wait_alu 0xfffe
	s_add_co_i32 s20, s10, s11
	s_cmp_lt_i32 s22, 0
	s_mov_b32 s21, s3
	s_cbranch_scc0 .LBB49_7
; %bb.6:
	s_mul_i32 s8, s4, s8
	s_mov_b32 s24, s3
	s_add_co_i32 s8, s26, s8
	s_delay_alu instid0(SALU_CYCLE_1) | instskip(NEXT) | instid1(SALU_CYCLE_1)
	s_mul_i32 s8, s8, s22
	s_sub_co_i32 s17, 1, s8
.LBB49_7:
	s_mul_u64 s[10:11], s[2:3], s[20:21]
	s_ashr_i32 s3, s23, 31
	s_and_not1_b32 vcc_lo, exec_lo, s24
	s_ashr_i32 s21, s7, 31
	s_cbranch_vccnz .LBB49_9
; %bb.8:
	s_mul_i32 s4, s19, s4
	s_delay_alu instid0(SALU_CYCLE_1) | instskip(NEXT) | instid1(SALU_CYCLE_1)
	s_add_co_i32 s4, s4, ttmp9
	s_mul_i32 s4, s4, s22
	s_delay_alu instid0(SALU_CYCLE_1)
	s_add_co_i32 s17, s4, 1
.LBB49_9:
	s_clause 0x2
	s_load_b32 s4, s[0:1], 0x48
	s_load_b64 s[22:23], s[0:1], 0x38
	s_load_b32 s7, s[0:1], 0x98
	s_mul_i32 s8, s11, s12
	s_xor_b32 s3, s3, s21
	s_sub_co_i32 s2, s2, s8
	s_add_co_i32 s10, s11, 1
	v_lshrrev_b32_e32 v119, 5, v0
	v_and_b32_e32 v120, 31, v0
	v_mov_b32_e32 v124, 0xff7fffff
	s_mul_i32 s26, s26, s14
	s_delay_alu instid0(VALU_DEP_3) | instskip(NEXT) | instid1(VALU_DEP_3)
	v_lshl_add_u32 v122, v119, 5, s34
	v_lshlrev_b32_e32 v117, 2, v120
	s_wait_kmcnt 0x0
	s_mul_i32 s24, s4, s18
	s_wait_alu 0xfffe
	s_sub_co_i32 s4, s2, s12
	s_ashr_i32 s25, s24, 31
	s_cmp_ge_u32 s2, s12
	s_cselect_b32 s8, s10, s11
	s_cselect_b32 s2, s4, s2
	s_add_co_i32 s4, s8, 1
	s_wait_alu 0xfffe
	s_cmp_ge_u32 s2, s12
	s_cselect_b32 s2, s4, s8
	s_add_co_i32 s4, s31, 31
	s_lshl_b32 s37, s30, 4
	s_ashr_i32 s8, s4, 31
	v_add_nc_u32_e32 v121, s37, v119
	s_lshr_b32 s8, s8, 27
	s_delay_alu instid0(SALU_CYCLE_1)
	s_add_co_i32 s4, s4, s8
	s_add_co_i32 s8, s37, 16
	s_ashr_i32 s35, s4, 5
	s_wait_alu 0xfffe
	s_xor_b32 s4, s2, s3
	s_min_i32 s33, s8, s35
	v_lshlrev_b32_e32 v116, 2, v121
	v_cmp_gt_i32_e64 s2, s33, v121
	s_sub_co_i32 s36, s4, s3
	s_and_saveexec_b32 s8, s2
	s_cbranch_execz .LBB49_17
; %bb.10:
	s_ashr_i32 s27, s26, 31
	s_load_b64 s[28:29], s[0:1], 0x20
	s_sub_co_i32 s10, s36, s5
	s_lshl_b64 s[38:39], s[26:27], 2
	s_cmp_neq_f32 s15, 0
	v_dual_mov_b32 v128, 0xff7fffff :: v_dual_lshlrev_b32 v41, 4, v120
	v_subrev_nc_u32_e32 v124, s31, v120
	s_cselect_b32 vcc_lo, -1, 0
	s_abs_i32 s11, s6
	v_mov_b32_e32 v109, 0
	s_wait_alu 0xfffe
	s_cvt_f32_u32 s3, s11
	v_add_nc_u32_e32 v126, 1, v124
	ds_load_b128 v[1:4], v109
	ds_load_b128 v[5:8], v109 offset:16
	s_wait_alu 0xfffe
	v_rcp_iflag_f32_e32 v42, s3
	ds_load_b128 v[9:12], v109 offset:32
	ds_load_b128 v[13:16], v109 offset:48
	;; [unrolled: 1-line block ×8, first 2 shown]
	v_lshl_or_b32 v127, v119, 7, v117
	v_lshl_add_u32 v125, v119, 5, s34
	v_dual_mov_b32 v124, 0xff7fffff :: v_dual_mov_b32 v129, v121
	s_wait_kmcnt 0x0
	s_add_nc_u64 s[28:29], s[28:29], s[38:39]
	v_add_nc_u32_e32 v127, 0x1e0, v127
	v_add_co_u32 v118, s4, s28, v41
	v_readfirstlane_b32 s3, v42
	ds_load_b128 v[41:44], v109 offset:160
	ds_load_b128 v[45:48], v109 offset:176
	ds_load_b128 v[49:52], v109 offset:192
	ds_load_b128 v[53:56], v109 offset:208
	ds_load_b128 v[57:60], v109 offset:224
	ds_load_b128 v[61:64], v109 offset:240
	ds_load_b128 v[65:68], v109 offset:256
	ds_load_b128 v[69:72], v109 offset:272
	ds_load_b128 v[73:76], v109 offset:288
	ds_load_b128 v[77:80], v109 offset:304
	ds_load_b128 v[81:84], v109 offset:320
	ds_load_b128 v[85:88], v109 offset:336
	ds_load_b128 v[89:92], v109 offset:352
	ds_load_b128 v[93:96], v109 offset:368
	ds_load_b128 v[97:100], v109 offset:384
	ds_load_b128 v[101:104], v109 offset:400
	ds_load_b128 v[105:108], v109 offset:416
	ds_load_b128 v[109:112], v109 offset:432
	v_add_co_ci_u32_e64 v123, null, s29, 0, s4
	s_mul_f32 s3, s3, 0x4f7ffffe
	s_lshl_b64 s[28:29], s[24:25], 2
	s_sub_co_i32 s4, 0, s11
	s_wait_alu 0xfffe
	s_add_nc_u64 s[28:29], s[22:23], s[28:29]
	s_cvt_u32_f32 s3, s3
	s_wait_alu 0xfffe
	v_add_co_u32 v113, s27, s28, v116
	s_delay_alu instid0(VALU_DEP_1)
	v_add_co_ci_u32_e64 v114, null, s29, 0, s27
	s_mul_i32 s4, s4, s3
	s_mov_b32 s14, s13
	s_wait_alu 0xfffe
	s_mul_hi_u32 s4, s3, s4
	s_mov_b32 s27, 0
	s_wait_alu 0xfffe
	s_add_co_i32 s28, s3, s4
	s_branch .LBB49_12
.LBB49_11:                              ;   in Loop: Header=BB49_12 Depth=1
	s_wait_alu 0xfffe
	s_or_b32 exec_lo, exec_lo, s4
	v_add_nc_u32_e32 v129, 4, v129
	v_add_co_u32 v113, s4, v113, 16
	s_wait_alu 0xf1ff
	v_add_co_ci_u32_e64 v114, null, 0, v114, s4
	s_delay_alu instid0(VALU_DEP_3)
	v_cmp_le_i32_e64 s3, s33, v129
	v_add_nc_u32_e32 v125, 0x80, v125
	v_add_nc_u32_e32 v127, 0x200, v127
	s_or_b32 s27, s3, s27
	s_wait_alu 0xfffe
	s_and_not1_b32 exec_lo, exec_lo, s27
	s_cbranch_execz .LBB49_16
.LBB49_12:                              ; =>This Inner Loop Header: Depth=1
	v_sub_nc_u32_e32 v130, 0, v125
	s_delay_alu instid0(VALU_DEP_1) | instskip(NEXT) | instid1(VALU_DEP_1)
	v_max_i32_e32 v130, v125, v130
	v_mul_hi_u32 v131, v130, s20
	s_delay_alu instid0(VALU_DEP_1) | instskip(NEXT) | instid1(VALU_DEP_1)
	v_mul_lo_u32 v132, v131, s12
	v_sub_nc_u32_e32 v130, v130, v132
	v_add_nc_u32_e32 v132, 1, v131
	s_delay_alu instid0(VALU_DEP_2) | instskip(SKIP_2) | instid1(VALU_DEP_1)
	v_subrev_nc_u32_e32 v133, s12, v130
	v_cmp_le_u32_e64 s3, s12, v130
	s_wait_alu 0xf1ff
	v_cndmask_b32_e64 v131, v131, v132, s3
	s_delay_alu instid0(VALU_DEP_3) | instskip(SKIP_1) | instid1(VALU_DEP_3)
	v_cndmask_b32_e64 v130, v130, v133, s3
	v_ashrrev_i32_e32 v132, 31, v125
	v_add_nc_u32_e32 v133, 1, v131
	s_delay_alu instid0(VALU_DEP_3) | instskip(NEXT) | instid1(VALU_DEP_3)
	v_cmp_le_u32_e64 s3, s12, v130
	v_xor_b32_e32 v132, s21, v132
	s_wait_alu 0xf1ff
	s_delay_alu instid0(VALU_DEP_2) | instskip(NEXT) | instid1(VALU_DEP_1)
	v_cndmask_b32_e64 v130, v131, v133, s3
	v_xor_b32_e32 v130, v130, v132
	s_delay_alu instid0(VALU_DEP_1) | instskip(NEXT) | instid1(VALU_DEP_1)
	v_sub_nc_u32_e32 v130, v130, v132
	v_add_nc_u32_e32 v131, s17, v130
	v_cmp_ge_i32_e64 s4, s10, v130
	s_delay_alu instid0(VALU_DEP_2) | instskip(NEXT) | instid1(VALU_DEP_1)
	v_sub_nc_u32_e32 v132, 0, v131
	v_max_i32_e32 v132, v131, v132
	v_ashrrev_i32_e32 v131, 31, v131
	s_wait_alu 0xfffe
	s_delay_alu instid0(VALU_DEP_2) | instskip(NEXT) | instid1(VALU_DEP_1)
	v_mul_hi_u32 v133, v132, s28
	v_mul_lo_u32 v133, v133, s11
	s_delay_alu instid0(VALU_DEP_1) | instskip(NEXT) | instid1(VALU_DEP_1)
	v_sub_nc_u32_e32 v132, v132, v133
	v_subrev_nc_u32_e32 v133, s11, v132
	v_cmp_le_u32_e64 s3, s11, v132
	s_wait_alu 0xf1ff
	s_delay_alu instid0(VALU_DEP_1) | instskip(NEXT) | instid1(VALU_DEP_1)
	v_cndmask_b32_e64 v132, v132, v133, s3
	v_subrev_nc_u32_e32 v133, s11, v132
	v_cmp_le_u32_e64 s3, s11, v132
	s_wait_alu 0xf1ff
	s_delay_alu instid0(VALU_DEP_1) | instskip(NEXT) | instid1(VALU_DEP_1)
	v_cndmask_b32_e64 v132, v132, v133, s3
	v_xor_b32_e32 v132, v132, v131
	s_delay_alu instid0(VALU_DEP_1) | instskip(NEXT) | instid1(VALU_DEP_1)
	v_sub_nc_u32_e32 v131, v132, v131
	v_cmp_ne_u32_e64 s3, 0, v131
	s_and_b32 s3, s3, s4
	s_wait_alu 0xfffe
	s_and_saveexec_b32 s4, s3
	s_wait_alu 0xfffe
	s_xor_b32 s3, exec_lo, s4
; %bb.13:                               ;   in Loop: Header=BB49_12 Depth=1
	ds_store_b32 v127, v128
; %bb.14:                               ;   in Loop: Header=BB49_12 Depth=1
	s_wait_alu 0xfffe
	s_and_not1_saveexec_b32 s4, s3
	s_cbranch_execz .LBB49_11
; %bb.15:                               ;   in Loop: Header=BB49_12 Depth=1
	global_load_b32 v130, v[113:114], off
	s_wait_loadcnt 0x0
	v_mad_co_i64_i32 v[130:131], null, v130, s14, 0
	s_delay_alu instid0(VALU_DEP_1) | instskip(NEXT) | instid1(VALU_DEP_1)
	v_lshlrev_b64_e32 v[130:131], 2, v[130:131]
	v_add_co_u32 v166, s3, v118, v130
	s_wait_alu 0xf1ff
	s_delay_alu instid0(VALU_DEP_2)
	v_add_co_ci_u32_e64 v167, null, v123, v131, s3
	s_clause 0x8
	global_load_b128 v[130:133], v[166:167], off offset:512
	global_load_b128 v[134:137], v[166:167], off
	global_load_b128 v[138:141], v[166:167], off offset:1024
	global_load_b128 v[142:145], v[166:167], off offset:1536
	;; [unrolled: 1-line block ×7, first 2 shown]
	s_wait_loadcnt_dscnt 0x81a
	v_dual_mul_f32 v168, v5, v130 :: v_dual_mul_f32 v169, v6, v131
	v_dual_mul_f32 v170, v7, v132 :: v_dual_mul_f32 v171, v8, v133
	global_load_b128 v[130:133], v[166:167], off offset:4608
	s_wait_loadcnt 0x8
	v_dual_fmac_f32 v168, v1, v134 :: v_dual_fmac_f32 v169, v2, v135
	v_dual_fmac_f32 v170, v3, v136 :: v_dual_fmac_f32 v171, v4, v137
	global_load_b128 v[134:137], v[166:167], off offset:5120
	s_wait_loadcnt_dscnt 0x819
	v_dual_fmac_f32 v168, v9, v138 :: v_dual_fmac_f32 v169, v10, v139
	v_dual_fmac_f32 v170, v11, v140 :: v_dual_fmac_f32 v171, v12, v141
	global_load_b128 v[138:141], v[166:167], off offset:5632
	s_wait_loadcnt_dscnt 0x818
	;; [unrolled: 4-line block ×18, first 2 shown]
	v_dual_fmac_f32 v168, v77, v134 :: v_dual_fmac_f32 v169, v78, v135
	v_dual_fmac_f32 v170, v79, v136 :: v_dual_fmac_f32 v171, v80, v137
	s_wait_loadcnt_dscnt 0x707
	s_delay_alu instid0(VALU_DEP_2) | instskip(NEXT) | instid1(VALU_DEP_2)
	v_dual_fmac_f32 v168, v81, v138 :: v_dual_fmac_f32 v169, v82, v139
	v_dual_fmac_f32 v170, v83, v140 :: v_dual_fmac_f32 v171, v84, v141
	s_wait_loadcnt_dscnt 0x606
	s_delay_alu instid0(VALU_DEP_2) | instskip(NEXT) | instid1(VALU_DEP_2)
	;; [unrolled: 4-line block ×8, first 2 shown]
	v_dual_fmac_f32 v168, v109, v130 :: v_dual_fmac_f32 v169, v110, v131
	v_dual_fmac_f32 v170, v111, v132 :: v_dual_fmac_f32 v171, v112, v133
	v_max_num_f32_e32 v132, v124, v124
	s_delay_alu instid0(VALU_DEP_3) | instskip(NEXT) | instid1(VALU_DEP_1)
	v_add_f32_e32 v131, v168, v169
	v_add_f32_e32 v131, v170, v131
	s_delay_alu instid0(VALU_DEP_1) | instskip(NEXT) | instid1(VALU_DEP_1)
	v_dual_add_f32 v131, v171, v131 :: v_dual_add_nc_u32 v134, v126, v125
	v_cvt_f32_i32_e32 v130, v134
	s_delay_alu instid0(VALU_DEP_1) | instskip(NEXT) | instid1(VALU_DEP_1)
	v_mul_f32_e32 v130, s15, v130
	v_cndmask_b32_e32 v130, 0, v130, vcc_lo
	s_delay_alu instid0(VALU_DEP_1) | instskip(NEXT) | instid1(VALU_DEP_1)
	v_dual_fmac_f32 v130, s9, v131 :: v_dual_add_nc_u32 v131, v120, v125
	v_max_num_f32_e32 v132, v132, v130
	s_delay_alu instid0(VALU_DEP_2) | instskip(SKIP_1) | instid1(VALU_DEP_1)
	v_cmp_gt_i32_e64 s3, s31, v131
	s_wait_alu 0xf1ff
	v_cndmask_b32_e64 v130, 0, v130, s3
	s_delay_alu instid0(VALU_DEP_3)
	v_cndmask_b32_e64 v124, v124, v132, s3
	ds_store_b32 v127, v130
	s_branch .LBB49_11
.LBB49_16:
	s_or_b32 exec_lo, exec_lo, s27
.LBB49_17:
	s_delay_alu instid0(SALU_CYCLE_1)
	s_or_b32 exec_lo, exec_lo, s8
	s_wait_dscnt 0x1b
	v_mbcnt_lo_u32_b32 v1, -1, 0
	s_clause 0x2
	s_load_b128 s[8:11], s[0:1], 0x0
	s_load_b64 s[14:15], s[0:1], 0x10
	s_load_b64 s[28:29], s[0:1], 0x28
	s_wait_dscnt 0x1a
	v_max_num_f32_e32 v5, v124, v124
	v_xor_b32_e32 v2, 16, v1
	v_xor_b32_e32 v4, 8, v1
	s_delay_alu instid0(VALU_DEP_2) | instskip(SKIP_2) | instid1(VALU_DEP_3)
	v_cmp_gt_i32_e32 vcc_lo, 32, v2
	s_wait_alu 0xfffd
	v_cndmask_b32_e32 v2, v1, v2, vcc_lo
	v_cmp_gt_i32_e32 vcc_lo, 32, v4
	s_delay_alu instid0(VALU_DEP_2)
	v_lshlrev_b32_e32 v2, 2, v2
	s_wait_alu 0xfffd
	v_cndmask_b32_e32 v4, v1, v4, vcc_lo
	ds_bpermute_b32 v3, v2, v124
	s_wait_dscnt 0x0
	v_dual_max_num_f32 v6, v3, v3 :: v_dual_lshlrev_b32 v3, 2, v4
	s_delay_alu instid0(VALU_DEP_1)
	v_max_num_f32_e32 v4, v5, v6
	v_xor_b32_e32 v6, 4, v1
	ds_bpermute_b32 v5, v3, v4
	v_cmp_gt_i32_e32 vcc_lo, 32, v6
	s_wait_alu 0xfffd
	v_cndmask_b32_e32 v6, v1, v6, vcc_lo
	s_delay_alu instid0(VALU_DEP_1) | instskip(SKIP_1) | instid1(VALU_DEP_1)
	v_lshlrev_b32_e32 v125, 2, v6
	v_xor_b32_e32 v6, 2, v1
	v_cmp_gt_i32_e32 vcc_lo, 32, v6
	s_wait_dscnt 0x0
	v_max_num_f32_e32 v5, v5, v5
	s_wait_alu 0xfffd
	v_cndmask_b32_e32 v6, v1, v6, vcc_lo
	s_delay_alu instid0(VALU_DEP_1) | instskip(SKIP_1) | instid1(VALU_DEP_1)
	v_lshlrev_b32_e32 v124, 2, v6
	v_xor_b32_e32 v6, 1, v1
	v_cmp_gt_i32_e32 vcc_lo, 32, v6
	s_wait_alu 0xfffd
	v_cndmask_b32_e32 v6, v1, v6, vcc_lo
	v_max_num_f32_e32 v4, v4, v5
	v_cmp_eq_u32_e32 vcc_lo, 0, v120
	s_delay_alu instid0(VALU_DEP_3) | instskip(SKIP_3) | instid1(VALU_DEP_1)
	v_lshlrev_b32_e32 v123, 2, v6
	ds_bpermute_b32 v5, v125, v4
	s_wait_dscnt 0x0
	v_max_num_f32_e32 v5, v5, v5
	v_max_num_f32_e32 v4, v4, v5
	ds_bpermute_b32 v5, v124, v4
	s_wait_dscnt 0x0
	v_max_num_f32_e32 v5, v5, v5
	s_delay_alu instid0(VALU_DEP_1)
	v_max_num_f32_e32 v1, v4, v5
	v_lshlrev_b32_e32 v5, 2, v119
	ds_bpermute_b32 v4, v123, v1
	s_and_saveexec_b32 s0, vcc_lo
	s_cbranch_execz .LBB49_19
; %bb.18:
	s_wait_dscnt 0x0
	v_dual_max_num_f32 v4, v4, v4 :: v_dual_max_num_f32 v1, v1, v1
	s_delay_alu instid0(VALU_DEP_1)
	v_max_num_f32_e32 v1, v1, v4
	ds_store_b32 v5, v1 offset:448
.LBB49_19:
	s_or_b32 exec_lo, exec_lo, s0
	v_cmp_gt_u32_e64 s0, 4, v120
	v_mov_b32_e32 v1, 0xff7fffff
	s_wait_loadcnt_dscnt 0x0
	s_barrier_signal -1
	s_barrier_wait -1
	global_inv scope:SCOPE_SE
	s_and_saveexec_b32 s1, s0
; %bb.20:
	ds_load_b32 v1, v117 offset:448
; %bb.21:
	s_or_b32 exec_lo, exec_lo, s1
	s_wait_dscnt 0x0
	ds_bpermute_b32 v4, v124, v1
	v_max_num_f32_e32 v1, v1, v1
	s_sub_co_i32 s1, s33, s37
	v_mov_b32_e32 v6, 0
	s_lshl_b32 s1, s1, 5
	s_delay_alu instid0(SALU_CYCLE_1) | instskip(NEXT) | instid1(SALU_CYCLE_1)
	s_add_co_i32 s1, s1, s34
	s_min_i32 s1, s1, s31
	s_delay_alu instid0(SALU_CYCLE_1) | instskip(SKIP_4) | instid1(VALU_DEP_1)
	s_sub_co_i32 s4, s1, s34
	s_wait_alu 0xfffe
	v_cmp_gt_i32_e64 s1, s4, v0
	s_wait_dscnt 0x0
	v_max_num_f32_e32 v4, v4, v4
	v_max_num_f32_e32 v1, v1, v4
	ds_bpermute_b32 v4, v123, v1
	s_wait_dscnt 0x0
	v_max_num_f32_e32 v4, v4, v4
	s_delay_alu instid0(VALU_DEP_1)
	v_max_num_f32_e32 v1, v1, v4
	v_lshl_add_u32 v4, v0, 2, 0x1e0
	ds_bpermute_b32 v1, v6, v1
	s_and_saveexec_b32 s27, s1
	s_cbranch_execz .LBB49_25
; %bb.22:
	v_lshl_add_u32 v7, v0, 2, 0x1e0
	v_mov_b32_e32 v6, 0
	v_mov_b32_e32 v8, v0
	s_mov_b32 s34, 0
.LBB49_23:                              ; =>This Inner Loop Header: Depth=1
	ds_load_b32 v9, v7
	v_add_nc_u32_e32 v8, 0x80, v8
	s_delay_alu instid0(VALU_DEP_1) | instskip(SKIP_4) | instid1(VALU_DEP_1)
	v_cmp_le_i32_e64 s3, s4, v8
	s_wait_alu 0xfffe
	s_or_b32 s34, s3, s34
	s_wait_dscnt 0x0
	v_sub_f32_e32 v9, v9, v1
	v_mul_f32_e32 v9, 0x3fb8aa3b, v9
	s_delay_alu instid0(VALU_DEP_1)
	v_exp_f32_e32 v9, v9
	ds_store_b32 v7, v9
	v_dual_add_f32 v6, v6, v9 :: v_dual_add_nc_u32 v7, 0x200, v7
	s_wait_alu 0xfffe
	s_and_not1_b32 exec_lo, exec_lo, s34
	s_cbranch_execnz .LBB49_23
; %bb.24:
	s_or_b32 exec_lo, exec_lo, s34
.LBB49_25:
	s_wait_alu 0xfffe
	s_or_b32 exec_lo, exec_lo, s27
	ds_bpermute_b32 v2, v2, v6
	s_wait_dscnt 0x0
	v_add_f32_e32 v2, v6, v2
	ds_bpermute_b32 v3, v3, v2
	s_wait_dscnt 0x0
	v_add_f32_e32 v2, v2, v3
	;; [unrolled: 3-line block ×5, first 2 shown]
	s_and_saveexec_b32 s3, vcc_lo
; %bb.26:
	ds_store_b32 v5, v2 offset:464
; %bb.27:
	s_wait_alu 0xfffe
	s_or_b32 exec_lo, exec_lo, s3
	s_wait_loadcnt_dscnt 0x0
	s_barrier_signal -1
	s_barrier_wait -1
	global_inv scope:SCOPE_SE
	s_and_saveexec_b32 s3, s0
; %bb.28:
	ds_load_b32 v2, v117 offset:464
; %bb.29:
	s_wait_alu 0xfffe
	s_or_b32 exec_lo, exec_lo, s3
	s_wait_dscnt 0x0
	ds_bpermute_b32 v3, v124, v2
	s_wait_dscnt 0x0
	v_add_f32_e32 v2, v2, v3
	ds_bpermute_b32 v3, v123, v2
	s_wait_dscnt 0x0
	v_dual_add_f32 v2, v2, v3 :: v_dual_mov_b32 v3, 0
	ds_bpermute_b32 v2, v3, v2
	s_and_saveexec_b32 s0, s1
	s_cbranch_execz .LBB49_32
; %bb.30:
	s_wait_dscnt 0x0
	v_add_f32_e32 v3, 0x358637bd, v2
	s_mov_b32 s1, 0
	s_delay_alu instid0(VALU_DEP_1) | instskip(SKIP_1) | instid1(VALU_DEP_2)
	v_div_scale_f32 v5, null, v3, v3, 1.0
	v_div_scale_f32 v8, vcc_lo, 1.0, v3, 1.0
	v_rcp_f32_e32 v6, v5
	s_delay_alu instid0(TRANS32_DEP_1) | instskip(NEXT) | instid1(VALU_DEP_1)
	v_fma_f32 v7, -v5, v6, 1.0
	v_fmac_f32_e32 v6, v7, v6
	s_delay_alu instid0(VALU_DEP_1) | instskip(NEXT) | instid1(VALU_DEP_1)
	v_mul_f32_e32 v7, v8, v6
	v_fma_f32 v9, -v5, v7, v8
	s_delay_alu instid0(VALU_DEP_1) | instskip(NEXT) | instid1(VALU_DEP_1)
	v_fmac_f32_e32 v7, v9, v6
	v_fma_f32 v5, -v5, v7, v8
	s_wait_alu 0xfffd
	s_delay_alu instid0(VALU_DEP_1) | instskip(NEXT) | instid1(VALU_DEP_1)
	v_div_fmas_f32 v5, v5, v6, v7
	v_div_fixup_f32 v3, v5, v3, 1.0
	v_mov_b32_e32 v5, v0
.LBB49_31:                              ; =>This Inner Loop Header: Depth=1
	ds_load_b32 v6, v4
	s_wait_dscnt 0x0
	v_dual_mul_f32 v6, v3, v6 :: v_dual_add_nc_u32 v5, 0x80, v5
	s_delay_alu instid0(VALU_DEP_1) | instskip(SKIP_3) | instid1(SALU_CYCLE_1)
	v_cmp_le_i32_e32 vcc_lo, s4, v5
	ds_store_b32 v4, v6
	v_add_nc_u32_e32 v4, 0x200, v4
	s_or_b32 s1, vcc_lo, s1
	s_and_not1_b32 exec_lo, exec_lo, s1
	s_cbranch_execnz .LBB49_31
.LBB49_32:
	s_or_b32 exec_lo, exec_lo, s0
	s_mul_i32 s0, s7, s18
	s_wait_loadcnt_dscnt 0x0
	s_mul_i32 s18, s0, s19
	s_mov_b32 s0, exec_lo
	s_barrier_signal -1
	s_barrier_wait -1
	global_inv scope:SCOPE_SE
	v_cmpx_eq_u32_e32 0, v0
	s_cbranch_execz .LBB49_34
; %bb.33:
	s_ashr_i32 s19, s18, 31
	s_mul_i32 s38, s7, ttmp9
	s_lshl_b32 s1, s30, 2
	s_lshl_b64 s[40:41], s[18:19], 2
	s_ashr_i32 s39, s38, 31
	v_mov_b32_e32 v3, s1
	s_wait_kmcnt 0x0
	s_add_nc_u64 s[10:11], s[10:11], s[40:41]
	s_lshl_b64 s[38:39], s[38:39], 2
	s_add_nc_u64 s[8:9], s[8:9], s[40:41]
	s_wait_alu 0xfffe
	s_add_nc_u64 s[10:11], s[10:11], s[38:39]
	s_add_nc_u64 s[8:9], s[8:9], s[38:39]
	s_clause 0x1
	global_store_b32 v3, v1, s[10:11]
	global_store_b32 v3, v2, s[8:9]
.LBB49_34:
	s_or_b32 exec_lo, exec_lo, s0
	v_dual_mov_b32 v153, 0 :: v_dual_and_b32 v126, 7, v0
	v_dual_mov_b32 v154, 0 :: v_dual_mov_b32 v151, 0
	v_dual_mov_b32 v152, 0 :: v_dual_mov_b32 v149, 0
	;; [unrolled: 1-line block ×13, first 2 shown]
	v_mov_b32_e32 v128, 0
	s_and_saveexec_b32 s4, s2
	s_cbranch_execz .LBB49_96
; %bb.35:
	s_abs_i32 s6, s6
	v_dual_mov_b32 v129, 0 :: v_dual_lshlrev_b32 v4, 4, v126
	s_cvt_f32_u32 s0, s6
	s_ashr_i32 s27, s26, 31
	v_dual_mov_b32 v128, 0 :: v_dual_and_b32 v3, 0x1f0, v115
	s_wait_alu 0xfffe
	v_rcp_iflag_f32_e32 v1, s0
	s_lshl_b64 s[0:1], s[24:25], 2
	s_lshl_b64 s[2:3], s[26:27], 2
	s_wait_alu 0xfffe
	s_add_nc_u64 s[0:1], s[22:23], s[0:1]
	v_dual_mov_b32 v127, 0 :: v_dual_lshlrev_b32 v2, 2, v0
	s_wait_alu 0xfffe
	v_add_co_u32 v117, s0, s0, v116
	s_wait_alu 0xf1ff
	v_add_co_ci_u32_e64 v118, null, s1, 0, s0
	s_wait_kmcnt 0x0
	v_readfirstlane_b32 s10, v1
	v_lshl_or_b32 v1, v119, 7, v4
	s_add_nc_u64 s[2:3], s[28:29], s[2:3]
	s_sub_co_i32 s11, 0, s6
	s_wait_alu 0xfffe
	v_add_co_u32 v156, s1, s2, v3
	s_mul_f32 s10, s10, 0x4f7ffffe
	v_dual_mov_b32 v130, 0 :: v_dual_and_b32 v155, 28, v2
	v_add_co_ci_u32_e64 v157, null, s3, 0, s1
	s_wait_alu 0xfffe
	s_cvt_u32_f32 s0, s10
	v_dual_mov_b32 v131, 0 :: v_dual_add_nc_u32 v158, 0x1e0, v1
	v_dual_mov_b32 v132, 0 :: v_dual_mov_b32 v133, 0
	s_wait_alu 0xfffe
	s_mul_i32 s11, s11, s0
	v_dual_mov_b32 v134, 0 :: v_dual_mov_b32 v135, 0
	v_dual_mov_b32 v136, 0 :: v_dual_mov_b32 v137, 0
	;; [unrolled: 1-line block ×10, first 2 shown]
	v_mov_b32_e32 v154, 0
	s_wait_alu 0xfffe
	s_mul_hi_u32 s1, s0, s11
	s_sub_co_i32 s5, s36, s5
	s_mov_b32 s8, s13
	s_add_co_i32 s9, s35, -1
	s_mov_b32 s10, 0
	s_wait_alu 0xfffe
	s_add_co_i32 s11, s0, s1
	s_branch .LBB49_38
.LBB49_36:                              ;   in Loop: Header=BB49_38 Depth=1
	s_wait_alu 0xfffe
	s_or_b32 exec_lo, exec_lo, s0
	s_wait_loadcnt_dscnt 0x1100
	v_mul_f32_e32 v45, v1, v45
	s_wait_loadcnt 0x9
	v_mul_f32_e32 v77, v1, v77
	s_wait_loadcnt 0x5
	v_mul_f32_e32 v97, v1, v97
	v_mul_f32_e32 v69, v1, v69
	;; [unrolled: 1-line block ×3, first 2 shown]
	v_fmac_f32_e32 v45, v2, v46
	v_fmac_f32_e32 v77, v2, v78
	s_wait_loadcnt 0x3
	v_mul_f32_e32 v105, v1, v105
	v_fmac_f32_e32 v69, v2, v70
	v_mul_f32_e32 v53, v1, v53
	v_fmac_f32_e32 v45, v3, v47
	v_fmac_f32_e32 v77, v3, v79
	v_fmac_f32_e32 v21, v2, v22
	v_mul_f32_e32 v13, v1, v13
	s_wait_loadcnt 0x1
	v_mul_f32_e32 v113, v1, v113
	v_fmac_f32_e32 v45, v4, v48
	v_fmac_f32_e32 v97, v2, v98
	v_mul_f32_e32 v61, v1, v61
	v_fmac_f32_e32 v69, v3, v71
	v_fmac_f32_e32 v77, v4, v80
	;; [unrolled: 1-line block ×3, first 2 shown]
	v_dual_fmac_f32 v53, v2, v54 :: v_dual_add_f32 v144, v144, v45
	v_fmac_f32_e32 v97, v3, v99
	v_mul_f32_e32 v29, v1, v29
	v_fmac_f32_e32 v21, v3, v23
	v_fmac_f32_e32 v13, v2, v14
	v_mul_f32_e32 v85, v1, v85
	v_fmac_f32_e32 v97, v4, v100
	v_fmac_f32_e32 v113, v2, v114
	;; [unrolled: 1-line block ×4, first 2 shown]
	v_dual_add_f32 v136, v136, v77 :: v_dual_fmac_f32 v105, v3, v107
	v_fmac_f32_e32 v53, v3, v55
	v_fmac_f32_e32 v29, v2, v30
	;; [unrolled: 1-line block ×3, first 2 shown]
	v_mul_f32_e32 v9, v1, v9
	v_fmac_f32_e32 v13, v3, v15
	v_mul_f32_e32 v109, v1, v109
	v_mul_f32_e32 v101, v1, v101
	;; [unrolled: 1-line block ×4, first 2 shown]
	v_add_f32_e32 v132, v132, v97
	v_mul_f32_e32 v73, v1, v73
	v_mul_f32_e32 v65, v1, v65
	v_dual_fmac_f32 v61, v3, v63 :: v_dual_add_f32 v138, v138, v69
	v_dual_fmac_f32 v105, v4, v108 :: v_dual_add_f32 v150, v150, v21
	v_fmac_f32_e32 v113, v3, v115
	v_mul_f32_e32 v57, v1, v57
	v_mul_f32_e32 v49, v1, v49
	;; [unrolled: 1-line block ×3, first 2 shown]
	v_fmac_f32_e32 v53, v4, v56
	v_mul_f32_e32 v37, v1, v37
	v_mul_f32_e32 v33, v1, v33
	;; [unrolled: 1-line block ×3, first 2 shown]
	v_fmac_f32_e32 v29, v3, v31
	v_mul_f32_e32 v17, v1, v17
	v_mul_f32_e32 v5, v1, v5
	s_wait_loadcnt 0x0
	v_mul_f32_e32 v1, v1, v89
	v_fmac_f32_e32 v9, v2, v10
	v_fmac_f32_e32 v13, v4, v16
	;; [unrolled: 1-line block ×3, first 2 shown]
	v_dual_add_f32 v130, v130, v105 :: v_dual_fmac_f32 v113, v4, v116
	v_add_f32_e32 v142, v142, v53
	v_fmac_f32_e32 v109, v2, v110
	v_fmac_f32_e32 v81, v2, v82
	;; [unrolled: 1-line block ×17, first 2 shown]
	v_dual_fmac_f32 v9, v3, v11 :: v_dual_add_f32 v152, v152, v13
	v_dual_fmac_f32 v85, v3, v87 :: v_dual_add_f32 v128, v128, v113
	v_fmac_f32_e32 v81, v3, v83
	v_fmac_f32_e32 v73, v3, v75
	;; [unrolled: 1-line block ×3, first 2 shown]
	s_delay_alu instid0(VALU_DEP_4)
	v_fmac_f32_e32 v85, v4, v88
	v_dual_fmac_f32 v109, v3, v111 :: v_dual_add_f32 v140, v140, v61
	v_fmac_f32_e32 v57, v3, v59
	v_fmac_f32_e32 v49, v3, v51
	;; [unrolled: 1-line block ×5, first 2 shown]
	v_dual_fmac_f32 v25, v3, v27 :: v_dual_add_f32 v148, v148, v29
	v_fmac_f32_e32 v93, v3, v95
	v_fmac_f32_e32 v17, v3, v19
	;; [unrolled: 1-line block ×7, first 2 shown]
	v_dual_fmac_f32 v81, v4, v84 :: v_dual_add_f32 v134, v134, v85
	v_fmac_f32_e32 v73, v4, v76
	v_fmac_f32_e32 v65, v4, v68
	;; [unrolled: 1-line block ×11, first 2 shown]
	v_dual_fmac_f32 v1, v4, v92 :: v_dual_add_f32 v154, v154, v9
	v_fmac_f32_e32 v101, v4, v104
	v_add_f32_e32 v133, v133, v93
	v_add_f32_e32 v135, v135, v81
	;; [unrolled: 1-line block ×15, first 2 shown]
.LBB49_37:                              ;   in Loop: Header=BB49_38 Depth=1
	s_wait_alu 0xfffe
	s_or_b32 exec_lo, exec_lo, s13
	v_add_nc_u32_e32 v121, 4, v121
	v_add_co_u32 v117, s0, v117, 16
	s_wait_alu 0xf1ff
	v_add_co_ci_u32_e64 v118, null, 0, v118, s0
	s_delay_alu instid0(VALU_DEP_3)
	v_cmp_le_i32_e32 vcc_lo, s33, v121
	v_add_nc_u32_e32 v122, 0x80, v122
	v_add_nc_u32_e32 v158, 0x200, v158
	s_or_b32 s10, vcc_lo, s10
	s_wait_alu 0xfffe
	s_and_not1_b32 exec_lo, exec_lo, s10
	s_cbranch_execz .LBB49_95
.LBB49_38:                              ; =>This Inner Loop Header: Depth=1
	v_sub_nc_u32_e32 v1, 0, v122
	s_delay_alu instid0(VALU_DEP_1) | instskip(NEXT) | instid1(VALU_DEP_1)
	v_max_i32_e32 v1, v122, v1
	v_mul_hi_u32 v2, v1, s20
	s_delay_alu instid0(VALU_DEP_1) | instskip(NEXT) | instid1(VALU_DEP_1)
	v_mul_lo_u32 v3, v2, s12
	v_sub_nc_u32_e32 v1, v1, v3
	v_add_nc_u32_e32 v3, 1, v2
	s_delay_alu instid0(VALU_DEP_2) | instskip(SKIP_2) | instid1(VALU_DEP_2)
	v_subrev_nc_u32_e32 v4, s12, v1
	v_cmp_le_u32_e32 vcc_lo, s12, v1
	s_wait_alu 0xfffd
	v_dual_cndmask_b32 v2, v2, v3 :: v_dual_cndmask_b32 v1, v1, v4
	v_ashrrev_i32_e32 v3, 31, v122
	s_delay_alu instid0(VALU_DEP_2) | instskip(NEXT) | instid1(VALU_DEP_3)
	v_add_nc_u32_e32 v4, 1, v2
	v_cmp_le_u32_e32 vcc_lo, s12, v1
	s_delay_alu instid0(VALU_DEP_3) | instskip(SKIP_1) | instid1(VALU_DEP_3)
	v_xor_b32_e32 v3, s21, v3
	s_wait_alu 0xfffd
	v_cndmask_b32_e32 v1, v2, v4, vcc_lo
	s_delay_alu instid0(VALU_DEP_1) | instskip(NEXT) | instid1(VALU_DEP_1)
	v_xor_b32_e32 v1, v1, v3
	v_sub_nc_u32_e32 v1, v1, v3
	s_delay_alu instid0(VALU_DEP_1) | instskip(SKIP_1) | instid1(VALU_DEP_2)
	v_add_nc_u32_e32 v2, s17, v1
	v_cmp_lt_i32_e64 s0, s5, v1
	v_sub_nc_u32_e32 v3, 0, v2
	s_delay_alu instid0(VALU_DEP_1) | instskip(SKIP_1) | instid1(VALU_DEP_1)
	v_max_i32_e32 v3, v2, v3
	s_wait_alu 0xfffe
	v_mul_hi_u32 v4, v3, s11
	s_delay_alu instid0(VALU_DEP_1) | instskip(NEXT) | instid1(VALU_DEP_1)
	v_mul_lo_u32 v4, v4, s6
	v_sub_nc_u32_e32 v3, v3, v4
	s_delay_alu instid0(VALU_DEP_1) | instskip(SKIP_2) | instid1(VALU_DEP_2)
	v_subrev_nc_u32_e32 v4, s6, v3
	v_cmp_le_u32_e32 vcc_lo, s6, v3
	s_wait_alu 0xfffd
	v_cndmask_b32_e32 v3, v3, v4, vcc_lo
	v_ashrrev_i32_e32 v2, 31, v2
	s_delay_alu instid0(VALU_DEP_2) | instskip(SKIP_2) | instid1(VALU_DEP_2)
	v_subrev_nc_u32_e32 v4, s6, v3
	v_cmp_le_u32_e32 vcc_lo, s6, v3
	s_wait_alu 0xfffd
	v_cndmask_b32_e32 v3, v3, v4, vcc_lo
	s_delay_alu instid0(VALU_DEP_1) | instskip(NEXT) | instid1(VALU_DEP_1)
	v_xor_b32_e32 v3, v3, v2
	v_sub_nc_u32_e32 v2, v3, v2
	s_delay_alu instid0(VALU_DEP_1)
	v_cmp_eq_u32_e32 vcc_lo, 0, v2
	s_or_b32 s0, vcc_lo, s0
	s_wait_alu 0xfffe
	s_and_saveexec_b32 s13, s0
	s_cbranch_execz .LBB49_37
; %bb.39:                               ;   in Loop: Header=BB49_38 Depth=1
	global_load_b32 v1, v[117:118], off
	v_add_nc_u32_e32 v159, v155, v122
	s_delay_alu instid0(VALU_DEP_1) | instskip(SKIP_4) | instid1(VALU_DEP_1)
	v_add_nc_u32_e32 v162, 1, v159
	v_add_nc_u32_e32 v161, 2, v159
	;; [unrolled: 1-line block ×3, first 2 shown]
	s_wait_loadcnt 0x0
	v_mad_co_i64_i32 v[1:2], null, v1, s8, 0
	v_lshlrev_b64_e32 v[1:2], 2, v[1:2]
	s_delay_alu instid0(VALU_DEP_1) | instskip(SKIP_1) | instid1(VALU_DEP_2)
	v_add_co_u32 v89, vcc_lo, v156, v1
	s_wait_alu 0xfffd
	v_add_co_ci_u32_e64 v90, null, v157, v2, vcc_lo
	ds_load_b128 v[1:4], v158
	v_cmp_eq_u32_e32 vcc_lo, s9, v121
	global_load_b128 v[5:8], v[89:90], off
	s_and_saveexec_b32 s1, vcc_lo
	s_cbranch_execnz .LBB49_67
; %bb.40:                               ;   in Loop: Header=BB49_38 Depth=1
	s_wait_alu 0xfffe
	s_or_b32 exec_lo, exec_lo, s1
	global_load_b128 v[9:12], v[89:90], off offset:512
	s_and_saveexec_b32 s1, vcc_lo
	s_cbranch_execnz .LBB49_68
.LBB49_41:                              ;   in Loop: Header=BB49_38 Depth=1
	s_wait_alu 0xfffe
	s_or_b32 exec_lo, exec_lo, s1
	global_load_b128 v[13:16], v[89:90], off offset:1024
	s_and_saveexec_b32 s1, vcc_lo
	s_cbranch_execnz .LBB49_69
.LBB49_42:                              ;   in Loop: Header=BB49_38 Depth=1
	s_wait_alu 0xfffe
	s_or_b32 exec_lo, exec_lo, s1
	global_load_b128 v[17:20], v[89:90], off offset:1536
	s_and_saveexec_b32 s1, vcc_lo
	s_cbranch_execnz .LBB49_70
.LBB49_43:                              ;   in Loop: Header=BB49_38 Depth=1
	s_wait_alu 0xfffe
	s_or_b32 exec_lo, exec_lo, s1
	global_load_b128 v[21:24], v[89:90], off offset:2048
	s_and_saveexec_b32 s1, vcc_lo
	s_cbranch_execnz .LBB49_71
.LBB49_44:                              ;   in Loop: Header=BB49_38 Depth=1
	s_wait_alu 0xfffe
	s_or_b32 exec_lo, exec_lo, s1
	global_load_b128 v[25:28], v[89:90], off offset:2560
	s_and_saveexec_b32 s1, vcc_lo
	s_cbranch_execnz .LBB49_72
.LBB49_45:                              ;   in Loop: Header=BB49_38 Depth=1
	s_wait_alu 0xfffe
	s_or_b32 exec_lo, exec_lo, s1
	global_load_b128 v[29:32], v[89:90], off offset:3072
	s_and_saveexec_b32 s1, vcc_lo
	s_cbranch_execnz .LBB49_73
.LBB49_46:                              ;   in Loop: Header=BB49_38 Depth=1
	s_wait_alu 0xfffe
	s_or_b32 exec_lo, exec_lo, s1
	global_load_b128 v[33:36], v[89:90], off offset:3584
	s_and_saveexec_b32 s1, vcc_lo
	s_cbranch_execnz .LBB49_74
.LBB49_47:                              ;   in Loop: Header=BB49_38 Depth=1
	s_wait_alu 0xfffe
	s_or_b32 exec_lo, exec_lo, s1
	global_load_b128 v[37:40], v[89:90], off offset:4096
	s_and_saveexec_b32 s1, vcc_lo
	s_cbranch_execnz .LBB49_75
.LBB49_48:                              ;   in Loop: Header=BB49_38 Depth=1
	s_wait_alu 0xfffe
	s_or_b32 exec_lo, exec_lo, s1
	global_load_b128 v[41:44], v[89:90], off offset:4608
	s_and_saveexec_b32 s1, vcc_lo
	s_cbranch_execnz .LBB49_76
.LBB49_49:                              ;   in Loop: Header=BB49_38 Depth=1
	s_wait_alu 0xfffe
	s_or_b32 exec_lo, exec_lo, s1
	global_load_b128 v[45:48], v[89:90], off offset:5120
	s_and_saveexec_b32 s1, vcc_lo
	s_cbranch_execnz .LBB49_77
.LBB49_50:                              ;   in Loop: Header=BB49_38 Depth=1
	s_wait_alu 0xfffe
	s_or_b32 exec_lo, exec_lo, s1
	global_load_b128 v[49:52], v[89:90], off offset:5632
	s_and_saveexec_b32 s1, vcc_lo
	s_cbranch_execnz .LBB49_78
.LBB49_51:                              ;   in Loop: Header=BB49_38 Depth=1
	s_wait_alu 0xfffe
	s_or_b32 exec_lo, exec_lo, s1
	global_load_b128 v[53:56], v[89:90], off offset:6144
	s_and_saveexec_b32 s1, vcc_lo
	s_cbranch_execnz .LBB49_79
.LBB49_52:                              ;   in Loop: Header=BB49_38 Depth=1
	s_wait_alu 0xfffe
	s_or_b32 exec_lo, exec_lo, s1
	global_load_b128 v[57:60], v[89:90], off offset:6656
	s_and_saveexec_b32 s1, vcc_lo
	s_cbranch_execnz .LBB49_80
.LBB49_53:                              ;   in Loop: Header=BB49_38 Depth=1
	s_wait_alu 0xfffe
	s_or_b32 exec_lo, exec_lo, s1
	global_load_b128 v[61:64], v[89:90], off offset:7168
	s_and_saveexec_b32 s1, vcc_lo
	s_cbranch_execnz .LBB49_81
.LBB49_54:                              ;   in Loop: Header=BB49_38 Depth=1
	s_wait_alu 0xfffe
	s_or_b32 exec_lo, exec_lo, s1
	global_load_b128 v[65:68], v[89:90], off offset:7680
	s_and_saveexec_b32 s1, vcc_lo
	s_cbranch_execnz .LBB49_82
.LBB49_55:                              ;   in Loop: Header=BB49_38 Depth=1
	s_wait_alu 0xfffe
	s_or_b32 exec_lo, exec_lo, s1
	global_load_b128 v[69:72], v[89:90], off offset:8192
	s_and_saveexec_b32 s1, vcc_lo
	s_cbranch_execnz .LBB49_83
.LBB49_56:                              ;   in Loop: Header=BB49_38 Depth=1
	s_wait_alu 0xfffe
	s_or_b32 exec_lo, exec_lo, s1
	global_load_b128 v[73:76], v[89:90], off offset:8704
	s_and_saveexec_b32 s1, vcc_lo
	s_cbranch_execnz .LBB49_84
.LBB49_57:                              ;   in Loop: Header=BB49_38 Depth=1
	s_wait_alu 0xfffe
	s_or_b32 exec_lo, exec_lo, s1
	global_load_b128 v[77:80], v[89:90], off offset:9216
	s_and_saveexec_b32 s1, vcc_lo
	s_cbranch_execnz .LBB49_85
.LBB49_58:                              ;   in Loop: Header=BB49_38 Depth=1
	s_wait_alu 0xfffe
	s_or_b32 exec_lo, exec_lo, s1
	global_load_b128 v[81:84], v[89:90], off offset:9728
	s_and_saveexec_b32 s1, vcc_lo
	s_cbranch_execnz .LBB49_86
.LBB49_59:                              ;   in Loop: Header=BB49_38 Depth=1
	s_wait_alu 0xfffe
	s_or_b32 exec_lo, exec_lo, s1
	global_load_b128 v[85:88], v[89:90], off offset:10240
	s_and_saveexec_b32 s1, vcc_lo
	s_cbranch_execnz .LBB49_87
.LBB49_60:                              ;   in Loop: Header=BB49_38 Depth=1
	s_wait_alu 0xfffe
	s_or_b32 exec_lo, exec_lo, s1
	global_load_b128 v[93:96], v[89:90], off offset:10752
	s_and_saveexec_b32 s1, vcc_lo
	s_cbranch_execnz .LBB49_88
.LBB49_61:                              ;   in Loop: Header=BB49_38 Depth=1
	s_wait_alu 0xfffe
	s_or_b32 exec_lo, exec_lo, s1
	global_load_b128 v[97:100], v[89:90], off offset:11264
	s_and_saveexec_b32 s19, vcc_lo
	s_cbranch_execnz .LBB49_89
.LBB49_62:                              ;   in Loop: Header=BB49_38 Depth=1
	s_or_b32 exec_lo, exec_lo, s19
	global_load_b128 v[101:104], v[89:90], off offset:11776
	s_and_saveexec_b32 s1, vcc_lo
	s_cbranch_execnz .LBB49_90
.LBB49_63:                              ;   in Loop: Header=BB49_38 Depth=1
	s_wait_alu 0xfffe
	s_or_b32 exec_lo, exec_lo, s1
	global_load_b128 v[105:108], v[89:90], off offset:12288
	s_and_saveexec_b32 s1, vcc_lo
	s_cbranch_execnz .LBB49_91
.LBB49_64:                              ;   in Loop: Header=BB49_38 Depth=1
	s_wait_alu 0xfffe
	s_or_b32 exec_lo, exec_lo, s1
	global_load_b128 v[109:112], v[89:90], off offset:12800
	s_and_saveexec_b32 s1, vcc_lo
	s_cbranch_execnz .LBB49_92
.LBB49_65:                              ;   in Loop: Header=BB49_38 Depth=1
	s_wait_alu 0xfffe
	s_or_b32 exec_lo, exec_lo, s1
	global_load_b128 v[113:116], v[89:90], off offset:13312
	s_and_saveexec_b32 s1, vcc_lo
	s_cbranch_execnz .LBB49_93
.LBB49_66:                              ;   in Loop: Header=BB49_38 Depth=1
	s_wait_alu 0xfffe
	s_or_b32 exec_lo, exec_lo, s1
	global_load_b128 v[89:92], v[89:90], off offset:13824
	s_and_saveexec_b32 s0, vcc_lo
	s_cbranch_execz .LBB49_36
	s_branch .LBB49_94
.LBB49_67:                              ;   in Loop: Header=BB49_38 Depth=1
	v_cmp_gt_i32_e64 s0, s31, v159
	s_wait_loadcnt 0x0
	s_wait_alu 0xf1ff
	s_delay_alu instid0(VALU_DEP_1) | instskip(SKIP_2) | instid1(VALU_DEP_1)
	v_cndmask_b32_e64 v5, 0, v5, s0
	v_cmp_gt_i32_e64 s0, s31, v162
	s_wait_alu 0xf1ff
	v_cndmask_b32_e64 v6, 0, v6, s0
	v_cmp_gt_i32_e64 s0, s31, v161
	s_wait_alu 0xf1ff
	s_delay_alu instid0(VALU_DEP_1) | instskip(SKIP_2) | instid1(VALU_DEP_1)
	v_cndmask_b32_e64 v7, 0, v7, s0
	v_cmp_gt_i32_e64 s0, s31, v160
	s_wait_alu 0xf1ff
	v_cndmask_b32_e64 v8, 0, v8, s0
	s_wait_alu 0xfffe
	s_or_b32 exec_lo, exec_lo, s1
	global_load_b128 v[9:12], v[89:90], off offset:512
	s_and_saveexec_b32 s1, vcc_lo
	s_cbranch_execz .LBB49_41
.LBB49_68:                              ;   in Loop: Header=BB49_38 Depth=1
	v_cmp_gt_i32_e64 s0, s31, v159
	s_wait_loadcnt 0x0
	s_wait_alu 0xf1ff
	s_delay_alu instid0(VALU_DEP_1) | instskip(SKIP_2) | instid1(VALU_DEP_1)
	v_cndmask_b32_e64 v9, 0, v9, s0
	v_cmp_gt_i32_e64 s0, s31, v162
	s_wait_alu 0xf1ff
	v_cndmask_b32_e64 v10, 0, v10, s0
	v_cmp_gt_i32_e64 s0, s31, v161
	s_wait_alu 0xf1ff
	s_delay_alu instid0(VALU_DEP_1) | instskip(SKIP_2) | instid1(VALU_DEP_1)
	v_cndmask_b32_e64 v11, 0, v11, s0
	v_cmp_gt_i32_e64 s0, s31, v160
	s_wait_alu 0xf1ff
	v_cndmask_b32_e64 v12, 0, v12, s0
	s_wait_alu 0xfffe
	s_or_b32 exec_lo, exec_lo, s1
	global_load_b128 v[13:16], v[89:90], off offset:1024
	s_and_saveexec_b32 s1, vcc_lo
	s_cbranch_execz .LBB49_42
.LBB49_69:                              ;   in Loop: Header=BB49_38 Depth=1
	v_cmp_gt_i32_e64 s0, s31, v159
	s_wait_loadcnt 0x0
	s_wait_alu 0xf1ff
	s_delay_alu instid0(VALU_DEP_1) | instskip(SKIP_2) | instid1(VALU_DEP_1)
	v_cndmask_b32_e64 v13, 0, v13, s0
	v_cmp_gt_i32_e64 s0, s31, v162
	s_wait_alu 0xf1ff
	v_cndmask_b32_e64 v14, 0, v14, s0
	v_cmp_gt_i32_e64 s0, s31, v161
	s_wait_alu 0xf1ff
	s_delay_alu instid0(VALU_DEP_1) | instskip(SKIP_2) | instid1(VALU_DEP_1)
	v_cndmask_b32_e64 v15, 0, v15, s0
	v_cmp_gt_i32_e64 s0, s31, v160
	s_wait_alu 0xf1ff
	v_cndmask_b32_e64 v16, 0, v16, s0
	s_wait_alu 0xfffe
	s_or_b32 exec_lo, exec_lo, s1
	global_load_b128 v[17:20], v[89:90], off offset:1536
	s_and_saveexec_b32 s1, vcc_lo
	s_cbranch_execz .LBB49_43
.LBB49_70:                              ;   in Loop: Header=BB49_38 Depth=1
	v_cmp_gt_i32_e64 s0, s31, v159
	s_wait_loadcnt 0x0
	s_wait_alu 0xf1ff
	s_delay_alu instid0(VALU_DEP_1) | instskip(SKIP_2) | instid1(VALU_DEP_1)
	v_cndmask_b32_e64 v17, 0, v17, s0
	v_cmp_gt_i32_e64 s0, s31, v162
	s_wait_alu 0xf1ff
	v_cndmask_b32_e64 v18, 0, v18, s0
	v_cmp_gt_i32_e64 s0, s31, v161
	s_wait_alu 0xf1ff
	s_delay_alu instid0(VALU_DEP_1) | instskip(SKIP_2) | instid1(VALU_DEP_1)
	v_cndmask_b32_e64 v19, 0, v19, s0
	v_cmp_gt_i32_e64 s0, s31, v160
	s_wait_alu 0xf1ff
	v_cndmask_b32_e64 v20, 0, v20, s0
	s_wait_alu 0xfffe
	s_or_b32 exec_lo, exec_lo, s1
	global_load_b128 v[21:24], v[89:90], off offset:2048
	s_and_saveexec_b32 s1, vcc_lo
	s_cbranch_execz .LBB49_44
.LBB49_71:                              ;   in Loop: Header=BB49_38 Depth=1
	v_cmp_gt_i32_e64 s0, s31, v159
	s_wait_loadcnt 0x0
	s_wait_alu 0xf1ff
	s_delay_alu instid0(VALU_DEP_1) | instskip(SKIP_2) | instid1(VALU_DEP_1)
	v_cndmask_b32_e64 v21, 0, v21, s0
	v_cmp_gt_i32_e64 s0, s31, v162
	s_wait_alu 0xf1ff
	v_cndmask_b32_e64 v22, 0, v22, s0
	v_cmp_gt_i32_e64 s0, s31, v161
	s_wait_alu 0xf1ff
	s_delay_alu instid0(VALU_DEP_1) | instskip(SKIP_2) | instid1(VALU_DEP_1)
	v_cndmask_b32_e64 v23, 0, v23, s0
	v_cmp_gt_i32_e64 s0, s31, v160
	s_wait_alu 0xf1ff
	v_cndmask_b32_e64 v24, 0, v24, s0
	s_wait_alu 0xfffe
	s_or_b32 exec_lo, exec_lo, s1
	global_load_b128 v[25:28], v[89:90], off offset:2560
	s_and_saveexec_b32 s1, vcc_lo
	s_cbranch_execz .LBB49_45
.LBB49_72:                              ;   in Loop: Header=BB49_38 Depth=1
	v_cmp_gt_i32_e64 s0, s31, v159
	s_wait_loadcnt 0x0
	s_wait_alu 0xf1ff
	s_delay_alu instid0(VALU_DEP_1) | instskip(SKIP_2) | instid1(VALU_DEP_1)
	v_cndmask_b32_e64 v25, 0, v25, s0
	v_cmp_gt_i32_e64 s0, s31, v162
	s_wait_alu 0xf1ff
	v_cndmask_b32_e64 v26, 0, v26, s0
	v_cmp_gt_i32_e64 s0, s31, v161
	s_wait_alu 0xf1ff
	s_delay_alu instid0(VALU_DEP_1) | instskip(SKIP_2) | instid1(VALU_DEP_1)
	v_cndmask_b32_e64 v27, 0, v27, s0
	v_cmp_gt_i32_e64 s0, s31, v160
	s_wait_alu 0xf1ff
	v_cndmask_b32_e64 v28, 0, v28, s0
	s_wait_alu 0xfffe
	s_or_b32 exec_lo, exec_lo, s1
	global_load_b128 v[29:32], v[89:90], off offset:3072
	s_and_saveexec_b32 s1, vcc_lo
	s_cbranch_execz .LBB49_46
.LBB49_73:                              ;   in Loop: Header=BB49_38 Depth=1
	v_cmp_gt_i32_e64 s0, s31, v159
	s_wait_loadcnt 0x0
	s_wait_alu 0xf1ff
	s_delay_alu instid0(VALU_DEP_1) | instskip(SKIP_2) | instid1(VALU_DEP_1)
	v_cndmask_b32_e64 v29, 0, v29, s0
	v_cmp_gt_i32_e64 s0, s31, v162
	s_wait_alu 0xf1ff
	v_cndmask_b32_e64 v30, 0, v30, s0
	v_cmp_gt_i32_e64 s0, s31, v161
	s_wait_alu 0xf1ff
	s_delay_alu instid0(VALU_DEP_1) | instskip(SKIP_2) | instid1(VALU_DEP_1)
	v_cndmask_b32_e64 v31, 0, v31, s0
	v_cmp_gt_i32_e64 s0, s31, v160
	s_wait_alu 0xf1ff
	v_cndmask_b32_e64 v32, 0, v32, s0
	s_wait_alu 0xfffe
	s_or_b32 exec_lo, exec_lo, s1
	global_load_b128 v[33:36], v[89:90], off offset:3584
	s_and_saveexec_b32 s1, vcc_lo
	s_cbranch_execz .LBB49_47
.LBB49_74:                              ;   in Loop: Header=BB49_38 Depth=1
	v_cmp_gt_i32_e64 s0, s31, v159
	s_wait_loadcnt 0x0
	s_wait_alu 0xf1ff
	s_delay_alu instid0(VALU_DEP_1) | instskip(SKIP_2) | instid1(VALU_DEP_1)
	v_cndmask_b32_e64 v33, 0, v33, s0
	v_cmp_gt_i32_e64 s0, s31, v162
	s_wait_alu 0xf1ff
	v_cndmask_b32_e64 v34, 0, v34, s0
	v_cmp_gt_i32_e64 s0, s31, v161
	s_wait_alu 0xf1ff
	s_delay_alu instid0(VALU_DEP_1) | instskip(SKIP_2) | instid1(VALU_DEP_1)
	v_cndmask_b32_e64 v35, 0, v35, s0
	v_cmp_gt_i32_e64 s0, s31, v160
	s_wait_alu 0xf1ff
	v_cndmask_b32_e64 v36, 0, v36, s0
	s_wait_alu 0xfffe
	s_or_b32 exec_lo, exec_lo, s1
	global_load_b128 v[37:40], v[89:90], off offset:4096
	s_and_saveexec_b32 s1, vcc_lo
	s_cbranch_execz .LBB49_48
.LBB49_75:                              ;   in Loop: Header=BB49_38 Depth=1
	v_cmp_gt_i32_e64 s0, s31, v159
	s_wait_loadcnt 0x0
	s_wait_alu 0xf1ff
	s_delay_alu instid0(VALU_DEP_1) | instskip(SKIP_2) | instid1(VALU_DEP_1)
	v_cndmask_b32_e64 v37, 0, v37, s0
	v_cmp_gt_i32_e64 s0, s31, v162
	s_wait_alu 0xf1ff
	v_cndmask_b32_e64 v38, 0, v38, s0
	v_cmp_gt_i32_e64 s0, s31, v161
	s_wait_alu 0xf1ff
	s_delay_alu instid0(VALU_DEP_1) | instskip(SKIP_2) | instid1(VALU_DEP_1)
	v_cndmask_b32_e64 v39, 0, v39, s0
	v_cmp_gt_i32_e64 s0, s31, v160
	s_wait_alu 0xf1ff
	v_cndmask_b32_e64 v40, 0, v40, s0
	s_wait_alu 0xfffe
	s_or_b32 exec_lo, exec_lo, s1
	global_load_b128 v[41:44], v[89:90], off offset:4608
	s_and_saveexec_b32 s1, vcc_lo
	s_cbranch_execz .LBB49_49
.LBB49_76:                              ;   in Loop: Header=BB49_38 Depth=1
	v_cmp_gt_i32_e64 s0, s31, v159
	s_wait_loadcnt 0x0
	s_wait_alu 0xf1ff
	s_delay_alu instid0(VALU_DEP_1) | instskip(SKIP_2) | instid1(VALU_DEP_1)
	v_cndmask_b32_e64 v41, 0, v41, s0
	v_cmp_gt_i32_e64 s0, s31, v162
	s_wait_alu 0xf1ff
	v_cndmask_b32_e64 v42, 0, v42, s0
	v_cmp_gt_i32_e64 s0, s31, v161
	s_wait_alu 0xf1ff
	s_delay_alu instid0(VALU_DEP_1) | instskip(SKIP_2) | instid1(VALU_DEP_1)
	v_cndmask_b32_e64 v43, 0, v43, s0
	v_cmp_gt_i32_e64 s0, s31, v160
	s_wait_alu 0xf1ff
	v_cndmask_b32_e64 v44, 0, v44, s0
	s_wait_alu 0xfffe
	s_or_b32 exec_lo, exec_lo, s1
	global_load_b128 v[45:48], v[89:90], off offset:5120
	s_and_saveexec_b32 s1, vcc_lo
	s_cbranch_execz .LBB49_50
.LBB49_77:                              ;   in Loop: Header=BB49_38 Depth=1
	v_cmp_gt_i32_e64 s0, s31, v159
	s_wait_loadcnt 0x0
	s_wait_alu 0xf1ff
	s_delay_alu instid0(VALU_DEP_1) | instskip(SKIP_2) | instid1(VALU_DEP_1)
	v_cndmask_b32_e64 v45, 0, v45, s0
	v_cmp_gt_i32_e64 s0, s31, v162
	s_wait_alu 0xf1ff
	v_cndmask_b32_e64 v46, 0, v46, s0
	v_cmp_gt_i32_e64 s0, s31, v161
	s_wait_alu 0xf1ff
	s_delay_alu instid0(VALU_DEP_1) | instskip(SKIP_2) | instid1(VALU_DEP_1)
	v_cndmask_b32_e64 v47, 0, v47, s0
	v_cmp_gt_i32_e64 s0, s31, v160
	s_wait_alu 0xf1ff
	v_cndmask_b32_e64 v48, 0, v48, s0
	s_wait_alu 0xfffe
	s_or_b32 exec_lo, exec_lo, s1
	global_load_b128 v[49:52], v[89:90], off offset:5632
	s_and_saveexec_b32 s1, vcc_lo
	s_cbranch_execz .LBB49_51
.LBB49_78:                              ;   in Loop: Header=BB49_38 Depth=1
	v_cmp_gt_i32_e64 s0, s31, v159
	s_wait_loadcnt 0x0
	s_wait_alu 0xf1ff
	s_delay_alu instid0(VALU_DEP_1) | instskip(SKIP_2) | instid1(VALU_DEP_1)
	v_cndmask_b32_e64 v49, 0, v49, s0
	v_cmp_gt_i32_e64 s0, s31, v162
	s_wait_alu 0xf1ff
	v_cndmask_b32_e64 v50, 0, v50, s0
	v_cmp_gt_i32_e64 s0, s31, v161
	s_wait_alu 0xf1ff
	s_delay_alu instid0(VALU_DEP_1) | instskip(SKIP_2) | instid1(VALU_DEP_1)
	v_cndmask_b32_e64 v51, 0, v51, s0
	v_cmp_gt_i32_e64 s0, s31, v160
	s_wait_alu 0xf1ff
	v_cndmask_b32_e64 v52, 0, v52, s0
	s_wait_alu 0xfffe
	s_or_b32 exec_lo, exec_lo, s1
	global_load_b128 v[53:56], v[89:90], off offset:6144
	s_and_saveexec_b32 s1, vcc_lo
	s_cbranch_execz .LBB49_52
.LBB49_79:                              ;   in Loop: Header=BB49_38 Depth=1
	v_cmp_gt_i32_e64 s0, s31, v159
	s_wait_loadcnt 0x0
	s_wait_alu 0xf1ff
	s_delay_alu instid0(VALU_DEP_1) | instskip(SKIP_2) | instid1(VALU_DEP_1)
	v_cndmask_b32_e64 v53, 0, v53, s0
	v_cmp_gt_i32_e64 s0, s31, v162
	s_wait_alu 0xf1ff
	v_cndmask_b32_e64 v54, 0, v54, s0
	v_cmp_gt_i32_e64 s0, s31, v161
	s_wait_alu 0xf1ff
	s_delay_alu instid0(VALU_DEP_1) | instskip(SKIP_2) | instid1(VALU_DEP_1)
	v_cndmask_b32_e64 v55, 0, v55, s0
	v_cmp_gt_i32_e64 s0, s31, v160
	s_wait_alu 0xf1ff
	v_cndmask_b32_e64 v56, 0, v56, s0
	s_wait_alu 0xfffe
	s_or_b32 exec_lo, exec_lo, s1
	global_load_b128 v[57:60], v[89:90], off offset:6656
	s_and_saveexec_b32 s1, vcc_lo
	s_cbranch_execz .LBB49_53
.LBB49_80:                              ;   in Loop: Header=BB49_38 Depth=1
	v_cmp_gt_i32_e64 s0, s31, v159
	s_wait_loadcnt 0x0
	s_wait_alu 0xf1ff
	s_delay_alu instid0(VALU_DEP_1) | instskip(SKIP_2) | instid1(VALU_DEP_1)
	v_cndmask_b32_e64 v57, 0, v57, s0
	v_cmp_gt_i32_e64 s0, s31, v162
	s_wait_alu 0xf1ff
	v_cndmask_b32_e64 v58, 0, v58, s0
	v_cmp_gt_i32_e64 s0, s31, v161
	s_wait_alu 0xf1ff
	s_delay_alu instid0(VALU_DEP_1) | instskip(SKIP_2) | instid1(VALU_DEP_1)
	v_cndmask_b32_e64 v59, 0, v59, s0
	v_cmp_gt_i32_e64 s0, s31, v160
	s_wait_alu 0xf1ff
	v_cndmask_b32_e64 v60, 0, v60, s0
	s_wait_alu 0xfffe
	s_or_b32 exec_lo, exec_lo, s1
	global_load_b128 v[61:64], v[89:90], off offset:7168
	s_and_saveexec_b32 s1, vcc_lo
	s_cbranch_execz .LBB49_54
.LBB49_81:                              ;   in Loop: Header=BB49_38 Depth=1
	v_cmp_gt_i32_e64 s0, s31, v159
	s_wait_loadcnt 0x0
	s_wait_alu 0xf1ff
	s_delay_alu instid0(VALU_DEP_1) | instskip(SKIP_2) | instid1(VALU_DEP_1)
	v_cndmask_b32_e64 v61, 0, v61, s0
	v_cmp_gt_i32_e64 s0, s31, v162
	s_wait_alu 0xf1ff
	v_cndmask_b32_e64 v62, 0, v62, s0
	v_cmp_gt_i32_e64 s0, s31, v161
	s_wait_alu 0xf1ff
	s_delay_alu instid0(VALU_DEP_1) | instskip(SKIP_2) | instid1(VALU_DEP_1)
	v_cndmask_b32_e64 v63, 0, v63, s0
	v_cmp_gt_i32_e64 s0, s31, v160
	s_wait_alu 0xf1ff
	v_cndmask_b32_e64 v64, 0, v64, s0
	s_wait_alu 0xfffe
	s_or_b32 exec_lo, exec_lo, s1
	global_load_b128 v[65:68], v[89:90], off offset:7680
	s_and_saveexec_b32 s1, vcc_lo
	s_cbranch_execz .LBB49_55
.LBB49_82:                              ;   in Loop: Header=BB49_38 Depth=1
	v_cmp_gt_i32_e64 s0, s31, v159
	s_wait_loadcnt 0x0
	s_wait_alu 0xf1ff
	s_delay_alu instid0(VALU_DEP_1) | instskip(SKIP_2) | instid1(VALU_DEP_1)
	v_cndmask_b32_e64 v65, 0, v65, s0
	v_cmp_gt_i32_e64 s0, s31, v162
	s_wait_alu 0xf1ff
	v_cndmask_b32_e64 v66, 0, v66, s0
	v_cmp_gt_i32_e64 s0, s31, v161
	s_wait_alu 0xf1ff
	s_delay_alu instid0(VALU_DEP_1) | instskip(SKIP_2) | instid1(VALU_DEP_1)
	v_cndmask_b32_e64 v67, 0, v67, s0
	v_cmp_gt_i32_e64 s0, s31, v160
	s_wait_alu 0xf1ff
	v_cndmask_b32_e64 v68, 0, v68, s0
	s_wait_alu 0xfffe
	s_or_b32 exec_lo, exec_lo, s1
	global_load_b128 v[69:72], v[89:90], off offset:8192
	s_and_saveexec_b32 s1, vcc_lo
	s_cbranch_execz .LBB49_56
.LBB49_83:                              ;   in Loop: Header=BB49_38 Depth=1
	v_cmp_gt_i32_e64 s0, s31, v159
	s_wait_loadcnt 0x0
	s_wait_alu 0xf1ff
	s_delay_alu instid0(VALU_DEP_1) | instskip(SKIP_2) | instid1(VALU_DEP_1)
	v_cndmask_b32_e64 v69, 0, v69, s0
	v_cmp_gt_i32_e64 s0, s31, v162
	s_wait_alu 0xf1ff
	v_cndmask_b32_e64 v70, 0, v70, s0
	v_cmp_gt_i32_e64 s0, s31, v161
	s_wait_alu 0xf1ff
	s_delay_alu instid0(VALU_DEP_1) | instskip(SKIP_2) | instid1(VALU_DEP_1)
	v_cndmask_b32_e64 v71, 0, v71, s0
	v_cmp_gt_i32_e64 s0, s31, v160
	s_wait_alu 0xf1ff
	v_cndmask_b32_e64 v72, 0, v72, s0
	s_wait_alu 0xfffe
	s_or_b32 exec_lo, exec_lo, s1
	global_load_b128 v[73:76], v[89:90], off offset:8704
	s_and_saveexec_b32 s1, vcc_lo
	s_cbranch_execz .LBB49_57
.LBB49_84:                              ;   in Loop: Header=BB49_38 Depth=1
	v_cmp_gt_i32_e64 s0, s31, v159
	s_wait_loadcnt 0x0
	s_wait_alu 0xf1ff
	s_delay_alu instid0(VALU_DEP_1) | instskip(SKIP_2) | instid1(VALU_DEP_1)
	v_cndmask_b32_e64 v73, 0, v73, s0
	v_cmp_gt_i32_e64 s0, s31, v162
	s_wait_alu 0xf1ff
	v_cndmask_b32_e64 v74, 0, v74, s0
	v_cmp_gt_i32_e64 s0, s31, v161
	s_wait_alu 0xf1ff
	s_delay_alu instid0(VALU_DEP_1) | instskip(SKIP_2) | instid1(VALU_DEP_1)
	v_cndmask_b32_e64 v75, 0, v75, s0
	v_cmp_gt_i32_e64 s0, s31, v160
	s_wait_alu 0xf1ff
	v_cndmask_b32_e64 v76, 0, v76, s0
	s_wait_alu 0xfffe
	s_or_b32 exec_lo, exec_lo, s1
	global_load_b128 v[77:80], v[89:90], off offset:9216
	s_and_saveexec_b32 s1, vcc_lo
	s_cbranch_execz .LBB49_58
.LBB49_85:                              ;   in Loop: Header=BB49_38 Depth=1
	v_cmp_gt_i32_e64 s0, s31, v159
	s_wait_loadcnt 0x0
	s_wait_alu 0xf1ff
	s_delay_alu instid0(VALU_DEP_1) | instskip(SKIP_2) | instid1(VALU_DEP_1)
	v_cndmask_b32_e64 v77, 0, v77, s0
	v_cmp_gt_i32_e64 s0, s31, v162
	s_wait_alu 0xf1ff
	v_cndmask_b32_e64 v78, 0, v78, s0
	v_cmp_gt_i32_e64 s0, s31, v161
	s_wait_alu 0xf1ff
	s_delay_alu instid0(VALU_DEP_1) | instskip(SKIP_2) | instid1(VALU_DEP_1)
	v_cndmask_b32_e64 v79, 0, v79, s0
	v_cmp_gt_i32_e64 s0, s31, v160
	s_wait_alu 0xf1ff
	v_cndmask_b32_e64 v80, 0, v80, s0
	s_wait_alu 0xfffe
	s_or_b32 exec_lo, exec_lo, s1
	global_load_b128 v[81:84], v[89:90], off offset:9728
	s_and_saveexec_b32 s1, vcc_lo
	s_cbranch_execz .LBB49_59
.LBB49_86:                              ;   in Loop: Header=BB49_38 Depth=1
	v_cmp_gt_i32_e64 s0, s31, v159
	s_wait_loadcnt 0x0
	s_wait_alu 0xf1ff
	s_delay_alu instid0(VALU_DEP_1) | instskip(SKIP_2) | instid1(VALU_DEP_1)
	v_cndmask_b32_e64 v81, 0, v81, s0
	v_cmp_gt_i32_e64 s0, s31, v162
	s_wait_alu 0xf1ff
	v_cndmask_b32_e64 v82, 0, v82, s0
	v_cmp_gt_i32_e64 s0, s31, v161
	s_wait_alu 0xf1ff
	s_delay_alu instid0(VALU_DEP_1) | instskip(SKIP_2) | instid1(VALU_DEP_1)
	v_cndmask_b32_e64 v83, 0, v83, s0
	v_cmp_gt_i32_e64 s0, s31, v160
	s_wait_alu 0xf1ff
	v_cndmask_b32_e64 v84, 0, v84, s0
	s_wait_alu 0xfffe
	s_or_b32 exec_lo, exec_lo, s1
	global_load_b128 v[85:88], v[89:90], off offset:10240
	s_and_saveexec_b32 s1, vcc_lo
	s_cbranch_execz .LBB49_60
.LBB49_87:                              ;   in Loop: Header=BB49_38 Depth=1
	v_cmp_gt_i32_e64 s0, s31, v159
	s_wait_loadcnt 0x0
	s_wait_alu 0xf1ff
	s_delay_alu instid0(VALU_DEP_1) | instskip(SKIP_2) | instid1(VALU_DEP_1)
	v_cndmask_b32_e64 v85, 0, v85, s0
	v_cmp_gt_i32_e64 s0, s31, v162
	s_wait_alu 0xf1ff
	v_cndmask_b32_e64 v86, 0, v86, s0
	v_cmp_gt_i32_e64 s0, s31, v161
	s_wait_alu 0xf1ff
	s_delay_alu instid0(VALU_DEP_1) | instskip(SKIP_2) | instid1(VALU_DEP_1)
	v_cndmask_b32_e64 v87, 0, v87, s0
	v_cmp_gt_i32_e64 s0, s31, v160
	s_wait_alu 0xf1ff
	v_cndmask_b32_e64 v88, 0, v88, s0
	s_wait_alu 0xfffe
	s_or_b32 exec_lo, exec_lo, s1
	global_load_b128 v[93:96], v[89:90], off offset:10752
	s_and_saveexec_b32 s1, vcc_lo
	s_cbranch_execz .LBB49_61
.LBB49_88:                              ;   in Loop: Header=BB49_38 Depth=1
	v_cmp_gt_i32_e64 s0, s31, v159
	s_wait_loadcnt 0x0
	s_wait_alu 0xf1ff
	s_delay_alu instid0(VALU_DEP_1) | instskip(SKIP_2) | instid1(VALU_DEP_1)
	v_cndmask_b32_e64 v93, 0, v93, s0
	v_cmp_gt_i32_e64 s0, s31, v162
	s_wait_alu 0xf1ff
	v_cndmask_b32_e64 v94, 0, v94, s0
	v_cmp_gt_i32_e64 s0, s31, v161
	s_wait_alu 0xf1ff
	s_delay_alu instid0(VALU_DEP_1) | instskip(SKIP_2) | instid1(VALU_DEP_1)
	v_cndmask_b32_e64 v95, 0, v95, s0
	v_cmp_gt_i32_e64 s0, s31, v160
	s_wait_alu 0xf1ff
	v_cndmask_b32_e64 v96, 0, v96, s0
	s_wait_alu 0xfffe
	s_or_b32 exec_lo, exec_lo, s1
	global_load_b128 v[97:100], v[89:90], off offset:11264
	s_and_saveexec_b32 s19, vcc_lo
	s_cbranch_execz .LBB49_62
.LBB49_89:                              ;   in Loop: Header=BB49_38 Depth=1
	v_cmp_gt_i32_e64 s0, s31, v159
	v_cmp_gt_i32_e64 s1, s31, v162
	;; [unrolled: 1-line block ×4, first 2 shown]
	s_wait_loadcnt 0x0
	s_wait_alu 0xf1ff
	v_cndmask_b32_e64 v97, 0, v97, s0
	v_cndmask_b32_e64 v98, 0, v98, s1
	;; [unrolled: 1-line block ×4, first 2 shown]
	s_or_b32 exec_lo, exec_lo, s19
	global_load_b128 v[101:104], v[89:90], off offset:11776
	s_and_saveexec_b32 s1, vcc_lo
	s_cbranch_execz .LBB49_63
.LBB49_90:                              ;   in Loop: Header=BB49_38 Depth=1
	v_cmp_gt_i32_e64 s0, s31, v159
	s_wait_loadcnt 0x0
	s_wait_alu 0xf1ff
	s_delay_alu instid0(VALU_DEP_1) | instskip(SKIP_2) | instid1(VALU_DEP_1)
	v_cndmask_b32_e64 v101, 0, v101, s0
	v_cmp_gt_i32_e64 s0, s31, v162
	s_wait_alu 0xf1ff
	v_cndmask_b32_e64 v102, 0, v102, s0
	v_cmp_gt_i32_e64 s0, s31, v161
	s_wait_alu 0xf1ff
	s_delay_alu instid0(VALU_DEP_1) | instskip(SKIP_2) | instid1(VALU_DEP_1)
	v_cndmask_b32_e64 v103, 0, v103, s0
	v_cmp_gt_i32_e64 s0, s31, v160
	s_wait_alu 0xf1ff
	v_cndmask_b32_e64 v104, 0, v104, s0
	s_wait_alu 0xfffe
	s_or_b32 exec_lo, exec_lo, s1
	global_load_b128 v[105:108], v[89:90], off offset:12288
	s_and_saveexec_b32 s1, vcc_lo
	s_cbranch_execz .LBB49_64
.LBB49_91:                              ;   in Loop: Header=BB49_38 Depth=1
	v_cmp_gt_i32_e64 s0, s31, v159
	s_wait_loadcnt 0x0
	s_wait_alu 0xf1ff
	s_delay_alu instid0(VALU_DEP_1) | instskip(SKIP_2) | instid1(VALU_DEP_1)
	v_cndmask_b32_e64 v105, 0, v105, s0
	v_cmp_gt_i32_e64 s0, s31, v162
	s_wait_alu 0xf1ff
	v_cndmask_b32_e64 v106, 0, v106, s0
	v_cmp_gt_i32_e64 s0, s31, v161
	s_wait_alu 0xf1ff
	s_delay_alu instid0(VALU_DEP_1) | instskip(SKIP_2) | instid1(VALU_DEP_1)
	v_cndmask_b32_e64 v107, 0, v107, s0
	v_cmp_gt_i32_e64 s0, s31, v160
	s_wait_alu 0xf1ff
	v_cndmask_b32_e64 v108, 0, v108, s0
	s_wait_alu 0xfffe
	s_or_b32 exec_lo, exec_lo, s1
	global_load_b128 v[109:112], v[89:90], off offset:12800
	s_and_saveexec_b32 s1, vcc_lo
	s_cbranch_execz .LBB49_65
.LBB49_92:                              ;   in Loop: Header=BB49_38 Depth=1
	v_cmp_gt_i32_e64 s0, s31, v159
	s_wait_loadcnt 0x0
	s_wait_alu 0xf1ff
	s_delay_alu instid0(VALU_DEP_1) | instskip(SKIP_2) | instid1(VALU_DEP_1)
	v_cndmask_b32_e64 v109, 0, v109, s0
	v_cmp_gt_i32_e64 s0, s31, v162
	s_wait_alu 0xf1ff
	v_cndmask_b32_e64 v110, 0, v110, s0
	v_cmp_gt_i32_e64 s0, s31, v161
	s_wait_alu 0xf1ff
	s_delay_alu instid0(VALU_DEP_1) | instskip(SKIP_2) | instid1(VALU_DEP_1)
	v_cndmask_b32_e64 v111, 0, v111, s0
	v_cmp_gt_i32_e64 s0, s31, v160
	s_wait_alu 0xf1ff
	v_cndmask_b32_e64 v112, 0, v112, s0
	s_wait_alu 0xfffe
	s_or_b32 exec_lo, exec_lo, s1
	global_load_b128 v[113:116], v[89:90], off offset:13312
	s_and_saveexec_b32 s1, vcc_lo
	s_cbranch_execz .LBB49_66
.LBB49_93:                              ;   in Loop: Header=BB49_38 Depth=1
	v_cmp_gt_i32_e64 s0, s31, v159
	s_wait_loadcnt 0x0
	s_wait_alu 0xf1ff
	s_delay_alu instid0(VALU_DEP_1) | instskip(SKIP_2) | instid1(VALU_DEP_1)
	v_cndmask_b32_e64 v113, 0, v113, s0
	v_cmp_gt_i32_e64 s0, s31, v162
	s_wait_alu 0xf1ff
	v_cndmask_b32_e64 v114, 0, v114, s0
	v_cmp_gt_i32_e64 s0, s31, v161
	s_wait_alu 0xf1ff
	s_delay_alu instid0(VALU_DEP_1) | instskip(SKIP_2) | instid1(VALU_DEP_1)
	v_cndmask_b32_e64 v115, 0, v115, s0
	v_cmp_gt_i32_e64 s0, s31, v160
	s_wait_alu 0xf1ff
	v_cndmask_b32_e64 v116, 0, v116, s0
	s_wait_alu 0xfffe
	s_or_b32 exec_lo, exec_lo, s1
	global_load_b128 v[89:92], v[89:90], off offset:13824
	s_and_saveexec_b32 s0, vcc_lo
	s_cbranch_execz .LBB49_36
.LBB49_94:                              ;   in Loop: Header=BB49_38 Depth=1
	v_cmp_gt_i32_e32 vcc_lo, s31, v159
	s_wait_loadcnt 0x0
	s_wait_alu 0xfffd
	v_cndmask_b32_e32 v89, 0, v89, vcc_lo
	v_cmp_gt_i32_e32 vcc_lo, s31, v162
	s_wait_alu 0xfffd
	v_cndmask_b32_e32 v90, 0, v90, vcc_lo
	v_cmp_gt_i32_e32 vcc_lo, s31, v161
	;; [unrolled: 3-line block ×3, first 2 shown]
	s_wait_alu 0xfffd
	v_cndmask_b32_e32 v92, 0, v92, vcc_lo
	s_branch .LBB49_36
.LBB49_95:
	s_or_b32 exec_lo, exec_lo, s10
.LBB49_96:
	s_wait_alu 0xfffe
	s_or_b32 exec_lo, exec_lo, s4
	ds_bpermute_b32 v1, v125, v153
	ds_bpermute_b32 v3, v125, v152
	;; [unrolled: 1-line block ×20, first 2 shown]
	s_wait_dscnt 0x13
	v_add_f32_e32 v1, v153, v1
	s_wait_dscnt 0x11
	v_dual_add_f32 v3, v152, v3 :: v_dual_add_f32 v4, v151, v4
	s_wait_dscnt 0x10
	v_add_f32_e32 v5, v150, v5
	s_wait_dscnt 0xf
	v_add_f32_e32 v2, v154, v2
	s_wait_dscnt 0xd
	v_dual_add_f32 v6, v149, v6 :: v_dual_add_f32 v7, v148, v7
	s_wait_dscnt 0xc
	v_add_f32_e32 v8, v147, v8
	ds_bpermute_b32 v11, v124, v1
	ds_bpermute_b32 v13, v124, v3
	;; [unrolled: 1-line block ×8, first 2 shown]
	s_wait_dscnt 0x12
	v_dual_add_f32 v9, v146, v9 :: v_dual_add_f32 v10, v145, v10
	s_wait_dscnt 0x10
	v_dual_add_f32 v19, v144, v19 :: v_dual_add_f32 v20, v143, v20
	;; [unrolled: 2-line block ×3, first 2 shown]
	ds_bpermute_b32 v24, v124, v9
	ds_bpermute_b32 v25, v124, v10
	;; [unrolled: 1-line block ×5, first 2 shown]
	s_wait_dscnt 0x12
	v_add_f32_e32 v23, v140, v23
	s_wait_dscnt 0xc
	v_add_f32_e32 v1, v1, v11
	s_wait_dscnt 0xa
	v_dual_add_f32 v3, v3, v13 :: v_dual_add_f32 v4, v4, v14
	s_wait_dscnt 0x8
	v_dual_add_f32 v5, v5, v15 :: v_dual_add_f32 v2, v2, v12
	;; [unrolled: 2-line block ×3, first 2 shown]
	s_wait_dscnt 0x5
	v_add_f32_e32 v8, v8, v18
	ds_bpermute_b32 v11, v123, v1
	ds_bpermute_b32 v14, v123, v4
	ds_bpermute_b32 v15, v123, v5
	ds_bpermute_b32 v13, v123, v3
	ds_bpermute_b32 v16, v123, v6
	ds_bpermute_b32 v17, v123, v7
	ds_bpermute_b32 v18, v123, v8
	ds_bpermute_b32 v12, v123, v2
	ds_bpermute_b32 v30, v124, v22
	s_wait_dscnt 0xc
	v_dual_add_f32 v9, v9, v24 :: v_dual_add_f32 v10, v10, v25
	ds_bpermute_b32 v24, v125, v135
	v_dual_add_f32 v35, v128, v35 :: v_dual_add_f32 v36, v127, v36
	s_mov_b32 s0, exec_lo
	s_wait_storecnt 0x0
	s_wait_loadcnt_dscnt 0x0
	s_barrier_signal -1
	s_barrier_wait -1
	ds_bpermute_b32 v45, v124, v36
	s_wait_dscnt 0x0
	global_inv scope:SCOPE_SE
	v_dual_add_f32 v1, v1, v11 :: v_dual_add_f32 v4, v4, v14
	v_add_f32_e32 v5, v5, v15
	ds_bpermute_b32 v11, v125, v138
	ds_bpermute_b32 v14, v124, v23
	;; [unrolled: 1-line block ×3, first 2 shown]
	v_dual_add_f32 v3, v3, v13 :: v_dual_add_f32 v6, v6, v16
	v_dual_add_f32 v7, v7, v17 :: v_dual_add_f32 v22, v22, v30
	v_dual_add_f32 v16, v19, v27 :: v_dual_add_f32 v17, v20, v28
	ds_bpermute_b32 v20, v125, v136
	v_add_f32_e32 v8, v8, v18
	v_dual_add_f32 v18, v21, v29 :: v_dual_add_f32 v19, v139, v26
	ds_bpermute_b32 v29, v125, v133
	ds_bpermute_b32 v28, v125, v134
	;; [unrolled: 1-line block ×3, first 2 shown]
	v_add_f32_e32 v24, v135, v24
	ds_bpermute_b32 v26, v124, v19
	v_dual_add_f32 v31, v131, v31 :: v_dual_add_f32 v2, v2, v12
	s_wait_dscnt 0x7
	v_add_f32_e32 v11, v138, v11
	s_wait_dscnt 0x5
	v_dual_add_f32 v23, v23, v14 :: v_dual_add_f32 v14, v137, v15
	ds_bpermute_b32 v15, v125, v129
	v_add_f32_e32 v32, v130, v32
	ds_bpermute_b32 v43, v124, v31
	ds_bpermute_b32 v12, v123, v9
	;; [unrolled: 1-line block ×4, first 2 shown]
	s_wait_dscnt 0x9
	v_add_f32_e32 v20, v136, v20
	ds_bpermute_b32 v34, v124, v11
	ds_bpermute_b32 v21, v123, v16
	ds_bpermute_b32 v27, v123, v18
	s_wait_dscnt 0xa
	v_dual_add_f32 v29, v133, v29 :: v_dual_add_f32 v28, v134, v28
	s_wait_dscnt 0x9
	v_add_f32_e32 v30, v132, v30
	ds_bpermute_b32 v39, v124, v24
	s_wait_dscnt 0x9
	v_add_f32_e32 v19, v19, v26
	ds_bpermute_b32 v26, v124, v20
	ds_bpermute_b32 v41, v124, v29
	;; [unrolled: 1-line block ×5, first 2 shown]
	s_wait_dscnt 0xd
	v_add_f32_e32 v15, v129, v15
	ds_bpermute_b32 v44, v124, v32
	ds_bpermute_b32 v33, v123, v22
	s_wait_dscnt 0xe
	v_add_f32_e32 v31, v31, v43
	s_wait_dscnt 0xc
	v_add_f32_e32 v37, v14, v37
	ds_bpermute_b32 v14, v124, v35
	v_add_f32_e32 v36, v36, v45
	s_wait_dscnt 0xb
	v_add_f32_e32 v34, v11, v34
	ds_bpermute_b32 v11, v124, v15
	ds_bpermute_b32 v25, v123, v17
	;; [unrolled: 1-line block ×3, first 2 shown]
	s_wait_dscnt 0xb
	v_dual_add_f32 v9, v9, v12 :: v_dual_add_f32 v24, v24, v39
	ds_bpermute_b32 v39, v123, v34
	s_wait_dscnt 0xa
	v_dual_add_f32 v20, v20, v26 :: v_dual_add_f32 v29, v29, v41
	s_wait_dscnt 0x9
	v_add_f32_e32 v28, v28, v40
	s_wait_dscnt 0x8
	v_add_f32_e32 v30, v30, v42
	ds_bpermute_b32 v26, v123, v19
	ds_bpermute_b32 v47, v123, v20
	s_wait_dscnt 0x8
	v_add_f32_e32 v32, v32, v44
	ds_bpermute_b32 v42, v123, v29
	ds_bpermute_b32 v41, v123, v28
	;; [unrolled: 1-line block ×3, first 2 shown]
	s_wait_dscnt 0x9
	v_add_f32_e32 v35, v35, v14
	ds_bpermute_b32 v40, v123, v24
	ds_bpermute_b32 v44, v123, v31
	s_wait_dscnt 0xa
	v_dual_add_f32 v48, v15, v11 :: v_dual_add_f32 v11, v16, v21
	v_add_f32_e32 v10, v10, v13
	ds_bpermute_b32 v50, v123, v35
	v_add_f32_e32 v13, v18, v27
	ds_bpermute_b32 v49, v123, v32
	ds_bpermute_b32 v45, v123, v48
	v_add_f32_e32 v15, v23, v38
	ds_bpermute_b32 v51, v123, v36
	v_add_f32_e32 v14, v22, v33
	s_wait_dscnt 0xb
	v_dual_add_f32 v12, v17, v25 :: v_dual_add_f32 v17, v34, v39
	s_wait_dscnt 0xa
	v_add_f32_e32 v16, v19, v26
	v_add_f32_e32 v18, v37, v46
	s_wait_dscnt 0x8
	v_add_f32_e32 v22, v29, v42
	v_lshrrev_b32_e32 v29, 3, v120
	v_add_f32_e32 v19, v20, v47
	s_wait_dscnt 0x7
	v_add_f32_e32 v21, v28, v41
	s_wait_dscnt 0x5
	v_dual_add_f32 v20, v24, v40 :: v_dual_add_f32 v23, v30, v43
	s_wait_dscnt 0x4
	v_add_f32_e32 v24, v31, v44
	v_lshl_add_u32 v30, v29, 2, 0x1e0
	v_mul_u32_u24_e32 v31, 0x1c0, v119
	s_wait_dscnt 0x3
	v_add_f32_e32 v27, v35, v50
	s_wait_dscnt 0x2
	v_add_f32_e32 v25, v32, v49
	;; [unrolled: 2-line block ×3, first 2 shown]
	v_and_b32_e32 v32, 0x3c7, v0
	s_wait_dscnt 0x0
	v_add_f32_e32 v28, v36, v51
	s_delay_alu instid0(VALU_DEP_2)
	v_cmpx_eq_u32_e32 64, v32
	s_cbranch_execz .LBB49_98
; %bb.97:
	v_add_nc_u32_e32 v32, v30, v31
	s_delay_alu instid0(VALU_DEP_1)
	v_add_nc_u32_e32 v33, 0xfffffc80, v32
	v_add_nc_u32_e32 v34, 0xfffffc90, v32
	;; [unrolled: 1-line block ×8, first 2 shown]
	ds_store_b32 v33, v1
	ds_store_b32 v34, v2
	;; [unrolled: 1-line block ×8, first 2 shown]
	v_add_nc_u32_e32 v33, 0xfffffd00, v32
	v_add_nc_u32_e32 v34, 0xfffffd10, v32
	;; [unrolled: 1-line block ×8, first 2 shown]
	ds_store_b32 v33, v9
	ds_store_b32 v34, v10
	;; [unrolled: 1-line block ×8, first 2 shown]
	v_add_nc_u32_e32 v33, 0xfffffd80, v32
	v_add_nc_u32_e32 v34, 0xfffffd90, v32
	;; [unrolled: 1-line block ×12, first 2 shown]
	ds_store_b32 v33, v17
	ds_store_b32 v34, v18
	;; [unrolled: 1-line block ×12, first 2 shown]
.LBB49_98:
	s_wait_alu 0xfffe
	s_or_b32 exec_lo, exec_lo, s0
	v_lshlrev_b32_e32 v29, 2, v29
	s_mov_b32 s1, exec_lo
	v_cmp_eq_u32_e32 vcc_lo, 0, v126
	s_wait_loadcnt_dscnt 0x0
	s_barrier_signal -1
	v_add3_u32 v29, 0x1e0, v31, v29
	s_barrier_wait -1
	global_inv scope:SCOPE_SE
	v_cmpx_gt_u32_e32 64, v0
	s_cbranch_execz .LBB49_129
; %bb.99:
	s_and_saveexec_b32 s0, vcc_lo
	s_cbranch_execnz .LBB49_165
; %bb.100:
	s_wait_alu 0xfffe
	s_or_b32 exec_lo, exec_lo, s0
	s_and_saveexec_b32 s0, vcc_lo
	s_cbranch_execnz .LBB49_166
.LBB49_101:
	s_wait_alu 0xfffe
	s_or_b32 exec_lo, exec_lo, s0
	s_and_saveexec_b32 s0, vcc_lo
	s_cbranch_execnz .LBB49_167
.LBB49_102:
	s_wait_alu 0xfffe
	s_or_b32 exec_lo, exec_lo, s0
	s_and_saveexec_b32 s0, vcc_lo
	s_cbranch_execnz .LBB49_168
.LBB49_103:
	s_wait_alu 0xfffe
	s_or_b32 exec_lo, exec_lo, s0
	s_and_saveexec_b32 s0, vcc_lo
	s_cbranch_execnz .LBB49_169
.LBB49_104:
	s_wait_alu 0xfffe
	s_or_b32 exec_lo, exec_lo, s0
	s_and_saveexec_b32 s0, vcc_lo
	s_cbranch_execnz .LBB49_170
.LBB49_105:
	s_wait_alu 0xfffe
	s_or_b32 exec_lo, exec_lo, s0
	s_and_saveexec_b32 s0, vcc_lo
	s_cbranch_execnz .LBB49_171
.LBB49_106:
	s_wait_alu 0xfffe
	s_or_b32 exec_lo, exec_lo, s0
	s_and_saveexec_b32 s0, vcc_lo
	s_cbranch_execnz .LBB49_172
.LBB49_107:
	s_wait_alu 0xfffe
	s_or_b32 exec_lo, exec_lo, s0
	s_and_saveexec_b32 s0, vcc_lo
	s_cbranch_execnz .LBB49_173
.LBB49_108:
	s_wait_alu 0xfffe
	s_or_b32 exec_lo, exec_lo, s0
	s_and_saveexec_b32 s0, vcc_lo
	s_cbranch_execnz .LBB49_174
.LBB49_109:
	s_wait_alu 0xfffe
	s_or_b32 exec_lo, exec_lo, s0
	s_and_saveexec_b32 s0, vcc_lo
	s_cbranch_execnz .LBB49_175
.LBB49_110:
	s_wait_alu 0xfffe
	s_or_b32 exec_lo, exec_lo, s0
	s_and_saveexec_b32 s0, vcc_lo
	s_cbranch_execnz .LBB49_176
.LBB49_111:
	s_wait_alu 0xfffe
	s_or_b32 exec_lo, exec_lo, s0
	s_and_saveexec_b32 s0, vcc_lo
	s_cbranch_execnz .LBB49_177
.LBB49_112:
	s_wait_alu 0xfffe
	s_or_b32 exec_lo, exec_lo, s0
	s_and_saveexec_b32 s0, vcc_lo
	s_cbranch_execnz .LBB49_178
.LBB49_113:
	s_wait_alu 0xfffe
	s_or_b32 exec_lo, exec_lo, s0
	s_and_saveexec_b32 s0, vcc_lo
	s_cbranch_execnz .LBB49_179
.LBB49_114:
	s_wait_alu 0xfffe
	s_or_b32 exec_lo, exec_lo, s0
	s_and_saveexec_b32 s0, vcc_lo
	s_cbranch_execnz .LBB49_180
.LBB49_115:
	s_wait_alu 0xfffe
	s_or_b32 exec_lo, exec_lo, s0
	s_and_saveexec_b32 s0, vcc_lo
	s_cbranch_execnz .LBB49_181
.LBB49_116:
	s_wait_alu 0xfffe
	s_or_b32 exec_lo, exec_lo, s0
	s_and_saveexec_b32 s0, vcc_lo
	s_cbranch_execnz .LBB49_182
.LBB49_117:
	s_wait_alu 0xfffe
	s_or_b32 exec_lo, exec_lo, s0
	s_and_saveexec_b32 s0, vcc_lo
	s_cbranch_execnz .LBB49_183
.LBB49_118:
	s_wait_alu 0xfffe
	s_or_b32 exec_lo, exec_lo, s0
	s_and_saveexec_b32 s0, vcc_lo
	s_cbranch_execnz .LBB49_184
.LBB49_119:
	s_wait_alu 0xfffe
	s_or_b32 exec_lo, exec_lo, s0
	s_and_saveexec_b32 s0, vcc_lo
	s_cbranch_execnz .LBB49_185
.LBB49_120:
	s_wait_alu 0xfffe
	s_or_b32 exec_lo, exec_lo, s0
	s_and_saveexec_b32 s0, vcc_lo
	s_cbranch_execnz .LBB49_186
.LBB49_121:
	s_wait_alu 0xfffe
	s_or_b32 exec_lo, exec_lo, s0
	s_and_saveexec_b32 s0, vcc_lo
	s_cbranch_execnz .LBB49_187
.LBB49_122:
	s_wait_alu 0xfffe
	s_or_b32 exec_lo, exec_lo, s0
	s_and_saveexec_b32 s0, vcc_lo
	s_cbranch_execnz .LBB49_188
.LBB49_123:
	s_wait_alu 0xfffe
	s_or_b32 exec_lo, exec_lo, s0
	s_and_saveexec_b32 s0, vcc_lo
	s_cbranch_execnz .LBB49_189
.LBB49_124:
	s_wait_alu 0xfffe
	s_or_b32 exec_lo, exec_lo, s0
	s_and_saveexec_b32 s0, vcc_lo
	s_cbranch_execnz .LBB49_190
.LBB49_125:
	s_wait_alu 0xfffe
	s_or_b32 exec_lo, exec_lo, s0
	s_and_saveexec_b32 s0, vcc_lo
	s_cbranch_execnz .LBB49_191
.LBB49_126:
	s_wait_alu 0xfffe
	s_or_b32 exec_lo, exec_lo, s0
	s_and_saveexec_b32 s0, vcc_lo
	s_cbranch_execz .LBB49_128
.LBB49_127:
	ds_load_b32 v31, v29 offset:432
	s_wait_dscnt 0x0
	v_add_f32_e32 v28, v28, v31
.LBB49_128:
	s_wait_alu 0xfffe
	s_or_b32 exec_lo, exec_lo, s0
.LBB49_129:
	s_wait_alu 0xfffe
	s_or_b32 exec_lo, exec_lo, s1
	v_and_b32_e32 v31, 0x3e7, v0
	s_mov_b32 s1, exec_lo
	s_wait_loadcnt 0x0
	s_barrier_signal -1
	s_barrier_wait -1
	global_inv scope:SCOPE_SE
	v_cmpx_eq_u32_e32 32, v31
	s_cbranch_execz .LBB49_131
; %bb.130:
	ds_store_2addr_b32 v30, v1, v2 offset1:4
	ds_store_2addr_b32 v30, v3, v4 offset0:8 offset1:12
	ds_store_2addr_b32 v30, v5, v6 offset0:16 offset1:20
	;; [unrolled: 1-line block ×13, first 2 shown]
.LBB49_131:
	s_wait_alu 0xfffe
	s_or_b32 exec_lo, exec_lo, s1
	s_delay_alu instid0(SALU_CYCLE_1)
	s_mov_b32 s1, exec_lo
	s_wait_loadcnt_dscnt 0x0
	s_barrier_signal -1
	s_barrier_wait -1
	global_inv scope:SCOPE_SE
	v_cmpx_gt_u32_e32 32, v0
	s_cbranch_execz .LBB49_162
; %bb.132:
	s_and_saveexec_b32 s0, vcc_lo
	s_cbranch_execnz .LBB49_192
; %bb.133:
	s_wait_alu 0xfffe
	s_or_b32 exec_lo, exec_lo, s0
	s_and_saveexec_b32 s0, vcc_lo
	s_cbranch_execnz .LBB49_193
.LBB49_134:
	s_wait_alu 0xfffe
	s_or_b32 exec_lo, exec_lo, s0
	s_and_saveexec_b32 s0, vcc_lo
	s_cbranch_execnz .LBB49_194
.LBB49_135:
	s_wait_alu 0xfffe
	s_or_b32 exec_lo, exec_lo, s0
	s_and_saveexec_b32 s0, vcc_lo
	s_cbranch_execnz .LBB49_195
.LBB49_136:
	s_wait_alu 0xfffe
	s_or_b32 exec_lo, exec_lo, s0
	s_and_saveexec_b32 s0, vcc_lo
	s_cbranch_execnz .LBB49_196
.LBB49_137:
	s_wait_alu 0xfffe
	s_or_b32 exec_lo, exec_lo, s0
	s_and_saveexec_b32 s0, vcc_lo
	s_cbranch_execnz .LBB49_197
.LBB49_138:
	s_wait_alu 0xfffe
	s_or_b32 exec_lo, exec_lo, s0
	s_and_saveexec_b32 s0, vcc_lo
	s_cbranch_execnz .LBB49_198
.LBB49_139:
	s_wait_alu 0xfffe
	s_or_b32 exec_lo, exec_lo, s0
	s_and_saveexec_b32 s0, vcc_lo
	s_cbranch_execnz .LBB49_199
.LBB49_140:
	s_wait_alu 0xfffe
	s_or_b32 exec_lo, exec_lo, s0
	s_and_saveexec_b32 s0, vcc_lo
	s_cbranch_execnz .LBB49_200
.LBB49_141:
	s_wait_alu 0xfffe
	s_or_b32 exec_lo, exec_lo, s0
	s_and_saveexec_b32 s0, vcc_lo
	s_cbranch_execnz .LBB49_201
.LBB49_142:
	s_wait_alu 0xfffe
	s_or_b32 exec_lo, exec_lo, s0
	s_and_saveexec_b32 s0, vcc_lo
	s_cbranch_execnz .LBB49_202
.LBB49_143:
	s_wait_alu 0xfffe
	s_or_b32 exec_lo, exec_lo, s0
	s_and_saveexec_b32 s0, vcc_lo
	s_cbranch_execnz .LBB49_203
.LBB49_144:
	s_wait_alu 0xfffe
	s_or_b32 exec_lo, exec_lo, s0
	s_and_saveexec_b32 s0, vcc_lo
	s_cbranch_execnz .LBB49_204
.LBB49_145:
	s_wait_alu 0xfffe
	s_or_b32 exec_lo, exec_lo, s0
	s_and_saveexec_b32 s0, vcc_lo
	s_cbranch_execnz .LBB49_205
.LBB49_146:
	s_wait_alu 0xfffe
	s_or_b32 exec_lo, exec_lo, s0
	s_and_saveexec_b32 s0, vcc_lo
	s_cbranch_execnz .LBB49_206
.LBB49_147:
	s_wait_alu 0xfffe
	s_or_b32 exec_lo, exec_lo, s0
	s_and_saveexec_b32 s0, vcc_lo
	s_cbranch_execnz .LBB49_207
.LBB49_148:
	s_wait_alu 0xfffe
	s_or_b32 exec_lo, exec_lo, s0
	s_and_saveexec_b32 s0, vcc_lo
	s_cbranch_execnz .LBB49_208
.LBB49_149:
	s_wait_alu 0xfffe
	s_or_b32 exec_lo, exec_lo, s0
	s_and_saveexec_b32 s0, vcc_lo
	s_cbranch_execnz .LBB49_209
.LBB49_150:
	s_wait_alu 0xfffe
	s_or_b32 exec_lo, exec_lo, s0
	s_and_saveexec_b32 s0, vcc_lo
	s_cbranch_execnz .LBB49_210
.LBB49_151:
	s_wait_alu 0xfffe
	s_or_b32 exec_lo, exec_lo, s0
	s_and_saveexec_b32 s0, vcc_lo
	s_cbranch_execnz .LBB49_211
.LBB49_152:
	s_wait_alu 0xfffe
	s_or_b32 exec_lo, exec_lo, s0
	s_and_saveexec_b32 s0, vcc_lo
	s_cbranch_execnz .LBB49_212
.LBB49_153:
	s_wait_alu 0xfffe
	s_or_b32 exec_lo, exec_lo, s0
	s_and_saveexec_b32 s0, vcc_lo
	s_cbranch_execnz .LBB49_213
.LBB49_154:
	s_wait_alu 0xfffe
	s_or_b32 exec_lo, exec_lo, s0
	s_and_saveexec_b32 s0, vcc_lo
	s_cbranch_execnz .LBB49_214
.LBB49_155:
	s_wait_alu 0xfffe
	s_or_b32 exec_lo, exec_lo, s0
	s_and_saveexec_b32 s0, vcc_lo
	s_cbranch_execnz .LBB49_215
.LBB49_156:
	s_wait_alu 0xfffe
	s_or_b32 exec_lo, exec_lo, s0
	s_and_saveexec_b32 s0, vcc_lo
	s_cbranch_execnz .LBB49_216
.LBB49_157:
	s_wait_alu 0xfffe
	s_or_b32 exec_lo, exec_lo, s0
	s_and_saveexec_b32 s0, vcc_lo
	s_cbranch_execnz .LBB49_217
.LBB49_158:
	s_wait_alu 0xfffe
	s_or_b32 exec_lo, exec_lo, s0
	s_and_saveexec_b32 s0, vcc_lo
	s_cbranch_execnz .LBB49_218
.LBB49_159:
	s_wait_alu 0xfffe
	s_or_b32 exec_lo, exec_lo, s0
	s_and_saveexec_b32 s0, vcc_lo
	s_cbranch_execz .LBB49_161
.LBB49_160:
	ds_load_b32 v29, v29 offset:432
	s_wait_dscnt 0x0
	v_add_f32_e32 v28, v28, v29
.LBB49_161:
	s_wait_alu 0xfffe
	s_or_b32 exec_lo, exec_lo, s0
.LBB49_162:
	s_wait_alu 0xfffe
	s_or_b32 exec_lo, exec_lo, s1
	s_mov_b32 s1, 0
	s_wait_loadcnt 0x0
	s_barrier_signal -1
	s_barrier_wait -1
	global_inv scope:SCOPE_SE
	s_mov_b32 s0, exec_lo
	v_cmpx_eq_u32_e32 0, v31
	s_cbranch_execz .LBB49_164
; %bb.163:
	s_mul_i32 s2, s18, 0x70
	s_mul_i32 s4, s7, s16
	s_wait_alu 0xfffe
	s_ashr_i32 s3, s2, 31
	s_ashr_i32 s5, s4, 31
	s_wait_alu 0xfffe
	s_lshl_b64 s[2:3], s[2:3], 2
	s_lshl_b64 s[4:5], s[4:5], 2
	s_wait_kmcnt 0x0
	s_wait_alu 0xfffe
	s_add_nc_u64 s[2:3], s[14:15], s[2:3]
	v_lshrrev_b32_e32 v0, 1, v0
	s_mul_i32 s0, s30, 0x1c0
	s_wait_alu 0xfffe
	s_add_nc_u64 s[2:3], s[2:3], s[4:5]
	s_wait_alu 0xfffe
	s_add_nc_u64 s[0:1], s[2:3], s[0:1]
	s_clause 0x1b
	global_store_b32 v0, v1, s[0:1]
	global_store_b32 v0, v2, s[0:1] offset:16
	global_store_b32 v0, v3, s[0:1] offset:32
	;; [unrolled: 1-line block ×27, first 2 shown]
.LBB49_164:
	s_nop 0
	s_sendmsg sendmsg(MSG_DEALLOC_VGPRS)
	s_endpgm
.LBB49_165:
	ds_load_b32 v31, v29
	s_wait_dscnt 0x0
	v_add_f32_e32 v1, v1, v31
	s_wait_alu 0xfffe
	s_or_b32 exec_lo, exec_lo, s0
	s_and_saveexec_b32 s0, vcc_lo
	s_cbranch_execz .LBB49_101
.LBB49_166:
	ds_load_b32 v31, v29 offset:16
	s_wait_dscnt 0x0
	v_add_f32_e32 v2, v2, v31
	s_wait_alu 0xfffe
	s_or_b32 exec_lo, exec_lo, s0
	s_and_saveexec_b32 s0, vcc_lo
	s_cbranch_execz .LBB49_102
.LBB49_167:
	ds_load_b32 v31, v29 offset:32
	s_wait_dscnt 0x0
	v_add_f32_e32 v3, v3, v31
	s_wait_alu 0xfffe
	s_or_b32 exec_lo, exec_lo, s0
	s_and_saveexec_b32 s0, vcc_lo
	s_cbranch_execz .LBB49_103
.LBB49_168:
	ds_load_b32 v31, v29 offset:48
	s_wait_dscnt 0x0
	v_add_f32_e32 v4, v4, v31
	s_wait_alu 0xfffe
	s_or_b32 exec_lo, exec_lo, s0
	s_and_saveexec_b32 s0, vcc_lo
	s_cbranch_execz .LBB49_104
.LBB49_169:
	ds_load_b32 v31, v29 offset:64
	s_wait_dscnt 0x0
	v_add_f32_e32 v5, v5, v31
	s_wait_alu 0xfffe
	s_or_b32 exec_lo, exec_lo, s0
	s_and_saveexec_b32 s0, vcc_lo
	s_cbranch_execz .LBB49_105
.LBB49_170:
	ds_load_b32 v31, v29 offset:80
	s_wait_dscnt 0x0
	v_add_f32_e32 v6, v6, v31
	s_wait_alu 0xfffe
	s_or_b32 exec_lo, exec_lo, s0
	s_and_saveexec_b32 s0, vcc_lo
	s_cbranch_execz .LBB49_106
.LBB49_171:
	ds_load_b32 v31, v29 offset:96
	s_wait_dscnt 0x0
	v_add_f32_e32 v7, v7, v31
	s_wait_alu 0xfffe
	s_or_b32 exec_lo, exec_lo, s0
	s_and_saveexec_b32 s0, vcc_lo
	s_cbranch_execz .LBB49_107
.LBB49_172:
	ds_load_b32 v31, v29 offset:112
	s_wait_dscnt 0x0
	v_add_f32_e32 v8, v8, v31
	s_wait_alu 0xfffe
	s_or_b32 exec_lo, exec_lo, s0
	s_and_saveexec_b32 s0, vcc_lo
	s_cbranch_execz .LBB49_108
.LBB49_173:
	ds_load_b32 v31, v29 offset:128
	s_wait_dscnt 0x0
	v_add_f32_e32 v9, v9, v31
	s_wait_alu 0xfffe
	s_or_b32 exec_lo, exec_lo, s0
	s_and_saveexec_b32 s0, vcc_lo
	s_cbranch_execz .LBB49_109
.LBB49_174:
	ds_load_b32 v31, v29 offset:144
	s_wait_dscnt 0x0
	v_add_f32_e32 v10, v10, v31
	s_wait_alu 0xfffe
	s_or_b32 exec_lo, exec_lo, s0
	s_and_saveexec_b32 s0, vcc_lo
	s_cbranch_execz .LBB49_110
.LBB49_175:
	ds_load_b32 v31, v29 offset:160
	s_wait_dscnt 0x0
	v_add_f32_e32 v11, v11, v31
	s_wait_alu 0xfffe
	s_or_b32 exec_lo, exec_lo, s0
	s_and_saveexec_b32 s0, vcc_lo
	s_cbranch_execz .LBB49_111
.LBB49_176:
	ds_load_b32 v31, v29 offset:176
	s_wait_dscnt 0x0
	v_add_f32_e32 v12, v12, v31
	s_wait_alu 0xfffe
	s_or_b32 exec_lo, exec_lo, s0
	s_and_saveexec_b32 s0, vcc_lo
	s_cbranch_execz .LBB49_112
.LBB49_177:
	ds_load_b32 v31, v29 offset:192
	s_wait_dscnt 0x0
	v_add_f32_e32 v13, v13, v31
	s_wait_alu 0xfffe
	s_or_b32 exec_lo, exec_lo, s0
	s_and_saveexec_b32 s0, vcc_lo
	s_cbranch_execz .LBB49_113
.LBB49_178:
	ds_load_b32 v31, v29 offset:208
	s_wait_dscnt 0x0
	v_add_f32_e32 v14, v14, v31
	s_wait_alu 0xfffe
	s_or_b32 exec_lo, exec_lo, s0
	s_and_saveexec_b32 s0, vcc_lo
	s_cbranch_execz .LBB49_114
.LBB49_179:
	ds_load_b32 v31, v29 offset:224
	s_wait_dscnt 0x0
	v_add_f32_e32 v15, v15, v31
	s_wait_alu 0xfffe
	s_or_b32 exec_lo, exec_lo, s0
	s_and_saveexec_b32 s0, vcc_lo
	s_cbranch_execz .LBB49_115
.LBB49_180:
	ds_load_b32 v31, v29 offset:240
	s_wait_dscnt 0x0
	v_add_f32_e32 v16, v16, v31
	s_wait_alu 0xfffe
	s_or_b32 exec_lo, exec_lo, s0
	s_and_saveexec_b32 s0, vcc_lo
	s_cbranch_execz .LBB49_116
.LBB49_181:
	ds_load_b32 v31, v29 offset:256
	s_wait_dscnt 0x0
	v_add_f32_e32 v17, v17, v31
	s_wait_alu 0xfffe
	s_or_b32 exec_lo, exec_lo, s0
	s_and_saveexec_b32 s0, vcc_lo
	s_cbranch_execz .LBB49_117
.LBB49_182:
	ds_load_b32 v31, v29 offset:272
	s_wait_dscnt 0x0
	v_add_f32_e32 v18, v18, v31
	s_wait_alu 0xfffe
	s_or_b32 exec_lo, exec_lo, s0
	s_and_saveexec_b32 s0, vcc_lo
	s_cbranch_execz .LBB49_118
.LBB49_183:
	ds_load_b32 v31, v29 offset:288
	s_wait_dscnt 0x0
	v_add_f32_e32 v19, v19, v31
	s_wait_alu 0xfffe
	s_or_b32 exec_lo, exec_lo, s0
	s_and_saveexec_b32 s0, vcc_lo
	s_cbranch_execz .LBB49_119
.LBB49_184:
	ds_load_b32 v31, v29 offset:304
	s_wait_dscnt 0x0
	v_add_f32_e32 v20, v20, v31
	s_wait_alu 0xfffe
	s_or_b32 exec_lo, exec_lo, s0
	s_and_saveexec_b32 s0, vcc_lo
	s_cbranch_execz .LBB49_120
.LBB49_185:
	ds_load_b32 v31, v29 offset:320
	s_wait_dscnt 0x0
	v_add_f32_e32 v21, v21, v31
	s_wait_alu 0xfffe
	s_or_b32 exec_lo, exec_lo, s0
	s_and_saveexec_b32 s0, vcc_lo
	s_cbranch_execz .LBB49_121
.LBB49_186:
	ds_load_b32 v31, v29 offset:336
	s_wait_dscnt 0x0
	v_add_f32_e32 v22, v22, v31
	s_wait_alu 0xfffe
	s_or_b32 exec_lo, exec_lo, s0
	s_and_saveexec_b32 s0, vcc_lo
	s_cbranch_execz .LBB49_122
.LBB49_187:
	ds_load_b32 v31, v29 offset:352
	s_wait_dscnt 0x0
	v_add_f32_e32 v23, v23, v31
	s_wait_alu 0xfffe
	s_or_b32 exec_lo, exec_lo, s0
	s_and_saveexec_b32 s0, vcc_lo
	s_cbranch_execz .LBB49_123
.LBB49_188:
	ds_load_b32 v31, v29 offset:368
	s_wait_dscnt 0x0
	v_add_f32_e32 v24, v24, v31
	s_wait_alu 0xfffe
	s_or_b32 exec_lo, exec_lo, s0
	s_and_saveexec_b32 s0, vcc_lo
	s_cbranch_execz .LBB49_124
.LBB49_189:
	ds_load_b32 v31, v29 offset:384
	s_wait_dscnt 0x0
	v_add_f32_e32 v25, v25, v31
	s_wait_alu 0xfffe
	s_or_b32 exec_lo, exec_lo, s0
	s_and_saveexec_b32 s0, vcc_lo
	s_cbranch_execz .LBB49_125
.LBB49_190:
	ds_load_b32 v31, v29 offset:400
	s_wait_dscnt 0x0
	v_add_f32_e32 v26, v26, v31
	s_wait_alu 0xfffe
	s_or_b32 exec_lo, exec_lo, s0
	s_and_saveexec_b32 s0, vcc_lo
	s_cbranch_execz .LBB49_126
.LBB49_191:
	ds_load_b32 v31, v29 offset:416
	s_wait_dscnt 0x0
	v_add_f32_e32 v27, v27, v31
	s_wait_alu 0xfffe
	s_or_b32 exec_lo, exec_lo, s0
	s_and_saveexec_b32 s0, vcc_lo
	s_cbranch_execnz .LBB49_127
	s_branch .LBB49_128
.LBB49_192:
	ds_load_b32 v30, v29
	s_wait_dscnt 0x0
	v_add_f32_e32 v1, v1, v30
	s_wait_alu 0xfffe
	s_or_b32 exec_lo, exec_lo, s0
	s_and_saveexec_b32 s0, vcc_lo
	s_cbranch_execz .LBB49_134
.LBB49_193:
	ds_load_b32 v30, v29 offset:16
	s_wait_dscnt 0x0
	v_add_f32_e32 v2, v2, v30
	s_wait_alu 0xfffe
	s_or_b32 exec_lo, exec_lo, s0
	s_and_saveexec_b32 s0, vcc_lo
	s_cbranch_execz .LBB49_135
.LBB49_194:
	ds_load_b32 v30, v29 offset:32
	s_wait_dscnt 0x0
	v_add_f32_e32 v3, v3, v30
	s_wait_alu 0xfffe
	s_or_b32 exec_lo, exec_lo, s0
	s_and_saveexec_b32 s0, vcc_lo
	s_cbranch_execz .LBB49_136
.LBB49_195:
	ds_load_b32 v30, v29 offset:48
	s_wait_dscnt 0x0
	v_add_f32_e32 v4, v4, v30
	s_wait_alu 0xfffe
	s_or_b32 exec_lo, exec_lo, s0
	s_and_saveexec_b32 s0, vcc_lo
	s_cbranch_execz .LBB49_137
.LBB49_196:
	ds_load_b32 v30, v29 offset:64
	s_wait_dscnt 0x0
	v_add_f32_e32 v5, v5, v30
	s_wait_alu 0xfffe
	s_or_b32 exec_lo, exec_lo, s0
	s_and_saveexec_b32 s0, vcc_lo
	s_cbranch_execz .LBB49_138
.LBB49_197:
	ds_load_b32 v30, v29 offset:80
	s_wait_dscnt 0x0
	v_add_f32_e32 v6, v6, v30
	s_wait_alu 0xfffe
	s_or_b32 exec_lo, exec_lo, s0
	s_and_saveexec_b32 s0, vcc_lo
	s_cbranch_execz .LBB49_139
.LBB49_198:
	ds_load_b32 v30, v29 offset:96
	s_wait_dscnt 0x0
	v_add_f32_e32 v7, v7, v30
	s_wait_alu 0xfffe
	s_or_b32 exec_lo, exec_lo, s0
	s_and_saveexec_b32 s0, vcc_lo
	s_cbranch_execz .LBB49_140
.LBB49_199:
	ds_load_b32 v30, v29 offset:112
	s_wait_dscnt 0x0
	v_add_f32_e32 v8, v8, v30
	s_wait_alu 0xfffe
	s_or_b32 exec_lo, exec_lo, s0
	s_and_saveexec_b32 s0, vcc_lo
	s_cbranch_execz .LBB49_141
.LBB49_200:
	ds_load_b32 v30, v29 offset:128
	s_wait_dscnt 0x0
	v_add_f32_e32 v9, v9, v30
	s_wait_alu 0xfffe
	s_or_b32 exec_lo, exec_lo, s0
	s_and_saveexec_b32 s0, vcc_lo
	s_cbranch_execz .LBB49_142
.LBB49_201:
	ds_load_b32 v30, v29 offset:144
	s_wait_dscnt 0x0
	v_add_f32_e32 v10, v10, v30
	s_wait_alu 0xfffe
	s_or_b32 exec_lo, exec_lo, s0
	s_and_saveexec_b32 s0, vcc_lo
	s_cbranch_execz .LBB49_143
.LBB49_202:
	ds_load_b32 v30, v29 offset:160
	s_wait_dscnt 0x0
	v_add_f32_e32 v11, v11, v30
	s_wait_alu 0xfffe
	s_or_b32 exec_lo, exec_lo, s0
	s_and_saveexec_b32 s0, vcc_lo
	s_cbranch_execz .LBB49_144
.LBB49_203:
	ds_load_b32 v30, v29 offset:176
	s_wait_dscnt 0x0
	v_add_f32_e32 v12, v12, v30
	s_wait_alu 0xfffe
	s_or_b32 exec_lo, exec_lo, s0
	s_and_saveexec_b32 s0, vcc_lo
	s_cbranch_execz .LBB49_145
.LBB49_204:
	ds_load_b32 v30, v29 offset:192
	s_wait_dscnt 0x0
	v_add_f32_e32 v13, v13, v30
	s_wait_alu 0xfffe
	s_or_b32 exec_lo, exec_lo, s0
	s_and_saveexec_b32 s0, vcc_lo
	s_cbranch_execz .LBB49_146
.LBB49_205:
	ds_load_b32 v30, v29 offset:208
	s_wait_dscnt 0x0
	v_add_f32_e32 v14, v14, v30
	s_wait_alu 0xfffe
	s_or_b32 exec_lo, exec_lo, s0
	s_and_saveexec_b32 s0, vcc_lo
	s_cbranch_execz .LBB49_147
.LBB49_206:
	ds_load_b32 v30, v29 offset:224
	s_wait_dscnt 0x0
	v_add_f32_e32 v15, v15, v30
	s_wait_alu 0xfffe
	s_or_b32 exec_lo, exec_lo, s0
	s_and_saveexec_b32 s0, vcc_lo
	s_cbranch_execz .LBB49_148
.LBB49_207:
	ds_load_b32 v30, v29 offset:240
	s_wait_dscnt 0x0
	v_add_f32_e32 v16, v16, v30
	s_wait_alu 0xfffe
	s_or_b32 exec_lo, exec_lo, s0
	s_and_saveexec_b32 s0, vcc_lo
	s_cbranch_execz .LBB49_149
.LBB49_208:
	ds_load_b32 v30, v29 offset:256
	s_wait_dscnt 0x0
	v_add_f32_e32 v17, v17, v30
	s_wait_alu 0xfffe
	s_or_b32 exec_lo, exec_lo, s0
	s_and_saveexec_b32 s0, vcc_lo
	s_cbranch_execz .LBB49_150
.LBB49_209:
	ds_load_b32 v30, v29 offset:272
	s_wait_dscnt 0x0
	v_add_f32_e32 v18, v18, v30
	s_wait_alu 0xfffe
	s_or_b32 exec_lo, exec_lo, s0
	s_and_saveexec_b32 s0, vcc_lo
	s_cbranch_execz .LBB49_151
.LBB49_210:
	ds_load_b32 v30, v29 offset:288
	s_wait_dscnt 0x0
	v_add_f32_e32 v19, v19, v30
	s_wait_alu 0xfffe
	s_or_b32 exec_lo, exec_lo, s0
	s_and_saveexec_b32 s0, vcc_lo
	s_cbranch_execz .LBB49_152
.LBB49_211:
	ds_load_b32 v30, v29 offset:304
	s_wait_dscnt 0x0
	v_add_f32_e32 v20, v20, v30
	s_wait_alu 0xfffe
	s_or_b32 exec_lo, exec_lo, s0
	s_and_saveexec_b32 s0, vcc_lo
	s_cbranch_execz .LBB49_153
.LBB49_212:
	ds_load_b32 v30, v29 offset:320
	s_wait_dscnt 0x0
	v_add_f32_e32 v21, v21, v30
	s_wait_alu 0xfffe
	s_or_b32 exec_lo, exec_lo, s0
	s_and_saveexec_b32 s0, vcc_lo
	s_cbranch_execz .LBB49_154
.LBB49_213:
	ds_load_b32 v30, v29 offset:336
	s_wait_dscnt 0x0
	v_add_f32_e32 v22, v22, v30
	s_wait_alu 0xfffe
	s_or_b32 exec_lo, exec_lo, s0
	s_and_saveexec_b32 s0, vcc_lo
	s_cbranch_execz .LBB49_155
.LBB49_214:
	ds_load_b32 v30, v29 offset:352
	s_wait_dscnt 0x0
	v_add_f32_e32 v23, v23, v30
	s_wait_alu 0xfffe
	s_or_b32 exec_lo, exec_lo, s0
	s_and_saveexec_b32 s0, vcc_lo
	s_cbranch_execz .LBB49_156
.LBB49_215:
	ds_load_b32 v30, v29 offset:368
	s_wait_dscnt 0x0
	v_add_f32_e32 v24, v24, v30
	s_wait_alu 0xfffe
	s_or_b32 exec_lo, exec_lo, s0
	s_and_saveexec_b32 s0, vcc_lo
	s_cbranch_execz .LBB49_157
.LBB49_216:
	ds_load_b32 v30, v29 offset:384
	s_wait_dscnt 0x0
	v_add_f32_e32 v25, v25, v30
	s_wait_alu 0xfffe
	s_or_b32 exec_lo, exec_lo, s0
	s_and_saveexec_b32 s0, vcc_lo
	s_cbranch_execz .LBB49_158
.LBB49_217:
	ds_load_b32 v30, v29 offset:400
	s_wait_dscnt 0x0
	v_add_f32_e32 v26, v26, v30
	s_wait_alu 0xfffe
	s_or_b32 exec_lo, exec_lo, s0
	s_and_saveexec_b32 s0, vcc_lo
	s_cbranch_execz .LBB49_159
.LBB49_218:
	ds_load_b32 v30, v29 offset:416
	s_wait_dscnt 0x0
	v_add_f32_e32 v27, v27, v30
	s_wait_alu 0xfffe
	s_or_b32 exec_lo, exec_lo, s0
	s_and_saveexec_b32 s0, vcc_lo
	s_cbranch_execnz .LBB49_160
	s_branch .LBB49_161
	.section	.rodata,"a",@progbits
	.p2align	6, 0x0
	.amdhsa_kernel _ZN4vllm25paged_attention_v2_kernelIffLi112ELi32ELi128ELNS_18Fp8KVCacheDataTypeE0ELb1ELi512EEEvPfS2_PT_PKS3_PKT0_S9_ifPKiSB_iPKfiiiSD_SD_iiiii
		.amdhsa_group_segment_fixed_size 480
		.amdhsa_private_segment_fixed_size 0
		.amdhsa_kernarg_size 400
		.amdhsa_user_sgpr_count 2
		.amdhsa_user_sgpr_dispatch_ptr 0
		.amdhsa_user_sgpr_queue_ptr 0
		.amdhsa_user_sgpr_kernarg_segment_ptr 1
		.amdhsa_user_sgpr_dispatch_id 0
		.amdhsa_user_sgpr_private_segment_size 0
		.amdhsa_wavefront_size32 1
		.amdhsa_uses_dynamic_stack 0
		.amdhsa_enable_private_segment 0
		.amdhsa_system_sgpr_workgroup_id_x 1
		.amdhsa_system_sgpr_workgroup_id_y 1
		.amdhsa_system_sgpr_workgroup_id_z 1
		.amdhsa_system_sgpr_workgroup_info 0
		.amdhsa_system_vgpr_workitem_id 0
		.amdhsa_next_free_vgpr 172
		.amdhsa_next_free_sgpr 42
		.amdhsa_reserve_vcc 1
		.amdhsa_float_round_mode_32 0
		.amdhsa_float_round_mode_16_64 0
		.amdhsa_float_denorm_mode_32 3
		.amdhsa_float_denorm_mode_16_64 3
		.amdhsa_fp16_overflow 0
		.amdhsa_workgroup_processor_mode 1
		.amdhsa_memory_ordered 1
		.amdhsa_forward_progress 1
		.amdhsa_inst_pref_size 115
		.amdhsa_round_robin_scheduling 0
		.amdhsa_exception_fp_ieee_invalid_op 0
		.amdhsa_exception_fp_denorm_src 0
		.amdhsa_exception_fp_ieee_div_zero 0
		.amdhsa_exception_fp_ieee_overflow 0
		.amdhsa_exception_fp_ieee_underflow 0
		.amdhsa_exception_fp_ieee_inexact 0
		.amdhsa_exception_int_div_zero 0
	.end_amdhsa_kernel
	.section	.text._ZN4vllm25paged_attention_v2_kernelIffLi112ELi32ELi128ELNS_18Fp8KVCacheDataTypeE0ELb1ELi512EEEvPfS2_PT_PKS3_PKT0_S9_ifPKiSB_iPKfiiiSD_SD_iiiii,"axG",@progbits,_ZN4vllm25paged_attention_v2_kernelIffLi112ELi32ELi128ELNS_18Fp8KVCacheDataTypeE0ELb1ELi512EEEvPfS2_PT_PKS3_PKT0_S9_ifPKiSB_iPKfiiiSD_SD_iiiii,comdat
.Lfunc_end49:
	.size	_ZN4vllm25paged_attention_v2_kernelIffLi112ELi32ELi128ELNS_18Fp8KVCacheDataTypeE0ELb1ELi512EEEvPfS2_PT_PKS3_PKT0_S9_ifPKiSB_iPKfiiiSD_SD_iiiii, .Lfunc_end49-_ZN4vllm25paged_attention_v2_kernelIffLi112ELi32ELi128ELNS_18Fp8KVCacheDataTypeE0ELb1ELi512EEEvPfS2_PT_PKS3_PKT0_S9_ifPKiSB_iPKfiiiSD_SD_iiiii
                                        ; -- End function
	.set _ZN4vllm25paged_attention_v2_kernelIffLi112ELi32ELi128ELNS_18Fp8KVCacheDataTypeE0ELb1ELi512EEEvPfS2_PT_PKS3_PKT0_S9_ifPKiSB_iPKfiiiSD_SD_iiiii.num_vgpr, 172
	.set _ZN4vllm25paged_attention_v2_kernelIffLi112ELi32ELi128ELNS_18Fp8KVCacheDataTypeE0ELb1ELi512EEEvPfS2_PT_PKS3_PKT0_S9_ifPKiSB_iPKfiiiSD_SD_iiiii.num_agpr, 0
	.set _ZN4vllm25paged_attention_v2_kernelIffLi112ELi32ELi128ELNS_18Fp8KVCacheDataTypeE0ELb1ELi512EEEvPfS2_PT_PKS3_PKT0_S9_ifPKiSB_iPKfiiiSD_SD_iiiii.numbered_sgpr, 42
	.set _ZN4vllm25paged_attention_v2_kernelIffLi112ELi32ELi128ELNS_18Fp8KVCacheDataTypeE0ELb1ELi512EEEvPfS2_PT_PKS3_PKT0_S9_ifPKiSB_iPKfiiiSD_SD_iiiii.num_named_barrier, 0
	.set _ZN4vllm25paged_attention_v2_kernelIffLi112ELi32ELi128ELNS_18Fp8KVCacheDataTypeE0ELb1ELi512EEEvPfS2_PT_PKS3_PKT0_S9_ifPKiSB_iPKfiiiSD_SD_iiiii.private_seg_size, 0
	.set _ZN4vllm25paged_attention_v2_kernelIffLi112ELi32ELi128ELNS_18Fp8KVCacheDataTypeE0ELb1ELi512EEEvPfS2_PT_PKS3_PKT0_S9_ifPKiSB_iPKfiiiSD_SD_iiiii.uses_vcc, 1
	.set _ZN4vllm25paged_attention_v2_kernelIffLi112ELi32ELi128ELNS_18Fp8KVCacheDataTypeE0ELb1ELi512EEEvPfS2_PT_PKS3_PKT0_S9_ifPKiSB_iPKfiiiSD_SD_iiiii.uses_flat_scratch, 0
	.set _ZN4vllm25paged_attention_v2_kernelIffLi112ELi32ELi128ELNS_18Fp8KVCacheDataTypeE0ELb1ELi512EEEvPfS2_PT_PKS3_PKT0_S9_ifPKiSB_iPKfiiiSD_SD_iiiii.has_dyn_sized_stack, 0
	.set _ZN4vllm25paged_attention_v2_kernelIffLi112ELi32ELi128ELNS_18Fp8KVCacheDataTypeE0ELb1ELi512EEEvPfS2_PT_PKS3_PKT0_S9_ifPKiSB_iPKfiiiSD_SD_iiiii.has_recursion, 0
	.set _ZN4vllm25paged_attention_v2_kernelIffLi112ELi32ELi128ELNS_18Fp8KVCacheDataTypeE0ELb1ELi512EEEvPfS2_PT_PKS3_PKT0_S9_ifPKiSB_iPKfiiiSD_SD_iiiii.has_indirect_call, 0
	.section	.AMDGPU.csdata,"",@progbits
; Kernel info:
; codeLenInByte = 14644
; TotalNumSgprs: 44
; NumVgprs: 172
; ScratchSize: 0
; MemoryBound: 0
; FloatMode: 240
; IeeeMode: 1
; LDSByteSize: 480 bytes/workgroup (compile time only)
; SGPRBlocks: 0
; VGPRBlocks: 21
; NumSGPRsForWavesPerEU: 44
; NumVGPRsForWavesPerEU: 172
; Occupancy: 8
; WaveLimiterHint : 1
; COMPUTE_PGM_RSRC2:SCRATCH_EN: 0
; COMPUTE_PGM_RSRC2:USER_SGPR: 2
; COMPUTE_PGM_RSRC2:TRAP_HANDLER: 0
; COMPUTE_PGM_RSRC2:TGID_X_EN: 1
; COMPUTE_PGM_RSRC2:TGID_Y_EN: 1
; COMPUTE_PGM_RSRC2:TGID_Z_EN: 1
; COMPUTE_PGM_RSRC2:TIDIG_COMP_CNT: 0
	.section	.text._ZN4vllm25paged_attention_v2_kernelIffLi120ELi32ELi128ELNS_18Fp8KVCacheDataTypeE0ELb1ELi512EEEvPfS2_PT_PKS3_PKT0_S9_ifPKiSB_iPKfiiiSD_SD_iiiii,"axG",@progbits,_ZN4vllm25paged_attention_v2_kernelIffLi120ELi32ELi128ELNS_18Fp8KVCacheDataTypeE0ELb1ELi512EEEvPfS2_PT_PKS3_PKT0_S9_ifPKiSB_iPKfiiiSD_SD_iiiii,comdat
	.protected	_ZN4vllm25paged_attention_v2_kernelIffLi120ELi32ELi128ELNS_18Fp8KVCacheDataTypeE0ELb1ELi512EEEvPfS2_PT_PKS3_PKT0_S9_ifPKiSB_iPKfiiiSD_SD_iiiii ; -- Begin function _ZN4vllm25paged_attention_v2_kernelIffLi120ELi32ELi128ELNS_18Fp8KVCacheDataTypeE0ELb1ELi512EEEvPfS2_PT_PKS3_PKT0_S9_ifPKiSB_iPKfiiiSD_SD_iiiii
	.globl	_ZN4vllm25paged_attention_v2_kernelIffLi120ELi32ELi128ELNS_18Fp8KVCacheDataTypeE0ELb1ELi512EEEvPfS2_PT_PKS3_PKT0_S9_ifPKiSB_iPKfiiiSD_SD_iiiii
	.p2align	8
	.type	_ZN4vllm25paged_attention_v2_kernelIffLi120ELi32ELi128ELNS_18Fp8KVCacheDataTypeE0ELb1ELi512EEEvPfS2_PT_PKS3_PKT0_S9_ifPKiSB_iPKfiiiSD_SD_iiiii,@function
_ZN4vllm25paged_attention_v2_kernelIffLi120ELi32ELi128ELNS_18Fp8KVCacheDataTypeE0ELb1ELi512EEEvPfS2_PT_PKS3_PKT0_S9_ifPKiSB_iPKfiiiSD_SD_iiiii: ; @_ZN4vllm25paged_attention_v2_kernelIffLi120ELi32ELi128ELNS_18Fp8KVCacheDataTypeE0ELb1ELi512EEEvPfS2_PT_PKS3_PKT0_S9_ifPKiSB_iPKfiiiSD_SD_iiiii
; %bb.0:
	s_load_b64 s[2:3], s[0:1], 0x40
	s_and_b32 s18, ttmp7, 0xffff
	s_lshr_b32 s30, ttmp7, 16
	s_lshl_b32 s4, s18, 2
	s_lshl_b32 s34, s30, 9
	s_wait_kmcnt 0x0
	s_load_b32 s31, s[2:3], s4 offset:0x0
	s_wait_kmcnt 0x0
	s_cmp_ge_i32 s34, s31
	s_cbranch_scc1 .LBB50_172
; %bb.1:
	s_clause 0x1
	s_load_b32 s19, s[0:1], 0x90
	s_load_b64 s[8:9], s[0:1], 0x30
	s_wait_kmcnt 0x0
	s_abs_i32 s5, s19
	s_abs_i32 s2, s8
	s_delay_alu instid0(SALU_CYCLE_1) | instskip(SKIP_1) | instid1(SALU_CYCLE_2)
	s_cvt_f32_u32 s3, s2
	s_sub_co_i32 s4, 0, s2
	v_rcp_iflag_f32_e32 v1, s3
	s_delay_alu instid0(TRANS32_DEP_1) | instskip(SKIP_2) | instid1(SALU_CYCLE_2)
	v_readfirstlane_b32 s3, v1
	s_mul_f32 s3, s3, 0x4f7ffffe
	s_wait_alu 0xfffe
	s_cvt_u32_f32 s3, s3
	s_wait_alu 0xfffe
	s_delay_alu instid0(SALU_CYCLE_2) | instskip(NEXT) | instid1(SALU_CYCLE_1)
	s_mul_i32 s4, s4, s3
	s_mul_hi_u32 s4, s3, s4
	s_delay_alu instid0(SALU_CYCLE_1)
	s_add_co_i32 s3, s3, s4
	s_xor_b32 s4, s19, s8
	s_wait_alu 0xfffe
	s_mul_hi_u32 s3, s5, s3
	s_ashr_i32 s4, s4, 31
	s_wait_alu 0xfffe
	s_mul_i32 s6, s3, s2
	s_delay_alu instid0(SALU_CYCLE_1)
	s_sub_co_i32 s5, s5, s6
	s_add_co_i32 s6, s3, 1
	s_sub_co_i32 s7, s5, s2
	s_cmp_ge_u32 s5, s2
	s_cselect_b32 s3, s6, s3
	s_cselect_b32 s5, s7, s5
	s_wait_alu 0xfffe
	s_add_co_i32 s6, s3, 1
	s_cmp_ge_u32 s5, s2
	s_cselect_b32 s2, s6, s3
	s_load_b64 s[6:7], s[0:1], 0x50
	s_xor_b32 s2, s2, s4
	s_mov_b32 s3, 0
	s_wait_alu 0xfffe
	s_sub_co_i32 s16, s2, s4
	s_mov_b32 s15, s3
	s_abs_i32 s20, s16
	s_delay_alu instid0(SALU_CYCLE_1) | instskip(SKIP_1) | instid1(SALU_CYCLE_2)
	s_cvt_f32_u32 s2, s20
	s_wait_alu 0xfffe
	v_rcp_iflag_f32_e32 v1, s2
	s_delay_alu instid0(TRANS32_DEP_1) | instskip(SKIP_2) | instid1(SALU_CYCLE_2)
	v_readfirstlane_b32 s2, v1
	s_mul_f32 s2, s2, 0x4f7ffffe
	s_wait_alu 0xfffe
	s_cvt_u32_f32 s4, s2
	s_sub_co_i32 s2, 0, s20
	s_wait_alu 0xfffe
	s_delay_alu instid0(SALU_CYCLE_1)
	s_mul_i32 s2, s2, s4
	s_wait_alu 0xfffe
	s_mul_hi_u32 s5, s4, s2
	s_abs_i32 s2, ttmp9
	s_add_co_i32 s4, s4, s5
	s_mov_b32 s5, s3
	s_wait_kmcnt 0x0
	s_cmp_eq_u64 s[6:7], 0
	s_cbranch_scc1 .LBB50_3
; %bb.2:
	s_mov_b32 s10, ttmp9
	s_ashr_i32 s11, ttmp9, 31
	s_delay_alu instid0(SALU_CYCLE_1) | instskip(NEXT) | instid1(SALU_CYCLE_1)
	s_lshl_b64 s[10:11], s[10:11], 2
	s_add_nc_u64 s[6:7], s[6:7], s[10:11]
	s_load_b32 s15, s[6:7], 0x0
.LBB50_3:
	s_load_b96 s[12:14], s[0:1], 0x58
	v_lshlrev_b32_e32 v125, 4, v0
	s_mul_u64 s[10:11], s[2:3], s[4:5]
	s_ashr_i32 s3, ttmp9, 31
	s_ashr_i32 s10, s16, 31
	s_mul_i32 s16, ttmp9, 0x78
	s_mov_b32 s4, exec_lo
	v_cmpx_gt_u32_e32 30, v0
	s_cbranch_execz .LBB50_5
; %bb.4:
	s_load_b64 s[6:7], s[0:1], 0x18
	s_wait_kmcnt 0x0
	s_mul_i32 s22, s12, s18
	s_ashr_i32 s17, s16, 31
	s_ashr_i32 s23, s22, 31
	s_delay_alu instid0(SALU_CYCLE_1) | instskip(NEXT) | instid1(SALU_CYCLE_1)
	s_lshl_b64 s[22:23], s[22:23], 2
	s_add_nc_u64 s[6:7], s[6:7], s[22:23]
	s_lshl_b64 s[22:23], s[16:17], 2
	s_delay_alu instid0(SALU_CYCLE_1)
	s_add_nc_u64 s[6:7], s[6:7], s[22:23]
	global_load_b128 v[1:4], v125, s[6:7]
	s_wait_loadcnt 0x0
	ds_store_b128 v125, v[1:4]
.LBB50_5:
	s_or_b32 exec_lo, exec_lo, s4
	s_clause 0x1
	s_load_b128 s[4:7], s[0:1], 0x78
	s_load_b32 s22, s[0:1], 0x88
	s_wait_kmcnt 0x0
	s_mul_i32 s12, s11, s20
	s_xor_b32 s3, s3, s10
	s_sub_co_i32 s2, s2, s12
	s_add_co_i32 s10, s11, 1
	s_wait_alu 0xfffe
	s_sub_co_i32 s12, s2, s20
	s_cmp_ge_u32 s2, s20
	s_mov_b32 s24, -1
	s_cselect_b32 s10, s10, s11
	s_cselect_b32 s2, s12, s2
	s_add_co_i32 s11, s10, 1
	s_wait_alu 0xfffe
	s_cmp_ge_u32 s2, s20
	s_wait_dscnt 0x0
	s_cselect_b32 s2, s11, s10
	s_add_co_i32 s23, s31, -1
	s_wait_alu 0xfffe
	s_xor_b32 s2, s2, s3
	s_barrier_signal -1
	s_wait_alu 0xfffe
	s_sub_co_i32 s26, s2, s3
	s_barrier_wait -1
	s_abs_i32 s12, s7
	global_inv scope:SCOPE_SE
	s_cvt_f32_u32 s10, s12
                                        ; implicit-def: $sgpr17
	s_delay_alu instid0(SALU_CYCLE_3) | instskip(NEXT) | instid1(TRANS32_DEP_1)
	v_rcp_iflag_f32_e32 v1, s10
	v_readfirstlane_b32 s10, v1
	s_mul_f32 s2, s10, 0x4f7ffffe
	s_wait_alu 0xfffe
	s_delay_alu instid0(SALU_CYCLE_2) | instskip(SKIP_2) | instid1(SALU_CYCLE_1)
	s_cvt_u32_f32 s10, s2
	s_sub_co_i32 s2, 0, s12
	s_wait_alu 0xfffe
	s_mul_i32 s3, s2, s10
	s_abs_i32 s2, s23
	s_wait_alu 0xfffe
	s_mul_hi_u32 s11, s10, s3
	s_mov_b32 s3, 0
	s_wait_alu 0xfffe
	s_add_co_i32 s20, s10, s11
	s_cmp_lt_i32 s22, 0
	s_mov_b32 s21, s3
	s_cbranch_scc0 .LBB50_7
; %bb.6:
	s_mul_i32 s8, s4, s8
	s_mov_b32 s24, s3
	s_add_co_i32 s8, s26, s8
	s_delay_alu instid0(SALU_CYCLE_1) | instskip(NEXT) | instid1(SALU_CYCLE_1)
	s_mul_i32 s8, s8, s22
	s_sub_co_i32 s17, 1, s8
.LBB50_7:
	s_mul_u64 s[10:11], s[2:3], s[20:21]
	s_ashr_i32 s3, s23, 31
	s_and_not1_b32 vcc_lo, exec_lo, s24
	s_ashr_i32 s21, s7, 31
	s_cbranch_vccnz .LBB50_9
; %bb.8:
	s_mul_i32 s4, s19, s4
	s_delay_alu instid0(SALU_CYCLE_1) | instskip(NEXT) | instid1(SALU_CYCLE_1)
	s_add_co_i32 s4, s4, ttmp9
	s_mul_i32 s4, s4, s22
	s_delay_alu instid0(SALU_CYCLE_1)
	s_add_co_i32 s17, s4, 1
.LBB50_9:
	s_clause 0x2
	s_load_b32 s4, s[0:1], 0x48
	s_load_b64 s[22:23], s[0:1], 0x38
	s_load_b32 s7, s[0:1], 0x98
	s_mul_i32 s8, s11, s12
	s_xor_b32 s3, s3, s21
	s_sub_co_i32 s2, s2, s8
	s_add_co_i32 s10, s11, 1
	v_lshrrev_b32_e32 v127, 5, v0
	v_dual_mov_b32 v133, 0xff7fffff :: v_dual_and_b32 v128, 31, v0
	s_mul_i32 s26, s26, s14
	s_delay_alu instid0(VALU_DEP_2) | instskip(NEXT) | instid1(VALU_DEP_2)
	v_lshl_add_u32 v130, v127, 5, s34
	v_lshlrev_b32_e32 v134, 2, v128
	s_wait_kmcnt 0x0
	s_mul_i32 s24, s4, s18
	s_wait_alu 0xfffe
	s_sub_co_i32 s4, s2, s12
	s_ashr_i32 s25, s24, 31
	s_cmp_ge_u32 s2, s12
	s_cselect_b32 s8, s10, s11
	s_cselect_b32 s2, s4, s2
	s_add_co_i32 s4, s8, 1
	s_wait_alu 0xfffe
	s_cmp_ge_u32 s2, s12
	s_cselect_b32 s2, s4, s8
	s_add_co_i32 s4, s31, 31
	s_lshl_b32 s37, s30, 4
	s_ashr_i32 s8, s4, 31
	v_add_nc_u32_e32 v129, s37, v127
	s_lshr_b32 s8, s8, 27
	s_delay_alu instid0(SALU_CYCLE_1)
	s_add_co_i32 s4, s4, s8
	s_add_co_i32 s8, s37, 16
	s_ashr_i32 s35, s4, 5
	s_wait_alu 0xfffe
	s_xor_b32 s4, s2, s3
	s_min_i32 s33, s8, s35
	v_lshlrev_b32_e32 v126, 2, v129
	v_cmp_gt_i32_e64 s2, s33, v129
	s_sub_co_i32 s36, s4, s3
	s_and_saveexec_b32 s8, s2
	s_cbranch_execz .LBB50_17
; %bb.10:
	s_ashr_i32 s27, s26, 31
	s_load_b64 s[28:29], s[0:1], 0x20
	s_sub_co_i32 s10, s36, s5
	s_lshl_b64 s[38:39], s[26:27], 2
	s_cmp_neq_f32 s15, 0
	v_dual_mov_b32 v138, 0xff7fffff :: v_dual_lshlrev_b32 v41, 4, v128
	v_subrev_nc_u32_e32 v123, s31, v128
	s_cselect_b32 vcc_lo, -1, 0
	s_abs_i32 s11, s6
	v_mov_b32_e32 v117, 0
	s_wait_alu 0xfffe
	s_cvt_f32_u32 s3, s11
	v_add_nc_u32_e32 v136, 1, v123
	ds_load_b128 v[1:4], v117
	ds_load_b128 v[5:8], v117 offset:16
	s_wait_alu 0xfffe
	v_rcp_iflag_f32_e32 v42, s3
	ds_load_b128 v[9:12], v117 offset:32
	ds_load_b128 v[13:16], v117 offset:48
	;; [unrolled: 1-line block ×8, first 2 shown]
	v_lshl_or_b32 v124, v127, 7, v134
	v_lshl_add_u32 v135, v127, 5, s34
	v_mov_b32_e32 v133, 0xff7fffff
	s_wait_kmcnt 0x0
	s_add_nc_u64 s[28:29], s[28:29], s[38:39]
	v_mov_b32_e32 v139, v129
	v_add_co_u32 v131, s4, s28, v41
	s_delay_alu instid0(VALU_DEP_1)
	v_add_co_ci_u32_e64 v132, null, s29, 0, s4
	v_readfirstlane_b32 s3, v42
	ds_load_b128 v[41:44], v117 offset:160
	ds_load_b128 v[45:48], v117 offset:176
	ds_load_b128 v[49:52], v117 offset:192
	ds_load_b128 v[53:56], v117 offset:208
	ds_load_b128 v[57:60], v117 offset:224
	ds_load_b128 v[61:64], v117 offset:240
	ds_load_b128 v[65:68], v117 offset:256
	ds_load_b128 v[69:72], v117 offset:272
	ds_load_b128 v[73:76], v117 offset:288
	ds_load_b128 v[77:80], v117 offset:304
	ds_load_b128 v[81:84], v117 offset:320
	ds_load_b128 v[85:88], v117 offset:336
	ds_load_b128 v[89:92], v117 offset:352
	ds_load_b128 v[93:96], v117 offset:368
	ds_load_b128 v[97:100], v117 offset:384
	ds_load_b128 v[101:104], v117 offset:400
	ds_load_b128 v[105:108], v117 offset:416
	ds_load_b128 v[109:112], v117 offset:432
	ds_load_b128 v[113:116], v117 offset:448
	ds_load_b128 v[117:120], v117 offset:464
	s_lshl_b64 s[28:29], s[24:25], 2
	s_sub_co_i32 s4, 0, s11
	s_mul_f32 s3, s3, 0x4f7ffffe
	s_wait_alu 0xfffe
	s_add_nc_u64 s[28:29], s[22:23], s[28:29]
	v_add_nc_u32_e32 v137, 0x200, v124
	s_wait_alu 0xfffe
	v_add_co_u32 v121, s27, s28, v126
	s_cvt_u32_f32 s3, s3
	v_add_co_ci_u32_e64 v122, null, s29, 0, s27
	s_mov_b32 s14, s13
	s_wait_alu 0xfffe
	s_mul_i32 s4, s4, s3
	s_mov_b32 s27, 0
	s_wait_alu 0xfffe
	s_mul_hi_u32 s4, s3, s4
	s_wait_alu 0xfffe
	s_add_co_i32 s28, s3, s4
	s_branch .LBB50_12
.LBB50_11:                              ;   in Loop: Header=BB50_12 Depth=1
	s_wait_alu 0xfffe
	s_or_b32 exec_lo, exec_lo, s4
	v_add_nc_u32_e32 v139, 4, v139
	v_add_co_u32 v121, s4, v121, 16
	s_wait_alu 0xf1ff
	v_add_co_ci_u32_e64 v122, null, 0, v122, s4
	s_delay_alu instid0(VALU_DEP_3)
	v_cmp_le_i32_e64 s3, s33, v139
	v_add_nc_u32_e32 v135, 0x80, v135
	v_add_nc_u32_e32 v137, 0x200, v137
	s_or_b32 s27, s3, s27
	s_wait_alu 0xfffe
	s_and_not1_b32 exec_lo, exec_lo, s27
	s_cbranch_execz .LBB50_16
.LBB50_12:                              ; =>This Inner Loop Header: Depth=1
	v_sub_nc_u32_e32 v123, 0, v135
	s_delay_alu instid0(VALU_DEP_1) | instskip(NEXT) | instid1(VALU_DEP_1)
	v_max_i32_e32 v123, v135, v123
	v_mul_hi_u32 v124, v123, s20
	s_delay_alu instid0(VALU_DEP_1) | instskip(NEXT) | instid1(VALU_DEP_1)
	v_mul_lo_u32 v140, v124, s12
	v_sub_nc_u32_e32 v123, v123, v140
	v_add_nc_u32_e32 v140, 1, v124
	s_delay_alu instid0(VALU_DEP_2) | instskip(SKIP_2) | instid1(VALU_DEP_1)
	v_subrev_nc_u32_e32 v141, s12, v123
	v_cmp_le_u32_e64 s3, s12, v123
	s_wait_alu 0xf1ff
	v_cndmask_b32_e64 v124, v124, v140, s3
	s_delay_alu instid0(VALU_DEP_3) | instskip(SKIP_1) | instid1(VALU_DEP_3)
	v_cndmask_b32_e64 v123, v123, v141, s3
	v_ashrrev_i32_e32 v140, 31, v135
	v_add_nc_u32_e32 v141, 1, v124
	s_delay_alu instid0(VALU_DEP_3) | instskip(NEXT) | instid1(VALU_DEP_3)
	v_cmp_le_u32_e64 s3, s12, v123
	v_xor_b32_e32 v140, s21, v140
	s_wait_alu 0xf1ff
	s_delay_alu instid0(VALU_DEP_2) | instskip(NEXT) | instid1(VALU_DEP_1)
	v_cndmask_b32_e64 v123, v124, v141, s3
	v_xor_b32_e32 v123, v123, v140
	s_delay_alu instid0(VALU_DEP_1) | instskip(NEXT) | instid1(VALU_DEP_1)
	v_sub_nc_u32_e32 v123, v123, v140
	v_add_nc_u32_e32 v124, s17, v123
	v_cmp_ge_i32_e64 s4, s10, v123
	s_delay_alu instid0(VALU_DEP_2) | instskip(NEXT) | instid1(VALU_DEP_1)
	v_sub_nc_u32_e32 v140, 0, v124
	v_max_i32_e32 v140, v124, v140
	v_ashrrev_i32_e32 v124, 31, v124
	s_wait_alu 0xfffe
	s_delay_alu instid0(VALU_DEP_2) | instskip(NEXT) | instid1(VALU_DEP_1)
	v_mul_hi_u32 v141, v140, s28
	v_mul_lo_u32 v141, v141, s11
	s_delay_alu instid0(VALU_DEP_1) | instskip(NEXT) | instid1(VALU_DEP_1)
	v_sub_nc_u32_e32 v140, v140, v141
	v_subrev_nc_u32_e32 v141, s11, v140
	v_cmp_le_u32_e64 s3, s11, v140
	s_wait_alu 0xf1ff
	s_delay_alu instid0(VALU_DEP_1) | instskip(NEXT) | instid1(VALU_DEP_1)
	v_cndmask_b32_e64 v140, v140, v141, s3
	v_subrev_nc_u32_e32 v141, s11, v140
	v_cmp_le_u32_e64 s3, s11, v140
	s_wait_alu 0xf1ff
	s_delay_alu instid0(VALU_DEP_1) | instskip(NEXT) | instid1(VALU_DEP_1)
	v_cndmask_b32_e64 v140, v140, v141, s3
	v_xor_b32_e32 v140, v140, v124
	s_delay_alu instid0(VALU_DEP_1) | instskip(NEXT) | instid1(VALU_DEP_1)
	v_sub_nc_u32_e32 v124, v140, v124
	v_cmp_ne_u32_e64 s3, 0, v124
	s_and_b32 s3, s3, s4
	s_wait_alu 0xfffe
	s_and_saveexec_b32 s4, s3
	s_wait_alu 0xfffe
	s_xor_b32 s3, exec_lo, s4
; %bb.13:                               ;   in Loop: Header=BB50_12 Depth=1
	ds_store_b32 v137, v138
; %bb.14:                               ;   in Loop: Header=BB50_12 Depth=1
	s_wait_alu 0xfffe
	s_and_not1_saveexec_b32 s4, s3
	s_cbranch_execz .LBB50_11
; %bb.15:                               ;   in Loop: Header=BB50_12 Depth=1
	global_load_b32 v123, v[121:122], off
	s_wait_loadcnt 0x0
	v_mad_co_i64_i32 v[123:124], null, v123, s14, 0
	s_delay_alu instid0(VALU_DEP_1) | instskip(NEXT) | instid1(VALU_DEP_1)
	v_lshlrev_b64_e32 v[123:124], 2, v[123:124]
	v_add_co_u32 v123, s3, v131, v123
	s_wait_alu 0xf1ff
	s_delay_alu instid0(VALU_DEP_2)
	v_add_co_ci_u32_e64 v124, null, v132, v124, s3
	global_load_b128 v[142:145], v[123:124], off offset:512
	s_wait_loadcnt_dscnt 0x1c
	v_dual_mul_f32 v141, v7, v144 :: v_dual_mul_f32 v140, v8, v145
	global_load_b128 v[144:147], v[123:124], off
	v_dual_mul_f32 v142, v5, v142 :: v_dual_mul_f32 v143, v6, v143
	s_wait_loadcnt 0x0
	s_delay_alu instid0(VALU_DEP_1)
	v_dual_fmac_f32 v142, v1, v144 :: v_dual_fmac_f32 v143, v2, v145
	v_dual_fmac_f32 v141, v3, v146 :: v_dual_fmac_f32 v140, v4, v147
	s_clause 0x1
	global_load_b128 v[144:147], v[123:124], off offset:1024
	global_load_b128 v[148:151], v[123:124], off offset:1536
	s_wait_loadcnt_dscnt 0x11b
	v_dual_fmac_f32 v142, v9, v144 :: v_dual_fmac_f32 v143, v10, v145
	v_dual_fmac_f32 v141, v11, v146 :: v_dual_fmac_f32 v140, v12, v147
	s_wait_loadcnt_dscnt 0x1a
	s_delay_alu instid0(VALU_DEP_2) | instskip(NEXT) | instid1(VALU_DEP_2)
	v_dual_fmac_f32 v142, v13, v148 :: v_dual_fmac_f32 v143, v14, v149
	v_dual_fmac_f32 v141, v15, v150 :: v_dual_fmac_f32 v140, v16, v151
	s_clause 0x1
	global_load_b128 v[144:147], v[123:124], off offset:2048
	global_load_b128 v[148:151], v[123:124], off offset:2560
	s_wait_loadcnt_dscnt 0x119
	v_dual_fmac_f32 v142, v17, v144 :: v_dual_fmac_f32 v143, v18, v145
	v_dual_fmac_f32 v141, v19, v146 :: v_dual_fmac_f32 v140, v20, v147
	s_wait_loadcnt_dscnt 0x18
	s_delay_alu instid0(VALU_DEP_2) | instskip(NEXT) | instid1(VALU_DEP_2)
	;; [unrolled: 10-line block ×14, first 2 shown]
	v_dual_fmac_f32 v142, v117, v148 :: v_dual_add_nc_u32 v123, v136, v135
	v_dual_fmac_f32 v143, v118, v149 :: v_dual_fmac_f32 v140, v120, v151
	s_delay_alu instid0(VALU_DEP_2) | instskip(NEXT) | instid1(VALU_DEP_2)
	v_cvt_f32_i32_e32 v123, v123
	v_dual_fmac_f32 v141, v119, v150 :: v_dual_add_f32 v124, v142, v143
	s_delay_alu instid0(VALU_DEP_1) | instskip(NEXT) | instid1(VALU_DEP_1)
	v_dual_mul_f32 v123, s15, v123 :: v_dual_add_f32 v124, v141, v124
	v_dual_cndmask_b32 v123, 0, v123 :: v_dual_add_f32 v124, v140, v124
	s_delay_alu instid0(VALU_DEP_1) | instskip(SKIP_1) | instid1(VALU_DEP_2)
	v_dual_max_num_f32 v140, v133, v133 :: v_dual_fmac_f32 v123, s9, v124
	v_add_nc_u32_e32 v124, v128, v135
	v_max_num_f32_e32 v140, v140, v123
	s_delay_alu instid0(VALU_DEP_2) | instskip(SKIP_1) | instid1(VALU_DEP_1)
	v_cmp_gt_i32_e64 s3, s31, v124
	s_wait_alu 0xf1ff
	v_cndmask_b32_e64 v123, 0, v123, s3
	s_delay_alu instid0(VALU_DEP_3)
	v_cndmask_b32_e64 v133, v133, v140, s3
	ds_store_b32 v137, v123
	s_branch .LBB50_11
.LBB50_16:
	s_or_b32 exec_lo, exec_lo, s27
.LBB50_17:
	s_delay_alu instid0(SALU_CYCLE_1)
	s_or_b32 exec_lo, exec_lo, s8
	s_wait_dscnt 0x1d
	v_mbcnt_lo_u32_b32 v1, -1, 0
	s_clause 0x2
	s_load_b128 s[8:11], s[0:1], 0x0
	s_load_b64 s[14:15], s[0:1], 0x10
	s_load_b64 s[28:29], s[0:1], 0x28
	s_wait_dscnt 0x1c
	v_max_num_f32_e32 v5, v133, v133
	v_xor_b32_e32 v2, 16, v1
	v_xor_b32_e32 v4, 8, v1
	s_delay_alu instid0(VALU_DEP_2) | instskip(SKIP_2) | instid1(VALU_DEP_3)
	v_cmp_gt_i32_e32 vcc_lo, 32, v2
	s_wait_alu 0xfffd
	v_cndmask_b32_e32 v2, v1, v2, vcc_lo
	v_cmp_gt_i32_e32 vcc_lo, 32, v4
	s_delay_alu instid0(VALU_DEP_2)
	v_lshlrev_b32_e32 v2, 2, v2
	s_wait_alu 0xfffd
	v_cndmask_b32_e32 v4, v1, v4, vcc_lo
	ds_bpermute_b32 v3, v2, v133
	s_wait_dscnt 0x0
	v_dual_max_num_f32 v6, v3, v3 :: v_dual_lshlrev_b32 v3, 2, v4
	s_delay_alu instid0(VALU_DEP_1)
	v_max_num_f32_e32 v4, v5, v6
	v_xor_b32_e32 v6, 4, v1
	ds_bpermute_b32 v5, v3, v4
	v_cmp_gt_i32_e32 vcc_lo, 32, v6
	s_wait_alu 0xfffd
	v_cndmask_b32_e32 v6, v1, v6, vcc_lo
	s_delay_alu instid0(VALU_DEP_1) | instskip(SKIP_1) | instid1(VALU_DEP_1)
	v_lshlrev_b32_e32 v133, 2, v6
	v_xor_b32_e32 v6, 2, v1
	v_cmp_gt_i32_e32 vcc_lo, 32, v6
	s_wait_dscnt 0x0
	v_max_num_f32_e32 v5, v5, v5
	s_wait_alu 0xfffd
	v_cndmask_b32_e32 v6, v1, v6, vcc_lo
	s_delay_alu instid0(VALU_DEP_1) | instskip(SKIP_1) | instid1(VALU_DEP_1)
	v_lshlrev_b32_e32 v132, 2, v6
	v_xor_b32_e32 v6, 1, v1
	v_cmp_gt_i32_e32 vcc_lo, 32, v6
	s_wait_alu 0xfffd
	v_cndmask_b32_e32 v6, v1, v6, vcc_lo
	v_max_num_f32_e32 v4, v4, v5
	v_cmp_eq_u32_e32 vcc_lo, 0, v128
	s_delay_alu instid0(VALU_DEP_3) | instskip(SKIP_3) | instid1(VALU_DEP_1)
	v_lshlrev_b32_e32 v131, 2, v6
	ds_bpermute_b32 v5, v133, v4
	s_wait_dscnt 0x0
	v_max_num_f32_e32 v5, v5, v5
	v_max_num_f32_e32 v4, v4, v5
	ds_bpermute_b32 v5, v132, v4
	s_wait_dscnt 0x0
	v_max_num_f32_e32 v5, v5, v5
	s_delay_alu instid0(VALU_DEP_1)
	v_max_num_f32_e32 v1, v4, v5
	v_lshlrev_b32_e32 v5, 2, v127
	ds_bpermute_b32 v4, v131, v1
	s_and_saveexec_b32 s0, vcc_lo
	s_cbranch_execz .LBB50_19
; %bb.18:
	s_wait_dscnt 0x0
	v_dual_max_num_f32 v4, v4, v4 :: v_dual_max_num_f32 v1, v1, v1
	s_delay_alu instid0(VALU_DEP_1)
	v_max_num_f32_e32 v1, v1, v4
	ds_store_b32 v5, v1 offset:480
.LBB50_19:
	s_or_b32 exec_lo, exec_lo, s0
	v_cmp_gt_u32_e64 s0, 4, v128
	v_mov_b32_e32 v1, 0xff7fffff
	s_wait_loadcnt_dscnt 0x0
	s_barrier_signal -1
	s_barrier_wait -1
	global_inv scope:SCOPE_SE
	s_and_saveexec_b32 s1, s0
; %bb.20:
	ds_load_b32 v1, v134 offset:480
; %bb.21:
	s_or_b32 exec_lo, exec_lo, s1
	s_wait_dscnt 0x0
	ds_bpermute_b32 v4, v132, v1
	v_max_num_f32_e32 v1, v1, v1
	s_sub_co_i32 s1, s33, s37
	v_mov_b32_e32 v6, 0
	s_lshl_b32 s1, s1, 5
	s_delay_alu instid0(SALU_CYCLE_1) | instskip(NEXT) | instid1(SALU_CYCLE_1)
	s_add_co_i32 s1, s1, s34
	s_min_i32 s1, s1, s31
	s_delay_alu instid0(SALU_CYCLE_1) | instskip(SKIP_4) | instid1(VALU_DEP_1)
	s_sub_co_i32 s4, s1, s34
	s_wait_alu 0xfffe
	v_cmp_gt_i32_e64 s1, s4, v0
	s_wait_dscnt 0x0
	v_max_num_f32_e32 v4, v4, v4
	v_max_num_f32_e32 v1, v1, v4
	ds_bpermute_b32 v4, v131, v1
	s_wait_dscnt 0x0
	v_max_num_f32_e32 v4, v4, v4
	s_delay_alu instid0(VALU_DEP_1)
	v_max_num_f32_e32 v1, v1, v4
	v_lshl_add_u32 v4, v0, 2, 0x200
	ds_bpermute_b32 v1, v6, v1
	s_and_saveexec_b32 s27, s1
	s_cbranch_execz .LBB50_25
; %bb.22:
	v_lshl_add_u32 v7, v0, 2, 0x200
	v_mov_b32_e32 v6, 0
	v_mov_b32_e32 v8, v0
	s_mov_b32 s34, 0
.LBB50_23:                              ; =>This Inner Loop Header: Depth=1
	ds_load_b32 v9, v7
	v_add_nc_u32_e32 v8, 0x80, v8
	s_delay_alu instid0(VALU_DEP_1) | instskip(SKIP_4) | instid1(VALU_DEP_1)
	v_cmp_le_i32_e64 s3, s4, v8
	s_wait_alu 0xfffe
	s_or_b32 s34, s3, s34
	s_wait_dscnt 0x0
	v_sub_f32_e32 v9, v9, v1
	v_mul_f32_e32 v9, 0x3fb8aa3b, v9
	s_delay_alu instid0(VALU_DEP_1)
	v_exp_f32_e32 v9, v9
	ds_store_b32 v7, v9
	v_dual_add_f32 v6, v6, v9 :: v_dual_add_nc_u32 v7, 0x200, v7
	s_wait_alu 0xfffe
	s_and_not1_b32 exec_lo, exec_lo, s34
	s_cbranch_execnz .LBB50_23
; %bb.24:
	s_or_b32 exec_lo, exec_lo, s34
.LBB50_25:
	s_wait_alu 0xfffe
	s_or_b32 exec_lo, exec_lo, s27
	ds_bpermute_b32 v2, v2, v6
	s_wait_dscnt 0x0
	v_add_f32_e32 v2, v6, v2
	ds_bpermute_b32 v3, v3, v2
	s_wait_dscnt 0x0
	v_add_f32_e32 v2, v2, v3
	;; [unrolled: 3-line block ×5, first 2 shown]
	s_and_saveexec_b32 s3, vcc_lo
; %bb.26:
	ds_store_b32 v5, v2 offset:496
; %bb.27:
	s_wait_alu 0xfffe
	s_or_b32 exec_lo, exec_lo, s3
	s_wait_loadcnt_dscnt 0x0
	s_barrier_signal -1
	s_barrier_wait -1
	global_inv scope:SCOPE_SE
	s_and_saveexec_b32 s3, s0
; %bb.28:
	ds_load_b32 v2, v134 offset:496
; %bb.29:
	s_wait_alu 0xfffe
	s_or_b32 exec_lo, exec_lo, s3
	s_wait_dscnt 0x0
	ds_bpermute_b32 v3, v132, v2
	s_wait_dscnt 0x0
	v_add_f32_e32 v2, v2, v3
	ds_bpermute_b32 v3, v131, v2
	s_wait_dscnt 0x0
	v_dual_add_f32 v2, v2, v3 :: v_dual_mov_b32 v3, 0
	ds_bpermute_b32 v2, v3, v2
	s_and_saveexec_b32 s0, s1
	s_cbranch_execz .LBB50_32
; %bb.30:
	s_wait_dscnt 0x0
	v_add_f32_e32 v3, 0x358637bd, v2
	s_mov_b32 s1, 0
	s_delay_alu instid0(VALU_DEP_1) | instskip(SKIP_1) | instid1(VALU_DEP_2)
	v_div_scale_f32 v5, null, v3, v3, 1.0
	v_div_scale_f32 v8, vcc_lo, 1.0, v3, 1.0
	v_rcp_f32_e32 v6, v5
	s_delay_alu instid0(TRANS32_DEP_1) | instskip(NEXT) | instid1(VALU_DEP_1)
	v_fma_f32 v7, -v5, v6, 1.0
	v_fmac_f32_e32 v6, v7, v6
	s_delay_alu instid0(VALU_DEP_1) | instskip(NEXT) | instid1(VALU_DEP_1)
	v_mul_f32_e32 v7, v8, v6
	v_fma_f32 v9, -v5, v7, v8
	s_delay_alu instid0(VALU_DEP_1) | instskip(NEXT) | instid1(VALU_DEP_1)
	v_fmac_f32_e32 v7, v9, v6
	v_fma_f32 v5, -v5, v7, v8
	s_wait_alu 0xfffd
	s_delay_alu instid0(VALU_DEP_1) | instskip(NEXT) | instid1(VALU_DEP_1)
	v_div_fmas_f32 v5, v5, v6, v7
	v_div_fixup_f32 v3, v5, v3, 1.0
	v_mov_b32_e32 v5, v0
.LBB50_31:                              ; =>This Inner Loop Header: Depth=1
	ds_load_b32 v6, v4
	s_wait_dscnt 0x0
	v_dual_mul_f32 v6, v3, v6 :: v_dual_add_nc_u32 v5, 0x80, v5
	s_delay_alu instid0(VALU_DEP_1) | instskip(SKIP_3) | instid1(SALU_CYCLE_1)
	v_cmp_le_i32_e32 vcc_lo, s4, v5
	ds_store_b32 v4, v6
	v_add_nc_u32_e32 v4, 0x200, v4
	s_or_b32 s1, vcc_lo, s1
	s_and_not1_b32 exec_lo, exec_lo, s1
	s_cbranch_execnz .LBB50_31
.LBB50_32:
	s_or_b32 exec_lo, exec_lo, s0
	s_mul_i32 s0, s7, s18
	s_wait_loadcnt_dscnt 0x0
	s_mul_i32 s18, s0, s19
	s_mov_b32 s0, exec_lo
	s_barrier_signal -1
	s_barrier_wait -1
	global_inv scope:SCOPE_SE
	v_cmpx_eq_u32_e32 0, v0
	s_cbranch_execz .LBB50_34
; %bb.33:
	s_ashr_i32 s19, s18, 31
	s_mul_i32 s38, s7, ttmp9
	s_lshl_b32 s1, s30, 2
	s_lshl_b64 s[40:41], s[18:19], 2
	s_ashr_i32 s39, s38, 31
	v_mov_b32_e32 v3, s1
	s_wait_kmcnt 0x0
	s_add_nc_u64 s[10:11], s[10:11], s[40:41]
	s_lshl_b64 s[38:39], s[38:39], 2
	s_add_nc_u64 s[8:9], s[8:9], s[40:41]
	s_wait_alu 0xfffe
	s_add_nc_u64 s[10:11], s[10:11], s[38:39]
	s_add_nc_u64 s[8:9], s[8:9], s[38:39]
	s_clause 0x1
	global_store_b32 v3, v1, s[10:11]
	global_store_b32 v3, v2, s[8:9]
.LBB50_34:
	s_or_b32 exec_lo, exec_lo, s0
	v_dual_mov_b32 v163, 0 :: v_dual_and_b32 v134, 7, v0
	v_dual_mov_b32 v164, 0 :: v_dual_mov_b32 v161, 0
	v_dual_mov_b32 v162, 0 :: v_dual_mov_b32 v159, 0
	;; [unrolled: 1-line block ×14, first 2 shown]
	v_mov_b32_e32 v136, 0
	s_and_saveexec_b32 s4, s2
	s_cbranch_execz .LBB50_100
; %bb.35:
	s_abs_i32 s6, s6
	v_dual_mov_b32 v137, 0 :: v_dual_lshlrev_b32 v4, 4, v134
	s_cvt_f32_u32 s0, s6
	s_ashr_i32 s27, s26, 31
	v_dual_mov_b32 v136, 0 :: v_dual_and_b32 v3, 0x1f0, v125
	s_wait_alu 0xfffe
	v_rcp_iflag_f32_e32 v1, s0
	s_lshl_b64 s[0:1], s[24:25], 2
	s_lshl_b64 s[2:3], s[26:27], 2
	s_wait_alu 0xfffe
	s_add_nc_u64 s[0:1], s[22:23], s[0:1]
	v_dual_mov_b32 v135, 0 :: v_dual_lshlrev_b32 v2, 2, v0
	s_wait_alu 0xfffe
	v_add_co_u32 v125, s0, s0, v126
	s_wait_alu 0xf1ff
	v_add_co_ci_u32_e64 v126, null, s1, 0, s0
	s_wait_kmcnt 0x0
	v_readfirstlane_b32 s10, v1
	v_lshl_or_b32 v1, v127, 7, v4
	s_add_nc_u64 s[2:3], s[28:29], s[2:3]
	s_sub_co_i32 s11, 0, s6
	s_wait_alu 0xfffe
	v_add_co_u32 v166, s1, s2, v3
	s_mul_f32 s10, s10, 0x4f7ffffe
	v_dual_mov_b32 v138, 0 :: v_dual_and_b32 v165, 28, v2
	v_add_co_ci_u32_e64 v167, null, s3, 0, s1
	s_wait_alu 0xfffe
	s_cvt_u32_f32 s0, s10
	v_dual_mov_b32 v139, 0 :: v_dual_add_nc_u32 v168, 0x200, v1
	v_dual_mov_b32 v140, 0 :: v_dual_mov_b32 v141, 0
	s_wait_alu 0xfffe
	s_mul_i32 s11, s11, s0
	v_dual_mov_b32 v142, 0 :: v_dual_mov_b32 v143, 0
	v_dual_mov_b32 v144, 0 :: v_dual_mov_b32 v145, 0
	;; [unrolled: 1-line block ×11, first 2 shown]
	v_mov_b32_e32 v164, 0
	s_wait_alu 0xfffe
	s_mul_hi_u32 s1, s0, s11
	s_sub_co_i32 s5, s36, s5
	s_mov_b32 s8, s13
	s_add_co_i32 s9, s35, -1
	s_mov_b32 s10, 0
	s_wait_alu 0xfffe
	s_add_co_i32 s11, s0, s1
	s_branch .LBB50_38
.LBB50_36:                              ;   in Loop: Header=BB50_38 Depth=1
	s_wait_alu 0xfffe
	s_or_b32 exec_lo, exec_lo, s0
	s_wait_loadcnt_dscnt 0x1100
	v_mul_f32_e32 v53, v1, v53
	s_wait_loadcnt 0x9
	v_mul_f32_e32 v85, v1, v85
	v_mul_f32_e32 v45, v1, v45
	s_wait_loadcnt 0x5
	v_mul_f32_e32 v105, v1, v105
	v_mul_f32_e32 v77, v1, v77
	v_fmac_f32_e32 v53, v2, v54
	v_fmac_f32_e32 v85, v2, v86
	;; [unrolled: 1-line block ×3, first 2 shown]
	s_wait_loadcnt 0x3
	v_mul_f32_e32 v113, v1, v113
	v_fmac_f32_e32 v77, v2, v78
	v_fmac_f32_e32 v53, v3, v55
	;; [unrolled: 1-line block ×4, first 2 shown]
	v_mul_f32_e32 v29, v1, v29
	v_mul_f32_e32 v21, v1, v21
	v_fmac_f32_e32 v53, v4, v56
	v_fmac_f32_e32 v105, v2, v106
	s_wait_loadcnt 0x1
	v_mul_f32_e32 v121, v1, v121
	v_fmac_f32_e32 v85, v4, v88
	v_fmac_f32_e32 v113, v2, v114
	v_mul_f32_e32 v69, v1, v69
	v_fmac_f32_e32 v77, v3, v79
	v_fmac_f32_e32 v45, v4, v48
	v_dual_add_f32 v152, v152, v53 :: v_dual_fmac_f32 v105, v3, v107
	v_mul_f32_e32 v37, v1, v37
	v_fmac_f32_e32 v29, v2, v30
	v_fmac_f32_e32 v21, v2, v22
	v_mul_f32_e32 v9, v1, v9
	v_mul_f32_e32 v93, v1, v93
	v_add_f32_e32 v144, v144, v85
	v_mul_f32_e32 v61, v1, v61
	v_fmac_f32_e32 v69, v2, v70
	v_fmac_f32_e32 v77, v4, v80
	v_dual_fmac_f32 v113, v3, v115 :: v_dual_add_f32 v154, v154, v45
	v_fmac_f32_e32 v105, v4, v108
	v_fmac_f32_e32 v121, v2, v122
	;; [unrolled: 1-line block ×6, first 2 shown]
	v_mul_f32_e32 v117, v1, v117
	v_mul_f32_e32 v109, v1, v109
	v_add_f32_e32 v140, v140, v105
	v_mul_f32_e32 v101, v1, v101
	v_mul_f32_e32 v89, v1, v89
	v_mul_f32_e32 v81, v1, v81
	v_mul_f32_e32 v73, v1, v73
	v_mul_f32_e32 v65, v1, v65
	v_fmac_f32_e32 v61, v2, v62
	v_dual_fmac_f32 v69, v3, v71 :: v_dual_add_f32 v146, v146, v77
	v_fmac_f32_e32 v113, v4, v116
	v_fmac_f32_e32 v121, v3, v123
	v_mul_f32_e32 v57, v1, v57
	v_mul_f32_e32 v49, v1, v49
	;; [unrolled: 1-line block ×5, first 2 shown]
	v_fmac_f32_e32 v37, v3, v39
	v_fmac_f32_e32 v29, v4, v32
	;; [unrolled: 1-line block ×4, first 2 shown]
	v_mul_f32_e32 v17, v1, v17
	v_mul_f32_e32 v13, v1, v13
	;; [unrolled: 1-line block ×3, first 2 shown]
	s_wait_loadcnt 0x0
	v_mul_f32_e32 v1, v1, v97
	v_dual_fmac_f32 v9, v3, v11 :: v_dual_add_f32 v138, v138, v113
	v_dual_fmac_f32 v121, v4, v124 :: v_dual_add_f32 v158, v158, v29
	v_fmac_f32_e32 v117, v2, v118
	v_fmac_f32_e32 v81, v2, v82
	;; [unrolled: 1-line block ×13, first 2 shown]
	v_dual_fmac_f32 v101, v2, v102 :: v_dual_add_f32 v160, v160, v21
	v_fmac_f32_e32 v93, v3, v95
	v_fmac_f32_e32 v17, v2, v18
	v_fmac_f32_e32 v13, v2, v14
	v_fmac_f32_e32 v5, v2, v6
	v_fmac_f32_e32 v1, v2, v98
	v_fmac_f32_e32 v9, v4, v12
	v_dual_fmac_f32 v89, v2, v90 :: v_dual_add_f32 v136, v136, v121
	v_fmac_f32_e32 v81, v3, v83
	v_fmac_f32_e32 v93, v4, v96
	v_fmac_f32_e32 v117, v3, v119
	v_fmac_f32_e32 v73, v3, v75
	v_fmac_f32_e32 v65, v3, v67
	v_fmac_f32_e32 v61, v4, v64
	v_dual_add_f32 v148, v148, v69 :: v_dual_fmac_f32 v109, v3, v111
	v_fmac_f32_e32 v57, v3, v59
	v_fmac_f32_e32 v49, v3, v51
	;; [unrolled: 1-line block ×4, first 2 shown]
	v_dual_fmac_f32 v25, v3, v27 :: v_dual_add_f32 v156, v156, v37
	v_fmac_f32_e32 v101, v3, v103
	v_fmac_f32_e32 v17, v3, v19
	;; [unrolled: 1-line block ×4, first 2 shown]
	v_dual_fmac_f32 v1, v3, v99 :: v_dual_add_f32 v164, v164, v9
	v_fmac_f32_e32 v89, v3, v91
	v_fmac_f32_e32 v101, v4, v104
	v_dual_fmac_f32 v81, v4, v84 :: v_dual_add_f32 v142, v142, v93
	v_fmac_f32_e32 v73, v4, v76
	s_delay_alu instid0(VALU_DEP_4)
	v_fmac_f32_e32 v89, v4, v92
	v_dual_fmac_f32 v65, v4, v68 :: v_dual_add_f32 v150, v150, v61
	v_fmac_f32_e32 v109, v4, v112
	v_fmac_f32_e32 v57, v4, v60
	;; [unrolled: 1-line block ×11, first 2 shown]
	v_add_f32_e32 v139, v139, v109
	v_add_f32_e32 v141, v141, v101
	;; [unrolled: 1-line block ×16, first 2 shown]
.LBB50_37:                              ;   in Loop: Header=BB50_38 Depth=1
	s_wait_alu 0xfffe
	s_or_b32 exec_lo, exec_lo, s13
	v_add_nc_u32_e32 v129, 4, v129
	v_add_co_u32 v125, s0, v125, 16
	s_wait_alu 0xf1ff
	v_add_co_ci_u32_e64 v126, null, 0, v126, s0
	s_delay_alu instid0(VALU_DEP_3)
	v_cmp_le_i32_e32 vcc_lo, s33, v129
	v_add_nc_u32_e32 v130, 0x80, v130
	v_add_nc_u32_e32 v168, 0x200, v168
	s_or_b32 s10, vcc_lo, s10
	s_wait_alu 0xfffe
	s_and_not1_b32 exec_lo, exec_lo, s10
	s_cbranch_execz .LBB50_99
.LBB50_38:                              ; =>This Inner Loop Header: Depth=1
	v_sub_nc_u32_e32 v1, 0, v130
	s_delay_alu instid0(VALU_DEP_1) | instskip(NEXT) | instid1(VALU_DEP_1)
	v_max_i32_e32 v1, v130, v1
	v_mul_hi_u32 v2, v1, s20
	s_delay_alu instid0(VALU_DEP_1) | instskip(NEXT) | instid1(VALU_DEP_1)
	v_mul_lo_u32 v3, v2, s12
	v_sub_nc_u32_e32 v1, v1, v3
	v_add_nc_u32_e32 v3, 1, v2
	s_delay_alu instid0(VALU_DEP_2) | instskip(SKIP_2) | instid1(VALU_DEP_2)
	v_subrev_nc_u32_e32 v4, s12, v1
	v_cmp_le_u32_e32 vcc_lo, s12, v1
	s_wait_alu 0xfffd
	v_dual_cndmask_b32 v2, v2, v3 :: v_dual_cndmask_b32 v1, v1, v4
	v_ashrrev_i32_e32 v3, 31, v130
	s_delay_alu instid0(VALU_DEP_2) | instskip(NEXT) | instid1(VALU_DEP_3)
	v_add_nc_u32_e32 v4, 1, v2
	v_cmp_le_u32_e32 vcc_lo, s12, v1
	s_delay_alu instid0(VALU_DEP_3) | instskip(SKIP_1) | instid1(VALU_DEP_3)
	v_xor_b32_e32 v3, s21, v3
	s_wait_alu 0xfffd
	v_cndmask_b32_e32 v1, v2, v4, vcc_lo
	s_delay_alu instid0(VALU_DEP_1) | instskip(NEXT) | instid1(VALU_DEP_1)
	v_xor_b32_e32 v1, v1, v3
	v_sub_nc_u32_e32 v1, v1, v3
	s_delay_alu instid0(VALU_DEP_1) | instskip(SKIP_1) | instid1(VALU_DEP_2)
	v_add_nc_u32_e32 v2, s17, v1
	v_cmp_lt_i32_e64 s0, s5, v1
	v_sub_nc_u32_e32 v3, 0, v2
	s_delay_alu instid0(VALU_DEP_1) | instskip(SKIP_1) | instid1(VALU_DEP_1)
	v_max_i32_e32 v3, v2, v3
	s_wait_alu 0xfffe
	v_mul_hi_u32 v4, v3, s11
	s_delay_alu instid0(VALU_DEP_1) | instskip(NEXT) | instid1(VALU_DEP_1)
	v_mul_lo_u32 v4, v4, s6
	v_sub_nc_u32_e32 v3, v3, v4
	s_delay_alu instid0(VALU_DEP_1) | instskip(SKIP_2) | instid1(VALU_DEP_2)
	v_subrev_nc_u32_e32 v4, s6, v3
	v_cmp_le_u32_e32 vcc_lo, s6, v3
	s_wait_alu 0xfffd
	v_cndmask_b32_e32 v3, v3, v4, vcc_lo
	v_ashrrev_i32_e32 v2, 31, v2
	s_delay_alu instid0(VALU_DEP_2) | instskip(SKIP_2) | instid1(VALU_DEP_2)
	v_subrev_nc_u32_e32 v4, s6, v3
	v_cmp_le_u32_e32 vcc_lo, s6, v3
	s_wait_alu 0xfffd
	v_cndmask_b32_e32 v3, v3, v4, vcc_lo
	s_delay_alu instid0(VALU_DEP_1) | instskip(NEXT) | instid1(VALU_DEP_1)
	v_xor_b32_e32 v3, v3, v2
	v_sub_nc_u32_e32 v2, v3, v2
	s_delay_alu instid0(VALU_DEP_1)
	v_cmp_eq_u32_e32 vcc_lo, 0, v2
	s_or_b32 s0, vcc_lo, s0
	s_wait_alu 0xfffe
	s_and_saveexec_b32 s13, s0
	s_cbranch_execz .LBB50_37
; %bb.39:                               ;   in Loop: Header=BB50_38 Depth=1
	global_load_b32 v1, v[125:126], off
	v_add_nc_u32_e32 v169, v165, v130
	s_delay_alu instid0(VALU_DEP_1) | instskip(SKIP_4) | instid1(VALU_DEP_1)
	v_add_nc_u32_e32 v172, 1, v169
	v_add_nc_u32_e32 v171, 2, v169
	;; [unrolled: 1-line block ×3, first 2 shown]
	s_wait_loadcnt 0x0
	v_mad_co_i64_i32 v[1:2], null, v1, s8, 0
	v_lshlrev_b64_e32 v[1:2], 2, v[1:2]
	s_delay_alu instid0(VALU_DEP_1) | instskip(SKIP_1) | instid1(VALU_DEP_2)
	v_add_co_u32 v97, vcc_lo, v166, v1
	s_wait_alu 0xfffd
	v_add_co_ci_u32_e64 v98, null, v167, v2, vcc_lo
	ds_load_b128 v[1:4], v168
	v_cmp_eq_u32_e32 vcc_lo, s9, v129
	global_load_b128 v[5:8], v[97:98], off
	s_and_saveexec_b32 s1, vcc_lo
	s_cbranch_execnz .LBB50_69
; %bb.40:                               ;   in Loop: Header=BB50_38 Depth=1
	s_wait_alu 0xfffe
	s_or_b32 exec_lo, exec_lo, s1
	global_load_b128 v[9:12], v[97:98], off offset:512
	s_and_saveexec_b32 s1, vcc_lo
	s_cbranch_execnz .LBB50_70
.LBB50_41:                              ;   in Loop: Header=BB50_38 Depth=1
	s_wait_alu 0xfffe
	s_or_b32 exec_lo, exec_lo, s1
	global_load_b128 v[13:16], v[97:98], off offset:1024
	s_and_saveexec_b32 s1, vcc_lo
	s_cbranch_execnz .LBB50_71
.LBB50_42:                              ;   in Loop: Header=BB50_38 Depth=1
	s_wait_alu 0xfffe
	s_or_b32 exec_lo, exec_lo, s1
	global_load_b128 v[17:20], v[97:98], off offset:1536
	s_and_saveexec_b32 s1, vcc_lo
	s_cbranch_execnz .LBB50_72
.LBB50_43:                              ;   in Loop: Header=BB50_38 Depth=1
	s_wait_alu 0xfffe
	s_or_b32 exec_lo, exec_lo, s1
	global_load_b128 v[21:24], v[97:98], off offset:2048
	s_and_saveexec_b32 s1, vcc_lo
	s_cbranch_execnz .LBB50_73
.LBB50_44:                              ;   in Loop: Header=BB50_38 Depth=1
	s_wait_alu 0xfffe
	s_or_b32 exec_lo, exec_lo, s1
	global_load_b128 v[25:28], v[97:98], off offset:2560
	s_and_saveexec_b32 s1, vcc_lo
	s_cbranch_execnz .LBB50_74
.LBB50_45:                              ;   in Loop: Header=BB50_38 Depth=1
	s_wait_alu 0xfffe
	s_or_b32 exec_lo, exec_lo, s1
	global_load_b128 v[29:32], v[97:98], off offset:3072
	s_and_saveexec_b32 s1, vcc_lo
	s_cbranch_execnz .LBB50_75
.LBB50_46:                              ;   in Loop: Header=BB50_38 Depth=1
	s_wait_alu 0xfffe
	s_or_b32 exec_lo, exec_lo, s1
	global_load_b128 v[33:36], v[97:98], off offset:3584
	s_and_saveexec_b32 s1, vcc_lo
	s_cbranch_execnz .LBB50_76
.LBB50_47:                              ;   in Loop: Header=BB50_38 Depth=1
	s_wait_alu 0xfffe
	s_or_b32 exec_lo, exec_lo, s1
	global_load_b128 v[37:40], v[97:98], off offset:4096
	s_and_saveexec_b32 s1, vcc_lo
	s_cbranch_execnz .LBB50_77
.LBB50_48:                              ;   in Loop: Header=BB50_38 Depth=1
	s_wait_alu 0xfffe
	s_or_b32 exec_lo, exec_lo, s1
	global_load_b128 v[41:44], v[97:98], off offset:4608
	s_and_saveexec_b32 s1, vcc_lo
	s_cbranch_execnz .LBB50_78
.LBB50_49:                              ;   in Loop: Header=BB50_38 Depth=1
	s_wait_alu 0xfffe
	s_or_b32 exec_lo, exec_lo, s1
	global_load_b128 v[45:48], v[97:98], off offset:5120
	s_and_saveexec_b32 s1, vcc_lo
	s_cbranch_execnz .LBB50_79
.LBB50_50:                              ;   in Loop: Header=BB50_38 Depth=1
	s_wait_alu 0xfffe
	s_or_b32 exec_lo, exec_lo, s1
	global_load_b128 v[49:52], v[97:98], off offset:5632
	s_and_saveexec_b32 s1, vcc_lo
	s_cbranch_execnz .LBB50_80
.LBB50_51:                              ;   in Loop: Header=BB50_38 Depth=1
	s_wait_alu 0xfffe
	s_or_b32 exec_lo, exec_lo, s1
	global_load_b128 v[53:56], v[97:98], off offset:6144
	s_and_saveexec_b32 s1, vcc_lo
	s_cbranch_execnz .LBB50_81
.LBB50_52:                              ;   in Loop: Header=BB50_38 Depth=1
	s_wait_alu 0xfffe
	s_or_b32 exec_lo, exec_lo, s1
	global_load_b128 v[57:60], v[97:98], off offset:6656
	s_and_saveexec_b32 s1, vcc_lo
	s_cbranch_execnz .LBB50_82
.LBB50_53:                              ;   in Loop: Header=BB50_38 Depth=1
	s_wait_alu 0xfffe
	s_or_b32 exec_lo, exec_lo, s1
	global_load_b128 v[61:64], v[97:98], off offset:7168
	s_and_saveexec_b32 s1, vcc_lo
	s_cbranch_execnz .LBB50_83
.LBB50_54:                              ;   in Loop: Header=BB50_38 Depth=1
	s_wait_alu 0xfffe
	s_or_b32 exec_lo, exec_lo, s1
	global_load_b128 v[65:68], v[97:98], off offset:7680
	s_and_saveexec_b32 s1, vcc_lo
	s_cbranch_execnz .LBB50_84
.LBB50_55:                              ;   in Loop: Header=BB50_38 Depth=1
	s_wait_alu 0xfffe
	s_or_b32 exec_lo, exec_lo, s1
	global_load_b128 v[69:72], v[97:98], off offset:8192
	s_and_saveexec_b32 s1, vcc_lo
	s_cbranch_execnz .LBB50_85
.LBB50_56:                              ;   in Loop: Header=BB50_38 Depth=1
	s_wait_alu 0xfffe
	s_or_b32 exec_lo, exec_lo, s1
	global_load_b128 v[73:76], v[97:98], off offset:8704
	s_and_saveexec_b32 s1, vcc_lo
	s_cbranch_execnz .LBB50_86
.LBB50_57:                              ;   in Loop: Header=BB50_38 Depth=1
	s_wait_alu 0xfffe
	s_or_b32 exec_lo, exec_lo, s1
	global_load_b128 v[77:80], v[97:98], off offset:9216
	s_and_saveexec_b32 s1, vcc_lo
	s_cbranch_execnz .LBB50_87
.LBB50_58:                              ;   in Loop: Header=BB50_38 Depth=1
	s_wait_alu 0xfffe
	s_or_b32 exec_lo, exec_lo, s1
	global_load_b128 v[81:84], v[97:98], off offset:9728
	s_and_saveexec_b32 s1, vcc_lo
	s_cbranch_execnz .LBB50_88
.LBB50_59:                              ;   in Loop: Header=BB50_38 Depth=1
	s_wait_alu 0xfffe
	s_or_b32 exec_lo, exec_lo, s1
	global_load_b128 v[85:88], v[97:98], off offset:10240
	s_and_saveexec_b32 s1, vcc_lo
	s_cbranch_execnz .LBB50_89
.LBB50_60:                              ;   in Loop: Header=BB50_38 Depth=1
	s_wait_alu 0xfffe
	s_or_b32 exec_lo, exec_lo, s1
	global_load_b128 v[89:92], v[97:98], off offset:10752
	s_and_saveexec_b32 s1, vcc_lo
	s_cbranch_execnz .LBB50_90
.LBB50_61:                              ;   in Loop: Header=BB50_38 Depth=1
	s_wait_alu 0xfffe
	s_or_b32 exec_lo, exec_lo, s1
	global_load_b128 v[93:96], v[97:98], off offset:11264
	s_and_saveexec_b32 s1, vcc_lo
	s_cbranch_execnz .LBB50_91
.LBB50_62:                              ;   in Loop: Header=BB50_38 Depth=1
	s_wait_alu 0xfffe
	s_or_b32 exec_lo, exec_lo, s1
	global_load_b128 v[101:104], v[97:98], off offset:11776
	s_and_saveexec_b32 s1, vcc_lo
	s_cbranch_execnz .LBB50_92
.LBB50_63:                              ;   in Loop: Header=BB50_38 Depth=1
	s_wait_alu 0xfffe
	s_or_b32 exec_lo, exec_lo, s1
	global_load_b128 v[105:108], v[97:98], off offset:12288
	s_and_saveexec_b32 s1, vcc_lo
	s_cbranch_execnz .LBB50_93
.LBB50_64:                              ;   in Loop: Header=BB50_38 Depth=1
	s_wait_alu 0xfffe
	s_or_b32 exec_lo, exec_lo, s1
	global_load_b128 v[109:112], v[97:98], off offset:12800
	s_and_saveexec_b32 s1, vcc_lo
	s_cbranch_execnz .LBB50_94
.LBB50_65:                              ;   in Loop: Header=BB50_38 Depth=1
	s_wait_alu 0xfffe
	s_or_b32 exec_lo, exec_lo, s1
	global_load_b128 v[113:116], v[97:98], off offset:13312
	s_and_saveexec_b32 s1, vcc_lo
	s_cbranch_execnz .LBB50_95
.LBB50_66:                              ;   in Loop: Header=BB50_38 Depth=1
	s_wait_alu 0xfffe
	s_or_b32 exec_lo, exec_lo, s1
	global_load_b128 v[117:120], v[97:98], off offset:13824
	s_and_saveexec_b32 s1, vcc_lo
	s_cbranch_execnz .LBB50_96
.LBB50_67:                              ;   in Loop: Header=BB50_38 Depth=1
	s_wait_alu 0xfffe
	s_or_b32 exec_lo, exec_lo, s1
	global_load_b128 v[121:124], v[97:98], off offset:14336
	s_and_saveexec_b32 s19, vcc_lo
	s_cbranch_execnz .LBB50_97
.LBB50_68:                              ;   in Loop: Header=BB50_38 Depth=1
	s_or_b32 exec_lo, exec_lo, s19
	global_load_b128 v[97:100], v[97:98], off offset:14848
	s_and_saveexec_b32 s0, vcc_lo
	s_cbranch_execz .LBB50_36
	s_branch .LBB50_98
.LBB50_69:                              ;   in Loop: Header=BB50_38 Depth=1
	v_cmp_gt_i32_e64 s0, s31, v169
	s_wait_loadcnt 0x0
	s_wait_alu 0xf1ff
	s_delay_alu instid0(VALU_DEP_1) | instskip(SKIP_2) | instid1(VALU_DEP_1)
	v_cndmask_b32_e64 v5, 0, v5, s0
	v_cmp_gt_i32_e64 s0, s31, v172
	s_wait_alu 0xf1ff
	v_cndmask_b32_e64 v6, 0, v6, s0
	v_cmp_gt_i32_e64 s0, s31, v171
	s_wait_alu 0xf1ff
	s_delay_alu instid0(VALU_DEP_1) | instskip(SKIP_2) | instid1(VALU_DEP_1)
	v_cndmask_b32_e64 v7, 0, v7, s0
	v_cmp_gt_i32_e64 s0, s31, v170
	s_wait_alu 0xf1ff
	v_cndmask_b32_e64 v8, 0, v8, s0
	s_wait_alu 0xfffe
	s_or_b32 exec_lo, exec_lo, s1
	global_load_b128 v[9:12], v[97:98], off offset:512
	s_and_saveexec_b32 s1, vcc_lo
	s_cbranch_execz .LBB50_41
.LBB50_70:                              ;   in Loop: Header=BB50_38 Depth=1
	v_cmp_gt_i32_e64 s0, s31, v169
	s_wait_loadcnt 0x0
	s_wait_alu 0xf1ff
	s_delay_alu instid0(VALU_DEP_1) | instskip(SKIP_2) | instid1(VALU_DEP_1)
	v_cndmask_b32_e64 v9, 0, v9, s0
	v_cmp_gt_i32_e64 s0, s31, v172
	s_wait_alu 0xf1ff
	v_cndmask_b32_e64 v10, 0, v10, s0
	v_cmp_gt_i32_e64 s0, s31, v171
	s_wait_alu 0xf1ff
	s_delay_alu instid0(VALU_DEP_1) | instskip(SKIP_2) | instid1(VALU_DEP_1)
	v_cndmask_b32_e64 v11, 0, v11, s0
	v_cmp_gt_i32_e64 s0, s31, v170
	s_wait_alu 0xf1ff
	v_cndmask_b32_e64 v12, 0, v12, s0
	s_wait_alu 0xfffe
	s_or_b32 exec_lo, exec_lo, s1
	global_load_b128 v[13:16], v[97:98], off offset:1024
	s_and_saveexec_b32 s1, vcc_lo
	s_cbranch_execz .LBB50_42
.LBB50_71:                              ;   in Loop: Header=BB50_38 Depth=1
	v_cmp_gt_i32_e64 s0, s31, v169
	s_wait_loadcnt 0x0
	s_wait_alu 0xf1ff
	s_delay_alu instid0(VALU_DEP_1) | instskip(SKIP_2) | instid1(VALU_DEP_1)
	v_cndmask_b32_e64 v13, 0, v13, s0
	v_cmp_gt_i32_e64 s0, s31, v172
	s_wait_alu 0xf1ff
	v_cndmask_b32_e64 v14, 0, v14, s0
	v_cmp_gt_i32_e64 s0, s31, v171
	s_wait_alu 0xf1ff
	s_delay_alu instid0(VALU_DEP_1) | instskip(SKIP_2) | instid1(VALU_DEP_1)
	v_cndmask_b32_e64 v15, 0, v15, s0
	v_cmp_gt_i32_e64 s0, s31, v170
	s_wait_alu 0xf1ff
	v_cndmask_b32_e64 v16, 0, v16, s0
	s_wait_alu 0xfffe
	s_or_b32 exec_lo, exec_lo, s1
	global_load_b128 v[17:20], v[97:98], off offset:1536
	s_and_saveexec_b32 s1, vcc_lo
	s_cbranch_execz .LBB50_43
.LBB50_72:                              ;   in Loop: Header=BB50_38 Depth=1
	v_cmp_gt_i32_e64 s0, s31, v169
	s_wait_loadcnt 0x0
	s_wait_alu 0xf1ff
	s_delay_alu instid0(VALU_DEP_1) | instskip(SKIP_2) | instid1(VALU_DEP_1)
	v_cndmask_b32_e64 v17, 0, v17, s0
	v_cmp_gt_i32_e64 s0, s31, v172
	s_wait_alu 0xf1ff
	v_cndmask_b32_e64 v18, 0, v18, s0
	v_cmp_gt_i32_e64 s0, s31, v171
	s_wait_alu 0xf1ff
	s_delay_alu instid0(VALU_DEP_1) | instskip(SKIP_2) | instid1(VALU_DEP_1)
	v_cndmask_b32_e64 v19, 0, v19, s0
	v_cmp_gt_i32_e64 s0, s31, v170
	s_wait_alu 0xf1ff
	v_cndmask_b32_e64 v20, 0, v20, s0
	s_wait_alu 0xfffe
	s_or_b32 exec_lo, exec_lo, s1
	global_load_b128 v[21:24], v[97:98], off offset:2048
	s_and_saveexec_b32 s1, vcc_lo
	s_cbranch_execz .LBB50_44
.LBB50_73:                              ;   in Loop: Header=BB50_38 Depth=1
	v_cmp_gt_i32_e64 s0, s31, v169
	s_wait_loadcnt 0x0
	s_wait_alu 0xf1ff
	s_delay_alu instid0(VALU_DEP_1) | instskip(SKIP_2) | instid1(VALU_DEP_1)
	v_cndmask_b32_e64 v21, 0, v21, s0
	v_cmp_gt_i32_e64 s0, s31, v172
	s_wait_alu 0xf1ff
	v_cndmask_b32_e64 v22, 0, v22, s0
	v_cmp_gt_i32_e64 s0, s31, v171
	s_wait_alu 0xf1ff
	s_delay_alu instid0(VALU_DEP_1) | instskip(SKIP_2) | instid1(VALU_DEP_1)
	v_cndmask_b32_e64 v23, 0, v23, s0
	v_cmp_gt_i32_e64 s0, s31, v170
	s_wait_alu 0xf1ff
	v_cndmask_b32_e64 v24, 0, v24, s0
	s_wait_alu 0xfffe
	s_or_b32 exec_lo, exec_lo, s1
	global_load_b128 v[25:28], v[97:98], off offset:2560
	s_and_saveexec_b32 s1, vcc_lo
	s_cbranch_execz .LBB50_45
.LBB50_74:                              ;   in Loop: Header=BB50_38 Depth=1
	v_cmp_gt_i32_e64 s0, s31, v169
	s_wait_loadcnt 0x0
	s_wait_alu 0xf1ff
	s_delay_alu instid0(VALU_DEP_1) | instskip(SKIP_2) | instid1(VALU_DEP_1)
	v_cndmask_b32_e64 v25, 0, v25, s0
	v_cmp_gt_i32_e64 s0, s31, v172
	s_wait_alu 0xf1ff
	v_cndmask_b32_e64 v26, 0, v26, s0
	v_cmp_gt_i32_e64 s0, s31, v171
	s_wait_alu 0xf1ff
	s_delay_alu instid0(VALU_DEP_1) | instskip(SKIP_2) | instid1(VALU_DEP_1)
	v_cndmask_b32_e64 v27, 0, v27, s0
	v_cmp_gt_i32_e64 s0, s31, v170
	s_wait_alu 0xf1ff
	v_cndmask_b32_e64 v28, 0, v28, s0
	s_wait_alu 0xfffe
	s_or_b32 exec_lo, exec_lo, s1
	global_load_b128 v[29:32], v[97:98], off offset:3072
	s_and_saveexec_b32 s1, vcc_lo
	s_cbranch_execz .LBB50_46
.LBB50_75:                              ;   in Loop: Header=BB50_38 Depth=1
	v_cmp_gt_i32_e64 s0, s31, v169
	s_wait_loadcnt 0x0
	s_wait_alu 0xf1ff
	s_delay_alu instid0(VALU_DEP_1) | instskip(SKIP_2) | instid1(VALU_DEP_1)
	v_cndmask_b32_e64 v29, 0, v29, s0
	v_cmp_gt_i32_e64 s0, s31, v172
	s_wait_alu 0xf1ff
	v_cndmask_b32_e64 v30, 0, v30, s0
	v_cmp_gt_i32_e64 s0, s31, v171
	s_wait_alu 0xf1ff
	s_delay_alu instid0(VALU_DEP_1) | instskip(SKIP_2) | instid1(VALU_DEP_1)
	v_cndmask_b32_e64 v31, 0, v31, s0
	v_cmp_gt_i32_e64 s0, s31, v170
	s_wait_alu 0xf1ff
	v_cndmask_b32_e64 v32, 0, v32, s0
	s_wait_alu 0xfffe
	s_or_b32 exec_lo, exec_lo, s1
	global_load_b128 v[33:36], v[97:98], off offset:3584
	s_and_saveexec_b32 s1, vcc_lo
	s_cbranch_execz .LBB50_47
.LBB50_76:                              ;   in Loop: Header=BB50_38 Depth=1
	v_cmp_gt_i32_e64 s0, s31, v169
	s_wait_loadcnt 0x0
	s_wait_alu 0xf1ff
	s_delay_alu instid0(VALU_DEP_1) | instskip(SKIP_2) | instid1(VALU_DEP_1)
	v_cndmask_b32_e64 v33, 0, v33, s0
	v_cmp_gt_i32_e64 s0, s31, v172
	s_wait_alu 0xf1ff
	v_cndmask_b32_e64 v34, 0, v34, s0
	v_cmp_gt_i32_e64 s0, s31, v171
	s_wait_alu 0xf1ff
	s_delay_alu instid0(VALU_DEP_1) | instskip(SKIP_2) | instid1(VALU_DEP_1)
	v_cndmask_b32_e64 v35, 0, v35, s0
	v_cmp_gt_i32_e64 s0, s31, v170
	s_wait_alu 0xf1ff
	v_cndmask_b32_e64 v36, 0, v36, s0
	s_wait_alu 0xfffe
	s_or_b32 exec_lo, exec_lo, s1
	global_load_b128 v[37:40], v[97:98], off offset:4096
	s_and_saveexec_b32 s1, vcc_lo
	s_cbranch_execz .LBB50_48
.LBB50_77:                              ;   in Loop: Header=BB50_38 Depth=1
	v_cmp_gt_i32_e64 s0, s31, v169
	s_wait_loadcnt 0x0
	s_wait_alu 0xf1ff
	s_delay_alu instid0(VALU_DEP_1) | instskip(SKIP_2) | instid1(VALU_DEP_1)
	v_cndmask_b32_e64 v37, 0, v37, s0
	v_cmp_gt_i32_e64 s0, s31, v172
	s_wait_alu 0xf1ff
	v_cndmask_b32_e64 v38, 0, v38, s0
	v_cmp_gt_i32_e64 s0, s31, v171
	s_wait_alu 0xf1ff
	s_delay_alu instid0(VALU_DEP_1) | instskip(SKIP_2) | instid1(VALU_DEP_1)
	v_cndmask_b32_e64 v39, 0, v39, s0
	v_cmp_gt_i32_e64 s0, s31, v170
	s_wait_alu 0xf1ff
	v_cndmask_b32_e64 v40, 0, v40, s0
	s_wait_alu 0xfffe
	s_or_b32 exec_lo, exec_lo, s1
	global_load_b128 v[41:44], v[97:98], off offset:4608
	s_and_saveexec_b32 s1, vcc_lo
	s_cbranch_execz .LBB50_49
.LBB50_78:                              ;   in Loop: Header=BB50_38 Depth=1
	v_cmp_gt_i32_e64 s0, s31, v169
	s_wait_loadcnt 0x0
	s_wait_alu 0xf1ff
	s_delay_alu instid0(VALU_DEP_1) | instskip(SKIP_2) | instid1(VALU_DEP_1)
	v_cndmask_b32_e64 v41, 0, v41, s0
	v_cmp_gt_i32_e64 s0, s31, v172
	s_wait_alu 0xf1ff
	v_cndmask_b32_e64 v42, 0, v42, s0
	v_cmp_gt_i32_e64 s0, s31, v171
	s_wait_alu 0xf1ff
	s_delay_alu instid0(VALU_DEP_1) | instskip(SKIP_2) | instid1(VALU_DEP_1)
	v_cndmask_b32_e64 v43, 0, v43, s0
	v_cmp_gt_i32_e64 s0, s31, v170
	s_wait_alu 0xf1ff
	v_cndmask_b32_e64 v44, 0, v44, s0
	s_wait_alu 0xfffe
	s_or_b32 exec_lo, exec_lo, s1
	global_load_b128 v[45:48], v[97:98], off offset:5120
	s_and_saveexec_b32 s1, vcc_lo
	s_cbranch_execz .LBB50_50
.LBB50_79:                              ;   in Loop: Header=BB50_38 Depth=1
	v_cmp_gt_i32_e64 s0, s31, v169
	s_wait_loadcnt 0x0
	s_wait_alu 0xf1ff
	s_delay_alu instid0(VALU_DEP_1) | instskip(SKIP_2) | instid1(VALU_DEP_1)
	v_cndmask_b32_e64 v45, 0, v45, s0
	v_cmp_gt_i32_e64 s0, s31, v172
	s_wait_alu 0xf1ff
	v_cndmask_b32_e64 v46, 0, v46, s0
	v_cmp_gt_i32_e64 s0, s31, v171
	s_wait_alu 0xf1ff
	s_delay_alu instid0(VALU_DEP_1) | instskip(SKIP_2) | instid1(VALU_DEP_1)
	v_cndmask_b32_e64 v47, 0, v47, s0
	v_cmp_gt_i32_e64 s0, s31, v170
	s_wait_alu 0xf1ff
	v_cndmask_b32_e64 v48, 0, v48, s0
	s_wait_alu 0xfffe
	s_or_b32 exec_lo, exec_lo, s1
	global_load_b128 v[49:52], v[97:98], off offset:5632
	s_and_saveexec_b32 s1, vcc_lo
	s_cbranch_execz .LBB50_51
.LBB50_80:                              ;   in Loop: Header=BB50_38 Depth=1
	v_cmp_gt_i32_e64 s0, s31, v169
	s_wait_loadcnt 0x0
	s_wait_alu 0xf1ff
	s_delay_alu instid0(VALU_DEP_1) | instskip(SKIP_2) | instid1(VALU_DEP_1)
	v_cndmask_b32_e64 v49, 0, v49, s0
	v_cmp_gt_i32_e64 s0, s31, v172
	s_wait_alu 0xf1ff
	v_cndmask_b32_e64 v50, 0, v50, s0
	v_cmp_gt_i32_e64 s0, s31, v171
	s_wait_alu 0xf1ff
	s_delay_alu instid0(VALU_DEP_1) | instskip(SKIP_2) | instid1(VALU_DEP_1)
	v_cndmask_b32_e64 v51, 0, v51, s0
	v_cmp_gt_i32_e64 s0, s31, v170
	s_wait_alu 0xf1ff
	v_cndmask_b32_e64 v52, 0, v52, s0
	s_wait_alu 0xfffe
	s_or_b32 exec_lo, exec_lo, s1
	global_load_b128 v[53:56], v[97:98], off offset:6144
	s_and_saveexec_b32 s1, vcc_lo
	s_cbranch_execz .LBB50_52
.LBB50_81:                              ;   in Loop: Header=BB50_38 Depth=1
	v_cmp_gt_i32_e64 s0, s31, v169
	s_wait_loadcnt 0x0
	s_wait_alu 0xf1ff
	s_delay_alu instid0(VALU_DEP_1) | instskip(SKIP_2) | instid1(VALU_DEP_1)
	v_cndmask_b32_e64 v53, 0, v53, s0
	v_cmp_gt_i32_e64 s0, s31, v172
	s_wait_alu 0xf1ff
	v_cndmask_b32_e64 v54, 0, v54, s0
	v_cmp_gt_i32_e64 s0, s31, v171
	s_wait_alu 0xf1ff
	s_delay_alu instid0(VALU_DEP_1) | instskip(SKIP_2) | instid1(VALU_DEP_1)
	v_cndmask_b32_e64 v55, 0, v55, s0
	v_cmp_gt_i32_e64 s0, s31, v170
	s_wait_alu 0xf1ff
	v_cndmask_b32_e64 v56, 0, v56, s0
	s_wait_alu 0xfffe
	s_or_b32 exec_lo, exec_lo, s1
	global_load_b128 v[57:60], v[97:98], off offset:6656
	s_and_saveexec_b32 s1, vcc_lo
	s_cbranch_execz .LBB50_53
.LBB50_82:                              ;   in Loop: Header=BB50_38 Depth=1
	v_cmp_gt_i32_e64 s0, s31, v169
	s_wait_loadcnt 0x0
	s_wait_alu 0xf1ff
	s_delay_alu instid0(VALU_DEP_1) | instskip(SKIP_2) | instid1(VALU_DEP_1)
	v_cndmask_b32_e64 v57, 0, v57, s0
	v_cmp_gt_i32_e64 s0, s31, v172
	s_wait_alu 0xf1ff
	v_cndmask_b32_e64 v58, 0, v58, s0
	v_cmp_gt_i32_e64 s0, s31, v171
	s_wait_alu 0xf1ff
	s_delay_alu instid0(VALU_DEP_1) | instskip(SKIP_2) | instid1(VALU_DEP_1)
	v_cndmask_b32_e64 v59, 0, v59, s0
	v_cmp_gt_i32_e64 s0, s31, v170
	s_wait_alu 0xf1ff
	v_cndmask_b32_e64 v60, 0, v60, s0
	s_wait_alu 0xfffe
	s_or_b32 exec_lo, exec_lo, s1
	global_load_b128 v[61:64], v[97:98], off offset:7168
	s_and_saveexec_b32 s1, vcc_lo
	s_cbranch_execz .LBB50_54
.LBB50_83:                              ;   in Loop: Header=BB50_38 Depth=1
	v_cmp_gt_i32_e64 s0, s31, v169
	s_wait_loadcnt 0x0
	s_wait_alu 0xf1ff
	s_delay_alu instid0(VALU_DEP_1) | instskip(SKIP_2) | instid1(VALU_DEP_1)
	v_cndmask_b32_e64 v61, 0, v61, s0
	v_cmp_gt_i32_e64 s0, s31, v172
	s_wait_alu 0xf1ff
	v_cndmask_b32_e64 v62, 0, v62, s0
	v_cmp_gt_i32_e64 s0, s31, v171
	s_wait_alu 0xf1ff
	s_delay_alu instid0(VALU_DEP_1) | instskip(SKIP_2) | instid1(VALU_DEP_1)
	v_cndmask_b32_e64 v63, 0, v63, s0
	v_cmp_gt_i32_e64 s0, s31, v170
	s_wait_alu 0xf1ff
	v_cndmask_b32_e64 v64, 0, v64, s0
	s_wait_alu 0xfffe
	s_or_b32 exec_lo, exec_lo, s1
	global_load_b128 v[65:68], v[97:98], off offset:7680
	s_and_saveexec_b32 s1, vcc_lo
	s_cbranch_execz .LBB50_55
.LBB50_84:                              ;   in Loop: Header=BB50_38 Depth=1
	v_cmp_gt_i32_e64 s0, s31, v169
	s_wait_loadcnt 0x0
	s_wait_alu 0xf1ff
	s_delay_alu instid0(VALU_DEP_1) | instskip(SKIP_2) | instid1(VALU_DEP_1)
	v_cndmask_b32_e64 v65, 0, v65, s0
	v_cmp_gt_i32_e64 s0, s31, v172
	s_wait_alu 0xf1ff
	v_cndmask_b32_e64 v66, 0, v66, s0
	v_cmp_gt_i32_e64 s0, s31, v171
	s_wait_alu 0xf1ff
	s_delay_alu instid0(VALU_DEP_1) | instskip(SKIP_2) | instid1(VALU_DEP_1)
	v_cndmask_b32_e64 v67, 0, v67, s0
	v_cmp_gt_i32_e64 s0, s31, v170
	s_wait_alu 0xf1ff
	v_cndmask_b32_e64 v68, 0, v68, s0
	s_wait_alu 0xfffe
	s_or_b32 exec_lo, exec_lo, s1
	global_load_b128 v[69:72], v[97:98], off offset:8192
	s_and_saveexec_b32 s1, vcc_lo
	s_cbranch_execz .LBB50_56
.LBB50_85:                              ;   in Loop: Header=BB50_38 Depth=1
	v_cmp_gt_i32_e64 s0, s31, v169
	s_wait_loadcnt 0x0
	s_wait_alu 0xf1ff
	s_delay_alu instid0(VALU_DEP_1) | instskip(SKIP_2) | instid1(VALU_DEP_1)
	v_cndmask_b32_e64 v69, 0, v69, s0
	v_cmp_gt_i32_e64 s0, s31, v172
	s_wait_alu 0xf1ff
	v_cndmask_b32_e64 v70, 0, v70, s0
	v_cmp_gt_i32_e64 s0, s31, v171
	s_wait_alu 0xf1ff
	s_delay_alu instid0(VALU_DEP_1) | instskip(SKIP_2) | instid1(VALU_DEP_1)
	v_cndmask_b32_e64 v71, 0, v71, s0
	v_cmp_gt_i32_e64 s0, s31, v170
	s_wait_alu 0xf1ff
	v_cndmask_b32_e64 v72, 0, v72, s0
	s_wait_alu 0xfffe
	s_or_b32 exec_lo, exec_lo, s1
	global_load_b128 v[73:76], v[97:98], off offset:8704
	s_and_saveexec_b32 s1, vcc_lo
	s_cbranch_execz .LBB50_57
.LBB50_86:                              ;   in Loop: Header=BB50_38 Depth=1
	v_cmp_gt_i32_e64 s0, s31, v169
	s_wait_loadcnt 0x0
	s_wait_alu 0xf1ff
	s_delay_alu instid0(VALU_DEP_1) | instskip(SKIP_2) | instid1(VALU_DEP_1)
	v_cndmask_b32_e64 v73, 0, v73, s0
	v_cmp_gt_i32_e64 s0, s31, v172
	s_wait_alu 0xf1ff
	v_cndmask_b32_e64 v74, 0, v74, s0
	v_cmp_gt_i32_e64 s0, s31, v171
	s_wait_alu 0xf1ff
	s_delay_alu instid0(VALU_DEP_1) | instskip(SKIP_2) | instid1(VALU_DEP_1)
	v_cndmask_b32_e64 v75, 0, v75, s0
	v_cmp_gt_i32_e64 s0, s31, v170
	s_wait_alu 0xf1ff
	v_cndmask_b32_e64 v76, 0, v76, s0
	s_wait_alu 0xfffe
	s_or_b32 exec_lo, exec_lo, s1
	global_load_b128 v[77:80], v[97:98], off offset:9216
	s_and_saveexec_b32 s1, vcc_lo
	s_cbranch_execz .LBB50_58
.LBB50_87:                              ;   in Loop: Header=BB50_38 Depth=1
	v_cmp_gt_i32_e64 s0, s31, v169
	s_wait_loadcnt 0x0
	s_wait_alu 0xf1ff
	s_delay_alu instid0(VALU_DEP_1) | instskip(SKIP_2) | instid1(VALU_DEP_1)
	v_cndmask_b32_e64 v77, 0, v77, s0
	v_cmp_gt_i32_e64 s0, s31, v172
	s_wait_alu 0xf1ff
	v_cndmask_b32_e64 v78, 0, v78, s0
	v_cmp_gt_i32_e64 s0, s31, v171
	s_wait_alu 0xf1ff
	s_delay_alu instid0(VALU_DEP_1) | instskip(SKIP_2) | instid1(VALU_DEP_1)
	v_cndmask_b32_e64 v79, 0, v79, s0
	v_cmp_gt_i32_e64 s0, s31, v170
	s_wait_alu 0xf1ff
	v_cndmask_b32_e64 v80, 0, v80, s0
	s_wait_alu 0xfffe
	s_or_b32 exec_lo, exec_lo, s1
	global_load_b128 v[81:84], v[97:98], off offset:9728
	s_and_saveexec_b32 s1, vcc_lo
	s_cbranch_execz .LBB50_59
.LBB50_88:                              ;   in Loop: Header=BB50_38 Depth=1
	v_cmp_gt_i32_e64 s0, s31, v169
	s_wait_loadcnt 0x0
	s_wait_alu 0xf1ff
	s_delay_alu instid0(VALU_DEP_1) | instskip(SKIP_2) | instid1(VALU_DEP_1)
	v_cndmask_b32_e64 v81, 0, v81, s0
	v_cmp_gt_i32_e64 s0, s31, v172
	s_wait_alu 0xf1ff
	v_cndmask_b32_e64 v82, 0, v82, s0
	v_cmp_gt_i32_e64 s0, s31, v171
	s_wait_alu 0xf1ff
	s_delay_alu instid0(VALU_DEP_1) | instskip(SKIP_2) | instid1(VALU_DEP_1)
	v_cndmask_b32_e64 v83, 0, v83, s0
	v_cmp_gt_i32_e64 s0, s31, v170
	s_wait_alu 0xf1ff
	v_cndmask_b32_e64 v84, 0, v84, s0
	s_wait_alu 0xfffe
	s_or_b32 exec_lo, exec_lo, s1
	global_load_b128 v[85:88], v[97:98], off offset:10240
	s_and_saveexec_b32 s1, vcc_lo
	s_cbranch_execz .LBB50_60
.LBB50_89:                              ;   in Loop: Header=BB50_38 Depth=1
	v_cmp_gt_i32_e64 s0, s31, v169
	s_wait_loadcnt 0x0
	s_wait_alu 0xf1ff
	s_delay_alu instid0(VALU_DEP_1) | instskip(SKIP_2) | instid1(VALU_DEP_1)
	v_cndmask_b32_e64 v85, 0, v85, s0
	v_cmp_gt_i32_e64 s0, s31, v172
	s_wait_alu 0xf1ff
	v_cndmask_b32_e64 v86, 0, v86, s0
	v_cmp_gt_i32_e64 s0, s31, v171
	s_wait_alu 0xf1ff
	s_delay_alu instid0(VALU_DEP_1) | instskip(SKIP_2) | instid1(VALU_DEP_1)
	v_cndmask_b32_e64 v87, 0, v87, s0
	v_cmp_gt_i32_e64 s0, s31, v170
	s_wait_alu 0xf1ff
	v_cndmask_b32_e64 v88, 0, v88, s0
	s_wait_alu 0xfffe
	s_or_b32 exec_lo, exec_lo, s1
	global_load_b128 v[89:92], v[97:98], off offset:10752
	s_and_saveexec_b32 s1, vcc_lo
	s_cbranch_execz .LBB50_61
.LBB50_90:                              ;   in Loop: Header=BB50_38 Depth=1
	v_cmp_gt_i32_e64 s0, s31, v169
	s_wait_loadcnt 0x0
	s_wait_alu 0xf1ff
	s_delay_alu instid0(VALU_DEP_1) | instskip(SKIP_2) | instid1(VALU_DEP_1)
	v_cndmask_b32_e64 v89, 0, v89, s0
	v_cmp_gt_i32_e64 s0, s31, v172
	s_wait_alu 0xf1ff
	v_cndmask_b32_e64 v90, 0, v90, s0
	v_cmp_gt_i32_e64 s0, s31, v171
	s_wait_alu 0xf1ff
	s_delay_alu instid0(VALU_DEP_1) | instskip(SKIP_2) | instid1(VALU_DEP_1)
	v_cndmask_b32_e64 v91, 0, v91, s0
	v_cmp_gt_i32_e64 s0, s31, v170
	s_wait_alu 0xf1ff
	v_cndmask_b32_e64 v92, 0, v92, s0
	s_wait_alu 0xfffe
	s_or_b32 exec_lo, exec_lo, s1
	global_load_b128 v[93:96], v[97:98], off offset:11264
	s_and_saveexec_b32 s1, vcc_lo
	s_cbranch_execz .LBB50_62
.LBB50_91:                              ;   in Loop: Header=BB50_38 Depth=1
	v_cmp_gt_i32_e64 s0, s31, v169
	s_wait_loadcnt 0x0
	s_wait_alu 0xf1ff
	s_delay_alu instid0(VALU_DEP_1) | instskip(SKIP_2) | instid1(VALU_DEP_1)
	v_cndmask_b32_e64 v93, 0, v93, s0
	v_cmp_gt_i32_e64 s0, s31, v172
	s_wait_alu 0xf1ff
	v_cndmask_b32_e64 v94, 0, v94, s0
	v_cmp_gt_i32_e64 s0, s31, v171
	s_wait_alu 0xf1ff
	s_delay_alu instid0(VALU_DEP_1) | instskip(SKIP_2) | instid1(VALU_DEP_1)
	v_cndmask_b32_e64 v95, 0, v95, s0
	v_cmp_gt_i32_e64 s0, s31, v170
	s_wait_alu 0xf1ff
	v_cndmask_b32_e64 v96, 0, v96, s0
	s_wait_alu 0xfffe
	s_or_b32 exec_lo, exec_lo, s1
	global_load_b128 v[101:104], v[97:98], off offset:11776
	s_and_saveexec_b32 s1, vcc_lo
	s_cbranch_execz .LBB50_63
.LBB50_92:                              ;   in Loop: Header=BB50_38 Depth=1
	v_cmp_gt_i32_e64 s0, s31, v169
	s_wait_loadcnt 0x0
	s_wait_alu 0xf1ff
	s_delay_alu instid0(VALU_DEP_1) | instskip(SKIP_2) | instid1(VALU_DEP_1)
	v_cndmask_b32_e64 v101, 0, v101, s0
	v_cmp_gt_i32_e64 s0, s31, v172
	s_wait_alu 0xf1ff
	v_cndmask_b32_e64 v102, 0, v102, s0
	v_cmp_gt_i32_e64 s0, s31, v171
	s_wait_alu 0xf1ff
	s_delay_alu instid0(VALU_DEP_1) | instskip(SKIP_2) | instid1(VALU_DEP_1)
	v_cndmask_b32_e64 v103, 0, v103, s0
	v_cmp_gt_i32_e64 s0, s31, v170
	s_wait_alu 0xf1ff
	v_cndmask_b32_e64 v104, 0, v104, s0
	s_wait_alu 0xfffe
	s_or_b32 exec_lo, exec_lo, s1
	global_load_b128 v[105:108], v[97:98], off offset:12288
	s_and_saveexec_b32 s1, vcc_lo
	s_cbranch_execz .LBB50_64
.LBB50_93:                              ;   in Loop: Header=BB50_38 Depth=1
	v_cmp_gt_i32_e64 s0, s31, v169
	s_wait_loadcnt 0x0
	s_wait_alu 0xf1ff
	s_delay_alu instid0(VALU_DEP_1) | instskip(SKIP_2) | instid1(VALU_DEP_1)
	v_cndmask_b32_e64 v105, 0, v105, s0
	v_cmp_gt_i32_e64 s0, s31, v172
	s_wait_alu 0xf1ff
	v_cndmask_b32_e64 v106, 0, v106, s0
	v_cmp_gt_i32_e64 s0, s31, v171
	s_wait_alu 0xf1ff
	s_delay_alu instid0(VALU_DEP_1) | instskip(SKIP_2) | instid1(VALU_DEP_1)
	v_cndmask_b32_e64 v107, 0, v107, s0
	v_cmp_gt_i32_e64 s0, s31, v170
	s_wait_alu 0xf1ff
	v_cndmask_b32_e64 v108, 0, v108, s0
	s_wait_alu 0xfffe
	s_or_b32 exec_lo, exec_lo, s1
	global_load_b128 v[109:112], v[97:98], off offset:12800
	s_and_saveexec_b32 s1, vcc_lo
	s_cbranch_execz .LBB50_65
.LBB50_94:                              ;   in Loop: Header=BB50_38 Depth=1
	v_cmp_gt_i32_e64 s0, s31, v169
	s_wait_loadcnt 0x0
	s_wait_alu 0xf1ff
	s_delay_alu instid0(VALU_DEP_1) | instskip(SKIP_2) | instid1(VALU_DEP_1)
	v_cndmask_b32_e64 v109, 0, v109, s0
	v_cmp_gt_i32_e64 s0, s31, v172
	s_wait_alu 0xf1ff
	v_cndmask_b32_e64 v110, 0, v110, s0
	v_cmp_gt_i32_e64 s0, s31, v171
	s_wait_alu 0xf1ff
	s_delay_alu instid0(VALU_DEP_1) | instskip(SKIP_2) | instid1(VALU_DEP_1)
	v_cndmask_b32_e64 v111, 0, v111, s0
	v_cmp_gt_i32_e64 s0, s31, v170
	s_wait_alu 0xf1ff
	v_cndmask_b32_e64 v112, 0, v112, s0
	s_wait_alu 0xfffe
	s_or_b32 exec_lo, exec_lo, s1
	global_load_b128 v[113:116], v[97:98], off offset:13312
	s_and_saveexec_b32 s1, vcc_lo
	s_cbranch_execz .LBB50_66
.LBB50_95:                              ;   in Loop: Header=BB50_38 Depth=1
	v_cmp_gt_i32_e64 s0, s31, v169
	s_wait_loadcnt 0x0
	s_wait_alu 0xf1ff
	s_delay_alu instid0(VALU_DEP_1) | instskip(SKIP_2) | instid1(VALU_DEP_1)
	v_cndmask_b32_e64 v113, 0, v113, s0
	v_cmp_gt_i32_e64 s0, s31, v172
	s_wait_alu 0xf1ff
	v_cndmask_b32_e64 v114, 0, v114, s0
	v_cmp_gt_i32_e64 s0, s31, v171
	s_wait_alu 0xf1ff
	s_delay_alu instid0(VALU_DEP_1) | instskip(SKIP_2) | instid1(VALU_DEP_1)
	v_cndmask_b32_e64 v115, 0, v115, s0
	v_cmp_gt_i32_e64 s0, s31, v170
	s_wait_alu 0xf1ff
	v_cndmask_b32_e64 v116, 0, v116, s0
	s_wait_alu 0xfffe
	s_or_b32 exec_lo, exec_lo, s1
	global_load_b128 v[117:120], v[97:98], off offset:13824
	s_and_saveexec_b32 s1, vcc_lo
	s_cbranch_execz .LBB50_67
.LBB50_96:                              ;   in Loop: Header=BB50_38 Depth=1
	v_cmp_gt_i32_e64 s0, s31, v169
	s_wait_loadcnt 0x0
	s_wait_alu 0xf1ff
	s_delay_alu instid0(VALU_DEP_1) | instskip(SKIP_2) | instid1(VALU_DEP_1)
	v_cndmask_b32_e64 v117, 0, v117, s0
	v_cmp_gt_i32_e64 s0, s31, v172
	s_wait_alu 0xf1ff
	v_cndmask_b32_e64 v118, 0, v118, s0
	v_cmp_gt_i32_e64 s0, s31, v171
	s_wait_alu 0xf1ff
	s_delay_alu instid0(VALU_DEP_1) | instskip(SKIP_2) | instid1(VALU_DEP_1)
	v_cndmask_b32_e64 v119, 0, v119, s0
	v_cmp_gt_i32_e64 s0, s31, v170
	s_wait_alu 0xf1ff
	v_cndmask_b32_e64 v120, 0, v120, s0
	s_wait_alu 0xfffe
	s_or_b32 exec_lo, exec_lo, s1
	global_load_b128 v[121:124], v[97:98], off offset:14336
	s_and_saveexec_b32 s19, vcc_lo
	s_cbranch_execz .LBB50_68
.LBB50_97:                              ;   in Loop: Header=BB50_38 Depth=1
	v_cmp_gt_i32_e64 s0, s31, v169
	v_cmp_gt_i32_e64 s1, s31, v172
	;; [unrolled: 1-line block ×4, first 2 shown]
	s_wait_loadcnt 0x0
	s_wait_alu 0xf1ff
	v_cndmask_b32_e64 v121, 0, v121, s0
	v_cndmask_b32_e64 v122, 0, v122, s1
	;; [unrolled: 1-line block ×4, first 2 shown]
	s_or_b32 exec_lo, exec_lo, s19
	global_load_b128 v[97:100], v[97:98], off offset:14848
	s_and_saveexec_b32 s0, vcc_lo
	s_cbranch_execz .LBB50_36
.LBB50_98:                              ;   in Loop: Header=BB50_38 Depth=1
	v_cmp_gt_i32_e32 vcc_lo, s31, v169
	s_wait_loadcnt 0x0
	s_wait_alu 0xfffd
	v_cndmask_b32_e32 v97, 0, v97, vcc_lo
	v_cmp_gt_i32_e32 vcc_lo, s31, v172
	s_wait_alu 0xfffd
	v_cndmask_b32_e32 v98, 0, v98, vcc_lo
	v_cmp_gt_i32_e32 vcc_lo, s31, v171
	;; [unrolled: 3-line block ×3, first 2 shown]
	s_wait_alu 0xfffd
	v_cndmask_b32_e32 v100, 0, v100, vcc_lo
	s_branch .LBB50_36
.LBB50_99:
	s_or_b32 exec_lo, exec_lo, s10
.LBB50_100:
	s_wait_alu 0xfffe
	s_or_b32 exec_lo, exec_lo, s4
	ds_bpermute_b32 v1, v133, v163
	ds_bpermute_b32 v2, v133, v164
	ds_bpermute_b32 v3, v133, v162
	ds_bpermute_b32 v5, v133, v160
	ds_bpermute_b32 v6, v133, v159
	ds_bpermute_b32 v4, v133, v161
	ds_bpermute_b32 v7, v133, v158
	ds_bpermute_b32 v8, v133, v157
	ds_bpermute_b32 v9, v133, v156
	ds_bpermute_b32 v13, v133, v152
	ds_bpermute_b32 v10, v133, v155
	ds_bpermute_b32 v25, v133, v149
	ds_bpermute_b32 v22, v133, v151
	ds_bpermute_b32 v24, v133, v150
	ds_bpermute_b32 v11, v133, v154
	ds_bpermute_b32 v12, v133, v153
	ds_bpermute_b32 v27, v133, v148
	ds_bpermute_b32 v34, v133, v138
	ds_bpermute_b32 v33, v133, v139
	ds_bpermute_b32 v38, v133, v135
	s_wait_dscnt 0x12
	v_dual_add_f32 v1, v163, v1 :: v_dual_add_f32 v2, v164, v2
	s_wait_dscnt 0x11
	v_add_f32_e32 v3, v162, v3
	s_wait_dscnt 0xf
	v_dual_add_f32 v5, v160, v5 :: v_dual_add_f32 v6, v159, v6
	s_wait_dscnt 0xe
	v_add_f32_e32 v4, v161, v4
	ds_bpermute_b32 v15, v132, v2
	ds_bpermute_b32 v16, v132, v3
	;; [unrolled: 1-line block ×5, first 2 shown]
	s_wait_dscnt 0x11
	v_dual_add_f32 v7, v158, v7 :: v_dual_add_f32 v8, v157, v8
	s_wait_dscnt 0xe
	v_dual_add_f32 v9, v156, v9 :: v_dual_add_f32 v10, v155, v10
	v_add_f32_e32 v13, v152, v13
	ds_bpermute_b32 v18, v132, v5
	ds_bpermute_b32 v20, v132, v7
	;; [unrolled: 1-line block ×5, first 2 shown]
	s_wait_dscnt 0xe
	v_dual_add_f32 v11, v154, v11 :: v_dual_add_f32 v12, v153, v12
	ds_bpermute_b32 v37, v133, v136
	s_mov_b32 s0, exec_lo
	v_add_f32_e32 v22, v151, v22
	s_wait_dscnt 0x9
	v_dual_add_f32 v2, v2, v15 :: v_dual_add_f32 v3, v3, v16
	s_wait_dscnt 0x7
	v_dual_add_f32 v1, v1, v14 :: v_dual_add_f32 v6, v6, v19
	s_wait_dscnt 0x6
	v_add_f32_e32 v4, v4, v17
	ds_bpermute_b32 v15, v131, v2
	ds_bpermute_b32 v16, v131, v3
	ds_bpermute_b32 v14, v131, v1
	ds_bpermute_b32 v19, v131, v6
	ds_bpermute_b32 v17, v131, v4
	s_wait_dscnt 0xa
	v_add_f32_e32 v5, v5, v18
	s_wait_dscnt 0x8
	v_dual_add_f32 v7, v7, v20 :: v_dual_add_f32 v8, v8, v21
	s_wait_dscnt 0x6
	v_dual_add_f32 v9, v9, v23 :: v_dual_add_f32 v10, v10, v26
	ds_bpermute_b32 v18, v131, v5
	ds_bpermute_b32 v20, v131, v7
	;; [unrolled: 1-line block ×4, first 2 shown]
	v_add_f32_e32 v24, v150, v24
	ds_bpermute_b32 v28, v132, v12
	ds_bpermute_b32 v26, v132, v11
	;; [unrolled: 1-line block ×5, first 2 shown]
	s_wait_dscnt 0xc
	v_dual_add_f32 v2, v2, v15 :: v_dual_add_f32 v3, v3, v16
	s_wait_dscnt 0xa
	v_dual_add_f32 v15, v149, v25 :: v_dual_add_f32 v6, v6, v19
	v_add_f32_e32 v1, v1, v14
	ds_bpermute_b32 v14, v133, v147
	ds_bpermute_b32 v32, v132, v24
	;; [unrolled: 1-line block ×3, first 2 shown]
	s_wait_dscnt 0xc
	v_add_f32_e32 v4, v4, v17
	v_add_f32_e32 v17, v148, v27
	s_wait_dscnt 0xb
	v_add_f32_e32 v5, v5, v18
	s_wait_dscnt 0x9
	v_dual_add_f32 v7, v7, v20 :: v_dual_add_f32 v8, v8, v21
	s_wait_dscnt 0x8
	v_add_f32_e32 v9, v9, v23
	ds_bpermute_b32 v18, v133, v146
	ds_bpermute_b32 v23, v133, v145
	;; [unrolled: 1-line block ×4, first 2 shown]
	s_wait_dscnt 0x9
	v_dual_add_f32 v11, v11, v26 :: v_dual_add_f32 v10, v10, v29
	s_wait_dscnt 0x7
	v_dual_add_f32 v13, v13, v30 :: v_dual_add_f32 v22, v22, v31
	ds_bpermute_b32 v31, v133, v142
	v_add_f32_e32 v12, v12, v28
	ds_bpermute_b32 v19, v131, v11
	s_wait_dscnt 0x8
	v_add_f32_e32 v14, v147, v14
	ds_bpermute_b32 v21, v132, v17
	s_wait_dscnt 0x7
	v_add_f32_e32 v16, v15, v16
	ds_bpermute_b32 v15, v133, v141
	v_add_f32_e32 v24, v24, v32
	ds_bpermute_b32 v32, v133, v140
	ds_bpermute_b32 v29, v132, v14
	;; [unrolled: 1-line block ×4, first 2 shown]
	s_wait_dscnt 0xb
	v_add_f32_e32 v18, v146, v18
	ds_bpermute_b32 v26, v131, v13
	s_wait_dscnt 0xa
	v_add_f32_e32 v25, v144, v25
	s_wait_dscnt 0x9
	v_add_f32_e32 v27, v143, v27
	s_wait_storecnt 0x0
	s_wait_loadcnt_dscnt 0x0
	ds_bpermute_b32 v36, v132, v18
	v_add_f32_e32 v33, v139, v33
	s_barrier_signal -1
	s_barrier_wait -1
	s_wait_dscnt 0x0
	global_inv scope:SCOPE_SE
	v_add_f32_e32 v34, v138, v34
	v_dual_add_f32 v38, v135, v38 :: v_dual_add_f32 v17, v17, v21
	v_add_f32_e32 v21, v145, v23
	ds_bpermute_b32 v23, v133, v137
	v_dual_add_f32 v15, v141, v15 :: v_dual_add_f32 v32, v140, v32
	ds_bpermute_b32 v46, v132, v34
	ds_bpermute_b32 v39, v132, v21
	v_add_f32_e32 v29, v14, v29
	ds_bpermute_b32 v41, v132, v27
	ds_bpermute_b32 v44, v132, v32
	v_add_f32_e32 v31, v142, v31
	;; [unrolled: 3-line block ×3, first 2 shown]
	ds_bpermute_b32 v45, v132, v33
	ds_bpermute_b32 v48, v131, v29
	;; [unrolled: 1-line block ×6, first 2 shown]
	s_wait_dscnt 0xc
	v_dual_add_f32 v12, v12, v20 :: v_dual_add_f32 v23, v137, v23
	s_wait_dscnt 0xa
	v_dual_add_f32 v34, v34, v46 :: v_dual_add_f32 v21, v21, v39
	ds_bpermute_b32 v18, v132, v23
	v_add_f32_e32 v37, v136, v37
	s_wait_dscnt 0x9
	v_add_f32_e32 v32, v32, v44
	ds_bpermute_b32 v42, v132, v31
	v_add_f32_e32 v27, v27, v41
	s_wait_dscnt 0x9
	v_add_f32_e32 v43, v15, v43
	s_wait_dscnt 0x8
	v_dual_add_f32 v25, v25, v14 :: v_dual_add_f32 v14, v22, v28
	ds_bpermute_b32 v41, v131, v36
	ds_bpermute_b32 v49, v131, v21
	s_wait_dscnt 0x6
	v_add_f32_e32 v38, v38, v47
	v_add_f32_e32 v16, v16, v35
	ds_bpermute_b32 v50, v131, v25
	ds_bpermute_b32 v46, v131, v32
	;; [unrolled: 1-line block ×4, first 2 shown]
	v_add_f32_e32 v11, v11, v19
	s_wait_dscnt 0x7
	v_dual_add_f32 v17, v17, v40 :: v_dual_add_f32 v52, v23, v18
	ds_bpermute_b32 v39, v132, v37
	s_wait_dscnt 0x7
	v_dual_add_f32 v18, v29, v48 :: v_dual_add_f32 v31, v31, v42
	ds_bpermute_b32 v42, v131, v27
	v_add_f32_e32 v33, v33, v45
	ds_bpermute_b32 v45, v131, v43
	ds_bpermute_b32 v44, v131, v31
	s_wait_dscnt 0x9
	v_add_f32_e32 v19, v36, v41
	s_wait_dscnt 0x8
	v_add_f32_e32 v20, v21, v49
	;; [unrolled: 2-line block ×5, first 2 shown]
	ds_bpermute_b32 v39, v131, v52
	v_add_f32_e32 v13, v13, v26
	s_wait_dscnt 0x3
	v_add_f32_e32 v22, v27, v42
	ds_bpermute_b32 v51, v131, v33
	s_wait_dscnt 0x3
	v_dual_add_f32 v15, v24, v30 :: v_dual_add_f32 v24, v43, v45
	ds_bpermute_b32 v47, v131, v37
	s_wait_dscnt 0x3
	v_add_f32_e32 v23, v31, v44
	v_lshrrev_b32_e32 v31, 3, v128
	v_dual_add_f32 v27, v34, v53 :: v_dual_and_b32 v34, 0x3c7, v0
	v_add_f32_e32 v30, v38, v54
	s_delay_alu instid0(VALU_DEP_3)
	v_lshl_add_u32 v32, v31, 2, 0x200
	s_wait_dscnt 0x2
	v_add_f32_e32 v28, v52, v39
	s_wait_dscnt 0x1
	v_add_f32_e32 v26, v33, v51
	v_mul_u32_u24_e32 v33, 0x1e0, v127
	s_wait_dscnt 0x0
	v_add_f32_e32 v29, v37, v47
	v_cmpx_eq_u32_e32 64, v34
	s_cbranch_execz .LBB50_102
; %bb.101:
	v_add_nc_u32_e32 v34, v32, v33
	s_delay_alu instid0(VALU_DEP_1)
	v_add_nc_u32_e32 v35, 0xfffffc40, v34
	v_add_nc_u32_e32 v36, 0xfffffc50, v34
	v_add_nc_u32_e32 v37, 0xfffffc60, v34
	v_add_nc_u32_e32 v38, 0xfffffc70, v34
	v_add_nc_u32_e32 v39, 0xfffffc80, v34
	v_add_nc_u32_e32 v40, 0xfffffc90, v34
	v_add_nc_u32_e32 v41, 0xfffffca0, v34
	v_add_nc_u32_e32 v42, 0xfffffcb0, v34
	ds_store_b32 v35, v1
	ds_store_b32 v36, v2
	ds_store_b32 v37, v3
	ds_store_b32 v38, v4
	ds_store_b32 v39, v5
	ds_store_b32 v40, v6
	ds_store_b32 v41, v7
	ds_store_b32 v42, v8
	v_add_nc_u32_e32 v35, 0xfffffcc0, v34
	v_add_nc_u32_e32 v36, 0xfffffcd0, v34
	v_add_nc_u32_e32 v37, 0xfffffce0, v34
	v_add_nc_u32_e32 v38, 0xfffffcf0, v34
	v_add_nc_u32_e32 v39, 0xfffffd00, v34
	v_add_nc_u32_e32 v40, 0xfffffd10, v34
	v_add_nc_u32_e32 v41, 0xfffffd20, v34
	v_add_nc_u32_e32 v42, 0xfffffd30, v34
	ds_store_b32 v35, v9
	ds_store_b32 v36, v10
	ds_store_b32 v37, v11
	ds_store_b32 v38, v12
	ds_store_b32 v39, v13
	ds_store_b32 v40, v14
	ds_store_b32 v41, v15
	ds_store_b32 v42, v16
	;; [unrolled: 16-line block ×3, first 2 shown]
	v_add_nc_u32_e32 v35, 0xfffffdc0, v34
	v_add_nc_u32_e32 v36, 0xfffffdd0, v34
	;; [unrolled: 1-line block ×6, first 2 shown]
	ds_store_b32 v35, v25
	ds_store_b32 v36, v26
	;; [unrolled: 1-line block ×6, first 2 shown]
.LBB50_102:
	s_wait_alu 0xfffe
	s_or_b32 exec_lo, exec_lo, s0
	v_lshlrev_b32_e32 v31, 2, v31
	s_mov_b32 s1, exec_lo
	v_cmp_eq_u32_e32 vcc_lo, 0, v134
	s_wait_loadcnt_dscnt 0x0
	s_barrier_signal -1
	v_add3_u32 v31, 0x200, v33, v31
	s_barrier_wait -1
	global_inv scope:SCOPE_SE
	v_cmpx_gt_u32_e32 64, v0
	s_cbranch_execz .LBB50_135
; %bb.103:
	s_and_saveexec_b32 s0, vcc_lo
	s_cbranch_execnz .LBB50_173
; %bb.104:
	s_wait_alu 0xfffe
	s_or_b32 exec_lo, exec_lo, s0
	s_and_saveexec_b32 s0, vcc_lo
	s_cbranch_execnz .LBB50_174
.LBB50_105:
	s_wait_alu 0xfffe
	s_or_b32 exec_lo, exec_lo, s0
	s_and_saveexec_b32 s0, vcc_lo
	s_cbranch_execnz .LBB50_175
.LBB50_106:
	s_wait_alu 0xfffe
	s_or_b32 exec_lo, exec_lo, s0
	s_and_saveexec_b32 s0, vcc_lo
	s_cbranch_execnz .LBB50_176
.LBB50_107:
	s_wait_alu 0xfffe
	s_or_b32 exec_lo, exec_lo, s0
	s_and_saveexec_b32 s0, vcc_lo
	s_cbranch_execnz .LBB50_177
.LBB50_108:
	s_wait_alu 0xfffe
	s_or_b32 exec_lo, exec_lo, s0
	s_and_saveexec_b32 s0, vcc_lo
	s_cbranch_execnz .LBB50_178
.LBB50_109:
	s_wait_alu 0xfffe
	s_or_b32 exec_lo, exec_lo, s0
	s_and_saveexec_b32 s0, vcc_lo
	s_cbranch_execnz .LBB50_179
.LBB50_110:
	s_wait_alu 0xfffe
	s_or_b32 exec_lo, exec_lo, s0
	s_and_saveexec_b32 s0, vcc_lo
	s_cbranch_execnz .LBB50_180
.LBB50_111:
	s_wait_alu 0xfffe
	s_or_b32 exec_lo, exec_lo, s0
	s_and_saveexec_b32 s0, vcc_lo
	s_cbranch_execnz .LBB50_181
.LBB50_112:
	s_wait_alu 0xfffe
	s_or_b32 exec_lo, exec_lo, s0
	s_and_saveexec_b32 s0, vcc_lo
	s_cbranch_execnz .LBB50_182
.LBB50_113:
	s_wait_alu 0xfffe
	s_or_b32 exec_lo, exec_lo, s0
	s_and_saveexec_b32 s0, vcc_lo
	s_cbranch_execnz .LBB50_183
.LBB50_114:
	s_wait_alu 0xfffe
	s_or_b32 exec_lo, exec_lo, s0
	s_and_saveexec_b32 s0, vcc_lo
	s_cbranch_execnz .LBB50_184
.LBB50_115:
	s_wait_alu 0xfffe
	s_or_b32 exec_lo, exec_lo, s0
	s_and_saveexec_b32 s0, vcc_lo
	s_cbranch_execnz .LBB50_185
.LBB50_116:
	s_wait_alu 0xfffe
	s_or_b32 exec_lo, exec_lo, s0
	s_and_saveexec_b32 s0, vcc_lo
	s_cbranch_execnz .LBB50_186
.LBB50_117:
	s_wait_alu 0xfffe
	s_or_b32 exec_lo, exec_lo, s0
	s_and_saveexec_b32 s0, vcc_lo
	s_cbranch_execnz .LBB50_187
.LBB50_118:
	s_wait_alu 0xfffe
	s_or_b32 exec_lo, exec_lo, s0
	s_and_saveexec_b32 s0, vcc_lo
	s_cbranch_execnz .LBB50_188
.LBB50_119:
	s_wait_alu 0xfffe
	s_or_b32 exec_lo, exec_lo, s0
	s_and_saveexec_b32 s0, vcc_lo
	s_cbranch_execnz .LBB50_189
.LBB50_120:
	s_wait_alu 0xfffe
	s_or_b32 exec_lo, exec_lo, s0
	s_and_saveexec_b32 s0, vcc_lo
	s_cbranch_execnz .LBB50_190
.LBB50_121:
	s_wait_alu 0xfffe
	s_or_b32 exec_lo, exec_lo, s0
	s_and_saveexec_b32 s0, vcc_lo
	s_cbranch_execnz .LBB50_191
.LBB50_122:
	s_wait_alu 0xfffe
	s_or_b32 exec_lo, exec_lo, s0
	s_and_saveexec_b32 s0, vcc_lo
	s_cbranch_execnz .LBB50_192
.LBB50_123:
	s_wait_alu 0xfffe
	s_or_b32 exec_lo, exec_lo, s0
	s_and_saveexec_b32 s0, vcc_lo
	s_cbranch_execnz .LBB50_193
.LBB50_124:
	s_wait_alu 0xfffe
	s_or_b32 exec_lo, exec_lo, s0
	s_and_saveexec_b32 s0, vcc_lo
	s_cbranch_execnz .LBB50_194
.LBB50_125:
	s_wait_alu 0xfffe
	s_or_b32 exec_lo, exec_lo, s0
	s_and_saveexec_b32 s0, vcc_lo
	s_cbranch_execnz .LBB50_195
.LBB50_126:
	s_wait_alu 0xfffe
	s_or_b32 exec_lo, exec_lo, s0
	s_and_saveexec_b32 s0, vcc_lo
	s_cbranch_execnz .LBB50_196
.LBB50_127:
	s_wait_alu 0xfffe
	s_or_b32 exec_lo, exec_lo, s0
	s_and_saveexec_b32 s0, vcc_lo
	s_cbranch_execnz .LBB50_197
.LBB50_128:
	s_wait_alu 0xfffe
	s_or_b32 exec_lo, exec_lo, s0
	s_and_saveexec_b32 s0, vcc_lo
	s_cbranch_execnz .LBB50_198
.LBB50_129:
	s_wait_alu 0xfffe
	s_or_b32 exec_lo, exec_lo, s0
	s_and_saveexec_b32 s0, vcc_lo
	s_cbranch_execnz .LBB50_199
.LBB50_130:
	s_wait_alu 0xfffe
	s_or_b32 exec_lo, exec_lo, s0
	s_and_saveexec_b32 s0, vcc_lo
	s_cbranch_execnz .LBB50_200
.LBB50_131:
	s_wait_alu 0xfffe
	s_or_b32 exec_lo, exec_lo, s0
	s_and_saveexec_b32 s0, vcc_lo
	s_cbranch_execnz .LBB50_201
.LBB50_132:
	s_wait_alu 0xfffe
	s_or_b32 exec_lo, exec_lo, s0
	s_and_saveexec_b32 s0, vcc_lo
	s_cbranch_execz .LBB50_134
.LBB50_133:
	ds_load_b32 v33, v31 offset:464
	s_wait_dscnt 0x0
	v_add_f32_e32 v30, v30, v33
.LBB50_134:
	s_wait_alu 0xfffe
	s_or_b32 exec_lo, exec_lo, s0
.LBB50_135:
	s_wait_alu 0xfffe
	s_or_b32 exec_lo, exec_lo, s1
	v_and_b32_e32 v33, 0x3e7, v0
	s_mov_b32 s1, exec_lo
	s_wait_loadcnt 0x0
	s_barrier_signal -1
	s_barrier_wait -1
	global_inv scope:SCOPE_SE
	v_cmpx_eq_u32_e32 32, v33
	s_cbranch_execz .LBB50_137
; %bb.136:
	ds_store_2addr_b32 v32, v1, v2 offset1:4
	ds_store_2addr_b32 v32, v3, v4 offset0:8 offset1:12
	ds_store_2addr_b32 v32, v5, v6 offset0:16 offset1:20
	;; [unrolled: 1-line block ×14, first 2 shown]
.LBB50_137:
	s_wait_alu 0xfffe
	s_or_b32 exec_lo, exec_lo, s1
	s_delay_alu instid0(SALU_CYCLE_1)
	s_mov_b32 s1, exec_lo
	s_wait_loadcnt_dscnt 0x0
	s_barrier_signal -1
	s_barrier_wait -1
	global_inv scope:SCOPE_SE
	v_cmpx_gt_u32_e32 32, v0
	s_cbranch_execz .LBB50_170
; %bb.138:
	s_and_saveexec_b32 s0, vcc_lo
	s_cbranch_execnz .LBB50_202
; %bb.139:
	s_wait_alu 0xfffe
	s_or_b32 exec_lo, exec_lo, s0
	s_and_saveexec_b32 s0, vcc_lo
	s_cbranch_execnz .LBB50_203
.LBB50_140:
	s_wait_alu 0xfffe
	s_or_b32 exec_lo, exec_lo, s0
	s_and_saveexec_b32 s0, vcc_lo
	s_cbranch_execnz .LBB50_204
.LBB50_141:
	s_wait_alu 0xfffe
	s_or_b32 exec_lo, exec_lo, s0
	s_and_saveexec_b32 s0, vcc_lo
	s_cbranch_execnz .LBB50_205
.LBB50_142:
	s_wait_alu 0xfffe
	s_or_b32 exec_lo, exec_lo, s0
	s_and_saveexec_b32 s0, vcc_lo
	s_cbranch_execnz .LBB50_206
.LBB50_143:
	s_wait_alu 0xfffe
	s_or_b32 exec_lo, exec_lo, s0
	s_and_saveexec_b32 s0, vcc_lo
	s_cbranch_execnz .LBB50_207
.LBB50_144:
	s_wait_alu 0xfffe
	s_or_b32 exec_lo, exec_lo, s0
	s_and_saveexec_b32 s0, vcc_lo
	s_cbranch_execnz .LBB50_208
.LBB50_145:
	s_wait_alu 0xfffe
	s_or_b32 exec_lo, exec_lo, s0
	s_and_saveexec_b32 s0, vcc_lo
	s_cbranch_execnz .LBB50_209
.LBB50_146:
	s_wait_alu 0xfffe
	s_or_b32 exec_lo, exec_lo, s0
	s_and_saveexec_b32 s0, vcc_lo
	s_cbranch_execnz .LBB50_210
.LBB50_147:
	s_wait_alu 0xfffe
	s_or_b32 exec_lo, exec_lo, s0
	s_and_saveexec_b32 s0, vcc_lo
	s_cbranch_execnz .LBB50_211
.LBB50_148:
	s_wait_alu 0xfffe
	s_or_b32 exec_lo, exec_lo, s0
	s_and_saveexec_b32 s0, vcc_lo
	s_cbranch_execnz .LBB50_212
.LBB50_149:
	s_wait_alu 0xfffe
	s_or_b32 exec_lo, exec_lo, s0
	s_and_saveexec_b32 s0, vcc_lo
	s_cbranch_execnz .LBB50_213
.LBB50_150:
	s_wait_alu 0xfffe
	s_or_b32 exec_lo, exec_lo, s0
	s_and_saveexec_b32 s0, vcc_lo
	s_cbranch_execnz .LBB50_214
.LBB50_151:
	s_wait_alu 0xfffe
	s_or_b32 exec_lo, exec_lo, s0
	s_and_saveexec_b32 s0, vcc_lo
	s_cbranch_execnz .LBB50_215
.LBB50_152:
	s_wait_alu 0xfffe
	s_or_b32 exec_lo, exec_lo, s0
	s_and_saveexec_b32 s0, vcc_lo
	s_cbranch_execnz .LBB50_216
.LBB50_153:
	s_wait_alu 0xfffe
	s_or_b32 exec_lo, exec_lo, s0
	s_and_saveexec_b32 s0, vcc_lo
	s_cbranch_execnz .LBB50_217
.LBB50_154:
	s_wait_alu 0xfffe
	s_or_b32 exec_lo, exec_lo, s0
	s_and_saveexec_b32 s0, vcc_lo
	s_cbranch_execnz .LBB50_218
.LBB50_155:
	s_wait_alu 0xfffe
	s_or_b32 exec_lo, exec_lo, s0
	s_and_saveexec_b32 s0, vcc_lo
	s_cbranch_execnz .LBB50_219
.LBB50_156:
	s_wait_alu 0xfffe
	s_or_b32 exec_lo, exec_lo, s0
	s_and_saveexec_b32 s0, vcc_lo
	s_cbranch_execnz .LBB50_220
.LBB50_157:
	s_wait_alu 0xfffe
	s_or_b32 exec_lo, exec_lo, s0
	s_and_saveexec_b32 s0, vcc_lo
	s_cbranch_execnz .LBB50_221
.LBB50_158:
	s_wait_alu 0xfffe
	s_or_b32 exec_lo, exec_lo, s0
	s_and_saveexec_b32 s0, vcc_lo
	s_cbranch_execnz .LBB50_222
.LBB50_159:
	s_wait_alu 0xfffe
	s_or_b32 exec_lo, exec_lo, s0
	s_and_saveexec_b32 s0, vcc_lo
	s_cbranch_execnz .LBB50_223
.LBB50_160:
	s_wait_alu 0xfffe
	s_or_b32 exec_lo, exec_lo, s0
	s_and_saveexec_b32 s0, vcc_lo
	s_cbranch_execnz .LBB50_224
.LBB50_161:
	s_wait_alu 0xfffe
	s_or_b32 exec_lo, exec_lo, s0
	s_and_saveexec_b32 s0, vcc_lo
	s_cbranch_execnz .LBB50_225
.LBB50_162:
	s_wait_alu 0xfffe
	s_or_b32 exec_lo, exec_lo, s0
	s_and_saveexec_b32 s0, vcc_lo
	s_cbranch_execnz .LBB50_226
.LBB50_163:
	s_wait_alu 0xfffe
	s_or_b32 exec_lo, exec_lo, s0
	s_and_saveexec_b32 s0, vcc_lo
	s_cbranch_execnz .LBB50_227
.LBB50_164:
	s_wait_alu 0xfffe
	s_or_b32 exec_lo, exec_lo, s0
	s_and_saveexec_b32 s0, vcc_lo
	s_cbranch_execnz .LBB50_228
.LBB50_165:
	s_wait_alu 0xfffe
	s_or_b32 exec_lo, exec_lo, s0
	s_and_saveexec_b32 s0, vcc_lo
	s_cbranch_execnz .LBB50_229
.LBB50_166:
	s_wait_alu 0xfffe
	s_or_b32 exec_lo, exec_lo, s0
	s_and_saveexec_b32 s0, vcc_lo
	s_cbranch_execnz .LBB50_230
.LBB50_167:
	s_wait_alu 0xfffe
	s_or_b32 exec_lo, exec_lo, s0
	s_and_saveexec_b32 s0, vcc_lo
	s_cbranch_execz .LBB50_169
.LBB50_168:
	ds_load_b32 v31, v31 offset:464
	s_wait_dscnt 0x0
	v_add_f32_e32 v30, v30, v31
.LBB50_169:
	s_wait_alu 0xfffe
	s_or_b32 exec_lo, exec_lo, s0
.LBB50_170:
	s_wait_alu 0xfffe
	s_or_b32 exec_lo, exec_lo, s1
	s_mov_b32 s1, 0
	s_wait_loadcnt 0x0
	s_barrier_signal -1
	s_barrier_wait -1
	global_inv scope:SCOPE_SE
	s_mov_b32 s0, exec_lo
	v_cmpx_eq_u32_e32 0, v33
	s_cbranch_execz .LBB50_172
; %bb.171:
	s_mul_i32 s2, s18, 0x78
	s_mul_i32 s4, s7, s16
	s_wait_alu 0xfffe
	s_ashr_i32 s3, s2, 31
	s_ashr_i32 s5, s4, 31
	s_wait_alu 0xfffe
	s_lshl_b64 s[2:3], s[2:3], 2
	s_lshl_b64 s[4:5], s[4:5], 2
	s_wait_kmcnt 0x0
	s_wait_alu 0xfffe
	s_add_nc_u64 s[2:3], s[14:15], s[2:3]
	v_lshrrev_b32_e32 v0, 1, v0
	s_mul_i32 s0, s30, 0x1e0
	s_wait_alu 0xfffe
	s_add_nc_u64 s[2:3], s[2:3], s[4:5]
	s_wait_alu 0xfffe
	s_add_nc_u64 s[0:1], s[2:3], s[0:1]
	s_clause 0x1d
	global_store_b32 v0, v1, s[0:1]
	global_store_b32 v0, v2, s[0:1] offset:16
	global_store_b32 v0, v3, s[0:1] offset:32
	;; [unrolled: 1-line block ×29, first 2 shown]
.LBB50_172:
	s_nop 0
	s_sendmsg sendmsg(MSG_DEALLOC_VGPRS)
	s_endpgm
.LBB50_173:
	ds_load_b32 v33, v31
	s_wait_dscnt 0x0
	v_add_f32_e32 v1, v1, v33
	s_wait_alu 0xfffe
	s_or_b32 exec_lo, exec_lo, s0
	s_and_saveexec_b32 s0, vcc_lo
	s_cbranch_execz .LBB50_105
.LBB50_174:
	ds_load_b32 v33, v31 offset:16
	s_wait_dscnt 0x0
	v_add_f32_e32 v2, v2, v33
	s_wait_alu 0xfffe
	s_or_b32 exec_lo, exec_lo, s0
	s_and_saveexec_b32 s0, vcc_lo
	s_cbranch_execz .LBB50_106
.LBB50_175:
	ds_load_b32 v33, v31 offset:32
	s_wait_dscnt 0x0
	v_add_f32_e32 v3, v3, v33
	s_wait_alu 0xfffe
	s_or_b32 exec_lo, exec_lo, s0
	s_and_saveexec_b32 s0, vcc_lo
	s_cbranch_execz .LBB50_107
.LBB50_176:
	ds_load_b32 v33, v31 offset:48
	s_wait_dscnt 0x0
	v_add_f32_e32 v4, v4, v33
	s_wait_alu 0xfffe
	s_or_b32 exec_lo, exec_lo, s0
	s_and_saveexec_b32 s0, vcc_lo
	s_cbranch_execz .LBB50_108
.LBB50_177:
	ds_load_b32 v33, v31 offset:64
	s_wait_dscnt 0x0
	v_add_f32_e32 v5, v5, v33
	s_wait_alu 0xfffe
	s_or_b32 exec_lo, exec_lo, s0
	s_and_saveexec_b32 s0, vcc_lo
	s_cbranch_execz .LBB50_109
.LBB50_178:
	ds_load_b32 v33, v31 offset:80
	s_wait_dscnt 0x0
	v_add_f32_e32 v6, v6, v33
	s_wait_alu 0xfffe
	s_or_b32 exec_lo, exec_lo, s0
	s_and_saveexec_b32 s0, vcc_lo
	s_cbranch_execz .LBB50_110
.LBB50_179:
	ds_load_b32 v33, v31 offset:96
	s_wait_dscnt 0x0
	v_add_f32_e32 v7, v7, v33
	s_wait_alu 0xfffe
	s_or_b32 exec_lo, exec_lo, s0
	s_and_saveexec_b32 s0, vcc_lo
	s_cbranch_execz .LBB50_111
.LBB50_180:
	ds_load_b32 v33, v31 offset:112
	s_wait_dscnt 0x0
	v_add_f32_e32 v8, v8, v33
	s_wait_alu 0xfffe
	s_or_b32 exec_lo, exec_lo, s0
	s_and_saveexec_b32 s0, vcc_lo
	s_cbranch_execz .LBB50_112
.LBB50_181:
	ds_load_b32 v33, v31 offset:128
	s_wait_dscnt 0x0
	v_add_f32_e32 v9, v9, v33
	s_wait_alu 0xfffe
	s_or_b32 exec_lo, exec_lo, s0
	s_and_saveexec_b32 s0, vcc_lo
	s_cbranch_execz .LBB50_113
.LBB50_182:
	ds_load_b32 v33, v31 offset:144
	s_wait_dscnt 0x0
	v_add_f32_e32 v10, v10, v33
	s_wait_alu 0xfffe
	s_or_b32 exec_lo, exec_lo, s0
	s_and_saveexec_b32 s0, vcc_lo
	s_cbranch_execz .LBB50_114
.LBB50_183:
	ds_load_b32 v33, v31 offset:160
	s_wait_dscnt 0x0
	v_add_f32_e32 v11, v11, v33
	s_wait_alu 0xfffe
	s_or_b32 exec_lo, exec_lo, s0
	s_and_saveexec_b32 s0, vcc_lo
	s_cbranch_execz .LBB50_115
.LBB50_184:
	ds_load_b32 v33, v31 offset:176
	s_wait_dscnt 0x0
	v_add_f32_e32 v12, v12, v33
	s_wait_alu 0xfffe
	s_or_b32 exec_lo, exec_lo, s0
	s_and_saveexec_b32 s0, vcc_lo
	s_cbranch_execz .LBB50_116
.LBB50_185:
	ds_load_b32 v33, v31 offset:192
	s_wait_dscnt 0x0
	v_add_f32_e32 v13, v13, v33
	s_wait_alu 0xfffe
	s_or_b32 exec_lo, exec_lo, s0
	s_and_saveexec_b32 s0, vcc_lo
	s_cbranch_execz .LBB50_117
.LBB50_186:
	ds_load_b32 v33, v31 offset:208
	s_wait_dscnt 0x0
	v_add_f32_e32 v14, v14, v33
	s_wait_alu 0xfffe
	s_or_b32 exec_lo, exec_lo, s0
	s_and_saveexec_b32 s0, vcc_lo
	s_cbranch_execz .LBB50_118
.LBB50_187:
	ds_load_b32 v33, v31 offset:224
	s_wait_dscnt 0x0
	v_add_f32_e32 v15, v15, v33
	s_wait_alu 0xfffe
	s_or_b32 exec_lo, exec_lo, s0
	s_and_saveexec_b32 s0, vcc_lo
	s_cbranch_execz .LBB50_119
.LBB50_188:
	ds_load_b32 v33, v31 offset:240
	s_wait_dscnt 0x0
	v_add_f32_e32 v16, v16, v33
	s_wait_alu 0xfffe
	s_or_b32 exec_lo, exec_lo, s0
	s_and_saveexec_b32 s0, vcc_lo
	s_cbranch_execz .LBB50_120
.LBB50_189:
	ds_load_b32 v33, v31 offset:256
	s_wait_dscnt 0x0
	v_add_f32_e32 v17, v17, v33
	s_wait_alu 0xfffe
	s_or_b32 exec_lo, exec_lo, s0
	s_and_saveexec_b32 s0, vcc_lo
	s_cbranch_execz .LBB50_121
.LBB50_190:
	ds_load_b32 v33, v31 offset:272
	s_wait_dscnt 0x0
	v_add_f32_e32 v18, v18, v33
	s_wait_alu 0xfffe
	s_or_b32 exec_lo, exec_lo, s0
	s_and_saveexec_b32 s0, vcc_lo
	s_cbranch_execz .LBB50_122
.LBB50_191:
	ds_load_b32 v33, v31 offset:288
	s_wait_dscnt 0x0
	v_add_f32_e32 v19, v19, v33
	s_wait_alu 0xfffe
	s_or_b32 exec_lo, exec_lo, s0
	s_and_saveexec_b32 s0, vcc_lo
	s_cbranch_execz .LBB50_123
.LBB50_192:
	ds_load_b32 v33, v31 offset:304
	s_wait_dscnt 0x0
	v_add_f32_e32 v20, v20, v33
	s_wait_alu 0xfffe
	s_or_b32 exec_lo, exec_lo, s0
	s_and_saveexec_b32 s0, vcc_lo
	s_cbranch_execz .LBB50_124
.LBB50_193:
	ds_load_b32 v33, v31 offset:320
	s_wait_dscnt 0x0
	v_add_f32_e32 v21, v21, v33
	s_wait_alu 0xfffe
	s_or_b32 exec_lo, exec_lo, s0
	s_and_saveexec_b32 s0, vcc_lo
	s_cbranch_execz .LBB50_125
.LBB50_194:
	ds_load_b32 v33, v31 offset:336
	s_wait_dscnt 0x0
	v_add_f32_e32 v22, v22, v33
	s_wait_alu 0xfffe
	s_or_b32 exec_lo, exec_lo, s0
	s_and_saveexec_b32 s0, vcc_lo
	s_cbranch_execz .LBB50_126
.LBB50_195:
	ds_load_b32 v33, v31 offset:352
	s_wait_dscnt 0x0
	v_add_f32_e32 v23, v23, v33
	s_wait_alu 0xfffe
	s_or_b32 exec_lo, exec_lo, s0
	s_and_saveexec_b32 s0, vcc_lo
	s_cbranch_execz .LBB50_127
.LBB50_196:
	ds_load_b32 v33, v31 offset:368
	s_wait_dscnt 0x0
	v_add_f32_e32 v24, v24, v33
	s_wait_alu 0xfffe
	s_or_b32 exec_lo, exec_lo, s0
	s_and_saveexec_b32 s0, vcc_lo
	s_cbranch_execz .LBB50_128
.LBB50_197:
	ds_load_b32 v33, v31 offset:384
	s_wait_dscnt 0x0
	v_add_f32_e32 v25, v25, v33
	s_wait_alu 0xfffe
	s_or_b32 exec_lo, exec_lo, s0
	s_and_saveexec_b32 s0, vcc_lo
	s_cbranch_execz .LBB50_129
.LBB50_198:
	ds_load_b32 v33, v31 offset:400
	s_wait_dscnt 0x0
	v_add_f32_e32 v26, v26, v33
	s_wait_alu 0xfffe
	s_or_b32 exec_lo, exec_lo, s0
	s_and_saveexec_b32 s0, vcc_lo
	s_cbranch_execz .LBB50_130
.LBB50_199:
	ds_load_b32 v33, v31 offset:416
	s_wait_dscnt 0x0
	v_add_f32_e32 v27, v27, v33
	s_wait_alu 0xfffe
	s_or_b32 exec_lo, exec_lo, s0
	s_and_saveexec_b32 s0, vcc_lo
	s_cbranch_execz .LBB50_131
.LBB50_200:
	ds_load_b32 v33, v31 offset:432
	s_wait_dscnt 0x0
	v_add_f32_e32 v28, v28, v33
	s_wait_alu 0xfffe
	s_or_b32 exec_lo, exec_lo, s0
	s_and_saveexec_b32 s0, vcc_lo
	s_cbranch_execz .LBB50_132
.LBB50_201:
	ds_load_b32 v33, v31 offset:448
	s_wait_dscnt 0x0
	v_add_f32_e32 v29, v29, v33
	s_wait_alu 0xfffe
	s_or_b32 exec_lo, exec_lo, s0
	s_and_saveexec_b32 s0, vcc_lo
	s_cbranch_execnz .LBB50_133
	s_branch .LBB50_134
.LBB50_202:
	ds_load_b32 v32, v31
	s_wait_dscnt 0x0
	v_add_f32_e32 v1, v1, v32
	s_wait_alu 0xfffe
	s_or_b32 exec_lo, exec_lo, s0
	s_and_saveexec_b32 s0, vcc_lo
	s_cbranch_execz .LBB50_140
.LBB50_203:
	ds_load_b32 v32, v31 offset:16
	s_wait_dscnt 0x0
	v_add_f32_e32 v2, v2, v32
	s_wait_alu 0xfffe
	s_or_b32 exec_lo, exec_lo, s0
	s_and_saveexec_b32 s0, vcc_lo
	s_cbranch_execz .LBB50_141
.LBB50_204:
	ds_load_b32 v32, v31 offset:32
	s_wait_dscnt 0x0
	v_add_f32_e32 v3, v3, v32
	s_wait_alu 0xfffe
	s_or_b32 exec_lo, exec_lo, s0
	s_and_saveexec_b32 s0, vcc_lo
	s_cbranch_execz .LBB50_142
.LBB50_205:
	ds_load_b32 v32, v31 offset:48
	s_wait_dscnt 0x0
	v_add_f32_e32 v4, v4, v32
	s_wait_alu 0xfffe
	s_or_b32 exec_lo, exec_lo, s0
	s_and_saveexec_b32 s0, vcc_lo
	s_cbranch_execz .LBB50_143
.LBB50_206:
	ds_load_b32 v32, v31 offset:64
	s_wait_dscnt 0x0
	v_add_f32_e32 v5, v5, v32
	s_wait_alu 0xfffe
	s_or_b32 exec_lo, exec_lo, s0
	s_and_saveexec_b32 s0, vcc_lo
	s_cbranch_execz .LBB50_144
.LBB50_207:
	ds_load_b32 v32, v31 offset:80
	s_wait_dscnt 0x0
	v_add_f32_e32 v6, v6, v32
	s_wait_alu 0xfffe
	s_or_b32 exec_lo, exec_lo, s0
	s_and_saveexec_b32 s0, vcc_lo
	s_cbranch_execz .LBB50_145
.LBB50_208:
	ds_load_b32 v32, v31 offset:96
	s_wait_dscnt 0x0
	v_add_f32_e32 v7, v7, v32
	s_wait_alu 0xfffe
	s_or_b32 exec_lo, exec_lo, s0
	s_and_saveexec_b32 s0, vcc_lo
	s_cbranch_execz .LBB50_146
.LBB50_209:
	ds_load_b32 v32, v31 offset:112
	s_wait_dscnt 0x0
	v_add_f32_e32 v8, v8, v32
	s_wait_alu 0xfffe
	s_or_b32 exec_lo, exec_lo, s0
	s_and_saveexec_b32 s0, vcc_lo
	s_cbranch_execz .LBB50_147
.LBB50_210:
	ds_load_b32 v32, v31 offset:128
	s_wait_dscnt 0x0
	v_add_f32_e32 v9, v9, v32
	s_wait_alu 0xfffe
	s_or_b32 exec_lo, exec_lo, s0
	s_and_saveexec_b32 s0, vcc_lo
	s_cbranch_execz .LBB50_148
.LBB50_211:
	ds_load_b32 v32, v31 offset:144
	s_wait_dscnt 0x0
	v_add_f32_e32 v10, v10, v32
	s_wait_alu 0xfffe
	s_or_b32 exec_lo, exec_lo, s0
	s_and_saveexec_b32 s0, vcc_lo
	s_cbranch_execz .LBB50_149
.LBB50_212:
	ds_load_b32 v32, v31 offset:160
	s_wait_dscnt 0x0
	v_add_f32_e32 v11, v11, v32
	s_wait_alu 0xfffe
	s_or_b32 exec_lo, exec_lo, s0
	s_and_saveexec_b32 s0, vcc_lo
	s_cbranch_execz .LBB50_150
.LBB50_213:
	ds_load_b32 v32, v31 offset:176
	s_wait_dscnt 0x0
	v_add_f32_e32 v12, v12, v32
	s_wait_alu 0xfffe
	s_or_b32 exec_lo, exec_lo, s0
	s_and_saveexec_b32 s0, vcc_lo
	s_cbranch_execz .LBB50_151
.LBB50_214:
	ds_load_b32 v32, v31 offset:192
	s_wait_dscnt 0x0
	v_add_f32_e32 v13, v13, v32
	s_wait_alu 0xfffe
	s_or_b32 exec_lo, exec_lo, s0
	s_and_saveexec_b32 s0, vcc_lo
	s_cbranch_execz .LBB50_152
.LBB50_215:
	ds_load_b32 v32, v31 offset:208
	s_wait_dscnt 0x0
	v_add_f32_e32 v14, v14, v32
	s_wait_alu 0xfffe
	s_or_b32 exec_lo, exec_lo, s0
	s_and_saveexec_b32 s0, vcc_lo
	s_cbranch_execz .LBB50_153
.LBB50_216:
	ds_load_b32 v32, v31 offset:224
	s_wait_dscnt 0x0
	v_add_f32_e32 v15, v15, v32
	s_wait_alu 0xfffe
	s_or_b32 exec_lo, exec_lo, s0
	s_and_saveexec_b32 s0, vcc_lo
	s_cbranch_execz .LBB50_154
.LBB50_217:
	ds_load_b32 v32, v31 offset:240
	s_wait_dscnt 0x0
	v_add_f32_e32 v16, v16, v32
	s_wait_alu 0xfffe
	s_or_b32 exec_lo, exec_lo, s0
	s_and_saveexec_b32 s0, vcc_lo
	s_cbranch_execz .LBB50_155
.LBB50_218:
	ds_load_b32 v32, v31 offset:256
	s_wait_dscnt 0x0
	v_add_f32_e32 v17, v17, v32
	s_wait_alu 0xfffe
	s_or_b32 exec_lo, exec_lo, s0
	s_and_saveexec_b32 s0, vcc_lo
	s_cbranch_execz .LBB50_156
.LBB50_219:
	ds_load_b32 v32, v31 offset:272
	s_wait_dscnt 0x0
	v_add_f32_e32 v18, v18, v32
	s_wait_alu 0xfffe
	s_or_b32 exec_lo, exec_lo, s0
	s_and_saveexec_b32 s0, vcc_lo
	s_cbranch_execz .LBB50_157
.LBB50_220:
	ds_load_b32 v32, v31 offset:288
	s_wait_dscnt 0x0
	v_add_f32_e32 v19, v19, v32
	s_wait_alu 0xfffe
	s_or_b32 exec_lo, exec_lo, s0
	s_and_saveexec_b32 s0, vcc_lo
	s_cbranch_execz .LBB50_158
.LBB50_221:
	ds_load_b32 v32, v31 offset:304
	s_wait_dscnt 0x0
	v_add_f32_e32 v20, v20, v32
	s_wait_alu 0xfffe
	s_or_b32 exec_lo, exec_lo, s0
	s_and_saveexec_b32 s0, vcc_lo
	s_cbranch_execz .LBB50_159
.LBB50_222:
	ds_load_b32 v32, v31 offset:320
	s_wait_dscnt 0x0
	v_add_f32_e32 v21, v21, v32
	s_wait_alu 0xfffe
	s_or_b32 exec_lo, exec_lo, s0
	s_and_saveexec_b32 s0, vcc_lo
	s_cbranch_execz .LBB50_160
.LBB50_223:
	ds_load_b32 v32, v31 offset:336
	s_wait_dscnt 0x0
	v_add_f32_e32 v22, v22, v32
	s_wait_alu 0xfffe
	s_or_b32 exec_lo, exec_lo, s0
	s_and_saveexec_b32 s0, vcc_lo
	s_cbranch_execz .LBB50_161
.LBB50_224:
	ds_load_b32 v32, v31 offset:352
	s_wait_dscnt 0x0
	v_add_f32_e32 v23, v23, v32
	s_wait_alu 0xfffe
	s_or_b32 exec_lo, exec_lo, s0
	s_and_saveexec_b32 s0, vcc_lo
	s_cbranch_execz .LBB50_162
.LBB50_225:
	ds_load_b32 v32, v31 offset:368
	s_wait_dscnt 0x0
	v_add_f32_e32 v24, v24, v32
	s_wait_alu 0xfffe
	s_or_b32 exec_lo, exec_lo, s0
	s_and_saveexec_b32 s0, vcc_lo
	s_cbranch_execz .LBB50_163
.LBB50_226:
	ds_load_b32 v32, v31 offset:384
	s_wait_dscnt 0x0
	v_add_f32_e32 v25, v25, v32
	s_wait_alu 0xfffe
	s_or_b32 exec_lo, exec_lo, s0
	s_and_saveexec_b32 s0, vcc_lo
	s_cbranch_execz .LBB50_164
.LBB50_227:
	ds_load_b32 v32, v31 offset:400
	s_wait_dscnt 0x0
	v_add_f32_e32 v26, v26, v32
	s_wait_alu 0xfffe
	s_or_b32 exec_lo, exec_lo, s0
	s_and_saveexec_b32 s0, vcc_lo
	s_cbranch_execz .LBB50_165
.LBB50_228:
	ds_load_b32 v32, v31 offset:416
	s_wait_dscnt 0x0
	v_add_f32_e32 v27, v27, v32
	s_wait_alu 0xfffe
	s_or_b32 exec_lo, exec_lo, s0
	s_and_saveexec_b32 s0, vcc_lo
	s_cbranch_execz .LBB50_166
.LBB50_229:
	ds_load_b32 v32, v31 offset:432
	s_wait_dscnt 0x0
	v_add_f32_e32 v28, v28, v32
	s_wait_alu 0xfffe
	s_or_b32 exec_lo, exec_lo, s0
	s_and_saveexec_b32 s0, vcc_lo
	s_cbranch_execz .LBB50_167
.LBB50_230:
	ds_load_b32 v32, v31 offset:448
	s_wait_dscnt 0x0
	v_add_f32_e32 v29, v29, v32
	s_wait_alu 0xfffe
	s_or_b32 exec_lo, exec_lo, s0
	s_and_saveexec_b32 s0, vcc_lo
	s_cbranch_execnz .LBB50_168
	s_branch .LBB50_169
	.section	.rodata,"a",@progbits
	.p2align	6, 0x0
	.amdhsa_kernel _ZN4vllm25paged_attention_v2_kernelIffLi120ELi32ELi128ELNS_18Fp8KVCacheDataTypeE0ELb1ELi512EEEvPfS2_PT_PKS3_PKT0_S9_ifPKiSB_iPKfiiiSD_SD_iiiii
		.amdhsa_group_segment_fixed_size 512
		.amdhsa_private_segment_fixed_size 0
		.amdhsa_kernarg_size 400
		.amdhsa_user_sgpr_count 2
		.amdhsa_user_sgpr_dispatch_ptr 0
		.amdhsa_user_sgpr_queue_ptr 0
		.amdhsa_user_sgpr_kernarg_segment_ptr 1
		.amdhsa_user_sgpr_dispatch_id 0
		.amdhsa_user_sgpr_private_segment_size 0
		.amdhsa_wavefront_size32 1
		.amdhsa_uses_dynamic_stack 0
		.amdhsa_enable_private_segment 0
		.amdhsa_system_sgpr_workgroup_id_x 1
		.amdhsa_system_sgpr_workgroup_id_y 1
		.amdhsa_system_sgpr_workgroup_id_z 1
		.amdhsa_system_sgpr_workgroup_info 0
		.amdhsa_system_vgpr_workitem_id 0
		.amdhsa_next_free_vgpr 173
		.amdhsa_next_free_sgpr 42
		.amdhsa_reserve_vcc 1
		.amdhsa_float_round_mode_32 0
		.amdhsa_float_round_mode_16_64 0
		.amdhsa_float_denorm_mode_32 3
		.amdhsa_float_denorm_mode_16_64 3
		.amdhsa_fp16_overflow 0
		.amdhsa_workgroup_processor_mode 1
		.amdhsa_memory_ordered 1
		.amdhsa_forward_progress 1
		.amdhsa_inst_pref_size 122
		.amdhsa_round_robin_scheduling 0
		.amdhsa_exception_fp_ieee_invalid_op 0
		.amdhsa_exception_fp_denorm_src 0
		.amdhsa_exception_fp_ieee_div_zero 0
		.amdhsa_exception_fp_ieee_overflow 0
		.amdhsa_exception_fp_ieee_underflow 0
		.amdhsa_exception_fp_ieee_inexact 0
		.amdhsa_exception_int_div_zero 0
	.end_amdhsa_kernel
	.section	.text._ZN4vllm25paged_attention_v2_kernelIffLi120ELi32ELi128ELNS_18Fp8KVCacheDataTypeE0ELb1ELi512EEEvPfS2_PT_PKS3_PKT0_S9_ifPKiSB_iPKfiiiSD_SD_iiiii,"axG",@progbits,_ZN4vllm25paged_attention_v2_kernelIffLi120ELi32ELi128ELNS_18Fp8KVCacheDataTypeE0ELb1ELi512EEEvPfS2_PT_PKS3_PKT0_S9_ifPKiSB_iPKfiiiSD_SD_iiiii,comdat
.Lfunc_end50:
	.size	_ZN4vllm25paged_attention_v2_kernelIffLi120ELi32ELi128ELNS_18Fp8KVCacheDataTypeE0ELb1ELi512EEEvPfS2_PT_PKS3_PKT0_S9_ifPKiSB_iPKfiiiSD_SD_iiiii, .Lfunc_end50-_ZN4vllm25paged_attention_v2_kernelIffLi120ELi32ELi128ELNS_18Fp8KVCacheDataTypeE0ELb1ELi512EEEvPfS2_PT_PKS3_PKT0_S9_ifPKiSB_iPKfiiiSD_SD_iiiii
                                        ; -- End function
	.set _ZN4vllm25paged_attention_v2_kernelIffLi120ELi32ELi128ELNS_18Fp8KVCacheDataTypeE0ELb1ELi512EEEvPfS2_PT_PKS3_PKT0_S9_ifPKiSB_iPKfiiiSD_SD_iiiii.num_vgpr, 173
	.set _ZN4vllm25paged_attention_v2_kernelIffLi120ELi32ELi128ELNS_18Fp8KVCacheDataTypeE0ELb1ELi512EEEvPfS2_PT_PKS3_PKT0_S9_ifPKiSB_iPKfiiiSD_SD_iiiii.num_agpr, 0
	.set _ZN4vllm25paged_attention_v2_kernelIffLi120ELi32ELi128ELNS_18Fp8KVCacheDataTypeE0ELb1ELi512EEEvPfS2_PT_PKS3_PKT0_S9_ifPKiSB_iPKfiiiSD_SD_iiiii.numbered_sgpr, 42
	.set _ZN4vllm25paged_attention_v2_kernelIffLi120ELi32ELi128ELNS_18Fp8KVCacheDataTypeE0ELb1ELi512EEEvPfS2_PT_PKS3_PKT0_S9_ifPKiSB_iPKfiiiSD_SD_iiiii.num_named_barrier, 0
	.set _ZN4vllm25paged_attention_v2_kernelIffLi120ELi32ELi128ELNS_18Fp8KVCacheDataTypeE0ELb1ELi512EEEvPfS2_PT_PKS3_PKT0_S9_ifPKiSB_iPKfiiiSD_SD_iiiii.private_seg_size, 0
	.set _ZN4vllm25paged_attention_v2_kernelIffLi120ELi32ELi128ELNS_18Fp8KVCacheDataTypeE0ELb1ELi512EEEvPfS2_PT_PKS3_PKT0_S9_ifPKiSB_iPKfiiiSD_SD_iiiii.uses_vcc, 1
	.set _ZN4vllm25paged_attention_v2_kernelIffLi120ELi32ELi128ELNS_18Fp8KVCacheDataTypeE0ELb1ELi512EEEvPfS2_PT_PKS3_PKT0_S9_ifPKiSB_iPKfiiiSD_SD_iiiii.uses_flat_scratch, 0
	.set _ZN4vllm25paged_attention_v2_kernelIffLi120ELi32ELi128ELNS_18Fp8KVCacheDataTypeE0ELb1ELi512EEEvPfS2_PT_PKS3_PKT0_S9_ifPKiSB_iPKfiiiSD_SD_iiiii.has_dyn_sized_stack, 0
	.set _ZN4vllm25paged_attention_v2_kernelIffLi120ELi32ELi128ELNS_18Fp8KVCacheDataTypeE0ELb1ELi512EEEvPfS2_PT_PKS3_PKT0_S9_ifPKiSB_iPKfiiiSD_SD_iiiii.has_recursion, 0
	.set _ZN4vllm25paged_attention_v2_kernelIffLi120ELi32ELi128ELNS_18Fp8KVCacheDataTypeE0ELb1ELi512EEEvPfS2_PT_PKS3_PKT0_S9_ifPKiSB_iPKfiiiSD_SD_iiiii.has_indirect_call, 0
	.section	.AMDGPU.csdata,"",@progbits
; Kernel info:
; codeLenInByte = 15492
; TotalNumSgprs: 44
; NumVgprs: 173
; ScratchSize: 0
; MemoryBound: 0
; FloatMode: 240
; IeeeMode: 1
; LDSByteSize: 512 bytes/workgroup (compile time only)
; SGPRBlocks: 0
; VGPRBlocks: 21
; NumSGPRsForWavesPerEU: 44
; NumVGPRsForWavesPerEU: 173
; Occupancy: 8
; WaveLimiterHint : 1
; COMPUTE_PGM_RSRC2:SCRATCH_EN: 0
; COMPUTE_PGM_RSRC2:USER_SGPR: 2
; COMPUTE_PGM_RSRC2:TRAP_HANDLER: 0
; COMPUTE_PGM_RSRC2:TGID_X_EN: 1
; COMPUTE_PGM_RSRC2:TGID_Y_EN: 1
; COMPUTE_PGM_RSRC2:TGID_Z_EN: 1
; COMPUTE_PGM_RSRC2:TIDIG_COMP_CNT: 0
	.section	.text._ZN4vllm25paged_attention_v2_kernelIffLi128ELi32ELi128ELNS_18Fp8KVCacheDataTypeE0ELb1ELi512EEEvPfS2_PT_PKS3_PKT0_S9_ifPKiSB_iPKfiiiSD_SD_iiiii,"axG",@progbits,_ZN4vllm25paged_attention_v2_kernelIffLi128ELi32ELi128ELNS_18Fp8KVCacheDataTypeE0ELb1ELi512EEEvPfS2_PT_PKS3_PKT0_S9_ifPKiSB_iPKfiiiSD_SD_iiiii,comdat
	.protected	_ZN4vllm25paged_attention_v2_kernelIffLi128ELi32ELi128ELNS_18Fp8KVCacheDataTypeE0ELb1ELi512EEEvPfS2_PT_PKS3_PKT0_S9_ifPKiSB_iPKfiiiSD_SD_iiiii ; -- Begin function _ZN4vllm25paged_attention_v2_kernelIffLi128ELi32ELi128ELNS_18Fp8KVCacheDataTypeE0ELb1ELi512EEEvPfS2_PT_PKS3_PKT0_S9_ifPKiSB_iPKfiiiSD_SD_iiiii
	.globl	_ZN4vllm25paged_attention_v2_kernelIffLi128ELi32ELi128ELNS_18Fp8KVCacheDataTypeE0ELb1ELi512EEEvPfS2_PT_PKS3_PKT0_S9_ifPKiSB_iPKfiiiSD_SD_iiiii
	.p2align	8
	.type	_ZN4vllm25paged_attention_v2_kernelIffLi128ELi32ELi128ELNS_18Fp8KVCacheDataTypeE0ELb1ELi512EEEvPfS2_PT_PKS3_PKT0_S9_ifPKiSB_iPKfiiiSD_SD_iiiii,@function
_ZN4vllm25paged_attention_v2_kernelIffLi128ELi32ELi128ELNS_18Fp8KVCacheDataTypeE0ELb1ELi512EEEvPfS2_PT_PKS3_PKT0_S9_ifPKiSB_iPKfiiiSD_SD_iiiii: ; @_ZN4vllm25paged_attention_v2_kernelIffLi128ELi32ELi128ELNS_18Fp8KVCacheDataTypeE0ELb1ELi512EEEvPfS2_PT_PKS3_PKT0_S9_ifPKiSB_iPKfiiiSD_SD_iiiii
; %bb.0:
	s_load_b64 s[2:3], s[0:1], 0x40
	s_and_b32 s22, ttmp7, 0xffff
	s_lshr_b32 s36, ttmp7, 16
	s_lshl_b32 s4, s22, 2
	s_lshl_b32 s6, s36, 9
	s_wait_kmcnt 0x0
	s_load_b32 s7, s[2:3], s4 offset:0x0
	s_wait_kmcnt 0x0
	s_cmp_ge_i32 s6, s7
	s_cbranch_scc1 .LBB51_180
; %bb.1:
	s_clause 0x1
	s_load_b32 s23, s[0:1], 0x90
	s_load_b64 s[12:13], s[0:1], 0x30
	s_wait_kmcnt 0x0
	s_abs_i32 s5, s23
	s_abs_i32 s2, s12
	s_delay_alu instid0(SALU_CYCLE_1) | instskip(SKIP_1) | instid1(SALU_CYCLE_2)
	s_cvt_f32_u32 s3, s2
	s_sub_co_i32 s4, 0, s2
	v_rcp_iflag_f32_e32 v1, s3
	s_delay_alu instid0(TRANS32_DEP_1) | instskip(SKIP_2) | instid1(SALU_CYCLE_2)
	v_readfirstlane_b32 s3, v1
	s_mul_f32 s3, s3, 0x4f7ffffe
	s_wait_alu 0xfffe
	s_cvt_u32_f32 s3, s3
	s_wait_alu 0xfffe
	s_delay_alu instid0(SALU_CYCLE_2) | instskip(NEXT) | instid1(SALU_CYCLE_1)
	s_mul_i32 s4, s4, s3
	s_mul_hi_u32 s4, s3, s4
	s_delay_alu instid0(SALU_CYCLE_1)
	s_add_co_i32 s3, s3, s4
	s_xor_b32 s4, s23, s12
	s_wait_alu 0xfffe
	s_mul_hi_u32 s3, s5, s3
	s_ashr_i32 s4, s4, 31
	s_wait_alu 0xfffe
	s_mul_i32 s8, s3, s2
	s_delay_alu instid0(SALU_CYCLE_1)
	s_sub_co_i32 s5, s5, s8
	s_add_co_i32 s8, s3, 1
	s_sub_co_i32 s9, s5, s2
	s_cmp_ge_u32 s5, s2
	s_cselect_b32 s3, s8, s3
	s_cselect_b32 s5, s9, s5
	s_wait_alu 0xfffe
	s_add_co_i32 s8, s3, 1
	s_cmp_ge_u32 s5, s2
	s_mov_b32 s5, 0
	s_cselect_b32 s2, s8, s3
	s_load_b64 s[8:9], s[0:1], 0x50
	s_xor_b32 s2, s2, s4
	s_mov_b32 s19, s5
	s_wait_alu 0xfffe
	s_sub_co_i32 s10, s2, s4
	s_abs_i32 s4, ttmp9
	s_abs_i32 s14, s10
	s_delay_alu instid0(SALU_CYCLE_1) | instskip(SKIP_2) | instid1(SALU_CYCLE_1)
	s_cvt_f32_u32 s2, s14
	s_sub_co_i32 s3, 0, s14
	s_wait_alu 0xfffe
	v_rcp_iflag_f32_e32 v1, s2
	s_delay_alu instid0(TRANS32_DEP_1) | instskip(SKIP_2) | instid1(SALU_CYCLE_2)
	v_readfirstlane_b32 s2, v1
	s_mul_f32 s2, s2, 0x4f7ffffe
	s_wait_alu 0xfffe
	s_cvt_u32_f32 s2, s2
	s_wait_alu 0xfffe
	s_delay_alu instid0(SALU_CYCLE_2)
	s_mul_i32 s3, s3, s2
	s_wait_alu 0xfffe
	s_mul_hi_u32 s3, s2, s3
	s_wait_alu 0xfffe
	s_add_co_i32 s2, s2, s3
	s_mov_b32 s3, s5
	s_wait_kmcnt 0x0
	s_cmp_eq_u64 s[8:9], 0
	s_cbranch_scc1 .LBB51_3
; %bb.2:
	s_mov_b32 s16, ttmp9
	s_ashr_i32 s17, ttmp9, 31
	s_delay_alu instid0(SALU_CYCLE_1) | instskip(NEXT) | instid1(SALU_CYCLE_1)
	s_lshl_b64 s[16:17], s[16:17], 2
	s_add_nc_u64 s[8:9], s[8:9], s[16:17]
	s_load_b32 s19, s[8:9], 0x0
.LBB51_3:
	s_load_b96 s[16:18], s[0:1], 0x58
	s_mul_u64 s[2:3], s[4:5], s[2:3]
	v_cmp_gt_u32_e64 s2, 32, v0
	s_ashr_i32 s5, ttmp9, 31
	s_ashr_i32 s15, s10, 31
	s_lshl_b32 s20, ttmp9, 7
	s_wait_alu 0xfffe
	s_and_saveexec_b32 s8, s2
	s_cbranch_execz .LBB51_5
; %bb.4:
	s_load_b64 s[10:11], s[0:1], 0x18
	s_wait_kmcnt 0x0
	s_mul_i32 s24, s16, s22
	s_ashr_i32 s21, s20, 31
	s_ashr_i32 s25, s24, 31
	v_lshlrev_b32_e32 v5, 4, v0
	s_lshl_b64 s[24:25], s[24:25], 2
	s_delay_alu instid0(SALU_CYCLE_1) | instskip(SKIP_1) | instid1(SALU_CYCLE_1)
	s_add_nc_u64 s[10:11], s[10:11], s[24:25]
	s_lshl_b64 s[24:25], s[20:21], 2
	s_add_nc_u64 s[10:11], s[10:11], s[24:25]
	global_load_b128 v[1:4], v5, s[10:11]
	s_wait_loadcnt 0x0
	ds_store_b128 v5, v[1:4]
.LBB51_5:
	s_or_b32 exec_lo, exec_lo, s8
	s_load_b128 s[8:11], s[0:1], 0x78
	s_wait_kmcnt 0x0
	s_mul_i32 s16, s3, s14
	s_xor_b32 s5, s5, s15
	s_sub_co_i32 s4, s4, s16
	s_add_co_i32 s15, s3, 1
	s_sub_co_i32 s16, s4, s14
	s_cmp_ge_u32 s4, s14
	s_mov_b32 s27, -1
	s_cselect_b32 s3, s15, s3
	s_cselect_b32 s4, s16, s4
	s_wait_alu 0xfffe
	s_add_co_i32 s15, s3, 1
	s_cmp_ge_u32 s4, s14
                                        ; implicit-def: $sgpr21
	s_cselect_b32 s4, s15, s3
	s_load_b32 s3, s[0:1], 0x88
	s_xor_b32 s4, s4, s5
	s_add_co_i32 s26, s7, -1
	s_sub_co_i32 s30, s4, s5
	s_wait_dscnt 0x0
	s_barrier_signal -1
	s_abs_i32 s16, s11
	s_barrier_wait -1
	s_cvt_f32_u32 s14, s16
	global_inv scope:SCOPE_SE
	v_rcp_iflag_f32_e32 v1, s14
	s_delay_alu instid0(TRANS32_DEP_1) | instskip(SKIP_1) | instid1(SALU_CYCLE_3)
	v_readfirstlane_b32 s14, v1
	s_mul_f32 s4, s14, 0x4f7ffffe
	s_cvt_u32_f32 s14, s4
	s_sub_co_i32 s4, 0, s16
	s_wait_alu 0xfffe
	s_delay_alu instid0(SALU_CYCLE_1)
	s_mul_i32 s5, s4, s14
	s_abs_i32 s4, s26
	s_mul_hi_u32 s15, s14, s5
	s_mov_b32 s5, 0
	s_wait_alu 0xfffe
	s_add_co_i32 s24, s14, s15
	s_wait_kmcnt 0x0
	s_cmp_lt_i32 s3, 0
	s_mov_b32 s25, s5
	s_cbranch_scc0 .LBB51_7
; %bb.6:
	s_mul_i32 s12, s8, s12
	s_mov_b32 s27, s5
	s_add_co_i32 s12, s30, s12
	s_delay_alu instid0(SALU_CYCLE_1) | instskip(NEXT) | instid1(SALU_CYCLE_1)
	s_mul_i32 s12, s12, s3
	s_sub_co_i32 s21, 1, s12
.LBB51_7:
	s_mul_u64 s[14:15], s[4:5], s[24:25]
	s_ashr_i32 s5, s26, 31
	s_and_not1_b32 vcc_lo, exec_lo, s27
	s_ashr_i32 s25, s11, 31
	s_cbranch_vccnz .LBB51_9
; %bb.8:
	s_mul_i32 s8, s23, s8
	s_delay_alu instid0(SALU_CYCLE_1) | instskip(NEXT) | instid1(SALU_CYCLE_1)
	s_add_co_i32 s8, s8, ttmp9
	s_mul_i32 s3, s8, s3
	s_wait_alu 0xfffe
	s_add_co_i32 s21, s3, 1
.LBB51_9:
	s_clause 0x2
	s_load_b32 s3, s[0:1], 0x48
	s_load_b64 s[26:27], s[0:1], 0x38
	s_load_b32 s11, s[0:1], 0x98
	s_mul_i32 s8, s15, s16
	s_xor_b32 s5, s5, s25
	s_sub_co_i32 s4, s4, s8
	s_add_co_i32 s12, s15, 1
	v_lshrrev_b32_e32 v135, 5, v0
	v_dual_mov_b32 v141, 0xff7fffff :: v_dual_and_b32 v136, 31, v0
	s_mul_i32 s30, s30, s18
	s_delay_alu instid0(VALU_DEP_2) | instskip(NEXT) | instid1(VALU_DEP_2)
	v_lshl_add_u32 v138, v135, 5, s6
	v_lshlrev_b32_e32 v134, 2, v136
	s_wait_kmcnt 0x0
	s_mul_i32 s28, s3, s22
	s_sub_co_i32 s3, s4, s16
	s_ashr_i32 s29, s28, 31
	s_cmp_ge_u32 s4, s16
	s_cselect_b32 s8, s12, s15
	s_wait_alu 0xfffe
	s_cselect_b32 s3, s3, s4
	s_add_co_i32 s4, s8, 1
	s_wait_alu 0xfffe
	s_cmp_ge_u32 s3, s16
	s_cselect_b32 s3, s4, s8
	s_add_co_i32 s4, s7, 31
	s_lshl_b32 s38, s36, 4
	s_ashr_i32 s8, s4, 31
	v_add_nc_u32_e32 v137, s38, v135
	s_lshr_b32 s8, s8, 27
	s_add_co_i32 s12, s38, 16
	s_add_co_i32 s4, s4, s8
	s_delay_alu instid0(SALU_CYCLE_1)
	s_ashr_i32 s8, s4, 5
	s_wait_alu 0xfffe
	s_xor_b32 s4, s3, s5
	s_min_i32 s33, s12, s8
	v_lshlrev_b32_e32 v133, 2, v137
	v_cmp_gt_i32_e64 s3, s33, v137
	s_sub_co_i32 s37, s4, s5
	s_and_saveexec_b32 s12, s3
	s_cbranch_execz .LBB51_17
; %bb.10:
	s_ashr_i32 s31, s30, 31
	s_load_b64 s[4:5], s[0:1], 0x20
	s_sub_co_i32 s14, s37, s9
	s_lshl_b64 s[34:35], s[30:31], 2
	s_cmp_neq_f32 s19, 0
	v_dual_mov_b32 v146, v137 :: v_dual_lshlrev_b32 v41, 4, v136
	v_lshl_or_b32 v132, v135, 7, v134
	s_cselect_b32 vcc_lo, -1, 0
	s_abs_i32 s15, s10
	v_mov_b32_e32 v125, 0
	s_wait_alu 0xfffe
	s_cvt_f32_u32 s31, s15
	v_add_nc_u32_e32 v144, 0x220, v132
	ds_load_b128 v[1:4], v125
	ds_load_b128 v[5:8], v125 offset:16
	v_rcp_iflag_f32_e32 v42, s31
	ds_load_b128 v[9:12], v125 offset:32
	ds_load_b128 v[13:16], v125 offset:48
	;; [unrolled: 1-line block ×8, first 2 shown]
	v_subrev_nc_u32_e32 v131, s7, v136
	v_lshl_add_u32 v142, v135, 5, s6
	v_mov_b32_e32 v145, 0xff7fffff
	s_wait_kmcnt 0x0
	s_add_nc_u64 s[4:5], s[4:5], s[34:35]
	v_mov_b32_e32 v141, 0xff7fffff
	v_add_co_u32 v139, s4, s4, v41
	s_wait_alu 0xf1ff
	v_add_co_ci_u32_e64 v140, null, s5, 0, s4
	v_readfirstlane_b32 s31, v42
	ds_load_b128 v[41:44], v125 offset:160
	ds_load_b128 v[45:48], v125 offset:176
	;; [unrolled: 1-line block ×22, first 2 shown]
	v_add_nc_u32_e32 v143, 1, v131
	s_mov_b32 s18, s17
	s_mul_f32 s4, s31, 0x4f7ffffe
	s_sub_co_i32 s31, 0, s15
	s_wait_alu 0xfffe
	s_delay_alu instid0(SALU_CYCLE_1)
	s_cvt_u32_f32 s34, s4
	s_lshl_b64 s[4:5], s[28:29], 2
	s_wait_alu 0xfffe
	s_add_nc_u64 s[4:5], s[26:27], s[4:5]
	s_mul_i32 s31, s31, s34
	s_wait_alu 0xfffe
	v_add_co_u32 v129, s4, s4, v133
	s_wait_alu 0xf1ff
	v_add_co_ci_u32_e64 v130, null, s5, 0, s4
	s_mul_hi_u32 s4, s34, s31
	s_mov_b32 s31, 0
	s_wait_alu 0xfffe
	s_add_co_i32 s34, s34, s4
	s_branch .LBB51_12
.LBB51_11:                              ;   in Loop: Header=BB51_12 Depth=1
	s_wait_alu 0xfffe
	s_or_b32 exec_lo, exec_lo, s5
	v_add_nc_u32_e32 v146, 4, v146
	v_add_co_u32 v129, s5, v129, 16
	s_wait_alu 0xf1ff
	v_add_co_ci_u32_e64 v130, null, 0, v130, s5
	s_delay_alu instid0(VALU_DEP_3)
	v_cmp_le_i32_e64 s4, s33, v146
	v_add_nc_u32_e32 v142, 0x80, v142
	v_add_nc_u32_e32 v144, 0x200, v144
	s_or_b32 s31, s4, s31
	s_wait_alu 0xfffe
	s_and_not1_b32 exec_lo, exec_lo, s31
	s_cbranch_execz .LBB51_16
.LBB51_12:                              ; =>This Inner Loop Header: Depth=1
	v_sub_nc_u32_e32 v131, 0, v142
	s_delay_alu instid0(VALU_DEP_1) | instskip(NEXT) | instid1(VALU_DEP_1)
	v_max_i32_e32 v131, v142, v131
	v_mul_hi_u32 v132, v131, s24
	s_delay_alu instid0(VALU_DEP_1) | instskip(NEXT) | instid1(VALU_DEP_1)
	v_mul_lo_u32 v147, v132, s16
	v_sub_nc_u32_e32 v131, v131, v147
	v_add_nc_u32_e32 v147, 1, v132
	s_delay_alu instid0(VALU_DEP_2) | instskip(SKIP_2) | instid1(VALU_DEP_1)
	v_subrev_nc_u32_e32 v148, s16, v131
	v_cmp_le_u32_e64 s4, s16, v131
	s_wait_alu 0xf1ff
	v_cndmask_b32_e64 v132, v132, v147, s4
	s_delay_alu instid0(VALU_DEP_3) | instskip(SKIP_1) | instid1(VALU_DEP_3)
	v_cndmask_b32_e64 v131, v131, v148, s4
	v_ashrrev_i32_e32 v147, 31, v142
	v_add_nc_u32_e32 v148, 1, v132
	s_delay_alu instid0(VALU_DEP_3) | instskip(NEXT) | instid1(VALU_DEP_3)
	v_cmp_le_u32_e64 s4, s16, v131
	v_xor_b32_e32 v147, s25, v147
	s_wait_alu 0xf1ff
	s_delay_alu instid0(VALU_DEP_2) | instskip(NEXT) | instid1(VALU_DEP_1)
	v_cndmask_b32_e64 v131, v132, v148, s4
	v_xor_b32_e32 v131, v131, v147
	s_delay_alu instid0(VALU_DEP_1) | instskip(NEXT) | instid1(VALU_DEP_1)
	v_sub_nc_u32_e32 v131, v131, v147
	v_add_nc_u32_e32 v132, s21, v131
	v_cmp_ge_i32_e64 s5, s14, v131
	s_delay_alu instid0(VALU_DEP_2) | instskip(NEXT) | instid1(VALU_DEP_1)
	v_sub_nc_u32_e32 v147, 0, v132
	v_max_i32_e32 v147, v132, v147
	v_ashrrev_i32_e32 v132, 31, v132
	s_delay_alu instid0(VALU_DEP_2) | instskip(NEXT) | instid1(VALU_DEP_1)
	v_mul_hi_u32 v148, v147, s34
	v_mul_lo_u32 v148, v148, s15
	s_delay_alu instid0(VALU_DEP_1) | instskip(NEXT) | instid1(VALU_DEP_1)
	v_sub_nc_u32_e32 v147, v147, v148
	v_subrev_nc_u32_e32 v148, s15, v147
	v_cmp_le_u32_e64 s4, s15, v147
	s_wait_alu 0xf1ff
	s_delay_alu instid0(VALU_DEP_1) | instskip(NEXT) | instid1(VALU_DEP_1)
	v_cndmask_b32_e64 v147, v147, v148, s4
	v_subrev_nc_u32_e32 v148, s15, v147
	v_cmp_le_u32_e64 s4, s15, v147
	s_wait_alu 0xf1ff
	s_delay_alu instid0(VALU_DEP_1) | instskip(NEXT) | instid1(VALU_DEP_1)
	v_cndmask_b32_e64 v147, v147, v148, s4
	v_xor_b32_e32 v147, v147, v132
	s_delay_alu instid0(VALU_DEP_1) | instskip(NEXT) | instid1(VALU_DEP_1)
	v_sub_nc_u32_e32 v132, v147, v132
	v_cmp_ne_u32_e64 s4, 0, v132
	s_and_b32 s4, s4, s5
	s_wait_alu 0xfffe
	s_and_saveexec_b32 s5, s4
	s_wait_alu 0xfffe
	s_xor_b32 s4, exec_lo, s5
; %bb.13:                               ;   in Loop: Header=BB51_12 Depth=1
	ds_store_b32 v144, v145
; %bb.14:                               ;   in Loop: Header=BB51_12 Depth=1
	s_wait_alu 0xfffe
	s_and_not1_saveexec_b32 s5, s4
	s_cbranch_execz .LBB51_11
; %bb.15:                               ;   in Loop: Header=BB51_12 Depth=1
	global_load_b32 v131, v[129:130], off
	s_wait_loadcnt 0x0
	v_mad_co_i64_i32 v[131:132], null, v131, s18, 0
	s_delay_alu instid0(VALU_DEP_1) | instskip(NEXT) | instid1(VALU_DEP_1)
	v_lshlrev_b64_e32 v[131:132], 2, v[131:132]
	v_add_co_u32 v131, s4, v139, v131
	s_wait_alu 0xf1ff
	s_delay_alu instid0(VALU_DEP_2)
	v_add_co_ci_u32_e64 v132, null, v140, v132, s4
	s_clause 0x3
	global_load_b128 v[149:152], v[131:132], off offset:512
	global_load_b128 v[153:156], v[131:132], off
	global_load_b128 v[157:160], v[131:132], off offset:1024
	global_load_b128 v[161:164], v[131:132], off offset:1536
	s_wait_loadcnt_dscnt 0x31e
	v_dual_mul_f32 v149, v5, v149 :: v_dual_mul_f32 v150, v6, v150
	v_dual_mul_f32 v148, v7, v151 :: v_dual_mul_f32 v147, v8, v152
	s_wait_loadcnt 0x2
	s_delay_alu instid0(VALU_DEP_2)
	v_dual_fmac_f32 v149, v1, v153 :: v_dual_fmac_f32 v150, v2, v154
	global_load_b128 v[151:154], v[131:132], off offset:2048
	v_dual_fmac_f32 v148, v3, v155 :: v_dual_fmac_f32 v147, v4, v156
	s_wait_loadcnt_dscnt 0x21d
	v_dual_fmac_f32 v149, v9, v157 :: v_dual_fmac_f32 v150, v10, v158
	global_load_b128 v[155:158], v[131:132], off offset:2560
	v_dual_fmac_f32 v148, v11, v159 :: v_dual_fmac_f32 v147, v12, v160
	s_wait_loadcnt_dscnt 0x21c
	;; [unrolled: 4-line block ×3, first 2 shown]
	v_dual_fmac_f32 v149, v17, v151 :: v_dual_fmac_f32 v150, v18, v152
	s_delay_alu instid0(VALU_DEP_2)
	v_dual_fmac_f32 v148, v19, v153 :: v_dual_fmac_f32 v147, v20, v154
	global_load_b128 v[151:154], v[131:132], off offset:3584
	s_wait_loadcnt_dscnt 0x21a
	v_dual_fmac_f32 v149, v21, v155 :: v_dual_fmac_f32 v150, v22, v156
	v_dual_fmac_f32 v148, v23, v157 :: v_dual_fmac_f32 v147, v24, v158
	global_load_b128 v[155:158], v[131:132], off offset:4096
	s_wait_loadcnt_dscnt 0x219
	v_dual_fmac_f32 v149, v25, v159 :: v_dual_fmac_f32 v150, v26, v160
	;; [unrolled: 4-line block ×23, first 2 shown]
	v_dual_fmac_f32 v148, v111, v161 :: v_dual_fmac_f32 v147, v112, v162
	s_clause 0x1
	global_load_b128 v[159:162], v[131:132], off offset:15360
	global_load_b128 v[163:166], v[131:132], off offset:15872
	v_add_nc_u32_e32 v131, v143, v142
	s_delay_alu instid0(VALU_DEP_1) | instskip(NEXT) | instid1(VALU_DEP_1)
	v_cvt_f32_i32_e32 v131, v131
	v_mul_f32_e32 v131, s19, v131
	s_delay_alu instid0(VALU_DEP_1) | instskip(SKIP_4) | instid1(VALU_DEP_2)
	v_cndmask_b32_e32 v131, 0, v131, vcc_lo
	s_wait_loadcnt_dscnt 0x303
	v_dual_fmac_f32 v149, v113, v151 :: v_dual_fmac_f32 v150, v114, v152
	v_dual_fmac_f32 v148, v115, v153 :: v_dual_fmac_f32 v147, v116, v154
	s_wait_loadcnt_dscnt 0x202
	v_dual_fmac_f32 v149, v117, v155 :: v_dual_fmac_f32 v150, v118, v156
	s_wait_loadcnt_dscnt 0x101
	s_delay_alu instid0(VALU_DEP_1) | instskip(NEXT) | instid1(VALU_DEP_2)
	v_dual_fmac_f32 v148, v119, v157 :: v_dual_fmac_f32 v149, v121, v159
	v_dual_fmac_f32 v150, v122, v160 :: v_dual_fmac_f32 v147, v120, v158
	s_wait_loadcnt_dscnt 0x0
	s_delay_alu instid0(VALU_DEP_2) | instskip(NEXT) | instid1(VALU_DEP_2)
	v_dual_fmac_f32 v148, v123, v161 :: v_dual_fmac_f32 v149, v125, v163
	v_dual_fmac_f32 v150, v126, v164 :: v_dual_fmac_f32 v147, v124, v162
	s_delay_alu instid0(VALU_DEP_2) | instskip(NEXT) | instid1(VALU_DEP_2)
	v_fmac_f32_e32 v148, v127, v165
	v_add_f32_e32 v132, v149, v150
	s_delay_alu instid0(VALU_DEP_3) | instskip(NEXT) | instid1(VALU_DEP_2)
	v_fmac_f32_e32 v147, v128, v166
	v_add_f32_e32 v132, v148, v132
	s_delay_alu instid0(VALU_DEP_1) | instskip(NEXT) | instid1(VALU_DEP_1)
	v_dual_add_f32 v132, v147, v132 :: v_dual_max_num_f32 v147, v141, v141
	v_dual_fmac_f32 v131, s13, v132 :: v_dual_add_nc_u32 v148, v136, v142
	s_delay_alu instid0(VALU_DEP_1) | instskip(NEXT) | instid1(VALU_DEP_2)
	v_cmp_gt_i32_e64 s4, s7, v148
	v_max_num_f32_e32 v132, v147, v131
	s_wait_alu 0xf1ff
	s_delay_alu instid0(VALU_DEP_2) | instskip(NEXT) | instid1(VALU_DEP_2)
	v_cndmask_b32_e64 v131, 0, v131, s4
	v_cndmask_b32_e64 v141, v141, v132, s4
	ds_store_b32 v144, v131
	s_branch .LBB51_11
.LBB51_16:
	s_or_b32 exec_lo, exec_lo, s31
.LBB51_17:
	s_delay_alu instid0(SALU_CYCLE_1)
	s_or_b32 exec_lo, exec_lo, s12
	s_wait_dscnt 0x1f
	v_mbcnt_lo_u32_b32 v1, -1, 0
	s_clause 0x2
	s_load_b128 s[12:15], s[0:1], 0x0
	s_load_b64 s[18:19], s[0:1], 0x10
	s_load_b64 s[34:35], s[0:1], 0x28
	s_wait_dscnt 0x1e
	v_max_num_f32_e32 v5, v141, v141
	v_xor_b32_e32 v2, 16, v1
	v_xor_b32_e32 v4, 8, v1
	s_delay_alu instid0(VALU_DEP_2) | instskip(SKIP_2) | instid1(VALU_DEP_3)
	v_cmp_gt_i32_e32 vcc_lo, 32, v2
	s_wait_alu 0xfffd
	v_cndmask_b32_e32 v2, v1, v2, vcc_lo
	v_cmp_gt_i32_e32 vcc_lo, 32, v4
	s_delay_alu instid0(VALU_DEP_2)
	v_lshlrev_b32_e32 v2, 2, v2
	s_wait_alu 0xfffd
	v_cndmask_b32_e32 v4, v1, v4, vcc_lo
	ds_bpermute_b32 v3, v2, v141
	s_wait_dscnt 0x0
	v_dual_max_num_f32 v6, v3, v3 :: v_dual_lshlrev_b32 v3, 2, v4
	s_delay_alu instid0(VALU_DEP_1)
	v_max_num_f32_e32 v4, v5, v6
	v_xor_b32_e32 v6, 4, v1
	ds_bpermute_b32 v5, v3, v4
	v_cmp_gt_i32_e32 vcc_lo, 32, v6
	s_wait_alu 0xfffd
	v_cndmask_b32_e32 v6, v1, v6, vcc_lo
	s_delay_alu instid0(VALU_DEP_1) | instskip(SKIP_1) | instid1(VALU_DEP_1)
	v_lshlrev_b32_e32 v141, 2, v6
	v_xor_b32_e32 v6, 2, v1
	v_cmp_gt_i32_e32 vcc_lo, 32, v6
	s_wait_dscnt 0x0
	v_max_num_f32_e32 v5, v5, v5
	s_wait_alu 0xfffd
	v_cndmask_b32_e32 v6, v1, v6, vcc_lo
	s_delay_alu instid0(VALU_DEP_1) | instskip(SKIP_1) | instid1(VALU_DEP_1)
	v_lshlrev_b32_e32 v140, 2, v6
	v_xor_b32_e32 v6, 1, v1
	v_cmp_gt_i32_e32 vcc_lo, 32, v6
	s_wait_alu 0xfffd
	v_cndmask_b32_e32 v6, v1, v6, vcc_lo
	v_max_num_f32_e32 v4, v4, v5
	v_cmp_eq_u32_e32 vcc_lo, 0, v136
	s_delay_alu instid0(VALU_DEP_3) | instskip(SKIP_3) | instid1(VALU_DEP_1)
	v_lshlrev_b32_e32 v139, 2, v6
	ds_bpermute_b32 v5, v141, v4
	s_wait_dscnt 0x0
	v_max_num_f32_e32 v5, v5, v5
	v_max_num_f32_e32 v4, v4, v5
	ds_bpermute_b32 v5, v140, v4
	s_wait_dscnt 0x0
	v_max_num_f32_e32 v5, v5, v5
	s_delay_alu instid0(VALU_DEP_1)
	v_max_num_f32_e32 v1, v4, v5
	v_lshlrev_b32_e32 v5, 2, v135
	ds_bpermute_b32 v4, v139, v1
	s_and_saveexec_b32 s0, vcc_lo
	s_cbranch_execz .LBB51_19
; %bb.18:
	s_wait_dscnt 0x0
	v_dual_max_num_f32 v4, v4, v4 :: v_dual_max_num_f32 v1, v1, v1
	s_delay_alu instid0(VALU_DEP_1)
	v_max_num_f32_e32 v1, v1, v4
	ds_store_b32 v5, v1 offset:512
.LBB51_19:
	s_or_b32 exec_lo, exec_lo, s0
	v_cmp_gt_u32_e64 s0, 4, v136
	v_mov_b32_e32 v1, 0xff7fffff
	s_wait_loadcnt_dscnt 0x0
	s_barrier_signal -1
	s_barrier_wait -1
	global_inv scope:SCOPE_SE
	s_and_saveexec_b32 s1, s0
; %bb.20:
	ds_load_b32 v1, v134 offset:512
; %bb.21:
	s_or_b32 exec_lo, exec_lo, s1
	s_wait_dscnt 0x0
	ds_bpermute_b32 v4, v140, v1
	v_max_num_f32_e32 v1, v1, v1
	s_sub_co_i32 s1, s33, s38
	v_mov_b32_e32 v6, 0
	s_lshl_b32 s1, s1, 5
	s_delay_alu instid0(SALU_CYCLE_1) | instskip(NEXT) | instid1(SALU_CYCLE_1)
	s_add_co_i32 s1, s1, s6
	s_min_i32 s1, s1, s7
	s_delay_alu instid0(SALU_CYCLE_1) | instskip(SKIP_4) | instid1(VALU_DEP_1)
	s_sub_co_i32 s5, s1, s6
	s_wait_alu 0xfffe
	v_cmp_gt_i32_e64 s1, s5, v0
	s_wait_dscnt 0x0
	v_max_num_f32_e32 v4, v4, v4
	v_max_num_f32_e32 v1, v1, v4
	ds_bpermute_b32 v4, v139, v1
	s_wait_dscnt 0x0
	v_max_num_f32_e32 v4, v4, v4
	s_delay_alu instid0(VALU_DEP_1)
	v_max_num_f32_e32 v1, v1, v4
	v_lshl_add_u32 v4, v0, 2, 0x220
	ds_bpermute_b32 v1, v6, v1
	s_and_saveexec_b32 s31, s1
	s_cbranch_execz .LBB51_25
; %bb.22:
	v_lshl_add_u32 v7, v0, 2, 0x220
	v_mov_b32_e32 v6, 0
	v_mov_b32_e32 v8, v0
	s_mov_b32 s38, 0
.LBB51_23:                              ; =>This Inner Loop Header: Depth=1
	ds_load_b32 v9, v7
	v_add_nc_u32_e32 v8, 0x80, v8
	s_delay_alu instid0(VALU_DEP_1) | instskip(SKIP_4) | instid1(VALU_DEP_1)
	v_cmp_le_i32_e64 s4, s5, v8
	s_wait_alu 0xfffe
	s_or_b32 s38, s4, s38
	s_wait_dscnt 0x0
	v_sub_f32_e32 v9, v9, v1
	v_mul_f32_e32 v9, 0x3fb8aa3b, v9
	s_delay_alu instid0(VALU_DEP_1)
	v_exp_f32_e32 v9, v9
	ds_store_b32 v7, v9
	v_dual_add_f32 v6, v6, v9 :: v_dual_add_nc_u32 v7, 0x200, v7
	s_wait_alu 0xfffe
	s_and_not1_b32 exec_lo, exec_lo, s38
	s_cbranch_execnz .LBB51_23
; %bb.24:
	s_or_b32 exec_lo, exec_lo, s38
.LBB51_25:
	s_wait_alu 0xfffe
	s_or_b32 exec_lo, exec_lo, s31
	ds_bpermute_b32 v2, v2, v6
	s_wait_dscnt 0x0
	v_add_f32_e32 v2, v6, v2
	ds_bpermute_b32 v3, v3, v2
	s_wait_dscnt 0x0
	v_add_f32_e32 v2, v2, v3
	;; [unrolled: 3-line block ×5, first 2 shown]
	s_and_saveexec_b32 s4, vcc_lo
; %bb.26:
	ds_store_b32 v5, v2 offset:528
; %bb.27:
	s_wait_alu 0xfffe
	s_or_b32 exec_lo, exec_lo, s4
	s_wait_loadcnt_dscnt 0x0
	s_barrier_signal -1
	s_barrier_wait -1
	global_inv scope:SCOPE_SE
	s_and_saveexec_b32 s4, s0
; %bb.28:
	ds_load_b32 v2, v134 offset:528
; %bb.29:
	s_wait_alu 0xfffe
	s_or_b32 exec_lo, exec_lo, s4
	s_wait_dscnt 0x0
	ds_bpermute_b32 v3, v140, v2
	s_wait_dscnt 0x0
	v_add_f32_e32 v2, v2, v3
	ds_bpermute_b32 v3, v139, v2
	s_wait_dscnt 0x0
	v_dual_add_f32 v2, v2, v3 :: v_dual_mov_b32 v3, 0
	ds_bpermute_b32 v2, v3, v2
	s_and_saveexec_b32 s0, s1
	s_cbranch_execz .LBB51_32
; %bb.30:
	s_wait_dscnt 0x0
	v_add_f32_e32 v3, 0x358637bd, v2
	s_mov_b32 s1, 0
	s_delay_alu instid0(VALU_DEP_1) | instskip(SKIP_1) | instid1(VALU_DEP_2)
	v_div_scale_f32 v5, null, v3, v3, 1.0
	v_div_scale_f32 v8, vcc_lo, 1.0, v3, 1.0
	v_rcp_f32_e32 v6, v5
	s_delay_alu instid0(TRANS32_DEP_1) | instskip(NEXT) | instid1(VALU_DEP_1)
	v_fma_f32 v7, -v5, v6, 1.0
	v_fmac_f32_e32 v6, v7, v6
	s_delay_alu instid0(VALU_DEP_1) | instskip(NEXT) | instid1(VALU_DEP_1)
	v_mul_f32_e32 v7, v8, v6
	v_fma_f32 v9, -v5, v7, v8
	s_delay_alu instid0(VALU_DEP_1) | instskip(NEXT) | instid1(VALU_DEP_1)
	v_fmac_f32_e32 v7, v9, v6
	v_fma_f32 v5, -v5, v7, v8
	s_wait_alu 0xfffd
	s_delay_alu instid0(VALU_DEP_1) | instskip(NEXT) | instid1(VALU_DEP_1)
	v_div_fmas_f32 v5, v5, v6, v7
	v_div_fixup_f32 v3, v5, v3, 1.0
	v_mov_b32_e32 v5, v0
.LBB51_31:                              ; =>This Inner Loop Header: Depth=1
	ds_load_b32 v6, v4
	s_wait_dscnt 0x0
	v_dual_mul_f32 v6, v3, v6 :: v_dual_add_nc_u32 v5, 0x80, v5
	s_delay_alu instid0(VALU_DEP_1) | instskip(SKIP_3) | instid1(SALU_CYCLE_1)
	v_cmp_le_i32_e32 vcc_lo, s5, v5
	ds_store_b32 v4, v6
	v_add_nc_u32_e32 v4, 0x200, v4
	s_or_b32 s1, vcc_lo, s1
	s_and_not1_b32 exec_lo, exec_lo, s1
	s_cbranch_execnz .LBB51_31
.LBB51_32:
	s_or_b32 exec_lo, exec_lo, s0
	s_mul_i32 s0, s11, s22
	s_wait_loadcnt_dscnt 0x0
	s_mul_i32 s22, s0, s23
	s_mov_b32 s0, exec_lo
	s_barrier_signal -1
	s_barrier_wait -1
	global_inv scope:SCOPE_SE
	v_cmpx_eq_u32_e32 0, v0
	s_cbranch_execz .LBB51_34
; %bb.33:
	s_ashr_i32 s23, s22, 31
	s_mul_i32 s4, s11, ttmp9
	s_lshl_b32 s1, s36, 2
	s_lshl_b64 s[38:39], s[22:23], 2
	s_wait_alu 0xfffe
	s_ashr_i32 s5, s4, 31
	v_mov_b32_e32 v3, s1
	s_wait_kmcnt 0x0
	s_add_nc_u64 s[14:15], s[14:15], s[38:39]
	s_wait_alu 0xfffe
	s_lshl_b64 s[4:5], s[4:5], 2
	s_add_nc_u64 s[12:13], s[12:13], s[38:39]
	s_wait_alu 0xfffe
	s_add_nc_u64 s[14:15], s[14:15], s[4:5]
	s_add_nc_u64 s[4:5], s[12:13], s[4:5]
	s_clause 0x1
	global_store_b32 v3, v1, s[14:15]
	global_store_b32 v3, v2, s[4:5]
.LBB51_34:
	s_or_b32 exec_lo, exec_lo, s0
	v_dual_mov_b32 v173, 0 :: v_dual_and_b32 v142, 7, v0
	v_dual_mov_b32 v174, 0 :: v_dual_mov_b32 v171, 0
	v_dual_mov_b32 v172, 0 :: v_dual_mov_b32 v169, 0
	;; [unrolled: 1-line block ×15, first 2 shown]
	v_mov_b32_e32 v144, 0
	s_and_saveexec_b32 s5, s3
	s_cbranch_execz .LBB51_104
; %bb.35:
	s_abs_i32 s10, s10
	v_dual_mov_b32 v144, 0 :: v_dual_lshlrev_b32 v1, 2, v0
	s_cvt_f32_u32 s0, s10
	v_dual_mov_b32 v146, 0 :: v_dual_lshlrev_b32 v3, 4, v142
	s_delay_alu instid0(VALU_DEP_2)
	v_or_b32_e32 v4, 0xf80, v1
	s_wait_alu 0xfffe
	v_rcp_iflag_f32_e32 v2, s0
	s_lshl_b64 s[0:1], s[28:29], 2
	s_sub_co_i32 s3, 0, s10
	s_wait_alu 0xfffe
	s_add_nc_u64 s[0:1], s[26:27], s[0:1]
	s_ashr_i32 s31, s30, 31
	s_wait_alu 0xfffe
	v_add_co_u32 v133, s0, s0, v133
	s_wait_alu 0xf1ff
	v_add_co_ci_u32_e64 v134, null, s1, 0, s0
	v_dual_mov_b32 v150, 0 :: v_dual_and_b32 v175, 28, v1
	v_readfirstlane_b32 s4, v2
	v_lshl_or_b32 v2, v135, 7, v3
	v_dual_mov_b32 v148, 0 :: v_dual_and_b32 v3, 0x7c, v1
	v_mov_b32_e32 v143, 0
	s_mul_f32 s0, s4, 0x4f7ffffe
	s_delay_alu instid0(VALU_DEP_3) | instskip(NEXT) | instid1(VALU_DEP_3)
	v_add_nc_u32_e32 v176, 0x220, v2
	v_dual_mov_b32 v152, 0 :: v_dual_lshlrev_b32 v177, 2, v3
	s_wait_alu 0xfffe
	s_cvt_u32_f32 s0, s0
	v_dual_mov_b32 v145, 0 :: v_dual_lshlrev_b32 v178, 2, v4
	v_dual_mov_b32 v147, 0 :: v_dual_mov_b32 v154, 0
	s_wait_alu 0xfffe
	s_mul_i32 s3, s3, s0
	v_dual_mov_b32 v149, 0 :: v_dual_mov_b32 v156, 0
	v_dual_mov_b32 v151, 0 :: v_dual_mov_b32 v158, 0
	;; [unrolled: 1-line block ×10, first 2 shown]
	v_mov_b32_e32 v169, 0
	v_mov_b32_e32 v171, 0
	;; [unrolled: 1-line block ×3, first 2 shown]
	s_wait_kmcnt 0x0
	s_sub_co_i32 s12, s37, s9
	s_add_co_i32 s14, s8, -1
	s_lshl_b64 s[8:9], s[30:31], 2
	s_wait_alu 0xfffe
	s_mul_hi_u32 s1, s0, s3
	s_mov_b32 s13, s17
	s_add_nc_u64 s[8:9], s[34:35], s[8:9]
	s_mov_b32 s15, 0
	s_wait_alu 0xfffe
	s_add_co_i32 s17, s0, s1
	s_branch .LBB51_38
.LBB51_36:                              ;   in Loop: Header=BB51_38 Depth=1
	s_wait_alu 0xfffe
	s_or_b32 exec_lo, exec_lo, s0
	s_wait_loadcnt_dscnt 0x1100
	v_mul_f32_e32 v61, v1, v61
	s_wait_loadcnt 0x9
	v_mul_f32_e32 v93, v1, v93
	v_mul_f32_e32 v21, v1, v21
	s_wait_loadcnt 0x5
	v_mul_f32_e32 v113, v1, v113
	v_mul_f32_e32 v53, v1, v53
	v_fmac_f32_e32 v61, v2, v62
	v_fmac_f32_e32 v93, v2, v94
	;; [unrolled: 1-line block ×3, first 2 shown]
	s_wait_loadcnt 0x3
	v_mul_f32_e32 v121, v1, v121
	v_mul_f32_e32 v85, v1, v85
	v_fmac_f32_e32 v61, v3, v63
	v_fmac_f32_e32 v93, v3, v95
	;; [unrolled: 1-line block ×3, first 2 shown]
	v_mul_f32_e32 v29, v1, v29
	v_fmac_f32_e32 v21, v3, v23
	v_fmac_f32_e32 v61, v4, v64
	;; [unrolled: 1-line block ×3, first 2 shown]
	s_wait_loadcnt 0x1
	v_mul_f32_e32 v129, v1, v129
	v_fmac_f32_e32 v85, v2, v86
	v_fmac_f32_e32 v93, v4, v96
	;; [unrolled: 1-line block ×3, first 2 shown]
	v_mul_f32_e32 v77, v1, v77
	v_add_f32_e32 v160, v160, v61
	v_mul_f32_e32 v45, v1, v45
	v_fmac_f32_e32 v53, v3, v55
	v_fmac_f32_e32 v29, v2, v30
	;; [unrolled: 1-line block ×4, first 2 shown]
	v_mul_f32_e32 v9, v1, v9
	v_mul_f32_e32 v105, v1, v105
	v_dual_fmac_f32 v85, v3, v87 :: v_dual_add_f32 v152, v152, v93
	v_fmac_f32_e32 v77, v2, v78
	v_fmac_f32_e32 v45, v2, v46
	;; [unrolled: 1-line block ×4, first 2 shown]
	v_mul_f32_e32 v37, v1, v37
	v_dual_fmac_f32 v29, v3, v31 :: v_dual_add_f32 v170, v170, v21
	v_fmac_f32_e32 v113, v4, v116
	v_fmac_f32_e32 v129, v2, v130
	v_mul_f32_e32 v13, v1, v13
	v_fmac_f32_e32 v9, v2, v10
	v_mul_f32_e32 v125, v1, v125
	v_mul_f32_e32 v117, v1, v117
	;; [unrolled: 1-line block ×3, first 2 shown]
	v_add_f32_e32 v148, v148, v113
	v_mul_f32_e32 v97, v1, v97
	v_mul_f32_e32 v89, v1, v89
	;; [unrolled: 1-line block ×3, first 2 shown]
	v_fmac_f32_e32 v85, v4, v88
	v_mul_f32_e32 v73, v1, v73
	v_mul_f32_e32 v69, v1, v69
	;; [unrolled: 1-line block ×3, first 2 shown]
	v_fmac_f32_e32 v77, v3, v79
	v_mul_f32_e32 v57, v1, v57
	v_mul_f32_e32 v49, v1, v49
	;; [unrolled: 1-line block ×3, first 2 shown]
	v_dual_fmac_f32 v45, v3, v47 :: v_dual_add_f32 v162, v162, v53
	v_fmac_f32_e32 v121, v4, v124
	v_fmac_f32_e32 v129, v3, v131
	v_mul_f32_e32 v33, v1, v33
	v_mul_f32_e32 v25, v1, v25
	v_fmac_f32_e32 v37, v2, v38
	v_fmac_f32_e32 v29, v4, v32
	;; [unrolled: 1-line block ×3, first 2 shown]
	v_mul_f32_e32 v17, v1, v17
	v_mul_f32_e32 v5, v1, v5
	s_wait_loadcnt 0x0
	v_mul_f32_e32 v1, v1, v101
	v_fmac_f32_e32 v13, v2, v14
	v_dual_fmac_f32 v9, v3, v11 :: v_dual_add_f32 v146, v146, v121
	v_dual_fmac_f32 v129, v4, v132 :: v_dual_add_f32 v154, v154, v85
	v_fmac_f32_e32 v125, v2, v126
	v_fmac_f32_e32 v97, v2, v98
	;; [unrolled: 1-line block ×16, first 2 shown]
	v_dual_fmac_f32 v37, v3, v39 :: v_dual_add_f32 v168, v168, v29
	v_fmac_f32_e32 v17, v2, v18
	v_fmac_f32_e32 v5, v2, v6
	;; [unrolled: 1-line block ×5, first 2 shown]
	v_dual_fmac_f32 v105, v3, v107 :: v_dual_add_f32 v144, v144, v129
	v_fmac_f32_e32 v97, v3, v99
	v_fmac_f32_e32 v89, v3, v91
	;; [unrolled: 1-line block ×5, first 2 shown]
	v_dual_fmac_f32 v65, v3, v67 :: v_dual_add_f32 v156, v156, v77
	v_fmac_f32_e32 v57, v3, v59
	v_fmac_f32_e32 v49, v3, v51
	v_dual_fmac_f32 v41, v3, v43 :: v_dual_add_f32 v164, v164, v45
	v_fmac_f32_e32 v33, v3, v35
	v_fmac_f32_e32 v25, v3, v27
	;; [unrolled: 1-line block ×8, first 2 shown]
	v_dual_fmac_f32 v109, v3, v111 :: v_dual_add_f32 v174, v174, v9
	v_fmac_f32_e32 v105, v4, v108
	v_fmac_f32_e32 v125, v3, v127
	;; [unrolled: 1-line block ×4, first 2 shown]
	s_delay_alu instid0(VALU_DEP_4)
	v_dual_fmac_f32 v81, v4, v84 :: v_dual_add_f32 v150, v150, v105
	v_fmac_f32_e32 v73, v4, v76
	v_fmac_f32_e32 v69, v4, v72
	;; [unrolled: 1-line block ×8, first 2 shown]
	v_dual_fmac_f32 v25, v4, v28 :: v_dual_add_f32 v166, v166, v37
	v_fmac_f32_e32 v117, v4, v120
	v_fmac_f32_e32 v17, v4, v20
	;; [unrolled: 1-line block ×4, first 2 shown]
	v_add_f32_e32 v172, v172, v13
	v_fmac_f32_e32 v109, v4, v112
	v_add_f32_e32 v147, v147, v117
	v_add_f32_e32 v151, v151, v97
	;; [unrolled: 1-line block ×17, first 2 shown]
.LBB51_37:                              ;   in Loop: Header=BB51_38 Depth=1
	s_or_b32 exec_lo, exec_lo, s23
	v_add_nc_u32_e32 v137, 4, v137
	v_add_co_u32 v133, s0, v133, 16
	s_wait_alu 0xf1ff
	v_add_co_ci_u32_e64 v134, null, 0, v134, s0
	s_delay_alu instid0(VALU_DEP_3)
	v_cmp_le_i32_e32 vcc_lo, s33, v137
	v_add_nc_u32_e32 v138, 0x80, v138
	v_add_nc_u32_e32 v176, 0x200, v176
	s_or_b32 s15, vcc_lo, s15
	s_wait_alu 0xfffe
	s_and_not1_b32 exec_lo, exec_lo, s15
	s_cbranch_execz .LBB51_103
.LBB51_38:                              ; =>This Inner Loop Header: Depth=1
	v_sub_nc_u32_e32 v1, 0, v138
	s_delay_alu instid0(VALU_DEP_1) | instskip(NEXT) | instid1(VALU_DEP_1)
	v_max_i32_e32 v1, v138, v1
	v_mul_hi_u32 v2, v1, s24
	s_delay_alu instid0(VALU_DEP_1) | instskip(NEXT) | instid1(VALU_DEP_1)
	v_mul_lo_u32 v3, v2, s16
	v_sub_nc_u32_e32 v1, v1, v3
	v_add_nc_u32_e32 v3, 1, v2
	s_delay_alu instid0(VALU_DEP_2) | instskip(SKIP_2) | instid1(VALU_DEP_2)
	v_subrev_nc_u32_e32 v4, s16, v1
	v_cmp_le_u32_e32 vcc_lo, s16, v1
	s_wait_alu 0xfffd
	v_dual_cndmask_b32 v2, v2, v3 :: v_dual_cndmask_b32 v1, v1, v4
	v_ashrrev_i32_e32 v3, 31, v138
	s_delay_alu instid0(VALU_DEP_2) | instskip(NEXT) | instid1(VALU_DEP_3)
	v_add_nc_u32_e32 v4, 1, v2
	v_cmp_le_u32_e32 vcc_lo, s16, v1
	s_delay_alu instid0(VALU_DEP_3) | instskip(SKIP_1) | instid1(VALU_DEP_3)
	v_xor_b32_e32 v3, s25, v3
	s_wait_alu 0xfffd
	v_cndmask_b32_e32 v1, v2, v4, vcc_lo
	s_delay_alu instid0(VALU_DEP_1) | instskip(NEXT) | instid1(VALU_DEP_1)
	v_xor_b32_e32 v1, v1, v3
	v_sub_nc_u32_e32 v1, v1, v3
	s_delay_alu instid0(VALU_DEP_1) | instskip(SKIP_1) | instid1(VALU_DEP_2)
	v_add_nc_u32_e32 v2, s21, v1
	v_cmp_lt_i32_e64 s0, s12, v1
	v_sub_nc_u32_e32 v3, 0, v2
	s_delay_alu instid0(VALU_DEP_1) | instskip(SKIP_1) | instid1(VALU_DEP_1)
	v_max_i32_e32 v3, v2, v3
	s_wait_alu 0xfffe
	v_mul_hi_u32 v4, v3, s17
	s_delay_alu instid0(VALU_DEP_1) | instskip(NEXT) | instid1(VALU_DEP_1)
	v_mul_lo_u32 v4, v4, s10
	v_sub_nc_u32_e32 v3, v3, v4
	s_delay_alu instid0(VALU_DEP_1) | instskip(SKIP_2) | instid1(VALU_DEP_2)
	v_subrev_nc_u32_e32 v4, s10, v3
	v_cmp_le_u32_e32 vcc_lo, s10, v3
	s_wait_alu 0xfffd
	v_cndmask_b32_e32 v3, v3, v4, vcc_lo
	v_ashrrev_i32_e32 v2, 31, v2
	s_delay_alu instid0(VALU_DEP_2) | instskip(SKIP_2) | instid1(VALU_DEP_2)
	v_subrev_nc_u32_e32 v4, s10, v3
	v_cmp_le_u32_e32 vcc_lo, s10, v3
	s_wait_alu 0xfffd
	v_cndmask_b32_e32 v3, v3, v4, vcc_lo
	s_delay_alu instid0(VALU_DEP_1) | instskip(NEXT) | instid1(VALU_DEP_1)
	v_xor_b32_e32 v3, v3, v2
	v_sub_nc_u32_e32 v2, v3, v2
	s_delay_alu instid0(VALU_DEP_1)
	v_cmp_eq_u32_e32 vcc_lo, 0, v2
	s_or_b32 s0, vcc_lo, s0
	s_wait_alu 0xfffe
	s_and_saveexec_b32 s23, s0
	s_cbranch_execz .LBB51_37
; %bb.39:                               ;   in Loop: Header=BB51_38 Depth=1
	global_load_b32 v1, v[133:134], off
	v_add_nc_u32_e32 v179, v175, v138
	s_delay_alu instid0(VALU_DEP_1) | instskip(SKIP_4) | instid1(VALU_DEP_1)
	v_add_nc_u32_e32 v182, 1, v179
	v_add_nc_u32_e32 v181, 2, v179
	;; [unrolled: 1-line block ×3, first 2 shown]
	s_wait_loadcnt 0x0
	v_mad_co_i64_i32 v[1:2], null, v1, s13, 0
	v_lshlrev_b64_e32 v[1:2], 2, v[1:2]
	s_delay_alu instid0(VALU_DEP_1) | instskip(SKIP_1) | instid1(VALU_DEP_2)
	v_add_co_u32 v103, vcc_lo, s8, v1
	s_wait_alu 0xfffd
	v_add_co_ci_u32_e64 v104, null, s9, v2, vcc_lo
	ds_load_b128 v[1:4], v176
	v_add_co_u32 v101, vcc_lo, v103, v177
	s_wait_alu 0xfffd
	v_add_co_ci_u32_e64 v102, null, 0, v104, vcc_lo
	v_cmp_eq_u32_e32 vcc_lo, s14, v137
	global_load_b128 v[5:8], v[101:102], off
	s_and_saveexec_b32 s1, vcc_lo
	s_cbranch_execnz .LBB51_73
; %bb.40:                               ;   in Loop: Header=BB51_38 Depth=1
	s_wait_alu 0xfffe
	s_or_b32 exec_lo, exec_lo, s1
	global_load_b128 v[9:12], v[101:102], off offset:512
	s_and_saveexec_b32 s1, vcc_lo
	s_cbranch_execnz .LBB51_74
.LBB51_41:                              ;   in Loop: Header=BB51_38 Depth=1
	s_wait_alu 0xfffe
	s_or_b32 exec_lo, exec_lo, s1
	global_load_b128 v[13:16], v[101:102], off offset:1024
	s_and_saveexec_b32 s1, vcc_lo
	s_cbranch_execnz .LBB51_75
.LBB51_42:                              ;   in Loop: Header=BB51_38 Depth=1
	s_wait_alu 0xfffe
	s_or_b32 exec_lo, exec_lo, s1
	global_load_b128 v[17:20], v[101:102], off offset:1536
	s_and_saveexec_b32 s1, vcc_lo
	s_cbranch_execnz .LBB51_76
.LBB51_43:                              ;   in Loop: Header=BB51_38 Depth=1
	s_wait_alu 0xfffe
	s_or_b32 exec_lo, exec_lo, s1
	global_load_b128 v[21:24], v[101:102], off offset:2048
	s_and_saveexec_b32 s1, vcc_lo
	s_cbranch_execnz .LBB51_77
.LBB51_44:                              ;   in Loop: Header=BB51_38 Depth=1
	s_wait_alu 0xfffe
	s_or_b32 exec_lo, exec_lo, s1
	global_load_b128 v[25:28], v[101:102], off offset:2560
	s_and_saveexec_b32 s1, vcc_lo
	s_cbranch_execnz .LBB51_78
.LBB51_45:                              ;   in Loop: Header=BB51_38 Depth=1
	s_wait_alu 0xfffe
	s_or_b32 exec_lo, exec_lo, s1
	global_load_b128 v[29:32], v[101:102], off offset:3072
	s_and_saveexec_b32 s1, vcc_lo
	s_cbranch_execnz .LBB51_79
.LBB51_46:                              ;   in Loop: Header=BB51_38 Depth=1
	s_wait_alu 0xfffe
	s_or_b32 exec_lo, exec_lo, s1
	global_load_b128 v[33:36], v[101:102], off offset:3584
	s_and_saveexec_b32 s1, vcc_lo
	s_cbranch_execnz .LBB51_80
.LBB51_47:                              ;   in Loop: Header=BB51_38 Depth=1
	s_wait_alu 0xfffe
	s_or_b32 exec_lo, exec_lo, s1
	global_load_b128 v[37:40], v[101:102], off offset:4096
	s_and_saveexec_b32 s1, vcc_lo
	s_cbranch_execnz .LBB51_81
.LBB51_48:                              ;   in Loop: Header=BB51_38 Depth=1
	s_wait_alu 0xfffe
	s_or_b32 exec_lo, exec_lo, s1
	global_load_b128 v[41:44], v[101:102], off offset:4608
	s_and_saveexec_b32 s1, vcc_lo
	s_cbranch_execnz .LBB51_82
.LBB51_49:                              ;   in Loop: Header=BB51_38 Depth=1
	s_wait_alu 0xfffe
	s_or_b32 exec_lo, exec_lo, s1
	global_load_b128 v[45:48], v[101:102], off offset:5120
	s_and_saveexec_b32 s1, vcc_lo
	s_cbranch_execnz .LBB51_83
.LBB51_50:                              ;   in Loop: Header=BB51_38 Depth=1
	s_wait_alu 0xfffe
	s_or_b32 exec_lo, exec_lo, s1
	global_load_b128 v[49:52], v[101:102], off offset:5632
	s_and_saveexec_b32 s1, vcc_lo
	s_cbranch_execnz .LBB51_84
.LBB51_51:                              ;   in Loop: Header=BB51_38 Depth=1
	s_wait_alu 0xfffe
	s_or_b32 exec_lo, exec_lo, s1
	global_load_b128 v[53:56], v[101:102], off offset:6144
	s_and_saveexec_b32 s1, vcc_lo
	s_cbranch_execnz .LBB51_85
.LBB51_52:                              ;   in Loop: Header=BB51_38 Depth=1
	s_wait_alu 0xfffe
	s_or_b32 exec_lo, exec_lo, s1
	global_load_b128 v[57:60], v[101:102], off offset:6656
	s_and_saveexec_b32 s1, vcc_lo
	s_cbranch_execnz .LBB51_86
.LBB51_53:                              ;   in Loop: Header=BB51_38 Depth=1
	s_wait_alu 0xfffe
	s_or_b32 exec_lo, exec_lo, s1
	global_load_b128 v[61:64], v[101:102], off offset:7168
	s_and_saveexec_b32 s1, vcc_lo
	s_cbranch_execnz .LBB51_87
.LBB51_54:                              ;   in Loop: Header=BB51_38 Depth=1
	s_wait_alu 0xfffe
	s_or_b32 exec_lo, exec_lo, s1
	global_load_b128 v[65:68], v[101:102], off offset:7680
	s_and_saveexec_b32 s1, vcc_lo
	s_cbranch_execnz .LBB51_88
.LBB51_55:                              ;   in Loop: Header=BB51_38 Depth=1
	s_wait_alu 0xfffe
	s_or_b32 exec_lo, exec_lo, s1
	global_load_b128 v[69:72], v[101:102], off offset:8192
	s_and_saveexec_b32 s1, vcc_lo
	s_cbranch_execnz .LBB51_89
.LBB51_56:                              ;   in Loop: Header=BB51_38 Depth=1
	s_wait_alu 0xfffe
	s_or_b32 exec_lo, exec_lo, s1
	global_load_b128 v[73:76], v[101:102], off offset:8704
	s_and_saveexec_b32 s1, vcc_lo
	s_cbranch_execnz .LBB51_90
.LBB51_57:                              ;   in Loop: Header=BB51_38 Depth=1
	s_wait_alu 0xfffe
	s_or_b32 exec_lo, exec_lo, s1
	global_load_b128 v[77:80], v[101:102], off offset:9216
	s_and_saveexec_b32 s1, vcc_lo
	s_cbranch_execnz .LBB51_91
.LBB51_58:                              ;   in Loop: Header=BB51_38 Depth=1
	s_wait_alu 0xfffe
	s_or_b32 exec_lo, exec_lo, s1
	global_load_b128 v[81:84], v[101:102], off offset:9728
	s_and_saveexec_b32 s1, vcc_lo
	s_cbranch_execnz .LBB51_92
.LBB51_59:                              ;   in Loop: Header=BB51_38 Depth=1
	s_wait_alu 0xfffe
	s_or_b32 exec_lo, exec_lo, s1
	global_load_b128 v[85:88], v[101:102], off offset:10240
	s_and_saveexec_b32 s1, vcc_lo
	s_cbranch_execnz .LBB51_93
.LBB51_60:                              ;   in Loop: Header=BB51_38 Depth=1
	s_wait_alu 0xfffe
	s_or_b32 exec_lo, exec_lo, s1
	global_load_b128 v[89:92], v[101:102], off offset:10752
	s_and_saveexec_b32 s1, vcc_lo
	s_cbranch_execnz .LBB51_94
.LBB51_61:                              ;   in Loop: Header=BB51_38 Depth=1
	s_wait_alu 0xfffe
	s_or_b32 exec_lo, exec_lo, s1
	global_load_b128 v[93:96], v[101:102], off offset:11264
	s_and_saveexec_b32 s1, vcc_lo
	s_cbranch_execnz .LBB51_95
.LBB51_62:                              ;   in Loop: Header=BB51_38 Depth=1
	s_wait_alu 0xfffe
	s_or_b32 exec_lo, exec_lo, s1
	global_load_b128 v[97:100], v[101:102], off offset:11776
	s_and_saveexec_b32 s1, vcc_lo
	s_cbranch_execnz .LBB51_96
.LBB51_63:                              ;   in Loop: Header=BB51_38 Depth=1
	s_wait_alu 0xfffe
	s_or_b32 exec_lo, exec_lo, s1
	global_load_b128 v[105:108], v[101:102], off offset:12288
	s_and_saveexec_b32 s1, vcc_lo
	s_cbranch_execnz .LBB51_97
.LBB51_64:                              ;   in Loop: Header=BB51_38 Depth=1
	s_wait_alu 0xfffe
	s_or_b32 exec_lo, exec_lo, s1
	global_load_b128 v[109:112], v[101:102], off offset:12800
	s_and_saveexec_b32 s1, vcc_lo
	s_cbranch_execnz .LBB51_98
.LBB51_65:                              ;   in Loop: Header=BB51_38 Depth=1
	s_wait_alu 0xfffe
	s_or_b32 exec_lo, exec_lo, s1
	global_load_b128 v[113:116], v[101:102], off offset:13312
	s_and_saveexec_b32 s1, vcc_lo
	s_cbranch_execnz .LBB51_99
.LBB51_66:                              ;   in Loop: Header=BB51_38 Depth=1
	s_wait_alu 0xfffe
	s_or_b32 exec_lo, exec_lo, s1
	global_load_b128 v[117:120], v[101:102], off offset:13824
	s_and_saveexec_b32 s26, vcc_lo
	s_cbranch_execnz .LBB51_100
.LBB51_67:                              ;   in Loop: Header=BB51_38 Depth=1
	s_or_b32 exec_lo, exec_lo, s26
	global_load_b128 v[121:124], v[101:102], off offset:14336
	s_and_saveexec_b32 s1, vcc_lo
	s_cbranch_execnz .LBB51_101
.LBB51_68:                              ;   in Loop: Header=BB51_38 Depth=1
	s_wait_alu 0xfffe
	s_or_b32 exec_lo, exec_lo, s1
	global_load_b128 v[125:128], v[101:102], off offset:14848
	s_and_saveexec_b32 s1, vcc_lo
	s_cbranch_execnz .LBB51_102
.LBB51_69:                              ;   in Loop: Header=BB51_38 Depth=1
	s_wait_alu 0xfffe
	s_or_b32 exec_lo, exec_lo, s1
	global_load_b128 v[129:132], v[101:102], off offset:15360
	s_and_saveexec_b32 s1, vcc_lo
	s_cbranch_execz .LBB51_71
.LBB51_70:                              ;   in Loop: Header=BB51_38 Depth=1
	v_cmp_gt_i32_e64 s0, s7, v179
	s_wait_loadcnt 0x0
	s_wait_alu 0xf1ff
	s_delay_alu instid0(VALU_DEP_1) | instskip(SKIP_2) | instid1(VALU_DEP_1)
	v_cndmask_b32_e64 v129, 0, v129, s0
	v_cmp_gt_i32_e64 s0, s7, v182
	s_wait_alu 0xf1ff
	v_cndmask_b32_e64 v130, 0, v130, s0
	v_cmp_gt_i32_e64 s0, s7, v181
	s_wait_alu 0xf1ff
	s_delay_alu instid0(VALU_DEP_1) | instskip(SKIP_2) | instid1(VALU_DEP_1)
	v_cndmask_b32_e64 v131, 0, v131, s0
	v_cmp_gt_i32_e64 s0, s7, v180
	s_wait_alu 0xf1ff
	v_cndmask_b32_e64 v132, 0, v132, s0
.LBB51_71:                              ;   in Loop: Header=BB51_38 Depth=1
	s_wait_alu 0xfffe
	s_or_b32 exec_lo, exec_lo, s1
	v_add_co_u32 v101, s0, v103, v178
	s_wait_alu 0xf1ff
	v_add_co_ci_u32_e64 v102, null, 0, v104, s0
	global_load_b128 v[101:104], v[101:102], off
	s_and_saveexec_b32 s0, vcc_lo
	s_cbranch_execz .LBB51_36
; %bb.72:                               ;   in Loop: Header=BB51_38 Depth=1
	v_cmp_gt_i32_e32 vcc_lo, s7, v179
	s_wait_loadcnt 0x0
	s_wait_alu 0xfffd
	v_cndmask_b32_e32 v101, 0, v101, vcc_lo
	v_cmp_gt_i32_e32 vcc_lo, s7, v182
	s_wait_alu 0xfffd
	v_cndmask_b32_e32 v102, 0, v102, vcc_lo
	v_cmp_gt_i32_e32 vcc_lo, s7, v181
	;; [unrolled: 3-line block ×3, first 2 shown]
	s_wait_alu 0xfffd
	v_cndmask_b32_e32 v104, 0, v104, vcc_lo
	s_branch .LBB51_36
.LBB51_73:                              ;   in Loop: Header=BB51_38 Depth=1
	v_cmp_gt_i32_e64 s0, s7, v179
	s_wait_loadcnt 0x0
	s_wait_alu 0xf1ff
	s_delay_alu instid0(VALU_DEP_1) | instskip(SKIP_2) | instid1(VALU_DEP_1)
	v_cndmask_b32_e64 v5, 0, v5, s0
	v_cmp_gt_i32_e64 s0, s7, v182
	s_wait_alu 0xf1ff
	v_cndmask_b32_e64 v6, 0, v6, s0
	v_cmp_gt_i32_e64 s0, s7, v181
	s_wait_alu 0xf1ff
	s_delay_alu instid0(VALU_DEP_1) | instskip(SKIP_2) | instid1(VALU_DEP_1)
	v_cndmask_b32_e64 v7, 0, v7, s0
	v_cmp_gt_i32_e64 s0, s7, v180
	s_wait_alu 0xf1ff
	v_cndmask_b32_e64 v8, 0, v8, s0
	s_wait_alu 0xfffe
	s_or_b32 exec_lo, exec_lo, s1
	global_load_b128 v[9:12], v[101:102], off offset:512
	s_and_saveexec_b32 s1, vcc_lo
	s_cbranch_execz .LBB51_41
.LBB51_74:                              ;   in Loop: Header=BB51_38 Depth=1
	v_cmp_gt_i32_e64 s0, s7, v179
	s_wait_loadcnt 0x0
	s_wait_alu 0xf1ff
	s_delay_alu instid0(VALU_DEP_1) | instskip(SKIP_2) | instid1(VALU_DEP_1)
	v_cndmask_b32_e64 v9, 0, v9, s0
	v_cmp_gt_i32_e64 s0, s7, v182
	s_wait_alu 0xf1ff
	v_cndmask_b32_e64 v10, 0, v10, s0
	v_cmp_gt_i32_e64 s0, s7, v181
	s_wait_alu 0xf1ff
	s_delay_alu instid0(VALU_DEP_1) | instskip(SKIP_2) | instid1(VALU_DEP_1)
	v_cndmask_b32_e64 v11, 0, v11, s0
	v_cmp_gt_i32_e64 s0, s7, v180
	s_wait_alu 0xf1ff
	v_cndmask_b32_e64 v12, 0, v12, s0
	s_wait_alu 0xfffe
	s_or_b32 exec_lo, exec_lo, s1
	global_load_b128 v[13:16], v[101:102], off offset:1024
	s_and_saveexec_b32 s1, vcc_lo
	s_cbranch_execz .LBB51_42
.LBB51_75:                              ;   in Loop: Header=BB51_38 Depth=1
	v_cmp_gt_i32_e64 s0, s7, v179
	s_wait_loadcnt 0x0
	s_wait_alu 0xf1ff
	s_delay_alu instid0(VALU_DEP_1) | instskip(SKIP_2) | instid1(VALU_DEP_1)
	v_cndmask_b32_e64 v13, 0, v13, s0
	v_cmp_gt_i32_e64 s0, s7, v182
	s_wait_alu 0xf1ff
	v_cndmask_b32_e64 v14, 0, v14, s0
	v_cmp_gt_i32_e64 s0, s7, v181
	s_wait_alu 0xf1ff
	s_delay_alu instid0(VALU_DEP_1) | instskip(SKIP_2) | instid1(VALU_DEP_1)
	v_cndmask_b32_e64 v15, 0, v15, s0
	v_cmp_gt_i32_e64 s0, s7, v180
	s_wait_alu 0xf1ff
	v_cndmask_b32_e64 v16, 0, v16, s0
	s_wait_alu 0xfffe
	s_or_b32 exec_lo, exec_lo, s1
	global_load_b128 v[17:20], v[101:102], off offset:1536
	s_and_saveexec_b32 s1, vcc_lo
	s_cbranch_execz .LBB51_43
.LBB51_76:                              ;   in Loop: Header=BB51_38 Depth=1
	v_cmp_gt_i32_e64 s0, s7, v179
	s_wait_loadcnt 0x0
	s_wait_alu 0xf1ff
	s_delay_alu instid0(VALU_DEP_1) | instskip(SKIP_2) | instid1(VALU_DEP_1)
	v_cndmask_b32_e64 v17, 0, v17, s0
	v_cmp_gt_i32_e64 s0, s7, v182
	s_wait_alu 0xf1ff
	v_cndmask_b32_e64 v18, 0, v18, s0
	v_cmp_gt_i32_e64 s0, s7, v181
	s_wait_alu 0xf1ff
	s_delay_alu instid0(VALU_DEP_1) | instskip(SKIP_2) | instid1(VALU_DEP_1)
	v_cndmask_b32_e64 v19, 0, v19, s0
	v_cmp_gt_i32_e64 s0, s7, v180
	s_wait_alu 0xf1ff
	v_cndmask_b32_e64 v20, 0, v20, s0
	s_wait_alu 0xfffe
	s_or_b32 exec_lo, exec_lo, s1
	global_load_b128 v[21:24], v[101:102], off offset:2048
	s_and_saveexec_b32 s1, vcc_lo
	s_cbranch_execz .LBB51_44
.LBB51_77:                              ;   in Loop: Header=BB51_38 Depth=1
	v_cmp_gt_i32_e64 s0, s7, v179
	s_wait_loadcnt 0x0
	s_wait_alu 0xf1ff
	s_delay_alu instid0(VALU_DEP_1) | instskip(SKIP_2) | instid1(VALU_DEP_1)
	v_cndmask_b32_e64 v21, 0, v21, s0
	v_cmp_gt_i32_e64 s0, s7, v182
	s_wait_alu 0xf1ff
	v_cndmask_b32_e64 v22, 0, v22, s0
	v_cmp_gt_i32_e64 s0, s7, v181
	s_wait_alu 0xf1ff
	s_delay_alu instid0(VALU_DEP_1) | instskip(SKIP_2) | instid1(VALU_DEP_1)
	v_cndmask_b32_e64 v23, 0, v23, s0
	v_cmp_gt_i32_e64 s0, s7, v180
	s_wait_alu 0xf1ff
	v_cndmask_b32_e64 v24, 0, v24, s0
	s_wait_alu 0xfffe
	s_or_b32 exec_lo, exec_lo, s1
	global_load_b128 v[25:28], v[101:102], off offset:2560
	s_and_saveexec_b32 s1, vcc_lo
	s_cbranch_execz .LBB51_45
.LBB51_78:                              ;   in Loop: Header=BB51_38 Depth=1
	v_cmp_gt_i32_e64 s0, s7, v179
	s_wait_loadcnt 0x0
	s_wait_alu 0xf1ff
	s_delay_alu instid0(VALU_DEP_1) | instskip(SKIP_2) | instid1(VALU_DEP_1)
	v_cndmask_b32_e64 v25, 0, v25, s0
	v_cmp_gt_i32_e64 s0, s7, v182
	s_wait_alu 0xf1ff
	v_cndmask_b32_e64 v26, 0, v26, s0
	v_cmp_gt_i32_e64 s0, s7, v181
	s_wait_alu 0xf1ff
	s_delay_alu instid0(VALU_DEP_1) | instskip(SKIP_2) | instid1(VALU_DEP_1)
	v_cndmask_b32_e64 v27, 0, v27, s0
	v_cmp_gt_i32_e64 s0, s7, v180
	s_wait_alu 0xf1ff
	v_cndmask_b32_e64 v28, 0, v28, s0
	s_wait_alu 0xfffe
	s_or_b32 exec_lo, exec_lo, s1
	global_load_b128 v[29:32], v[101:102], off offset:3072
	s_and_saveexec_b32 s1, vcc_lo
	s_cbranch_execz .LBB51_46
.LBB51_79:                              ;   in Loop: Header=BB51_38 Depth=1
	v_cmp_gt_i32_e64 s0, s7, v179
	s_wait_loadcnt 0x0
	s_wait_alu 0xf1ff
	s_delay_alu instid0(VALU_DEP_1) | instskip(SKIP_2) | instid1(VALU_DEP_1)
	v_cndmask_b32_e64 v29, 0, v29, s0
	v_cmp_gt_i32_e64 s0, s7, v182
	s_wait_alu 0xf1ff
	v_cndmask_b32_e64 v30, 0, v30, s0
	v_cmp_gt_i32_e64 s0, s7, v181
	s_wait_alu 0xf1ff
	s_delay_alu instid0(VALU_DEP_1) | instskip(SKIP_2) | instid1(VALU_DEP_1)
	v_cndmask_b32_e64 v31, 0, v31, s0
	v_cmp_gt_i32_e64 s0, s7, v180
	s_wait_alu 0xf1ff
	v_cndmask_b32_e64 v32, 0, v32, s0
	s_wait_alu 0xfffe
	s_or_b32 exec_lo, exec_lo, s1
	global_load_b128 v[33:36], v[101:102], off offset:3584
	s_and_saveexec_b32 s1, vcc_lo
	s_cbranch_execz .LBB51_47
.LBB51_80:                              ;   in Loop: Header=BB51_38 Depth=1
	v_cmp_gt_i32_e64 s0, s7, v179
	s_wait_loadcnt 0x0
	s_wait_alu 0xf1ff
	s_delay_alu instid0(VALU_DEP_1) | instskip(SKIP_2) | instid1(VALU_DEP_1)
	v_cndmask_b32_e64 v33, 0, v33, s0
	v_cmp_gt_i32_e64 s0, s7, v182
	s_wait_alu 0xf1ff
	v_cndmask_b32_e64 v34, 0, v34, s0
	v_cmp_gt_i32_e64 s0, s7, v181
	s_wait_alu 0xf1ff
	s_delay_alu instid0(VALU_DEP_1) | instskip(SKIP_2) | instid1(VALU_DEP_1)
	v_cndmask_b32_e64 v35, 0, v35, s0
	v_cmp_gt_i32_e64 s0, s7, v180
	s_wait_alu 0xf1ff
	v_cndmask_b32_e64 v36, 0, v36, s0
	s_wait_alu 0xfffe
	s_or_b32 exec_lo, exec_lo, s1
	global_load_b128 v[37:40], v[101:102], off offset:4096
	s_and_saveexec_b32 s1, vcc_lo
	s_cbranch_execz .LBB51_48
.LBB51_81:                              ;   in Loop: Header=BB51_38 Depth=1
	v_cmp_gt_i32_e64 s0, s7, v179
	s_wait_loadcnt 0x0
	s_wait_alu 0xf1ff
	s_delay_alu instid0(VALU_DEP_1) | instskip(SKIP_2) | instid1(VALU_DEP_1)
	v_cndmask_b32_e64 v37, 0, v37, s0
	v_cmp_gt_i32_e64 s0, s7, v182
	s_wait_alu 0xf1ff
	v_cndmask_b32_e64 v38, 0, v38, s0
	v_cmp_gt_i32_e64 s0, s7, v181
	s_wait_alu 0xf1ff
	s_delay_alu instid0(VALU_DEP_1) | instskip(SKIP_2) | instid1(VALU_DEP_1)
	v_cndmask_b32_e64 v39, 0, v39, s0
	v_cmp_gt_i32_e64 s0, s7, v180
	s_wait_alu 0xf1ff
	v_cndmask_b32_e64 v40, 0, v40, s0
	s_wait_alu 0xfffe
	s_or_b32 exec_lo, exec_lo, s1
	global_load_b128 v[41:44], v[101:102], off offset:4608
	s_and_saveexec_b32 s1, vcc_lo
	s_cbranch_execz .LBB51_49
.LBB51_82:                              ;   in Loop: Header=BB51_38 Depth=1
	v_cmp_gt_i32_e64 s0, s7, v179
	s_wait_loadcnt 0x0
	s_wait_alu 0xf1ff
	s_delay_alu instid0(VALU_DEP_1) | instskip(SKIP_2) | instid1(VALU_DEP_1)
	v_cndmask_b32_e64 v41, 0, v41, s0
	v_cmp_gt_i32_e64 s0, s7, v182
	s_wait_alu 0xf1ff
	v_cndmask_b32_e64 v42, 0, v42, s0
	v_cmp_gt_i32_e64 s0, s7, v181
	s_wait_alu 0xf1ff
	s_delay_alu instid0(VALU_DEP_1) | instskip(SKIP_2) | instid1(VALU_DEP_1)
	v_cndmask_b32_e64 v43, 0, v43, s0
	v_cmp_gt_i32_e64 s0, s7, v180
	s_wait_alu 0xf1ff
	v_cndmask_b32_e64 v44, 0, v44, s0
	s_wait_alu 0xfffe
	s_or_b32 exec_lo, exec_lo, s1
	global_load_b128 v[45:48], v[101:102], off offset:5120
	s_and_saveexec_b32 s1, vcc_lo
	s_cbranch_execz .LBB51_50
.LBB51_83:                              ;   in Loop: Header=BB51_38 Depth=1
	v_cmp_gt_i32_e64 s0, s7, v179
	s_wait_loadcnt 0x0
	s_wait_alu 0xf1ff
	s_delay_alu instid0(VALU_DEP_1) | instskip(SKIP_2) | instid1(VALU_DEP_1)
	v_cndmask_b32_e64 v45, 0, v45, s0
	v_cmp_gt_i32_e64 s0, s7, v182
	s_wait_alu 0xf1ff
	v_cndmask_b32_e64 v46, 0, v46, s0
	v_cmp_gt_i32_e64 s0, s7, v181
	s_wait_alu 0xf1ff
	s_delay_alu instid0(VALU_DEP_1) | instskip(SKIP_2) | instid1(VALU_DEP_1)
	v_cndmask_b32_e64 v47, 0, v47, s0
	v_cmp_gt_i32_e64 s0, s7, v180
	s_wait_alu 0xf1ff
	v_cndmask_b32_e64 v48, 0, v48, s0
	s_wait_alu 0xfffe
	s_or_b32 exec_lo, exec_lo, s1
	global_load_b128 v[49:52], v[101:102], off offset:5632
	s_and_saveexec_b32 s1, vcc_lo
	s_cbranch_execz .LBB51_51
.LBB51_84:                              ;   in Loop: Header=BB51_38 Depth=1
	v_cmp_gt_i32_e64 s0, s7, v179
	s_wait_loadcnt 0x0
	s_wait_alu 0xf1ff
	s_delay_alu instid0(VALU_DEP_1) | instskip(SKIP_2) | instid1(VALU_DEP_1)
	v_cndmask_b32_e64 v49, 0, v49, s0
	v_cmp_gt_i32_e64 s0, s7, v182
	s_wait_alu 0xf1ff
	v_cndmask_b32_e64 v50, 0, v50, s0
	v_cmp_gt_i32_e64 s0, s7, v181
	s_wait_alu 0xf1ff
	s_delay_alu instid0(VALU_DEP_1) | instskip(SKIP_2) | instid1(VALU_DEP_1)
	v_cndmask_b32_e64 v51, 0, v51, s0
	v_cmp_gt_i32_e64 s0, s7, v180
	s_wait_alu 0xf1ff
	v_cndmask_b32_e64 v52, 0, v52, s0
	s_wait_alu 0xfffe
	s_or_b32 exec_lo, exec_lo, s1
	global_load_b128 v[53:56], v[101:102], off offset:6144
	s_and_saveexec_b32 s1, vcc_lo
	s_cbranch_execz .LBB51_52
.LBB51_85:                              ;   in Loop: Header=BB51_38 Depth=1
	v_cmp_gt_i32_e64 s0, s7, v179
	s_wait_loadcnt 0x0
	s_wait_alu 0xf1ff
	s_delay_alu instid0(VALU_DEP_1) | instskip(SKIP_2) | instid1(VALU_DEP_1)
	v_cndmask_b32_e64 v53, 0, v53, s0
	v_cmp_gt_i32_e64 s0, s7, v182
	s_wait_alu 0xf1ff
	v_cndmask_b32_e64 v54, 0, v54, s0
	v_cmp_gt_i32_e64 s0, s7, v181
	s_wait_alu 0xf1ff
	s_delay_alu instid0(VALU_DEP_1) | instskip(SKIP_2) | instid1(VALU_DEP_1)
	v_cndmask_b32_e64 v55, 0, v55, s0
	v_cmp_gt_i32_e64 s0, s7, v180
	s_wait_alu 0xf1ff
	v_cndmask_b32_e64 v56, 0, v56, s0
	s_wait_alu 0xfffe
	s_or_b32 exec_lo, exec_lo, s1
	global_load_b128 v[57:60], v[101:102], off offset:6656
	s_and_saveexec_b32 s1, vcc_lo
	s_cbranch_execz .LBB51_53
.LBB51_86:                              ;   in Loop: Header=BB51_38 Depth=1
	v_cmp_gt_i32_e64 s0, s7, v179
	s_wait_loadcnt 0x0
	s_wait_alu 0xf1ff
	s_delay_alu instid0(VALU_DEP_1) | instskip(SKIP_2) | instid1(VALU_DEP_1)
	v_cndmask_b32_e64 v57, 0, v57, s0
	v_cmp_gt_i32_e64 s0, s7, v182
	s_wait_alu 0xf1ff
	v_cndmask_b32_e64 v58, 0, v58, s0
	v_cmp_gt_i32_e64 s0, s7, v181
	s_wait_alu 0xf1ff
	s_delay_alu instid0(VALU_DEP_1) | instskip(SKIP_2) | instid1(VALU_DEP_1)
	v_cndmask_b32_e64 v59, 0, v59, s0
	v_cmp_gt_i32_e64 s0, s7, v180
	s_wait_alu 0xf1ff
	v_cndmask_b32_e64 v60, 0, v60, s0
	s_wait_alu 0xfffe
	s_or_b32 exec_lo, exec_lo, s1
	global_load_b128 v[61:64], v[101:102], off offset:7168
	s_and_saveexec_b32 s1, vcc_lo
	s_cbranch_execz .LBB51_54
.LBB51_87:                              ;   in Loop: Header=BB51_38 Depth=1
	v_cmp_gt_i32_e64 s0, s7, v179
	s_wait_loadcnt 0x0
	s_wait_alu 0xf1ff
	s_delay_alu instid0(VALU_DEP_1) | instskip(SKIP_2) | instid1(VALU_DEP_1)
	v_cndmask_b32_e64 v61, 0, v61, s0
	v_cmp_gt_i32_e64 s0, s7, v182
	s_wait_alu 0xf1ff
	v_cndmask_b32_e64 v62, 0, v62, s0
	v_cmp_gt_i32_e64 s0, s7, v181
	s_wait_alu 0xf1ff
	s_delay_alu instid0(VALU_DEP_1) | instskip(SKIP_2) | instid1(VALU_DEP_1)
	v_cndmask_b32_e64 v63, 0, v63, s0
	v_cmp_gt_i32_e64 s0, s7, v180
	s_wait_alu 0xf1ff
	v_cndmask_b32_e64 v64, 0, v64, s0
	s_wait_alu 0xfffe
	s_or_b32 exec_lo, exec_lo, s1
	global_load_b128 v[65:68], v[101:102], off offset:7680
	s_and_saveexec_b32 s1, vcc_lo
	s_cbranch_execz .LBB51_55
.LBB51_88:                              ;   in Loop: Header=BB51_38 Depth=1
	v_cmp_gt_i32_e64 s0, s7, v179
	s_wait_loadcnt 0x0
	s_wait_alu 0xf1ff
	s_delay_alu instid0(VALU_DEP_1) | instskip(SKIP_2) | instid1(VALU_DEP_1)
	v_cndmask_b32_e64 v65, 0, v65, s0
	v_cmp_gt_i32_e64 s0, s7, v182
	s_wait_alu 0xf1ff
	v_cndmask_b32_e64 v66, 0, v66, s0
	v_cmp_gt_i32_e64 s0, s7, v181
	s_wait_alu 0xf1ff
	s_delay_alu instid0(VALU_DEP_1) | instskip(SKIP_2) | instid1(VALU_DEP_1)
	v_cndmask_b32_e64 v67, 0, v67, s0
	v_cmp_gt_i32_e64 s0, s7, v180
	s_wait_alu 0xf1ff
	v_cndmask_b32_e64 v68, 0, v68, s0
	s_wait_alu 0xfffe
	s_or_b32 exec_lo, exec_lo, s1
	global_load_b128 v[69:72], v[101:102], off offset:8192
	s_and_saveexec_b32 s1, vcc_lo
	s_cbranch_execz .LBB51_56
.LBB51_89:                              ;   in Loop: Header=BB51_38 Depth=1
	v_cmp_gt_i32_e64 s0, s7, v179
	s_wait_loadcnt 0x0
	s_wait_alu 0xf1ff
	s_delay_alu instid0(VALU_DEP_1) | instskip(SKIP_2) | instid1(VALU_DEP_1)
	v_cndmask_b32_e64 v69, 0, v69, s0
	v_cmp_gt_i32_e64 s0, s7, v182
	s_wait_alu 0xf1ff
	v_cndmask_b32_e64 v70, 0, v70, s0
	v_cmp_gt_i32_e64 s0, s7, v181
	s_wait_alu 0xf1ff
	s_delay_alu instid0(VALU_DEP_1) | instskip(SKIP_2) | instid1(VALU_DEP_1)
	v_cndmask_b32_e64 v71, 0, v71, s0
	v_cmp_gt_i32_e64 s0, s7, v180
	s_wait_alu 0xf1ff
	v_cndmask_b32_e64 v72, 0, v72, s0
	s_wait_alu 0xfffe
	s_or_b32 exec_lo, exec_lo, s1
	global_load_b128 v[73:76], v[101:102], off offset:8704
	s_and_saveexec_b32 s1, vcc_lo
	s_cbranch_execz .LBB51_57
.LBB51_90:                              ;   in Loop: Header=BB51_38 Depth=1
	v_cmp_gt_i32_e64 s0, s7, v179
	s_wait_loadcnt 0x0
	s_wait_alu 0xf1ff
	s_delay_alu instid0(VALU_DEP_1) | instskip(SKIP_2) | instid1(VALU_DEP_1)
	v_cndmask_b32_e64 v73, 0, v73, s0
	v_cmp_gt_i32_e64 s0, s7, v182
	s_wait_alu 0xf1ff
	v_cndmask_b32_e64 v74, 0, v74, s0
	v_cmp_gt_i32_e64 s0, s7, v181
	s_wait_alu 0xf1ff
	s_delay_alu instid0(VALU_DEP_1) | instskip(SKIP_2) | instid1(VALU_DEP_1)
	v_cndmask_b32_e64 v75, 0, v75, s0
	v_cmp_gt_i32_e64 s0, s7, v180
	s_wait_alu 0xf1ff
	v_cndmask_b32_e64 v76, 0, v76, s0
	s_wait_alu 0xfffe
	s_or_b32 exec_lo, exec_lo, s1
	global_load_b128 v[77:80], v[101:102], off offset:9216
	s_and_saveexec_b32 s1, vcc_lo
	s_cbranch_execz .LBB51_58
.LBB51_91:                              ;   in Loop: Header=BB51_38 Depth=1
	v_cmp_gt_i32_e64 s0, s7, v179
	s_wait_loadcnt 0x0
	s_wait_alu 0xf1ff
	s_delay_alu instid0(VALU_DEP_1) | instskip(SKIP_2) | instid1(VALU_DEP_1)
	v_cndmask_b32_e64 v77, 0, v77, s0
	v_cmp_gt_i32_e64 s0, s7, v182
	s_wait_alu 0xf1ff
	v_cndmask_b32_e64 v78, 0, v78, s0
	v_cmp_gt_i32_e64 s0, s7, v181
	s_wait_alu 0xf1ff
	s_delay_alu instid0(VALU_DEP_1) | instskip(SKIP_2) | instid1(VALU_DEP_1)
	v_cndmask_b32_e64 v79, 0, v79, s0
	v_cmp_gt_i32_e64 s0, s7, v180
	s_wait_alu 0xf1ff
	v_cndmask_b32_e64 v80, 0, v80, s0
	s_wait_alu 0xfffe
	s_or_b32 exec_lo, exec_lo, s1
	global_load_b128 v[81:84], v[101:102], off offset:9728
	s_and_saveexec_b32 s1, vcc_lo
	s_cbranch_execz .LBB51_59
.LBB51_92:                              ;   in Loop: Header=BB51_38 Depth=1
	v_cmp_gt_i32_e64 s0, s7, v179
	s_wait_loadcnt 0x0
	s_wait_alu 0xf1ff
	s_delay_alu instid0(VALU_DEP_1) | instskip(SKIP_2) | instid1(VALU_DEP_1)
	v_cndmask_b32_e64 v81, 0, v81, s0
	v_cmp_gt_i32_e64 s0, s7, v182
	s_wait_alu 0xf1ff
	v_cndmask_b32_e64 v82, 0, v82, s0
	v_cmp_gt_i32_e64 s0, s7, v181
	s_wait_alu 0xf1ff
	s_delay_alu instid0(VALU_DEP_1) | instskip(SKIP_2) | instid1(VALU_DEP_1)
	v_cndmask_b32_e64 v83, 0, v83, s0
	v_cmp_gt_i32_e64 s0, s7, v180
	s_wait_alu 0xf1ff
	v_cndmask_b32_e64 v84, 0, v84, s0
	s_wait_alu 0xfffe
	s_or_b32 exec_lo, exec_lo, s1
	global_load_b128 v[85:88], v[101:102], off offset:10240
	s_and_saveexec_b32 s1, vcc_lo
	s_cbranch_execz .LBB51_60
.LBB51_93:                              ;   in Loop: Header=BB51_38 Depth=1
	v_cmp_gt_i32_e64 s0, s7, v179
	s_wait_loadcnt 0x0
	s_wait_alu 0xf1ff
	s_delay_alu instid0(VALU_DEP_1) | instskip(SKIP_2) | instid1(VALU_DEP_1)
	v_cndmask_b32_e64 v85, 0, v85, s0
	v_cmp_gt_i32_e64 s0, s7, v182
	s_wait_alu 0xf1ff
	v_cndmask_b32_e64 v86, 0, v86, s0
	v_cmp_gt_i32_e64 s0, s7, v181
	s_wait_alu 0xf1ff
	s_delay_alu instid0(VALU_DEP_1) | instskip(SKIP_2) | instid1(VALU_DEP_1)
	v_cndmask_b32_e64 v87, 0, v87, s0
	v_cmp_gt_i32_e64 s0, s7, v180
	s_wait_alu 0xf1ff
	v_cndmask_b32_e64 v88, 0, v88, s0
	s_wait_alu 0xfffe
	s_or_b32 exec_lo, exec_lo, s1
	global_load_b128 v[89:92], v[101:102], off offset:10752
	s_and_saveexec_b32 s1, vcc_lo
	s_cbranch_execz .LBB51_61
.LBB51_94:                              ;   in Loop: Header=BB51_38 Depth=1
	v_cmp_gt_i32_e64 s0, s7, v179
	s_wait_loadcnt 0x0
	s_wait_alu 0xf1ff
	s_delay_alu instid0(VALU_DEP_1) | instskip(SKIP_2) | instid1(VALU_DEP_1)
	v_cndmask_b32_e64 v89, 0, v89, s0
	v_cmp_gt_i32_e64 s0, s7, v182
	s_wait_alu 0xf1ff
	v_cndmask_b32_e64 v90, 0, v90, s0
	v_cmp_gt_i32_e64 s0, s7, v181
	s_wait_alu 0xf1ff
	s_delay_alu instid0(VALU_DEP_1) | instskip(SKIP_2) | instid1(VALU_DEP_1)
	v_cndmask_b32_e64 v91, 0, v91, s0
	v_cmp_gt_i32_e64 s0, s7, v180
	s_wait_alu 0xf1ff
	v_cndmask_b32_e64 v92, 0, v92, s0
	s_wait_alu 0xfffe
	s_or_b32 exec_lo, exec_lo, s1
	global_load_b128 v[93:96], v[101:102], off offset:11264
	s_and_saveexec_b32 s1, vcc_lo
	s_cbranch_execz .LBB51_62
.LBB51_95:                              ;   in Loop: Header=BB51_38 Depth=1
	v_cmp_gt_i32_e64 s0, s7, v179
	s_wait_loadcnt 0x0
	s_wait_alu 0xf1ff
	s_delay_alu instid0(VALU_DEP_1) | instskip(SKIP_2) | instid1(VALU_DEP_1)
	v_cndmask_b32_e64 v93, 0, v93, s0
	v_cmp_gt_i32_e64 s0, s7, v182
	s_wait_alu 0xf1ff
	v_cndmask_b32_e64 v94, 0, v94, s0
	v_cmp_gt_i32_e64 s0, s7, v181
	s_wait_alu 0xf1ff
	s_delay_alu instid0(VALU_DEP_1) | instskip(SKIP_2) | instid1(VALU_DEP_1)
	v_cndmask_b32_e64 v95, 0, v95, s0
	v_cmp_gt_i32_e64 s0, s7, v180
	s_wait_alu 0xf1ff
	v_cndmask_b32_e64 v96, 0, v96, s0
	s_wait_alu 0xfffe
	s_or_b32 exec_lo, exec_lo, s1
	global_load_b128 v[97:100], v[101:102], off offset:11776
	s_and_saveexec_b32 s1, vcc_lo
	s_cbranch_execz .LBB51_63
.LBB51_96:                              ;   in Loop: Header=BB51_38 Depth=1
	v_cmp_gt_i32_e64 s0, s7, v179
	s_wait_loadcnt 0x0
	s_wait_alu 0xf1ff
	s_delay_alu instid0(VALU_DEP_1) | instskip(SKIP_2) | instid1(VALU_DEP_1)
	v_cndmask_b32_e64 v97, 0, v97, s0
	v_cmp_gt_i32_e64 s0, s7, v182
	s_wait_alu 0xf1ff
	v_cndmask_b32_e64 v98, 0, v98, s0
	v_cmp_gt_i32_e64 s0, s7, v181
	s_wait_alu 0xf1ff
	s_delay_alu instid0(VALU_DEP_1) | instskip(SKIP_2) | instid1(VALU_DEP_1)
	v_cndmask_b32_e64 v99, 0, v99, s0
	v_cmp_gt_i32_e64 s0, s7, v180
	s_wait_alu 0xf1ff
	v_cndmask_b32_e64 v100, 0, v100, s0
	s_wait_alu 0xfffe
	s_or_b32 exec_lo, exec_lo, s1
	global_load_b128 v[105:108], v[101:102], off offset:12288
	s_and_saveexec_b32 s1, vcc_lo
	s_cbranch_execz .LBB51_64
.LBB51_97:                              ;   in Loop: Header=BB51_38 Depth=1
	v_cmp_gt_i32_e64 s0, s7, v179
	s_wait_loadcnt 0x0
	s_wait_alu 0xf1ff
	s_delay_alu instid0(VALU_DEP_1) | instskip(SKIP_2) | instid1(VALU_DEP_1)
	v_cndmask_b32_e64 v105, 0, v105, s0
	v_cmp_gt_i32_e64 s0, s7, v182
	s_wait_alu 0xf1ff
	v_cndmask_b32_e64 v106, 0, v106, s0
	v_cmp_gt_i32_e64 s0, s7, v181
	s_wait_alu 0xf1ff
	s_delay_alu instid0(VALU_DEP_1) | instskip(SKIP_2) | instid1(VALU_DEP_1)
	v_cndmask_b32_e64 v107, 0, v107, s0
	v_cmp_gt_i32_e64 s0, s7, v180
	s_wait_alu 0xf1ff
	v_cndmask_b32_e64 v108, 0, v108, s0
	s_wait_alu 0xfffe
	s_or_b32 exec_lo, exec_lo, s1
	global_load_b128 v[109:112], v[101:102], off offset:12800
	s_and_saveexec_b32 s1, vcc_lo
	s_cbranch_execz .LBB51_65
.LBB51_98:                              ;   in Loop: Header=BB51_38 Depth=1
	v_cmp_gt_i32_e64 s0, s7, v179
	s_wait_loadcnt 0x0
	s_wait_alu 0xf1ff
	s_delay_alu instid0(VALU_DEP_1) | instskip(SKIP_2) | instid1(VALU_DEP_1)
	v_cndmask_b32_e64 v109, 0, v109, s0
	v_cmp_gt_i32_e64 s0, s7, v182
	s_wait_alu 0xf1ff
	v_cndmask_b32_e64 v110, 0, v110, s0
	v_cmp_gt_i32_e64 s0, s7, v181
	s_wait_alu 0xf1ff
	s_delay_alu instid0(VALU_DEP_1) | instskip(SKIP_2) | instid1(VALU_DEP_1)
	v_cndmask_b32_e64 v111, 0, v111, s0
	v_cmp_gt_i32_e64 s0, s7, v180
	s_wait_alu 0xf1ff
	v_cndmask_b32_e64 v112, 0, v112, s0
	s_wait_alu 0xfffe
	s_or_b32 exec_lo, exec_lo, s1
	global_load_b128 v[113:116], v[101:102], off offset:13312
	s_and_saveexec_b32 s1, vcc_lo
	s_cbranch_execz .LBB51_66
.LBB51_99:                              ;   in Loop: Header=BB51_38 Depth=1
	v_cmp_gt_i32_e64 s0, s7, v179
	s_wait_loadcnt 0x0
	s_wait_alu 0xf1ff
	s_delay_alu instid0(VALU_DEP_1) | instskip(SKIP_2) | instid1(VALU_DEP_1)
	v_cndmask_b32_e64 v113, 0, v113, s0
	v_cmp_gt_i32_e64 s0, s7, v182
	s_wait_alu 0xf1ff
	v_cndmask_b32_e64 v114, 0, v114, s0
	v_cmp_gt_i32_e64 s0, s7, v181
	s_wait_alu 0xf1ff
	s_delay_alu instid0(VALU_DEP_1) | instskip(SKIP_2) | instid1(VALU_DEP_1)
	v_cndmask_b32_e64 v115, 0, v115, s0
	v_cmp_gt_i32_e64 s0, s7, v180
	s_wait_alu 0xf1ff
	v_cndmask_b32_e64 v116, 0, v116, s0
	s_wait_alu 0xfffe
	s_or_b32 exec_lo, exec_lo, s1
	global_load_b128 v[117:120], v[101:102], off offset:13824
	s_and_saveexec_b32 s26, vcc_lo
	s_cbranch_execz .LBB51_67
.LBB51_100:                             ;   in Loop: Header=BB51_38 Depth=1
	v_cmp_gt_i32_e64 s0, s7, v179
	v_cmp_gt_i32_e64 s1, s7, v182
	;; [unrolled: 1-line block ×4, first 2 shown]
	s_wait_loadcnt 0x0
	s_wait_alu 0xf1ff
	v_cndmask_b32_e64 v117, 0, v117, s0
	v_cndmask_b32_e64 v118, 0, v118, s1
	;; [unrolled: 1-line block ×4, first 2 shown]
	s_or_b32 exec_lo, exec_lo, s26
	global_load_b128 v[121:124], v[101:102], off offset:14336
	s_and_saveexec_b32 s1, vcc_lo
	s_cbranch_execz .LBB51_68
.LBB51_101:                             ;   in Loop: Header=BB51_38 Depth=1
	v_cmp_gt_i32_e64 s0, s7, v179
	s_wait_loadcnt 0x0
	s_wait_alu 0xf1ff
	s_delay_alu instid0(VALU_DEP_1) | instskip(SKIP_2) | instid1(VALU_DEP_1)
	v_cndmask_b32_e64 v121, 0, v121, s0
	v_cmp_gt_i32_e64 s0, s7, v182
	s_wait_alu 0xf1ff
	v_cndmask_b32_e64 v122, 0, v122, s0
	v_cmp_gt_i32_e64 s0, s7, v181
	s_wait_alu 0xf1ff
	s_delay_alu instid0(VALU_DEP_1) | instskip(SKIP_2) | instid1(VALU_DEP_1)
	v_cndmask_b32_e64 v123, 0, v123, s0
	v_cmp_gt_i32_e64 s0, s7, v180
	s_wait_alu 0xf1ff
	v_cndmask_b32_e64 v124, 0, v124, s0
	s_wait_alu 0xfffe
	s_or_b32 exec_lo, exec_lo, s1
	global_load_b128 v[125:128], v[101:102], off offset:14848
	s_and_saveexec_b32 s1, vcc_lo
	s_cbranch_execz .LBB51_69
.LBB51_102:                             ;   in Loop: Header=BB51_38 Depth=1
	v_cmp_gt_i32_e64 s0, s7, v179
	s_wait_loadcnt 0x0
	s_wait_alu 0xf1ff
	s_delay_alu instid0(VALU_DEP_1) | instskip(SKIP_2) | instid1(VALU_DEP_1)
	v_cndmask_b32_e64 v125, 0, v125, s0
	v_cmp_gt_i32_e64 s0, s7, v182
	s_wait_alu 0xf1ff
	v_cndmask_b32_e64 v126, 0, v126, s0
	v_cmp_gt_i32_e64 s0, s7, v181
	s_wait_alu 0xf1ff
	s_delay_alu instid0(VALU_DEP_1) | instskip(SKIP_2) | instid1(VALU_DEP_1)
	v_cndmask_b32_e64 v127, 0, v127, s0
	v_cmp_gt_i32_e64 s0, s7, v180
	s_wait_alu 0xf1ff
	v_cndmask_b32_e64 v128, 0, v128, s0
	s_wait_alu 0xfffe
	s_or_b32 exec_lo, exec_lo, s1
	global_load_b128 v[129:132], v[101:102], off offset:15360
	s_and_saveexec_b32 s1, vcc_lo
	s_cbranch_execnz .LBB51_70
	s_branch .LBB51_71
.LBB51_103:
	s_or_b32 exec_lo, exec_lo, s15
.LBB51_104:
	s_wait_alu 0xfffe
	s_or_b32 exec_lo, exec_lo, s5
	ds_bpermute_b32 v1, v141, v173
	ds_bpermute_b32 v2, v141, v174
	;; [unrolled: 1-line block ×20, first 2 shown]
	s_wait_dscnt 0x12
	v_dual_add_f32 v1, v173, v1 :: v_dual_add_f32 v2, v174, v2
	s_wait_dscnt 0x10
	v_dual_add_f32 v3, v172, v3 :: v_dual_add_f32 v4, v171, v4
	s_wait_dscnt 0xf
	v_add_f32_e32 v11, v164, v11
	ds_bpermute_b32 v18, v140, v1
	ds_bpermute_b32 v19, v140, v2
	;; [unrolled: 1-line block ×4, first 2 shown]
	s_wait_dscnt 0xd
	v_dual_add_f32 v5, v170, v5 :: v_dual_add_f32 v6, v169, v6
	s_wait_dscnt 0xc
	v_dual_add_f32 v7, v168, v7 :: v_dual_add_f32 v8, v167, v8
	v_dual_add_f32 v9, v166, v9 :: v_dual_add_f32 v10, v165, v10
	v_add_f32_e32 v12, v163, v12
	ds_bpermute_b32 v29, v140, v11
	ds_bpermute_b32 v22, v140, v5
	ds_bpermute_b32 v24, v140, v7
	ds_bpermute_b32 v26, v140, v9
	ds_bpermute_b32 v28, v140, v10
	ds_bpermute_b32 v30, v140, v12
	ds_bpermute_b32 v23, v140, v6
	ds_bpermute_b32 v25, v140, v8
	s_wait_dscnt 0x12
	v_dual_add_f32 v13, v162, v13 :: v_dual_add_f32 v14, v161, v14
	s_wait_dscnt 0xa
	v_dual_add_f32 v1, v1, v18 :: v_dual_add_f32 v2, v2, v19
	;; [unrolled: 2-line block ×3, first 2 shown]
	v_dual_add_f32 v15, v160, v15 :: v_dual_add_f32 v16, v159, v16
	ds_bpermute_b32 v18, v139, v1
	ds_bpermute_b32 v19, v139, v2
	;; [unrolled: 1-line block ×4, first 2 shown]
	s_wait_dscnt 0xb
	v_add_f32_e32 v11, v11, v29
	s_wait_dscnt 0xa
	v_add_f32_e32 v5, v5, v22
	;; [unrolled: 2-line block ×3, first 2 shown]
	s_wait_dscnt 0x7
	v_dual_add_f32 v9, v9, v26 :: v_dual_add_f32 v10, v10, v28
	s_wait_dscnt 0x6
	v_add_f32_e32 v12, v12, v30
	ds_bpermute_b32 v29, v139, v11
	s_wait_dscnt 0x6
	v_add_f32_e32 v6, v6, v23
	s_wait_dscnt 0x5
	v_add_f32_e32 v8, v8, v25
	ds_bpermute_b32 v22, v139, v5
	ds_bpermute_b32 v24, v139, v7
	;; [unrolled: 1-line block ×6, first 2 shown]
	v_add_f32_e32 v17, v158, v17
	s_wait_dscnt 0x9
	v_dual_add_f32 v1, v1, v18 :: v_dual_add_f32 v2, v2, v19
	ds_bpermute_b32 v18, v140, v14
	ds_bpermute_b32 v19, v141, v156
	s_wait_dscnt 0x9
	v_dual_add_f32 v3, v3, v20 :: v_dual_add_f32 v4, v4, v21
	ds_bpermute_b32 v21, v140, v15
	ds_bpermute_b32 v30, v141, v155
	;; [unrolled: 1-line block ×4, first 2 shown]
	s_wait_dscnt 0xc
	v_add_f32_e32 v11, v11, v29
	ds_bpermute_b32 v29, v141, v151
	ds_bpermute_b32 v35, v141, v147
	s_wait_dscnt 0xd
	v_add_f32_e32 v5, v5, v22
	ds_bpermute_b32 v22, v140, v16
	s_wait_dscnt 0xd
	v_dual_add_f32 v7, v7, v24 :: v_dual_add_f32 v24, v157, v27
	s_wait_dscnt 0xb
	v_dual_add_f32 v9, v9, v26 :: v_dual_add_f32 v10, v10, v28
	ds_bpermute_b32 v28, v141, v153
	s_wait_dscnt 0xb
	v_add_f32_e32 v8, v8, v25
	ds_bpermute_b32 v25, v140, v24
	s_wait_dscnt 0xa
	v_add_f32_e32 v14, v14, v18
	s_wait_dscnt 0x9
	v_add_f32_e32 v18, v156, v19
	ds_bpermute_b32 v19, v141, v154
	s_wait_dscnt 0x9
	v_dual_add_f32 v6, v6, v23 :: v_dual_add_f32 v15, v15, v21
	ds_bpermute_b32 v23, v140, v17
	ds_bpermute_b32 v27, v140, v18
	s_wait_dscnt 0xa
	v_add_f32_e32 v21, v155, v30
	s_wait_dscnt 0x8
	v_dual_add_f32 v13, v13, v31 :: v_dual_add_f32 v12, v12, v20
	ds_bpermute_b32 v36, v141, v146
	ds_bpermute_b32 v39, v141, v144
	s_wait_dscnt 0x7
	v_add_f32_e32 v16, v16, v22
	ds_bpermute_b32 v22, v141, v152
	ds_bpermute_b32 v40, v141, v143
	v_dual_add_f32 v29, v151, v29 :: v_dual_add_f32 v34, v148, v34
	ds_bpermute_b32 v26, v139, v14
	ds_bpermute_b32 v20, v139, v13
	s_wait_dscnt 0x9
	v_add_f32_e32 v24, v24, v25
	ds_bpermute_b32 v31, v140, v21
	ds_bpermute_b32 v25, v141, v149
	s_wait_dscnt 0xa
	v_add_f32_e32 v19, v154, v19
	ds_bpermute_b32 v43, v140, v29
	ds_bpermute_b32 v46, v140, v34
	v_add_f32_e32 v35, v147, v35
	s_wait_dscnt 0xa
	v_dual_add_f32 v27, v18, v27 :: v_dual_add_f32 v18, v153, v28
	ds_bpermute_b32 v28, v141, v145
	ds_bpermute_b32 v38, v140, v19
	v_add_f32_e32 v33, v150, v33
	s_wait_dscnt 0xb
	v_add_f32_e32 v36, v146, v36
	ds_bpermute_b32 v41, v140, v18
	s_wait_dscnt 0xa
	v_add_f32_e32 v22, v152, v22
	s_wait_dscnt 0x9
	v_dual_add_f32 v39, v144, v39 :: v_dual_add_f32 v40, v143, v40
	ds_bpermute_b32 v48, v140, v36
	v_add_f32_e32 v17, v17, v23
	ds_bpermute_b32 v30, v139, v16
	ds_bpermute_b32 v37, v139, v24
	s_wait_dscnt 0x9
	v_add_f32_e32 v21, v21, v31
	s_wait_dscnt 0x8
	v_add_f32_e32 v25, v149, v25
	ds_bpermute_b32 v31, v140, v22
	ds_bpermute_b32 v49, v140, v40
	s_wait_dscnt 0x9
	v_dual_add_f32 v29, v29, v43 :: v_dual_add_f32 v14, v14, v26
	ds_bpermute_b32 v45, v140, v25
	s_wait_dscnt 0x9
	v_add_f32_e32 v34, v34, v46
	s_wait_dscnt 0x8
	v_add_f32_e32 v28, v145, v28
	ds_bpermute_b32 v44, v140, v33
	ds_bpermute_b32 v47, v140, v35
	s_wait_dscnt 0x8
	v_dual_add_f32 v38, v19, v38 :: v_dual_add_f32 v41, v18, v41
	ds_bpermute_b32 v19, v140, v28
	ds_bpermute_b32 v18, v140, v39
	;; [unrolled: 1-line block ×3, first 2 shown]
	s_wait_dscnt 0xa
	v_add_f32_e32 v36, v36, v48
	ds_bpermute_b32 v32, v139, v17
	ds_bpermute_b32 v42, v139, v27
	;; [unrolled: 1-line block ×5, first 2 shown]
	s_wait_dscnt 0xb
	v_dual_add_f32 v31, v22, v31 :: v_dual_add_f32 v40, v40, v49
	ds_bpermute_b32 v22, v139, v21
	s_wait_dscnt 0xb
	v_dual_add_f32 v16, v16, v30 :: v_dual_add_f32 v45, v25, v45
	ds_bpermute_b32 v51, v139, v31
	ds_bpermute_b32 v55, v139, v40
	s_wait_dscnt 0xc
	v_add_f32_e32 v33, v33, v44
	ds_bpermute_b32 v44, v139, v29
	s_wait_dscnt 0xc
	v_add_f32_e32 v35, v35, v47
	;; [unrolled: 3-line block ×4, first 2 shown]
	ds_bpermute_b32 v47, v139, v34
	v_add_f32_e32 v18, v24, v37
	ds_bpermute_b32 v48, v139, v35
	ds_bpermute_b32 v49, v139, v52
	v_add_f32_e32 v13, v13, v20
	s_wait_dscnt 0xe
	v_add_f32_e32 v15, v15, v23
	s_wait_dscnt 0xd
	;; [unrolled: 2-line block ×4, first 2 shown]
	v_dual_add_f32 v20, v21, v22 :: v_dual_add_f32 v21, v38, v43
	s_wait_dscnt 0x7
	v_dual_add_f32 v22, v41, v50 :: v_dual_add_f32 v23, v31, v51
	s_wait_dscnt 0x6
	v_add_f32_e32 v32, v40, v55
	s_mov_b32 s0, exec_lo
	s_wait_dscnt 0x5
	v_add_f32_e32 v24, v29, v44
	ds_bpermute_b32 v54, v139, v39
	s_wait_dscnt 0x5
	v_dual_add_f32 v26, v45, v46 :: v_dual_add_f32 v29, v36, v53
	s_wait_dscnt 0x4
	v_add_f32_e32 v25, v33, v25
	v_lshrrev_b32_e32 v33, 3, v136
	s_wait_dscnt 0x3
	v_dual_add_f32 v27, v34, v47 :: v_dual_and_b32 v36, 0x3c7, v0
	s_wait_dscnt 0x2
	v_add_f32_e32 v28, v35, v48
	s_wait_dscnt 0x1
	v_add_f32_e32 v30, v52, v49
	v_lshl_add_u32 v34, v33, 2, 0x220
	v_lshlrev_b32_e32 v35, 9, v135
	s_wait_storecnt 0x0
	s_wait_loadcnt_dscnt 0x0
	s_barrier_signal -1
	s_barrier_wait -1
	global_inv scope:SCOPE_SE
	v_add_f32_e32 v31, v39, v54
	v_cmpx_eq_u32_e32 64, v36
	s_cbranch_execz .LBB51_106
; %bb.105:
	v_add_nc_u32_e32 v36, v34, v35
	s_delay_alu instid0(VALU_DEP_1)
	v_add_nc_u32_e32 v37, 0xfffffc00, v36
	v_add_nc_u32_e32 v38, 0xfffffc10, v36
	v_add_nc_u32_e32 v39, 0xfffffc20, v36
	v_add_nc_u32_e32 v40, 0xfffffc30, v36
	v_add_nc_u32_e32 v41, 0xfffffc40, v36
	v_add_nc_u32_e32 v42, 0xfffffc50, v36
	v_add_nc_u32_e32 v43, 0xfffffc60, v36
	v_add_nc_u32_e32 v44, 0xfffffc70, v36
	ds_store_b32 v37, v1
	ds_store_b32 v38, v2
	ds_store_b32 v39, v3
	ds_store_b32 v40, v4
	ds_store_b32 v41, v5
	ds_store_b32 v42, v6
	ds_store_b32 v43, v7
	ds_store_b32 v44, v8
	v_add_nc_u32_e32 v37, 0xfffffc80, v36
	v_add_nc_u32_e32 v38, 0xfffffc90, v36
	v_add_nc_u32_e32 v39, 0xfffffca0, v36
	v_add_nc_u32_e32 v40, 0xfffffcb0, v36
	v_add_nc_u32_e32 v41, 0xfffffcc0, v36
	v_add_nc_u32_e32 v42, 0xfffffcd0, v36
	v_add_nc_u32_e32 v43, 0xfffffce0, v36
	v_add_nc_u32_e32 v44, 0xfffffcf0, v36
	ds_store_b32 v37, v9
	ds_store_b32 v38, v10
	ds_store_b32 v39, v11
	ds_store_b32 v40, v12
	ds_store_b32 v41, v13
	ds_store_b32 v42, v14
	ds_store_b32 v43, v15
	ds_store_b32 v44, v16
	;; [unrolled: 16-line block ×4, first 2 shown]
.LBB51_106:
	s_wait_alu 0xfffe
	s_or_b32 exec_lo, exec_lo, s0
	v_lshlrev_b32_e32 v33, 2, v33
	s_mov_b32 s1, exec_lo
	v_cmp_eq_u32_e32 vcc_lo, 0, v142
	s_wait_loadcnt_dscnt 0x0
	s_barrier_signal -1
	v_add3_u32 v33, 0x220, v35, v33
	s_barrier_wait -1
	global_inv scope:SCOPE_SE
	v_cmpx_gt_u32_e32 64, v0
	s_cbranch_execz .LBB51_141
; %bb.107:
	s_and_saveexec_b32 s0, vcc_lo
	s_cbranch_execnz .LBB51_181
; %bb.108:
	s_wait_alu 0xfffe
	s_or_b32 exec_lo, exec_lo, s0
	s_and_saveexec_b32 s0, vcc_lo
	s_cbranch_execnz .LBB51_182
.LBB51_109:
	s_wait_alu 0xfffe
	s_or_b32 exec_lo, exec_lo, s0
	s_and_saveexec_b32 s0, vcc_lo
	s_cbranch_execnz .LBB51_183
.LBB51_110:
	s_wait_alu 0xfffe
	s_or_b32 exec_lo, exec_lo, s0
	s_and_saveexec_b32 s0, vcc_lo
	s_cbranch_execnz .LBB51_184
.LBB51_111:
	s_wait_alu 0xfffe
	s_or_b32 exec_lo, exec_lo, s0
	s_and_saveexec_b32 s0, vcc_lo
	s_cbranch_execnz .LBB51_185
.LBB51_112:
	s_wait_alu 0xfffe
	s_or_b32 exec_lo, exec_lo, s0
	s_and_saveexec_b32 s0, vcc_lo
	s_cbranch_execnz .LBB51_186
.LBB51_113:
	s_wait_alu 0xfffe
	s_or_b32 exec_lo, exec_lo, s0
	s_and_saveexec_b32 s0, vcc_lo
	s_cbranch_execnz .LBB51_187
.LBB51_114:
	s_wait_alu 0xfffe
	s_or_b32 exec_lo, exec_lo, s0
	s_and_saveexec_b32 s0, vcc_lo
	s_cbranch_execnz .LBB51_188
.LBB51_115:
	s_wait_alu 0xfffe
	s_or_b32 exec_lo, exec_lo, s0
	s_and_saveexec_b32 s0, vcc_lo
	s_cbranch_execnz .LBB51_189
.LBB51_116:
	s_wait_alu 0xfffe
	s_or_b32 exec_lo, exec_lo, s0
	s_and_saveexec_b32 s0, vcc_lo
	s_cbranch_execnz .LBB51_190
.LBB51_117:
	s_wait_alu 0xfffe
	s_or_b32 exec_lo, exec_lo, s0
	s_and_saveexec_b32 s0, vcc_lo
	s_cbranch_execnz .LBB51_191
.LBB51_118:
	s_wait_alu 0xfffe
	s_or_b32 exec_lo, exec_lo, s0
	s_and_saveexec_b32 s0, vcc_lo
	s_cbranch_execnz .LBB51_192
.LBB51_119:
	s_wait_alu 0xfffe
	s_or_b32 exec_lo, exec_lo, s0
	s_and_saveexec_b32 s0, vcc_lo
	s_cbranch_execnz .LBB51_193
.LBB51_120:
	s_wait_alu 0xfffe
	s_or_b32 exec_lo, exec_lo, s0
	s_and_saveexec_b32 s0, vcc_lo
	s_cbranch_execnz .LBB51_194
.LBB51_121:
	s_wait_alu 0xfffe
	s_or_b32 exec_lo, exec_lo, s0
	s_and_saveexec_b32 s0, vcc_lo
	s_cbranch_execnz .LBB51_195
.LBB51_122:
	s_wait_alu 0xfffe
	s_or_b32 exec_lo, exec_lo, s0
	s_and_saveexec_b32 s0, vcc_lo
	s_cbranch_execnz .LBB51_196
.LBB51_123:
	s_wait_alu 0xfffe
	s_or_b32 exec_lo, exec_lo, s0
	s_and_saveexec_b32 s0, vcc_lo
	s_cbranch_execnz .LBB51_197
.LBB51_124:
	s_wait_alu 0xfffe
	s_or_b32 exec_lo, exec_lo, s0
	s_and_saveexec_b32 s0, vcc_lo
	s_cbranch_execnz .LBB51_198
.LBB51_125:
	s_wait_alu 0xfffe
	s_or_b32 exec_lo, exec_lo, s0
	s_and_saveexec_b32 s0, vcc_lo
	s_cbranch_execnz .LBB51_199
.LBB51_126:
	s_wait_alu 0xfffe
	s_or_b32 exec_lo, exec_lo, s0
	s_and_saveexec_b32 s0, vcc_lo
	s_cbranch_execnz .LBB51_200
.LBB51_127:
	s_wait_alu 0xfffe
	s_or_b32 exec_lo, exec_lo, s0
	s_and_saveexec_b32 s0, vcc_lo
	s_cbranch_execnz .LBB51_201
.LBB51_128:
	s_wait_alu 0xfffe
	s_or_b32 exec_lo, exec_lo, s0
	s_and_saveexec_b32 s0, vcc_lo
	s_cbranch_execnz .LBB51_202
.LBB51_129:
	s_wait_alu 0xfffe
	s_or_b32 exec_lo, exec_lo, s0
	s_and_saveexec_b32 s0, vcc_lo
	s_cbranch_execnz .LBB51_203
.LBB51_130:
	s_wait_alu 0xfffe
	s_or_b32 exec_lo, exec_lo, s0
	s_and_saveexec_b32 s0, vcc_lo
	s_cbranch_execnz .LBB51_204
.LBB51_131:
	s_wait_alu 0xfffe
	s_or_b32 exec_lo, exec_lo, s0
	s_and_saveexec_b32 s0, vcc_lo
	s_cbranch_execnz .LBB51_205
.LBB51_132:
	s_wait_alu 0xfffe
	s_or_b32 exec_lo, exec_lo, s0
	s_and_saveexec_b32 s0, vcc_lo
	s_cbranch_execnz .LBB51_206
.LBB51_133:
	s_wait_alu 0xfffe
	s_or_b32 exec_lo, exec_lo, s0
	s_and_saveexec_b32 s0, vcc_lo
	s_cbranch_execnz .LBB51_207
.LBB51_134:
	s_wait_alu 0xfffe
	s_or_b32 exec_lo, exec_lo, s0
	s_and_saveexec_b32 s0, vcc_lo
	s_cbranch_execnz .LBB51_208
.LBB51_135:
	s_wait_alu 0xfffe
	s_or_b32 exec_lo, exec_lo, s0
	s_and_saveexec_b32 s0, vcc_lo
	s_cbranch_execnz .LBB51_209
.LBB51_136:
	s_wait_alu 0xfffe
	s_or_b32 exec_lo, exec_lo, s0
	s_and_saveexec_b32 s0, vcc_lo
	s_cbranch_execnz .LBB51_210
.LBB51_137:
	s_wait_alu 0xfffe
	s_or_b32 exec_lo, exec_lo, s0
	s_and_saveexec_b32 s0, vcc_lo
	s_cbranch_execnz .LBB51_211
.LBB51_138:
	s_wait_alu 0xfffe
	s_or_b32 exec_lo, exec_lo, s0
	s_and_saveexec_b32 s0, vcc_lo
	s_cbranch_execz .LBB51_140
.LBB51_139:
	ds_load_b32 v35, v33 offset:496
	s_wait_dscnt 0x0
	v_add_f32_e32 v32, v32, v35
.LBB51_140:
	s_wait_alu 0xfffe
	s_or_b32 exec_lo, exec_lo, s0
.LBB51_141:
	s_wait_alu 0xfffe
	s_or_b32 exec_lo, exec_lo, s1
	v_and_b32_e32 v35, 0x3e7, v0
	s_mov_b32 s1, exec_lo
	s_wait_loadcnt 0x0
	s_barrier_signal -1
	s_barrier_wait -1
	global_inv scope:SCOPE_SE
	v_cmpx_eq_u32_e32 32, v35
	s_cbranch_execz .LBB51_143
; %bb.142:
	ds_store_2addr_b32 v34, v1, v2 offset1:4
	ds_store_2addr_b32 v34, v3, v4 offset0:8 offset1:12
	ds_store_2addr_b32 v34, v5, v6 offset0:16 offset1:20
	;; [unrolled: 1-line block ×15, first 2 shown]
.LBB51_143:
	s_wait_alu 0xfffe
	s_or_b32 exec_lo, exec_lo, s1
	s_wait_loadcnt_dscnt 0x0
	s_barrier_signal -1
	s_barrier_wait -1
	global_inv scope:SCOPE_SE
	s_and_saveexec_b32 s0, s2
	s_cbranch_execz .LBB51_178
; %bb.144:
	s_and_saveexec_b32 s1, vcc_lo
	s_cbranch_execnz .LBB51_212
; %bb.145:
	s_wait_alu 0xfffe
	s_or_b32 exec_lo, exec_lo, s1
	s_and_saveexec_b32 s1, vcc_lo
	s_cbranch_execnz .LBB51_213
.LBB51_146:
	s_wait_alu 0xfffe
	s_or_b32 exec_lo, exec_lo, s1
	s_and_saveexec_b32 s1, vcc_lo
	s_cbranch_execnz .LBB51_214
.LBB51_147:
	s_wait_alu 0xfffe
	s_or_b32 exec_lo, exec_lo, s1
	s_and_saveexec_b32 s1, vcc_lo
	s_cbranch_execnz .LBB51_215
.LBB51_148:
	s_wait_alu 0xfffe
	s_or_b32 exec_lo, exec_lo, s1
	s_and_saveexec_b32 s1, vcc_lo
	s_cbranch_execnz .LBB51_216
.LBB51_149:
	s_wait_alu 0xfffe
	s_or_b32 exec_lo, exec_lo, s1
	s_and_saveexec_b32 s1, vcc_lo
	s_cbranch_execnz .LBB51_217
.LBB51_150:
	s_wait_alu 0xfffe
	s_or_b32 exec_lo, exec_lo, s1
	s_and_saveexec_b32 s1, vcc_lo
	s_cbranch_execnz .LBB51_218
.LBB51_151:
	s_wait_alu 0xfffe
	s_or_b32 exec_lo, exec_lo, s1
	s_and_saveexec_b32 s1, vcc_lo
	s_cbranch_execnz .LBB51_219
.LBB51_152:
	s_wait_alu 0xfffe
	s_or_b32 exec_lo, exec_lo, s1
	s_and_saveexec_b32 s1, vcc_lo
	s_cbranch_execnz .LBB51_220
.LBB51_153:
	s_wait_alu 0xfffe
	s_or_b32 exec_lo, exec_lo, s1
	s_and_saveexec_b32 s1, vcc_lo
	s_cbranch_execnz .LBB51_221
.LBB51_154:
	s_wait_alu 0xfffe
	s_or_b32 exec_lo, exec_lo, s1
	s_and_saveexec_b32 s1, vcc_lo
	s_cbranch_execnz .LBB51_222
.LBB51_155:
	s_wait_alu 0xfffe
	s_or_b32 exec_lo, exec_lo, s1
	s_and_saveexec_b32 s1, vcc_lo
	s_cbranch_execnz .LBB51_223
.LBB51_156:
	s_wait_alu 0xfffe
	s_or_b32 exec_lo, exec_lo, s1
	s_and_saveexec_b32 s1, vcc_lo
	s_cbranch_execnz .LBB51_224
.LBB51_157:
	s_wait_alu 0xfffe
	s_or_b32 exec_lo, exec_lo, s1
	s_and_saveexec_b32 s1, vcc_lo
	s_cbranch_execnz .LBB51_225
.LBB51_158:
	s_wait_alu 0xfffe
	s_or_b32 exec_lo, exec_lo, s1
	s_and_saveexec_b32 s1, vcc_lo
	s_cbranch_execnz .LBB51_226
.LBB51_159:
	s_wait_alu 0xfffe
	s_or_b32 exec_lo, exec_lo, s1
	s_and_saveexec_b32 s1, vcc_lo
	s_cbranch_execnz .LBB51_227
.LBB51_160:
	s_wait_alu 0xfffe
	s_or_b32 exec_lo, exec_lo, s1
	s_and_saveexec_b32 s1, vcc_lo
	s_cbranch_execnz .LBB51_228
.LBB51_161:
	s_wait_alu 0xfffe
	s_or_b32 exec_lo, exec_lo, s1
	s_and_saveexec_b32 s1, vcc_lo
	s_cbranch_execnz .LBB51_229
.LBB51_162:
	s_wait_alu 0xfffe
	s_or_b32 exec_lo, exec_lo, s1
	s_and_saveexec_b32 s1, vcc_lo
	s_cbranch_execnz .LBB51_230
.LBB51_163:
	s_wait_alu 0xfffe
	s_or_b32 exec_lo, exec_lo, s1
	s_and_saveexec_b32 s1, vcc_lo
	s_cbranch_execnz .LBB51_231
.LBB51_164:
	s_wait_alu 0xfffe
	s_or_b32 exec_lo, exec_lo, s1
	s_and_saveexec_b32 s1, vcc_lo
	s_cbranch_execnz .LBB51_232
.LBB51_165:
	s_wait_alu 0xfffe
	s_or_b32 exec_lo, exec_lo, s1
	s_and_saveexec_b32 s1, vcc_lo
	s_cbranch_execnz .LBB51_233
.LBB51_166:
	s_wait_alu 0xfffe
	s_or_b32 exec_lo, exec_lo, s1
	s_and_saveexec_b32 s1, vcc_lo
	s_cbranch_execnz .LBB51_234
.LBB51_167:
	s_wait_alu 0xfffe
	s_or_b32 exec_lo, exec_lo, s1
	s_and_saveexec_b32 s1, vcc_lo
	s_cbranch_execnz .LBB51_235
.LBB51_168:
	s_wait_alu 0xfffe
	s_or_b32 exec_lo, exec_lo, s1
	s_and_saveexec_b32 s1, vcc_lo
	s_cbranch_execnz .LBB51_236
.LBB51_169:
	s_wait_alu 0xfffe
	s_or_b32 exec_lo, exec_lo, s1
	s_and_saveexec_b32 s1, vcc_lo
	s_cbranch_execnz .LBB51_237
.LBB51_170:
	s_wait_alu 0xfffe
	s_or_b32 exec_lo, exec_lo, s1
	s_and_saveexec_b32 s1, vcc_lo
	s_cbranch_execnz .LBB51_238
.LBB51_171:
	s_wait_alu 0xfffe
	s_or_b32 exec_lo, exec_lo, s1
	s_and_saveexec_b32 s1, vcc_lo
	s_cbranch_execnz .LBB51_239
.LBB51_172:
	s_wait_alu 0xfffe
	s_or_b32 exec_lo, exec_lo, s1
	s_and_saveexec_b32 s1, vcc_lo
	s_cbranch_execnz .LBB51_240
.LBB51_173:
	s_wait_alu 0xfffe
	s_or_b32 exec_lo, exec_lo, s1
	s_and_saveexec_b32 s1, vcc_lo
	s_cbranch_execnz .LBB51_241
.LBB51_174:
	s_wait_alu 0xfffe
	s_or_b32 exec_lo, exec_lo, s1
	s_and_saveexec_b32 s1, vcc_lo
	s_cbranch_execnz .LBB51_242
.LBB51_175:
	s_wait_alu 0xfffe
	s_or_b32 exec_lo, exec_lo, s1
	s_and_saveexec_b32 s1, vcc_lo
	s_cbranch_execz .LBB51_177
.LBB51_176:
	ds_load_b32 v33, v33 offset:496
	s_wait_dscnt 0x0
	v_add_f32_e32 v32, v32, v33
.LBB51_177:
	s_wait_alu 0xfffe
	s_or_b32 exec_lo, exec_lo, s1
.LBB51_178:
	s_wait_alu 0xfffe
	s_or_b32 exec_lo, exec_lo, s0
	s_mov_b32 s7, 0
	s_wait_loadcnt 0x0
	s_barrier_signal -1
	s_barrier_wait -1
	global_inv scope:SCOPE_SE
	s_mov_b32 s0, exec_lo
	v_cmpx_eq_u32_e32 0, v35
	s_cbranch_execz .LBB51_180
; %bb.179:
	s_lshl_b32 s0, s22, 7
	s_mul_i32 s2, s11, s20
	s_wait_alu 0xfffe
	s_ashr_i32 s1, s0, 31
	s_ashr_i32 s3, s2, 31
	s_wait_alu 0xfffe
	s_lshl_b64 s[0:1], s[0:1], 2
	s_lshl_b64 s[2:3], s[2:3], 2
	s_wait_kmcnt 0x0
	s_wait_alu 0xfffe
	s_add_nc_u64 s[0:1], s[18:19], s[0:1]
	v_lshrrev_b32_e32 v0, 1, v0
	s_wait_alu 0xfffe
	s_add_nc_u64 s[0:1], s[0:1], s[2:3]
	s_wait_alu 0xfffe
	s_add_nc_u64 s[0:1], s[0:1], s[6:7]
	s_clause 0x1f
	global_store_b32 v0, v1, s[0:1]
	global_store_b32 v0, v2, s[0:1] offset:16
	global_store_b32 v0, v3, s[0:1] offset:32
	;; [unrolled: 1-line block ×31, first 2 shown]
.LBB51_180:
	s_nop 0
	s_sendmsg sendmsg(MSG_DEALLOC_VGPRS)
	s_endpgm
.LBB51_181:
	ds_load_b32 v35, v33
	s_wait_dscnt 0x0
	v_add_f32_e32 v1, v1, v35
	s_wait_alu 0xfffe
	s_or_b32 exec_lo, exec_lo, s0
	s_and_saveexec_b32 s0, vcc_lo
	s_cbranch_execz .LBB51_109
.LBB51_182:
	ds_load_b32 v35, v33 offset:16
	s_wait_dscnt 0x0
	v_add_f32_e32 v2, v2, v35
	s_wait_alu 0xfffe
	s_or_b32 exec_lo, exec_lo, s0
	s_and_saveexec_b32 s0, vcc_lo
	s_cbranch_execz .LBB51_110
.LBB51_183:
	ds_load_b32 v35, v33 offset:32
	s_wait_dscnt 0x0
	v_add_f32_e32 v3, v3, v35
	s_wait_alu 0xfffe
	s_or_b32 exec_lo, exec_lo, s0
	s_and_saveexec_b32 s0, vcc_lo
	s_cbranch_execz .LBB51_111
.LBB51_184:
	ds_load_b32 v35, v33 offset:48
	s_wait_dscnt 0x0
	v_add_f32_e32 v4, v4, v35
	s_wait_alu 0xfffe
	s_or_b32 exec_lo, exec_lo, s0
	s_and_saveexec_b32 s0, vcc_lo
	s_cbranch_execz .LBB51_112
.LBB51_185:
	ds_load_b32 v35, v33 offset:64
	s_wait_dscnt 0x0
	v_add_f32_e32 v5, v5, v35
	s_wait_alu 0xfffe
	s_or_b32 exec_lo, exec_lo, s0
	s_and_saveexec_b32 s0, vcc_lo
	s_cbranch_execz .LBB51_113
.LBB51_186:
	ds_load_b32 v35, v33 offset:80
	s_wait_dscnt 0x0
	v_add_f32_e32 v6, v6, v35
	s_wait_alu 0xfffe
	s_or_b32 exec_lo, exec_lo, s0
	s_and_saveexec_b32 s0, vcc_lo
	s_cbranch_execz .LBB51_114
.LBB51_187:
	ds_load_b32 v35, v33 offset:96
	s_wait_dscnt 0x0
	v_add_f32_e32 v7, v7, v35
	s_wait_alu 0xfffe
	s_or_b32 exec_lo, exec_lo, s0
	s_and_saveexec_b32 s0, vcc_lo
	s_cbranch_execz .LBB51_115
.LBB51_188:
	ds_load_b32 v35, v33 offset:112
	s_wait_dscnt 0x0
	v_add_f32_e32 v8, v8, v35
	s_wait_alu 0xfffe
	s_or_b32 exec_lo, exec_lo, s0
	s_and_saveexec_b32 s0, vcc_lo
	s_cbranch_execz .LBB51_116
.LBB51_189:
	ds_load_b32 v35, v33 offset:128
	s_wait_dscnt 0x0
	v_add_f32_e32 v9, v9, v35
	s_wait_alu 0xfffe
	s_or_b32 exec_lo, exec_lo, s0
	s_and_saveexec_b32 s0, vcc_lo
	s_cbranch_execz .LBB51_117
.LBB51_190:
	ds_load_b32 v35, v33 offset:144
	s_wait_dscnt 0x0
	v_add_f32_e32 v10, v10, v35
	s_wait_alu 0xfffe
	s_or_b32 exec_lo, exec_lo, s0
	s_and_saveexec_b32 s0, vcc_lo
	s_cbranch_execz .LBB51_118
.LBB51_191:
	ds_load_b32 v35, v33 offset:160
	s_wait_dscnt 0x0
	v_add_f32_e32 v11, v11, v35
	s_wait_alu 0xfffe
	s_or_b32 exec_lo, exec_lo, s0
	s_and_saveexec_b32 s0, vcc_lo
	s_cbranch_execz .LBB51_119
.LBB51_192:
	ds_load_b32 v35, v33 offset:176
	s_wait_dscnt 0x0
	v_add_f32_e32 v12, v12, v35
	s_wait_alu 0xfffe
	s_or_b32 exec_lo, exec_lo, s0
	s_and_saveexec_b32 s0, vcc_lo
	s_cbranch_execz .LBB51_120
.LBB51_193:
	ds_load_b32 v35, v33 offset:192
	s_wait_dscnt 0x0
	v_add_f32_e32 v13, v13, v35
	s_wait_alu 0xfffe
	s_or_b32 exec_lo, exec_lo, s0
	s_and_saveexec_b32 s0, vcc_lo
	s_cbranch_execz .LBB51_121
.LBB51_194:
	ds_load_b32 v35, v33 offset:208
	s_wait_dscnt 0x0
	v_add_f32_e32 v14, v14, v35
	s_wait_alu 0xfffe
	s_or_b32 exec_lo, exec_lo, s0
	s_and_saveexec_b32 s0, vcc_lo
	s_cbranch_execz .LBB51_122
.LBB51_195:
	ds_load_b32 v35, v33 offset:224
	s_wait_dscnt 0x0
	v_add_f32_e32 v15, v15, v35
	s_wait_alu 0xfffe
	s_or_b32 exec_lo, exec_lo, s0
	s_and_saveexec_b32 s0, vcc_lo
	s_cbranch_execz .LBB51_123
.LBB51_196:
	ds_load_b32 v35, v33 offset:240
	s_wait_dscnt 0x0
	v_add_f32_e32 v16, v16, v35
	s_wait_alu 0xfffe
	s_or_b32 exec_lo, exec_lo, s0
	s_and_saveexec_b32 s0, vcc_lo
	s_cbranch_execz .LBB51_124
.LBB51_197:
	ds_load_b32 v35, v33 offset:256
	s_wait_dscnt 0x0
	v_add_f32_e32 v17, v17, v35
	s_wait_alu 0xfffe
	s_or_b32 exec_lo, exec_lo, s0
	s_and_saveexec_b32 s0, vcc_lo
	s_cbranch_execz .LBB51_125
.LBB51_198:
	ds_load_b32 v35, v33 offset:272
	s_wait_dscnt 0x0
	v_add_f32_e32 v18, v18, v35
	s_wait_alu 0xfffe
	s_or_b32 exec_lo, exec_lo, s0
	s_and_saveexec_b32 s0, vcc_lo
	s_cbranch_execz .LBB51_126
.LBB51_199:
	ds_load_b32 v35, v33 offset:288
	s_wait_dscnt 0x0
	v_add_f32_e32 v19, v19, v35
	s_wait_alu 0xfffe
	s_or_b32 exec_lo, exec_lo, s0
	s_and_saveexec_b32 s0, vcc_lo
	s_cbranch_execz .LBB51_127
.LBB51_200:
	ds_load_b32 v35, v33 offset:304
	s_wait_dscnt 0x0
	v_add_f32_e32 v20, v20, v35
	s_wait_alu 0xfffe
	s_or_b32 exec_lo, exec_lo, s0
	s_and_saveexec_b32 s0, vcc_lo
	s_cbranch_execz .LBB51_128
.LBB51_201:
	ds_load_b32 v35, v33 offset:320
	s_wait_dscnt 0x0
	v_add_f32_e32 v21, v21, v35
	s_wait_alu 0xfffe
	s_or_b32 exec_lo, exec_lo, s0
	s_and_saveexec_b32 s0, vcc_lo
	s_cbranch_execz .LBB51_129
.LBB51_202:
	ds_load_b32 v35, v33 offset:336
	s_wait_dscnt 0x0
	v_add_f32_e32 v22, v22, v35
	s_wait_alu 0xfffe
	s_or_b32 exec_lo, exec_lo, s0
	s_and_saveexec_b32 s0, vcc_lo
	s_cbranch_execz .LBB51_130
.LBB51_203:
	ds_load_b32 v35, v33 offset:352
	s_wait_dscnt 0x0
	v_add_f32_e32 v23, v23, v35
	s_wait_alu 0xfffe
	s_or_b32 exec_lo, exec_lo, s0
	s_and_saveexec_b32 s0, vcc_lo
	s_cbranch_execz .LBB51_131
.LBB51_204:
	ds_load_b32 v35, v33 offset:368
	s_wait_dscnt 0x0
	v_add_f32_e32 v24, v24, v35
	s_wait_alu 0xfffe
	s_or_b32 exec_lo, exec_lo, s0
	s_and_saveexec_b32 s0, vcc_lo
	s_cbranch_execz .LBB51_132
.LBB51_205:
	ds_load_b32 v35, v33 offset:384
	s_wait_dscnt 0x0
	v_add_f32_e32 v25, v25, v35
	s_wait_alu 0xfffe
	s_or_b32 exec_lo, exec_lo, s0
	s_and_saveexec_b32 s0, vcc_lo
	s_cbranch_execz .LBB51_133
.LBB51_206:
	ds_load_b32 v35, v33 offset:400
	s_wait_dscnt 0x0
	v_add_f32_e32 v26, v26, v35
	s_wait_alu 0xfffe
	s_or_b32 exec_lo, exec_lo, s0
	s_and_saveexec_b32 s0, vcc_lo
	s_cbranch_execz .LBB51_134
.LBB51_207:
	ds_load_b32 v35, v33 offset:416
	s_wait_dscnt 0x0
	v_add_f32_e32 v27, v27, v35
	s_wait_alu 0xfffe
	s_or_b32 exec_lo, exec_lo, s0
	s_and_saveexec_b32 s0, vcc_lo
	s_cbranch_execz .LBB51_135
.LBB51_208:
	ds_load_b32 v35, v33 offset:432
	s_wait_dscnt 0x0
	v_add_f32_e32 v28, v28, v35
	s_wait_alu 0xfffe
	s_or_b32 exec_lo, exec_lo, s0
	s_and_saveexec_b32 s0, vcc_lo
	s_cbranch_execz .LBB51_136
.LBB51_209:
	ds_load_b32 v35, v33 offset:448
	s_wait_dscnt 0x0
	v_add_f32_e32 v29, v29, v35
	s_wait_alu 0xfffe
	s_or_b32 exec_lo, exec_lo, s0
	s_and_saveexec_b32 s0, vcc_lo
	s_cbranch_execz .LBB51_137
.LBB51_210:
	ds_load_b32 v35, v33 offset:464
	s_wait_dscnt 0x0
	v_add_f32_e32 v30, v30, v35
	s_wait_alu 0xfffe
	s_or_b32 exec_lo, exec_lo, s0
	s_and_saveexec_b32 s0, vcc_lo
	s_cbranch_execz .LBB51_138
.LBB51_211:
	ds_load_b32 v35, v33 offset:480
	s_wait_dscnt 0x0
	v_add_f32_e32 v31, v31, v35
	s_wait_alu 0xfffe
	s_or_b32 exec_lo, exec_lo, s0
	s_and_saveexec_b32 s0, vcc_lo
	s_cbranch_execnz .LBB51_139
	s_branch .LBB51_140
.LBB51_212:
	ds_load_b32 v34, v33
	s_wait_dscnt 0x0
	v_add_f32_e32 v1, v1, v34
	s_wait_alu 0xfffe
	s_or_b32 exec_lo, exec_lo, s1
	s_and_saveexec_b32 s1, vcc_lo
	s_cbranch_execz .LBB51_146
.LBB51_213:
	ds_load_b32 v34, v33 offset:16
	s_wait_dscnt 0x0
	v_add_f32_e32 v2, v2, v34
	s_wait_alu 0xfffe
	s_or_b32 exec_lo, exec_lo, s1
	s_and_saveexec_b32 s1, vcc_lo
	s_cbranch_execz .LBB51_147
.LBB51_214:
	ds_load_b32 v34, v33 offset:32
	s_wait_dscnt 0x0
	v_add_f32_e32 v3, v3, v34
	s_wait_alu 0xfffe
	s_or_b32 exec_lo, exec_lo, s1
	s_and_saveexec_b32 s1, vcc_lo
	s_cbranch_execz .LBB51_148
.LBB51_215:
	ds_load_b32 v34, v33 offset:48
	s_wait_dscnt 0x0
	v_add_f32_e32 v4, v4, v34
	s_wait_alu 0xfffe
	s_or_b32 exec_lo, exec_lo, s1
	s_and_saveexec_b32 s1, vcc_lo
	s_cbranch_execz .LBB51_149
.LBB51_216:
	ds_load_b32 v34, v33 offset:64
	s_wait_dscnt 0x0
	v_add_f32_e32 v5, v5, v34
	s_wait_alu 0xfffe
	s_or_b32 exec_lo, exec_lo, s1
	s_and_saveexec_b32 s1, vcc_lo
	s_cbranch_execz .LBB51_150
.LBB51_217:
	ds_load_b32 v34, v33 offset:80
	s_wait_dscnt 0x0
	v_add_f32_e32 v6, v6, v34
	s_wait_alu 0xfffe
	s_or_b32 exec_lo, exec_lo, s1
	s_and_saveexec_b32 s1, vcc_lo
	s_cbranch_execz .LBB51_151
.LBB51_218:
	ds_load_b32 v34, v33 offset:96
	s_wait_dscnt 0x0
	v_add_f32_e32 v7, v7, v34
	s_wait_alu 0xfffe
	s_or_b32 exec_lo, exec_lo, s1
	s_and_saveexec_b32 s1, vcc_lo
	s_cbranch_execz .LBB51_152
.LBB51_219:
	ds_load_b32 v34, v33 offset:112
	s_wait_dscnt 0x0
	v_add_f32_e32 v8, v8, v34
	s_wait_alu 0xfffe
	s_or_b32 exec_lo, exec_lo, s1
	s_and_saveexec_b32 s1, vcc_lo
	s_cbranch_execz .LBB51_153
.LBB51_220:
	ds_load_b32 v34, v33 offset:128
	s_wait_dscnt 0x0
	v_add_f32_e32 v9, v9, v34
	s_wait_alu 0xfffe
	s_or_b32 exec_lo, exec_lo, s1
	s_and_saveexec_b32 s1, vcc_lo
	s_cbranch_execz .LBB51_154
.LBB51_221:
	ds_load_b32 v34, v33 offset:144
	s_wait_dscnt 0x0
	v_add_f32_e32 v10, v10, v34
	s_wait_alu 0xfffe
	s_or_b32 exec_lo, exec_lo, s1
	s_and_saveexec_b32 s1, vcc_lo
	s_cbranch_execz .LBB51_155
.LBB51_222:
	ds_load_b32 v34, v33 offset:160
	s_wait_dscnt 0x0
	v_add_f32_e32 v11, v11, v34
	s_wait_alu 0xfffe
	s_or_b32 exec_lo, exec_lo, s1
	s_and_saveexec_b32 s1, vcc_lo
	s_cbranch_execz .LBB51_156
.LBB51_223:
	ds_load_b32 v34, v33 offset:176
	s_wait_dscnt 0x0
	v_add_f32_e32 v12, v12, v34
	s_wait_alu 0xfffe
	s_or_b32 exec_lo, exec_lo, s1
	s_and_saveexec_b32 s1, vcc_lo
	s_cbranch_execz .LBB51_157
.LBB51_224:
	ds_load_b32 v34, v33 offset:192
	s_wait_dscnt 0x0
	v_add_f32_e32 v13, v13, v34
	s_wait_alu 0xfffe
	s_or_b32 exec_lo, exec_lo, s1
	s_and_saveexec_b32 s1, vcc_lo
	s_cbranch_execz .LBB51_158
.LBB51_225:
	ds_load_b32 v34, v33 offset:208
	s_wait_dscnt 0x0
	v_add_f32_e32 v14, v14, v34
	s_wait_alu 0xfffe
	s_or_b32 exec_lo, exec_lo, s1
	s_and_saveexec_b32 s1, vcc_lo
	s_cbranch_execz .LBB51_159
.LBB51_226:
	ds_load_b32 v34, v33 offset:224
	s_wait_dscnt 0x0
	v_add_f32_e32 v15, v15, v34
	s_wait_alu 0xfffe
	s_or_b32 exec_lo, exec_lo, s1
	s_and_saveexec_b32 s1, vcc_lo
	s_cbranch_execz .LBB51_160
.LBB51_227:
	ds_load_b32 v34, v33 offset:240
	s_wait_dscnt 0x0
	v_add_f32_e32 v16, v16, v34
	s_wait_alu 0xfffe
	s_or_b32 exec_lo, exec_lo, s1
	s_and_saveexec_b32 s1, vcc_lo
	s_cbranch_execz .LBB51_161
.LBB51_228:
	ds_load_b32 v34, v33 offset:256
	s_wait_dscnt 0x0
	v_add_f32_e32 v17, v17, v34
	s_wait_alu 0xfffe
	s_or_b32 exec_lo, exec_lo, s1
	s_and_saveexec_b32 s1, vcc_lo
	s_cbranch_execz .LBB51_162
.LBB51_229:
	ds_load_b32 v34, v33 offset:272
	s_wait_dscnt 0x0
	v_add_f32_e32 v18, v18, v34
	s_wait_alu 0xfffe
	s_or_b32 exec_lo, exec_lo, s1
	s_and_saveexec_b32 s1, vcc_lo
	s_cbranch_execz .LBB51_163
.LBB51_230:
	ds_load_b32 v34, v33 offset:288
	s_wait_dscnt 0x0
	v_add_f32_e32 v19, v19, v34
	s_wait_alu 0xfffe
	s_or_b32 exec_lo, exec_lo, s1
	s_and_saveexec_b32 s1, vcc_lo
	s_cbranch_execz .LBB51_164
.LBB51_231:
	ds_load_b32 v34, v33 offset:304
	s_wait_dscnt 0x0
	v_add_f32_e32 v20, v20, v34
	s_wait_alu 0xfffe
	s_or_b32 exec_lo, exec_lo, s1
	s_and_saveexec_b32 s1, vcc_lo
	s_cbranch_execz .LBB51_165
.LBB51_232:
	ds_load_b32 v34, v33 offset:320
	s_wait_dscnt 0x0
	v_add_f32_e32 v21, v21, v34
	s_wait_alu 0xfffe
	s_or_b32 exec_lo, exec_lo, s1
	s_and_saveexec_b32 s1, vcc_lo
	s_cbranch_execz .LBB51_166
.LBB51_233:
	ds_load_b32 v34, v33 offset:336
	s_wait_dscnt 0x0
	v_add_f32_e32 v22, v22, v34
	s_wait_alu 0xfffe
	s_or_b32 exec_lo, exec_lo, s1
	s_and_saveexec_b32 s1, vcc_lo
	s_cbranch_execz .LBB51_167
.LBB51_234:
	ds_load_b32 v34, v33 offset:352
	s_wait_dscnt 0x0
	v_add_f32_e32 v23, v23, v34
	s_wait_alu 0xfffe
	s_or_b32 exec_lo, exec_lo, s1
	s_and_saveexec_b32 s1, vcc_lo
	s_cbranch_execz .LBB51_168
.LBB51_235:
	ds_load_b32 v34, v33 offset:368
	s_wait_dscnt 0x0
	v_add_f32_e32 v24, v24, v34
	s_wait_alu 0xfffe
	s_or_b32 exec_lo, exec_lo, s1
	s_and_saveexec_b32 s1, vcc_lo
	s_cbranch_execz .LBB51_169
.LBB51_236:
	ds_load_b32 v34, v33 offset:384
	s_wait_dscnt 0x0
	v_add_f32_e32 v25, v25, v34
	s_wait_alu 0xfffe
	s_or_b32 exec_lo, exec_lo, s1
	s_and_saveexec_b32 s1, vcc_lo
	s_cbranch_execz .LBB51_170
.LBB51_237:
	ds_load_b32 v34, v33 offset:400
	s_wait_dscnt 0x0
	v_add_f32_e32 v26, v26, v34
	s_wait_alu 0xfffe
	s_or_b32 exec_lo, exec_lo, s1
	s_and_saveexec_b32 s1, vcc_lo
	s_cbranch_execz .LBB51_171
.LBB51_238:
	ds_load_b32 v34, v33 offset:416
	s_wait_dscnt 0x0
	v_add_f32_e32 v27, v27, v34
	s_wait_alu 0xfffe
	s_or_b32 exec_lo, exec_lo, s1
	s_and_saveexec_b32 s1, vcc_lo
	s_cbranch_execz .LBB51_172
.LBB51_239:
	ds_load_b32 v34, v33 offset:432
	s_wait_dscnt 0x0
	v_add_f32_e32 v28, v28, v34
	s_wait_alu 0xfffe
	s_or_b32 exec_lo, exec_lo, s1
	s_and_saveexec_b32 s1, vcc_lo
	s_cbranch_execz .LBB51_173
.LBB51_240:
	ds_load_b32 v34, v33 offset:448
	s_wait_dscnt 0x0
	v_add_f32_e32 v29, v29, v34
	s_wait_alu 0xfffe
	s_or_b32 exec_lo, exec_lo, s1
	s_and_saveexec_b32 s1, vcc_lo
	s_cbranch_execz .LBB51_174
.LBB51_241:
	ds_load_b32 v34, v33 offset:464
	s_wait_dscnt 0x0
	v_add_f32_e32 v30, v30, v34
	s_wait_alu 0xfffe
	s_or_b32 exec_lo, exec_lo, s1
	s_and_saveexec_b32 s1, vcc_lo
	s_cbranch_execz .LBB51_175
.LBB51_242:
	ds_load_b32 v34, v33 offset:480
	s_wait_dscnt 0x0
	v_add_f32_e32 v31, v31, v34
	s_wait_alu 0xfffe
	s_or_b32 exec_lo, exec_lo, s1
	s_and_saveexec_b32 s1, vcc_lo
	s_cbranch_execnz .LBB51_176
	s_branch .LBB51_177
	.section	.rodata,"a",@progbits
	.p2align	6, 0x0
	.amdhsa_kernel _ZN4vllm25paged_attention_v2_kernelIffLi128ELi32ELi128ELNS_18Fp8KVCacheDataTypeE0ELb1ELi512EEEvPfS2_PT_PKS3_PKT0_S9_ifPKiSB_iPKfiiiSD_SD_iiiii
		.amdhsa_group_segment_fixed_size 544
		.amdhsa_private_segment_fixed_size 0
		.amdhsa_kernarg_size 400
		.amdhsa_user_sgpr_count 2
		.amdhsa_user_sgpr_dispatch_ptr 0
		.amdhsa_user_sgpr_queue_ptr 0
		.amdhsa_user_sgpr_kernarg_segment_ptr 1
		.amdhsa_user_sgpr_dispatch_id 0
		.amdhsa_user_sgpr_private_segment_size 0
		.amdhsa_wavefront_size32 1
		.amdhsa_uses_dynamic_stack 0
		.amdhsa_enable_private_segment 0
		.amdhsa_system_sgpr_workgroup_id_x 1
		.amdhsa_system_sgpr_workgroup_id_y 1
		.amdhsa_system_sgpr_workgroup_id_z 1
		.amdhsa_system_sgpr_workgroup_info 0
		.amdhsa_system_vgpr_workitem_id 0
		.amdhsa_next_free_vgpr 183
		.amdhsa_next_free_sgpr 40
		.amdhsa_reserve_vcc 1
		.amdhsa_float_round_mode_32 0
		.amdhsa_float_round_mode_16_64 0
		.amdhsa_float_denorm_mode_32 3
		.amdhsa_float_denorm_mode_16_64 3
		.amdhsa_fp16_overflow 0
		.amdhsa_workgroup_processor_mode 1
		.amdhsa_memory_ordered 1
		.amdhsa_forward_progress 1
		.amdhsa_inst_pref_size 127
		.amdhsa_round_robin_scheduling 0
		.amdhsa_exception_fp_ieee_invalid_op 0
		.amdhsa_exception_fp_denorm_src 0
		.amdhsa_exception_fp_ieee_div_zero 0
		.amdhsa_exception_fp_ieee_overflow 0
		.amdhsa_exception_fp_ieee_underflow 0
		.amdhsa_exception_fp_ieee_inexact 0
		.amdhsa_exception_int_div_zero 0
	.end_amdhsa_kernel
	.section	.text._ZN4vllm25paged_attention_v2_kernelIffLi128ELi32ELi128ELNS_18Fp8KVCacheDataTypeE0ELb1ELi512EEEvPfS2_PT_PKS3_PKT0_S9_ifPKiSB_iPKfiiiSD_SD_iiiii,"axG",@progbits,_ZN4vllm25paged_attention_v2_kernelIffLi128ELi32ELi128ELNS_18Fp8KVCacheDataTypeE0ELb1ELi512EEEvPfS2_PT_PKS3_PKT0_S9_ifPKiSB_iPKfiiiSD_SD_iiiii,comdat
.Lfunc_end51:
	.size	_ZN4vllm25paged_attention_v2_kernelIffLi128ELi32ELi128ELNS_18Fp8KVCacheDataTypeE0ELb1ELi512EEEvPfS2_PT_PKS3_PKT0_S9_ifPKiSB_iPKfiiiSD_SD_iiiii, .Lfunc_end51-_ZN4vllm25paged_attention_v2_kernelIffLi128ELi32ELi128ELNS_18Fp8KVCacheDataTypeE0ELb1ELi512EEEvPfS2_PT_PKS3_PKT0_S9_ifPKiSB_iPKfiiiSD_SD_iiiii
                                        ; -- End function
	.set _ZN4vllm25paged_attention_v2_kernelIffLi128ELi32ELi128ELNS_18Fp8KVCacheDataTypeE0ELb1ELi512EEEvPfS2_PT_PKS3_PKT0_S9_ifPKiSB_iPKfiiiSD_SD_iiiii.num_vgpr, 183
	.set _ZN4vllm25paged_attention_v2_kernelIffLi128ELi32ELi128ELNS_18Fp8KVCacheDataTypeE0ELb1ELi512EEEvPfS2_PT_PKS3_PKT0_S9_ifPKiSB_iPKfiiiSD_SD_iiiii.num_agpr, 0
	.set _ZN4vllm25paged_attention_v2_kernelIffLi128ELi32ELi128ELNS_18Fp8KVCacheDataTypeE0ELb1ELi512EEEvPfS2_PT_PKS3_PKT0_S9_ifPKiSB_iPKfiiiSD_SD_iiiii.numbered_sgpr, 40
	.set _ZN4vllm25paged_attention_v2_kernelIffLi128ELi32ELi128ELNS_18Fp8KVCacheDataTypeE0ELb1ELi512EEEvPfS2_PT_PKS3_PKT0_S9_ifPKiSB_iPKfiiiSD_SD_iiiii.num_named_barrier, 0
	.set _ZN4vllm25paged_attention_v2_kernelIffLi128ELi32ELi128ELNS_18Fp8KVCacheDataTypeE0ELb1ELi512EEEvPfS2_PT_PKS3_PKT0_S9_ifPKiSB_iPKfiiiSD_SD_iiiii.private_seg_size, 0
	.set _ZN4vllm25paged_attention_v2_kernelIffLi128ELi32ELi128ELNS_18Fp8KVCacheDataTypeE0ELb1ELi512EEEvPfS2_PT_PKS3_PKT0_S9_ifPKiSB_iPKfiiiSD_SD_iiiii.uses_vcc, 1
	.set _ZN4vllm25paged_attention_v2_kernelIffLi128ELi32ELi128ELNS_18Fp8KVCacheDataTypeE0ELb1ELi512EEEvPfS2_PT_PKS3_PKT0_S9_ifPKiSB_iPKfiiiSD_SD_iiiii.uses_flat_scratch, 0
	.set _ZN4vllm25paged_attention_v2_kernelIffLi128ELi32ELi128ELNS_18Fp8KVCacheDataTypeE0ELb1ELi512EEEvPfS2_PT_PKS3_PKT0_S9_ifPKiSB_iPKfiiiSD_SD_iiiii.has_dyn_sized_stack, 0
	.set _ZN4vllm25paged_attention_v2_kernelIffLi128ELi32ELi128ELNS_18Fp8KVCacheDataTypeE0ELb1ELi512EEEvPfS2_PT_PKS3_PKT0_S9_ifPKiSB_iPKfiiiSD_SD_iiiii.has_recursion, 0
	.set _ZN4vllm25paged_attention_v2_kernelIffLi128ELi32ELi128ELNS_18Fp8KVCacheDataTypeE0ELb1ELi512EEEvPfS2_PT_PKS3_PKT0_S9_ifPKiSB_iPKfiiiSD_SD_iiiii.has_indirect_call, 0
	.section	.AMDGPU.csdata,"",@progbits
; Kernel info:
; codeLenInByte = 16192
; TotalNumSgprs: 42
; NumVgprs: 183
; ScratchSize: 0
; MemoryBound: 0
; FloatMode: 240
; IeeeMode: 1
; LDSByteSize: 544 bytes/workgroup (compile time only)
; SGPRBlocks: 0
; VGPRBlocks: 22
; NumSGPRsForWavesPerEU: 42
; NumVGPRsForWavesPerEU: 183
; Occupancy: 8
; WaveLimiterHint : 1
; COMPUTE_PGM_RSRC2:SCRATCH_EN: 0
; COMPUTE_PGM_RSRC2:USER_SGPR: 2
; COMPUTE_PGM_RSRC2:TRAP_HANDLER: 0
; COMPUTE_PGM_RSRC2:TGID_X_EN: 1
; COMPUTE_PGM_RSRC2:TGID_Y_EN: 1
; COMPUTE_PGM_RSRC2:TGID_Z_EN: 1
; COMPUTE_PGM_RSRC2:TIDIG_COMP_CNT: 0
	.section	.text._ZN4vllm25paged_attention_v2_kernelIffLi192ELi32ELi128ELNS_18Fp8KVCacheDataTypeE0ELb1ELi512EEEvPfS2_PT_PKS3_PKT0_S9_ifPKiSB_iPKfiiiSD_SD_iiiii,"axG",@progbits,_ZN4vllm25paged_attention_v2_kernelIffLi192ELi32ELi128ELNS_18Fp8KVCacheDataTypeE0ELb1ELi512EEEvPfS2_PT_PKS3_PKT0_S9_ifPKiSB_iPKfiiiSD_SD_iiiii,comdat
	.protected	_ZN4vllm25paged_attention_v2_kernelIffLi192ELi32ELi128ELNS_18Fp8KVCacheDataTypeE0ELb1ELi512EEEvPfS2_PT_PKS3_PKT0_S9_ifPKiSB_iPKfiiiSD_SD_iiiii ; -- Begin function _ZN4vllm25paged_attention_v2_kernelIffLi192ELi32ELi128ELNS_18Fp8KVCacheDataTypeE0ELb1ELi512EEEvPfS2_PT_PKS3_PKT0_S9_ifPKiSB_iPKfiiiSD_SD_iiiii
	.globl	_ZN4vllm25paged_attention_v2_kernelIffLi192ELi32ELi128ELNS_18Fp8KVCacheDataTypeE0ELb1ELi512EEEvPfS2_PT_PKS3_PKT0_S9_ifPKiSB_iPKfiiiSD_SD_iiiii
	.p2align	8
	.type	_ZN4vllm25paged_attention_v2_kernelIffLi192ELi32ELi128ELNS_18Fp8KVCacheDataTypeE0ELb1ELi512EEEvPfS2_PT_PKS3_PKT0_S9_ifPKiSB_iPKfiiiSD_SD_iiiii,@function
_ZN4vllm25paged_attention_v2_kernelIffLi192ELi32ELi128ELNS_18Fp8KVCacheDataTypeE0ELb1ELi512EEEvPfS2_PT_PKS3_PKT0_S9_ifPKiSB_iPKfiiiSD_SD_iiiii: ; @_ZN4vllm25paged_attention_v2_kernelIffLi192ELi32ELi128ELNS_18Fp8KVCacheDataTypeE0ELb1ELi512EEEvPfS2_PT_PKS3_PKT0_S9_ifPKiSB_iPKfiiiSD_SD_iiiii
; %bb.0:
	s_load_b64 s[2:3], s[0:1], 0x40
	s_and_b32 s18, ttmp7, 0xffff
	s_lshr_b32 s30, ttmp7, 16
	s_lshl_b32 s4, s18, 2
	s_lshl_b32 s34, s30, 9
	s_wait_kmcnt 0x0
	s_load_b32 s31, s[2:3], s4 offset:0x0
	s_wait_kmcnt 0x0
	s_cmp_ge_i32 s34, s31
	s_cbranch_scc1 .LBB52_245
; %bb.1:
	s_clause 0x1
	s_load_b32 s19, s[0:1], 0x90
	s_load_b64 s[8:9], s[0:1], 0x30
	s_wait_kmcnt 0x0
	s_abs_i32 s5, s19
	s_abs_i32 s2, s8
	s_delay_alu instid0(SALU_CYCLE_1) | instskip(SKIP_1) | instid1(SALU_CYCLE_2)
	s_cvt_f32_u32 s3, s2
	s_sub_co_i32 s4, 0, s2
	v_rcp_iflag_f32_e32 v1, s3
	s_delay_alu instid0(TRANS32_DEP_1) | instskip(SKIP_2) | instid1(SALU_CYCLE_2)
	v_readfirstlane_b32 s3, v1
	s_mul_f32 s3, s3, 0x4f7ffffe
	s_wait_alu 0xfffe
	s_cvt_u32_f32 s3, s3
	s_wait_alu 0xfffe
	s_delay_alu instid0(SALU_CYCLE_2) | instskip(NEXT) | instid1(SALU_CYCLE_1)
	s_mul_i32 s4, s4, s3
	s_mul_hi_u32 s4, s3, s4
	s_delay_alu instid0(SALU_CYCLE_1)
	s_add_co_i32 s3, s3, s4
	s_xor_b32 s4, s19, s8
	s_wait_alu 0xfffe
	s_mul_hi_u32 s3, s5, s3
	s_ashr_i32 s4, s4, 31
	s_wait_alu 0xfffe
	s_mul_i32 s6, s3, s2
	s_delay_alu instid0(SALU_CYCLE_1)
	s_sub_co_i32 s5, s5, s6
	s_add_co_i32 s6, s3, 1
	s_sub_co_i32 s7, s5, s2
	s_cmp_ge_u32 s5, s2
	s_cselect_b32 s3, s6, s3
	s_cselect_b32 s5, s7, s5
	s_wait_alu 0xfffe
	s_add_co_i32 s6, s3, 1
	s_cmp_ge_u32 s5, s2
	s_cselect_b32 s2, s6, s3
	s_load_b64 s[6:7], s[0:1], 0x50
	s_xor_b32 s2, s2, s4
	s_mov_b32 s3, 0
	s_wait_alu 0xfffe
	s_sub_co_i32 s16, s2, s4
	s_mov_b32 s15, s3
	s_abs_i32 s20, s16
	s_delay_alu instid0(SALU_CYCLE_1) | instskip(SKIP_1) | instid1(SALU_CYCLE_2)
	s_cvt_f32_u32 s2, s20
	s_wait_alu 0xfffe
	v_rcp_iflag_f32_e32 v1, s2
	s_delay_alu instid0(TRANS32_DEP_1) | instskip(SKIP_2) | instid1(SALU_CYCLE_2)
	v_readfirstlane_b32 s2, v1
	s_mul_f32 s2, s2, 0x4f7ffffe
	s_wait_alu 0xfffe
	s_cvt_u32_f32 s4, s2
	s_sub_co_i32 s2, 0, s20
	s_wait_alu 0xfffe
	s_delay_alu instid0(SALU_CYCLE_1)
	s_mul_i32 s2, s2, s4
	s_wait_alu 0xfffe
	s_mul_hi_u32 s5, s4, s2
	s_abs_i32 s2, ttmp9
	s_add_co_i32 s4, s4, s5
	s_mov_b32 s5, s3
	s_wait_kmcnt 0x0
	s_cmp_eq_u64 s[6:7], 0
	s_cbranch_scc1 .LBB52_3
; %bb.2:
	s_mov_b32 s10, ttmp9
	s_ashr_i32 s11, ttmp9, 31
	s_delay_alu instid0(SALU_CYCLE_1) | instskip(NEXT) | instid1(SALU_CYCLE_1)
	s_lshl_b64 s[10:11], s[10:11], 2
	s_add_nc_u64 s[6:7], s[6:7], s[10:11]
	s_load_b32 s15, s[6:7], 0x0
.LBB52_3:
	s_load_b96 s[12:14], s[0:1], 0x58
	s_mul_u64 s[10:11], s[2:3], s[4:5]
	s_ashr_i32 s3, ttmp9, 31
	s_ashr_i32 s10, s16, 31
	s_mul_i32 s16, ttmp9, 0xc0
	s_mov_b32 s4, exec_lo
	v_cmpx_gt_u32_e32 48, v0
	s_cbranch_execz .LBB52_5
; %bb.4:
	s_load_b64 s[6:7], s[0:1], 0x18
	s_wait_kmcnt 0x0
	s_mul_i32 s22, s12, s18
	s_ashr_i32 s17, s16, 31
	s_ashr_i32 s23, s22, 31
	v_lshlrev_b32_e32 v4, 4, v0
	s_lshl_b64 s[22:23], s[22:23], 2
	s_delay_alu instid0(SALU_CYCLE_1) | instskip(SKIP_1) | instid1(SALU_CYCLE_1)
	s_add_nc_u64 s[6:7], s[6:7], s[22:23]
	s_lshl_b64 s[22:23], s[16:17], 2
	s_add_nc_u64 s[6:7], s[6:7], s[22:23]
	global_load_b128 v[5:8], v4, s[6:7]
	s_wait_loadcnt 0x0
	ds_store_b128 v4, v[5:8]
.LBB52_5:
	s_or_b32 exec_lo, exec_lo, s4
	s_clause 0x1
	s_load_b128 s[4:7], s[0:1], 0x78
	s_load_b32 s22, s[0:1], 0x88
	s_wait_kmcnt 0x0
	s_mul_i32 s12, s11, s20
	s_xor_b32 s3, s3, s10
	s_sub_co_i32 s2, s2, s12
	s_add_co_i32 s10, s11, 1
	s_wait_alu 0xfffe
	s_sub_co_i32 s12, s2, s20
	s_cmp_ge_u32 s2, s20
	s_mov_b32 s24, -1
	s_cselect_b32 s10, s10, s11
	s_cselect_b32 s2, s12, s2
	s_add_co_i32 s11, s10, 1
	s_wait_alu 0xfffe
	s_cmp_ge_u32 s2, s20
	s_wait_dscnt 0x0
	s_cselect_b32 s2, s11, s10
	s_add_co_i32 s23, s31, -1
	s_wait_alu 0xfffe
	s_xor_b32 s2, s2, s3
	s_barrier_signal -1
	s_wait_alu 0xfffe
	s_sub_co_i32 s26, s2, s3
	s_barrier_wait -1
	s_abs_i32 s12, s7
	global_inv scope:SCOPE_SE
	s_cvt_f32_u32 s10, s12
                                        ; implicit-def: $sgpr17
	s_delay_alu instid0(SALU_CYCLE_3) | instskip(NEXT) | instid1(TRANS32_DEP_1)
	v_rcp_iflag_f32_e32 v1, s10
	v_readfirstlane_b32 s10, v1
	s_mul_f32 s2, s10, 0x4f7ffffe
	s_wait_alu 0xfffe
	s_delay_alu instid0(SALU_CYCLE_2) | instskip(SKIP_2) | instid1(SALU_CYCLE_1)
	s_cvt_u32_f32 s10, s2
	s_sub_co_i32 s2, 0, s12
	s_wait_alu 0xfffe
	s_mul_i32 s3, s2, s10
	s_abs_i32 s2, s23
	s_wait_alu 0xfffe
	s_mul_hi_u32 s11, s10, s3
	s_mov_b32 s3, 0
	s_wait_alu 0xfffe
	s_add_co_i32 s20, s10, s11
	s_cmp_lt_i32 s22, 0
	s_mov_b32 s21, s3
	s_cbranch_scc0 .LBB52_7
; %bb.6:
	s_mul_i32 s8, s4, s8
	s_mov_b32 s24, s3
	s_add_co_i32 s8, s26, s8
	s_delay_alu instid0(SALU_CYCLE_1) | instskip(NEXT) | instid1(SALU_CYCLE_1)
	s_mul_i32 s8, s8, s22
	s_sub_co_i32 s17, 1, s8
.LBB52_7:
	s_mul_u64 s[10:11], s[2:3], s[20:21]
	s_ashr_i32 s3, s23, 31
	s_and_not1_b32 vcc_lo, exec_lo, s24
	s_ashr_i32 s21, s7, 31
	s_cbranch_vccnz .LBB52_9
; %bb.8:
	s_mul_i32 s4, s19, s4
	s_delay_alu instid0(SALU_CYCLE_1) | instskip(NEXT) | instid1(SALU_CYCLE_1)
	s_add_co_i32 s4, s4, ttmp9
	s_mul_i32 s4, s4, s22
	s_delay_alu instid0(SALU_CYCLE_1)
	s_add_co_i32 s17, s4, 1
.LBB52_9:
	s_load_b32 s4, s[0:1], 0x48
	s_mul_i32 s7, s11, s12
	s_xor_b32 s3, s3, s21
	s_sub_co_i32 s2, s2, s7
	s_add_co_i32 s8, s11, 1
	s_clause 0x1
	s_load_b64 s[22:23], s[0:1], 0x38
	s_load_b32 s7, s[0:1], 0x98
	v_lshrrev_b32_e32 v1, 5, v0
	v_and_b32_e32 v2, 31, v0
	scratch_store_b32 off, v0, off offset:292 ; 4-byte Folded Spill
	s_mul_i32 s26, s26, s14
	v_mov_b32_e32 v0, 0xff7fffff
	s_clause 0x1
	scratch_store_b32 off, v1, off offset:300
	scratch_store_b32 off, v2, off offset:276
	v_lshlrev_b32_e32 v22, 2, v2
	s_wait_kmcnt 0x0
	s_mul_i32 s24, s4, s18
	s_sub_co_i32 s4, s2, s12
	s_ashr_i32 s25, s24, 31
	s_cmp_ge_u32 s2, s12
	s_cselect_b32 s8, s8, s11
	s_cselect_b32 s2, s4, s2
	s_add_co_i32 s4, s8, 1
	s_wait_alu 0xfffe
	s_cmp_ge_u32 s2, s12
	s_cselect_b32 s2, s4, s8
	s_add_co_i32 s4, s31, 31
	s_lshl_b32 s37, s30, 4
	s_ashr_i32 s8, s4, 31
	v_add_nc_u32_e32 v189, s37, v1
	s_lshr_b32 s8, s8, 27
	s_add_co_i32 s10, s37, 16
	s_add_co_i32 s4, s4, s8
	s_delay_alu instid0(SALU_CYCLE_1)
	s_ashr_i32 s35, s4, 5
	s_wait_alu 0xfffe
	s_xor_b32 s4, s2, s3
	s_min_i32 s33, s10, s35
	s_sub_co_i32 s36, s4, s3
	v_cmp_gt_i32_e64 s2, s33, v189
	s_and_saveexec_b32 s8, s2
	s_cbranch_execz .LBB52_17
; %bb.10:
	scratch_load_b32 v6, off, off offset:276 ; 4-byte Folded Reload
	s_load_b64 s[28:29], s[0:1], 0x20
	s_ashr_i32 s27, s26, 31
	s_sub_co_i32 s10, s36, s5
	s_lshl_b64 s[38:39], s[26:27], 2
	s_cmp_neq_f32 s15, 0
	s_mov_b32 s11, s13
	s_mov_b32 s14, 0
	v_mov_b32_e32 v1, 0
	s_cselect_b32 vcc_lo, -1, 0
	s_abs_i32 s27, s6
	v_mov_b32_e32 v9, v189
	s_sub_co_i32 s4, 0, s27
	ds_load_b128 v[2:5], v1
	s_wait_kmcnt 0x0
	s_add_nc_u64 s[28:29], s[28:29], s[38:39]
	s_lshl_b64 s[38:39], s[24:25], 2
	s_delay_alu instid0(SALU_CYCLE_1)
	s_add_nc_u64 s[38:39], s[22:23], s[38:39]
	s_wait_dscnt 0x0
	scratch_store_b128 off, v[2:5], off     ; 16-byte Folded Spill
	ds_load_b128 v[2:5], v1 offset:16
	s_wait_dscnt 0x0
	scratch_store_b128 off, v[2:5], off offset:16 ; 16-byte Folded Spill
	ds_load_b128 v[2:5], v1 offset:32
	s_wait_dscnt 0x0
	scratch_store_b128 off, v[2:5], off offset:32 ; 16-byte Folded Spill
	;; [unrolled: 3-line block ×5, first 2 shown]
	ds_load_b128 v[25:28], v1 offset:96
	ds_load_b128 v[29:32], v1 offset:112
	;; [unrolled: 1-line block ×42, first 2 shown]
	scratch_load_b32 v5, off, off offset:300 ; 4-byte Folded Reload
	s_wait_loadcnt 0x1
	v_lshlrev_b32_e32 v0, 4, v6
	s_delay_alu instid0(VALU_DEP_1) | instskip(SKIP_4) | instid1(SALU_CYCLE_2)
	v_add_co_u32 v23, s3, s28, v0
	s_wait_alu 0xf1ff
	v_add_co_ci_u32_e64 v24, null, s29, 0, s3
	s_cvt_f32_u32 s3, s27
	s_wait_alu 0xfffe
	v_rcp_iflag_f32_e32 v0, s3
	s_delay_alu instid0(TRANS32_DEP_1) | instskip(SKIP_3) | instid1(SALU_CYCLE_2)
	v_readfirstlane_b32 s3, v0
	v_lshlrev_b32_e32 v0, 2, v189
	s_mul_f32 s3, s3, 0x4f7ffffe
	s_wait_alu 0xfffe
	s_cvt_u32_f32 s3, s3
	s_wait_alu 0xfffe
	s_delay_alu instid0(SALU_CYCLE_2) | instskip(NEXT) | instid1(SALU_CYCLE_1)
	s_mul_i32 s4, s4, s3
	s_mul_hi_u32 s4, s3, s4
	s_delay_alu instid0(SALU_CYCLE_1) | instskip(SKIP_4) | instid1(VALU_DEP_2)
	s_add_co_i32 s28, s3, s4
	v_add_co_u32 v190, s3, s38, v0
	v_subrev_nc_u32_e32 v0, s31, v6
	s_wait_alu 0xf1ff
	v_add_co_ci_u32_e64 v191, null, s39, 0, s3
	v_add_nc_u32_e32 v0, 1, v0
	scratch_store_b32 off, v0, off offset:96 ; 4-byte Folded Spill
	s_wait_loadcnt 0x0
	v_lshl_or_b32 v0, v5, 7, v22
	v_lshl_add_u32 v7, v5, 5, s34
	s_delay_alu instid0(VALU_DEP_2)
	v_add_nc_u32_e32 v8, 0x320, v0
	v_mov_b32_e32 v0, 0xff7fffff
	s_branch .LBB52_12
.LBB52_11:                              ;   in Loop: Header=BB52_12 Depth=1
	s_or_b32 exec_lo, exec_lo, s4
	v_add_nc_u32_e32 v9, 4, v9
	v_add_co_u32 v190, s3, v190, 16
	s_wait_alu 0xf1ff
	v_add_co_ci_u32_e64 v191, null, 0, v191, s3
	s_delay_alu instid0(VALU_DEP_3)
	v_cmp_le_i32_e64 s3, s33, v9
	v_add_nc_u32_e32 v7, 0x80, v7
	v_add_nc_u32_e32 v8, 0x200, v8
	s_or_b32 s14, s3, s14
	s_wait_alu 0xfffe
	s_and_not1_b32 exec_lo, exec_lo, s14
	s_cbranch_execz .LBB52_16
.LBB52_12:                              ; =>This Inner Loop Header: Depth=1
	s_delay_alu instid0(VALU_DEP_3) | instskip(NEXT) | instid1(VALU_DEP_1)
	v_sub_nc_u32_e32 v5, 0, v7
	v_max_i32_e32 v5, v7, v5
	s_delay_alu instid0(VALU_DEP_1) | instskip(NEXT) | instid1(VALU_DEP_1)
	v_mul_hi_u32 v6, v5, s20
	v_mul_lo_u32 v10, v6, s12
	s_delay_alu instid0(VALU_DEP_1) | instskip(SKIP_1) | instid1(VALU_DEP_2)
	v_sub_nc_u32_e32 v5, v5, v10
	v_add_nc_u32_e32 v10, 1, v6
	v_subrev_nc_u32_e32 v11, s12, v5
	v_cmp_le_u32_e64 s3, s12, v5
	s_wait_alu 0xf1ff
	s_delay_alu instid0(VALU_DEP_1) | instskip(NEXT) | instid1(VALU_DEP_3)
	v_cndmask_b32_e64 v6, v6, v10, s3
	v_cndmask_b32_e64 v5, v5, v11, s3
	v_ashrrev_i32_e32 v10, 31, v7
	s_delay_alu instid0(VALU_DEP_3) | instskip(NEXT) | instid1(VALU_DEP_3)
	v_add_nc_u32_e32 v11, 1, v6
	v_cmp_le_u32_e64 s3, s12, v5
	s_delay_alu instid0(VALU_DEP_3) | instskip(SKIP_1) | instid1(VALU_DEP_2)
	v_xor_b32_e32 v10, s21, v10
	s_wait_alu 0xf1ff
	v_cndmask_b32_e64 v5, v6, v11, s3
	s_delay_alu instid0(VALU_DEP_1) | instskip(NEXT) | instid1(VALU_DEP_1)
	v_xor_b32_e32 v5, v5, v10
	v_sub_nc_u32_e32 v5, v5, v10
	s_delay_alu instid0(VALU_DEP_1) | instskip(SKIP_1) | instid1(VALU_DEP_2)
	v_add_nc_u32_e32 v6, s17, v5
	v_cmp_ge_i32_e64 s4, s10, v5
	v_sub_nc_u32_e32 v10, 0, v6
	s_delay_alu instid0(VALU_DEP_1) | instskip(SKIP_2) | instid1(VALU_DEP_2)
	v_max_i32_e32 v10, v6, v10
	v_ashrrev_i32_e32 v6, 31, v6
	s_wait_alu 0xfffe
	v_mul_hi_u32 v11, v10, s28
	s_delay_alu instid0(VALU_DEP_1) | instskip(NEXT) | instid1(VALU_DEP_1)
	v_mul_lo_u32 v11, v11, s27
	v_sub_nc_u32_e32 v10, v10, v11
	s_delay_alu instid0(VALU_DEP_1) | instskip(SKIP_2) | instid1(VALU_DEP_1)
	v_subrev_nc_u32_e32 v11, s27, v10
	v_cmp_le_u32_e64 s3, s27, v10
	s_wait_alu 0xf1ff
	v_cndmask_b32_e64 v10, v10, v11, s3
	s_delay_alu instid0(VALU_DEP_1) | instskip(SKIP_2) | instid1(VALU_DEP_1)
	v_subrev_nc_u32_e32 v11, s27, v10
	v_cmp_le_u32_e64 s3, s27, v10
	s_wait_alu 0xf1ff
	v_cndmask_b32_e64 v10, v10, v11, s3
	s_delay_alu instid0(VALU_DEP_1) | instskip(NEXT) | instid1(VALU_DEP_1)
	v_xor_b32_e32 v10, v10, v6
	v_sub_nc_u32_e32 v6, v10, v6
	s_delay_alu instid0(VALU_DEP_1) | instskip(SKIP_3) | instid1(SALU_CYCLE_1)
	v_cmp_ne_u32_e64 s3, 0, v6
	s_and_b32 s3, s3, s4
	s_wait_alu 0xfffe
	s_and_saveexec_b32 s4, s3
	s_xor_b32 s3, exec_lo, s4
; %bb.13:                               ;   in Loop: Header=BB52_12 Depth=1
	v_mov_b32_e32 v5, 0xff7fffff
	ds_store_b32 v8, v5
; %bb.14:                               ;   in Loop: Header=BB52_12 Depth=1
	s_wait_alu 0xfffe
	s_and_not1_saveexec_b32 s4, s3
	s_cbranch_execz .LBB52_11
; %bb.15:                               ;   in Loop: Header=BB52_12 Depth=1
	global_load_b32 v5, v[190:191], off
	s_wait_loadcnt 0x0
	v_mad_co_i64_i32 v[5:6], null, v5, s11, 0
	s_delay_alu instid0(VALU_DEP_1) | instskip(NEXT) | instid1(VALU_DEP_1)
	v_lshlrev_b64_e32 v[5:6], 2, v[5:6]
	v_add_co_u32 v5, s3, v23, v5
	s_wait_alu 0xf1ff
	s_delay_alu instid0(VALU_DEP_2)
	v_add_co_ci_u32_e64 v6, null, v24, v6, s3
	global_load_b128 v[11:14], v[5:6], off offset:512
	scratch_load_b128 v[15:18], off, off offset:16 ; 16-byte Folded Reload
	s_wait_loadcnt 0x0
	v_dual_mul_f32 v11, v15, v11 :: v_dual_mul_f32 v12, v16, v12
	v_dual_mul_f32 v13, v17, v13 :: v_dual_mul_f32 v10, v18, v14
	global_load_b128 v[14:17], v[5:6], off
	scratch_load_b128 v[18:21], off, off    ; 16-byte Folded Reload
	s_wait_loadcnt 0x0
	v_dual_fmac_f32 v11, v18, v14 :: v_dual_fmac_f32 v12, v19, v15
	v_dual_fmac_f32 v13, v20, v16 :: v_dual_fmac_f32 v10, v21, v17
	global_load_b128 v[14:17], v[5:6], off offset:1024
	scratch_load_b128 v[18:21], off, off offset:32 ; 16-byte Folded Reload
	s_wait_loadcnt 0x0
	v_dual_fmac_f32 v11, v18, v14 :: v_dual_fmac_f32 v12, v19, v15
	v_dual_fmac_f32 v13, v20, v16 :: v_dual_fmac_f32 v10, v21, v17
	global_load_b128 v[14:17], v[5:6], off offset:1536
	scratch_load_b128 v[18:21], off, off offset:48 ; 16-byte Folded Reload
	s_wait_loadcnt 0x0
	v_dual_fmac_f32 v11, v18, v14 :: v_dual_fmac_f32 v12, v19, v15
	v_dual_fmac_f32 v13, v20, v16 :: v_dual_fmac_f32 v10, v21, v17
	global_load_b128 v[14:17], v[5:6], off offset:2048
	scratch_load_b128 v[18:21], off, off offset:64 ; 16-byte Folded Reload
	s_wait_loadcnt 0x0
	v_dual_fmac_f32 v11, v18, v14 :: v_dual_fmac_f32 v12, v19, v15
	v_dual_fmac_f32 v13, v20, v16 :: v_dual_fmac_f32 v10, v21, v17
	global_load_b128 v[14:17], v[5:6], off offset:2560
	scratch_load_b128 v[18:21], off, off offset:80 ; 16-byte Folded Reload
	s_wait_loadcnt 0x0
	v_dual_fmac_f32 v11, v18, v14 :: v_dual_fmac_f32 v12, v19, v15
	v_dual_fmac_f32 v13, v20, v16 :: v_dual_fmac_f32 v10, v21, v17
	global_load_b128 v[14:17], v[5:6], off offset:3072
	s_wait_loadcnt_dscnt 0x29
	v_dual_fmac_f32 v11, v25, v14 :: v_dual_fmac_f32 v12, v26, v15
	v_dual_fmac_f32 v13, v27, v16 :: v_dual_fmac_f32 v10, v28, v17
	global_load_b128 v[14:17], v[5:6], off offset:3584
	s_wait_loadcnt_dscnt 0x28
	;; [unrolled: 4-line block ×41, first 2 shown]
	v_dual_fmac_f32 v11, v185, v14 :: v_dual_fmac_f32 v12, v186, v15
	v_dual_fmac_f32 v13, v187, v16 :: v_dual_fmac_f32 v10, v188, v17
	global_load_b128 v[14:17], v[5:6], off offset:24064
	scratch_load_b32 v6, off, off offset:276 ; 4-byte Folded Reload
	s_wait_loadcnt_dscnt 0x100
	v_dual_fmac_f32 v11, v1, v14 :: v_dual_fmac_f32 v12, v2, v15
	s_wait_loadcnt 0x0
	v_dual_fmac_f32 v13, v3, v16 :: v_dual_add_nc_u32 v6, v6, v7
	s_delay_alu instid0(VALU_DEP_2) | instskip(NEXT) | instid1(VALU_DEP_2)
	v_dual_fmac_f32 v10, v4, v17 :: v_dual_add_f32 v5, v11, v12
	v_cmp_gt_i32_e64 s3, s31, v6
	scratch_load_b32 v6, off, off offset:96 ; 4-byte Folded Reload
	s_wait_loadcnt 0x0
	v_dual_add_f32 v5, v13, v5 :: v_dual_add_nc_u32 v6, v6, v7
	s_delay_alu instid0(VALU_DEP_1) | instskip(NEXT) | instid1(VALU_DEP_1)
	v_cvt_f32_i32_e32 v6, v6
	v_dual_add_f32 v5, v10, v5 :: v_dual_mul_f32 v6, s15, v6
	s_delay_alu instid0(VALU_DEP_1) | instskip(NEXT) | instid1(VALU_DEP_1)
	v_cndmask_b32_e32 v6, 0, v6, vcc_lo
	v_dual_fmac_f32 v6, s9, v5 :: v_dual_max_num_f32 v5, v0, v0
	s_delay_alu instid0(VALU_DEP_1) | instskip(SKIP_1) | instid1(VALU_DEP_1)
	v_max_num_f32_e32 v5, v5, v6
	s_wait_alu 0xf1ff
	v_cndmask_b32_e64 v0, v0, v5, s3
	v_cndmask_b32_e64 v5, 0, v6, s3
	ds_store_b32 v8, v5
	s_branch .LBB52_11
.LBB52_16:
	s_or_b32 exec_lo, exec_lo, s14
.LBB52_17:
	s_delay_alu instid0(SALU_CYCLE_1)
	s_or_b32 exec_lo, exec_lo, s8
	s_wait_dscnt 0x0
	v_mbcnt_lo_u32_b32 v3, -1, 0
	s_clause 0x2
	s_load_b128 s[8:11], s[0:1], 0x0
	s_load_b64 s[14:15], s[0:1], 0x10
	s_load_b64 s[28:29], s[0:1], 0x28
	v_xor_b32_e32 v1, 16, v3
	v_xor_b32_e32 v4, 8, v3
	s_delay_alu instid0(VALU_DEP_2) | instskip(SKIP_2) | instid1(VALU_DEP_3)
	v_cmp_gt_i32_e32 vcc_lo, 32, v1
	s_wait_alu 0xfffd
	v_cndmask_b32_e32 v1, v3, v1, vcc_lo
	v_cmp_gt_i32_e32 vcc_lo, 32, v4
	s_wait_alu 0xfffd
	s_delay_alu instid0(VALU_DEP_2) | instskip(SKIP_4) | instid1(VALU_DEP_2)
	v_dual_cndmask_b32 v4, v3, v4 :: v_dual_lshlrev_b32 v1, 2, v1
	ds_bpermute_b32 v2, v1, v0
	s_wait_dscnt 0x0
	v_dual_max_num_f32 v0, v0, v0 :: v_dual_max_num_f32 v5, v2, v2
	v_lshlrev_b32_e32 v2, 2, v4
	v_max_num_f32_e32 v0, v0, v5
	v_xor_b32_e32 v5, 4, v3
	ds_bpermute_b32 v4, v2, v0
	v_cmp_gt_i32_e32 vcc_lo, 32, v5
	s_wait_dscnt 0x0
	s_wait_alu 0xfffd
	v_dual_cndmask_b32 v5, v3, v5 :: v_dual_max_num_f32 v4, v4, v4
	s_delay_alu instid0(VALU_DEP_1) | instskip(SKIP_3) | instid1(VALU_DEP_1)
	v_dual_max_num_f32 v0, v0, v4 :: v_dual_lshlrev_b32 v5, 2, v5
	scratch_store_b32 off, v5, off offset:308 ; 4-byte Folded Spill
	ds_bpermute_b32 v4, v5, v0
	v_xor_b32_e32 v5, 2, v3
	v_cmp_gt_i32_e32 vcc_lo, 32, v5
	s_wait_dscnt 0x0
	s_wait_alu 0xfffd
	v_dual_cndmask_b32 v5, v3, v5 :: v_dual_max_num_f32 v4, v4, v4
	s_delay_alu instid0(VALU_DEP_1) | instskip(SKIP_3) | instid1(VALU_DEP_1)
	v_dual_max_num_f32 v0, v0, v4 :: v_dual_lshlrev_b32 v5, 2, v5
	scratch_store_b32 off, v5, off offset:296 ; 4-byte Folded Spill
	ds_bpermute_b32 v4, v5, v0
	v_xor_b32_e32 v5, 1, v3
	v_cmp_gt_i32_e32 vcc_lo, 32, v5
	s_wait_alu 0xfffd
	v_cndmask_b32_e32 v3, v3, v5, vcc_lo
	s_wait_dscnt 0x0
	s_delay_alu instid0(VALU_DEP_1) | instskip(NEXT) | instid1(VALU_DEP_1)
	v_dual_max_num_f32 v4, v4, v4 :: v_dual_lshlrev_b32 v5, 2, v3
	v_max_num_f32_e32 v0, v0, v4
	scratch_load_b32 v4, off, off offset:276 ; 4-byte Folded Reload
	ds_bpermute_b32 v3, v5, v0
	s_wait_loadcnt 0x0
	v_cmp_eq_u32_e32 vcc_lo, 0, v4
	scratch_load_b32 v4, off, off offset:300 ; 4-byte Folded Reload
	s_wait_loadcnt 0x0
	v_lshlrev_b32_e32 v4, 2, v4
	s_and_saveexec_b32 s0, vcc_lo
	s_cbranch_execz .LBB52_19
; %bb.18:
	s_wait_dscnt 0x0
	v_dual_max_num_f32 v3, v3, v3 :: v_dual_max_num_f32 v0, v0, v0
	s_delay_alu instid0(VALU_DEP_1)
	v_max_num_f32_e32 v0, v0, v3
	ds_store_b32 v4, v0 offset:768
.LBB52_19:
	s_or_b32 exec_lo, exec_lo, s0
	scratch_load_b32 v0, off, off offset:276 ; 4-byte Folded Reload
	s_wait_storecnt 0x0
	s_wait_loadcnt_dscnt 0x0
	s_barrier_signal -1
	s_barrier_wait -1
	global_inv scope:SCOPE_SE
	v_cmp_gt_u32_e64 s0, 4, v0
	v_mov_b32_e32 v0, 0xff7fffff
	s_and_saveexec_b32 s1, s0
; %bb.20:
	ds_load_b32 v0, v22 offset:768
; %bb.21:
	s_or_b32 exec_lo, exec_lo, s1
	scratch_load_b32 v3, off, off offset:296 ; 4-byte Folded Reload
	scratch_store_b32 off, v5, off offset:304 ; 4-byte Folded Spill
	s_sub_co_i32 s1, s33, s37
	s_delay_alu instid0(SALU_CYCLE_1) | instskip(NEXT) | instid1(SALU_CYCLE_1)
	s_lshl_b32 s1, s1, 5
	s_add_co_i32 s1, s1, s34
	s_delay_alu instid0(SALU_CYCLE_1) | instskip(NEXT) | instid1(SALU_CYCLE_1)
	s_min_i32 s1, s1, s31
	s_sub_co_i32 s4, s1, s34
	s_wait_loadcnt_dscnt 0x0
	ds_bpermute_b32 v3, v3, v0
	s_wait_dscnt 0x0
	v_dual_max_num_f32 v0, v0, v0 :: v_dual_max_num_f32 v3, v3, v3
	s_delay_alu instid0(VALU_DEP_1) | instskip(SKIP_4) | instid1(VALU_DEP_1)
	v_max_num_f32_e32 v0, v0, v3
	ds_bpermute_b32 v3, v5, v0
	v_mov_b32_e32 v5, 0
	s_wait_dscnt 0x0
	v_max_num_f32_e32 v3, v3, v3
	v_max_num_f32_e32 v0, v0, v3
	scratch_load_b32 v3, off, off offset:292 ; 4-byte Folded Reload
	ds_bpermute_b32 v0, v5, v0
	s_wait_loadcnt 0x0
	v_cmp_gt_i32_e64 s1, s4, v3
	v_lshl_add_u32 v3, v3, 2, 0x320
	s_and_saveexec_b32 s27, s1
	s_cbranch_execz .LBB52_25
; %bb.22:
	scratch_load_b32 v7, off, off offset:292 ; 4-byte Folded Reload
	v_mov_b32_e32 v5, 0
	s_mov_b32 s37, 0
	s_wait_loadcnt 0x0
	v_lshl_add_u32 v6, v7, 2, 0x320
.LBB52_23:                              ; =>This Inner Loop Header: Depth=1
	ds_load_b32 v8, v6
	v_add_nc_u32_e32 v7, 0x80, v7
	s_delay_alu instid0(VALU_DEP_1) | instskip(SKIP_4) | instid1(VALU_DEP_1)
	v_cmp_le_i32_e64 s3, s4, v7
	s_wait_alu 0xfffe
	s_or_b32 s37, s3, s37
	s_wait_dscnt 0x0
	v_sub_f32_e32 v8, v8, v0
	v_mul_f32_e32 v8, 0x3fb8aa3b, v8
	s_delay_alu instid0(VALU_DEP_1)
	v_exp_f32_e32 v8, v8
	ds_store_b32 v6, v8
	v_dual_add_f32 v5, v5, v8 :: v_dual_add_nc_u32 v6, 0x200, v6
	s_wait_alu 0xfffe
	s_and_not1_b32 exec_lo, exec_lo, s37
	s_cbranch_execnz .LBB52_23
; %bb.24:
	s_or_b32 exec_lo, exec_lo, s37
.LBB52_25:
	s_wait_alu 0xfffe
	s_or_b32 exec_lo, exec_lo, s27
	ds_bpermute_b32 v1, v1, v5
	s_wait_dscnt 0x0
	v_add_f32_e32 v1, v5, v1
	scratch_load_b32 v5, off, off offset:304 ; 4-byte Folded Reload
	ds_bpermute_b32 v2, v2, v1
	s_wait_dscnt 0x0
	v_add_f32_e32 v1, v1, v2
	scratch_load_b32 v2, off, off offset:308 ; 4-byte Folded Reload
	s_wait_loadcnt 0x0
	ds_bpermute_b32 v2, v2, v1
	s_wait_dscnt 0x0
	v_add_f32_e32 v1, v1, v2
	scratch_load_b32 v2, off, off offset:296 ; 4-byte Folded Reload
	s_wait_loadcnt 0x0
	ds_bpermute_b32 v2, v2, v1
	s_wait_dscnt 0x0
	v_add_f32_e32 v1, v1, v2
	ds_bpermute_b32 v2, v5, v1
	s_wait_dscnt 0x0
	v_add_f32_e32 v1, v1, v2
	s_and_saveexec_b32 s3, vcc_lo
; %bb.26:
	ds_store_b32 v4, v1 offset:784
; %bb.27:
	s_wait_alu 0xfffe
	s_or_b32 exec_lo, exec_lo, s3
	s_wait_storecnt_dscnt 0x0
	s_barrier_signal -1
	s_barrier_wait -1
	global_inv scope:SCOPE_SE
	s_and_saveexec_b32 s3, s0
; %bb.28:
	ds_load_b32 v1, v22 offset:784
; %bb.29:
	s_wait_alu 0xfffe
	s_or_b32 exec_lo, exec_lo, s3
	scratch_load_b32 v2, off, off offset:296 ; 4-byte Folded Reload
	s_wait_loadcnt_dscnt 0x0
	ds_bpermute_b32 v2, v2, v1
	s_wait_dscnt 0x0
	v_add_f32_e32 v1, v1, v2
	ds_bpermute_b32 v2, v5, v1
	s_wait_dscnt 0x0
	v_dual_add_f32 v1, v1, v2 :: v_dual_mov_b32 v2, 0
	ds_bpermute_b32 v1, v2, v1
	s_and_saveexec_b32 s0, s1
	s_cbranch_execz .LBB52_32
; %bb.30:
	s_wait_dscnt 0x0
	v_add_f32_e32 v2, 0x358637bd, v1
	s_mov_b32 s1, 0
	s_delay_alu instid0(VALU_DEP_1) | instskip(SKIP_1) | instid1(VALU_DEP_2)
	v_div_scale_f32 v4, null, v2, v2, 1.0
	v_div_scale_f32 v7, vcc_lo, 1.0, v2, 1.0
	v_rcp_f32_e32 v5, v4
	s_delay_alu instid0(TRANS32_DEP_1) | instskip(NEXT) | instid1(VALU_DEP_1)
	v_fma_f32 v6, -v4, v5, 1.0
	v_fmac_f32_e32 v5, v6, v5
	s_delay_alu instid0(VALU_DEP_1) | instskip(NEXT) | instid1(VALU_DEP_1)
	v_mul_f32_e32 v6, v7, v5
	v_fma_f32 v8, -v4, v6, v7
	s_delay_alu instid0(VALU_DEP_1) | instskip(NEXT) | instid1(VALU_DEP_1)
	v_fmac_f32_e32 v6, v8, v5
	v_fma_f32 v4, -v4, v6, v7
	s_wait_alu 0xfffd
	s_delay_alu instid0(VALU_DEP_1) | instskip(NEXT) | instid1(VALU_DEP_1)
	v_div_fmas_f32 v4, v4, v5, v6
	v_div_fixup_f32 v2, v4, v2, 1.0
	scratch_load_b32 v4, off, off offset:292 ; 4-byte Folded Reload
.LBB52_31:                              ; =>This Inner Loop Header: Depth=1
	ds_load_b32 v5, v3
	s_wait_loadcnt_dscnt 0x0
	v_dual_mul_f32 v5, v2, v5 :: v_dual_add_nc_u32 v4, 0x80, v4
	s_delay_alu instid0(VALU_DEP_1) | instskip(SKIP_3) | instid1(SALU_CYCLE_1)
	v_cmp_le_i32_e32 vcc_lo, s4, v4
	ds_store_b32 v3, v5
	v_add_nc_u32_e32 v3, 0x200, v3
	s_or_b32 s1, vcc_lo, s1
	s_and_not1_b32 exec_lo, exec_lo, s1
	s_cbranch_execnz .LBB52_31
.LBB52_32:
	s_or_b32 exec_lo, exec_lo, s0
	s_wait_dscnt 0x0
	s_barrier_signal -1
	scratch_load_b32 v2, off, off offset:292 ; 4-byte Folded Reload
	s_mul_i32 s0, s7, s18
	s_barrier_wait -1
	s_mul_i32 s18, s0, s19
	s_mov_b32 s0, exec_lo
	s_wait_loadcnt 0x0
	global_inv scope:SCOPE_SE
	v_cmpx_eq_u32_e32 0, v2
	s_cbranch_execz .LBB52_34
; %bb.33:
	s_ashr_i32 s19, s18, 31
	s_mul_i32 s38, s7, ttmp9
	s_lshl_b32 s1, s30, 2
	s_lshl_b64 s[40:41], s[18:19], 2
	s_wait_alu 0xfffe
	s_ashr_i32 s39, s38, 31
	v_mov_b32_e32 v2, s1
	s_wait_kmcnt 0x0
	s_add_nc_u64 s[10:11], s[10:11], s[40:41]
	s_wait_alu 0xfffe
	s_lshl_b64 s[38:39], s[38:39], 2
	s_add_nc_u64 s[8:9], s[8:9], s[40:41]
	s_wait_alu 0xfffe
	s_add_nc_u64 s[10:11], s[10:11], s[38:39]
	s_add_nc_u64 s[8:9], s[8:9], s[38:39]
	s_clause 0x1
	global_store_b32 v2, v0, s[10:11]
	global_store_b32 v2, v1, s[8:9]
.LBB52_34:
	s_or_b32 exec_lo, exec_lo, s0
	v_dual_mov_b32 v19, 0 :: v_dual_mov_b32 v18, 0
	v_dual_mov_b32 v17, 0 :: v_dual_mov_b32 v28, 0
	;; [unrolled: 1-line block ×22, first 2 shown]
	v_mov_b32_e32 v58, 0
	v_mov_b32_e32 v60, 0
	;; [unrolled: 1-line block ×4, first 2 shown]
	s_and_saveexec_b32 s1, s2
	s_cbranch_execz .LBB52_136
; %bb.35:
	scratch_load_b32 v0, off, off offset:292 ; 4-byte Folded Reload
	s_abs_i32 s6, s6
	s_wait_kmcnt 0x0
	s_mov_b32 s9, s13
	s_cvt_f32_u32 s4, s6
	s_lshl_b32 s0, s34, 2
	s_ashr_i32 s27, s26, 31
	s_wait_alu 0xfffe
	s_sub_co_i32 s11, 0x320, s0
	v_rcp_iflag_f32_e32 v1, s4
	s_sub_co_i32 s0, 0, s6
	v_dual_mov_b32 v64, 0 :: v_dual_mov_b32 v63, 0
	v_dual_mov_b32 v62, 0 :: v_dual_mov_b32 v67, 0
	;; [unrolled: 1-line block ×4, first 2 shown]
	s_delay_alu instid0(TRANS32_DEP_1)
	v_readfirstlane_b32 s13, v1
	v_dual_mov_b32 v70, 0 :: v_dual_mov_b32 v43, 0
	v_dual_mov_b32 v54, 0 :: v_dual_mov_b32 v35, 0
	s_mul_f32 s13, s13, 0x4f7ffffe
	v_dual_mov_b32 v50, 0 :: v_dual_mov_b32 v75, 0
	v_dual_mov_b32 v52, 0 :: v_dual_mov_b32 v73, 0
	s_wait_alu 0xfffe
	s_cvt_u32_f32 s19, s13
	v_dual_mov_b32 v72, 0 :: v_dual_mov_b32 v69, 0
	v_dual_mov_b32 v74, 0 :: v_dual_mov_b32 v77, 0
	s_delay_alu instid0(SALU_CYCLE_1)
	s_mul_i32 s0, s0, s19
	v_dual_mov_b32 v46, 0 :: v_dual_mov_b32 v61, 0
	v_dual_mov_b32 v44, 0 :: v_dual_mov_b32 v31, 0
	;; [unrolled: 1-line block ×8, first 2 shown]
	v_mov_b32_e32 v76, 0
	v_mov_b32_e32 v30, 0
	;; [unrolled: 1-line block ×7, first 2 shown]
	s_lshl_b64 s[2:3], s[24:25], 2
	s_sub_co_i32 s8, s36, s5
	s_lshl_b64 s[4:5], s[26:27], 2
	s_wait_alu 0xfffe
	s_mul_hi_u32 s0, s19, s0
	s_add_co_i32 s10, s35, -1
	s_add_nc_u64 s[2:3], s[22:23], s[2:3]
	s_add_nc_u64 s[4:5], s[28:29], s[4:5]
	s_mov_b32 s13, 0
	s_wait_alu 0xfffe
	s_add_co_i32 s19, s19, s0
	v_mov_b32_e32 v65, 0
	v_mov_b32_e32 v59, 0
	;; [unrolled: 1-line block ×3, first 2 shown]
	s_wait_loadcnt 0x0
	v_dual_mov_b32 v55, 0 :: v_dual_lshlrev_b32 v0, 2, v0
	s_delay_alu instid0(VALU_DEP_1)
	v_dual_mov_b32 v60, 0 :: v_dual_and_b32 v1, 0x7c, v0
	v_or_b32_e32 v2, 0xf80, v0
	v_and_b32_e32 v0, 28, v0
	scratch_store_b32 off, v0, off offset:280 ; 4-byte Folded Spill
	v_lshlrev_b32_e32 v0, 2, v1
	scratch_store_b32 off, v0, off offset:284 ; 4-byte Folded Spill
	v_lshlrev_b32_e32 v0, 2, v2
	scratch_store_b32 off, v0, off offset:288 ; 4-byte Folded Spill
	s_branch .LBB52_38
.LBB52_36:                              ;   in Loop: Header=BB52_38 Depth=1
	s_wait_alu 0xfffe
	s_or_b32 exec_lo, exec_lo, s0
	s_wait_dscnt 0x0
	v_mul_f32_e32 v73, v1, v73
	v_mul_f32_e32 v45, v1, v45
	;; [unrolled: 1-line block ×5, first 2 shown]
	v_fmac_f32_e32 v73, v2, v74
	v_fmac_f32_e32 v45, v2, v46
	v_fmac_f32_e32 v33, v2, v34
	v_fmac_f32_e32 v77, v2, v78
	v_mul_f32_e32 v101, v1, v101
	v_fmac_f32_e32 v73, v3, v75
	v_fmac_f32_e32 v45, v3, v47
	v_fmac_f32_e32 v33, v3, v35
	v_fmac_f32_e32 v77, v3, v79
	v_mul_f32_e32 v29, v1, v29
	v_fmac_f32_e32 v73, v4, v76
	v_fmac_f32_e32 v45, v4, v48
	;; [unrolled: 1-line block ×3, first 2 shown]
	s_clause 0x5
	scratch_load_b32 v48, off, off offset:184 th:TH_LOAD_LU
	scratch_load_b32 v34, off, off offset:188 th:TH_LOAD_LU
	;; [unrolled: 1-line block ×6, first 2 shown]
	v_fmac_f32_e32 v77, v4, v80
	v_fmac_f32_e32 v21, v2, v22
	;; [unrolled: 1-line block ×3, first 2 shown]
	scratch_load_b32 v30, off, off offset:224 th:TH_LOAD_LU ; 4-byte Folded Reload
	v_mul_f32_e32 v69, v1, v69
	v_mul_f32_e32 v61, v1, v61
	v_fmac_f32_e32 v21, v3, v23
	scratch_load_b32 v23, off, off offset:236 th:TH_LOAD_LU ; 4-byte Folded Reload
	v_fmac_f32_e32 v101, v2, v102
	v_fmac_f32_e32 v69, v2, v70
	;; [unrolled: 1-line block ×3, first 2 shown]
	v_mul_f32_e32 v25, v1, v25
	v_fmac_f32_e32 v29, v3, v31
	v_fmac_f32_e32 v21, v4, v24
	;; [unrolled: 1-line block ×5, first 2 shown]
	v_mul_f32_e32 v97, v1, v97
	s_wait_loadcnt 0xa
	v_mul_f32_e32 v5, v1, v5
	v_fmac_f32_e32 v69, v4, v72
	v_fmac_f32_e32 v61, v4, v64
	s_wait_loadcnt 0x9
	v_dual_fmac_f32 v25, v3, v27 :: v_dual_mul_f32 v0, v1, v9
	v_fmac_f32_e32 v5, v2, v6
	v_mul_f32_e32 v9, v1, v173
	v_mul_f32_e32 v49, v1, v49
	s_delay_alu instid0(VALU_DEP_4) | instskip(NEXT) | instid1(VALU_DEP_4)
	v_dual_fmac_f32 v25, v4, v28 :: v_dual_fmac_f32 v0, v2, v10
	v_fmac_f32_e32 v5, v3, v7
	v_mul_f32_e32 v7, v1, v181
	v_dual_mul_f32 v6, v1, v185 :: v_dual_fmac_f32 v9, v2, v174
	v_mul_f32_e32 v10, v1, v169
	s_delay_alu instid0(VALU_DEP_4) | instskip(NEXT) | instid1(VALU_DEP_4)
	v_dual_fmac_f32 v0, v3, v11 :: v_dual_fmac_f32 v5, v4, v8
	v_fmac_f32_e32 v7, v2, v182
	s_delay_alu instid0(VALU_DEP_4) | instskip(SKIP_1) | instid1(VALU_DEP_4)
	v_fmac_f32_e32 v6, v2, v186
	v_mul_f32_e32 v8, v1, v177
	v_dual_fmac_f32 v0, v4, v12 :: v_dual_fmac_f32 v9, v3, v175
	s_delay_alu instid0(VALU_DEP_4) | instskip(NEXT) | instid1(VALU_DEP_4)
	v_fmac_f32_e32 v7, v3, v183
	v_fmac_f32_e32 v6, v3, v187
	s_delay_alu instid0(VALU_DEP_4) | instskip(NEXT) | instid1(VALU_DEP_4)
	v_dual_fmac_f32 v8, v2, v178 :: v_dual_mul_f32 v11, v1, v165
	v_fmac_f32_e32 v9, v4, v176
	s_delay_alu instid0(VALU_DEP_4) | instskip(NEXT) | instid1(VALU_DEP_4)
	v_fmac_f32_e32 v7, v4, v184
	v_fmac_f32_e32 v6, v4, v188
	s_delay_alu instid0(VALU_DEP_4) | instskip(SKIP_2) | instid1(VALU_DEP_3)
	v_dual_fmac_f32 v8, v3, v179 :: v_dual_fmac_f32 v11, v2, v166
	v_mul_f32_e32 v12, v1, v161
	v_dual_fmac_f32 v10, v2, v170 :: v_dual_mul_f32 v13, v1, v157
	v_dual_fmac_f32 v8, v4, v180 :: v_dual_fmac_f32 v11, v3, v167
	v_mul_f32_e32 v14, v1, v153
	s_delay_alu instid0(VALU_DEP_3) | instskip(NEXT) | instid1(VALU_DEP_3)
	v_dual_fmac_f32 v10, v3, v171 :: v_dual_fmac_f32 v13, v2, v158
	v_dual_fmac_f32 v12, v2, v162 :: v_dual_fmac_f32 v11, v4, v168
	s_delay_alu instid0(VALU_DEP_2) | instskip(NEXT) | instid1(VALU_DEP_3)
	v_dual_mul_f32 v15, v1, v149 :: v_dual_fmac_f32 v10, v4, v172
	v_fmac_f32_e32 v13, v3, v159
	s_delay_alu instid0(VALU_DEP_3) | instskip(NEXT) | instid1(VALU_DEP_3)
	v_fmac_f32_e32 v12, v3, v163
	v_dual_mul_f32 v16, v1, v145 :: v_dual_fmac_f32 v15, v2, v150
	s_delay_alu instid0(VALU_DEP_3) | instskip(NEXT) | instid1(VALU_DEP_3)
	v_dual_fmac_f32 v14, v2, v154 :: v_dual_fmac_f32 v13, v4, v160
	v_dual_fmac_f32 v12, v4, v164 :: v_dual_mul_f32 v141, v1, v141
	s_delay_alu instid0(VALU_DEP_3) | instskip(NEXT) | instid1(VALU_DEP_3)
	v_fmac_f32_e32 v15, v3, v151
	v_dual_fmac_f32 v14, v3, v155 :: v_dual_fmac_f32 v49, v2, v50
	v_mul_f32_e32 v53, v1, v53
	s_delay_alu instid0(VALU_DEP_4) | instskip(NEXT) | instid1(VALU_DEP_4)
	v_fmac_f32_e32 v141, v2, v142
	v_fmac_f32_e32 v15, v4, v152
	s_delay_alu instid0(VALU_DEP_4) | instskip(SKIP_1) | instid1(VALU_DEP_4)
	v_fmac_f32_e32 v14, v4, v156
	v_dual_fmac_f32 v16, v2, v146 :: v_dual_fmac_f32 v49, v3, v51
	v_fmac_f32_e32 v141, v3, v143
	s_clause 0x4
	scratch_load_b32 v70, off, off offset:120 th:TH_LOAD_LU
	scratch_load_b32 v51, off, off offset:128 th:TH_LOAD_LU
	scratch_load_b32 v50, off, off offset:132 th:TH_LOAD_LU
	scratch_load_b32 v72, off, off offset:144 th:TH_LOAD_LU
	scratch_load_b32 v74, off, off offset:148 th:TH_LOAD_LU
	v_dual_fmac_f32 v16, v3, v147 :: v_dual_fmac_f32 v141, v4, v144
	v_fmac_f32_e32 v53, v2, v54
	v_fmac_f32_e32 v49, v4, v52
	s_clause 0x3
	scratch_load_b128 v[142:145], off, off offset:32 th:TH_LOAD_LU
	scratch_load_b32 v62, off, off offset:80 th:TH_LOAD_LU
	scratch_load_b32 v54, off, off offset:124 th:TH_LOAD_LU
	scratch_load_b32 v52, off, off offset:136 th:TH_LOAD_LU
	v_mul_f32_e32 v17, v1, v17
	v_mul_f32_e32 v65, v1, v65
	v_fmac_f32_e32 v53, v3, v55
	scratch_load_b32 v55, off, off offset:140 th:TH_LOAD_LU ; 4-byte Folded Reload
	v_mul_f32_e32 v121, v1, v121
	v_fmac_f32_e32 v17, v2, v18
	v_dual_fmac_f32 v65, v2, v66 :: v_dual_fmac_f32 v16, v4, v148
	v_mul_f32_e32 v137, v1, v137
	v_mul_f32_e32 v57, v1, v57
	s_delay_alu instid0(VALU_DEP_4) | instskip(NEXT) | instid1(VALU_DEP_4)
	v_fmac_f32_e32 v17, v3, v19
	v_fmac_f32_e32 v65, v3, v67
	scratch_load_b32 v67, off, off offset:104 th:TH_LOAD_LU ; 4-byte Folded Reload
	v_mul_f32_e32 v41, v1, v41
	v_fmac_f32_e32 v57, v2, v58
	v_fmac_f32_e32 v17, v4, v20
	;; [unrolled: 1-line block ×3, first 2 shown]
	scratch_load_b32 v68, off, off offset:116 th:TH_LOAD_LU ; 4-byte Folded Reload
	v_fmac_f32_e32 v41, v2, v42
	v_fmac_f32_e32 v57, v3, v59
	v_mul_f32_e32 v37, v1, v37
	s_clause 0x2
	scratch_load_b32 v46, off, off offset:152 th:TH_LOAD_LU
	scratch_load_b32 v47, off, off offset:156 th:TH_LOAD_LU
	;; [unrolled: 1-line block ×3, first 2 shown]
	v_fmac_f32_e32 v57, v4, v60
	s_clause 0x1
	scratch_load_b32 v60, off, off offset:96 th:TH_LOAD_LU
	scratch_load_b32 v59, off, off offset:108 th:TH_LOAD_LU
	v_fmac_f32_e32 v41, v3, v43
	v_fmac_f32_e32 v37, v2, v38
	s_clause 0x1
	scratch_load_b32 v38, off, off offset:172 th:TH_LOAD_LU
	scratch_load_b32 v43, off, off offset:180 th:TH_LOAD_LU
	v_mul_f32_e32 v93, v1, v93
	v_fmac_f32_e32 v41, v4, v44
	v_fmac_f32_e32 v37, v3, v39
	s_clause 0x1
	scratch_load_b32 v44, off, off offset:160 th:TH_LOAD_LU
	scratch_load_b32 v39, off, off offset:168 th:TH_LOAD_LU
	v_mul_f32_e32 v117, v1, v117
	v_fmac_f32_e32 v93, v2, v94
	v_fmac_f32_e32 v37, v4, v40
	scratch_load_b32 v40, off, off offset:176 th:TH_LOAD_LU ; 4-byte Folded Reload
	v_mul_f32_e32 v81, v1, v81
	v_mul_f32_e32 v105, v1, v105
	v_fmac_f32_e32 v93, v3, v95
	v_mul_f32_e32 v89, v1, v89
	v_mul_f32_e32 v109, v1, v109
	v_fmac_f32_e32 v81, v2, v82
	v_mul_f32_e32 v85, v1, v85
	v_fmac_f32_e32 v93, v4, v96
	v_fmac_f32_e32 v105, v2, v106
	;; [unrolled: 1-line block ×10, first 2 shown]
	s_clause 0x2
	scratch_load_b32 v31, off, off offset:228 th:TH_LOAD_LU
	scratch_load_b32 v24, off, off offset:240 th:TH_LOAD_LU
	;; [unrolled: 1-line block ×3, first 2 shown]
	v_fmac_f32_e32 v89, v4, v92
	v_fmac_f32_e32 v85, v4, v88
	s_clause 0x2
	scratch_load_b32 v64, off, off offset:64 th:TH_LOAD_LU
	scratch_load_b32 v63, off, off offset:100 th:TH_LOAD_LU
	;; [unrolled: 1-line block ×3, first 2 shown]
	v_mul_f32_e32 v125, v1, v125
	s_clause 0x2
	scratch_load_b32 v22, off, off offset:232 th:TH_LOAD_LU
	scratch_load_b32 v26, off, off offset:244 th:TH_LOAD_LU
	;; [unrolled: 1-line block ×3, first 2 shown]
	s_wait_loadcnt 0x26
	v_dual_fmac_f32 v97, v2, v98 :: v_dual_add_f32 v48, v48, v93
	v_fmac_f32_e32 v105, v3, v107
	s_wait_loadcnt 0x24
	v_add_f32_e32 v35, v35, v85
	s_wait_loadcnt 0x23
	v_add_f32_e32 v36, v36, v81
	;; [unrolled: 2-line block ×4, first 2 shown]
	s_clause 0x1
	scratch_load_b32 v73, off, off offset:208 th:TH_LOAD_LU
	scratch_load_b32 v77, off, off offset:216 th:TH_LOAD_LU
	v_fmac_f32_e32 v101, v3, v103
	v_dual_fmac_f32 v105, v4, v108 :: v_dual_add_f32 v34, v34, v89
	s_wait_loadcnt 0x22
	v_add_f32_e32 v30, v30, v53
	s_wait_loadcnt 0x20
	v_dual_add_f32 v23, v23, v41 :: v_dual_add_f32 v70, v70, v12
	v_fmac_f32_e32 v121, v2, v122
	s_wait_loadcnt 0x1e
	v_dual_add_f32 v50, v50, v15 :: v_dual_add_f32 v51, v51, v14
	s_wait_loadcnt 0x1b
	v_mul_f32_e32 v18, v1, v142
	v_mul_f32_e32 v133, v1, v133
	s_wait_loadcnt 0x1a
	v_add_f32_e32 v62, v62, v5
	s_wait_loadcnt 0x18
	v_dual_add_f32 v52, v52, v16 :: v_dual_fmac_f32 v121, v3, v123
	v_fmac_f32_e32 v18, v2, v143
	v_add_f32_e32 v54, v54, v13
	s_wait_loadcnt 0x17
	v_add_f32_e32 v55, v55, v141
	v_fmac_f32_e32 v121, v4, v124
	v_dual_fmac_f32 v18, v3, v144 :: v_dual_fmac_f32 v137, v2, v138
	s_delay_alu instid0(VALU_DEP_1)
	v_fmac_f32_e32 v18, v4, v145
	scratch_load_b128 v[142:145], off, off offset:16 th:TH_LOAD_LU ; 16-byte Folded Reload
	s_wait_loadcnt 0x16
	v_dual_add_f32 v67, v67, v8 :: v_dual_add_f32 v68, v68, v11
	s_wait_loadcnt 0x14
	v_add_f32_e32 v47, v47, v121
	s_wait_loadcnt 0x11
	v_add_f32_e32 v59, v59, v9
	;; [unrolled: 2-line block ×4, first 2 shown]
	v_fmac_f32_e32 v101, v4, v104
	s_wait_loadcnt 0x8
	v_dual_add_f32 v27, v27, v29 :: v_dual_add_f32 v64, v64, v0
	v_fmac_f32_e32 v125, v2, v126
	s_wait_loadcnt 0x6
	v_dual_add_f32 v58, v58, v10 :: v_dual_add_f32 v63, v63, v7
	s_wait_loadcnt 0x5
	v_add_f32_e32 v22, v22, v45
	s_wait_loadcnt 0x4
	v_add_f32_e32 v26, v26, v33
	;; [unrolled: 2-line block ×3, first 2 shown]
	scratch_load_b32 v25, off, off offset:256 th:TH_LOAD_LU ; 4-byte Folded Reload
	v_dual_fmac_f32 v109, v2, v110 :: v_dual_add_f32 v40, v40, v101
	v_dual_fmac_f32 v97, v3, v99 :: v_dual_add_f32 v38, v38, v105
	s_delay_alu instid0(VALU_DEP_1) | instskip(NEXT) | instid1(VALU_DEP_1)
	v_fmac_f32_e32 v97, v4, v100
	v_add_f32_e32 v43, v43, v97
	s_wait_loadcnt 0x3
	v_add_f32_e32 v73, v73, v69
	scratch_load_b32 v69, off, off offset:212 th:TH_LOAD_LU ; 4-byte Folded Reload
	s_wait_loadcnt 0x3
	v_add_f32_e32 v77, v77, v61
	scratch_load_b32 v61, off, off offset:220 th:TH_LOAD_LU ; 4-byte Folded Reload
	s_wait_loadcnt 0x3
	v_mul_f32_e32 v19, v1, v142
	s_delay_alu instid0(VALU_DEP_1) | instskip(NEXT) | instid1(VALU_DEP_1)
	v_fmac_f32_e32 v19, v2, v143
	v_fmac_f32_e32 v19, v3, v144
	s_delay_alu instid0(VALU_DEP_1)
	v_fmac_f32_e32 v19, v4, v145
	scratch_load_b128 v[142:145], off, off th:TH_LOAD_LU ; 16-byte Folded Reload
	s_wait_loadcnt 0x3
	v_add_f32_e32 v25, v25, v21
	scratch_load_b32 v21, off, off offset:260 th:TH_LOAD_LU ; 4-byte Folded Reload
	s_wait_loadcnt 0x3
	v_add_f32_e32 v69, v69, v65
	scratch_load_b32 v65, off, off offset:48 th:TH_LOAD_LU ; 4-byte Folded Reload
	v_fmac_f32_e32 v137, v3, v139
	v_dual_fmac_f32 v125, v3, v127 :: v_dual_add_f32 v60, v60, v6
	s_wait_loadcnt 0x3
	v_add_f32_e32 v61, v61, v57
	s_delay_alu instid0(VALU_DEP_2) | instskip(NEXT) | instid1(VALU_DEP_1)
	v_fmac_f32_e32 v125, v4, v128
	v_add_f32_e32 v46, v46, v125
	s_wait_loadcnt 0x2
	v_dual_mul_f32 v20, v1, v142 :: v_dual_fmac_f32 v137, v4, v140
	s_delay_alu instid0(VALU_DEP_1) | instskip(SKIP_1) | instid1(VALU_DEP_3)
	v_fmac_f32_e32 v20, v2, v143
	v_fmac_f32_e32 v133, v2, v134
	v_dual_fmac_f32 v117, v2, v118 :: v_dual_add_f32 v72, v72, v137
	s_delay_alu instid0(VALU_DEP_3) | instskip(NEXT) | instid1(VALU_DEP_1)
	v_fmac_f32_e32 v20, v3, v144
	v_dual_fmac_f32 v133, v3, v135 :: v_dual_fmac_f32 v20, v4, v145
	s_delay_alu instid0(VALU_DEP_1) | instskip(NEXT) | instid1(VALU_DEP_1)
	v_fmac_f32_e32 v133, v4, v136
	v_dual_fmac_f32 v117, v3, v119 :: v_dual_add_f32 v74, v74, v133
	s_delay_alu instid0(VALU_DEP_1) | instskip(NEXT) | instid1(VALU_DEP_1)
	v_fmac_f32_e32 v117, v4, v120
	v_add_f32_e32 v44, v44, v117
	s_wait_loadcnt 0x1
	v_add_f32_e32 v21, v21, v17
	scratch_load_b32 v17, off, off offset:264 th:TH_LOAD_LU ; 4-byte Folded Reload
	s_wait_loadcnt 0x0
	v_add_f32_e32 v17, v17, v18
	scratch_load_b32 v18, off, off offset:268 th:TH_LOAD_LU ; 4-byte Folded Reload
	v_mul_f32_e32 v113, v1, v113
	v_mul_f32_e32 v1, v1, v129
	s_delay_alu instid0(VALU_DEP_1) | instskip(NEXT) | instid1(VALU_DEP_1)
	v_fmac_f32_e32 v1, v2, v130
	v_fmac_f32_e32 v1, v3, v131
	s_delay_alu instid0(VALU_DEP_1) | instskip(SKIP_1) | instid1(VALU_DEP_1)
	v_fmac_f32_e32 v1, v4, v132
	s_wait_loadcnt 0x0
	v_dual_add_f32 v65, v65, v1 :: v_dual_add_f32 v18, v18, v19
	scratch_load_b32 v19, off, off offset:272 th:TH_LOAD_LU ; 4-byte Folded Reload
	v_fmac_f32_e32 v113, v2, v114
	s_delay_alu instid0(VALU_DEP_1) | instskip(NEXT) | instid1(VALU_DEP_1)
	v_fmac_f32_e32 v113, v3, v115
	v_fmac_f32_e32 v113, v4, v116
	s_delay_alu instid0(VALU_DEP_1) | instskip(NEXT) | instid1(VALU_DEP_1)
	v_dual_fmac_f32 v109, v3, v111 :: v_dual_add_f32 v42, v42, v113
	v_fmac_f32_e32 v109, v4, v112
	s_delay_alu instid0(VALU_DEP_1)
	v_add_f32_e32 v39, v39, v109
	s_wait_loadcnt 0x0
	v_add_f32_e32 v19, v19, v20
.LBB52_37:                              ;   in Loop: Header=BB52_38 Depth=1
	s_or_b32 exec_lo, exec_lo, s22
	v_add_nc_u32_e32 v189, 4, v189
	s_delay_alu instid0(VALU_DEP_1)
	v_cmp_le_i32_e32 vcc_lo, s33, v189
	s_or_b32 s13, vcc_lo, s13
	s_wait_alu 0xfffe
	s_and_not1_b32 exec_lo, exec_lo, s13
	s_cbranch_execz .LBB52_135
.LBB52_38:                              ; =>This Inner Loop Header: Depth=1
	v_lshlrev_b32_e32 v0, 5, v189
	s_delay_alu instid0(VALU_DEP_1) | instskip(NEXT) | instid1(VALU_DEP_1)
	v_sub_nc_u32_e32 v1, 0, v0
	v_max_i32_e32 v1, v0, v1
	s_delay_alu instid0(VALU_DEP_1) | instskip(NEXT) | instid1(VALU_DEP_1)
	v_mul_hi_u32 v2, v1, s20
	v_mul_lo_u32 v3, v2, s12
	s_delay_alu instid0(VALU_DEP_1) | instskip(SKIP_1) | instid1(VALU_DEP_2)
	v_sub_nc_u32_e32 v1, v1, v3
	v_add_nc_u32_e32 v3, 1, v2
	v_subrev_nc_u32_e32 v4, s12, v1
	v_cmp_le_u32_e32 vcc_lo, s12, v1
	s_wait_alu 0xfffd
	s_delay_alu instid0(VALU_DEP_2) | instskip(SKIP_1) | instid1(VALU_DEP_2)
	v_dual_cndmask_b32 v2, v2, v3 :: v_dual_cndmask_b32 v1, v1, v4
	v_ashrrev_i32_e32 v3, 31, v0
	v_add_nc_u32_e32 v4, 1, v2
	s_delay_alu instid0(VALU_DEP_3) | instskip(NEXT) | instid1(VALU_DEP_3)
	v_cmp_le_u32_e32 vcc_lo, s12, v1
	v_xor_b32_e32 v3, s21, v3
	s_wait_alu 0xfffd
	s_delay_alu instid0(VALU_DEP_3) | instskip(NEXT) | instid1(VALU_DEP_1)
	v_cndmask_b32_e32 v1, v2, v4, vcc_lo
	v_xor_b32_e32 v1, v1, v3
	s_delay_alu instid0(VALU_DEP_1) | instskip(NEXT) | instid1(VALU_DEP_1)
	v_sub_nc_u32_e32 v1, v1, v3
	v_add_nc_u32_e32 v2, s17, v1
	v_cmp_lt_i32_e64 s0, s8, v1
	s_delay_alu instid0(VALU_DEP_2) | instskip(NEXT) | instid1(VALU_DEP_1)
	v_sub_nc_u32_e32 v3, 0, v2
	v_max_i32_e32 v3, v2, v3
	s_delay_alu instid0(VALU_DEP_1) | instskip(NEXT) | instid1(VALU_DEP_1)
	v_mul_hi_u32 v4, v3, s19
	v_mul_lo_u32 v4, v4, s6
	s_delay_alu instid0(VALU_DEP_1) | instskip(NEXT) | instid1(VALU_DEP_1)
	v_sub_nc_u32_e32 v3, v3, v4
	v_subrev_nc_u32_e32 v4, s6, v3
	v_cmp_le_u32_e32 vcc_lo, s6, v3
	s_wait_alu 0xfffd
	s_delay_alu instid0(VALU_DEP_2) | instskip(NEXT) | instid1(VALU_DEP_1)
	v_cndmask_b32_e32 v3, v3, v4, vcc_lo
	v_subrev_nc_u32_e32 v4, s6, v3
	v_cmp_le_u32_e32 vcc_lo, s6, v3
	s_wait_alu 0xfffd
	s_delay_alu instid0(VALU_DEP_2) | instskip(SKIP_1) | instid1(VALU_DEP_1)
	v_cndmask_b32_e32 v3, v3, v4, vcc_lo
	v_ashrrev_i32_e32 v2, 31, v2
	v_xor_b32_e32 v3, v3, v2
	s_delay_alu instid0(VALU_DEP_1) | instskip(NEXT) | instid1(VALU_DEP_1)
	v_sub_nc_u32_e32 v2, v3, v2
	v_cmp_eq_u32_e32 vcc_lo, 0, v2
	s_or_b32 s0, vcc_lo, s0
	s_wait_alu 0xfffe
	s_and_saveexec_b32 s22, s0
	s_cbranch_execz .LBB52_37
; %bb.39:                               ;   in Loop: Header=BB52_38 Depth=1
	v_ashrrev_i32_e32 v190, 31, v189
	s_clause 0x1f
	scratch_store_b32 off, v19, off offset:272
	scratch_store_b32 off, v18, off offset:268
	;; [unrolled: 1-line block ×32, first 2 shown]
	s_clause 0xf
	scratch_store_b32 off, v72, off offset:144
	scratch_store_b32 off, v55, off offset:140
	;; [unrolled: 1-line block ×16, first 2 shown]
	v_lshlrev_b64_e32 v[1:2], 2, v[189:190]
	s_delay_alu instid0(VALU_DEP_1) | instskip(SKIP_1) | instid1(VALU_DEP_2)
	v_add_co_u32 v1, vcc_lo, s2, v1
	s_wait_alu 0xfffd
	v_add_co_ci_u32_e64 v2, null, s3, v2, vcc_lo
	global_load_b32 v1, v[1:2], off
	s_wait_loadcnt 0x0
	v_mad_co_i64_i32 v[1:2], null, v1, s9, 0
	s_delay_alu instid0(VALU_DEP_1) | instskip(NEXT) | instid1(VALU_DEP_1)
	v_lshlrev_b64_e32 v[1:2], 2, v[1:2]
	v_add_co_u32 v5, vcc_lo, s4, v1
	scratch_load_b32 v1, off, off offset:284 ; 4-byte Folded Reload
	s_wait_alu 0xfffd
	v_add_co_ci_u32_e64 v6, null, s5, v2, vcc_lo
	s_wait_loadcnt 0x0
	v_add_co_u32 v129, vcc_lo, v5, v1
	s_wait_alu 0xfffd
	s_delay_alu instid0(VALU_DEP_2)
	v_add_co_ci_u32_e64 v130, null, 0, v6, vcc_lo
	v_cmp_eq_u32_e32 vcc_lo, s10, v189
	global_load_b128 v[1:4], v[129:130], off
	s_wait_loadcnt 0x0
	scratch_store_b128 off, v[1:4], off     ; 16-byte Folded Spill
	scratch_load_b32 v1, off, off offset:280 ; 4-byte Folded Reload
	s_wait_loadcnt 0x0
	v_or_b32_e32 v190, v0, v1
	s_delay_alu instid0(VALU_DEP_1)
	v_lshl_add_u32 v0, v190, 2, s11
	v_or_b32_e32 v13, 1, v190
	v_or_b32_e32 v191, 2, v190
	ds_load_b128 v[1:4], v0
	v_or_b32_e32 v0, 3, v190
	s_and_saveexec_b32 s23, vcc_lo
	s_cbranch_execz .LBB52_41
; %bb.40:                               ;   in Loop: Header=BB52_38 Depth=1
	scratch_load_b128 v[7:10], off, off th:TH_LOAD_LU ; 16-byte Folded Reload
	v_cmp_gt_i32_e64 s0, s31, v190
	s_wait_loadcnt 0x0
	s_wait_alu 0xf1ff
	s_delay_alu instid0(VALU_DEP_1) | instskip(SKIP_2) | instid1(VALU_DEP_1)
	v_cndmask_b32_e64 v7, 0, v7, s0
	v_cmp_gt_i32_e64 s0, s31, v13
	s_wait_alu 0xf1ff
	v_cndmask_b32_e64 v8, 0, v8, s0
	v_cmp_gt_i32_e64 s0, s31, v191
	s_wait_alu 0xf1ff
	s_delay_alu instid0(VALU_DEP_1) | instskip(SKIP_2) | instid1(VALU_DEP_1)
	v_cndmask_b32_e64 v9, 0, v9, s0
	v_cmp_gt_i32_e64 s0, s31, v0
	s_wait_alu 0xf1ff
	v_cndmask_b32_e64 v10, 0, v10, s0
	scratch_store_b128 off, v[7:10], off    ; 16-byte Folded Spill
.LBB52_41:                              ;   in Loop: Header=BB52_38 Depth=1
	s_or_b32 exec_lo, exec_lo, s23
	global_load_b128 v[7:10], v[129:130], off offset:512
	s_wait_loadcnt 0x0
	scratch_store_b128 off, v[7:10], off offset:16 ; 16-byte Folded Spill
	s_and_saveexec_b32 s23, vcc_lo
	s_cbranch_execz .LBB52_43
; %bb.42:                               ;   in Loop: Header=BB52_38 Depth=1
	scratch_load_b128 v[7:10], off, off offset:16 th:TH_LOAD_LU ; 16-byte Folded Reload
	v_cmp_gt_i32_e64 s0, s31, v190
	s_wait_loadcnt 0x0
	s_wait_alu 0xf1ff
	s_delay_alu instid0(VALU_DEP_1) | instskip(SKIP_2) | instid1(VALU_DEP_1)
	v_cndmask_b32_e64 v7, 0, v7, s0
	v_cmp_gt_i32_e64 s0, s31, v13
	s_wait_alu 0xf1ff
	v_cndmask_b32_e64 v8, 0, v8, s0
	v_cmp_gt_i32_e64 s0, s31, v191
	s_wait_alu 0xf1ff
	s_delay_alu instid0(VALU_DEP_1) | instskip(SKIP_2) | instid1(VALU_DEP_1)
	v_cndmask_b32_e64 v9, 0, v9, s0
	v_cmp_gt_i32_e64 s0, s31, v0
	s_wait_alu 0xf1ff
	v_cndmask_b32_e64 v10, 0, v10, s0
	scratch_store_b128 off, v[7:10], off offset:16 ; 16-byte Folded Spill
.LBB52_43:                              ;   in Loop: Header=BB52_38 Depth=1
	s_or_b32 exec_lo, exec_lo, s23
	global_load_b128 v[7:10], v[129:130], off offset:1024
	s_wait_loadcnt 0x0
	scratch_store_b128 off, v[7:10], off offset:32 ; 16-byte Folded Spill
	s_and_saveexec_b32 s23, vcc_lo
	s_cbranch_execnz .LBB52_90
; %bb.44:                               ;   in Loop: Header=BB52_38 Depth=1
	s_or_b32 exec_lo, exec_lo, s23
	global_load_b128 v[17:20], v[129:130], off offset:1536
	s_and_saveexec_b32 s23, vcc_lo
	s_cbranch_execnz .LBB52_91
.LBB52_45:                              ;   in Loop: Header=BB52_38 Depth=1
	s_or_b32 exec_lo, exec_lo, s23
	global_load_b128 v[21:24], v[129:130], off offset:2048
	s_and_saveexec_b32 s23, vcc_lo
	s_cbranch_execnz .LBB52_92
.LBB52_46:                              ;   in Loop: Header=BB52_38 Depth=1
	s_or_b32 exec_lo, exec_lo, s23
	global_load_b128 v[25:28], v[129:130], off offset:2560
	s_and_saveexec_b32 s23, vcc_lo
	s_cbranch_execnz .LBB52_93
.LBB52_47:                              ;   in Loop: Header=BB52_38 Depth=1
	s_or_b32 exec_lo, exec_lo, s23
	global_load_b128 v[29:32], v[129:130], off offset:3072
	s_and_saveexec_b32 s23, vcc_lo
	s_cbranch_execnz .LBB52_94
.LBB52_48:                              ;   in Loop: Header=BB52_38 Depth=1
	s_or_b32 exec_lo, exec_lo, s23
	global_load_b128 v[33:36], v[129:130], off offset:3584
	s_and_saveexec_b32 s23, vcc_lo
	s_cbranch_execnz .LBB52_95
.LBB52_49:                              ;   in Loop: Header=BB52_38 Depth=1
	s_or_b32 exec_lo, exec_lo, s23
	global_load_b128 v[37:40], v[129:130], off offset:4096
	s_and_saveexec_b32 s23, vcc_lo
	s_cbranch_execnz .LBB52_96
.LBB52_50:                              ;   in Loop: Header=BB52_38 Depth=1
	s_or_b32 exec_lo, exec_lo, s23
	global_load_b128 v[41:44], v[129:130], off offset:4608
	s_and_saveexec_b32 s23, vcc_lo
	s_cbranch_execnz .LBB52_97
.LBB52_51:                              ;   in Loop: Header=BB52_38 Depth=1
	s_or_b32 exec_lo, exec_lo, s23
	global_load_b128 v[45:48], v[129:130], off offset:5120
	s_and_saveexec_b32 s23, vcc_lo
	s_cbranch_execnz .LBB52_98
.LBB52_52:                              ;   in Loop: Header=BB52_38 Depth=1
	s_or_b32 exec_lo, exec_lo, s23
	global_load_b128 v[49:52], v[129:130], off offset:5632
	s_and_saveexec_b32 s23, vcc_lo
	s_cbranch_execnz .LBB52_99
.LBB52_53:                              ;   in Loop: Header=BB52_38 Depth=1
	s_or_b32 exec_lo, exec_lo, s23
	global_load_b128 v[53:56], v[129:130], off offset:6144
	s_and_saveexec_b32 s23, vcc_lo
	s_cbranch_execnz .LBB52_100
.LBB52_54:                              ;   in Loop: Header=BB52_38 Depth=1
	s_or_b32 exec_lo, exec_lo, s23
	global_load_b128 v[57:60], v[129:130], off offset:6656
	s_and_saveexec_b32 s23, vcc_lo
	s_cbranch_execnz .LBB52_101
.LBB52_55:                              ;   in Loop: Header=BB52_38 Depth=1
	s_or_b32 exec_lo, exec_lo, s23
	global_load_b128 v[61:64], v[129:130], off offset:7168
	s_and_saveexec_b32 s23, vcc_lo
	s_cbranch_execnz .LBB52_102
.LBB52_56:                              ;   in Loop: Header=BB52_38 Depth=1
	s_or_b32 exec_lo, exec_lo, s23
	global_load_b128 v[65:68], v[129:130], off offset:7680
	s_and_saveexec_b32 s23, vcc_lo
	s_cbranch_execnz .LBB52_103
.LBB52_57:                              ;   in Loop: Header=BB52_38 Depth=1
	s_or_b32 exec_lo, exec_lo, s23
	global_load_b128 v[69:72], v[129:130], off offset:8192
	s_and_saveexec_b32 s23, vcc_lo
	s_cbranch_execnz .LBB52_104
.LBB52_58:                              ;   in Loop: Header=BB52_38 Depth=1
	s_or_b32 exec_lo, exec_lo, s23
	global_load_b128 v[73:76], v[129:130], off offset:8704
	s_and_saveexec_b32 s23, vcc_lo
	s_cbranch_execnz .LBB52_105
.LBB52_59:                              ;   in Loop: Header=BB52_38 Depth=1
	s_or_b32 exec_lo, exec_lo, s23
	global_load_b128 v[77:80], v[129:130], off offset:9216
	s_and_saveexec_b32 s23, vcc_lo
	s_cbranch_execnz .LBB52_106
.LBB52_60:                              ;   in Loop: Header=BB52_38 Depth=1
	s_or_b32 exec_lo, exec_lo, s23
	global_load_b128 v[81:84], v[129:130], off offset:9728
	s_and_saveexec_b32 s23, vcc_lo
	s_cbranch_execnz .LBB52_107
.LBB52_61:                              ;   in Loop: Header=BB52_38 Depth=1
	s_or_b32 exec_lo, exec_lo, s23
	global_load_b128 v[85:88], v[129:130], off offset:10240
	s_and_saveexec_b32 s23, vcc_lo
	s_cbranch_execnz .LBB52_108
.LBB52_62:                              ;   in Loop: Header=BB52_38 Depth=1
	s_or_b32 exec_lo, exec_lo, s23
	global_load_b128 v[89:92], v[129:130], off offset:10752
	s_and_saveexec_b32 s23, vcc_lo
	s_cbranch_execnz .LBB52_109
.LBB52_63:                              ;   in Loop: Header=BB52_38 Depth=1
	s_or_b32 exec_lo, exec_lo, s23
	global_load_b128 v[93:96], v[129:130], off offset:11264
	s_and_saveexec_b32 s23, vcc_lo
	s_cbranch_execnz .LBB52_110
.LBB52_64:                              ;   in Loop: Header=BB52_38 Depth=1
	s_or_b32 exec_lo, exec_lo, s23
	global_load_b128 v[97:100], v[129:130], off offset:11776
	s_and_saveexec_b32 s23, vcc_lo
	s_cbranch_execnz .LBB52_111
.LBB52_65:                              ;   in Loop: Header=BB52_38 Depth=1
	s_or_b32 exec_lo, exec_lo, s23
	global_load_b128 v[101:104], v[129:130], off offset:12288
	s_and_saveexec_b32 s23, vcc_lo
	s_cbranch_execnz .LBB52_112
.LBB52_66:                              ;   in Loop: Header=BB52_38 Depth=1
	s_or_b32 exec_lo, exec_lo, s23
	global_load_b128 v[105:108], v[129:130], off offset:12800
	s_and_saveexec_b32 s23, vcc_lo
	s_cbranch_execnz .LBB52_113
.LBB52_67:                              ;   in Loop: Header=BB52_38 Depth=1
	s_or_b32 exec_lo, exec_lo, s23
	global_load_b128 v[109:112], v[129:130], off offset:13312
	s_and_saveexec_b32 s23, vcc_lo
	s_cbranch_execnz .LBB52_114
.LBB52_68:                              ;   in Loop: Header=BB52_38 Depth=1
	s_or_b32 exec_lo, exec_lo, s23
	global_load_b128 v[113:116], v[129:130], off offset:13824
	s_and_saveexec_b32 s23, vcc_lo
	s_cbranch_execnz .LBB52_115
.LBB52_69:                              ;   in Loop: Header=BB52_38 Depth=1
	s_or_b32 exec_lo, exec_lo, s23
	global_load_b128 v[117:120], v[129:130], off offset:14336
	s_and_saveexec_b32 s23, vcc_lo
	s_cbranch_execnz .LBB52_116
.LBB52_70:                              ;   in Loop: Header=BB52_38 Depth=1
	s_or_b32 exec_lo, exec_lo, s23
	global_load_b128 v[121:124], v[129:130], off offset:14848
	s_and_saveexec_b32 s23, vcc_lo
	s_cbranch_execnz .LBB52_117
.LBB52_71:                              ;   in Loop: Header=BB52_38 Depth=1
	s_or_b32 exec_lo, exec_lo, s23
	global_load_b128 v[125:128], v[129:130], off offset:15360
	s_and_saveexec_b32 s23, vcc_lo
	s_cbranch_execz .LBB52_73
.LBB52_72:                              ;   in Loop: Header=BB52_38 Depth=1
	v_cmp_gt_i32_e64 s0, s31, v190
	s_wait_loadcnt 0x0
	s_wait_alu 0xf1ff
	s_delay_alu instid0(VALU_DEP_1) | instskip(SKIP_2) | instid1(VALU_DEP_1)
	v_cndmask_b32_e64 v125, 0, v125, s0
	v_cmp_gt_i32_e64 s0, s31, v13
	s_wait_alu 0xf1ff
	v_cndmask_b32_e64 v126, 0, v126, s0
	v_cmp_gt_i32_e64 s0, s31, v191
	s_wait_alu 0xf1ff
	s_delay_alu instid0(VALU_DEP_1) | instskip(SKIP_2) | instid1(VALU_DEP_1)
	v_cndmask_b32_e64 v127, 0, v127, s0
	v_cmp_gt_i32_e64 s0, s31, v0
	s_wait_alu 0xf1ff
	v_cndmask_b32_e64 v128, 0, v128, s0
.LBB52_73:                              ;   in Loop: Header=BB52_38 Depth=1
	s_or_b32 exec_lo, exec_lo, s23
	scratch_load_b32 v7, off, off offset:288 ; 4-byte Folded Reload
	s_wait_loadcnt 0x0
	v_add_co_u32 v5, s0, v5, v7
	s_wait_alu 0xf1ff
	v_add_co_ci_u32_e64 v6, null, 0, v6, s0
	global_load_b128 v[133:136], v[5:6], off
	s_and_saveexec_b32 s23, vcc_lo
	s_cbranch_execnz .LBB52_118
; %bb.74:                               ;   in Loop: Header=BB52_38 Depth=1
	s_or_b32 exec_lo, exec_lo, s23
	global_load_b128 v[137:140], v[129:130], off offset:16384
	s_and_saveexec_b32 s23, vcc_lo
	s_cbranch_execnz .LBB52_119
.LBB52_75:                              ;   in Loop: Header=BB52_38 Depth=1
	s_or_b32 exec_lo, exec_lo, s23
	global_load_b128 v[141:144], v[129:130], off offset:16896
	s_and_saveexec_b32 s23, vcc_lo
	s_cbranch_execnz .LBB52_120
.LBB52_76:                              ;   in Loop: Header=BB52_38 Depth=1
	s_or_b32 exec_lo, exec_lo, s23
	global_load_b128 v[145:148], v[129:130], off offset:17408
	s_and_saveexec_b32 s23, vcc_lo
	s_cbranch_execnz .LBB52_121
.LBB52_77:                              ;   in Loop: Header=BB52_38 Depth=1
	s_or_b32 exec_lo, exec_lo, s23
	global_load_b128 v[149:152], v[129:130], off offset:17920
	s_and_saveexec_b32 s23, vcc_lo
	s_cbranch_execnz .LBB52_122
.LBB52_78:                              ;   in Loop: Header=BB52_38 Depth=1
	s_or_b32 exec_lo, exec_lo, s23
	global_load_b128 v[153:156], v[129:130], off offset:18432
	s_and_saveexec_b32 s23, vcc_lo
	s_cbranch_execnz .LBB52_123
.LBB52_79:                              ;   in Loop: Header=BB52_38 Depth=1
	s_or_b32 exec_lo, exec_lo, s23
	global_load_b128 v[157:160], v[129:130], off offset:18944
	s_and_saveexec_b32 s23, vcc_lo
	s_cbranch_execnz .LBB52_124
.LBB52_80:                              ;   in Loop: Header=BB52_38 Depth=1
	s_or_b32 exec_lo, exec_lo, s23
	global_load_b128 v[161:164], v[129:130], off offset:19456
	s_and_saveexec_b32 s23, vcc_lo
	s_cbranch_execnz .LBB52_125
.LBB52_81:                              ;   in Loop: Header=BB52_38 Depth=1
	s_or_b32 exec_lo, exec_lo, s23
	global_load_b128 v[165:168], v[129:130], off offset:19968
	s_and_saveexec_b32 s23, vcc_lo
	s_cbranch_execnz .LBB52_126
.LBB52_82:                              ;   in Loop: Header=BB52_38 Depth=1
	s_or_b32 exec_lo, exec_lo, s23
	global_load_b128 v[169:172], v[129:130], off offset:20480
	s_and_saveexec_b32 s23, vcc_lo
	s_cbranch_execnz .LBB52_127
.LBB52_83:                              ;   in Loop: Header=BB52_38 Depth=1
	s_or_b32 exec_lo, exec_lo, s23
	global_load_b128 v[173:176], v[129:130], off offset:20992
	s_and_saveexec_b32 s23, vcc_lo
	s_cbranch_execnz .LBB52_128
.LBB52_84:                              ;   in Loop: Header=BB52_38 Depth=1
	s_or_b32 exec_lo, exec_lo, s23
	global_load_b128 v[177:180], v[129:130], off offset:21504
	s_and_saveexec_b32 s23, vcc_lo
	s_cbranch_execnz .LBB52_129
.LBB52_85:                              ;   in Loop: Header=BB52_38 Depth=1
	s_or_b32 exec_lo, exec_lo, s23
	global_load_b128 v[181:184], v[129:130], off offset:22016
	s_and_saveexec_b32 s23, vcc_lo
	s_cbranch_execnz .LBB52_130
.LBB52_86:                              ;   in Loop: Header=BB52_38 Depth=1
	s_or_b32 exec_lo, exec_lo, s23
	global_load_b128 v[185:188], v[129:130], off offset:22528
	s_and_saveexec_b32 s23, vcc_lo
	s_cbranch_execnz .LBB52_131
.LBB52_87:                              ;   in Loop: Header=BB52_38 Depth=1
	s_or_b32 exec_lo, exec_lo, s23
	global_load_b128 v[5:8], v[129:130], off offset:23040
	s_and_saveexec_b32 s23, vcc_lo
	s_cbranch_execnz .LBB52_132
.LBB52_88:                              ;   in Loop: Header=BB52_38 Depth=1
	s_or_b32 exec_lo, exec_lo, s23
	global_load_b128 v[9:12], v[129:130], off offset:23552
	s_and_saveexec_b32 s23, vcc_lo
	s_cbranch_execnz .LBB52_133
.LBB52_89:                              ;   in Loop: Header=BB52_38 Depth=1
	s_or_b32 exec_lo, exec_lo, s23
	global_load_b128 v[129:132], v[129:130], off offset:24064
	s_and_saveexec_b32 s0, vcc_lo
	s_cbranch_execz .LBB52_36
	s_branch .LBB52_134
.LBB52_90:                              ;   in Loop: Header=BB52_38 Depth=1
	scratch_load_b128 v[7:10], off, off offset:32 th:TH_LOAD_LU ; 16-byte Folded Reload
	v_cmp_gt_i32_e64 s0, s31, v190
	s_wait_loadcnt 0x0
	s_wait_alu 0xf1ff
	s_delay_alu instid0(VALU_DEP_1) | instskip(SKIP_2) | instid1(VALU_DEP_1)
	v_cndmask_b32_e64 v7, 0, v7, s0
	v_cmp_gt_i32_e64 s0, s31, v13
	s_wait_alu 0xf1ff
	v_cndmask_b32_e64 v8, 0, v8, s0
	v_cmp_gt_i32_e64 s0, s31, v191
	s_wait_alu 0xf1ff
	s_delay_alu instid0(VALU_DEP_1) | instskip(SKIP_2) | instid1(VALU_DEP_1)
	v_cndmask_b32_e64 v9, 0, v9, s0
	v_cmp_gt_i32_e64 s0, s31, v0
	s_wait_alu 0xf1ff
	v_cndmask_b32_e64 v10, 0, v10, s0
	scratch_store_b128 off, v[7:10], off offset:32 ; 16-byte Folded Spill
	s_or_b32 exec_lo, exec_lo, s23
	global_load_b128 v[17:20], v[129:130], off offset:1536
	s_and_saveexec_b32 s23, vcc_lo
	s_cbranch_execz .LBB52_45
.LBB52_91:                              ;   in Loop: Header=BB52_38 Depth=1
	v_cmp_gt_i32_e64 s0, s31, v190
	s_wait_loadcnt 0x0
	s_wait_alu 0xf1ff
	s_delay_alu instid0(VALU_DEP_1) | instskip(SKIP_2) | instid1(VALU_DEP_1)
	v_cndmask_b32_e64 v17, 0, v17, s0
	v_cmp_gt_i32_e64 s0, s31, v13
	s_wait_alu 0xf1ff
	v_cndmask_b32_e64 v18, 0, v18, s0
	v_cmp_gt_i32_e64 s0, s31, v191
	s_wait_alu 0xf1ff
	s_delay_alu instid0(VALU_DEP_1) | instskip(SKIP_2) | instid1(VALU_DEP_1)
	v_cndmask_b32_e64 v19, 0, v19, s0
	v_cmp_gt_i32_e64 s0, s31, v0
	s_wait_alu 0xf1ff
	v_cndmask_b32_e64 v20, 0, v20, s0
	s_or_b32 exec_lo, exec_lo, s23
	global_load_b128 v[21:24], v[129:130], off offset:2048
	s_and_saveexec_b32 s23, vcc_lo
	s_cbranch_execz .LBB52_46
.LBB52_92:                              ;   in Loop: Header=BB52_38 Depth=1
	v_cmp_gt_i32_e64 s0, s31, v190
	s_wait_loadcnt 0x0
	s_wait_alu 0xf1ff
	s_delay_alu instid0(VALU_DEP_1) | instskip(SKIP_2) | instid1(VALU_DEP_1)
	v_cndmask_b32_e64 v21, 0, v21, s0
	v_cmp_gt_i32_e64 s0, s31, v13
	s_wait_alu 0xf1ff
	v_cndmask_b32_e64 v22, 0, v22, s0
	v_cmp_gt_i32_e64 s0, s31, v191
	s_wait_alu 0xf1ff
	s_delay_alu instid0(VALU_DEP_1) | instskip(SKIP_2) | instid1(VALU_DEP_1)
	v_cndmask_b32_e64 v23, 0, v23, s0
	v_cmp_gt_i32_e64 s0, s31, v0
	s_wait_alu 0xf1ff
	v_cndmask_b32_e64 v24, 0, v24, s0
	s_or_b32 exec_lo, exec_lo, s23
	global_load_b128 v[25:28], v[129:130], off offset:2560
	s_and_saveexec_b32 s23, vcc_lo
	s_cbranch_execz .LBB52_47
.LBB52_93:                              ;   in Loop: Header=BB52_38 Depth=1
	v_cmp_gt_i32_e64 s0, s31, v190
	s_wait_loadcnt 0x0
	s_wait_alu 0xf1ff
	s_delay_alu instid0(VALU_DEP_1) | instskip(SKIP_2) | instid1(VALU_DEP_1)
	v_cndmask_b32_e64 v25, 0, v25, s0
	v_cmp_gt_i32_e64 s0, s31, v13
	s_wait_alu 0xf1ff
	v_cndmask_b32_e64 v26, 0, v26, s0
	v_cmp_gt_i32_e64 s0, s31, v191
	s_wait_alu 0xf1ff
	s_delay_alu instid0(VALU_DEP_1) | instskip(SKIP_2) | instid1(VALU_DEP_1)
	v_cndmask_b32_e64 v27, 0, v27, s0
	v_cmp_gt_i32_e64 s0, s31, v0
	s_wait_alu 0xf1ff
	v_cndmask_b32_e64 v28, 0, v28, s0
	s_or_b32 exec_lo, exec_lo, s23
	global_load_b128 v[29:32], v[129:130], off offset:3072
	s_and_saveexec_b32 s23, vcc_lo
	s_cbranch_execz .LBB52_48
.LBB52_94:                              ;   in Loop: Header=BB52_38 Depth=1
	v_cmp_gt_i32_e64 s0, s31, v190
	s_wait_loadcnt 0x0
	s_wait_alu 0xf1ff
	s_delay_alu instid0(VALU_DEP_1) | instskip(SKIP_2) | instid1(VALU_DEP_1)
	v_cndmask_b32_e64 v29, 0, v29, s0
	v_cmp_gt_i32_e64 s0, s31, v13
	s_wait_alu 0xf1ff
	v_cndmask_b32_e64 v30, 0, v30, s0
	v_cmp_gt_i32_e64 s0, s31, v191
	s_wait_alu 0xf1ff
	s_delay_alu instid0(VALU_DEP_1) | instskip(SKIP_2) | instid1(VALU_DEP_1)
	v_cndmask_b32_e64 v31, 0, v31, s0
	v_cmp_gt_i32_e64 s0, s31, v0
	s_wait_alu 0xf1ff
	v_cndmask_b32_e64 v32, 0, v32, s0
	s_or_b32 exec_lo, exec_lo, s23
	global_load_b128 v[33:36], v[129:130], off offset:3584
	s_and_saveexec_b32 s23, vcc_lo
	s_cbranch_execz .LBB52_49
.LBB52_95:                              ;   in Loop: Header=BB52_38 Depth=1
	v_cmp_gt_i32_e64 s0, s31, v190
	s_wait_loadcnt 0x0
	s_wait_alu 0xf1ff
	s_delay_alu instid0(VALU_DEP_1) | instskip(SKIP_2) | instid1(VALU_DEP_1)
	v_cndmask_b32_e64 v33, 0, v33, s0
	v_cmp_gt_i32_e64 s0, s31, v13
	s_wait_alu 0xf1ff
	v_cndmask_b32_e64 v34, 0, v34, s0
	v_cmp_gt_i32_e64 s0, s31, v191
	s_wait_alu 0xf1ff
	s_delay_alu instid0(VALU_DEP_1) | instskip(SKIP_2) | instid1(VALU_DEP_1)
	v_cndmask_b32_e64 v35, 0, v35, s0
	v_cmp_gt_i32_e64 s0, s31, v0
	s_wait_alu 0xf1ff
	v_cndmask_b32_e64 v36, 0, v36, s0
	s_or_b32 exec_lo, exec_lo, s23
	global_load_b128 v[37:40], v[129:130], off offset:4096
	s_and_saveexec_b32 s23, vcc_lo
	s_cbranch_execz .LBB52_50
.LBB52_96:                              ;   in Loop: Header=BB52_38 Depth=1
	v_cmp_gt_i32_e64 s0, s31, v190
	s_wait_loadcnt 0x0
	s_wait_alu 0xf1ff
	s_delay_alu instid0(VALU_DEP_1) | instskip(SKIP_2) | instid1(VALU_DEP_1)
	v_cndmask_b32_e64 v37, 0, v37, s0
	v_cmp_gt_i32_e64 s0, s31, v13
	s_wait_alu 0xf1ff
	v_cndmask_b32_e64 v38, 0, v38, s0
	v_cmp_gt_i32_e64 s0, s31, v191
	s_wait_alu 0xf1ff
	s_delay_alu instid0(VALU_DEP_1) | instskip(SKIP_2) | instid1(VALU_DEP_1)
	v_cndmask_b32_e64 v39, 0, v39, s0
	v_cmp_gt_i32_e64 s0, s31, v0
	s_wait_alu 0xf1ff
	v_cndmask_b32_e64 v40, 0, v40, s0
	s_or_b32 exec_lo, exec_lo, s23
	global_load_b128 v[41:44], v[129:130], off offset:4608
	s_and_saveexec_b32 s23, vcc_lo
	s_cbranch_execz .LBB52_51
.LBB52_97:                              ;   in Loop: Header=BB52_38 Depth=1
	v_cmp_gt_i32_e64 s0, s31, v190
	s_wait_loadcnt 0x0
	s_wait_alu 0xf1ff
	s_delay_alu instid0(VALU_DEP_1) | instskip(SKIP_2) | instid1(VALU_DEP_1)
	v_cndmask_b32_e64 v41, 0, v41, s0
	v_cmp_gt_i32_e64 s0, s31, v13
	s_wait_alu 0xf1ff
	v_cndmask_b32_e64 v42, 0, v42, s0
	v_cmp_gt_i32_e64 s0, s31, v191
	s_wait_alu 0xf1ff
	s_delay_alu instid0(VALU_DEP_1) | instskip(SKIP_2) | instid1(VALU_DEP_1)
	v_cndmask_b32_e64 v43, 0, v43, s0
	v_cmp_gt_i32_e64 s0, s31, v0
	s_wait_alu 0xf1ff
	v_cndmask_b32_e64 v44, 0, v44, s0
	s_or_b32 exec_lo, exec_lo, s23
	global_load_b128 v[45:48], v[129:130], off offset:5120
	s_and_saveexec_b32 s23, vcc_lo
	s_cbranch_execz .LBB52_52
.LBB52_98:                              ;   in Loop: Header=BB52_38 Depth=1
	v_cmp_gt_i32_e64 s0, s31, v190
	s_wait_loadcnt 0x0
	s_wait_alu 0xf1ff
	s_delay_alu instid0(VALU_DEP_1) | instskip(SKIP_2) | instid1(VALU_DEP_1)
	v_cndmask_b32_e64 v45, 0, v45, s0
	v_cmp_gt_i32_e64 s0, s31, v13
	s_wait_alu 0xf1ff
	v_cndmask_b32_e64 v46, 0, v46, s0
	v_cmp_gt_i32_e64 s0, s31, v191
	s_wait_alu 0xf1ff
	s_delay_alu instid0(VALU_DEP_1) | instskip(SKIP_2) | instid1(VALU_DEP_1)
	v_cndmask_b32_e64 v47, 0, v47, s0
	v_cmp_gt_i32_e64 s0, s31, v0
	s_wait_alu 0xf1ff
	v_cndmask_b32_e64 v48, 0, v48, s0
	s_or_b32 exec_lo, exec_lo, s23
	global_load_b128 v[49:52], v[129:130], off offset:5632
	s_and_saveexec_b32 s23, vcc_lo
	s_cbranch_execz .LBB52_53
.LBB52_99:                              ;   in Loop: Header=BB52_38 Depth=1
	v_cmp_gt_i32_e64 s0, s31, v190
	s_wait_loadcnt 0x0
	s_wait_alu 0xf1ff
	s_delay_alu instid0(VALU_DEP_1) | instskip(SKIP_2) | instid1(VALU_DEP_1)
	v_cndmask_b32_e64 v49, 0, v49, s0
	v_cmp_gt_i32_e64 s0, s31, v13
	s_wait_alu 0xf1ff
	v_cndmask_b32_e64 v50, 0, v50, s0
	v_cmp_gt_i32_e64 s0, s31, v191
	s_wait_alu 0xf1ff
	s_delay_alu instid0(VALU_DEP_1) | instskip(SKIP_2) | instid1(VALU_DEP_1)
	v_cndmask_b32_e64 v51, 0, v51, s0
	v_cmp_gt_i32_e64 s0, s31, v0
	s_wait_alu 0xf1ff
	v_cndmask_b32_e64 v52, 0, v52, s0
	s_or_b32 exec_lo, exec_lo, s23
	global_load_b128 v[53:56], v[129:130], off offset:6144
	s_and_saveexec_b32 s23, vcc_lo
	s_cbranch_execz .LBB52_54
.LBB52_100:                             ;   in Loop: Header=BB52_38 Depth=1
	v_cmp_gt_i32_e64 s0, s31, v190
	s_wait_loadcnt 0x0
	s_wait_alu 0xf1ff
	s_delay_alu instid0(VALU_DEP_1) | instskip(SKIP_2) | instid1(VALU_DEP_1)
	v_cndmask_b32_e64 v53, 0, v53, s0
	v_cmp_gt_i32_e64 s0, s31, v13
	s_wait_alu 0xf1ff
	v_cndmask_b32_e64 v54, 0, v54, s0
	v_cmp_gt_i32_e64 s0, s31, v191
	s_wait_alu 0xf1ff
	s_delay_alu instid0(VALU_DEP_1) | instskip(SKIP_2) | instid1(VALU_DEP_1)
	v_cndmask_b32_e64 v55, 0, v55, s0
	v_cmp_gt_i32_e64 s0, s31, v0
	s_wait_alu 0xf1ff
	v_cndmask_b32_e64 v56, 0, v56, s0
	s_or_b32 exec_lo, exec_lo, s23
	global_load_b128 v[57:60], v[129:130], off offset:6656
	s_and_saveexec_b32 s23, vcc_lo
	s_cbranch_execz .LBB52_55
.LBB52_101:                             ;   in Loop: Header=BB52_38 Depth=1
	v_cmp_gt_i32_e64 s0, s31, v190
	s_wait_loadcnt 0x0
	s_wait_alu 0xf1ff
	s_delay_alu instid0(VALU_DEP_1) | instskip(SKIP_2) | instid1(VALU_DEP_1)
	v_cndmask_b32_e64 v57, 0, v57, s0
	v_cmp_gt_i32_e64 s0, s31, v13
	s_wait_alu 0xf1ff
	v_cndmask_b32_e64 v58, 0, v58, s0
	v_cmp_gt_i32_e64 s0, s31, v191
	s_wait_alu 0xf1ff
	s_delay_alu instid0(VALU_DEP_1) | instskip(SKIP_2) | instid1(VALU_DEP_1)
	v_cndmask_b32_e64 v59, 0, v59, s0
	v_cmp_gt_i32_e64 s0, s31, v0
	s_wait_alu 0xf1ff
	v_cndmask_b32_e64 v60, 0, v60, s0
	s_or_b32 exec_lo, exec_lo, s23
	global_load_b128 v[61:64], v[129:130], off offset:7168
	s_and_saveexec_b32 s23, vcc_lo
	s_cbranch_execz .LBB52_56
.LBB52_102:                             ;   in Loop: Header=BB52_38 Depth=1
	v_cmp_gt_i32_e64 s0, s31, v190
	s_wait_loadcnt 0x0
	s_wait_alu 0xf1ff
	s_delay_alu instid0(VALU_DEP_1) | instskip(SKIP_2) | instid1(VALU_DEP_1)
	v_cndmask_b32_e64 v61, 0, v61, s0
	v_cmp_gt_i32_e64 s0, s31, v13
	s_wait_alu 0xf1ff
	v_cndmask_b32_e64 v62, 0, v62, s0
	v_cmp_gt_i32_e64 s0, s31, v191
	s_wait_alu 0xf1ff
	s_delay_alu instid0(VALU_DEP_1) | instskip(SKIP_2) | instid1(VALU_DEP_1)
	v_cndmask_b32_e64 v63, 0, v63, s0
	v_cmp_gt_i32_e64 s0, s31, v0
	s_wait_alu 0xf1ff
	v_cndmask_b32_e64 v64, 0, v64, s0
	s_or_b32 exec_lo, exec_lo, s23
	global_load_b128 v[65:68], v[129:130], off offset:7680
	s_and_saveexec_b32 s23, vcc_lo
	s_cbranch_execz .LBB52_57
.LBB52_103:                             ;   in Loop: Header=BB52_38 Depth=1
	v_cmp_gt_i32_e64 s0, s31, v190
	s_wait_loadcnt 0x0
	s_wait_alu 0xf1ff
	s_delay_alu instid0(VALU_DEP_1) | instskip(SKIP_2) | instid1(VALU_DEP_1)
	v_cndmask_b32_e64 v65, 0, v65, s0
	v_cmp_gt_i32_e64 s0, s31, v13
	s_wait_alu 0xf1ff
	v_cndmask_b32_e64 v66, 0, v66, s0
	v_cmp_gt_i32_e64 s0, s31, v191
	s_wait_alu 0xf1ff
	s_delay_alu instid0(VALU_DEP_1) | instskip(SKIP_2) | instid1(VALU_DEP_1)
	v_cndmask_b32_e64 v67, 0, v67, s0
	v_cmp_gt_i32_e64 s0, s31, v0
	s_wait_alu 0xf1ff
	v_cndmask_b32_e64 v68, 0, v68, s0
	s_or_b32 exec_lo, exec_lo, s23
	global_load_b128 v[69:72], v[129:130], off offset:8192
	s_and_saveexec_b32 s23, vcc_lo
	s_cbranch_execz .LBB52_58
.LBB52_104:                             ;   in Loop: Header=BB52_38 Depth=1
	v_cmp_gt_i32_e64 s0, s31, v190
	s_wait_loadcnt 0x0
	s_wait_alu 0xf1ff
	s_delay_alu instid0(VALU_DEP_1) | instskip(SKIP_2) | instid1(VALU_DEP_1)
	v_cndmask_b32_e64 v69, 0, v69, s0
	v_cmp_gt_i32_e64 s0, s31, v13
	s_wait_alu 0xf1ff
	v_cndmask_b32_e64 v70, 0, v70, s0
	v_cmp_gt_i32_e64 s0, s31, v191
	s_wait_alu 0xf1ff
	s_delay_alu instid0(VALU_DEP_1) | instskip(SKIP_2) | instid1(VALU_DEP_1)
	v_cndmask_b32_e64 v71, 0, v71, s0
	v_cmp_gt_i32_e64 s0, s31, v0
	s_wait_alu 0xf1ff
	v_cndmask_b32_e64 v72, 0, v72, s0
	s_or_b32 exec_lo, exec_lo, s23
	global_load_b128 v[73:76], v[129:130], off offset:8704
	s_and_saveexec_b32 s23, vcc_lo
	s_cbranch_execz .LBB52_59
.LBB52_105:                             ;   in Loop: Header=BB52_38 Depth=1
	v_cmp_gt_i32_e64 s0, s31, v190
	s_wait_loadcnt 0x0
	s_wait_alu 0xf1ff
	s_delay_alu instid0(VALU_DEP_1) | instskip(SKIP_2) | instid1(VALU_DEP_1)
	v_cndmask_b32_e64 v73, 0, v73, s0
	v_cmp_gt_i32_e64 s0, s31, v13
	s_wait_alu 0xf1ff
	v_cndmask_b32_e64 v74, 0, v74, s0
	v_cmp_gt_i32_e64 s0, s31, v191
	s_wait_alu 0xf1ff
	s_delay_alu instid0(VALU_DEP_1) | instskip(SKIP_2) | instid1(VALU_DEP_1)
	v_cndmask_b32_e64 v75, 0, v75, s0
	v_cmp_gt_i32_e64 s0, s31, v0
	s_wait_alu 0xf1ff
	v_cndmask_b32_e64 v76, 0, v76, s0
	s_or_b32 exec_lo, exec_lo, s23
	global_load_b128 v[77:80], v[129:130], off offset:9216
	s_and_saveexec_b32 s23, vcc_lo
	s_cbranch_execz .LBB52_60
.LBB52_106:                             ;   in Loop: Header=BB52_38 Depth=1
	v_cmp_gt_i32_e64 s0, s31, v190
	s_wait_loadcnt 0x0
	s_wait_alu 0xf1ff
	s_delay_alu instid0(VALU_DEP_1) | instskip(SKIP_2) | instid1(VALU_DEP_1)
	v_cndmask_b32_e64 v77, 0, v77, s0
	v_cmp_gt_i32_e64 s0, s31, v13
	s_wait_alu 0xf1ff
	v_cndmask_b32_e64 v78, 0, v78, s0
	v_cmp_gt_i32_e64 s0, s31, v191
	s_wait_alu 0xf1ff
	s_delay_alu instid0(VALU_DEP_1) | instskip(SKIP_2) | instid1(VALU_DEP_1)
	v_cndmask_b32_e64 v79, 0, v79, s0
	v_cmp_gt_i32_e64 s0, s31, v0
	s_wait_alu 0xf1ff
	v_cndmask_b32_e64 v80, 0, v80, s0
	s_or_b32 exec_lo, exec_lo, s23
	global_load_b128 v[81:84], v[129:130], off offset:9728
	s_and_saveexec_b32 s23, vcc_lo
	s_cbranch_execz .LBB52_61
.LBB52_107:                             ;   in Loop: Header=BB52_38 Depth=1
	v_cmp_gt_i32_e64 s0, s31, v190
	s_wait_loadcnt 0x0
	s_wait_alu 0xf1ff
	s_delay_alu instid0(VALU_DEP_1) | instskip(SKIP_2) | instid1(VALU_DEP_1)
	v_cndmask_b32_e64 v81, 0, v81, s0
	v_cmp_gt_i32_e64 s0, s31, v13
	s_wait_alu 0xf1ff
	v_cndmask_b32_e64 v82, 0, v82, s0
	v_cmp_gt_i32_e64 s0, s31, v191
	s_wait_alu 0xf1ff
	s_delay_alu instid0(VALU_DEP_1) | instskip(SKIP_2) | instid1(VALU_DEP_1)
	v_cndmask_b32_e64 v83, 0, v83, s0
	v_cmp_gt_i32_e64 s0, s31, v0
	s_wait_alu 0xf1ff
	v_cndmask_b32_e64 v84, 0, v84, s0
	s_or_b32 exec_lo, exec_lo, s23
	global_load_b128 v[85:88], v[129:130], off offset:10240
	s_and_saveexec_b32 s23, vcc_lo
	s_cbranch_execz .LBB52_62
.LBB52_108:                             ;   in Loop: Header=BB52_38 Depth=1
	v_cmp_gt_i32_e64 s0, s31, v190
	s_wait_loadcnt 0x0
	s_wait_alu 0xf1ff
	s_delay_alu instid0(VALU_DEP_1) | instskip(SKIP_2) | instid1(VALU_DEP_1)
	v_cndmask_b32_e64 v85, 0, v85, s0
	v_cmp_gt_i32_e64 s0, s31, v13
	s_wait_alu 0xf1ff
	v_cndmask_b32_e64 v86, 0, v86, s0
	v_cmp_gt_i32_e64 s0, s31, v191
	s_wait_alu 0xf1ff
	s_delay_alu instid0(VALU_DEP_1) | instskip(SKIP_2) | instid1(VALU_DEP_1)
	v_cndmask_b32_e64 v87, 0, v87, s0
	v_cmp_gt_i32_e64 s0, s31, v0
	s_wait_alu 0xf1ff
	v_cndmask_b32_e64 v88, 0, v88, s0
	s_or_b32 exec_lo, exec_lo, s23
	global_load_b128 v[89:92], v[129:130], off offset:10752
	s_and_saveexec_b32 s23, vcc_lo
	s_cbranch_execz .LBB52_63
.LBB52_109:                             ;   in Loop: Header=BB52_38 Depth=1
	v_cmp_gt_i32_e64 s0, s31, v190
	s_wait_loadcnt 0x0
	s_wait_alu 0xf1ff
	s_delay_alu instid0(VALU_DEP_1) | instskip(SKIP_2) | instid1(VALU_DEP_1)
	v_cndmask_b32_e64 v89, 0, v89, s0
	v_cmp_gt_i32_e64 s0, s31, v13
	s_wait_alu 0xf1ff
	v_cndmask_b32_e64 v90, 0, v90, s0
	v_cmp_gt_i32_e64 s0, s31, v191
	s_wait_alu 0xf1ff
	s_delay_alu instid0(VALU_DEP_1) | instskip(SKIP_2) | instid1(VALU_DEP_1)
	v_cndmask_b32_e64 v91, 0, v91, s0
	v_cmp_gt_i32_e64 s0, s31, v0
	s_wait_alu 0xf1ff
	v_cndmask_b32_e64 v92, 0, v92, s0
	s_or_b32 exec_lo, exec_lo, s23
	global_load_b128 v[93:96], v[129:130], off offset:11264
	s_and_saveexec_b32 s23, vcc_lo
	s_cbranch_execz .LBB52_64
.LBB52_110:                             ;   in Loop: Header=BB52_38 Depth=1
	v_cmp_gt_i32_e64 s0, s31, v190
	s_wait_loadcnt 0x0
	s_wait_alu 0xf1ff
	s_delay_alu instid0(VALU_DEP_1) | instskip(SKIP_2) | instid1(VALU_DEP_1)
	v_cndmask_b32_e64 v93, 0, v93, s0
	v_cmp_gt_i32_e64 s0, s31, v13
	s_wait_alu 0xf1ff
	v_cndmask_b32_e64 v94, 0, v94, s0
	v_cmp_gt_i32_e64 s0, s31, v191
	s_wait_alu 0xf1ff
	s_delay_alu instid0(VALU_DEP_1) | instskip(SKIP_2) | instid1(VALU_DEP_1)
	v_cndmask_b32_e64 v95, 0, v95, s0
	v_cmp_gt_i32_e64 s0, s31, v0
	s_wait_alu 0xf1ff
	v_cndmask_b32_e64 v96, 0, v96, s0
	s_or_b32 exec_lo, exec_lo, s23
	global_load_b128 v[97:100], v[129:130], off offset:11776
	s_and_saveexec_b32 s23, vcc_lo
	s_cbranch_execz .LBB52_65
.LBB52_111:                             ;   in Loop: Header=BB52_38 Depth=1
	v_cmp_gt_i32_e64 s0, s31, v190
	s_wait_loadcnt 0x0
	s_wait_alu 0xf1ff
	s_delay_alu instid0(VALU_DEP_1) | instskip(SKIP_2) | instid1(VALU_DEP_1)
	v_cndmask_b32_e64 v97, 0, v97, s0
	v_cmp_gt_i32_e64 s0, s31, v13
	s_wait_alu 0xf1ff
	v_cndmask_b32_e64 v98, 0, v98, s0
	v_cmp_gt_i32_e64 s0, s31, v191
	s_wait_alu 0xf1ff
	s_delay_alu instid0(VALU_DEP_1) | instskip(SKIP_2) | instid1(VALU_DEP_1)
	v_cndmask_b32_e64 v99, 0, v99, s0
	v_cmp_gt_i32_e64 s0, s31, v0
	s_wait_alu 0xf1ff
	v_cndmask_b32_e64 v100, 0, v100, s0
	s_or_b32 exec_lo, exec_lo, s23
	global_load_b128 v[101:104], v[129:130], off offset:12288
	s_and_saveexec_b32 s23, vcc_lo
	s_cbranch_execz .LBB52_66
.LBB52_112:                             ;   in Loop: Header=BB52_38 Depth=1
	v_cmp_gt_i32_e64 s0, s31, v190
	s_wait_loadcnt 0x0
	s_wait_alu 0xf1ff
	s_delay_alu instid0(VALU_DEP_1) | instskip(SKIP_2) | instid1(VALU_DEP_1)
	v_cndmask_b32_e64 v101, 0, v101, s0
	v_cmp_gt_i32_e64 s0, s31, v13
	s_wait_alu 0xf1ff
	v_cndmask_b32_e64 v102, 0, v102, s0
	v_cmp_gt_i32_e64 s0, s31, v191
	s_wait_alu 0xf1ff
	s_delay_alu instid0(VALU_DEP_1) | instskip(SKIP_2) | instid1(VALU_DEP_1)
	v_cndmask_b32_e64 v103, 0, v103, s0
	v_cmp_gt_i32_e64 s0, s31, v0
	s_wait_alu 0xf1ff
	v_cndmask_b32_e64 v104, 0, v104, s0
	s_or_b32 exec_lo, exec_lo, s23
	global_load_b128 v[105:108], v[129:130], off offset:12800
	s_and_saveexec_b32 s23, vcc_lo
	s_cbranch_execz .LBB52_67
.LBB52_113:                             ;   in Loop: Header=BB52_38 Depth=1
	v_cmp_gt_i32_e64 s0, s31, v190
	s_wait_loadcnt 0x0
	s_wait_alu 0xf1ff
	s_delay_alu instid0(VALU_DEP_1) | instskip(SKIP_2) | instid1(VALU_DEP_1)
	v_cndmask_b32_e64 v105, 0, v105, s0
	v_cmp_gt_i32_e64 s0, s31, v13
	s_wait_alu 0xf1ff
	v_cndmask_b32_e64 v106, 0, v106, s0
	v_cmp_gt_i32_e64 s0, s31, v191
	s_wait_alu 0xf1ff
	s_delay_alu instid0(VALU_DEP_1) | instskip(SKIP_2) | instid1(VALU_DEP_1)
	v_cndmask_b32_e64 v107, 0, v107, s0
	v_cmp_gt_i32_e64 s0, s31, v0
	s_wait_alu 0xf1ff
	v_cndmask_b32_e64 v108, 0, v108, s0
	s_or_b32 exec_lo, exec_lo, s23
	global_load_b128 v[109:112], v[129:130], off offset:13312
	s_and_saveexec_b32 s23, vcc_lo
	s_cbranch_execz .LBB52_68
.LBB52_114:                             ;   in Loop: Header=BB52_38 Depth=1
	v_cmp_gt_i32_e64 s0, s31, v190
	s_wait_loadcnt 0x0
	s_wait_alu 0xf1ff
	s_delay_alu instid0(VALU_DEP_1) | instskip(SKIP_2) | instid1(VALU_DEP_1)
	v_cndmask_b32_e64 v109, 0, v109, s0
	v_cmp_gt_i32_e64 s0, s31, v13
	s_wait_alu 0xf1ff
	v_cndmask_b32_e64 v110, 0, v110, s0
	v_cmp_gt_i32_e64 s0, s31, v191
	s_wait_alu 0xf1ff
	s_delay_alu instid0(VALU_DEP_1) | instskip(SKIP_2) | instid1(VALU_DEP_1)
	v_cndmask_b32_e64 v111, 0, v111, s0
	v_cmp_gt_i32_e64 s0, s31, v0
	s_wait_alu 0xf1ff
	v_cndmask_b32_e64 v112, 0, v112, s0
	s_or_b32 exec_lo, exec_lo, s23
	global_load_b128 v[113:116], v[129:130], off offset:13824
	s_and_saveexec_b32 s23, vcc_lo
	s_cbranch_execz .LBB52_69
.LBB52_115:                             ;   in Loop: Header=BB52_38 Depth=1
	v_cmp_gt_i32_e64 s0, s31, v190
	s_wait_loadcnt 0x0
	s_wait_alu 0xf1ff
	s_delay_alu instid0(VALU_DEP_1) | instskip(SKIP_2) | instid1(VALU_DEP_1)
	v_cndmask_b32_e64 v113, 0, v113, s0
	v_cmp_gt_i32_e64 s0, s31, v13
	s_wait_alu 0xf1ff
	v_cndmask_b32_e64 v114, 0, v114, s0
	v_cmp_gt_i32_e64 s0, s31, v191
	s_wait_alu 0xf1ff
	s_delay_alu instid0(VALU_DEP_1) | instskip(SKIP_2) | instid1(VALU_DEP_1)
	v_cndmask_b32_e64 v115, 0, v115, s0
	v_cmp_gt_i32_e64 s0, s31, v0
	s_wait_alu 0xf1ff
	v_cndmask_b32_e64 v116, 0, v116, s0
	s_or_b32 exec_lo, exec_lo, s23
	global_load_b128 v[117:120], v[129:130], off offset:14336
	s_and_saveexec_b32 s23, vcc_lo
	s_cbranch_execz .LBB52_70
.LBB52_116:                             ;   in Loop: Header=BB52_38 Depth=1
	v_cmp_gt_i32_e64 s0, s31, v190
	s_wait_loadcnt 0x0
	s_wait_alu 0xf1ff
	s_delay_alu instid0(VALU_DEP_1) | instskip(SKIP_2) | instid1(VALU_DEP_1)
	v_cndmask_b32_e64 v117, 0, v117, s0
	v_cmp_gt_i32_e64 s0, s31, v13
	s_wait_alu 0xf1ff
	v_cndmask_b32_e64 v118, 0, v118, s0
	v_cmp_gt_i32_e64 s0, s31, v191
	s_wait_alu 0xf1ff
	s_delay_alu instid0(VALU_DEP_1) | instskip(SKIP_2) | instid1(VALU_DEP_1)
	v_cndmask_b32_e64 v119, 0, v119, s0
	v_cmp_gt_i32_e64 s0, s31, v0
	s_wait_alu 0xf1ff
	v_cndmask_b32_e64 v120, 0, v120, s0
	s_or_b32 exec_lo, exec_lo, s23
	global_load_b128 v[121:124], v[129:130], off offset:14848
	s_and_saveexec_b32 s23, vcc_lo
	s_cbranch_execz .LBB52_71
.LBB52_117:                             ;   in Loop: Header=BB52_38 Depth=1
	v_cmp_gt_i32_e64 s0, s31, v190
	s_wait_loadcnt 0x0
	s_wait_alu 0xf1ff
	s_delay_alu instid0(VALU_DEP_1) | instskip(SKIP_2) | instid1(VALU_DEP_1)
	v_cndmask_b32_e64 v121, 0, v121, s0
	v_cmp_gt_i32_e64 s0, s31, v13
	s_wait_alu 0xf1ff
	v_cndmask_b32_e64 v122, 0, v122, s0
	v_cmp_gt_i32_e64 s0, s31, v191
	s_wait_alu 0xf1ff
	s_delay_alu instid0(VALU_DEP_1) | instskip(SKIP_2) | instid1(VALU_DEP_1)
	v_cndmask_b32_e64 v123, 0, v123, s0
	v_cmp_gt_i32_e64 s0, s31, v0
	s_wait_alu 0xf1ff
	v_cndmask_b32_e64 v124, 0, v124, s0
	s_or_b32 exec_lo, exec_lo, s23
	global_load_b128 v[125:128], v[129:130], off offset:15360
	s_and_saveexec_b32 s23, vcc_lo
	s_cbranch_execnz .LBB52_72
	s_branch .LBB52_73
.LBB52_118:                             ;   in Loop: Header=BB52_38 Depth=1
	v_cmp_gt_i32_e64 s0, s31, v190
	s_wait_loadcnt 0x0
	s_wait_alu 0xf1ff
	s_delay_alu instid0(VALU_DEP_1) | instskip(SKIP_2) | instid1(VALU_DEP_1)
	v_cndmask_b32_e64 v133, 0, v133, s0
	v_cmp_gt_i32_e64 s0, s31, v13
	s_wait_alu 0xf1ff
	v_cndmask_b32_e64 v134, 0, v134, s0
	v_cmp_gt_i32_e64 s0, s31, v191
	s_wait_alu 0xf1ff
	s_delay_alu instid0(VALU_DEP_1) | instskip(SKIP_2) | instid1(VALU_DEP_1)
	v_cndmask_b32_e64 v135, 0, v135, s0
	v_cmp_gt_i32_e64 s0, s31, v0
	s_wait_alu 0xf1ff
	v_cndmask_b32_e64 v136, 0, v136, s0
	s_or_b32 exec_lo, exec_lo, s23
	global_load_b128 v[137:140], v[129:130], off offset:16384
	s_and_saveexec_b32 s23, vcc_lo
	s_cbranch_execz .LBB52_75
.LBB52_119:                             ;   in Loop: Header=BB52_38 Depth=1
	v_cmp_gt_i32_e64 s0, s31, v190
	s_wait_loadcnt 0x0
	s_wait_alu 0xf1ff
	s_delay_alu instid0(VALU_DEP_1) | instskip(SKIP_2) | instid1(VALU_DEP_1)
	v_cndmask_b32_e64 v137, 0, v137, s0
	v_cmp_gt_i32_e64 s0, s31, v13
	s_wait_alu 0xf1ff
	v_cndmask_b32_e64 v138, 0, v138, s0
	v_cmp_gt_i32_e64 s0, s31, v191
	s_wait_alu 0xf1ff
	s_delay_alu instid0(VALU_DEP_1) | instskip(SKIP_2) | instid1(VALU_DEP_1)
	v_cndmask_b32_e64 v139, 0, v139, s0
	v_cmp_gt_i32_e64 s0, s31, v0
	s_wait_alu 0xf1ff
	v_cndmask_b32_e64 v140, 0, v140, s0
	s_or_b32 exec_lo, exec_lo, s23
	global_load_b128 v[141:144], v[129:130], off offset:16896
	s_and_saveexec_b32 s23, vcc_lo
	s_cbranch_execz .LBB52_76
.LBB52_120:                             ;   in Loop: Header=BB52_38 Depth=1
	v_cmp_gt_i32_e64 s0, s31, v190
	s_wait_loadcnt 0x0
	s_wait_alu 0xf1ff
	s_delay_alu instid0(VALU_DEP_1) | instskip(SKIP_2) | instid1(VALU_DEP_1)
	v_cndmask_b32_e64 v141, 0, v141, s0
	v_cmp_gt_i32_e64 s0, s31, v13
	s_wait_alu 0xf1ff
	v_cndmask_b32_e64 v142, 0, v142, s0
	v_cmp_gt_i32_e64 s0, s31, v191
	s_wait_alu 0xf1ff
	s_delay_alu instid0(VALU_DEP_1) | instskip(SKIP_2) | instid1(VALU_DEP_1)
	v_cndmask_b32_e64 v143, 0, v143, s0
	v_cmp_gt_i32_e64 s0, s31, v0
	s_wait_alu 0xf1ff
	v_cndmask_b32_e64 v144, 0, v144, s0
	s_or_b32 exec_lo, exec_lo, s23
	global_load_b128 v[145:148], v[129:130], off offset:17408
	s_and_saveexec_b32 s23, vcc_lo
	s_cbranch_execz .LBB52_77
.LBB52_121:                             ;   in Loop: Header=BB52_38 Depth=1
	v_cmp_gt_i32_e64 s0, s31, v190
	s_wait_loadcnt 0x0
	s_wait_alu 0xf1ff
	s_delay_alu instid0(VALU_DEP_1) | instskip(SKIP_2) | instid1(VALU_DEP_1)
	v_cndmask_b32_e64 v145, 0, v145, s0
	v_cmp_gt_i32_e64 s0, s31, v13
	s_wait_alu 0xf1ff
	v_cndmask_b32_e64 v146, 0, v146, s0
	v_cmp_gt_i32_e64 s0, s31, v191
	s_wait_alu 0xf1ff
	s_delay_alu instid0(VALU_DEP_1) | instskip(SKIP_2) | instid1(VALU_DEP_1)
	v_cndmask_b32_e64 v147, 0, v147, s0
	v_cmp_gt_i32_e64 s0, s31, v0
	s_wait_alu 0xf1ff
	v_cndmask_b32_e64 v148, 0, v148, s0
	s_or_b32 exec_lo, exec_lo, s23
	global_load_b128 v[149:152], v[129:130], off offset:17920
	s_and_saveexec_b32 s23, vcc_lo
	s_cbranch_execz .LBB52_78
.LBB52_122:                             ;   in Loop: Header=BB52_38 Depth=1
	v_cmp_gt_i32_e64 s0, s31, v190
	s_wait_loadcnt 0x0
	s_wait_alu 0xf1ff
	s_delay_alu instid0(VALU_DEP_1) | instskip(SKIP_2) | instid1(VALU_DEP_1)
	v_cndmask_b32_e64 v149, 0, v149, s0
	v_cmp_gt_i32_e64 s0, s31, v13
	s_wait_alu 0xf1ff
	v_cndmask_b32_e64 v150, 0, v150, s0
	v_cmp_gt_i32_e64 s0, s31, v191
	s_wait_alu 0xf1ff
	s_delay_alu instid0(VALU_DEP_1) | instskip(SKIP_2) | instid1(VALU_DEP_1)
	v_cndmask_b32_e64 v151, 0, v151, s0
	v_cmp_gt_i32_e64 s0, s31, v0
	s_wait_alu 0xf1ff
	v_cndmask_b32_e64 v152, 0, v152, s0
	s_or_b32 exec_lo, exec_lo, s23
	global_load_b128 v[153:156], v[129:130], off offset:18432
	s_and_saveexec_b32 s23, vcc_lo
	s_cbranch_execz .LBB52_79
.LBB52_123:                             ;   in Loop: Header=BB52_38 Depth=1
	v_cmp_gt_i32_e64 s0, s31, v190
	s_wait_loadcnt 0x0
	s_wait_alu 0xf1ff
	s_delay_alu instid0(VALU_DEP_1) | instskip(SKIP_2) | instid1(VALU_DEP_1)
	v_cndmask_b32_e64 v153, 0, v153, s0
	v_cmp_gt_i32_e64 s0, s31, v13
	s_wait_alu 0xf1ff
	v_cndmask_b32_e64 v154, 0, v154, s0
	v_cmp_gt_i32_e64 s0, s31, v191
	s_wait_alu 0xf1ff
	s_delay_alu instid0(VALU_DEP_1) | instskip(SKIP_2) | instid1(VALU_DEP_1)
	v_cndmask_b32_e64 v155, 0, v155, s0
	v_cmp_gt_i32_e64 s0, s31, v0
	s_wait_alu 0xf1ff
	v_cndmask_b32_e64 v156, 0, v156, s0
	s_or_b32 exec_lo, exec_lo, s23
	global_load_b128 v[157:160], v[129:130], off offset:18944
	s_and_saveexec_b32 s23, vcc_lo
	s_cbranch_execz .LBB52_80
.LBB52_124:                             ;   in Loop: Header=BB52_38 Depth=1
	v_cmp_gt_i32_e64 s0, s31, v190
	s_wait_loadcnt 0x0
	s_wait_alu 0xf1ff
	s_delay_alu instid0(VALU_DEP_1) | instskip(SKIP_2) | instid1(VALU_DEP_1)
	v_cndmask_b32_e64 v157, 0, v157, s0
	v_cmp_gt_i32_e64 s0, s31, v13
	s_wait_alu 0xf1ff
	v_cndmask_b32_e64 v158, 0, v158, s0
	v_cmp_gt_i32_e64 s0, s31, v191
	s_wait_alu 0xf1ff
	s_delay_alu instid0(VALU_DEP_1) | instskip(SKIP_2) | instid1(VALU_DEP_1)
	v_cndmask_b32_e64 v159, 0, v159, s0
	v_cmp_gt_i32_e64 s0, s31, v0
	s_wait_alu 0xf1ff
	v_cndmask_b32_e64 v160, 0, v160, s0
	s_or_b32 exec_lo, exec_lo, s23
	global_load_b128 v[161:164], v[129:130], off offset:19456
	s_and_saveexec_b32 s23, vcc_lo
	s_cbranch_execz .LBB52_81
.LBB52_125:                             ;   in Loop: Header=BB52_38 Depth=1
	v_cmp_gt_i32_e64 s0, s31, v190
	s_wait_loadcnt 0x0
	s_wait_alu 0xf1ff
	s_delay_alu instid0(VALU_DEP_1) | instskip(SKIP_2) | instid1(VALU_DEP_1)
	v_cndmask_b32_e64 v161, 0, v161, s0
	v_cmp_gt_i32_e64 s0, s31, v13
	s_wait_alu 0xf1ff
	v_cndmask_b32_e64 v162, 0, v162, s0
	v_cmp_gt_i32_e64 s0, s31, v191
	s_wait_alu 0xf1ff
	s_delay_alu instid0(VALU_DEP_1) | instskip(SKIP_2) | instid1(VALU_DEP_1)
	v_cndmask_b32_e64 v163, 0, v163, s0
	v_cmp_gt_i32_e64 s0, s31, v0
	s_wait_alu 0xf1ff
	v_cndmask_b32_e64 v164, 0, v164, s0
	s_or_b32 exec_lo, exec_lo, s23
	global_load_b128 v[165:168], v[129:130], off offset:19968
	s_and_saveexec_b32 s23, vcc_lo
	s_cbranch_execz .LBB52_82
.LBB52_126:                             ;   in Loop: Header=BB52_38 Depth=1
	v_cmp_gt_i32_e64 s0, s31, v190
	s_wait_loadcnt 0x0
	s_wait_alu 0xf1ff
	s_delay_alu instid0(VALU_DEP_1) | instskip(SKIP_2) | instid1(VALU_DEP_1)
	v_cndmask_b32_e64 v165, 0, v165, s0
	v_cmp_gt_i32_e64 s0, s31, v13
	s_wait_alu 0xf1ff
	v_cndmask_b32_e64 v166, 0, v166, s0
	v_cmp_gt_i32_e64 s0, s31, v191
	s_wait_alu 0xf1ff
	s_delay_alu instid0(VALU_DEP_1) | instskip(SKIP_2) | instid1(VALU_DEP_1)
	v_cndmask_b32_e64 v167, 0, v167, s0
	v_cmp_gt_i32_e64 s0, s31, v0
	s_wait_alu 0xf1ff
	v_cndmask_b32_e64 v168, 0, v168, s0
	s_or_b32 exec_lo, exec_lo, s23
	global_load_b128 v[169:172], v[129:130], off offset:20480
	s_and_saveexec_b32 s23, vcc_lo
	s_cbranch_execz .LBB52_83
.LBB52_127:                             ;   in Loop: Header=BB52_38 Depth=1
	v_cmp_gt_i32_e64 s0, s31, v190
	s_wait_loadcnt 0x0
	s_wait_alu 0xf1ff
	s_delay_alu instid0(VALU_DEP_1) | instskip(SKIP_2) | instid1(VALU_DEP_1)
	v_cndmask_b32_e64 v169, 0, v169, s0
	v_cmp_gt_i32_e64 s0, s31, v13
	s_wait_alu 0xf1ff
	v_cndmask_b32_e64 v170, 0, v170, s0
	v_cmp_gt_i32_e64 s0, s31, v191
	s_wait_alu 0xf1ff
	s_delay_alu instid0(VALU_DEP_1) | instskip(SKIP_2) | instid1(VALU_DEP_1)
	v_cndmask_b32_e64 v171, 0, v171, s0
	v_cmp_gt_i32_e64 s0, s31, v0
	s_wait_alu 0xf1ff
	v_cndmask_b32_e64 v172, 0, v172, s0
	s_or_b32 exec_lo, exec_lo, s23
	global_load_b128 v[173:176], v[129:130], off offset:20992
	s_and_saveexec_b32 s23, vcc_lo
	s_cbranch_execz .LBB52_84
.LBB52_128:                             ;   in Loop: Header=BB52_38 Depth=1
	v_cmp_gt_i32_e64 s0, s31, v190
	s_wait_loadcnt 0x0
	s_wait_alu 0xf1ff
	s_delay_alu instid0(VALU_DEP_1) | instskip(SKIP_2) | instid1(VALU_DEP_1)
	v_cndmask_b32_e64 v173, 0, v173, s0
	v_cmp_gt_i32_e64 s0, s31, v13
	s_wait_alu 0xf1ff
	v_cndmask_b32_e64 v174, 0, v174, s0
	v_cmp_gt_i32_e64 s0, s31, v191
	s_wait_alu 0xf1ff
	s_delay_alu instid0(VALU_DEP_1) | instskip(SKIP_2) | instid1(VALU_DEP_1)
	v_cndmask_b32_e64 v175, 0, v175, s0
	v_cmp_gt_i32_e64 s0, s31, v0
	s_wait_alu 0xf1ff
	v_cndmask_b32_e64 v176, 0, v176, s0
	s_or_b32 exec_lo, exec_lo, s23
	global_load_b128 v[177:180], v[129:130], off offset:21504
	s_and_saveexec_b32 s23, vcc_lo
	s_cbranch_execz .LBB52_85
.LBB52_129:                             ;   in Loop: Header=BB52_38 Depth=1
	v_cmp_gt_i32_e64 s0, s31, v190
	s_wait_loadcnt 0x0
	s_wait_alu 0xf1ff
	s_delay_alu instid0(VALU_DEP_1) | instskip(SKIP_2) | instid1(VALU_DEP_1)
	v_cndmask_b32_e64 v177, 0, v177, s0
	v_cmp_gt_i32_e64 s0, s31, v13
	s_wait_alu 0xf1ff
	v_cndmask_b32_e64 v178, 0, v178, s0
	v_cmp_gt_i32_e64 s0, s31, v191
	s_wait_alu 0xf1ff
	s_delay_alu instid0(VALU_DEP_1) | instskip(SKIP_2) | instid1(VALU_DEP_1)
	v_cndmask_b32_e64 v179, 0, v179, s0
	v_cmp_gt_i32_e64 s0, s31, v0
	s_wait_alu 0xf1ff
	v_cndmask_b32_e64 v180, 0, v180, s0
	s_or_b32 exec_lo, exec_lo, s23
	global_load_b128 v[181:184], v[129:130], off offset:22016
	s_and_saveexec_b32 s23, vcc_lo
	s_cbranch_execz .LBB52_86
.LBB52_130:                             ;   in Loop: Header=BB52_38 Depth=1
	v_cmp_gt_i32_e64 s0, s31, v190
	s_wait_loadcnt 0x0
	s_wait_alu 0xf1ff
	s_delay_alu instid0(VALU_DEP_1) | instskip(SKIP_2) | instid1(VALU_DEP_1)
	v_cndmask_b32_e64 v181, 0, v181, s0
	v_cmp_gt_i32_e64 s0, s31, v13
	s_wait_alu 0xf1ff
	v_cndmask_b32_e64 v182, 0, v182, s0
	v_cmp_gt_i32_e64 s0, s31, v191
	s_wait_alu 0xf1ff
	s_delay_alu instid0(VALU_DEP_1) | instskip(SKIP_2) | instid1(VALU_DEP_1)
	v_cndmask_b32_e64 v183, 0, v183, s0
	v_cmp_gt_i32_e64 s0, s31, v0
	s_wait_alu 0xf1ff
	v_cndmask_b32_e64 v184, 0, v184, s0
	s_or_b32 exec_lo, exec_lo, s23
	global_load_b128 v[185:188], v[129:130], off offset:22528
	s_and_saveexec_b32 s23, vcc_lo
	s_cbranch_execz .LBB52_87
.LBB52_131:                             ;   in Loop: Header=BB52_38 Depth=1
	v_cmp_gt_i32_e64 s0, s31, v190
	s_wait_loadcnt 0x0
	s_wait_alu 0xf1ff
	s_delay_alu instid0(VALU_DEP_1) | instskip(SKIP_2) | instid1(VALU_DEP_1)
	v_cndmask_b32_e64 v185, 0, v185, s0
	v_cmp_gt_i32_e64 s0, s31, v13
	s_wait_alu 0xf1ff
	v_cndmask_b32_e64 v186, 0, v186, s0
	v_cmp_gt_i32_e64 s0, s31, v191
	s_wait_alu 0xf1ff
	s_delay_alu instid0(VALU_DEP_1) | instskip(SKIP_2) | instid1(VALU_DEP_1)
	v_cndmask_b32_e64 v187, 0, v187, s0
	v_cmp_gt_i32_e64 s0, s31, v0
	s_wait_alu 0xf1ff
	v_cndmask_b32_e64 v188, 0, v188, s0
	s_or_b32 exec_lo, exec_lo, s23
	global_load_b128 v[5:8], v[129:130], off offset:23040
	s_and_saveexec_b32 s23, vcc_lo
	s_cbranch_execz .LBB52_88
.LBB52_132:                             ;   in Loop: Header=BB52_38 Depth=1
	v_cmp_gt_i32_e64 s0, s31, v190
	s_wait_loadcnt 0x0
	s_wait_alu 0xf1ff
	s_delay_alu instid0(VALU_DEP_1) | instskip(SKIP_2) | instid1(VALU_DEP_1)
	v_cndmask_b32_e64 v5, 0, v5, s0
	v_cmp_gt_i32_e64 s0, s31, v13
	s_wait_alu 0xf1ff
	v_cndmask_b32_e64 v6, 0, v6, s0
	v_cmp_gt_i32_e64 s0, s31, v191
	s_wait_alu 0xf1ff
	s_delay_alu instid0(VALU_DEP_1) | instskip(SKIP_2) | instid1(VALU_DEP_1)
	v_cndmask_b32_e64 v7, 0, v7, s0
	v_cmp_gt_i32_e64 s0, s31, v0
	s_wait_alu 0xf1ff
	v_cndmask_b32_e64 v8, 0, v8, s0
	s_or_b32 exec_lo, exec_lo, s23
	global_load_b128 v[9:12], v[129:130], off offset:23552
	s_and_saveexec_b32 s23, vcc_lo
	s_cbranch_execz .LBB52_89
.LBB52_133:                             ;   in Loop: Header=BB52_38 Depth=1
	v_cmp_gt_i32_e64 s0, s31, v190
	s_wait_loadcnt 0x0
	s_wait_alu 0xf1ff
	s_delay_alu instid0(VALU_DEP_1) | instskip(SKIP_2) | instid1(VALU_DEP_1)
	v_cndmask_b32_e64 v9, 0, v9, s0
	v_cmp_gt_i32_e64 s0, s31, v13
	s_wait_alu 0xf1ff
	v_cndmask_b32_e64 v10, 0, v10, s0
	v_cmp_gt_i32_e64 s0, s31, v191
	s_wait_alu 0xf1ff
	s_delay_alu instid0(VALU_DEP_1) | instskip(SKIP_2) | instid1(VALU_DEP_1)
	v_cndmask_b32_e64 v11, 0, v11, s0
	v_cmp_gt_i32_e64 s0, s31, v0
	s_wait_alu 0xf1ff
	v_cndmask_b32_e64 v12, 0, v12, s0
	s_or_b32 exec_lo, exec_lo, s23
	global_load_b128 v[129:132], v[129:130], off offset:24064
	s_and_saveexec_b32 s0, vcc_lo
	s_cbranch_execz .LBB52_36
.LBB52_134:                             ;   in Loop: Header=BB52_38 Depth=1
	v_cmp_gt_i32_e32 vcc_lo, s31, v190
	s_wait_loadcnt 0x0
	s_wait_alu 0xfffd
	v_cndmask_b32_e32 v129, 0, v129, vcc_lo
	v_cmp_gt_i32_e32 vcc_lo, s31, v13
	s_wait_alu 0xfffd
	v_cndmask_b32_e32 v130, 0, v130, vcc_lo
	v_cmp_gt_i32_e32 vcc_lo, s31, v191
	;; [unrolled: 3-line block ×3, first 2 shown]
	s_wait_alu 0xfffd
	v_cndmask_b32_e32 v132, 0, v132, vcc_lo
	s_branch .LBB52_36
.LBB52_135:
	s_or_b32 exec_lo, exec_lo, s13
.LBB52_136:
	s_wait_alu 0xfffe
	s_or_b32 exec_lo, exec_lo, s1
	s_clause 0x2
	scratch_load_b32 v56, off, off offset:308 th:TH_LOAD_LU
	scratch_load_b32 v66, off, off offset:296 th:TH_LOAD_LU
	;; [unrolled: 1-line block ×3, first 2 shown]
	s_mov_b32 s1, exec_lo
	s_wait_loadcnt 0x2
	ds_bpermute_b32 v0, v56, v19
	ds_bpermute_b32 v1, v56, v18
	;; [unrolled: 1-line block ×18, first 2 shown]
	s_wait_dscnt 0x10
	v_dual_add_f32 v0, v19, v0 :: v_dual_add_f32 v1, v18, v1
	s_wait_dscnt 0xf
	v_add_f32_e32 v2, v17, v2
	s_wait_dscnt 0xe
	v_add_f32_e32 v3, v21, v3
	s_wait_dscnt 0xd
	v_add_f32_e32 v4, v25, v4
	s_wait_loadcnt 0x1
	ds_bpermute_b32 v18, v66, v0
	ds_bpermute_b32 v19, v66, v1
	s_wait_dscnt 0xe
	v_add_f32_e32 v5, v28, v5
	ds_bpermute_b32 v20, v66, v2
	s_wait_dscnt 0xd
	v_dual_add_f32 v7, v26, v7 :: v_dual_add_f32 v8, v24, v8
	s_wait_dscnt 0xc
	v_add_f32_e32 v9, v23, v9
	s_wait_dscnt 0xb
	v_add_f32_e32 v6, v27, v6
	ds_bpermute_b32 v21, v66, v3
	ds_bpermute_b32 v23, v66, v5
	;; [unrolled: 1-line block ×5, first 2 shown]
	s_wait_dscnt 0xd
	v_dual_add_f32 v10, v22, v10 :: v_dual_add_f32 v11, v31, v11
	ds_bpermute_b32 v22, v66, v4
	v_add_f32_e32 v12, v30, v12
	ds_bpermute_b32 v26, v66, v8
	ds_bpermute_b32 v28, v66, v10
	;; [unrolled: 1-line block ×3, first 2 shown]
	s_wait_dscnt 0xb
	v_add_f32_e32 v0, v0, v18
	s_wait_dscnt 0xa
	v_add_f32_e32 v18, v1, v19
	ds_bpermute_b32 v17, v56, v76
	s_wait_dscnt 0xa
	v_add_f32_e32 v19, v2, v20
	v_add_f32_e32 v13, v61, v13
	s_wait_loadcnt 0x0
	ds_bpermute_b32 v1, v71, v0
	v_add_f32_e32 v15, v69, v15
	v_add_f32_e32 v14, v77, v14
	s_wait_dscnt 0x9
	v_dual_add_f32 v20, v3, v21 :: v_dual_add_f32 v23, v5, v23
	ds_bpermute_b32 v3, v71, v19
	s_wait_dscnt 0x9
	v_add_f32_e32 v25, v7, v25
	ds_bpermute_b32 v2, v71, v18
	s_wait_dscnt 0x9
	v_add_f32_e32 v27, v9, v27
	ds_bpermute_b32 v31, v66, v12
	ds_bpermute_b32 v21, v71, v20
	s_wait_dscnt 0xa
	v_add_f32_e32 v24, v6, v24
	ds_bpermute_b32 v6, v71, v23
	s_wait_dscnt 0xa
	v_add_f32_e32 v22, v4, v22
	s_wait_dscnt 0x9
	v_add_f32_e32 v26, v8, v26
	;; [unrolled: 2-line block ×3, first 2 shown]
	ds_bpermute_b32 v8, v71, v25
	ds_bpermute_b32 v10, v71, v27
	s_wait_dscnt 0x8
	v_add_f32_e32 v17, v76, v17
	ds_bpermute_b32 v9, v71, v26
	s_wait_dscnt 0x8
	v_add_f32_e32 v1, v0, v1
	ds_bpermute_b32 v7, v71, v24
	ds_bpermute_b32 v32, v71, v28
	s_wait_dscnt 0x9
	v_dual_add_f32 v16, v73, v16 :: v_dual_add_f32 v3, v19, v3
	ds_bpermute_b32 v5, v71, v22
	s_wait_dscnt 0x9
	v_add_f32_e32 v2, v18, v2
	v_add_f32_e32 v0, v11, v30
	s_wait_dscnt 0x8
	v_add_f32_e32 v18, v12, v31
	ds_bpermute_b32 v19, v66, v13
	s_wait_dscnt 0x8
	v_add_f32_e32 v4, v20, v21
	ds_bpermute_b32 v30, v66, v15
	s_wait_dscnt 0x8
	v_add_f32_e32 v6, v23, v6
	v_add_f32_e32 v23, v75, v29
	ds_bpermute_b32 v20, v71, v18
	ds_bpermute_b32 v21, v66, v14
	s_wait_dscnt 0x8
	v_add_f32_e32 v10, v27, v10
	ds_bpermute_b32 v27, v56, v35
	s_wait_dscnt 0x8
	v_add_f32_e32 v9, v26, v9
	ds_bpermute_b32 v26, v66, v23
	v_add_f32_e32 v8, v25, v8
	ds_bpermute_b32 v25, v66, v17
	s_wait_dscnt 0x8
	v_add_f32_e32 v11, v28, v32
	ds_bpermute_b32 v28, v56, v34
	v_add_f32_e32 v7, v24, v7
	s_wait_dscnt 0x8
	v_add_f32_e32 v5, v22, v5
	ds_bpermute_b32 v12, v71, v0
	ds_bpermute_b32 v22, v66, v16
	;; [unrolled: 1-line block ×3, first 2 shown]
	s_wait_dscnt 0xa
	v_add_f32_e32 v19, v13, v19
	ds_bpermute_b32 v31, v56, v39
	s_wait_dscnt 0x9
	v_dual_add_f32 v13, v18, v20 :: v_dual_add_f32 v18, v15, v30
	ds_bpermute_b32 v15, v56, v48
	ds_bpermute_b32 v30, v56, v40
	;; [unrolled: 1-line block ×3, first 2 shown]
	s_wait_dscnt 0x9
	v_add_f32_e32 v23, v23, v26
	s_wait_dscnt 0x8
	v_add_f32_e32 v25, v17, v25
	ds_bpermute_b32 v33, v71, v23
	s_wait_dscnt 0x7
	v_add_f32_e32 v12, v0, v12
	v_add_f32_e32 v0, v14, v21
	s_wait_dscnt 0x6
	v_add_f32_e32 v22, v16, v22
	ds_bpermute_b32 v16, v56, v38
	s_wait_dscnt 0x6
	v_add_f32_e32 v24, v36, v24
	ds_bpermute_b32 v32, v71, v25
	ds_bpermute_b32 v36, v56, v42
	;; [unrolled: 1-line block ×3, first 2 shown]
	s_wait_dscnt 0x8
	v_add_f32_e32 v31, v39, v31
	s_wait_dscnt 0x7
	v_add_f32_e32 v37, v48, v15
	ds_bpermute_b32 v21, v71, v0
	v_dual_add_f32 v26, v35, v27 :: v_dual_add_f32 v27, v34, v28
	ds_bpermute_b32 v29, v71, v18
	ds_bpermute_b32 v28, v71, v22
	;; [unrolled: 1-line block ×3, first 2 shown]
	s_wait_dscnt 0x7
	v_add_f32_e32 v38, v38, v16
	s_wait_dscnt 0x4
	v_add_f32_e32 v14, v19, v14
	v_add_f32_e32 v19, v23, v33
	ds_bpermute_b32 v17, v66, v24
	s_wait_dscnt 0x4
	v_add_f32_e32 v15, v0, v21
	v_add_f32_e32 v0, v40, v30
	ds_bpermute_b32 v34, v66, v26
	ds_bpermute_b32 v40, v66, v31
	s_wait_dscnt 0x5
	v_add_f32_e32 v16, v18, v29
	ds_bpermute_b32 v21, v66, v37
	v_add_f32_e32 v20, v43, v20
	s_wait_dscnt 0x4
	v_add_f32_e32 v27, v27, v35
	ds_bpermute_b32 v29, v66, v38
	v_add_f32_e32 v18, v25, v32
	v_add_f32_e32 v25, v42, v36
	ds_bpermute_b32 v39, v66, v0
	ds_bpermute_b32 v32, v56, v46
	;; [unrolled: 1-line block ×5, first 2 shown]
	s_wait_dscnt 0x8
	v_add_f32_e32 v23, v26, v34
	s_wait_dscnt 0x7
	v_add_f32_e32 v31, v31, v40
	ds_bpermute_b32 v30, v66, v20
	ds_bpermute_b32 v26, v56, v44
	;; [unrolled: 1-line block ×3, first 2 shown]
	v_dual_add_f32 v24, v24, v17 :: v_dual_add_f32 v17, v22, v28
	ds_bpermute_b32 v28, v56, v47
	s_wait_dscnt 0x8
	v_dual_add_f32 v0, v0, v39 :: v_dual_add_f32 v29, v38, v29
	ds_bpermute_b32 v42, v71, v31
	s_wait_dscnt 0x5
	v_add_f32_e32 v33, v25, v33
	ds_bpermute_b32 v40, v71, v0
	v_add_f32_e32 v36, v37, v21
	ds_bpermute_b32 v21, v56, v74
	ds_bpermute_b32 v37, v56, v72
	;; [unrolled: 1-line block ×4, first 2 shown]
	s_wait_dscnt 0x9
	v_add_f32_e32 v30, v20, v30
	ds_bpermute_b32 v39, v71, v30
	s_wait_dscnt 0x4
	v_dual_add_f32 v28, v47, v28 :: v_dual_add_f32 v49, v74, v21
	v_add_f32_e32 v21, v23, v34
	ds_bpermute_b32 v22, v71, v24
	s_wait_dscnt 0x4
	v_add_f32_e32 v37, v72, v37
	v_add_f32_e32 v25, v0, v40
	ds_bpermute_b32 v38, v71, v36
	v_add_f32_e32 v32, v46, v32
	ds_bpermute_b32 v46, v66, v28
	ds_bpermute_b32 v34, v66, v49
	s_wait_dscnt 0x3
	v_add_f32_e32 v20, v24, v22
	v_add_f32_e32 v22, v27, v35
	ds_bpermute_b32 v35, v66, v37
	v_add_f32_e32 v44, v44, v26
	ds_bpermute_b32 v26, v56, v52
	v_dual_add_f32 v24, v30, v39 :: v_dual_add_f32 v27, v31, v42
	s_wait_dscnt 0x3
	v_dual_add_f32 v30, v55, v43 :: v_dual_add_f32 v39, v28, v46
	v_add_f32_e32 v28, v33, v48
	ds_bpermute_b32 v33, v56, v51
	ds_bpermute_b32 v43, v56, v54
	v_add_f32_e32 v23, v36, v38
	ds_bpermute_b32 v36, v56, v50
	ds_bpermute_b32 v47, v66, v32
	;; [unrolled: 1-line block ×3, first 2 shown]
	s_wait_dscnt 0x6
	v_add_f32_e32 v35, v37, v35
	ds_bpermute_b32 v45, v66, v44
	s_wait_dscnt 0x6
	v_add_f32_e32 v0, v52, v26
	v_add_f32_e32 v26, v29, v41
	ds_bpermute_b32 v29, v66, v30
	ds_bpermute_b32 v37, v56, v70
	;; [unrolled: 1-line block ×4, first 2 shown]
	s_wait_dscnt 0x9
	v_add_f32_e32 v33, v51, v33
	ds_bpermute_b32 v51, v56, v62
	v_add_f32_e32 v34, v49, v34
	ds_bpermute_b32 v38, v66, v0
	s_wait_dscnt 0xa
	v_add_f32_e32 v43, v54, v43
	ds_bpermute_b32 v55, v66, v33
	s_wait_dscnt 0xa
	v_add_f32_e32 v36, v50, v36
	ds_bpermute_b32 v50, v56, v60
	ds_bpermute_b32 v54, v56, v64
	s_wait_dscnt 0xb
	v_add_f32_e32 v32, v32, v47
	ds_bpermute_b32 v57, v66, v43
	s_wait_dscnt 0xa
	v_add_f32_e32 v31, v44, v45
	;; [unrolled: 3-line block ×3, first 2 shown]
	ds_bpermute_b32 v29, v56, v59
	ds_bpermute_b32 v40, v71, v31
	;; [unrolled: 1-line block ×3, first 2 shown]
	s_wait_dscnt 0xc
	v_add_f32_e32 v37, v70, v37
	s_wait_dscnt 0x9
	v_add_f32_e32 v51, v62, v51
	ds_bpermute_b32 v42, v71, v32
	s_wait_dscnt 0x9
	v_add_f32_e32 v38, v0, v38
	ds_bpermute_b32 v0, v56, v67
	;; [unrolled: 3-line block ×3, first 2 shown]
	ds_bpermute_b32 v56, v56, v65
	s_wait_dscnt 0xa
	v_add_f32_e32 v50, v60, v50
	s_wait_dscnt 0x9
	v_add_f32_e32 v54, v64, v54
	ds_bpermute_b32 v64, v66, v51
	ds_bpermute_b32 v52, v71, v49
	s_wait_dscnt 0xa
	v_add_f32_e32 v43, v43, v57
	ds_bpermute_b32 v45, v71, v34
	ds_bpermute_b32 v33, v66, v54
	;; [unrolled: 1-line block ×3, first 2 shown]
	s_wait_dscnt 0xb
	v_add_f32_e32 v29, v59, v29
	s_wait_dscnt 0x9
	v_add_f32_e32 v30, v63, v30
	ds_bpermute_b32 v60, v66, v29
	s_wait_dscnt 0x8
	v_add_f32_e32 v0, v67, v0
	s_wait_dscnt 0x7
	v_add_f32_e32 v36, v36, v47
	ds_bpermute_b32 v47, v66, v37
	v_add_f32_e32 v44, v68, v44
	s_wait_dscnt 0x6
	v_add_f32_e32 v51, v51, v64
	v_add_f32_e32 v56, v65, v56
	ds_bpermute_b32 v65, v71, v36
	s_wait_dscnt 0x4
	v_add_f32_e32 v54, v54, v33
	ds_bpermute_b32 v70, v71, v51
	v_add_f32_e32 v33, v49, v52
	ds_bpermute_b32 v62, v66, v30
	s_wait_dscnt 0x4
	v_add_f32_e32 v60, v29, v60
	v_add_f32_e32 v29, v31, v40
	ds_bpermute_b32 v63, v66, v50
	v_add_f32_e32 v31, v32, v42
	ds_bpermute_b32 v61, v66, v0
	s_wait_dscnt 0x5
	v_dual_add_f32 v46, v58, v46 :: v_dual_add_f32 v47, v37, v47
	ds_bpermute_b32 v58, v66, v44
	v_add_f32_e32 v32, v35, v48
	ds_bpermute_b32 v37, v71, v55
	s_wait_dscnt 0x6
	v_add_f32_e32 v35, v36, v65
	ds_bpermute_b32 v57, v66, v56
	s_wait_dscnt 0x4
	;; [unrolled: 3-line block ×3, first 2 shown]
	v_add_f32_e32 v61, v0, v61
	ds_bpermute_b32 v59, v66, v46
	v_add_f32_e32 v62, v30, v62
	v_dual_add_f32 v0, v34, v45 :: v_dual_add_f32 v45, v51, v70
	ds_bpermute_b32 v69, v71, v50
	s_wait_dscnt 0x4
	v_add_f32_e32 v36, v55, v37
	s_wait_dscnt 0x3
	v_add_f32_e32 v56, v56, v57
	v_add_f32_e32 v30, v39, v41
	ds_bpermute_b32 v64, v71, v61
	s_wait_dscnt 0x3
	v_dual_add_f32 v34, v38, v53 :: v_dual_add_f32 v41, v60, v63
	scratch_load_b32 v60, off, off offset:292 ; 4-byte Folded Reload
	v_add_f32_e32 v44, v44, v58
	ds_bpermute_b32 v58, v71, v43
	s_wait_dscnt 0x3
	v_add_f32_e32 v46, v46, v59
	ds_bpermute_b32 v59, v71, v47
	ds_bpermute_b32 v68, v71, v62
	;; [unrolled: 1-line block ×3, first 2 shown]
	s_wait_dscnt 0x3
	v_dual_add_f32 v42, v61, v64 :: v_dual_add_f32 v37, v43, v58
	ds_bpermute_b32 v67, v71, v46
	s_wait_dscnt 0x2
	v_dual_add_f32 v38, v47, v59 :: v_dual_add_f32 v43, v62, v68
	s_wait_dscnt 0x1
	v_dual_add_f32 v39, v44, v66 :: v_dual_add_f32 v44, v50, v69
	scratch_load_b32 v50, off, off offset:300 th:TH_LOAD_LU ; 4-byte Folded Reload
	s_wait_dscnt 0x0
	v_add_f32_e32 v40, v46, v67
	scratch_load_b32 v46, off, off offset:276 th:TH_LOAD_LU ; 4-byte Folded Reload
	s_wait_loadcnt 0x0
	s_wait_storecnt 0x0
	s_barrier_signal -1
	s_barrier_wait -1
	global_inv scope:SCOPE_SE
	v_and_b32_e32 v51, 0x3c0, v60
	ds_bpermute_b32 v57, v71, v54
	ds_bpermute_b32 v71, v71, v56
	v_and_b32_e32 v49, 7, v60
	s_delay_alu instid0(VALU_DEP_1)
	v_cmp_eq_u32_e32 vcc_lo, 0, v49
	s_wait_dscnt 0x0
	v_add_f32_e32 v47, v56, v71
	v_mul_u32_u24_e32 v50, 0x300, v50
	v_lshrrev_b32_e32 v48, 3, v46
	v_add_f32_e32 v46, v54, v57
	s_delay_alu instid0(VALU_DEP_2)
	v_lshl_add_u32 v49, v48, 2, 0x320
	v_cmpx_eq_u32_e32 64, v51
	s_cbranch_execz .LBB52_139
; %bb.137:
	s_and_b32 exec_lo, exec_lo, vcc_lo
	s_cbranch_execz .LBB52_139
; %bb.138:
	v_add_nc_u32_e32 v51, v49, v50
	s_delay_alu instid0(VALU_DEP_1)
	v_add_nc_u32_e32 v52, 0xfffffa00, v51
	v_add_nc_u32_e32 v53, 0xfffffa10, v51
	v_add_nc_u32_e32 v54, 0xfffffa20, v51
	v_add_nc_u32_e32 v55, 0xfffffa30, v51
	v_add_nc_u32_e32 v56, 0xfffffa40, v51
	v_add_nc_u32_e32 v57, 0xfffffa50, v51
	v_add_nc_u32_e32 v58, 0xfffffa60, v51
	v_add_nc_u32_e32 v59, 0xfffffa70, v51
	ds_store_b32 v52, v1
	ds_store_b32 v53, v2
	ds_store_b32 v54, v3
	ds_store_b32 v55, v4
	ds_store_b32 v56, v5
	ds_store_b32 v57, v6
	ds_store_b32 v58, v7
	ds_store_b32 v59, v8
	v_add_nc_u32_e32 v52, 0xfffffa80, v51
	v_add_nc_u32_e32 v53, 0xfffffa90, v51
	v_add_nc_u32_e32 v54, 0xfffffaa0, v51
	v_add_nc_u32_e32 v55, 0xfffffab0, v51
	v_add_nc_u32_e32 v56, 0xfffffac0, v51
	v_add_nc_u32_e32 v57, 0xfffffad0, v51
	v_add_nc_u32_e32 v58, 0xfffffae0, v51
	v_add_nc_u32_e32 v59, 0xfffffaf0, v51
	ds_store_b32 v52, v9
	ds_store_b32 v53, v10
	ds_store_b32 v54, v11
	ds_store_b32 v55, v12
	ds_store_b32 v56, v13
	ds_store_b32 v57, v14
	ds_store_b32 v58, v15
	ds_store_b32 v59, v16
	;; [unrolled: 16-line block ×6, first 2 shown]
.LBB52_139:
	s_wait_alu 0xfffe
	s_or_b32 exec_lo, exec_lo, s1
	v_lshlrev_b32_e32 v48, 2, v48
	s_mov_b32 s1, exec_lo
	s_wait_loadcnt_dscnt 0x0
	s_barrier_signal -1
	s_barrier_wait -1
	v_add3_u32 v48, 0x320, v50, v48
	global_inv scope:SCOPE_SE
	v_cmpx_gt_u32_e32 64, v60
	s_cbranch_execz .LBB52_190
; %bb.140:
	s_and_saveexec_b32 s0, vcc_lo
	s_cbranch_execnz .LBB52_246
; %bb.141:
	s_wait_alu 0xfffe
	s_or_b32 exec_lo, exec_lo, s0
	s_and_saveexec_b32 s0, vcc_lo
	s_cbranch_execnz .LBB52_247
.LBB52_142:
	s_wait_alu 0xfffe
	s_or_b32 exec_lo, exec_lo, s0
	s_and_saveexec_b32 s0, vcc_lo
	s_cbranch_execnz .LBB52_248
.LBB52_143:
	s_wait_alu 0xfffe
	s_or_b32 exec_lo, exec_lo, s0
	s_and_saveexec_b32 s0, vcc_lo
	s_cbranch_execnz .LBB52_249
.LBB52_144:
	s_wait_alu 0xfffe
	s_or_b32 exec_lo, exec_lo, s0
	s_and_saveexec_b32 s0, vcc_lo
	s_cbranch_execnz .LBB52_250
.LBB52_145:
	s_wait_alu 0xfffe
	s_or_b32 exec_lo, exec_lo, s0
	s_and_saveexec_b32 s0, vcc_lo
	s_cbranch_execnz .LBB52_251
.LBB52_146:
	s_wait_alu 0xfffe
	s_or_b32 exec_lo, exec_lo, s0
	s_and_saveexec_b32 s0, vcc_lo
	s_cbranch_execnz .LBB52_252
.LBB52_147:
	s_wait_alu 0xfffe
	s_or_b32 exec_lo, exec_lo, s0
	s_and_saveexec_b32 s0, vcc_lo
	s_cbranch_execnz .LBB52_253
.LBB52_148:
	s_wait_alu 0xfffe
	s_or_b32 exec_lo, exec_lo, s0
	s_and_saveexec_b32 s0, vcc_lo
	s_cbranch_execnz .LBB52_254
.LBB52_149:
	s_wait_alu 0xfffe
	s_or_b32 exec_lo, exec_lo, s0
	s_and_saveexec_b32 s0, vcc_lo
	s_cbranch_execnz .LBB52_255
.LBB52_150:
	s_wait_alu 0xfffe
	s_or_b32 exec_lo, exec_lo, s0
	s_and_saveexec_b32 s0, vcc_lo
	s_cbranch_execnz .LBB52_256
.LBB52_151:
	s_wait_alu 0xfffe
	s_or_b32 exec_lo, exec_lo, s0
	s_and_saveexec_b32 s0, vcc_lo
	s_cbranch_execnz .LBB52_257
.LBB52_152:
	s_wait_alu 0xfffe
	s_or_b32 exec_lo, exec_lo, s0
	s_and_saveexec_b32 s0, vcc_lo
	s_cbranch_execnz .LBB52_258
.LBB52_153:
	s_wait_alu 0xfffe
	s_or_b32 exec_lo, exec_lo, s0
	s_and_saveexec_b32 s0, vcc_lo
	s_cbranch_execnz .LBB52_259
.LBB52_154:
	s_wait_alu 0xfffe
	s_or_b32 exec_lo, exec_lo, s0
	s_and_saveexec_b32 s0, vcc_lo
	s_cbranch_execnz .LBB52_260
.LBB52_155:
	s_wait_alu 0xfffe
	s_or_b32 exec_lo, exec_lo, s0
	s_and_saveexec_b32 s0, vcc_lo
	s_cbranch_execnz .LBB52_261
.LBB52_156:
	s_wait_alu 0xfffe
	s_or_b32 exec_lo, exec_lo, s0
	s_and_saveexec_b32 s0, vcc_lo
	s_cbranch_execnz .LBB52_262
.LBB52_157:
	s_wait_alu 0xfffe
	s_or_b32 exec_lo, exec_lo, s0
	s_and_saveexec_b32 s0, vcc_lo
	s_cbranch_execnz .LBB52_263
.LBB52_158:
	s_wait_alu 0xfffe
	s_or_b32 exec_lo, exec_lo, s0
	s_and_saveexec_b32 s0, vcc_lo
	s_cbranch_execnz .LBB52_264
.LBB52_159:
	s_wait_alu 0xfffe
	s_or_b32 exec_lo, exec_lo, s0
	s_and_saveexec_b32 s0, vcc_lo
	s_cbranch_execnz .LBB52_265
.LBB52_160:
	s_wait_alu 0xfffe
	s_or_b32 exec_lo, exec_lo, s0
	s_and_saveexec_b32 s0, vcc_lo
	s_cbranch_execnz .LBB52_266
.LBB52_161:
	s_wait_alu 0xfffe
	s_or_b32 exec_lo, exec_lo, s0
	s_and_saveexec_b32 s0, vcc_lo
	s_cbranch_execnz .LBB52_267
.LBB52_162:
	s_wait_alu 0xfffe
	s_or_b32 exec_lo, exec_lo, s0
	s_and_saveexec_b32 s0, vcc_lo
	s_cbranch_execnz .LBB52_268
.LBB52_163:
	s_wait_alu 0xfffe
	s_or_b32 exec_lo, exec_lo, s0
	s_and_saveexec_b32 s0, vcc_lo
	s_cbranch_execnz .LBB52_269
.LBB52_164:
	s_wait_alu 0xfffe
	s_or_b32 exec_lo, exec_lo, s0
	s_and_saveexec_b32 s0, vcc_lo
	s_cbranch_execnz .LBB52_270
.LBB52_165:
	s_wait_alu 0xfffe
	s_or_b32 exec_lo, exec_lo, s0
	s_and_saveexec_b32 s0, vcc_lo
	s_cbranch_execnz .LBB52_271
.LBB52_166:
	s_wait_alu 0xfffe
	s_or_b32 exec_lo, exec_lo, s0
	s_and_saveexec_b32 s0, vcc_lo
	s_cbranch_execnz .LBB52_272
.LBB52_167:
	s_wait_alu 0xfffe
	s_or_b32 exec_lo, exec_lo, s0
	s_and_saveexec_b32 s0, vcc_lo
	s_cbranch_execnz .LBB52_273
.LBB52_168:
	s_wait_alu 0xfffe
	s_or_b32 exec_lo, exec_lo, s0
	s_and_saveexec_b32 s0, vcc_lo
	s_cbranch_execnz .LBB52_274
.LBB52_169:
	s_wait_alu 0xfffe
	s_or_b32 exec_lo, exec_lo, s0
	s_and_saveexec_b32 s0, vcc_lo
	s_cbranch_execnz .LBB52_275
.LBB52_170:
	s_wait_alu 0xfffe
	s_or_b32 exec_lo, exec_lo, s0
	s_and_saveexec_b32 s0, vcc_lo
	s_cbranch_execnz .LBB52_276
.LBB52_171:
	s_wait_alu 0xfffe
	s_or_b32 exec_lo, exec_lo, s0
	s_and_saveexec_b32 s0, vcc_lo
	s_cbranch_execnz .LBB52_277
.LBB52_172:
	s_wait_alu 0xfffe
	s_or_b32 exec_lo, exec_lo, s0
	s_and_saveexec_b32 s0, vcc_lo
	s_cbranch_execnz .LBB52_278
.LBB52_173:
	s_wait_alu 0xfffe
	s_or_b32 exec_lo, exec_lo, s0
	s_and_saveexec_b32 s0, vcc_lo
	s_cbranch_execnz .LBB52_279
.LBB52_174:
	s_wait_alu 0xfffe
	s_or_b32 exec_lo, exec_lo, s0
	s_and_saveexec_b32 s0, vcc_lo
	s_cbranch_execnz .LBB52_280
.LBB52_175:
	s_wait_alu 0xfffe
	s_or_b32 exec_lo, exec_lo, s0
	s_and_saveexec_b32 s0, vcc_lo
	s_cbranch_execnz .LBB52_281
.LBB52_176:
	s_wait_alu 0xfffe
	s_or_b32 exec_lo, exec_lo, s0
	s_and_saveexec_b32 s0, vcc_lo
	s_cbranch_execnz .LBB52_282
.LBB52_177:
	s_wait_alu 0xfffe
	s_or_b32 exec_lo, exec_lo, s0
	s_and_saveexec_b32 s0, vcc_lo
	s_cbranch_execnz .LBB52_283
.LBB52_178:
	s_wait_alu 0xfffe
	s_or_b32 exec_lo, exec_lo, s0
	s_and_saveexec_b32 s0, vcc_lo
	s_cbranch_execnz .LBB52_284
.LBB52_179:
	s_wait_alu 0xfffe
	s_or_b32 exec_lo, exec_lo, s0
	s_and_saveexec_b32 s0, vcc_lo
	s_cbranch_execnz .LBB52_285
.LBB52_180:
	s_wait_alu 0xfffe
	s_or_b32 exec_lo, exec_lo, s0
	s_and_saveexec_b32 s0, vcc_lo
	s_cbranch_execnz .LBB52_286
.LBB52_181:
	s_wait_alu 0xfffe
	s_or_b32 exec_lo, exec_lo, s0
	s_and_saveexec_b32 s0, vcc_lo
	s_cbranch_execnz .LBB52_287
.LBB52_182:
	s_wait_alu 0xfffe
	s_or_b32 exec_lo, exec_lo, s0
	s_and_saveexec_b32 s0, vcc_lo
	s_cbranch_execnz .LBB52_288
.LBB52_183:
	s_wait_alu 0xfffe
	s_or_b32 exec_lo, exec_lo, s0
	s_and_saveexec_b32 s0, vcc_lo
	s_cbranch_execnz .LBB52_289
.LBB52_184:
	s_wait_alu 0xfffe
	s_or_b32 exec_lo, exec_lo, s0
	s_and_saveexec_b32 s0, vcc_lo
	s_cbranch_execnz .LBB52_290
.LBB52_185:
	s_wait_alu 0xfffe
	s_or_b32 exec_lo, exec_lo, s0
	s_and_saveexec_b32 s0, vcc_lo
	s_cbranch_execnz .LBB52_291
.LBB52_186:
	s_wait_alu 0xfffe
	s_or_b32 exec_lo, exec_lo, s0
	s_and_saveexec_b32 s0, vcc_lo
	s_cbranch_execnz .LBB52_292
.LBB52_187:
	s_wait_alu 0xfffe
	s_or_b32 exec_lo, exec_lo, s0
	s_and_saveexec_b32 s0, vcc_lo
	s_cbranch_execz .LBB52_189
.LBB52_188:
	ds_load_b32 v50, v48 offset:752
	s_wait_dscnt 0x0
	v_add_f32_e32 v47, v47, v50
.LBB52_189:
	s_wait_alu 0xfffe
	s_or_b32 exec_lo, exec_lo, s0
.LBB52_190:
	s_wait_alu 0xfffe
	s_or_b32 exec_lo, exec_lo, s1
	v_and_b32_e32 v50, 0x3e7, v60
	s_mov_b32 s1, exec_lo
	s_wait_loadcnt 0x0
	s_barrier_signal -1
	s_barrier_wait -1
	global_inv scope:SCOPE_SE
	v_cmpx_eq_u32_e32 32, v50
	s_cbranch_execz .LBB52_192
; %bb.191:
	ds_store_2addr_b32 v49, v1, v2 offset1:4
	ds_store_2addr_b32 v49, v3, v4 offset0:8 offset1:12
	ds_store_2addr_b32 v49, v5, v6 offset0:16 offset1:20
	;; [unrolled: 1-line block ×23, first 2 shown]
.LBB52_192:
	s_wait_alu 0xfffe
	s_or_b32 exec_lo, exec_lo, s1
	s_delay_alu instid0(SALU_CYCLE_1)
	s_mov_b32 s1, exec_lo
	s_wait_loadcnt_dscnt 0x0
	s_barrier_signal -1
	s_barrier_wait -1
	global_inv scope:SCOPE_SE
	v_cmpx_gt_u32_e32 32, v60
	s_cbranch_execz .LBB52_243
; %bb.193:
	s_and_saveexec_b32 s0, vcc_lo
	s_cbranch_execnz .LBB52_293
; %bb.194:
	s_wait_alu 0xfffe
	s_or_b32 exec_lo, exec_lo, s0
	s_and_saveexec_b32 s0, vcc_lo
	s_cbranch_execnz .LBB52_294
.LBB52_195:
	s_wait_alu 0xfffe
	s_or_b32 exec_lo, exec_lo, s0
	s_and_saveexec_b32 s0, vcc_lo
	s_cbranch_execnz .LBB52_295
.LBB52_196:
	s_wait_alu 0xfffe
	s_or_b32 exec_lo, exec_lo, s0
	s_and_saveexec_b32 s0, vcc_lo
	s_cbranch_execnz .LBB52_296
.LBB52_197:
	s_wait_alu 0xfffe
	s_or_b32 exec_lo, exec_lo, s0
	s_and_saveexec_b32 s0, vcc_lo
	s_cbranch_execnz .LBB52_297
.LBB52_198:
	s_wait_alu 0xfffe
	s_or_b32 exec_lo, exec_lo, s0
	s_and_saveexec_b32 s0, vcc_lo
	s_cbranch_execnz .LBB52_298
.LBB52_199:
	s_wait_alu 0xfffe
	s_or_b32 exec_lo, exec_lo, s0
	s_and_saveexec_b32 s0, vcc_lo
	s_cbranch_execnz .LBB52_299
.LBB52_200:
	s_wait_alu 0xfffe
	s_or_b32 exec_lo, exec_lo, s0
	s_and_saveexec_b32 s0, vcc_lo
	s_cbranch_execnz .LBB52_300
.LBB52_201:
	s_wait_alu 0xfffe
	s_or_b32 exec_lo, exec_lo, s0
	s_and_saveexec_b32 s0, vcc_lo
	s_cbranch_execnz .LBB52_301
.LBB52_202:
	s_wait_alu 0xfffe
	s_or_b32 exec_lo, exec_lo, s0
	s_and_saveexec_b32 s0, vcc_lo
	s_cbranch_execnz .LBB52_302
.LBB52_203:
	s_wait_alu 0xfffe
	s_or_b32 exec_lo, exec_lo, s0
	s_and_saveexec_b32 s0, vcc_lo
	s_cbranch_execnz .LBB52_303
.LBB52_204:
	s_wait_alu 0xfffe
	s_or_b32 exec_lo, exec_lo, s0
	s_and_saveexec_b32 s0, vcc_lo
	s_cbranch_execnz .LBB52_304
.LBB52_205:
	s_wait_alu 0xfffe
	s_or_b32 exec_lo, exec_lo, s0
	s_and_saveexec_b32 s0, vcc_lo
	s_cbranch_execnz .LBB52_305
.LBB52_206:
	s_wait_alu 0xfffe
	s_or_b32 exec_lo, exec_lo, s0
	s_and_saveexec_b32 s0, vcc_lo
	s_cbranch_execnz .LBB52_306
.LBB52_207:
	s_wait_alu 0xfffe
	s_or_b32 exec_lo, exec_lo, s0
	s_and_saveexec_b32 s0, vcc_lo
	s_cbranch_execnz .LBB52_307
.LBB52_208:
	s_wait_alu 0xfffe
	s_or_b32 exec_lo, exec_lo, s0
	s_and_saveexec_b32 s0, vcc_lo
	s_cbranch_execnz .LBB52_308
.LBB52_209:
	s_wait_alu 0xfffe
	s_or_b32 exec_lo, exec_lo, s0
	s_and_saveexec_b32 s0, vcc_lo
	s_cbranch_execnz .LBB52_309
.LBB52_210:
	s_wait_alu 0xfffe
	s_or_b32 exec_lo, exec_lo, s0
	s_and_saveexec_b32 s0, vcc_lo
	s_cbranch_execnz .LBB52_310
.LBB52_211:
	s_wait_alu 0xfffe
	s_or_b32 exec_lo, exec_lo, s0
	s_and_saveexec_b32 s0, vcc_lo
	s_cbranch_execnz .LBB52_311
.LBB52_212:
	s_wait_alu 0xfffe
	s_or_b32 exec_lo, exec_lo, s0
	s_and_saveexec_b32 s0, vcc_lo
	s_cbranch_execnz .LBB52_312
.LBB52_213:
	s_wait_alu 0xfffe
	s_or_b32 exec_lo, exec_lo, s0
	s_and_saveexec_b32 s0, vcc_lo
	s_cbranch_execnz .LBB52_313
.LBB52_214:
	s_wait_alu 0xfffe
	s_or_b32 exec_lo, exec_lo, s0
	s_and_saveexec_b32 s0, vcc_lo
	s_cbranch_execnz .LBB52_314
.LBB52_215:
	s_wait_alu 0xfffe
	s_or_b32 exec_lo, exec_lo, s0
	s_and_saveexec_b32 s0, vcc_lo
	s_cbranch_execnz .LBB52_315
.LBB52_216:
	s_wait_alu 0xfffe
	s_or_b32 exec_lo, exec_lo, s0
	s_and_saveexec_b32 s0, vcc_lo
	s_cbranch_execnz .LBB52_316
.LBB52_217:
	s_wait_alu 0xfffe
	s_or_b32 exec_lo, exec_lo, s0
	s_and_saveexec_b32 s0, vcc_lo
	s_cbranch_execnz .LBB52_317
.LBB52_218:
	s_wait_alu 0xfffe
	s_or_b32 exec_lo, exec_lo, s0
	s_and_saveexec_b32 s0, vcc_lo
	s_cbranch_execnz .LBB52_318
.LBB52_219:
	s_wait_alu 0xfffe
	s_or_b32 exec_lo, exec_lo, s0
	s_and_saveexec_b32 s0, vcc_lo
	s_cbranch_execnz .LBB52_319
.LBB52_220:
	s_wait_alu 0xfffe
	s_or_b32 exec_lo, exec_lo, s0
	s_and_saveexec_b32 s0, vcc_lo
	s_cbranch_execnz .LBB52_320
.LBB52_221:
	s_wait_alu 0xfffe
	s_or_b32 exec_lo, exec_lo, s0
	s_and_saveexec_b32 s0, vcc_lo
	s_cbranch_execnz .LBB52_321
.LBB52_222:
	s_wait_alu 0xfffe
	s_or_b32 exec_lo, exec_lo, s0
	s_and_saveexec_b32 s0, vcc_lo
	s_cbranch_execnz .LBB52_322
.LBB52_223:
	s_wait_alu 0xfffe
	s_or_b32 exec_lo, exec_lo, s0
	s_and_saveexec_b32 s0, vcc_lo
	s_cbranch_execnz .LBB52_323
.LBB52_224:
	s_wait_alu 0xfffe
	s_or_b32 exec_lo, exec_lo, s0
	s_and_saveexec_b32 s0, vcc_lo
	s_cbranch_execnz .LBB52_324
.LBB52_225:
	s_wait_alu 0xfffe
	s_or_b32 exec_lo, exec_lo, s0
	s_and_saveexec_b32 s0, vcc_lo
	s_cbranch_execnz .LBB52_325
.LBB52_226:
	s_wait_alu 0xfffe
	s_or_b32 exec_lo, exec_lo, s0
	s_and_saveexec_b32 s0, vcc_lo
	s_cbranch_execnz .LBB52_326
.LBB52_227:
	s_wait_alu 0xfffe
	s_or_b32 exec_lo, exec_lo, s0
	s_and_saveexec_b32 s0, vcc_lo
	s_cbranch_execnz .LBB52_327
.LBB52_228:
	s_wait_alu 0xfffe
	s_or_b32 exec_lo, exec_lo, s0
	s_and_saveexec_b32 s0, vcc_lo
	s_cbranch_execnz .LBB52_328
.LBB52_229:
	s_wait_alu 0xfffe
	s_or_b32 exec_lo, exec_lo, s0
	s_and_saveexec_b32 s0, vcc_lo
	s_cbranch_execnz .LBB52_329
.LBB52_230:
	s_wait_alu 0xfffe
	s_or_b32 exec_lo, exec_lo, s0
	s_and_saveexec_b32 s0, vcc_lo
	s_cbranch_execnz .LBB52_330
.LBB52_231:
	s_wait_alu 0xfffe
	s_or_b32 exec_lo, exec_lo, s0
	s_and_saveexec_b32 s0, vcc_lo
	s_cbranch_execnz .LBB52_331
.LBB52_232:
	s_wait_alu 0xfffe
	s_or_b32 exec_lo, exec_lo, s0
	s_and_saveexec_b32 s0, vcc_lo
	s_cbranch_execnz .LBB52_332
.LBB52_233:
	s_wait_alu 0xfffe
	s_or_b32 exec_lo, exec_lo, s0
	s_and_saveexec_b32 s0, vcc_lo
	s_cbranch_execnz .LBB52_333
.LBB52_234:
	s_wait_alu 0xfffe
	s_or_b32 exec_lo, exec_lo, s0
	s_and_saveexec_b32 s0, vcc_lo
	s_cbranch_execnz .LBB52_334
.LBB52_235:
	s_wait_alu 0xfffe
	s_or_b32 exec_lo, exec_lo, s0
	s_and_saveexec_b32 s0, vcc_lo
	s_cbranch_execnz .LBB52_335
.LBB52_236:
	s_wait_alu 0xfffe
	s_or_b32 exec_lo, exec_lo, s0
	s_and_saveexec_b32 s0, vcc_lo
	s_cbranch_execnz .LBB52_336
.LBB52_237:
	s_wait_alu 0xfffe
	s_or_b32 exec_lo, exec_lo, s0
	s_and_saveexec_b32 s0, vcc_lo
	s_cbranch_execnz .LBB52_337
.LBB52_238:
	s_wait_alu 0xfffe
	s_or_b32 exec_lo, exec_lo, s0
	s_and_saveexec_b32 s0, vcc_lo
	s_cbranch_execnz .LBB52_338
.LBB52_239:
	s_wait_alu 0xfffe
	s_or_b32 exec_lo, exec_lo, s0
	s_and_saveexec_b32 s0, vcc_lo
	s_cbranch_execnz .LBB52_339
.LBB52_240:
	s_wait_alu 0xfffe
	s_or_b32 exec_lo, exec_lo, s0
	s_and_saveexec_b32 s0, vcc_lo
	s_cbranch_execz .LBB52_242
.LBB52_241:
	ds_load_b32 v48, v48 offset:752
	s_wait_dscnt 0x0
	v_add_f32_e32 v47, v47, v48
.LBB52_242:
	s_wait_alu 0xfffe
	s_or_b32 exec_lo, exec_lo, s0
.LBB52_243:
	s_wait_alu 0xfffe
	s_or_b32 exec_lo, exec_lo, s1
	s_mov_b32 s1, 0
	s_wait_loadcnt 0x0
	s_barrier_signal -1
	s_barrier_wait -1
	global_inv scope:SCOPE_SE
	s_mov_b32 s0, exec_lo
	v_cmpx_eq_u32_e32 0, v50
	s_cbranch_execz .LBB52_245
; %bb.244:
	s_mul_i32 s2, s18, 0xc0
	s_mul_i32 s4, s7, s16
	s_wait_alu 0xfffe
	s_ashr_i32 s3, s2, 31
	s_ashr_i32 s5, s4, 31
	s_wait_alu 0xfffe
	s_lshl_b64 s[2:3], s[2:3], 2
	s_lshl_b64 s[4:5], s[4:5], 2
	s_wait_kmcnt 0x0
	s_wait_alu 0xfffe
	s_add_nc_u64 s[2:3], s[14:15], s[2:3]
	v_lshrrev_b32_e32 v48, 1, v60
	s_mul_i32 s0, s30, 0x300
	s_wait_alu 0xfffe
	s_add_nc_u64 s[2:3], s[2:3], s[4:5]
	s_wait_alu 0xfffe
	s_add_nc_u64 s[0:1], s[2:3], s[0:1]
	s_clause 0x1f
	global_store_b32 v48, v1, s[0:1]
	global_store_b32 v48, v2, s[0:1] offset:16
	global_store_b32 v48, v3, s[0:1] offset:32
	;; [unrolled: 1-line block ×31, first 2 shown]
	s_clause 0xf
	global_store_b32 v48, v32, s[0:1] offset:512
	global_store_b32 v48, v33, s[0:1] offset:528
	;; [unrolled: 1-line block ×16, first 2 shown]
.LBB52_245:
	s_nop 0
	s_sendmsg sendmsg(MSG_DEALLOC_VGPRS)
	s_endpgm
.LBB52_246:
	ds_load_b32 v50, v48
	s_wait_dscnt 0x0
	v_add_f32_e32 v1, v1, v50
	s_wait_alu 0xfffe
	s_or_b32 exec_lo, exec_lo, s0
	s_and_saveexec_b32 s0, vcc_lo
	s_cbranch_execz .LBB52_142
.LBB52_247:
	ds_load_b32 v50, v48 offset:16
	s_wait_dscnt 0x0
	v_add_f32_e32 v2, v2, v50
	s_wait_alu 0xfffe
	s_or_b32 exec_lo, exec_lo, s0
	s_and_saveexec_b32 s0, vcc_lo
	s_cbranch_execz .LBB52_143
.LBB52_248:
	ds_load_b32 v50, v48 offset:32
	s_wait_dscnt 0x0
	v_add_f32_e32 v3, v3, v50
	s_wait_alu 0xfffe
	s_or_b32 exec_lo, exec_lo, s0
	s_and_saveexec_b32 s0, vcc_lo
	s_cbranch_execz .LBB52_144
.LBB52_249:
	ds_load_b32 v50, v48 offset:48
	s_wait_dscnt 0x0
	v_add_f32_e32 v4, v4, v50
	s_wait_alu 0xfffe
	s_or_b32 exec_lo, exec_lo, s0
	s_and_saveexec_b32 s0, vcc_lo
	s_cbranch_execz .LBB52_145
.LBB52_250:
	ds_load_b32 v50, v48 offset:64
	s_wait_dscnt 0x0
	v_add_f32_e32 v5, v5, v50
	s_wait_alu 0xfffe
	s_or_b32 exec_lo, exec_lo, s0
	s_and_saveexec_b32 s0, vcc_lo
	s_cbranch_execz .LBB52_146
.LBB52_251:
	ds_load_b32 v50, v48 offset:80
	s_wait_dscnt 0x0
	v_add_f32_e32 v6, v6, v50
	s_wait_alu 0xfffe
	s_or_b32 exec_lo, exec_lo, s0
	s_and_saveexec_b32 s0, vcc_lo
	s_cbranch_execz .LBB52_147
.LBB52_252:
	ds_load_b32 v50, v48 offset:96
	s_wait_dscnt 0x0
	v_add_f32_e32 v7, v7, v50
	s_wait_alu 0xfffe
	s_or_b32 exec_lo, exec_lo, s0
	s_and_saveexec_b32 s0, vcc_lo
	s_cbranch_execz .LBB52_148
.LBB52_253:
	ds_load_b32 v50, v48 offset:112
	s_wait_dscnt 0x0
	v_add_f32_e32 v8, v8, v50
	s_wait_alu 0xfffe
	s_or_b32 exec_lo, exec_lo, s0
	s_and_saveexec_b32 s0, vcc_lo
	s_cbranch_execz .LBB52_149
.LBB52_254:
	ds_load_b32 v50, v48 offset:128
	s_wait_dscnt 0x0
	v_add_f32_e32 v9, v9, v50
	s_wait_alu 0xfffe
	s_or_b32 exec_lo, exec_lo, s0
	s_and_saveexec_b32 s0, vcc_lo
	s_cbranch_execz .LBB52_150
.LBB52_255:
	ds_load_b32 v50, v48 offset:144
	s_wait_dscnt 0x0
	v_add_f32_e32 v10, v10, v50
	s_wait_alu 0xfffe
	s_or_b32 exec_lo, exec_lo, s0
	s_and_saveexec_b32 s0, vcc_lo
	s_cbranch_execz .LBB52_151
.LBB52_256:
	ds_load_b32 v50, v48 offset:160
	s_wait_dscnt 0x0
	v_add_f32_e32 v11, v11, v50
	s_wait_alu 0xfffe
	s_or_b32 exec_lo, exec_lo, s0
	s_and_saveexec_b32 s0, vcc_lo
	s_cbranch_execz .LBB52_152
.LBB52_257:
	ds_load_b32 v50, v48 offset:176
	s_wait_dscnt 0x0
	v_add_f32_e32 v12, v12, v50
	s_wait_alu 0xfffe
	s_or_b32 exec_lo, exec_lo, s0
	s_and_saveexec_b32 s0, vcc_lo
	s_cbranch_execz .LBB52_153
.LBB52_258:
	ds_load_b32 v50, v48 offset:192
	s_wait_dscnt 0x0
	v_add_f32_e32 v13, v13, v50
	s_wait_alu 0xfffe
	s_or_b32 exec_lo, exec_lo, s0
	s_and_saveexec_b32 s0, vcc_lo
	s_cbranch_execz .LBB52_154
.LBB52_259:
	ds_load_b32 v50, v48 offset:208
	s_wait_dscnt 0x0
	v_add_f32_e32 v14, v14, v50
	s_wait_alu 0xfffe
	s_or_b32 exec_lo, exec_lo, s0
	s_and_saveexec_b32 s0, vcc_lo
	s_cbranch_execz .LBB52_155
.LBB52_260:
	ds_load_b32 v50, v48 offset:224
	s_wait_dscnt 0x0
	v_add_f32_e32 v15, v15, v50
	s_wait_alu 0xfffe
	s_or_b32 exec_lo, exec_lo, s0
	s_and_saveexec_b32 s0, vcc_lo
	s_cbranch_execz .LBB52_156
.LBB52_261:
	ds_load_b32 v50, v48 offset:240
	s_wait_dscnt 0x0
	v_add_f32_e32 v16, v16, v50
	s_wait_alu 0xfffe
	s_or_b32 exec_lo, exec_lo, s0
	s_and_saveexec_b32 s0, vcc_lo
	s_cbranch_execz .LBB52_157
.LBB52_262:
	ds_load_b32 v50, v48 offset:256
	s_wait_dscnt 0x0
	v_add_f32_e32 v17, v17, v50
	s_wait_alu 0xfffe
	s_or_b32 exec_lo, exec_lo, s0
	s_and_saveexec_b32 s0, vcc_lo
	s_cbranch_execz .LBB52_158
.LBB52_263:
	ds_load_b32 v50, v48 offset:272
	s_wait_dscnt 0x0
	v_add_f32_e32 v18, v18, v50
	s_wait_alu 0xfffe
	s_or_b32 exec_lo, exec_lo, s0
	s_and_saveexec_b32 s0, vcc_lo
	s_cbranch_execz .LBB52_159
.LBB52_264:
	ds_load_b32 v50, v48 offset:288
	s_wait_dscnt 0x0
	v_add_f32_e32 v19, v19, v50
	s_wait_alu 0xfffe
	s_or_b32 exec_lo, exec_lo, s0
	s_and_saveexec_b32 s0, vcc_lo
	s_cbranch_execz .LBB52_160
.LBB52_265:
	ds_load_b32 v50, v48 offset:304
	s_wait_dscnt 0x0
	v_add_f32_e32 v20, v20, v50
	s_wait_alu 0xfffe
	s_or_b32 exec_lo, exec_lo, s0
	s_and_saveexec_b32 s0, vcc_lo
	s_cbranch_execz .LBB52_161
.LBB52_266:
	ds_load_b32 v50, v48 offset:320
	s_wait_dscnt 0x0
	v_add_f32_e32 v21, v21, v50
	s_wait_alu 0xfffe
	s_or_b32 exec_lo, exec_lo, s0
	s_and_saveexec_b32 s0, vcc_lo
	s_cbranch_execz .LBB52_162
.LBB52_267:
	ds_load_b32 v50, v48 offset:336
	s_wait_dscnt 0x0
	v_add_f32_e32 v22, v22, v50
	s_wait_alu 0xfffe
	s_or_b32 exec_lo, exec_lo, s0
	s_and_saveexec_b32 s0, vcc_lo
	s_cbranch_execz .LBB52_163
.LBB52_268:
	ds_load_b32 v50, v48 offset:352
	s_wait_dscnt 0x0
	v_add_f32_e32 v23, v23, v50
	s_wait_alu 0xfffe
	s_or_b32 exec_lo, exec_lo, s0
	s_and_saveexec_b32 s0, vcc_lo
	s_cbranch_execz .LBB52_164
.LBB52_269:
	ds_load_b32 v50, v48 offset:368
	s_wait_dscnt 0x0
	v_add_f32_e32 v24, v24, v50
	s_wait_alu 0xfffe
	s_or_b32 exec_lo, exec_lo, s0
	s_and_saveexec_b32 s0, vcc_lo
	s_cbranch_execz .LBB52_165
.LBB52_270:
	ds_load_b32 v50, v48 offset:384
	s_wait_dscnt 0x0
	v_add_f32_e32 v25, v25, v50
	s_wait_alu 0xfffe
	s_or_b32 exec_lo, exec_lo, s0
	s_and_saveexec_b32 s0, vcc_lo
	s_cbranch_execz .LBB52_166
.LBB52_271:
	ds_load_b32 v50, v48 offset:400
	s_wait_dscnt 0x0
	v_add_f32_e32 v26, v26, v50
	s_wait_alu 0xfffe
	s_or_b32 exec_lo, exec_lo, s0
	s_and_saveexec_b32 s0, vcc_lo
	s_cbranch_execz .LBB52_167
.LBB52_272:
	ds_load_b32 v50, v48 offset:416
	s_wait_dscnt 0x0
	v_add_f32_e32 v27, v27, v50
	s_wait_alu 0xfffe
	s_or_b32 exec_lo, exec_lo, s0
	s_and_saveexec_b32 s0, vcc_lo
	s_cbranch_execz .LBB52_168
.LBB52_273:
	ds_load_b32 v50, v48 offset:432
	s_wait_dscnt 0x0
	v_add_f32_e32 v28, v28, v50
	s_wait_alu 0xfffe
	s_or_b32 exec_lo, exec_lo, s0
	s_and_saveexec_b32 s0, vcc_lo
	s_cbranch_execz .LBB52_169
.LBB52_274:
	ds_load_b32 v50, v48 offset:448
	s_wait_dscnt 0x0
	v_add_f32_e32 v29, v29, v50
	s_wait_alu 0xfffe
	s_or_b32 exec_lo, exec_lo, s0
	s_and_saveexec_b32 s0, vcc_lo
	s_cbranch_execz .LBB52_170
.LBB52_275:
	ds_load_b32 v50, v48 offset:464
	s_wait_dscnt 0x0
	v_add_f32_e32 v30, v30, v50
	s_wait_alu 0xfffe
	s_or_b32 exec_lo, exec_lo, s0
	s_and_saveexec_b32 s0, vcc_lo
	s_cbranch_execz .LBB52_171
.LBB52_276:
	ds_load_b32 v50, v48 offset:480
	s_wait_dscnt 0x0
	v_add_f32_e32 v31, v31, v50
	s_wait_alu 0xfffe
	s_or_b32 exec_lo, exec_lo, s0
	s_and_saveexec_b32 s0, vcc_lo
	s_cbranch_execz .LBB52_172
.LBB52_277:
	ds_load_b32 v50, v48 offset:496
	s_wait_dscnt 0x0
	v_add_f32_e32 v0, v0, v50
	s_wait_alu 0xfffe
	s_or_b32 exec_lo, exec_lo, s0
	s_and_saveexec_b32 s0, vcc_lo
	s_cbranch_execz .LBB52_173
.LBB52_278:
	ds_load_b32 v50, v48 offset:512
	s_wait_dscnt 0x0
	v_add_f32_e32 v32, v32, v50
	s_wait_alu 0xfffe
	s_or_b32 exec_lo, exec_lo, s0
	s_and_saveexec_b32 s0, vcc_lo
	s_cbranch_execz .LBB52_174
.LBB52_279:
	ds_load_b32 v50, v48 offset:528
	s_wait_dscnt 0x0
	v_add_f32_e32 v33, v33, v50
	s_wait_alu 0xfffe
	s_or_b32 exec_lo, exec_lo, s0
	s_and_saveexec_b32 s0, vcc_lo
	s_cbranch_execz .LBB52_175
.LBB52_280:
	ds_load_b32 v50, v48 offset:544
	s_wait_dscnt 0x0
	v_add_f32_e32 v34, v34, v50
	s_wait_alu 0xfffe
	s_or_b32 exec_lo, exec_lo, s0
	s_and_saveexec_b32 s0, vcc_lo
	s_cbranch_execz .LBB52_176
.LBB52_281:
	ds_load_b32 v50, v48 offset:560
	s_wait_dscnt 0x0
	v_add_f32_e32 v35, v35, v50
	s_wait_alu 0xfffe
	s_or_b32 exec_lo, exec_lo, s0
	s_and_saveexec_b32 s0, vcc_lo
	s_cbranch_execz .LBB52_177
.LBB52_282:
	ds_load_b32 v50, v48 offset:576
	s_wait_dscnt 0x0
	v_add_f32_e32 v36, v36, v50
	s_wait_alu 0xfffe
	s_or_b32 exec_lo, exec_lo, s0
	s_and_saveexec_b32 s0, vcc_lo
	s_cbranch_execz .LBB52_178
.LBB52_283:
	ds_load_b32 v50, v48 offset:592
	s_wait_dscnt 0x0
	v_add_f32_e32 v37, v37, v50
	s_wait_alu 0xfffe
	s_or_b32 exec_lo, exec_lo, s0
	s_and_saveexec_b32 s0, vcc_lo
	s_cbranch_execz .LBB52_179
.LBB52_284:
	ds_load_b32 v50, v48 offset:608
	s_wait_dscnt 0x0
	v_add_f32_e32 v38, v38, v50
	s_wait_alu 0xfffe
	s_or_b32 exec_lo, exec_lo, s0
	s_and_saveexec_b32 s0, vcc_lo
	s_cbranch_execz .LBB52_180
.LBB52_285:
	ds_load_b32 v50, v48 offset:624
	s_wait_dscnt 0x0
	v_add_f32_e32 v39, v39, v50
	s_wait_alu 0xfffe
	s_or_b32 exec_lo, exec_lo, s0
	s_and_saveexec_b32 s0, vcc_lo
	s_cbranch_execz .LBB52_181
.LBB52_286:
	ds_load_b32 v50, v48 offset:640
	s_wait_dscnt 0x0
	v_add_f32_e32 v40, v40, v50
	s_wait_alu 0xfffe
	s_or_b32 exec_lo, exec_lo, s0
	s_and_saveexec_b32 s0, vcc_lo
	s_cbranch_execz .LBB52_182
.LBB52_287:
	ds_load_b32 v50, v48 offset:656
	s_wait_dscnt 0x0
	v_add_f32_e32 v41, v41, v50
	s_wait_alu 0xfffe
	s_or_b32 exec_lo, exec_lo, s0
	s_and_saveexec_b32 s0, vcc_lo
	s_cbranch_execz .LBB52_183
.LBB52_288:
	ds_load_b32 v50, v48 offset:672
	s_wait_dscnt 0x0
	v_add_f32_e32 v42, v42, v50
	s_wait_alu 0xfffe
	s_or_b32 exec_lo, exec_lo, s0
	s_and_saveexec_b32 s0, vcc_lo
	s_cbranch_execz .LBB52_184
.LBB52_289:
	ds_load_b32 v50, v48 offset:688
	s_wait_dscnt 0x0
	v_add_f32_e32 v43, v43, v50
	s_wait_alu 0xfffe
	s_or_b32 exec_lo, exec_lo, s0
	s_and_saveexec_b32 s0, vcc_lo
	s_cbranch_execz .LBB52_185
.LBB52_290:
	ds_load_b32 v50, v48 offset:704
	s_wait_dscnt 0x0
	v_add_f32_e32 v44, v44, v50
	s_wait_alu 0xfffe
	s_or_b32 exec_lo, exec_lo, s0
	s_and_saveexec_b32 s0, vcc_lo
	s_cbranch_execz .LBB52_186
.LBB52_291:
	ds_load_b32 v50, v48 offset:720
	s_wait_dscnt 0x0
	v_add_f32_e32 v45, v45, v50
	s_wait_alu 0xfffe
	s_or_b32 exec_lo, exec_lo, s0
	s_and_saveexec_b32 s0, vcc_lo
	s_cbranch_execz .LBB52_187
.LBB52_292:
	ds_load_b32 v50, v48 offset:736
	s_wait_dscnt 0x0
	v_add_f32_e32 v46, v46, v50
	s_wait_alu 0xfffe
	s_or_b32 exec_lo, exec_lo, s0
	s_and_saveexec_b32 s0, vcc_lo
	s_cbranch_execnz .LBB52_188
	s_branch .LBB52_189
.LBB52_293:
	ds_load_b32 v49, v48
	s_wait_dscnt 0x0
	v_add_f32_e32 v1, v1, v49
	s_wait_alu 0xfffe
	s_or_b32 exec_lo, exec_lo, s0
	s_and_saveexec_b32 s0, vcc_lo
	s_cbranch_execz .LBB52_195
.LBB52_294:
	ds_load_b32 v49, v48 offset:16
	s_wait_dscnt 0x0
	v_add_f32_e32 v2, v2, v49
	s_wait_alu 0xfffe
	s_or_b32 exec_lo, exec_lo, s0
	s_and_saveexec_b32 s0, vcc_lo
	s_cbranch_execz .LBB52_196
.LBB52_295:
	ds_load_b32 v49, v48 offset:32
	s_wait_dscnt 0x0
	v_add_f32_e32 v3, v3, v49
	s_wait_alu 0xfffe
	s_or_b32 exec_lo, exec_lo, s0
	s_and_saveexec_b32 s0, vcc_lo
	s_cbranch_execz .LBB52_197
.LBB52_296:
	ds_load_b32 v49, v48 offset:48
	s_wait_dscnt 0x0
	v_add_f32_e32 v4, v4, v49
	s_wait_alu 0xfffe
	s_or_b32 exec_lo, exec_lo, s0
	s_and_saveexec_b32 s0, vcc_lo
	s_cbranch_execz .LBB52_198
.LBB52_297:
	ds_load_b32 v49, v48 offset:64
	s_wait_dscnt 0x0
	v_add_f32_e32 v5, v5, v49
	s_wait_alu 0xfffe
	s_or_b32 exec_lo, exec_lo, s0
	s_and_saveexec_b32 s0, vcc_lo
	s_cbranch_execz .LBB52_199
.LBB52_298:
	ds_load_b32 v49, v48 offset:80
	s_wait_dscnt 0x0
	v_add_f32_e32 v6, v6, v49
	s_wait_alu 0xfffe
	s_or_b32 exec_lo, exec_lo, s0
	s_and_saveexec_b32 s0, vcc_lo
	s_cbranch_execz .LBB52_200
.LBB52_299:
	ds_load_b32 v49, v48 offset:96
	s_wait_dscnt 0x0
	v_add_f32_e32 v7, v7, v49
	s_wait_alu 0xfffe
	s_or_b32 exec_lo, exec_lo, s0
	s_and_saveexec_b32 s0, vcc_lo
	s_cbranch_execz .LBB52_201
.LBB52_300:
	ds_load_b32 v49, v48 offset:112
	s_wait_dscnt 0x0
	v_add_f32_e32 v8, v8, v49
	s_wait_alu 0xfffe
	s_or_b32 exec_lo, exec_lo, s0
	s_and_saveexec_b32 s0, vcc_lo
	s_cbranch_execz .LBB52_202
.LBB52_301:
	ds_load_b32 v49, v48 offset:128
	s_wait_dscnt 0x0
	v_add_f32_e32 v9, v9, v49
	s_wait_alu 0xfffe
	s_or_b32 exec_lo, exec_lo, s0
	s_and_saveexec_b32 s0, vcc_lo
	s_cbranch_execz .LBB52_203
.LBB52_302:
	ds_load_b32 v49, v48 offset:144
	s_wait_dscnt 0x0
	v_add_f32_e32 v10, v10, v49
	s_wait_alu 0xfffe
	s_or_b32 exec_lo, exec_lo, s0
	s_and_saveexec_b32 s0, vcc_lo
	s_cbranch_execz .LBB52_204
.LBB52_303:
	ds_load_b32 v49, v48 offset:160
	s_wait_dscnt 0x0
	v_add_f32_e32 v11, v11, v49
	s_wait_alu 0xfffe
	s_or_b32 exec_lo, exec_lo, s0
	s_and_saveexec_b32 s0, vcc_lo
	s_cbranch_execz .LBB52_205
.LBB52_304:
	ds_load_b32 v49, v48 offset:176
	s_wait_dscnt 0x0
	v_add_f32_e32 v12, v12, v49
	s_wait_alu 0xfffe
	s_or_b32 exec_lo, exec_lo, s0
	s_and_saveexec_b32 s0, vcc_lo
	s_cbranch_execz .LBB52_206
.LBB52_305:
	ds_load_b32 v49, v48 offset:192
	s_wait_dscnt 0x0
	v_add_f32_e32 v13, v13, v49
	s_wait_alu 0xfffe
	s_or_b32 exec_lo, exec_lo, s0
	s_and_saveexec_b32 s0, vcc_lo
	s_cbranch_execz .LBB52_207
.LBB52_306:
	ds_load_b32 v49, v48 offset:208
	s_wait_dscnt 0x0
	v_add_f32_e32 v14, v14, v49
	s_wait_alu 0xfffe
	s_or_b32 exec_lo, exec_lo, s0
	s_and_saveexec_b32 s0, vcc_lo
	s_cbranch_execz .LBB52_208
.LBB52_307:
	ds_load_b32 v49, v48 offset:224
	s_wait_dscnt 0x0
	v_add_f32_e32 v15, v15, v49
	s_wait_alu 0xfffe
	s_or_b32 exec_lo, exec_lo, s0
	s_and_saveexec_b32 s0, vcc_lo
	s_cbranch_execz .LBB52_209
.LBB52_308:
	ds_load_b32 v49, v48 offset:240
	s_wait_dscnt 0x0
	v_add_f32_e32 v16, v16, v49
	s_wait_alu 0xfffe
	s_or_b32 exec_lo, exec_lo, s0
	s_and_saveexec_b32 s0, vcc_lo
	s_cbranch_execz .LBB52_210
.LBB52_309:
	ds_load_b32 v49, v48 offset:256
	s_wait_dscnt 0x0
	v_add_f32_e32 v17, v17, v49
	s_wait_alu 0xfffe
	s_or_b32 exec_lo, exec_lo, s0
	s_and_saveexec_b32 s0, vcc_lo
	s_cbranch_execz .LBB52_211
.LBB52_310:
	ds_load_b32 v49, v48 offset:272
	s_wait_dscnt 0x0
	v_add_f32_e32 v18, v18, v49
	s_wait_alu 0xfffe
	s_or_b32 exec_lo, exec_lo, s0
	s_and_saveexec_b32 s0, vcc_lo
	s_cbranch_execz .LBB52_212
.LBB52_311:
	ds_load_b32 v49, v48 offset:288
	s_wait_dscnt 0x0
	v_add_f32_e32 v19, v19, v49
	s_wait_alu 0xfffe
	s_or_b32 exec_lo, exec_lo, s0
	s_and_saveexec_b32 s0, vcc_lo
	s_cbranch_execz .LBB52_213
.LBB52_312:
	ds_load_b32 v49, v48 offset:304
	s_wait_dscnt 0x0
	v_add_f32_e32 v20, v20, v49
	s_wait_alu 0xfffe
	s_or_b32 exec_lo, exec_lo, s0
	s_and_saveexec_b32 s0, vcc_lo
	s_cbranch_execz .LBB52_214
.LBB52_313:
	ds_load_b32 v49, v48 offset:320
	s_wait_dscnt 0x0
	v_add_f32_e32 v21, v21, v49
	s_wait_alu 0xfffe
	s_or_b32 exec_lo, exec_lo, s0
	s_and_saveexec_b32 s0, vcc_lo
	s_cbranch_execz .LBB52_215
.LBB52_314:
	ds_load_b32 v49, v48 offset:336
	s_wait_dscnt 0x0
	v_add_f32_e32 v22, v22, v49
	s_wait_alu 0xfffe
	s_or_b32 exec_lo, exec_lo, s0
	s_and_saveexec_b32 s0, vcc_lo
	s_cbranch_execz .LBB52_216
.LBB52_315:
	ds_load_b32 v49, v48 offset:352
	s_wait_dscnt 0x0
	v_add_f32_e32 v23, v23, v49
	s_wait_alu 0xfffe
	s_or_b32 exec_lo, exec_lo, s0
	s_and_saveexec_b32 s0, vcc_lo
	s_cbranch_execz .LBB52_217
.LBB52_316:
	ds_load_b32 v49, v48 offset:368
	s_wait_dscnt 0x0
	v_add_f32_e32 v24, v24, v49
	s_wait_alu 0xfffe
	s_or_b32 exec_lo, exec_lo, s0
	s_and_saveexec_b32 s0, vcc_lo
	s_cbranch_execz .LBB52_218
.LBB52_317:
	ds_load_b32 v49, v48 offset:384
	s_wait_dscnt 0x0
	v_add_f32_e32 v25, v25, v49
	s_wait_alu 0xfffe
	s_or_b32 exec_lo, exec_lo, s0
	s_and_saveexec_b32 s0, vcc_lo
	s_cbranch_execz .LBB52_219
.LBB52_318:
	ds_load_b32 v49, v48 offset:400
	s_wait_dscnt 0x0
	v_add_f32_e32 v26, v26, v49
	s_wait_alu 0xfffe
	s_or_b32 exec_lo, exec_lo, s0
	s_and_saveexec_b32 s0, vcc_lo
	s_cbranch_execz .LBB52_220
.LBB52_319:
	ds_load_b32 v49, v48 offset:416
	s_wait_dscnt 0x0
	v_add_f32_e32 v27, v27, v49
	s_wait_alu 0xfffe
	s_or_b32 exec_lo, exec_lo, s0
	s_and_saveexec_b32 s0, vcc_lo
	s_cbranch_execz .LBB52_221
.LBB52_320:
	ds_load_b32 v49, v48 offset:432
	s_wait_dscnt 0x0
	v_add_f32_e32 v28, v28, v49
	s_wait_alu 0xfffe
	s_or_b32 exec_lo, exec_lo, s0
	s_and_saveexec_b32 s0, vcc_lo
	s_cbranch_execz .LBB52_222
.LBB52_321:
	ds_load_b32 v49, v48 offset:448
	s_wait_dscnt 0x0
	v_add_f32_e32 v29, v29, v49
	s_wait_alu 0xfffe
	s_or_b32 exec_lo, exec_lo, s0
	s_and_saveexec_b32 s0, vcc_lo
	s_cbranch_execz .LBB52_223
.LBB52_322:
	ds_load_b32 v49, v48 offset:464
	s_wait_dscnt 0x0
	v_add_f32_e32 v30, v30, v49
	s_wait_alu 0xfffe
	s_or_b32 exec_lo, exec_lo, s0
	s_and_saveexec_b32 s0, vcc_lo
	s_cbranch_execz .LBB52_224
.LBB52_323:
	ds_load_b32 v49, v48 offset:480
	s_wait_dscnt 0x0
	v_add_f32_e32 v31, v31, v49
	s_wait_alu 0xfffe
	s_or_b32 exec_lo, exec_lo, s0
	s_and_saveexec_b32 s0, vcc_lo
	s_cbranch_execz .LBB52_225
.LBB52_324:
	ds_load_b32 v49, v48 offset:496
	s_wait_dscnt 0x0
	v_add_f32_e32 v0, v0, v49
	s_wait_alu 0xfffe
	s_or_b32 exec_lo, exec_lo, s0
	s_and_saveexec_b32 s0, vcc_lo
	s_cbranch_execz .LBB52_226
.LBB52_325:
	ds_load_b32 v49, v48 offset:512
	s_wait_dscnt 0x0
	v_add_f32_e32 v32, v32, v49
	s_wait_alu 0xfffe
	s_or_b32 exec_lo, exec_lo, s0
	s_and_saveexec_b32 s0, vcc_lo
	s_cbranch_execz .LBB52_227
.LBB52_326:
	ds_load_b32 v49, v48 offset:528
	s_wait_dscnt 0x0
	v_add_f32_e32 v33, v33, v49
	s_wait_alu 0xfffe
	s_or_b32 exec_lo, exec_lo, s0
	s_and_saveexec_b32 s0, vcc_lo
	s_cbranch_execz .LBB52_228
.LBB52_327:
	ds_load_b32 v49, v48 offset:544
	s_wait_dscnt 0x0
	v_add_f32_e32 v34, v34, v49
	s_wait_alu 0xfffe
	s_or_b32 exec_lo, exec_lo, s0
	s_and_saveexec_b32 s0, vcc_lo
	s_cbranch_execz .LBB52_229
.LBB52_328:
	ds_load_b32 v49, v48 offset:560
	s_wait_dscnt 0x0
	v_add_f32_e32 v35, v35, v49
	s_wait_alu 0xfffe
	s_or_b32 exec_lo, exec_lo, s0
	s_and_saveexec_b32 s0, vcc_lo
	s_cbranch_execz .LBB52_230
.LBB52_329:
	ds_load_b32 v49, v48 offset:576
	s_wait_dscnt 0x0
	v_add_f32_e32 v36, v36, v49
	s_wait_alu 0xfffe
	s_or_b32 exec_lo, exec_lo, s0
	s_and_saveexec_b32 s0, vcc_lo
	s_cbranch_execz .LBB52_231
.LBB52_330:
	ds_load_b32 v49, v48 offset:592
	s_wait_dscnt 0x0
	v_add_f32_e32 v37, v37, v49
	s_wait_alu 0xfffe
	s_or_b32 exec_lo, exec_lo, s0
	s_and_saveexec_b32 s0, vcc_lo
	s_cbranch_execz .LBB52_232
.LBB52_331:
	ds_load_b32 v49, v48 offset:608
	s_wait_dscnt 0x0
	v_add_f32_e32 v38, v38, v49
	s_wait_alu 0xfffe
	s_or_b32 exec_lo, exec_lo, s0
	s_and_saveexec_b32 s0, vcc_lo
	s_cbranch_execz .LBB52_233
.LBB52_332:
	ds_load_b32 v49, v48 offset:624
	s_wait_dscnt 0x0
	v_add_f32_e32 v39, v39, v49
	s_wait_alu 0xfffe
	s_or_b32 exec_lo, exec_lo, s0
	s_and_saveexec_b32 s0, vcc_lo
	s_cbranch_execz .LBB52_234
.LBB52_333:
	ds_load_b32 v49, v48 offset:640
	s_wait_dscnt 0x0
	v_add_f32_e32 v40, v40, v49
	s_wait_alu 0xfffe
	s_or_b32 exec_lo, exec_lo, s0
	s_and_saveexec_b32 s0, vcc_lo
	s_cbranch_execz .LBB52_235
.LBB52_334:
	ds_load_b32 v49, v48 offset:656
	s_wait_dscnt 0x0
	v_add_f32_e32 v41, v41, v49
	s_wait_alu 0xfffe
	s_or_b32 exec_lo, exec_lo, s0
	s_and_saveexec_b32 s0, vcc_lo
	s_cbranch_execz .LBB52_236
.LBB52_335:
	ds_load_b32 v49, v48 offset:672
	s_wait_dscnt 0x0
	v_add_f32_e32 v42, v42, v49
	s_wait_alu 0xfffe
	s_or_b32 exec_lo, exec_lo, s0
	s_and_saveexec_b32 s0, vcc_lo
	s_cbranch_execz .LBB52_237
.LBB52_336:
	ds_load_b32 v49, v48 offset:688
	s_wait_dscnt 0x0
	v_add_f32_e32 v43, v43, v49
	s_wait_alu 0xfffe
	s_or_b32 exec_lo, exec_lo, s0
	s_and_saveexec_b32 s0, vcc_lo
	s_cbranch_execz .LBB52_238
.LBB52_337:
	ds_load_b32 v49, v48 offset:704
	s_wait_dscnt 0x0
	v_add_f32_e32 v44, v44, v49
	s_wait_alu 0xfffe
	s_or_b32 exec_lo, exec_lo, s0
	s_and_saveexec_b32 s0, vcc_lo
	s_cbranch_execz .LBB52_239
.LBB52_338:
	ds_load_b32 v49, v48 offset:720
	s_wait_dscnt 0x0
	v_add_f32_e32 v45, v45, v49
	s_wait_alu 0xfffe
	s_or_b32 exec_lo, exec_lo, s0
	s_and_saveexec_b32 s0, vcc_lo
	s_cbranch_execz .LBB52_240
.LBB52_339:
	ds_load_b32 v49, v48 offset:736
	s_wait_dscnt 0x0
	v_add_f32_e32 v46, v46, v49
	s_wait_alu 0xfffe
	s_or_b32 exec_lo, exec_lo, s0
	s_and_saveexec_b32 s0, vcc_lo
	s_cbranch_execnz .LBB52_241
	s_branch .LBB52_242
	.section	.rodata,"a",@progbits
	.p2align	6, 0x0
	.amdhsa_kernel _ZN4vllm25paged_attention_v2_kernelIffLi192ELi32ELi128ELNS_18Fp8KVCacheDataTypeE0ELb1ELi512EEEvPfS2_PT_PKS3_PKT0_S9_ifPKiSB_iPKfiiiSD_SD_iiiii
		.amdhsa_group_segment_fixed_size 800
		.amdhsa_private_segment_fixed_size 316
		.amdhsa_kernarg_size 400
		.amdhsa_user_sgpr_count 2
		.amdhsa_user_sgpr_dispatch_ptr 0
		.amdhsa_user_sgpr_queue_ptr 0
		.amdhsa_user_sgpr_kernarg_segment_ptr 1
		.amdhsa_user_sgpr_dispatch_id 0
		.amdhsa_user_sgpr_private_segment_size 0
		.amdhsa_wavefront_size32 1
		.amdhsa_uses_dynamic_stack 0
		.amdhsa_enable_private_segment 1
		.amdhsa_system_sgpr_workgroup_id_x 1
		.amdhsa_system_sgpr_workgroup_id_y 1
		.amdhsa_system_sgpr_workgroup_id_z 1
		.amdhsa_system_sgpr_workgroup_info 0
		.amdhsa_system_vgpr_workitem_id 0
		.amdhsa_next_free_vgpr 192
		.amdhsa_next_free_sgpr 42
		.amdhsa_reserve_vcc 1
		.amdhsa_float_round_mode_32 0
		.amdhsa_float_round_mode_16_64 0
		.amdhsa_float_denorm_mode_32 3
		.amdhsa_float_denorm_mode_16_64 3
		.amdhsa_fp16_overflow 0
		.amdhsa_workgroup_processor_mode 1
		.amdhsa_memory_ordered 1
		.amdhsa_forward_progress 1
		.amdhsa_inst_pref_size 190
		.amdhsa_round_robin_scheduling 0
		.amdhsa_exception_fp_ieee_invalid_op 0
		.amdhsa_exception_fp_denorm_src 0
		.amdhsa_exception_fp_ieee_div_zero 0
		.amdhsa_exception_fp_ieee_overflow 0
		.amdhsa_exception_fp_ieee_underflow 0
		.amdhsa_exception_fp_ieee_inexact 0
		.amdhsa_exception_int_div_zero 0
	.end_amdhsa_kernel
	.section	.text._ZN4vllm25paged_attention_v2_kernelIffLi192ELi32ELi128ELNS_18Fp8KVCacheDataTypeE0ELb1ELi512EEEvPfS2_PT_PKS3_PKT0_S9_ifPKiSB_iPKfiiiSD_SD_iiiii,"axG",@progbits,_ZN4vllm25paged_attention_v2_kernelIffLi192ELi32ELi128ELNS_18Fp8KVCacheDataTypeE0ELb1ELi512EEEvPfS2_PT_PKS3_PKT0_S9_ifPKiSB_iPKfiiiSD_SD_iiiii,comdat
.Lfunc_end52:
	.size	_ZN4vllm25paged_attention_v2_kernelIffLi192ELi32ELi128ELNS_18Fp8KVCacheDataTypeE0ELb1ELi512EEEvPfS2_PT_PKS3_PKT0_S9_ifPKiSB_iPKfiiiSD_SD_iiiii, .Lfunc_end52-_ZN4vllm25paged_attention_v2_kernelIffLi192ELi32ELi128ELNS_18Fp8KVCacheDataTypeE0ELb1ELi512EEEvPfS2_PT_PKS3_PKT0_S9_ifPKiSB_iPKfiiiSD_SD_iiiii
                                        ; -- End function
	.set _ZN4vllm25paged_attention_v2_kernelIffLi192ELi32ELi128ELNS_18Fp8KVCacheDataTypeE0ELb1ELi512EEEvPfS2_PT_PKS3_PKT0_S9_ifPKiSB_iPKfiiiSD_SD_iiiii.num_vgpr, 192
	.set _ZN4vllm25paged_attention_v2_kernelIffLi192ELi32ELi128ELNS_18Fp8KVCacheDataTypeE0ELb1ELi512EEEvPfS2_PT_PKS3_PKT0_S9_ifPKiSB_iPKfiiiSD_SD_iiiii.num_agpr, 0
	.set _ZN4vllm25paged_attention_v2_kernelIffLi192ELi32ELi128ELNS_18Fp8KVCacheDataTypeE0ELb1ELi512EEEvPfS2_PT_PKS3_PKT0_S9_ifPKiSB_iPKfiiiSD_SD_iiiii.numbered_sgpr, 42
	.set _ZN4vllm25paged_attention_v2_kernelIffLi192ELi32ELi128ELNS_18Fp8KVCacheDataTypeE0ELb1ELi512EEEvPfS2_PT_PKS3_PKT0_S9_ifPKiSB_iPKfiiiSD_SD_iiiii.num_named_barrier, 0
	.set _ZN4vllm25paged_attention_v2_kernelIffLi192ELi32ELi128ELNS_18Fp8KVCacheDataTypeE0ELb1ELi512EEEvPfS2_PT_PKS3_PKT0_S9_ifPKiSB_iPKfiiiSD_SD_iiiii.private_seg_size, 316
	.set _ZN4vllm25paged_attention_v2_kernelIffLi192ELi32ELi128ELNS_18Fp8KVCacheDataTypeE0ELb1ELi512EEEvPfS2_PT_PKS3_PKT0_S9_ifPKiSB_iPKfiiiSD_SD_iiiii.uses_vcc, 1
	.set _ZN4vllm25paged_attention_v2_kernelIffLi192ELi32ELi128ELNS_18Fp8KVCacheDataTypeE0ELb1ELi512EEEvPfS2_PT_PKS3_PKT0_S9_ifPKiSB_iPKfiiiSD_SD_iiiii.uses_flat_scratch, 1
	.set _ZN4vllm25paged_attention_v2_kernelIffLi192ELi32ELi128ELNS_18Fp8KVCacheDataTypeE0ELb1ELi512EEEvPfS2_PT_PKS3_PKT0_S9_ifPKiSB_iPKfiiiSD_SD_iiiii.has_dyn_sized_stack, 0
	.set _ZN4vllm25paged_attention_v2_kernelIffLi192ELi32ELi128ELNS_18Fp8KVCacheDataTypeE0ELb1ELi512EEEvPfS2_PT_PKS3_PKT0_S9_ifPKiSB_iPKfiiiSD_SD_iiiii.has_recursion, 0
	.set _ZN4vllm25paged_attention_v2_kernelIffLi192ELi32ELi128ELNS_18Fp8KVCacheDataTypeE0ELb1ELi512EEEvPfS2_PT_PKS3_PKT0_S9_ifPKiSB_iPKfiiiSD_SD_iiiii.has_indirect_call, 0
	.section	.AMDGPU.csdata,"",@progbits
; Kernel info:
; codeLenInByte = 24240
; TotalNumSgprs: 44
; NumVgprs: 192
; ScratchSize: 316
; MemoryBound: 0
; FloatMode: 240
; IeeeMode: 1
; LDSByteSize: 800 bytes/workgroup (compile time only)
; SGPRBlocks: 0
; VGPRBlocks: 23
; NumSGPRsForWavesPerEU: 44
; NumVGPRsForWavesPerEU: 192
; Occupancy: 8
; WaveLimiterHint : 1
; COMPUTE_PGM_RSRC2:SCRATCH_EN: 1
; COMPUTE_PGM_RSRC2:USER_SGPR: 2
; COMPUTE_PGM_RSRC2:TRAP_HANDLER: 0
; COMPUTE_PGM_RSRC2:TGID_X_EN: 1
; COMPUTE_PGM_RSRC2:TGID_Y_EN: 1
; COMPUTE_PGM_RSRC2:TGID_Z_EN: 1
; COMPUTE_PGM_RSRC2:TIDIG_COMP_CNT: 0
	.section	.text._ZN4vllm25paged_attention_v2_kernelIffLi256ELi32ELi128ELNS_18Fp8KVCacheDataTypeE0ELb1ELi512EEEvPfS2_PT_PKS3_PKT0_S9_ifPKiSB_iPKfiiiSD_SD_iiiii,"axG",@progbits,_ZN4vllm25paged_attention_v2_kernelIffLi256ELi32ELi128ELNS_18Fp8KVCacheDataTypeE0ELb1ELi512EEEvPfS2_PT_PKS3_PKT0_S9_ifPKiSB_iPKfiiiSD_SD_iiiii,comdat
	.protected	_ZN4vllm25paged_attention_v2_kernelIffLi256ELi32ELi128ELNS_18Fp8KVCacheDataTypeE0ELb1ELi512EEEvPfS2_PT_PKS3_PKT0_S9_ifPKiSB_iPKfiiiSD_SD_iiiii ; -- Begin function _ZN4vllm25paged_attention_v2_kernelIffLi256ELi32ELi128ELNS_18Fp8KVCacheDataTypeE0ELb1ELi512EEEvPfS2_PT_PKS3_PKT0_S9_ifPKiSB_iPKfiiiSD_SD_iiiii
	.globl	_ZN4vllm25paged_attention_v2_kernelIffLi256ELi32ELi128ELNS_18Fp8KVCacheDataTypeE0ELb1ELi512EEEvPfS2_PT_PKS3_PKT0_S9_ifPKiSB_iPKfiiiSD_SD_iiiii
	.p2align	8
	.type	_ZN4vllm25paged_attention_v2_kernelIffLi256ELi32ELi128ELNS_18Fp8KVCacheDataTypeE0ELb1ELi512EEEvPfS2_PT_PKS3_PKT0_S9_ifPKiSB_iPKfiiiSD_SD_iiiii,@function
_ZN4vllm25paged_attention_v2_kernelIffLi256ELi32ELi128ELNS_18Fp8KVCacheDataTypeE0ELb1ELi512EEEvPfS2_PT_PKS3_PKT0_S9_ifPKiSB_iPKfiiiSD_SD_iiiii: ; @_ZN4vllm25paged_attention_v2_kernelIffLi256ELi32ELi128ELNS_18Fp8KVCacheDataTypeE0ELb1ELi512EEEvPfS2_PT_PKS3_PKT0_S9_ifPKiSB_iPKfiiiSD_SD_iiiii
; %bb.0:
	s_load_b64 s[2:3], s[0:1], 0x40
	s_and_b32 s36, ttmp7, 0xffff
	s_lshr_b32 s30, ttmp7, 16
	s_lshl_b32 s4, s36, 2
	s_lshl_b32 s35, s30, 9
	scratch_store_b32 off, v0, off offset:616 ; 4-byte Folded Spill
	s_wait_kmcnt 0x0
	s_load_b32 s31, s[2:3], s4 offset:0x0
	s_wait_kmcnt 0x0
	s_cmp_ge_i32 s35, s31
	s_cbranch_scc1 .LBB53_309
; %bb.1:
	s_clause 0x1
	s_load_b32 s37, s[0:1], 0x90
	s_load_b64 s[12:13], s[0:1], 0x30
	s_wait_kmcnt 0x0
	s_abs_i32 s5, s37
	s_abs_i32 s2, s12
	s_delay_alu instid0(SALU_CYCLE_1) | instskip(SKIP_1) | instid1(SALU_CYCLE_2)
	s_cvt_f32_u32 s3, s2
	s_sub_co_i32 s4, 0, s2
	v_rcp_iflag_f32_e32 v0, s3
	s_delay_alu instid0(TRANS32_DEP_1) | instskip(SKIP_2) | instid1(SALU_CYCLE_2)
	v_readfirstlane_b32 s3, v0
	s_mul_f32 s3, s3, 0x4f7ffffe
	s_wait_alu 0xfffe
	s_cvt_u32_f32 s3, s3
	s_wait_alu 0xfffe
	s_delay_alu instid0(SALU_CYCLE_2) | instskip(NEXT) | instid1(SALU_CYCLE_1)
	s_mul_i32 s4, s4, s3
	s_mul_hi_u32 s4, s3, s4
	s_delay_alu instid0(SALU_CYCLE_1)
	s_add_co_i32 s3, s3, s4
	s_xor_b32 s4, s37, s12
	s_wait_alu 0xfffe
	s_mul_hi_u32 s3, s5, s3
	s_ashr_i32 s4, s4, 31
	s_wait_alu 0xfffe
	s_mul_i32 s6, s3, s2
	s_delay_alu instid0(SALU_CYCLE_1)
	s_sub_co_i32 s5, s5, s6
	s_add_co_i32 s6, s3, 1
	s_sub_co_i32 s7, s5, s2
	s_cmp_ge_u32 s5, s2
	s_cselect_b32 s3, s6, s3
	s_cselect_b32 s5, s7, s5
	s_wait_alu 0xfffe
	s_add_co_i32 s6, s3, 1
	s_cmp_ge_u32 s5, s2
	s_mov_b32 s5, 0
	s_cselect_b32 s2, s6, s3
	s_load_b64 s[6:7], s[0:1], 0x50
	s_xor_b32 s2, s2, s4
	s_mov_b32 s19, s5
	s_wait_alu 0xfffe
	s_sub_co_i32 s8, s2, s4
	s_abs_i32 s4, ttmp9
	s_abs_i32 s14, s8
	s_delay_alu instid0(SALU_CYCLE_1) | instskip(SKIP_2) | instid1(SALU_CYCLE_1)
	s_cvt_f32_u32 s2, s14
	s_sub_co_i32 s3, 0, s14
	s_wait_alu 0xfffe
	v_rcp_iflag_f32_e32 v0, s2
	s_delay_alu instid0(TRANS32_DEP_1) | instskip(SKIP_2) | instid1(SALU_CYCLE_2)
	v_readfirstlane_b32 s2, v0
	s_mul_f32 s2, s2, 0x4f7ffffe
	s_wait_alu 0xfffe
	s_cvt_u32_f32 s2, s2
	s_wait_alu 0xfffe
	s_delay_alu instid0(SALU_CYCLE_2)
	s_mul_i32 s3, s3, s2
	s_wait_alu 0xfffe
	s_mul_hi_u32 s3, s2, s3
	s_wait_alu 0xfffe
	s_add_co_i32 s2, s2, s3
	s_mov_b32 s3, s5
	s_wait_kmcnt 0x0
	s_cmp_eq_u64 s[6:7], 0
	s_cbranch_scc1 .LBB53_3
; %bb.2:
	s_mov_b32 s10, ttmp9
	s_ashr_i32 s11, ttmp9, 31
	s_delay_alu instid0(SALU_CYCLE_1) | instskip(NEXT) | instid1(SALU_CYCLE_1)
	s_lshl_b64 s[10:11], s[10:11], 2
	s_add_nc_u64 s[6:7], s[6:7], s[10:11]
	s_load_b32 s19, s[6:7], 0x0
.LBB53_3:
	scratch_load_b32 v0, off, off offset:616 ; 4-byte Folded Reload
	s_load_b96 s[16:18], s[0:1], 0x58
	s_mul_u64 s[2:3], s[4:5], s[2:3]
	s_ashr_i32 s5, ttmp9, 31
	s_ashr_i32 s15, s8, 31
	s_lshl_b32 s6, ttmp9, 8
	s_wait_loadcnt 0x0
	v_cmp_gt_u32_e64 s2, 64, v0
	s_wait_alu 0xfffe
	s_and_saveexec_b32 s8, s2
	s_cbranch_execz .LBB53_5
; %bb.4:
	scratch_load_b32 v0, off, off offset:616 ; 4-byte Folded Reload
	s_load_b64 s[10:11], s[0:1], 0x18
	s_wait_kmcnt 0x0
	s_mul_i32 s20, s16, s36
	s_ashr_i32 s7, s6, 31
	s_ashr_i32 s21, s20, 31
	s_delay_alu instid0(SALU_CYCLE_1) | instskip(NEXT) | instid1(SALU_CYCLE_1)
	s_lshl_b64 s[20:21], s[20:21], 2
	s_add_nc_u64 s[10:11], s[10:11], s[20:21]
	s_lshl_b64 s[20:21], s[6:7], 2
	s_delay_alu instid0(SALU_CYCLE_1)
	s_add_nc_u64 s[10:11], s[10:11], s[20:21]
	s_wait_loadcnt 0x0
	v_lshlrev_b32_e32 v4, 4, v0
	global_load_b128 v[0:3], v4, s[10:11]
	s_wait_loadcnt 0x0
	ds_store_b128 v4, v[0:3]
.LBB53_5:
	s_or_b32 exec_lo, exec_lo, s8
	s_load_b128 s[8:11], s[0:1], 0x78
	s_mul_i32 s7, s3, s14
	s_xor_b32 s5, s5, s15
	s_sub_co_i32 s4, s4, s7
	s_add_co_i32 s7, s3, 1
	s_sub_co_i32 s15, s4, s14
	s_cmp_ge_u32 s4, s14
	s_mov_b32 s22, -1
	s_cselect_b32 s3, s7, s3
	s_cselect_b32 s4, s15, s4
	s_wait_alu 0xfffe
	s_add_co_i32 s7, s3, 1
	s_cmp_ge_u32 s4, s14
                                        ; implicit-def: $sgpr33
	s_cselect_b32 s4, s7, s3
	s_load_b32 s3, s[0:1], 0x88
	s_xor_b32 s4, s4, s5
	s_wait_storecnt_dscnt 0x0
	s_sub_co_i32 s26, s4, s5
	s_barrier_signal -1
	s_barrier_wait -1
	s_wait_kmcnt 0x0
	s_abs_i32 s16, s11
	global_inv scope:SCOPE_SE
	s_cvt_f32_u32 s7, s16
	s_delay_alu instid0(SALU_CYCLE_3) | instskip(NEXT) | instid1(TRANS32_DEP_1)
	v_rcp_iflag_f32_e32 v0, s7
	v_readfirstlane_b32 s7, v0
	s_mul_f32 s4, s7, 0x4f7ffffe
	s_add_co_i32 s7, s31, -1
	s_delay_alu instid0(SALU_CYCLE_2) | instskip(SKIP_1) | instid1(SALU_CYCLE_2)
	s_cvt_u32_f32 s14, s4
	s_sub_co_i32 s4, 0, s16
	s_mul_i32 s5, s4, s14
	s_wait_alu 0xfffe
	s_abs_i32 s4, s7
	s_mul_hi_u32 s15, s14, s5
	s_mov_b32 s5, 0
	s_add_co_i32 s20, s14, s15
	s_cmp_lt_i32 s3, 0
	s_mov_b32 s21, s5
	s_cbranch_scc0 .LBB53_7
; %bb.6:
	s_mul_i32 s12, s8, s12
	s_mov_b32 s22, s5
	s_add_co_i32 s12, s26, s12
	s_delay_alu instid0(SALU_CYCLE_1) | instskip(NEXT) | instid1(SALU_CYCLE_1)
	s_mul_i32 s12, s12, s3
	s_sub_co_i32 s33, 1, s12
.LBB53_7:
	s_mul_u64 s[14:15], s[4:5], s[20:21]
	s_ashr_i32 s5, s7, 31
	s_and_not1_b32 vcc_lo, exec_lo, s22
	s_ashr_i32 s21, s11, 31
	s_cbranch_vccnz .LBB53_9
; %bb.8:
	s_mul_i32 s7, s37, s8
	s_wait_alu 0xfffe
	s_add_co_i32 s7, s7, ttmp9
	s_wait_alu 0xfffe
	s_mul_i32 s3, s7, s3
	s_wait_alu 0xfffe
	s_add_co_i32 s33, s3, 1
.LBB53_9:
	s_mul_i32 s7, s15, s16
	s_load_b32 s3, s[0:1], 0x48
	s_sub_co_i32 s4, s4, s7
	s_clause 0x1
	s_load_b64 s[22:23], s[0:1], 0x38
	s_load_b32 s7, s[0:1], 0x98
	scratch_load_b32 v0, off, off offset:616 ; 4-byte Folded Reload
	s_xor_b32 s5, s5, s21
	s_add_co_i32 s8, s15, 1
	s_mul_i32 s26, s26, s18
	s_wait_kmcnt 0x0
	s_mul_i32 s24, s3, s36
	s_sub_co_i32 s3, s4, s16
	s_ashr_i32 s25, s24, 31
	s_cmp_ge_u32 s4, s16
	s_cselect_b32 s8, s8, s15
	s_wait_alu 0xfffe
	s_cselect_b32 s3, s3, s4
	s_add_co_i32 s4, s8, 1
	s_wait_alu 0xfffe
	s_cmp_ge_u32 s3, s16
	s_cselect_b32 s3, s4, s8
	s_add_co_i32 s4, s31, 31
	s_lshl_b32 s38, s30, 4
	s_ashr_i32 s8, s4, 31
	s_add_co_i32 s11, s38, 16
	s_lshr_b32 s8, s8, 27
	s_delay_alu instid0(SALU_CYCLE_1) | instskip(NEXT) | instid1(SALU_CYCLE_1)
	s_add_co_i32 s4, s4, s8
	s_ashr_i32 s8, s4, 5
	s_wait_alu 0xfffe
	s_xor_b32 s4, s3, s5
	s_min_i32 s34, s11, s8
	s_sub_co_i32 s11, s4, s5
	s_wait_loadcnt 0x0
	v_lshrrev_b32_e32 v1, 5, v0
	s_delay_alu instid0(VALU_DEP_1)
	v_add_nc_u32_e32 v3, s38, v1
	v_and_b32_e32 v2, 31, v0
	scratch_store_b32 off, v1, off offset:640 ; 4-byte Folded Spill
	v_dual_mov_b32 v0, 0xff7fffff :: v_dual_mov_b32 v1, v3
	v_cmp_gt_i32_e64 s3, s34, v3
	v_lshlrev_b32_e32 v73, 2, v2
	s_clause 0x1
	scratch_store_b32 off, v2, off offset:612
	scratch_store_b64 off, v[1:2], off
	s_and_saveexec_b32 s12, s3
	s_cbranch_execz .LBB53_17
; %bb.10:
	scratch_load_b32 v70, off, off offset:612 ; 4-byte Folded Reload
	s_load_b64 s[4:5], s[0:1], 0x20
	s_ashr_i32 s27, s26, 31
	s_sub_co_i32 s14, s11, s9
	s_lshl_b64 s[28:29], s[26:27], 2
	s_cmp_neq_f32 s19, 0
	s_mov_b32 s15, s17
	s_mov_b32 s18, 0
	v_mov_b32_e32 v65, 0
	s_cselect_b32 vcc_lo, -1, 0
	s_abs_i32 s27, s10
	s_wait_kmcnt 0x0
	s_add_nc_u64 s[4:5], s[4:5], s[28:29]
	s_wait_loadcnt 0x0
	v_lshlrev_b32_e32 v0, 4, v70
	s_delay_alu instid0(VALU_DEP_1)
	v_add_co_u32 v0, s4, s4, v0
	scratch_store_b32 off, v0, off offset:8 ; 4-byte Folded Spill
	s_wait_alu 0xf1ff
	v_add_co_ci_u32_e64 v0, null, s5, 0, s4
	s_cvt_f32_u32 s4, s27
	s_sub_co_i32 s5, 0, s27
	scratch_store_b32 off, v0, off offset:24 ; 4-byte Folded Spill
	ds_load_b128 v[0:3], v65
	s_wait_dscnt 0x0
	scratch_store_b128 off, v[0:3], off offset:40 ; 16-byte Folded Spill
	ds_load_b128 v[0:3], v65 offset:16
	s_wait_dscnt 0x0
	scratch_store_b128 off, v[0:3], off offset:56 ; 16-byte Folded Spill
	ds_load_b128 v[0:3], v65 offset:32
	;; [unrolled: 3-line block ×21, first 2 shown]
	ds_load_b128 v[89:92], v65 offset:352
	ds_load_b128 v[93:96], v65 offset:368
	;; [unrolled: 1-line block ×42, first 2 shown]
	s_clause 0x1
	scratch_load_b64 v[71:72], off, off
	scratch_load_b32 v69, off, off offset:640
	s_wait_alu 0xfffe
	v_rcp_iflag_f32_e32 v0, s4
	s_delay_alu instid0(TRANS32_DEP_1) | instskip(SKIP_2) | instid1(SALU_CYCLE_2)
	v_readfirstlane_b32 s4, v0
	s_mul_f32 s4, s4, 0x4f7ffffe
	s_wait_alu 0xfffe
	s_cvt_u32_f32 s4, s4
	s_wait_alu 0xfffe
	s_delay_alu instid0(SALU_CYCLE_2)
	s_mul_i32 s5, s5, s4
	s_wait_alu 0xfffe
	s_mul_hi_u32 s5, s4, s5
	s_wait_alu 0xfffe
	s_add_co_i32 s28, s4, s5
	s_lshl_b64 s[4:5], s[24:25], 2
	s_wait_alu 0xfffe
	s_add_nc_u64 s[4:5], s[22:23], s[4:5]
	s_wait_loadcnt 0x1
	v_lshlrev_b32_e32 v0, 2, v71
	s_wait_loadcnt 0x0
	v_lshl_add_u32 v189, v69, 5, s35
	s_wait_alu 0xfffe
	s_delay_alu instid0(VALU_DEP_2) | instskip(SKIP_3) | instid1(VALU_DEP_2)
	v_add_co_u32 v190, s4, s4, v0
	v_subrev_nc_u32_e32 v0, s31, v70
	s_wait_alu 0xf1ff
	v_add_co_ci_u32_e64 v191, null, s5, 0, s4
	v_add_nc_u32_e32 v0, 1, v0
	s_clause 0x1
	scratch_store_b32 off, v0, off offset:376
	scratch_store_b32 off, v73, off offset:380
	v_lshl_or_b32 v0, v69, 7, v73
	s_delay_alu instid0(VALU_DEP_1)
	v_add_nc_u32_e32 v72, 0x420, v0
	v_mov_b32_e32 v0, 0xff7fffff
	s_branch .LBB53_12
.LBB53_11:                              ;   in Loop: Header=BB53_12 Depth=1
	s_wait_alu 0xfffe
	s_or_b32 exec_lo, exec_lo, s5
	v_add_nc_u32_e32 v71, 4, v71
	v_add_co_u32 v190, s4, v190, 16
	s_wait_alu 0xf1ff
	v_add_co_ci_u32_e64 v191, null, 0, v191, s4
	s_delay_alu instid0(VALU_DEP_3)
	v_cmp_le_i32_e64 s4, s34, v71
	v_add_nc_u32_e32 v189, 0x80, v189
	v_add_nc_u32_e32 v72, 0x200, v72
	s_or_b32 s18, s4, s18
	s_wait_alu 0xfffe
	s_and_not1_b32 exec_lo, exec_lo, s18
	s_cbranch_execz .LBB53_16
.LBB53_12:                              ; =>This Inner Loop Header: Depth=1
	v_sub_nc_u32_e32 v69, 0, v189
	s_delay_alu instid0(VALU_DEP_1) | instskip(NEXT) | instid1(VALU_DEP_1)
	v_max_i32_e32 v69, v189, v69
	v_mul_hi_u32 v70, v69, s20
	s_delay_alu instid0(VALU_DEP_1) | instskip(NEXT) | instid1(VALU_DEP_1)
	v_mul_lo_u32 v73, v70, s16
	v_sub_nc_u32_e32 v69, v69, v73
	v_add_nc_u32_e32 v73, 1, v70
	s_delay_alu instid0(VALU_DEP_2) | instskip(SKIP_2) | instid1(VALU_DEP_1)
	v_subrev_nc_u32_e32 v74, s16, v69
	v_cmp_le_u32_e64 s4, s16, v69
	s_wait_alu 0xf1ff
	v_cndmask_b32_e64 v70, v70, v73, s4
	s_delay_alu instid0(VALU_DEP_3) | instskip(SKIP_1) | instid1(VALU_DEP_3)
	v_cndmask_b32_e64 v69, v69, v74, s4
	v_ashrrev_i32_e32 v73, 31, v189
	v_add_nc_u32_e32 v74, 1, v70
	s_delay_alu instid0(VALU_DEP_3) | instskip(NEXT) | instid1(VALU_DEP_3)
	v_cmp_le_u32_e64 s4, s16, v69
	v_xor_b32_e32 v73, s21, v73
	s_wait_alu 0xf1ff
	s_delay_alu instid0(VALU_DEP_2) | instskip(NEXT) | instid1(VALU_DEP_1)
	v_cndmask_b32_e64 v69, v70, v74, s4
	v_xor_b32_e32 v69, v69, v73
	s_delay_alu instid0(VALU_DEP_1) | instskip(NEXT) | instid1(VALU_DEP_1)
	v_sub_nc_u32_e32 v69, v69, v73
	v_add_nc_u32_e32 v70, s33, v69
	v_cmp_ge_i32_e64 s5, s14, v69
	s_delay_alu instid0(VALU_DEP_2) | instskip(NEXT) | instid1(VALU_DEP_1)
	v_sub_nc_u32_e32 v73, 0, v70
	v_max_i32_e32 v73, v70, v73
	v_ashrrev_i32_e32 v70, 31, v70
	s_delay_alu instid0(VALU_DEP_2) | instskip(NEXT) | instid1(VALU_DEP_1)
	v_mul_hi_u32 v74, v73, s28
	v_mul_lo_u32 v74, v74, s27
	s_delay_alu instid0(VALU_DEP_1) | instskip(NEXT) | instid1(VALU_DEP_1)
	v_sub_nc_u32_e32 v73, v73, v74
	v_subrev_nc_u32_e32 v74, s27, v73
	v_cmp_le_u32_e64 s4, s27, v73
	s_wait_alu 0xf1ff
	s_delay_alu instid0(VALU_DEP_1) | instskip(NEXT) | instid1(VALU_DEP_1)
	v_cndmask_b32_e64 v73, v73, v74, s4
	v_subrev_nc_u32_e32 v74, s27, v73
	v_cmp_le_u32_e64 s4, s27, v73
	s_wait_alu 0xf1ff
	s_delay_alu instid0(VALU_DEP_1) | instskip(NEXT) | instid1(VALU_DEP_1)
	v_cndmask_b32_e64 v73, v73, v74, s4
	v_xor_b32_e32 v73, v73, v70
	s_delay_alu instid0(VALU_DEP_1) | instskip(NEXT) | instid1(VALU_DEP_1)
	v_sub_nc_u32_e32 v70, v73, v70
	v_cmp_ne_u32_e64 s4, 0, v70
	s_and_b32 s4, s4, s5
	s_wait_alu 0xfffe
	s_and_saveexec_b32 s5, s4
	s_wait_alu 0xfffe
	s_xor_b32 s4, exec_lo, s5
; %bb.13:                               ;   in Loop: Header=BB53_12 Depth=1
	v_mov_b32_e32 v69, 0xff7fffff
	ds_store_b32 v72, v69
; %bb.14:                               ;   in Loop: Header=BB53_12 Depth=1
	s_wait_alu 0xfffe
	s_and_not1_saveexec_b32 s5, s4
	s_cbranch_execz .LBB53_11
; %bb.15:                               ;   in Loop: Header=BB53_12 Depth=1
	global_load_b32 v69, v[190:191], off
	scratch_load_b32 v73, off, off offset:8 ; 4-byte Folded Reload
	s_wait_loadcnt 0x1
	v_mad_co_i64_i32 v[69:70], null, v69, s15, 0
	s_delay_alu instid0(VALU_DEP_1) | instskip(SKIP_1) | instid1(VALU_DEP_1)
	v_lshlrev_b64_e32 v[69:70], 2, v[69:70]
	s_wait_loadcnt 0x0
	v_add_co_u32 v69, s4, v73, v69
	scratch_load_b32 v73, off, off offset:24 ; 4-byte Folded Reload
	s_wait_loadcnt 0x0
	s_wait_alu 0xf1ff
	v_add_co_ci_u32_e64 v70, null, v73, v70, s4
	global_load_b128 v[77:80], v[69:70], off offset:512
	scratch_load_b128 v[81:84], off, off offset:56 ; 16-byte Folded Reload
	s_wait_loadcnt 0x0
	v_dual_mul_f32 v74, v81, v77 :: v_dual_mul_f32 v75, v82, v78
	v_dual_mul_f32 v76, v83, v79 :: v_dual_mul_f32 v73, v84, v80
	global_load_b128 v[77:80], v[69:70], off
	scratch_load_b128 v[81:84], off, off offset:40 ; 16-byte Folded Reload
	s_wait_loadcnt 0x0
	v_dual_fmac_f32 v74, v81, v77 :: v_dual_fmac_f32 v75, v82, v78
	v_dual_fmac_f32 v76, v83, v79 :: v_dual_fmac_f32 v73, v84, v80
	global_load_b128 v[77:80], v[69:70], off offset:1024
	scratch_load_b128 v[81:84], off, off offset:72 ; 16-byte Folded Reload
	s_wait_loadcnt 0x0
	v_dual_fmac_f32 v74, v81, v77 :: v_dual_fmac_f32 v75, v82, v78
	v_dual_fmac_f32 v76, v83, v79 :: v_dual_fmac_f32 v73, v84, v80
	global_load_b128 v[77:80], v[69:70], off offset:1536
	;; [unrolled: 5-line block ×20, first 2 shown]
	s_wait_loadcnt_dscnt 0x2a
	v_dual_fmac_f32 v74, v85, v77 :: v_dual_fmac_f32 v75, v86, v78
	v_dual_fmac_f32 v76, v87, v79 :: v_dual_fmac_f32 v73, v88, v80
	global_load_b128 v[77:80], v[69:70], off offset:11264
	s_wait_loadcnt_dscnt 0x29
	v_dual_fmac_f32 v74, v89, v77 :: v_dual_fmac_f32 v75, v90, v78
	v_dual_fmac_f32 v76, v91, v79 :: v_dual_fmac_f32 v73, v92, v80
	global_load_b128 v[77:80], v[69:70], off offset:11776
	;; [unrolled: 4-line block ×42, first 2 shown]
	scratch_load_b32 v70, off, off offset:612 ; 4-byte Folded Reload
	s_wait_loadcnt_dscnt 0x100
	v_dual_fmac_f32 v74, v77, v65 :: v_dual_fmac_f32 v75, v78, v66
	s_wait_loadcnt 0x0
	v_add_nc_u32_e32 v70, v70, v189
	v_dual_fmac_f32 v76, v79, v67 :: v_dual_fmac_f32 v73, v80, v68
	s_delay_alu instid0(VALU_DEP_2) | instskip(SKIP_3) | instid1(VALU_DEP_1)
	v_cmp_gt_i32_e64 s4, s31, v70
	scratch_load_b32 v70, off, off offset:376 ; 4-byte Folded Reload
	s_wait_loadcnt 0x0
	v_add_nc_u32_e32 v70, v70, v189
	v_cvt_f32_i32_e32 v70, v70
	s_delay_alu instid0(VALU_DEP_1) | instskip(NEXT) | instid1(VALU_DEP_1)
	v_dual_add_f32 v69, v74, v75 :: v_dual_mul_f32 v70, s19, v70
	v_dual_add_f32 v69, v76, v69 :: v_dual_cndmask_b32 v70, 0, v70
	s_delay_alu instid0(VALU_DEP_1) | instskip(NEXT) | instid1(VALU_DEP_1)
	v_add_f32_e32 v69, v73, v69
	v_dual_fmac_f32 v70, s13, v69 :: v_dual_max_num_f32 v69, v0, v0
	s_delay_alu instid0(VALU_DEP_1) | instskip(SKIP_1) | instid1(VALU_DEP_1)
	v_max_num_f32_e32 v69, v69, v70
	s_wait_alu 0xf1ff
	v_cndmask_b32_e64 v0, v0, v69, s4
	v_cndmask_b32_e64 v69, 0, v70, s4
	ds_store_b32 v72, v69
	s_branch .LBB53_11
.LBB53_16:
	s_or_b32 exec_lo, exec_lo, s18
	scratch_load_b32 v73, off, off offset:380 ; 4-byte Folded Reload
.LBB53_17:
	s_or_b32 exec_lo, exec_lo, s12
	s_wait_dscnt 0x10
	v_mbcnt_lo_u32_b32 v3, -1, 0
	s_clause 0x2
	s_load_b128 s[12:15], s[0:1], 0x0
	s_load_b64 s[18:19], s[0:1], 0x10
	s_load_b64 s[28:29], s[0:1], 0x28
	v_xor_b32_e32 v1, 16, v3
	v_xor_b32_e32 v4, 8, v3
	s_delay_alu instid0(VALU_DEP_2) | instskip(SKIP_2) | instid1(VALU_DEP_3)
	v_cmp_gt_i32_e32 vcc_lo, 32, v1
	s_wait_alu 0xfffd
	v_cndmask_b32_e32 v1, v3, v1, vcc_lo
	v_cmp_gt_i32_e32 vcc_lo, 32, v4
	s_wait_alu 0xfffd
	s_delay_alu instid0(VALU_DEP_2) | instskip(SKIP_4) | instid1(VALU_DEP_2)
	v_dual_cndmask_b32 v4, v3, v4 :: v_dual_lshlrev_b32 v1, 2, v1
	ds_bpermute_b32 v2, v1, v0
	s_wait_dscnt 0x0
	v_dual_max_num_f32 v0, v0, v0 :: v_dual_max_num_f32 v5, v2, v2
	v_lshlrev_b32_e32 v2, 2, v4
	v_max_num_f32_e32 v0, v0, v5
	v_xor_b32_e32 v5, 4, v3
	ds_bpermute_b32 v4, v2, v0
	v_cmp_gt_i32_e32 vcc_lo, 32, v5
	s_wait_dscnt 0x0
	s_wait_alu 0xfffd
	v_dual_cndmask_b32 v5, v3, v5 :: v_dual_max_num_f32 v4, v4, v4
	s_delay_alu instid0(VALU_DEP_1) | instskip(SKIP_3) | instid1(VALU_DEP_1)
	v_dual_max_num_f32 v0, v0, v4 :: v_dual_lshlrev_b32 v5, 2, v5
	scratch_store_b32 off, v5, off offset:648 ; 4-byte Folded Spill
	ds_bpermute_b32 v4, v5, v0
	v_xor_b32_e32 v5, 2, v3
	v_cmp_gt_i32_e32 vcc_lo, 32, v5
	s_wait_dscnt 0x0
	s_wait_alu 0xfffd
	v_dual_cndmask_b32 v5, v3, v5 :: v_dual_max_num_f32 v4, v4, v4
	s_delay_alu instid0(VALU_DEP_1) | instskip(SKIP_3) | instid1(VALU_DEP_1)
	v_dual_max_num_f32 v0, v0, v4 :: v_dual_lshlrev_b32 v5, 2, v5
	scratch_store_b32 off, v5, off offset:636 ; 4-byte Folded Spill
	ds_bpermute_b32 v4, v5, v0
	v_xor_b32_e32 v5, 1, v3
	v_cmp_gt_i32_e32 vcc_lo, 32, v5
	s_wait_alu 0xfffd
	v_cndmask_b32_e32 v3, v3, v5, vcc_lo
	s_wait_dscnt 0x0
	s_delay_alu instid0(VALU_DEP_1) | instskip(NEXT) | instid1(VALU_DEP_1)
	v_dual_max_num_f32 v4, v4, v4 :: v_dual_lshlrev_b32 v5, 2, v3
	v_max_num_f32_e32 v0, v0, v4
	scratch_load_b32 v4, off, off offset:612 ; 4-byte Folded Reload
	ds_bpermute_b32 v3, v5, v0
	s_wait_loadcnt 0x0
	v_cmp_eq_u32_e32 vcc_lo, 0, v4
	scratch_load_b32 v4, off, off offset:640 ; 4-byte Folded Reload
	s_wait_loadcnt 0x0
	v_lshlrev_b32_e32 v4, 2, v4
	s_and_saveexec_b32 s0, vcc_lo
	s_cbranch_execz .LBB53_19
; %bb.18:
	s_wait_dscnt 0x0
	v_dual_max_num_f32 v3, v3, v3 :: v_dual_max_num_f32 v0, v0, v0
	s_delay_alu instid0(VALU_DEP_1)
	v_max_num_f32_e32 v0, v0, v3
	ds_store_b32 v4, v0 offset:1024
.LBB53_19:
	s_or_b32 exec_lo, exec_lo, s0
	scratch_load_b32 v0, off, off offset:612 ; 4-byte Folded Reload
	s_wait_storecnt 0x0
	s_wait_loadcnt_dscnt 0x0
	s_barrier_signal -1
	s_barrier_wait -1
	global_inv scope:SCOPE_SE
	v_cmp_gt_u32_e64 s0, 4, v0
	v_mov_b32_e32 v0, 0xff7fffff
	s_and_saveexec_b32 s1, s0
; %bb.20:
	ds_load_b32 v0, v73 offset:1024
; %bb.21:
	s_or_b32 exec_lo, exec_lo, s1
	scratch_load_b32 v3, off, off offset:636 ; 4-byte Folded Reload
	scratch_store_b32 off, v5, off offset:644 ; 4-byte Folded Spill
	s_sub_co_i32 s1, s34, s38
	s_delay_alu instid0(SALU_CYCLE_1) | instskip(NEXT) | instid1(SALU_CYCLE_1)
	s_lshl_b32 s1, s1, 5
	s_add_co_i32 s1, s1, s35
	s_delay_alu instid0(SALU_CYCLE_1) | instskip(NEXT) | instid1(SALU_CYCLE_1)
	s_min_i32 s1, s1, s31
	s_sub_co_i32 s5, s1, s35
	s_wait_loadcnt_dscnt 0x0
	ds_bpermute_b32 v3, v3, v0
	s_wait_dscnt 0x0
	v_dual_max_num_f32 v0, v0, v0 :: v_dual_max_num_f32 v3, v3, v3
	s_delay_alu instid0(VALU_DEP_1) | instskip(SKIP_4) | instid1(VALU_DEP_1)
	v_max_num_f32_e32 v0, v0, v3
	ds_bpermute_b32 v3, v5, v0
	v_mov_b32_e32 v5, 0
	s_wait_dscnt 0x0
	v_max_num_f32_e32 v3, v3, v3
	v_max_num_f32_e32 v0, v0, v3
	scratch_load_b32 v3, off, off offset:616 ; 4-byte Folded Reload
	ds_bpermute_b32 v0, v5, v0
	s_wait_loadcnt 0x0
	s_wait_alu 0xfffe
	v_cmp_gt_i32_e64 s1, s5, v3
	v_lshl_add_u32 v3, v3, 2, 0x420
	s_and_saveexec_b32 s27, s1
	s_cbranch_execz .LBB53_25
; %bb.22:
	scratch_load_b32 v7, off, off offset:616 ; 4-byte Folded Reload
	v_mov_b32_e32 v5, 0
	s_mov_b32 s38, 0
	s_wait_loadcnt 0x0
	v_lshl_add_u32 v6, v7, 2, 0x420
.LBB53_23:                              ; =>This Inner Loop Header: Depth=1
	ds_load_b32 v8, v6
	v_add_nc_u32_e32 v7, 0x80, v7
	s_delay_alu instid0(VALU_DEP_1) | instskip(SKIP_4) | instid1(VALU_DEP_1)
	v_cmp_le_i32_e64 s4, s5, v7
	s_wait_alu 0xfffe
	s_or_b32 s38, s4, s38
	s_wait_dscnt 0x0
	v_sub_f32_e32 v8, v8, v0
	v_mul_f32_e32 v8, 0x3fb8aa3b, v8
	s_delay_alu instid0(VALU_DEP_1)
	v_exp_f32_e32 v8, v8
	ds_store_b32 v6, v8
	v_dual_add_f32 v5, v5, v8 :: v_dual_add_nc_u32 v6, 0x200, v6
	s_wait_alu 0xfffe
	s_and_not1_b32 exec_lo, exec_lo, s38
	s_cbranch_execnz .LBB53_23
; %bb.24:
	s_or_b32 exec_lo, exec_lo, s38
.LBB53_25:
	s_wait_alu 0xfffe
	s_or_b32 exec_lo, exec_lo, s27
	ds_bpermute_b32 v1, v1, v5
	s_wait_dscnt 0x0
	v_add_f32_e32 v1, v5, v1
	scratch_load_b32 v5, off, off offset:644 ; 4-byte Folded Reload
	ds_bpermute_b32 v2, v2, v1
	s_wait_dscnt 0x0
	v_add_f32_e32 v1, v1, v2
	scratch_load_b32 v2, off, off offset:648 ; 4-byte Folded Reload
	s_wait_loadcnt 0x0
	ds_bpermute_b32 v2, v2, v1
	s_wait_dscnt 0x0
	v_add_f32_e32 v1, v1, v2
	scratch_load_b32 v2, off, off offset:636 ; 4-byte Folded Reload
	s_wait_loadcnt 0x0
	ds_bpermute_b32 v2, v2, v1
	s_wait_dscnt 0x0
	v_add_f32_e32 v1, v1, v2
	ds_bpermute_b32 v2, v5, v1
	s_wait_dscnt 0x0
	v_add_f32_e32 v1, v1, v2
	s_and_saveexec_b32 s4, vcc_lo
; %bb.26:
	ds_store_b32 v4, v1 offset:1040
; %bb.27:
	s_wait_alu 0xfffe
	s_or_b32 exec_lo, exec_lo, s4
	s_wait_storecnt_dscnt 0x0
	s_barrier_signal -1
	s_barrier_wait -1
	global_inv scope:SCOPE_SE
	s_and_saveexec_b32 s4, s0
; %bb.28:
	ds_load_b32 v1, v73 offset:1040
; %bb.29:
	s_wait_alu 0xfffe
	s_or_b32 exec_lo, exec_lo, s4
	scratch_load_b32 v2, off, off offset:636 ; 4-byte Folded Reload
	s_wait_loadcnt_dscnt 0x0
	ds_bpermute_b32 v2, v2, v1
	s_wait_dscnt 0x0
	v_add_f32_e32 v1, v1, v2
	ds_bpermute_b32 v2, v5, v1
	s_wait_dscnt 0x0
	v_dual_add_f32 v1, v1, v2 :: v_dual_mov_b32 v2, 0
	ds_bpermute_b32 v1, v2, v1
	s_and_saveexec_b32 s0, s1
	s_cbranch_execz .LBB53_32
; %bb.30:
	s_wait_dscnt 0x0
	v_add_f32_e32 v2, 0x358637bd, v1
	s_mov_b32 s1, 0
	s_delay_alu instid0(VALU_DEP_1) | instskip(SKIP_1) | instid1(VALU_DEP_2)
	v_div_scale_f32 v4, null, v2, v2, 1.0
	v_div_scale_f32 v7, vcc_lo, 1.0, v2, 1.0
	v_rcp_f32_e32 v5, v4
	s_delay_alu instid0(TRANS32_DEP_1) | instskip(NEXT) | instid1(VALU_DEP_1)
	v_fma_f32 v6, -v4, v5, 1.0
	v_fmac_f32_e32 v5, v6, v5
	s_delay_alu instid0(VALU_DEP_1) | instskip(NEXT) | instid1(VALU_DEP_1)
	v_mul_f32_e32 v6, v7, v5
	v_fma_f32 v8, -v4, v6, v7
	s_delay_alu instid0(VALU_DEP_1) | instskip(NEXT) | instid1(VALU_DEP_1)
	v_fmac_f32_e32 v6, v8, v5
	v_fma_f32 v4, -v4, v6, v7
	s_wait_alu 0xfffd
	s_delay_alu instid0(VALU_DEP_1) | instskip(NEXT) | instid1(VALU_DEP_1)
	v_div_fmas_f32 v4, v4, v5, v6
	v_div_fixup_f32 v2, v4, v2, 1.0
	scratch_load_b32 v4, off, off offset:616 ; 4-byte Folded Reload
.LBB53_31:                              ; =>This Inner Loop Header: Depth=1
	ds_load_b32 v5, v3
	s_wait_loadcnt_dscnt 0x0
	v_dual_mul_f32 v5, v2, v5 :: v_dual_add_nc_u32 v4, 0x80, v4
	s_delay_alu instid0(VALU_DEP_1) | instskip(SKIP_3) | instid1(SALU_CYCLE_1)
	v_cmp_le_i32_e32 vcc_lo, s5, v4
	ds_store_b32 v3, v5
	v_add_nc_u32_e32 v3, 0x200, v3
	s_or_b32 s1, vcc_lo, s1
	s_and_not1_b32 exec_lo, exec_lo, s1
	s_cbranch_execnz .LBB53_31
.LBB53_32:
	s_or_b32 exec_lo, exec_lo, s0
	s_wait_dscnt 0x0
	s_barrier_signal -1
	scratch_load_b32 v2, off, off offset:616 ; 4-byte Folded Reload
	s_mul_i32 s0, s7, s36
	s_barrier_wait -1
	s_mul_i32 s4, s0, s37
	s_mov_b32 s0, exec_lo
	s_wait_loadcnt 0x0
	global_inv scope:SCOPE_SE
	v_cmpx_eq_u32_e32 0, v2
	s_cbranch_execz .LBB53_34
; %bb.33:
	s_wait_alu 0xfffe
	s_ashr_i32 s5, s4, 31
	s_mul_i32 s36, s7, ttmp9
	s_lshl_b32 s1, s30, 2
	s_wait_alu 0xfffe
	s_lshl_b64 s[38:39], s[4:5], 2
	s_ashr_i32 s37, s36, 31
	v_mov_b32_e32 v2, s1
	s_wait_kmcnt 0x0
	s_wait_alu 0xfffe
	s_add_nc_u64 s[14:15], s[14:15], s[38:39]
	s_lshl_b64 s[36:37], s[36:37], 2
	s_add_nc_u64 s[12:13], s[12:13], s[38:39]
	s_wait_alu 0xfffe
	s_add_nc_u64 s[14:15], s[14:15], s[36:37]
	s_add_nc_u64 s[12:13], s[12:13], s[36:37]
	s_clause 0x1
	global_store_b32 v2, v0, s[14:15]
	global_store_b32 v2, v1, s[12:13]
.LBB53_34:
	s_or_b32 exec_lo, exec_lo, s0
	v_dual_mov_b32 v20, 0 :: v_dual_mov_b32 v19, 0
	v_dual_mov_b32 v18, 0 :: v_dual_mov_b32 v17, 0
	;; [unrolled: 1-line block ×28, first 2 shown]
	v_mov_b32_e32 v65, 0
	v_mov_b32_e32 v67, 0
	;; [unrolled: 1-line block ×8, first 2 shown]
	s_and_saveexec_b32 s1, s3
	s_cbranch_execz .LBB53_168
; %bb.35:
	scratch_load_b32 v0, off, off offset:616 ; 4-byte Folded Reload
	s_abs_i32 s3, s10
	s_lshl_b32 s0, s35, 2
	s_wait_alu 0xfffe
	s_cvt_f32_u32 s10, s3
	s_wait_kmcnt 0x0
	s_sub_co_i32 s14, 0x420, s0
	s_sub_co_i32 s15, 0, s3
	s_ashr_i32 s27, s26, 31
	v_rcp_iflag_f32_e32 v1, s10
	v_dual_mov_b32 v80, 0 :: v_dual_mov_b32 v77, 0
	v_dual_mov_b32 v78, 0 :: v_dual_mov_b32 v67, 0
	;; [unrolled: 1-line block ×5, first 2 shown]
	s_delay_alu instid0(TRANS32_DEP_1)
	v_readfirstlane_b32 s0, v1
	v_dual_mov_b32 v68, 0 :: v_dual_mov_b32 v61, 0
	v_dual_mov_b32 v84, 0 :: v_dual_mov_b32 v85, 0
	s_mul_f32 s0, s0, 0x4f7ffffe
	v_dual_mov_b32 v57, 0 :: v_dual_mov_b32 v86, 0
	v_dual_mov_b32 v88, 0 :: v_dual_mov_b32 v89, 0
	s_wait_alu 0xfffe
	s_cvt_u32_f32 s0, s0
	v_dual_mov_b32 v90, 0 :: v_dual_mov_b32 v91, 0
	v_dual_mov_b32 v53, 0 :: v_dual_mov_b32 v92, 0
	s_wait_alu 0xfffe
	s_mul_i32 s15, s15, s0
	v_dual_mov_b32 v93, 0 :: v_dual_mov_b32 v94, 0
	v_dual_mov_b32 v95, 0 :: v_dual_mov_b32 v96, 0
	;; [unrolled: 1-line block ×16, first 2 shown]
	v_mov_b32_e32 v27, 0
	v_mov_b32_e32 v29, 0
	;; [unrolled: 1-line block ×4, first 2 shown]
	s_lshl_b64 s[24:25], s[24:25], 2
	s_sub_co_i32 s5, s11, s9
	s_mov_b32 s12, s17
	s_lshl_b64 s[10:11], s[26:27], 2
	s_wait_alu 0xfffe
	s_mul_hi_u32 s17, s0, s15
	s_add_co_i32 s13, s8, -1
	s_add_nc_u64 s[8:9], s[22:23], s[24:25]
	s_add_nc_u64 s[10:11], s[28:29], s[10:11]
	s_mov_b32 s15, 0
	s_wait_alu 0xfffe
	s_add_co_i32 s17, s0, s17
	v_mov_b32_e32 v81, 0
	v_mov_b32_e32 v79, 0
	;; [unrolled: 1-line block ×4, first 2 shown]
	s_wait_loadcnt 0x0
	v_dual_mov_b32 v83, 0 :: v_dual_lshlrev_b32 v0, 2, v0
	s_delay_alu instid0(VALU_DEP_1)
	v_dual_mov_b32 v76, 0 :: v_dual_and_b32 v1, 0x7c, v0
	v_or_b32_e32 v2, 0xf80, v0
	v_or_b32_e32 v3, 0x1f80, v0
	v_and_b32_e32 v0, 28, v0
	scratch_store_b32 off, v0, off offset:620 ; 4-byte Folded Spill
	v_lshlrev_b32_e32 v0, 2, v1
	scratch_store_b32 off, v0, off offset:624 ; 4-byte Folded Spill
	v_lshlrev_b32_e32 v0, 2, v2
	;; [unrolled: 2-line block ×3, first 2 shown]
	scratch_store_b32 off, v0, off offset:632 ; 4-byte Folded Spill
	scratch_load_b64 v[0:1], off, off       ; 8-byte Folded Reload
	s_branch .LBB53_38
.LBB53_36:                              ;   in Loop: Header=BB53_38 Depth=1
	s_wait_alu 0xfffe
	s_or_b32 exec_lo, exec_lo, s0
	v_mul_f32_e32 v25, v1, v25
	v_mul_f32_e32 v5, v1, v5
	;; [unrolled: 1-line block ×5, first 2 shown]
	v_fmac_f32_e32 v25, v2, v26
	v_dual_fmac_f32 v5, v2, v6 :: v_dual_mul_f32 v6, v1, v181
	v_mul_f32_e32 v69, v1, v69
	v_fmac_f32_e32 v9, v2, v10
	v_fmac_f32_e32 v13, v2, v14
	s_delay_alu instid0(VALU_DEP_4) | instskip(NEXT) | instid1(VALU_DEP_4)
	v_dual_fmac_f32 v5, v3, v7 :: v_dual_fmac_f32 v6, v2, v182
	v_dual_mul_f32 v0, v1, v73 :: v_dual_fmac_f32 v69, v2, v70
	s_delay_alu instid0(VALU_DEP_4) | instskip(NEXT) | instid1(VALU_DEP_3)
	v_fmac_f32_e32 v9, v3, v11
	v_fmac_f32_e32 v5, v4, v8
	s_delay_alu instid0(VALU_DEP_3) | instskip(NEXT) | instid1(VALU_DEP_4)
	v_dual_fmac_f32 v13, v3, v15 :: v_dual_fmac_f32 v0, v2, v74
	v_fmac_f32_e32 v69, v3, v71
	s_delay_alu instid0(VALU_DEP_4) | instskip(SKIP_1) | instid1(VALU_DEP_4)
	v_fmac_f32_e32 v9, v4, v12
	v_fmac_f32_e32 v17, v2, v18
	v_dual_fmac_f32 v13, v4, v16 :: v_dual_fmac_f32 v0, v3, v75
	s_delay_alu instid0(VALU_DEP_4) | instskip(SKIP_4) | instid1(VALU_DEP_3)
	v_fmac_f32_e32 v69, v4, v72
	scratch_load_b128 v[70:73], off, off offset:280 th:TH_LOAD_LU ; 16-byte Folded Reload
	v_mul_f32_e32 v65, v1, v65
	v_dual_fmac_f32 v17, v3, v19 :: v_dual_fmac_f32 v0, v4, v76
	v_dual_mul_f32 v21, v1, v21 :: v_dual_fmac_f32 v6, v3, v183
	v_fmac_f32_e32 v65, v2, v66
	s_delay_alu instid0(VALU_DEP_3) | instskip(NEXT) | instid1(VALU_DEP_3)
	v_dual_fmac_f32 v17, v4, v20 :: v_dual_mul_f32 v8, v1, v173
	v_dual_mul_f32 v61, v1, v61 :: v_dual_fmac_f32 v6, v4, v184
	s_delay_alu instid0(VALU_DEP_3) | instskip(SKIP_1) | instid1(VALU_DEP_4)
	v_fmac_f32_e32 v65, v3, v67
	v_fmac_f32_e32 v21, v2, v22
	;; [unrolled: 1-line block ×3, first 2 shown]
	s_delay_alu instid0(VALU_DEP_4) | instskip(NEXT) | instid1(VALU_DEP_4)
	v_dual_fmac_f32 v61, v2, v62 :: v_dual_mul_f32 v10, v1, v169
	v_fmac_f32_e32 v65, v4, v68
	s_delay_alu instid0(VALU_DEP_3) | instskip(NEXT) | instid1(VALU_DEP_3)
	v_dual_mul_f32 v57, v1, v57 :: v_dual_fmac_f32 v8, v3, v175
	v_fmac_f32_e32 v61, v3, v63
	s_delay_alu instid0(VALU_DEP_4) | instskip(NEXT) | instid1(VALU_DEP_3)
	v_dual_fmac_f32 v21, v3, v23 :: v_dual_fmac_f32 v10, v2, v170
	v_dual_fmac_f32 v57, v2, v58 :: v_dual_fmac_f32 v8, v4, v176
	s_delay_alu instid0(VALU_DEP_3) | instskip(NEXT) | instid1(VALU_DEP_3)
	v_fmac_f32_e32 v61, v4, v64
	v_dual_fmac_f32 v21, v4, v24 :: v_dual_fmac_f32 v10, v3, v171
	s_delay_alu instid0(VALU_DEP_3) | instskip(SKIP_2) | instid1(VALU_DEP_4)
	v_dual_fmac_f32 v57, v3, v59 :: v_dual_mul_f32 v12, v1, v161
	v_mul_f32_e32 v53, v1, v53
	v_mul_f32_e32 v14, v1, v157
	v_fmac_f32_e32 v10, v4, v172
	s_delay_alu instid0(VALU_DEP_4) | instskip(NEXT) | instid1(VALU_DEP_4)
	v_dual_fmac_f32 v57, v4, v60 :: v_dual_fmac_f32 v12, v2, v162
	v_fmac_f32_e32 v53, v2, v54
	s_delay_alu instid0(VALU_DEP_4) | instskip(SKIP_1) | instid1(VALU_DEP_4)
	v_dual_mul_f32 v49, v1, v49 :: v_dual_fmac_f32 v14, v2, v158
	v_mul_f32_e32 v16, v1, v149
	v_fmac_f32_e32 v12, v3, v163
	s_delay_alu instid0(VALU_DEP_4) | instskip(NEXT) | instid1(VALU_DEP_4)
	v_fmac_f32_e32 v53, v3, v55
	v_dual_fmac_f32 v49, v2, v50 :: v_dual_fmac_f32 v14, v3, v159
	s_delay_alu instid0(VALU_DEP_4) | instskip(NEXT) | instid1(VALU_DEP_4)
	v_dual_mul_f32 v45, v1, v45 :: v_dual_fmac_f32 v16, v2, v150
	v_fmac_f32_e32 v12, v4, v164
	s_delay_alu instid0(VALU_DEP_4) | instskip(NEXT) | instid1(VALU_DEP_4)
	v_fmac_f32_e32 v53, v4, v56
	v_dual_fmac_f32 v49, v3, v51 :: v_dual_fmac_f32 v14, v4, v160
	s_delay_alu instid0(VALU_DEP_4) | instskip(NEXT) | instid1(VALU_DEP_2)
	v_dual_fmac_f32 v45, v2, v46 :: v_dual_fmac_f32 v16, v3, v151
	v_dual_mul_f32 v18, v1, v145 :: v_dual_fmac_f32 v49, v4, v52
	v_mul_f32_e32 v41, v1, v41
	s_delay_alu instid0(VALU_DEP_3) | instskip(NEXT) | instid1(VALU_DEP_3)
	v_dual_fmac_f32 v45, v3, v47 :: v_dual_fmac_f32 v16, v4, v152
	v_fmac_f32_e32 v18, v2, v146
	s_delay_alu instid0(VALU_DEP_3) | instskip(NEXT) | instid1(VALU_DEP_3)
	v_dual_mul_f32 v20, v1, v137 :: v_dual_fmac_f32 v41, v2, v42
	v_fmac_f32_e32 v45, v4, v48
	s_delay_alu instid0(VALU_DEP_3) | instskip(NEXT) | instid1(VALU_DEP_3)
	v_dual_mul_f32 v37, v1, v37 :: v_dual_fmac_f32 v18, v3, v147
	v_dual_fmac_f32 v20, v2, v138 :: v_dual_fmac_f32 v41, v3, v43
	s_delay_alu instid0(VALU_DEP_2) | instskip(NEXT) | instid1(VALU_DEP_3)
	v_dual_mul_f32 v22, v1, v133 :: v_dual_fmac_f32 v37, v2, v38
	v_fmac_f32_e32 v18, v4, v148
	s_delay_alu instid0(VALU_DEP_3) | instskip(NEXT) | instid1(VALU_DEP_3)
	v_dual_fmac_f32 v20, v3, v139 :: v_dual_fmac_f32 v41, v4, v44
	v_dual_mul_f32 v33, v1, v33 :: v_dual_fmac_f32 v22, v2, v134
	s_delay_alu instid0(VALU_DEP_2) | instskip(NEXT) | instid1(VALU_DEP_2)
	v_dual_fmac_f32 v37, v3, v39 :: v_dual_fmac_f32 v20, v4, v140
	v_dual_mul_f32 v38, v1, v85 :: v_dual_fmac_f32 v33, v2, v34
	s_delay_alu instid0(VALU_DEP_2) | instskip(NEXT) | instid1(VALU_DEP_2)
	v_dual_fmac_f32 v22, v3, v135 :: v_dual_fmac_f32 v37, v4, v40
	v_dual_mul_f32 v11, v1, v165 :: v_dual_fmac_f32 v38, v2, v86
	s_delay_alu instid0(VALU_DEP_2) | instskip(SKIP_2) | instid1(VALU_DEP_3)
	v_dual_fmac_f32 v33, v3, v35 :: v_dual_fmac_f32 v22, v4, v136
	v_mul_f32_e32 v24, v1, v125
	v_mul_f32_e32 v29, v1, v29
	v_dual_mul_f32 v34, v1, v97 :: v_dual_fmac_f32 v33, v4, v36
	v_mul_f32_e32 v36, v1, v89
	s_delay_alu instid0(VALU_DEP_4) | instskip(NEXT) | instid1(VALU_DEP_4)
	v_dual_mul_f32 v39, v1, v81 :: v_dual_fmac_f32 v24, v2, v126
	v_fmac_f32_e32 v29, v2, v30
	s_delay_alu instid0(VALU_DEP_4) | instskip(NEXT) | instid1(VALU_DEP_4)
	v_fmac_f32_e32 v34, v2, v98
	v_fmac_f32_e32 v36, v2, v90
	scratch_load_b32 v90, off, off offset:452 th:TH_LOAD_LU ; 4-byte Folded Reload
	v_dual_fmac_f32 v39, v2, v82 :: v_dual_mul_f32 v30, v1, v109
	v_fmac_f32_e32 v34, v3, v99
	v_dual_fmac_f32 v36, v3, v91 :: v_dual_mul_f32 v7, v1, v177
	v_fmac_f32_e32 v24, v3, v127
	v_fmac_f32_e32 v29, v3, v31
	s_delay_alu instid0(VALU_DEP_4)
	v_dual_fmac_f32 v39, v3, v83 :: v_dual_fmac_f32 v34, v4, v100
	v_fmac_f32_e32 v30, v2, v110
	v_dual_fmac_f32 v36, v4, v92 :: v_dual_fmac_f32 v7, v2, v178
	v_fmac_f32_e32 v38, v3, v87
	v_fmac_f32_e32 v24, v4, v128
	v_dual_fmac_f32 v29, v4, v32 :: v_dual_mul_f32 v26, v1, v121
	v_dual_mul_f32 v32, v1, v101 :: v_dual_fmac_f32 v39, v4, v84
	v_fmac_f32_e32 v30, v3, v111
	v_dual_fmac_f32 v7, v3, v179 :: v_dual_fmac_f32 v38, v4, v88
	s_delay_alu instid0(VALU_DEP_3) | instskip(SKIP_1) | instid1(VALU_DEP_4)
	v_fmac_f32_e32 v32, v2, v102
	v_fmac_f32_e32 v26, v2, v122
	;; [unrolled: 1-line block ×3, first 2 shown]
	s_delay_alu instid0(VALU_DEP_4) | instskip(NEXT) | instid1(VALU_DEP_4)
	v_dual_fmac_f32 v7, v4, v180 :: v_dual_mul_f32 v40, v1, v77
	v_dual_mul_f32 v15, v1, v153 :: v_dual_fmac_f32 v32, v3, v103
	s_delay_alu instid0(VALU_DEP_4) | instskip(NEXT) | instid1(VALU_DEP_3)
	v_fmac_f32_e32 v26, v3, v123
	v_dual_fmac_f32 v25, v3, v27 :: v_dual_fmac_f32 v40, v2, v78
	s_delay_alu instid0(VALU_DEP_3) | instskip(NEXT) | instid1(VALU_DEP_3)
	v_dual_fmac_f32 v11, v2, v166 :: v_dual_fmac_f32 v32, v4, v104
	v_fmac_f32_e32 v26, v4, v124
	s_delay_alu instid0(VALU_DEP_3) | instskip(NEXT) | instid1(VALU_DEP_4)
	v_dual_fmac_f32 v25, v4, v28 :: v_dual_mul_f32 v28, v1, v113
	v_fmac_f32_e32 v40, v3, v79
	s_delay_alu instid0(VALU_DEP_4)
	v_fmac_f32_e32 v11, v3, v167
	s_clause 0x1
	scratch_load_b32 v89, off, off offset:448 th:TH_LOAD_LU
	scratch_load_b32 v88, off, off offset:444 th:TH_LOAD_LU
	v_fmac_f32_e32 v28, v2, v114
	v_fmac_f32_e32 v40, v4, v80
	;; [unrolled: 1-line block ×3, first 2 shown]
	s_clause 0x1
	scratch_load_b32 v86, off, off offset:440 th:TH_LOAD_LU
	scratch_load_b32 v103, off, off offset:520 th:TH_LOAD_LU
	v_fmac_f32_e32 v28, v3, v115
	s_clause 0x3
	scratch_load_b32 v85, off, off offset:432 th:TH_LOAD_LU
	scratch_load_b32 v101, off, off offset:512 th:TH_LOAD_LU
	;; [unrolled: 1-line block ×4, first 2 shown]
	v_fmac_f32_e32 v28, v4, v116
	s_clause 0x10
	scratch_load_b32 v68, off, off offset:412 th:TH_LOAD_LU
	scratch_load_b32 v98, off, off offset:492 th:TH_LOAD_LU
	;; [unrolled: 1-line block ×17, first 2 shown]
	s_wait_loadcnt 0x1a
	v_mul_f32_e32 v42, v1, v70
	s_delay_alu instid0(VALU_DEP_1) | instskip(NEXT) | instid1(VALU_DEP_1)
	v_dual_mul_f32 v19, v1, v141 :: v_dual_fmac_f32 v42, v2, v71
	v_dual_fmac_f32 v15, v2, v154 :: v_dual_fmac_f32 v42, v3, v72
	s_delay_alu instid0(VALU_DEP_1)
	v_dual_fmac_f32 v15, v3, v155 :: v_dual_fmac_f32 v42, v4, v73
	scratch_load_b128 v[70:73], off, off offset:264 th:TH_LOAD_LU ; 16-byte Folded Reload
	s_wait_loadcnt 0x19
	v_dual_add_f32 v90, v90, v12 :: v_dual_add_f32 v89, v89, v11
	s_wait_loadcnt 0x18
	v_add_f32_e32 v88, v88, v10
	s_wait_loadcnt 0x15
	v_dual_add_f32 v86, v86, v8 :: v_dual_add_f32 v85, v85, v6
	s_wait_loadcnt 0x13
	v_dual_add_f32 v101, v101, v32 :: v_dual_add_f32 v84, v84, v5
	s_wait_loadcnt 0x11
	v_add_f32_e32 v68, v68, v21
	s_wait_loadcnt 0x10
	v_add_f32_e32 v98, v98, v26
	scratch_load_b32 v26, off, off offset:576 th:TH_LOAD_LU ; 4-byte Folded Reload
	s_wait_loadcnt 0xf
	v_dual_add_f32 v97, v97, v24 :: v_dual_add_f32 v66, v66, v25
	s_clause 0x2
	scratch_load_b32 v25, off, off offset:572 th:TH_LOAD_LU
	scratch_load_b32 v24, off, off offset:568 th:TH_LOAD_LU
	;; [unrolled: 1-line block ×3, first 2 shown]
	s_wait_loadcnt 0xd
	v_add_f32_e32 v92, v92, v16
	scratch_load_b32 v16, off, off offset:592 th:TH_LOAD_LU ; 4-byte Folded Reload
	s_wait_loadcnt 0x9
	v_add_f32_e32 v102, v102, v34
	scratch_load_b32 v34, off, off offset:528 th:TH_LOAD_LU ; 4-byte Folded Reload
	s_wait_loadcnt 0x8
	v_add_f32_e32 v99, v99, v30
	s_wait_loadcnt 0x6
	v_mul_f32_e32 v43, v1, v70
	s_delay_alu instid0(VALU_DEP_1) | instskip(NEXT) | instid1(VALU_DEP_1)
	v_fmac_f32_e32 v43, v2, v71
	v_fmac_f32_e32 v43, v3, v72
	s_delay_alu instid0(VALU_DEP_1) | instskip(SKIP_3) | instid1(VALU_DEP_1)
	v_fmac_f32_e32 v43, v4, v73
	scratch_load_b128 v[70:73], off, off offset:248 th:TH_LOAD_LU ; 16-byte Folded Reload
	s_wait_loadcnt 0x0
	v_dual_fmac_f32 v15, v4, v156 :: v_dual_mul_f32 v44, v1, v70
	v_dual_mul_f32 v23, v1, v129 :: v_dual_fmac_f32 v44, v2, v71
	s_delay_alu instid0(VALU_DEP_1) | instskip(NEXT) | instid1(VALU_DEP_1)
	v_dual_fmac_f32 v19, v2, v142 :: v_dual_fmac_f32 v44, v3, v72
	v_dual_fmac_f32 v19, v3, v143 :: v_dual_fmac_f32 v44, v4, v73
	scratch_load_b128 v[70:73], off, off offset:232 th:TH_LOAD_LU ; 16-byte Folded Reload
	s_wait_loadcnt 0x0
	v_dual_fmac_f32 v19, v4, v144 :: v_dual_mul_f32 v46, v1, v70
	s_delay_alu instid0(VALU_DEP_1) | instskip(NEXT) | instid1(VALU_DEP_1)
	v_dual_mul_f32 v27, v1, v117 :: v_dual_fmac_f32 v46, v2, v71
	v_dual_fmac_f32 v23, v2, v130 :: v_dual_fmac_f32 v46, v3, v72
	s_delay_alu instid0(VALU_DEP_1) | instskip(SKIP_3) | instid1(VALU_DEP_1)
	v_dual_fmac_f32 v23, v3, v131 :: v_dual_fmac_f32 v46, v4, v73
	scratch_load_b128 v[70:73], off, off offset:216 th:TH_LOAD_LU ; 16-byte Folded Reload
	s_wait_loadcnt 0x0
	v_mul_f32_e32 v47, v1, v70
	v_fmac_f32_e32 v47, v2, v71
	s_delay_alu instid0(VALU_DEP_1) | instskip(NEXT) | instid1(VALU_DEP_1)
	v_fmac_f32_e32 v47, v3, v72
	v_fmac_f32_e32 v47, v4, v73
	scratch_load_b128 v[70:73], off, off offset:200 th:TH_LOAD_LU ; 16-byte Folded Reload
	s_wait_loadcnt 0x0
	v_dual_fmac_f32 v23, v4, v132 :: v_dual_mul_f32 v48, v1, v70
	s_delay_alu instid0(VALU_DEP_1) | instskip(NEXT) | instid1(VALU_DEP_1)
	v_dual_mul_f32 v31, v1, v105 :: v_dual_fmac_f32 v48, v2, v71
	v_dual_fmac_f32 v27, v2, v118 :: v_dual_fmac_f32 v48, v3, v72
	s_delay_alu instid0(VALU_DEP_1)
	v_dual_fmac_f32 v27, v3, v119 :: v_dual_fmac_f32 v48, v4, v73
	scratch_load_b128 v[70:73], off, off offset:184 th:TH_LOAD_LU ; 16-byte Folded Reload
	s_wait_loadcnt 0x0
	v_dual_fmac_f32 v27, v4, v120 :: v_dual_mul_f32 v50, v1, v70
	v_mul_f32_e32 v35, v1, v93
	scratch_load_b32 v93, off, off offset:468 th:TH_LOAD_LU ; 4-byte Folded Reload
	v_fmac_f32_e32 v50, v2, v71
	s_delay_alu instid0(VALU_DEP_1) | instskip(NEXT) | instid1(VALU_DEP_1)
	v_dual_fmac_f32 v31, v2, v106 :: v_dual_fmac_f32 v50, v3, v72
	v_dual_fmac_f32 v31, v3, v107 :: v_dual_fmac_f32 v50, v4, v73
	scratch_load_b128 v[70:73], off, off offset:168 th:TH_LOAD_LU ; 16-byte Folded Reload
	s_wait_loadcnt 0x0
	v_mul_f32_e32 v51, v1, v70
	s_delay_alu instid0(VALU_DEP_1) | instskip(NEXT) | instid1(VALU_DEP_1)
	v_fmac_f32_e32 v51, v2, v71
	v_fmac_f32_e32 v51, v3, v72
	s_delay_alu instid0(VALU_DEP_1)
	v_fmac_f32_e32 v51, v4, v73
	scratch_load_b128 v[70:73], off, off offset:152 th:TH_LOAD_LU ; 16-byte Folded Reload
	v_fmac_f32_e32 v35, v2, v94
	scratch_load_b32 v94, off, off offset:472 th:TH_LOAD_LU ; 4-byte Folded Reload
	v_add_f32_e32 v83, v83, v41
	scratch_load_b32 v41, off, off offset:496 th:TH_LOAD_LU ; 4-byte Folded Reload
	v_fmac_f32_e32 v35, v3, v95
	scratch_load_b32 v95, off, off offset:476 th:TH_LOAD_LU ; 4-byte Folded Reload
	v_fmac_f32_e32 v31, v4, v108
	v_add_f32_e32 v67, v67, v33
	scratch_load_b32 v33, off, off offset:524 th:TH_LOAD_LU ; 4-byte Folded Reload
	v_add_f32_e32 v78, v78, v61
	scratch_load_b32 v61, off, off offset:424 th:TH_LOAD_LU ; 4-byte Folded Reload
	;; [unrolled: 2-line block ×3, first 2 shown]
	v_add_f32_e32 v91, v91, v14
	s_wait_loadcnt 0x6
	v_dual_mul_f32 v52, v1, v70 :: v_dual_add_f32 v75, v75, v53
	v_add_f32_e32 v100, v100, v31
	scratch_load_b32 v53, off, off offset:460 th:TH_LOAD_LU ; 4-byte Folded Reload
	s_wait_loadcnt 0x6
	v_add_f32_e32 v94, v94, v19
	v_fmac_f32_e32 v52, v2, v71
	scratch_load_b32 v19, off, off offset:604 th:TH_LOAD_LU ; 4-byte Folded Reload
	v_fmac_f32_e32 v52, v3, v72
	s_wait_loadcnt 0x4
	v_add_f32_e32 v33, v33, v36
	scratch_load_b32 v36, off, off offset:536 th:TH_LOAD_LU ; 4-byte Folded Reload
	v_fmac_f32_e32 v52, v4, v73
	scratch_load_b128 v[70:73], off, off offset:136 th:TH_LOAD_LU ; 16-byte Folded Reload
	v_fmac_f32_e32 v35, v4, v96
	s_clause 0x1
	scratch_load_b32 v96, off, off offset:480 th:TH_LOAD_LU
	scratch_load_b32 v81, off, off offset:296 th:TH_LOAD_LU
	v_add_f32_e32 v25, v25, v52
	s_wait_loadcnt 0x2
	v_dual_mul_f32 v54, v1, v70 :: v_dual_add_f32 v103, v103, v35
	scratch_load_b32 v35, off, off offset:532 th:TH_LOAD_LU ; 4-byte Folded Reload
	s_wait_loadcnt 0x2
	v_dual_add_f32 v79, v79, v57 :: v_dual_add_f32 v96, v96, v22
	v_fmac_f32_e32 v54, v2, v71
	scratch_load_b32 v57, off, off offset:436 th:TH_LOAD_LU ; 4-byte Folded Reload
	v_add_f32_e32 v74, v74, v49
	scratch_load_b32 v49, off, off offset:484 th:TH_LOAD_LU ; 4-byte Folded Reload
	v_add_f32_e32 v80, v80, v0
	v_fmac_f32_e32 v54, v3, v72
	v_add_f32_e32 v76, v76, v65
	s_clause 0x1
	scratch_load_b32 v65, off, off offset:404 th:TH_LOAD_LU
	scratch_load_b32 v22, off, off offset:560 th:TH_LOAD_LU
	v_fmac_f32_e32 v54, v4, v73
	scratch_load_b128 v[70:73], off, off offset:120 th:TH_LOAD_LU ; 16-byte Folded Reload
	v_dual_add_f32 v53, v53, v15 :: v_dual_add_f32 v26, v26, v54
	s_wait_loadcnt 0x5
	v_add_f32_e32 v35, v35, v39
	scratch_load_b32 v39, off, off offset:548 th:TH_LOAD_LU ; 4-byte Folded Reload
	s_wait_loadcnt 0x5
	v_add_f32_e32 v57, v57, v7
	s_wait_loadcnt 0x1
	v_mul_f32_e32 v55, v1, v70
	s_delay_alu instid0(VALU_DEP_1) | instskip(NEXT) | instid1(VALU_DEP_1)
	v_fmac_f32_e32 v55, v2, v71
	v_fmac_f32_e32 v55, v3, v72
	s_delay_alu instid0(VALU_DEP_1) | instskip(SKIP_3) | instid1(VALU_DEP_1)
	v_fmac_f32_e32 v55, v4, v73
	scratch_load_b128 v[70:73], off, off offset:104 th:TH_LOAD_LU ; 16-byte Folded Reload
	s_wait_loadcnt 0x0
	v_mul_f32_e32 v56, v1, v70
	v_fmac_f32_e32 v56, v2, v71
	s_delay_alu instid0(VALU_DEP_1) | instskip(NEXT) | instid1(VALU_DEP_1)
	v_fmac_f32_e32 v56, v3, v72
	v_fmac_f32_e32 v56, v4, v73
	scratch_load_b128 v[70:73], off, off offset:88 th:TH_LOAD_LU ; 16-byte Folded Reload
	v_add_f32_e32 v93, v93, v18
	scratch_load_b32 v18, off, off offset:600 th:TH_LOAD_LU ; 4-byte Folded Reload
	s_wait_loadcnt 0x1
	v_mul_f32_e32 v58, v1, v70
	s_delay_alu instid0(VALU_DEP_1) | instskip(NEXT) | instid1(VALU_DEP_1)
	v_fmac_f32_e32 v58, v2, v71
	v_dual_fmac_f32 v58, v3, v72 :: v_dual_add_f32 v21, v21, v47
	s_delay_alu instid0(VALU_DEP_1) | instskip(SKIP_3) | instid1(VALU_DEP_1)
	v_fmac_f32_e32 v58, v4, v73
	scratch_load_b128 v[70:73], off, off offset:72 th:TH_LOAD_LU ; 16-byte Folded Reload
	s_wait_loadcnt 0x0
	v_mul_f32_e32 v59, v1, v70
	v_fmac_f32_e32 v59, v2, v71
	s_delay_alu instid0(VALU_DEP_1) | instskip(NEXT) | instid1(VALU_DEP_1)
	v_fmac_f32_e32 v59, v3, v72
	v_fmac_f32_e32 v59, v4, v73
	scratch_load_b128 v[70:73], off, off offset:56 th:TH_LOAD_LU ; 16-byte Folded Reload
	s_wait_loadcnt 0x0
	v_mul_f32_e32 v60, v1, v70
	s_delay_alu instid0(VALU_DEP_1) | instskip(NEXT) | instid1(VALU_DEP_1)
	v_fmac_f32_e32 v60, v2, v71
	v_dual_fmac_f32 v60, v3, v72 :: v_dual_add_f32 v61, v61, v9
	v_add_f32_e32 v24, v24, v51
	s_delay_alu instid0(VALU_DEP_2) | instskip(SKIP_3) | instid1(VALU_DEP_1)
	v_fmac_f32_e32 v60, v4, v73
	scratch_load_b128 v[70:73], off, off offset:40 th:TH_LOAD_LU ; 16-byte Folded Reload
	s_wait_loadcnt 0x0
	v_mul_f32_e32 v62, v1, v70
	v_fmac_f32_e32 v62, v2, v71
	s_delay_alu instid0(VALU_DEP_1) | instskip(NEXT) | instid1(VALU_DEP_1)
	v_fmac_f32_e32 v62, v3, v72
	v_fmac_f32_e32 v62, v4, v73
	scratch_load_b128 v[70:73], off, off offset:24 th:TH_LOAD_LU ; 16-byte Folded Reload
	v_add_f32_e32 v49, v49, v23
	scratch_load_b32 v23, off, off offset:564 th:TH_LOAD_LU ; 4-byte Folded Reload
	v_add_f32_e32 v34, v34, v38
	scratch_load_b32 v38, off, off offset:544 th:TH_LOAD_LU ; 4-byte Folded Reload
	;; [unrolled: 2-line block ×3, first 2 shown]
	v_add_f32_e32 v39, v39, v44
	s_wait_loadcnt 0x3
	v_mul_f32_e32 v63, v1, v70
	s_wait_loadcnt 0x2
	v_add_f32_e32 v23, v23, v50
	s_delay_alu instid0(VALU_DEP_2) | instskip(NEXT) | instid1(VALU_DEP_1)
	v_fmac_f32_e32 v63, v2, v71
	v_fmac_f32_e32 v63, v3, v72
	s_delay_alu instid0(VALU_DEP_1)
	v_fmac_f32_e32 v63, v4, v73
	scratch_load_b128 v[70:73], off, off offset:8 th:TH_LOAD_LU ; 16-byte Folded Reload
	s_wait_loadcnt 0x0
	v_dual_add_f32 v19, v19, v63 :: v_dual_mul_f32 v64, v1, v70
	scratch_load_b32 v70, off, off offset:396 th:TH_LOAD_LU ; 4-byte Folded Reload
	v_dual_mul_f32 v1, v1, v185 :: v_dual_fmac_f32 v64, v2, v71
	scratch_load_b32 v71, off, off offset:420 th:TH_LOAD_LU ; 4-byte Folded Reload
	v_dual_fmac_f32 v1, v2, v186 :: v_dual_fmac_f32 v64, v3, v72
	v_dual_add_f32 v95, v95, v20 :: v_dual_add_f32 v16, v16, v59
	s_delay_alu instid0(VALU_DEP_2)
	v_fmac_f32_e32 v1, v3, v187
	scratch_load_b32 v20, off, off offset:608 th:TH_LOAD_LU ; 4-byte Folded Reload
	v_fmac_f32_e32 v64, v4, v73
	scratch_load_b32 v73, off, off offset:388 th:TH_LOAD_LU ; 4-byte Folded Reload
	v_add_f32_e32 v41, v41, v27
	v_fmac_f32_e32 v1, v4, v188
	scratch_load_b32 v27, off, off offset:580 th:TH_LOAD_LU ; 4-byte Folded Reload
	v_add_f32_e32 v38, v38, v43
	v_dual_add_f32 v22, v22, v48 :: v_dual_add_f32 v29, v29, v58
	v_dual_add_f32 v18, v18, v62 :: v_dual_add_f32 v81, v81, v1
	s_wait_loadcnt 0x4
	v_add_f32_e32 v70, v70, v37
	scratch_load_b32 v37, off, off offset:540 th:TH_LOAD_LU ; 4-byte Folded Reload
	v_add_f32_e32 v36, v36, v40
	scratch_load_b32 v40, off, off offset:552 th:TH_LOAD_LU ; 4-byte Folded Reload
	s_wait_loadcnt 0x4
	v_dual_add_f32 v71, v71, v13 :: v_dual_add_f32 v20, v20, v64
	s_wait_loadcnt 0x3
	v_add_f32_e32 v73, v73, v45
	scratch_load_b32 v45, off, off offset:500 th:TH_LOAD_LU ; 4-byte Folded Reload
	s_wait_loadcnt 0x2
	v_add_f32_e32 v37, v37, v42
	s_wait_loadcnt 0x0
	v_add_f32_e32 v45, v45, v28
	scratch_load_b32 v28, off, off offset:584 th:TH_LOAD_LU ; 4-byte Folded Reload
	v_add_f32_e32 v69, v69, v17
	scratch_load_b32 v17, off, off offset:596 th:TH_LOAD_LU ; 4-byte Folded Reload
	v_dual_add_f32 v40, v40, v46 :: v_dual_add_f32 v27, v27, v55
	s_wait_loadcnt 0x1
	v_add_f32_e32 v28, v28, v56
	s_wait_loadcnt 0x0
	v_add_f32_e32 v17, v17, v60
.LBB53_37:                              ;   in Loop: Header=BB53_38 Depth=1
	s_or_b32 exec_lo, exec_lo, s22
	scratch_load_b64 v[0:1], off, off th:TH_LOAD_LU ; 8-byte Folded Reload
	s_wait_loadcnt 0x0
	v_add_nc_u32_e32 v0, 4, v0
	s_delay_alu instid0(VALU_DEP_1)
	v_cmp_le_i32_e32 vcc_lo, s34, v0
	s_or_b32 s15, vcc_lo, s15
	s_wait_alu 0xfffe
	s_and_not1_b32 exec_lo, exec_lo, s15
	s_cbranch_execz .LBB53_167
.LBB53_38:                              ; =>This Inner Loop Header: Depth=1
	s_wait_loadcnt 0x0
	v_dual_mov_b32 v1, v0 :: v_dual_lshlrev_b32 v0, 5, v0
	scratch_store_b64 off, v[1:2], off      ; 8-byte Folded Spill
	v_sub_nc_u32_e32 v1, 0, v0
	s_delay_alu instid0(VALU_DEP_1) | instskip(NEXT) | instid1(VALU_DEP_1)
	v_max_i32_e32 v1, v0, v1
	v_mul_hi_u32 v2, v1, s20
	s_delay_alu instid0(VALU_DEP_1) | instskip(NEXT) | instid1(VALU_DEP_1)
	v_mul_lo_u32 v3, v2, s16
	v_sub_nc_u32_e32 v1, v1, v3
	v_add_nc_u32_e32 v3, 1, v2
	s_delay_alu instid0(VALU_DEP_2) | instskip(SKIP_2) | instid1(VALU_DEP_2)
	v_subrev_nc_u32_e32 v4, s16, v1
	v_cmp_le_u32_e32 vcc_lo, s16, v1
	s_wait_alu 0xfffd
	v_dual_cndmask_b32 v2, v2, v3 :: v_dual_cndmask_b32 v1, v1, v4
	v_ashrrev_i32_e32 v3, 31, v0
	s_delay_alu instid0(VALU_DEP_2) | instskip(NEXT) | instid1(VALU_DEP_3)
	v_add_nc_u32_e32 v4, 1, v2
	v_cmp_le_u32_e32 vcc_lo, s16, v1
	s_delay_alu instid0(VALU_DEP_3) | instskip(SKIP_1) | instid1(VALU_DEP_3)
	v_xor_b32_e32 v3, s21, v3
	s_wait_alu 0xfffd
	v_cndmask_b32_e32 v1, v2, v4, vcc_lo
	s_delay_alu instid0(VALU_DEP_1) | instskip(NEXT) | instid1(VALU_DEP_1)
	v_xor_b32_e32 v1, v1, v3
	v_sub_nc_u32_e32 v1, v1, v3
	s_delay_alu instid0(VALU_DEP_1) | instskip(SKIP_1) | instid1(VALU_DEP_2)
	v_add_nc_u32_e32 v2, s33, v1
	v_cmp_lt_i32_e64 s0, s5, v1
	v_sub_nc_u32_e32 v3, 0, v2
	s_delay_alu instid0(VALU_DEP_1) | instskip(SKIP_1) | instid1(VALU_DEP_1)
	v_max_i32_e32 v3, v2, v3
	s_wait_alu 0xfffe
	v_mul_hi_u32 v4, v3, s17
	s_delay_alu instid0(VALU_DEP_1) | instskip(NEXT) | instid1(VALU_DEP_1)
	v_mul_lo_u32 v4, v4, s3
	v_sub_nc_u32_e32 v3, v3, v4
	s_delay_alu instid0(VALU_DEP_1) | instskip(SKIP_2) | instid1(VALU_DEP_2)
	v_subrev_nc_u32_e32 v4, s3, v3
	v_cmp_le_u32_e32 vcc_lo, s3, v3
	s_wait_alu 0xfffd
	v_cndmask_b32_e32 v3, v3, v4, vcc_lo
	v_ashrrev_i32_e32 v2, 31, v2
	s_delay_alu instid0(VALU_DEP_2) | instskip(SKIP_2) | instid1(VALU_DEP_2)
	v_subrev_nc_u32_e32 v4, s3, v3
	v_cmp_le_u32_e32 vcc_lo, s3, v3
	s_wait_alu 0xfffd
	v_cndmask_b32_e32 v3, v3, v4, vcc_lo
	s_delay_alu instid0(VALU_DEP_1) | instskip(NEXT) | instid1(VALU_DEP_1)
	v_xor_b32_e32 v3, v3, v2
	v_sub_nc_u32_e32 v2, v3, v2
	s_delay_alu instid0(VALU_DEP_1)
	v_cmp_eq_u32_e32 vcc_lo, 0, v2
	s_or_b32 s0, vcc_lo, s0
	s_wait_alu 0xfffe
	s_and_saveexec_b32 s22, s0
	s_cbranch_execz .LBB53_37
; %bb.39:                               ;   in Loop: Header=BB53_38 Depth=1
	s_clause 0x1f
	scratch_store_b32 off, v20, off offset:608
	scratch_store_b32 off, v19, off offset:604
	;; [unrolled: 1-line block ×32, first 2 shown]
	s_clause 0x1f
	scratch_store_b32 off, v96, off offset:480
	scratch_store_b32 off, v95, off offset:476
	;; [unrolled: 1-line block ×32, first 2 shown]
	scratch_load_b64 v[1:2], off, off th:TH_LOAD_LU ; 8-byte Folded Reload
	s_wait_loadcnt 0x0
	v_mov_b32_e32 v5, v1
	s_delay_alu instid0(VALU_DEP_1) | instskip(NEXT) | instid1(VALU_DEP_1)
	v_ashrrev_i32_e32 v6, 31, v5
	v_lshlrev_b64_e32 v[1:2], 2, v[5:6]
	s_delay_alu instid0(VALU_DEP_1) | instskip(SKIP_1) | instid1(VALU_DEP_2)
	v_add_co_u32 v1, vcc_lo, s8, v1
	s_wait_alu 0xfffd
	v_add_co_ci_u32_e64 v2, null, s9, v2, vcc_lo
	global_load_b32 v1, v[1:2], off
	s_wait_loadcnt 0x0
	v_mad_co_i64_i32 v[1:2], null, v1, s12, 0
	s_delay_alu instid0(VALU_DEP_1) | instskip(NEXT) | instid1(VALU_DEP_1)
	v_lshlrev_b64_e32 v[1:2], 2, v[1:2]
	v_add_co_u32 v185, vcc_lo, s10, v1
	scratch_load_b32 v1, off, off offset:624 ; 4-byte Folded Reload
	s_wait_alu 0xfffd
	v_add_co_ci_u32_e64 v186, null, s11, v2, vcc_lo
	s_wait_loadcnt 0x0
	v_add_co_u32 v73, vcc_lo, v185, v1
	s_wait_alu 0xfffd
	s_delay_alu instid0(VALU_DEP_2)
	v_add_co_ci_u32_e64 v74, null, 0, v186, vcc_lo
	v_cmp_eq_u32_e32 vcc_lo, s13, v5
	global_load_b128 v[1:4], v[73:74], off
	s_wait_loadcnt 0x0
	scratch_store_b128 off, v[1:4], off offset:8 ; 16-byte Folded Spill
	scratch_load_b32 v1, off, off offset:620 ; 4-byte Folded Reload
	s_wait_loadcnt 0x0
	v_or_b32_e32 v190, v0, v1
	s_delay_alu instid0(VALU_DEP_1)
	v_lshl_add_u32 v0, v190, 2, s14
	v_or_b32_e32 v189, 1, v190
	v_or_b32_e32 v191, 2, v190
	ds_load_b128 v[1:4], v0
	v_mov_b32_e32 v0, v5
	s_wait_dscnt 0x0
	scratch_store_b64 off, v[0:1], off      ; 8-byte Folded Spill
	v_or_b32_e32 v0, 3, v190
	s_and_saveexec_b32 s23, vcc_lo
	s_cbranch_execz .LBB53_41
; %bb.40:                               ;   in Loop: Header=BB53_38 Depth=1
	scratch_load_b128 v[5:8], off, off offset:8 th:TH_LOAD_LU ; 16-byte Folded Reload
	v_cmp_gt_i32_e64 s0, s31, v190
	s_wait_loadcnt 0x0
	s_wait_alu 0xf1ff
	s_delay_alu instid0(VALU_DEP_1) | instskip(SKIP_2) | instid1(VALU_DEP_1)
	v_cndmask_b32_e64 v5, 0, v5, s0
	v_cmp_gt_i32_e64 s0, s31, v189
	s_wait_alu 0xf1ff
	v_cndmask_b32_e64 v6, 0, v6, s0
	v_cmp_gt_i32_e64 s0, s31, v191
	s_wait_alu 0xf1ff
	s_delay_alu instid0(VALU_DEP_1) | instskip(SKIP_2) | instid1(VALU_DEP_1)
	v_cndmask_b32_e64 v7, 0, v7, s0
	v_cmp_gt_i32_e64 s0, s31, v0
	s_wait_alu 0xf1ff
	v_cndmask_b32_e64 v8, 0, v8, s0
	scratch_store_b128 off, v[5:8], off offset:8 ; 16-byte Folded Spill
.LBB53_41:                              ;   in Loop: Header=BB53_38 Depth=1
	s_or_b32 exec_lo, exec_lo, s23
	global_load_b128 v[5:8], v[73:74], off offset:512
	s_wait_loadcnt 0x0
	scratch_store_b128 off, v[5:8], off offset:24 ; 16-byte Folded Spill
	s_and_saveexec_b32 s23, vcc_lo
	s_cbranch_execz .LBB53_43
; %bb.42:                               ;   in Loop: Header=BB53_38 Depth=1
	scratch_load_b128 v[5:8], off, off offset:24 th:TH_LOAD_LU ; 16-byte Folded Reload
	v_cmp_gt_i32_e64 s0, s31, v190
	s_wait_loadcnt 0x0
	s_wait_alu 0xf1ff
	s_delay_alu instid0(VALU_DEP_1) | instskip(SKIP_2) | instid1(VALU_DEP_1)
	v_cndmask_b32_e64 v5, 0, v5, s0
	v_cmp_gt_i32_e64 s0, s31, v189
	s_wait_alu 0xf1ff
	v_cndmask_b32_e64 v6, 0, v6, s0
	v_cmp_gt_i32_e64 s0, s31, v191
	s_wait_alu 0xf1ff
	s_delay_alu instid0(VALU_DEP_1) | instskip(SKIP_2) | instid1(VALU_DEP_1)
	v_cndmask_b32_e64 v7, 0, v7, s0
	v_cmp_gt_i32_e64 s0, s31, v0
	s_wait_alu 0xf1ff
	v_cndmask_b32_e64 v8, 0, v8, s0
	scratch_store_b128 off, v[5:8], off offset:24 ; 16-byte Folded Spill
.LBB53_43:                              ;   in Loop: Header=BB53_38 Depth=1
	s_or_b32 exec_lo, exec_lo, s23
	global_load_b128 v[5:8], v[73:74], off offset:1024
	s_wait_loadcnt 0x0
	scratch_store_b128 off, v[5:8], off offset:40 ; 16-byte Folded Spill
	s_and_saveexec_b32 s23, vcc_lo
	s_cbranch_execz .LBB53_45
; %bb.44:                               ;   in Loop: Header=BB53_38 Depth=1
	scratch_load_b128 v[5:8], off, off offset:40 th:TH_LOAD_LU ; 16-byte Folded Reload
	v_cmp_gt_i32_e64 s0, s31, v190
	s_wait_loadcnt 0x0
	s_wait_alu 0xf1ff
	s_delay_alu instid0(VALU_DEP_1) | instskip(SKIP_2) | instid1(VALU_DEP_1)
	v_cndmask_b32_e64 v5, 0, v5, s0
	v_cmp_gt_i32_e64 s0, s31, v189
	s_wait_alu 0xf1ff
	v_cndmask_b32_e64 v6, 0, v6, s0
	v_cmp_gt_i32_e64 s0, s31, v191
	s_wait_alu 0xf1ff
	s_delay_alu instid0(VALU_DEP_1) | instskip(SKIP_2) | instid1(VALU_DEP_1)
	v_cndmask_b32_e64 v7, 0, v7, s0
	v_cmp_gt_i32_e64 s0, s31, v0
	s_wait_alu 0xf1ff
	v_cndmask_b32_e64 v8, 0, v8, s0
	scratch_store_b128 off, v[5:8], off offset:40 ; 16-byte Folded Spill
.LBB53_45:                              ;   in Loop: Header=BB53_38 Depth=1
	s_or_b32 exec_lo, exec_lo, s23
	global_load_b128 v[5:8], v[73:74], off offset:1536
	s_wait_loadcnt 0x0
	scratch_store_b128 off, v[5:8], off offset:56 ; 16-byte Folded Spill
	s_and_saveexec_b32 s23, vcc_lo
	s_cbranch_execz .LBB53_47
; %bb.46:                               ;   in Loop: Header=BB53_38 Depth=1
	scratch_load_b128 v[5:8], off, off offset:56 th:TH_LOAD_LU ; 16-byte Folded Reload
	v_cmp_gt_i32_e64 s0, s31, v190
	s_wait_loadcnt 0x0
	s_wait_alu 0xf1ff
	s_delay_alu instid0(VALU_DEP_1) | instskip(SKIP_2) | instid1(VALU_DEP_1)
	v_cndmask_b32_e64 v5, 0, v5, s0
	v_cmp_gt_i32_e64 s0, s31, v189
	s_wait_alu 0xf1ff
	v_cndmask_b32_e64 v6, 0, v6, s0
	v_cmp_gt_i32_e64 s0, s31, v191
	s_wait_alu 0xf1ff
	s_delay_alu instid0(VALU_DEP_1) | instskip(SKIP_2) | instid1(VALU_DEP_1)
	v_cndmask_b32_e64 v7, 0, v7, s0
	v_cmp_gt_i32_e64 s0, s31, v0
	s_wait_alu 0xf1ff
	v_cndmask_b32_e64 v8, 0, v8, s0
	scratch_store_b128 off, v[5:8], off offset:56 ; 16-byte Folded Spill
.LBB53_47:                              ;   in Loop: Header=BB53_38 Depth=1
	s_or_b32 exec_lo, exec_lo, s23
	global_load_b128 v[5:8], v[73:74], off offset:2048
	s_wait_loadcnt 0x0
	scratch_store_b128 off, v[5:8], off offset:72 ; 16-byte Folded Spill
	s_and_saveexec_b32 s23, vcc_lo
	s_cbranch_execz .LBB53_49
; %bb.48:                               ;   in Loop: Header=BB53_38 Depth=1
	scratch_load_b128 v[5:8], off, off offset:72 th:TH_LOAD_LU ; 16-byte Folded Reload
	v_cmp_gt_i32_e64 s0, s31, v190
	s_wait_loadcnt 0x0
	s_wait_alu 0xf1ff
	s_delay_alu instid0(VALU_DEP_1) | instskip(SKIP_2) | instid1(VALU_DEP_1)
	v_cndmask_b32_e64 v5, 0, v5, s0
	v_cmp_gt_i32_e64 s0, s31, v189
	s_wait_alu 0xf1ff
	v_cndmask_b32_e64 v6, 0, v6, s0
	v_cmp_gt_i32_e64 s0, s31, v191
	s_wait_alu 0xf1ff
	s_delay_alu instid0(VALU_DEP_1) | instskip(SKIP_2) | instid1(VALU_DEP_1)
	v_cndmask_b32_e64 v7, 0, v7, s0
	v_cmp_gt_i32_e64 s0, s31, v0
	s_wait_alu 0xf1ff
	v_cndmask_b32_e64 v8, 0, v8, s0
	scratch_store_b128 off, v[5:8], off offset:72 ; 16-byte Folded Spill
.LBB53_49:                              ;   in Loop: Header=BB53_38 Depth=1
	s_or_b32 exec_lo, exec_lo, s23
	global_load_b128 v[5:8], v[73:74], off offset:2560
	s_wait_loadcnt 0x0
	scratch_store_b128 off, v[5:8], off offset:88 ; 16-byte Folded Spill
	s_and_saveexec_b32 s23, vcc_lo
	s_cbranch_execz .LBB53_51
; %bb.50:                               ;   in Loop: Header=BB53_38 Depth=1
	scratch_load_b128 v[5:8], off, off offset:88 th:TH_LOAD_LU ; 16-byte Folded Reload
	v_cmp_gt_i32_e64 s0, s31, v190
	s_wait_loadcnt 0x0
	s_wait_alu 0xf1ff
	s_delay_alu instid0(VALU_DEP_1) | instskip(SKIP_2) | instid1(VALU_DEP_1)
	v_cndmask_b32_e64 v5, 0, v5, s0
	v_cmp_gt_i32_e64 s0, s31, v189
	s_wait_alu 0xf1ff
	v_cndmask_b32_e64 v6, 0, v6, s0
	v_cmp_gt_i32_e64 s0, s31, v191
	s_wait_alu 0xf1ff
	s_delay_alu instid0(VALU_DEP_1) | instskip(SKIP_2) | instid1(VALU_DEP_1)
	v_cndmask_b32_e64 v7, 0, v7, s0
	v_cmp_gt_i32_e64 s0, s31, v0
	s_wait_alu 0xf1ff
	v_cndmask_b32_e64 v8, 0, v8, s0
	scratch_store_b128 off, v[5:8], off offset:88 ; 16-byte Folded Spill
.LBB53_51:                              ;   in Loop: Header=BB53_38 Depth=1
	s_or_b32 exec_lo, exec_lo, s23
	global_load_b128 v[5:8], v[73:74], off offset:3072
	s_wait_loadcnt 0x0
	scratch_store_b128 off, v[5:8], off offset:104 ; 16-byte Folded Spill
	s_and_saveexec_b32 s23, vcc_lo
	s_cbranch_execz .LBB53_53
; %bb.52:                               ;   in Loop: Header=BB53_38 Depth=1
	scratch_load_b128 v[5:8], off, off offset:104 th:TH_LOAD_LU ; 16-byte Folded Reload
	v_cmp_gt_i32_e64 s0, s31, v190
	s_wait_loadcnt 0x0
	s_wait_alu 0xf1ff
	s_delay_alu instid0(VALU_DEP_1) | instskip(SKIP_2) | instid1(VALU_DEP_1)
	v_cndmask_b32_e64 v5, 0, v5, s0
	v_cmp_gt_i32_e64 s0, s31, v189
	s_wait_alu 0xf1ff
	v_cndmask_b32_e64 v6, 0, v6, s0
	v_cmp_gt_i32_e64 s0, s31, v191
	s_wait_alu 0xf1ff
	s_delay_alu instid0(VALU_DEP_1) | instskip(SKIP_2) | instid1(VALU_DEP_1)
	v_cndmask_b32_e64 v7, 0, v7, s0
	v_cmp_gt_i32_e64 s0, s31, v0
	s_wait_alu 0xf1ff
	v_cndmask_b32_e64 v8, 0, v8, s0
	scratch_store_b128 off, v[5:8], off offset:104 ; 16-byte Folded Spill
.LBB53_53:                              ;   in Loop: Header=BB53_38 Depth=1
	s_or_b32 exec_lo, exec_lo, s23
	global_load_b128 v[5:8], v[73:74], off offset:3584
	s_wait_loadcnt 0x0
	scratch_store_b128 off, v[5:8], off offset:120 ; 16-byte Folded Spill
	s_and_saveexec_b32 s23, vcc_lo
	s_cbranch_execz .LBB53_55
; %bb.54:                               ;   in Loop: Header=BB53_38 Depth=1
	scratch_load_b128 v[5:8], off, off offset:120 th:TH_LOAD_LU ; 16-byte Folded Reload
	v_cmp_gt_i32_e64 s0, s31, v190
	s_wait_loadcnt 0x0
	s_wait_alu 0xf1ff
	s_delay_alu instid0(VALU_DEP_1) | instskip(SKIP_2) | instid1(VALU_DEP_1)
	v_cndmask_b32_e64 v5, 0, v5, s0
	v_cmp_gt_i32_e64 s0, s31, v189
	s_wait_alu 0xf1ff
	v_cndmask_b32_e64 v6, 0, v6, s0
	v_cmp_gt_i32_e64 s0, s31, v191
	s_wait_alu 0xf1ff
	s_delay_alu instid0(VALU_DEP_1) | instskip(SKIP_2) | instid1(VALU_DEP_1)
	v_cndmask_b32_e64 v7, 0, v7, s0
	v_cmp_gt_i32_e64 s0, s31, v0
	s_wait_alu 0xf1ff
	v_cndmask_b32_e64 v8, 0, v8, s0
	scratch_store_b128 off, v[5:8], off offset:120 ; 16-byte Folded Spill
.LBB53_55:                              ;   in Loop: Header=BB53_38 Depth=1
	s_or_b32 exec_lo, exec_lo, s23
	global_load_b128 v[5:8], v[73:74], off offset:4096
	s_wait_loadcnt 0x0
	scratch_store_b128 off, v[5:8], off offset:136 ; 16-byte Folded Spill
	s_and_saveexec_b32 s23, vcc_lo
	s_cbranch_execz .LBB53_57
; %bb.56:                               ;   in Loop: Header=BB53_38 Depth=1
	scratch_load_b128 v[5:8], off, off offset:136 th:TH_LOAD_LU ; 16-byte Folded Reload
	v_cmp_gt_i32_e64 s0, s31, v190
	s_wait_loadcnt 0x0
	s_wait_alu 0xf1ff
	s_delay_alu instid0(VALU_DEP_1) | instskip(SKIP_2) | instid1(VALU_DEP_1)
	v_cndmask_b32_e64 v5, 0, v5, s0
	v_cmp_gt_i32_e64 s0, s31, v189
	s_wait_alu 0xf1ff
	v_cndmask_b32_e64 v6, 0, v6, s0
	v_cmp_gt_i32_e64 s0, s31, v191
	s_wait_alu 0xf1ff
	s_delay_alu instid0(VALU_DEP_1) | instskip(SKIP_2) | instid1(VALU_DEP_1)
	v_cndmask_b32_e64 v7, 0, v7, s0
	v_cmp_gt_i32_e64 s0, s31, v0
	s_wait_alu 0xf1ff
	v_cndmask_b32_e64 v8, 0, v8, s0
	scratch_store_b128 off, v[5:8], off offset:136 ; 16-byte Folded Spill
.LBB53_57:                              ;   in Loop: Header=BB53_38 Depth=1
	s_or_b32 exec_lo, exec_lo, s23
	global_load_b128 v[5:8], v[73:74], off offset:4608
	s_wait_loadcnt 0x0
	scratch_store_b128 off, v[5:8], off offset:152 ; 16-byte Folded Spill
	s_and_saveexec_b32 s23, vcc_lo
	s_cbranch_execz .LBB53_59
; %bb.58:                               ;   in Loop: Header=BB53_38 Depth=1
	scratch_load_b128 v[5:8], off, off offset:152 th:TH_LOAD_LU ; 16-byte Folded Reload
	v_cmp_gt_i32_e64 s0, s31, v190
	s_wait_loadcnt 0x0
	s_wait_alu 0xf1ff
	s_delay_alu instid0(VALU_DEP_1) | instskip(SKIP_2) | instid1(VALU_DEP_1)
	v_cndmask_b32_e64 v5, 0, v5, s0
	v_cmp_gt_i32_e64 s0, s31, v189
	s_wait_alu 0xf1ff
	v_cndmask_b32_e64 v6, 0, v6, s0
	v_cmp_gt_i32_e64 s0, s31, v191
	s_wait_alu 0xf1ff
	s_delay_alu instid0(VALU_DEP_1) | instskip(SKIP_2) | instid1(VALU_DEP_1)
	v_cndmask_b32_e64 v7, 0, v7, s0
	v_cmp_gt_i32_e64 s0, s31, v0
	s_wait_alu 0xf1ff
	v_cndmask_b32_e64 v8, 0, v8, s0
	scratch_store_b128 off, v[5:8], off offset:152 ; 16-byte Folded Spill
.LBB53_59:                              ;   in Loop: Header=BB53_38 Depth=1
	s_or_b32 exec_lo, exec_lo, s23
	global_load_b128 v[5:8], v[73:74], off offset:5120
	s_wait_loadcnt 0x0
	scratch_store_b128 off, v[5:8], off offset:168 ; 16-byte Folded Spill
	s_and_saveexec_b32 s23, vcc_lo
	s_cbranch_execz .LBB53_61
; %bb.60:                               ;   in Loop: Header=BB53_38 Depth=1
	scratch_load_b128 v[5:8], off, off offset:168 th:TH_LOAD_LU ; 16-byte Folded Reload
	v_cmp_gt_i32_e64 s0, s31, v190
	s_wait_loadcnt 0x0
	s_wait_alu 0xf1ff
	s_delay_alu instid0(VALU_DEP_1) | instskip(SKIP_2) | instid1(VALU_DEP_1)
	v_cndmask_b32_e64 v5, 0, v5, s0
	v_cmp_gt_i32_e64 s0, s31, v189
	s_wait_alu 0xf1ff
	v_cndmask_b32_e64 v6, 0, v6, s0
	v_cmp_gt_i32_e64 s0, s31, v191
	s_wait_alu 0xf1ff
	s_delay_alu instid0(VALU_DEP_1) | instskip(SKIP_2) | instid1(VALU_DEP_1)
	v_cndmask_b32_e64 v7, 0, v7, s0
	v_cmp_gt_i32_e64 s0, s31, v0
	s_wait_alu 0xf1ff
	v_cndmask_b32_e64 v8, 0, v8, s0
	scratch_store_b128 off, v[5:8], off offset:168 ; 16-byte Folded Spill
.LBB53_61:                              ;   in Loop: Header=BB53_38 Depth=1
	s_or_b32 exec_lo, exec_lo, s23
	global_load_b128 v[5:8], v[73:74], off offset:5632
	s_wait_loadcnt 0x0
	scratch_store_b128 off, v[5:8], off offset:184 ; 16-byte Folded Spill
	s_and_saveexec_b32 s23, vcc_lo
	s_cbranch_execz .LBB53_63
; %bb.62:                               ;   in Loop: Header=BB53_38 Depth=1
	scratch_load_b128 v[5:8], off, off offset:184 th:TH_LOAD_LU ; 16-byte Folded Reload
	v_cmp_gt_i32_e64 s0, s31, v190
	s_wait_loadcnt 0x0
	s_wait_alu 0xf1ff
	s_delay_alu instid0(VALU_DEP_1) | instskip(SKIP_2) | instid1(VALU_DEP_1)
	v_cndmask_b32_e64 v5, 0, v5, s0
	v_cmp_gt_i32_e64 s0, s31, v189
	s_wait_alu 0xf1ff
	v_cndmask_b32_e64 v6, 0, v6, s0
	v_cmp_gt_i32_e64 s0, s31, v191
	s_wait_alu 0xf1ff
	s_delay_alu instid0(VALU_DEP_1) | instskip(SKIP_2) | instid1(VALU_DEP_1)
	v_cndmask_b32_e64 v7, 0, v7, s0
	v_cmp_gt_i32_e64 s0, s31, v0
	s_wait_alu 0xf1ff
	v_cndmask_b32_e64 v8, 0, v8, s0
	scratch_store_b128 off, v[5:8], off offset:184 ; 16-byte Folded Spill
.LBB53_63:                              ;   in Loop: Header=BB53_38 Depth=1
	s_or_b32 exec_lo, exec_lo, s23
	global_load_b128 v[5:8], v[73:74], off offset:6144
	s_wait_loadcnt 0x0
	scratch_store_b128 off, v[5:8], off offset:200 ; 16-byte Folded Spill
	s_and_saveexec_b32 s23, vcc_lo
	s_cbranch_execz .LBB53_65
; %bb.64:                               ;   in Loop: Header=BB53_38 Depth=1
	scratch_load_b128 v[5:8], off, off offset:200 th:TH_LOAD_LU ; 16-byte Folded Reload
	v_cmp_gt_i32_e64 s0, s31, v190
	s_wait_loadcnt 0x0
	s_wait_alu 0xf1ff
	s_delay_alu instid0(VALU_DEP_1) | instskip(SKIP_2) | instid1(VALU_DEP_1)
	v_cndmask_b32_e64 v5, 0, v5, s0
	v_cmp_gt_i32_e64 s0, s31, v189
	s_wait_alu 0xf1ff
	v_cndmask_b32_e64 v6, 0, v6, s0
	v_cmp_gt_i32_e64 s0, s31, v191
	s_wait_alu 0xf1ff
	s_delay_alu instid0(VALU_DEP_1) | instskip(SKIP_2) | instid1(VALU_DEP_1)
	v_cndmask_b32_e64 v7, 0, v7, s0
	v_cmp_gt_i32_e64 s0, s31, v0
	s_wait_alu 0xf1ff
	v_cndmask_b32_e64 v8, 0, v8, s0
	scratch_store_b128 off, v[5:8], off offset:200 ; 16-byte Folded Spill
.LBB53_65:                              ;   in Loop: Header=BB53_38 Depth=1
	s_or_b32 exec_lo, exec_lo, s23
	global_load_b128 v[5:8], v[73:74], off offset:6656
	s_wait_loadcnt 0x0
	scratch_store_b128 off, v[5:8], off offset:216 ; 16-byte Folded Spill
	s_and_saveexec_b32 s23, vcc_lo
	s_cbranch_execz .LBB53_67
; %bb.66:                               ;   in Loop: Header=BB53_38 Depth=1
	scratch_load_b128 v[5:8], off, off offset:216 th:TH_LOAD_LU ; 16-byte Folded Reload
	v_cmp_gt_i32_e64 s0, s31, v190
	s_wait_loadcnt 0x0
	s_wait_alu 0xf1ff
	s_delay_alu instid0(VALU_DEP_1) | instskip(SKIP_2) | instid1(VALU_DEP_1)
	v_cndmask_b32_e64 v5, 0, v5, s0
	v_cmp_gt_i32_e64 s0, s31, v189
	s_wait_alu 0xf1ff
	v_cndmask_b32_e64 v6, 0, v6, s0
	v_cmp_gt_i32_e64 s0, s31, v191
	s_wait_alu 0xf1ff
	s_delay_alu instid0(VALU_DEP_1) | instskip(SKIP_2) | instid1(VALU_DEP_1)
	v_cndmask_b32_e64 v7, 0, v7, s0
	v_cmp_gt_i32_e64 s0, s31, v0
	s_wait_alu 0xf1ff
	v_cndmask_b32_e64 v8, 0, v8, s0
	scratch_store_b128 off, v[5:8], off offset:216 ; 16-byte Folded Spill
.LBB53_67:                              ;   in Loop: Header=BB53_38 Depth=1
	s_or_b32 exec_lo, exec_lo, s23
	global_load_b128 v[5:8], v[73:74], off offset:7168
	s_wait_loadcnt 0x0
	scratch_store_b128 off, v[5:8], off offset:232 ; 16-byte Folded Spill
	s_and_saveexec_b32 s23, vcc_lo
	s_cbranch_execz .LBB53_69
; %bb.68:                               ;   in Loop: Header=BB53_38 Depth=1
	scratch_load_b128 v[5:8], off, off offset:232 th:TH_LOAD_LU ; 16-byte Folded Reload
	v_cmp_gt_i32_e64 s0, s31, v190
	s_wait_loadcnt 0x0
	s_wait_alu 0xf1ff
	s_delay_alu instid0(VALU_DEP_1) | instskip(SKIP_2) | instid1(VALU_DEP_1)
	v_cndmask_b32_e64 v5, 0, v5, s0
	v_cmp_gt_i32_e64 s0, s31, v189
	s_wait_alu 0xf1ff
	v_cndmask_b32_e64 v6, 0, v6, s0
	v_cmp_gt_i32_e64 s0, s31, v191
	s_wait_alu 0xf1ff
	s_delay_alu instid0(VALU_DEP_1) | instskip(SKIP_2) | instid1(VALU_DEP_1)
	v_cndmask_b32_e64 v7, 0, v7, s0
	v_cmp_gt_i32_e64 s0, s31, v0
	s_wait_alu 0xf1ff
	v_cndmask_b32_e64 v8, 0, v8, s0
	scratch_store_b128 off, v[5:8], off offset:232 ; 16-byte Folded Spill
.LBB53_69:                              ;   in Loop: Header=BB53_38 Depth=1
	s_or_b32 exec_lo, exec_lo, s23
	global_load_b128 v[5:8], v[73:74], off offset:7680
	s_wait_loadcnt 0x0
	scratch_store_b128 off, v[5:8], off offset:248 ; 16-byte Folded Spill
	s_and_saveexec_b32 s23, vcc_lo
	s_cbranch_execz .LBB53_71
; %bb.70:                               ;   in Loop: Header=BB53_38 Depth=1
	scratch_load_b128 v[5:8], off, off offset:248 th:TH_LOAD_LU ; 16-byte Folded Reload
	v_cmp_gt_i32_e64 s0, s31, v190
	s_wait_loadcnt 0x0
	s_wait_alu 0xf1ff
	s_delay_alu instid0(VALU_DEP_1) | instskip(SKIP_2) | instid1(VALU_DEP_1)
	v_cndmask_b32_e64 v5, 0, v5, s0
	v_cmp_gt_i32_e64 s0, s31, v189
	s_wait_alu 0xf1ff
	v_cndmask_b32_e64 v6, 0, v6, s0
	v_cmp_gt_i32_e64 s0, s31, v191
	s_wait_alu 0xf1ff
	s_delay_alu instid0(VALU_DEP_1) | instskip(SKIP_2) | instid1(VALU_DEP_1)
	v_cndmask_b32_e64 v7, 0, v7, s0
	v_cmp_gt_i32_e64 s0, s31, v0
	s_wait_alu 0xf1ff
	v_cndmask_b32_e64 v8, 0, v8, s0
	scratch_store_b128 off, v[5:8], off offset:248 ; 16-byte Folded Spill
.LBB53_71:                              ;   in Loop: Header=BB53_38 Depth=1
	s_or_b32 exec_lo, exec_lo, s23
	global_load_b128 v[5:8], v[73:74], off offset:8192
	s_wait_loadcnt 0x0
	scratch_store_b128 off, v[5:8], off offset:264 ; 16-byte Folded Spill
	s_and_saveexec_b32 s23, vcc_lo
	s_cbranch_execz .LBB53_73
; %bb.72:                               ;   in Loop: Header=BB53_38 Depth=1
	scratch_load_b128 v[5:8], off, off offset:264 th:TH_LOAD_LU ; 16-byte Folded Reload
	v_cmp_gt_i32_e64 s0, s31, v190
	s_wait_loadcnt 0x0
	s_wait_alu 0xf1ff
	s_delay_alu instid0(VALU_DEP_1) | instskip(SKIP_2) | instid1(VALU_DEP_1)
	v_cndmask_b32_e64 v5, 0, v5, s0
	v_cmp_gt_i32_e64 s0, s31, v189
	s_wait_alu 0xf1ff
	v_cndmask_b32_e64 v6, 0, v6, s0
	v_cmp_gt_i32_e64 s0, s31, v191
	s_wait_alu 0xf1ff
	s_delay_alu instid0(VALU_DEP_1) | instskip(SKIP_2) | instid1(VALU_DEP_1)
	v_cndmask_b32_e64 v7, 0, v7, s0
	v_cmp_gt_i32_e64 s0, s31, v0
	s_wait_alu 0xf1ff
	v_cndmask_b32_e64 v8, 0, v8, s0
	scratch_store_b128 off, v[5:8], off offset:264 ; 16-byte Folded Spill
.LBB53_73:                              ;   in Loop: Header=BB53_38 Depth=1
	s_or_b32 exec_lo, exec_lo, s23
	global_load_b128 v[5:8], v[73:74], off offset:8704
	s_wait_loadcnt 0x0
	scratch_store_b128 off, v[5:8], off offset:280 ; 16-byte Folded Spill
	s_and_saveexec_b32 s23, vcc_lo
	s_cbranch_execnz .LBB53_123
; %bb.74:                               ;   in Loop: Header=BB53_38 Depth=1
	s_or_b32 exec_lo, exec_lo, s23
	global_load_b128 v[77:80], v[73:74], off offset:9216
	s_and_saveexec_b32 s23, vcc_lo
	s_cbranch_execnz .LBB53_124
.LBB53_75:                              ;   in Loop: Header=BB53_38 Depth=1
	s_or_b32 exec_lo, exec_lo, s23
	global_load_b128 v[81:84], v[73:74], off offset:9728
	s_and_saveexec_b32 s23, vcc_lo
	s_cbranch_execnz .LBB53_125
.LBB53_76:                              ;   in Loop: Header=BB53_38 Depth=1
	s_or_b32 exec_lo, exec_lo, s23
	global_load_b128 v[85:88], v[73:74], off offset:10240
	s_and_saveexec_b32 s23, vcc_lo
	s_cbranch_execnz .LBB53_126
.LBB53_77:                              ;   in Loop: Header=BB53_38 Depth=1
	s_or_b32 exec_lo, exec_lo, s23
	global_load_b128 v[89:92], v[73:74], off offset:10752
	s_and_saveexec_b32 s23, vcc_lo
	s_cbranch_execnz .LBB53_127
.LBB53_78:                              ;   in Loop: Header=BB53_38 Depth=1
	s_or_b32 exec_lo, exec_lo, s23
	global_load_b128 v[93:96], v[73:74], off offset:11264
	s_and_saveexec_b32 s23, vcc_lo
	s_cbranch_execnz .LBB53_128
.LBB53_79:                              ;   in Loop: Header=BB53_38 Depth=1
	s_or_b32 exec_lo, exec_lo, s23
	global_load_b128 v[97:100], v[73:74], off offset:11776
	s_and_saveexec_b32 s23, vcc_lo
	s_cbranch_execnz .LBB53_129
.LBB53_80:                              ;   in Loop: Header=BB53_38 Depth=1
	s_or_b32 exec_lo, exec_lo, s23
	global_load_b128 v[101:104], v[73:74], off offset:12288
	s_and_saveexec_b32 s23, vcc_lo
	s_cbranch_execnz .LBB53_130
.LBB53_81:                              ;   in Loop: Header=BB53_38 Depth=1
	s_or_b32 exec_lo, exec_lo, s23
	global_load_b128 v[105:108], v[73:74], off offset:12800
	s_and_saveexec_b32 s23, vcc_lo
	s_cbranch_execnz .LBB53_131
.LBB53_82:                              ;   in Loop: Header=BB53_38 Depth=1
	s_or_b32 exec_lo, exec_lo, s23
	global_load_b128 v[109:112], v[73:74], off offset:13312
	s_and_saveexec_b32 s23, vcc_lo
	s_cbranch_execnz .LBB53_132
.LBB53_83:                              ;   in Loop: Header=BB53_38 Depth=1
	s_or_b32 exec_lo, exec_lo, s23
	global_load_b128 v[113:116], v[73:74], off offset:13824
	s_and_saveexec_b32 s23, vcc_lo
	s_cbranch_execnz .LBB53_133
.LBB53_84:                              ;   in Loop: Header=BB53_38 Depth=1
	s_or_b32 exec_lo, exec_lo, s23
	global_load_b128 v[117:120], v[73:74], off offset:14336
	s_and_saveexec_b32 s23, vcc_lo
	s_cbranch_execnz .LBB53_134
.LBB53_85:                              ;   in Loop: Header=BB53_38 Depth=1
	s_or_b32 exec_lo, exec_lo, s23
	global_load_b128 v[121:124], v[73:74], off offset:14848
	s_and_saveexec_b32 s23, vcc_lo
	s_cbranch_execnz .LBB53_135
.LBB53_86:                              ;   in Loop: Header=BB53_38 Depth=1
	s_or_b32 exec_lo, exec_lo, s23
	global_load_b128 v[125:128], v[73:74], off offset:15360
	s_and_saveexec_b32 s23, vcc_lo
	s_cbranch_execz .LBB53_88
.LBB53_87:                              ;   in Loop: Header=BB53_38 Depth=1
	v_cmp_gt_i32_e64 s0, s31, v190
	s_wait_loadcnt 0x0
	s_wait_alu 0xf1ff
	s_delay_alu instid0(VALU_DEP_1) | instskip(SKIP_2) | instid1(VALU_DEP_1)
	v_cndmask_b32_e64 v125, 0, v125, s0
	v_cmp_gt_i32_e64 s0, s31, v189
	s_wait_alu 0xf1ff
	v_cndmask_b32_e64 v126, 0, v126, s0
	v_cmp_gt_i32_e64 s0, s31, v191
	s_wait_alu 0xf1ff
	s_delay_alu instid0(VALU_DEP_1) | instskip(SKIP_2) | instid1(VALU_DEP_1)
	v_cndmask_b32_e64 v127, 0, v127, s0
	v_cmp_gt_i32_e64 s0, s31, v0
	s_wait_alu 0xf1ff
	v_cndmask_b32_e64 v128, 0, v128, s0
.LBB53_88:                              ;   in Loop: Header=BB53_38 Depth=1
	s_or_b32 exec_lo, exec_lo, s23
	scratch_load_b32 v5, off, off offset:628 ; 4-byte Folded Reload
	s_wait_loadcnt 0x0
	v_add_co_u32 v5, s0, v185, v5
	s_wait_alu 0xf1ff
	v_add_co_ci_u32_e64 v6, null, 0, v186, s0
	global_load_b128 v[129:132], v[5:6], off
	s_and_saveexec_b32 s23, vcc_lo
	s_cbranch_execnz .LBB53_136
; %bb.89:                               ;   in Loop: Header=BB53_38 Depth=1
	s_or_b32 exec_lo, exec_lo, s23
	global_load_b128 v[133:136], v[73:74], off offset:16384
	s_and_saveexec_b32 s23, vcc_lo
	s_cbranch_execnz .LBB53_137
.LBB53_90:                              ;   in Loop: Header=BB53_38 Depth=1
	s_or_b32 exec_lo, exec_lo, s23
	global_load_b128 v[137:140], v[73:74], off offset:16896
	s_and_saveexec_b32 s23, vcc_lo
	s_cbranch_execnz .LBB53_138
.LBB53_91:                              ;   in Loop: Header=BB53_38 Depth=1
	s_or_b32 exec_lo, exec_lo, s23
	global_load_b128 v[141:144], v[73:74], off offset:17408
	s_and_saveexec_b32 s23, vcc_lo
	s_cbranch_execnz .LBB53_139
.LBB53_92:                              ;   in Loop: Header=BB53_38 Depth=1
	s_or_b32 exec_lo, exec_lo, s23
	global_load_b128 v[145:148], v[73:74], off offset:17920
	s_and_saveexec_b32 s23, vcc_lo
	s_cbranch_execnz .LBB53_140
.LBB53_93:                              ;   in Loop: Header=BB53_38 Depth=1
	s_or_b32 exec_lo, exec_lo, s23
	global_load_b128 v[149:152], v[73:74], off offset:18432
	s_and_saveexec_b32 s23, vcc_lo
	s_cbranch_execnz .LBB53_141
.LBB53_94:                              ;   in Loop: Header=BB53_38 Depth=1
	s_or_b32 exec_lo, exec_lo, s23
	global_load_b128 v[153:156], v[73:74], off offset:18944
	s_and_saveexec_b32 s23, vcc_lo
	s_cbranch_execnz .LBB53_142
.LBB53_95:                              ;   in Loop: Header=BB53_38 Depth=1
	s_or_b32 exec_lo, exec_lo, s23
	global_load_b128 v[157:160], v[73:74], off offset:19456
	s_and_saveexec_b32 s23, vcc_lo
	s_cbranch_execnz .LBB53_143
.LBB53_96:                              ;   in Loop: Header=BB53_38 Depth=1
	s_or_b32 exec_lo, exec_lo, s23
	global_load_b128 v[161:164], v[73:74], off offset:19968
	s_and_saveexec_b32 s23, vcc_lo
	s_cbranch_execnz .LBB53_144
.LBB53_97:                              ;   in Loop: Header=BB53_38 Depth=1
	s_or_b32 exec_lo, exec_lo, s23
	global_load_b128 v[165:168], v[73:74], off offset:20480
	s_and_saveexec_b32 s23, vcc_lo
	s_cbranch_execnz .LBB53_145
.LBB53_98:                              ;   in Loop: Header=BB53_38 Depth=1
	s_or_b32 exec_lo, exec_lo, s23
	global_load_b128 v[169:172], v[73:74], off offset:20992
	s_and_saveexec_b32 s23, vcc_lo
	s_cbranch_execnz .LBB53_146
.LBB53_99:                              ;   in Loop: Header=BB53_38 Depth=1
	s_or_b32 exec_lo, exec_lo, s23
	global_load_b128 v[173:176], v[73:74], off offset:21504
	s_and_saveexec_b32 s23, vcc_lo
	s_cbranch_execnz .LBB53_147
.LBB53_100:                             ;   in Loop: Header=BB53_38 Depth=1
	s_or_b32 exec_lo, exec_lo, s23
	global_load_b128 v[177:180], v[73:74], off offset:22016
	s_and_saveexec_b32 s23, vcc_lo
	s_cbranch_execnz .LBB53_148
.LBB53_101:                             ;   in Loop: Header=BB53_38 Depth=1
	s_or_b32 exec_lo, exec_lo, s23
	global_load_b128 v[181:184], v[73:74], off offset:22528
	s_and_saveexec_b32 s23, vcc_lo
	s_cbranch_execnz .LBB53_149
.LBB53_102:                             ;   in Loop: Header=BB53_38 Depth=1
	s_or_b32 exec_lo, exec_lo, s23
	global_load_b128 v[5:8], v[73:74], off offset:23040
	s_and_saveexec_b32 s23, vcc_lo
	s_cbranch_execnz .LBB53_150
.LBB53_103:                             ;   in Loop: Header=BB53_38 Depth=1
	s_or_b32 exec_lo, exec_lo, s23
	global_load_b128 v[9:12], v[73:74], off offset:23552
	s_and_saveexec_b32 s23, vcc_lo
	s_cbranch_execnz .LBB53_151
.LBB53_104:                             ;   in Loop: Header=BB53_38 Depth=1
	s_or_b32 exec_lo, exec_lo, s23
	global_load_b128 v[13:16], v[73:74], off offset:24064
	s_and_saveexec_b32 s23, vcc_lo
	s_cbranch_execnz .LBB53_152
.LBB53_105:                             ;   in Loop: Header=BB53_38 Depth=1
	s_or_b32 exec_lo, exec_lo, s23
	global_load_b128 v[17:20], v[73:74], off offset:24576
	s_and_saveexec_b32 s23, vcc_lo
	s_cbranch_execnz .LBB53_153
.LBB53_106:                             ;   in Loop: Header=BB53_38 Depth=1
	s_or_b32 exec_lo, exec_lo, s23
	global_load_b128 v[21:24], v[73:74], off offset:25088
	s_and_saveexec_b32 s23, vcc_lo
	s_cbranch_execnz .LBB53_154
.LBB53_107:                             ;   in Loop: Header=BB53_38 Depth=1
	s_or_b32 exec_lo, exec_lo, s23
	global_load_b128 v[25:28], v[73:74], off offset:25600
	s_and_saveexec_b32 s23, vcc_lo
	s_cbranch_execnz .LBB53_155
.LBB53_108:                             ;   in Loop: Header=BB53_38 Depth=1
	s_or_b32 exec_lo, exec_lo, s23
	global_load_b128 v[29:32], v[73:74], off offset:26112
	s_and_saveexec_b32 s23, vcc_lo
	s_cbranch_execnz .LBB53_156
.LBB53_109:                             ;   in Loop: Header=BB53_38 Depth=1
	s_or_b32 exec_lo, exec_lo, s23
	global_load_b128 v[33:36], v[73:74], off offset:26624
	s_and_saveexec_b32 s23, vcc_lo
	s_cbranch_execnz .LBB53_157
.LBB53_110:                             ;   in Loop: Header=BB53_38 Depth=1
	s_or_b32 exec_lo, exec_lo, s23
	global_load_b128 v[37:40], v[73:74], off offset:27136
	s_and_saveexec_b32 s23, vcc_lo
	s_cbranch_execnz .LBB53_158
.LBB53_111:                             ;   in Loop: Header=BB53_38 Depth=1
	s_or_b32 exec_lo, exec_lo, s23
	global_load_b128 v[41:44], v[73:74], off offset:27648
	s_and_saveexec_b32 s23, vcc_lo
	s_cbranch_execnz .LBB53_159
.LBB53_112:                             ;   in Loop: Header=BB53_38 Depth=1
	s_or_b32 exec_lo, exec_lo, s23
	global_load_b128 v[45:48], v[73:74], off offset:28160
	s_and_saveexec_b32 s23, vcc_lo
	s_cbranch_execnz .LBB53_160
.LBB53_113:                             ;   in Loop: Header=BB53_38 Depth=1
	s_or_b32 exec_lo, exec_lo, s23
	global_load_b128 v[49:52], v[73:74], off offset:28672
	s_and_saveexec_b32 s23, vcc_lo
	s_cbranch_execnz .LBB53_161
.LBB53_114:                             ;   in Loop: Header=BB53_38 Depth=1
	s_or_b32 exec_lo, exec_lo, s23
	global_load_b128 v[53:56], v[73:74], off offset:29184
	s_and_saveexec_b32 s23, vcc_lo
	s_cbranch_execnz .LBB53_162
.LBB53_115:                             ;   in Loop: Header=BB53_38 Depth=1
	s_or_b32 exec_lo, exec_lo, s23
	global_load_b128 v[57:60], v[73:74], off offset:29696
	s_and_saveexec_b32 s23, vcc_lo
	s_cbranch_execnz .LBB53_163
.LBB53_116:                             ;   in Loop: Header=BB53_38 Depth=1
	s_or_b32 exec_lo, exec_lo, s23
	global_load_b128 v[61:64], v[73:74], off offset:30208
	s_and_saveexec_b32 s23, vcc_lo
	s_cbranch_execnz .LBB53_164
.LBB53_117:                             ;   in Loop: Header=BB53_38 Depth=1
	s_or_b32 exec_lo, exec_lo, s23
	global_load_b128 v[65:68], v[73:74], off offset:30720
	s_and_saveexec_b32 s23, vcc_lo
	s_cbranch_execnz .LBB53_165
.LBB53_118:                             ;   in Loop: Header=BB53_38 Depth=1
	s_or_b32 exec_lo, exec_lo, s23
	global_load_b128 v[69:72], v[73:74], off offset:31232
	s_and_saveexec_b32 s23, vcc_lo
	s_cbranch_execnz .LBB53_166
.LBB53_119:                             ;   in Loop: Header=BB53_38 Depth=1
	s_or_b32 exec_lo, exec_lo, s23
	global_load_b128 v[73:76], v[73:74], off offset:31744
	s_and_saveexec_b32 s23, vcc_lo
	s_cbranch_execz .LBB53_121
.LBB53_120:                             ;   in Loop: Header=BB53_38 Depth=1
	v_cmp_gt_i32_e64 s0, s31, v190
	s_wait_loadcnt 0x0
	s_wait_alu 0xf1ff
	s_delay_alu instid0(VALU_DEP_1) | instskip(SKIP_2) | instid1(VALU_DEP_1)
	v_cndmask_b32_e64 v73, 0, v73, s0
	v_cmp_gt_i32_e64 s0, s31, v189
	s_wait_alu 0xf1ff
	v_cndmask_b32_e64 v74, 0, v74, s0
	v_cmp_gt_i32_e64 s0, s31, v191
	s_wait_alu 0xf1ff
	s_delay_alu instid0(VALU_DEP_1) | instskip(SKIP_2) | instid1(VALU_DEP_1)
	v_cndmask_b32_e64 v75, 0, v75, s0
	v_cmp_gt_i32_e64 s0, s31, v0
	s_wait_alu 0xf1ff
	v_cndmask_b32_e64 v76, 0, v76, s0
.LBB53_121:                             ;   in Loop: Header=BB53_38 Depth=1
	s_or_b32 exec_lo, exec_lo, s23
	scratch_load_b32 v187, off, off offset:632 ; 4-byte Folded Reload
	s_wait_loadcnt 0x0
	v_add_co_u32 v185, s0, v185, v187
	s_wait_alu 0xf1ff
	v_add_co_ci_u32_e64 v186, null, 0, v186, s0
	global_load_b128 v[185:188], v[185:186], off
	s_and_saveexec_b32 s0, vcc_lo
	s_cbranch_execz .LBB53_36
; %bb.122:                              ;   in Loop: Header=BB53_38 Depth=1
	v_cmp_gt_i32_e32 vcc_lo, s31, v190
	s_wait_loadcnt 0x0
	s_wait_alu 0xfffd
	v_cndmask_b32_e32 v185, 0, v185, vcc_lo
	v_cmp_gt_i32_e32 vcc_lo, s31, v189
	s_wait_alu 0xfffd
	v_cndmask_b32_e32 v186, 0, v186, vcc_lo
	v_cmp_gt_i32_e32 vcc_lo, s31, v191
	;; [unrolled: 3-line block ×3, first 2 shown]
	s_wait_alu 0xfffd
	v_cndmask_b32_e32 v188, 0, v188, vcc_lo
	s_branch .LBB53_36
.LBB53_123:                             ;   in Loop: Header=BB53_38 Depth=1
	scratch_load_b128 v[5:8], off, off offset:280 th:TH_LOAD_LU ; 16-byte Folded Reload
	v_cmp_gt_i32_e64 s0, s31, v190
	s_wait_loadcnt 0x0
	s_wait_alu 0xf1ff
	s_delay_alu instid0(VALU_DEP_1) | instskip(SKIP_2) | instid1(VALU_DEP_1)
	v_cndmask_b32_e64 v5, 0, v5, s0
	v_cmp_gt_i32_e64 s0, s31, v189
	s_wait_alu 0xf1ff
	v_cndmask_b32_e64 v6, 0, v6, s0
	v_cmp_gt_i32_e64 s0, s31, v191
	s_wait_alu 0xf1ff
	s_delay_alu instid0(VALU_DEP_1) | instskip(SKIP_2) | instid1(VALU_DEP_1)
	v_cndmask_b32_e64 v7, 0, v7, s0
	v_cmp_gt_i32_e64 s0, s31, v0
	s_wait_alu 0xf1ff
	v_cndmask_b32_e64 v8, 0, v8, s0
	scratch_store_b128 off, v[5:8], off offset:280 ; 16-byte Folded Spill
	s_or_b32 exec_lo, exec_lo, s23
	global_load_b128 v[77:80], v[73:74], off offset:9216
	s_and_saveexec_b32 s23, vcc_lo
	s_cbranch_execz .LBB53_75
.LBB53_124:                             ;   in Loop: Header=BB53_38 Depth=1
	v_cmp_gt_i32_e64 s0, s31, v190
	s_wait_loadcnt 0x0
	s_wait_alu 0xf1ff
	s_delay_alu instid0(VALU_DEP_1) | instskip(SKIP_2) | instid1(VALU_DEP_1)
	v_cndmask_b32_e64 v77, 0, v77, s0
	v_cmp_gt_i32_e64 s0, s31, v189
	s_wait_alu 0xf1ff
	v_cndmask_b32_e64 v78, 0, v78, s0
	v_cmp_gt_i32_e64 s0, s31, v191
	s_wait_alu 0xf1ff
	s_delay_alu instid0(VALU_DEP_1) | instskip(SKIP_2) | instid1(VALU_DEP_1)
	v_cndmask_b32_e64 v79, 0, v79, s0
	v_cmp_gt_i32_e64 s0, s31, v0
	s_wait_alu 0xf1ff
	v_cndmask_b32_e64 v80, 0, v80, s0
	s_or_b32 exec_lo, exec_lo, s23
	global_load_b128 v[81:84], v[73:74], off offset:9728
	s_and_saveexec_b32 s23, vcc_lo
	s_cbranch_execz .LBB53_76
.LBB53_125:                             ;   in Loop: Header=BB53_38 Depth=1
	v_cmp_gt_i32_e64 s0, s31, v190
	s_wait_loadcnt 0x0
	s_wait_alu 0xf1ff
	s_delay_alu instid0(VALU_DEP_1) | instskip(SKIP_2) | instid1(VALU_DEP_1)
	v_cndmask_b32_e64 v81, 0, v81, s0
	v_cmp_gt_i32_e64 s0, s31, v189
	s_wait_alu 0xf1ff
	v_cndmask_b32_e64 v82, 0, v82, s0
	v_cmp_gt_i32_e64 s0, s31, v191
	s_wait_alu 0xf1ff
	s_delay_alu instid0(VALU_DEP_1) | instskip(SKIP_2) | instid1(VALU_DEP_1)
	v_cndmask_b32_e64 v83, 0, v83, s0
	v_cmp_gt_i32_e64 s0, s31, v0
	s_wait_alu 0xf1ff
	v_cndmask_b32_e64 v84, 0, v84, s0
	s_or_b32 exec_lo, exec_lo, s23
	global_load_b128 v[85:88], v[73:74], off offset:10240
	s_and_saveexec_b32 s23, vcc_lo
	s_cbranch_execz .LBB53_77
.LBB53_126:                             ;   in Loop: Header=BB53_38 Depth=1
	v_cmp_gt_i32_e64 s0, s31, v190
	s_wait_loadcnt 0x0
	s_wait_alu 0xf1ff
	s_delay_alu instid0(VALU_DEP_1) | instskip(SKIP_2) | instid1(VALU_DEP_1)
	v_cndmask_b32_e64 v85, 0, v85, s0
	v_cmp_gt_i32_e64 s0, s31, v189
	s_wait_alu 0xf1ff
	v_cndmask_b32_e64 v86, 0, v86, s0
	v_cmp_gt_i32_e64 s0, s31, v191
	s_wait_alu 0xf1ff
	s_delay_alu instid0(VALU_DEP_1) | instskip(SKIP_2) | instid1(VALU_DEP_1)
	v_cndmask_b32_e64 v87, 0, v87, s0
	v_cmp_gt_i32_e64 s0, s31, v0
	s_wait_alu 0xf1ff
	v_cndmask_b32_e64 v88, 0, v88, s0
	s_or_b32 exec_lo, exec_lo, s23
	global_load_b128 v[89:92], v[73:74], off offset:10752
	s_and_saveexec_b32 s23, vcc_lo
	s_cbranch_execz .LBB53_78
.LBB53_127:                             ;   in Loop: Header=BB53_38 Depth=1
	v_cmp_gt_i32_e64 s0, s31, v190
	s_wait_loadcnt 0x0
	s_wait_alu 0xf1ff
	s_delay_alu instid0(VALU_DEP_1) | instskip(SKIP_2) | instid1(VALU_DEP_1)
	v_cndmask_b32_e64 v89, 0, v89, s0
	v_cmp_gt_i32_e64 s0, s31, v189
	s_wait_alu 0xf1ff
	v_cndmask_b32_e64 v90, 0, v90, s0
	v_cmp_gt_i32_e64 s0, s31, v191
	s_wait_alu 0xf1ff
	s_delay_alu instid0(VALU_DEP_1) | instskip(SKIP_2) | instid1(VALU_DEP_1)
	v_cndmask_b32_e64 v91, 0, v91, s0
	v_cmp_gt_i32_e64 s0, s31, v0
	s_wait_alu 0xf1ff
	v_cndmask_b32_e64 v92, 0, v92, s0
	s_or_b32 exec_lo, exec_lo, s23
	global_load_b128 v[93:96], v[73:74], off offset:11264
	s_and_saveexec_b32 s23, vcc_lo
	s_cbranch_execz .LBB53_79
.LBB53_128:                             ;   in Loop: Header=BB53_38 Depth=1
	v_cmp_gt_i32_e64 s0, s31, v190
	s_wait_loadcnt 0x0
	s_wait_alu 0xf1ff
	s_delay_alu instid0(VALU_DEP_1) | instskip(SKIP_2) | instid1(VALU_DEP_1)
	v_cndmask_b32_e64 v93, 0, v93, s0
	v_cmp_gt_i32_e64 s0, s31, v189
	s_wait_alu 0xf1ff
	v_cndmask_b32_e64 v94, 0, v94, s0
	v_cmp_gt_i32_e64 s0, s31, v191
	s_wait_alu 0xf1ff
	s_delay_alu instid0(VALU_DEP_1) | instskip(SKIP_2) | instid1(VALU_DEP_1)
	v_cndmask_b32_e64 v95, 0, v95, s0
	v_cmp_gt_i32_e64 s0, s31, v0
	s_wait_alu 0xf1ff
	v_cndmask_b32_e64 v96, 0, v96, s0
	s_or_b32 exec_lo, exec_lo, s23
	global_load_b128 v[97:100], v[73:74], off offset:11776
	s_and_saveexec_b32 s23, vcc_lo
	s_cbranch_execz .LBB53_80
.LBB53_129:                             ;   in Loop: Header=BB53_38 Depth=1
	v_cmp_gt_i32_e64 s0, s31, v190
	s_wait_loadcnt 0x0
	s_wait_alu 0xf1ff
	s_delay_alu instid0(VALU_DEP_1) | instskip(SKIP_2) | instid1(VALU_DEP_1)
	v_cndmask_b32_e64 v97, 0, v97, s0
	v_cmp_gt_i32_e64 s0, s31, v189
	s_wait_alu 0xf1ff
	v_cndmask_b32_e64 v98, 0, v98, s0
	v_cmp_gt_i32_e64 s0, s31, v191
	s_wait_alu 0xf1ff
	s_delay_alu instid0(VALU_DEP_1) | instskip(SKIP_2) | instid1(VALU_DEP_1)
	v_cndmask_b32_e64 v99, 0, v99, s0
	v_cmp_gt_i32_e64 s0, s31, v0
	s_wait_alu 0xf1ff
	v_cndmask_b32_e64 v100, 0, v100, s0
	s_or_b32 exec_lo, exec_lo, s23
	global_load_b128 v[101:104], v[73:74], off offset:12288
	s_and_saveexec_b32 s23, vcc_lo
	s_cbranch_execz .LBB53_81
.LBB53_130:                             ;   in Loop: Header=BB53_38 Depth=1
	v_cmp_gt_i32_e64 s0, s31, v190
	s_wait_loadcnt 0x0
	s_wait_alu 0xf1ff
	s_delay_alu instid0(VALU_DEP_1) | instskip(SKIP_2) | instid1(VALU_DEP_1)
	v_cndmask_b32_e64 v101, 0, v101, s0
	v_cmp_gt_i32_e64 s0, s31, v189
	s_wait_alu 0xf1ff
	v_cndmask_b32_e64 v102, 0, v102, s0
	v_cmp_gt_i32_e64 s0, s31, v191
	s_wait_alu 0xf1ff
	s_delay_alu instid0(VALU_DEP_1) | instskip(SKIP_2) | instid1(VALU_DEP_1)
	v_cndmask_b32_e64 v103, 0, v103, s0
	v_cmp_gt_i32_e64 s0, s31, v0
	s_wait_alu 0xf1ff
	v_cndmask_b32_e64 v104, 0, v104, s0
	s_or_b32 exec_lo, exec_lo, s23
	global_load_b128 v[105:108], v[73:74], off offset:12800
	s_and_saveexec_b32 s23, vcc_lo
	s_cbranch_execz .LBB53_82
.LBB53_131:                             ;   in Loop: Header=BB53_38 Depth=1
	v_cmp_gt_i32_e64 s0, s31, v190
	s_wait_loadcnt 0x0
	s_wait_alu 0xf1ff
	s_delay_alu instid0(VALU_DEP_1) | instskip(SKIP_2) | instid1(VALU_DEP_1)
	v_cndmask_b32_e64 v105, 0, v105, s0
	v_cmp_gt_i32_e64 s0, s31, v189
	s_wait_alu 0xf1ff
	v_cndmask_b32_e64 v106, 0, v106, s0
	v_cmp_gt_i32_e64 s0, s31, v191
	s_wait_alu 0xf1ff
	s_delay_alu instid0(VALU_DEP_1) | instskip(SKIP_2) | instid1(VALU_DEP_1)
	v_cndmask_b32_e64 v107, 0, v107, s0
	v_cmp_gt_i32_e64 s0, s31, v0
	s_wait_alu 0xf1ff
	v_cndmask_b32_e64 v108, 0, v108, s0
	s_or_b32 exec_lo, exec_lo, s23
	global_load_b128 v[109:112], v[73:74], off offset:13312
	s_and_saveexec_b32 s23, vcc_lo
	s_cbranch_execz .LBB53_83
.LBB53_132:                             ;   in Loop: Header=BB53_38 Depth=1
	v_cmp_gt_i32_e64 s0, s31, v190
	s_wait_loadcnt 0x0
	s_wait_alu 0xf1ff
	s_delay_alu instid0(VALU_DEP_1) | instskip(SKIP_2) | instid1(VALU_DEP_1)
	v_cndmask_b32_e64 v109, 0, v109, s0
	v_cmp_gt_i32_e64 s0, s31, v189
	s_wait_alu 0xf1ff
	v_cndmask_b32_e64 v110, 0, v110, s0
	v_cmp_gt_i32_e64 s0, s31, v191
	s_wait_alu 0xf1ff
	s_delay_alu instid0(VALU_DEP_1) | instskip(SKIP_2) | instid1(VALU_DEP_1)
	v_cndmask_b32_e64 v111, 0, v111, s0
	v_cmp_gt_i32_e64 s0, s31, v0
	s_wait_alu 0xf1ff
	v_cndmask_b32_e64 v112, 0, v112, s0
	s_or_b32 exec_lo, exec_lo, s23
	global_load_b128 v[113:116], v[73:74], off offset:13824
	s_and_saveexec_b32 s23, vcc_lo
	s_cbranch_execz .LBB53_84
.LBB53_133:                             ;   in Loop: Header=BB53_38 Depth=1
	v_cmp_gt_i32_e64 s0, s31, v190
	s_wait_loadcnt 0x0
	s_wait_alu 0xf1ff
	s_delay_alu instid0(VALU_DEP_1) | instskip(SKIP_2) | instid1(VALU_DEP_1)
	v_cndmask_b32_e64 v113, 0, v113, s0
	v_cmp_gt_i32_e64 s0, s31, v189
	s_wait_alu 0xf1ff
	v_cndmask_b32_e64 v114, 0, v114, s0
	v_cmp_gt_i32_e64 s0, s31, v191
	s_wait_alu 0xf1ff
	s_delay_alu instid0(VALU_DEP_1) | instskip(SKIP_2) | instid1(VALU_DEP_1)
	v_cndmask_b32_e64 v115, 0, v115, s0
	v_cmp_gt_i32_e64 s0, s31, v0
	s_wait_alu 0xf1ff
	v_cndmask_b32_e64 v116, 0, v116, s0
	s_or_b32 exec_lo, exec_lo, s23
	global_load_b128 v[117:120], v[73:74], off offset:14336
	s_and_saveexec_b32 s23, vcc_lo
	s_cbranch_execz .LBB53_85
.LBB53_134:                             ;   in Loop: Header=BB53_38 Depth=1
	v_cmp_gt_i32_e64 s0, s31, v190
	s_wait_loadcnt 0x0
	s_wait_alu 0xf1ff
	s_delay_alu instid0(VALU_DEP_1) | instskip(SKIP_2) | instid1(VALU_DEP_1)
	v_cndmask_b32_e64 v117, 0, v117, s0
	v_cmp_gt_i32_e64 s0, s31, v189
	s_wait_alu 0xf1ff
	v_cndmask_b32_e64 v118, 0, v118, s0
	v_cmp_gt_i32_e64 s0, s31, v191
	s_wait_alu 0xf1ff
	s_delay_alu instid0(VALU_DEP_1) | instskip(SKIP_2) | instid1(VALU_DEP_1)
	v_cndmask_b32_e64 v119, 0, v119, s0
	v_cmp_gt_i32_e64 s0, s31, v0
	s_wait_alu 0xf1ff
	v_cndmask_b32_e64 v120, 0, v120, s0
	s_or_b32 exec_lo, exec_lo, s23
	global_load_b128 v[121:124], v[73:74], off offset:14848
	s_and_saveexec_b32 s23, vcc_lo
	s_cbranch_execz .LBB53_86
.LBB53_135:                             ;   in Loop: Header=BB53_38 Depth=1
	v_cmp_gt_i32_e64 s0, s31, v190
	s_wait_loadcnt 0x0
	s_wait_alu 0xf1ff
	s_delay_alu instid0(VALU_DEP_1) | instskip(SKIP_2) | instid1(VALU_DEP_1)
	v_cndmask_b32_e64 v121, 0, v121, s0
	v_cmp_gt_i32_e64 s0, s31, v189
	s_wait_alu 0xf1ff
	v_cndmask_b32_e64 v122, 0, v122, s0
	v_cmp_gt_i32_e64 s0, s31, v191
	s_wait_alu 0xf1ff
	s_delay_alu instid0(VALU_DEP_1) | instskip(SKIP_2) | instid1(VALU_DEP_1)
	v_cndmask_b32_e64 v123, 0, v123, s0
	v_cmp_gt_i32_e64 s0, s31, v0
	s_wait_alu 0xf1ff
	v_cndmask_b32_e64 v124, 0, v124, s0
	s_or_b32 exec_lo, exec_lo, s23
	global_load_b128 v[125:128], v[73:74], off offset:15360
	s_and_saveexec_b32 s23, vcc_lo
	s_cbranch_execnz .LBB53_87
	s_branch .LBB53_88
.LBB53_136:                             ;   in Loop: Header=BB53_38 Depth=1
	v_cmp_gt_i32_e64 s0, s31, v190
	s_wait_loadcnt 0x0
	s_wait_alu 0xf1ff
	s_delay_alu instid0(VALU_DEP_1) | instskip(SKIP_2) | instid1(VALU_DEP_1)
	v_cndmask_b32_e64 v129, 0, v129, s0
	v_cmp_gt_i32_e64 s0, s31, v189
	s_wait_alu 0xf1ff
	v_cndmask_b32_e64 v130, 0, v130, s0
	v_cmp_gt_i32_e64 s0, s31, v191
	s_wait_alu 0xf1ff
	s_delay_alu instid0(VALU_DEP_1) | instskip(SKIP_2) | instid1(VALU_DEP_1)
	v_cndmask_b32_e64 v131, 0, v131, s0
	v_cmp_gt_i32_e64 s0, s31, v0
	s_wait_alu 0xf1ff
	v_cndmask_b32_e64 v132, 0, v132, s0
	s_or_b32 exec_lo, exec_lo, s23
	global_load_b128 v[133:136], v[73:74], off offset:16384
	s_and_saveexec_b32 s23, vcc_lo
	s_cbranch_execz .LBB53_90
.LBB53_137:                             ;   in Loop: Header=BB53_38 Depth=1
	v_cmp_gt_i32_e64 s0, s31, v190
	s_wait_loadcnt 0x0
	s_wait_alu 0xf1ff
	s_delay_alu instid0(VALU_DEP_1) | instskip(SKIP_2) | instid1(VALU_DEP_1)
	v_cndmask_b32_e64 v133, 0, v133, s0
	v_cmp_gt_i32_e64 s0, s31, v189
	s_wait_alu 0xf1ff
	v_cndmask_b32_e64 v134, 0, v134, s0
	v_cmp_gt_i32_e64 s0, s31, v191
	s_wait_alu 0xf1ff
	s_delay_alu instid0(VALU_DEP_1) | instskip(SKIP_2) | instid1(VALU_DEP_1)
	v_cndmask_b32_e64 v135, 0, v135, s0
	v_cmp_gt_i32_e64 s0, s31, v0
	s_wait_alu 0xf1ff
	v_cndmask_b32_e64 v136, 0, v136, s0
	s_or_b32 exec_lo, exec_lo, s23
	global_load_b128 v[137:140], v[73:74], off offset:16896
	s_and_saveexec_b32 s23, vcc_lo
	s_cbranch_execz .LBB53_91
.LBB53_138:                             ;   in Loop: Header=BB53_38 Depth=1
	v_cmp_gt_i32_e64 s0, s31, v190
	s_wait_loadcnt 0x0
	s_wait_alu 0xf1ff
	s_delay_alu instid0(VALU_DEP_1) | instskip(SKIP_2) | instid1(VALU_DEP_1)
	v_cndmask_b32_e64 v137, 0, v137, s0
	v_cmp_gt_i32_e64 s0, s31, v189
	s_wait_alu 0xf1ff
	v_cndmask_b32_e64 v138, 0, v138, s0
	v_cmp_gt_i32_e64 s0, s31, v191
	s_wait_alu 0xf1ff
	s_delay_alu instid0(VALU_DEP_1) | instskip(SKIP_2) | instid1(VALU_DEP_1)
	v_cndmask_b32_e64 v139, 0, v139, s0
	v_cmp_gt_i32_e64 s0, s31, v0
	s_wait_alu 0xf1ff
	v_cndmask_b32_e64 v140, 0, v140, s0
	s_or_b32 exec_lo, exec_lo, s23
	global_load_b128 v[141:144], v[73:74], off offset:17408
	s_and_saveexec_b32 s23, vcc_lo
	s_cbranch_execz .LBB53_92
.LBB53_139:                             ;   in Loop: Header=BB53_38 Depth=1
	v_cmp_gt_i32_e64 s0, s31, v190
	s_wait_loadcnt 0x0
	s_wait_alu 0xf1ff
	s_delay_alu instid0(VALU_DEP_1) | instskip(SKIP_2) | instid1(VALU_DEP_1)
	v_cndmask_b32_e64 v141, 0, v141, s0
	v_cmp_gt_i32_e64 s0, s31, v189
	s_wait_alu 0xf1ff
	v_cndmask_b32_e64 v142, 0, v142, s0
	v_cmp_gt_i32_e64 s0, s31, v191
	s_wait_alu 0xf1ff
	s_delay_alu instid0(VALU_DEP_1) | instskip(SKIP_2) | instid1(VALU_DEP_1)
	v_cndmask_b32_e64 v143, 0, v143, s0
	v_cmp_gt_i32_e64 s0, s31, v0
	s_wait_alu 0xf1ff
	v_cndmask_b32_e64 v144, 0, v144, s0
	s_or_b32 exec_lo, exec_lo, s23
	global_load_b128 v[145:148], v[73:74], off offset:17920
	s_and_saveexec_b32 s23, vcc_lo
	s_cbranch_execz .LBB53_93
.LBB53_140:                             ;   in Loop: Header=BB53_38 Depth=1
	v_cmp_gt_i32_e64 s0, s31, v190
	s_wait_loadcnt 0x0
	s_wait_alu 0xf1ff
	s_delay_alu instid0(VALU_DEP_1) | instskip(SKIP_2) | instid1(VALU_DEP_1)
	v_cndmask_b32_e64 v145, 0, v145, s0
	v_cmp_gt_i32_e64 s0, s31, v189
	s_wait_alu 0xf1ff
	v_cndmask_b32_e64 v146, 0, v146, s0
	v_cmp_gt_i32_e64 s0, s31, v191
	s_wait_alu 0xf1ff
	s_delay_alu instid0(VALU_DEP_1) | instskip(SKIP_2) | instid1(VALU_DEP_1)
	v_cndmask_b32_e64 v147, 0, v147, s0
	v_cmp_gt_i32_e64 s0, s31, v0
	s_wait_alu 0xf1ff
	v_cndmask_b32_e64 v148, 0, v148, s0
	s_or_b32 exec_lo, exec_lo, s23
	global_load_b128 v[149:152], v[73:74], off offset:18432
	s_and_saveexec_b32 s23, vcc_lo
	s_cbranch_execz .LBB53_94
.LBB53_141:                             ;   in Loop: Header=BB53_38 Depth=1
	v_cmp_gt_i32_e64 s0, s31, v190
	s_wait_loadcnt 0x0
	s_wait_alu 0xf1ff
	s_delay_alu instid0(VALU_DEP_1) | instskip(SKIP_2) | instid1(VALU_DEP_1)
	v_cndmask_b32_e64 v149, 0, v149, s0
	v_cmp_gt_i32_e64 s0, s31, v189
	s_wait_alu 0xf1ff
	v_cndmask_b32_e64 v150, 0, v150, s0
	v_cmp_gt_i32_e64 s0, s31, v191
	s_wait_alu 0xf1ff
	s_delay_alu instid0(VALU_DEP_1) | instskip(SKIP_2) | instid1(VALU_DEP_1)
	v_cndmask_b32_e64 v151, 0, v151, s0
	v_cmp_gt_i32_e64 s0, s31, v0
	s_wait_alu 0xf1ff
	v_cndmask_b32_e64 v152, 0, v152, s0
	s_or_b32 exec_lo, exec_lo, s23
	global_load_b128 v[153:156], v[73:74], off offset:18944
	s_and_saveexec_b32 s23, vcc_lo
	s_cbranch_execz .LBB53_95
.LBB53_142:                             ;   in Loop: Header=BB53_38 Depth=1
	v_cmp_gt_i32_e64 s0, s31, v190
	s_wait_loadcnt 0x0
	s_wait_alu 0xf1ff
	s_delay_alu instid0(VALU_DEP_1) | instskip(SKIP_2) | instid1(VALU_DEP_1)
	v_cndmask_b32_e64 v153, 0, v153, s0
	v_cmp_gt_i32_e64 s0, s31, v189
	s_wait_alu 0xf1ff
	v_cndmask_b32_e64 v154, 0, v154, s0
	v_cmp_gt_i32_e64 s0, s31, v191
	s_wait_alu 0xf1ff
	s_delay_alu instid0(VALU_DEP_1) | instskip(SKIP_2) | instid1(VALU_DEP_1)
	v_cndmask_b32_e64 v155, 0, v155, s0
	v_cmp_gt_i32_e64 s0, s31, v0
	s_wait_alu 0xf1ff
	v_cndmask_b32_e64 v156, 0, v156, s0
	s_or_b32 exec_lo, exec_lo, s23
	global_load_b128 v[157:160], v[73:74], off offset:19456
	s_and_saveexec_b32 s23, vcc_lo
	s_cbranch_execz .LBB53_96
.LBB53_143:                             ;   in Loop: Header=BB53_38 Depth=1
	v_cmp_gt_i32_e64 s0, s31, v190
	s_wait_loadcnt 0x0
	s_wait_alu 0xf1ff
	s_delay_alu instid0(VALU_DEP_1) | instskip(SKIP_2) | instid1(VALU_DEP_1)
	v_cndmask_b32_e64 v157, 0, v157, s0
	v_cmp_gt_i32_e64 s0, s31, v189
	s_wait_alu 0xf1ff
	v_cndmask_b32_e64 v158, 0, v158, s0
	v_cmp_gt_i32_e64 s0, s31, v191
	s_wait_alu 0xf1ff
	s_delay_alu instid0(VALU_DEP_1) | instskip(SKIP_2) | instid1(VALU_DEP_1)
	v_cndmask_b32_e64 v159, 0, v159, s0
	v_cmp_gt_i32_e64 s0, s31, v0
	s_wait_alu 0xf1ff
	v_cndmask_b32_e64 v160, 0, v160, s0
	s_or_b32 exec_lo, exec_lo, s23
	global_load_b128 v[161:164], v[73:74], off offset:19968
	s_and_saveexec_b32 s23, vcc_lo
	s_cbranch_execz .LBB53_97
.LBB53_144:                             ;   in Loop: Header=BB53_38 Depth=1
	v_cmp_gt_i32_e64 s0, s31, v190
	s_wait_loadcnt 0x0
	s_wait_alu 0xf1ff
	s_delay_alu instid0(VALU_DEP_1) | instskip(SKIP_2) | instid1(VALU_DEP_1)
	v_cndmask_b32_e64 v161, 0, v161, s0
	v_cmp_gt_i32_e64 s0, s31, v189
	s_wait_alu 0xf1ff
	v_cndmask_b32_e64 v162, 0, v162, s0
	v_cmp_gt_i32_e64 s0, s31, v191
	s_wait_alu 0xf1ff
	s_delay_alu instid0(VALU_DEP_1) | instskip(SKIP_2) | instid1(VALU_DEP_1)
	v_cndmask_b32_e64 v163, 0, v163, s0
	v_cmp_gt_i32_e64 s0, s31, v0
	s_wait_alu 0xf1ff
	v_cndmask_b32_e64 v164, 0, v164, s0
	s_or_b32 exec_lo, exec_lo, s23
	global_load_b128 v[165:168], v[73:74], off offset:20480
	s_and_saveexec_b32 s23, vcc_lo
	s_cbranch_execz .LBB53_98
.LBB53_145:                             ;   in Loop: Header=BB53_38 Depth=1
	v_cmp_gt_i32_e64 s0, s31, v190
	s_wait_loadcnt 0x0
	s_wait_alu 0xf1ff
	s_delay_alu instid0(VALU_DEP_1) | instskip(SKIP_2) | instid1(VALU_DEP_1)
	v_cndmask_b32_e64 v165, 0, v165, s0
	v_cmp_gt_i32_e64 s0, s31, v189
	s_wait_alu 0xf1ff
	v_cndmask_b32_e64 v166, 0, v166, s0
	v_cmp_gt_i32_e64 s0, s31, v191
	s_wait_alu 0xf1ff
	s_delay_alu instid0(VALU_DEP_1) | instskip(SKIP_2) | instid1(VALU_DEP_1)
	v_cndmask_b32_e64 v167, 0, v167, s0
	v_cmp_gt_i32_e64 s0, s31, v0
	s_wait_alu 0xf1ff
	v_cndmask_b32_e64 v168, 0, v168, s0
	s_or_b32 exec_lo, exec_lo, s23
	global_load_b128 v[169:172], v[73:74], off offset:20992
	s_and_saveexec_b32 s23, vcc_lo
	s_cbranch_execz .LBB53_99
.LBB53_146:                             ;   in Loop: Header=BB53_38 Depth=1
	v_cmp_gt_i32_e64 s0, s31, v190
	s_wait_loadcnt 0x0
	s_wait_alu 0xf1ff
	s_delay_alu instid0(VALU_DEP_1) | instskip(SKIP_2) | instid1(VALU_DEP_1)
	v_cndmask_b32_e64 v169, 0, v169, s0
	v_cmp_gt_i32_e64 s0, s31, v189
	s_wait_alu 0xf1ff
	v_cndmask_b32_e64 v170, 0, v170, s0
	v_cmp_gt_i32_e64 s0, s31, v191
	s_wait_alu 0xf1ff
	s_delay_alu instid0(VALU_DEP_1) | instskip(SKIP_2) | instid1(VALU_DEP_1)
	v_cndmask_b32_e64 v171, 0, v171, s0
	v_cmp_gt_i32_e64 s0, s31, v0
	s_wait_alu 0xf1ff
	v_cndmask_b32_e64 v172, 0, v172, s0
	s_or_b32 exec_lo, exec_lo, s23
	global_load_b128 v[173:176], v[73:74], off offset:21504
	s_and_saveexec_b32 s23, vcc_lo
	s_cbranch_execz .LBB53_100
.LBB53_147:                             ;   in Loop: Header=BB53_38 Depth=1
	v_cmp_gt_i32_e64 s0, s31, v190
	s_wait_loadcnt 0x0
	s_wait_alu 0xf1ff
	s_delay_alu instid0(VALU_DEP_1) | instskip(SKIP_2) | instid1(VALU_DEP_1)
	v_cndmask_b32_e64 v173, 0, v173, s0
	v_cmp_gt_i32_e64 s0, s31, v189
	s_wait_alu 0xf1ff
	v_cndmask_b32_e64 v174, 0, v174, s0
	v_cmp_gt_i32_e64 s0, s31, v191
	s_wait_alu 0xf1ff
	s_delay_alu instid0(VALU_DEP_1) | instskip(SKIP_2) | instid1(VALU_DEP_1)
	v_cndmask_b32_e64 v175, 0, v175, s0
	v_cmp_gt_i32_e64 s0, s31, v0
	s_wait_alu 0xf1ff
	v_cndmask_b32_e64 v176, 0, v176, s0
	s_or_b32 exec_lo, exec_lo, s23
	global_load_b128 v[177:180], v[73:74], off offset:22016
	s_and_saveexec_b32 s23, vcc_lo
	s_cbranch_execz .LBB53_101
.LBB53_148:                             ;   in Loop: Header=BB53_38 Depth=1
	v_cmp_gt_i32_e64 s0, s31, v190
	s_wait_loadcnt 0x0
	s_wait_alu 0xf1ff
	s_delay_alu instid0(VALU_DEP_1) | instskip(SKIP_2) | instid1(VALU_DEP_1)
	v_cndmask_b32_e64 v177, 0, v177, s0
	v_cmp_gt_i32_e64 s0, s31, v189
	s_wait_alu 0xf1ff
	v_cndmask_b32_e64 v178, 0, v178, s0
	v_cmp_gt_i32_e64 s0, s31, v191
	s_wait_alu 0xf1ff
	s_delay_alu instid0(VALU_DEP_1) | instskip(SKIP_2) | instid1(VALU_DEP_1)
	v_cndmask_b32_e64 v179, 0, v179, s0
	v_cmp_gt_i32_e64 s0, s31, v0
	s_wait_alu 0xf1ff
	v_cndmask_b32_e64 v180, 0, v180, s0
	s_or_b32 exec_lo, exec_lo, s23
	global_load_b128 v[181:184], v[73:74], off offset:22528
	s_and_saveexec_b32 s23, vcc_lo
	s_cbranch_execz .LBB53_102
.LBB53_149:                             ;   in Loop: Header=BB53_38 Depth=1
	v_cmp_gt_i32_e64 s0, s31, v190
	s_wait_loadcnt 0x0
	s_wait_alu 0xf1ff
	s_delay_alu instid0(VALU_DEP_1) | instskip(SKIP_2) | instid1(VALU_DEP_1)
	v_cndmask_b32_e64 v181, 0, v181, s0
	v_cmp_gt_i32_e64 s0, s31, v189
	s_wait_alu 0xf1ff
	v_cndmask_b32_e64 v182, 0, v182, s0
	v_cmp_gt_i32_e64 s0, s31, v191
	s_wait_alu 0xf1ff
	s_delay_alu instid0(VALU_DEP_1) | instskip(SKIP_2) | instid1(VALU_DEP_1)
	v_cndmask_b32_e64 v183, 0, v183, s0
	v_cmp_gt_i32_e64 s0, s31, v0
	s_wait_alu 0xf1ff
	v_cndmask_b32_e64 v184, 0, v184, s0
	s_or_b32 exec_lo, exec_lo, s23
	global_load_b128 v[5:8], v[73:74], off offset:23040
	s_and_saveexec_b32 s23, vcc_lo
	s_cbranch_execz .LBB53_103
.LBB53_150:                             ;   in Loop: Header=BB53_38 Depth=1
	v_cmp_gt_i32_e64 s0, s31, v190
	s_wait_loadcnt 0x0
	s_wait_alu 0xf1ff
	s_delay_alu instid0(VALU_DEP_1) | instskip(SKIP_2) | instid1(VALU_DEP_1)
	v_cndmask_b32_e64 v5, 0, v5, s0
	v_cmp_gt_i32_e64 s0, s31, v189
	s_wait_alu 0xf1ff
	v_cndmask_b32_e64 v6, 0, v6, s0
	v_cmp_gt_i32_e64 s0, s31, v191
	s_wait_alu 0xf1ff
	s_delay_alu instid0(VALU_DEP_1) | instskip(SKIP_2) | instid1(VALU_DEP_1)
	v_cndmask_b32_e64 v7, 0, v7, s0
	v_cmp_gt_i32_e64 s0, s31, v0
	s_wait_alu 0xf1ff
	v_cndmask_b32_e64 v8, 0, v8, s0
	s_or_b32 exec_lo, exec_lo, s23
	global_load_b128 v[9:12], v[73:74], off offset:23552
	s_and_saveexec_b32 s23, vcc_lo
	s_cbranch_execz .LBB53_104
.LBB53_151:                             ;   in Loop: Header=BB53_38 Depth=1
	v_cmp_gt_i32_e64 s0, s31, v190
	s_wait_loadcnt 0x0
	s_wait_alu 0xf1ff
	s_delay_alu instid0(VALU_DEP_1) | instskip(SKIP_2) | instid1(VALU_DEP_1)
	v_cndmask_b32_e64 v9, 0, v9, s0
	v_cmp_gt_i32_e64 s0, s31, v189
	s_wait_alu 0xf1ff
	v_cndmask_b32_e64 v10, 0, v10, s0
	v_cmp_gt_i32_e64 s0, s31, v191
	s_wait_alu 0xf1ff
	s_delay_alu instid0(VALU_DEP_1) | instskip(SKIP_2) | instid1(VALU_DEP_1)
	v_cndmask_b32_e64 v11, 0, v11, s0
	v_cmp_gt_i32_e64 s0, s31, v0
	s_wait_alu 0xf1ff
	v_cndmask_b32_e64 v12, 0, v12, s0
	s_or_b32 exec_lo, exec_lo, s23
	global_load_b128 v[13:16], v[73:74], off offset:24064
	s_and_saveexec_b32 s23, vcc_lo
	s_cbranch_execz .LBB53_105
.LBB53_152:                             ;   in Loop: Header=BB53_38 Depth=1
	v_cmp_gt_i32_e64 s0, s31, v190
	s_wait_loadcnt 0x0
	s_wait_alu 0xf1ff
	s_delay_alu instid0(VALU_DEP_1) | instskip(SKIP_2) | instid1(VALU_DEP_1)
	v_cndmask_b32_e64 v13, 0, v13, s0
	v_cmp_gt_i32_e64 s0, s31, v189
	s_wait_alu 0xf1ff
	v_cndmask_b32_e64 v14, 0, v14, s0
	v_cmp_gt_i32_e64 s0, s31, v191
	s_wait_alu 0xf1ff
	s_delay_alu instid0(VALU_DEP_1) | instskip(SKIP_2) | instid1(VALU_DEP_1)
	v_cndmask_b32_e64 v15, 0, v15, s0
	v_cmp_gt_i32_e64 s0, s31, v0
	s_wait_alu 0xf1ff
	v_cndmask_b32_e64 v16, 0, v16, s0
	s_or_b32 exec_lo, exec_lo, s23
	global_load_b128 v[17:20], v[73:74], off offset:24576
	s_and_saveexec_b32 s23, vcc_lo
	s_cbranch_execz .LBB53_106
.LBB53_153:                             ;   in Loop: Header=BB53_38 Depth=1
	v_cmp_gt_i32_e64 s0, s31, v190
	s_wait_loadcnt 0x0
	s_wait_alu 0xf1ff
	s_delay_alu instid0(VALU_DEP_1) | instskip(SKIP_2) | instid1(VALU_DEP_1)
	v_cndmask_b32_e64 v17, 0, v17, s0
	v_cmp_gt_i32_e64 s0, s31, v189
	s_wait_alu 0xf1ff
	v_cndmask_b32_e64 v18, 0, v18, s0
	v_cmp_gt_i32_e64 s0, s31, v191
	s_wait_alu 0xf1ff
	s_delay_alu instid0(VALU_DEP_1) | instskip(SKIP_2) | instid1(VALU_DEP_1)
	v_cndmask_b32_e64 v19, 0, v19, s0
	v_cmp_gt_i32_e64 s0, s31, v0
	s_wait_alu 0xf1ff
	v_cndmask_b32_e64 v20, 0, v20, s0
	s_or_b32 exec_lo, exec_lo, s23
	global_load_b128 v[21:24], v[73:74], off offset:25088
	s_and_saveexec_b32 s23, vcc_lo
	s_cbranch_execz .LBB53_107
.LBB53_154:                             ;   in Loop: Header=BB53_38 Depth=1
	v_cmp_gt_i32_e64 s0, s31, v190
	s_wait_loadcnt 0x0
	s_wait_alu 0xf1ff
	s_delay_alu instid0(VALU_DEP_1) | instskip(SKIP_2) | instid1(VALU_DEP_1)
	v_cndmask_b32_e64 v21, 0, v21, s0
	v_cmp_gt_i32_e64 s0, s31, v189
	s_wait_alu 0xf1ff
	v_cndmask_b32_e64 v22, 0, v22, s0
	v_cmp_gt_i32_e64 s0, s31, v191
	s_wait_alu 0xf1ff
	s_delay_alu instid0(VALU_DEP_1) | instskip(SKIP_2) | instid1(VALU_DEP_1)
	v_cndmask_b32_e64 v23, 0, v23, s0
	v_cmp_gt_i32_e64 s0, s31, v0
	s_wait_alu 0xf1ff
	v_cndmask_b32_e64 v24, 0, v24, s0
	s_or_b32 exec_lo, exec_lo, s23
	global_load_b128 v[25:28], v[73:74], off offset:25600
	s_and_saveexec_b32 s23, vcc_lo
	s_cbranch_execz .LBB53_108
.LBB53_155:                             ;   in Loop: Header=BB53_38 Depth=1
	v_cmp_gt_i32_e64 s0, s31, v190
	s_wait_loadcnt 0x0
	s_wait_alu 0xf1ff
	s_delay_alu instid0(VALU_DEP_1) | instskip(SKIP_2) | instid1(VALU_DEP_1)
	v_cndmask_b32_e64 v25, 0, v25, s0
	v_cmp_gt_i32_e64 s0, s31, v189
	s_wait_alu 0xf1ff
	v_cndmask_b32_e64 v26, 0, v26, s0
	v_cmp_gt_i32_e64 s0, s31, v191
	s_wait_alu 0xf1ff
	s_delay_alu instid0(VALU_DEP_1) | instskip(SKIP_2) | instid1(VALU_DEP_1)
	v_cndmask_b32_e64 v27, 0, v27, s0
	v_cmp_gt_i32_e64 s0, s31, v0
	s_wait_alu 0xf1ff
	v_cndmask_b32_e64 v28, 0, v28, s0
	s_or_b32 exec_lo, exec_lo, s23
	global_load_b128 v[29:32], v[73:74], off offset:26112
	s_and_saveexec_b32 s23, vcc_lo
	s_cbranch_execz .LBB53_109
.LBB53_156:                             ;   in Loop: Header=BB53_38 Depth=1
	v_cmp_gt_i32_e64 s0, s31, v190
	s_wait_loadcnt 0x0
	s_wait_alu 0xf1ff
	s_delay_alu instid0(VALU_DEP_1) | instskip(SKIP_2) | instid1(VALU_DEP_1)
	v_cndmask_b32_e64 v29, 0, v29, s0
	v_cmp_gt_i32_e64 s0, s31, v189
	s_wait_alu 0xf1ff
	v_cndmask_b32_e64 v30, 0, v30, s0
	v_cmp_gt_i32_e64 s0, s31, v191
	s_wait_alu 0xf1ff
	s_delay_alu instid0(VALU_DEP_1) | instskip(SKIP_2) | instid1(VALU_DEP_1)
	v_cndmask_b32_e64 v31, 0, v31, s0
	v_cmp_gt_i32_e64 s0, s31, v0
	s_wait_alu 0xf1ff
	v_cndmask_b32_e64 v32, 0, v32, s0
	s_or_b32 exec_lo, exec_lo, s23
	global_load_b128 v[33:36], v[73:74], off offset:26624
	s_and_saveexec_b32 s23, vcc_lo
	s_cbranch_execz .LBB53_110
.LBB53_157:                             ;   in Loop: Header=BB53_38 Depth=1
	v_cmp_gt_i32_e64 s0, s31, v190
	s_wait_loadcnt 0x0
	s_wait_alu 0xf1ff
	s_delay_alu instid0(VALU_DEP_1) | instskip(SKIP_2) | instid1(VALU_DEP_1)
	v_cndmask_b32_e64 v33, 0, v33, s0
	v_cmp_gt_i32_e64 s0, s31, v189
	s_wait_alu 0xf1ff
	v_cndmask_b32_e64 v34, 0, v34, s0
	v_cmp_gt_i32_e64 s0, s31, v191
	s_wait_alu 0xf1ff
	s_delay_alu instid0(VALU_DEP_1) | instskip(SKIP_2) | instid1(VALU_DEP_1)
	v_cndmask_b32_e64 v35, 0, v35, s0
	v_cmp_gt_i32_e64 s0, s31, v0
	s_wait_alu 0xf1ff
	v_cndmask_b32_e64 v36, 0, v36, s0
	s_or_b32 exec_lo, exec_lo, s23
	global_load_b128 v[37:40], v[73:74], off offset:27136
	s_and_saveexec_b32 s23, vcc_lo
	s_cbranch_execz .LBB53_111
.LBB53_158:                             ;   in Loop: Header=BB53_38 Depth=1
	v_cmp_gt_i32_e64 s0, s31, v190
	s_wait_loadcnt 0x0
	s_wait_alu 0xf1ff
	s_delay_alu instid0(VALU_DEP_1) | instskip(SKIP_2) | instid1(VALU_DEP_1)
	v_cndmask_b32_e64 v37, 0, v37, s0
	v_cmp_gt_i32_e64 s0, s31, v189
	s_wait_alu 0xf1ff
	v_cndmask_b32_e64 v38, 0, v38, s0
	v_cmp_gt_i32_e64 s0, s31, v191
	s_wait_alu 0xf1ff
	s_delay_alu instid0(VALU_DEP_1) | instskip(SKIP_2) | instid1(VALU_DEP_1)
	v_cndmask_b32_e64 v39, 0, v39, s0
	v_cmp_gt_i32_e64 s0, s31, v0
	s_wait_alu 0xf1ff
	v_cndmask_b32_e64 v40, 0, v40, s0
	s_or_b32 exec_lo, exec_lo, s23
	global_load_b128 v[41:44], v[73:74], off offset:27648
	s_and_saveexec_b32 s23, vcc_lo
	s_cbranch_execz .LBB53_112
.LBB53_159:                             ;   in Loop: Header=BB53_38 Depth=1
	v_cmp_gt_i32_e64 s0, s31, v190
	s_wait_loadcnt 0x0
	s_wait_alu 0xf1ff
	s_delay_alu instid0(VALU_DEP_1) | instskip(SKIP_2) | instid1(VALU_DEP_1)
	v_cndmask_b32_e64 v41, 0, v41, s0
	v_cmp_gt_i32_e64 s0, s31, v189
	s_wait_alu 0xf1ff
	v_cndmask_b32_e64 v42, 0, v42, s0
	v_cmp_gt_i32_e64 s0, s31, v191
	s_wait_alu 0xf1ff
	s_delay_alu instid0(VALU_DEP_1) | instskip(SKIP_2) | instid1(VALU_DEP_1)
	v_cndmask_b32_e64 v43, 0, v43, s0
	v_cmp_gt_i32_e64 s0, s31, v0
	s_wait_alu 0xf1ff
	v_cndmask_b32_e64 v44, 0, v44, s0
	s_or_b32 exec_lo, exec_lo, s23
	global_load_b128 v[45:48], v[73:74], off offset:28160
	s_and_saveexec_b32 s23, vcc_lo
	s_cbranch_execz .LBB53_113
.LBB53_160:                             ;   in Loop: Header=BB53_38 Depth=1
	v_cmp_gt_i32_e64 s0, s31, v190
	s_wait_loadcnt 0x0
	s_wait_alu 0xf1ff
	s_delay_alu instid0(VALU_DEP_1) | instskip(SKIP_2) | instid1(VALU_DEP_1)
	v_cndmask_b32_e64 v45, 0, v45, s0
	v_cmp_gt_i32_e64 s0, s31, v189
	s_wait_alu 0xf1ff
	v_cndmask_b32_e64 v46, 0, v46, s0
	v_cmp_gt_i32_e64 s0, s31, v191
	s_wait_alu 0xf1ff
	s_delay_alu instid0(VALU_DEP_1) | instskip(SKIP_2) | instid1(VALU_DEP_1)
	v_cndmask_b32_e64 v47, 0, v47, s0
	v_cmp_gt_i32_e64 s0, s31, v0
	s_wait_alu 0xf1ff
	v_cndmask_b32_e64 v48, 0, v48, s0
	s_or_b32 exec_lo, exec_lo, s23
	global_load_b128 v[49:52], v[73:74], off offset:28672
	s_and_saveexec_b32 s23, vcc_lo
	s_cbranch_execz .LBB53_114
.LBB53_161:                             ;   in Loop: Header=BB53_38 Depth=1
	v_cmp_gt_i32_e64 s0, s31, v190
	s_wait_loadcnt 0x0
	s_wait_alu 0xf1ff
	s_delay_alu instid0(VALU_DEP_1) | instskip(SKIP_2) | instid1(VALU_DEP_1)
	v_cndmask_b32_e64 v49, 0, v49, s0
	v_cmp_gt_i32_e64 s0, s31, v189
	s_wait_alu 0xf1ff
	v_cndmask_b32_e64 v50, 0, v50, s0
	v_cmp_gt_i32_e64 s0, s31, v191
	s_wait_alu 0xf1ff
	s_delay_alu instid0(VALU_DEP_1) | instskip(SKIP_2) | instid1(VALU_DEP_1)
	v_cndmask_b32_e64 v51, 0, v51, s0
	v_cmp_gt_i32_e64 s0, s31, v0
	s_wait_alu 0xf1ff
	v_cndmask_b32_e64 v52, 0, v52, s0
	s_or_b32 exec_lo, exec_lo, s23
	global_load_b128 v[53:56], v[73:74], off offset:29184
	s_and_saveexec_b32 s23, vcc_lo
	s_cbranch_execz .LBB53_115
.LBB53_162:                             ;   in Loop: Header=BB53_38 Depth=1
	v_cmp_gt_i32_e64 s0, s31, v190
	s_wait_loadcnt 0x0
	s_wait_alu 0xf1ff
	s_delay_alu instid0(VALU_DEP_1) | instskip(SKIP_2) | instid1(VALU_DEP_1)
	v_cndmask_b32_e64 v53, 0, v53, s0
	v_cmp_gt_i32_e64 s0, s31, v189
	s_wait_alu 0xf1ff
	v_cndmask_b32_e64 v54, 0, v54, s0
	v_cmp_gt_i32_e64 s0, s31, v191
	s_wait_alu 0xf1ff
	s_delay_alu instid0(VALU_DEP_1) | instskip(SKIP_2) | instid1(VALU_DEP_1)
	v_cndmask_b32_e64 v55, 0, v55, s0
	v_cmp_gt_i32_e64 s0, s31, v0
	s_wait_alu 0xf1ff
	v_cndmask_b32_e64 v56, 0, v56, s0
	s_or_b32 exec_lo, exec_lo, s23
	global_load_b128 v[57:60], v[73:74], off offset:29696
	s_and_saveexec_b32 s23, vcc_lo
	s_cbranch_execz .LBB53_116
.LBB53_163:                             ;   in Loop: Header=BB53_38 Depth=1
	v_cmp_gt_i32_e64 s0, s31, v190
	s_wait_loadcnt 0x0
	s_wait_alu 0xf1ff
	s_delay_alu instid0(VALU_DEP_1) | instskip(SKIP_2) | instid1(VALU_DEP_1)
	v_cndmask_b32_e64 v57, 0, v57, s0
	v_cmp_gt_i32_e64 s0, s31, v189
	s_wait_alu 0xf1ff
	v_cndmask_b32_e64 v58, 0, v58, s0
	v_cmp_gt_i32_e64 s0, s31, v191
	s_wait_alu 0xf1ff
	s_delay_alu instid0(VALU_DEP_1) | instskip(SKIP_2) | instid1(VALU_DEP_1)
	v_cndmask_b32_e64 v59, 0, v59, s0
	v_cmp_gt_i32_e64 s0, s31, v0
	s_wait_alu 0xf1ff
	v_cndmask_b32_e64 v60, 0, v60, s0
	s_or_b32 exec_lo, exec_lo, s23
	global_load_b128 v[61:64], v[73:74], off offset:30208
	s_and_saveexec_b32 s23, vcc_lo
	s_cbranch_execz .LBB53_117
.LBB53_164:                             ;   in Loop: Header=BB53_38 Depth=1
	v_cmp_gt_i32_e64 s0, s31, v190
	s_wait_loadcnt 0x0
	s_wait_alu 0xf1ff
	s_delay_alu instid0(VALU_DEP_1) | instskip(SKIP_2) | instid1(VALU_DEP_1)
	v_cndmask_b32_e64 v61, 0, v61, s0
	v_cmp_gt_i32_e64 s0, s31, v189
	s_wait_alu 0xf1ff
	v_cndmask_b32_e64 v62, 0, v62, s0
	v_cmp_gt_i32_e64 s0, s31, v191
	s_wait_alu 0xf1ff
	s_delay_alu instid0(VALU_DEP_1) | instskip(SKIP_2) | instid1(VALU_DEP_1)
	v_cndmask_b32_e64 v63, 0, v63, s0
	v_cmp_gt_i32_e64 s0, s31, v0
	s_wait_alu 0xf1ff
	v_cndmask_b32_e64 v64, 0, v64, s0
	s_or_b32 exec_lo, exec_lo, s23
	global_load_b128 v[65:68], v[73:74], off offset:30720
	s_and_saveexec_b32 s23, vcc_lo
	s_cbranch_execz .LBB53_118
.LBB53_165:                             ;   in Loop: Header=BB53_38 Depth=1
	v_cmp_gt_i32_e64 s0, s31, v190
	s_wait_loadcnt 0x0
	s_wait_alu 0xf1ff
	s_delay_alu instid0(VALU_DEP_1) | instskip(SKIP_2) | instid1(VALU_DEP_1)
	v_cndmask_b32_e64 v65, 0, v65, s0
	v_cmp_gt_i32_e64 s0, s31, v189
	s_wait_alu 0xf1ff
	v_cndmask_b32_e64 v66, 0, v66, s0
	v_cmp_gt_i32_e64 s0, s31, v191
	s_wait_alu 0xf1ff
	s_delay_alu instid0(VALU_DEP_1) | instskip(SKIP_2) | instid1(VALU_DEP_1)
	v_cndmask_b32_e64 v67, 0, v67, s0
	v_cmp_gt_i32_e64 s0, s31, v0
	s_wait_alu 0xf1ff
	v_cndmask_b32_e64 v68, 0, v68, s0
	s_or_b32 exec_lo, exec_lo, s23
	global_load_b128 v[69:72], v[73:74], off offset:31232
	s_and_saveexec_b32 s23, vcc_lo
	s_cbranch_execz .LBB53_119
.LBB53_166:                             ;   in Loop: Header=BB53_38 Depth=1
	v_cmp_gt_i32_e64 s0, s31, v190
	s_wait_loadcnt 0x0
	s_wait_alu 0xf1ff
	s_delay_alu instid0(VALU_DEP_1) | instskip(SKIP_2) | instid1(VALU_DEP_1)
	v_cndmask_b32_e64 v69, 0, v69, s0
	v_cmp_gt_i32_e64 s0, s31, v189
	s_wait_alu 0xf1ff
	v_cndmask_b32_e64 v70, 0, v70, s0
	v_cmp_gt_i32_e64 s0, s31, v191
	s_wait_alu 0xf1ff
	s_delay_alu instid0(VALU_DEP_1) | instskip(SKIP_2) | instid1(VALU_DEP_1)
	v_cndmask_b32_e64 v71, 0, v71, s0
	v_cmp_gt_i32_e64 s0, s31, v0
	s_wait_alu 0xf1ff
	v_cndmask_b32_e64 v72, 0, v72, s0
	s_or_b32 exec_lo, exec_lo, s23
	global_load_b128 v[73:76], v[73:74], off offset:31744
	s_and_saveexec_b32 s23, vcc_lo
	s_cbranch_execnz .LBB53_120
	s_branch .LBB53_121
.LBB53_167:
	s_or_b32 exec_lo, exec_lo, s15
.LBB53_168:
	s_wait_alu 0xfffe
	s_or_b32 exec_lo, exec_lo, s1
	s_clause 0x2
	scratch_load_b32 v72, off, off offset:648 th:TH_LOAD_LU
	scratch_load_b32 v82, off, off offset:636 th:TH_LOAD_LU
	;; [unrolled: 1-line block ×3, first 2 shown]
	s_mov_b32 s1, exec_lo
	s_wait_loadcnt 0x2
	ds_bpermute_b32 v0, v72, v20
	ds_bpermute_b32 v1, v72, v19
	;; [unrolled: 1-line block ×20, first 2 shown]
	s_wait_dscnt 0x12
	v_dual_add_f32 v0, v20, v0 :: v_dual_add_f32 v1, v19, v1
	s_wait_dscnt 0x10
	v_dual_add_f32 v2, v18, v2 :: v_dual_add_f32 v3, v17, v3
	s_wait_dscnt 0xe
	v_dual_add_f32 v4, v16, v4 :: v_dual_add_f32 v5, v29, v5
	s_wait_loadcnt 0x1
	ds_bpermute_b32 v16, v82, v0
	ds_bpermute_b32 v17, v82, v1
	;; [unrolled: 1-line block ×5, first 2 shown]
	s_wait_dscnt 0x11
	v_dual_add_f32 v6, v28, v6 :: v_dual_add_f32 v7, v27, v7
	s_wait_dscnt 0xb
	v_dual_add_f32 v8, v26, v8 :: v_dual_add_f32 v9, v25, v9
	v_dual_add_f32 v10, v24, v10 :: v_dual_add_f32 v11, v23, v11
	;; [unrolled: 1-line block ×3, first 2 shown]
	ds_bpermute_b32 v21, v82, v5
	ds_bpermute_b32 v22, v82, v6
	;; [unrolled: 1-line block ×7, first 2 shown]
	s_wait_dscnt 0xb
	v_add_f32_e32 v0, v0, v16
	s_wait_dscnt 0x9
	v_dual_add_f32 v16, v1, v17 :: v_dual_add_f32 v17, v2, v18
	s_wait_dscnt 0x7
	v_dual_add_f32 v18, v3, v19 :: v_dual_add_f32 v19, v4, v20
	s_wait_loadcnt 0x0
	ds_bpermute_b32 v1, v87, v0
	ds_bpermute_b32 v2, v87, v16
	;; [unrolled: 1-line block ×8, first 2 shown]
	s_wait_dscnt 0xe
	v_add_f32_e32 v21, v5, v21
	ds_bpermute_b32 v4, v87, v18
	s_wait_dscnt 0xd
	v_dual_add_f32 v22, v6, v22 :: v_dual_add_f32 v23, v7, v23
	s_wait_dscnt 0xc
	v_add_f32_e32 v24, v8, v24
	ds_bpermute_b32 v6, v87, v21
	s_wait_dscnt 0xc
	v_add_f32_e32 v26, v10, v26
	ds_bpermute_b32 v7, v87, v22
	ds_bpermute_b32 v8, v87, v23
	s_wait_dscnt 0xc
	v_add_f32_e32 v25, v9, v25
	ds_bpermute_b32 v10, v72, v35
	v_add_f32_e32 v15, v39, v15
	s_wait_dscnt 0xc
	v_dual_add_f32 v1, v0, v1 :: v_dual_add_f32 v0, v11, v27
	s_wait_dscnt 0xa
	v_dual_add_f32 v2, v16, v2 :: v_dual_add_f32 v3, v17, v3
	s_wait_dscnt 0x8
	v_add_f32_e32 v5, v19, v20
	v_add_f32_e32 v19, v13, v32
	ds_bpermute_b32 v17, v87, v0
	ds_bpermute_b32 v11, v87, v25
	s_wait_dscnt 0x7
	v_dual_add_f32 v20, v40, v14 :: v_dual_add_f32 v27, v38, v28
	s_wait_dscnt 0x6
	v_add_f32_e32 v4, v18, v4
	v_dual_add_f32 v18, v12, v31 :: v_dual_add_f32 v29, v37, v29
	ds_bpermute_b32 v16, v87, v26
	ds_bpermute_b32 v28, v82, v20
	s_wait_dscnt 0x6
	v_dual_add_f32 v6, v21, v6 :: v_dual_add_f32 v7, v22, v7
	ds_bpermute_b32 v13, v87, v18
	s_wait_dscnt 0x6
	v_add_f32_e32 v8, v23, v8
	ds_bpermute_b32 v22, v82, v29
	ds_bpermute_b32 v9, v87, v24
	;; [unrolled: 1-line block ×5, first 2 shown]
	v_add_f32_e32 v21, v36, v30
	s_wait_dscnt 0x9
	v_dual_add_f32 v23, v35, v10 :: v_dual_add_f32 v12, v0, v17
	ds_bpermute_b32 v0, v72, v34
	s_wait_dscnt 0x9
	v_add_f32_e32 v10, v25, v11
	ds_bpermute_b32 v30, v82, v21
	ds_bpermute_b32 v17, v72, v33
	;; [unrolled: 1-line block ×4, first 2 shown]
	s_wait_dscnt 0xc
	v_add_f32_e32 v11, v26, v16
	ds_bpermute_b32 v16, v82, v23
	ds_bpermute_b32 v59, v72, v68
	;; [unrolled: 1-line block ×3, first 2 shown]
	s_wait_dscnt 0xd
	v_dual_add_f32 v13, v18, v13 :: v_dual_add_f32 v18, v20, v28
	s_wait_dscnt 0xb
	v_dual_add_f32 v22, v29, v22 :: v_dual_add_f32 v9, v24, v9
	s_wait_dscnt 0xa
	v_add_f32_e32 v14, v19, v14
	s_wait_dscnt 0x9
	v_add_f32_e32 v19, v15, v31
	ds_bpermute_b32 v15, v72, v103
	ds_bpermute_b32 v24, v72, v102
	;; [unrolled: 1-line block ×4, first 2 shown]
	s_wait_dscnt 0xc
	v_add_f32_e32 v20, v27, v32
	s_wait_dscnt 0xb
	v_add_f32_e32 v0, v34, v0
	ds_bpermute_b32 v27, v87, v19
	s_wait_dscnt 0xb
	v_add_f32_e32 v21, v21, v30
	ds_bpermute_b32 v29, v72, v100
	ds_bpermute_b32 v28, v87, v20
	;; [unrolled: 1-line block ×4, first 2 shown]
	s_wait_dscnt 0xb
	v_add_f32_e32 v23, v23, v16
	ds_bpermute_b32 v32, v87, v21
	v_add_f32_e32 v33, v33, v17
	v_add_f32_e32 v25, v101, v25
	ds_bpermute_b32 v37, v82, v0
	s_wait_dscnt 0xc
	v_add_f32_e32 v59, v68, v59
	s_wait_dscnt 0x9
	v_dual_add_f32 v39, v103, v15 :: v_dual_add_f32 v24, v102, v24
	ds_bpermute_b32 v38, v82, v33
	s_wait_dscnt 0x9
	v_add_f32_e32 v15, v18, v26
	s_wait_dscnt 0x8
	v_add_f32_e32 v18, v22, v31
	ds_bpermute_b32 v35, v87, v23
	s_wait_dscnt 0x8
	v_add_f32_e32 v16, v19, v27
	ds_bpermute_b32 v27, v82, v24
	s_wait_dscnt 0x8
	v_add_f32_e32 v29, v100, v29
	s_wait_dscnt 0x6
	v_dual_add_f32 v17, v20, v28 :: v_dual_add_f32 v30, v99, v30
	s_wait_dscnt 0x5
	v_add_f32_e32 v28, v45, v34
	ds_bpermute_b32 v26, v82, v39
	ds_bpermute_b32 v40, v82, v25
	s_wait_dscnt 0x6
	v_add_f32_e32 v19, v21, v32
	ds_bpermute_b32 v21, v82, v29
	ds_bpermute_b32 v22, v82, v30
	;; [unrolled: 1-line block ×3, first 2 shown]
	s_wait_dscnt 0x7
	v_dual_add_f32 v0, v0, v37 :: v_dual_add_f32 v31, v33, v38
	ds_bpermute_b32 v33, v72, v98
	ds_bpermute_b32 v38, v72, v96
	s_wait_dscnt 0x8
	v_dual_add_f32 v20, v23, v35 :: v_dual_add_f32 v23, v41, v36
	s_wait_dscnt 0x7
	v_add_f32_e32 v24, v24, v27
	ds_bpermute_b32 v35, v72, v97
	ds_bpermute_b32 v36, v72, v49
	;; [unrolled: 1-line block ×4, first 2 shown]
	s_wait_dscnt 0x9
	v_dual_add_f32 v26, v39, v26 :: v_dual_add_f32 v25, v25, v40
	ds_bpermute_b32 v40, v87, v24
	s_wait_dscnt 0x8
	v_dual_add_f32 v29, v29, v21 :: v_dual_add_f32 v30, v30, v22
	s_wait_dscnt 0x7
	v_add_f32_e32 v28, v28, v32
	ds_bpermute_b32 v27, v87, v31
	ds_bpermute_b32 v39, v87, v26
	;; [unrolled: 1-line block ×4, first 2 shown]
	s_wait_dscnt 0xa
	v_add_f32_e32 v32, v98, v33
	s_wait_dscnt 0x9
	v_add_f32_e32 v38, v96, v38
	ds_bpermute_b32 v44, v87, v29
	s_wait_dscnt 0x7
	v_add_f32_e32 v21, v0, v37
	s_wait_dscnt 0x6
	v_add_f32_e32 v33, v23, v34
	ds_bpermute_b32 v46, v82, v32
	v_add_f32_e32 v34, v97, v35
	v_add_f32_e32 v35, v49, v36
	ds_bpermute_b32 v36, v87, v28
	ds_bpermute_b32 v47, v87, v33
	s_wait_dscnt 0x8
	v_add_f32_e32 v24, v24, v40
	ds_bpermute_b32 v48, v82, v34
	s_wait_dscnt 0x8
	v_add_f32_e32 v22, v31, v27
	v_add_f32_e32 v31, v95, v42
	ds_bpermute_b32 v49, v82, v35
	s_wait_dscnt 0x8
	v_add_f32_e32 v23, v26, v39
	ds_bpermute_b32 v0, v82, v38
	v_add_f32_e32 v37, v94, v43
	ds_bpermute_b32 v39, v72, v93
	s_wait_dscnt 0x7
	v_add_f32_e32 v26, v29, v44
	ds_bpermute_b32 v40, v82, v31
	v_add_f32_e32 v27, v30, v45
	ds_bpermute_b32 v30, v72, v92
	ds_bpermute_b32 v43, v72, v90
	s_wait_dscnt 0x9
	v_dual_add_f32 v25, v25, v41 :: v_dual_add_f32 v32, v32, v46
	ds_bpermute_b32 v41, v82, v37
	ds_bpermute_b32 v42, v72, v53
	s_wait_dscnt 0x9
	v_dual_add_f32 v28, v28, v36 :: v_dual_add_f32 v29, v33, v47
	ds_bpermute_b32 v36, v72, v91
	s_wait_dscnt 0x9
	v_add_f32_e32 v33, v34, v48
	ds_bpermute_b32 v46, v72, v89
	ds_bpermute_b32 v47, v72, v86
	s_wait_dscnt 0xa
	v_add_f32_e32 v34, v35, v49
	ds_bpermute_b32 v35, v87, v32
	s_wait_dscnt 0xa
	v_add_f32_e32 v0, v38, v0
	s_wait_dscnt 0x9
	v_add_f32_e32 v38, v93, v39
	ds_bpermute_b32 v39, v72, v88
	s_wait_dscnt 0x9
	v_add_f32_e32 v40, v31, v40
	ds_bpermute_b32 v45, v87, v34
	;; [unrolled: 3-line block ×5, first 2 shown]
	ds_bpermute_b32 v49, v87, v0
	ds_bpermute_b32 v55, v82, v43
	s_wait_dscnt 0xa
	v_add_f32_e32 v36, v91, v36
	v_add_f32_e32 v42, v53, v42
	ds_bpermute_b32 v51, v87, v37
	ds_bpermute_b32 v52, v82, v48
	s_wait_dscnt 0xa
	v_add_f32_e32 v47, v86, v47
	s_wait_dscnt 0x9
	v_add_f32_e32 v30, v32, v35
	;; [unrolled: 2-line block ×3, first 2 shown]
	ds_bpermute_b32 v53, v82, v42
	s_wait_dscnt 0x8
	v_add_f32_e32 v32, v34, v45
	ds_bpermute_b32 v45, v82, v47
	s_wait_dscnt 0x8
	v_add_f32_e32 v31, v33, v44
	v_add_f32_e32 v44, v89, v46
	ds_bpermute_b32 v46, v82, v36
	s_wait_dscnt 0x8
	v_add_f32_e32 v34, v40, v50
	s_wait_dscnt 0x7
	v_add_f32_e32 v38, v38, v41
	ds_bpermute_b32 v41, v82, v39
	s_wait_dscnt 0x7
	v_add_f32_e32 v33, v0, v49
	ds_bpermute_b32 v56, v82, v44
	s_wait_dscnt 0x7
	v_add_f32_e32 v43, v43, v55
	ds_bpermute_b32 v55, v72, v69
	s_wait_dscnt 0x7
	v_add_f32_e32 v35, v37, v51
	s_wait_dscnt 0x6
	v_dual_add_f32 v37, v48, v52 :: v_dual_add_f32 v40, v57, v54
	ds_bpermute_b32 v48, v72, v85
	ds_bpermute_b32 v49, v72, v84
	;; [unrolled: 1-line block ×6, first 2 shown]
	s_wait_dscnt 0xa
	v_add_f32_e32 v45, v47, v45
	ds_bpermute_b32 v51, v82, v40
	v_add_f32_e32 v42, v42, v53
	s_wait_dscnt 0xa
	v_add_f32_e32 v46, v36, v46
	ds_bpermute_b32 v58, v87, v45
	s_wait_dscnt 0x8
	v_dual_add_f32 v55, v69, v55 :: v_dual_add_f32 v44, v44, v56
	v_add_f32_e32 v56, v39, v41
	ds_bpermute_b32 v39, v87, v46
	s_wait_dscnt 0x7
	v_dual_add_f32 v48, v85, v48 :: v_dual_add_f32 v49, v84, v49
	s_wait_dscnt 0x6
	v_add_f32_e32 v50, v61, v50
	ds_bpermute_b32 v41, v87, v43
	s_wait_dscnt 0x5
	v_add_f32_e32 v37, v37, v52
	ds_bpermute_b32 v57, v87, v56
	ds_bpermute_b32 v52, v82, v55
	s_wait_dscnt 0x5
	v_add_f32_e32 v51, v40, v51
	ds_bpermute_b32 v53, v87, v42
	ds_bpermute_b32 v62, v82, v50
	v_add_f32_e32 v54, v71, v54
	ds_bpermute_b32 v61, v82, v48
	ds_bpermute_b32 v63, v87, v51
	s_wait_dscnt 0x7
	v_add_f32_e32 v39, v46, v39
	ds_bpermute_b32 v47, v87, v44
	v_add_f32_e32 v36, v38, v0
	ds_bpermute_b32 v0, v82, v49
	s_wait_dscnt 0x8
	v_dual_add_f32 v40, v43, v41 :: v_dual_add_f32 v43, v45, v58
	ds_bpermute_b32 v45, v82, v59
	s_wait_dscnt 0x6
	v_add_f32_e32 v38, v42, v53
	ds_bpermute_b32 v53, v72, v65
	s_wait_dscnt 0x3
	v_add_f32_e32 v41, v44, v47
	v_add_f32_e32 v47, v66, v60
	s_wait_dscnt 0x2
	v_dual_add_f32 v0, v49, v0 :: v_dual_add_f32 v49, v50, v62
	ds_bpermute_b32 v50, v72, v67
	ds_bpermute_b32 v46, v82, v54
	;; [unrolled: 1-line block ×3, first 2 shown]
	s_wait_dscnt 0x4
	v_add_f32_e32 v59, v59, v45
	ds_bpermute_b32 v45, v72, v75
	ds_bpermute_b32 v62, v72, v74
	;; [unrolled: 1-line block ×5, first 2 shown]
	s_wait_dscnt 0x7
	v_add_f32_e32 v50, v67, v50
	ds_bpermute_b32 v67, v72, v77
	v_add_f32_e32 v52, v55, v52
	ds_bpermute_b32 v55, v72, v73
	;; [unrolled: 2-line block ×3, first 2 shown]
	ds_bpermute_b32 v71, v82, v50
	s_wait_dscnt 0xa
	v_add_f32_e32 v54, v54, v46
	s_wait_dscnt 0x8
	v_dual_add_f32 v60, v70, v60 :: v_dual_add_f32 v45, v75, v45
	ds_bpermute_b32 v70, v72, v80
	ds_bpermute_b32 v57, v87, v0
	s_wait_dscnt 0x5
	v_add_f32_e32 v67, v77, v67
	ds_bpermute_b32 v64, v87, v52
	s_wait_dscnt 0x5
	v_add_f32_e32 v55, v73, v55
	;; [unrolled: 3-line block ×3, first 2 shown]
	ds_bpermute_b32 v47, v72, v79
	v_add_f32_e32 v46, v65, v53
	ds_bpermute_b32 v65, v72, v78
	v_add_f32_e32 v44, v51, v63
	ds_bpermute_b32 v53, v72, v83
	ds_bpermute_b32 v72, v72, v81
	s_wait_dscnt 0x7
	v_add_f32_e32 v70, v80, v70
	ds_bpermute_b32 v80, v82, v67
	v_add_f32_e32 v66, v76, v66
	ds_bpermute_b32 v76, v82, v45
	s_wait_dscnt 0x5
	v_add_f32_e32 v47, v79, v47
	ds_bpermute_b32 v63, v82, v46
	v_add_f32_e32 v48, v48, v61
	s_wait_dscnt 0x5
	v_add_f32_e32 v65, v78, v65
	s_wait_dscnt 0x4
	v_add_f32_e32 v53, v83, v53
	ds_bpermute_b32 v77, v82, v47
	v_add_f32_e32 v62, v74, v62
	ds_bpermute_b32 v74, v82, v55
	ds_bpermute_b32 v78, v82, v65
	v_add_f32_e32 v60, v60, v73
	s_wait_dscnt 0x6
	v_add_f32_e32 v72, v81, v72
	s_wait_dscnt 0x5
	v_add_f32_e32 v67, v67, v80
	ds_bpermute_b32 v79, v82, v66
	ds_bpermute_b32 v61, v87, v54
	;; [unrolled: 1-line block ×3, first 2 shown]
	s_wait_dscnt 0x6
	v_add_f32_e32 v63, v46, v63
	ds_bpermute_b32 v51, v87, v48
	ds_bpermute_b32 v46, v82, v53
	s_wait_dscnt 0x7
	v_add_f32_e32 v77, v47, v77
	ds_bpermute_b32 v75, v82, v62
	s_wait_dscnt 0x7
	v_add_f32_e32 v55, v55, v74
	s_wait_dscnt 0x6
	v_add_f32_e32 v65, v65, v78
	ds_bpermute_b32 v74, v87, v60
	v_add_f32_e32 v76, v45, v76
	ds_bpermute_b32 v81, v87, v63
	ds_bpermute_b32 v73, v82, v72
	;; [unrolled: 1-line block ×3, first 2 shown]
	v_add_f32_e32 v47, v49, v58
	v_add_f32_e32 v49, v59, v68
	ds_bpermute_b32 v83, v87, v55
	s_wait_dscnt 0x7
	v_add_f32_e32 v45, v48, v51
	v_add_f32_e32 v71, v50, v71
	ds_bpermute_b32 v50, v82, v70
	s_wait_dscnt 0x7
	v_add_f32_e32 v82, v53, v46
	s_wait_dscnt 0x6
	v_add_f32_e32 v62, v62, v75
	ds_bpermute_b32 v69, v87, v56
	ds_bpermute_b32 v53, v87, v71
	v_add_f32_e32 v46, v0, v57
	s_wait_dscnt 0x6
	v_add_f32_e32 v51, v63, v81
	s_wait_dscnt 0x4
	v_dual_add_f32 v72, v72, v73 :: v_dual_add_f32 v59, v65, v80
	scratch_load_b32 v63, off, off offset:616 ; 4-byte Folded Reload
	v_add_f32_e32 v48, v52, v64
	ds_bpermute_b32 v84, v87, v62
	ds_bpermute_b32 v75, v87, v82
	s_wait_dscnt 0x4
	v_dual_add_f32 v55, v55, v83 :: v_dual_add_f32 v70, v70, v50
	s_wait_dscnt 0x3
	v_add_f32_e32 v50, v56, v69
	s_wait_dscnt 0x2
	v_dual_add_f32 v52, v71, v53 :: v_dual_add_f32 v53, v60, v74
	ds_bpermute_b32 v78, v87, v76
	v_add_f32_e32 v66, v66, v79
	ds_bpermute_b32 v79, v87, v77
	ds_bpermute_b32 v73, v87, v70
	s_wait_dscnt 0x2
	v_dual_add_f32 v56, v62, v84 :: v_dual_add_f32 v57, v76, v78
	ds_bpermute_b32 v85, v87, v66
	ds_bpermute_b32 v87, v87, v72
	s_wait_dscnt 0x3
	v_add_f32_e32 v58, v77, v79
	s_wait_dscnt 0x1
	v_add_f32_e32 v60, v66, v85
	s_clause 0x1
	scratch_load_b32 v66, off, off offset:640 th:TH_LOAD_LU
	scratch_load_b32 v62, off, off offset:612 th:TH_LOAD_LU
	v_add_f32_e32 v0, v54, v61
	v_dual_add_f32 v54, v82, v75 :: v_dual_add_f32 v61, v67, v86
	s_wait_storecnt 0x0
	s_wait_loadcnt_dscnt 0x0
	s_barrier_signal -1
	s_barrier_wait -1
	global_inv scope:SCOPE_SE
	v_and_b32_e32 v65, 7, v63
	v_and_b32_e32 v67, 0x3c0, v63
	v_add_f32_e32 v63, v72, v87
	s_delay_alu instid0(VALU_DEP_3) | instskip(SKIP_3) | instid1(VALU_DEP_2)
	v_cmp_eq_u32_e32 vcc_lo, 0, v65
	v_lshlrev_b32_e32 v66, 10, v66
	v_lshrrev_b32_e32 v64, 3, v62
	v_add_f32_e32 v62, v70, v73
	v_lshl_add_u32 v65, v64, 2, 0x420
	v_cmpx_eq_u32_e32 64, v67
	s_cbranch_execz .LBB53_171
; %bb.169:
	s_and_b32 exec_lo, exec_lo, vcc_lo
	s_cbranch_execz .LBB53_171
; %bb.170:
	v_add_nc_u32_e32 v67, v65, v66
	s_delay_alu instid0(VALU_DEP_1)
	v_add_nc_u32_e32 v68, 0xfffff800, v67
	v_add_nc_u32_e32 v69, 0xfffff810, v67
	v_add_nc_u32_e32 v70, 0xfffff820, v67
	v_add_nc_u32_e32 v71, 0xfffff830, v67
	v_add_nc_u32_e32 v72, 0xfffff840, v67
	v_add_nc_u32_e32 v73, 0xfffff850, v67
	v_add_nc_u32_e32 v74, 0xfffff860, v67
	v_add_nc_u32_e32 v75, 0xfffff870, v67
	ds_store_b32 v68, v1
	ds_store_b32 v69, v2
	ds_store_b32 v70, v3
	ds_store_b32 v71, v4
	ds_store_b32 v72, v5
	ds_store_b32 v73, v6
	ds_store_b32 v74, v7
	ds_store_b32 v75, v8
	v_add_nc_u32_e32 v68, 0xfffff880, v67
	v_add_nc_u32_e32 v69, 0xfffff890, v67
	v_add_nc_u32_e32 v70, 0xfffff8a0, v67
	v_add_nc_u32_e32 v71, 0xfffff8b0, v67
	v_add_nc_u32_e32 v72, 0xfffff8c0, v67
	v_add_nc_u32_e32 v73, 0xfffff8d0, v67
	v_add_nc_u32_e32 v74, 0xfffff8e0, v67
	v_add_nc_u32_e32 v75, 0xfffff8f0, v67
	ds_store_b32 v68, v9
	ds_store_b32 v69, v10
	ds_store_b32 v70, v11
	ds_store_b32 v71, v12
	ds_store_b32 v72, v13
	ds_store_b32 v73, v14
	ds_store_b32 v74, v15
	ds_store_b32 v75, v16
	;; [unrolled: 16-line block ×8, first 2 shown]
.LBB53_171:
	s_wait_alu 0xfffe
	s_or_b32 exec_lo, exec_lo, s1
	v_lshlrev_b32_e32 v64, 2, v64
	s_wait_loadcnt_dscnt 0x0
	s_barrier_signal -1
	s_barrier_wait -1
	global_inv scope:SCOPE_SE
	v_add3_u32 v64, 0x420, v66, v64
	s_and_saveexec_b32 s0, s2
	s_cbranch_execz .LBB53_238
; %bb.172:
	s_and_saveexec_b32 s1, vcc_lo
	s_cbranch_execnz .LBB53_310
; %bb.173:
	s_wait_alu 0xfffe
	s_or_b32 exec_lo, exec_lo, s1
	s_and_saveexec_b32 s1, vcc_lo
	s_cbranch_execnz .LBB53_311
.LBB53_174:
	s_wait_alu 0xfffe
	s_or_b32 exec_lo, exec_lo, s1
	s_and_saveexec_b32 s1, vcc_lo
	s_cbranch_execnz .LBB53_312
.LBB53_175:
	s_wait_alu 0xfffe
	s_or_b32 exec_lo, exec_lo, s1
	s_and_saveexec_b32 s1, vcc_lo
	s_cbranch_execnz .LBB53_313
.LBB53_176:
	s_wait_alu 0xfffe
	s_or_b32 exec_lo, exec_lo, s1
	s_and_saveexec_b32 s1, vcc_lo
	s_cbranch_execnz .LBB53_314
.LBB53_177:
	s_wait_alu 0xfffe
	s_or_b32 exec_lo, exec_lo, s1
	s_and_saveexec_b32 s1, vcc_lo
	s_cbranch_execnz .LBB53_315
.LBB53_178:
	s_wait_alu 0xfffe
	s_or_b32 exec_lo, exec_lo, s1
	s_and_saveexec_b32 s1, vcc_lo
	s_cbranch_execnz .LBB53_316
.LBB53_179:
	s_wait_alu 0xfffe
	s_or_b32 exec_lo, exec_lo, s1
	s_and_saveexec_b32 s1, vcc_lo
	s_cbranch_execnz .LBB53_317
.LBB53_180:
	s_wait_alu 0xfffe
	s_or_b32 exec_lo, exec_lo, s1
	s_and_saveexec_b32 s1, vcc_lo
	s_cbranch_execnz .LBB53_318
.LBB53_181:
	s_wait_alu 0xfffe
	s_or_b32 exec_lo, exec_lo, s1
	s_and_saveexec_b32 s1, vcc_lo
	s_cbranch_execnz .LBB53_319
.LBB53_182:
	s_wait_alu 0xfffe
	s_or_b32 exec_lo, exec_lo, s1
	s_and_saveexec_b32 s1, vcc_lo
	s_cbranch_execnz .LBB53_320
.LBB53_183:
	s_wait_alu 0xfffe
	s_or_b32 exec_lo, exec_lo, s1
	s_and_saveexec_b32 s1, vcc_lo
	s_cbranch_execnz .LBB53_321
.LBB53_184:
	s_wait_alu 0xfffe
	s_or_b32 exec_lo, exec_lo, s1
	s_and_saveexec_b32 s1, vcc_lo
	s_cbranch_execnz .LBB53_322
.LBB53_185:
	s_wait_alu 0xfffe
	s_or_b32 exec_lo, exec_lo, s1
	s_and_saveexec_b32 s1, vcc_lo
	s_cbranch_execnz .LBB53_323
.LBB53_186:
	s_wait_alu 0xfffe
	s_or_b32 exec_lo, exec_lo, s1
	s_and_saveexec_b32 s1, vcc_lo
	s_cbranch_execnz .LBB53_324
.LBB53_187:
	s_wait_alu 0xfffe
	s_or_b32 exec_lo, exec_lo, s1
	s_and_saveexec_b32 s1, vcc_lo
	s_cbranch_execnz .LBB53_325
.LBB53_188:
	s_wait_alu 0xfffe
	s_or_b32 exec_lo, exec_lo, s1
	s_and_saveexec_b32 s1, vcc_lo
	s_cbranch_execnz .LBB53_326
.LBB53_189:
	s_wait_alu 0xfffe
	s_or_b32 exec_lo, exec_lo, s1
	s_and_saveexec_b32 s1, vcc_lo
	s_cbranch_execnz .LBB53_327
.LBB53_190:
	s_wait_alu 0xfffe
	s_or_b32 exec_lo, exec_lo, s1
	s_and_saveexec_b32 s1, vcc_lo
	s_cbranch_execnz .LBB53_328
.LBB53_191:
	s_wait_alu 0xfffe
	s_or_b32 exec_lo, exec_lo, s1
	s_and_saveexec_b32 s1, vcc_lo
	s_cbranch_execnz .LBB53_329
.LBB53_192:
	s_wait_alu 0xfffe
	s_or_b32 exec_lo, exec_lo, s1
	s_and_saveexec_b32 s1, vcc_lo
	s_cbranch_execnz .LBB53_330
.LBB53_193:
	s_wait_alu 0xfffe
	s_or_b32 exec_lo, exec_lo, s1
	s_and_saveexec_b32 s1, vcc_lo
	s_cbranch_execnz .LBB53_331
.LBB53_194:
	s_wait_alu 0xfffe
	s_or_b32 exec_lo, exec_lo, s1
	s_and_saveexec_b32 s1, vcc_lo
	s_cbranch_execnz .LBB53_332
.LBB53_195:
	s_wait_alu 0xfffe
	s_or_b32 exec_lo, exec_lo, s1
	s_and_saveexec_b32 s1, vcc_lo
	s_cbranch_execnz .LBB53_333
.LBB53_196:
	s_wait_alu 0xfffe
	s_or_b32 exec_lo, exec_lo, s1
	s_and_saveexec_b32 s1, vcc_lo
	s_cbranch_execnz .LBB53_334
.LBB53_197:
	s_wait_alu 0xfffe
	s_or_b32 exec_lo, exec_lo, s1
	s_and_saveexec_b32 s1, vcc_lo
	s_cbranch_execnz .LBB53_335
.LBB53_198:
	s_wait_alu 0xfffe
	s_or_b32 exec_lo, exec_lo, s1
	s_and_saveexec_b32 s1, vcc_lo
	s_cbranch_execnz .LBB53_336
.LBB53_199:
	s_wait_alu 0xfffe
	s_or_b32 exec_lo, exec_lo, s1
	s_and_saveexec_b32 s1, vcc_lo
	s_cbranch_execnz .LBB53_337
.LBB53_200:
	s_wait_alu 0xfffe
	s_or_b32 exec_lo, exec_lo, s1
	s_and_saveexec_b32 s1, vcc_lo
	s_cbranch_execnz .LBB53_338
.LBB53_201:
	s_wait_alu 0xfffe
	s_or_b32 exec_lo, exec_lo, s1
	s_and_saveexec_b32 s1, vcc_lo
	s_cbranch_execnz .LBB53_339
.LBB53_202:
	s_wait_alu 0xfffe
	s_or_b32 exec_lo, exec_lo, s1
	s_and_saveexec_b32 s1, vcc_lo
	s_cbranch_execnz .LBB53_340
.LBB53_203:
	s_wait_alu 0xfffe
	s_or_b32 exec_lo, exec_lo, s1
	s_and_saveexec_b32 s1, vcc_lo
	s_cbranch_execnz .LBB53_341
.LBB53_204:
	s_wait_alu 0xfffe
	s_or_b32 exec_lo, exec_lo, s1
	s_and_saveexec_b32 s1, vcc_lo
	s_cbranch_execnz .LBB53_342
.LBB53_205:
	s_wait_alu 0xfffe
	s_or_b32 exec_lo, exec_lo, s1
	s_and_saveexec_b32 s1, vcc_lo
	s_cbranch_execnz .LBB53_343
.LBB53_206:
	s_wait_alu 0xfffe
	s_or_b32 exec_lo, exec_lo, s1
	s_and_saveexec_b32 s1, vcc_lo
	s_cbranch_execnz .LBB53_344
.LBB53_207:
	s_wait_alu 0xfffe
	s_or_b32 exec_lo, exec_lo, s1
	s_and_saveexec_b32 s1, vcc_lo
	s_cbranch_execnz .LBB53_345
.LBB53_208:
	s_wait_alu 0xfffe
	s_or_b32 exec_lo, exec_lo, s1
	s_and_saveexec_b32 s1, vcc_lo
	s_cbranch_execnz .LBB53_346
.LBB53_209:
	s_wait_alu 0xfffe
	s_or_b32 exec_lo, exec_lo, s1
	s_and_saveexec_b32 s1, vcc_lo
	s_cbranch_execnz .LBB53_347
.LBB53_210:
	s_wait_alu 0xfffe
	s_or_b32 exec_lo, exec_lo, s1
	s_and_saveexec_b32 s1, vcc_lo
	s_cbranch_execnz .LBB53_348
.LBB53_211:
	s_wait_alu 0xfffe
	s_or_b32 exec_lo, exec_lo, s1
	s_and_saveexec_b32 s1, vcc_lo
	s_cbranch_execnz .LBB53_349
.LBB53_212:
	s_wait_alu 0xfffe
	s_or_b32 exec_lo, exec_lo, s1
	s_and_saveexec_b32 s1, vcc_lo
	s_cbranch_execnz .LBB53_350
.LBB53_213:
	s_wait_alu 0xfffe
	s_or_b32 exec_lo, exec_lo, s1
	s_and_saveexec_b32 s1, vcc_lo
	s_cbranch_execnz .LBB53_351
.LBB53_214:
	s_wait_alu 0xfffe
	s_or_b32 exec_lo, exec_lo, s1
	s_and_saveexec_b32 s1, vcc_lo
	s_cbranch_execnz .LBB53_352
.LBB53_215:
	s_wait_alu 0xfffe
	s_or_b32 exec_lo, exec_lo, s1
	s_and_saveexec_b32 s1, vcc_lo
	s_cbranch_execnz .LBB53_353
.LBB53_216:
	s_wait_alu 0xfffe
	s_or_b32 exec_lo, exec_lo, s1
	s_and_saveexec_b32 s1, vcc_lo
	s_cbranch_execnz .LBB53_354
.LBB53_217:
	s_wait_alu 0xfffe
	s_or_b32 exec_lo, exec_lo, s1
	s_and_saveexec_b32 s1, vcc_lo
	s_cbranch_execnz .LBB53_355
.LBB53_218:
	s_wait_alu 0xfffe
	s_or_b32 exec_lo, exec_lo, s1
	s_and_saveexec_b32 s1, vcc_lo
	s_cbranch_execnz .LBB53_356
.LBB53_219:
	s_wait_alu 0xfffe
	s_or_b32 exec_lo, exec_lo, s1
	s_and_saveexec_b32 s1, vcc_lo
	s_cbranch_execnz .LBB53_357
.LBB53_220:
	s_wait_alu 0xfffe
	s_or_b32 exec_lo, exec_lo, s1
	s_and_saveexec_b32 s1, vcc_lo
	s_cbranch_execnz .LBB53_358
.LBB53_221:
	s_wait_alu 0xfffe
	s_or_b32 exec_lo, exec_lo, s1
	s_and_saveexec_b32 s1, vcc_lo
	s_cbranch_execnz .LBB53_359
.LBB53_222:
	s_wait_alu 0xfffe
	s_or_b32 exec_lo, exec_lo, s1
	s_and_saveexec_b32 s1, vcc_lo
	s_cbranch_execnz .LBB53_360
.LBB53_223:
	s_wait_alu 0xfffe
	s_or_b32 exec_lo, exec_lo, s1
	s_and_saveexec_b32 s1, vcc_lo
	s_cbranch_execnz .LBB53_361
.LBB53_224:
	s_wait_alu 0xfffe
	s_or_b32 exec_lo, exec_lo, s1
	s_and_saveexec_b32 s1, vcc_lo
	s_cbranch_execnz .LBB53_362
.LBB53_225:
	s_wait_alu 0xfffe
	s_or_b32 exec_lo, exec_lo, s1
	s_and_saveexec_b32 s1, vcc_lo
	s_cbranch_execnz .LBB53_363
.LBB53_226:
	s_wait_alu 0xfffe
	s_or_b32 exec_lo, exec_lo, s1
	s_and_saveexec_b32 s1, vcc_lo
	s_cbranch_execnz .LBB53_364
.LBB53_227:
	s_wait_alu 0xfffe
	s_or_b32 exec_lo, exec_lo, s1
	s_and_saveexec_b32 s1, vcc_lo
	s_cbranch_execnz .LBB53_365
.LBB53_228:
	s_wait_alu 0xfffe
	s_or_b32 exec_lo, exec_lo, s1
	s_and_saveexec_b32 s1, vcc_lo
	s_cbranch_execnz .LBB53_366
.LBB53_229:
	s_wait_alu 0xfffe
	s_or_b32 exec_lo, exec_lo, s1
	s_and_saveexec_b32 s1, vcc_lo
	s_cbranch_execnz .LBB53_367
.LBB53_230:
	s_wait_alu 0xfffe
	s_or_b32 exec_lo, exec_lo, s1
	s_and_saveexec_b32 s1, vcc_lo
	s_cbranch_execnz .LBB53_368
.LBB53_231:
	s_wait_alu 0xfffe
	s_or_b32 exec_lo, exec_lo, s1
	s_and_saveexec_b32 s1, vcc_lo
	s_cbranch_execnz .LBB53_369
.LBB53_232:
	s_wait_alu 0xfffe
	s_or_b32 exec_lo, exec_lo, s1
	s_and_saveexec_b32 s1, vcc_lo
	s_cbranch_execnz .LBB53_370
.LBB53_233:
	s_wait_alu 0xfffe
	s_or_b32 exec_lo, exec_lo, s1
	s_and_saveexec_b32 s1, vcc_lo
	s_cbranch_execnz .LBB53_371
.LBB53_234:
	s_wait_alu 0xfffe
	s_or_b32 exec_lo, exec_lo, s1
	s_and_saveexec_b32 s1, vcc_lo
	s_cbranch_execnz .LBB53_372
.LBB53_235:
	s_wait_alu 0xfffe
	s_or_b32 exec_lo, exec_lo, s1
	s_and_saveexec_b32 s1, vcc_lo
	s_cbranch_execz .LBB53_237
.LBB53_236:
	ds_load_b32 v66, v64 offset:1008
	s_wait_dscnt 0x0
	v_add_f32_e32 v63, v63, v66
.LBB53_237:
	s_wait_alu 0xfffe
	s_or_b32 exec_lo, exec_lo, s1
.LBB53_238:
	s_wait_alu 0xfffe
	s_or_b32 exec_lo, exec_lo, s0
	scratch_load_b32 v66, off, off offset:616 ; 4-byte Folded Reload
	s_mov_b32 s1, exec_lo
	s_wait_loadcnt 0x0
	s_barrier_signal -1
	s_barrier_wait -1
	global_inv scope:SCOPE_SE
	v_and_b32_e32 v66, 0x3e7, v66
	s_delay_alu instid0(VALU_DEP_1)
	v_cmpx_eq_u32_e32 32, v66
	s_cbranch_execz .LBB53_240
; %bb.239:
	ds_store_2addr_b32 v65, v1, v2 offset1:4
	ds_store_2addr_b32 v65, v3, v4 offset0:8 offset1:12
	ds_store_2addr_b32 v65, v5, v6 offset0:16 offset1:20
	;; [unrolled: 1-line block ×31, first 2 shown]
.LBB53_240:
	s_wait_alu 0xfffe
	s_or_b32 exec_lo, exec_lo, s1
	scratch_load_b32 v65, off, off offset:616 ; 4-byte Folded Reload
	s_mov_b32 s1, exec_lo
	s_wait_loadcnt_dscnt 0x0
	s_barrier_signal -1
	s_barrier_wait -1
	global_inv scope:SCOPE_SE
	v_cmpx_gt_u32_e32 32, v65
	s_cbranch_execz .LBB53_307
; %bb.241:
	s_and_saveexec_b32 s0, vcc_lo
	s_cbranch_execnz .LBB53_373
; %bb.242:
	s_wait_alu 0xfffe
	s_or_b32 exec_lo, exec_lo, s0
	s_and_saveexec_b32 s0, vcc_lo
	s_cbranch_execnz .LBB53_374
.LBB53_243:
	s_wait_alu 0xfffe
	s_or_b32 exec_lo, exec_lo, s0
	s_and_saveexec_b32 s0, vcc_lo
	s_cbranch_execnz .LBB53_375
.LBB53_244:
	s_wait_alu 0xfffe
	s_or_b32 exec_lo, exec_lo, s0
	s_and_saveexec_b32 s0, vcc_lo
	s_cbranch_execnz .LBB53_376
.LBB53_245:
	s_wait_alu 0xfffe
	s_or_b32 exec_lo, exec_lo, s0
	s_and_saveexec_b32 s0, vcc_lo
	s_cbranch_execnz .LBB53_377
.LBB53_246:
	s_wait_alu 0xfffe
	s_or_b32 exec_lo, exec_lo, s0
	s_and_saveexec_b32 s0, vcc_lo
	s_cbranch_execnz .LBB53_378
.LBB53_247:
	s_wait_alu 0xfffe
	s_or_b32 exec_lo, exec_lo, s0
	s_and_saveexec_b32 s0, vcc_lo
	s_cbranch_execnz .LBB53_379
.LBB53_248:
	s_wait_alu 0xfffe
	s_or_b32 exec_lo, exec_lo, s0
	s_and_saveexec_b32 s0, vcc_lo
	s_cbranch_execnz .LBB53_380
.LBB53_249:
	s_wait_alu 0xfffe
	s_or_b32 exec_lo, exec_lo, s0
	s_and_saveexec_b32 s0, vcc_lo
	s_cbranch_execnz .LBB53_381
.LBB53_250:
	s_wait_alu 0xfffe
	s_or_b32 exec_lo, exec_lo, s0
	s_and_saveexec_b32 s0, vcc_lo
	s_cbranch_execnz .LBB53_382
.LBB53_251:
	s_wait_alu 0xfffe
	s_or_b32 exec_lo, exec_lo, s0
	s_and_saveexec_b32 s0, vcc_lo
	s_cbranch_execnz .LBB53_383
.LBB53_252:
	s_wait_alu 0xfffe
	s_or_b32 exec_lo, exec_lo, s0
	s_and_saveexec_b32 s0, vcc_lo
	s_cbranch_execnz .LBB53_384
.LBB53_253:
	s_wait_alu 0xfffe
	s_or_b32 exec_lo, exec_lo, s0
	s_and_saveexec_b32 s0, vcc_lo
	s_cbranch_execnz .LBB53_385
.LBB53_254:
	s_wait_alu 0xfffe
	s_or_b32 exec_lo, exec_lo, s0
	s_and_saveexec_b32 s0, vcc_lo
	s_cbranch_execnz .LBB53_386
.LBB53_255:
	s_wait_alu 0xfffe
	s_or_b32 exec_lo, exec_lo, s0
	s_and_saveexec_b32 s0, vcc_lo
	s_cbranch_execnz .LBB53_387
.LBB53_256:
	s_wait_alu 0xfffe
	s_or_b32 exec_lo, exec_lo, s0
	s_and_saveexec_b32 s0, vcc_lo
	s_cbranch_execnz .LBB53_388
.LBB53_257:
	s_wait_alu 0xfffe
	s_or_b32 exec_lo, exec_lo, s0
	s_and_saveexec_b32 s0, vcc_lo
	s_cbranch_execnz .LBB53_389
.LBB53_258:
	s_wait_alu 0xfffe
	s_or_b32 exec_lo, exec_lo, s0
	s_and_saveexec_b32 s0, vcc_lo
	s_cbranch_execnz .LBB53_390
.LBB53_259:
	s_wait_alu 0xfffe
	s_or_b32 exec_lo, exec_lo, s0
	s_and_saveexec_b32 s0, vcc_lo
	s_cbranch_execnz .LBB53_391
.LBB53_260:
	s_wait_alu 0xfffe
	s_or_b32 exec_lo, exec_lo, s0
	s_and_saveexec_b32 s0, vcc_lo
	s_cbranch_execnz .LBB53_392
.LBB53_261:
	s_wait_alu 0xfffe
	s_or_b32 exec_lo, exec_lo, s0
	s_and_saveexec_b32 s0, vcc_lo
	s_cbranch_execnz .LBB53_393
.LBB53_262:
	s_wait_alu 0xfffe
	s_or_b32 exec_lo, exec_lo, s0
	s_and_saveexec_b32 s0, vcc_lo
	s_cbranch_execnz .LBB53_394
.LBB53_263:
	s_wait_alu 0xfffe
	s_or_b32 exec_lo, exec_lo, s0
	s_and_saveexec_b32 s0, vcc_lo
	s_cbranch_execnz .LBB53_395
.LBB53_264:
	s_wait_alu 0xfffe
	s_or_b32 exec_lo, exec_lo, s0
	s_and_saveexec_b32 s0, vcc_lo
	s_cbranch_execnz .LBB53_396
.LBB53_265:
	s_wait_alu 0xfffe
	s_or_b32 exec_lo, exec_lo, s0
	s_and_saveexec_b32 s0, vcc_lo
	s_cbranch_execnz .LBB53_397
.LBB53_266:
	s_wait_alu 0xfffe
	s_or_b32 exec_lo, exec_lo, s0
	s_and_saveexec_b32 s0, vcc_lo
	s_cbranch_execnz .LBB53_398
.LBB53_267:
	s_wait_alu 0xfffe
	s_or_b32 exec_lo, exec_lo, s0
	s_and_saveexec_b32 s0, vcc_lo
	s_cbranch_execnz .LBB53_399
.LBB53_268:
	s_wait_alu 0xfffe
	s_or_b32 exec_lo, exec_lo, s0
	s_and_saveexec_b32 s0, vcc_lo
	s_cbranch_execnz .LBB53_400
.LBB53_269:
	s_wait_alu 0xfffe
	s_or_b32 exec_lo, exec_lo, s0
	s_and_saveexec_b32 s0, vcc_lo
	s_cbranch_execnz .LBB53_401
.LBB53_270:
	s_wait_alu 0xfffe
	s_or_b32 exec_lo, exec_lo, s0
	s_and_saveexec_b32 s0, vcc_lo
	s_cbranch_execnz .LBB53_402
.LBB53_271:
	s_wait_alu 0xfffe
	s_or_b32 exec_lo, exec_lo, s0
	s_and_saveexec_b32 s0, vcc_lo
	s_cbranch_execnz .LBB53_403
.LBB53_272:
	s_wait_alu 0xfffe
	s_or_b32 exec_lo, exec_lo, s0
	s_and_saveexec_b32 s0, vcc_lo
	s_cbranch_execnz .LBB53_404
.LBB53_273:
	s_wait_alu 0xfffe
	s_or_b32 exec_lo, exec_lo, s0
	s_and_saveexec_b32 s0, vcc_lo
	s_cbranch_execnz .LBB53_405
.LBB53_274:
	s_wait_alu 0xfffe
	s_or_b32 exec_lo, exec_lo, s0
	s_and_saveexec_b32 s0, vcc_lo
	s_cbranch_execnz .LBB53_406
.LBB53_275:
	s_wait_alu 0xfffe
	s_or_b32 exec_lo, exec_lo, s0
	s_and_saveexec_b32 s0, vcc_lo
	s_cbranch_execnz .LBB53_407
.LBB53_276:
	s_wait_alu 0xfffe
	s_or_b32 exec_lo, exec_lo, s0
	s_and_saveexec_b32 s0, vcc_lo
	s_cbranch_execnz .LBB53_408
.LBB53_277:
	s_wait_alu 0xfffe
	s_or_b32 exec_lo, exec_lo, s0
	s_and_saveexec_b32 s0, vcc_lo
	s_cbranch_execnz .LBB53_409
.LBB53_278:
	s_wait_alu 0xfffe
	s_or_b32 exec_lo, exec_lo, s0
	s_and_saveexec_b32 s0, vcc_lo
	s_cbranch_execnz .LBB53_410
.LBB53_279:
	s_wait_alu 0xfffe
	s_or_b32 exec_lo, exec_lo, s0
	s_and_saveexec_b32 s0, vcc_lo
	s_cbranch_execnz .LBB53_411
.LBB53_280:
	s_wait_alu 0xfffe
	s_or_b32 exec_lo, exec_lo, s0
	s_and_saveexec_b32 s0, vcc_lo
	s_cbranch_execnz .LBB53_412
.LBB53_281:
	s_wait_alu 0xfffe
	s_or_b32 exec_lo, exec_lo, s0
	s_and_saveexec_b32 s0, vcc_lo
	s_cbranch_execnz .LBB53_413
.LBB53_282:
	s_wait_alu 0xfffe
	s_or_b32 exec_lo, exec_lo, s0
	s_and_saveexec_b32 s0, vcc_lo
	s_cbranch_execnz .LBB53_414
.LBB53_283:
	s_wait_alu 0xfffe
	s_or_b32 exec_lo, exec_lo, s0
	s_and_saveexec_b32 s0, vcc_lo
	s_cbranch_execnz .LBB53_415
.LBB53_284:
	s_wait_alu 0xfffe
	s_or_b32 exec_lo, exec_lo, s0
	s_and_saveexec_b32 s0, vcc_lo
	s_cbranch_execnz .LBB53_416
.LBB53_285:
	s_wait_alu 0xfffe
	s_or_b32 exec_lo, exec_lo, s0
	s_and_saveexec_b32 s0, vcc_lo
	s_cbranch_execnz .LBB53_417
.LBB53_286:
	s_wait_alu 0xfffe
	s_or_b32 exec_lo, exec_lo, s0
	s_and_saveexec_b32 s0, vcc_lo
	s_cbranch_execnz .LBB53_418
.LBB53_287:
	s_wait_alu 0xfffe
	s_or_b32 exec_lo, exec_lo, s0
	s_and_saveexec_b32 s0, vcc_lo
	s_cbranch_execnz .LBB53_419
.LBB53_288:
	s_wait_alu 0xfffe
	s_or_b32 exec_lo, exec_lo, s0
	s_and_saveexec_b32 s0, vcc_lo
	s_cbranch_execnz .LBB53_420
.LBB53_289:
	s_wait_alu 0xfffe
	s_or_b32 exec_lo, exec_lo, s0
	s_and_saveexec_b32 s0, vcc_lo
	s_cbranch_execnz .LBB53_421
.LBB53_290:
	s_wait_alu 0xfffe
	s_or_b32 exec_lo, exec_lo, s0
	s_and_saveexec_b32 s0, vcc_lo
	s_cbranch_execnz .LBB53_422
.LBB53_291:
	s_wait_alu 0xfffe
	s_or_b32 exec_lo, exec_lo, s0
	s_and_saveexec_b32 s0, vcc_lo
	s_cbranch_execnz .LBB53_423
.LBB53_292:
	s_wait_alu 0xfffe
	s_or_b32 exec_lo, exec_lo, s0
	s_and_saveexec_b32 s0, vcc_lo
	s_cbranch_execnz .LBB53_424
.LBB53_293:
	s_wait_alu 0xfffe
	s_or_b32 exec_lo, exec_lo, s0
	s_and_saveexec_b32 s0, vcc_lo
	s_cbranch_execnz .LBB53_425
.LBB53_294:
	s_wait_alu 0xfffe
	s_or_b32 exec_lo, exec_lo, s0
	s_and_saveexec_b32 s0, vcc_lo
	s_cbranch_execnz .LBB53_426
.LBB53_295:
	s_wait_alu 0xfffe
	s_or_b32 exec_lo, exec_lo, s0
	s_and_saveexec_b32 s0, vcc_lo
	s_cbranch_execnz .LBB53_427
.LBB53_296:
	s_wait_alu 0xfffe
	s_or_b32 exec_lo, exec_lo, s0
	s_and_saveexec_b32 s0, vcc_lo
	s_cbranch_execnz .LBB53_428
.LBB53_297:
	s_wait_alu 0xfffe
	s_or_b32 exec_lo, exec_lo, s0
	s_and_saveexec_b32 s0, vcc_lo
	s_cbranch_execnz .LBB53_429
.LBB53_298:
	s_wait_alu 0xfffe
	s_or_b32 exec_lo, exec_lo, s0
	s_and_saveexec_b32 s0, vcc_lo
	s_cbranch_execnz .LBB53_430
.LBB53_299:
	s_wait_alu 0xfffe
	s_or_b32 exec_lo, exec_lo, s0
	s_and_saveexec_b32 s0, vcc_lo
	s_cbranch_execnz .LBB53_431
.LBB53_300:
	s_wait_alu 0xfffe
	s_or_b32 exec_lo, exec_lo, s0
	s_and_saveexec_b32 s0, vcc_lo
	s_cbranch_execnz .LBB53_432
.LBB53_301:
	s_wait_alu 0xfffe
	s_or_b32 exec_lo, exec_lo, s0
	s_and_saveexec_b32 s0, vcc_lo
	s_cbranch_execnz .LBB53_433
.LBB53_302:
	s_wait_alu 0xfffe
	s_or_b32 exec_lo, exec_lo, s0
	s_and_saveexec_b32 s0, vcc_lo
	s_cbranch_execnz .LBB53_434
.LBB53_303:
	s_wait_alu 0xfffe
	s_or_b32 exec_lo, exec_lo, s0
	s_and_saveexec_b32 s0, vcc_lo
	s_cbranch_execnz .LBB53_435
.LBB53_304:
	s_wait_alu 0xfffe
	s_or_b32 exec_lo, exec_lo, s0
	s_and_saveexec_b32 s0, vcc_lo
	s_cbranch_execz .LBB53_306
.LBB53_305:
	ds_load_b32 v64, v64 offset:1008
	s_wait_dscnt 0x0
	v_add_f32_e32 v63, v63, v64
.LBB53_306:
	s_wait_alu 0xfffe
	s_or_b32 exec_lo, exec_lo, s0
.LBB53_307:
	s_wait_alu 0xfffe
	s_or_b32 exec_lo, exec_lo, s1
	s_mov_b32 s1, 0
	s_wait_loadcnt 0x0
	s_barrier_signal -1
	s_barrier_wait -1
	global_inv scope:SCOPE_SE
	s_mov_b32 s0, exec_lo
	v_cmpx_eq_u32_e32 0, v66
	s_cbranch_execz .LBB53_309
; %bb.308:
	scratch_load_b32 v64, off, off offset:616 th:TH_LOAD_LU ; 4-byte Folded Reload
	s_lshl_b32 s2, s4, 8
	s_mul_i32 s4, s7, s6
	s_wait_alu 0xfffe
	s_ashr_i32 s3, s2, 31
	s_ashr_i32 s5, s4, 31
	s_wait_alu 0xfffe
	s_lshl_b64 s[2:3], s[2:3], 2
	s_lshl_b64 s[4:5], s[4:5], 2
	s_wait_kmcnt 0x0
	s_wait_alu 0xfffe
	s_add_nc_u64 s[2:3], s[18:19], s[2:3]
	s_lshl_b32 s0, s30, 10
	s_wait_alu 0xfffe
	s_add_nc_u64 s[2:3], s[2:3], s[4:5]
	s_wait_alu 0xfffe
	s_add_nc_u64 s[0:1], s[2:3], s[0:1]
	s_wait_loadcnt 0x0
	v_lshrrev_b32_e32 v64, 1, v64
	s_clause 0x1f
	global_store_b32 v64, v1, s[0:1]
	global_store_b32 v64, v2, s[0:1] offset:16
	global_store_b32 v64, v3, s[0:1] offset:32
	global_store_b32 v64, v4, s[0:1] offset:48
	global_store_b32 v64, v5, s[0:1] offset:64
	global_store_b32 v64, v6, s[0:1] offset:80
	global_store_b32 v64, v7, s[0:1] offset:96
	global_store_b32 v64, v8, s[0:1] offset:112
	global_store_b32 v64, v9, s[0:1] offset:128
	global_store_b32 v64, v10, s[0:1] offset:144
	global_store_b32 v64, v11, s[0:1] offset:160
	global_store_b32 v64, v12, s[0:1] offset:176
	global_store_b32 v64, v13, s[0:1] offset:192
	global_store_b32 v64, v14, s[0:1] offset:208
	global_store_b32 v64, v15, s[0:1] offset:224
	global_store_b32 v64, v16, s[0:1] offset:240
	global_store_b32 v64, v17, s[0:1] offset:256
	global_store_b32 v64, v18, s[0:1] offset:272
	global_store_b32 v64, v19, s[0:1] offset:288
	global_store_b32 v64, v20, s[0:1] offset:304
	global_store_b32 v64, v21, s[0:1] offset:320
	global_store_b32 v64, v22, s[0:1] offset:336
	global_store_b32 v64, v23, s[0:1] offset:352
	global_store_b32 v64, v24, s[0:1] offset:368
	global_store_b32 v64, v25, s[0:1] offset:384
	global_store_b32 v64, v26, s[0:1] offset:400
	global_store_b32 v64, v27, s[0:1] offset:416
	global_store_b32 v64, v28, s[0:1] offset:432
	global_store_b32 v64, v29, s[0:1] offset:448
	global_store_b32 v64, v30, s[0:1] offset:464
	global_store_b32 v64, v31, s[0:1] offset:480
	global_store_b32 v64, v32, s[0:1] offset:496
	s_clause 0x1f
	global_store_b32 v64, v33, s[0:1] offset:512
	global_store_b32 v64, v34, s[0:1] offset:528
	;; [unrolled: 1-line block ×32, first 2 shown]
.LBB53_309:
	s_nop 0
	s_sendmsg sendmsg(MSG_DEALLOC_VGPRS)
	s_endpgm
.LBB53_310:
	ds_load_b32 v66, v64
	s_wait_dscnt 0x0
	v_add_f32_e32 v1, v1, v66
	s_wait_alu 0xfffe
	s_or_b32 exec_lo, exec_lo, s1
	s_and_saveexec_b32 s1, vcc_lo
	s_cbranch_execz .LBB53_174
.LBB53_311:
	ds_load_b32 v66, v64 offset:16
	s_wait_dscnt 0x0
	v_add_f32_e32 v2, v2, v66
	s_wait_alu 0xfffe
	s_or_b32 exec_lo, exec_lo, s1
	s_and_saveexec_b32 s1, vcc_lo
	s_cbranch_execz .LBB53_175
.LBB53_312:
	ds_load_b32 v66, v64 offset:32
	s_wait_dscnt 0x0
	v_add_f32_e32 v3, v3, v66
	s_wait_alu 0xfffe
	s_or_b32 exec_lo, exec_lo, s1
	s_and_saveexec_b32 s1, vcc_lo
	s_cbranch_execz .LBB53_176
.LBB53_313:
	ds_load_b32 v66, v64 offset:48
	s_wait_dscnt 0x0
	v_add_f32_e32 v4, v4, v66
	s_wait_alu 0xfffe
	s_or_b32 exec_lo, exec_lo, s1
	s_and_saveexec_b32 s1, vcc_lo
	s_cbranch_execz .LBB53_177
.LBB53_314:
	ds_load_b32 v66, v64 offset:64
	s_wait_dscnt 0x0
	v_add_f32_e32 v5, v5, v66
	s_wait_alu 0xfffe
	s_or_b32 exec_lo, exec_lo, s1
	s_and_saveexec_b32 s1, vcc_lo
	s_cbranch_execz .LBB53_178
.LBB53_315:
	ds_load_b32 v66, v64 offset:80
	s_wait_dscnt 0x0
	v_add_f32_e32 v6, v6, v66
	s_wait_alu 0xfffe
	s_or_b32 exec_lo, exec_lo, s1
	s_and_saveexec_b32 s1, vcc_lo
	s_cbranch_execz .LBB53_179
.LBB53_316:
	ds_load_b32 v66, v64 offset:96
	s_wait_dscnt 0x0
	v_add_f32_e32 v7, v7, v66
	s_wait_alu 0xfffe
	s_or_b32 exec_lo, exec_lo, s1
	s_and_saveexec_b32 s1, vcc_lo
	s_cbranch_execz .LBB53_180
.LBB53_317:
	ds_load_b32 v66, v64 offset:112
	s_wait_dscnt 0x0
	v_add_f32_e32 v8, v8, v66
	s_wait_alu 0xfffe
	s_or_b32 exec_lo, exec_lo, s1
	s_and_saveexec_b32 s1, vcc_lo
	s_cbranch_execz .LBB53_181
.LBB53_318:
	ds_load_b32 v66, v64 offset:128
	s_wait_dscnt 0x0
	v_add_f32_e32 v9, v9, v66
	s_wait_alu 0xfffe
	s_or_b32 exec_lo, exec_lo, s1
	s_and_saveexec_b32 s1, vcc_lo
	s_cbranch_execz .LBB53_182
.LBB53_319:
	ds_load_b32 v66, v64 offset:144
	s_wait_dscnt 0x0
	v_add_f32_e32 v10, v10, v66
	s_wait_alu 0xfffe
	s_or_b32 exec_lo, exec_lo, s1
	s_and_saveexec_b32 s1, vcc_lo
	s_cbranch_execz .LBB53_183
.LBB53_320:
	ds_load_b32 v66, v64 offset:160
	s_wait_dscnt 0x0
	v_add_f32_e32 v11, v11, v66
	s_wait_alu 0xfffe
	s_or_b32 exec_lo, exec_lo, s1
	s_and_saveexec_b32 s1, vcc_lo
	s_cbranch_execz .LBB53_184
.LBB53_321:
	ds_load_b32 v66, v64 offset:176
	s_wait_dscnt 0x0
	v_add_f32_e32 v12, v12, v66
	s_wait_alu 0xfffe
	s_or_b32 exec_lo, exec_lo, s1
	s_and_saveexec_b32 s1, vcc_lo
	s_cbranch_execz .LBB53_185
.LBB53_322:
	ds_load_b32 v66, v64 offset:192
	s_wait_dscnt 0x0
	v_add_f32_e32 v13, v13, v66
	s_wait_alu 0xfffe
	s_or_b32 exec_lo, exec_lo, s1
	s_and_saveexec_b32 s1, vcc_lo
	s_cbranch_execz .LBB53_186
.LBB53_323:
	ds_load_b32 v66, v64 offset:208
	s_wait_dscnt 0x0
	v_add_f32_e32 v14, v14, v66
	s_wait_alu 0xfffe
	s_or_b32 exec_lo, exec_lo, s1
	s_and_saveexec_b32 s1, vcc_lo
	s_cbranch_execz .LBB53_187
.LBB53_324:
	ds_load_b32 v66, v64 offset:224
	s_wait_dscnt 0x0
	v_add_f32_e32 v15, v15, v66
	s_wait_alu 0xfffe
	s_or_b32 exec_lo, exec_lo, s1
	s_and_saveexec_b32 s1, vcc_lo
	s_cbranch_execz .LBB53_188
.LBB53_325:
	ds_load_b32 v66, v64 offset:240
	s_wait_dscnt 0x0
	v_add_f32_e32 v16, v16, v66
	s_wait_alu 0xfffe
	s_or_b32 exec_lo, exec_lo, s1
	s_and_saveexec_b32 s1, vcc_lo
	s_cbranch_execz .LBB53_189
.LBB53_326:
	ds_load_b32 v66, v64 offset:256
	s_wait_dscnt 0x0
	v_add_f32_e32 v17, v17, v66
	s_wait_alu 0xfffe
	s_or_b32 exec_lo, exec_lo, s1
	s_and_saveexec_b32 s1, vcc_lo
	s_cbranch_execz .LBB53_190
.LBB53_327:
	ds_load_b32 v66, v64 offset:272
	s_wait_dscnt 0x0
	v_add_f32_e32 v18, v18, v66
	s_wait_alu 0xfffe
	s_or_b32 exec_lo, exec_lo, s1
	s_and_saveexec_b32 s1, vcc_lo
	s_cbranch_execz .LBB53_191
.LBB53_328:
	ds_load_b32 v66, v64 offset:288
	s_wait_dscnt 0x0
	v_add_f32_e32 v19, v19, v66
	s_wait_alu 0xfffe
	s_or_b32 exec_lo, exec_lo, s1
	s_and_saveexec_b32 s1, vcc_lo
	s_cbranch_execz .LBB53_192
.LBB53_329:
	ds_load_b32 v66, v64 offset:304
	s_wait_dscnt 0x0
	v_add_f32_e32 v20, v20, v66
	s_wait_alu 0xfffe
	s_or_b32 exec_lo, exec_lo, s1
	s_and_saveexec_b32 s1, vcc_lo
	s_cbranch_execz .LBB53_193
.LBB53_330:
	ds_load_b32 v66, v64 offset:320
	s_wait_dscnt 0x0
	v_add_f32_e32 v21, v21, v66
	s_wait_alu 0xfffe
	s_or_b32 exec_lo, exec_lo, s1
	s_and_saveexec_b32 s1, vcc_lo
	s_cbranch_execz .LBB53_194
.LBB53_331:
	ds_load_b32 v66, v64 offset:336
	s_wait_dscnt 0x0
	v_add_f32_e32 v22, v22, v66
	s_wait_alu 0xfffe
	s_or_b32 exec_lo, exec_lo, s1
	s_and_saveexec_b32 s1, vcc_lo
	s_cbranch_execz .LBB53_195
.LBB53_332:
	ds_load_b32 v66, v64 offset:352
	s_wait_dscnt 0x0
	v_add_f32_e32 v23, v23, v66
	s_wait_alu 0xfffe
	s_or_b32 exec_lo, exec_lo, s1
	s_and_saveexec_b32 s1, vcc_lo
	s_cbranch_execz .LBB53_196
.LBB53_333:
	ds_load_b32 v66, v64 offset:368
	s_wait_dscnt 0x0
	v_add_f32_e32 v24, v24, v66
	s_wait_alu 0xfffe
	s_or_b32 exec_lo, exec_lo, s1
	s_and_saveexec_b32 s1, vcc_lo
	s_cbranch_execz .LBB53_197
.LBB53_334:
	ds_load_b32 v66, v64 offset:384
	s_wait_dscnt 0x0
	v_add_f32_e32 v25, v25, v66
	s_wait_alu 0xfffe
	s_or_b32 exec_lo, exec_lo, s1
	s_and_saveexec_b32 s1, vcc_lo
	s_cbranch_execz .LBB53_198
.LBB53_335:
	ds_load_b32 v66, v64 offset:400
	s_wait_dscnt 0x0
	v_add_f32_e32 v26, v26, v66
	s_wait_alu 0xfffe
	s_or_b32 exec_lo, exec_lo, s1
	s_and_saveexec_b32 s1, vcc_lo
	s_cbranch_execz .LBB53_199
.LBB53_336:
	ds_load_b32 v66, v64 offset:416
	s_wait_dscnt 0x0
	v_add_f32_e32 v27, v27, v66
	s_wait_alu 0xfffe
	s_or_b32 exec_lo, exec_lo, s1
	s_and_saveexec_b32 s1, vcc_lo
	s_cbranch_execz .LBB53_200
.LBB53_337:
	ds_load_b32 v66, v64 offset:432
	s_wait_dscnt 0x0
	v_add_f32_e32 v28, v28, v66
	s_wait_alu 0xfffe
	s_or_b32 exec_lo, exec_lo, s1
	s_and_saveexec_b32 s1, vcc_lo
	s_cbranch_execz .LBB53_201
.LBB53_338:
	ds_load_b32 v66, v64 offset:448
	s_wait_dscnt 0x0
	v_add_f32_e32 v29, v29, v66
	s_wait_alu 0xfffe
	s_or_b32 exec_lo, exec_lo, s1
	s_and_saveexec_b32 s1, vcc_lo
	s_cbranch_execz .LBB53_202
.LBB53_339:
	ds_load_b32 v66, v64 offset:464
	s_wait_dscnt 0x0
	v_add_f32_e32 v30, v30, v66
	s_wait_alu 0xfffe
	s_or_b32 exec_lo, exec_lo, s1
	s_and_saveexec_b32 s1, vcc_lo
	s_cbranch_execz .LBB53_203
.LBB53_340:
	ds_load_b32 v66, v64 offset:480
	s_wait_dscnt 0x0
	v_add_f32_e32 v31, v31, v66
	s_wait_alu 0xfffe
	s_or_b32 exec_lo, exec_lo, s1
	s_and_saveexec_b32 s1, vcc_lo
	s_cbranch_execz .LBB53_204
.LBB53_341:
	ds_load_b32 v66, v64 offset:496
	s_wait_dscnt 0x0
	v_add_f32_e32 v32, v32, v66
	s_wait_alu 0xfffe
	s_or_b32 exec_lo, exec_lo, s1
	s_and_saveexec_b32 s1, vcc_lo
	s_cbranch_execz .LBB53_205
.LBB53_342:
	ds_load_b32 v66, v64 offset:512
	s_wait_dscnt 0x0
	v_add_f32_e32 v33, v33, v66
	s_wait_alu 0xfffe
	s_or_b32 exec_lo, exec_lo, s1
	s_and_saveexec_b32 s1, vcc_lo
	s_cbranch_execz .LBB53_206
.LBB53_343:
	ds_load_b32 v66, v64 offset:528
	s_wait_dscnt 0x0
	v_add_f32_e32 v34, v34, v66
	s_wait_alu 0xfffe
	s_or_b32 exec_lo, exec_lo, s1
	s_and_saveexec_b32 s1, vcc_lo
	s_cbranch_execz .LBB53_207
.LBB53_344:
	ds_load_b32 v66, v64 offset:544
	s_wait_dscnt 0x0
	v_add_f32_e32 v35, v35, v66
	s_wait_alu 0xfffe
	s_or_b32 exec_lo, exec_lo, s1
	s_and_saveexec_b32 s1, vcc_lo
	s_cbranch_execz .LBB53_208
.LBB53_345:
	ds_load_b32 v66, v64 offset:560
	s_wait_dscnt 0x0
	v_add_f32_e32 v36, v36, v66
	s_wait_alu 0xfffe
	s_or_b32 exec_lo, exec_lo, s1
	s_and_saveexec_b32 s1, vcc_lo
	s_cbranch_execz .LBB53_209
.LBB53_346:
	ds_load_b32 v66, v64 offset:576
	s_wait_dscnt 0x0
	v_add_f32_e32 v37, v37, v66
	s_wait_alu 0xfffe
	s_or_b32 exec_lo, exec_lo, s1
	s_and_saveexec_b32 s1, vcc_lo
	s_cbranch_execz .LBB53_210
.LBB53_347:
	ds_load_b32 v66, v64 offset:592
	s_wait_dscnt 0x0
	v_add_f32_e32 v38, v38, v66
	s_wait_alu 0xfffe
	s_or_b32 exec_lo, exec_lo, s1
	s_and_saveexec_b32 s1, vcc_lo
	s_cbranch_execz .LBB53_211
.LBB53_348:
	ds_load_b32 v66, v64 offset:608
	s_wait_dscnt 0x0
	v_add_f32_e32 v39, v39, v66
	s_wait_alu 0xfffe
	s_or_b32 exec_lo, exec_lo, s1
	s_and_saveexec_b32 s1, vcc_lo
	s_cbranch_execz .LBB53_212
.LBB53_349:
	ds_load_b32 v66, v64 offset:624
	s_wait_dscnt 0x0
	v_add_f32_e32 v40, v40, v66
	s_wait_alu 0xfffe
	s_or_b32 exec_lo, exec_lo, s1
	s_and_saveexec_b32 s1, vcc_lo
	s_cbranch_execz .LBB53_213
.LBB53_350:
	ds_load_b32 v66, v64 offset:640
	s_wait_dscnt 0x0
	v_add_f32_e32 v41, v41, v66
	s_wait_alu 0xfffe
	s_or_b32 exec_lo, exec_lo, s1
	s_and_saveexec_b32 s1, vcc_lo
	s_cbranch_execz .LBB53_214
.LBB53_351:
	ds_load_b32 v66, v64 offset:656
	s_wait_dscnt 0x0
	v_add_f32_e32 v42, v42, v66
	s_wait_alu 0xfffe
	s_or_b32 exec_lo, exec_lo, s1
	s_and_saveexec_b32 s1, vcc_lo
	s_cbranch_execz .LBB53_215
.LBB53_352:
	ds_load_b32 v66, v64 offset:672
	s_wait_dscnt 0x0
	v_add_f32_e32 v43, v43, v66
	s_wait_alu 0xfffe
	s_or_b32 exec_lo, exec_lo, s1
	s_and_saveexec_b32 s1, vcc_lo
	s_cbranch_execz .LBB53_216
.LBB53_353:
	ds_load_b32 v66, v64 offset:688
	s_wait_dscnt 0x0
	v_add_f32_e32 v44, v44, v66
	s_wait_alu 0xfffe
	s_or_b32 exec_lo, exec_lo, s1
	s_and_saveexec_b32 s1, vcc_lo
	s_cbranch_execz .LBB53_217
.LBB53_354:
	ds_load_b32 v66, v64 offset:704
	s_wait_dscnt 0x0
	v_add_f32_e32 v45, v45, v66
	s_wait_alu 0xfffe
	s_or_b32 exec_lo, exec_lo, s1
	s_and_saveexec_b32 s1, vcc_lo
	s_cbranch_execz .LBB53_218
.LBB53_355:
	ds_load_b32 v66, v64 offset:720
	s_wait_dscnt 0x0
	v_add_f32_e32 v46, v46, v66
	s_wait_alu 0xfffe
	s_or_b32 exec_lo, exec_lo, s1
	s_and_saveexec_b32 s1, vcc_lo
	s_cbranch_execz .LBB53_219
.LBB53_356:
	ds_load_b32 v66, v64 offset:736
	s_wait_dscnt 0x0
	v_add_f32_e32 v47, v47, v66
	s_wait_alu 0xfffe
	s_or_b32 exec_lo, exec_lo, s1
	s_and_saveexec_b32 s1, vcc_lo
	s_cbranch_execz .LBB53_220
.LBB53_357:
	ds_load_b32 v66, v64 offset:752
	s_wait_dscnt 0x0
	v_add_f32_e32 v0, v0, v66
	s_wait_alu 0xfffe
	s_or_b32 exec_lo, exec_lo, s1
	s_and_saveexec_b32 s1, vcc_lo
	s_cbranch_execz .LBB53_221
.LBB53_358:
	ds_load_b32 v66, v64 offset:768
	s_wait_dscnt 0x0
	v_add_f32_e32 v48, v48, v66
	s_wait_alu 0xfffe
	s_or_b32 exec_lo, exec_lo, s1
	s_and_saveexec_b32 s1, vcc_lo
	s_cbranch_execz .LBB53_222
.LBB53_359:
	ds_load_b32 v66, v64 offset:784
	s_wait_dscnt 0x0
	v_add_f32_e32 v49, v49, v66
	s_wait_alu 0xfffe
	s_or_b32 exec_lo, exec_lo, s1
	s_and_saveexec_b32 s1, vcc_lo
	s_cbranch_execz .LBB53_223
.LBB53_360:
	ds_load_b32 v66, v64 offset:800
	s_wait_dscnt 0x0
	v_add_f32_e32 v50, v50, v66
	s_wait_alu 0xfffe
	s_or_b32 exec_lo, exec_lo, s1
	s_and_saveexec_b32 s1, vcc_lo
	s_cbranch_execz .LBB53_224
.LBB53_361:
	ds_load_b32 v66, v64 offset:816
	s_wait_dscnt 0x0
	v_add_f32_e32 v51, v51, v66
	s_wait_alu 0xfffe
	s_or_b32 exec_lo, exec_lo, s1
	s_and_saveexec_b32 s1, vcc_lo
	s_cbranch_execz .LBB53_225
.LBB53_362:
	ds_load_b32 v66, v64 offset:832
	s_wait_dscnt 0x0
	v_add_f32_e32 v52, v52, v66
	s_wait_alu 0xfffe
	s_or_b32 exec_lo, exec_lo, s1
	s_and_saveexec_b32 s1, vcc_lo
	s_cbranch_execz .LBB53_226
.LBB53_363:
	ds_load_b32 v66, v64 offset:848
	s_wait_dscnt 0x0
	v_add_f32_e32 v53, v53, v66
	s_wait_alu 0xfffe
	s_or_b32 exec_lo, exec_lo, s1
	s_and_saveexec_b32 s1, vcc_lo
	s_cbranch_execz .LBB53_227
.LBB53_364:
	ds_load_b32 v66, v64 offset:864
	s_wait_dscnt 0x0
	v_add_f32_e32 v54, v54, v66
	s_wait_alu 0xfffe
	s_or_b32 exec_lo, exec_lo, s1
	s_and_saveexec_b32 s1, vcc_lo
	s_cbranch_execz .LBB53_228
.LBB53_365:
	ds_load_b32 v66, v64 offset:880
	s_wait_dscnt 0x0
	v_add_f32_e32 v55, v55, v66
	s_wait_alu 0xfffe
	s_or_b32 exec_lo, exec_lo, s1
	s_and_saveexec_b32 s1, vcc_lo
	s_cbranch_execz .LBB53_229
.LBB53_366:
	ds_load_b32 v66, v64 offset:896
	s_wait_dscnt 0x0
	v_add_f32_e32 v56, v56, v66
	s_wait_alu 0xfffe
	s_or_b32 exec_lo, exec_lo, s1
	s_and_saveexec_b32 s1, vcc_lo
	s_cbranch_execz .LBB53_230
.LBB53_367:
	ds_load_b32 v66, v64 offset:912
	s_wait_dscnt 0x0
	v_add_f32_e32 v57, v57, v66
	s_wait_alu 0xfffe
	s_or_b32 exec_lo, exec_lo, s1
	s_and_saveexec_b32 s1, vcc_lo
	s_cbranch_execz .LBB53_231
.LBB53_368:
	ds_load_b32 v66, v64 offset:928
	s_wait_dscnt 0x0
	v_add_f32_e32 v58, v58, v66
	s_wait_alu 0xfffe
	s_or_b32 exec_lo, exec_lo, s1
	s_and_saveexec_b32 s1, vcc_lo
	s_cbranch_execz .LBB53_232
.LBB53_369:
	ds_load_b32 v66, v64 offset:944
	s_wait_dscnt 0x0
	v_add_f32_e32 v59, v59, v66
	s_wait_alu 0xfffe
	s_or_b32 exec_lo, exec_lo, s1
	s_and_saveexec_b32 s1, vcc_lo
	s_cbranch_execz .LBB53_233
.LBB53_370:
	ds_load_b32 v66, v64 offset:960
	s_wait_dscnt 0x0
	v_add_f32_e32 v60, v60, v66
	s_wait_alu 0xfffe
	s_or_b32 exec_lo, exec_lo, s1
	s_and_saveexec_b32 s1, vcc_lo
	s_cbranch_execz .LBB53_234
.LBB53_371:
	ds_load_b32 v66, v64 offset:976
	s_wait_dscnt 0x0
	v_add_f32_e32 v61, v61, v66
	s_wait_alu 0xfffe
	s_or_b32 exec_lo, exec_lo, s1
	s_and_saveexec_b32 s1, vcc_lo
	s_cbranch_execz .LBB53_235
.LBB53_372:
	ds_load_b32 v66, v64 offset:992
	s_wait_dscnt 0x0
	v_add_f32_e32 v62, v62, v66
	s_wait_alu 0xfffe
	s_or_b32 exec_lo, exec_lo, s1
	s_and_saveexec_b32 s1, vcc_lo
	s_cbranch_execnz .LBB53_236
	s_branch .LBB53_237
.LBB53_373:
	ds_load_b32 v65, v64
	s_wait_dscnt 0x0
	v_add_f32_e32 v1, v1, v65
	s_wait_alu 0xfffe
	s_or_b32 exec_lo, exec_lo, s0
	s_and_saveexec_b32 s0, vcc_lo
	s_cbranch_execz .LBB53_243
.LBB53_374:
	ds_load_b32 v65, v64 offset:16
	s_wait_dscnt 0x0
	v_add_f32_e32 v2, v2, v65
	s_wait_alu 0xfffe
	s_or_b32 exec_lo, exec_lo, s0
	s_and_saveexec_b32 s0, vcc_lo
	s_cbranch_execz .LBB53_244
.LBB53_375:
	ds_load_b32 v65, v64 offset:32
	s_wait_dscnt 0x0
	v_add_f32_e32 v3, v3, v65
	s_wait_alu 0xfffe
	s_or_b32 exec_lo, exec_lo, s0
	s_and_saveexec_b32 s0, vcc_lo
	s_cbranch_execz .LBB53_245
.LBB53_376:
	ds_load_b32 v65, v64 offset:48
	s_wait_dscnt 0x0
	v_add_f32_e32 v4, v4, v65
	s_wait_alu 0xfffe
	s_or_b32 exec_lo, exec_lo, s0
	s_and_saveexec_b32 s0, vcc_lo
	s_cbranch_execz .LBB53_246
.LBB53_377:
	ds_load_b32 v65, v64 offset:64
	s_wait_dscnt 0x0
	v_add_f32_e32 v5, v5, v65
	s_wait_alu 0xfffe
	s_or_b32 exec_lo, exec_lo, s0
	s_and_saveexec_b32 s0, vcc_lo
	s_cbranch_execz .LBB53_247
.LBB53_378:
	ds_load_b32 v65, v64 offset:80
	s_wait_dscnt 0x0
	v_add_f32_e32 v6, v6, v65
	s_wait_alu 0xfffe
	s_or_b32 exec_lo, exec_lo, s0
	s_and_saveexec_b32 s0, vcc_lo
	s_cbranch_execz .LBB53_248
.LBB53_379:
	ds_load_b32 v65, v64 offset:96
	s_wait_dscnt 0x0
	v_add_f32_e32 v7, v7, v65
	s_wait_alu 0xfffe
	s_or_b32 exec_lo, exec_lo, s0
	s_and_saveexec_b32 s0, vcc_lo
	s_cbranch_execz .LBB53_249
.LBB53_380:
	ds_load_b32 v65, v64 offset:112
	s_wait_dscnt 0x0
	v_add_f32_e32 v8, v8, v65
	s_wait_alu 0xfffe
	s_or_b32 exec_lo, exec_lo, s0
	s_and_saveexec_b32 s0, vcc_lo
	s_cbranch_execz .LBB53_250
.LBB53_381:
	ds_load_b32 v65, v64 offset:128
	s_wait_dscnt 0x0
	v_add_f32_e32 v9, v9, v65
	s_wait_alu 0xfffe
	s_or_b32 exec_lo, exec_lo, s0
	s_and_saveexec_b32 s0, vcc_lo
	s_cbranch_execz .LBB53_251
.LBB53_382:
	ds_load_b32 v65, v64 offset:144
	s_wait_dscnt 0x0
	v_add_f32_e32 v10, v10, v65
	s_wait_alu 0xfffe
	s_or_b32 exec_lo, exec_lo, s0
	s_and_saveexec_b32 s0, vcc_lo
	s_cbranch_execz .LBB53_252
.LBB53_383:
	ds_load_b32 v65, v64 offset:160
	s_wait_dscnt 0x0
	v_add_f32_e32 v11, v11, v65
	s_wait_alu 0xfffe
	s_or_b32 exec_lo, exec_lo, s0
	s_and_saveexec_b32 s0, vcc_lo
	s_cbranch_execz .LBB53_253
.LBB53_384:
	ds_load_b32 v65, v64 offset:176
	s_wait_dscnt 0x0
	v_add_f32_e32 v12, v12, v65
	s_wait_alu 0xfffe
	s_or_b32 exec_lo, exec_lo, s0
	s_and_saveexec_b32 s0, vcc_lo
	s_cbranch_execz .LBB53_254
.LBB53_385:
	ds_load_b32 v65, v64 offset:192
	s_wait_dscnt 0x0
	v_add_f32_e32 v13, v13, v65
	s_wait_alu 0xfffe
	s_or_b32 exec_lo, exec_lo, s0
	s_and_saveexec_b32 s0, vcc_lo
	s_cbranch_execz .LBB53_255
.LBB53_386:
	ds_load_b32 v65, v64 offset:208
	s_wait_dscnt 0x0
	v_add_f32_e32 v14, v14, v65
	s_wait_alu 0xfffe
	s_or_b32 exec_lo, exec_lo, s0
	s_and_saveexec_b32 s0, vcc_lo
	s_cbranch_execz .LBB53_256
.LBB53_387:
	ds_load_b32 v65, v64 offset:224
	s_wait_dscnt 0x0
	v_add_f32_e32 v15, v15, v65
	s_wait_alu 0xfffe
	s_or_b32 exec_lo, exec_lo, s0
	s_and_saveexec_b32 s0, vcc_lo
	s_cbranch_execz .LBB53_257
.LBB53_388:
	ds_load_b32 v65, v64 offset:240
	s_wait_dscnt 0x0
	v_add_f32_e32 v16, v16, v65
	s_wait_alu 0xfffe
	s_or_b32 exec_lo, exec_lo, s0
	s_and_saveexec_b32 s0, vcc_lo
	s_cbranch_execz .LBB53_258
.LBB53_389:
	ds_load_b32 v65, v64 offset:256
	s_wait_dscnt 0x0
	v_add_f32_e32 v17, v17, v65
	s_wait_alu 0xfffe
	s_or_b32 exec_lo, exec_lo, s0
	s_and_saveexec_b32 s0, vcc_lo
	s_cbranch_execz .LBB53_259
.LBB53_390:
	ds_load_b32 v65, v64 offset:272
	s_wait_dscnt 0x0
	v_add_f32_e32 v18, v18, v65
	s_wait_alu 0xfffe
	s_or_b32 exec_lo, exec_lo, s0
	s_and_saveexec_b32 s0, vcc_lo
	s_cbranch_execz .LBB53_260
.LBB53_391:
	ds_load_b32 v65, v64 offset:288
	s_wait_dscnt 0x0
	v_add_f32_e32 v19, v19, v65
	s_wait_alu 0xfffe
	s_or_b32 exec_lo, exec_lo, s0
	s_and_saveexec_b32 s0, vcc_lo
	s_cbranch_execz .LBB53_261
.LBB53_392:
	ds_load_b32 v65, v64 offset:304
	s_wait_dscnt 0x0
	v_add_f32_e32 v20, v20, v65
	s_wait_alu 0xfffe
	s_or_b32 exec_lo, exec_lo, s0
	s_and_saveexec_b32 s0, vcc_lo
	s_cbranch_execz .LBB53_262
.LBB53_393:
	ds_load_b32 v65, v64 offset:320
	s_wait_dscnt 0x0
	v_add_f32_e32 v21, v21, v65
	s_wait_alu 0xfffe
	s_or_b32 exec_lo, exec_lo, s0
	s_and_saveexec_b32 s0, vcc_lo
	s_cbranch_execz .LBB53_263
.LBB53_394:
	ds_load_b32 v65, v64 offset:336
	s_wait_dscnt 0x0
	v_add_f32_e32 v22, v22, v65
	s_wait_alu 0xfffe
	s_or_b32 exec_lo, exec_lo, s0
	s_and_saveexec_b32 s0, vcc_lo
	s_cbranch_execz .LBB53_264
.LBB53_395:
	ds_load_b32 v65, v64 offset:352
	s_wait_dscnt 0x0
	v_add_f32_e32 v23, v23, v65
	s_wait_alu 0xfffe
	s_or_b32 exec_lo, exec_lo, s0
	s_and_saveexec_b32 s0, vcc_lo
	s_cbranch_execz .LBB53_265
.LBB53_396:
	ds_load_b32 v65, v64 offset:368
	s_wait_dscnt 0x0
	v_add_f32_e32 v24, v24, v65
	s_wait_alu 0xfffe
	s_or_b32 exec_lo, exec_lo, s0
	s_and_saveexec_b32 s0, vcc_lo
	s_cbranch_execz .LBB53_266
.LBB53_397:
	ds_load_b32 v65, v64 offset:384
	s_wait_dscnt 0x0
	v_add_f32_e32 v25, v25, v65
	s_wait_alu 0xfffe
	s_or_b32 exec_lo, exec_lo, s0
	s_and_saveexec_b32 s0, vcc_lo
	s_cbranch_execz .LBB53_267
.LBB53_398:
	ds_load_b32 v65, v64 offset:400
	s_wait_dscnt 0x0
	v_add_f32_e32 v26, v26, v65
	s_wait_alu 0xfffe
	s_or_b32 exec_lo, exec_lo, s0
	s_and_saveexec_b32 s0, vcc_lo
	s_cbranch_execz .LBB53_268
.LBB53_399:
	ds_load_b32 v65, v64 offset:416
	s_wait_dscnt 0x0
	v_add_f32_e32 v27, v27, v65
	s_wait_alu 0xfffe
	s_or_b32 exec_lo, exec_lo, s0
	s_and_saveexec_b32 s0, vcc_lo
	s_cbranch_execz .LBB53_269
.LBB53_400:
	ds_load_b32 v65, v64 offset:432
	s_wait_dscnt 0x0
	v_add_f32_e32 v28, v28, v65
	s_wait_alu 0xfffe
	s_or_b32 exec_lo, exec_lo, s0
	s_and_saveexec_b32 s0, vcc_lo
	s_cbranch_execz .LBB53_270
.LBB53_401:
	ds_load_b32 v65, v64 offset:448
	s_wait_dscnt 0x0
	v_add_f32_e32 v29, v29, v65
	s_wait_alu 0xfffe
	s_or_b32 exec_lo, exec_lo, s0
	s_and_saveexec_b32 s0, vcc_lo
	s_cbranch_execz .LBB53_271
.LBB53_402:
	ds_load_b32 v65, v64 offset:464
	s_wait_dscnt 0x0
	v_add_f32_e32 v30, v30, v65
	s_wait_alu 0xfffe
	s_or_b32 exec_lo, exec_lo, s0
	s_and_saveexec_b32 s0, vcc_lo
	s_cbranch_execz .LBB53_272
.LBB53_403:
	ds_load_b32 v65, v64 offset:480
	s_wait_dscnt 0x0
	v_add_f32_e32 v31, v31, v65
	s_wait_alu 0xfffe
	s_or_b32 exec_lo, exec_lo, s0
	s_and_saveexec_b32 s0, vcc_lo
	s_cbranch_execz .LBB53_273
.LBB53_404:
	ds_load_b32 v65, v64 offset:496
	s_wait_dscnt 0x0
	v_add_f32_e32 v32, v32, v65
	s_wait_alu 0xfffe
	s_or_b32 exec_lo, exec_lo, s0
	s_and_saveexec_b32 s0, vcc_lo
	s_cbranch_execz .LBB53_274
.LBB53_405:
	ds_load_b32 v65, v64 offset:512
	s_wait_dscnt 0x0
	v_add_f32_e32 v33, v33, v65
	s_wait_alu 0xfffe
	s_or_b32 exec_lo, exec_lo, s0
	s_and_saveexec_b32 s0, vcc_lo
	s_cbranch_execz .LBB53_275
.LBB53_406:
	ds_load_b32 v65, v64 offset:528
	s_wait_dscnt 0x0
	v_add_f32_e32 v34, v34, v65
	s_wait_alu 0xfffe
	s_or_b32 exec_lo, exec_lo, s0
	s_and_saveexec_b32 s0, vcc_lo
	s_cbranch_execz .LBB53_276
.LBB53_407:
	ds_load_b32 v65, v64 offset:544
	s_wait_dscnt 0x0
	v_add_f32_e32 v35, v35, v65
	s_wait_alu 0xfffe
	s_or_b32 exec_lo, exec_lo, s0
	s_and_saveexec_b32 s0, vcc_lo
	s_cbranch_execz .LBB53_277
.LBB53_408:
	ds_load_b32 v65, v64 offset:560
	s_wait_dscnt 0x0
	v_add_f32_e32 v36, v36, v65
	s_wait_alu 0xfffe
	s_or_b32 exec_lo, exec_lo, s0
	s_and_saveexec_b32 s0, vcc_lo
	s_cbranch_execz .LBB53_278
.LBB53_409:
	ds_load_b32 v65, v64 offset:576
	s_wait_dscnt 0x0
	v_add_f32_e32 v37, v37, v65
	s_wait_alu 0xfffe
	s_or_b32 exec_lo, exec_lo, s0
	s_and_saveexec_b32 s0, vcc_lo
	s_cbranch_execz .LBB53_279
.LBB53_410:
	ds_load_b32 v65, v64 offset:592
	s_wait_dscnt 0x0
	v_add_f32_e32 v38, v38, v65
	s_wait_alu 0xfffe
	s_or_b32 exec_lo, exec_lo, s0
	s_and_saveexec_b32 s0, vcc_lo
	s_cbranch_execz .LBB53_280
.LBB53_411:
	ds_load_b32 v65, v64 offset:608
	s_wait_dscnt 0x0
	v_add_f32_e32 v39, v39, v65
	s_wait_alu 0xfffe
	s_or_b32 exec_lo, exec_lo, s0
	s_and_saveexec_b32 s0, vcc_lo
	s_cbranch_execz .LBB53_281
.LBB53_412:
	ds_load_b32 v65, v64 offset:624
	s_wait_dscnt 0x0
	v_add_f32_e32 v40, v40, v65
	s_wait_alu 0xfffe
	s_or_b32 exec_lo, exec_lo, s0
	s_and_saveexec_b32 s0, vcc_lo
	s_cbranch_execz .LBB53_282
.LBB53_413:
	ds_load_b32 v65, v64 offset:640
	s_wait_dscnt 0x0
	v_add_f32_e32 v41, v41, v65
	s_wait_alu 0xfffe
	s_or_b32 exec_lo, exec_lo, s0
	s_and_saveexec_b32 s0, vcc_lo
	s_cbranch_execz .LBB53_283
.LBB53_414:
	ds_load_b32 v65, v64 offset:656
	s_wait_dscnt 0x0
	v_add_f32_e32 v42, v42, v65
	s_wait_alu 0xfffe
	s_or_b32 exec_lo, exec_lo, s0
	s_and_saveexec_b32 s0, vcc_lo
	s_cbranch_execz .LBB53_284
.LBB53_415:
	ds_load_b32 v65, v64 offset:672
	s_wait_dscnt 0x0
	v_add_f32_e32 v43, v43, v65
	s_wait_alu 0xfffe
	s_or_b32 exec_lo, exec_lo, s0
	s_and_saveexec_b32 s0, vcc_lo
	s_cbranch_execz .LBB53_285
.LBB53_416:
	ds_load_b32 v65, v64 offset:688
	s_wait_dscnt 0x0
	v_add_f32_e32 v44, v44, v65
	s_wait_alu 0xfffe
	s_or_b32 exec_lo, exec_lo, s0
	s_and_saveexec_b32 s0, vcc_lo
	s_cbranch_execz .LBB53_286
.LBB53_417:
	ds_load_b32 v65, v64 offset:704
	s_wait_dscnt 0x0
	v_add_f32_e32 v45, v45, v65
	s_wait_alu 0xfffe
	s_or_b32 exec_lo, exec_lo, s0
	s_and_saveexec_b32 s0, vcc_lo
	s_cbranch_execz .LBB53_287
.LBB53_418:
	ds_load_b32 v65, v64 offset:720
	s_wait_dscnt 0x0
	v_add_f32_e32 v46, v46, v65
	s_wait_alu 0xfffe
	s_or_b32 exec_lo, exec_lo, s0
	s_and_saveexec_b32 s0, vcc_lo
	s_cbranch_execz .LBB53_288
.LBB53_419:
	ds_load_b32 v65, v64 offset:736
	s_wait_dscnt 0x0
	v_add_f32_e32 v47, v47, v65
	s_wait_alu 0xfffe
	s_or_b32 exec_lo, exec_lo, s0
	s_and_saveexec_b32 s0, vcc_lo
	s_cbranch_execz .LBB53_289
.LBB53_420:
	ds_load_b32 v65, v64 offset:752
	s_wait_dscnt 0x0
	v_add_f32_e32 v0, v0, v65
	s_wait_alu 0xfffe
	s_or_b32 exec_lo, exec_lo, s0
	s_and_saveexec_b32 s0, vcc_lo
	s_cbranch_execz .LBB53_290
.LBB53_421:
	ds_load_b32 v65, v64 offset:768
	s_wait_dscnt 0x0
	v_add_f32_e32 v48, v48, v65
	s_wait_alu 0xfffe
	s_or_b32 exec_lo, exec_lo, s0
	s_and_saveexec_b32 s0, vcc_lo
	s_cbranch_execz .LBB53_291
.LBB53_422:
	ds_load_b32 v65, v64 offset:784
	s_wait_dscnt 0x0
	v_add_f32_e32 v49, v49, v65
	s_wait_alu 0xfffe
	s_or_b32 exec_lo, exec_lo, s0
	s_and_saveexec_b32 s0, vcc_lo
	s_cbranch_execz .LBB53_292
.LBB53_423:
	ds_load_b32 v65, v64 offset:800
	s_wait_dscnt 0x0
	v_add_f32_e32 v50, v50, v65
	s_wait_alu 0xfffe
	s_or_b32 exec_lo, exec_lo, s0
	s_and_saveexec_b32 s0, vcc_lo
	s_cbranch_execz .LBB53_293
.LBB53_424:
	ds_load_b32 v65, v64 offset:816
	s_wait_dscnt 0x0
	v_add_f32_e32 v51, v51, v65
	s_wait_alu 0xfffe
	s_or_b32 exec_lo, exec_lo, s0
	s_and_saveexec_b32 s0, vcc_lo
	s_cbranch_execz .LBB53_294
.LBB53_425:
	ds_load_b32 v65, v64 offset:832
	s_wait_dscnt 0x0
	v_add_f32_e32 v52, v52, v65
	s_wait_alu 0xfffe
	s_or_b32 exec_lo, exec_lo, s0
	s_and_saveexec_b32 s0, vcc_lo
	s_cbranch_execz .LBB53_295
.LBB53_426:
	ds_load_b32 v65, v64 offset:848
	s_wait_dscnt 0x0
	v_add_f32_e32 v53, v53, v65
	s_wait_alu 0xfffe
	s_or_b32 exec_lo, exec_lo, s0
	s_and_saveexec_b32 s0, vcc_lo
	s_cbranch_execz .LBB53_296
.LBB53_427:
	ds_load_b32 v65, v64 offset:864
	s_wait_dscnt 0x0
	v_add_f32_e32 v54, v54, v65
	s_wait_alu 0xfffe
	s_or_b32 exec_lo, exec_lo, s0
	s_and_saveexec_b32 s0, vcc_lo
	s_cbranch_execz .LBB53_297
.LBB53_428:
	ds_load_b32 v65, v64 offset:880
	s_wait_dscnt 0x0
	v_add_f32_e32 v55, v55, v65
	s_wait_alu 0xfffe
	s_or_b32 exec_lo, exec_lo, s0
	s_and_saveexec_b32 s0, vcc_lo
	s_cbranch_execz .LBB53_298
.LBB53_429:
	ds_load_b32 v65, v64 offset:896
	s_wait_dscnt 0x0
	v_add_f32_e32 v56, v56, v65
	s_wait_alu 0xfffe
	s_or_b32 exec_lo, exec_lo, s0
	s_and_saveexec_b32 s0, vcc_lo
	s_cbranch_execz .LBB53_299
.LBB53_430:
	ds_load_b32 v65, v64 offset:912
	s_wait_dscnt 0x0
	v_add_f32_e32 v57, v57, v65
	s_wait_alu 0xfffe
	s_or_b32 exec_lo, exec_lo, s0
	s_and_saveexec_b32 s0, vcc_lo
	s_cbranch_execz .LBB53_300
.LBB53_431:
	ds_load_b32 v65, v64 offset:928
	s_wait_dscnt 0x0
	v_add_f32_e32 v58, v58, v65
	s_wait_alu 0xfffe
	s_or_b32 exec_lo, exec_lo, s0
	s_and_saveexec_b32 s0, vcc_lo
	s_cbranch_execz .LBB53_301
.LBB53_432:
	ds_load_b32 v65, v64 offset:944
	s_wait_dscnt 0x0
	v_add_f32_e32 v59, v59, v65
	s_wait_alu 0xfffe
	s_or_b32 exec_lo, exec_lo, s0
	s_and_saveexec_b32 s0, vcc_lo
	s_cbranch_execz .LBB53_302
.LBB53_433:
	ds_load_b32 v65, v64 offset:960
	s_wait_dscnt 0x0
	v_add_f32_e32 v60, v60, v65
	s_wait_alu 0xfffe
	s_or_b32 exec_lo, exec_lo, s0
	s_and_saveexec_b32 s0, vcc_lo
	s_cbranch_execz .LBB53_303
.LBB53_434:
	ds_load_b32 v65, v64 offset:976
	s_wait_dscnt 0x0
	v_add_f32_e32 v61, v61, v65
	s_wait_alu 0xfffe
	s_or_b32 exec_lo, exec_lo, s0
	s_and_saveexec_b32 s0, vcc_lo
	s_cbranch_execz .LBB53_304
.LBB53_435:
	ds_load_b32 v65, v64 offset:992
	s_wait_dscnt 0x0
	v_add_f32_e32 v62, v62, v65
	s_wait_alu 0xfffe
	s_or_b32 exec_lo, exec_lo, s0
	s_and_saveexec_b32 s0, vcc_lo
	s_cbranch_execnz .LBB53_305
	s_branch .LBB53_306
	.section	.rodata,"a",@progbits
	.p2align	6, 0x0
	.amdhsa_kernel _ZN4vllm25paged_attention_v2_kernelIffLi256ELi32ELi128ELNS_18Fp8KVCacheDataTypeE0ELb1ELi512EEEvPfS2_PT_PKS3_PKT0_S9_ifPKiSB_iPKfiiiSD_SD_iiiii
		.amdhsa_group_segment_fixed_size 1056
		.amdhsa_private_segment_fixed_size 656
		.amdhsa_kernarg_size 400
		.amdhsa_user_sgpr_count 2
		.amdhsa_user_sgpr_dispatch_ptr 0
		.amdhsa_user_sgpr_queue_ptr 0
		.amdhsa_user_sgpr_kernarg_segment_ptr 1
		.amdhsa_user_sgpr_dispatch_id 0
		.amdhsa_user_sgpr_private_segment_size 0
		.amdhsa_wavefront_size32 1
		.amdhsa_uses_dynamic_stack 0
		.amdhsa_enable_private_segment 1
		.amdhsa_system_sgpr_workgroup_id_x 1
		.amdhsa_system_sgpr_workgroup_id_y 1
		.amdhsa_system_sgpr_workgroup_id_z 1
		.amdhsa_system_sgpr_workgroup_info 0
		.amdhsa_system_vgpr_workitem_id 0
		.amdhsa_next_free_vgpr 192
		.amdhsa_next_free_sgpr 40
		.amdhsa_reserve_vcc 1
		.amdhsa_float_round_mode_32 0
		.amdhsa_float_round_mode_16_64 0
		.amdhsa_float_denorm_mode_32 3
		.amdhsa_float_denorm_mode_16_64 3
		.amdhsa_fp16_overflow 0
		.amdhsa_workgroup_processor_mode 1
		.amdhsa_memory_ordered 1
		.amdhsa_forward_progress 1
		.amdhsa_inst_pref_size 250
		.amdhsa_round_robin_scheduling 0
		.amdhsa_exception_fp_ieee_invalid_op 0
		.amdhsa_exception_fp_denorm_src 0
		.amdhsa_exception_fp_ieee_div_zero 0
		.amdhsa_exception_fp_ieee_overflow 0
		.amdhsa_exception_fp_ieee_underflow 0
		.amdhsa_exception_fp_ieee_inexact 0
		.amdhsa_exception_int_div_zero 0
	.end_amdhsa_kernel
	.section	.text._ZN4vllm25paged_attention_v2_kernelIffLi256ELi32ELi128ELNS_18Fp8KVCacheDataTypeE0ELb1ELi512EEEvPfS2_PT_PKS3_PKT0_S9_ifPKiSB_iPKfiiiSD_SD_iiiii,"axG",@progbits,_ZN4vllm25paged_attention_v2_kernelIffLi256ELi32ELi128ELNS_18Fp8KVCacheDataTypeE0ELb1ELi512EEEvPfS2_PT_PKS3_PKT0_S9_ifPKiSB_iPKfiiiSD_SD_iiiii,comdat
.Lfunc_end53:
	.size	_ZN4vllm25paged_attention_v2_kernelIffLi256ELi32ELi128ELNS_18Fp8KVCacheDataTypeE0ELb1ELi512EEEvPfS2_PT_PKS3_PKT0_S9_ifPKiSB_iPKfiiiSD_SD_iiiii, .Lfunc_end53-_ZN4vllm25paged_attention_v2_kernelIffLi256ELi32ELi128ELNS_18Fp8KVCacheDataTypeE0ELb1ELi512EEEvPfS2_PT_PKS3_PKT0_S9_ifPKiSB_iPKfiiiSD_SD_iiiii
                                        ; -- End function
	.set _ZN4vllm25paged_attention_v2_kernelIffLi256ELi32ELi128ELNS_18Fp8KVCacheDataTypeE0ELb1ELi512EEEvPfS2_PT_PKS3_PKT0_S9_ifPKiSB_iPKfiiiSD_SD_iiiii.num_vgpr, 192
	.set _ZN4vllm25paged_attention_v2_kernelIffLi256ELi32ELi128ELNS_18Fp8KVCacheDataTypeE0ELb1ELi512EEEvPfS2_PT_PKS3_PKT0_S9_ifPKiSB_iPKfiiiSD_SD_iiiii.num_agpr, 0
	.set _ZN4vllm25paged_attention_v2_kernelIffLi256ELi32ELi128ELNS_18Fp8KVCacheDataTypeE0ELb1ELi512EEEvPfS2_PT_PKS3_PKT0_S9_ifPKiSB_iPKfiiiSD_SD_iiiii.numbered_sgpr, 40
	.set _ZN4vllm25paged_attention_v2_kernelIffLi256ELi32ELi128ELNS_18Fp8KVCacheDataTypeE0ELb1ELi512EEEvPfS2_PT_PKS3_PKT0_S9_ifPKiSB_iPKfiiiSD_SD_iiiii.num_named_barrier, 0
	.set _ZN4vllm25paged_attention_v2_kernelIffLi256ELi32ELi128ELNS_18Fp8KVCacheDataTypeE0ELb1ELi512EEEvPfS2_PT_PKS3_PKT0_S9_ifPKiSB_iPKfiiiSD_SD_iiiii.private_seg_size, 656
	.set _ZN4vllm25paged_attention_v2_kernelIffLi256ELi32ELi128ELNS_18Fp8KVCacheDataTypeE0ELb1ELi512EEEvPfS2_PT_PKS3_PKT0_S9_ifPKiSB_iPKfiiiSD_SD_iiiii.uses_vcc, 1
	.set _ZN4vllm25paged_attention_v2_kernelIffLi256ELi32ELi128ELNS_18Fp8KVCacheDataTypeE0ELb1ELi512EEEvPfS2_PT_PKS3_PKT0_S9_ifPKiSB_iPKfiiiSD_SD_iiiii.uses_flat_scratch, 1
	.set _ZN4vllm25paged_attention_v2_kernelIffLi256ELi32ELi128ELNS_18Fp8KVCacheDataTypeE0ELb1ELi512EEEvPfS2_PT_PKS3_PKT0_S9_ifPKiSB_iPKfiiiSD_SD_iiiii.has_dyn_sized_stack, 0
	.set _ZN4vllm25paged_attention_v2_kernelIffLi256ELi32ELi128ELNS_18Fp8KVCacheDataTypeE0ELb1ELi512EEEvPfS2_PT_PKS3_PKT0_S9_ifPKiSB_iPKfiiiSD_SD_iiiii.has_recursion, 0
	.set _ZN4vllm25paged_attention_v2_kernelIffLi256ELi32ELi128ELNS_18Fp8KVCacheDataTypeE0ELb1ELi512EEEvPfS2_PT_PKS3_PKT0_S9_ifPKiSB_iPKfiiiSD_SD_iiiii.has_indirect_call, 0
	.section	.AMDGPU.csdata,"",@progbits
; Kernel info:
; codeLenInByte = 31984
; TotalNumSgprs: 42
; NumVgprs: 192
; ScratchSize: 656
; MemoryBound: 0
; FloatMode: 240
; IeeeMode: 1
; LDSByteSize: 1056 bytes/workgroup (compile time only)
; SGPRBlocks: 0
; VGPRBlocks: 23
; NumSGPRsForWavesPerEU: 42
; NumVGPRsForWavesPerEU: 192
; Occupancy: 8
; WaveLimiterHint : 1
; COMPUTE_PGM_RSRC2:SCRATCH_EN: 1
; COMPUTE_PGM_RSRC2:USER_SGPR: 2
; COMPUTE_PGM_RSRC2:TRAP_HANDLER: 0
; COMPUTE_PGM_RSRC2:TGID_X_EN: 1
; COMPUTE_PGM_RSRC2:TGID_Y_EN: 1
; COMPUTE_PGM_RSRC2:TGID_Z_EN: 1
; COMPUTE_PGM_RSRC2:TIDIG_COMP_CNT: 0
	.section	.text._ZN4vllm25paged_attention_v2_kernelIffLi32ELi32ELi128ELNS_18Fp8KVCacheDataTypeE0ELb0ELi512EEEvPfS2_PT_PKS3_PKT0_S9_ifPKiSB_iPKfiiiSD_SD_iiiii,"axG",@progbits,_ZN4vllm25paged_attention_v2_kernelIffLi32ELi32ELi128ELNS_18Fp8KVCacheDataTypeE0ELb0ELi512EEEvPfS2_PT_PKS3_PKT0_S9_ifPKiSB_iPKfiiiSD_SD_iiiii,comdat
	.protected	_ZN4vllm25paged_attention_v2_kernelIffLi32ELi32ELi128ELNS_18Fp8KVCacheDataTypeE0ELb0ELi512EEEvPfS2_PT_PKS3_PKT0_S9_ifPKiSB_iPKfiiiSD_SD_iiiii ; -- Begin function _ZN4vllm25paged_attention_v2_kernelIffLi32ELi32ELi128ELNS_18Fp8KVCacheDataTypeE0ELb0ELi512EEEvPfS2_PT_PKS3_PKT0_S9_ifPKiSB_iPKfiiiSD_SD_iiiii
	.globl	_ZN4vllm25paged_attention_v2_kernelIffLi32ELi32ELi128ELNS_18Fp8KVCacheDataTypeE0ELb0ELi512EEEvPfS2_PT_PKS3_PKT0_S9_ifPKiSB_iPKfiiiSD_SD_iiiii
	.p2align	8
	.type	_ZN4vllm25paged_attention_v2_kernelIffLi32ELi32ELi128ELNS_18Fp8KVCacheDataTypeE0ELb0ELi512EEEvPfS2_PT_PKS3_PKT0_S9_ifPKiSB_iPKfiiiSD_SD_iiiii,@function
_ZN4vllm25paged_attention_v2_kernelIffLi32ELi32ELi128ELNS_18Fp8KVCacheDataTypeE0ELb0ELi512EEEvPfS2_PT_PKS3_PKT0_S9_ifPKiSB_iPKfiiiSD_SD_iiiii: ; @_ZN4vllm25paged_attention_v2_kernelIffLi32ELi32ELi128ELNS_18Fp8KVCacheDataTypeE0ELb0ELi512EEEvPfS2_PT_PKS3_PKT0_S9_ifPKiSB_iPKfiiiSD_SD_iiiii
; %bb.0:
	s_load_b64 s[2:3], s[0:1], 0x40
	s_and_b32 s14, ttmp7, 0xffff
	s_lshr_b32 s24, ttmp7, 16
	s_lshl_b32 s4, s14, 2
	s_lshl_b32 s26, s24, 9
	s_wait_kmcnt 0x0
	s_load_b32 s25, s[2:3], s4 offset:0x0
	s_wait_kmcnt 0x0
	s_cmp_ge_i32 s26, s25
	s_cbranch_scc1 .LBB54_74
; %bb.1:
	s_clause 0x1
	s_load_b32 s15, s[0:1], 0x90
	s_load_b64 s[4:5], s[0:1], 0x30
	s_wait_kmcnt 0x0
	s_abs_i32 s7, s15
	s_abs_i32 s2, s4
	s_xor_b32 s4, s15, s4
	s_cvt_f32_u32 s3, s2
	s_sub_co_i32 s6, 0, s2
	s_ashr_i32 s4, s4, 31
	s_delay_alu instid0(SALU_CYCLE_1) | instskip(NEXT) | instid1(TRANS32_DEP_1)
	v_rcp_iflag_f32_e32 v1, s3
	v_readfirstlane_b32 s3, v1
	s_mul_f32 s3, s3, 0x4f7ffffe
	s_wait_alu 0xfffe
	s_delay_alu instid0(SALU_CYCLE_2) | instskip(SKIP_1) | instid1(SALU_CYCLE_2)
	s_cvt_u32_f32 s3, s3
	s_wait_alu 0xfffe
	s_mul_i32 s6, s6, s3
	s_delay_alu instid0(SALU_CYCLE_1) | instskip(NEXT) | instid1(SALU_CYCLE_1)
	s_mul_hi_u32 s6, s3, s6
	s_add_co_i32 s3, s3, s6
	s_wait_alu 0xfffe
	s_mul_hi_u32 s3, s7, s3
	s_wait_alu 0xfffe
	s_mul_i32 s6, s3, s2
	s_delay_alu instid0(SALU_CYCLE_1)
	s_sub_co_i32 s6, s7, s6
	s_add_co_i32 s7, s3, 1
	s_sub_co_i32 s8, s6, s2
	s_cmp_ge_u32 s6, s2
	s_cselect_b32 s3, s7, s3
	s_cselect_b32 s6, s8, s6
	s_wait_alu 0xfffe
	s_add_co_i32 s7, s3, 1
	s_cmp_ge_u32 s6, s2
	s_load_b64 s[8:9], s[0:1], 0x50
	s_cselect_b32 s2, s7, s3
	s_mov_b32 s3, 0
	s_wait_alu 0xfffe
	s_xor_b32 s2, s2, s4
	s_mov_b32 s11, s3
	s_wait_alu 0xfffe
	s_sub_co_i32 s12, s2, s4
	s_delay_alu instid0(SALU_CYCLE_1) | instskip(NEXT) | instid1(SALU_CYCLE_1)
	s_abs_i32 s4, s12
	s_cvt_f32_u32 s2, s4
	s_wait_alu 0xfffe
	s_delay_alu instid0(SALU_CYCLE_2) | instskip(NEXT) | instid1(TRANS32_DEP_1)
	v_rcp_iflag_f32_e32 v1, s2
	v_readfirstlane_b32 s2, v1
	s_mul_f32 s2, s2, 0x4f7ffffe
	s_wait_alu 0xfffe
	s_delay_alu instid0(SALU_CYCLE_2) | instskip(SKIP_2) | instid1(SALU_CYCLE_1)
	s_cvt_u32_f32 s6, s2
	s_sub_co_i32 s2, 0, s4
	s_wait_alu 0xfffe
	s_mul_i32 s2, s2, s6
	s_wait_alu 0xfffe
	s_mul_hi_u32 s7, s6, s2
	s_abs_i32 s2, ttmp9
	s_add_co_i32 s6, s6, s7
	s_mov_b32 s7, s3
	s_wait_kmcnt 0x0
	s_cmp_eq_u64 s[8:9], 0
	s_cbranch_scc1 .LBB54_3
; %bb.2:
	s_mov_b32 s10, ttmp9
	s_ashr_i32 s11, ttmp9, 31
	s_delay_alu instid0(SALU_CYCLE_1) | instskip(NEXT) | instid1(SALU_CYCLE_1)
	s_lshl_b64 s[10:11], s[10:11], 2
	s_add_nc_u64 s[8:9], s[8:9], s[10:11]
	s_load_b32 s11, s[8:9], 0x0
.LBB54_3:
	s_load_b96 s[8:10], s[0:1], 0x58
	v_lshlrev_b32_e32 v35, 4, v0
	s_mul_u64 s[6:7], s[2:3], s[6:7]
	s_ashr_i32 s3, ttmp9, 31
	s_ashr_i32 s6, s12, 31
	s_lshl_b32 s12, ttmp9, 5
	s_mov_b32 s16, exec_lo
	v_cmpx_gt_u32_e32 8, v0
	s_cbranch_execz .LBB54_5
; %bb.4:
	s_load_b64 s[18:19], s[0:1], 0x18
	s_wait_kmcnt 0x0
	s_mul_i32 s20, s8, s14
	s_ashr_i32 s13, s12, 31
	s_ashr_i32 s21, s20, 31
	s_delay_alu instid0(SALU_CYCLE_1) | instskip(NEXT) | instid1(SALU_CYCLE_1)
	s_lshl_b64 s[20:21], s[20:21], 2
	s_add_nc_u64 s[18:19], s[18:19], s[20:21]
	s_lshl_b64 s[20:21], s[12:13], 2
	s_delay_alu instid0(SALU_CYCLE_1)
	s_add_nc_u64 s[18:19], s[18:19], s[20:21]
	global_load_b128 v[1:4], v35, s[18:19]
	s_wait_loadcnt 0x0
	ds_store_b128 v35, v[1:4]
.LBB54_5:
	s_or_b32 exec_lo, exec_lo, s16
	s_wait_kmcnt 0x0
	s_add_co_i32 s8, s25, 31
	s_lshl_b32 s28, s24, 4
	s_ashr_i32 s13, s8, 31
	s_mul_i32 s19, s7, s4
	s_lshr_b32 s13, s13, 27
	s_sub_co_i32 s2, s2, s19
	s_add_co_i32 s8, s8, s13
	s_add_co_i32 s13, s28, 16
	s_ashr_i32 s27, s8, 5
	s_clause 0x2
	s_load_b64 s[16:17], s[0:1], 0x38
	s_load_b32 s8, s[0:1], 0x98
	s_load_b32 s18, s[0:1], 0x48
	s_min_i32 s13, s13, s27
	s_xor_b32 s3, s3, s6
	s_add_co_i32 s6, s7, 1
	s_sub_co_i32 s19, s2, s4
	s_cmp_ge_u32 s2, s4
	v_lshrrev_b32_e32 v39, 5, v0
	s_cselect_b32 s6, s6, s7
	s_cselect_b32 s2, s19, s2
	s_add_co_i32 s7, s6, 1
	s_wait_alu 0xfffe
	s_cmp_ge_u32 s2, s4
	v_and_b32_e32 v40, 31, v0
	v_dual_mov_b32 v38, 0xff7fffff :: v_dual_add_nc_u32 v41, s28, v39
	s_cselect_b32 s2, s7, s6
	s_wait_dscnt 0x0
	s_wait_alu 0xfffe
	s_xor_b32 s2, s2, s3
	v_lshlrev_b32_e32 v37, 2, v40
	s_wait_alu 0xfffe
	s_sub_co_i32 s3, s2, s3
	v_cmp_gt_i32_e64 s2, s13, v41
	v_lshlrev_b32_e32 v36, 2, v41
	s_wait_kmcnt 0x0
	s_mul_i32 s18, s18, s14
	s_wait_alu 0xfffe
	s_mul_i32 s20, s3, s10
	s_ashr_i32 s19, s18, 31
	s_barrier_signal -1
	s_barrier_wait -1
	global_inv scope:SCOPE_SE
	s_and_saveexec_b32 s6, s2
	s_cbranch_execz .LBB54_9
; %bb.6:
	s_load_b64 s[22:23], s[0:1], 0x20
	v_dual_mov_b32 v29, 0 :: v_dual_lshlrev_b32 v34, 5, v39
	s_ashr_i32 s21, s20, 31
	v_lshlrev_b32_e32 v33, 4, v40
	ds_load_b128 v[1:4], v29
	ds_load_b128 v[5:8], v29 offset:16
	ds_load_b128 v[9:12], v29 offset:32
	;; [unrolled: 1-line block ×7, first 2 shown]
	v_lshl_or_b32 v38, v39, 7, v37
	s_lshl_b64 s[30:31], s[20:21], 2
	s_cmp_neq_f32 s11, 0
	v_add3_u32 v42, s26, v34, v40
	s_delay_alu instid0(VALU_DEP_2)
	v_dual_mov_b32 v46, v41 :: v_dual_add_nc_u32 v45, 0xa0, v38
	v_mov_b32_e32 v38, 0xff7fffff
	s_cselect_b32 vcc_lo, -1, 0
	s_mov_b32 s10, s9
	s_mov_b32 s7, 0
	s_sub_co_i32 s21, 1, s25
	s_wait_kmcnt 0x0
	s_add_nc_u64 s[22:23], s[22:23], s[30:31]
	s_delay_alu instid0(SALU_CYCLE_1)
	v_add_co_u32 v43, s3, s22, v33
	s_wait_alu 0xf1ff
	v_add_co_ci_u32_e64 v44, null, s23, 0, s3
	s_lshl_b64 s[22:23], s[18:19], 2
	s_wait_alu 0xfffe
	s_add_nc_u64 s[22:23], s[16:17], s[22:23]
	s_wait_alu 0xfffe
	v_add_co_u32 v33, s3, s22, v36
	s_wait_alu 0xf1ff
	v_add_co_ci_u32_e64 v34, null, s23, 0, s3
.LBB54_7:                               ; =>This Inner Loop Header: Depth=1
	global_load_b32 v47, v[33:34], off
	v_add_nc_u32_e32 v46, 4, v46
	s_delay_alu instid0(VALU_DEP_1) | instskip(SKIP_3) | instid1(VALU_DEP_1)
	v_cmp_le_i32_e64 s4, s13, v46
	s_or_b32 s7, s4, s7
	s_wait_loadcnt 0x0
	v_mad_co_i64_i32 v[47:48], null, v47, s10, 0
	v_lshlrev_b64_e32 v[47:48], 2, v[47:48]
	s_delay_alu instid0(VALU_DEP_1) | instskip(SKIP_1) | instid1(VALU_DEP_2)
	v_add_co_u32 v75, s3, v43, v47
	s_wait_alu 0xf1ff
	v_add_co_ci_u32_e64 v76, null, v44, v48, s3
	s_clause 0x7
	global_load_b128 v[47:50], v[75:76], off offset:512
	global_load_b128 v[51:54], v[75:76], off
	global_load_b128 v[55:58], v[75:76], off offset:1024
	global_load_b128 v[59:62], v[75:76], off offset:1536
	;; [unrolled: 1-line block ×6, first 2 shown]
	v_add_nc_u32_e32 v79, s21, v42
	v_max_num_f32_e32 v80, v38, v38
	v_add_co_u32 v33, s3, v33, 16
	s_wait_alu 0xf1ff
	v_add_co_ci_u32_e64 v34, null, 0, v34, s3
	v_cmp_gt_i32_e64 s3, s25, v42
	s_wait_loadcnt_dscnt 0x706
	v_dual_mul_f32 v47, v5, v47 :: v_dual_add_nc_u32 v42, 0x80, v42
	v_dual_mul_f32 v48, v6, v48 :: v_dual_mul_f32 v49, v7, v49
	v_mul_f32_e32 v50, v8, v50
	v_cvt_f32_i32_e32 v79, v79
	s_wait_loadcnt 0x6
	s_delay_alu instid0(VALU_DEP_3) | instskip(NEXT) | instid1(VALU_DEP_3)
	v_dual_fmac_f32 v47, v1, v51 :: v_dual_fmac_f32 v48, v2, v52
	v_dual_fmac_f32 v49, v3, v53 :: v_dual_fmac_f32 v50, v4, v54
	s_wait_loadcnt_dscnt 0x505
	s_delay_alu instid0(VALU_DEP_2) | instskip(NEXT) | instid1(VALU_DEP_2)
	v_dual_fmac_f32 v47, v9, v55 :: v_dual_fmac_f32 v48, v10, v56
	v_dual_fmac_f32 v49, v11, v57 :: v_dual_fmac_f32 v50, v12, v58
	s_wait_loadcnt_dscnt 0x404
	s_delay_alu instid0(VALU_DEP_2) | instskip(NEXT) | instid1(VALU_DEP_2)
	;; [unrolled: 4-line block ×6, first 2 shown]
	v_dual_fmac_f32 v47, v29, v75 :: v_dual_fmac_f32 v48, v30, v76
	v_dual_fmac_f32 v49, v31, v77 :: v_dual_fmac_f32 v50, v32, v78
	s_delay_alu instid0(VALU_DEP_2) | instskip(NEXT) | instid1(VALU_DEP_1)
	v_dual_add_f32 v47, v47, v48 :: v_dual_mul_f32 v48, s11, v79
	v_dual_add_f32 v47, v49, v47 :: v_dual_cndmask_b32 v48, 0, v48
	s_delay_alu instid0(VALU_DEP_1) | instskip(NEXT) | instid1(VALU_DEP_1)
	v_add_f32_e32 v47, v50, v47
	v_fmac_f32_e32 v48, s5, v47
	s_delay_alu instid0(VALU_DEP_1) | instskip(SKIP_2) | instid1(VALU_DEP_2)
	v_max_num_f32_e32 v47, v80, v48
	s_wait_alu 0xf1ff
	v_cndmask_b32_e64 v48, 0, v48, s3
	v_cndmask_b32_e64 v38, v38, v47, s3
	ds_store_b32 v45, v48
	v_add_nc_u32_e32 v45, 0x200, v45
	s_and_not1_b32 exec_lo, exec_lo, s7
	s_cbranch_execnz .LBB54_7
; %bb.8:
	s_or_b32 exec_lo, exec_lo, s7
.LBB54_9:
	s_delay_alu instid0(SALU_CYCLE_1)
	s_or_b32 exec_lo, exec_lo, s6
	v_mbcnt_lo_u32_b32 v1, -1, 0
	s_clause 0x2
	s_load_b128 s[4:7], s[0:1], 0x0
	s_load_b64 s[10:11], s[0:1], 0x10
	s_load_b64 s[22:23], s[0:1], 0x28
	v_xor_b32_e32 v2, 16, v1
	v_xor_b32_e32 v4, 8, v1
	s_delay_alu instid0(VALU_DEP_2) | instskip(SKIP_2) | instid1(VALU_DEP_3)
	v_cmp_gt_i32_e32 vcc_lo, 32, v2
	s_wait_alu 0xfffd
	v_cndmask_b32_e32 v2, v1, v2, vcc_lo
	v_cmp_gt_i32_e32 vcc_lo, 32, v4
	v_max_num_f32_e32 v5, v38, v38
	s_delay_alu instid0(VALU_DEP_3)
	v_lshlrev_b32_e32 v2, 2, v2
	s_wait_alu 0xfffd
	v_cndmask_b32_e32 v4, v1, v4, vcc_lo
	ds_bpermute_b32 v3, v2, v38
	s_wait_dscnt 0x0
	v_dual_max_num_f32 v6, v3, v3 :: v_dual_lshlrev_b32 v3, 2, v4
	s_delay_alu instid0(VALU_DEP_1)
	v_max_num_f32_e32 v4, v5, v6
	v_xor_b32_e32 v6, 4, v1
	ds_bpermute_b32 v5, v3, v4
	v_cmp_gt_i32_e32 vcc_lo, 32, v6
	s_wait_alu 0xfffd
	v_cndmask_b32_e32 v6, v1, v6, vcc_lo
	s_delay_alu instid0(VALU_DEP_1) | instskip(SKIP_1) | instid1(VALU_DEP_1)
	v_lshlrev_b32_e32 v44, 2, v6
	v_xor_b32_e32 v6, 2, v1
	v_cmp_gt_i32_e32 vcc_lo, 32, v6
	s_wait_dscnt 0x0
	v_max_num_f32_e32 v5, v5, v5
	s_wait_alu 0xfffd
	v_cndmask_b32_e32 v6, v1, v6, vcc_lo
	s_delay_alu instid0(VALU_DEP_1)
	v_dual_max_num_f32 v4, v4, v5 :: v_dual_lshlrev_b32 v43, 2, v6
	v_xor_b32_e32 v6, 1, v1
	ds_bpermute_b32 v5, v44, v4
	v_cmp_gt_i32_e32 vcc_lo, 32, v6
	s_wait_alu 0xfffd
	v_cndmask_b32_e32 v6, v1, v6, vcc_lo
	v_cmp_eq_u32_e32 vcc_lo, 0, v40
	s_wait_dscnt 0x0
	s_delay_alu instid0(VALU_DEP_2) | instskip(NEXT) | instid1(VALU_DEP_1)
	v_dual_max_num_f32 v5, v5, v5 :: v_dual_lshlrev_b32 v42, 2, v6
	v_max_num_f32_e32 v4, v4, v5
	ds_bpermute_b32 v5, v43, v4
	s_wait_dscnt 0x0
	v_max_num_f32_e32 v5, v5, v5
	s_delay_alu instid0(VALU_DEP_1)
	v_max_num_f32_e32 v1, v4, v5
	v_lshlrev_b32_e32 v5, 2, v39
	ds_bpermute_b32 v4, v42, v1
	s_and_saveexec_b32 s0, vcc_lo
	s_cbranch_execz .LBB54_11
; %bb.10:
	s_wait_dscnt 0x0
	v_dual_max_num_f32 v4, v4, v4 :: v_dual_max_num_f32 v1, v1, v1
	s_delay_alu instid0(VALU_DEP_1)
	v_max_num_f32_e32 v1, v1, v4
	ds_store_b32 v5, v1 offset:128
.LBB54_11:
	s_or_b32 exec_lo, exec_lo, s0
	v_cmp_gt_u32_e64 s0, 4, v40
	v_mov_b32_e32 v1, 0xff7fffff
	s_wait_loadcnt_dscnt 0x0
	s_barrier_signal -1
	s_barrier_wait -1
	global_inv scope:SCOPE_SE
	s_and_saveexec_b32 s1, s0
; %bb.12:
	ds_load_b32 v1, v37 offset:128
; %bb.13:
	s_or_b32 exec_lo, exec_lo, s1
	s_wait_dscnt 0x0
	ds_bpermute_b32 v4, v43, v1
	v_max_num_f32_e32 v1, v1, v1
	s_sub_co_i32 s1, s13, s28
	v_mov_b32_e32 v6, 0
	s_lshl_b32 s1, s1, 5
	s_delay_alu instid0(SALU_CYCLE_1) | instskip(NEXT) | instid1(SALU_CYCLE_1)
	s_add_co_i32 s1, s1, s26
	s_min_i32 s1, s1, s25
	s_delay_alu instid0(SALU_CYCLE_1) | instskip(SKIP_4) | instid1(VALU_DEP_1)
	s_sub_co_i32 s21, s1, s26
	s_wait_alu 0xfffe
	v_cmp_gt_i32_e64 s1, s21, v0
	s_wait_dscnt 0x0
	v_max_num_f32_e32 v4, v4, v4
	v_max_num_f32_e32 v1, v1, v4
	ds_bpermute_b32 v4, v42, v1
	s_wait_dscnt 0x0
	v_max_num_f32_e32 v4, v4, v4
	s_delay_alu instid0(VALU_DEP_1)
	v_max_num_f32_e32 v1, v1, v4
	v_lshl_add_u32 v4, v0, 2, 0xa0
	ds_bpermute_b32 v1, v6, v1
	s_and_saveexec_b32 s28, s1
	s_cbranch_execz .LBB54_17
; %bb.14:
	v_lshl_add_u32 v7, v0, 2, 0xa0
	v_mov_b32_e32 v6, 0
	v_mov_b32_e32 v8, v0
	s_mov_b32 s29, 0
.LBB54_15:                              ; =>This Inner Loop Header: Depth=1
	ds_load_b32 v9, v7
	v_add_nc_u32_e32 v8, 0x80, v8
	s_delay_alu instid0(VALU_DEP_1) | instskip(SKIP_4) | instid1(VALU_DEP_1)
	v_cmp_le_i32_e64 s3, s21, v8
	s_wait_alu 0xfffe
	s_or_b32 s29, s3, s29
	s_wait_dscnt 0x0
	v_sub_f32_e32 v9, v9, v1
	v_mul_f32_e32 v9, 0x3fb8aa3b, v9
	s_delay_alu instid0(VALU_DEP_1)
	v_exp_f32_e32 v9, v9
	ds_store_b32 v7, v9
	v_dual_add_f32 v6, v6, v9 :: v_dual_add_nc_u32 v7, 0x200, v7
	s_wait_alu 0xfffe
	s_and_not1_b32 exec_lo, exec_lo, s29
	s_cbranch_execnz .LBB54_15
; %bb.16:
	s_or_b32 exec_lo, exec_lo, s29
.LBB54_17:
	s_wait_alu 0xfffe
	s_or_b32 exec_lo, exec_lo, s28
	ds_bpermute_b32 v2, v2, v6
	s_wait_dscnt 0x0
	v_add_f32_e32 v2, v6, v2
	ds_bpermute_b32 v3, v3, v2
	s_wait_dscnt 0x0
	v_add_f32_e32 v2, v2, v3
	;; [unrolled: 3-line block ×5, first 2 shown]
	s_and_saveexec_b32 s3, vcc_lo
; %bb.18:
	ds_store_b32 v5, v2 offset:144
; %bb.19:
	s_wait_alu 0xfffe
	s_or_b32 exec_lo, exec_lo, s3
	s_wait_loadcnt_dscnt 0x0
	s_barrier_signal -1
	s_barrier_wait -1
	global_inv scope:SCOPE_SE
	s_and_saveexec_b32 s3, s0
; %bb.20:
	ds_load_b32 v2, v37 offset:144
; %bb.21:
	s_wait_alu 0xfffe
	s_or_b32 exec_lo, exec_lo, s3
	s_wait_dscnt 0x0
	ds_bpermute_b32 v3, v43, v2
	s_wait_dscnt 0x0
	v_add_f32_e32 v2, v2, v3
	ds_bpermute_b32 v3, v42, v2
	s_wait_dscnt 0x0
	v_dual_add_f32 v2, v2, v3 :: v_dual_mov_b32 v3, 0
	ds_bpermute_b32 v2, v3, v2
	s_and_saveexec_b32 s0, s1
	s_cbranch_execz .LBB54_24
; %bb.22:
	s_wait_dscnt 0x0
	v_add_f32_e32 v3, 0x358637bd, v2
	s_mov_b32 s1, 0
	s_delay_alu instid0(VALU_DEP_1) | instskip(SKIP_1) | instid1(VALU_DEP_2)
	v_div_scale_f32 v5, null, v3, v3, 1.0
	v_div_scale_f32 v8, vcc_lo, 1.0, v3, 1.0
	v_rcp_f32_e32 v6, v5
	s_delay_alu instid0(TRANS32_DEP_1) | instskip(NEXT) | instid1(VALU_DEP_1)
	v_fma_f32 v7, -v5, v6, 1.0
	v_fmac_f32_e32 v6, v7, v6
	s_delay_alu instid0(VALU_DEP_1) | instskip(NEXT) | instid1(VALU_DEP_1)
	v_mul_f32_e32 v7, v8, v6
	v_fma_f32 v9, -v5, v7, v8
	s_delay_alu instid0(VALU_DEP_1) | instskip(NEXT) | instid1(VALU_DEP_1)
	v_fmac_f32_e32 v7, v9, v6
	v_fma_f32 v5, -v5, v7, v8
	s_wait_alu 0xfffd
	s_delay_alu instid0(VALU_DEP_1) | instskip(NEXT) | instid1(VALU_DEP_1)
	v_div_fmas_f32 v5, v5, v6, v7
	v_div_fixup_f32 v3, v5, v3, 1.0
	v_mov_b32_e32 v5, v0
.LBB54_23:                              ; =>This Inner Loop Header: Depth=1
	ds_load_b32 v6, v4
	s_wait_dscnt 0x0
	v_dual_mul_f32 v6, v3, v6 :: v_dual_add_nc_u32 v5, 0x80, v5
	s_delay_alu instid0(VALU_DEP_1) | instskip(SKIP_3) | instid1(SALU_CYCLE_1)
	v_cmp_le_i32_e32 vcc_lo, s21, v5
	ds_store_b32 v4, v6
	v_add_nc_u32_e32 v4, 0x200, v4
	s_or_b32 s1, vcc_lo, s1
	s_and_not1_b32 exec_lo, exec_lo, s1
	s_cbranch_execnz .LBB54_23
.LBB54_24:
	s_or_b32 exec_lo, exec_lo, s0
	s_mul_i32 s0, s8, s14
	s_wait_loadcnt_dscnt 0x0
	s_mul_i32 s14, s0, s15
	s_mov_b32 s0, exec_lo
	s_barrier_signal -1
	s_barrier_wait -1
	global_inv scope:SCOPE_SE
	v_cmpx_eq_u32_e32 0, v0
	s_cbranch_execz .LBB54_26
; %bb.25:
	s_ashr_i32 s15, s14, 31
	s_mul_i32 s28, s8, ttmp9
	s_lshl_b32 s1, s24, 2
	s_lshl_b64 s[30:31], s[14:15], 2
	s_wait_alu 0xfffe
	s_ashr_i32 s29, s28, 31
	v_mov_b32_e32 v3, s1
	s_wait_kmcnt 0x0
	s_add_nc_u64 s[6:7], s[6:7], s[30:31]
	s_wait_alu 0xfffe
	s_lshl_b64 s[28:29], s[28:29], 2
	s_add_nc_u64 s[4:5], s[4:5], s[30:31]
	s_wait_alu 0xfffe
	s_add_nc_u64 s[6:7], s[6:7], s[28:29]
	s_add_nc_u64 s[4:5], s[4:5], s[28:29]
	s_clause 0x1
	global_store_b32 v3, v1, s[6:7]
	global_store_b32 v3, v2, s[4:5]
.LBB54_26:
	s_or_b32 exec_lo, exec_lo, s0
	v_dual_mov_b32 v51, 0 :: v_dual_mov_b32 v52, 0
	v_dual_mov_b32 v50, 0 :: v_dual_and_b32 v45, 7, v0
	v_dual_mov_b32 v53, 0 :: v_dual_mov_b32 v48, 0
	v_dual_mov_b32 v49, 0 :: v_dual_mov_b32 v46, 0
	v_mov_b32_e32 v47, 0
	s_and_saveexec_b32 s1, s2
	s_cbranch_execz .LBB54_46
; %bb.27:
	s_ashr_i32 s21, s20, 31
	v_dual_mov_b32 v50, 0 :: v_dual_and_b32 v3, 0x1f0, v35
	s_wait_alu 0xfffe
	s_lshl_b64 s[2:3], s[20:21], 2
	v_dual_mov_b32 v46, 0 :: v_dual_lshlrev_b32 v1, 2, v0
	v_dual_mov_b32 v47, 0 :: v_dual_lshlrev_b32 v2, 4, v45
	s_wait_kmcnt 0x0
	s_wait_alu 0xfffe
	s_add_nc_u64 s[2:3], s[22:23], s[2:3]
	v_dual_mov_b32 v48, 0 :: v_dual_and_b32 v1, 28, v1
	s_wait_alu 0xfffe
	v_add_co_u32 v54, s0, s2, v3
	s_wait_alu 0xf1ff
	v_add_co_ci_u32_e64 v55, null, s3, 0, s0
	s_lshl_b64 s[2:3], s[18:19], 2
	v_lshl_add_u32 v4, v39, 5, s26
	v_lshl_or_b32 v2, v39, 7, v2
	s_wait_alu 0xfffe
	s_add_nc_u64 s[2:3], s[16:17], s[2:3]
	v_mov_b32_e32 v49, 0
	s_wait_alu 0xfffe
	v_add_co_u32 v37, s0, s2, v36
	v_add3_u32 v56, v4, v1, 3
	v_dual_mov_b32 v52, 0 :: v_dual_add_nc_u32 v57, 0xa0, v2
	s_wait_alu 0xf1ff
	v_add_co_ci_u32_e64 v38, null, s3, 0, s0
	v_mov_b32_e32 v53, 0
	v_mov_b32_e32 v51, 0
	s_mov_b32 s2, s9
	s_add_co_i32 s27, s27, -1
	s_mov_b32 s3, 0
	s_branch .LBB54_29
.LBB54_28:                              ;   in Loop: Header=BB54_29 Depth=1
	s_wait_alu 0xfffe
	s_or_b32 exec_lo, exec_lo, s0
	s_wait_loadcnt_dscnt 0x500
	v_mul_f32_e32 v13, v1, v13
	s_wait_loadcnt 0x1
	v_dual_mul_f32 v29, v1, v29 :: v_dual_add_nc_u32 v56, 0x80, v56
	v_mul_f32_e32 v25, v1, v25
	v_mul_f32_e32 v21, v1, v21
	;; [unrolled: 1-line block ×5, first 2 shown]
	s_wait_loadcnt 0x0
	v_mul_f32_e32 v1, v1, v33
	v_fmac_f32_e32 v13, v2, v14
	v_fmac_f32_e32 v17, v2, v18
	;; [unrolled: 1-line block ×15, first 2 shown]
	s_delay_alu instid0(VALU_DEP_4) | instskip(SKIP_2) | instid1(VALU_DEP_4)
	v_dual_add_f32 v52, v52, v13 :: v_dual_fmac_f32 v25, v3, v27
	v_fmac_f32_e32 v5, v3, v7
	v_add_nc_u32_e32 v41, 4, v41
	v_dual_add_f32 v46, v46, v1 :: v_dual_fmac_f32 v21, v4, v24
	s_delay_alu instid0(VALU_DEP_4) | instskip(SKIP_3) | instid1(VALU_DEP_3)
	v_fmac_f32_e32 v25, v4, v28
	v_fmac_f32_e32 v29, v2, v30
	v_dual_fmac_f32 v9, v4, v12 :: v_dual_add_f32 v50, v50, v17
	v_fmac_f32_e32 v5, v4, v8
	v_dual_add_f32 v48, v48, v25 :: v_dual_fmac_f32 v29, v3, v31
	v_cmp_le_i32_e32 vcc_lo, s13, v41
	v_add_co_u32 v37, s0, v37, 16
	v_add_f32_e32 v49, v49, v21
	s_delay_alu instid0(VALU_DEP_4)
	v_fmac_f32_e32 v29, v4, v32
	v_add_f32_e32 v53, v53, v9
	v_add_f32_e32 v51, v51, v5
	v_add_nc_u32_e32 v57, 0x200, v57
	s_wait_alu 0xf1ff
	v_add_co_ci_u32_e64 v38, null, 0, v38, s0
	v_add_f32_e32 v47, v47, v29
	s_or_b32 s3, vcc_lo, s3
	s_wait_alu 0xfffe
	s_and_not1_b32 exec_lo, exec_lo, s3
	s_cbranch_execz .LBB54_45
.LBB54_29:                              ; =>This Inner Loop Header: Depth=1
	global_load_b32 v1, v[37:38], off
	v_add_nc_u32_e32 v58, -3, v56
	v_add_nc_u32_e32 v60, -2, v56
	;; [unrolled: 1-line block ×3, first 2 shown]
	s_wait_loadcnt 0x0
	s_wait_alu 0xfffe
	v_mad_co_i64_i32 v[1:2], null, v1, s2, 0
	s_delay_alu instid0(VALU_DEP_1) | instskip(NEXT) | instid1(VALU_DEP_1)
	v_lshlrev_b64_e32 v[1:2], 2, v[1:2]
	v_add_co_u32 v33, vcc_lo, v54, v1
	s_wait_alu 0xfffd
	s_delay_alu instid0(VALU_DEP_2)
	v_add_co_ci_u32_e64 v34, null, v55, v2, vcc_lo
	ds_load_b128 v[1:4], v57
	v_cmp_eq_u32_e32 vcc_lo, s27, v41
	global_load_b128 v[5:8], v[33:34], off
	s_and_saveexec_b32 s4, vcc_lo
	s_cbranch_execnz .LBB54_37
; %bb.30:                               ;   in Loop: Header=BB54_29 Depth=1
	s_wait_alu 0xfffe
	s_or_b32 exec_lo, exec_lo, s4
	global_load_b128 v[9:12], v[33:34], off offset:512
	s_and_saveexec_b32 s4, vcc_lo
	s_cbranch_execnz .LBB54_38
.LBB54_31:                              ;   in Loop: Header=BB54_29 Depth=1
	s_wait_alu 0xfffe
	s_or_b32 exec_lo, exec_lo, s4
	global_load_b128 v[13:16], v[33:34], off offset:1024
	s_and_saveexec_b32 s4, vcc_lo
	s_cbranch_execnz .LBB54_39
.LBB54_32:                              ;   in Loop: Header=BB54_29 Depth=1
	s_wait_alu 0xfffe
	s_or_b32 exec_lo, exec_lo, s4
	global_load_b128 v[17:20], v[33:34], off offset:1536
	s_and_saveexec_b32 s4, vcc_lo
	s_cbranch_execnz .LBB54_40
.LBB54_33:                              ;   in Loop: Header=BB54_29 Depth=1
	s_wait_alu 0xfffe
	s_or_b32 exec_lo, exec_lo, s4
	global_load_b128 v[21:24], v[33:34], off offset:2048
	s_and_saveexec_b32 s4, vcc_lo
	s_cbranch_execnz .LBB54_41
.LBB54_34:                              ;   in Loop: Header=BB54_29 Depth=1
	s_wait_alu 0xfffe
	s_or_b32 exec_lo, exec_lo, s4
	global_load_b128 v[25:28], v[33:34], off offset:2560
	s_and_saveexec_b32 s4, vcc_lo
	s_cbranch_execnz .LBB54_42
.LBB54_35:                              ;   in Loop: Header=BB54_29 Depth=1
	s_wait_alu 0xfffe
	s_or_b32 exec_lo, exec_lo, s4
	global_load_b128 v[29:32], v[33:34], off offset:3072
	s_and_saveexec_b32 s4, vcc_lo
	s_cbranch_execnz .LBB54_43
.LBB54_36:                              ;   in Loop: Header=BB54_29 Depth=1
	s_wait_alu 0xfffe
	s_or_b32 exec_lo, exec_lo, s4
	global_load_b128 v[33:36], v[33:34], off offset:3584
	s_and_saveexec_b32 s0, vcc_lo
	s_cbranch_execz .LBB54_28
	s_branch .LBB54_44
.LBB54_37:                              ;   in Loop: Header=BB54_29 Depth=1
	v_cmp_gt_i32_e64 s0, s25, v58
	s_wait_loadcnt 0x0
	s_wait_alu 0xf1ff
	s_delay_alu instid0(VALU_DEP_1) | instskip(SKIP_2) | instid1(VALU_DEP_1)
	v_cndmask_b32_e64 v5, 0, v5, s0
	v_cmp_gt_i32_e64 s0, s25, v60
	s_wait_alu 0xf1ff
	v_cndmask_b32_e64 v6, 0, v6, s0
	v_cmp_gt_i32_e64 s0, s25, v59
	s_wait_alu 0xf1ff
	s_delay_alu instid0(VALU_DEP_1) | instskip(SKIP_2) | instid1(VALU_DEP_1)
	v_cndmask_b32_e64 v7, 0, v7, s0
	v_cmp_gt_i32_e64 s0, s25, v56
	s_wait_alu 0xf1ff
	v_cndmask_b32_e64 v8, 0, v8, s0
	s_wait_alu 0xfffe
	s_or_b32 exec_lo, exec_lo, s4
	global_load_b128 v[9:12], v[33:34], off offset:512
	s_and_saveexec_b32 s4, vcc_lo
	s_cbranch_execz .LBB54_31
.LBB54_38:                              ;   in Loop: Header=BB54_29 Depth=1
	v_cmp_gt_i32_e64 s0, s25, v58
	s_wait_loadcnt 0x0
	s_wait_alu 0xf1ff
	s_delay_alu instid0(VALU_DEP_1) | instskip(SKIP_2) | instid1(VALU_DEP_1)
	v_cndmask_b32_e64 v9, 0, v9, s0
	v_cmp_gt_i32_e64 s0, s25, v60
	s_wait_alu 0xf1ff
	v_cndmask_b32_e64 v10, 0, v10, s0
	v_cmp_gt_i32_e64 s0, s25, v59
	s_wait_alu 0xf1ff
	s_delay_alu instid0(VALU_DEP_1) | instskip(SKIP_2) | instid1(VALU_DEP_1)
	v_cndmask_b32_e64 v11, 0, v11, s0
	v_cmp_gt_i32_e64 s0, s25, v56
	s_wait_alu 0xf1ff
	v_cndmask_b32_e64 v12, 0, v12, s0
	s_wait_alu 0xfffe
	s_or_b32 exec_lo, exec_lo, s4
	global_load_b128 v[13:16], v[33:34], off offset:1024
	s_and_saveexec_b32 s4, vcc_lo
	s_cbranch_execz .LBB54_32
.LBB54_39:                              ;   in Loop: Header=BB54_29 Depth=1
	v_cmp_gt_i32_e64 s0, s25, v58
	s_wait_loadcnt 0x0
	s_wait_alu 0xf1ff
	s_delay_alu instid0(VALU_DEP_1) | instskip(SKIP_2) | instid1(VALU_DEP_1)
	v_cndmask_b32_e64 v13, 0, v13, s0
	v_cmp_gt_i32_e64 s0, s25, v60
	s_wait_alu 0xf1ff
	v_cndmask_b32_e64 v14, 0, v14, s0
	v_cmp_gt_i32_e64 s0, s25, v59
	s_wait_alu 0xf1ff
	s_delay_alu instid0(VALU_DEP_1) | instskip(SKIP_2) | instid1(VALU_DEP_1)
	v_cndmask_b32_e64 v15, 0, v15, s0
	v_cmp_gt_i32_e64 s0, s25, v56
	s_wait_alu 0xf1ff
	v_cndmask_b32_e64 v16, 0, v16, s0
	s_wait_alu 0xfffe
	s_or_b32 exec_lo, exec_lo, s4
	global_load_b128 v[17:20], v[33:34], off offset:1536
	s_and_saveexec_b32 s4, vcc_lo
	s_cbranch_execz .LBB54_33
.LBB54_40:                              ;   in Loop: Header=BB54_29 Depth=1
	v_cmp_gt_i32_e64 s0, s25, v58
	s_wait_loadcnt 0x0
	s_wait_alu 0xf1ff
	s_delay_alu instid0(VALU_DEP_1) | instskip(SKIP_2) | instid1(VALU_DEP_1)
	v_cndmask_b32_e64 v17, 0, v17, s0
	v_cmp_gt_i32_e64 s0, s25, v60
	s_wait_alu 0xf1ff
	v_cndmask_b32_e64 v18, 0, v18, s0
	v_cmp_gt_i32_e64 s0, s25, v59
	s_wait_alu 0xf1ff
	s_delay_alu instid0(VALU_DEP_1) | instskip(SKIP_2) | instid1(VALU_DEP_1)
	v_cndmask_b32_e64 v19, 0, v19, s0
	v_cmp_gt_i32_e64 s0, s25, v56
	s_wait_alu 0xf1ff
	v_cndmask_b32_e64 v20, 0, v20, s0
	s_wait_alu 0xfffe
	s_or_b32 exec_lo, exec_lo, s4
	global_load_b128 v[21:24], v[33:34], off offset:2048
	s_and_saveexec_b32 s4, vcc_lo
	s_cbranch_execz .LBB54_34
.LBB54_41:                              ;   in Loop: Header=BB54_29 Depth=1
	v_cmp_gt_i32_e64 s0, s25, v58
	s_wait_loadcnt 0x0
	s_wait_alu 0xf1ff
	s_delay_alu instid0(VALU_DEP_1) | instskip(SKIP_2) | instid1(VALU_DEP_1)
	v_cndmask_b32_e64 v21, 0, v21, s0
	v_cmp_gt_i32_e64 s0, s25, v60
	s_wait_alu 0xf1ff
	v_cndmask_b32_e64 v22, 0, v22, s0
	v_cmp_gt_i32_e64 s0, s25, v59
	s_wait_alu 0xf1ff
	s_delay_alu instid0(VALU_DEP_1) | instskip(SKIP_2) | instid1(VALU_DEP_1)
	v_cndmask_b32_e64 v23, 0, v23, s0
	v_cmp_gt_i32_e64 s0, s25, v56
	s_wait_alu 0xf1ff
	v_cndmask_b32_e64 v24, 0, v24, s0
	s_wait_alu 0xfffe
	s_or_b32 exec_lo, exec_lo, s4
	global_load_b128 v[25:28], v[33:34], off offset:2560
	s_and_saveexec_b32 s4, vcc_lo
	s_cbranch_execz .LBB54_35
.LBB54_42:                              ;   in Loop: Header=BB54_29 Depth=1
	v_cmp_gt_i32_e64 s0, s25, v58
	s_wait_loadcnt 0x0
	s_wait_alu 0xf1ff
	s_delay_alu instid0(VALU_DEP_1) | instskip(SKIP_2) | instid1(VALU_DEP_1)
	v_cndmask_b32_e64 v25, 0, v25, s0
	v_cmp_gt_i32_e64 s0, s25, v60
	s_wait_alu 0xf1ff
	v_cndmask_b32_e64 v26, 0, v26, s0
	v_cmp_gt_i32_e64 s0, s25, v59
	s_wait_alu 0xf1ff
	s_delay_alu instid0(VALU_DEP_1) | instskip(SKIP_2) | instid1(VALU_DEP_1)
	v_cndmask_b32_e64 v27, 0, v27, s0
	v_cmp_gt_i32_e64 s0, s25, v56
	s_wait_alu 0xf1ff
	v_cndmask_b32_e64 v28, 0, v28, s0
	s_wait_alu 0xfffe
	s_or_b32 exec_lo, exec_lo, s4
	global_load_b128 v[29:32], v[33:34], off offset:3072
	s_and_saveexec_b32 s4, vcc_lo
	s_cbranch_execz .LBB54_36
.LBB54_43:                              ;   in Loop: Header=BB54_29 Depth=1
	v_cmp_gt_i32_e64 s0, s25, v58
	s_wait_loadcnt 0x0
	s_wait_alu 0xf1ff
	s_delay_alu instid0(VALU_DEP_1) | instskip(SKIP_2) | instid1(VALU_DEP_1)
	v_cndmask_b32_e64 v29, 0, v29, s0
	v_cmp_gt_i32_e64 s0, s25, v60
	s_wait_alu 0xf1ff
	v_cndmask_b32_e64 v30, 0, v30, s0
	v_cmp_gt_i32_e64 s0, s25, v59
	s_wait_alu 0xf1ff
	s_delay_alu instid0(VALU_DEP_1) | instskip(SKIP_2) | instid1(VALU_DEP_1)
	v_cndmask_b32_e64 v31, 0, v31, s0
	v_cmp_gt_i32_e64 s0, s25, v56
	s_wait_alu 0xf1ff
	v_cndmask_b32_e64 v32, 0, v32, s0
	s_wait_alu 0xfffe
	s_or_b32 exec_lo, exec_lo, s4
	global_load_b128 v[33:36], v[33:34], off offset:3584
	s_and_saveexec_b32 s0, vcc_lo
	s_cbranch_execz .LBB54_28
.LBB54_44:                              ;   in Loop: Header=BB54_29 Depth=1
	v_cmp_gt_i32_e32 vcc_lo, s25, v58
	s_wait_loadcnt 0x0
	s_wait_alu 0xfffd
	v_cndmask_b32_e32 v33, 0, v33, vcc_lo
	v_cmp_gt_i32_e32 vcc_lo, s25, v60
	s_wait_alu 0xfffd
	v_cndmask_b32_e32 v34, 0, v34, vcc_lo
	v_cmp_gt_i32_e32 vcc_lo, s25, v59
	;; [unrolled: 3-line block ×3, first 2 shown]
	s_wait_alu 0xfffd
	v_cndmask_b32_e32 v36, 0, v36, vcc_lo
	s_branch .LBB54_28
.LBB54_45:
	s_or_b32 exec_lo, exec_lo, s3
.LBB54_46:
	s_wait_alu 0xfffe
	s_or_b32 exec_lo, exec_lo, s1
	ds_bpermute_b32 v1, v44, v51
	ds_bpermute_b32 v2, v44, v53
	;; [unrolled: 1-line block ×8, first 2 shown]
	s_mov_b32 s0, exec_lo
	s_wait_storecnt 0x0
	s_wait_loadcnt_dscnt 0x0
	s_barrier_signal -1
	s_barrier_wait -1
	global_inv scope:SCOPE_SE
	v_dual_add_f32 v1, v51, v1 :: v_dual_add_f32 v2, v53, v2
	v_dual_add_f32 v3, v52, v3 :: v_dual_add_f32 v4, v50, v4
	;; [unrolled: 1-line block ×4, first 2 shown]
	ds_bpermute_b32 v9, v43, v1
	ds_bpermute_b32 v10, v43, v2
	;; [unrolled: 1-line block ×8, first 2 shown]
	s_wait_dscnt 0x6
	v_dual_add_f32 v1, v1, v9 :: v_dual_add_f32 v2, v2, v10
	s_wait_dscnt 0x4
	v_dual_add_f32 v3, v3, v11 :: v_dual_add_f32 v4, v4, v12
	;; [unrolled: 2-line block ×4, first 2 shown]
	ds_bpermute_b32 v11, v42, v1
	ds_bpermute_b32 v12, v42, v2
	;; [unrolled: 1-line block ×8, first 2 shown]
	v_lshrrev_b32_e32 v9, 3, v40
	v_and_b32_e32 v19, 0x3c7, v0
	s_delay_alu instid0(VALU_DEP_2)
	v_lshl_add_u32 v10, v9, 2, 0xa0
	s_wait_dscnt 0x6
	v_dual_add_f32 v1, v1, v11 :: v_dual_add_f32 v2, v2, v12
	s_wait_dscnt 0x4
	v_dual_add_f32 v3, v3, v13 :: v_dual_add_f32 v4, v4, v14
	;; [unrolled: 2-line block ×4, first 2 shown]
	v_cmpx_eq_u32_e32 64, v19
	s_cbranch_execz .LBB54_48
; %bb.47:
	v_lshl_add_u32 v11, v39, 7, v10
	s_delay_alu instid0(VALU_DEP_1)
	v_add_nc_u32_e32 v12, 0xffffff00, v11
	v_add_nc_u32_e32 v13, 0xffffff10, v11
	;; [unrolled: 1-line block ×8, first 2 shown]
	ds_store_b32 v12, v1
	ds_store_b32 v13, v2
	ds_store_b32 v14, v3
	ds_store_b32 v15, v4
	ds_store_b32 v16, v5
	ds_store_b32 v17, v6
	ds_store_b32 v18, v7
	ds_store_b32 v11, v8
.LBB54_48:
	s_wait_alu 0xfffe
	s_or_b32 exec_lo, exec_lo, s0
	v_and_b32_e32 v11, 0x3e0, v0
	v_lshlrev_b32_e32 v9, 2, v9
	s_mov_b32 s1, exec_lo
	v_cmp_eq_u32_e32 vcc_lo, 0, v45
	s_wait_loadcnt_dscnt 0x0
	v_lshlrev_b32_e32 v11, 2, v11
	s_barrier_signal -1
	s_barrier_wait -1
	global_inv scope:SCOPE_SE
	v_add3_u32 v9, 0xa0, v11, v9
	v_cmpx_gt_u32_e32 64, v0
	s_cbranch_execz .LBB54_59
; %bb.49:
	s_and_saveexec_b32 s0, vcc_lo
	s_cbranch_execnz .LBB54_75
; %bb.50:
	s_wait_alu 0xfffe
	s_or_b32 exec_lo, exec_lo, s0
	s_and_saveexec_b32 s0, vcc_lo
	s_cbranch_execnz .LBB54_76
.LBB54_51:
	s_wait_alu 0xfffe
	s_or_b32 exec_lo, exec_lo, s0
	s_and_saveexec_b32 s0, vcc_lo
	s_cbranch_execnz .LBB54_77
.LBB54_52:
	s_wait_alu 0xfffe
	s_or_b32 exec_lo, exec_lo, s0
	s_and_saveexec_b32 s0, vcc_lo
	s_cbranch_execnz .LBB54_78
.LBB54_53:
	s_wait_alu 0xfffe
	s_or_b32 exec_lo, exec_lo, s0
	s_and_saveexec_b32 s0, vcc_lo
	s_cbranch_execnz .LBB54_79
.LBB54_54:
	s_wait_alu 0xfffe
	s_or_b32 exec_lo, exec_lo, s0
	s_and_saveexec_b32 s0, vcc_lo
	s_cbranch_execnz .LBB54_80
.LBB54_55:
	s_wait_alu 0xfffe
	s_or_b32 exec_lo, exec_lo, s0
	s_and_saveexec_b32 s0, vcc_lo
	s_cbranch_execnz .LBB54_81
.LBB54_56:
	s_wait_alu 0xfffe
	s_or_b32 exec_lo, exec_lo, s0
	s_and_saveexec_b32 s0, vcc_lo
	s_cbranch_execz .LBB54_58
.LBB54_57:
	ds_load_b32 v11, v9 offset:112
	s_wait_dscnt 0x0
	v_add_f32_e32 v8, v8, v11
.LBB54_58:
	s_wait_alu 0xfffe
	s_or_b32 exec_lo, exec_lo, s0
.LBB54_59:
	s_wait_alu 0xfffe
	s_or_b32 exec_lo, exec_lo, s1
	v_and_b32_e32 v11, 0x3e7, v0
	s_mov_b32 s1, exec_lo
	s_wait_loadcnt 0x0
	s_barrier_signal -1
	s_barrier_wait -1
	global_inv scope:SCOPE_SE
	v_cmpx_eq_u32_e32 32, v11
	s_cbranch_execz .LBB54_61
; %bb.60:
	ds_store_2addr_b32 v10, v1, v2 offset1:4
	ds_store_2addr_b32 v10, v3, v4 offset0:8 offset1:12
	ds_store_2addr_b32 v10, v5, v6 offset0:16 offset1:20
	;; [unrolled: 1-line block ×3, first 2 shown]
.LBB54_61:
	s_wait_alu 0xfffe
	s_or_b32 exec_lo, exec_lo, s1
	s_delay_alu instid0(SALU_CYCLE_1)
	s_mov_b32 s1, exec_lo
	s_wait_loadcnt_dscnt 0x0
	s_barrier_signal -1
	s_barrier_wait -1
	global_inv scope:SCOPE_SE
	v_cmpx_gt_u32_e32 32, v0
	s_cbranch_execz .LBB54_72
; %bb.62:
	s_and_saveexec_b32 s0, vcc_lo
	s_cbranch_execnz .LBB54_82
; %bb.63:
	s_wait_alu 0xfffe
	s_or_b32 exec_lo, exec_lo, s0
	s_and_saveexec_b32 s0, vcc_lo
	s_cbranch_execnz .LBB54_83
.LBB54_64:
	s_wait_alu 0xfffe
	s_or_b32 exec_lo, exec_lo, s0
	s_and_saveexec_b32 s0, vcc_lo
	s_cbranch_execnz .LBB54_84
.LBB54_65:
	s_wait_alu 0xfffe
	s_or_b32 exec_lo, exec_lo, s0
	s_and_saveexec_b32 s0, vcc_lo
	s_cbranch_execnz .LBB54_85
.LBB54_66:
	s_wait_alu 0xfffe
	s_or_b32 exec_lo, exec_lo, s0
	s_and_saveexec_b32 s0, vcc_lo
	s_cbranch_execnz .LBB54_86
.LBB54_67:
	s_wait_alu 0xfffe
	s_or_b32 exec_lo, exec_lo, s0
	s_and_saveexec_b32 s0, vcc_lo
	s_cbranch_execnz .LBB54_87
.LBB54_68:
	s_wait_alu 0xfffe
	s_or_b32 exec_lo, exec_lo, s0
	s_and_saveexec_b32 s0, vcc_lo
	s_cbranch_execnz .LBB54_88
.LBB54_69:
	s_wait_alu 0xfffe
	s_or_b32 exec_lo, exec_lo, s0
	s_and_saveexec_b32 s0, vcc_lo
	s_cbranch_execz .LBB54_71
.LBB54_70:
	ds_load_b32 v9, v9 offset:112
	s_wait_dscnt 0x0
	v_add_f32_e32 v8, v8, v9
.LBB54_71:
	s_wait_alu 0xfffe
	s_or_b32 exec_lo, exec_lo, s0
.LBB54_72:
	s_wait_alu 0xfffe
	s_or_b32 exec_lo, exec_lo, s1
	s_mov_b32 s1, 0
	s_wait_loadcnt 0x0
	s_barrier_signal -1
	s_barrier_wait -1
	global_inv scope:SCOPE_SE
	s_mov_b32 s0, exec_lo
	v_cmpx_eq_u32_e32 0, v11
	s_cbranch_execz .LBB54_74
; %bb.73:
	s_lshl_b32 s2, s14, 5
	s_wait_kmcnt 0x0
	s_mul_i32 s4, s8, s12
	s_wait_alu 0xfffe
	s_ashr_i32 s3, s2, 31
	s_ashr_i32 s5, s4, 31
	s_wait_alu 0xfffe
	s_lshl_b64 s[2:3], s[2:3], 2
	s_lshl_b64 s[4:5], s[4:5], 2
	s_wait_alu 0xfffe
	s_add_nc_u64 s[2:3], s[10:11], s[2:3]
	v_lshrrev_b32_e32 v0, 1, v0
	s_lshl_b32 s0, s24, 7
	s_wait_alu 0xfffe
	s_add_nc_u64 s[2:3], s[2:3], s[4:5]
	s_wait_alu 0xfffe
	s_add_nc_u64 s[0:1], s[2:3], s[0:1]
	s_clause 0x7
	global_store_b32 v0, v1, s[0:1]
	global_store_b32 v0, v2, s[0:1] offset:16
	global_store_b32 v0, v3, s[0:1] offset:32
	;; [unrolled: 1-line block ×7, first 2 shown]
.LBB54_74:
	s_endpgm
.LBB54_75:
	ds_load_b32 v11, v9
	s_wait_dscnt 0x0
	v_add_f32_e32 v1, v1, v11
	s_wait_alu 0xfffe
	s_or_b32 exec_lo, exec_lo, s0
	s_and_saveexec_b32 s0, vcc_lo
	s_cbranch_execz .LBB54_51
.LBB54_76:
	ds_load_b32 v11, v9 offset:16
	s_wait_dscnt 0x0
	v_add_f32_e32 v2, v2, v11
	s_wait_alu 0xfffe
	s_or_b32 exec_lo, exec_lo, s0
	s_and_saveexec_b32 s0, vcc_lo
	s_cbranch_execz .LBB54_52
.LBB54_77:
	ds_load_b32 v11, v9 offset:32
	s_wait_dscnt 0x0
	v_add_f32_e32 v3, v3, v11
	s_wait_alu 0xfffe
	s_or_b32 exec_lo, exec_lo, s0
	s_and_saveexec_b32 s0, vcc_lo
	s_cbranch_execz .LBB54_53
.LBB54_78:
	ds_load_b32 v11, v9 offset:48
	s_wait_dscnt 0x0
	v_add_f32_e32 v4, v4, v11
	s_wait_alu 0xfffe
	s_or_b32 exec_lo, exec_lo, s0
	s_and_saveexec_b32 s0, vcc_lo
	s_cbranch_execz .LBB54_54
.LBB54_79:
	ds_load_b32 v11, v9 offset:64
	s_wait_dscnt 0x0
	v_add_f32_e32 v5, v5, v11
	s_wait_alu 0xfffe
	s_or_b32 exec_lo, exec_lo, s0
	s_and_saveexec_b32 s0, vcc_lo
	s_cbranch_execz .LBB54_55
.LBB54_80:
	ds_load_b32 v11, v9 offset:80
	s_wait_dscnt 0x0
	v_add_f32_e32 v6, v6, v11
	s_wait_alu 0xfffe
	s_or_b32 exec_lo, exec_lo, s0
	s_and_saveexec_b32 s0, vcc_lo
	s_cbranch_execz .LBB54_56
.LBB54_81:
	ds_load_b32 v11, v9 offset:96
	s_wait_dscnt 0x0
	v_add_f32_e32 v7, v7, v11
	s_wait_alu 0xfffe
	s_or_b32 exec_lo, exec_lo, s0
	s_and_saveexec_b32 s0, vcc_lo
	s_cbranch_execnz .LBB54_57
	s_branch .LBB54_58
.LBB54_82:
	ds_load_b32 v10, v9
	s_wait_dscnt 0x0
	v_add_f32_e32 v1, v1, v10
	s_wait_alu 0xfffe
	s_or_b32 exec_lo, exec_lo, s0
	s_and_saveexec_b32 s0, vcc_lo
	s_cbranch_execz .LBB54_64
.LBB54_83:
	ds_load_b32 v10, v9 offset:16
	s_wait_dscnt 0x0
	v_add_f32_e32 v2, v2, v10
	s_wait_alu 0xfffe
	s_or_b32 exec_lo, exec_lo, s0
	s_and_saveexec_b32 s0, vcc_lo
	s_cbranch_execz .LBB54_65
.LBB54_84:
	ds_load_b32 v10, v9 offset:32
	s_wait_dscnt 0x0
	v_add_f32_e32 v3, v3, v10
	s_wait_alu 0xfffe
	s_or_b32 exec_lo, exec_lo, s0
	s_and_saveexec_b32 s0, vcc_lo
	s_cbranch_execz .LBB54_66
.LBB54_85:
	ds_load_b32 v10, v9 offset:48
	s_wait_dscnt 0x0
	v_add_f32_e32 v4, v4, v10
	s_wait_alu 0xfffe
	s_or_b32 exec_lo, exec_lo, s0
	s_and_saveexec_b32 s0, vcc_lo
	s_cbranch_execz .LBB54_67
.LBB54_86:
	ds_load_b32 v10, v9 offset:64
	s_wait_dscnt 0x0
	v_add_f32_e32 v5, v5, v10
	s_wait_alu 0xfffe
	s_or_b32 exec_lo, exec_lo, s0
	s_and_saveexec_b32 s0, vcc_lo
	s_cbranch_execz .LBB54_68
.LBB54_87:
	ds_load_b32 v10, v9 offset:80
	s_wait_dscnt 0x0
	v_add_f32_e32 v6, v6, v10
	s_wait_alu 0xfffe
	s_or_b32 exec_lo, exec_lo, s0
	s_and_saveexec_b32 s0, vcc_lo
	s_cbranch_execz .LBB54_69
.LBB54_88:
	ds_load_b32 v10, v9 offset:96
	s_wait_dscnt 0x0
	v_add_f32_e32 v7, v7, v10
	s_wait_alu 0xfffe
	s_or_b32 exec_lo, exec_lo, s0
	s_and_saveexec_b32 s0, vcc_lo
	s_cbranch_execnz .LBB54_70
	s_branch .LBB54_71
	.section	.rodata,"a",@progbits
	.p2align	6, 0x0
	.amdhsa_kernel _ZN4vllm25paged_attention_v2_kernelIffLi32ELi32ELi128ELNS_18Fp8KVCacheDataTypeE0ELb0ELi512EEEvPfS2_PT_PKS3_PKT0_S9_ifPKiSB_iPKfiiiSD_SD_iiiii
		.amdhsa_group_segment_fixed_size 160
		.amdhsa_private_segment_fixed_size 0
		.amdhsa_kernarg_size 400
		.amdhsa_user_sgpr_count 2
		.amdhsa_user_sgpr_dispatch_ptr 0
		.amdhsa_user_sgpr_queue_ptr 0
		.amdhsa_user_sgpr_kernarg_segment_ptr 1
		.amdhsa_user_sgpr_dispatch_id 0
		.amdhsa_user_sgpr_private_segment_size 0
		.amdhsa_wavefront_size32 1
		.amdhsa_uses_dynamic_stack 0
		.amdhsa_enable_private_segment 0
		.amdhsa_system_sgpr_workgroup_id_x 1
		.amdhsa_system_sgpr_workgroup_id_y 1
		.amdhsa_system_sgpr_workgroup_id_z 1
		.amdhsa_system_sgpr_workgroup_info 0
		.amdhsa_system_vgpr_workitem_id 0
		.amdhsa_next_free_vgpr 81
		.amdhsa_next_free_sgpr 32
		.amdhsa_reserve_vcc 1
		.amdhsa_float_round_mode_32 0
		.amdhsa_float_round_mode_16_64 0
		.amdhsa_float_denorm_mode_32 3
		.amdhsa_float_denorm_mode_16_64 3
		.amdhsa_fp16_overflow 0
		.amdhsa_workgroup_processor_mode 1
		.amdhsa_memory_ordered 1
		.amdhsa_forward_progress 1
		.amdhsa_inst_pref_size 47
		.amdhsa_round_robin_scheduling 0
		.amdhsa_exception_fp_ieee_invalid_op 0
		.amdhsa_exception_fp_denorm_src 0
		.amdhsa_exception_fp_ieee_div_zero 0
		.amdhsa_exception_fp_ieee_overflow 0
		.amdhsa_exception_fp_ieee_underflow 0
		.amdhsa_exception_fp_ieee_inexact 0
		.amdhsa_exception_int_div_zero 0
	.end_amdhsa_kernel
	.section	.text._ZN4vllm25paged_attention_v2_kernelIffLi32ELi32ELi128ELNS_18Fp8KVCacheDataTypeE0ELb0ELi512EEEvPfS2_PT_PKS3_PKT0_S9_ifPKiSB_iPKfiiiSD_SD_iiiii,"axG",@progbits,_ZN4vllm25paged_attention_v2_kernelIffLi32ELi32ELi128ELNS_18Fp8KVCacheDataTypeE0ELb0ELi512EEEvPfS2_PT_PKS3_PKT0_S9_ifPKiSB_iPKfiiiSD_SD_iiiii,comdat
.Lfunc_end54:
	.size	_ZN4vllm25paged_attention_v2_kernelIffLi32ELi32ELi128ELNS_18Fp8KVCacheDataTypeE0ELb0ELi512EEEvPfS2_PT_PKS3_PKT0_S9_ifPKiSB_iPKfiiiSD_SD_iiiii, .Lfunc_end54-_ZN4vllm25paged_attention_v2_kernelIffLi32ELi32ELi128ELNS_18Fp8KVCacheDataTypeE0ELb0ELi512EEEvPfS2_PT_PKS3_PKT0_S9_ifPKiSB_iPKfiiiSD_SD_iiiii
                                        ; -- End function
	.set _ZN4vllm25paged_attention_v2_kernelIffLi32ELi32ELi128ELNS_18Fp8KVCacheDataTypeE0ELb0ELi512EEEvPfS2_PT_PKS3_PKT0_S9_ifPKiSB_iPKfiiiSD_SD_iiiii.num_vgpr, 81
	.set _ZN4vllm25paged_attention_v2_kernelIffLi32ELi32ELi128ELNS_18Fp8KVCacheDataTypeE0ELb0ELi512EEEvPfS2_PT_PKS3_PKT0_S9_ifPKiSB_iPKfiiiSD_SD_iiiii.num_agpr, 0
	.set _ZN4vllm25paged_attention_v2_kernelIffLi32ELi32ELi128ELNS_18Fp8KVCacheDataTypeE0ELb0ELi512EEEvPfS2_PT_PKS3_PKT0_S9_ifPKiSB_iPKfiiiSD_SD_iiiii.numbered_sgpr, 32
	.set _ZN4vllm25paged_attention_v2_kernelIffLi32ELi32ELi128ELNS_18Fp8KVCacheDataTypeE0ELb0ELi512EEEvPfS2_PT_PKS3_PKT0_S9_ifPKiSB_iPKfiiiSD_SD_iiiii.num_named_barrier, 0
	.set _ZN4vllm25paged_attention_v2_kernelIffLi32ELi32ELi128ELNS_18Fp8KVCacheDataTypeE0ELb0ELi512EEEvPfS2_PT_PKS3_PKT0_S9_ifPKiSB_iPKfiiiSD_SD_iiiii.private_seg_size, 0
	.set _ZN4vllm25paged_attention_v2_kernelIffLi32ELi32ELi128ELNS_18Fp8KVCacheDataTypeE0ELb0ELi512EEEvPfS2_PT_PKS3_PKT0_S9_ifPKiSB_iPKfiiiSD_SD_iiiii.uses_vcc, 1
	.set _ZN4vllm25paged_attention_v2_kernelIffLi32ELi32ELi128ELNS_18Fp8KVCacheDataTypeE0ELb0ELi512EEEvPfS2_PT_PKS3_PKT0_S9_ifPKiSB_iPKfiiiSD_SD_iiiii.uses_flat_scratch, 0
	.set _ZN4vllm25paged_attention_v2_kernelIffLi32ELi32ELi128ELNS_18Fp8KVCacheDataTypeE0ELb0ELi512EEEvPfS2_PT_PKS3_PKT0_S9_ifPKiSB_iPKfiiiSD_SD_iiiii.has_dyn_sized_stack, 0
	.set _ZN4vllm25paged_attention_v2_kernelIffLi32ELi32ELi128ELNS_18Fp8KVCacheDataTypeE0ELb0ELi512EEEvPfS2_PT_PKS3_PKT0_S9_ifPKiSB_iPKfiiiSD_SD_iiiii.has_recursion, 0
	.set _ZN4vllm25paged_attention_v2_kernelIffLi32ELi32ELi128ELNS_18Fp8KVCacheDataTypeE0ELb0ELi512EEEvPfS2_PT_PKS3_PKT0_S9_ifPKiSB_iPKfiiiSD_SD_iiiii.has_indirect_call, 0
	.section	.AMDGPU.csdata,"",@progbits
; Kernel info:
; codeLenInByte = 5940
; TotalNumSgprs: 34
; NumVgprs: 81
; ScratchSize: 0
; MemoryBound: 0
; FloatMode: 240
; IeeeMode: 1
; LDSByteSize: 160 bytes/workgroup (compile time only)
; SGPRBlocks: 0
; VGPRBlocks: 10
; NumSGPRsForWavesPerEU: 34
; NumVGPRsForWavesPerEU: 81
; Occupancy: 16
; WaveLimiterHint : 1
; COMPUTE_PGM_RSRC2:SCRATCH_EN: 0
; COMPUTE_PGM_RSRC2:USER_SGPR: 2
; COMPUTE_PGM_RSRC2:TRAP_HANDLER: 0
; COMPUTE_PGM_RSRC2:TGID_X_EN: 1
; COMPUTE_PGM_RSRC2:TGID_Y_EN: 1
; COMPUTE_PGM_RSRC2:TGID_Z_EN: 1
; COMPUTE_PGM_RSRC2:TIDIG_COMP_CNT: 0
	.section	.text._ZN4vllm25paged_attention_v2_kernelIffLi64ELi32ELi128ELNS_18Fp8KVCacheDataTypeE0ELb0ELi512EEEvPfS2_PT_PKS3_PKT0_S9_ifPKiSB_iPKfiiiSD_SD_iiiii,"axG",@progbits,_ZN4vllm25paged_attention_v2_kernelIffLi64ELi32ELi128ELNS_18Fp8KVCacheDataTypeE0ELb0ELi512EEEvPfS2_PT_PKS3_PKT0_S9_ifPKiSB_iPKfiiiSD_SD_iiiii,comdat
	.protected	_ZN4vllm25paged_attention_v2_kernelIffLi64ELi32ELi128ELNS_18Fp8KVCacheDataTypeE0ELb0ELi512EEEvPfS2_PT_PKS3_PKT0_S9_ifPKiSB_iPKfiiiSD_SD_iiiii ; -- Begin function _ZN4vllm25paged_attention_v2_kernelIffLi64ELi32ELi128ELNS_18Fp8KVCacheDataTypeE0ELb0ELi512EEEvPfS2_PT_PKS3_PKT0_S9_ifPKiSB_iPKfiiiSD_SD_iiiii
	.globl	_ZN4vllm25paged_attention_v2_kernelIffLi64ELi32ELi128ELNS_18Fp8KVCacheDataTypeE0ELb0ELi512EEEvPfS2_PT_PKS3_PKT0_S9_ifPKiSB_iPKfiiiSD_SD_iiiii
	.p2align	8
	.type	_ZN4vllm25paged_attention_v2_kernelIffLi64ELi32ELi128ELNS_18Fp8KVCacheDataTypeE0ELb0ELi512EEEvPfS2_PT_PKS3_PKT0_S9_ifPKiSB_iPKfiiiSD_SD_iiiii,@function
_ZN4vllm25paged_attention_v2_kernelIffLi64ELi32ELi128ELNS_18Fp8KVCacheDataTypeE0ELb0ELi512EEEvPfS2_PT_PKS3_PKT0_S9_ifPKiSB_iPKfiiiSD_SD_iiiii: ; @_ZN4vllm25paged_attention_v2_kernelIffLi64ELi32ELi128ELNS_18Fp8KVCacheDataTypeE0ELb0ELi512EEEvPfS2_PT_PKS3_PKT0_S9_ifPKiSB_iPKfiiiSD_SD_iiiii
; %bb.0:
	s_load_b64 s[2:3], s[0:1], 0x40
	s_and_b32 s14, ttmp7, 0xffff
	s_lshr_b32 s24, ttmp7, 16
	s_lshl_b32 s4, s14, 2
	s_lshl_b32 s26, s24, 9
	s_wait_kmcnt 0x0
	s_load_b32 s25, s[2:3], s4 offset:0x0
	s_wait_kmcnt 0x0
	s_cmp_ge_i32 s26, s25
	s_cbranch_scc1 .LBB55_106
; %bb.1:
	s_clause 0x1
	s_load_b32 s15, s[0:1], 0x90
	s_load_b64 s[4:5], s[0:1], 0x30
	s_wait_kmcnt 0x0
	s_abs_i32 s7, s15
	s_abs_i32 s2, s4
	s_xor_b32 s4, s15, s4
	s_cvt_f32_u32 s3, s2
	s_sub_co_i32 s6, 0, s2
	s_ashr_i32 s4, s4, 31
	s_delay_alu instid0(SALU_CYCLE_1) | instskip(NEXT) | instid1(TRANS32_DEP_1)
	v_rcp_iflag_f32_e32 v1, s3
	v_readfirstlane_b32 s3, v1
	s_mul_f32 s3, s3, 0x4f7ffffe
	s_wait_alu 0xfffe
	s_delay_alu instid0(SALU_CYCLE_2) | instskip(SKIP_1) | instid1(SALU_CYCLE_2)
	s_cvt_u32_f32 s3, s3
	s_wait_alu 0xfffe
	s_mul_i32 s6, s6, s3
	s_delay_alu instid0(SALU_CYCLE_1) | instskip(NEXT) | instid1(SALU_CYCLE_1)
	s_mul_hi_u32 s6, s3, s6
	s_add_co_i32 s3, s3, s6
	s_wait_alu 0xfffe
	s_mul_hi_u32 s3, s7, s3
	s_wait_alu 0xfffe
	s_mul_i32 s6, s3, s2
	s_delay_alu instid0(SALU_CYCLE_1)
	s_sub_co_i32 s6, s7, s6
	s_add_co_i32 s7, s3, 1
	s_sub_co_i32 s8, s6, s2
	s_cmp_ge_u32 s6, s2
	s_cselect_b32 s3, s7, s3
	s_cselect_b32 s6, s8, s6
	s_wait_alu 0xfffe
	s_add_co_i32 s7, s3, 1
	s_cmp_ge_u32 s6, s2
	s_load_b64 s[8:9], s[0:1], 0x50
	s_cselect_b32 s2, s7, s3
	s_mov_b32 s3, 0
	s_wait_alu 0xfffe
	s_xor_b32 s2, s2, s4
	s_mov_b32 s11, s3
	s_wait_alu 0xfffe
	s_sub_co_i32 s12, s2, s4
	s_delay_alu instid0(SALU_CYCLE_1) | instskip(NEXT) | instid1(SALU_CYCLE_1)
	s_abs_i32 s4, s12
	s_cvt_f32_u32 s2, s4
	s_wait_alu 0xfffe
	s_delay_alu instid0(SALU_CYCLE_2) | instskip(NEXT) | instid1(TRANS32_DEP_1)
	v_rcp_iflag_f32_e32 v1, s2
	v_readfirstlane_b32 s2, v1
	s_mul_f32 s2, s2, 0x4f7ffffe
	s_wait_alu 0xfffe
	s_delay_alu instid0(SALU_CYCLE_2) | instskip(SKIP_2) | instid1(SALU_CYCLE_1)
	s_cvt_u32_f32 s6, s2
	s_sub_co_i32 s2, 0, s4
	s_wait_alu 0xfffe
	s_mul_i32 s2, s2, s6
	s_wait_alu 0xfffe
	s_mul_hi_u32 s7, s6, s2
	s_abs_i32 s2, ttmp9
	s_add_co_i32 s6, s6, s7
	s_mov_b32 s7, s3
	s_wait_kmcnt 0x0
	s_cmp_eq_u64 s[8:9], 0
	s_cbranch_scc1 .LBB55_3
; %bb.2:
	s_mov_b32 s10, ttmp9
	s_ashr_i32 s11, ttmp9, 31
	s_delay_alu instid0(SALU_CYCLE_1) | instskip(NEXT) | instid1(SALU_CYCLE_1)
	s_lshl_b64 s[10:11], s[10:11], 2
	s_add_nc_u64 s[8:9], s[8:9], s[10:11]
	s_load_b32 s11, s[8:9], 0x0
.LBB55_3:
	s_load_b96 s[8:10], s[0:1], 0x58
	v_lshlrev_b32_e32 v67, 4, v0
	s_mul_u64 s[6:7], s[2:3], s[6:7]
	s_ashr_i32 s3, ttmp9, 31
	s_ashr_i32 s6, s12, 31
	s_lshl_b32 s12, ttmp9, 6
	s_mov_b32 s16, exec_lo
	v_cmpx_gt_u32_e32 16, v0
	s_cbranch_execz .LBB55_5
; %bb.4:
	s_load_b64 s[18:19], s[0:1], 0x18
	s_wait_kmcnt 0x0
	s_mul_i32 s20, s8, s14
	s_ashr_i32 s13, s12, 31
	s_ashr_i32 s21, s20, 31
	s_delay_alu instid0(SALU_CYCLE_1) | instskip(NEXT) | instid1(SALU_CYCLE_1)
	s_lshl_b64 s[20:21], s[20:21], 2
	s_add_nc_u64 s[18:19], s[18:19], s[20:21]
	s_lshl_b64 s[20:21], s[12:13], 2
	s_delay_alu instid0(SALU_CYCLE_1)
	s_add_nc_u64 s[18:19], s[18:19], s[20:21]
	global_load_b128 v[1:4], v67, s[18:19]
	s_wait_loadcnt 0x0
	ds_store_b128 v67, v[1:4]
.LBB55_5:
	s_or_b32 exec_lo, exec_lo, s16
	s_wait_kmcnt 0x0
	s_add_co_i32 s8, s25, 31
	s_lshl_b32 s28, s24, 4
	s_ashr_i32 s13, s8, 31
	s_mul_i32 s19, s7, s4
	s_lshr_b32 s13, s13, 27
	s_sub_co_i32 s2, s2, s19
	s_add_co_i32 s8, s8, s13
	s_add_co_i32 s13, s28, 16
	s_ashr_i32 s27, s8, 5
	s_clause 0x2
	s_load_b64 s[16:17], s[0:1], 0x38
	s_load_b32 s8, s[0:1], 0x98
	s_load_b32 s18, s[0:1], 0x48
	s_min_i32 s13, s13, s27
	s_xor_b32 s3, s3, s6
	s_add_co_i32 s6, s7, 1
	s_sub_co_i32 s19, s2, s4
	s_cmp_ge_u32 s2, s4
	v_lshrrev_b32_e32 v71, 5, v0
	s_cselect_b32 s6, s6, s7
	s_cselect_b32 s2, s19, s2
	s_add_co_i32 s7, s6, 1
	s_wait_alu 0xfffe
	s_cmp_ge_u32 s2, s4
	v_and_b32_e32 v72, 31, v0
	v_dual_mov_b32 v70, 0xff7fffff :: v_dual_add_nc_u32 v73, s28, v71
	s_cselect_b32 s2, s7, s6
	s_wait_dscnt 0x0
	s_wait_alu 0xfffe
	s_xor_b32 s2, s2, s3
	v_lshlrev_b32_e32 v69, 2, v72
	s_wait_alu 0xfffe
	s_sub_co_i32 s3, s2, s3
	v_cmp_gt_i32_e64 s2, s13, v73
	v_lshlrev_b32_e32 v68, 2, v73
	s_wait_kmcnt 0x0
	s_mul_i32 s18, s18, s14
	s_wait_alu 0xfffe
	s_mul_i32 s20, s3, s10
	s_ashr_i32 s19, s18, 31
	s_barrier_signal -1
	s_barrier_wait -1
	global_inv scope:SCOPE_SE
	s_and_saveexec_b32 s6, s2
	s_cbranch_execz .LBB55_9
; %bb.6:
	v_dual_mov_b32 v61, 0 :: v_dual_lshlrev_b32 v66, 5, v71
	s_load_b64 s[22:23], s[0:1], 0x20
	s_ashr_i32 s21, s20, 31
	v_lshlrev_b32_e32 v65, 4, v72
	ds_load_b128 v[1:4], v61
	ds_load_b128 v[5:8], v61 offset:16
	ds_load_b128 v[9:12], v61 offset:32
	;; [unrolled: 1-line block ×15, first 2 shown]
	v_lshl_or_b32 v70, v71, 7, v69
	s_lshl_b64 s[30:31], s[20:21], 2
	s_cmp_neq_f32 s11, 0
	v_add3_u32 v76, s26, v66, v72
	s_delay_alu instid0(VALU_DEP_2)
	v_dual_mov_b32 v78, v73 :: v_dual_add_nc_u32 v77, 0x120, v70
	v_mov_b32_e32 v70, 0xff7fffff
	s_cselect_b32 vcc_lo, -1, 0
	s_mov_b32 s10, s9
	s_mov_b32 s7, 0
	s_sub_co_i32 s21, 1, s25
	s_wait_kmcnt 0x0
	s_add_nc_u64 s[22:23], s[22:23], s[30:31]
	s_delay_alu instid0(SALU_CYCLE_1)
	v_add_co_u32 v74, s3, s22, v65
	s_wait_alu 0xf1ff
	v_add_co_ci_u32_e64 v75, null, s23, 0, s3
	s_lshl_b64 s[22:23], s[18:19], 2
	s_wait_alu 0xfffe
	s_add_nc_u64 s[22:23], s[16:17], s[22:23]
	s_wait_alu 0xfffe
	v_add_co_u32 v65, s3, s22, v68
	s_wait_alu 0xf1ff
	v_add_co_ci_u32_e64 v66, null, s23, 0, s3
.LBB55_7:                               ; =>This Inner Loop Header: Depth=1
	global_load_b32 v79, v[65:66], off
	v_add_nc_u32_e32 v78, 4, v78
	s_delay_alu instid0(VALU_DEP_1) | instskip(SKIP_3) | instid1(VALU_DEP_1)
	v_cmp_le_i32_e64 s4, s13, v78
	s_or_b32 s7, s4, s7
	s_wait_loadcnt 0x0
	v_mad_co_i64_i32 v[79:80], null, v79, s10, 0
	v_lshlrev_b64_e32 v[79:80], 2, v[79:80]
	s_delay_alu instid0(VALU_DEP_1) | instskip(SKIP_1) | instid1(VALU_DEP_2)
	v_add_co_u32 v115, s3, v74, v79
	s_wait_alu 0xf1ff
	v_add_co_ci_u32_e64 v116, null, v75, v80, s3
	s_clause 0x8
	global_load_b128 v[79:82], v[115:116], off offset:512
	global_load_b128 v[83:86], v[115:116], off
	global_load_b128 v[87:90], v[115:116], off offset:1024
	global_load_b128 v[91:94], v[115:116], off offset:1536
	;; [unrolled: 1-line block ×7, first 2 shown]
	v_add_co_u32 v65, s3, v65, 16
	s_wait_alu 0xf1ff
	v_add_co_ci_u32_e64 v66, null, 0, v66, s3
	v_cmp_gt_i32_e64 s3, s25, v76
	s_wait_loadcnt_dscnt 0x80e
	v_dual_mul_f32 v119, v5, v79 :: v_dual_mul_f32 v120, v6, v80
	v_dual_mul_f32 v121, v7, v81 :: v_dual_mul_f32 v122, v8, v82
	global_load_b128 v[79:82], v[115:116], off offset:4608
	s_wait_loadcnt 0x8
	v_dual_fmac_f32 v119, v1, v83 :: v_dual_fmac_f32 v120, v2, v84
	v_dual_fmac_f32 v121, v3, v85 :: v_dual_fmac_f32 v122, v4, v86
	global_load_b128 v[83:86], v[115:116], off offset:5120
	s_wait_loadcnt_dscnt 0x80d
	v_dual_fmac_f32 v119, v9, v87 :: v_dual_fmac_f32 v120, v10, v88
	v_dual_fmac_f32 v121, v11, v89 :: v_dual_fmac_f32 v122, v12, v90
	global_load_b128 v[87:90], v[115:116], off offset:5632
	s_wait_loadcnt_dscnt 0x80c
	;; [unrolled: 4-line block ×4, first 2 shown]
	v_dual_fmac_f32 v119, v21, v99 :: v_dual_fmac_f32 v120, v22, v100
	v_dual_fmac_f32 v121, v23, v101 :: v_dual_fmac_f32 v122, v24, v102
	s_clause 0x1
	global_load_b128 v[99:102], v[115:116], off offset:7168
	global_load_b128 v[115:118], v[115:116], off offset:7680
	s_wait_loadcnt_dscnt 0x909
	v_dual_fmac_f32 v119, v25, v103 :: v_dual_fmac_f32 v120, v26, v104
	v_dual_fmac_f32 v121, v27, v105 :: v_dual_fmac_f32 v122, v28, v106
	v_dual_max_num_f32 v104, v70, v70 :: v_dual_add_nc_u32 v103, s21, v76
	s_wait_loadcnt_dscnt 0x808
	s_delay_alu instid0(VALU_DEP_3) | instskip(NEXT) | instid1(VALU_DEP_3)
	v_dual_fmac_f32 v119, v29, v107 :: v_dual_fmac_f32 v120, v30, v108
	v_dual_fmac_f32 v121, v31, v109 :: v_dual_fmac_f32 v122, v32, v110
	s_delay_alu instid0(VALU_DEP_3) | instskip(SKIP_1) | instid1(VALU_DEP_3)
	v_cvt_f32_i32_e32 v103, v103
	s_wait_loadcnt_dscnt 0x707
	v_dual_fmac_f32 v119, v33, v111 :: v_dual_fmac_f32 v120, v34, v112
	s_delay_alu instid0(VALU_DEP_3) | instskip(SKIP_1) | instid1(VALU_DEP_2)
	v_dual_fmac_f32 v121, v35, v113 :: v_dual_fmac_f32 v122, v36, v114
	s_wait_loadcnt_dscnt 0x606
	v_dual_fmac_f32 v119, v37, v79 :: v_dual_add_nc_u32 v76, 0x80, v76
	s_delay_alu instid0(VALU_DEP_2) | instskip(NEXT) | instid1(VALU_DEP_3)
	v_dual_fmac_f32 v120, v38, v80 :: v_dual_fmac_f32 v121, v39, v81
	v_fmac_f32_e32 v122, v40, v82
	v_mul_f32_e32 v80, s11, v103
	s_wait_loadcnt_dscnt 0x505
	s_delay_alu instid0(VALU_DEP_3) | instskip(NEXT) | instid1(VALU_DEP_3)
	v_dual_fmac_f32 v119, v41, v83 :: v_dual_fmac_f32 v120, v42, v84
	v_dual_fmac_f32 v121, v43, v85 :: v_dual_fmac_f32 v122, v44, v86
	s_wait_loadcnt_dscnt 0x404
	s_delay_alu instid0(VALU_DEP_2) | instskip(NEXT) | instid1(VALU_DEP_2)
	v_dual_fmac_f32 v119, v45, v87 :: v_dual_fmac_f32 v120, v46, v88
	v_dual_fmac_f32 v121, v47, v89 :: v_dual_fmac_f32 v122, v48, v90
	s_wait_loadcnt_dscnt 0x303
	s_delay_alu instid0(VALU_DEP_2) | instskip(NEXT) | instid1(VALU_DEP_2)
	;; [unrolled: 4-line block ×5, first 2 shown]
	v_dual_fmac_f32 v119, v61, v115 :: v_dual_fmac_f32 v120, v62, v116
	v_dual_fmac_f32 v121, v63, v117 :: v_dual_fmac_f32 v122, v64, v118
	s_delay_alu instid0(VALU_DEP_2) | instskip(NEXT) | instid1(VALU_DEP_1)
	v_add_f32_e32 v79, v119, v120
	v_dual_add_f32 v79, v121, v79 :: v_dual_cndmask_b32 v80, 0, v80
	s_delay_alu instid0(VALU_DEP_1) | instskip(NEXT) | instid1(VALU_DEP_1)
	v_add_f32_e32 v79, v122, v79
	v_fmac_f32_e32 v80, s5, v79
	s_delay_alu instid0(VALU_DEP_1) | instskip(SKIP_2) | instid1(VALU_DEP_2)
	v_max_num_f32_e32 v79, v104, v80
	s_wait_alu 0xf1ff
	v_cndmask_b32_e64 v80, 0, v80, s3
	v_cndmask_b32_e64 v70, v70, v79, s3
	ds_store_b32 v77, v80
	v_add_nc_u32_e32 v77, 0x200, v77
	s_and_not1_b32 exec_lo, exec_lo, s7
	s_cbranch_execnz .LBB55_7
; %bb.8:
	s_or_b32 exec_lo, exec_lo, s7
.LBB55_9:
	s_delay_alu instid0(SALU_CYCLE_1)
	s_or_b32 exec_lo, exec_lo, s6
	v_mbcnt_lo_u32_b32 v1, -1, 0
	s_clause 0x2
	s_load_b128 s[4:7], s[0:1], 0x0
	s_load_b64 s[10:11], s[0:1], 0x10
	s_load_b64 s[22:23], s[0:1], 0x28
	v_xor_b32_e32 v2, 16, v1
	v_xor_b32_e32 v4, 8, v1
	s_delay_alu instid0(VALU_DEP_2) | instskip(SKIP_2) | instid1(VALU_DEP_3)
	v_cmp_gt_i32_e32 vcc_lo, 32, v2
	s_wait_alu 0xfffd
	v_cndmask_b32_e32 v2, v1, v2, vcc_lo
	v_cmp_gt_i32_e32 vcc_lo, 32, v4
	v_max_num_f32_e32 v5, v70, v70
	s_delay_alu instid0(VALU_DEP_3)
	v_lshlrev_b32_e32 v2, 2, v2
	s_wait_alu 0xfffd
	v_cndmask_b32_e32 v4, v1, v4, vcc_lo
	ds_bpermute_b32 v3, v2, v70
	s_wait_dscnt 0x0
	v_dual_max_num_f32 v6, v3, v3 :: v_dual_lshlrev_b32 v3, 2, v4
	s_delay_alu instid0(VALU_DEP_1)
	v_max_num_f32_e32 v4, v5, v6
	v_xor_b32_e32 v6, 4, v1
	ds_bpermute_b32 v5, v3, v4
	v_cmp_gt_i32_e32 vcc_lo, 32, v6
	s_wait_alu 0xfffd
	v_cndmask_b32_e32 v6, v1, v6, vcc_lo
	s_delay_alu instid0(VALU_DEP_1) | instskip(SKIP_1) | instid1(VALU_DEP_1)
	v_lshlrev_b32_e32 v76, 2, v6
	v_xor_b32_e32 v6, 2, v1
	v_cmp_gt_i32_e32 vcc_lo, 32, v6
	s_wait_dscnt 0x0
	v_max_num_f32_e32 v5, v5, v5
	s_wait_alu 0xfffd
	v_cndmask_b32_e32 v6, v1, v6, vcc_lo
	s_delay_alu instid0(VALU_DEP_1)
	v_dual_max_num_f32 v4, v4, v5 :: v_dual_lshlrev_b32 v75, 2, v6
	v_xor_b32_e32 v6, 1, v1
	ds_bpermute_b32 v5, v76, v4
	v_cmp_gt_i32_e32 vcc_lo, 32, v6
	s_wait_alu 0xfffd
	v_cndmask_b32_e32 v6, v1, v6, vcc_lo
	v_cmp_eq_u32_e32 vcc_lo, 0, v72
	s_wait_dscnt 0x0
	s_delay_alu instid0(VALU_DEP_2) | instskip(NEXT) | instid1(VALU_DEP_1)
	v_dual_max_num_f32 v5, v5, v5 :: v_dual_lshlrev_b32 v74, 2, v6
	v_max_num_f32_e32 v4, v4, v5
	ds_bpermute_b32 v5, v75, v4
	s_wait_dscnt 0x0
	v_max_num_f32_e32 v5, v5, v5
	s_delay_alu instid0(VALU_DEP_1)
	v_max_num_f32_e32 v1, v4, v5
	v_lshlrev_b32_e32 v5, 2, v71
	ds_bpermute_b32 v4, v74, v1
	s_and_saveexec_b32 s0, vcc_lo
	s_cbranch_execz .LBB55_11
; %bb.10:
	s_wait_dscnt 0x0
	v_dual_max_num_f32 v4, v4, v4 :: v_dual_max_num_f32 v1, v1, v1
	s_delay_alu instid0(VALU_DEP_1)
	v_max_num_f32_e32 v1, v1, v4
	ds_store_b32 v5, v1 offset:256
.LBB55_11:
	s_or_b32 exec_lo, exec_lo, s0
	v_cmp_gt_u32_e64 s0, 4, v72
	v_mov_b32_e32 v1, 0xff7fffff
	s_wait_loadcnt_dscnt 0x0
	s_barrier_signal -1
	s_barrier_wait -1
	global_inv scope:SCOPE_SE
	s_and_saveexec_b32 s1, s0
; %bb.12:
	ds_load_b32 v1, v69 offset:256
; %bb.13:
	s_or_b32 exec_lo, exec_lo, s1
	s_wait_dscnt 0x0
	ds_bpermute_b32 v4, v75, v1
	v_max_num_f32_e32 v1, v1, v1
	s_sub_co_i32 s1, s13, s28
	v_mov_b32_e32 v6, 0
	s_lshl_b32 s1, s1, 5
	s_delay_alu instid0(SALU_CYCLE_1) | instskip(NEXT) | instid1(SALU_CYCLE_1)
	s_add_co_i32 s1, s1, s26
	s_min_i32 s1, s1, s25
	s_delay_alu instid0(SALU_CYCLE_1) | instskip(SKIP_4) | instid1(VALU_DEP_1)
	s_sub_co_i32 s21, s1, s26
	s_wait_alu 0xfffe
	v_cmp_gt_i32_e64 s1, s21, v0
	s_wait_dscnt 0x0
	v_max_num_f32_e32 v4, v4, v4
	v_max_num_f32_e32 v1, v1, v4
	ds_bpermute_b32 v4, v74, v1
	s_wait_dscnt 0x0
	v_max_num_f32_e32 v4, v4, v4
	s_delay_alu instid0(VALU_DEP_1)
	v_max_num_f32_e32 v1, v1, v4
	v_lshl_add_u32 v4, v0, 2, 0x120
	ds_bpermute_b32 v1, v6, v1
	s_and_saveexec_b32 s28, s1
	s_cbranch_execz .LBB55_17
; %bb.14:
	v_lshl_add_u32 v7, v0, 2, 0x120
	v_mov_b32_e32 v6, 0
	v_mov_b32_e32 v8, v0
	s_mov_b32 s29, 0
.LBB55_15:                              ; =>This Inner Loop Header: Depth=1
	ds_load_b32 v9, v7
	v_add_nc_u32_e32 v8, 0x80, v8
	s_delay_alu instid0(VALU_DEP_1) | instskip(SKIP_4) | instid1(VALU_DEP_1)
	v_cmp_le_i32_e64 s3, s21, v8
	s_wait_alu 0xfffe
	s_or_b32 s29, s3, s29
	s_wait_dscnt 0x0
	v_sub_f32_e32 v9, v9, v1
	v_mul_f32_e32 v9, 0x3fb8aa3b, v9
	s_delay_alu instid0(VALU_DEP_1)
	v_exp_f32_e32 v9, v9
	ds_store_b32 v7, v9
	v_dual_add_f32 v6, v6, v9 :: v_dual_add_nc_u32 v7, 0x200, v7
	s_wait_alu 0xfffe
	s_and_not1_b32 exec_lo, exec_lo, s29
	s_cbranch_execnz .LBB55_15
; %bb.16:
	s_or_b32 exec_lo, exec_lo, s29
.LBB55_17:
	s_wait_alu 0xfffe
	s_or_b32 exec_lo, exec_lo, s28
	ds_bpermute_b32 v2, v2, v6
	s_wait_dscnt 0x0
	v_add_f32_e32 v2, v6, v2
	ds_bpermute_b32 v3, v3, v2
	s_wait_dscnt 0x0
	v_add_f32_e32 v2, v2, v3
	;; [unrolled: 3-line block ×5, first 2 shown]
	s_and_saveexec_b32 s3, vcc_lo
; %bb.18:
	ds_store_b32 v5, v2 offset:272
; %bb.19:
	s_wait_alu 0xfffe
	s_or_b32 exec_lo, exec_lo, s3
	s_wait_loadcnt_dscnt 0x0
	s_barrier_signal -1
	s_barrier_wait -1
	global_inv scope:SCOPE_SE
	s_and_saveexec_b32 s3, s0
; %bb.20:
	ds_load_b32 v2, v69 offset:272
; %bb.21:
	s_wait_alu 0xfffe
	s_or_b32 exec_lo, exec_lo, s3
	s_wait_dscnt 0x0
	ds_bpermute_b32 v3, v75, v2
	s_wait_dscnt 0x0
	v_add_f32_e32 v2, v2, v3
	ds_bpermute_b32 v3, v74, v2
	s_wait_dscnt 0x0
	v_dual_add_f32 v2, v2, v3 :: v_dual_mov_b32 v3, 0
	ds_bpermute_b32 v2, v3, v2
	s_and_saveexec_b32 s0, s1
	s_cbranch_execz .LBB55_24
; %bb.22:
	s_wait_dscnt 0x0
	v_add_f32_e32 v3, 0x358637bd, v2
	s_mov_b32 s1, 0
	s_delay_alu instid0(VALU_DEP_1) | instskip(SKIP_1) | instid1(VALU_DEP_2)
	v_div_scale_f32 v5, null, v3, v3, 1.0
	v_div_scale_f32 v8, vcc_lo, 1.0, v3, 1.0
	v_rcp_f32_e32 v6, v5
	s_delay_alu instid0(TRANS32_DEP_1) | instskip(NEXT) | instid1(VALU_DEP_1)
	v_fma_f32 v7, -v5, v6, 1.0
	v_fmac_f32_e32 v6, v7, v6
	s_delay_alu instid0(VALU_DEP_1) | instskip(NEXT) | instid1(VALU_DEP_1)
	v_mul_f32_e32 v7, v8, v6
	v_fma_f32 v9, -v5, v7, v8
	s_delay_alu instid0(VALU_DEP_1) | instskip(NEXT) | instid1(VALU_DEP_1)
	v_fmac_f32_e32 v7, v9, v6
	v_fma_f32 v5, -v5, v7, v8
	s_wait_alu 0xfffd
	s_delay_alu instid0(VALU_DEP_1) | instskip(NEXT) | instid1(VALU_DEP_1)
	v_div_fmas_f32 v5, v5, v6, v7
	v_div_fixup_f32 v3, v5, v3, 1.0
	v_mov_b32_e32 v5, v0
.LBB55_23:                              ; =>This Inner Loop Header: Depth=1
	ds_load_b32 v6, v4
	s_wait_dscnt 0x0
	v_dual_mul_f32 v6, v3, v6 :: v_dual_add_nc_u32 v5, 0x80, v5
	s_delay_alu instid0(VALU_DEP_1) | instskip(SKIP_3) | instid1(SALU_CYCLE_1)
	v_cmp_le_i32_e32 vcc_lo, s21, v5
	ds_store_b32 v4, v6
	v_add_nc_u32_e32 v4, 0x200, v4
	s_or_b32 s1, vcc_lo, s1
	s_and_not1_b32 exec_lo, exec_lo, s1
	s_cbranch_execnz .LBB55_23
.LBB55_24:
	s_or_b32 exec_lo, exec_lo, s0
	s_mul_i32 s0, s8, s14
	s_wait_loadcnt_dscnt 0x0
	s_mul_i32 s14, s0, s15
	s_mov_b32 s0, exec_lo
	s_barrier_signal -1
	s_barrier_wait -1
	global_inv scope:SCOPE_SE
	v_cmpx_eq_u32_e32 0, v0
	s_cbranch_execz .LBB55_26
; %bb.25:
	s_ashr_i32 s15, s14, 31
	s_mul_i32 s28, s8, ttmp9
	s_lshl_b32 s1, s24, 2
	s_lshl_b64 s[30:31], s[14:15], 2
	s_wait_alu 0xfffe
	s_ashr_i32 s29, s28, 31
	v_mov_b32_e32 v3, s1
	s_wait_kmcnt 0x0
	s_add_nc_u64 s[6:7], s[6:7], s[30:31]
	s_wait_alu 0xfffe
	s_lshl_b64 s[28:29], s[28:29], 2
	s_add_nc_u64 s[4:5], s[4:5], s[30:31]
	s_wait_alu 0xfffe
	s_add_nc_u64 s[6:7], s[6:7], s[28:29]
	s_add_nc_u64 s[4:5], s[4:5], s[28:29]
	s_clause 0x1
	global_store_b32 v3, v1, s[6:7]
	global_store_b32 v3, v2, s[4:5]
.LBB55_26:
	s_or_b32 exec_lo, exec_lo, s0
	v_dual_mov_b32 v91, 0 :: v_dual_mov_b32 v92, 0
	v_dual_mov_b32 v90, 0 :: v_dual_and_b32 v77, 7, v0
	v_dual_mov_b32 v93, 0 :: v_dual_mov_b32 v88, 0
	v_dual_mov_b32 v89, 0 :: v_dual_mov_b32 v86, 0
	;; [unrolled: 1-line block ×6, first 2 shown]
	v_mov_b32_e32 v79, 0
	s_wait_kmcnt 0x0
	s_and_saveexec_b32 s4, s2
	s_cbranch_execz .LBB55_62
; %bb.27:
	s_ashr_i32 s21, s20, 31
	v_dual_mov_b32 v82, 0 :: v_dual_and_b32 v3, 0x1f0, v67
	s_wait_alu 0xfffe
	s_lshl_b64 s[0:1], s[20:21], 2
	v_dual_mov_b32 v78, 0 :: v_dual_lshlrev_b32 v1, 2, v0
	v_dual_mov_b32 v79, 0 :: v_dual_lshlrev_b32 v2, 4, v77
	s_wait_alu 0xfffe
	s_add_nc_u64 s[0:1], s[22:23], s[0:1]
	s_delay_alu instid0(VALU_DEP_2)
	v_dual_mov_b32 v80, 0 :: v_dual_and_b32 v1, 28, v1
	s_wait_alu 0xfffe
	v_add_co_u32 v94, s0, s0, v3
	s_wait_alu 0xf1ff
	v_add_co_ci_u32_e64 v95, null, s1, 0, s0
	s_lshl_b64 s[0:1], s[18:19], 2
	v_lshl_add_u32 v4, v71, 5, s26
	v_lshl_or_b32 v2, v71, 7, v2
	s_wait_alu 0xfffe
	s_add_nc_u64 s[0:1], s[16:17], s[0:1]
	v_dual_mov_b32 v81, 0 :: v_dual_mov_b32 v86, 0
	s_wait_alu 0xfffe
	v_add_co_u32 v69, s0, s0, v68
	v_add3_u32 v96, v4, v1, 3
	v_dual_mov_b32 v84, 0 :: v_dual_add_nc_u32 v97, 0x120, v2
	s_wait_alu 0xf1ff
	v_add_co_ci_u32_e64 v70, null, s1, 0, s0
	v_dual_mov_b32 v83, 0 :: v_dual_mov_b32 v88, 0
	v_dual_mov_b32 v85, 0 :: v_dual_mov_b32 v90, 0
	;; [unrolled: 1-line block ×3, first 2 shown]
	v_mov_b32_e32 v89, 0
	v_mov_b32_e32 v93, 0
	;; [unrolled: 1-line block ×3, first 2 shown]
	s_mov_b32 s5, s9
	s_add_co_i32 s27, s27, -1
	s_mov_b32 s6, 0
	s_branch .LBB55_29
.LBB55_28:                              ;   in Loop: Header=BB55_29 Depth=1
	s_wait_alu 0xfffe
	s_or_b32 exec_lo, exec_lo, s0
	s_wait_loadcnt_dscnt 0x600
	v_mul_f32_e32 v41, v1, v41
	v_mul_f32_e32 v33, v1, v33
	v_mul_f32_e32 v13, v1, v13
	s_wait_loadcnt 0x2
	v_mul_f32_e32 v61, v1, v61
	v_mul_f32_e32 v25, v1, v25
	v_fmac_f32_e32 v41, v2, v42
	v_fmac_f32_e32 v33, v2, v34
	;; [unrolled: 1-line block ×3, first 2 shown]
	v_mul_f32_e32 v49, v1, v49
	v_fmac_f32_e32 v25, v2, v26
	v_fmac_f32_e32 v41, v3, v43
	;; [unrolled: 1-line block ×3, first 2 shown]
	v_mul_f32_e32 v17, v1, v17
	v_fmac_f32_e32 v13, v3, v15
	s_wait_loadcnt 0x1
	v_dual_mul_f32 v65, v1, v65 :: v_dual_add_nc_u32 v96, 0x80, v96
	v_fmac_f32_e32 v41, v4, v44
	v_fmac_f32_e32 v61, v2, v62
	v_mul_f32_e32 v57, v1, v57
	v_mul_f32_e32 v45, v1, v45
	;; [unrolled: 1-line block ×3, first 2 shown]
	v_add_f32_e32 v84, v84, v41
	v_mul_f32_e32 v29, v1, v29
	v_mul_f32_e32 v21, v1, v21
	v_fmac_f32_e32 v25, v3, v27
	v_fmac_f32_e32 v33, v4, v36
	;; [unrolled: 1-line block ×3, first 2 shown]
	v_mul_f32_e32 v9, v1, v9
	v_fmac_f32_e32 v17, v2, v18
	v_mul_f32_e32 v5, v1, v5
	s_wait_loadcnt 0x0
	v_mul_f32_e32 v1, v1, v53
	v_fmac_f32_e32 v13, v4, v16
	v_fmac_f32_e32 v49, v2, v50
	;; [unrolled: 1-line block ×8, first 2 shown]
	v_dual_add_f32 v86, v86, v33 :: v_dual_fmac_f32 v61, v4, v64
	v_fmac_f32_e32 v65, v2, v66
	v_fmac_f32_e32 v9, v2, v10
	;; [unrolled: 1-line block ×4, first 2 shown]
	v_dual_fmac_f32 v1, v2, v54 :: v_dual_add_f32 v92, v92, v13
	v_fmac_f32_e32 v49, v3, v51
	v_dual_fmac_f32 v45, v3, v47 :: v_dual_add_f32 v80, v80, v61
	v_fmac_f32_e32 v37, v3, v39
	v_fmac_f32_e32 v29, v3, v31
	s_delay_alu instid0(VALU_DEP_4)
	v_fmac_f32_e32 v49, v4, v52
	v_fmac_f32_e32 v65, v3, v67
	v_dual_fmac_f32 v21, v3, v23 :: v_dual_add_f32 v88, v88, v25
	v_fmac_f32_e32 v9, v3, v11
	v_fmac_f32_e32 v17, v4, v20
	;; [unrolled: 1-line block ×5, first 2 shown]
	v_add_nc_u32_e32 v73, 4, v73
	v_dual_fmac_f32 v45, v4, v48 :: v_dual_add_f32 v82, v82, v49
	v_fmac_f32_e32 v37, v4, v40
	v_fmac_f32_e32 v29, v4, v32
	;; [unrolled: 1-line block ×3, first 2 shown]
	v_dual_fmac_f32 v9, v4, v12 :: v_dual_add_f32 v90, v90, v17
	v_fmac_f32_e32 v57, v4, v60
	v_fmac_f32_e32 v5, v4, v8
	;; [unrolled: 1-line block ×4, first 2 shown]
	v_cmp_le_i32_e32 vcc_lo, s13, v73
	v_add_co_u32 v69, s0, v69, 16
	v_add_f32_e32 v81, v81, v57
	v_add_f32_e32 v83, v83, v45
	;; [unrolled: 1-line block ×9, first 2 shown]
	v_add_nc_u32_e32 v97, 0x200, v97
	s_wait_alu 0xf1ff
	v_add_co_ci_u32_e64 v70, null, 0, v70, s0
	s_or_b32 s6, vcc_lo, s6
	s_delay_alu instid0(SALU_CYCLE_1)
	s_and_not1_b32 exec_lo, exec_lo, s6
	s_cbranch_execz .LBB55_61
.LBB55_29:                              ; =>This Inner Loop Header: Depth=1
	global_load_b32 v1, v[69:70], off
	v_add_nc_u32_e32 v98, -3, v96
	v_add_nc_u32_e32 v100, -2, v96
	;; [unrolled: 1-line block ×3, first 2 shown]
	s_wait_loadcnt 0x0
	s_wait_alu 0xfffe
	v_mad_co_i64_i32 v[1:2], null, v1, s5, 0
	s_delay_alu instid0(VALU_DEP_1) | instskip(NEXT) | instid1(VALU_DEP_1)
	v_lshlrev_b64_e32 v[1:2], 2, v[1:2]
	v_add_co_u32 v53, vcc_lo, v94, v1
	s_wait_alu 0xfffd
	s_delay_alu instid0(VALU_DEP_2)
	v_add_co_ci_u32_e64 v54, null, v95, v2, vcc_lo
	ds_load_b128 v[1:4], v97
	v_cmp_eq_u32_e32 vcc_lo, s27, v73
	global_load_b128 v[5:8], v[53:54], off
	s_and_saveexec_b32 s1, vcc_lo
	s_cbranch_execnz .LBB55_45
; %bb.30:                               ;   in Loop: Header=BB55_29 Depth=1
	s_wait_alu 0xfffe
	s_or_b32 exec_lo, exec_lo, s1
	global_load_b128 v[9:12], v[53:54], off offset:512
	s_and_saveexec_b32 s1, vcc_lo
	s_cbranch_execnz .LBB55_46
.LBB55_31:                              ;   in Loop: Header=BB55_29 Depth=1
	s_wait_alu 0xfffe
	s_or_b32 exec_lo, exec_lo, s1
	global_load_b128 v[13:16], v[53:54], off offset:1024
	s_and_saveexec_b32 s1, vcc_lo
	s_cbranch_execnz .LBB55_47
.LBB55_32:                              ;   in Loop: Header=BB55_29 Depth=1
	s_wait_alu 0xfffe
	s_or_b32 exec_lo, exec_lo, s1
	global_load_b128 v[17:20], v[53:54], off offset:1536
	s_and_saveexec_b32 s1, vcc_lo
	s_cbranch_execnz .LBB55_48
.LBB55_33:                              ;   in Loop: Header=BB55_29 Depth=1
	s_wait_alu 0xfffe
	s_or_b32 exec_lo, exec_lo, s1
	global_load_b128 v[21:24], v[53:54], off offset:2048
	s_and_saveexec_b32 s1, vcc_lo
	s_cbranch_execnz .LBB55_49
.LBB55_34:                              ;   in Loop: Header=BB55_29 Depth=1
	s_wait_alu 0xfffe
	s_or_b32 exec_lo, exec_lo, s1
	global_load_b128 v[25:28], v[53:54], off offset:2560
	s_and_saveexec_b32 s1, vcc_lo
	s_cbranch_execnz .LBB55_50
.LBB55_35:                              ;   in Loop: Header=BB55_29 Depth=1
	s_wait_alu 0xfffe
	s_or_b32 exec_lo, exec_lo, s1
	global_load_b128 v[29:32], v[53:54], off offset:3072
	s_and_saveexec_b32 s1, vcc_lo
	s_cbranch_execnz .LBB55_51
.LBB55_36:                              ;   in Loop: Header=BB55_29 Depth=1
	s_wait_alu 0xfffe
	s_or_b32 exec_lo, exec_lo, s1
	global_load_b128 v[33:36], v[53:54], off offset:3584
	s_and_saveexec_b32 s1, vcc_lo
	s_cbranch_execnz .LBB55_52
.LBB55_37:                              ;   in Loop: Header=BB55_29 Depth=1
	s_wait_alu 0xfffe
	s_or_b32 exec_lo, exec_lo, s1
	global_load_b128 v[37:40], v[53:54], off offset:4096
	s_and_saveexec_b32 s1, vcc_lo
	s_cbranch_execnz .LBB55_53
.LBB55_38:                              ;   in Loop: Header=BB55_29 Depth=1
	s_wait_alu 0xfffe
	s_or_b32 exec_lo, exec_lo, s1
	global_load_b128 v[41:44], v[53:54], off offset:4608
	s_and_saveexec_b32 s1, vcc_lo
	s_cbranch_execnz .LBB55_54
.LBB55_39:                              ;   in Loop: Header=BB55_29 Depth=1
	s_wait_alu 0xfffe
	s_or_b32 exec_lo, exec_lo, s1
	global_load_b128 v[45:48], v[53:54], off offset:5120
	s_and_saveexec_b32 s1, vcc_lo
	s_cbranch_execnz .LBB55_55
.LBB55_40:                              ;   in Loop: Header=BB55_29 Depth=1
	s_wait_alu 0xfffe
	s_or_b32 exec_lo, exec_lo, s1
	global_load_b128 v[49:52], v[53:54], off offset:5632
	s_and_saveexec_b32 s1, vcc_lo
	s_cbranch_execnz .LBB55_56
.LBB55_41:                              ;   in Loop: Header=BB55_29 Depth=1
	s_wait_alu 0xfffe
	s_or_b32 exec_lo, exec_lo, s1
	global_load_b128 v[57:60], v[53:54], off offset:6144
	s_and_saveexec_b32 s1, vcc_lo
	s_cbranch_execnz .LBB55_57
.LBB55_42:                              ;   in Loop: Header=BB55_29 Depth=1
	s_wait_alu 0xfffe
	s_or_b32 exec_lo, exec_lo, s1
	global_load_b128 v[61:64], v[53:54], off offset:6656
	s_and_saveexec_b32 s1, vcc_lo
	s_cbranch_execnz .LBB55_58
.LBB55_43:                              ;   in Loop: Header=BB55_29 Depth=1
	s_wait_alu 0xfffe
	s_or_b32 exec_lo, exec_lo, s1
	global_load_b128 v[65:68], v[53:54], off offset:7168
	s_and_saveexec_b32 s7, vcc_lo
	s_cbranch_execnz .LBB55_59
.LBB55_44:                              ;   in Loop: Header=BB55_29 Depth=1
	s_or_b32 exec_lo, exec_lo, s7
	global_load_b128 v[53:56], v[53:54], off offset:7680
	s_and_saveexec_b32 s0, vcc_lo
	s_cbranch_execz .LBB55_28
	s_branch .LBB55_60
.LBB55_45:                              ;   in Loop: Header=BB55_29 Depth=1
	v_cmp_gt_i32_e64 s0, s25, v98
	s_wait_loadcnt 0x0
	s_wait_alu 0xf1ff
	s_delay_alu instid0(VALU_DEP_1) | instskip(SKIP_2) | instid1(VALU_DEP_1)
	v_cndmask_b32_e64 v5, 0, v5, s0
	v_cmp_gt_i32_e64 s0, s25, v100
	s_wait_alu 0xf1ff
	v_cndmask_b32_e64 v6, 0, v6, s0
	v_cmp_gt_i32_e64 s0, s25, v99
	s_wait_alu 0xf1ff
	s_delay_alu instid0(VALU_DEP_1) | instskip(SKIP_2) | instid1(VALU_DEP_1)
	v_cndmask_b32_e64 v7, 0, v7, s0
	v_cmp_gt_i32_e64 s0, s25, v96
	s_wait_alu 0xf1ff
	v_cndmask_b32_e64 v8, 0, v8, s0
	s_wait_alu 0xfffe
	s_or_b32 exec_lo, exec_lo, s1
	global_load_b128 v[9:12], v[53:54], off offset:512
	s_and_saveexec_b32 s1, vcc_lo
	s_cbranch_execz .LBB55_31
.LBB55_46:                              ;   in Loop: Header=BB55_29 Depth=1
	v_cmp_gt_i32_e64 s0, s25, v98
	s_wait_loadcnt 0x0
	s_wait_alu 0xf1ff
	s_delay_alu instid0(VALU_DEP_1) | instskip(SKIP_2) | instid1(VALU_DEP_1)
	v_cndmask_b32_e64 v9, 0, v9, s0
	v_cmp_gt_i32_e64 s0, s25, v100
	s_wait_alu 0xf1ff
	v_cndmask_b32_e64 v10, 0, v10, s0
	v_cmp_gt_i32_e64 s0, s25, v99
	s_wait_alu 0xf1ff
	s_delay_alu instid0(VALU_DEP_1) | instskip(SKIP_2) | instid1(VALU_DEP_1)
	v_cndmask_b32_e64 v11, 0, v11, s0
	v_cmp_gt_i32_e64 s0, s25, v96
	s_wait_alu 0xf1ff
	v_cndmask_b32_e64 v12, 0, v12, s0
	s_wait_alu 0xfffe
	s_or_b32 exec_lo, exec_lo, s1
	global_load_b128 v[13:16], v[53:54], off offset:1024
	s_and_saveexec_b32 s1, vcc_lo
	s_cbranch_execz .LBB55_32
.LBB55_47:                              ;   in Loop: Header=BB55_29 Depth=1
	v_cmp_gt_i32_e64 s0, s25, v98
	s_wait_loadcnt 0x0
	s_wait_alu 0xf1ff
	s_delay_alu instid0(VALU_DEP_1) | instskip(SKIP_2) | instid1(VALU_DEP_1)
	v_cndmask_b32_e64 v13, 0, v13, s0
	v_cmp_gt_i32_e64 s0, s25, v100
	s_wait_alu 0xf1ff
	v_cndmask_b32_e64 v14, 0, v14, s0
	v_cmp_gt_i32_e64 s0, s25, v99
	s_wait_alu 0xf1ff
	s_delay_alu instid0(VALU_DEP_1) | instskip(SKIP_2) | instid1(VALU_DEP_1)
	v_cndmask_b32_e64 v15, 0, v15, s0
	v_cmp_gt_i32_e64 s0, s25, v96
	s_wait_alu 0xf1ff
	v_cndmask_b32_e64 v16, 0, v16, s0
	s_wait_alu 0xfffe
	s_or_b32 exec_lo, exec_lo, s1
	global_load_b128 v[17:20], v[53:54], off offset:1536
	s_and_saveexec_b32 s1, vcc_lo
	s_cbranch_execz .LBB55_33
.LBB55_48:                              ;   in Loop: Header=BB55_29 Depth=1
	v_cmp_gt_i32_e64 s0, s25, v98
	s_wait_loadcnt 0x0
	s_wait_alu 0xf1ff
	s_delay_alu instid0(VALU_DEP_1) | instskip(SKIP_2) | instid1(VALU_DEP_1)
	v_cndmask_b32_e64 v17, 0, v17, s0
	v_cmp_gt_i32_e64 s0, s25, v100
	s_wait_alu 0xf1ff
	v_cndmask_b32_e64 v18, 0, v18, s0
	v_cmp_gt_i32_e64 s0, s25, v99
	s_wait_alu 0xf1ff
	s_delay_alu instid0(VALU_DEP_1) | instskip(SKIP_2) | instid1(VALU_DEP_1)
	v_cndmask_b32_e64 v19, 0, v19, s0
	v_cmp_gt_i32_e64 s0, s25, v96
	s_wait_alu 0xf1ff
	v_cndmask_b32_e64 v20, 0, v20, s0
	s_wait_alu 0xfffe
	s_or_b32 exec_lo, exec_lo, s1
	global_load_b128 v[21:24], v[53:54], off offset:2048
	s_and_saveexec_b32 s1, vcc_lo
	s_cbranch_execz .LBB55_34
.LBB55_49:                              ;   in Loop: Header=BB55_29 Depth=1
	v_cmp_gt_i32_e64 s0, s25, v98
	s_wait_loadcnt 0x0
	s_wait_alu 0xf1ff
	s_delay_alu instid0(VALU_DEP_1) | instskip(SKIP_2) | instid1(VALU_DEP_1)
	v_cndmask_b32_e64 v21, 0, v21, s0
	v_cmp_gt_i32_e64 s0, s25, v100
	s_wait_alu 0xf1ff
	v_cndmask_b32_e64 v22, 0, v22, s0
	v_cmp_gt_i32_e64 s0, s25, v99
	s_wait_alu 0xf1ff
	s_delay_alu instid0(VALU_DEP_1) | instskip(SKIP_2) | instid1(VALU_DEP_1)
	v_cndmask_b32_e64 v23, 0, v23, s0
	v_cmp_gt_i32_e64 s0, s25, v96
	s_wait_alu 0xf1ff
	v_cndmask_b32_e64 v24, 0, v24, s0
	s_wait_alu 0xfffe
	s_or_b32 exec_lo, exec_lo, s1
	global_load_b128 v[25:28], v[53:54], off offset:2560
	s_and_saveexec_b32 s1, vcc_lo
	s_cbranch_execz .LBB55_35
.LBB55_50:                              ;   in Loop: Header=BB55_29 Depth=1
	v_cmp_gt_i32_e64 s0, s25, v98
	s_wait_loadcnt 0x0
	s_wait_alu 0xf1ff
	s_delay_alu instid0(VALU_DEP_1) | instskip(SKIP_2) | instid1(VALU_DEP_1)
	v_cndmask_b32_e64 v25, 0, v25, s0
	v_cmp_gt_i32_e64 s0, s25, v100
	s_wait_alu 0xf1ff
	v_cndmask_b32_e64 v26, 0, v26, s0
	v_cmp_gt_i32_e64 s0, s25, v99
	s_wait_alu 0xf1ff
	s_delay_alu instid0(VALU_DEP_1) | instskip(SKIP_2) | instid1(VALU_DEP_1)
	v_cndmask_b32_e64 v27, 0, v27, s0
	v_cmp_gt_i32_e64 s0, s25, v96
	s_wait_alu 0xf1ff
	v_cndmask_b32_e64 v28, 0, v28, s0
	s_wait_alu 0xfffe
	s_or_b32 exec_lo, exec_lo, s1
	global_load_b128 v[29:32], v[53:54], off offset:3072
	s_and_saveexec_b32 s1, vcc_lo
	s_cbranch_execz .LBB55_36
.LBB55_51:                              ;   in Loop: Header=BB55_29 Depth=1
	v_cmp_gt_i32_e64 s0, s25, v98
	s_wait_loadcnt 0x0
	s_wait_alu 0xf1ff
	s_delay_alu instid0(VALU_DEP_1) | instskip(SKIP_2) | instid1(VALU_DEP_1)
	v_cndmask_b32_e64 v29, 0, v29, s0
	v_cmp_gt_i32_e64 s0, s25, v100
	s_wait_alu 0xf1ff
	v_cndmask_b32_e64 v30, 0, v30, s0
	v_cmp_gt_i32_e64 s0, s25, v99
	s_wait_alu 0xf1ff
	s_delay_alu instid0(VALU_DEP_1) | instskip(SKIP_2) | instid1(VALU_DEP_1)
	v_cndmask_b32_e64 v31, 0, v31, s0
	v_cmp_gt_i32_e64 s0, s25, v96
	s_wait_alu 0xf1ff
	v_cndmask_b32_e64 v32, 0, v32, s0
	s_wait_alu 0xfffe
	s_or_b32 exec_lo, exec_lo, s1
	global_load_b128 v[33:36], v[53:54], off offset:3584
	s_and_saveexec_b32 s1, vcc_lo
	s_cbranch_execz .LBB55_37
.LBB55_52:                              ;   in Loop: Header=BB55_29 Depth=1
	v_cmp_gt_i32_e64 s0, s25, v98
	s_wait_loadcnt 0x0
	s_wait_alu 0xf1ff
	s_delay_alu instid0(VALU_DEP_1) | instskip(SKIP_2) | instid1(VALU_DEP_1)
	v_cndmask_b32_e64 v33, 0, v33, s0
	v_cmp_gt_i32_e64 s0, s25, v100
	s_wait_alu 0xf1ff
	v_cndmask_b32_e64 v34, 0, v34, s0
	v_cmp_gt_i32_e64 s0, s25, v99
	s_wait_alu 0xf1ff
	s_delay_alu instid0(VALU_DEP_1) | instskip(SKIP_2) | instid1(VALU_DEP_1)
	v_cndmask_b32_e64 v35, 0, v35, s0
	v_cmp_gt_i32_e64 s0, s25, v96
	s_wait_alu 0xf1ff
	v_cndmask_b32_e64 v36, 0, v36, s0
	s_wait_alu 0xfffe
	s_or_b32 exec_lo, exec_lo, s1
	global_load_b128 v[37:40], v[53:54], off offset:4096
	s_and_saveexec_b32 s1, vcc_lo
	s_cbranch_execz .LBB55_38
.LBB55_53:                              ;   in Loop: Header=BB55_29 Depth=1
	v_cmp_gt_i32_e64 s0, s25, v98
	s_wait_loadcnt 0x0
	s_wait_alu 0xf1ff
	s_delay_alu instid0(VALU_DEP_1) | instskip(SKIP_2) | instid1(VALU_DEP_1)
	v_cndmask_b32_e64 v37, 0, v37, s0
	v_cmp_gt_i32_e64 s0, s25, v100
	s_wait_alu 0xf1ff
	v_cndmask_b32_e64 v38, 0, v38, s0
	v_cmp_gt_i32_e64 s0, s25, v99
	s_wait_alu 0xf1ff
	s_delay_alu instid0(VALU_DEP_1) | instskip(SKIP_2) | instid1(VALU_DEP_1)
	v_cndmask_b32_e64 v39, 0, v39, s0
	v_cmp_gt_i32_e64 s0, s25, v96
	s_wait_alu 0xf1ff
	v_cndmask_b32_e64 v40, 0, v40, s0
	s_wait_alu 0xfffe
	s_or_b32 exec_lo, exec_lo, s1
	global_load_b128 v[41:44], v[53:54], off offset:4608
	s_and_saveexec_b32 s1, vcc_lo
	s_cbranch_execz .LBB55_39
.LBB55_54:                              ;   in Loop: Header=BB55_29 Depth=1
	v_cmp_gt_i32_e64 s0, s25, v98
	s_wait_loadcnt 0x0
	s_wait_alu 0xf1ff
	s_delay_alu instid0(VALU_DEP_1) | instskip(SKIP_2) | instid1(VALU_DEP_1)
	v_cndmask_b32_e64 v41, 0, v41, s0
	v_cmp_gt_i32_e64 s0, s25, v100
	s_wait_alu 0xf1ff
	v_cndmask_b32_e64 v42, 0, v42, s0
	v_cmp_gt_i32_e64 s0, s25, v99
	s_wait_alu 0xf1ff
	s_delay_alu instid0(VALU_DEP_1) | instskip(SKIP_2) | instid1(VALU_DEP_1)
	v_cndmask_b32_e64 v43, 0, v43, s0
	v_cmp_gt_i32_e64 s0, s25, v96
	s_wait_alu 0xf1ff
	v_cndmask_b32_e64 v44, 0, v44, s0
	s_wait_alu 0xfffe
	s_or_b32 exec_lo, exec_lo, s1
	global_load_b128 v[45:48], v[53:54], off offset:5120
	s_and_saveexec_b32 s1, vcc_lo
	s_cbranch_execz .LBB55_40
.LBB55_55:                              ;   in Loop: Header=BB55_29 Depth=1
	v_cmp_gt_i32_e64 s0, s25, v98
	s_wait_loadcnt 0x0
	s_wait_alu 0xf1ff
	s_delay_alu instid0(VALU_DEP_1) | instskip(SKIP_2) | instid1(VALU_DEP_1)
	v_cndmask_b32_e64 v45, 0, v45, s0
	v_cmp_gt_i32_e64 s0, s25, v100
	s_wait_alu 0xf1ff
	v_cndmask_b32_e64 v46, 0, v46, s0
	v_cmp_gt_i32_e64 s0, s25, v99
	s_wait_alu 0xf1ff
	s_delay_alu instid0(VALU_DEP_1) | instskip(SKIP_2) | instid1(VALU_DEP_1)
	v_cndmask_b32_e64 v47, 0, v47, s0
	v_cmp_gt_i32_e64 s0, s25, v96
	s_wait_alu 0xf1ff
	v_cndmask_b32_e64 v48, 0, v48, s0
	s_wait_alu 0xfffe
	s_or_b32 exec_lo, exec_lo, s1
	global_load_b128 v[49:52], v[53:54], off offset:5632
	s_and_saveexec_b32 s1, vcc_lo
	s_cbranch_execz .LBB55_41
.LBB55_56:                              ;   in Loop: Header=BB55_29 Depth=1
	v_cmp_gt_i32_e64 s0, s25, v98
	s_wait_loadcnt 0x0
	s_wait_alu 0xf1ff
	s_delay_alu instid0(VALU_DEP_1) | instskip(SKIP_2) | instid1(VALU_DEP_1)
	v_cndmask_b32_e64 v49, 0, v49, s0
	v_cmp_gt_i32_e64 s0, s25, v100
	s_wait_alu 0xf1ff
	v_cndmask_b32_e64 v50, 0, v50, s0
	v_cmp_gt_i32_e64 s0, s25, v99
	s_wait_alu 0xf1ff
	s_delay_alu instid0(VALU_DEP_1) | instskip(SKIP_2) | instid1(VALU_DEP_1)
	v_cndmask_b32_e64 v51, 0, v51, s0
	v_cmp_gt_i32_e64 s0, s25, v96
	s_wait_alu 0xf1ff
	v_cndmask_b32_e64 v52, 0, v52, s0
	s_wait_alu 0xfffe
	s_or_b32 exec_lo, exec_lo, s1
	global_load_b128 v[57:60], v[53:54], off offset:6144
	s_and_saveexec_b32 s1, vcc_lo
	s_cbranch_execz .LBB55_42
.LBB55_57:                              ;   in Loop: Header=BB55_29 Depth=1
	v_cmp_gt_i32_e64 s0, s25, v98
	s_wait_loadcnt 0x0
	s_wait_alu 0xf1ff
	s_delay_alu instid0(VALU_DEP_1) | instskip(SKIP_2) | instid1(VALU_DEP_1)
	v_cndmask_b32_e64 v57, 0, v57, s0
	v_cmp_gt_i32_e64 s0, s25, v100
	s_wait_alu 0xf1ff
	v_cndmask_b32_e64 v58, 0, v58, s0
	v_cmp_gt_i32_e64 s0, s25, v99
	s_wait_alu 0xf1ff
	s_delay_alu instid0(VALU_DEP_1) | instskip(SKIP_2) | instid1(VALU_DEP_1)
	v_cndmask_b32_e64 v59, 0, v59, s0
	v_cmp_gt_i32_e64 s0, s25, v96
	s_wait_alu 0xf1ff
	v_cndmask_b32_e64 v60, 0, v60, s0
	s_wait_alu 0xfffe
	s_or_b32 exec_lo, exec_lo, s1
	global_load_b128 v[61:64], v[53:54], off offset:6656
	s_and_saveexec_b32 s1, vcc_lo
	s_cbranch_execz .LBB55_43
.LBB55_58:                              ;   in Loop: Header=BB55_29 Depth=1
	v_cmp_gt_i32_e64 s0, s25, v98
	s_wait_loadcnt 0x0
	s_wait_alu 0xf1ff
	s_delay_alu instid0(VALU_DEP_1) | instskip(SKIP_2) | instid1(VALU_DEP_1)
	v_cndmask_b32_e64 v61, 0, v61, s0
	v_cmp_gt_i32_e64 s0, s25, v100
	s_wait_alu 0xf1ff
	v_cndmask_b32_e64 v62, 0, v62, s0
	v_cmp_gt_i32_e64 s0, s25, v99
	s_wait_alu 0xf1ff
	s_delay_alu instid0(VALU_DEP_1) | instskip(SKIP_2) | instid1(VALU_DEP_1)
	v_cndmask_b32_e64 v63, 0, v63, s0
	v_cmp_gt_i32_e64 s0, s25, v96
	s_wait_alu 0xf1ff
	v_cndmask_b32_e64 v64, 0, v64, s0
	s_wait_alu 0xfffe
	s_or_b32 exec_lo, exec_lo, s1
	global_load_b128 v[65:68], v[53:54], off offset:7168
	s_and_saveexec_b32 s7, vcc_lo
	s_cbranch_execz .LBB55_44
.LBB55_59:                              ;   in Loop: Header=BB55_29 Depth=1
	v_cmp_gt_i32_e64 s0, s25, v98
	v_cmp_gt_i32_e64 s1, s25, v100
	;; [unrolled: 1-line block ×4, first 2 shown]
	s_wait_loadcnt 0x0
	s_wait_alu 0xf1ff
	v_cndmask_b32_e64 v65, 0, v65, s0
	v_cndmask_b32_e64 v66, 0, v66, s1
	;; [unrolled: 1-line block ×4, first 2 shown]
	s_or_b32 exec_lo, exec_lo, s7
	global_load_b128 v[53:56], v[53:54], off offset:7680
	s_and_saveexec_b32 s0, vcc_lo
	s_cbranch_execz .LBB55_28
.LBB55_60:                              ;   in Loop: Header=BB55_29 Depth=1
	v_cmp_gt_i32_e32 vcc_lo, s25, v98
	s_wait_loadcnt 0x0
	s_wait_alu 0xfffd
	v_cndmask_b32_e32 v53, 0, v53, vcc_lo
	v_cmp_gt_i32_e32 vcc_lo, s25, v100
	s_wait_alu 0xfffd
	v_cndmask_b32_e32 v54, 0, v54, vcc_lo
	v_cmp_gt_i32_e32 vcc_lo, s25, v99
	;; [unrolled: 3-line block ×3, first 2 shown]
	s_wait_alu 0xfffd
	v_cndmask_b32_e32 v56, 0, v56, vcc_lo
	s_branch .LBB55_28
.LBB55_61:
	s_or_b32 exec_lo, exec_lo, s6
.LBB55_62:
	s_wait_alu 0xfffe
	s_or_b32 exec_lo, exec_lo, s4
	ds_bpermute_b32 v3, v76, v92
	ds_bpermute_b32 v1, v76, v91
	;; [unrolled: 1-line block ×16, first 2 shown]
	s_mov_b32 s0, exec_lo
	s_wait_storecnt 0x0
	s_wait_loadcnt_dscnt 0x0
	s_barrier_signal -1
	s_barrier_wait -1
	v_add_f32_e32 v3, v92, v3
	v_dual_add_f32 v1, v91, v1 :: v_dual_add_f32 v2, v93, v2
	v_dual_add_f32 v4, v90, v4 :: v_dual_add_f32 v5, v89, v5
	v_add_f32_e32 v6, v88, v6
	ds_bpermute_b32 v19, v75, v3
	ds_bpermute_b32 v17, v75, v1
	;; [unrolled: 1-line block ×6, first 2 shown]
	v_dual_add_f32 v9, v85, v9 :: v_dual_add_f32 v10, v84, v10
	v_dual_add_f32 v7, v87, v7 :: v_dual_add_f32 v8, v86, v8
	;; [unrolled: 1-line block ×4, first 2 shown]
	v_add_f32_e32 v15, v79, v15
	ds_bpermute_b32 v25, v75, v9
	ds_bpermute_b32 v26, v75, v10
	;; [unrolled: 1-line block ×4, first 2 shown]
	s_wait_dscnt 0x9
	v_dual_add_f32 v16, v78, v16 :: v_dual_add_f32 v3, v3, v19
	ds_bpermute_b32 v27, v75, v11
	ds_bpermute_b32 v28, v75, v12
	s_wait_dscnt 0x9
	v_dual_add_f32 v1, v1, v17 :: v_dual_add_f32 v2, v2, v18
	ds_bpermute_b32 v17, v75, v13
	s_wait_dscnt 0x8
	v_dual_add_f32 v5, v5, v21 :: v_dual_add_f32 v6, v6, v22
	ds_bpermute_b32 v21, v75, v14
	ds_bpermute_b32 v22, v75, v15
	;; [unrolled: 1-line block ×3, first 2 shown]
	s_wait_dscnt 0xa
	v_add_f32_e32 v4, v4, v20
	ds_bpermute_b32 v18, v74, v1
	ds_bpermute_b32 v19, v74, v2
	ds_bpermute_b32 v20, v74, v3
	s_wait_dscnt 0xb
	v_dual_add_f32 v9, v9, v25 :: v_dual_add_f32 v10, v10, v26
	s_wait_dscnt 0x9
	v_dual_add_f32 v7, v7, v23 :: v_dual_add_f32 v8, v8, v24
	ds_bpermute_b32 v23, v74, v4
	ds_bpermute_b32 v26, v74, v9
	s_wait_dscnt 0x9
	v_dual_add_f32 v11, v11, v27 :: v_dual_add_f32 v12, v12, v28
	ds_bpermute_b32 v24, v74, v5
	ds_bpermute_b32 v30, v74, v6
	s_wait_dscnt 0xa
	v_add_f32_e32 v13, v13, v17
	ds_bpermute_b32 v17, v74, v10
	ds_bpermute_b32 v31, v74, v7
	s_wait_dscnt 0xa
	v_dual_add_f32 v14, v14, v21 :: v_dual_add_f32 v15, v15, v22
	s_wait_dscnt 0x9
	v_add_f32_e32 v16, v16, v29
	ds_bpermute_b32 v25, v74, v8
	ds_bpermute_b32 v27, v74, v11
	;; [unrolled: 1-line block ×5, first 2 shown]
	s_wait_dscnt 0xd
	v_add_f32_e32 v1, v1, v18
	ds_bpermute_b32 v32, v74, v16
	s_wait_dscnt 0xd
	v_add_f32_e32 v2, v2, v19
	ds_bpermute_b32 v21, v74, v13
	s_wait_dscnt 0xb
	v_add_f32_e32 v9, v9, v26
	v_dual_add_f32 v3, v3, v20 :: v_dual_add_f32 v4, v4, v23
	s_wait_dscnt 0x9
	v_dual_add_f32 v5, v5, v24 :: v_dual_add_f32 v6, v6, v30
	v_and_b32_e32 v20, 0x3c7, v0
	s_wait_dscnt 0x8
	v_add_f32_e32 v10, v10, v17
	v_lshrrev_b32_e32 v17, 3, v72
	s_wait_dscnt 0x7
	v_add_f32_e32 v7, v7, v31
	v_lshlrev_b32_e32 v19, 8, v71
	s_wait_dscnt 0x0
	global_inv scope:SCOPE_SE
	v_dual_add_f32 v8, v8, v25 :: v_dual_add_f32 v11, v11, v27
	v_add_f32_e32 v12, v12, v28
	v_dual_add_f32 v14, v14, v22 :: v_dual_add_f32 v15, v15, v29
	v_lshl_add_u32 v18, v17, 2, 0x120
	v_dual_add_f32 v16, v16, v32 :: v_dual_add_f32 v13, v13, v21
	v_cmpx_eq_u32_e32 64, v20
	s_cbranch_execz .LBB55_64
; %bb.63:
	s_delay_alu instid0(VALU_DEP_3) | instskip(NEXT) | instid1(VALU_DEP_1)
	v_add_nc_u32_e32 v20, v18, v19
	v_add_nc_u32_e32 v21, 0xfffffe00, v20
	;; [unrolled: 1-line block ×9, first 2 shown]
	ds_store_b32 v21, v1
	ds_store_b32 v22, v2
	;; [unrolled: 1-line block ×8, first 2 shown]
	v_add_nc_u32_e32 v21, 0xfffffe80, v20
	v_add_nc_u32_e32 v22, 0xfffffe90, v20
	;; [unrolled: 1-line block ×8, first 2 shown]
	ds_store_b32 v21, v9
	ds_store_b32 v22, v10
	;; [unrolled: 1-line block ×8, first 2 shown]
.LBB55_64:
	s_wait_alu 0xfffe
	s_or_b32 exec_lo, exec_lo, s0
	v_lshlrev_b32_e32 v17, 2, v17
	s_mov_b32 s1, exec_lo
	v_cmp_eq_u32_e32 vcc_lo, 0, v77
	s_wait_loadcnt_dscnt 0x0
	s_barrier_signal -1
	v_add3_u32 v17, 0x120, v19, v17
	s_barrier_wait -1
	global_inv scope:SCOPE_SE
	v_cmpx_gt_u32_e32 64, v0
	s_cbranch_execz .LBB55_83
; %bb.65:
	s_and_saveexec_b32 s0, vcc_lo
	s_cbranch_execnz .LBB55_107
; %bb.66:
	s_wait_alu 0xfffe
	s_or_b32 exec_lo, exec_lo, s0
	s_and_saveexec_b32 s0, vcc_lo
	s_cbranch_execnz .LBB55_108
.LBB55_67:
	s_wait_alu 0xfffe
	s_or_b32 exec_lo, exec_lo, s0
	s_and_saveexec_b32 s0, vcc_lo
	s_cbranch_execnz .LBB55_109
.LBB55_68:
	s_wait_alu 0xfffe
	s_or_b32 exec_lo, exec_lo, s0
	s_and_saveexec_b32 s0, vcc_lo
	s_cbranch_execnz .LBB55_110
.LBB55_69:
	s_wait_alu 0xfffe
	s_or_b32 exec_lo, exec_lo, s0
	s_and_saveexec_b32 s0, vcc_lo
	s_cbranch_execnz .LBB55_111
.LBB55_70:
	s_wait_alu 0xfffe
	s_or_b32 exec_lo, exec_lo, s0
	s_and_saveexec_b32 s0, vcc_lo
	s_cbranch_execnz .LBB55_112
.LBB55_71:
	s_wait_alu 0xfffe
	s_or_b32 exec_lo, exec_lo, s0
	s_and_saveexec_b32 s0, vcc_lo
	s_cbranch_execnz .LBB55_113
.LBB55_72:
	s_wait_alu 0xfffe
	s_or_b32 exec_lo, exec_lo, s0
	s_and_saveexec_b32 s0, vcc_lo
	s_cbranch_execnz .LBB55_114
.LBB55_73:
	s_wait_alu 0xfffe
	s_or_b32 exec_lo, exec_lo, s0
	s_and_saveexec_b32 s0, vcc_lo
	s_cbranch_execnz .LBB55_115
.LBB55_74:
	s_wait_alu 0xfffe
	s_or_b32 exec_lo, exec_lo, s0
	s_and_saveexec_b32 s0, vcc_lo
	s_cbranch_execnz .LBB55_116
.LBB55_75:
	s_wait_alu 0xfffe
	s_or_b32 exec_lo, exec_lo, s0
	s_and_saveexec_b32 s0, vcc_lo
	s_cbranch_execnz .LBB55_117
.LBB55_76:
	s_wait_alu 0xfffe
	s_or_b32 exec_lo, exec_lo, s0
	s_and_saveexec_b32 s0, vcc_lo
	s_cbranch_execnz .LBB55_118
.LBB55_77:
	s_wait_alu 0xfffe
	s_or_b32 exec_lo, exec_lo, s0
	s_and_saveexec_b32 s0, vcc_lo
	s_cbranch_execnz .LBB55_119
.LBB55_78:
	s_wait_alu 0xfffe
	s_or_b32 exec_lo, exec_lo, s0
	s_and_saveexec_b32 s0, vcc_lo
	s_cbranch_execnz .LBB55_120
.LBB55_79:
	s_wait_alu 0xfffe
	s_or_b32 exec_lo, exec_lo, s0
	s_and_saveexec_b32 s0, vcc_lo
	s_cbranch_execnz .LBB55_121
.LBB55_80:
	s_wait_alu 0xfffe
	s_or_b32 exec_lo, exec_lo, s0
	s_and_saveexec_b32 s0, vcc_lo
	s_cbranch_execz .LBB55_82
.LBB55_81:
	ds_load_b32 v19, v17 offset:240
	s_wait_dscnt 0x0
	v_add_f32_e32 v16, v16, v19
.LBB55_82:
	s_wait_alu 0xfffe
	s_or_b32 exec_lo, exec_lo, s0
.LBB55_83:
	s_wait_alu 0xfffe
	s_or_b32 exec_lo, exec_lo, s1
	v_and_b32_e32 v19, 0x3e7, v0
	s_mov_b32 s1, exec_lo
	s_wait_loadcnt 0x0
	s_barrier_signal -1
	s_barrier_wait -1
	global_inv scope:SCOPE_SE
	v_cmpx_eq_u32_e32 32, v19
	s_cbranch_execz .LBB55_85
; %bb.84:
	ds_store_2addr_b32 v18, v1, v2 offset1:4
	ds_store_2addr_b32 v18, v3, v4 offset0:8 offset1:12
	ds_store_2addr_b32 v18, v5, v6 offset0:16 offset1:20
	;; [unrolled: 1-line block ×7, first 2 shown]
.LBB55_85:
	s_wait_alu 0xfffe
	s_or_b32 exec_lo, exec_lo, s1
	s_delay_alu instid0(SALU_CYCLE_1)
	s_mov_b32 s1, exec_lo
	s_wait_loadcnt_dscnt 0x0
	s_barrier_signal -1
	s_barrier_wait -1
	global_inv scope:SCOPE_SE
	v_cmpx_gt_u32_e32 32, v0
	s_cbranch_execz .LBB55_104
; %bb.86:
	s_and_saveexec_b32 s0, vcc_lo
	s_cbranch_execnz .LBB55_122
; %bb.87:
	s_wait_alu 0xfffe
	s_or_b32 exec_lo, exec_lo, s0
	s_and_saveexec_b32 s0, vcc_lo
	s_cbranch_execnz .LBB55_123
.LBB55_88:
	s_wait_alu 0xfffe
	s_or_b32 exec_lo, exec_lo, s0
	s_and_saveexec_b32 s0, vcc_lo
	s_cbranch_execnz .LBB55_124
.LBB55_89:
	s_wait_alu 0xfffe
	s_or_b32 exec_lo, exec_lo, s0
	s_and_saveexec_b32 s0, vcc_lo
	s_cbranch_execnz .LBB55_125
.LBB55_90:
	s_wait_alu 0xfffe
	s_or_b32 exec_lo, exec_lo, s0
	s_and_saveexec_b32 s0, vcc_lo
	s_cbranch_execnz .LBB55_126
.LBB55_91:
	s_wait_alu 0xfffe
	s_or_b32 exec_lo, exec_lo, s0
	s_and_saveexec_b32 s0, vcc_lo
	s_cbranch_execnz .LBB55_127
.LBB55_92:
	s_wait_alu 0xfffe
	s_or_b32 exec_lo, exec_lo, s0
	s_and_saveexec_b32 s0, vcc_lo
	s_cbranch_execnz .LBB55_128
.LBB55_93:
	s_wait_alu 0xfffe
	s_or_b32 exec_lo, exec_lo, s0
	s_and_saveexec_b32 s0, vcc_lo
	s_cbranch_execnz .LBB55_129
.LBB55_94:
	s_wait_alu 0xfffe
	s_or_b32 exec_lo, exec_lo, s0
	s_and_saveexec_b32 s0, vcc_lo
	s_cbranch_execnz .LBB55_130
.LBB55_95:
	s_wait_alu 0xfffe
	s_or_b32 exec_lo, exec_lo, s0
	s_and_saveexec_b32 s0, vcc_lo
	s_cbranch_execnz .LBB55_131
.LBB55_96:
	s_wait_alu 0xfffe
	s_or_b32 exec_lo, exec_lo, s0
	s_and_saveexec_b32 s0, vcc_lo
	s_cbranch_execnz .LBB55_132
.LBB55_97:
	s_wait_alu 0xfffe
	s_or_b32 exec_lo, exec_lo, s0
	s_and_saveexec_b32 s0, vcc_lo
	s_cbranch_execnz .LBB55_133
.LBB55_98:
	s_wait_alu 0xfffe
	s_or_b32 exec_lo, exec_lo, s0
	s_and_saveexec_b32 s0, vcc_lo
	s_cbranch_execnz .LBB55_134
.LBB55_99:
	s_wait_alu 0xfffe
	s_or_b32 exec_lo, exec_lo, s0
	s_and_saveexec_b32 s0, vcc_lo
	s_cbranch_execnz .LBB55_135
.LBB55_100:
	s_wait_alu 0xfffe
	s_or_b32 exec_lo, exec_lo, s0
	s_and_saveexec_b32 s0, vcc_lo
	s_cbranch_execnz .LBB55_136
.LBB55_101:
	s_wait_alu 0xfffe
	s_or_b32 exec_lo, exec_lo, s0
	s_and_saveexec_b32 s0, vcc_lo
	s_cbranch_execz .LBB55_103
.LBB55_102:
	ds_load_b32 v17, v17 offset:240
	s_wait_dscnt 0x0
	v_add_f32_e32 v16, v16, v17
.LBB55_103:
	s_wait_alu 0xfffe
	s_or_b32 exec_lo, exec_lo, s0
.LBB55_104:
	s_wait_alu 0xfffe
	s_or_b32 exec_lo, exec_lo, s1
	s_mov_b32 s1, 0
	s_wait_loadcnt 0x0
	s_barrier_signal -1
	s_barrier_wait -1
	global_inv scope:SCOPE_SE
	s_mov_b32 s0, exec_lo
	v_cmpx_eq_u32_e32 0, v19
	s_cbranch_execz .LBB55_106
; %bb.105:
	s_lshl_b32 s2, s14, 6
	s_mul_i32 s4, s8, s12
	s_wait_alu 0xfffe
	s_ashr_i32 s3, s2, 31
	s_ashr_i32 s5, s4, 31
	s_wait_alu 0xfffe
	s_lshl_b64 s[2:3], s[2:3], 2
	s_lshl_b64 s[4:5], s[4:5], 2
	s_wait_alu 0xfffe
	s_add_nc_u64 s[2:3], s[10:11], s[2:3]
	v_lshrrev_b32_e32 v0, 1, v0
	s_lshl_b32 s0, s24, 8
	s_wait_alu 0xfffe
	s_add_nc_u64 s[2:3], s[2:3], s[4:5]
	s_wait_alu 0xfffe
	s_add_nc_u64 s[0:1], s[2:3], s[0:1]
	s_clause 0xf
	global_store_b32 v0, v1, s[0:1]
	global_store_b32 v0, v2, s[0:1] offset:16
	global_store_b32 v0, v3, s[0:1] offset:32
	;; [unrolled: 1-line block ×15, first 2 shown]
.LBB55_106:
	s_nop 0
	s_sendmsg sendmsg(MSG_DEALLOC_VGPRS)
	s_endpgm
.LBB55_107:
	ds_load_b32 v19, v17
	s_wait_dscnt 0x0
	v_add_f32_e32 v1, v1, v19
	s_wait_alu 0xfffe
	s_or_b32 exec_lo, exec_lo, s0
	s_and_saveexec_b32 s0, vcc_lo
	s_cbranch_execz .LBB55_67
.LBB55_108:
	ds_load_b32 v19, v17 offset:16
	s_wait_dscnt 0x0
	v_add_f32_e32 v2, v2, v19
	s_wait_alu 0xfffe
	s_or_b32 exec_lo, exec_lo, s0
	s_and_saveexec_b32 s0, vcc_lo
	s_cbranch_execz .LBB55_68
.LBB55_109:
	ds_load_b32 v19, v17 offset:32
	s_wait_dscnt 0x0
	v_add_f32_e32 v3, v3, v19
	s_wait_alu 0xfffe
	s_or_b32 exec_lo, exec_lo, s0
	s_and_saveexec_b32 s0, vcc_lo
	s_cbranch_execz .LBB55_69
.LBB55_110:
	ds_load_b32 v19, v17 offset:48
	s_wait_dscnt 0x0
	v_add_f32_e32 v4, v4, v19
	s_wait_alu 0xfffe
	s_or_b32 exec_lo, exec_lo, s0
	s_and_saveexec_b32 s0, vcc_lo
	s_cbranch_execz .LBB55_70
.LBB55_111:
	ds_load_b32 v19, v17 offset:64
	s_wait_dscnt 0x0
	v_add_f32_e32 v5, v5, v19
	s_wait_alu 0xfffe
	s_or_b32 exec_lo, exec_lo, s0
	s_and_saveexec_b32 s0, vcc_lo
	s_cbranch_execz .LBB55_71
.LBB55_112:
	ds_load_b32 v19, v17 offset:80
	s_wait_dscnt 0x0
	v_add_f32_e32 v6, v6, v19
	s_wait_alu 0xfffe
	s_or_b32 exec_lo, exec_lo, s0
	s_and_saveexec_b32 s0, vcc_lo
	s_cbranch_execz .LBB55_72
.LBB55_113:
	ds_load_b32 v19, v17 offset:96
	s_wait_dscnt 0x0
	v_add_f32_e32 v7, v7, v19
	s_wait_alu 0xfffe
	s_or_b32 exec_lo, exec_lo, s0
	s_and_saveexec_b32 s0, vcc_lo
	s_cbranch_execz .LBB55_73
.LBB55_114:
	ds_load_b32 v19, v17 offset:112
	s_wait_dscnt 0x0
	v_add_f32_e32 v8, v8, v19
	s_wait_alu 0xfffe
	s_or_b32 exec_lo, exec_lo, s0
	s_and_saveexec_b32 s0, vcc_lo
	s_cbranch_execz .LBB55_74
.LBB55_115:
	ds_load_b32 v19, v17 offset:128
	s_wait_dscnt 0x0
	v_add_f32_e32 v9, v9, v19
	s_wait_alu 0xfffe
	s_or_b32 exec_lo, exec_lo, s0
	s_and_saveexec_b32 s0, vcc_lo
	s_cbranch_execz .LBB55_75
.LBB55_116:
	ds_load_b32 v19, v17 offset:144
	s_wait_dscnt 0x0
	v_add_f32_e32 v10, v10, v19
	s_wait_alu 0xfffe
	s_or_b32 exec_lo, exec_lo, s0
	s_and_saveexec_b32 s0, vcc_lo
	s_cbranch_execz .LBB55_76
.LBB55_117:
	ds_load_b32 v19, v17 offset:160
	s_wait_dscnt 0x0
	v_add_f32_e32 v11, v11, v19
	s_wait_alu 0xfffe
	s_or_b32 exec_lo, exec_lo, s0
	s_and_saveexec_b32 s0, vcc_lo
	s_cbranch_execz .LBB55_77
.LBB55_118:
	ds_load_b32 v19, v17 offset:176
	s_wait_dscnt 0x0
	v_add_f32_e32 v12, v12, v19
	s_wait_alu 0xfffe
	s_or_b32 exec_lo, exec_lo, s0
	s_and_saveexec_b32 s0, vcc_lo
	s_cbranch_execz .LBB55_78
.LBB55_119:
	ds_load_b32 v19, v17 offset:192
	s_wait_dscnt 0x0
	v_add_f32_e32 v13, v13, v19
	s_wait_alu 0xfffe
	s_or_b32 exec_lo, exec_lo, s0
	s_and_saveexec_b32 s0, vcc_lo
	s_cbranch_execz .LBB55_79
.LBB55_120:
	ds_load_b32 v19, v17 offset:208
	s_wait_dscnt 0x0
	v_add_f32_e32 v14, v14, v19
	s_wait_alu 0xfffe
	s_or_b32 exec_lo, exec_lo, s0
	s_and_saveexec_b32 s0, vcc_lo
	s_cbranch_execz .LBB55_80
.LBB55_121:
	ds_load_b32 v19, v17 offset:224
	s_wait_dscnt 0x0
	v_add_f32_e32 v15, v15, v19
	s_wait_alu 0xfffe
	s_or_b32 exec_lo, exec_lo, s0
	s_and_saveexec_b32 s0, vcc_lo
	s_cbranch_execnz .LBB55_81
	s_branch .LBB55_82
.LBB55_122:
	ds_load_b32 v18, v17
	s_wait_dscnt 0x0
	v_add_f32_e32 v1, v1, v18
	s_wait_alu 0xfffe
	s_or_b32 exec_lo, exec_lo, s0
	s_and_saveexec_b32 s0, vcc_lo
	s_cbranch_execz .LBB55_88
.LBB55_123:
	ds_load_b32 v18, v17 offset:16
	s_wait_dscnt 0x0
	v_add_f32_e32 v2, v2, v18
	s_wait_alu 0xfffe
	s_or_b32 exec_lo, exec_lo, s0
	s_and_saveexec_b32 s0, vcc_lo
	s_cbranch_execz .LBB55_89
.LBB55_124:
	ds_load_b32 v18, v17 offset:32
	s_wait_dscnt 0x0
	v_add_f32_e32 v3, v3, v18
	s_wait_alu 0xfffe
	s_or_b32 exec_lo, exec_lo, s0
	s_and_saveexec_b32 s0, vcc_lo
	s_cbranch_execz .LBB55_90
.LBB55_125:
	ds_load_b32 v18, v17 offset:48
	s_wait_dscnt 0x0
	v_add_f32_e32 v4, v4, v18
	s_wait_alu 0xfffe
	s_or_b32 exec_lo, exec_lo, s0
	s_and_saveexec_b32 s0, vcc_lo
	s_cbranch_execz .LBB55_91
.LBB55_126:
	ds_load_b32 v18, v17 offset:64
	s_wait_dscnt 0x0
	v_add_f32_e32 v5, v5, v18
	s_wait_alu 0xfffe
	s_or_b32 exec_lo, exec_lo, s0
	s_and_saveexec_b32 s0, vcc_lo
	s_cbranch_execz .LBB55_92
.LBB55_127:
	ds_load_b32 v18, v17 offset:80
	s_wait_dscnt 0x0
	v_add_f32_e32 v6, v6, v18
	s_wait_alu 0xfffe
	s_or_b32 exec_lo, exec_lo, s0
	s_and_saveexec_b32 s0, vcc_lo
	s_cbranch_execz .LBB55_93
.LBB55_128:
	ds_load_b32 v18, v17 offset:96
	s_wait_dscnt 0x0
	v_add_f32_e32 v7, v7, v18
	s_wait_alu 0xfffe
	s_or_b32 exec_lo, exec_lo, s0
	s_and_saveexec_b32 s0, vcc_lo
	s_cbranch_execz .LBB55_94
.LBB55_129:
	ds_load_b32 v18, v17 offset:112
	s_wait_dscnt 0x0
	v_add_f32_e32 v8, v8, v18
	s_wait_alu 0xfffe
	s_or_b32 exec_lo, exec_lo, s0
	s_and_saveexec_b32 s0, vcc_lo
	s_cbranch_execz .LBB55_95
.LBB55_130:
	ds_load_b32 v18, v17 offset:128
	s_wait_dscnt 0x0
	v_add_f32_e32 v9, v9, v18
	s_wait_alu 0xfffe
	s_or_b32 exec_lo, exec_lo, s0
	s_and_saveexec_b32 s0, vcc_lo
	s_cbranch_execz .LBB55_96
.LBB55_131:
	ds_load_b32 v18, v17 offset:144
	s_wait_dscnt 0x0
	v_add_f32_e32 v10, v10, v18
	s_wait_alu 0xfffe
	s_or_b32 exec_lo, exec_lo, s0
	s_and_saveexec_b32 s0, vcc_lo
	s_cbranch_execz .LBB55_97
.LBB55_132:
	ds_load_b32 v18, v17 offset:160
	s_wait_dscnt 0x0
	v_add_f32_e32 v11, v11, v18
	s_wait_alu 0xfffe
	s_or_b32 exec_lo, exec_lo, s0
	s_and_saveexec_b32 s0, vcc_lo
	s_cbranch_execz .LBB55_98
.LBB55_133:
	ds_load_b32 v18, v17 offset:176
	s_wait_dscnt 0x0
	v_add_f32_e32 v12, v12, v18
	s_wait_alu 0xfffe
	s_or_b32 exec_lo, exec_lo, s0
	s_and_saveexec_b32 s0, vcc_lo
	s_cbranch_execz .LBB55_99
.LBB55_134:
	ds_load_b32 v18, v17 offset:192
	s_wait_dscnt 0x0
	v_add_f32_e32 v13, v13, v18
	s_wait_alu 0xfffe
	s_or_b32 exec_lo, exec_lo, s0
	s_and_saveexec_b32 s0, vcc_lo
	s_cbranch_execz .LBB55_100
.LBB55_135:
	ds_load_b32 v18, v17 offset:208
	s_wait_dscnt 0x0
	v_add_f32_e32 v14, v14, v18
	s_wait_alu 0xfffe
	s_or_b32 exec_lo, exec_lo, s0
	s_and_saveexec_b32 s0, vcc_lo
	s_cbranch_execz .LBB55_101
.LBB55_136:
	ds_load_b32 v18, v17 offset:224
	s_wait_dscnt 0x0
	v_add_f32_e32 v15, v15, v18
	s_wait_alu 0xfffe
	s_or_b32 exec_lo, exec_lo, s0
	s_and_saveexec_b32 s0, vcc_lo
	s_cbranch_execnz .LBB55_102
	s_branch .LBB55_103
	.section	.rodata,"a",@progbits
	.p2align	6, 0x0
	.amdhsa_kernel _ZN4vllm25paged_attention_v2_kernelIffLi64ELi32ELi128ELNS_18Fp8KVCacheDataTypeE0ELb0ELi512EEEvPfS2_PT_PKS3_PKT0_S9_ifPKiSB_iPKfiiiSD_SD_iiiii
		.amdhsa_group_segment_fixed_size 288
		.amdhsa_private_segment_fixed_size 0
		.amdhsa_kernarg_size 400
		.amdhsa_user_sgpr_count 2
		.amdhsa_user_sgpr_dispatch_ptr 0
		.amdhsa_user_sgpr_queue_ptr 0
		.amdhsa_user_sgpr_kernarg_segment_ptr 1
		.amdhsa_user_sgpr_dispatch_id 0
		.amdhsa_user_sgpr_private_segment_size 0
		.amdhsa_wavefront_size32 1
		.amdhsa_uses_dynamic_stack 0
		.amdhsa_enable_private_segment 0
		.amdhsa_system_sgpr_workgroup_id_x 1
		.amdhsa_system_sgpr_workgroup_id_y 1
		.amdhsa_system_sgpr_workgroup_id_z 1
		.amdhsa_system_sgpr_workgroup_info 0
		.amdhsa_system_vgpr_workitem_id 0
		.amdhsa_next_free_vgpr 123
		.amdhsa_next_free_sgpr 32
		.amdhsa_reserve_vcc 1
		.amdhsa_float_round_mode_32 0
		.amdhsa_float_round_mode_16_64 0
		.amdhsa_float_denorm_mode_32 3
		.amdhsa_float_denorm_mode_16_64 3
		.amdhsa_fp16_overflow 0
		.amdhsa_workgroup_processor_mode 1
		.amdhsa_memory_ordered 1
		.amdhsa_forward_progress 1
		.amdhsa_inst_pref_size 71
		.amdhsa_round_robin_scheduling 0
		.amdhsa_exception_fp_ieee_invalid_op 0
		.amdhsa_exception_fp_denorm_src 0
		.amdhsa_exception_fp_ieee_div_zero 0
		.amdhsa_exception_fp_ieee_overflow 0
		.amdhsa_exception_fp_ieee_underflow 0
		.amdhsa_exception_fp_ieee_inexact 0
		.amdhsa_exception_int_div_zero 0
	.end_amdhsa_kernel
	.section	.text._ZN4vllm25paged_attention_v2_kernelIffLi64ELi32ELi128ELNS_18Fp8KVCacheDataTypeE0ELb0ELi512EEEvPfS2_PT_PKS3_PKT0_S9_ifPKiSB_iPKfiiiSD_SD_iiiii,"axG",@progbits,_ZN4vllm25paged_attention_v2_kernelIffLi64ELi32ELi128ELNS_18Fp8KVCacheDataTypeE0ELb0ELi512EEEvPfS2_PT_PKS3_PKT0_S9_ifPKiSB_iPKfiiiSD_SD_iiiii,comdat
.Lfunc_end55:
	.size	_ZN4vllm25paged_attention_v2_kernelIffLi64ELi32ELi128ELNS_18Fp8KVCacheDataTypeE0ELb0ELi512EEEvPfS2_PT_PKS3_PKT0_S9_ifPKiSB_iPKfiiiSD_SD_iiiii, .Lfunc_end55-_ZN4vllm25paged_attention_v2_kernelIffLi64ELi32ELi128ELNS_18Fp8KVCacheDataTypeE0ELb0ELi512EEEvPfS2_PT_PKS3_PKT0_S9_ifPKiSB_iPKfiiiSD_SD_iiiii
                                        ; -- End function
	.set _ZN4vllm25paged_attention_v2_kernelIffLi64ELi32ELi128ELNS_18Fp8KVCacheDataTypeE0ELb0ELi512EEEvPfS2_PT_PKS3_PKT0_S9_ifPKiSB_iPKfiiiSD_SD_iiiii.num_vgpr, 123
	.set _ZN4vllm25paged_attention_v2_kernelIffLi64ELi32ELi128ELNS_18Fp8KVCacheDataTypeE0ELb0ELi512EEEvPfS2_PT_PKS3_PKT0_S9_ifPKiSB_iPKfiiiSD_SD_iiiii.num_agpr, 0
	.set _ZN4vllm25paged_attention_v2_kernelIffLi64ELi32ELi128ELNS_18Fp8KVCacheDataTypeE0ELb0ELi512EEEvPfS2_PT_PKS3_PKT0_S9_ifPKiSB_iPKfiiiSD_SD_iiiii.numbered_sgpr, 32
	.set _ZN4vllm25paged_attention_v2_kernelIffLi64ELi32ELi128ELNS_18Fp8KVCacheDataTypeE0ELb0ELi512EEEvPfS2_PT_PKS3_PKT0_S9_ifPKiSB_iPKfiiiSD_SD_iiiii.num_named_barrier, 0
	.set _ZN4vllm25paged_attention_v2_kernelIffLi64ELi32ELi128ELNS_18Fp8KVCacheDataTypeE0ELb0ELi512EEEvPfS2_PT_PKS3_PKT0_S9_ifPKiSB_iPKfiiiSD_SD_iiiii.private_seg_size, 0
	.set _ZN4vllm25paged_attention_v2_kernelIffLi64ELi32ELi128ELNS_18Fp8KVCacheDataTypeE0ELb0ELi512EEEvPfS2_PT_PKS3_PKT0_S9_ifPKiSB_iPKfiiiSD_SD_iiiii.uses_vcc, 1
	.set _ZN4vllm25paged_attention_v2_kernelIffLi64ELi32ELi128ELNS_18Fp8KVCacheDataTypeE0ELb0ELi512EEEvPfS2_PT_PKS3_PKT0_S9_ifPKiSB_iPKfiiiSD_SD_iiiii.uses_flat_scratch, 0
	.set _ZN4vllm25paged_attention_v2_kernelIffLi64ELi32ELi128ELNS_18Fp8KVCacheDataTypeE0ELb0ELi512EEEvPfS2_PT_PKS3_PKT0_S9_ifPKiSB_iPKfiiiSD_SD_iiiii.has_dyn_sized_stack, 0
	.set _ZN4vllm25paged_attention_v2_kernelIffLi64ELi32ELi128ELNS_18Fp8KVCacheDataTypeE0ELb0ELi512EEEvPfS2_PT_PKS3_PKT0_S9_ifPKiSB_iPKfiiiSD_SD_iiiii.has_recursion, 0
	.set _ZN4vllm25paged_attention_v2_kernelIffLi64ELi32ELi128ELNS_18Fp8KVCacheDataTypeE0ELb0ELi512EEEvPfS2_PT_PKS3_PKT0_S9_ifPKiSB_iPKfiiiSD_SD_iiiii.has_indirect_call, 0
	.section	.AMDGPU.csdata,"",@progbits
; Kernel info:
; codeLenInByte = 8992
; TotalNumSgprs: 34
; NumVgprs: 123
; ScratchSize: 0
; MemoryBound: 0
; FloatMode: 240
; IeeeMode: 1
; LDSByteSize: 288 bytes/workgroup (compile time only)
; SGPRBlocks: 0
; VGPRBlocks: 15
; NumSGPRsForWavesPerEU: 34
; NumVGPRsForWavesPerEU: 123
; Occupancy: 10
; WaveLimiterHint : 1
; COMPUTE_PGM_RSRC2:SCRATCH_EN: 0
; COMPUTE_PGM_RSRC2:USER_SGPR: 2
; COMPUTE_PGM_RSRC2:TRAP_HANDLER: 0
; COMPUTE_PGM_RSRC2:TGID_X_EN: 1
; COMPUTE_PGM_RSRC2:TGID_Y_EN: 1
; COMPUTE_PGM_RSRC2:TGID_Z_EN: 1
; COMPUTE_PGM_RSRC2:TIDIG_COMP_CNT: 0
	.section	.text._ZN4vllm25paged_attention_v2_kernelIffLi80ELi32ELi128ELNS_18Fp8KVCacheDataTypeE0ELb0ELi512EEEvPfS2_PT_PKS3_PKT0_S9_ifPKiSB_iPKfiiiSD_SD_iiiii,"axG",@progbits,_ZN4vllm25paged_attention_v2_kernelIffLi80ELi32ELi128ELNS_18Fp8KVCacheDataTypeE0ELb0ELi512EEEvPfS2_PT_PKS3_PKT0_S9_ifPKiSB_iPKfiiiSD_SD_iiiii,comdat
	.protected	_ZN4vllm25paged_attention_v2_kernelIffLi80ELi32ELi128ELNS_18Fp8KVCacheDataTypeE0ELb0ELi512EEEvPfS2_PT_PKS3_PKT0_S9_ifPKiSB_iPKfiiiSD_SD_iiiii ; -- Begin function _ZN4vllm25paged_attention_v2_kernelIffLi80ELi32ELi128ELNS_18Fp8KVCacheDataTypeE0ELb0ELi512EEEvPfS2_PT_PKS3_PKT0_S9_ifPKiSB_iPKfiiiSD_SD_iiiii
	.globl	_ZN4vllm25paged_attention_v2_kernelIffLi80ELi32ELi128ELNS_18Fp8KVCacheDataTypeE0ELb0ELi512EEEvPfS2_PT_PKS3_PKT0_S9_ifPKiSB_iPKfiiiSD_SD_iiiii
	.p2align	8
	.type	_ZN4vllm25paged_attention_v2_kernelIffLi80ELi32ELi128ELNS_18Fp8KVCacheDataTypeE0ELb0ELi512EEEvPfS2_PT_PKS3_PKT0_S9_ifPKiSB_iPKfiiiSD_SD_iiiii,@function
_ZN4vllm25paged_attention_v2_kernelIffLi80ELi32ELi128ELNS_18Fp8KVCacheDataTypeE0ELb0ELi512EEEvPfS2_PT_PKS3_PKT0_S9_ifPKiSB_iPKfiiiSD_SD_iiiii: ; @_ZN4vllm25paged_attention_v2_kernelIffLi80ELi32ELi128ELNS_18Fp8KVCacheDataTypeE0ELb0ELi512EEEvPfS2_PT_PKS3_PKT0_S9_ifPKiSB_iPKfiiiSD_SD_iiiii
; %bb.0:
	s_load_b64 s[2:3], s[0:1], 0x40
	s_and_b32 s14, ttmp7, 0xffff
	s_lshr_b32 s24, ttmp7, 16
	s_lshl_b32 s4, s14, 2
	s_lshl_b32 s26, s24, 9
	s_wait_kmcnt 0x0
	s_load_b32 s25, s[2:3], s4 offset:0x0
	s_wait_kmcnt 0x0
	s_cmp_ge_i32 s26, s25
	s_cbranch_scc1 .LBB56_122
; %bb.1:
	s_clause 0x1
	s_load_b32 s15, s[0:1], 0x90
	s_load_b64 s[4:5], s[0:1], 0x30
	s_wait_kmcnt 0x0
	s_abs_i32 s7, s15
	s_abs_i32 s2, s4
	s_xor_b32 s4, s15, s4
	s_cvt_f32_u32 s3, s2
	s_sub_co_i32 s6, 0, s2
	s_ashr_i32 s4, s4, 31
	s_delay_alu instid0(SALU_CYCLE_1) | instskip(NEXT) | instid1(TRANS32_DEP_1)
	v_rcp_iflag_f32_e32 v1, s3
	v_readfirstlane_b32 s3, v1
	s_mul_f32 s3, s3, 0x4f7ffffe
	s_wait_alu 0xfffe
	s_delay_alu instid0(SALU_CYCLE_2) | instskip(SKIP_1) | instid1(SALU_CYCLE_2)
	s_cvt_u32_f32 s3, s3
	s_wait_alu 0xfffe
	s_mul_i32 s6, s6, s3
	s_delay_alu instid0(SALU_CYCLE_1) | instskip(NEXT) | instid1(SALU_CYCLE_1)
	s_mul_hi_u32 s6, s3, s6
	s_add_co_i32 s3, s3, s6
	s_wait_alu 0xfffe
	s_mul_hi_u32 s3, s7, s3
	s_wait_alu 0xfffe
	s_mul_i32 s6, s3, s2
	s_delay_alu instid0(SALU_CYCLE_1)
	s_sub_co_i32 s6, s7, s6
	s_add_co_i32 s7, s3, 1
	s_sub_co_i32 s8, s6, s2
	s_cmp_ge_u32 s6, s2
	s_cselect_b32 s3, s7, s3
	s_cselect_b32 s6, s8, s6
	s_wait_alu 0xfffe
	s_add_co_i32 s7, s3, 1
	s_cmp_ge_u32 s6, s2
	s_load_b64 s[8:9], s[0:1], 0x50
	s_cselect_b32 s2, s7, s3
	s_mov_b32 s3, 0
	s_wait_alu 0xfffe
	s_xor_b32 s2, s2, s4
	s_mov_b32 s11, s3
	s_wait_alu 0xfffe
	s_sub_co_i32 s12, s2, s4
	s_delay_alu instid0(SALU_CYCLE_1) | instskip(NEXT) | instid1(SALU_CYCLE_1)
	s_abs_i32 s4, s12
	s_cvt_f32_u32 s2, s4
	s_wait_alu 0xfffe
	s_delay_alu instid0(SALU_CYCLE_2) | instskip(NEXT) | instid1(TRANS32_DEP_1)
	v_rcp_iflag_f32_e32 v1, s2
	v_readfirstlane_b32 s2, v1
	s_mul_f32 s2, s2, 0x4f7ffffe
	s_wait_alu 0xfffe
	s_delay_alu instid0(SALU_CYCLE_2) | instskip(SKIP_2) | instid1(SALU_CYCLE_1)
	s_cvt_u32_f32 s6, s2
	s_sub_co_i32 s2, 0, s4
	s_wait_alu 0xfffe
	s_mul_i32 s2, s2, s6
	s_wait_alu 0xfffe
	s_mul_hi_u32 s7, s6, s2
	s_abs_i32 s2, ttmp9
	s_add_co_i32 s6, s6, s7
	s_mov_b32 s7, s3
	s_wait_kmcnt 0x0
	s_cmp_eq_u64 s[8:9], 0
	s_cbranch_scc1 .LBB56_3
; %bb.2:
	s_mov_b32 s10, ttmp9
	s_ashr_i32 s11, ttmp9, 31
	s_delay_alu instid0(SALU_CYCLE_1) | instskip(NEXT) | instid1(SALU_CYCLE_1)
	s_lshl_b64 s[10:11], s[10:11], 2
	s_add_nc_u64 s[8:9], s[8:9], s[10:11]
	s_load_b32 s11, s[8:9], 0x0
.LBB56_3:
	s_load_b96 s[8:10], s[0:1], 0x58
	v_lshlrev_b32_e32 v83, 4, v0
	s_mul_u64 s[6:7], s[2:3], s[6:7]
	s_ashr_i32 s3, ttmp9, 31
	s_ashr_i32 s6, s12, 31
	s_mul_i32 s12, ttmp9, 0x50
	s_mov_b32 s16, exec_lo
	v_cmpx_gt_u32_e32 20, v0
	s_cbranch_execz .LBB56_5
; %bb.4:
	s_load_b64 s[18:19], s[0:1], 0x18
	s_wait_kmcnt 0x0
	s_mul_i32 s20, s8, s14
	s_ashr_i32 s13, s12, 31
	s_ashr_i32 s21, s20, 31
	s_delay_alu instid0(SALU_CYCLE_1) | instskip(NEXT) | instid1(SALU_CYCLE_1)
	s_lshl_b64 s[20:21], s[20:21], 2
	s_add_nc_u64 s[18:19], s[18:19], s[20:21]
	s_lshl_b64 s[20:21], s[12:13], 2
	s_delay_alu instid0(SALU_CYCLE_1)
	s_add_nc_u64 s[18:19], s[18:19], s[20:21]
	global_load_b128 v[1:4], v83, s[18:19]
	s_wait_loadcnt 0x0
	ds_store_b128 v83, v[1:4]
.LBB56_5:
	s_or_b32 exec_lo, exec_lo, s16
	s_wait_kmcnt 0x0
	s_add_co_i32 s8, s25, 31
	s_lshl_b32 s28, s24, 4
	s_ashr_i32 s13, s8, 31
	s_mul_i32 s19, s7, s4
	s_lshr_b32 s13, s13, 27
	s_sub_co_i32 s2, s2, s19
	s_add_co_i32 s8, s8, s13
	s_add_co_i32 s13, s28, 16
	s_ashr_i32 s27, s8, 5
	s_clause 0x2
	s_load_b64 s[16:17], s[0:1], 0x38
	s_load_b32 s8, s[0:1], 0x98
	s_load_b32 s18, s[0:1], 0x48
	s_min_i32 s13, s13, s27
	s_xor_b32 s3, s3, s6
	s_add_co_i32 s6, s7, 1
	s_sub_co_i32 s19, s2, s4
	s_cmp_ge_u32 s2, s4
	v_lshrrev_b32_e32 v87, 5, v0
	s_cselect_b32 s6, s6, s7
	s_cselect_b32 s2, s19, s2
	s_add_co_i32 s7, s6, 1
	s_wait_alu 0xfffe
	s_cmp_ge_u32 s2, s4
	v_and_b32_e32 v88, 31, v0
	v_dual_mov_b32 v86, 0xff7fffff :: v_dual_add_nc_u32 v89, s28, v87
	s_cselect_b32 s2, s7, s6
	s_wait_dscnt 0x0
	s_wait_alu 0xfffe
	s_xor_b32 s2, s2, s3
	v_lshlrev_b32_e32 v85, 2, v88
	s_wait_alu 0xfffe
	s_sub_co_i32 s3, s2, s3
	v_cmp_gt_i32_e64 s2, s13, v89
	v_lshlrev_b32_e32 v84, 2, v89
	s_wait_kmcnt 0x0
	s_mul_i32 s18, s18, s14
	s_wait_alu 0xfffe
	s_mul_i32 s20, s3, s10
	s_ashr_i32 s19, s18, 31
	s_barrier_signal -1
	s_barrier_wait -1
	global_inv scope:SCOPE_SE
	s_and_saveexec_b32 s6, s2
	s_cbranch_execz .LBB56_9
; %bb.6:
	v_dual_mov_b32 v77, 0 :: v_dual_lshlrev_b32 v82, 5, v87
	s_load_b64 s[22:23], s[0:1], 0x20
	s_ashr_i32 s21, s20, 31
	v_lshlrev_b32_e32 v81, 4, v88
	ds_load_b128 v[1:4], v77
	ds_load_b128 v[5:8], v77 offset:16
	ds_load_b128 v[9:12], v77 offset:32
	;; [unrolled: 1-line block ×19, first 2 shown]
	v_lshl_or_b32 v86, v87, 7, v85
	s_lshl_b64 s[30:31], s[20:21], 2
	s_cmp_neq_f32 s11, 0
	v_add3_u32 v92, s26, v82, v88
	s_delay_alu instid0(VALU_DEP_2)
	v_dual_mov_b32 v94, v89 :: v_dual_add_nc_u32 v93, 0x160, v86
	v_mov_b32_e32 v86, 0xff7fffff
	s_cselect_b32 vcc_lo, -1, 0
	s_mov_b32 s10, s9
	s_mov_b32 s7, 0
	s_sub_co_i32 s21, 1, s25
	s_wait_kmcnt 0x0
	s_add_nc_u64 s[22:23], s[22:23], s[30:31]
	s_delay_alu instid0(SALU_CYCLE_1)
	v_add_co_u32 v90, s3, s22, v81
	s_wait_alu 0xf1ff
	v_add_co_ci_u32_e64 v91, null, s23, 0, s3
	s_lshl_b64 s[22:23], s[18:19], 2
	s_wait_alu 0xfffe
	s_add_nc_u64 s[22:23], s[16:17], s[22:23]
	s_wait_alu 0xfffe
	v_add_co_u32 v81, s3, s22, v84
	s_wait_alu 0xf1ff
	v_add_co_ci_u32_e64 v82, null, s23, 0, s3
.LBB56_7:                               ; =>This Inner Loop Header: Depth=1
	global_load_b32 v95, v[81:82], off
	v_add_nc_u32_e32 v94, 4, v94
	s_delay_alu instid0(VALU_DEP_1) | instskip(SKIP_3) | instid1(VALU_DEP_1)
	v_cmp_le_i32_e64 s4, s13, v94
	s_or_b32 s7, s4, s7
	s_wait_loadcnt 0x0
	v_mad_co_i64_i32 v[95:96], null, v95, s10, 0
	v_lshlrev_b64_e32 v[95:96], 2, v[95:96]
	s_delay_alu instid0(VALU_DEP_1) | instskip(SKIP_1) | instid1(VALU_DEP_2)
	v_add_co_u32 v139, s3, v90, v95
	s_wait_alu 0xf1ff
	v_add_co_ci_u32_e64 v140, null, v91, v96, s3
	s_clause 0xa
	global_load_b128 v[95:98], v[139:140], off offset:512
	global_load_b128 v[99:102], v[139:140], off
	global_load_b128 v[103:106], v[139:140], off offset:1024
	global_load_b128 v[107:110], v[139:140], off offset:1536
	global_load_b128 v[111:114], v[139:140], off offset:2048
	global_load_b128 v[115:118], v[139:140], off offset:2560
	global_load_b128 v[119:122], v[139:140], off offset:3072
	global_load_b128 v[123:126], v[139:140], off offset:3584
	global_load_b128 v[127:130], v[139:140], off offset:4096
	global_load_b128 v[131:134], v[139:140], off offset:4608
	global_load_b128 v[135:138], v[139:140], off offset:5120
	v_add_co_u32 v81, s3, v81, 16
	s_wait_alu 0xf1ff
	v_add_co_ci_u32_e64 v82, null, 0, v82, s3
	v_cmp_gt_i32_e64 s3, s25, v92
	s_wait_loadcnt_dscnt 0xa12
	v_dual_mul_f32 v143, v5, v95 :: v_dual_mul_f32 v144, v6, v96
	v_dual_mul_f32 v145, v7, v97 :: v_dual_mul_f32 v146, v8, v98
	global_load_b128 v[95:98], v[139:140], off offset:5632
	s_wait_loadcnt 0xa
	v_dual_fmac_f32 v143, v1, v99 :: v_dual_fmac_f32 v144, v2, v100
	v_dual_fmac_f32 v145, v3, v101 :: v_dual_fmac_f32 v146, v4, v102
	global_load_b128 v[99:102], v[139:140], off offset:6144
	s_wait_loadcnt_dscnt 0xa11
	v_dual_fmac_f32 v143, v9, v103 :: v_dual_fmac_f32 v144, v10, v104
	v_dual_fmac_f32 v145, v11, v105 :: v_dual_fmac_f32 v146, v12, v106
	global_load_b128 v[103:106], v[139:140], off offset:6656
	s_wait_loadcnt_dscnt 0xa10
	;; [unrolled: 4-line block ×6, first 2 shown]
	v_dual_fmac_f32 v143, v29, v123 :: v_dual_fmac_f32 v144, v30, v124
	v_dual_fmac_f32 v145, v31, v125 :: v_dual_fmac_f32 v146, v32, v126
	s_clause 0x1
	global_load_b128 v[123:126], v[139:140], off offset:9216
	global_load_b128 v[139:142], v[139:140], off offset:9728
	s_wait_loadcnt_dscnt 0xb0b
	v_dual_fmac_f32 v143, v33, v127 :: v_dual_fmac_f32 v144, v34, v128
	v_dual_fmac_f32 v145, v35, v129 :: v_dual_fmac_f32 v146, v36, v130
	v_dual_max_num_f32 v128, v86, v86 :: v_dual_add_nc_u32 v127, s21, v92
	s_wait_loadcnt_dscnt 0xa0a
	s_delay_alu instid0(VALU_DEP_3) | instskip(NEXT) | instid1(VALU_DEP_3)
	v_dual_fmac_f32 v143, v37, v131 :: v_dual_fmac_f32 v144, v38, v132
	v_dual_fmac_f32 v145, v39, v133 :: v_dual_fmac_f32 v146, v40, v134
	s_delay_alu instid0(VALU_DEP_3) | instskip(SKIP_1) | instid1(VALU_DEP_3)
	v_cvt_f32_i32_e32 v127, v127
	s_wait_loadcnt_dscnt 0x909
	v_dual_fmac_f32 v143, v41, v135 :: v_dual_fmac_f32 v144, v42, v136
	s_delay_alu instid0(VALU_DEP_3) | instskip(SKIP_1) | instid1(VALU_DEP_2)
	v_dual_fmac_f32 v145, v43, v137 :: v_dual_fmac_f32 v146, v44, v138
	s_wait_loadcnt_dscnt 0x808
	v_dual_fmac_f32 v143, v45, v95 :: v_dual_add_nc_u32 v92, 0x80, v92
	s_delay_alu instid0(VALU_DEP_2) | instskip(NEXT) | instid1(VALU_DEP_3)
	v_dual_fmac_f32 v144, v46, v96 :: v_dual_fmac_f32 v145, v47, v97
	v_fmac_f32_e32 v146, v48, v98
	v_mul_f32_e32 v96, s11, v127
	s_wait_loadcnt_dscnt 0x707
	s_delay_alu instid0(VALU_DEP_3) | instskip(NEXT) | instid1(VALU_DEP_3)
	v_dual_fmac_f32 v143, v49, v99 :: v_dual_fmac_f32 v144, v50, v100
	v_dual_fmac_f32 v145, v51, v101 :: v_dual_fmac_f32 v146, v52, v102
	s_wait_loadcnt_dscnt 0x606
	s_delay_alu instid0(VALU_DEP_2) | instskip(NEXT) | instid1(VALU_DEP_2)
	v_dual_fmac_f32 v143, v53, v103 :: v_dual_fmac_f32 v144, v54, v104
	v_dual_fmac_f32 v145, v55, v105 :: v_dual_fmac_f32 v146, v56, v106
	s_wait_loadcnt_dscnt 0x505
	s_delay_alu instid0(VALU_DEP_2) | instskip(NEXT) | instid1(VALU_DEP_2)
	v_dual_fmac_f32 v143, v57, v107 :: v_dual_fmac_f32 v144, v58, v108
	v_dual_fmac_f32 v145, v59, v109 :: v_dual_fmac_f32 v146, v60, v110
	s_wait_loadcnt_dscnt 0x404
	s_delay_alu instid0(VALU_DEP_2) | instskip(NEXT) | instid1(VALU_DEP_2)
	v_dual_fmac_f32 v143, v61, v111 :: v_dual_fmac_f32 v144, v62, v112
	v_dual_fmac_f32 v145, v63, v113 :: v_dual_fmac_f32 v146, v64, v114
	s_wait_loadcnt_dscnt 0x303
	s_delay_alu instid0(VALU_DEP_2) | instskip(NEXT) | instid1(VALU_DEP_2)
	v_dual_fmac_f32 v143, v65, v115 :: v_dual_fmac_f32 v144, v66, v116
	v_dual_fmac_f32 v145, v67, v117 :: v_dual_fmac_f32 v146, v68, v118
	s_wait_loadcnt_dscnt 0x202
	s_delay_alu instid0(VALU_DEP_2) | instskip(NEXT) | instid1(VALU_DEP_2)
	v_dual_fmac_f32 v143, v69, v119 :: v_dual_fmac_f32 v144, v70, v120
	v_dual_fmac_f32 v145, v71, v121 :: v_dual_fmac_f32 v146, v72, v122
	s_wait_loadcnt_dscnt 0x101
	s_delay_alu instid0(VALU_DEP_2) | instskip(NEXT) | instid1(VALU_DEP_2)
	v_dual_fmac_f32 v143, v73, v123 :: v_dual_fmac_f32 v144, v74, v124
	v_dual_fmac_f32 v145, v75, v125 :: v_dual_fmac_f32 v146, v76, v126
	s_wait_loadcnt_dscnt 0x0
	s_delay_alu instid0(VALU_DEP_2) | instskip(NEXT) | instid1(VALU_DEP_2)
	v_dual_fmac_f32 v143, v77, v139 :: v_dual_fmac_f32 v144, v78, v140
	v_dual_fmac_f32 v145, v79, v141 :: v_dual_fmac_f32 v146, v80, v142
	s_delay_alu instid0(VALU_DEP_2) | instskip(NEXT) | instid1(VALU_DEP_1)
	v_add_f32_e32 v95, v143, v144
	v_dual_add_f32 v95, v145, v95 :: v_dual_cndmask_b32 v96, 0, v96
	s_delay_alu instid0(VALU_DEP_1) | instskip(NEXT) | instid1(VALU_DEP_1)
	v_add_f32_e32 v95, v146, v95
	v_fmac_f32_e32 v96, s5, v95
	s_delay_alu instid0(VALU_DEP_1) | instskip(SKIP_2) | instid1(VALU_DEP_2)
	v_max_num_f32_e32 v95, v128, v96
	s_wait_alu 0xf1ff
	v_cndmask_b32_e64 v96, 0, v96, s3
	v_cndmask_b32_e64 v86, v86, v95, s3
	ds_store_b32 v93, v96
	v_add_nc_u32_e32 v93, 0x200, v93
	s_and_not1_b32 exec_lo, exec_lo, s7
	s_cbranch_execnz .LBB56_7
; %bb.8:
	s_or_b32 exec_lo, exec_lo, s7
.LBB56_9:
	s_delay_alu instid0(SALU_CYCLE_1)
	s_or_b32 exec_lo, exec_lo, s6
	v_mbcnt_lo_u32_b32 v1, -1, 0
	s_clause 0x2
	s_load_b128 s[4:7], s[0:1], 0x0
	s_load_b64 s[10:11], s[0:1], 0x10
	s_load_b64 s[22:23], s[0:1], 0x28
	v_xor_b32_e32 v2, 16, v1
	v_xor_b32_e32 v4, 8, v1
	s_delay_alu instid0(VALU_DEP_2) | instskip(SKIP_2) | instid1(VALU_DEP_3)
	v_cmp_gt_i32_e32 vcc_lo, 32, v2
	s_wait_alu 0xfffd
	v_cndmask_b32_e32 v2, v1, v2, vcc_lo
	v_cmp_gt_i32_e32 vcc_lo, 32, v4
	v_max_num_f32_e32 v5, v86, v86
	s_delay_alu instid0(VALU_DEP_3)
	v_lshlrev_b32_e32 v2, 2, v2
	s_wait_alu 0xfffd
	v_cndmask_b32_e32 v4, v1, v4, vcc_lo
	ds_bpermute_b32 v3, v2, v86
	s_wait_dscnt 0x0
	v_dual_max_num_f32 v6, v3, v3 :: v_dual_lshlrev_b32 v3, 2, v4
	s_delay_alu instid0(VALU_DEP_1)
	v_max_num_f32_e32 v4, v5, v6
	v_xor_b32_e32 v6, 4, v1
	ds_bpermute_b32 v5, v3, v4
	v_cmp_gt_i32_e32 vcc_lo, 32, v6
	s_wait_alu 0xfffd
	v_cndmask_b32_e32 v6, v1, v6, vcc_lo
	s_delay_alu instid0(VALU_DEP_1) | instskip(SKIP_1) | instid1(VALU_DEP_1)
	v_lshlrev_b32_e32 v92, 2, v6
	v_xor_b32_e32 v6, 2, v1
	v_cmp_gt_i32_e32 vcc_lo, 32, v6
	s_wait_dscnt 0x0
	v_max_num_f32_e32 v5, v5, v5
	s_wait_alu 0xfffd
	v_cndmask_b32_e32 v6, v1, v6, vcc_lo
	s_delay_alu instid0(VALU_DEP_1)
	v_dual_max_num_f32 v4, v4, v5 :: v_dual_lshlrev_b32 v91, 2, v6
	v_xor_b32_e32 v6, 1, v1
	ds_bpermute_b32 v5, v92, v4
	v_cmp_gt_i32_e32 vcc_lo, 32, v6
	s_wait_alu 0xfffd
	v_cndmask_b32_e32 v6, v1, v6, vcc_lo
	v_cmp_eq_u32_e32 vcc_lo, 0, v88
	s_wait_dscnt 0x0
	s_delay_alu instid0(VALU_DEP_2) | instskip(NEXT) | instid1(VALU_DEP_1)
	v_dual_max_num_f32 v5, v5, v5 :: v_dual_lshlrev_b32 v90, 2, v6
	v_max_num_f32_e32 v4, v4, v5
	ds_bpermute_b32 v5, v91, v4
	s_wait_dscnt 0x0
	v_max_num_f32_e32 v5, v5, v5
	s_delay_alu instid0(VALU_DEP_1)
	v_max_num_f32_e32 v1, v4, v5
	v_lshlrev_b32_e32 v5, 2, v87
	ds_bpermute_b32 v4, v90, v1
	s_and_saveexec_b32 s0, vcc_lo
	s_cbranch_execz .LBB56_11
; %bb.10:
	s_wait_dscnt 0x0
	v_dual_max_num_f32 v4, v4, v4 :: v_dual_max_num_f32 v1, v1, v1
	s_delay_alu instid0(VALU_DEP_1)
	v_max_num_f32_e32 v1, v1, v4
	ds_store_b32 v5, v1 offset:320
.LBB56_11:
	s_or_b32 exec_lo, exec_lo, s0
	v_cmp_gt_u32_e64 s0, 4, v88
	v_mov_b32_e32 v1, 0xff7fffff
	s_wait_loadcnt_dscnt 0x0
	s_barrier_signal -1
	s_barrier_wait -1
	global_inv scope:SCOPE_SE
	s_and_saveexec_b32 s1, s0
; %bb.12:
	ds_load_b32 v1, v85 offset:320
; %bb.13:
	s_or_b32 exec_lo, exec_lo, s1
	s_wait_dscnt 0x0
	ds_bpermute_b32 v4, v91, v1
	v_max_num_f32_e32 v1, v1, v1
	s_sub_co_i32 s1, s13, s28
	v_mov_b32_e32 v6, 0
	s_lshl_b32 s1, s1, 5
	s_delay_alu instid0(SALU_CYCLE_1) | instskip(NEXT) | instid1(SALU_CYCLE_1)
	s_add_co_i32 s1, s1, s26
	s_min_i32 s1, s1, s25
	s_delay_alu instid0(SALU_CYCLE_1) | instskip(SKIP_4) | instid1(VALU_DEP_1)
	s_sub_co_i32 s21, s1, s26
	s_wait_alu 0xfffe
	v_cmp_gt_i32_e64 s1, s21, v0
	s_wait_dscnt 0x0
	v_max_num_f32_e32 v4, v4, v4
	v_max_num_f32_e32 v1, v1, v4
	ds_bpermute_b32 v4, v90, v1
	s_wait_dscnt 0x0
	v_max_num_f32_e32 v4, v4, v4
	s_delay_alu instid0(VALU_DEP_1)
	v_max_num_f32_e32 v1, v1, v4
	v_lshl_add_u32 v4, v0, 2, 0x160
	ds_bpermute_b32 v1, v6, v1
	s_and_saveexec_b32 s28, s1
	s_cbranch_execz .LBB56_17
; %bb.14:
	v_lshl_add_u32 v7, v0, 2, 0x160
	v_mov_b32_e32 v6, 0
	v_mov_b32_e32 v8, v0
	s_mov_b32 s29, 0
.LBB56_15:                              ; =>This Inner Loop Header: Depth=1
	ds_load_b32 v9, v7
	v_add_nc_u32_e32 v8, 0x80, v8
	s_delay_alu instid0(VALU_DEP_1) | instskip(SKIP_4) | instid1(VALU_DEP_1)
	v_cmp_le_i32_e64 s3, s21, v8
	s_wait_alu 0xfffe
	s_or_b32 s29, s3, s29
	s_wait_dscnt 0x0
	v_sub_f32_e32 v9, v9, v1
	v_mul_f32_e32 v9, 0x3fb8aa3b, v9
	s_delay_alu instid0(VALU_DEP_1)
	v_exp_f32_e32 v9, v9
	ds_store_b32 v7, v9
	v_dual_add_f32 v6, v6, v9 :: v_dual_add_nc_u32 v7, 0x200, v7
	s_wait_alu 0xfffe
	s_and_not1_b32 exec_lo, exec_lo, s29
	s_cbranch_execnz .LBB56_15
; %bb.16:
	s_or_b32 exec_lo, exec_lo, s29
.LBB56_17:
	s_wait_alu 0xfffe
	s_or_b32 exec_lo, exec_lo, s28
	ds_bpermute_b32 v2, v2, v6
	s_wait_dscnt 0x0
	v_add_f32_e32 v2, v6, v2
	ds_bpermute_b32 v3, v3, v2
	s_wait_dscnt 0x0
	v_add_f32_e32 v2, v2, v3
	;; [unrolled: 3-line block ×5, first 2 shown]
	s_and_saveexec_b32 s3, vcc_lo
; %bb.18:
	ds_store_b32 v5, v2 offset:336
; %bb.19:
	s_wait_alu 0xfffe
	s_or_b32 exec_lo, exec_lo, s3
	s_wait_loadcnt_dscnt 0x0
	s_barrier_signal -1
	s_barrier_wait -1
	global_inv scope:SCOPE_SE
	s_and_saveexec_b32 s3, s0
; %bb.20:
	ds_load_b32 v2, v85 offset:336
; %bb.21:
	s_wait_alu 0xfffe
	s_or_b32 exec_lo, exec_lo, s3
	s_wait_dscnt 0x0
	ds_bpermute_b32 v3, v91, v2
	s_wait_dscnt 0x0
	v_add_f32_e32 v2, v2, v3
	ds_bpermute_b32 v3, v90, v2
	s_wait_dscnt 0x0
	v_dual_add_f32 v2, v2, v3 :: v_dual_mov_b32 v3, 0
	ds_bpermute_b32 v2, v3, v2
	s_and_saveexec_b32 s0, s1
	s_cbranch_execz .LBB56_24
; %bb.22:
	s_wait_dscnt 0x0
	v_add_f32_e32 v3, 0x358637bd, v2
	s_mov_b32 s1, 0
	s_delay_alu instid0(VALU_DEP_1) | instskip(SKIP_1) | instid1(VALU_DEP_2)
	v_div_scale_f32 v5, null, v3, v3, 1.0
	v_div_scale_f32 v8, vcc_lo, 1.0, v3, 1.0
	v_rcp_f32_e32 v6, v5
	s_delay_alu instid0(TRANS32_DEP_1) | instskip(NEXT) | instid1(VALU_DEP_1)
	v_fma_f32 v7, -v5, v6, 1.0
	v_fmac_f32_e32 v6, v7, v6
	s_delay_alu instid0(VALU_DEP_1) | instskip(NEXT) | instid1(VALU_DEP_1)
	v_mul_f32_e32 v7, v8, v6
	v_fma_f32 v9, -v5, v7, v8
	s_delay_alu instid0(VALU_DEP_1) | instskip(NEXT) | instid1(VALU_DEP_1)
	v_fmac_f32_e32 v7, v9, v6
	v_fma_f32 v5, -v5, v7, v8
	s_wait_alu 0xfffd
	s_delay_alu instid0(VALU_DEP_1) | instskip(NEXT) | instid1(VALU_DEP_1)
	v_div_fmas_f32 v5, v5, v6, v7
	v_div_fixup_f32 v3, v5, v3, 1.0
	v_mov_b32_e32 v5, v0
.LBB56_23:                              ; =>This Inner Loop Header: Depth=1
	ds_load_b32 v6, v4
	s_wait_dscnt 0x0
	v_dual_mul_f32 v6, v3, v6 :: v_dual_add_nc_u32 v5, 0x80, v5
	s_delay_alu instid0(VALU_DEP_1) | instskip(SKIP_3) | instid1(SALU_CYCLE_1)
	v_cmp_le_i32_e32 vcc_lo, s21, v5
	ds_store_b32 v4, v6
	v_add_nc_u32_e32 v4, 0x200, v4
	s_or_b32 s1, vcc_lo, s1
	s_and_not1_b32 exec_lo, exec_lo, s1
	s_cbranch_execnz .LBB56_23
.LBB56_24:
	s_or_b32 exec_lo, exec_lo, s0
	s_mul_i32 s0, s8, s14
	s_wait_loadcnt_dscnt 0x0
	s_mul_i32 s14, s0, s15
	s_mov_b32 s0, exec_lo
	s_barrier_signal -1
	s_barrier_wait -1
	global_inv scope:SCOPE_SE
	v_cmpx_eq_u32_e32 0, v0
	s_cbranch_execz .LBB56_26
; %bb.25:
	s_ashr_i32 s15, s14, 31
	s_mul_i32 s28, s8, ttmp9
	s_lshl_b32 s1, s24, 2
	s_lshl_b64 s[30:31], s[14:15], 2
	s_wait_alu 0xfffe
	s_ashr_i32 s29, s28, 31
	v_mov_b32_e32 v3, s1
	s_wait_kmcnt 0x0
	s_add_nc_u64 s[6:7], s[6:7], s[30:31]
	s_wait_alu 0xfffe
	s_lshl_b64 s[28:29], s[28:29], 2
	s_add_nc_u64 s[4:5], s[4:5], s[30:31]
	s_wait_alu 0xfffe
	s_add_nc_u64 s[6:7], s[6:7], s[28:29]
	s_add_nc_u64 s[4:5], s[4:5], s[28:29]
	s_clause 0x1
	global_store_b32 v3, v1, s[6:7]
	global_store_b32 v3, v2, s[4:5]
.LBB56_26:
	s_or_b32 exec_lo, exec_lo, s0
	v_dual_mov_b32 v111, 0 :: v_dual_mov_b32 v112, 0
	v_dual_mov_b32 v110, 0 :: v_dual_and_b32 v93, 7, v0
	v_dual_mov_b32 v113, 0 :: v_dual_mov_b32 v108, 0
	v_dual_mov_b32 v109, 0 :: v_dual_mov_b32 v106, 0
	v_dual_mov_b32 v107, 0 :: v_dual_mov_b32 v104, 0
	v_dual_mov_b32 v105, 0 :: v_dual_mov_b32 v102, 0
	v_dual_mov_b32 v103, 0 :: v_dual_mov_b32 v100, 0
	v_dual_mov_b32 v101, 0 :: v_dual_mov_b32 v98, 0
	v_dual_mov_b32 v99, 0 :: v_dual_mov_b32 v96, 0
	v_dual_mov_b32 v97, 0 :: v_dual_mov_b32 v94, 0
	v_mov_b32_e32 v95, 0
	s_and_saveexec_b32 s3, s2
	s_cbranch_execz .LBB56_70
; %bb.27:
	s_ashr_i32 s21, s20, 31
	v_dual_mov_b32 v98, 0 :: v_dual_and_b32 v3, 0x1f0, v83
	s_wait_alu 0xfffe
	s_lshl_b64 s[0:1], s[20:21], 2
	v_dual_mov_b32 v94, 0 :: v_dual_lshlrev_b32 v1, 2, v0
	v_dual_mov_b32 v95, 0 :: v_dual_lshlrev_b32 v2, 4, v93
	s_wait_kmcnt 0x0
	s_wait_alu 0xfffe
	s_add_nc_u64 s[0:1], s[22:23], s[0:1]
	v_dual_mov_b32 v96, 0 :: v_dual_and_b32 v1, 28, v1
	s_wait_alu 0xfffe
	v_add_co_u32 v114, s0, s0, v3
	s_wait_alu 0xf1ff
	v_add_co_ci_u32_e64 v115, null, s1, 0, s0
	s_lshl_b64 s[0:1], s[18:19], 2
	v_lshl_add_u32 v4, v87, 5, s26
	v_lshl_or_b32 v2, v87, 7, v2
	s_wait_alu 0xfffe
	s_add_nc_u64 s[0:1], s[16:17], s[0:1]
	v_dual_mov_b32 v97, 0 :: v_dual_mov_b32 v102, 0
	s_wait_alu 0xfffe
	v_add_co_u32 v85, s0, s0, v84
	v_add3_u32 v116, v4, v1, 3
	v_dual_mov_b32 v100, 0 :: v_dual_add_nc_u32 v117, 0x160, v2
	s_wait_alu 0xf1ff
	v_add_co_ci_u32_e64 v86, null, s1, 0, s0
	v_dual_mov_b32 v99, 0 :: v_dual_mov_b32 v104, 0
	v_dual_mov_b32 v101, 0 :: v_dual_mov_b32 v106, 0
	;; [unrolled: 1-line block ×5, first 2 shown]
	v_mov_b32_e32 v109, 0
	v_mov_b32_e32 v113, 0
	;; [unrolled: 1-line block ×3, first 2 shown]
	s_mov_b32 s4, s9
	s_add_co_i32 s6, s27, -1
	s_mov_b32 s5, 0
	s_branch .LBB56_29
.LBB56_28:                              ;   in Loop: Header=BB56_29 Depth=1
	s_wait_alu 0xfffe
	s_or_b32 exec_lo, exec_lo, s7
	s_wait_loadcnt_dscnt 0x600
	v_mul_f32_e32 v57, v1, v57
	v_mul_f32_e32 v49, v1, v49
	;; [unrolled: 1-line block ×3, first 2 shown]
	s_wait_loadcnt 0x2
	v_mul_f32_e32 v77, v1, v77
	v_mul_f32_e32 v41, v1, v41
	v_fmac_f32_e32 v57, v2, v58
	v_fmac_f32_e32 v49, v2, v50
	v_fmac_f32_e32 v25, v2, v26
	v_mul_f32_e32 v17, v1, v17
	v_mul_f32_e32 v13, v1, v13
	v_fmac_f32_e32 v57, v3, v59
	s_wait_loadcnt 0x1
	v_dual_mul_f32 v81, v1, v81 :: v_dual_add_nc_u32 v116, 0x80, v116
	v_mul_f32_e32 v73, v1, v73
	v_mul_f32_e32 v69, v1, v69
	;; [unrolled: 1-line block ×5, first 2 shown]
	v_fmac_f32_e32 v41, v2, v42
	v_fmac_f32_e32 v49, v3, v51
	;; [unrolled: 1-line block ×4, first 2 shown]
	v_mul_f32_e32 v37, v1, v37
	v_mul_f32_e32 v33, v1, v33
	;; [unrolled: 1-line block ×4, first 2 shown]
	v_fmac_f32_e32 v25, v3, v27
	v_mul_f32_e32 v9, v1, v9
	v_fmac_f32_e32 v17, v2, v18
	v_mul_f32_e32 v5, v1, v5
	s_wait_loadcnt 0x0
	v_mul_f32_e32 v1, v1, v61
	v_fmac_f32_e32 v13, v2, v14
	v_fmac_f32_e32 v41, v3, v43
	;; [unrolled: 1-line block ×3, first 2 shown]
	v_dual_add_f32 v100, v100, v57 :: v_dual_fmac_f32 v77, v3, v79
	v_fmac_f32_e32 v33, v2, v34
	v_fmac_f32_e32 v25, v4, v28
	v_fmac_f32_e32 v69, v2, v70
	v_fmac_f32_e32 v17, v3, v19
	v_fmac_f32_e32 v1, v2, v62
	v_fmac_f32_e32 v13, v3, v15
	v_fmac_f32_e32 v53, v2, v54
	v_fmac_f32_e32 v45, v2, v46
	v_fmac_f32_e32 v41, v4, v44
	v_fmac_f32_e32 v73, v2, v74
	v_dual_add_f32 v102, v102, v49 :: v_dual_fmac_f32 v77, v4, v80
	v_fmac_f32_e32 v81, v2, v82
	v_fmac_f32_e32 v37, v2, v38
	;; [unrolled: 1-line block ×4, first 2 shown]
	v_dual_fmac_f32 v33, v3, v35 :: v_dual_add_f32 v108, v108, v25
	v_fmac_f32_e32 v9, v2, v10
	v_fmac_f32_e32 v5, v2, v6
	;; [unrolled: 1-line block ×6, first 2 shown]
	v_dual_fmac_f32 v65, v2, v66 :: v_dual_add_f32 v96, v96, v77
	v_fmac_f32_e32 v53, v3, v55
	v_dual_fmac_f32 v45, v3, v47 :: v_dual_add_f32 v104, v104, v41
	v_fmac_f32_e32 v37, v3, v39
	v_fmac_f32_e32 v29, v3, v31
	;; [unrolled: 1-line block ×6, first 2 shown]
	v_dual_fmac_f32 v5, v3, v7 :: v_dual_add_f32 v110, v110, v17
	v_fmac_f32_e32 v69, v4, v72
	v_fmac_f32_e32 v81, v3, v83
	;; [unrolled: 1-line block ×3, first 2 shown]
	v_dual_add_f32 v112, v112, v13 :: v_dual_fmac_f32 v65, v3, v67
	v_add_nc_u32_e32 v89, 4, v89
	s_delay_alu instid0(VALU_DEP_4)
	v_dual_add_f32 v98, v98, v69 :: v_dual_fmac_f32 v81, v4, v84
	v_fmac_f32_e32 v53, v4, v56
	v_fmac_f32_e32 v45, v4, v48
	;; [unrolled: 1-line block ×4, first 2 shown]
	v_dual_fmac_f32 v21, v4, v24 :: v_dual_add_f32 v106, v106, v33
	v_fmac_f32_e32 v73, v4, v76
	v_fmac_f32_e32 v9, v4, v12
	v_dual_fmac_f32 v5, v4, v8 :: v_dual_add_f32 v94, v94, v1
	v_fmac_f32_e32 v65, v4, v68
	v_cmp_le_i32_e32 vcc_lo, s13, v89
	v_add_co_u32 v85, s0, v85, 16
	v_add_f32_e32 v95, v95, v81
	v_add_f32_e32 v97, v97, v73
	;; [unrolled: 1-line block ×10, first 2 shown]
	v_add_nc_u32_e32 v117, 0x200, v117
	s_wait_alu 0xf1ff
	v_add_co_ci_u32_e64 v86, null, 0, v86, s0
	s_or_b32 s5, vcc_lo, s5
	s_wait_alu 0xfffe
	s_and_not1_b32 exec_lo, exec_lo, s5
	s_cbranch_execz .LBB56_69
.LBB56_29:                              ; =>This Inner Loop Header: Depth=1
	global_load_b32 v1, v[85:86], off
	v_add_nc_u32_e32 v118, -3, v116
	v_add_nc_u32_e32 v120, -2, v116
	;; [unrolled: 1-line block ×3, first 2 shown]
	s_wait_loadcnt 0x0
	s_wait_alu 0xfffe
	v_mad_co_i64_i32 v[1:2], null, v1, s4, 0
	s_delay_alu instid0(VALU_DEP_1) | instskip(NEXT) | instid1(VALU_DEP_1)
	v_lshlrev_b64_e32 v[1:2], 2, v[1:2]
	v_add_co_u32 v61, vcc_lo, v114, v1
	s_wait_alu 0xfffd
	s_delay_alu instid0(VALU_DEP_2)
	v_add_co_ci_u32_e64 v62, null, v115, v2, vcc_lo
	ds_load_b128 v[1:4], v117
	v_cmp_eq_u32_e32 vcc_lo, s6, v89
	global_load_b128 v[5:8], v[61:62], off
	s_and_saveexec_b32 s1, vcc_lo
	s_cbranch_execnz .LBB56_49
; %bb.30:                               ;   in Loop: Header=BB56_29 Depth=1
	s_wait_alu 0xfffe
	s_or_b32 exec_lo, exec_lo, s1
	global_load_b128 v[9:12], v[61:62], off offset:512
	s_and_saveexec_b32 s1, vcc_lo
	s_cbranch_execnz .LBB56_50
.LBB56_31:                              ;   in Loop: Header=BB56_29 Depth=1
	s_wait_alu 0xfffe
	s_or_b32 exec_lo, exec_lo, s1
	global_load_b128 v[13:16], v[61:62], off offset:1024
	s_and_saveexec_b32 s1, vcc_lo
	s_cbranch_execnz .LBB56_51
.LBB56_32:                              ;   in Loop: Header=BB56_29 Depth=1
	s_wait_alu 0xfffe
	s_or_b32 exec_lo, exec_lo, s1
	global_load_b128 v[17:20], v[61:62], off offset:1536
	s_and_saveexec_b32 s1, vcc_lo
	s_cbranch_execnz .LBB56_52
.LBB56_33:                              ;   in Loop: Header=BB56_29 Depth=1
	s_wait_alu 0xfffe
	s_or_b32 exec_lo, exec_lo, s1
	global_load_b128 v[21:24], v[61:62], off offset:2048
	s_and_saveexec_b32 s1, vcc_lo
	s_cbranch_execnz .LBB56_53
.LBB56_34:                              ;   in Loop: Header=BB56_29 Depth=1
	s_wait_alu 0xfffe
	s_or_b32 exec_lo, exec_lo, s1
	global_load_b128 v[25:28], v[61:62], off offset:2560
	s_and_saveexec_b32 s1, vcc_lo
	s_cbranch_execnz .LBB56_54
.LBB56_35:                              ;   in Loop: Header=BB56_29 Depth=1
	s_wait_alu 0xfffe
	s_or_b32 exec_lo, exec_lo, s1
	global_load_b128 v[29:32], v[61:62], off offset:3072
	s_and_saveexec_b32 s1, vcc_lo
	s_cbranch_execnz .LBB56_55
.LBB56_36:                              ;   in Loop: Header=BB56_29 Depth=1
	s_wait_alu 0xfffe
	s_or_b32 exec_lo, exec_lo, s1
	global_load_b128 v[33:36], v[61:62], off offset:3584
	s_and_saveexec_b32 s1, vcc_lo
	s_cbranch_execnz .LBB56_56
.LBB56_37:                              ;   in Loop: Header=BB56_29 Depth=1
	s_wait_alu 0xfffe
	s_or_b32 exec_lo, exec_lo, s1
	global_load_b128 v[37:40], v[61:62], off offset:4096
	s_and_saveexec_b32 s1, vcc_lo
	s_cbranch_execnz .LBB56_57
.LBB56_38:                              ;   in Loop: Header=BB56_29 Depth=1
	s_wait_alu 0xfffe
	s_or_b32 exec_lo, exec_lo, s1
	global_load_b128 v[41:44], v[61:62], off offset:4608
	s_and_saveexec_b32 s1, vcc_lo
	s_cbranch_execnz .LBB56_58
.LBB56_39:                              ;   in Loop: Header=BB56_29 Depth=1
	s_wait_alu 0xfffe
	s_or_b32 exec_lo, exec_lo, s1
	global_load_b128 v[45:48], v[61:62], off offset:5120
	s_and_saveexec_b32 s1, vcc_lo
	s_cbranch_execnz .LBB56_59
.LBB56_40:                              ;   in Loop: Header=BB56_29 Depth=1
	s_wait_alu 0xfffe
	s_or_b32 exec_lo, exec_lo, s1
	global_load_b128 v[49:52], v[61:62], off offset:5632
	s_and_saveexec_b32 s1, vcc_lo
	s_cbranch_execnz .LBB56_60
.LBB56_41:                              ;   in Loop: Header=BB56_29 Depth=1
	s_wait_alu 0xfffe
	s_or_b32 exec_lo, exec_lo, s1
	global_load_b128 v[53:56], v[61:62], off offset:6144
	s_and_saveexec_b32 s1, vcc_lo
	s_cbranch_execnz .LBB56_61
.LBB56_42:                              ;   in Loop: Header=BB56_29 Depth=1
	s_wait_alu 0xfffe
	s_or_b32 exec_lo, exec_lo, s1
	global_load_b128 v[57:60], v[61:62], off offset:6656
	s_and_saveexec_b32 s1, vcc_lo
	s_cbranch_execnz .LBB56_62
.LBB56_43:                              ;   in Loop: Header=BB56_29 Depth=1
	s_wait_alu 0xfffe
	s_or_b32 exec_lo, exec_lo, s1
	global_load_b128 v[65:68], v[61:62], off offset:7168
	s_and_saveexec_b32 s1, vcc_lo
	s_cbranch_execnz .LBB56_63
.LBB56_44:                              ;   in Loop: Header=BB56_29 Depth=1
	s_wait_alu 0xfffe
	s_or_b32 exec_lo, exec_lo, s1
	global_load_b128 v[69:72], v[61:62], off offset:7680
	s_and_saveexec_b32 s1, vcc_lo
	s_cbranch_execnz .LBB56_64
.LBB56_45:                              ;   in Loop: Header=BB56_29 Depth=1
	s_wait_alu 0xfffe
	s_or_b32 exec_lo, exec_lo, s1
	global_load_b128 v[73:76], v[61:62], off offset:8192
	s_and_saveexec_b32 s1, vcc_lo
	s_cbranch_execnz .LBB56_65
.LBB56_46:                              ;   in Loop: Header=BB56_29 Depth=1
	s_wait_alu 0xfffe
	s_or_b32 exec_lo, exec_lo, s1
	global_load_b128 v[77:80], v[61:62], off offset:8704
	s_and_saveexec_b32 s1, vcc_lo
	s_cbranch_execnz .LBB56_66
.LBB56_47:                              ;   in Loop: Header=BB56_29 Depth=1
	s_wait_alu 0xfffe
	s_or_b32 exec_lo, exec_lo, s1
	global_load_b128 v[81:84], v[61:62], off offset:9216
	s_and_saveexec_b32 s1, vcc_lo
	s_cbranch_execnz .LBB56_67
.LBB56_48:                              ;   in Loop: Header=BB56_29 Depth=1
	s_wait_alu 0xfffe
	s_or_b32 exec_lo, exec_lo, s1
	global_load_b128 v[61:64], v[61:62], off offset:9728
	s_and_saveexec_b32 s7, vcc_lo
	s_cbranch_execz .LBB56_28
	s_branch .LBB56_68
.LBB56_49:                              ;   in Loop: Header=BB56_29 Depth=1
	v_cmp_gt_i32_e64 s0, s25, v118
	s_wait_loadcnt 0x0
	s_wait_alu 0xf1ff
	s_delay_alu instid0(VALU_DEP_1) | instskip(SKIP_2) | instid1(VALU_DEP_1)
	v_cndmask_b32_e64 v5, 0, v5, s0
	v_cmp_gt_i32_e64 s0, s25, v120
	s_wait_alu 0xf1ff
	v_cndmask_b32_e64 v6, 0, v6, s0
	v_cmp_gt_i32_e64 s0, s25, v119
	s_wait_alu 0xf1ff
	s_delay_alu instid0(VALU_DEP_1) | instskip(SKIP_2) | instid1(VALU_DEP_1)
	v_cndmask_b32_e64 v7, 0, v7, s0
	v_cmp_gt_i32_e64 s0, s25, v116
	s_wait_alu 0xf1ff
	v_cndmask_b32_e64 v8, 0, v8, s0
	s_wait_alu 0xfffe
	s_or_b32 exec_lo, exec_lo, s1
	global_load_b128 v[9:12], v[61:62], off offset:512
	s_and_saveexec_b32 s1, vcc_lo
	s_cbranch_execz .LBB56_31
.LBB56_50:                              ;   in Loop: Header=BB56_29 Depth=1
	v_cmp_gt_i32_e64 s0, s25, v118
	s_wait_loadcnt 0x0
	s_wait_alu 0xf1ff
	s_delay_alu instid0(VALU_DEP_1) | instskip(SKIP_2) | instid1(VALU_DEP_1)
	v_cndmask_b32_e64 v9, 0, v9, s0
	v_cmp_gt_i32_e64 s0, s25, v120
	s_wait_alu 0xf1ff
	v_cndmask_b32_e64 v10, 0, v10, s0
	v_cmp_gt_i32_e64 s0, s25, v119
	s_wait_alu 0xf1ff
	s_delay_alu instid0(VALU_DEP_1) | instskip(SKIP_2) | instid1(VALU_DEP_1)
	v_cndmask_b32_e64 v11, 0, v11, s0
	v_cmp_gt_i32_e64 s0, s25, v116
	s_wait_alu 0xf1ff
	v_cndmask_b32_e64 v12, 0, v12, s0
	s_wait_alu 0xfffe
	s_or_b32 exec_lo, exec_lo, s1
	global_load_b128 v[13:16], v[61:62], off offset:1024
	s_and_saveexec_b32 s1, vcc_lo
	s_cbranch_execz .LBB56_32
.LBB56_51:                              ;   in Loop: Header=BB56_29 Depth=1
	v_cmp_gt_i32_e64 s0, s25, v118
	s_wait_loadcnt 0x0
	s_wait_alu 0xf1ff
	s_delay_alu instid0(VALU_DEP_1) | instskip(SKIP_2) | instid1(VALU_DEP_1)
	v_cndmask_b32_e64 v13, 0, v13, s0
	v_cmp_gt_i32_e64 s0, s25, v120
	s_wait_alu 0xf1ff
	v_cndmask_b32_e64 v14, 0, v14, s0
	v_cmp_gt_i32_e64 s0, s25, v119
	s_wait_alu 0xf1ff
	s_delay_alu instid0(VALU_DEP_1) | instskip(SKIP_2) | instid1(VALU_DEP_1)
	v_cndmask_b32_e64 v15, 0, v15, s0
	v_cmp_gt_i32_e64 s0, s25, v116
	s_wait_alu 0xf1ff
	v_cndmask_b32_e64 v16, 0, v16, s0
	s_wait_alu 0xfffe
	s_or_b32 exec_lo, exec_lo, s1
	global_load_b128 v[17:20], v[61:62], off offset:1536
	s_and_saveexec_b32 s1, vcc_lo
	s_cbranch_execz .LBB56_33
.LBB56_52:                              ;   in Loop: Header=BB56_29 Depth=1
	v_cmp_gt_i32_e64 s0, s25, v118
	s_wait_loadcnt 0x0
	s_wait_alu 0xf1ff
	s_delay_alu instid0(VALU_DEP_1) | instskip(SKIP_2) | instid1(VALU_DEP_1)
	v_cndmask_b32_e64 v17, 0, v17, s0
	v_cmp_gt_i32_e64 s0, s25, v120
	s_wait_alu 0xf1ff
	v_cndmask_b32_e64 v18, 0, v18, s0
	v_cmp_gt_i32_e64 s0, s25, v119
	s_wait_alu 0xf1ff
	s_delay_alu instid0(VALU_DEP_1) | instskip(SKIP_2) | instid1(VALU_DEP_1)
	v_cndmask_b32_e64 v19, 0, v19, s0
	v_cmp_gt_i32_e64 s0, s25, v116
	s_wait_alu 0xf1ff
	v_cndmask_b32_e64 v20, 0, v20, s0
	s_wait_alu 0xfffe
	s_or_b32 exec_lo, exec_lo, s1
	global_load_b128 v[21:24], v[61:62], off offset:2048
	s_and_saveexec_b32 s1, vcc_lo
	s_cbranch_execz .LBB56_34
.LBB56_53:                              ;   in Loop: Header=BB56_29 Depth=1
	v_cmp_gt_i32_e64 s0, s25, v118
	s_wait_loadcnt 0x0
	s_wait_alu 0xf1ff
	s_delay_alu instid0(VALU_DEP_1) | instskip(SKIP_2) | instid1(VALU_DEP_1)
	v_cndmask_b32_e64 v21, 0, v21, s0
	v_cmp_gt_i32_e64 s0, s25, v120
	s_wait_alu 0xf1ff
	v_cndmask_b32_e64 v22, 0, v22, s0
	v_cmp_gt_i32_e64 s0, s25, v119
	s_wait_alu 0xf1ff
	s_delay_alu instid0(VALU_DEP_1) | instskip(SKIP_2) | instid1(VALU_DEP_1)
	v_cndmask_b32_e64 v23, 0, v23, s0
	v_cmp_gt_i32_e64 s0, s25, v116
	s_wait_alu 0xf1ff
	v_cndmask_b32_e64 v24, 0, v24, s0
	s_wait_alu 0xfffe
	s_or_b32 exec_lo, exec_lo, s1
	global_load_b128 v[25:28], v[61:62], off offset:2560
	s_and_saveexec_b32 s1, vcc_lo
	s_cbranch_execz .LBB56_35
.LBB56_54:                              ;   in Loop: Header=BB56_29 Depth=1
	v_cmp_gt_i32_e64 s0, s25, v118
	s_wait_loadcnt 0x0
	s_wait_alu 0xf1ff
	s_delay_alu instid0(VALU_DEP_1) | instskip(SKIP_2) | instid1(VALU_DEP_1)
	v_cndmask_b32_e64 v25, 0, v25, s0
	v_cmp_gt_i32_e64 s0, s25, v120
	s_wait_alu 0xf1ff
	v_cndmask_b32_e64 v26, 0, v26, s0
	v_cmp_gt_i32_e64 s0, s25, v119
	s_wait_alu 0xf1ff
	s_delay_alu instid0(VALU_DEP_1) | instskip(SKIP_2) | instid1(VALU_DEP_1)
	v_cndmask_b32_e64 v27, 0, v27, s0
	v_cmp_gt_i32_e64 s0, s25, v116
	s_wait_alu 0xf1ff
	v_cndmask_b32_e64 v28, 0, v28, s0
	s_wait_alu 0xfffe
	s_or_b32 exec_lo, exec_lo, s1
	global_load_b128 v[29:32], v[61:62], off offset:3072
	s_and_saveexec_b32 s1, vcc_lo
	s_cbranch_execz .LBB56_36
.LBB56_55:                              ;   in Loop: Header=BB56_29 Depth=1
	v_cmp_gt_i32_e64 s0, s25, v118
	s_wait_loadcnt 0x0
	s_wait_alu 0xf1ff
	s_delay_alu instid0(VALU_DEP_1) | instskip(SKIP_2) | instid1(VALU_DEP_1)
	v_cndmask_b32_e64 v29, 0, v29, s0
	v_cmp_gt_i32_e64 s0, s25, v120
	s_wait_alu 0xf1ff
	v_cndmask_b32_e64 v30, 0, v30, s0
	v_cmp_gt_i32_e64 s0, s25, v119
	s_wait_alu 0xf1ff
	s_delay_alu instid0(VALU_DEP_1) | instskip(SKIP_2) | instid1(VALU_DEP_1)
	v_cndmask_b32_e64 v31, 0, v31, s0
	v_cmp_gt_i32_e64 s0, s25, v116
	s_wait_alu 0xf1ff
	v_cndmask_b32_e64 v32, 0, v32, s0
	s_wait_alu 0xfffe
	s_or_b32 exec_lo, exec_lo, s1
	global_load_b128 v[33:36], v[61:62], off offset:3584
	s_and_saveexec_b32 s1, vcc_lo
	s_cbranch_execz .LBB56_37
.LBB56_56:                              ;   in Loop: Header=BB56_29 Depth=1
	v_cmp_gt_i32_e64 s0, s25, v118
	s_wait_loadcnt 0x0
	s_wait_alu 0xf1ff
	s_delay_alu instid0(VALU_DEP_1) | instskip(SKIP_2) | instid1(VALU_DEP_1)
	v_cndmask_b32_e64 v33, 0, v33, s0
	v_cmp_gt_i32_e64 s0, s25, v120
	s_wait_alu 0xf1ff
	v_cndmask_b32_e64 v34, 0, v34, s0
	v_cmp_gt_i32_e64 s0, s25, v119
	s_wait_alu 0xf1ff
	s_delay_alu instid0(VALU_DEP_1) | instskip(SKIP_2) | instid1(VALU_DEP_1)
	v_cndmask_b32_e64 v35, 0, v35, s0
	v_cmp_gt_i32_e64 s0, s25, v116
	s_wait_alu 0xf1ff
	v_cndmask_b32_e64 v36, 0, v36, s0
	s_wait_alu 0xfffe
	s_or_b32 exec_lo, exec_lo, s1
	global_load_b128 v[37:40], v[61:62], off offset:4096
	s_and_saveexec_b32 s1, vcc_lo
	s_cbranch_execz .LBB56_38
.LBB56_57:                              ;   in Loop: Header=BB56_29 Depth=1
	v_cmp_gt_i32_e64 s0, s25, v118
	s_wait_loadcnt 0x0
	s_wait_alu 0xf1ff
	s_delay_alu instid0(VALU_DEP_1) | instskip(SKIP_2) | instid1(VALU_DEP_1)
	v_cndmask_b32_e64 v37, 0, v37, s0
	v_cmp_gt_i32_e64 s0, s25, v120
	s_wait_alu 0xf1ff
	v_cndmask_b32_e64 v38, 0, v38, s0
	v_cmp_gt_i32_e64 s0, s25, v119
	s_wait_alu 0xf1ff
	s_delay_alu instid0(VALU_DEP_1) | instskip(SKIP_2) | instid1(VALU_DEP_1)
	v_cndmask_b32_e64 v39, 0, v39, s0
	v_cmp_gt_i32_e64 s0, s25, v116
	s_wait_alu 0xf1ff
	v_cndmask_b32_e64 v40, 0, v40, s0
	s_wait_alu 0xfffe
	s_or_b32 exec_lo, exec_lo, s1
	global_load_b128 v[41:44], v[61:62], off offset:4608
	s_and_saveexec_b32 s1, vcc_lo
	s_cbranch_execz .LBB56_39
.LBB56_58:                              ;   in Loop: Header=BB56_29 Depth=1
	v_cmp_gt_i32_e64 s0, s25, v118
	s_wait_loadcnt 0x0
	s_wait_alu 0xf1ff
	s_delay_alu instid0(VALU_DEP_1) | instskip(SKIP_2) | instid1(VALU_DEP_1)
	v_cndmask_b32_e64 v41, 0, v41, s0
	v_cmp_gt_i32_e64 s0, s25, v120
	s_wait_alu 0xf1ff
	v_cndmask_b32_e64 v42, 0, v42, s0
	v_cmp_gt_i32_e64 s0, s25, v119
	s_wait_alu 0xf1ff
	s_delay_alu instid0(VALU_DEP_1) | instskip(SKIP_2) | instid1(VALU_DEP_1)
	v_cndmask_b32_e64 v43, 0, v43, s0
	v_cmp_gt_i32_e64 s0, s25, v116
	s_wait_alu 0xf1ff
	v_cndmask_b32_e64 v44, 0, v44, s0
	s_wait_alu 0xfffe
	s_or_b32 exec_lo, exec_lo, s1
	global_load_b128 v[45:48], v[61:62], off offset:5120
	s_and_saveexec_b32 s1, vcc_lo
	s_cbranch_execz .LBB56_40
.LBB56_59:                              ;   in Loop: Header=BB56_29 Depth=1
	v_cmp_gt_i32_e64 s0, s25, v118
	s_wait_loadcnt 0x0
	s_wait_alu 0xf1ff
	s_delay_alu instid0(VALU_DEP_1) | instskip(SKIP_2) | instid1(VALU_DEP_1)
	v_cndmask_b32_e64 v45, 0, v45, s0
	v_cmp_gt_i32_e64 s0, s25, v120
	s_wait_alu 0xf1ff
	v_cndmask_b32_e64 v46, 0, v46, s0
	v_cmp_gt_i32_e64 s0, s25, v119
	s_wait_alu 0xf1ff
	s_delay_alu instid0(VALU_DEP_1) | instskip(SKIP_2) | instid1(VALU_DEP_1)
	v_cndmask_b32_e64 v47, 0, v47, s0
	v_cmp_gt_i32_e64 s0, s25, v116
	s_wait_alu 0xf1ff
	v_cndmask_b32_e64 v48, 0, v48, s0
	s_wait_alu 0xfffe
	s_or_b32 exec_lo, exec_lo, s1
	global_load_b128 v[49:52], v[61:62], off offset:5632
	s_and_saveexec_b32 s1, vcc_lo
	s_cbranch_execz .LBB56_41
.LBB56_60:                              ;   in Loop: Header=BB56_29 Depth=1
	v_cmp_gt_i32_e64 s0, s25, v118
	s_wait_loadcnt 0x0
	s_wait_alu 0xf1ff
	s_delay_alu instid0(VALU_DEP_1) | instskip(SKIP_2) | instid1(VALU_DEP_1)
	v_cndmask_b32_e64 v49, 0, v49, s0
	v_cmp_gt_i32_e64 s0, s25, v120
	s_wait_alu 0xf1ff
	v_cndmask_b32_e64 v50, 0, v50, s0
	v_cmp_gt_i32_e64 s0, s25, v119
	s_wait_alu 0xf1ff
	s_delay_alu instid0(VALU_DEP_1) | instskip(SKIP_2) | instid1(VALU_DEP_1)
	v_cndmask_b32_e64 v51, 0, v51, s0
	v_cmp_gt_i32_e64 s0, s25, v116
	s_wait_alu 0xf1ff
	v_cndmask_b32_e64 v52, 0, v52, s0
	s_wait_alu 0xfffe
	s_or_b32 exec_lo, exec_lo, s1
	global_load_b128 v[53:56], v[61:62], off offset:6144
	s_and_saveexec_b32 s1, vcc_lo
	s_cbranch_execz .LBB56_42
.LBB56_61:                              ;   in Loop: Header=BB56_29 Depth=1
	v_cmp_gt_i32_e64 s0, s25, v118
	s_wait_loadcnt 0x0
	s_wait_alu 0xf1ff
	s_delay_alu instid0(VALU_DEP_1) | instskip(SKIP_2) | instid1(VALU_DEP_1)
	v_cndmask_b32_e64 v53, 0, v53, s0
	v_cmp_gt_i32_e64 s0, s25, v120
	s_wait_alu 0xf1ff
	v_cndmask_b32_e64 v54, 0, v54, s0
	v_cmp_gt_i32_e64 s0, s25, v119
	s_wait_alu 0xf1ff
	s_delay_alu instid0(VALU_DEP_1) | instskip(SKIP_2) | instid1(VALU_DEP_1)
	v_cndmask_b32_e64 v55, 0, v55, s0
	v_cmp_gt_i32_e64 s0, s25, v116
	s_wait_alu 0xf1ff
	v_cndmask_b32_e64 v56, 0, v56, s0
	s_wait_alu 0xfffe
	s_or_b32 exec_lo, exec_lo, s1
	global_load_b128 v[57:60], v[61:62], off offset:6656
	s_and_saveexec_b32 s1, vcc_lo
	s_cbranch_execz .LBB56_43
.LBB56_62:                              ;   in Loop: Header=BB56_29 Depth=1
	v_cmp_gt_i32_e64 s0, s25, v118
	s_wait_loadcnt 0x0
	s_wait_alu 0xf1ff
	s_delay_alu instid0(VALU_DEP_1) | instskip(SKIP_2) | instid1(VALU_DEP_1)
	v_cndmask_b32_e64 v57, 0, v57, s0
	v_cmp_gt_i32_e64 s0, s25, v120
	s_wait_alu 0xf1ff
	v_cndmask_b32_e64 v58, 0, v58, s0
	v_cmp_gt_i32_e64 s0, s25, v119
	s_wait_alu 0xf1ff
	s_delay_alu instid0(VALU_DEP_1) | instskip(SKIP_2) | instid1(VALU_DEP_1)
	v_cndmask_b32_e64 v59, 0, v59, s0
	v_cmp_gt_i32_e64 s0, s25, v116
	s_wait_alu 0xf1ff
	v_cndmask_b32_e64 v60, 0, v60, s0
	s_wait_alu 0xfffe
	s_or_b32 exec_lo, exec_lo, s1
	global_load_b128 v[65:68], v[61:62], off offset:7168
	s_and_saveexec_b32 s1, vcc_lo
	s_cbranch_execz .LBB56_44
.LBB56_63:                              ;   in Loop: Header=BB56_29 Depth=1
	v_cmp_gt_i32_e64 s0, s25, v118
	s_wait_loadcnt 0x0
	s_wait_alu 0xf1ff
	s_delay_alu instid0(VALU_DEP_1) | instskip(SKIP_2) | instid1(VALU_DEP_1)
	v_cndmask_b32_e64 v65, 0, v65, s0
	v_cmp_gt_i32_e64 s0, s25, v120
	s_wait_alu 0xf1ff
	v_cndmask_b32_e64 v66, 0, v66, s0
	v_cmp_gt_i32_e64 s0, s25, v119
	s_wait_alu 0xf1ff
	s_delay_alu instid0(VALU_DEP_1) | instskip(SKIP_2) | instid1(VALU_DEP_1)
	v_cndmask_b32_e64 v67, 0, v67, s0
	v_cmp_gt_i32_e64 s0, s25, v116
	s_wait_alu 0xf1ff
	v_cndmask_b32_e64 v68, 0, v68, s0
	s_wait_alu 0xfffe
	s_or_b32 exec_lo, exec_lo, s1
	global_load_b128 v[69:72], v[61:62], off offset:7680
	s_and_saveexec_b32 s1, vcc_lo
	s_cbranch_execz .LBB56_45
.LBB56_64:                              ;   in Loop: Header=BB56_29 Depth=1
	v_cmp_gt_i32_e64 s0, s25, v118
	s_wait_loadcnt 0x0
	s_wait_alu 0xf1ff
	s_delay_alu instid0(VALU_DEP_1) | instskip(SKIP_2) | instid1(VALU_DEP_1)
	v_cndmask_b32_e64 v69, 0, v69, s0
	v_cmp_gt_i32_e64 s0, s25, v120
	s_wait_alu 0xf1ff
	v_cndmask_b32_e64 v70, 0, v70, s0
	v_cmp_gt_i32_e64 s0, s25, v119
	s_wait_alu 0xf1ff
	s_delay_alu instid0(VALU_DEP_1) | instskip(SKIP_2) | instid1(VALU_DEP_1)
	v_cndmask_b32_e64 v71, 0, v71, s0
	v_cmp_gt_i32_e64 s0, s25, v116
	s_wait_alu 0xf1ff
	v_cndmask_b32_e64 v72, 0, v72, s0
	s_wait_alu 0xfffe
	s_or_b32 exec_lo, exec_lo, s1
	global_load_b128 v[73:76], v[61:62], off offset:8192
	s_and_saveexec_b32 s1, vcc_lo
	s_cbranch_execz .LBB56_46
.LBB56_65:                              ;   in Loop: Header=BB56_29 Depth=1
	v_cmp_gt_i32_e64 s0, s25, v118
	s_wait_loadcnt 0x0
	s_wait_alu 0xf1ff
	s_delay_alu instid0(VALU_DEP_1) | instskip(SKIP_2) | instid1(VALU_DEP_1)
	v_cndmask_b32_e64 v73, 0, v73, s0
	v_cmp_gt_i32_e64 s0, s25, v120
	s_wait_alu 0xf1ff
	v_cndmask_b32_e64 v74, 0, v74, s0
	v_cmp_gt_i32_e64 s0, s25, v119
	s_wait_alu 0xf1ff
	s_delay_alu instid0(VALU_DEP_1) | instskip(SKIP_2) | instid1(VALU_DEP_1)
	v_cndmask_b32_e64 v75, 0, v75, s0
	v_cmp_gt_i32_e64 s0, s25, v116
	s_wait_alu 0xf1ff
	v_cndmask_b32_e64 v76, 0, v76, s0
	s_wait_alu 0xfffe
	s_or_b32 exec_lo, exec_lo, s1
	global_load_b128 v[77:80], v[61:62], off offset:8704
	s_and_saveexec_b32 s1, vcc_lo
	s_cbranch_execz .LBB56_47
.LBB56_66:                              ;   in Loop: Header=BB56_29 Depth=1
	v_cmp_gt_i32_e64 s0, s25, v118
	s_wait_loadcnt 0x0
	s_wait_alu 0xf1ff
	s_delay_alu instid0(VALU_DEP_1) | instskip(SKIP_2) | instid1(VALU_DEP_1)
	v_cndmask_b32_e64 v77, 0, v77, s0
	v_cmp_gt_i32_e64 s0, s25, v120
	s_wait_alu 0xf1ff
	v_cndmask_b32_e64 v78, 0, v78, s0
	v_cmp_gt_i32_e64 s0, s25, v119
	s_wait_alu 0xf1ff
	s_delay_alu instid0(VALU_DEP_1) | instskip(SKIP_2) | instid1(VALU_DEP_1)
	v_cndmask_b32_e64 v79, 0, v79, s0
	v_cmp_gt_i32_e64 s0, s25, v116
	s_wait_alu 0xf1ff
	v_cndmask_b32_e64 v80, 0, v80, s0
	s_wait_alu 0xfffe
	s_or_b32 exec_lo, exec_lo, s1
	global_load_b128 v[81:84], v[61:62], off offset:9216
	s_and_saveexec_b32 s1, vcc_lo
	s_cbranch_execz .LBB56_48
.LBB56_67:                              ;   in Loop: Header=BB56_29 Depth=1
	v_cmp_gt_i32_e64 s0, s25, v118
	s_wait_loadcnt 0x0
	s_wait_alu 0xf1ff
	s_delay_alu instid0(VALU_DEP_1) | instskip(SKIP_2) | instid1(VALU_DEP_1)
	v_cndmask_b32_e64 v81, 0, v81, s0
	v_cmp_gt_i32_e64 s0, s25, v120
	s_wait_alu 0xf1ff
	v_cndmask_b32_e64 v82, 0, v82, s0
	v_cmp_gt_i32_e64 s0, s25, v119
	s_wait_alu 0xf1ff
	s_delay_alu instid0(VALU_DEP_1) | instskip(SKIP_2) | instid1(VALU_DEP_1)
	v_cndmask_b32_e64 v83, 0, v83, s0
	v_cmp_gt_i32_e64 s0, s25, v116
	s_wait_alu 0xf1ff
	v_cndmask_b32_e64 v84, 0, v84, s0
	s_wait_alu 0xfffe
	s_or_b32 exec_lo, exec_lo, s1
	global_load_b128 v[61:64], v[61:62], off offset:9728
	s_and_saveexec_b32 s7, vcc_lo
	s_cbranch_execz .LBB56_28
.LBB56_68:                              ;   in Loop: Header=BB56_29 Depth=1
	v_cmp_gt_i32_e32 vcc_lo, s25, v118
	v_cmp_gt_i32_e64 s0, s25, v120
	v_cmp_gt_i32_e64 s1, s25, v119
	;; [unrolled: 1-line block ×3, first 2 shown]
	s_wait_loadcnt 0x0
	s_wait_alu 0xfffd
	v_cndmask_b32_e32 v61, 0, v61, vcc_lo
	s_wait_alu 0xf1ff
	v_cndmask_b32_e64 v62, 0, v62, s0
	v_cndmask_b32_e64 v63, 0, v63, s1
	;; [unrolled: 1-line block ×3, first 2 shown]
	s_branch .LBB56_28
.LBB56_69:
	s_or_b32 exec_lo, exec_lo, s5
.LBB56_70:
	s_wait_alu 0xfffe
	s_or_b32 exec_lo, exec_lo, s3
	ds_bpermute_b32 v7, v92, v107
	ds_bpermute_b32 v8, v92, v106
	;; [unrolled: 1-line block ×19, first 2 shown]
	s_mov_b32 s0, exec_lo
	s_wait_dscnt 0x11
	v_dual_add_f32 v7, v107, v7 :: v_dual_add_f32 v8, v106, v8
	s_wait_dscnt 0xf
	v_dual_add_f32 v1, v111, v1 :: v_dual_add_f32 v2, v113, v2
	;; [unrolled: 2-line block ×3, first 2 shown]
	ds_bpermute_b32 v18, v91, v7
	s_wait_dscnt 0xc
	v_dual_add_f32 v9, v105, v9 :: v_dual_add_f32 v10, v104, v10
	ds_bpermute_b32 v27, v91, v8
	ds_bpermute_b32 v12, v91, v1
	;; [unrolled: 1-line block ×7, first 2 shown]
	s_wait_dscnt 0xd
	v_dual_add_f32 v11, v103, v11 :: v_dual_add_f32 v20, v101, v20
	s_wait_dscnt 0xa
	v_dual_add_f32 v21, v100, v21 :: v_dual_add_f32 v24, v97, v24
	v_dual_add_f32 v5, v109, v5 :: v_dual_add_f32 v6, v108, v6
	;; [unrolled: 1-line block ×3, first 2 shown]
	s_wait_dscnt 0x8
	v_dual_add_f32 v23, v98, v23 :: v_dual_add_f32 v26, v95, v26
	s_wait_dscnt 0x7
	v_add_f32_e32 v7, v7, v18
	ds_bpermute_b32 v18, v92, v94
	ds_bpermute_b32 v33, v91, v21
	s_wait_dscnt 0x8
	v_add_f32_e32 v8, v8, v27
	ds_bpermute_b32 v27, v91, v11
	v_add_f32_e32 v25, v96, v25
	ds_bpermute_b32 v16, v91, v5
	ds_bpermute_b32 v17, v91, v6
	s_wait_dscnt 0x9
	v_dual_add_f32 v1, v1, v12 :: v_dual_add_f32 v2, v2, v13
	s_wait_dscnt 0x7
	v_dual_add_f32 v3, v3, v14 :: v_dual_add_f32 v4, v4, v15
	ds_bpermute_b32 v31, v91, v19
	ds_bpermute_b32 v32, v91, v20
	;; [unrolled: 1-line block ×5, first 2 shown]
	s_wait_dscnt 0xa
	v_dual_add_f32 v9, v9, v28 :: v_dual_add_f32 v10, v10, v29
	ds_bpermute_b32 v29, v91, v26
	ds_bpermute_b32 v13, v90, v2
	s_wait_dscnt 0xb
	v_add_f32_e32 v18, v94, v18
	ds_bpermute_b32 v28, v91, v25
	ds_bpermute_b32 v15, v90, v4
	s_wait_dscnt 0xb
	v_add_f32_e32 v11, v11, v27
	v_add_f32_e32 v21, v21, v33
	ds_bpermute_b32 v37, v91, v18
	s_wait_dscnt 0xa
	v_dual_add_f32 v5, v5, v16 :: v_dual_add_f32 v6, v6, v17
	ds_bpermute_b32 v14, v90, v3
	ds_bpermute_b32 v12, v90, v1
	;; [unrolled: 1-line block ×3, first 2 shown]
	s_wait_dscnt 0xb
	v_dual_add_f32 v19, v19, v31 :: v_dual_add_f32 v20, v20, v32
	ds_bpermute_b32 v39, v90, v11
	s_wait_dscnt 0xa
	v_dual_add_f32 v22, v22, v34 :: v_dual_add_f32 v23, v23, v35
	s_wait_dscnt 0x9
	v_add_f32_e32 v24, v24, v36
	ds_bpermute_b32 v34, v90, v21
	s_wait_dscnt 0x9
	v_add_f32_e32 v26, v26, v29
	ds_bpermute_b32 v16, v90, v5
	ds_bpermute_b32 v17, v90, v6
	s_wait_dscnt 0x9
	v_dual_add_f32 v25, v25, v28 :: v_dual_add_f32 v2, v2, v13
	ds_bpermute_b32 v27, v90, v8
	ds_bpermute_b32 v31, v90, v9
	s_wait_dscnt 0x9
	v_dual_add_f32 v29, v18, v37 :: v_dual_add_f32 v4, v4, v15
	ds_bpermute_b32 v38, v90, v10
	ds_bpermute_b32 v32, v90, v19
	ds_bpermute_b32 v33, v90, v20
	ds_bpermute_b32 v35, v90, v22
	ds_bpermute_b32 v36, v90, v23
	ds_bpermute_b32 v28, v90, v24
	ds_bpermute_b32 v18, v90, v25
	ds_bpermute_b32 v37, v90, v26
	ds_bpermute_b32 v40, v90, v29
	s_wait_dscnt 0x11
	v_add_f32_e32 v3, v3, v14
	s_wait_dscnt 0xd
	v_dual_add_f32 v11, v11, v39 :: v_dual_add_f32 v14, v21, v34
	v_lshrrev_b32_e32 v21, 3, v88
	s_wait_dscnt 0xb
	v_dual_add_f32 v1, v1, v12 :: v_dual_add_f32 v6, v6, v17
	v_add_f32_e32 v5, v5, v16
	s_wait_dscnt 0xa
	v_dual_add_f32 v7, v7, v30 :: v_dual_add_f32 v8, v8, v27
	s_wait_dscnt 0x9
	v_add_f32_e32 v9, v9, v31
	s_wait_storecnt 0x0
	s_wait_loadcnt_dscnt 0x0
	v_add_f32_e32 v10, v10, v38
	v_dual_add_f32 v12, v19, v32 :: v_dual_add_f32 v13, v20, v33
	v_dual_add_f32 v15, v22, v35 :: v_dual_add_f32 v16, v23, v36
	;; [unrolled: 1-line block ×3, first 2 shown]
	v_dual_add_f32 v19, v26, v37 :: v_dual_and_b32 v24, 0x3c7, v0
	v_add_f32_e32 v20, v29, v40
	v_lshl_add_u32 v22, v21, 2, 0x160
	v_mul_u32_u24_e32 v23, 0x140, v87
	s_barrier_signal -1
	s_barrier_wait -1
	global_inv scope:SCOPE_SE
	v_cmpx_eq_u32_e32 64, v24
	s_cbranch_execz .LBB56_72
; %bb.71:
	v_add_nc_u32_e32 v24, v22, v23
	s_delay_alu instid0(VALU_DEP_1)
	v_add_nc_u32_e32 v25, 0xfffffd80, v24
	v_add_nc_u32_e32 v26, 0xfffffd90, v24
	;; [unrolled: 1-line block ×8, first 2 shown]
	ds_store_b32 v25, v1
	ds_store_b32 v26, v2
	;; [unrolled: 1-line block ×8, first 2 shown]
	v_add_nc_u32_e32 v25, 0xfffffe00, v24
	v_add_nc_u32_e32 v26, 0xfffffe10, v24
	;; [unrolled: 1-line block ×12, first 2 shown]
	ds_store_b32 v25, v9
	ds_store_b32 v26, v10
	;; [unrolled: 1-line block ×12, first 2 shown]
.LBB56_72:
	s_wait_alu 0xfffe
	s_or_b32 exec_lo, exec_lo, s0
	v_lshlrev_b32_e32 v21, 2, v21
	s_mov_b32 s1, exec_lo
	v_cmp_eq_u32_e32 vcc_lo, 0, v93
	s_wait_loadcnt_dscnt 0x0
	s_barrier_signal -1
	v_add3_u32 v21, 0x160, v23, v21
	s_barrier_wait -1
	global_inv scope:SCOPE_SE
	v_cmpx_gt_u32_e32 64, v0
	s_cbranch_execz .LBB56_95
; %bb.73:
	s_and_saveexec_b32 s0, vcc_lo
	s_cbranch_execnz .LBB56_123
; %bb.74:
	s_wait_alu 0xfffe
	s_or_b32 exec_lo, exec_lo, s0
	s_and_saveexec_b32 s0, vcc_lo
	s_cbranch_execnz .LBB56_124
.LBB56_75:
	s_wait_alu 0xfffe
	s_or_b32 exec_lo, exec_lo, s0
	s_and_saveexec_b32 s0, vcc_lo
	s_cbranch_execnz .LBB56_125
.LBB56_76:
	s_wait_alu 0xfffe
	s_or_b32 exec_lo, exec_lo, s0
	s_and_saveexec_b32 s0, vcc_lo
	s_cbranch_execnz .LBB56_126
.LBB56_77:
	s_wait_alu 0xfffe
	s_or_b32 exec_lo, exec_lo, s0
	s_and_saveexec_b32 s0, vcc_lo
	s_cbranch_execnz .LBB56_127
.LBB56_78:
	s_wait_alu 0xfffe
	s_or_b32 exec_lo, exec_lo, s0
	s_and_saveexec_b32 s0, vcc_lo
	s_cbranch_execnz .LBB56_128
.LBB56_79:
	s_wait_alu 0xfffe
	s_or_b32 exec_lo, exec_lo, s0
	s_and_saveexec_b32 s0, vcc_lo
	s_cbranch_execnz .LBB56_129
.LBB56_80:
	s_wait_alu 0xfffe
	s_or_b32 exec_lo, exec_lo, s0
	s_and_saveexec_b32 s0, vcc_lo
	s_cbranch_execnz .LBB56_130
.LBB56_81:
	s_wait_alu 0xfffe
	s_or_b32 exec_lo, exec_lo, s0
	s_and_saveexec_b32 s0, vcc_lo
	s_cbranch_execnz .LBB56_131
.LBB56_82:
	s_wait_alu 0xfffe
	s_or_b32 exec_lo, exec_lo, s0
	s_and_saveexec_b32 s0, vcc_lo
	s_cbranch_execnz .LBB56_132
.LBB56_83:
	s_wait_alu 0xfffe
	s_or_b32 exec_lo, exec_lo, s0
	s_and_saveexec_b32 s0, vcc_lo
	s_cbranch_execnz .LBB56_133
.LBB56_84:
	s_wait_alu 0xfffe
	s_or_b32 exec_lo, exec_lo, s0
	s_and_saveexec_b32 s0, vcc_lo
	s_cbranch_execnz .LBB56_134
.LBB56_85:
	s_wait_alu 0xfffe
	s_or_b32 exec_lo, exec_lo, s0
	s_and_saveexec_b32 s0, vcc_lo
	s_cbranch_execnz .LBB56_135
.LBB56_86:
	s_wait_alu 0xfffe
	s_or_b32 exec_lo, exec_lo, s0
	s_and_saveexec_b32 s0, vcc_lo
	s_cbranch_execnz .LBB56_136
.LBB56_87:
	s_wait_alu 0xfffe
	s_or_b32 exec_lo, exec_lo, s0
	s_and_saveexec_b32 s0, vcc_lo
	s_cbranch_execnz .LBB56_137
.LBB56_88:
	s_wait_alu 0xfffe
	s_or_b32 exec_lo, exec_lo, s0
	s_and_saveexec_b32 s0, vcc_lo
	s_cbranch_execnz .LBB56_138
.LBB56_89:
	s_wait_alu 0xfffe
	s_or_b32 exec_lo, exec_lo, s0
	s_and_saveexec_b32 s0, vcc_lo
	s_cbranch_execnz .LBB56_139
.LBB56_90:
	s_wait_alu 0xfffe
	s_or_b32 exec_lo, exec_lo, s0
	s_and_saveexec_b32 s0, vcc_lo
	s_cbranch_execnz .LBB56_140
.LBB56_91:
	s_wait_alu 0xfffe
	s_or_b32 exec_lo, exec_lo, s0
	s_and_saveexec_b32 s0, vcc_lo
	s_cbranch_execnz .LBB56_141
.LBB56_92:
	s_wait_alu 0xfffe
	s_or_b32 exec_lo, exec_lo, s0
	s_and_saveexec_b32 s0, vcc_lo
	s_cbranch_execz .LBB56_94
.LBB56_93:
	ds_load_b32 v23, v21 offset:304
	s_wait_dscnt 0x0
	v_add_f32_e32 v20, v20, v23
.LBB56_94:
	s_wait_alu 0xfffe
	s_or_b32 exec_lo, exec_lo, s0
.LBB56_95:
	s_wait_alu 0xfffe
	s_or_b32 exec_lo, exec_lo, s1
	v_and_b32_e32 v23, 0x3e7, v0
	s_mov_b32 s1, exec_lo
	s_wait_loadcnt 0x0
	s_barrier_signal -1
	s_barrier_wait -1
	global_inv scope:SCOPE_SE
	v_cmpx_eq_u32_e32 32, v23
	s_cbranch_execz .LBB56_97
; %bb.96:
	ds_store_2addr_b32 v22, v1, v2 offset1:4
	ds_store_2addr_b32 v22, v3, v4 offset0:8 offset1:12
	ds_store_2addr_b32 v22, v5, v6 offset0:16 offset1:20
	;; [unrolled: 1-line block ×9, first 2 shown]
.LBB56_97:
	s_wait_alu 0xfffe
	s_or_b32 exec_lo, exec_lo, s1
	s_delay_alu instid0(SALU_CYCLE_1)
	s_mov_b32 s1, exec_lo
	s_wait_loadcnt_dscnt 0x0
	s_barrier_signal -1
	s_barrier_wait -1
	global_inv scope:SCOPE_SE
	v_cmpx_gt_u32_e32 32, v0
	s_cbranch_execz .LBB56_120
; %bb.98:
	s_and_saveexec_b32 s0, vcc_lo
	s_cbranch_execnz .LBB56_142
; %bb.99:
	s_wait_alu 0xfffe
	s_or_b32 exec_lo, exec_lo, s0
	s_and_saveexec_b32 s0, vcc_lo
	s_cbranch_execnz .LBB56_143
.LBB56_100:
	s_wait_alu 0xfffe
	s_or_b32 exec_lo, exec_lo, s0
	s_and_saveexec_b32 s0, vcc_lo
	s_cbranch_execnz .LBB56_144
.LBB56_101:
	s_wait_alu 0xfffe
	s_or_b32 exec_lo, exec_lo, s0
	s_and_saveexec_b32 s0, vcc_lo
	s_cbranch_execnz .LBB56_145
.LBB56_102:
	s_wait_alu 0xfffe
	s_or_b32 exec_lo, exec_lo, s0
	s_and_saveexec_b32 s0, vcc_lo
	s_cbranch_execnz .LBB56_146
.LBB56_103:
	s_wait_alu 0xfffe
	s_or_b32 exec_lo, exec_lo, s0
	s_and_saveexec_b32 s0, vcc_lo
	s_cbranch_execnz .LBB56_147
.LBB56_104:
	s_wait_alu 0xfffe
	s_or_b32 exec_lo, exec_lo, s0
	s_and_saveexec_b32 s0, vcc_lo
	s_cbranch_execnz .LBB56_148
.LBB56_105:
	s_wait_alu 0xfffe
	s_or_b32 exec_lo, exec_lo, s0
	s_and_saveexec_b32 s0, vcc_lo
	s_cbranch_execnz .LBB56_149
.LBB56_106:
	s_wait_alu 0xfffe
	s_or_b32 exec_lo, exec_lo, s0
	s_and_saveexec_b32 s0, vcc_lo
	s_cbranch_execnz .LBB56_150
.LBB56_107:
	s_wait_alu 0xfffe
	s_or_b32 exec_lo, exec_lo, s0
	s_and_saveexec_b32 s0, vcc_lo
	s_cbranch_execnz .LBB56_151
.LBB56_108:
	s_wait_alu 0xfffe
	s_or_b32 exec_lo, exec_lo, s0
	s_and_saveexec_b32 s0, vcc_lo
	s_cbranch_execnz .LBB56_152
.LBB56_109:
	s_wait_alu 0xfffe
	s_or_b32 exec_lo, exec_lo, s0
	s_and_saveexec_b32 s0, vcc_lo
	s_cbranch_execnz .LBB56_153
.LBB56_110:
	s_wait_alu 0xfffe
	s_or_b32 exec_lo, exec_lo, s0
	s_and_saveexec_b32 s0, vcc_lo
	s_cbranch_execnz .LBB56_154
.LBB56_111:
	s_wait_alu 0xfffe
	s_or_b32 exec_lo, exec_lo, s0
	s_and_saveexec_b32 s0, vcc_lo
	s_cbranch_execnz .LBB56_155
.LBB56_112:
	s_wait_alu 0xfffe
	s_or_b32 exec_lo, exec_lo, s0
	s_and_saveexec_b32 s0, vcc_lo
	s_cbranch_execnz .LBB56_156
.LBB56_113:
	s_wait_alu 0xfffe
	s_or_b32 exec_lo, exec_lo, s0
	s_and_saveexec_b32 s0, vcc_lo
	s_cbranch_execnz .LBB56_157
.LBB56_114:
	s_wait_alu 0xfffe
	s_or_b32 exec_lo, exec_lo, s0
	s_and_saveexec_b32 s0, vcc_lo
	s_cbranch_execnz .LBB56_158
.LBB56_115:
	s_wait_alu 0xfffe
	s_or_b32 exec_lo, exec_lo, s0
	s_and_saveexec_b32 s0, vcc_lo
	s_cbranch_execnz .LBB56_159
.LBB56_116:
	s_wait_alu 0xfffe
	s_or_b32 exec_lo, exec_lo, s0
	s_and_saveexec_b32 s0, vcc_lo
	s_cbranch_execnz .LBB56_160
.LBB56_117:
	s_wait_alu 0xfffe
	s_or_b32 exec_lo, exec_lo, s0
	s_and_saveexec_b32 s0, vcc_lo
	s_cbranch_execz .LBB56_119
.LBB56_118:
	ds_load_b32 v21, v21 offset:304
	s_wait_dscnt 0x0
	v_add_f32_e32 v20, v20, v21
.LBB56_119:
	s_wait_alu 0xfffe
	s_or_b32 exec_lo, exec_lo, s0
.LBB56_120:
	s_wait_alu 0xfffe
	s_or_b32 exec_lo, exec_lo, s1
	s_mov_b32 s1, 0
	s_wait_loadcnt 0x0
	s_barrier_signal -1
	s_barrier_wait -1
	global_inv scope:SCOPE_SE
	s_mov_b32 s0, exec_lo
	v_cmpx_eq_u32_e32 0, v23
	s_cbranch_execz .LBB56_122
; %bb.121:
	s_mul_i32 s2, s14, 0x50
	s_wait_kmcnt 0x0
	s_mul_i32 s4, s8, s12
	s_wait_alu 0xfffe
	s_ashr_i32 s3, s2, 31
	s_ashr_i32 s5, s4, 31
	s_wait_alu 0xfffe
	s_lshl_b64 s[2:3], s[2:3], 2
	s_lshl_b64 s[4:5], s[4:5], 2
	s_wait_alu 0xfffe
	s_add_nc_u64 s[2:3], s[10:11], s[2:3]
	v_lshrrev_b32_e32 v0, 1, v0
	s_mul_i32 s0, s24, 0x140
	s_wait_alu 0xfffe
	s_add_nc_u64 s[2:3], s[2:3], s[4:5]
	s_wait_alu 0xfffe
	s_add_nc_u64 s[0:1], s[2:3], s[0:1]
	s_clause 0x13
	global_store_b32 v0, v1, s[0:1]
	global_store_b32 v0, v2, s[0:1] offset:16
	global_store_b32 v0, v3, s[0:1] offset:32
	;; [unrolled: 1-line block ×19, first 2 shown]
.LBB56_122:
	s_nop 0
	s_sendmsg sendmsg(MSG_DEALLOC_VGPRS)
	s_endpgm
.LBB56_123:
	ds_load_b32 v23, v21
	s_wait_dscnt 0x0
	v_add_f32_e32 v1, v1, v23
	s_wait_alu 0xfffe
	s_or_b32 exec_lo, exec_lo, s0
	s_and_saveexec_b32 s0, vcc_lo
	s_cbranch_execz .LBB56_75
.LBB56_124:
	ds_load_b32 v23, v21 offset:16
	s_wait_dscnt 0x0
	v_add_f32_e32 v2, v2, v23
	s_wait_alu 0xfffe
	s_or_b32 exec_lo, exec_lo, s0
	s_and_saveexec_b32 s0, vcc_lo
	s_cbranch_execz .LBB56_76
.LBB56_125:
	ds_load_b32 v23, v21 offset:32
	s_wait_dscnt 0x0
	v_add_f32_e32 v3, v3, v23
	s_wait_alu 0xfffe
	s_or_b32 exec_lo, exec_lo, s0
	s_and_saveexec_b32 s0, vcc_lo
	s_cbranch_execz .LBB56_77
.LBB56_126:
	ds_load_b32 v23, v21 offset:48
	s_wait_dscnt 0x0
	v_add_f32_e32 v4, v4, v23
	s_wait_alu 0xfffe
	s_or_b32 exec_lo, exec_lo, s0
	s_and_saveexec_b32 s0, vcc_lo
	s_cbranch_execz .LBB56_78
.LBB56_127:
	ds_load_b32 v23, v21 offset:64
	s_wait_dscnt 0x0
	v_add_f32_e32 v5, v5, v23
	s_wait_alu 0xfffe
	s_or_b32 exec_lo, exec_lo, s0
	s_and_saveexec_b32 s0, vcc_lo
	s_cbranch_execz .LBB56_79
.LBB56_128:
	ds_load_b32 v23, v21 offset:80
	s_wait_dscnt 0x0
	v_add_f32_e32 v6, v6, v23
	s_wait_alu 0xfffe
	s_or_b32 exec_lo, exec_lo, s0
	s_and_saveexec_b32 s0, vcc_lo
	s_cbranch_execz .LBB56_80
.LBB56_129:
	ds_load_b32 v23, v21 offset:96
	s_wait_dscnt 0x0
	v_add_f32_e32 v7, v7, v23
	s_wait_alu 0xfffe
	s_or_b32 exec_lo, exec_lo, s0
	s_and_saveexec_b32 s0, vcc_lo
	s_cbranch_execz .LBB56_81
.LBB56_130:
	ds_load_b32 v23, v21 offset:112
	s_wait_dscnt 0x0
	v_add_f32_e32 v8, v8, v23
	s_wait_alu 0xfffe
	s_or_b32 exec_lo, exec_lo, s0
	s_and_saveexec_b32 s0, vcc_lo
	s_cbranch_execz .LBB56_82
.LBB56_131:
	ds_load_b32 v23, v21 offset:128
	s_wait_dscnt 0x0
	v_add_f32_e32 v9, v9, v23
	s_wait_alu 0xfffe
	s_or_b32 exec_lo, exec_lo, s0
	s_and_saveexec_b32 s0, vcc_lo
	s_cbranch_execz .LBB56_83
.LBB56_132:
	ds_load_b32 v23, v21 offset:144
	s_wait_dscnt 0x0
	v_add_f32_e32 v10, v10, v23
	s_wait_alu 0xfffe
	s_or_b32 exec_lo, exec_lo, s0
	s_and_saveexec_b32 s0, vcc_lo
	s_cbranch_execz .LBB56_84
.LBB56_133:
	ds_load_b32 v23, v21 offset:160
	s_wait_dscnt 0x0
	v_add_f32_e32 v11, v11, v23
	s_wait_alu 0xfffe
	s_or_b32 exec_lo, exec_lo, s0
	s_and_saveexec_b32 s0, vcc_lo
	s_cbranch_execz .LBB56_85
.LBB56_134:
	ds_load_b32 v23, v21 offset:176
	s_wait_dscnt 0x0
	v_add_f32_e32 v12, v12, v23
	s_wait_alu 0xfffe
	s_or_b32 exec_lo, exec_lo, s0
	s_and_saveexec_b32 s0, vcc_lo
	s_cbranch_execz .LBB56_86
.LBB56_135:
	ds_load_b32 v23, v21 offset:192
	s_wait_dscnt 0x0
	v_add_f32_e32 v13, v13, v23
	s_wait_alu 0xfffe
	s_or_b32 exec_lo, exec_lo, s0
	s_and_saveexec_b32 s0, vcc_lo
	s_cbranch_execz .LBB56_87
.LBB56_136:
	ds_load_b32 v23, v21 offset:208
	s_wait_dscnt 0x0
	v_add_f32_e32 v14, v14, v23
	s_wait_alu 0xfffe
	s_or_b32 exec_lo, exec_lo, s0
	s_and_saveexec_b32 s0, vcc_lo
	s_cbranch_execz .LBB56_88
.LBB56_137:
	ds_load_b32 v23, v21 offset:224
	s_wait_dscnt 0x0
	v_add_f32_e32 v15, v15, v23
	s_wait_alu 0xfffe
	s_or_b32 exec_lo, exec_lo, s0
	s_and_saveexec_b32 s0, vcc_lo
	s_cbranch_execz .LBB56_89
.LBB56_138:
	ds_load_b32 v23, v21 offset:240
	s_wait_dscnt 0x0
	v_add_f32_e32 v16, v16, v23
	s_wait_alu 0xfffe
	s_or_b32 exec_lo, exec_lo, s0
	s_and_saveexec_b32 s0, vcc_lo
	s_cbranch_execz .LBB56_90
.LBB56_139:
	ds_load_b32 v23, v21 offset:256
	s_wait_dscnt 0x0
	v_add_f32_e32 v17, v17, v23
	s_wait_alu 0xfffe
	s_or_b32 exec_lo, exec_lo, s0
	s_and_saveexec_b32 s0, vcc_lo
	s_cbranch_execz .LBB56_91
.LBB56_140:
	ds_load_b32 v23, v21 offset:272
	s_wait_dscnt 0x0
	v_add_f32_e32 v18, v18, v23
	s_wait_alu 0xfffe
	s_or_b32 exec_lo, exec_lo, s0
	s_and_saveexec_b32 s0, vcc_lo
	s_cbranch_execz .LBB56_92
.LBB56_141:
	ds_load_b32 v23, v21 offset:288
	s_wait_dscnt 0x0
	v_add_f32_e32 v19, v19, v23
	s_wait_alu 0xfffe
	s_or_b32 exec_lo, exec_lo, s0
	s_and_saveexec_b32 s0, vcc_lo
	s_cbranch_execnz .LBB56_93
	s_branch .LBB56_94
.LBB56_142:
	ds_load_b32 v22, v21
	s_wait_dscnt 0x0
	v_add_f32_e32 v1, v1, v22
	s_wait_alu 0xfffe
	s_or_b32 exec_lo, exec_lo, s0
	s_and_saveexec_b32 s0, vcc_lo
	s_cbranch_execz .LBB56_100
.LBB56_143:
	ds_load_b32 v22, v21 offset:16
	s_wait_dscnt 0x0
	v_add_f32_e32 v2, v2, v22
	s_wait_alu 0xfffe
	s_or_b32 exec_lo, exec_lo, s0
	s_and_saveexec_b32 s0, vcc_lo
	s_cbranch_execz .LBB56_101
.LBB56_144:
	ds_load_b32 v22, v21 offset:32
	s_wait_dscnt 0x0
	v_add_f32_e32 v3, v3, v22
	s_wait_alu 0xfffe
	s_or_b32 exec_lo, exec_lo, s0
	s_and_saveexec_b32 s0, vcc_lo
	s_cbranch_execz .LBB56_102
.LBB56_145:
	ds_load_b32 v22, v21 offset:48
	s_wait_dscnt 0x0
	v_add_f32_e32 v4, v4, v22
	s_wait_alu 0xfffe
	s_or_b32 exec_lo, exec_lo, s0
	s_and_saveexec_b32 s0, vcc_lo
	s_cbranch_execz .LBB56_103
.LBB56_146:
	ds_load_b32 v22, v21 offset:64
	s_wait_dscnt 0x0
	v_add_f32_e32 v5, v5, v22
	s_wait_alu 0xfffe
	s_or_b32 exec_lo, exec_lo, s0
	s_and_saveexec_b32 s0, vcc_lo
	s_cbranch_execz .LBB56_104
.LBB56_147:
	ds_load_b32 v22, v21 offset:80
	s_wait_dscnt 0x0
	v_add_f32_e32 v6, v6, v22
	s_wait_alu 0xfffe
	s_or_b32 exec_lo, exec_lo, s0
	s_and_saveexec_b32 s0, vcc_lo
	s_cbranch_execz .LBB56_105
.LBB56_148:
	ds_load_b32 v22, v21 offset:96
	s_wait_dscnt 0x0
	v_add_f32_e32 v7, v7, v22
	s_wait_alu 0xfffe
	s_or_b32 exec_lo, exec_lo, s0
	s_and_saveexec_b32 s0, vcc_lo
	s_cbranch_execz .LBB56_106
.LBB56_149:
	ds_load_b32 v22, v21 offset:112
	s_wait_dscnt 0x0
	v_add_f32_e32 v8, v8, v22
	s_wait_alu 0xfffe
	s_or_b32 exec_lo, exec_lo, s0
	s_and_saveexec_b32 s0, vcc_lo
	s_cbranch_execz .LBB56_107
.LBB56_150:
	ds_load_b32 v22, v21 offset:128
	s_wait_dscnt 0x0
	v_add_f32_e32 v9, v9, v22
	s_wait_alu 0xfffe
	s_or_b32 exec_lo, exec_lo, s0
	s_and_saveexec_b32 s0, vcc_lo
	s_cbranch_execz .LBB56_108
.LBB56_151:
	ds_load_b32 v22, v21 offset:144
	s_wait_dscnt 0x0
	v_add_f32_e32 v10, v10, v22
	s_wait_alu 0xfffe
	s_or_b32 exec_lo, exec_lo, s0
	s_and_saveexec_b32 s0, vcc_lo
	s_cbranch_execz .LBB56_109
.LBB56_152:
	ds_load_b32 v22, v21 offset:160
	s_wait_dscnt 0x0
	v_add_f32_e32 v11, v11, v22
	s_wait_alu 0xfffe
	s_or_b32 exec_lo, exec_lo, s0
	s_and_saveexec_b32 s0, vcc_lo
	s_cbranch_execz .LBB56_110
.LBB56_153:
	ds_load_b32 v22, v21 offset:176
	s_wait_dscnt 0x0
	v_add_f32_e32 v12, v12, v22
	s_wait_alu 0xfffe
	s_or_b32 exec_lo, exec_lo, s0
	s_and_saveexec_b32 s0, vcc_lo
	s_cbranch_execz .LBB56_111
.LBB56_154:
	ds_load_b32 v22, v21 offset:192
	s_wait_dscnt 0x0
	v_add_f32_e32 v13, v13, v22
	s_wait_alu 0xfffe
	s_or_b32 exec_lo, exec_lo, s0
	s_and_saveexec_b32 s0, vcc_lo
	s_cbranch_execz .LBB56_112
.LBB56_155:
	ds_load_b32 v22, v21 offset:208
	s_wait_dscnt 0x0
	v_add_f32_e32 v14, v14, v22
	s_wait_alu 0xfffe
	s_or_b32 exec_lo, exec_lo, s0
	s_and_saveexec_b32 s0, vcc_lo
	s_cbranch_execz .LBB56_113
.LBB56_156:
	ds_load_b32 v22, v21 offset:224
	s_wait_dscnt 0x0
	v_add_f32_e32 v15, v15, v22
	s_wait_alu 0xfffe
	s_or_b32 exec_lo, exec_lo, s0
	s_and_saveexec_b32 s0, vcc_lo
	s_cbranch_execz .LBB56_114
.LBB56_157:
	ds_load_b32 v22, v21 offset:240
	s_wait_dscnt 0x0
	v_add_f32_e32 v16, v16, v22
	s_wait_alu 0xfffe
	s_or_b32 exec_lo, exec_lo, s0
	s_and_saveexec_b32 s0, vcc_lo
	s_cbranch_execz .LBB56_115
.LBB56_158:
	ds_load_b32 v22, v21 offset:256
	s_wait_dscnt 0x0
	v_add_f32_e32 v17, v17, v22
	s_wait_alu 0xfffe
	s_or_b32 exec_lo, exec_lo, s0
	s_and_saveexec_b32 s0, vcc_lo
	s_cbranch_execz .LBB56_116
.LBB56_159:
	ds_load_b32 v22, v21 offset:272
	s_wait_dscnt 0x0
	v_add_f32_e32 v18, v18, v22
	s_wait_alu 0xfffe
	s_or_b32 exec_lo, exec_lo, s0
	s_and_saveexec_b32 s0, vcc_lo
	s_cbranch_execz .LBB56_117
.LBB56_160:
	ds_load_b32 v22, v21 offset:288
	s_wait_dscnt 0x0
	v_add_f32_e32 v19, v19, v22
	s_wait_alu 0xfffe
	s_or_b32 exec_lo, exec_lo, s0
	s_and_saveexec_b32 s0, vcc_lo
	s_cbranch_execnz .LBB56_118
	s_branch .LBB56_119
	.section	.rodata,"a",@progbits
	.p2align	6, 0x0
	.amdhsa_kernel _ZN4vllm25paged_attention_v2_kernelIffLi80ELi32ELi128ELNS_18Fp8KVCacheDataTypeE0ELb0ELi512EEEvPfS2_PT_PKS3_PKT0_S9_ifPKiSB_iPKfiiiSD_SD_iiiii
		.amdhsa_group_segment_fixed_size 352
		.amdhsa_private_segment_fixed_size 0
		.amdhsa_kernarg_size 400
		.amdhsa_user_sgpr_count 2
		.amdhsa_user_sgpr_dispatch_ptr 0
		.amdhsa_user_sgpr_queue_ptr 0
		.amdhsa_user_sgpr_kernarg_segment_ptr 1
		.amdhsa_user_sgpr_dispatch_id 0
		.amdhsa_user_sgpr_private_segment_size 0
		.amdhsa_wavefront_size32 1
		.amdhsa_uses_dynamic_stack 0
		.amdhsa_enable_private_segment 0
		.amdhsa_system_sgpr_workgroup_id_x 1
		.amdhsa_system_sgpr_workgroup_id_y 1
		.amdhsa_system_sgpr_workgroup_id_z 1
		.amdhsa_system_sgpr_workgroup_info 0
		.amdhsa_system_vgpr_workitem_id 0
		.amdhsa_next_free_vgpr 147
		.amdhsa_next_free_sgpr 32
		.amdhsa_reserve_vcc 1
		.amdhsa_float_round_mode_32 0
		.amdhsa_float_round_mode_16_64 0
		.amdhsa_float_denorm_mode_32 3
		.amdhsa_float_denorm_mode_16_64 3
		.amdhsa_fp16_overflow 0
		.amdhsa_workgroup_processor_mode 1
		.amdhsa_memory_ordered 1
		.amdhsa_forward_progress 1
		.amdhsa_inst_pref_size 83
		.amdhsa_round_robin_scheduling 0
		.amdhsa_exception_fp_ieee_invalid_op 0
		.amdhsa_exception_fp_denorm_src 0
		.amdhsa_exception_fp_ieee_div_zero 0
		.amdhsa_exception_fp_ieee_overflow 0
		.amdhsa_exception_fp_ieee_underflow 0
		.amdhsa_exception_fp_ieee_inexact 0
		.amdhsa_exception_int_div_zero 0
	.end_amdhsa_kernel
	.section	.text._ZN4vllm25paged_attention_v2_kernelIffLi80ELi32ELi128ELNS_18Fp8KVCacheDataTypeE0ELb0ELi512EEEvPfS2_PT_PKS3_PKT0_S9_ifPKiSB_iPKfiiiSD_SD_iiiii,"axG",@progbits,_ZN4vllm25paged_attention_v2_kernelIffLi80ELi32ELi128ELNS_18Fp8KVCacheDataTypeE0ELb0ELi512EEEvPfS2_PT_PKS3_PKT0_S9_ifPKiSB_iPKfiiiSD_SD_iiiii,comdat
.Lfunc_end56:
	.size	_ZN4vllm25paged_attention_v2_kernelIffLi80ELi32ELi128ELNS_18Fp8KVCacheDataTypeE0ELb0ELi512EEEvPfS2_PT_PKS3_PKT0_S9_ifPKiSB_iPKfiiiSD_SD_iiiii, .Lfunc_end56-_ZN4vllm25paged_attention_v2_kernelIffLi80ELi32ELi128ELNS_18Fp8KVCacheDataTypeE0ELb0ELi512EEEvPfS2_PT_PKS3_PKT0_S9_ifPKiSB_iPKfiiiSD_SD_iiiii
                                        ; -- End function
	.set _ZN4vllm25paged_attention_v2_kernelIffLi80ELi32ELi128ELNS_18Fp8KVCacheDataTypeE0ELb0ELi512EEEvPfS2_PT_PKS3_PKT0_S9_ifPKiSB_iPKfiiiSD_SD_iiiii.num_vgpr, 147
	.set _ZN4vllm25paged_attention_v2_kernelIffLi80ELi32ELi128ELNS_18Fp8KVCacheDataTypeE0ELb0ELi512EEEvPfS2_PT_PKS3_PKT0_S9_ifPKiSB_iPKfiiiSD_SD_iiiii.num_agpr, 0
	.set _ZN4vllm25paged_attention_v2_kernelIffLi80ELi32ELi128ELNS_18Fp8KVCacheDataTypeE0ELb0ELi512EEEvPfS2_PT_PKS3_PKT0_S9_ifPKiSB_iPKfiiiSD_SD_iiiii.numbered_sgpr, 32
	.set _ZN4vllm25paged_attention_v2_kernelIffLi80ELi32ELi128ELNS_18Fp8KVCacheDataTypeE0ELb0ELi512EEEvPfS2_PT_PKS3_PKT0_S9_ifPKiSB_iPKfiiiSD_SD_iiiii.num_named_barrier, 0
	.set _ZN4vllm25paged_attention_v2_kernelIffLi80ELi32ELi128ELNS_18Fp8KVCacheDataTypeE0ELb0ELi512EEEvPfS2_PT_PKS3_PKT0_S9_ifPKiSB_iPKfiiiSD_SD_iiiii.private_seg_size, 0
	.set _ZN4vllm25paged_attention_v2_kernelIffLi80ELi32ELi128ELNS_18Fp8KVCacheDataTypeE0ELb0ELi512EEEvPfS2_PT_PKS3_PKT0_S9_ifPKiSB_iPKfiiiSD_SD_iiiii.uses_vcc, 1
	.set _ZN4vllm25paged_attention_v2_kernelIffLi80ELi32ELi128ELNS_18Fp8KVCacheDataTypeE0ELb0ELi512EEEvPfS2_PT_PKS3_PKT0_S9_ifPKiSB_iPKfiiiSD_SD_iiiii.uses_flat_scratch, 0
	.set _ZN4vllm25paged_attention_v2_kernelIffLi80ELi32ELi128ELNS_18Fp8KVCacheDataTypeE0ELb0ELi512EEEvPfS2_PT_PKS3_PKT0_S9_ifPKiSB_iPKfiiiSD_SD_iiiii.has_dyn_sized_stack, 0
	.set _ZN4vllm25paged_attention_v2_kernelIffLi80ELi32ELi128ELNS_18Fp8KVCacheDataTypeE0ELb0ELi512EEEvPfS2_PT_PKS3_PKT0_S9_ifPKiSB_iPKfiiiSD_SD_iiiii.has_recursion, 0
	.set _ZN4vllm25paged_attention_v2_kernelIffLi80ELi32ELi128ELNS_18Fp8KVCacheDataTypeE0ELb0ELi512EEEvPfS2_PT_PKS3_PKT0_S9_ifPKiSB_iPKfiiiSD_SD_iiiii.has_indirect_call, 0
	.section	.AMDGPU.csdata,"",@progbits
; Kernel info:
; codeLenInByte = 10616
; TotalNumSgprs: 34
; NumVgprs: 147
; ScratchSize: 0
; MemoryBound: 0
; FloatMode: 240
; IeeeMode: 1
; LDSByteSize: 352 bytes/workgroup (compile time only)
; SGPRBlocks: 0
; VGPRBlocks: 18
; NumSGPRsForWavesPerEU: 34
; NumVGPRsForWavesPerEU: 147
; Occupancy: 9
; WaveLimiterHint : 1
; COMPUTE_PGM_RSRC2:SCRATCH_EN: 0
; COMPUTE_PGM_RSRC2:USER_SGPR: 2
; COMPUTE_PGM_RSRC2:TRAP_HANDLER: 0
; COMPUTE_PGM_RSRC2:TGID_X_EN: 1
; COMPUTE_PGM_RSRC2:TGID_Y_EN: 1
; COMPUTE_PGM_RSRC2:TGID_Z_EN: 1
; COMPUTE_PGM_RSRC2:TIDIG_COMP_CNT: 0
	.section	.text._ZN4vllm25paged_attention_v2_kernelIffLi96ELi32ELi128ELNS_18Fp8KVCacheDataTypeE0ELb0ELi512EEEvPfS2_PT_PKS3_PKT0_S9_ifPKiSB_iPKfiiiSD_SD_iiiii,"axG",@progbits,_ZN4vllm25paged_attention_v2_kernelIffLi96ELi32ELi128ELNS_18Fp8KVCacheDataTypeE0ELb0ELi512EEEvPfS2_PT_PKS3_PKT0_S9_ifPKiSB_iPKfiiiSD_SD_iiiii,comdat
	.protected	_ZN4vllm25paged_attention_v2_kernelIffLi96ELi32ELi128ELNS_18Fp8KVCacheDataTypeE0ELb0ELi512EEEvPfS2_PT_PKS3_PKT0_S9_ifPKiSB_iPKfiiiSD_SD_iiiii ; -- Begin function _ZN4vllm25paged_attention_v2_kernelIffLi96ELi32ELi128ELNS_18Fp8KVCacheDataTypeE0ELb0ELi512EEEvPfS2_PT_PKS3_PKT0_S9_ifPKiSB_iPKfiiiSD_SD_iiiii
	.globl	_ZN4vllm25paged_attention_v2_kernelIffLi96ELi32ELi128ELNS_18Fp8KVCacheDataTypeE0ELb0ELi512EEEvPfS2_PT_PKS3_PKT0_S9_ifPKiSB_iPKfiiiSD_SD_iiiii
	.p2align	8
	.type	_ZN4vllm25paged_attention_v2_kernelIffLi96ELi32ELi128ELNS_18Fp8KVCacheDataTypeE0ELb0ELi512EEEvPfS2_PT_PKS3_PKT0_S9_ifPKiSB_iPKfiiiSD_SD_iiiii,@function
_ZN4vllm25paged_attention_v2_kernelIffLi96ELi32ELi128ELNS_18Fp8KVCacheDataTypeE0ELb0ELi512EEEvPfS2_PT_PKS3_PKT0_S9_ifPKiSB_iPKfiiiSD_SD_iiiii: ; @_ZN4vllm25paged_attention_v2_kernelIffLi96ELi32ELi128ELNS_18Fp8KVCacheDataTypeE0ELb0ELi512EEEvPfS2_PT_PKS3_PKT0_S9_ifPKiSB_iPKfiiiSD_SD_iiiii
; %bb.0:
	s_load_b64 s[2:3], s[0:1], 0x40
	s_and_b32 s14, ttmp7, 0xffff
	s_lshr_b32 s24, ttmp7, 16
	s_lshl_b32 s4, s14, 2
	s_lshl_b32 s26, s24, 9
	s_wait_kmcnt 0x0
	s_load_b32 s25, s[2:3], s4 offset:0x0
	s_wait_kmcnt 0x0
	s_cmp_ge_i32 s26, s25
	s_cbranch_scc1 .LBB57_138
; %bb.1:
	s_clause 0x1
	s_load_b32 s15, s[0:1], 0x90
	s_load_b64 s[4:5], s[0:1], 0x30
	s_wait_kmcnt 0x0
	s_abs_i32 s7, s15
	s_abs_i32 s2, s4
	s_xor_b32 s4, s15, s4
	s_cvt_f32_u32 s3, s2
	s_sub_co_i32 s6, 0, s2
	s_ashr_i32 s4, s4, 31
	s_delay_alu instid0(SALU_CYCLE_1) | instskip(NEXT) | instid1(TRANS32_DEP_1)
	v_rcp_iflag_f32_e32 v1, s3
	v_readfirstlane_b32 s3, v1
	s_mul_f32 s3, s3, 0x4f7ffffe
	s_wait_alu 0xfffe
	s_delay_alu instid0(SALU_CYCLE_2) | instskip(SKIP_1) | instid1(SALU_CYCLE_2)
	s_cvt_u32_f32 s3, s3
	s_wait_alu 0xfffe
	s_mul_i32 s6, s6, s3
	s_delay_alu instid0(SALU_CYCLE_1) | instskip(NEXT) | instid1(SALU_CYCLE_1)
	s_mul_hi_u32 s6, s3, s6
	s_add_co_i32 s3, s3, s6
	s_wait_alu 0xfffe
	s_mul_hi_u32 s3, s7, s3
	s_wait_alu 0xfffe
	s_mul_i32 s6, s3, s2
	s_delay_alu instid0(SALU_CYCLE_1)
	s_sub_co_i32 s6, s7, s6
	s_add_co_i32 s7, s3, 1
	s_sub_co_i32 s8, s6, s2
	s_cmp_ge_u32 s6, s2
	s_cselect_b32 s3, s7, s3
	s_cselect_b32 s6, s8, s6
	s_wait_alu 0xfffe
	s_add_co_i32 s7, s3, 1
	s_cmp_ge_u32 s6, s2
	s_load_b64 s[8:9], s[0:1], 0x50
	s_cselect_b32 s2, s7, s3
	s_mov_b32 s3, 0
	s_wait_alu 0xfffe
	s_xor_b32 s2, s2, s4
	s_mov_b32 s11, s3
	s_wait_alu 0xfffe
	s_sub_co_i32 s12, s2, s4
	s_delay_alu instid0(SALU_CYCLE_1) | instskip(NEXT) | instid1(SALU_CYCLE_1)
	s_abs_i32 s4, s12
	s_cvt_f32_u32 s2, s4
	s_wait_alu 0xfffe
	s_delay_alu instid0(SALU_CYCLE_2) | instskip(NEXT) | instid1(TRANS32_DEP_1)
	v_rcp_iflag_f32_e32 v1, s2
	v_readfirstlane_b32 s2, v1
	s_mul_f32 s2, s2, 0x4f7ffffe
	s_wait_alu 0xfffe
	s_delay_alu instid0(SALU_CYCLE_2) | instskip(SKIP_2) | instid1(SALU_CYCLE_1)
	s_cvt_u32_f32 s6, s2
	s_sub_co_i32 s2, 0, s4
	s_wait_alu 0xfffe
	s_mul_i32 s2, s2, s6
	s_wait_alu 0xfffe
	s_mul_hi_u32 s7, s6, s2
	s_abs_i32 s2, ttmp9
	s_add_co_i32 s6, s6, s7
	s_mov_b32 s7, s3
	s_wait_kmcnt 0x0
	s_cmp_eq_u64 s[8:9], 0
	s_cbranch_scc1 .LBB57_3
; %bb.2:
	s_mov_b32 s10, ttmp9
	s_ashr_i32 s11, ttmp9, 31
	s_delay_alu instid0(SALU_CYCLE_1) | instskip(NEXT) | instid1(SALU_CYCLE_1)
	s_lshl_b64 s[10:11], s[10:11], 2
	s_add_nc_u64 s[8:9], s[8:9], s[10:11]
	s_load_b32 s11, s[8:9], 0x0
.LBB57_3:
	s_load_b96 s[8:10], s[0:1], 0x58
	v_lshlrev_b32_e32 v99, 4, v0
	s_mul_u64 s[6:7], s[2:3], s[6:7]
	s_ashr_i32 s3, ttmp9, 31
	s_ashr_i32 s6, s12, 31
	s_mul_i32 s12, ttmp9, 0x60
	s_mov_b32 s16, exec_lo
	v_cmpx_gt_u32_e32 24, v0
	s_cbranch_execz .LBB57_5
; %bb.4:
	s_load_b64 s[18:19], s[0:1], 0x18
	s_wait_kmcnt 0x0
	s_mul_i32 s20, s8, s14
	s_ashr_i32 s13, s12, 31
	s_ashr_i32 s21, s20, 31
	s_delay_alu instid0(SALU_CYCLE_1) | instskip(NEXT) | instid1(SALU_CYCLE_1)
	s_lshl_b64 s[20:21], s[20:21], 2
	s_add_nc_u64 s[18:19], s[18:19], s[20:21]
	s_lshl_b64 s[20:21], s[12:13], 2
	s_delay_alu instid0(SALU_CYCLE_1)
	s_add_nc_u64 s[18:19], s[18:19], s[20:21]
	global_load_b128 v[1:4], v99, s[18:19]
	s_wait_loadcnt 0x0
	ds_store_b128 v99, v[1:4]
.LBB57_5:
	s_or_b32 exec_lo, exec_lo, s16
	s_wait_kmcnt 0x0
	s_add_co_i32 s8, s25, 31
	s_lshl_b32 s28, s24, 4
	s_ashr_i32 s13, s8, 31
	s_mul_i32 s19, s7, s4
	s_lshr_b32 s13, s13, 27
	s_sub_co_i32 s2, s2, s19
	s_add_co_i32 s8, s8, s13
	s_add_co_i32 s13, s28, 16
	s_ashr_i32 s27, s8, 5
	s_clause 0x2
	s_load_b64 s[16:17], s[0:1], 0x38
	s_load_b32 s8, s[0:1], 0x98
	s_load_b32 s18, s[0:1], 0x48
	s_min_i32 s13, s13, s27
	s_xor_b32 s3, s3, s6
	s_add_co_i32 s6, s7, 1
	s_sub_co_i32 s19, s2, s4
	s_cmp_ge_u32 s2, s4
	v_lshrrev_b32_e32 v103, 5, v0
	s_cselect_b32 s6, s6, s7
	s_cselect_b32 s2, s19, s2
	s_add_co_i32 s7, s6, 1
	s_wait_alu 0xfffe
	s_cmp_ge_u32 s2, s4
	v_and_b32_e32 v104, 31, v0
	v_dual_mov_b32 v102, 0xff7fffff :: v_dual_add_nc_u32 v105, s28, v103
	s_cselect_b32 s2, s7, s6
	s_wait_dscnt 0x0
	s_wait_alu 0xfffe
	s_xor_b32 s2, s2, s3
	v_lshlrev_b32_e32 v101, 2, v104
	s_wait_alu 0xfffe
	s_sub_co_i32 s3, s2, s3
	v_cmp_gt_i32_e64 s2, s13, v105
	v_lshlrev_b32_e32 v100, 2, v105
	s_wait_kmcnt 0x0
	s_mul_i32 s18, s18, s14
	s_wait_alu 0xfffe
	s_mul_i32 s20, s3, s10
	s_ashr_i32 s19, s18, 31
	s_barrier_signal -1
	s_barrier_wait -1
	global_inv scope:SCOPE_SE
	s_and_saveexec_b32 s6, s2
	s_cbranch_execz .LBB57_9
; %bb.6:
	v_dual_mov_b32 v93, 0 :: v_dual_lshlrev_b32 v98, 5, v103
	s_load_b64 s[22:23], s[0:1], 0x20
	s_ashr_i32 s21, s20, 31
	v_lshlrev_b32_e32 v97, 4, v104
	ds_load_b128 v[1:4], v93
	ds_load_b128 v[5:8], v93 offset:16
	ds_load_b128 v[9:12], v93 offset:32
	;; [unrolled: 1-line block ×23, first 2 shown]
	v_lshl_or_b32 v102, v103, 7, v101
	s_lshl_b64 s[30:31], s[20:21], 2
	s_cmp_neq_f32 s11, 0
	v_add3_u32 v108, s26, v98, v104
	s_delay_alu instid0(VALU_DEP_2)
	v_dual_mov_b32 v110, v105 :: v_dual_add_nc_u32 v109, 0x1a0, v102
	v_mov_b32_e32 v102, 0xff7fffff
	s_cselect_b32 vcc_lo, -1, 0
	s_mov_b32 s10, s9
	s_mov_b32 s7, 0
	s_sub_co_i32 s21, 1, s25
	s_wait_kmcnt 0x0
	s_add_nc_u64 s[22:23], s[22:23], s[30:31]
	s_delay_alu instid0(SALU_CYCLE_1)
	v_add_co_u32 v106, s3, s22, v97
	s_wait_alu 0xf1ff
	v_add_co_ci_u32_e64 v107, null, s23, 0, s3
	s_lshl_b64 s[22:23], s[18:19], 2
	s_wait_alu 0xfffe
	s_add_nc_u64 s[22:23], s[16:17], s[22:23]
	s_wait_alu 0xfffe
	v_add_co_u32 v97, s3, s22, v100
	s_wait_alu 0xf1ff
	v_add_co_ci_u32_e64 v98, null, s23, 0, s3
.LBB57_7:                               ; =>This Inner Loop Header: Depth=1
	global_load_b32 v111, v[97:98], off
	v_add_nc_u32_e32 v110, 4, v110
	s_delay_alu instid0(VALU_DEP_1) | instskip(SKIP_3) | instid1(VALU_DEP_1)
	v_cmp_le_i32_e64 s4, s13, v110
	s_or_b32 s7, s4, s7
	s_wait_loadcnt 0x0
	v_mad_co_i64_i32 v[111:112], null, v111, s10, 0
	v_lshlrev_b64_e32 v[111:112], 2, v[111:112]
	s_delay_alu instid0(VALU_DEP_1) | instskip(SKIP_1) | instid1(VALU_DEP_2)
	v_add_co_u32 v139, s3, v106, v111
	s_wait_alu 0xf1ff
	v_add_co_ci_u32_e64 v140, null, v107, v112, s3
	s_clause 0x6
	global_load_b128 v[111:114], v[139:140], off offset:512
	global_load_b128 v[115:118], v[139:140], off
	global_load_b128 v[119:122], v[139:140], off offset:1024
	global_load_b128 v[123:126], v[139:140], off offset:1536
	;; [unrolled: 1-line block ×5, first 2 shown]
	v_add_co_u32 v97, s3, v97, 16
	s_wait_alu 0xf1ff
	v_add_co_ci_u32_e64 v98, null, 0, v98, s3
	v_cmp_gt_i32_e64 s3, s25, v108
	s_wait_loadcnt_dscnt 0x616
	v_dual_mul_f32 v143, v5, v111 :: v_dual_mul_f32 v144, v6, v112
	v_dual_mul_f32 v145, v7, v113 :: v_dual_mul_f32 v146, v8, v114
	global_load_b128 v[111:114], v[139:140], off offset:3584
	s_wait_loadcnt 0x6
	v_dual_fmac_f32 v143, v1, v115 :: v_dual_fmac_f32 v144, v2, v116
	v_dual_fmac_f32 v145, v3, v117 :: v_dual_fmac_f32 v146, v4, v118
	global_load_b128 v[115:118], v[139:140], off offset:4096
	s_wait_loadcnt_dscnt 0x615
	v_dual_fmac_f32 v143, v9, v119 :: v_dual_fmac_f32 v144, v10, v120
	v_dual_fmac_f32 v145, v11, v121 :: v_dual_fmac_f32 v146, v12, v122
	global_load_b128 v[119:122], v[139:140], off offset:4608
	s_wait_loadcnt_dscnt 0x614
	;; [unrolled: 4-line block ×14, first 2 shown]
	v_dual_fmac_f32 v143, v61, v115 :: v_dual_fmac_f32 v144, v62, v116
	v_dual_fmac_f32 v145, v63, v117 :: v_dual_fmac_f32 v146, v64, v118
	s_clause 0x1
	global_load_b128 v[115:118], v[139:140], off offset:11264
	global_load_b128 v[139:142], v[139:140], off offset:11776
	s_wait_loadcnt_dscnt 0x707
	v_dual_fmac_f32 v143, v65, v119 :: v_dual_fmac_f32 v144, v66, v120
	v_dual_fmac_f32 v145, v67, v121 :: v_dual_fmac_f32 v146, v68, v122
	v_dual_max_num_f32 v120, v102, v102 :: v_dual_add_nc_u32 v119, s21, v108
	s_wait_loadcnt_dscnt 0x606
	s_delay_alu instid0(VALU_DEP_3) | instskip(NEXT) | instid1(VALU_DEP_3)
	v_dual_fmac_f32 v143, v69, v123 :: v_dual_fmac_f32 v144, v70, v124
	v_dual_fmac_f32 v145, v71, v125 :: v_dual_fmac_f32 v146, v72, v126
	s_delay_alu instid0(VALU_DEP_3) | instskip(SKIP_1) | instid1(VALU_DEP_3)
	v_cvt_f32_i32_e32 v119, v119
	s_wait_loadcnt_dscnt 0x505
	v_dual_fmac_f32 v143, v73, v127 :: v_dual_fmac_f32 v144, v74, v128
	s_delay_alu instid0(VALU_DEP_3) | instskip(SKIP_1) | instid1(VALU_DEP_2)
	v_dual_fmac_f32 v145, v75, v129 :: v_dual_fmac_f32 v146, v76, v130
	s_wait_loadcnt_dscnt 0x404
	v_dual_fmac_f32 v143, v77, v131 :: v_dual_add_nc_u32 v108, 0x80, v108
	s_delay_alu instid0(VALU_DEP_2) | instskip(SKIP_1) | instid1(VALU_DEP_2)
	v_dual_fmac_f32 v144, v78, v132 :: v_dual_fmac_f32 v145, v79, v133
	s_wait_loadcnt_dscnt 0x303
	v_dual_fmac_f32 v146, v80, v134 :: v_dual_fmac_f32 v143, v81, v135
	s_delay_alu instid0(VALU_DEP_2) | instskip(SKIP_1) | instid1(VALU_DEP_2)
	v_dual_fmac_f32 v144, v82, v136 :: v_dual_fmac_f32 v145, v83, v137
	s_wait_loadcnt_dscnt 0x202
	v_dual_fmac_f32 v146, v84, v138 :: v_dual_fmac_f32 v143, v85, v111
	s_delay_alu instid0(VALU_DEP_2) | instskip(NEXT) | instid1(VALU_DEP_2)
	v_dual_fmac_f32 v144, v86, v112 :: v_dual_fmac_f32 v145, v87, v113
	v_fmac_f32_e32 v146, v88, v114
	v_mul_f32_e32 v112, s11, v119
	s_wait_loadcnt_dscnt 0x101
	s_delay_alu instid0(VALU_DEP_3) | instskip(NEXT) | instid1(VALU_DEP_3)
	v_dual_fmac_f32 v143, v89, v115 :: v_dual_fmac_f32 v144, v90, v116
	v_dual_fmac_f32 v145, v91, v117 :: v_dual_fmac_f32 v146, v92, v118
	s_wait_loadcnt_dscnt 0x0
	s_delay_alu instid0(VALU_DEP_2) | instskip(NEXT) | instid1(VALU_DEP_2)
	v_dual_fmac_f32 v143, v93, v139 :: v_dual_fmac_f32 v144, v94, v140
	v_dual_fmac_f32 v145, v95, v141 :: v_dual_fmac_f32 v146, v96, v142
	s_delay_alu instid0(VALU_DEP_2) | instskip(NEXT) | instid1(VALU_DEP_1)
	v_add_f32_e32 v111, v143, v144
	v_dual_add_f32 v111, v145, v111 :: v_dual_cndmask_b32 v112, 0, v112
	s_delay_alu instid0(VALU_DEP_1) | instskip(NEXT) | instid1(VALU_DEP_1)
	v_add_f32_e32 v111, v146, v111
	v_fmac_f32_e32 v112, s5, v111
	s_delay_alu instid0(VALU_DEP_1) | instskip(SKIP_2) | instid1(VALU_DEP_2)
	v_max_num_f32_e32 v111, v120, v112
	s_wait_alu 0xf1ff
	v_cndmask_b32_e64 v112, 0, v112, s3
	v_cndmask_b32_e64 v102, v102, v111, s3
	ds_store_b32 v109, v112
	v_add_nc_u32_e32 v109, 0x200, v109
	s_and_not1_b32 exec_lo, exec_lo, s7
	s_cbranch_execnz .LBB57_7
; %bb.8:
	s_or_b32 exec_lo, exec_lo, s7
.LBB57_9:
	s_delay_alu instid0(SALU_CYCLE_1)
	s_or_b32 exec_lo, exec_lo, s6
	v_mbcnt_lo_u32_b32 v1, -1, 0
	s_clause 0x2
	s_load_b128 s[4:7], s[0:1], 0x0
	s_load_b64 s[10:11], s[0:1], 0x10
	s_load_b64 s[22:23], s[0:1], 0x28
	v_xor_b32_e32 v2, 16, v1
	v_xor_b32_e32 v4, 8, v1
	s_delay_alu instid0(VALU_DEP_2) | instskip(SKIP_2) | instid1(VALU_DEP_3)
	v_cmp_gt_i32_e32 vcc_lo, 32, v2
	s_wait_alu 0xfffd
	v_cndmask_b32_e32 v2, v1, v2, vcc_lo
	v_cmp_gt_i32_e32 vcc_lo, 32, v4
	v_max_num_f32_e32 v5, v102, v102
	s_delay_alu instid0(VALU_DEP_3)
	v_lshlrev_b32_e32 v2, 2, v2
	s_wait_alu 0xfffd
	v_cndmask_b32_e32 v4, v1, v4, vcc_lo
	ds_bpermute_b32 v3, v2, v102
	s_wait_dscnt 0x0
	v_dual_max_num_f32 v6, v3, v3 :: v_dual_lshlrev_b32 v3, 2, v4
	s_delay_alu instid0(VALU_DEP_1)
	v_max_num_f32_e32 v4, v5, v6
	v_xor_b32_e32 v6, 4, v1
	ds_bpermute_b32 v5, v3, v4
	v_cmp_gt_i32_e32 vcc_lo, 32, v6
	s_wait_alu 0xfffd
	v_cndmask_b32_e32 v6, v1, v6, vcc_lo
	s_delay_alu instid0(VALU_DEP_1) | instskip(SKIP_1) | instid1(VALU_DEP_1)
	v_lshlrev_b32_e32 v108, 2, v6
	v_xor_b32_e32 v6, 2, v1
	v_cmp_gt_i32_e32 vcc_lo, 32, v6
	s_wait_dscnt 0x0
	v_max_num_f32_e32 v5, v5, v5
	s_wait_alu 0xfffd
	v_cndmask_b32_e32 v6, v1, v6, vcc_lo
	s_delay_alu instid0(VALU_DEP_1)
	v_dual_max_num_f32 v4, v4, v5 :: v_dual_lshlrev_b32 v107, 2, v6
	v_xor_b32_e32 v6, 1, v1
	ds_bpermute_b32 v5, v108, v4
	v_cmp_gt_i32_e32 vcc_lo, 32, v6
	s_wait_alu 0xfffd
	v_cndmask_b32_e32 v6, v1, v6, vcc_lo
	v_cmp_eq_u32_e32 vcc_lo, 0, v104
	s_wait_dscnt 0x0
	s_delay_alu instid0(VALU_DEP_2) | instskip(NEXT) | instid1(VALU_DEP_1)
	v_dual_max_num_f32 v5, v5, v5 :: v_dual_lshlrev_b32 v106, 2, v6
	v_max_num_f32_e32 v4, v4, v5
	ds_bpermute_b32 v5, v107, v4
	s_wait_dscnt 0x0
	v_max_num_f32_e32 v5, v5, v5
	s_delay_alu instid0(VALU_DEP_1)
	v_max_num_f32_e32 v1, v4, v5
	v_lshlrev_b32_e32 v5, 2, v103
	ds_bpermute_b32 v4, v106, v1
	s_and_saveexec_b32 s0, vcc_lo
	s_cbranch_execz .LBB57_11
; %bb.10:
	s_wait_dscnt 0x0
	v_dual_max_num_f32 v4, v4, v4 :: v_dual_max_num_f32 v1, v1, v1
	s_delay_alu instid0(VALU_DEP_1)
	v_max_num_f32_e32 v1, v1, v4
	ds_store_b32 v5, v1 offset:384
.LBB57_11:
	s_or_b32 exec_lo, exec_lo, s0
	v_cmp_gt_u32_e64 s0, 4, v104
	v_mov_b32_e32 v1, 0xff7fffff
	s_wait_loadcnt_dscnt 0x0
	s_barrier_signal -1
	s_barrier_wait -1
	global_inv scope:SCOPE_SE
	s_and_saveexec_b32 s1, s0
; %bb.12:
	ds_load_b32 v1, v101 offset:384
; %bb.13:
	s_or_b32 exec_lo, exec_lo, s1
	s_wait_dscnt 0x0
	ds_bpermute_b32 v4, v107, v1
	v_max_num_f32_e32 v1, v1, v1
	s_sub_co_i32 s1, s13, s28
	v_mov_b32_e32 v6, 0
	s_lshl_b32 s1, s1, 5
	s_delay_alu instid0(SALU_CYCLE_1) | instskip(NEXT) | instid1(SALU_CYCLE_1)
	s_add_co_i32 s1, s1, s26
	s_min_i32 s1, s1, s25
	s_delay_alu instid0(SALU_CYCLE_1) | instskip(SKIP_4) | instid1(VALU_DEP_1)
	s_sub_co_i32 s21, s1, s26
	s_wait_alu 0xfffe
	v_cmp_gt_i32_e64 s1, s21, v0
	s_wait_dscnt 0x0
	v_max_num_f32_e32 v4, v4, v4
	v_max_num_f32_e32 v1, v1, v4
	ds_bpermute_b32 v4, v106, v1
	s_wait_dscnt 0x0
	v_max_num_f32_e32 v4, v4, v4
	s_delay_alu instid0(VALU_DEP_1)
	v_max_num_f32_e32 v1, v1, v4
	v_lshl_add_u32 v4, v0, 2, 0x1a0
	ds_bpermute_b32 v1, v6, v1
	s_and_saveexec_b32 s28, s1
	s_cbranch_execz .LBB57_17
; %bb.14:
	v_lshl_add_u32 v7, v0, 2, 0x1a0
	v_mov_b32_e32 v6, 0
	v_mov_b32_e32 v8, v0
	s_mov_b32 s29, 0
.LBB57_15:                              ; =>This Inner Loop Header: Depth=1
	ds_load_b32 v9, v7
	v_add_nc_u32_e32 v8, 0x80, v8
	s_delay_alu instid0(VALU_DEP_1) | instskip(SKIP_4) | instid1(VALU_DEP_1)
	v_cmp_le_i32_e64 s3, s21, v8
	s_wait_alu 0xfffe
	s_or_b32 s29, s3, s29
	s_wait_dscnt 0x0
	v_sub_f32_e32 v9, v9, v1
	v_mul_f32_e32 v9, 0x3fb8aa3b, v9
	s_delay_alu instid0(VALU_DEP_1)
	v_exp_f32_e32 v9, v9
	ds_store_b32 v7, v9
	v_dual_add_f32 v6, v6, v9 :: v_dual_add_nc_u32 v7, 0x200, v7
	s_wait_alu 0xfffe
	s_and_not1_b32 exec_lo, exec_lo, s29
	s_cbranch_execnz .LBB57_15
; %bb.16:
	s_or_b32 exec_lo, exec_lo, s29
.LBB57_17:
	s_wait_alu 0xfffe
	s_or_b32 exec_lo, exec_lo, s28
	ds_bpermute_b32 v2, v2, v6
	s_wait_dscnt 0x0
	v_add_f32_e32 v2, v6, v2
	ds_bpermute_b32 v3, v3, v2
	s_wait_dscnt 0x0
	v_add_f32_e32 v2, v2, v3
	;; [unrolled: 3-line block ×5, first 2 shown]
	s_and_saveexec_b32 s3, vcc_lo
; %bb.18:
	ds_store_b32 v5, v2 offset:400
; %bb.19:
	s_wait_alu 0xfffe
	s_or_b32 exec_lo, exec_lo, s3
	s_wait_loadcnt_dscnt 0x0
	s_barrier_signal -1
	s_barrier_wait -1
	global_inv scope:SCOPE_SE
	s_and_saveexec_b32 s3, s0
; %bb.20:
	ds_load_b32 v2, v101 offset:400
; %bb.21:
	s_wait_alu 0xfffe
	s_or_b32 exec_lo, exec_lo, s3
	s_wait_dscnt 0x0
	ds_bpermute_b32 v3, v107, v2
	s_wait_dscnt 0x0
	v_add_f32_e32 v2, v2, v3
	ds_bpermute_b32 v3, v106, v2
	s_wait_dscnt 0x0
	v_dual_add_f32 v2, v2, v3 :: v_dual_mov_b32 v3, 0
	ds_bpermute_b32 v2, v3, v2
	s_and_saveexec_b32 s0, s1
	s_cbranch_execz .LBB57_24
; %bb.22:
	s_wait_dscnt 0x0
	v_add_f32_e32 v3, 0x358637bd, v2
	s_mov_b32 s1, 0
	s_delay_alu instid0(VALU_DEP_1) | instskip(SKIP_1) | instid1(VALU_DEP_2)
	v_div_scale_f32 v5, null, v3, v3, 1.0
	v_div_scale_f32 v8, vcc_lo, 1.0, v3, 1.0
	v_rcp_f32_e32 v6, v5
	s_delay_alu instid0(TRANS32_DEP_1) | instskip(NEXT) | instid1(VALU_DEP_1)
	v_fma_f32 v7, -v5, v6, 1.0
	v_fmac_f32_e32 v6, v7, v6
	s_delay_alu instid0(VALU_DEP_1) | instskip(NEXT) | instid1(VALU_DEP_1)
	v_mul_f32_e32 v7, v8, v6
	v_fma_f32 v9, -v5, v7, v8
	s_delay_alu instid0(VALU_DEP_1) | instskip(NEXT) | instid1(VALU_DEP_1)
	v_fmac_f32_e32 v7, v9, v6
	v_fma_f32 v5, -v5, v7, v8
	s_wait_alu 0xfffd
	s_delay_alu instid0(VALU_DEP_1) | instskip(NEXT) | instid1(VALU_DEP_1)
	v_div_fmas_f32 v5, v5, v6, v7
	v_div_fixup_f32 v3, v5, v3, 1.0
	v_mov_b32_e32 v5, v0
.LBB57_23:                              ; =>This Inner Loop Header: Depth=1
	ds_load_b32 v6, v4
	s_wait_dscnt 0x0
	v_dual_mul_f32 v6, v3, v6 :: v_dual_add_nc_u32 v5, 0x80, v5
	s_delay_alu instid0(VALU_DEP_1) | instskip(SKIP_3) | instid1(SALU_CYCLE_1)
	v_cmp_le_i32_e32 vcc_lo, s21, v5
	ds_store_b32 v4, v6
	v_add_nc_u32_e32 v4, 0x200, v4
	s_or_b32 s1, vcc_lo, s1
	s_and_not1_b32 exec_lo, exec_lo, s1
	s_cbranch_execnz .LBB57_23
.LBB57_24:
	s_or_b32 exec_lo, exec_lo, s0
	s_mul_i32 s0, s8, s14
	s_wait_loadcnt_dscnt 0x0
	s_mul_i32 s14, s0, s15
	s_mov_b32 s0, exec_lo
	s_barrier_signal -1
	s_barrier_wait -1
	global_inv scope:SCOPE_SE
	v_cmpx_eq_u32_e32 0, v0
	s_cbranch_execz .LBB57_26
; %bb.25:
	s_ashr_i32 s15, s14, 31
	s_mul_i32 s28, s8, ttmp9
	s_lshl_b32 s1, s24, 2
	s_lshl_b64 s[30:31], s[14:15], 2
	s_wait_alu 0xfffe
	s_ashr_i32 s29, s28, 31
	v_mov_b32_e32 v3, s1
	s_wait_kmcnt 0x0
	s_add_nc_u64 s[6:7], s[6:7], s[30:31]
	s_wait_alu 0xfffe
	s_lshl_b64 s[28:29], s[28:29], 2
	s_add_nc_u64 s[4:5], s[4:5], s[30:31]
	s_wait_alu 0xfffe
	s_add_nc_u64 s[6:7], s[6:7], s[28:29]
	s_add_nc_u64 s[4:5], s[4:5], s[28:29]
	s_clause 0x1
	global_store_b32 v3, v1, s[6:7]
	global_store_b32 v3, v2, s[4:5]
.LBB57_26:
	s_or_b32 exec_lo, exec_lo, s0
	v_dual_mov_b32 v131, 0 :: v_dual_mov_b32 v132, 0
	v_dual_mov_b32 v130, 0 :: v_dual_and_b32 v109, 7, v0
	v_dual_mov_b32 v133, 0 :: v_dual_mov_b32 v128, 0
	v_dual_mov_b32 v129, 0 :: v_dual_mov_b32 v126, 0
	;; [unrolled: 1-line block ×10, first 2 shown]
	v_mov_b32_e32 v111, 0
	s_and_saveexec_b32 s1, s2
	s_cbranch_execz .LBB57_78
; %bb.27:
	s_ashr_i32 s21, s20, 31
	v_dual_mov_b32 v114, 0 :: v_dual_and_b32 v3, 0x1f0, v99
	s_wait_alu 0xfffe
	s_lshl_b64 s[2:3], s[20:21], 2
	v_dual_mov_b32 v110, 0 :: v_dual_lshlrev_b32 v1, 2, v0
	v_dual_mov_b32 v111, 0 :: v_dual_lshlrev_b32 v2, 4, v109
	s_wait_kmcnt 0x0
	s_wait_alu 0xfffe
	s_add_nc_u64 s[2:3], s[22:23], s[2:3]
	v_dual_mov_b32 v112, 0 :: v_dual_and_b32 v1, 28, v1
	s_wait_alu 0xfffe
	v_add_co_u32 v134, s0, s2, v3
	s_wait_alu 0xf1ff
	v_add_co_ci_u32_e64 v135, null, s3, 0, s0
	s_lshl_b64 s[2:3], s[18:19], 2
	v_lshl_add_u32 v4, v103, 5, s26
	v_lshl_or_b32 v2, v103, 7, v2
	s_wait_alu 0xfffe
	s_add_nc_u64 s[2:3], s[16:17], s[2:3]
	v_dual_mov_b32 v113, 0 :: v_dual_mov_b32 v118, 0
	s_wait_alu 0xfffe
	v_add_co_u32 v101, s0, s2, v100
	v_add3_u32 v136, v4, v1, 3
	v_dual_mov_b32 v116, 0 :: v_dual_add_nc_u32 v137, 0x1a0, v2
	s_wait_alu 0xf1ff
	v_add_co_ci_u32_e64 v102, null, s3, 0, s0
	v_dual_mov_b32 v115, 0 :: v_dual_mov_b32 v120, 0
	v_dual_mov_b32 v117, 0 :: v_dual_mov_b32 v122, 0
	v_dual_mov_b32 v119, 0 :: v_dual_mov_b32 v124, 0
	v_dual_mov_b32 v121, 0 :: v_dual_mov_b32 v126, 0
	v_dual_mov_b32 v123, 0 :: v_dual_mov_b32 v128, 0
	v_dual_mov_b32 v125, 0 :: v_dual_mov_b32 v130, 0
	v_dual_mov_b32 v127, 0 :: v_dual_mov_b32 v132, 0
	v_mov_b32_e32 v129, 0
	v_mov_b32_e32 v133, 0
	;; [unrolled: 1-line block ×3, first 2 shown]
	s_mov_b32 s2, s9
	s_add_co_i32 s4, s27, -1
	s_mov_b32 s3, 0
	s_branch .LBB57_29
.LBB57_28:                              ;   in Loop: Header=BB57_29 Depth=1
	s_wait_alu 0xfffe
	s_or_b32 exec_lo, exec_lo, s0
	s_wait_loadcnt_dscnt 0x1500
	v_mul_f32_e32 v13, v1, v13
	s_wait_loadcnt 0x6
	v_mul_f32_e32 v73, v1, v73
	s_wait_loadcnt 0x1
	v_dual_mul_f32 v97, v1, v97 :: v_dual_add_nc_u32 v136, 0x80, v136
	v_mul_f32_e32 v93, v1, v93
	v_fmac_f32_e32 v13, v2, v14
	v_mul_f32_e32 v89, v1, v89
	v_mul_f32_e32 v85, v1, v85
	;; [unrolled: 1-line block ×4, first 2 shown]
	v_fmac_f32_e32 v13, v3, v15
	v_mul_f32_e32 v65, v1, v65
	v_mul_f32_e32 v61, v1, v61
	;; [unrolled: 1-line block ×15, first 2 shown]
	s_wait_loadcnt 0x0
	v_mul_f32_e32 v1, v1, v77
	v_fmac_f32_e32 v13, v4, v16
	v_fmac_f32_e32 v73, v2, v74
	;; [unrolled: 1-line block ×4, first 2 shown]
	s_delay_alu instid0(VALU_DEP_4) | instskip(NEXT) | instid1(VALU_DEP_4)
	v_dual_fmac_f32 v1, v2, v78 :: v_dual_add_f32 v132, v132, v13
	v_fmac_f32_e32 v73, v3, v75
	s_delay_alu instid0(VALU_DEP_4)
	v_fmac_f32_e32 v65, v3, v67
	v_fmac_f32_e32 v57, v2, v58
	;; [unrolled: 1-line block ×9, first 2 shown]
	s_delay_alu instid0(VALU_DEP_4)
	v_dual_add_f32 v116, v116, v73 :: v_dual_fmac_f32 v93, v3, v95
	v_fmac_f32_e32 v49, v2, v50
	v_fmac_f32_e32 v57, v3, v59
	;; [unrolled: 1-line block ×9, first 2 shown]
	v_dual_add_f32 v118, v118, v65 :: v_dual_fmac_f32 v93, v4, v96
	s_delay_alu instid0(VALU_DEP_4)
	v_add_f32_e32 v110, v110, v1
	v_fmac_f32_e32 v97, v2, v98
	v_fmac_f32_e32 v53, v2, v54
	;; [unrolled: 1-line block ×5, first 2 shown]
	v_dual_fmac_f32 v89, v2, v90 :: v_dual_add_f32 v124, v124, v41
	v_fmac_f32_e32 v37, v2, v38
	v_fmac_f32_e32 v29, v2, v30
	v_fmac_f32_e32 v21, v2, v22
	v_fmac_f32_e32 v33, v4, v36
	v_fmac_f32_e32 v85, v3, v87
	v_fmac_f32_e32 v25, v4, v28
	v_fmac_f32_e32 v81, v2, v82
	v_fmac_f32_e32 v17, v2, v18
	v_fmac_f32_e32 v9, v2, v10
	v_dual_fmac_f32 v5, v2, v6 :: v_dual_add_f32 v112, v112, v93
	v_fmac_f32_e32 v69, v3, v71
	v_fmac_f32_e32 v61, v3, v63
	;; [unrolled: 1-line block ×5, first 2 shown]
	v_dual_add_f32 v120, v120, v57 :: v_dual_fmac_f32 v89, v3, v91
	v_fmac_f32_e32 v37, v3, v39
	v_fmac_f32_e32 v29, v3, v31
	v_dual_fmac_f32 v21, v3, v23 :: v_dual_add_f32 v126, v126, v33
	v_fmac_f32_e32 v85, v4, v88
	v_dual_fmac_f32 v97, v3, v99 :: v_dual_add_f32 v128, v128, v25
	v_fmac_f32_e32 v81, v3, v83
	v_fmac_f32_e32 v17, v3, v19
	v_fmac_f32_e32 v9, v3, v11
	v_fmac_f32_e32 v5, v3, v7
	v_add_nc_u32_e32 v105, 4, v105
	v_dual_add_f32 v114, v114, v85 :: v_dual_fmac_f32 v81, v4, v84
	v_fmac_f32_e32 v69, v4, v72
	v_fmac_f32_e32 v61, v4, v64
	;; [unrolled: 1-line block ×3, first 2 shown]
	v_dual_fmac_f32 v45, v4, v48 :: v_dual_add_f32 v122, v122, v49
	v_fmac_f32_e32 v89, v4, v92
	v_fmac_f32_e32 v37, v4, v40
	;; [unrolled: 1-line block ×8, first 2 shown]
	v_cmp_le_i32_e32 vcc_lo, s13, v105
	v_add_co_u32 v101, s0, v101, 16
	v_add_f32_e32 v113, v113, v89
	v_add_f32_e32 v115, v115, v81
	;; [unrolled: 1-line block ×13, first 2 shown]
	v_add_nc_u32_e32 v137, 0x200, v137
	s_wait_alu 0xf1ff
	v_add_co_ci_u32_e64 v102, null, 0, v102, s0
	s_or_b32 s3, vcc_lo, s3
	s_wait_alu 0xfffe
	s_and_not1_b32 exec_lo, exec_lo, s3
	s_cbranch_execz .LBB57_77
.LBB57_29:                              ; =>This Inner Loop Header: Depth=1
	global_load_b32 v1, v[101:102], off
	v_add_nc_u32_e32 v138, -3, v136
	v_add_nc_u32_e32 v140, -2, v136
	;; [unrolled: 1-line block ×3, first 2 shown]
	s_wait_loadcnt 0x0
	s_wait_alu 0xfffe
	v_mad_co_i64_i32 v[1:2], null, v1, s2, 0
	s_delay_alu instid0(VALU_DEP_1) | instskip(NEXT) | instid1(VALU_DEP_1)
	v_lshlrev_b64_e32 v[1:2], 2, v[1:2]
	v_add_co_u32 v77, vcc_lo, v134, v1
	s_wait_alu 0xfffd
	s_delay_alu instid0(VALU_DEP_2)
	v_add_co_ci_u32_e64 v78, null, v135, v2, vcc_lo
	ds_load_b128 v[1:4], v137
	v_cmp_eq_u32_e32 vcc_lo, s4, v105
	global_load_b128 v[5:8], v[77:78], off
	s_and_saveexec_b32 s5, vcc_lo
	s_cbranch_execnz .LBB57_53
; %bb.30:                               ;   in Loop: Header=BB57_29 Depth=1
	s_wait_alu 0xfffe
	s_or_b32 exec_lo, exec_lo, s5
	global_load_b128 v[9:12], v[77:78], off offset:512
	s_and_saveexec_b32 s5, vcc_lo
	s_cbranch_execnz .LBB57_54
.LBB57_31:                              ;   in Loop: Header=BB57_29 Depth=1
	s_wait_alu 0xfffe
	s_or_b32 exec_lo, exec_lo, s5
	global_load_b128 v[13:16], v[77:78], off offset:1024
	s_and_saveexec_b32 s5, vcc_lo
	s_cbranch_execnz .LBB57_55
.LBB57_32:                              ;   in Loop: Header=BB57_29 Depth=1
	s_wait_alu 0xfffe
	s_or_b32 exec_lo, exec_lo, s5
	global_load_b128 v[17:20], v[77:78], off offset:1536
	s_and_saveexec_b32 s5, vcc_lo
	s_cbranch_execnz .LBB57_56
.LBB57_33:                              ;   in Loop: Header=BB57_29 Depth=1
	s_wait_alu 0xfffe
	s_or_b32 exec_lo, exec_lo, s5
	global_load_b128 v[21:24], v[77:78], off offset:2048
	s_and_saveexec_b32 s5, vcc_lo
	s_cbranch_execnz .LBB57_57
.LBB57_34:                              ;   in Loop: Header=BB57_29 Depth=1
	s_wait_alu 0xfffe
	s_or_b32 exec_lo, exec_lo, s5
	global_load_b128 v[25:28], v[77:78], off offset:2560
	s_and_saveexec_b32 s5, vcc_lo
	s_cbranch_execnz .LBB57_58
.LBB57_35:                              ;   in Loop: Header=BB57_29 Depth=1
	s_wait_alu 0xfffe
	s_or_b32 exec_lo, exec_lo, s5
	global_load_b128 v[29:32], v[77:78], off offset:3072
	s_and_saveexec_b32 s5, vcc_lo
	s_cbranch_execnz .LBB57_59
.LBB57_36:                              ;   in Loop: Header=BB57_29 Depth=1
	s_wait_alu 0xfffe
	s_or_b32 exec_lo, exec_lo, s5
	global_load_b128 v[33:36], v[77:78], off offset:3584
	s_and_saveexec_b32 s5, vcc_lo
	s_cbranch_execnz .LBB57_60
.LBB57_37:                              ;   in Loop: Header=BB57_29 Depth=1
	s_wait_alu 0xfffe
	s_or_b32 exec_lo, exec_lo, s5
	global_load_b128 v[37:40], v[77:78], off offset:4096
	s_and_saveexec_b32 s5, vcc_lo
	s_cbranch_execnz .LBB57_61
.LBB57_38:                              ;   in Loop: Header=BB57_29 Depth=1
	s_wait_alu 0xfffe
	s_or_b32 exec_lo, exec_lo, s5
	global_load_b128 v[41:44], v[77:78], off offset:4608
	s_and_saveexec_b32 s5, vcc_lo
	s_cbranch_execnz .LBB57_62
.LBB57_39:                              ;   in Loop: Header=BB57_29 Depth=1
	s_wait_alu 0xfffe
	s_or_b32 exec_lo, exec_lo, s5
	global_load_b128 v[45:48], v[77:78], off offset:5120
	s_and_saveexec_b32 s5, vcc_lo
	s_cbranch_execnz .LBB57_63
.LBB57_40:                              ;   in Loop: Header=BB57_29 Depth=1
	s_wait_alu 0xfffe
	s_or_b32 exec_lo, exec_lo, s5
	global_load_b128 v[49:52], v[77:78], off offset:5632
	s_and_saveexec_b32 s5, vcc_lo
	s_cbranch_execnz .LBB57_64
.LBB57_41:                              ;   in Loop: Header=BB57_29 Depth=1
	s_wait_alu 0xfffe
	s_or_b32 exec_lo, exec_lo, s5
	global_load_b128 v[53:56], v[77:78], off offset:6144
	s_and_saveexec_b32 s5, vcc_lo
	s_cbranch_execnz .LBB57_65
.LBB57_42:                              ;   in Loop: Header=BB57_29 Depth=1
	s_wait_alu 0xfffe
	s_or_b32 exec_lo, exec_lo, s5
	global_load_b128 v[57:60], v[77:78], off offset:6656
	s_and_saveexec_b32 s5, vcc_lo
	s_cbranch_execnz .LBB57_66
.LBB57_43:                              ;   in Loop: Header=BB57_29 Depth=1
	s_wait_alu 0xfffe
	s_or_b32 exec_lo, exec_lo, s5
	global_load_b128 v[61:64], v[77:78], off offset:7168
	s_and_saveexec_b32 s5, vcc_lo
	s_cbranch_execnz .LBB57_67
.LBB57_44:                              ;   in Loop: Header=BB57_29 Depth=1
	s_wait_alu 0xfffe
	s_or_b32 exec_lo, exec_lo, s5
	global_load_b128 v[65:68], v[77:78], off offset:7680
	s_and_saveexec_b32 s5, vcc_lo
	s_cbranch_execnz .LBB57_68
.LBB57_45:                              ;   in Loop: Header=BB57_29 Depth=1
	s_wait_alu 0xfffe
	s_or_b32 exec_lo, exec_lo, s5
	global_load_b128 v[69:72], v[77:78], off offset:8192
	s_and_saveexec_b32 s5, vcc_lo
	s_cbranch_execnz .LBB57_69
.LBB57_46:                              ;   in Loop: Header=BB57_29 Depth=1
	s_wait_alu 0xfffe
	s_or_b32 exec_lo, exec_lo, s5
	global_load_b128 v[73:76], v[77:78], off offset:8704
	s_and_saveexec_b32 s5, vcc_lo
	s_cbranch_execnz .LBB57_70
.LBB57_47:                              ;   in Loop: Header=BB57_29 Depth=1
	s_wait_alu 0xfffe
	s_or_b32 exec_lo, exec_lo, s5
	global_load_b128 v[81:84], v[77:78], off offset:9216
	s_and_saveexec_b32 s5, vcc_lo
	s_cbranch_execnz .LBB57_71
.LBB57_48:                              ;   in Loop: Header=BB57_29 Depth=1
	s_wait_alu 0xfffe
	s_or_b32 exec_lo, exec_lo, s5
	global_load_b128 v[85:88], v[77:78], off offset:9728
	s_and_saveexec_b32 s5, vcc_lo
	s_cbranch_execnz .LBB57_72
.LBB57_49:                              ;   in Loop: Header=BB57_29 Depth=1
	s_wait_alu 0xfffe
	s_or_b32 exec_lo, exec_lo, s5
	global_load_b128 v[89:92], v[77:78], off offset:10240
	s_and_saveexec_b32 s5, vcc_lo
	s_cbranch_execnz .LBB57_73
.LBB57_50:                              ;   in Loop: Header=BB57_29 Depth=1
	s_wait_alu 0xfffe
	s_or_b32 exec_lo, exec_lo, s5
	global_load_b128 v[93:96], v[77:78], off offset:10752
	s_and_saveexec_b32 s5, vcc_lo
	s_cbranch_execnz .LBB57_74
.LBB57_51:                              ;   in Loop: Header=BB57_29 Depth=1
	s_wait_alu 0xfffe
	s_or_b32 exec_lo, exec_lo, s5
	global_load_b128 v[97:100], v[77:78], off offset:11264
	s_and_saveexec_b32 s5, vcc_lo
	s_cbranch_execnz .LBB57_75
.LBB57_52:                              ;   in Loop: Header=BB57_29 Depth=1
	s_wait_alu 0xfffe
	s_or_b32 exec_lo, exec_lo, s5
	global_load_b128 v[77:80], v[77:78], off offset:11776
	s_and_saveexec_b32 s0, vcc_lo
	s_cbranch_execz .LBB57_28
	s_branch .LBB57_76
.LBB57_53:                              ;   in Loop: Header=BB57_29 Depth=1
	v_cmp_gt_i32_e64 s0, s25, v138
	s_wait_loadcnt 0x0
	s_wait_alu 0xf1ff
	s_delay_alu instid0(VALU_DEP_1) | instskip(SKIP_2) | instid1(VALU_DEP_1)
	v_cndmask_b32_e64 v5, 0, v5, s0
	v_cmp_gt_i32_e64 s0, s25, v140
	s_wait_alu 0xf1ff
	v_cndmask_b32_e64 v6, 0, v6, s0
	v_cmp_gt_i32_e64 s0, s25, v139
	s_wait_alu 0xf1ff
	s_delay_alu instid0(VALU_DEP_1) | instskip(SKIP_2) | instid1(VALU_DEP_1)
	v_cndmask_b32_e64 v7, 0, v7, s0
	v_cmp_gt_i32_e64 s0, s25, v136
	s_wait_alu 0xf1ff
	v_cndmask_b32_e64 v8, 0, v8, s0
	s_wait_alu 0xfffe
	s_or_b32 exec_lo, exec_lo, s5
	global_load_b128 v[9:12], v[77:78], off offset:512
	s_and_saveexec_b32 s5, vcc_lo
	s_cbranch_execz .LBB57_31
.LBB57_54:                              ;   in Loop: Header=BB57_29 Depth=1
	v_cmp_gt_i32_e64 s0, s25, v138
	s_wait_loadcnt 0x0
	s_wait_alu 0xf1ff
	s_delay_alu instid0(VALU_DEP_1) | instskip(SKIP_2) | instid1(VALU_DEP_1)
	v_cndmask_b32_e64 v9, 0, v9, s0
	v_cmp_gt_i32_e64 s0, s25, v140
	s_wait_alu 0xf1ff
	v_cndmask_b32_e64 v10, 0, v10, s0
	v_cmp_gt_i32_e64 s0, s25, v139
	s_wait_alu 0xf1ff
	s_delay_alu instid0(VALU_DEP_1) | instskip(SKIP_2) | instid1(VALU_DEP_1)
	v_cndmask_b32_e64 v11, 0, v11, s0
	v_cmp_gt_i32_e64 s0, s25, v136
	s_wait_alu 0xf1ff
	v_cndmask_b32_e64 v12, 0, v12, s0
	s_wait_alu 0xfffe
	s_or_b32 exec_lo, exec_lo, s5
	global_load_b128 v[13:16], v[77:78], off offset:1024
	s_and_saveexec_b32 s5, vcc_lo
	s_cbranch_execz .LBB57_32
.LBB57_55:                              ;   in Loop: Header=BB57_29 Depth=1
	v_cmp_gt_i32_e64 s0, s25, v138
	s_wait_loadcnt 0x0
	s_wait_alu 0xf1ff
	s_delay_alu instid0(VALU_DEP_1) | instskip(SKIP_2) | instid1(VALU_DEP_1)
	v_cndmask_b32_e64 v13, 0, v13, s0
	v_cmp_gt_i32_e64 s0, s25, v140
	s_wait_alu 0xf1ff
	v_cndmask_b32_e64 v14, 0, v14, s0
	v_cmp_gt_i32_e64 s0, s25, v139
	s_wait_alu 0xf1ff
	s_delay_alu instid0(VALU_DEP_1) | instskip(SKIP_2) | instid1(VALU_DEP_1)
	v_cndmask_b32_e64 v15, 0, v15, s0
	v_cmp_gt_i32_e64 s0, s25, v136
	s_wait_alu 0xf1ff
	v_cndmask_b32_e64 v16, 0, v16, s0
	s_wait_alu 0xfffe
	s_or_b32 exec_lo, exec_lo, s5
	global_load_b128 v[17:20], v[77:78], off offset:1536
	s_and_saveexec_b32 s5, vcc_lo
	s_cbranch_execz .LBB57_33
.LBB57_56:                              ;   in Loop: Header=BB57_29 Depth=1
	v_cmp_gt_i32_e64 s0, s25, v138
	s_wait_loadcnt 0x0
	s_wait_alu 0xf1ff
	s_delay_alu instid0(VALU_DEP_1) | instskip(SKIP_2) | instid1(VALU_DEP_1)
	v_cndmask_b32_e64 v17, 0, v17, s0
	v_cmp_gt_i32_e64 s0, s25, v140
	s_wait_alu 0xf1ff
	v_cndmask_b32_e64 v18, 0, v18, s0
	v_cmp_gt_i32_e64 s0, s25, v139
	s_wait_alu 0xf1ff
	s_delay_alu instid0(VALU_DEP_1) | instskip(SKIP_2) | instid1(VALU_DEP_1)
	v_cndmask_b32_e64 v19, 0, v19, s0
	v_cmp_gt_i32_e64 s0, s25, v136
	s_wait_alu 0xf1ff
	v_cndmask_b32_e64 v20, 0, v20, s0
	s_wait_alu 0xfffe
	s_or_b32 exec_lo, exec_lo, s5
	global_load_b128 v[21:24], v[77:78], off offset:2048
	s_and_saveexec_b32 s5, vcc_lo
	s_cbranch_execz .LBB57_34
.LBB57_57:                              ;   in Loop: Header=BB57_29 Depth=1
	v_cmp_gt_i32_e64 s0, s25, v138
	s_wait_loadcnt 0x0
	s_wait_alu 0xf1ff
	s_delay_alu instid0(VALU_DEP_1) | instskip(SKIP_2) | instid1(VALU_DEP_1)
	v_cndmask_b32_e64 v21, 0, v21, s0
	v_cmp_gt_i32_e64 s0, s25, v140
	s_wait_alu 0xf1ff
	v_cndmask_b32_e64 v22, 0, v22, s0
	v_cmp_gt_i32_e64 s0, s25, v139
	s_wait_alu 0xf1ff
	s_delay_alu instid0(VALU_DEP_1) | instskip(SKIP_2) | instid1(VALU_DEP_1)
	v_cndmask_b32_e64 v23, 0, v23, s0
	v_cmp_gt_i32_e64 s0, s25, v136
	s_wait_alu 0xf1ff
	v_cndmask_b32_e64 v24, 0, v24, s0
	s_wait_alu 0xfffe
	s_or_b32 exec_lo, exec_lo, s5
	global_load_b128 v[25:28], v[77:78], off offset:2560
	s_and_saveexec_b32 s5, vcc_lo
	s_cbranch_execz .LBB57_35
.LBB57_58:                              ;   in Loop: Header=BB57_29 Depth=1
	v_cmp_gt_i32_e64 s0, s25, v138
	s_wait_loadcnt 0x0
	s_wait_alu 0xf1ff
	s_delay_alu instid0(VALU_DEP_1) | instskip(SKIP_2) | instid1(VALU_DEP_1)
	v_cndmask_b32_e64 v25, 0, v25, s0
	v_cmp_gt_i32_e64 s0, s25, v140
	s_wait_alu 0xf1ff
	v_cndmask_b32_e64 v26, 0, v26, s0
	v_cmp_gt_i32_e64 s0, s25, v139
	s_wait_alu 0xf1ff
	s_delay_alu instid0(VALU_DEP_1) | instskip(SKIP_2) | instid1(VALU_DEP_1)
	v_cndmask_b32_e64 v27, 0, v27, s0
	v_cmp_gt_i32_e64 s0, s25, v136
	s_wait_alu 0xf1ff
	v_cndmask_b32_e64 v28, 0, v28, s0
	s_wait_alu 0xfffe
	s_or_b32 exec_lo, exec_lo, s5
	global_load_b128 v[29:32], v[77:78], off offset:3072
	s_and_saveexec_b32 s5, vcc_lo
	s_cbranch_execz .LBB57_36
.LBB57_59:                              ;   in Loop: Header=BB57_29 Depth=1
	v_cmp_gt_i32_e64 s0, s25, v138
	s_wait_loadcnt 0x0
	s_wait_alu 0xf1ff
	s_delay_alu instid0(VALU_DEP_1) | instskip(SKIP_2) | instid1(VALU_DEP_1)
	v_cndmask_b32_e64 v29, 0, v29, s0
	v_cmp_gt_i32_e64 s0, s25, v140
	s_wait_alu 0xf1ff
	v_cndmask_b32_e64 v30, 0, v30, s0
	v_cmp_gt_i32_e64 s0, s25, v139
	s_wait_alu 0xf1ff
	s_delay_alu instid0(VALU_DEP_1) | instskip(SKIP_2) | instid1(VALU_DEP_1)
	v_cndmask_b32_e64 v31, 0, v31, s0
	v_cmp_gt_i32_e64 s0, s25, v136
	s_wait_alu 0xf1ff
	v_cndmask_b32_e64 v32, 0, v32, s0
	s_wait_alu 0xfffe
	s_or_b32 exec_lo, exec_lo, s5
	global_load_b128 v[33:36], v[77:78], off offset:3584
	s_and_saveexec_b32 s5, vcc_lo
	s_cbranch_execz .LBB57_37
.LBB57_60:                              ;   in Loop: Header=BB57_29 Depth=1
	v_cmp_gt_i32_e64 s0, s25, v138
	s_wait_loadcnt 0x0
	s_wait_alu 0xf1ff
	s_delay_alu instid0(VALU_DEP_1) | instskip(SKIP_2) | instid1(VALU_DEP_1)
	v_cndmask_b32_e64 v33, 0, v33, s0
	v_cmp_gt_i32_e64 s0, s25, v140
	s_wait_alu 0xf1ff
	v_cndmask_b32_e64 v34, 0, v34, s0
	v_cmp_gt_i32_e64 s0, s25, v139
	s_wait_alu 0xf1ff
	s_delay_alu instid0(VALU_DEP_1) | instskip(SKIP_2) | instid1(VALU_DEP_1)
	v_cndmask_b32_e64 v35, 0, v35, s0
	v_cmp_gt_i32_e64 s0, s25, v136
	s_wait_alu 0xf1ff
	v_cndmask_b32_e64 v36, 0, v36, s0
	s_wait_alu 0xfffe
	s_or_b32 exec_lo, exec_lo, s5
	global_load_b128 v[37:40], v[77:78], off offset:4096
	s_and_saveexec_b32 s5, vcc_lo
	s_cbranch_execz .LBB57_38
.LBB57_61:                              ;   in Loop: Header=BB57_29 Depth=1
	v_cmp_gt_i32_e64 s0, s25, v138
	s_wait_loadcnt 0x0
	s_wait_alu 0xf1ff
	s_delay_alu instid0(VALU_DEP_1) | instskip(SKIP_2) | instid1(VALU_DEP_1)
	v_cndmask_b32_e64 v37, 0, v37, s0
	v_cmp_gt_i32_e64 s0, s25, v140
	s_wait_alu 0xf1ff
	v_cndmask_b32_e64 v38, 0, v38, s0
	v_cmp_gt_i32_e64 s0, s25, v139
	s_wait_alu 0xf1ff
	s_delay_alu instid0(VALU_DEP_1) | instskip(SKIP_2) | instid1(VALU_DEP_1)
	v_cndmask_b32_e64 v39, 0, v39, s0
	v_cmp_gt_i32_e64 s0, s25, v136
	s_wait_alu 0xf1ff
	v_cndmask_b32_e64 v40, 0, v40, s0
	s_wait_alu 0xfffe
	s_or_b32 exec_lo, exec_lo, s5
	global_load_b128 v[41:44], v[77:78], off offset:4608
	s_and_saveexec_b32 s5, vcc_lo
	s_cbranch_execz .LBB57_39
.LBB57_62:                              ;   in Loop: Header=BB57_29 Depth=1
	v_cmp_gt_i32_e64 s0, s25, v138
	s_wait_loadcnt 0x0
	s_wait_alu 0xf1ff
	s_delay_alu instid0(VALU_DEP_1) | instskip(SKIP_2) | instid1(VALU_DEP_1)
	v_cndmask_b32_e64 v41, 0, v41, s0
	v_cmp_gt_i32_e64 s0, s25, v140
	s_wait_alu 0xf1ff
	v_cndmask_b32_e64 v42, 0, v42, s0
	v_cmp_gt_i32_e64 s0, s25, v139
	s_wait_alu 0xf1ff
	s_delay_alu instid0(VALU_DEP_1) | instskip(SKIP_2) | instid1(VALU_DEP_1)
	v_cndmask_b32_e64 v43, 0, v43, s0
	v_cmp_gt_i32_e64 s0, s25, v136
	s_wait_alu 0xf1ff
	v_cndmask_b32_e64 v44, 0, v44, s0
	s_wait_alu 0xfffe
	s_or_b32 exec_lo, exec_lo, s5
	global_load_b128 v[45:48], v[77:78], off offset:5120
	s_and_saveexec_b32 s5, vcc_lo
	s_cbranch_execz .LBB57_40
.LBB57_63:                              ;   in Loop: Header=BB57_29 Depth=1
	v_cmp_gt_i32_e64 s0, s25, v138
	s_wait_loadcnt 0x0
	s_wait_alu 0xf1ff
	s_delay_alu instid0(VALU_DEP_1) | instskip(SKIP_2) | instid1(VALU_DEP_1)
	v_cndmask_b32_e64 v45, 0, v45, s0
	v_cmp_gt_i32_e64 s0, s25, v140
	s_wait_alu 0xf1ff
	v_cndmask_b32_e64 v46, 0, v46, s0
	v_cmp_gt_i32_e64 s0, s25, v139
	s_wait_alu 0xf1ff
	s_delay_alu instid0(VALU_DEP_1) | instskip(SKIP_2) | instid1(VALU_DEP_1)
	v_cndmask_b32_e64 v47, 0, v47, s0
	v_cmp_gt_i32_e64 s0, s25, v136
	s_wait_alu 0xf1ff
	v_cndmask_b32_e64 v48, 0, v48, s0
	s_wait_alu 0xfffe
	s_or_b32 exec_lo, exec_lo, s5
	global_load_b128 v[49:52], v[77:78], off offset:5632
	s_and_saveexec_b32 s5, vcc_lo
	s_cbranch_execz .LBB57_41
.LBB57_64:                              ;   in Loop: Header=BB57_29 Depth=1
	v_cmp_gt_i32_e64 s0, s25, v138
	s_wait_loadcnt 0x0
	s_wait_alu 0xf1ff
	s_delay_alu instid0(VALU_DEP_1) | instskip(SKIP_2) | instid1(VALU_DEP_1)
	v_cndmask_b32_e64 v49, 0, v49, s0
	v_cmp_gt_i32_e64 s0, s25, v140
	s_wait_alu 0xf1ff
	v_cndmask_b32_e64 v50, 0, v50, s0
	v_cmp_gt_i32_e64 s0, s25, v139
	s_wait_alu 0xf1ff
	s_delay_alu instid0(VALU_DEP_1) | instskip(SKIP_2) | instid1(VALU_DEP_1)
	v_cndmask_b32_e64 v51, 0, v51, s0
	v_cmp_gt_i32_e64 s0, s25, v136
	s_wait_alu 0xf1ff
	v_cndmask_b32_e64 v52, 0, v52, s0
	s_wait_alu 0xfffe
	s_or_b32 exec_lo, exec_lo, s5
	global_load_b128 v[53:56], v[77:78], off offset:6144
	s_and_saveexec_b32 s5, vcc_lo
	s_cbranch_execz .LBB57_42
.LBB57_65:                              ;   in Loop: Header=BB57_29 Depth=1
	v_cmp_gt_i32_e64 s0, s25, v138
	s_wait_loadcnt 0x0
	s_wait_alu 0xf1ff
	s_delay_alu instid0(VALU_DEP_1) | instskip(SKIP_2) | instid1(VALU_DEP_1)
	v_cndmask_b32_e64 v53, 0, v53, s0
	v_cmp_gt_i32_e64 s0, s25, v140
	s_wait_alu 0xf1ff
	v_cndmask_b32_e64 v54, 0, v54, s0
	v_cmp_gt_i32_e64 s0, s25, v139
	s_wait_alu 0xf1ff
	s_delay_alu instid0(VALU_DEP_1) | instskip(SKIP_2) | instid1(VALU_DEP_1)
	v_cndmask_b32_e64 v55, 0, v55, s0
	v_cmp_gt_i32_e64 s0, s25, v136
	s_wait_alu 0xf1ff
	v_cndmask_b32_e64 v56, 0, v56, s0
	s_wait_alu 0xfffe
	s_or_b32 exec_lo, exec_lo, s5
	global_load_b128 v[57:60], v[77:78], off offset:6656
	s_and_saveexec_b32 s5, vcc_lo
	s_cbranch_execz .LBB57_43
.LBB57_66:                              ;   in Loop: Header=BB57_29 Depth=1
	v_cmp_gt_i32_e64 s0, s25, v138
	s_wait_loadcnt 0x0
	s_wait_alu 0xf1ff
	s_delay_alu instid0(VALU_DEP_1) | instskip(SKIP_2) | instid1(VALU_DEP_1)
	v_cndmask_b32_e64 v57, 0, v57, s0
	v_cmp_gt_i32_e64 s0, s25, v140
	s_wait_alu 0xf1ff
	v_cndmask_b32_e64 v58, 0, v58, s0
	v_cmp_gt_i32_e64 s0, s25, v139
	s_wait_alu 0xf1ff
	s_delay_alu instid0(VALU_DEP_1) | instskip(SKIP_2) | instid1(VALU_DEP_1)
	v_cndmask_b32_e64 v59, 0, v59, s0
	v_cmp_gt_i32_e64 s0, s25, v136
	s_wait_alu 0xf1ff
	v_cndmask_b32_e64 v60, 0, v60, s0
	s_wait_alu 0xfffe
	s_or_b32 exec_lo, exec_lo, s5
	global_load_b128 v[61:64], v[77:78], off offset:7168
	s_and_saveexec_b32 s5, vcc_lo
	s_cbranch_execz .LBB57_44
.LBB57_67:                              ;   in Loop: Header=BB57_29 Depth=1
	v_cmp_gt_i32_e64 s0, s25, v138
	s_wait_loadcnt 0x0
	s_wait_alu 0xf1ff
	s_delay_alu instid0(VALU_DEP_1) | instskip(SKIP_2) | instid1(VALU_DEP_1)
	v_cndmask_b32_e64 v61, 0, v61, s0
	v_cmp_gt_i32_e64 s0, s25, v140
	s_wait_alu 0xf1ff
	v_cndmask_b32_e64 v62, 0, v62, s0
	v_cmp_gt_i32_e64 s0, s25, v139
	s_wait_alu 0xf1ff
	s_delay_alu instid0(VALU_DEP_1) | instskip(SKIP_2) | instid1(VALU_DEP_1)
	v_cndmask_b32_e64 v63, 0, v63, s0
	v_cmp_gt_i32_e64 s0, s25, v136
	s_wait_alu 0xf1ff
	v_cndmask_b32_e64 v64, 0, v64, s0
	s_wait_alu 0xfffe
	s_or_b32 exec_lo, exec_lo, s5
	global_load_b128 v[65:68], v[77:78], off offset:7680
	s_and_saveexec_b32 s5, vcc_lo
	s_cbranch_execz .LBB57_45
.LBB57_68:                              ;   in Loop: Header=BB57_29 Depth=1
	v_cmp_gt_i32_e64 s0, s25, v138
	s_wait_loadcnt 0x0
	s_wait_alu 0xf1ff
	s_delay_alu instid0(VALU_DEP_1) | instskip(SKIP_2) | instid1(VALU_DEP_1)
	v_cndmask_b32_e64 v65, 0, v65, s0
	v_cmp_gt_i32_e64 s0, s25, v140
	s_wait_alu 0xf1ff
	v_cndmask_b32_e64 v66, 0, v66, s0
	v_cmp_gt_i32_e64 s0, s25, v139
	s_wait_alu 0xf1ff
	s_delay_alu instid0(VALU_DEP_1) | instskip(SKIP_2) | instid1(VALU_DEP_1)
	v_cndmask_b32_e64 v67, 0, v67, s0
	v_cmp_gt_i32_e64 s0, s25, v136
	s_wait_alu 0xf1ff
	v_cndmask_b32_e64 v68, 0, v68, s0
	s_wait_alu 0xfffe
	s_or_b32 exec_lo, exec_lo, s5
	global_load_b128 v[69:72], v[77:78], off offset:8192
	s_and_saveexec_b32 s5, vcc_lo
	s_cbranch_execz .LBB57_46
.LBB57_69:                              ;   in Loop: Header=BB57_29 Depth=1
	v_cmp_gt_i32_e64 s0, s25, v138
	s_wait_loadcnt 0x0
	s_wait_alu 0xf1ff
	s_delay_alu instid0(VALU_DEP_1) | instskip(SKIP_2) | instid1(VALU_DEP_1)
	v_cndmask_b32_e64 v69, 0, v69, s0
	v_cmp_gt_i32_e64 s0, s25, v140
	s_wait_alu 0xf1ff
	v_cndmask_b32_e64 v70, 0, v70, s0
	v_cmp_gt_i32_e64 s0, s25, v139
	s_wait_alu 0xf1ff
	s_delay_alu instid0(VALU_DEP_1) | instskip(SKIP_2) | instid1(VALU_DEP_1)
	v_cndmask_b32_e64 v71, 0, v71, s0
	v_cmp_gt_i32_e64 s0, s25, v136
	s_wait_alu 0xf1ff
	v_cndmask_b32_e64 v72, 0, v72, s0
	s_wait_alu 0xfffe
	s_or_b32 exec_lo, exec_lo, s5
	global_load_b128 v[73:76], v[77:78], off offset:8704
	s_and_saveexec_b32 s5, vcc_lo
	s_cbranch_execz .LBB57_47
.LBB57_70:                              ;   in Loop: Header=BB57_29 Depth=1
	v_cmp_gt_i32_e64 s0, s25, v138
	s_wait_loadcnt 0x0
	s_wait_alu 0xf1ff
	s_delay_alu instid0(VALU_DEP_1) | instskip(SKIP_2) | instid1(VALU_DEP_1)
	v_cndmask_b32_e64 v73, 0, v73, s0
	v_cmp_gt_i32_e64 s0, s25, v140
	s_wait_alu 0xf1ff
	v_cndmask_b32_e64 v74, 0, v74, s0
	v_cmp_gt_i32_e64 s0, s25, v139
	s_wait_alu 0xf1ff
	s_delay_alu instid0(VALU_DEP_1) | instskip(SKIP_2) | instid1(VALU_DEP_1)
	v_cndmask_b32_e64 v75, 0, v75, s0
	v_cmp_gt_i32_e64 s0, s25, v136
	s_wait_alu 0xf1ff
	v_cndmask_b32_e64 v76, 0, v76, s0
	s_wait_alu 0xfffe
	s_or_b32 exec_lo, exec_lo, s5
	global_load_b128 v[81:84], v[77:78], off offset:9216
	s_and_saveexec_b32 s5, vcc_lo
	s_cbranch_execz .LBB57_48
.LBB57_71:                              ;   in Loop: Header=BB57_29 Depth=1
	v_cmp_gt_i32_e64 s0, s25, v138
	s_wait_loadcnt 0x0
	s_wait_alu 0xf1ff
	s_delay_alu instid0(VALU_DEP_1) | instskip(SKIP_2) | instid1(VALU_DEP_1)
	v_cndmask_b32_e64 v81, 0, v81, s0
	v_cmp_gt_i32_e64 s0, s25, v140
	s_wait_alu 0xf1ff
	v_cndmask_b32_e64 v82, 0, v82, s0
	v_cmp_gt_i32_e64 s0, s25, v139
	s_wait_alu 0xf1ff
	s_delay_alu instid0(VALU_DEP_1) | instskip(SKIP_2) | instid1(VALU_DEP_1)
	v_cndmask_b32_e64 v83, 0, v83, s0
	v_cmp_gt_i32_e64 s0, s25, v136
	s_wait_alu 0xf1ff
	v_cndmask_b32_e64 v84, 0, v84, s0
	s_wait_alu 0xfffe
	s_or_b32 exec_lo, exec_lo, s5
	global_load_b128 v[85:88], v[77:78], off offset:9728
	s_and_saveexec_b32 s5, vcc_lo
	s_cbranch_execz .LBB57_49
.LBB57_72:                              ;   in Loop: Header=BB57_29 Depth=1
	v_cmp_gt_i32_e64 s0, s25, v138
	s_wait_loadcnt 0x0
	s_wait_alu 0xf1ff
	s_delay_alu instid0(VALU_DEP_1) | instskip(SKIP_2) | instid1(VALU_DEP_1)
	v_cndmask_b32_e64 v85, 0, v85, s0
	v_cmp_gt_i32_e64 s0, s25, v140
	s_wait_alu 0xf1ff
	v_cndmask_b32_e64 v86, 0, v86, s0
	v_cmp_gt_i32_e64 s0, s25, v139
	s_wait_alu 0xf1ff
	s_delay_alu instid0(VALU_DEP_1) | instskip(SKIP_2) | instid1(VALU_DEP_1)
	v_cndmask_b32_e64 v87, 0, v87, s0
	v_cmp_gt_i32_e64 s0, s25, v136
	s_wait_alu 0xf1ff
	v_cndmask_b32_e64 v88, 0, v88, s0
	s_wait_alu 0xfffe
	s_or_b32 exec_lo, exec_lo, s5
	global_load_b128 v[89:92], v[77:78], off offset:10240
	s_and_saveexec_b32 s5, vcc_lo
	s_cbranch_execz .LBB57_50
.LBB57_73:                              ;   in Loop: Header=BB57_29 Depth=1
	v_cmp_gt_i32_e64 s0, s25, v138
	s_wait_loadcnt 0x0
	s_wait_alu 0xf1ff
	s_delay_alu instid0(VALU_DEP_1) | instskip(SKIP_2) | instid1(VALU_DEP_1)
	v_cndmask_b32_e64 v89, 0, v89, s0
	v_cmp_gt_i32_e64 s0, s25, v140
	s_wait_alu 0xf1ff
	v_cndmask_b32_e64 v90, 0, v90, s0
	v_cmp_gt_i32_e64 s0, s25, v139
	s_wait_alu 0xf1ff
	s_delay_alu instid0(VALU_DEP_1) | instskip(SKIP_2) | instid1(VALU_DEP_1)
	v_cndmask_b32_e64 v91, 0, v91, s0
	v_cmp_gt_i32_e64 s0, s25, v136
	s_wait_alu 0xf1ff
	v_cndmask_b32_e64 v92, 0, v92, s0
	s_wait_alu 0xfffe
	s_or_b32 exec_lo, exec_lo, s5
	global_load_b128 v[93:96], v[77:78], off offset:10752
	s_and_saveexec_b32 s5, vcc_lo
	s_cbranch_execz .LBB57_51
.LBB57_74:                              ;   in Loop: Header=BB57_29 Depth=1
	v_cmp_gt_i32_e64 s0, s25, v138
	s_wait_loadcnt 0x0
	s_wait_alu 0xf1ff
	s_delay_alu instid0(VALU_DEP_1) | instskip(SKIP_2) | instid1(VALU_DEP_1)
	v_cndmask_b32_e64 v93, 0, v93, s0
	v_cmp_gt_i32_e64 s0, s25, v140
	s_wait_alu 0xf1ff
	v_cndmask_b32_e64 v94, 0, v94, s0
	v_cmp_gt_i32_e64 s0, s25, v139
	s_wait_alu 0xf1ff
	s_delay_alu instid0(VALU_DEP_1) | instskip(SKIP_2) | instid1(VALU_DEP_1)
	v_cndmask_b32_e64 v95, 0, v95, s0
	v_cmp_gt_i32_e64 s0, s25, v136
	s_wait_alu 0xf1ff
	v_cndmask_b32_e64 v96, 0, v96, s0
	s_wait_alu 0xfffe
	s_or_b32 exec_lo, exec_lo, s5
	global_load_b128 v[97:100], v[77:78], off offset:11264
	s_and_saveexec_b32 s5, vcc_lo
	s_cbranch_execz .LBB57_52
.LBB57_75:                              ;   in Loop: Header=BB57_29 Depth=1
	v_cmp_gt_i32_e64 s0, s25, v138
	s_wait_loadcnt 0x0
	s_wait_alu 0xf1ff
	s_delay_alu instid0(VALU_DEP_1) | instskip(SKIP_2) | instid1(VALU_DEP_1)
	v_cndmask_b32_e64 v97, 0, v97, s0
	v_cmp_gt_i32_e64 s0, s25, v140
	s_wait_alu 0xf1ff
	v_cndmask_b32_e64 v98, 0, v98, s0
	v_cmp_gt_i32_e64 s0, s25, v139
	s_wait_alu 0xf1ff
	s_delay_alu instid0(VALU_DEP_1) | instskip(SKIP_2) | instid1(VALU_DEP_1)
	v_cndmask_b32_e64 v99, 0, v99, s0
	v_cmp_gt_i32_e64 s0, s25, v136
	s_wait_alu 0xf1ff
	v_cndmask_b32_e64 v100, 0, v100, s0
	s_wait_alu 0xfffe
	s_or_b32 exec_lo, exec_lo, s5
	global_load_b128 v[77:80], v[77:78], off offset:11776
	s_and_saveexec_b32 s0, vcc_lo
	s_cbranch_execz .LBB57_28
.LBB57_76:                              ;   in Loop: Header=BB57_29 Depth=1
	v_cmp_gt_i32_e32 vcc_lo, s25, v138
	s_wait_loadcnt 0x0
	s_wait_alu 0xfffd
	v_cndmask_b32_e32 v77, 0, v77, vcc_lo
	v_cmp_gt_i32_e32 vcc_lo, s25, v140
	s_wait_alu 0xfffd
	v_cndmask_b32_e32 v78, 0, v78, vcc_lo
	v_cmp_gt_i32_e32 vcc_lo, s25, v139
	;; [unrolled: 3-line block ×3, first 2 shown]
	s_wait_alu 0xfffd
	v_cndmask_b32_e32 v80, 0, v80, vcc_lo
	s_branch .LBB57_28
.LBB57_77:
	s_or_b32 exec_lo, exec_lo, s3
.LBB57_78:
	s_wait_alu 0xfffe
	s_or_b32 exec_lo, exec_lo, s1
	ds_bpermute_b32 v1, v108, v131
	ds_bpermute_b32 v3, v108, v132
	;; [unrolled: 1-line block ×20, first 2 shown]
	s_wait_dscnt 0x13
	v_add_f32_e32 v1, v131, v1
	s_wait_dscnt 0x11
	v_dual_add_f32 v3, v132, v3 :: v_dual_add_f32 v4, v130, v4
	s_wait_dscnt 0x10
	v_add_f32_e32 v2, v133, v2
	s_wait_dscnt 0xf
	v_add_f32_e32 v9, v125, v9
	ds_bpermute_b32 v19, v107, v1
	ds_bpermute_b32 v21, v107, v3
	;; [unrolled: 1-line block ×4, first 2 shown]
	s_wait_dscnt 0x11
	v_dual_add_f32 v7, v127, v7 :: v_dual_add_f32 v8, v126, v8
	s_wait_dscnt 0xf
	v_dual_add_f32 v10, v124, v10 :: v_dual_add_f32 v11, v123, v11
	ds_bpermute_b32 v28, v107, v9
	s_wait_dscnt 0xd
	v_dual_add_f32 v5, v129, v5 :: v_dual_add_f32 v6, v128, v6
	ds_bpermute_b32 v27, v107, v8
	ds_bpermute_b32 v31, v108, v114
	s_wait_dscnt 0xe
	v_add_f32_e32 v13, v121, v13
	s_wait_dscnt 0xb
	v_dual_add_f32 v23, v115, v23 :: v_dual_add_f32 v32, v113, v32
	ds_bpermute_b32 v24, v107, v5
	ds_bpermute_b32 v25, v107, v6
	;; [unrolled: 1-line block ×4, first 2 shown]
	s_wait_dscnt 0xa
	v_add_f32_e32 v1, v1, v19
	s_wait_dscnt 0x9
	v_dual_add_f32 v3, v3, v21 :: v_dual_add_f32 v12, v122, v12
	s_wait_dscnt 0x8
	v_add_f32_e32 v4, v4, v22
	s_wait_dscnt 0x7
	v_add_f32_e32 v2, v2, v20
	ds_bpermute_b32 v19, v106, v1
	ds_bpermute_b32 v21, v106, v3
	;; [unrolled: 1-line block ×5, first 2 shown]
	s_wait_dscnt 0xb
	v_add_f32_e32 v9, v9, v28
	ds_bpermute_b32 v33, v107, v12
	s_wait_dscnt 0xb
	v_add_f32_e32 v8, v8, v27
	ds_bpermute_b32 v40, v107, v32
	v_add_f32_e32 v15, v119, v15
	v_dual_add_f32 v17, v117, v17 :: v_dual_add_f32 v18, v116, v18
	s_wait_dscnt 0xb
	v_add_f32_e32 v31, v114, v31
	s_wait_dscnt 0x9
	v_dual_add_f32 v5, v5, v24 :: v_dual_add_f32 v6, v6, v25
	s_wait_dscnt 0x7
	v_dual_add_f32 v7, v7, v26 :: v_dual_add_f32 v10, v10, v29
	ds_bpermute_b32 v36, v107, v17
	ds_bpermute_b32 v37, v107, v18
	;; [unrolled: 1-line block ×3, first 2 shown]
	s_wait_dscnt 0x9
	v_dual_add_f32 v1, v1, v19 :: v_dual_add_f32 v14, v120, v14
	s_wait_dscnt 0x8
	v_dual_add_f32 v3, v3, v21 :: v_dual_add_f32 v16, v118, v16
	s_wait_dscnt 0x6
	v_add_f32_e32 v4, v4, v22
	ds_bpermute_b32 v19, v108, v112
	ds_bpermute_b32 v21, v108, v111
	;; [unrolled: 1-line block ×3, first 2 shown]
	s_wait_dscnt 0x8
	v_dual_add_f32 v11, v11, v30 :: v_dual_add_f32 v2, v2, v20
	ds_bpermute_b32 v20, v107, v13
	ds_bpermute_b32 v30, v107, v14
	s_wait_dscnt 0x9
	v_add_f32_e32 v12, v12, v33
	ds_bpermute_b32 v33, v107, v15
	ds_bpermute_b32 v35, v107, v16
	s_wait_dscnt 0xa
	v_add_f32_e32 v32, v32, v40
	ds_bpermute_b32 v39, v107, v31
	ds_bpermute_b32 v24, v106, v5
	;; [unrolled: 1-line block ×4, first 2 shown]
	s_wait_dscnt 0xc
	v_dual_add_f32 v17, v17, v36 :: v_dual_add_f32 v18, v18, v37
	s_wait_dscnt 0xb
	v_add_f32_e32 v23, v23, v38
	ds_bpermute_b32 v26, v106, v7
	ds_bpermute_b32 v27, v106, v8
	s_wait_dscnt 0xc
	v_add_f32_e32 v19, v112, v19
	s_wait_dscnt 0xa
	v_dual_add_f32 v21, v111, v21 :: v_dual_add_f32 v22, v110, v22
	ds_bpermute_b32 v28, v106, v9
	ds_bpermute_b32 v34, v106, v11
	s_wait_dscnt 0xb
	v_add_f32_e32 v13, v13, v20
	ds_bpermute_b32 v20, v107, v19
	s_wait_dscnt 0xb
	v_add_f32_e32 v14, v14, v30
	ds_bpermute_b32 v30, v107, v21
	ds_bpermute_b32 v41, v107, v22
	s_wait_dscnt 0xb
	v_dual_add_f32 v15, v15, v33 :: v_dual_add_f32 v16, v16, v35
	s_wait_dscnt 0xa
	v_add_f32_e32 v31, v31, v39
	ds_bpermute_b32 v33, v106, v12
	ds_bpermute_b32 v35, v106, v13
	;; [unrolled: 1-line block ×7, first 2 shown]
	s_wait_dscnt 0xc
	v_dual_add_f32 v5, v5, v24 :: v_dual_add_f32 v8, v8, v27
	v_add_f32_e32 v6, v6, v25
	ds_bpermute_b32 v39, v106, v23
	v_add_f32_e32 v10, v10, v29
	ds_bpermute_b32 v40, v106, v31
	s_wait_dscnt 0xb
	v_add_f32_e32 v44, v19, v20
	v_lshrrev_b32_e32 v25, 3, v104
	s_wait_dscnt 0x9
	v_dual_add_f32 v30, v21, v30 :: v_dual_add_f32 v41, v22, v41
	ds_bpermute_b32 v43, v106, v15
	ds_bpermute_b32 v22, v106, v44
	s_wait_dscnt 0xa
	v_dual_add_f32 v7, v7, v26 :: v_dual_add_f32 v12, v12, v33
	ds_bpermute_b32 v24, v106, v30
	ds_bpermute_b32 v46, v106, v41
	s_wait_dscnt 0xa
	v_dual_add_f32 v9, v9, v28 :: v_dual_add_f32 v14, v14, v42
	s_wait_dscnt 0x9
	v_dual_add_f32 v11, v11, v34 :: v_dual_add_f32 v16, v16, v36
	;; [unrolled: 2-line block ×3, first 2 shown]
	v_add_f32_e32 v17, v17, v37
	s_wait_dscnt 0x5
	v_dual_add_f32 v19, v23, v39 :: v_dual_and_b32 v28, 0x3c7, v0
	s_wait_dscnt 0x4
	v_dual_add_f32 v20, v31, v40 :: v_dual_add_f32 v21, v32, v45
	v_lshl_add_u32 v26, v25, 2, 0x1a0
	v_mul_u32_u24_e32 v27, 0x180, v103
	s_mov_b32 s0, exec_lo
	s_wait_dscnt 0x2
	v_dual_add_f32 v15, v15, v43 :: v_dual_add_f32 v22, v44, v22
	s_wait_storecnt 0x0
	s_wait_loadcnt_dscnt 0x0
	s_barrier_signal -1
	v_dual_add_f32 v23, v30, v24 :: v_dual_add_f32 v24, v41, v46
	s_barrier_wait -1
	global_inv scope:SCOPE_SE
	v_cmpx_eq_u32_e32 64, v28
	s_cbranch_execz .LBB57_80
; %bb.79:
	v_add_nc_u32_e32 v28, v26, v27
	s_delay_alu instid0(VALU_DEP_1)
	v_add_nc_u32_e32 v29, 0xfffffd00, v28
	v_add_nc_u32_e32 v30, 0xfffffd10, v28
	v_add_nc_u32_e32 v31, 0xfffffd20, v28
	v_add_nc_u32_e32 v32, 0xfffffd30, v28
	v_add_nc_u32_e32 v33, 0xfffffd40, v28
	v_add_nc_u32_e32 v34, 0xfffffd50, v28
	v_add_nc_u32_e32 v35, 0xfffffd60, v28
	v_add_nc_u32_e32 v36, 0xfffffd70, v28
	ds_store_b32 v29, v1
	ds_store_b32 v30, v2
	ds_store_b32 v31, v3
	ds_store_b32 v32, v4
	ds_store_b32 v33, v5
	ds_store_b32 v34, v6
	ds_store_b32 v35, v7
	ds_store_b32 v36, v8
	v_add_nc_u32_e32 v29, 0xfffffd80, v28
	v_add_nc_u32_e32 v30, 0xfffffd90, v28
	v_add_nc_u32_e32 v31, 0xfffffda0, v28
	v_add_nc_u32_e32 v32, 0xfffffdb0, v28
	v_add_nc_u32_e32 v33, 0xfffffdc0, v28
	v_add_nc_u32_e32 v34, 0xfffffdd0, v28
	v_add_nc_u32_e32 v35, 0xfffffde0, v28
	v_add_nc_u32_e32 v36, 0xfffffdf0, v28
	ds_store_b32 v29, v9
	ds_store_b32 v30, v10
	ds_store_b32 v31, v11
	ds_store_b32 v32, v12
	ds_store_b32 v33, v13
	ds_store_b32 v34, v14
	ds_store_b32 v35, v15
	ds_store_b32 v36, v16
	;; [unrolled: 16-line block ×3, first 2 shown]
.LBB57_80:
	s_wait_alu 0xfffe
	s_or_b32 exec_lo, exec_lo, s0
	v_lshlrev_b32_e32 v25, 2, v25
	s_mov_b32 s1, exec_lo
	v_cmp_eq_u32_e32 vcc_lo, 0, v109
	s_wait_loadcnt_dscnt 0x0
	s_barrier_signal -1
	v_add3_u32 v25, 0x1a0, v27, v25
	s_barrier_wait -1
	global_inv scope:SCOPE_SE
	v_cmpx_gt_u32_e32 64, v0
	s_cbranch_execz .LBB57_107
; %bb.81:
	s_and_saveexec_b32 s0, vcc_lo
	s_cbranch_execnz .LBB57_139
; %bb.82:
	s_wait_alu 0xfffe
	s_or_b32 exec_lo, exec_lo, s0
	s_and_saveexec_b32 s0, vcc_lo
	s_cbranch_execnz .LBB57_140
.LBB57_83:
	s_wait_alu 0xfffe
	s_or_b32 exec_lo, exec_lo, s0
	s_and_saveexec_b32 s0, vcc_lo
	s_cbranch_execnz .LBB57_141
.LBB57_84:
	s_wait_alu 0xfffe
	s_or_b32 exec_lo, exec_lo, s0
	s_and_saveexec_b32 s0, vcc_lo
	s_cbranch_execnz .LBB57_142
.LBB57_85:
	s_wait_alu 0xfffe
	s_or_b32 exec_lo, exec_lo, s0
	s_and_saveexec_b32 s0, vcc_lo
	s_cbranch_execnz .LBB57_143
.LBB57_86:
	s_wait_alu 0xfffe
	s_or_b32 exec_lo, exec_lo, s0
	s_and_saveexec_b32 s0, vcc_lo
	s_cbranch_execnz .LBB57_144
.LBB57_87:
	s_wait_alu 0xfffe
	s_or_b32 exec_lo, exec_lo, s0
	s_and_saveexec_b32 s0, vcc_lo
	s_cbranch_execnz .LBB57_145
.LBB57_88:
	s_wait_alu 0xfffe
	s_or_b32 exec_lo, exec_lo, s0
	s_and_saveexec_b32 s0, vcc_lo
	s_cbranch_execnz .LBB57_146
.LBB57_89:
	s_wait_alu 0xfffe
	s_or_b32 exec_lo, exec_lo, s0
	s_and_saveexec_b32 s0, vcc_lo
	s_cbranch_execnz .LBB57_147
.LBB57_90:
	s_wait_alu 0xfffe
	s_or_b32 exec_lo, exec_lo, s0
	s_and_saveexec_b32 s0, vcc_lo
	s_cbranch_execnz .LBB57_148
.LBB57_91:
	s_wait_alu 0xfffe
	s_or_b32 exec_lo, exec_lo, s0
	s_and_saveexec_b32 s0, vcc_lo
	s_cbranch_execnz .LBB57_149
.LBB57_92:
	s_wait_alu 0xfffe
	s_or_b32 exec_lo, exec_lo, s0
	s_and_saveexec_b32 s0, vcc_lo
	s_cbranch_execnz .LBB57_150
.LBB57_93:
	s_wait_alu 0xfffe
	s_or_b32 exec_lo, exec_lo, s0
	s_and_saveexec_b32 s0, vcc_lo
	s_cbranch_execnz .LBB57_151
.LBB57_94:
	s_wait_alu 0xfffe
	s_or_b32 exec_lo, exec_lo, s0
	s_and_saveexec_b32 s0, vcc_lo
	s_cbranch_execnz .LBB57_152
.LBB57_95:
	s_wait_alu 0xfffe
	s_or_b32 exec_lo, exec_lo, s0
	s_and_saveexec_b32 s0, vcc_lo
	s_cbranch_execnz .LBB57_153
.LBB57_96:
	s_wait_alu 0xfffe
	s_or_b32 exec_lo, exec_lo, s0
	s_and_saveexec_b32 s0, vcc_lo
	s_cbranch_execnz .LBB57_154
.LBB57_97:
	s_wait_alu 0xfffe
	s_or_b32 exec_lo, exec_lo, s0
	s_and_saveexec_b32 s0, vcc_lo
	s_cbranch_execnz .LBB57_155
.LBB57_98:
	s_wait_alu 0xfffe
	s_or_b32 exec_lo, exec_lo, s0
	s_and_saveexec_b32 s0, vcc_lo
	s_cbranch_execnz .LBB57_156
.LBB57_99:
	s_wait_alu 0xfffe
	s_or_b32 exec_lo, exec_lo, s0
	s_and_saveexec_b32 s0, vcc_lo
	s_cbranch_execnz .LBB57_157
.LBB57_100:
	s_wait_alu 0xfffe
	s_or_b32 exec_lo, exec_lo, s0
	s_and_saveexec_b32 s0, vcc_lo
	s_cbranch_execnz .LBB57_158
.LBB57_101:
	s_wait_alu 0xfffe
	s_or_b32 exec_lo, exec_lo, s0
	s_and_saveexec_b32 s0, vcc_lo
	s_cbranch_execnz .LBB57_159
.LBB57_102:
	s_wait_alu 0xfffe
	s_or_b32 exec_lo, exec_lo, s0
	s_and_saveexec_b32 s0, vcc_lo
	s_cbranch_execnz .LBB57_160
.LBB57_103:
	s_wait_alu 0xfffe
	s_or_b32 exec_lo, exec_lo, s0
	s_and_saveexec_b32 s0, vcc_lo
	s_cbranch_execnz .LBB57_161
.LBB57_104:
	s_wait_alu 0xfffe
	s_or_b32 exec_lo, exec_lo, s0
	s_and_saveexec_b32 s0, vcc_lo
	s_cbranch_execz .LBB57_106
.LBB57_105:
	ds_load_b32 v27, v25 offset:368
	s_wait_dscnt 0x0
	v_add_f32_e32 v24, v24, v27
.LBB57_106:
	s_wait_alu 0xfffe
	s_or_b32 exec_lo, exec_lo, s0
.LBB57_107:
	s_wait_alu 0xfffe
	s_or_b32 exec_lo, exec_lo, s1
	v_and_b32_e32 v27, 0x3e7, v0
	s_mov_b32 s1, exec_lo
	s_wait_loadcnt 0x0
	s_barrier_signal -1
	s_barrier_wait -1
	global_inv scope:SCOPE_SE
	v_cmpx_eq_u32_e32 32, v27
	s_cbranch_execz .LBB57_109
; %bb.108:
	ds_store_2addr_b32 v26, v1, v2 offset1:4
	ds_store_2addr_b32 v26, v3, v4 offset0:8 offset1:12
	ds_store_2addr_b32 v26, v5, v6 offset0:16 offset1:20
	;; [unrolled: 1-line block ×11, first 2 shown]
.LBB57_109:
	s_wait_alu 0xfffe
	s_or_b32 exec_lo, exec_lo, s1
	s_delay_alu instid0(SALU_CYCLE_1)
	s_mov_b32 s1, exec_lo
	s_wait_loadcnt_dscnt 0x0
	s_barrier_signal -1
	s_barrier_wait -1
	global_inv scope:SCOPE_SE
	v_cmpx_gt_u32_e32 32, v0
	s_cbranch_execz .LBB57_136
; %bb.110:
	s_and_saveexec_b32 s0, vcc_lo
	s_cbranch_execnz .LBB57_162
; %bb.111:
	s_wait_alu 0xfffe
	s_or_b32 exec_lo, exec_lo, s0
	s_and_saveexec_b32 s0, vcc_lo
	s_cbranch_execnz .LBB57_163
.LBB57_112:
	s_wait_alu 0xfffe
	s_or_b32 exec_lo, exec_lo, s0
	s_and_saveexec_b32 s0, vcc_lo
	s_cbranch_execnz .LBB57_164
.LBB57_113:
	s_wait_alu 0xfffe
	s_or_b32 exec_lo, exec_lo, s0
	s_and_saveexec_b32 s0, vcc_lo
	s_cbranch_execnz .LBB57_165
.LBB57_114:
	s_wait_alu 0xfffe
	s_or_b32 exec_lo, exec_lo, s0
	s_and_saveexec_b32 s0, vcc_lo
	s_cbranch_execnz .LBB57_166
.LBB57_115:
	s_wait_alu 0xfffe
	s_or_b32 exec_lo, exec_lo, s0
	s_and_saveexec_b32 s0, vcc_lo
	s_cbranch_execnz .LBB57_167
.LBB57_116:
	s_wait_alu 0xfffe
	s_or_b32 exec_lo, exec_lo, s0
	s_and_saveexec_b32 s0, vcc_lo
	s_cbranch_execnz .LBB57_168
.LBB57_117:
	s_wait_alu 0xfffe
	s_or_b32 exec_lo, exec_lo, s0
	s_and_saveexec_b32 s0, vcc_lo
	s_cbranch_execnz .LBB57_169
.LBB57_118:
	s_wait_alu 0xfffe
	s_or_b32 exec_lo, exec_lo, s0
	s_and_saveexec_b32 s0, vcc_lo
	s_cbranch_execnz .LBB57_170
.LBB57_119:
	s_wait_alu 0xfffe
	s_or_b32 exec_lo, exec_lo, s0
	s_and_saveexec_b32 s0, vcc_lo
	s_cbranch_execnz .LBB57_171
.LBB57_120:
	s_wait_alu 0xfffe
	s_or_b32 exec_lo, exec_lo, s0
	s_and_saveexec_b32 s0, vcc_lo
	s_cbranch_execnz .LBB57_172
.LBB57_121:
	s_wait_alu 0xfffe
	s_or_b32 exec_lo, exec_lo, s0
	s_and_saveexec_b32 s0, vcc_lo
	s_cbranch_execnz .LBB57_173
.LBB57_122:
	s_wait_alu 0xfffe
	s_or_b32 exec_lo, exec_lo, s0
	s_and_saveexec_b32 s0, vcc_lo
	s_cbranch_execnz .LBB57_174
.LBB57_123:
	s_wait_alu 0xfffe
	s_or_b32 exec_lo, exec_lo, s0
	s_and_saveexec_b32 s0, vcc_lo
	s_cbranch_execnz .LBB57_175
.LBB57_124:
	s_wait_alu 0xfffe
	s_or_b32 exec_lo, exec_lo, s0
	s_and_saveexec_b32 s0, vcc_lo
	s_cbranch_execnz .LBB57_176
.LBB57_125:
	s_wait_alu 0xfffe
	s_or_b32 exec_lo, exec_lo, s0
	s_and_saveexec_b32 s0, vcc_lo
	s_cbranch_execnz .LBB57_177
.LBB57_126:
	s_wait_alu 0xfffe
	s_or_b32 exec_lo, exec_lo, s0
	s_and_saveexec_b32 s0, vcc_lo
	s_cbranch_execnz .LBB57_178
.LBB57_127:
	s_wait_alu 0xfffe
	s_or_b32 exec_lo, exec_lo, s0
	s_and_saveexec_b32 s0, vcc_lo
	s_cbranch_execnz .LBB57_179
.LBB57_128:
	s_wait_alu 0xfffe
	s_or_b32 exec_lo, exec_lo, s0
	s_and_saveexec_b32 s0, vcc_lo
	s_cbranch_execnz .LBB57_180
.LBB57_129:
	s_wait_alu 0xfffe
	s_or_b32 exec_lo, exec_lo, s0
	s_and_saveexec_b32 s0, vcc_lo
	s_cbranch_execnz .LBB57_181
.LBB57_130:
	s_wait_alu 0xfffe
	s_or_b32 exec_lo, exec_lo, s0
	s_and_saveexec_b32 s0, vcc_lo
	s_cbranch_execnz .LBB57_182
.LBB57_131:
	s_wait_alu 0xfffe
	s_or_b32 exec_lo, exec_lo, s0
	s_and_saveexec_b32 s0, vcc_lo
	s_cbranch_execnz .LBB57_183
.LBB57_132:
	s_wait_alu 0xfffe
	s_or_b32 exec_lo, exec_lo, s0
	s_and_saveexec_b32 s0, vcc_lo
	s_cbranch_execnz .LBB57_184
.LBB57_133:
	s_wait_alu 0xfffe
	s_or_b32 exec_lo, exec_lo, s0
	s_and_saveexec_b32 s0, vcc_lo
	s_cbranch_execz .LBB57_135
.LBB57_134:
	ds_load_b32 v25, v25 offset:368
	s_wait_dscnt 0x0
	v_add_f32_e32 v24, v24, v25
.LBB57_135:
	s_wait_alu 0xfffe
	s_or_b32 exec_lo, exec_lo, s0
.LBB57_136:
	s_wait_alu 0xfffe
	s_or_b32 exec_lo, exec_lo, s1
	s_mov_b32 s1, 0
	s_wait_loadcnt 0x0
	s_barrier_signal -1
	s_barrier_wait -1
	global_inv scope:SCOPE_SE
	s_mov_b32 s0, exec_lo
	v_cmpx_eq_u32_e32 0, v27
	s_cbranch_execz .LBB57_138
; %bb.137:
	s_mul_i32 s2, s14, 0x60
	s_wait_kmcnt 0x0
	s_mul_i32 s4, s8, s12
	s_wait_alu 0xfffe
	s_ashr_i32 s3, s2, 31
	s_ashr_i32 s5, s4, 31
	s_wait_alu 0xfffe
	s_lshl_b64 s[2:3], s[2:3], 2
	s_lshl_b64 s[4:5], s[4:5], 2
	s_wait_alu 0xfffe
	s_add_nc_u64 s[2:3], s[10:11], s[2:3]
	v_lshrrev_b32_e32 v0, 1, v0
	s_mul_i32 s0, s24, 0x180
	s_wait_alu 0xfffe
	s_add_nc_u64 s[2:3], s[2:3], s[4:5]
	s_wait_alu 0xfffe
	s_add_nc_u64 s[0:1], s[2:3], s[0:1]
	s_clause 0x17
	global_store_b32 v0, v1, s[0:1]
	global_store_b32 v0, v2, s[0:1] offset:16
	global_store_b32 v0, v3, s[0:1] offset:32
	;; [unrolled: 1-line block ×23, first 2 shown]
.LBB57_138:
	s_nop 0
	s_sendmsg sendmsg(MSG_DEALLOC_VGPRS)
	s_endpgm
.LBB57_139:
	ds_load_b32 v27, v25
	s_wait_dscnt 0x0
	v_add_f32_e32 v1, v1, v27
	s_wait_alu 0xfffe
	s_or_b32 exec_lo, exec_lo, s0
	s_and_saveexec_b32 s0, vcc_lo
	s_cbranch_execz .LBB57_83
.LBB57_140:
	ds_load_b32 v27, v25 offset:16
	s_wait_dscnt 0x0
	v_add_f32_e32 v2, v2, v27
	s_wait_alu 0xfffe
	s_or_b32 exec_lo, exec_lo, s0
	s_and_saveexec_b32 s0, vcc_lo
	s_cbranch_execz .LBB57_84
.LBB57_141:
	ds_load_b32 v27, v25 offset:32
	s_wait_dscnt 0x0
	v_add_f32_e32 v3, v3, v27
	s_wait_alu 0xfffe
	s_or_b32 exec_lo, exec_lo, s0
	s_and_saveexec_b32 s0, vcc_lo
	s_cbranch_execz .LBB57_85
.LBB57_142:
	ds_load_b32 v27, v25 offset:48
	s_wait_dscnt 0x0
	v_add_f32_e32 v4, v4, v27
	s_wait_alu 0xfffe
	s_or_b32 exec_lo, exec_lo, s0
	s_and_saveexec_b32 s0, vcc_lo
	s_cbranch_execz .LBB57_86
.LBB57_143:
	ds_load_b32 v27, v25 offset:64
	s_wait_dscnt 0x0
	v_add_f32_e32 v5, v5, v27
	s_wait_alu 0xfffe
	s_or_b32 exec_lo, exec_lo, s0
	s_and_saveexec_b32 s0, vcc_lo
	s_cbranch_execz .LBB57_87
.LBB57_144:
	ds_load_b32 v27, v25 offset:80
	s_wait_dscnt 0x0
	v_add_f32_e32 v6, v6, v27
	s_wait_alu 0xfffe
	s_or_b32 exec_lo, exec_lo, s0
	s_and_saveexec_b32 s0, vcc_lo
	s_cbranch_execz .LBB57_88
.LBB57_145:
	ds_load_b32 v27, v25 offset:96
	s_wait_dscnt 0x0
	v_add_f32_e32 v7, v7, v27
	s_wait_alu 0xfffe
	s_or_b32 exec_lo, exec_lo, s0
	s_and_saveexec_b32 s0, vcc_lo
	s_cbranch_execz .LBB57_89
.LBB57_146:
	ds_load_b32 v27, v25 offset:112
	s_wait_dscnt 0x0
	v_add_f32_e32 v8, v8, v27
	s_wait_alu 0xfffe
	s_or_b32 exec_lo, exec_lo, s0
	s_and_saveexec_b32 s0, vcc_lo
	s_cbranch_execz .LBB57_90
.LBB57_147:
	ds_load_b32 v27, v25 offset:128
	s_wait_dscnt 0x0
	v_add_f32_e32 v9, v9, v27
	s_wait_alu 0xfffe
	s_or_b32 exec_lo, exec_lo, s0
	s_and_saveexec_b32 s0, vcc_lo
	s_cbranch_execz .LBB57_91
.LBB57_148:
	ds_load_b32 v27, v25 offset:144
	s_wait_dscnt 0x0
	v_add_f32_e32 v10, v10, v27
	s_wait_alu 0xfffe
	s_or_b32 exec_lo, exec_lo, s0
	s_and_saveexec_b32 s0, vcc_lo
	s_cbranch_execz .LBB57_92
.LBB57_149:
	ds_load_b32 v27, v25 offset:160
	s_wait_dscnt 0x0
	v_add_f32_e32 v11, v11, v27
	s_wait_alu 0xfffe
	s_or_b32 exec_lo, exec_lo, s0
	s_and_saveexec_b32 s0, vcc_lo
	s_cbranch_execz .LBB57_93
.LBB57_150:
	ds_load_b32 v27, v25 offset:176
	s_wait_dscnt 0x0
	v_add_f32_e32 v12, v12, v27
	s_wait_alu 0xfffe
	s_or_b32 exec_lo, exec_lo, s0
	s_and_saveexec_b32 s0, vcc_lo
	s_cbranch_execz .LBB57_94
.LBB57_151:
	ds_load_b32 v27, v25 offset:192
	s_wait_dscnt 0x0
	v_add_f32_e32 v13, v13, v27
	s_wait_alu 0xfffe
	s_or_b32 exec_lo, exec_lo, s0
	s_and_saveexec_b32 s0, vcc_lo
	s_cbranch_execz .LBB57_95
.LBB57_152:
	ds_load_b32 v27, v25 offset:208
	s_wait_dscnt 0x0
	v_add_f32_e32 v14, v14, v27
	s_wait_alu 0xfffe
	s_or_b32 exec_lo, exec_lo, s0
	s_and_saveexec_b32 s0, vcc_lo
	s_cbranch_execz .LBB57_96
.LBB57_153:
	ds_load_b32 v27, v25 offset:224
	s_wait_dscnt 0x0
	v_add_f32_e32 v15, v15, v27
	s_wait_alu 0xfffe
	s_or_b32 exec_lo, exec_lo, s0
	s_and_saveexec_b32 s0, vcc_lo
	s_cbranch_execz .LBB57_97
.LBB57_154:
	ds_load_b32 v27, v25 offset:240
	s_wait_dscnt 0x0
	v_add_f32_e32 v16, v16, v27
	s_wait_alu 0xfffe
	s_or_b32 exec_lo, exec_lo, s0
	s_and_saveexec_b32 s0, vcc_lo
	s_cbranch_execz .LBB57_98
.LBB57_155:
	ds_load_b32 v27, v25 offset:256
	s_wait_dscnt 0x0
	v_add_f32_e32 v17, v17, v27
	s_wait_alu 0xfffe
	s_or_b32 exec_lo, exec_lo, s0
	s_and_saveexec_b32 s0, vcc_lo
	s_cbranch_execz .LBB57_99
.LBB57_156:
	ds_load_b32 v27, v25 offset:272
	s_wait_dscnt 0x0
	v_add_f32_e32 v18, v18, v27
	s_wait_alu 0xfffe
	s_or_b32 exec_lo, exec_lo, s0
	s_and_saveexec_b32 s0, vcc_lo
	s_cbranch_execz .LBB57_100
.LBB57_157:
	ds_load_b32 v27, v25 offset:288
	s_wait_dscnt 0x0
	v_add_f32_e32 v19, v19, v27
	s_wait_alu 0xfffe
	s_or_b32 exec_lo, exec_lo, s0
	s_and_saveexec_b32 s0, vcc_lo
	s_cbranch_execz .LBB57_101
.LBB57_158:
	ds_load_b32 v27, v25 offset:304
	s_wait_dscnt 0x0
	v_add_f32_e32 v20, v20, v27
	s_wait_alu 0xfffe
	s_or_b32 exec_lo, exec_lo, s0
	s_and_saveexec_b32 s0, vcc_lo
	s_cbranch_execz .LBB57_102
.LBB57_159:
	ds_load_b32 v27, v25 offset:320
	s_wait_dscnt 0x0
	v_add_f32_e32 v21, v21, v27
	s_wait_alu 0xfffe
	s_or_b32 exec_lo, exec_lo, s0
	s_and_saveexec_b32 s0, vcc_lo
	s_cbranch_execz .LBB57_103
.LBB57_160:
	ds_load_b32 v27, v25 offset:336
	s_wait_dscnt 0x0
	v_add_f32_e32 v22, v22, v27
	s_wait_alu 0xfffe
	s_or_b32 exec_lo, exec_lo, s0
	s_and_saveexec_b32 s0, vcc_lo
	s_cbranch_execz .LBB57_104
.LBB57_161:
	ds_load_b32 v27, v25 offset:352
	s_wait_dscnt 0x0
	v_add_f32_e32 v23, v23, v27
	s_wait_alu 0xfffe
	s_or_b32 exec_lo, exec_lo, s0
	s_and_saveexec_b32 s0, vcc_lo
	s_cbranch_execnz .LBB57_105
	s_branch .LBB57_106
.LBB57_162:
	ds_load_b32 v26, v25
	s_wait_dscnt 0x0
	v_add_f32_e32 v1, v1, v26
	s_wait_alu 0xfffe
	s_or_b32 exec_lo, exec_lo, s0
	s_and_saveexec_b32 s0, vcc_lo
	s_cbranch_execz .LBB57_112
.LBB57_163:
	ds_load_b32 v26, v25 offset:16
	s_wait_dscnt 0x0
	v_add_f32_e32 v2, v2, v26
	s_wait_alu 0xfffe
	s_or_b32 exec_lo, exec_lo, s0
	s_and_saveexec_b32 s0, vcc_lo
	s_cbranch_execz .LBB57_113
.LBB57_164:
	ds_load_b32 v26, v25 offset:32
	s_wait_dscnt 0x0
	v_add_f32_e32 v3, v3, v26
	s_wait_alu 0xfffe
	s_or_b32 exec_lo, exec_lo, s0
	s_and_saveexec_b32 s0, vcc_lo
	s_cbranch_execz .LBB57_114
.LBB57_165:
	ds_load_b32 v26, v25 offset:48
	s_wait_dscnt 0x0
	v_add_f32_e32 v4, v4, v26
	s_wait_alu 0xfffe
	s_or_b32 exec_lo, exec_lo, s0
	s_and_saveexec_b32 s0, vcc_lo
	s_cbranch_execz .LBB57_115
.LBB57_166:
	ds_load_b32 v26, v25 offset:64
	s_wait_dscnt 0x0
	v_add_f32_e32 v5, v5, v26
	s_wait_alu 0xfffe
	s_or_b32 exec_lo, exec_lo, s0
	s_and_saveexec_b32 s0, vcc_lo
	s_cbranch_execz .LBB57_116
.LBB57_167:
	ds_load_b32 v26, v25 offset:80
	s_wait_dscnt 0x0
	v_add_f32_e32 v6, v6, v26
	s_wait_alu 0xfffe
	s_or_b32 exec_lo, exec_lo, s0
	s_and_saveexec_b32 s0, vcc_lo
	s_cbranch_execz .LBB57_117
.LBB57_168:
	ds_load_b32 v26, v25 offset:96
	s_wait_dscnt 0x0
	v_add_f32_e32 v7, v7, v26
	s_wait_alu 0xfffe
	s_or_b32 exec_lo, exec_lo, s0
	s_and_saveexec_b32 s0, vcc_lo
	s_cbranch_execz .LBB57_118
.LBB57_169:
	ds_load_b32 v26, v25 offset:112
	s_wait_dscnt 0x0
	v_add_f32_e32 v8, v8, v26
	s_wait_alu 0xfffe
	s_or_b32 exec_lo, exec_lo, s0
	s_and_saveexec_b32 s0, vcc_lo
	s_cbranch_execz .LBB57_119
.LBB57_170:
	ds_load_b32 v26, v25 offset:128
	s_wait_dscnt 0x0
	v_add_f32_e32 v9, v9, v26
	s_wait_alu 0xfffe
	s_or_b32 exec_lo, exec_lo, s0
	s_and_saveexec_b32 s0, vcc_lo
	s_cbranch_execz .LBB57_120
.LBB57_171:
	ds_load_b32 v26, v25 offset:144
	s_wait_dscnt 0x0
	v_add_f32_e32 v10, v10, v26
	s_wait_alu 0xfffe
	s_or_b32 exec_lo, exec_lo, s0
	s_and_saveexec_b32 s0, vcc_lo
	s_cbranch_execz .LBB57_121
.LBB57_172:
	ds_load_b32 v26, v25 offset:160
	s_wait_dscnt 0x0
	v_add_f32_e32 v11, v11, v26
	s_wait_alu 0xfffe
	s_or_b32 exec_lo, exec_lo, s0
	s_and_saveexec_b32 s0, vcc_lo
	s_cbranch_execz .LBB57_122
.LBB57_173:
	ds_load_b32 v26, v25 offset:176
	s_wait_dscnt 0x0
	v_add_f32_e32 v12, v12, v26
	s_wait_alu 0xfffe
	s_or_b32 exec_lo, exec_lo, s0
	s_and_saveexec_b32 s0, vcc_lo
	s_cbranch_execz .LBB57_123
.LBB57_174:
	ds_load_b32 v26, v25 offset:192
	s_wait_dscnt 0x0
	v_add_f32_e32 v13, v13, v26
	s_wait_alu 0xfffe
	s_or_b32 exec_lo, exec_lo, s0
	s_and_saveexec_b32 s0, vcc_lo
	s_cbranch_execz .LBB57_124
.LBB57_175:
	ds_load_b32 v26, v25 offset:208
	s_wait_dscnt 0x0
	v_add_f32_e32 v14, v14, v26
	s_wait_alu 0xfffe
	s_or_b32 exec_lo, exec_lo, s0
	s_and_saveexec_b32 s0, vcc_lo
	s_cbranch_execz .LBB57_125
.LBB57_176:
	ds_load_b32 v26, v25 offset:224
	s_wait_dscnt 0x0
	v_add_f32_e32 v15, v15, v26
	s_wait_alu 0xfffe
	s_or_b32 exec_lo, exec_lo, s0
	s_and_saveexec_b32 s0, vcc_lo
	s_cbranch_execz .LBB57_126
.LBB57_177:
	ds_load_b32 v26, v25 offset:240
	s_wait_dscnt 0x0
	v_add_f32_e32 v16, v16, v26
	s_wait_alu 0xfffe
	s_or_b32 exec_lo, exec_lo, s0
	s_and_saveexec_b32 s0, vcc_lo
	s_cbranch_execz .LBB57_127
.LBB57_178:
	ds_load_b32 v26, v25 offset:256
	s_wait_dscnt 0x0
	v_add_f32_e32 v17, v17, v26
	s_wait_alu 0xfffe
	s_or_b32 exec_lo, exec_lo, s0
	s_and_saveexec_b32 s0, vcc_lo
	s_cbranch_execz .LBB57_128
.LBB57_179:
	ds_load_b32 v26, v25 offset:272
	s_wait_dscnt 0x0
	v_add_f32_e32 v18, v18, v26
	s_wait_alu 0xfffe
	s_or_b32 exec_lo, exec_lo, s0
	s_and_saveexec_b32 s0, vcc_lo
	s_cbranch_execz .LBB57_129
.LBB57_180:
	ds_load_b32 v26, v25 offset:288
	s_wait_dscnt 0x0
	v_add_f32_e32 v19, v19, v26
	s_wait_alu 0xfffe
	s_or_b32 exec_lo, exec_lo, s0
	s_and_saveexec_b32 s0, vcc_lo
	s_cbranch_execz .LBB57_130
.LBB57_181:
	ds_load_b32 v26, v25 offset:304
	s_wait_dscnt 0x0
	v_add_f32_e32 v20, v20, v26
	s_wait_alu 0xfffe
	s_or_b32 exec_lo, exec_lo, s0
	s_and_saveexec_b32 s0, vcc_lo
	s_cbranch_execz .LBB57_131
.LBB57_182:
	ds_load_b32 v26, v25 offset:320
	s_wait_dscnt 0x0
	v_add_f32_e32 v21, v21, v26
	s_wait_alu 0xfffe
	s_or_b32 exec_lo, exec_lo, s0
	s_and_saveexec_b32 s0, vcc_lo
	s_cbranch_execz .LBB57_132
.LBB57_183:
	ds_load_b32 v26, v25 offset:336
	s_wait_dscnt 0x0
	v_add_f32_e32 v22, v22, v26
	s_wait_alu 0xfffe
	s_or_b32 exec_lo, exec_lo, s0
	s_and_saveexec_b32 s0, vcc_lo
	s_cbranch_execz .LBB57_133
.LBB57_184:
	ds_load_b32 v26, v25 offset:352
	s_wait_dscnt 0x0
	v_add_f32_e32 v23, v23, v26
	s_wait_alu 0xfffe
	s_or_b32 exec_lo, exec_lo, s0
	s_and_saveexec_b32 s0, vcc_lo
	s_cbranch_execnz .LBB57_134
	s_branch .LBB57_135
	.section	.rodata,"a",@progbits
	.p2align	6, 0x0
	.amdhsa_kernel _ZN4vllm25paged_attention_v2_kernelIffLi96ELi32ELi128ELNS_18Fp8KVCacheDataTypeE0ELb0ELi512EEEvPfS2_PT_PKS3_PKT0_S9_ifPKiSB_iPKfiiiSD_SD_iiiii
		.amdhsa_group_segment_fixed_size 416
		.amdhsa_private_segment_fixed_size 0
		.amdhsa_kernarg_size 400
		.amdhsa_user_sgpr_count 2
		.amdhsa_user_sgpr_dispatch_ptr 0
		.amdhsa_user_sgpr_queue_ptr 0
		.amdhsa_user_sgpr_kernarg_segment_ptr 1
		.amdhsa_user_sgpr_dispatch_id 0
		.amdhsa_user_sgpr_private_segment_size 0
		.amdhsa_wavefront_size32 1
		.amdhsa_uses_dynamic_stack 0
		.amdhsa_enable_private_segment 0
		.amdhsa_system_sgpr_workgroup_id_x 1
		.amdhsa_system_sgpr_workgroup_id_y 1
		.amdhsa_system_sgpr_workgroup_id_z 1
		.amdhsa_system_sgpr_workgroup_info 0
		.amdhsa_system_vgpr_workitem_id 0
		.amdhsa_next_free_vgpr 147
		.amdhsa_next_free_sgpr 32
		.amdhsa_reserve_vcc 1
		.amdhsa_float_round_mode_32 0
		.amdhsa_float_round_mode_16_64 0
		.amdhsa_float_denorm_mode_32 3
		.amdhsa_float_denorm_mode_16_64 3
		.amdhsa_fp16_overflow 0
		.amdhsa_workgroup_processor_mode 1
		.amdhsa_memory_ordered 1
		.amdhsa_forward_progress 1
		.amdhsa_inst_pref_size 96
		.amdhsa_round_robin_scheduling 0
		.amdhsa_exception_fp_ieee_invalid_op 0
		.amdhsa_exception_fp_denorm_src 0
		.amdhsa_exception_fp_ieee_div_zero 0
		.amdhsa_exception_fp_ieee_overflow 0
		.amdhsa_exception_fp_ieee_underflow 0
		.amdhsa_exception_fp_ieee_inexact 0
		.amdhsa_exception_int_div_zero 0
	.end_amdhsa_kernel
	.section	.text._ZN4vllm25paged_attention_v2_kernelIffLi96ELi32ELi128ELNS_18Fp8KVCacheDataTypeE0ELb0ELi512EEEvPfS2_PT_PKS3_PKT0_S9_ifPKiSB_iPKfiiiSD_SD_iiiii,"axG",@progbits,_ZN4vllm25paged_attention_v2_kernelIffLi96ELi32ELi128ELNS_18Fp8KVCacheDataTypeE0ELb0ELi512EEEvPfS2_PT_PKS3_PKT0_S9_ifPKiSB_iPKfiiiSD_SD_iiiii,comdat
.Lfunc_end57:
	.size	_ZN4vllm25paged_attention_v2_kernelIffLi96ELi32ELi128ELNS_18Fp8KVCacheDataTypeE0ELb0ELi512EEEvPfS2_PT_PKS3_PKT0_S9_ifPKiSB_iPKfiiiSD_SD_iiiii, .Lfunc_end57-_ZN4vllm25paged_attention_v2_kernelIffLi96ELi32ELi128ELNS_18Fp8KVCacheDataTypeE0ELb0ELi512EEEvPfS2_PT_PKS3_PKT0_S9_ifPKiSB_iPKfiiiSD_SD_iiiii
                                        ; -- End function
	.set _ZN4vllm25paged_attention_v2_kernelIffLi96ELi32ELi128ELNS_18Fp8KVCacheDataTypeE0ELb0ELi512EEEvPfS2_PT_PKS3_PKT0_S9_ifPKiSB_iPKfiiiSD_SD_iiiii.num_vgpr, 147
	.set _ZN4vllm25paged_attention_v2_kernelIffLi96ELi32ELi128ELNS_18Fp8KVCacheDataTypeE0ELb0ELi512EEEvPfS2_PT_PKS3_PKT0_S9_ifPKiSB_iPKfiiiSD_SD_iiiii.num_agpr, 0
	.set _ZN4vllm25paged_attention_v2_kernelIffLi96ELi32ELi128ELNS_18Fp8KVCacheDataTypeE0ELb0ELi512EEEvPfS2_PT_PKS3_PKT0_S9_ifPKiSB_iPKfiiiSD_SD_iiiii.numbered_sgpr, 32
	.set _ZN4vllm25paged_attention_v2_kernelIffLi96ELi32ELi128ELNS_18Fp8KVCacheDataTypeE0ELb0ELi512EEEvPfS2_PT_PKS3_PKT0_S9_ifPKiSB_iPKfiiiSD_SD_iiiii.num_named_barrier, 0
	.set _ZN4vllm25paged_attention_v2_kernelIffLi96ELi32ELi128ELNS_18Fp8KVCacheDataTypeE0ELb0ELi512EEEvPfS2_PT_PKS3_PKT0_S9_ifPKiSB_iPKfiiiSD_SD_iiiii.private_seg_size, 0
	.set _ZN4vllm25paged_attention_v2_kernelIffLi96ELi32ELi128ELNS_18Fp8KVCacheDataTypeE0ELb0ELi512EEEvPfS2_PT_PKS3_PKT0_S9_ifPKiSB_iPKfiiiSD_SD_iiiii.uses_vcc, 1
	.set _ZN4vllm25paged_attention_v2_kernelIffLi96ELi32ELi128ELNS_18Fp8KVCacheDataTypeE0ELb0ELi512EEEvPfS2_PT_PKS3_PKT0_S9_ifPKiSB_iPKfiiiSD_SD_iiiii.uses_flat_scratch, 0
	.set _ZN4vllm25paged_attention_v2_kernelIffLi96ELi32ELi128ELNS_18Fp8KVCacheDataTypeE0ELb0ELi512EEEvPfS2_PT_PKS3_PKT0_S9_ifPKiSB_iPKfiiiSD_SD_iiiii.has_dyn_sized_stack, 0
	.set _ZN4vllm25paged_attention_v2_kernelIffLi96ELi32ELi128ELNS_18Fp8KVCacheDataTypeE0ELb0ELi512EEEvPfS2_PT_PKS3_PKT0_S9_ifPKiSB_iPKfiiiSD_SD_iiiii.has_recursion, 0
	.set _ZN4vllm25paged_attention_v2_kernelIffLi96ELi32ELi128ELNS_18Fp8KVCacheDataTypeE0ELb0ELi512EEEvPfS2_PT_PKS3_PKT0_S9_ifPKiSB_iPKfiiiSD_SD_iiiii.has_indirect_call, 0
	.section	.AMDGPU.csdata,"",@progbits
; Kernel info:
; codeLenInByte = 12180
; TotalNumSgprs: 34
; NumVgprs: 147
; ScratchSize: 0
; MemoryBound: 0
; FloatMode: 240
; IeeeMode: 1
; LDSByteSize: 416 bytes/workgroup (compile time only)
; SGPRBlocks: 0
; VGPRBlocks: 18
; NumSGPRsForWavesPerEU: 34
; NumVGPRsForWavesPerEU: 147
; Occupancy: 9
; WaveLimiterHint : 1
; COMPUTE_PGM_RSRC2:SCRATCH_EN: 0
; COMPUTE_PGM_RSRC2:USER_SGPR: 2
; COMPUTE_PGM_RSRC2:TRAP_HANDLER: 0
; COMPUTE_PGM_RSRC2:TGID_X_EN: 1
; COMPUTE_PGM_RSRC2:TGID_Y_EN: 1
; COMPUTE_PGM_RSRC2:TGID_Z_EN: 1
; COMPUTE_PGM_RSRC2:TIDIG_COMP_CNT: 0
	.section	.text._ZN4vllm25paged_attention_v2_kernelIffLi112ELi32ELi128ELNS_18Fp8KVCacheDataTypeE0ELb0ELi512EEEvPfS2_PT_PKS3_PKT0_S9_ifPKiSB_iPKfiiiSD_SD_iiiii,"axG",@progbits,_ZN4vllm25paged_attention_v2_kernelIffLi112ELi32ELi128ELNS_18Fp8KVCacheDataTypeE0ELb0ELi512EEEvPfS2_PT_PKS3_PKT0_S9_ifPKiSB_iPKfiiiSD_SD_iiiii,comdat
	.protected	_ZN4vllm25paged_attention_v2_kernelIffLi112ELi32ELi128ELNS_18Fp8KVCacheDataTypeE0ELb0ELi512EEEvPfS2_PT_PKS3_PKT0_S9_ifPKiSB_iPKfiiiSD_SD_iiiii ; -- Begin function _ZN4vllm25paged_attention_v2_kernelIffLi112ELi32ELi128ELNS_18Fp8KVCacheDataTypeE0ELb0ELi512EEEvPfS2_PT_PKS3_PKT0_S9_ifPKiSB_iPKfiiiSD_SD_iiiii
	.globl	_ZN4vllm25paged_attention_v2_kernelIffLi112ELi32ELi128ELNS_18Fp8KVCacheDataTypeE0ELb0ELi512EEEvPfS2_PT_PKS3_PKT0_S9_ifPKiSB_iPKfiiiSD_SD_iiiii
	.p2align	8
	.type	_ZN4vllm25paged_attention_v2_kernelIffLi112ELi32ELi128ELNS_18Fp8KVCacheDataTypeE0ELb0ELi512EEEvPfS2_PT_PKS3_PKT0_S9_ifPKiSB_iPKfiiiSD_SD_iiiii,@function
_ZN4vllm25paged_attention_v2_kernelIffLi112ELi32ELi128ELNS_18Fp8KVCacheDataTypeE0ELb0ELi512EEEvPfS2_PT_PKS3_PKT0_S9_ifPKiSB_iPKfiiiSD_SD_iiiii: ; @_ZN4vllm25paged_attention_v2_kernelIffLi112ELi32ELi128ELNS_18Fp8KVCacheDataTypeE0ELb0ELi512EEEvPfS2_PT_PKS3_PKT0_S9_ifPKiSB_iPKfiiiSD_SD_iiiii
; %bb.0:
	s_load_b64 s[2:3], s[0:1], 0x40
	s_and_b32 s14, ttmp7, 0xffff
	s_lshr_b32 s24, ttmp7, 16
	s_lshl_b32 s4, s14, 2
	s_lshl_b32 s26, s24, 9
	s_wait_kmcnt 0x0
	s_load_b32 s25, s[2:3], s4 offset:0x0
	s_wait_kmcnt 0x0
	s_cmp_ge_i32 s26, s25
	s_cbranch_scc1 .LBB58_154
; %bb.1:
	s_clause 0x1
	s_load_b32 s15, s[0:1], 0x90
	s_load_b64 s[4:5], s[0:1], 0x30
	s_wait_kmcnt 0x0
	s_abs_i32 s7, s15
	s_abs_i32 s2, s4
	s_xor_b32 s4, s15, s4
	s_cvt_f32_u32 s3, s2
	s_sub_co_i32 s6, 0, s2
	s_ashr_i32 s4, s4, 31
	s_delay_alu instid0(SALU_CYCLE_1) | instskip(NEXT) | instid1(TRANS32_DEP_1)
	v_rcp_iflag_f32_e32 v1, s3
	v_readfirstlane_b32 s3, v1
	s_mul_f32 s3, s3, 0x4f7ffffe
	s_wait_alu 0xfffe
	s_delay_alu instid0(SALU_CYCLE_2) | instskip(SKIP_1) | instid1(SALU_CYCLE_2)
	s_cvt_u32_f32 s3, s3
	s_wait_alu 0xfffe
	s_mul_i32 s6, s6, s3
	s_delay_alu instid0(SALU_CYCLE_1) | instskip(NEXT) | instid1(SALU_CYCLE_1)
	s_mul_hi_u32 s6, s3, s6
	s_add_co_i32 s3, s3, s6
	s_wait_alu 0xfffe
	s_mul_hi_u32 s3, s7, s3
	s_wait_alu 0xfffe
	s_mul_i32 s6, s3, s2
	s_delay_alu instid0(SALU_CYCLE_1)
	s_sub_co_i32 s6, s7, s6
	s_add_co_i32 s7, s3, 1
	s_sub_co_i32 s8, s6, s2
	s_cmp_ge_u32 s6, s2
	s_cselect_b32 s3, s7, s3
	s_cselect_b32 s6, s8, s6
	s_wait_alu 0xfffe
	s_add_co_i32 s7, s3, 1
	s_cmp_ge_u32 s6, s2
	s_load_b64 s[8:9], s[0:1], 0x50
	s_cselect_b32 s2, s7, s3
	s_mov_b32 s3, 0
	s_wait_alu 0xfffe
	s_xor_b32 s2, s2, s4
	s_mov_b32 s11, s3
	s_wait_alu 0xfffe
	s_sub_co_i32 s12, s2, s4
	s_delay_alu instid0(SALU_CYCLE_1) | instskip(NEXT) | instid1(SALU_CYCLE_1)
	s_abs_i32 s4, s12
	s_cvt_f32_u32 s2, s4
	s_wait_alu 0xfffe
	s_delay_alu instid0(SALU_CYCLE_2) | instskip(NEXT) | instid1(TRANS32_DEP_1)
	v_rcp_iflag_f32_e32 v1, s2
	v_readfirstlane_b32 s2, v1
	s_mul_f32 s2, s2, 0x4f7ffffe
	s_wait_alu 0xfffe
	s_delay_alu instid0(SALU_CYCLE_2) | instskip(SKIP_2) | instid1(SALU_CYCLE_1)
	s_cvt_u32_f32 s6, s2
	s_sub_co_i32 s2, 0, s4
	s_wait_alu 0xfffe
	s_mul_i32 s2, s2, s6
	s_wait_alu 0xfffe
	s_mul_hi_u32 s7, s6, s2
	s_abs_i32 s2, ttmp9
	s_add_co_i32 s6, s6, s7
	s_mov_b32 s7, s3
	s_wait_kmcnt 0x0
	s_cmp_eq_u64 s[8:9], 0
	s_cbranch_scc1 .LBB58_3
; %bb.2:
	s_mov_b32 s10, ttmp9
	s_ashr_i32 s11, ttmp9, 31
	s_delay_alu instid0(SALU_CYCLE_1) | instskip(NEXT) | instid1(SALU_CYCLE_1)
	s_lshl_b64 s[10:11], s[10:11], 2
	s_add_nc_u64 s[8:9], s[8:9], s[10:11]
	s_load_b32 s11, s[8:9], 0x0
.LBB58_3:
	s_load_b96 s[8:10], s[0:1], 0x58
	v_lshlrev_b32_e32 v117, 4, v0
	s_mul_u64 s[6:7], s[2:3], s[6:7]
	s_ashr_i32 s3, ttmp9, 31
	s_ashr_i32 s6, s12, 31
	s_mul_i32 s12, ttmp9, 0x70
	s_mov_b32 s16, exec_lo
	v_cmpx_gt_u32_e32 28, v0
	s_cbranch_execz .LBB58_5
; %bb.4:
	s_load_b64 s[18:19], s[0:1], 0x18
	s_wait_kmcnt 0x0
	s_mul_i32 s20, s8, s14
	s_ashr_i32 s13, s12, 31
	s_ashr_i32 s21, s20, 31
	s_delay_alu instid0(SALU_CYCLE_1) | instskip(NEXT) | instid1(SALU_CYCLE_1)
	s_lshl_b64 s[20:21], s[20:21], 2
	s_add_nc_u64 s[18:19], s[18:19], s[20:21]
	s_lshl_b64 s[20:21], s[12:13], 2
	s_delay_alu instid0(SALU_CYCLE_1)
	s_add_nc_u64 s[18:19], s[18:19], s[20:21]
	global_load_b128 v[1:4], v117, s[18:19]
	s_wait_loadcnt 0x0
	ds_store_b128 v117, v[1:4]
.LBB58_5:
	s_or_b32 exec_lo, exec_lo, s16
	s_wait_kmcnt 0x0
	s_add_co_i32 s8, s25, 31
	s_lshl_b32 s28, s24, 4
	s_ashr_i32 s13, s8, 31
	s_mul_i32 s19, s7, s4
	s_lshr_b32 s13, s13, 27
	s_sub_co_i32 s2, s2, s19
	s_add_co_i32 s8, s8, s13
	s_add_co_i32 s13, s28, 16
	s_ashr_i32 s27, s8, 5
	s_clause 0x2
	s_load_b64 s[16:17], s[0:1], 0x38
	s_load_b32 s8, s[0:1], 0x98
	s_load_b32 s18, s[0:1], 0x48
	s_min_i32 s13, s13, s27
	s_xor_b32 s3, s3, s6
	s_add_co_i32 s6, s7, 1
	s_sub_co_i32 s19, s2, s4
	s_cmp_ge_u32 s2, s4
	v_lshrrev_b32_e32 v119, 5, v0
	s_cselect_b32 s6, s6, s7
	s_cselect_b32 s2, s19, s2
	s_add_co_i32 s7, s6, 1
	s_wait_alu 0xfffe
	s_cmp_ge_u32 s2, s4
	v_and_b32_e32 v120, 31, v0
	v_dual_mov_b32 v122, 0xff7fffff :: v_dual_add_nc_u32 v121, s28, v119
	s_cselect_b32 s2, s7, s6
	s_wait_dscnt 0x0
	s_wait_alu 0xfffe
	s_xor_b32 s2, s2, s3
	v_lshlrev_b32_e32 v125, 2, v120
	s_wait_alu 0xfffe
	s_sub_co_i32 s3, s2, s3
	v_cmp_gt_i32_e64 s2, s13, v121
	v_lshlrev_b32_e32 v118, 2, v121
	s_wait_kmcnt 0x0
	s_mul_i32 s18, s18, s14
	s_wait_alu 0xfffe
	s_mul_i32 s20, s3, s10
	s_ashr_i32 s19, s18, 31
	s_barrier_signal -1
	s_barrier_wait -1
	global_inv scope:SCOPE_SE
	s_and_saveexec_b32 s6, s2
	s_cbranch_execz .LBB58_9
; %bb.6:
	v_dual_mov_b32 v109, 0 :: v_dual_lshlrev_b32 v114, 5, v119
	s_load_b64 s[22:23], s[0:1], 0x20
	s_ashr_i32 s21, s20, 31
	v_dual_mov_b32 v122, 0xff7fffff :: v_dual_lshlrev_b32 v113, 4, v120
	ds_load_b128 v[1:4], v109
	ds_load_b128 v[5:8], v109 offset:16
	ds_load_b128 v[9:12], v109 offset:32
	;; [unrolled: 1-line block ×27, first 2 shown]
	s_lshl_b64 s[30:31], s[20:21], 2
	s_cmp_neq_f32 s11, 0
	v_lshl_or_b32 v115, v119, 7, v125
	v_add3_u32 v126, s26, v114, v120
	v_mov_b32_e32 v128, v121
	s_cselect_b32 vcc_lo, -1, 0
	s_mov_b32 s10, s9
	v_add_nc_u32_e32 v127, 0x1e0, v115
	s_mov_b32 s7, 0
	s_sub_co_i32 s21, 1, s25
	s_wait_kmcnt 0x0
	s_add_nc_u64 s[22:23], s[22:23], s[30:31]
	s_delay_alu instid0(SALU_CYCLE_1)
	v_add_co_u32 v123, s3, s22, v113
	s_wait_alu 0xf1ff
	v_add_co_ci_u32_e64 v124, null, s23, 0, s3
	s_lshl_b64 s[22:23], s[18:19], 2
	s_wait_alu 0xfffe
	s_add_nc_u64 s[22:23], s[16:17], s[22:23]
	s_wait_alu 0xfffe
	v_add_co_u32 v113, s3, s22, v118
	s_wait_alu 0xf1ff
	v_add_co_ci_u32_e64 v114, null, s23, 0, s3
.LBB58_7:                               ; =>This Inner Loop Header: Depth=1
	global_load_b32 v115, v[113:114], off
	v_add_nc_u32_e32 v128, 4, v128
	s_delay_alu instid0(VALU_DEP_1) | instskip(SKIP_3) | instid1(VALU_DEP_1)
	v_cmp_le_i32_e64 s4, s13, v128
	s_or_b32 s7, s4, s7
	s_wait_loadcnt 0x0
	v_mad_co_i64_i32 v[115:116], null, v115, s10, 0
	v_lshlrev_b64_e32 v[115:116], 2, v[115:116]
	s_delay_alu instid0(VALU_DEP_1) | instskip(SKIP_1) | instid1(VALU_DEP_2)
	v_add_co_u32 v115, s3, v123, v115
	s_wait_alu 0xf1ff
	v_add_co_ci_u32_e64 v116, null, v124, v116, s3
	s_clause 0x8
	global_load_b128 v[129:132], v[115:116], off offset:512
	global_load_b128 v[133:136], v[115:116], off
	global_load_b128 v[137:140], v[115:116], off offset:1024
	global_load_b128 v[141:144], v[115:116], off offset:1536
	;; [unrolled: 1-line block ×7, first 2 shown]
	v_add_co_u32 v113, s3, v113, 16
	s_wait_alu 0xf1ff
	v_add_co_ci_u32_e64 v114, null, 0, v114, s3
	v_cmp_gt_i32_e64 s3, s25, v126
	s_wait_loadcnt_dscnt 0x81a
	v_dual_mul_f32 v169, v5, v129 :: v_dual_mul_f32 v170, v6, v130
	v_dual_mul_f32 v171, v7, v131 :: v_dual_mul_f32 v172, v8, v132
	global_load_b128 v[129:132], v[115:116], off offset:4608
	s_wait_loadcnt 0x8
	v_dual_fmac_f32 v169, v1, v133 :: v_dual_fmac_f32 v170, v2, v134
	v_dual_fmac_f32 v171, v3, v135 :: v_dual_fmac_f32 v172, v4, v136
	global_load_b128 v[133:136], v[115:116], off offset:5120
	s_wait_loadcnt_dscnt 0x819
	v_dual_fmac_f32 v169, v9, v137 :: v_dual_fmac_f32 v170, v10, v138
	v_dual_fmac_f32 v171, v11, v139 :: v_dual_fmac_f32 v172, v12, v140
	global_load_b128 v[137:140], v[115:116], off offset:5632
	s_wait_loadcnt_dscnt 0x818
	;; [unrolled: 4-line block ×16, first 2 shown]
	v_dual_fmac_f32 v169, v69, v161 :: v_dual_fmac_f32 v170, v70, v162
	v_dual_fmac_f32 v171, v71, v163 :: v_dual_fmac_f32 v172, v72, v164
	s_clause 0x1
	global_load_b128 v[161:164], v[115:116], off offset:13312
	global_load_b128 v[165:168], v[115:116], off offset:13824
	s_wait_loadcnt_dscnt 0x909
	v_dual_fmac_f32 v169, v73, v129 :: v_dual_fmac_f32 v170, v74, v130
	v_dual_fmac_f32 v171, v75, v131 :: v_dual_fmac_f32 v172, v76, v132
	s_wait_loadcnt_dscnt 0x808
	s_delay_alu instid0(VALU_DEP_2) | instskip(NEXT) | instid1(VALU_DEP_2)
	v_dual_max_num_f32 v116, v122, v122 :: v_dual_fmac_f32 v169, v77, v133
	v_dual_fmac_f32 v170, v78, v134 :: v_dual_fmac_f32 v171, v79, v135
	s_delay_alu instid0(VALU_DEP_3) | instskip(SKIP_1) | instid1(VALU_DEP_2)
	v_dual_fmac_f32 v172, v80, v136 :: v_dual_add_nc_u32 v115, s21, v126
	s_wait_loadcnt_dscnt 0x707
	v_dual_fmac_f32 v169, v81, v137 :: v_dual_fmac_f32 v170, v82, v138
	s_delay_alu instid0(VALU_DEP_3) | instskip(NEXT) | instid1(VALU_DEP_3)
	v_fmac_f32_e32 v171, v83, v139
	v_cvt_f32_i32_e32 v115, v115
	s_wait_loadcnt_dscnt 0x606
	s_delay_alu instid0(VALU_DEP_3) | instskip(NEXT) | instid1(VALU_DEP_3)
	v_dual_fmac_f32 v172, v84, v140 :: v_dual_fmac_f32 v169, v85, v141
	v_dual_fmac_f32 v170, v86, v142 :: v_dual_fmac_f32 v171, v87, v143
	s_delay_alu instid0(VALU_DEP_3) | instskip(SKIP_1) | instid1(VALU_DEP_2)
	v_dual_mul_f32 v115, s11, v115 :: v_dual_add_nc_u32 v126, 0x80, v126
	s_wait_loadcnt_dscnt 0x505
	v_dual_fmac_f32 v169, v89, v145 :: v_dual_fmac_f32 v170, v90, v146
	s_delay_alu instid0(VALU_DEP_3) | instskip(NEXT) | instid1(VALU_DEP_3)
	v_dual_fmac_f32 v172, v88, v144 :: v_dual_fmac_f32 v171, v91, v147
	v_cndmask_b32_e32 v115, 0, v115, vcc_lo
	s_wait_loadcnt_dscnt 0x404
	s_delay_alu instid0(VALU_DEP_3) | instskip(NEXT) | instid1(VALU_DEP_3)
	v_dual_fmac_f32 v169, v93, v149 :: v_dual_fmac_f32 v170, v94, v150
	v_dual_fmac_f32 v172, v92, v148 :: v_dual_fmac_f32 v171, v95, v151
	s_wait_loadcnt_dscnt 0x303
	s_delay_alu instid0(VALU_DEP_2) | instskip(NEXT) | instid1(VALU_DEP_2)
	v_dual_fmac_f32 v169, v97, v153 :: v_dual_fmac_f32 v170, v98, v154
	v_dual_fmac_f32 v172, v96, v152 :: v_dual_fmac_f32 v171, v99, v155
	s_wait_loadcnt_dscnt 0x202
	s_delay_alu instid0(VALU_DEP_2) | instskip(NEXT) | instid1(VALU_DEP_2)
	;; [unrolled: 4-line block ×4, first 2 shown]
	v_dual_fmac_f32 v169, v109, v165 :: v_dual_fmac_f32 v170, v110, v166
	v_dual_fmac_f32 v172, v108, v164 :: v_dual_fmac_f32 v171, v111, v167
	s_delay_alu instid0(VALU_DEP_1) | instskip(NEXT) | instid1(VALU_DEP_1)
	v_dual_add_f32 v129, v169, v170 :: v_dual_fmac_f32 v172, v112, v168
	v_add_f32_e32 v129, v171, v129
	s_delay_alu instid0(VALU_DEP_1) | instskip(NEXT) | instid1(VALU_DEP_1)
	v_add_f32_e32 v129, v172, v129
	v_fmac_f32_e32 v115, s5, v129
	s_delay_alu instid0(VALU_DEP_1) | instskip(SKIP_2) | instid1(VALU_DEP_2)
	v_max_num_f32_e32 v116, v116, v115
	s_wait_alu 0xf1ff
	v_cndmask_b32_e64 v115, 0, v115, s3
	v_cndmask_b32_e64 v122, v122, v116, s3
	ds_store_b32 v127, v115
	v_add_nc_u32_e32 v127, 0x200, v127
	s_and_not1_b32 exec_lo, exec_lo, s7
	s_cbranch_execnz .LBB58_7
; %bb.8:
	s_or_b32 exec_lo, exec_lo, s7
.LBB58_9:
	s_delay_alu instid0(SALU_CYCLE_1)
	s_or_b32 exec_lo, exec_lo, s6
	v_mbcnt_lo_u32_b32 v1, -1, 0
	s_clause 0x2
	s_load_b128 s[4:7], s[0:1], 0x0
	s_load_b64 s[10:11], s[0:1], 0x10
	s_load_b64 s[22:23], s[0:1], 0x28
	v_xor_b32_e32 v2, 16, v1
	v_xor_b32_e32 v4, 8, v1
	s_delay_alu instid0(VALU_DEP_2) | instskip(SKIP_2) | instid1(VALU_DEP_3)
	v_cmp_gt_i32_e32 vcc_lo, 32, v2
	s_wait_alu 0xfffd
	v_cndmask_b32_e32 v2, v1, v2, vcc_lo
	v_cmp_gt_i32_e32 vcc_lo, 32, v4
	v_max_num_f32_e32 v5, v122, v122
	s_delay_alu instid0(VALU_DEP_3)
	v_lshlrev_b32_e32 v2, 2, v2
	s_wait_alu 0xfffd
	v_cndmask_b32_e32 v4, v1, v4, vcc_lo
	ds_bpermute_b32 v3, v2, v122
	s_wait_dscnt 0x0
	v_dual_max_num_f32 v6, v3, v3 :: v_dual_lshlrev_b32 v3, 2, v4
	s_delay_alu instid0(VALU_DEP_1)
	v_max_num_f32_e32 v4, v5, v6
	v_xor_b32_e32 v6, 4, v1
	ds_bpermute_b32 v5, v3, v4
	v_cmp_gt_i32_e32 vcc_lo, 32, v6
	s_wait_alu 0xfffd
	v_cndmask_b32_e32 v6, v1, v6, vcc_lo
	s_delay_alu instid0(VALU_DEP_1) | instskip(SKIP_1) | instid1(VALU_DEP_1)
	v_lshlrev_b32_e32 v124, 2, v6
	v_xor_b32_e32 v6, 2, v1
	v_cmp_gt_i32_e32 vcc_lo, 32, v6
	s_wait_dscnt 0x0
	v_max_num_f32_e32 v5, v5, v5
	s_wait_alu 0xfffd
	v_cndmask_b32_e32 v6, v1, v6, vcc_lo
	s_delay_alu instid0(VALU_DEP_1)
	v_dual_max_num_f32 v4, v4, v5 :: v_dual_lshlrev_b32 v123, 2, v6
	v_xor_b32_e32 v6, 1, v1
	ds_bpermute_b32 v5, v124, v4
	v_cmp_gt_i32_e32 vcc_lo, 32, v6
	s_wait_alu 0xfffd
	v_cndmask_b32_e32 v6, v1, v6, vcc_lo
	v_cmp_eq_u32_e32 vcc_lo, 0, v120
	s_wait_dscnt 0x0
	s_delay_alu instid0(VALU_DEP_2) | instskip(NEXT) | instid1(VALU_DEP_1)
	v_dual_max_num_f32 v5, v5, v5 :: v_dual_lshlrev_b32 v122, 2, v6
	v_max_num_f32_e32 v4, v4, v5
	ds_bpermute_b32 v5, v123, v4
	s_wait_dscnt 0x0
	v_max_num_f32_e32 v5, v5, v5
	s_delay_alu instid0(VALU_DEP_1)
	v_max_num_f32_e32 v1, v4, v5
	v_lshlrev_b32_e32 v5, 2, v119
	ds_bpermute_b32 v4, v122, v1
	s_and_saveexec_b32 s0, vcc_lo
	s_cbranch_execz .LBB58_11
; %bb.10:
	s_wait_dscnt 0x0
	v_dual_max_num_f32 v4, v4, v4 :: v_dual_max_num_f32 v1, v1, v1
	s_delay_alu instid0(VALU_DEP_1)
	v_max_num_f32_e32 v1, v1, v4
	ds_store_b32 v5, v1 offset:448
.LBB58_11:
	s_or_b32 exec_lo, exec_lo, s0
	v_cmp_gt_u32_e64 s0, 4, v120
	v_mov_b32_e32 v1, 0xff7fffff
	s_wait_loadcnt_dscnt 0x0
	s_barrier_signal -1
	s_barrier_wait -1
	global_inv scope:SCOPE_SE
	s_and_saveexec_b32 s1, s0
; %bb.12:
	ds_load_b32 v1, v125 offset:448
; %bb.13:
	s_or_b32 exec_lo, exec_lo, s1
	s_wait_dscnt 0x0
	ds_bpermute_b32 v4, v123, v1
	v_max_num_f32_e32 v1, v1, v1
	s_sub_co_i32 s1, s13, s28
	v_mov_b32_e32 v6, 0
	s_lshl_b32 s1, s1, 5
	s_delay_alu instid0(SALU_CYCLE_1) | instskip(NEXT) | instid1(SALU_CYCLE_1)
	s_add_co_i32 s1, s1, s26
	s_min_i32 s1, s1, s25
	s_delay_alu instid0(SALU_CYCLE_1) | instskip(SKIP_4) | instid1(VALU_DEP_1)
	s_sub_co_i32 s21, s1, s26
	s_wait_alu 0xfffe
	v_cmp_gt_i32_e64 s1, s21, v0
	s_wait_dscnt 0x0
	v_max_num_f32_e32 v4, v4, v4
	v_max_num_f32_e32 v1, v1, v4
	ds_bpermute_b32 v4, v122, v1
	s_wait_dscnt 0x0
	v_max_num_f32_e32 v4, v4, v4
	s_delay_alu instid0(VALU_DEP_1)
	v_max_num_f32_e32 v1, v1, v4
	v_lshl_add_u32 v4, v0, 2, 0x1e0
	ds_bpermute_b32 v1, v6, v1
	s_and_saveexec_b32 s28, s1
	s_cbranch_execz .LBB58_17
; %bb.14:
	v_lshl_add_u32 v7, v0, 2, 0x1e0
	v_mov_b32_e32 v6, 0
	v_mov_b32_e32 v8, v0
	s_mov_b32 s29, 0
.LBB58_15:                              ; =>This Inner Loop Header: Depth=1
	ds_load_b32 v9, v7
	v_add_nc_u32_e32 v8, 0x80, v8
	s_delay_alu instid0(VALU_DEP_1) | instskip(SKIP_4) | instid1(VALU_DEP_1)
	v_cmp_le_i32_e64 s3, s21, v8
	s_wait_alu 0xfffe
	s_or_b32 s29, s3, s29
	s_wait_dscnt 0x0
	v_sub_f32_e32 v9, v9, v1
	v_mul_f32_e32 v9, 0x3fb8aa3b, v9
	s_delay_alu instid0(VALU_DEP_1)
	v_exp_f32_e32 v9, v9
	ds_store_b32 v7, v9
	v_dual_add_f32 v6, v6, v9 :: v_dual_add_nc_u32 v7, 0x200, v7
	s_wait_alu 0xfffe
	s_and_not1_b32 exec_lo, exec_lo, s29
	s_cbranch_execnz .LBB58_15
; %bb.16:
	s_or_b32 exec_lo, exec_lo, s29
.LBB58_17:
	s_wait_alu 0xfffe
	s_or_b32 exec_lo, exec_lo, s28
	ds_bpermute_b32 v2, v2, v6
	s_wait_dscnt 0x0
	v_add_f32_e32 v2, v6, v2
	ds_bpermute_b32 v3, v3, v2
	s_wait_dscnt 0x0
	v_add_f32_e32 v2, v2, v3
	ds_bpermute_b32 v3, v124, v2
	s_wait_dscnt 0x0
	v_add_f32_e32 v2, v2, v3
	ds_bpermute_b32 v3, v123, v2
	s_wait_dscnt 0x0
	v_add_f32_e32 v2, v2, v3
	ds_bpermute_b32 v3, v122, v2
	s_wait_dscnt 0x0
	v_add_f32_e32 v2, v2, v3
	s_and_saveexec_b32 s3, vcc_lo
; %bb.18:
	ds_store_b32 v5, v2 offset:464
; %bb.19:
	s_wait_alu 0xfffe
	s_or_b32 exec_lo, exec_lo, s3
	s_wait_loadcnt_dscnt 0x0
	s_barrier_signal -1
	s_barrier_wait -1
	global_inv scope:SCOPE_SE
	s_and_saveexec_b32 s3, s0
; %bb.20:
	ds_load_b32 v2, v125 offset:464
; %bb.21:
	s_wait_alu 0xfffe
	s_or_b32 exec_lo, exec_lo, s3
	s_wait_dscnt 0x0
	ds_bpermute_b32 v3, v123, v2
	s_wait_dscnt 0x0
	v_add_f32_e32 v2, v2, v3
	ds_bpermute_b32 v3, v122, v2
	s_wait_dscnt 0x0
	v_dual_add_f32 v2, v2, v3 :: v_dual_mov_b32 v3, 0
	ds_bpermute_b32 v2, v3, v2
	s_and_saveexec_b32 s0, s1
	s_cbranch_execz .LBB58_24
; %bb.22:
	s_wait_dscnt 0x0
	v_add_f32_e32 v3, 0x358637bd, v2
	s_mov_b32 s1, 0
	s_delay_alu instid0(VALU_DEP_1) | instskip(SKIP_1) | instid1(VALU_DEP_2)
	v_div_scale_f32 v5, null, v3, v3, 1.0
	v_div_scale_f32 v8, vcc_lo, 1.0, v3, 1.0
	v_rcp_f32_e32 v6, v5
	s_delay_alu instid0(TRANS32_DEP_1) | instskip(NEXT) | instid1(VALU_DEP_1)
	v_fma_f32 v7, -v5, v6, 1.0
	v_fmac_f32_e32 v6, v7, v6
	s_delay_alu instid0(VALU_DEP_1) | instskip(NEXT) | instid1(VALU_DEP_1)
	v_mul_f32_e32 v7, v8, v6
	v_fma_f32 v9, -v5, v7, v8
	s_delay_alu instid0(VALU_DEP_1) | instskip(NEXT) | instid1(VALU_DEP_1)
	v_fmac_f32_e32 v7, v9, v6
	v_fma_f32 v5, -v5, v7, v8
	s_wait_alu 0xfffd
	s_delay_alu instid0(VALU_DEP_1) | instskip(NEXT) | instid1(VALU_DEP_1)
	v_div_fmas_f32 v5, v5, v6, v7
	v_div_fixup_f32 v3, v5, v3, 1.0
	v_mov_b32_e32 v5, v0
.LBB58_23:                              ; =>This Inner Loop Header: Depth=1
	ds_load_b32 v6, v4
	s_wait_dscnt 0x0
	v_dual_mul_f32 v6, v3, v6 :: v_dual_add_nc_u32 v5, 0x80, v5
	s_delay_alu instid0(VALU_DEP_1) | instskip(SKIP_3) | instid1(SALU_CYCLE_1)
	v_cmp_le_i32_e32 vcc_lo, s21, v5
	ds_store_b32 v4, v6
	v_add_nc_u32_e32 v4, 0x200, v4
	s_or_b32 s1, vcc_lo, s1
	s_and_not1_b32 exec_lo, exec_lo, s1
	s_cbranch_execnz .LBB58_23
.LBB58_24:
	s_or_b32 exec_lo, exec_lo, s0
	s_mul_i32 s0, s8, s14
	s_wait_loadcnt_dscnt 0x0
	s_mul_i32 s14, s0, s15
	s_mov_b32 s0, exec_lo
	s_barrier_signal -1
	s_barrier_wait -1
	global_inv scope:SCOPE_SE
	v_cmpx_eq_u32_e32 0, v0
	s_cbranch_execz .LBB58_26
; %bb.25:
	s_ashr_i32 s15, s14, 31
	s_mul_i32 s28, s8, ttmp9
	s_lshl_b32 s1, s24, 2
	s_lshl_b64 s[30:31], s[14:15], 2
	s_wait_alu 0xfffe
	s_ashr_i32 s29, s28, 31
	v_mov_b32_e32 v3, s1
	s_wait_kmcnt 0x0
	s_add_nc_u64 s[6:7], s[6:7], s[30:31]
	s_wait_alu 0xfffe
	s_lshl_b64 s[28:29], s[28:29], 2
	s_add_nc_u64 s[4:5], s[4:5], s[30:31]
	s_wait_alu 0xfffe
	s_add_nc_u64 s[6:7], s[6:7], s[28:29]
	s_add_nc_u64 s[4:5], s[4:5], s[28:29]
	s_clause 0x1
	global_store_b32 v3, v1, s[6:7]
	global_store_b32 v3, v2, s[4:5]
.LBB58_26:
	s_or_b32 exec_lo, exec_lo, s0
	v_dual_mov_b32 v151, 0 :: v_dual_mov_b32 v152, 0
	v_dual_mov_b32 v150, 0 :: v_dual_and_b32 v125, 7, v0
	v_dual_mov_b32 v153, 0 :: v_dual_mov_b32 v148, 0
	v_dual_mov_b32 v149, 0 :: v_dual_mov_b32 v146, 0
	;; [unrolled: 1-line block ×12, first 2 shown]
	v_mov_b32_e32 v127, 0
	s_wait_kmcnt 0x0
	s_and_saveexec_b32 s4, s2
	s_cbranch_execz .LBB58_86
; %bb.27:
	s_ashr_i32 s21, s20, 31
	v_dual_mov_b32 v130, 0 :: v_dual_and_b32 v3, 0x1f0, v117
	s_wait_alu 0xfffe
	s_lshl_b64 s[0:1], s[20:21], 2
	v_dual_mov_b32 v126, 0 :: v_dual_lshlrev_b32 v1, 2, v0
	v_dual_mov_b32 v127, 0 :: v_dual_lshlrev_b32 v2, 4, v125
	s_wait_alu 0xfffe
	s_add_nc_u64 s[0:1], s[22:23], s[0:1]
	s_delay_alu instid0(VALU_DEP_2)
	v_dual_mov_b32 v128, 0 :: v_dual_and_b32 v1, 28, v1
	s_wait_alu 0xfffe
	v_add_co_u32 v154, s0, s0, v3
	s_wait_alu 0xf1ff
	v_add_co_ci_u32_e64 v155, null, s1, 0, s0
	s_lshl_b64 s[0:1], s[18:19], 2
	v_lshl_add_u32 v4, v119, 5, s26
	v_lshl_or_b32 v2, v119, 7, v2
	s_wait_alu 0xfffe
	s_add_nc_u64 s[0:1], s[16:17], s[0:1]
	v_dual_mov_b32 v129, 0 :: v_dual_mov_b32 v134, 0
	s_wait_alu 0xfffe
	v_add_co_u32 v117, s0, s0, v118
	v_add3_u32 v156, v4, v1, 3
	v_dual_mov_b32 v132, 0 :: v_dual_add_nc_u32 v157, 0x1e0, v2
	s_wait_alu 0xf1ff
	v_add_co_ci_u32_e64 v118, null, s1, 0, s0
	v_dual_mov_b32 v131, 0 :: v_dual_mov_b32 v136, 0
	v_dual_mov_b32 v133, 0 :: v_dual_mov_b32 v138, 0
	;; [unrolled: 1-line block ×9, first 2 shown]
	v_mov_b32_e32 v149, 0
	v_mov_b32_e32 v153, 0
	;; [unrolled: 1-line block ×3, first 2 shown]
	s_mov_b32 s5, s9
	s_add_co_i32 s7, s27, -1
	s_mov_b32 s6, 0
	s_branch .LBB58_29
.LBB58_28:                              ;   in Loop: Header=BB58_29 Depth=1
	s_wait_alu 0xfffe
	s_or_b32 exec_lo, exec_lo, s0
	s_wait_loadcnt_dscnt 0x1600
	v_mul_f32_e32 v25, v1, v25
	s_wait_loadcnt 0x6
	v_mul_f32_e32 v93, v1, v93
	v_mul_f32_e32 v81, v1, v81
	v_mul_f32_e32 v57, v1, v57
	v_mul_f32_e32 v33, v1, v33
	v_fmac_f32_e32 v25, v2, v26
	s_wait_loadcnt 0x2
	v_mul_f32_e32 v109, v1, v109
	v_fmac_f32_e32 v81, v2, v82
	v_mul_f32_e32 v73, v1, v73
	v_fmac_f32_e32 v57, v2, v58
	v_fmac_f32_e32 v25, v3, v27
	v_mul_f32_e32 v41, v1, v41
	v_fmac_f32_e32 v33, v2, v34
	v_mul_f32_e32 v13, v1, v13
	s_wait_loadcnt 0x1
	v_dual_mul_f32 v113, v1, v113 :: v_dual_add_nc_u32 v156, 0x80, v156
	v_fmac_f32_e32 v25, v4, v28
	v_fmac_f32_e32 v93, v2, v94
	v_mul_f32_e32 v105, v1, v105
	v_mul_f32_e32 v101, v1, v101
	;; [unrolled: 1-line block ×3, first 2 shown]
	s_delay_alu instid0(VALU_DEP_4)
	v_dual_add_f32 v148, v148, v25 :: v_dual_fmac_f32 v93, v3, v95
	v_mul_f32_e32 v85, v1, v85
	v_fmac_f32_e32 v81, v3, v83
	v_mul_f32_e32 v77, v1, v77
	v_mul_f32_e32 v69, v1, v69
	v_fmac_f32_e32 v93, v4, v96
	v_fmac_f32_e32 v109, v2, v110
	v_mul_f32_e32 v65, v1, v65
	v_mul_f32_e32 v61, v1, v61
	v_fmac_f32_e32 v73, v2, v74
	v_mul_f32_e32 v53, v1, v53
	v_mul_f32_e32 v49, v1, v49
	;; [unrolled: 1-line block ×3, first 2 shown]
	v_fmac_f32_e32 v57, v3, v59
	v_fmac_f32_e32 v41, v2, v42
	v_mul_f32_e32 v37, v1, v37
	v_mul_f32_e32 v29, v1, v29
	;; [unrolled: 1-line block ×3, first 2 shown]
	v_fmac_f32_e32 v33, v3, v35
	v_mul_f32_e32 v17, v1, v17
	v_mul_f32_e32 v9, v1, v9
	v_mul_f32_e32 v5, v1, v5
	s_wait_loadcnt 0x0
	v_mul_f32_e32 v1, v1, v89
	v_fmac_f32_e32 v13, v2, v14
	v_fmac_f32_e32 v81, v4, v84
	v_dual_add_f32 v132, v132, v93 :: v_dual_fmac_f32 v109, v3, v111
	v_fmac_f32_e32 v65, v2, v66
	v_fmac_f32_e32 v73, v3, v75
	;; [unrolled: 1-line block ×9, first 2 shown]
	v_dual_add_f32 v134, v134, v81 :: v_dual_fmac_f32 v109, v4, v112
	v_add_f32_e32 v146, v146, v33
	v_fmac_f32_e32 v113, v2, v114
	v_fmac_f32_e32 v77, v2, v78
	;; [unrolled: 1-line block ×9, first 2 shown]
	v_dual_fmac_f32 v45, v2, v46 :: v_dual_add_f32 v140, v140, v57
	v_fmac_f32_e32 v41, v4, v44
	v_fmac_f32_e32 v97, v2, v98
	;; [unrolled: 1-line block ×10, first 2 shown]
	v_dual_fmac_f32 v101, v3, v103 :: v_dual_add_f32 v128, v128, v109
	v_fmac_f32_e32 v85, v3, v87
	v_fmac_f32_e32 v77, v3, v79
	;; [unrolled: 1-line block ×5, first 2 shown]
	v_dual_add_f32 v136, v136, v73 :: v_dual_fmac_f32 v105, v3, v107
	v_fmac_f32_e32 v53, v3, v55
	v_fmac_f32_e32 v49, v3, v51
	v_dual_fmac_f32 v45, v3, v47 :: v_dual_add_f32 v144, v144, v41
	v_fmac_f32_e32 v37, v3, v39
	v_fmac_f32_e32 v29, v3, v31
	;; [unrolled: 1-line block ×7, first 2 shown]
	v_dual_fmac_f32 v97, v3, v99 :: v_dual_add_f32 v152, v152, v13
	v_fmac_f32_e32 v101, v4, v104
	v_fmac_f32_e32 v113, v3, v115
	v_add_nc_u32_e32 v121, 4, v121
	v_fmac_f32_e32 v85, v4, v88
	s_delay_alu instid0(VALU_DEP_4)
	v_dual_fmac_f32 v77, v4, v80 :: v_dual_add_f32 v130, v130, v101
	v_fmac_f32_e32 v69, v4, v72
	v_dual_fmac_f32 v61, v4, v64 :: v_dual_add_f32 v138, v138, v65
	v_fmac_f32_e32 v53, v4, v56
	v_fmac_f32_e32 v49, v4, v52
	;; [unrolled: 1-line block ×10, first 2 shown]
	v_dual_fmac_f32 v5, v4, v8 :: v_dual_add_f32 v126, v126, v1
	v_fmac_f32_e32 v97, v4, v100
	v_cmp_le_i32_e32 vcc_lo, s13, v121
	v_add_co_u32 v117, s0, v117, 16
	v_add_f32_e32 v133, v133, v85
	s_delay_alu instid0(VALU_DEP_4)
	v_add_f32_e32 v131, v131, v97
	v_add_f32_e32 v135, v135, v77
	;; [unrolled: 1-line block ×15, first 2 shown]
	v_add_nc_u32_e32 v157, 0x200, v157
	s_wait_alu 0xf1ff
	v_add_co_ci_u32_e64 v118, null, 0, v118, s0
	s_or_b32 s6, vcc_lo, s6
	s_wait_alu 0xfffe
	s_and_not1_b32 exec_lo, exec_lo, s6
	s_cbranch_execz .LBB58_85
.LBB58_29:                              ; =>This Inner Loop Header: Depth=1
	global_load_b32 v1, v[117:118], off
	v_add_nc_u32_e32 v158, -3, v156
	v_add_nc_u32_e32 v160, -2, v156
	;; [unrolled: 1-line block ×3, first 2 shown]
	s_wait_loadcnt 0x0
	s_wait_alu 0xfffe
	v_mad_co_i64_i32 v[1:2], null, v1, s5, 0
	s_delay_alu instid0(VALU_DEP_1) | instskip(NEXT) | instid1(VALU_DEP_1)
	v_lshlrev_b64_e32 v[1:2], 2, v[1:2]
	v_add_co_u32 v89, vcc_lo, v154, v1
	s_wait_alu 0xfffd
	s_delay_alu instid0(VALU_DEP_2)
	v_add_co_ci_u32_e64 v90, null, v155, v2, vcc_lo
	ds_load_b128 v[1:4], v157
	v_cmp_eq_u32_e32 vcc_lo, s7, v121
	global_load_b128 v[5:8], v[89:90], off
	s_and_saveexec_b32 s1, vcc_lo
	s_cbranch_execnz .LBB58_57
; %bb.30:                               ;   in Loop: Header=BB58_29 Depth=1
	s_wait_alu 0xfffe
	s_or_b32 exec_lo, exec_lo, s1
	global_load_b128 v[9:12], v[89:90], off offset:512
	s_and_saveexec_b32 s1, vcc_lo
	s_cbranch_execnz .LBB58_58
.LBB58_31:                              ;   in Loop: Header=BB58_29 Depth=1
	s_wait_alu 0xfffe
	s_or_b32 exec_lo, exec_lo, s1
	global_load_b128 v[13:16], v[89:90], off offset:1024
	s_and_saveexec_b32 s1, vcc_lo
	s_cbranch_execnz .LBB58_59
.LBB58_32:                              ;   in Loop: Header=BB58_29 Depth=1
	s_wait_alu 0xfffe
	s_or_b32 exec_lo, exec_lo, s1
	global_load_b128 v[17:20], v[89:90], off offset:1536
	s_and_saveexec_b32 s1, vcc_lo
	s_cbranch_execnz .LBB58_60
.LBB58_33:                              ;   in Loop: Header=BB58_29 Depth=1
	s_wait_alu 0xfffe
	s_or_b32 exec_lo, exec_lo, s1
	global_load_b128 v[21:24], v[89:90], off offset:2048
	s_and_saveexec_b32 s1, vcc_lo
	s_cbranch_execnz .LBB58_61
.LBB58_34:                              ;   in Loop: Header=BB58_29 Depth=1
	s_wait_alu 0xfffe
	s_or_b32 exec_lo, exec_lo, s1
	global_load_b128 v[25:28], v[89:90], off offset:2560
	s_and_saveexec_b32 s1, vcc_lo
	s_cbranch_execnz .LBB58_62
.LBB58_35:                              ;   in Loop: Header=BB58_29 Depth=1
	s_wait_alu 0xfffe
	s_or_b32 exec_lo, exec_lo, s1
	global_load_b128 v[29:32], v[89:90], off offset:3072
	s_and_saveexec_b32 s1, vcc_lo
	s_cbranch_execnz .LBB58_63
.LBB58_36:                              ;   in Loop: Header=BB58_29 Depth=1
	s_wait_alu 0xfffe
	s_or_b32 exec_lo, exec_lo, s1
	global_load_b128 v[33:36], v[89:90], off offset:3584
	s_and_saveexec_b32 s1, vcc_lo
	s_cbranch_execnz .LBB58_64
.LBB58_37:                              ;   in Loop: Header=BB58_29 Depth=1
	s_wait_alu 0xfffe
	s_or_b32 exec_lo, exec_lo, s1
	global_load_b128 v[37:40], v[89:90], off offset:4096
	s_and_saveexec_b32 s1, vcc_lo
	s_cbranch_execnz .LBB58_65
.LBB58_38:                              ;   in Loop: Header=BB58_29 Depth=1
	s_wait_alu 0xfffe
	s_or_b32 exec_lo, exec_lo, s1
	global_load_b128 v[41:44], v[89:90], off offset:4608
	s_and_saveexec_b32 s1, vcc_lo
	s_cbranch_execnz .LBB58_66
.LBB58_39:                              ;   in Loop: Header=BB58_29 Depth=1
	s_wait_alu 0xfffe
	s_or_b32 exec_lo, exec_lo, s1
	global_load_b128 v[45:48], v[89:90], off offset:5120
	s_and_saveexec_b32 s1, vcc_lo
	s_cbranch_execnz .LBB58_67
.LBB58_40:                              ;   in Loop: Header=BB58_29 Depth=1
	s_wait_alu 0xfffe
	s_or_b32 exec_lo, exec_lo, s1
	global_load_b128 v[49:52], v[89:90], off offset:5632
	s_and_saveexec_b32 s1, vcc_lo
	s_cbranch_execnz .LBB58_68
.LBB58_41:                              ;   in Loop: Header=BB58_29 Depth=1
	s_wait_alu 0xfffe
	s_or_b32 exec_lo, exec_lo, s1
	global_load_b128 v[53:56], v[89:90], off offset:6144
	s_and_saveexec_b32 s1, vcc_lo
	s_cbranch_execnz .LBB58_69
.LBB58_42:                              ;   in Loop: Header=BB58_29 Depth=1
	s_wait_alu 0xfffe
	s_or_b32 exec_lo, exec_lo, s1
	global_load_b128 v[57:60], v[89:90], off offset:6656
	s_and_saveexec_b32 s1, vcc_lo
	s_cbranch_execnz .LBB58_70
.LBB58_43:                              ;   in Loop: Header=BB58_29 Depth=1
	s_wait_alu 0xfffe
	s_or_b32 exec_lo, exec_lo, s1
	global_load_b128 v[61:64], v[89:90], off offset:7168
	s_and_saveexec_b32 s1, vcc_lo
	s_cbranch_execnz .LBB58_71
.LBB58_44:                              ;   in Loop: Header=BB58_29 Depth=1
	s_wait_alu 0xfffe
	s_or_b32 exec_lo, exec_lo, s1
	global_load_b128 v[65:68], v[89:90], off offset:7680
	s_and_saveexec_b32 s1, vcc_lo
	s_cbranch_execnz .LBB58_72
.LBB58_45:                              ;   in Loop: Header=BB58_29 Depth=1
	s_wait_alu 0xfffe
	s_or_b32 exec_lo, exec_lo, s1
	global_load_b128 v[69:72], v[89:90], off offset:8192
	s_and_saveexec_b32 s1, vcc_lo
	s_cbranch_execnz .LBB58_73
.LBB58_46:                              ;   in Loop: Header=BB58_29 Depth=1
	s_wait_alu 0xfffe
	s_or_b32 exec_lo, exec_lo, s1
	global_load_b128 v[73:76], v[89:90], off offset:8704
	s_and_saveexec_b32 s1, vcc_lo
	s_cbranch_execnz .LBB58_74
.LBB58_47:                              ;   in Loop: Header=BB58_29 Depth=1
	s_wait_alu 0xfffe
	s_or_b32 exec_lo, exec_lo, s1
	global_load_b128 v[77:80], v[89:90], off offset:9216
	s_and_saveexec_b32 s1, vcc_lo
	s_cbranch_execnz .LBB58_75
.LBB58_48:                              ;   in Loop: Header=BB58_29 Depth=1
	s_wait_alu 0xfffe
	s_or_b32 exec_lo, exec_lo, s1
	global_load_b128 v[81:84], v[89:90], off offset:9728
	s_and_saveexec_b32 s1, vcc_lo
	s_cbranch_execnz .LBB58_76
.LBB58_49:                              ;   in Loop: Header=BB58_29 Depth=1
	s_wait_alu 0xfffe
	s_or_b32 exec_lo, exec_lo, s1
	global_load_b128 v[85:88], v[89:90], off offset:10240
	s_and_saveexec_b32 s1, vcc_lo
	s_cbranch_execnz .LBB58_77
.LBB58_50:                              ;   in Loop: Header=BB58_29 Depth=1
	s_wait_alu 0xfffe
	s_or_b32 exec_lo, exec_lo, s1
	global_load_b128 v[93:96], v[89:90], off offset:10752
	s_and_saveexec_b32 s1, vcc_lo
	s_cbranch_execnz .LBB58_78
.LBB58_51:                              ;   in Loop: Header=BB58_29 Depth=1
	s_wait_alu 0xfffe
	s_or_b32 exec_lo, exec_lo, s1
	global_load_b128 v[97:100], v[89:90], off offset:11264
	s_and_saveexec_b32 s1, vcc_lo
	s_cbranch_execnz .LBB58_79
.LBB58_52:                              ;   in Loop: Header=BB58_29 Depth=1
	s_wait_alu 0xfffe
	s_or_b32 exec_lo, exec_lo, s1
	global_load_b128 v[101:104], v[89:90], off offset:11776
	s_and_saveexec_b32 s9, vcc_lo
	s_cbranch_execnz .LBB58_80
.LBB58_53:                              ;   in Loop: Header=BB58_29 Depth=1
	s_or_b32 exec_lo, exec_lo, s9
	global_load_b128 v[105:108], v[89:90], off offset:12288
	s_and_saveexec_b32 s1, vcc_lo
	s_cbranch_execnz .LBB58_81
.LBB58_54:                              ;   in Loop: Header=BB58_29 Depth=1
	s_wait_alu 0xfffe
	s_or_b32 exec_lo, exec_lo, s1
	global_load_b128 v[109:112], v[89:90], off offset:12800
	s_and_saveexec_b32 s1, vcc_lo
	s_cbranch_execnz .LBB58_82
.LBB58_55:                              ;   in Loop: Header=BB58_29 Depth=1
	s_wait_alu 0xfffe
	s_or_b32 exec_lo, exec_lo, s1
	global_load_b128 v[113:116], v[89:90], off offset:13312
	s_and_saveexec_b32 s1, vcc_lo
	s_cbranch_execnz .LBB58_83
.LBB58_56:                              ;   in Loop: Header=BB58_29 Depth=1
	s_wait_alu 0xfffe
	s_or_b32 exec_lo, exec_lo, s1
	global_load_b128 v[89:92], v[89:90], off offset:13824
	s_and_saveexec_b32 s0, vcc_lo
	s_cbranch_execz .LBB58_28
	s_branch .LBB58_84
.LBB58_57:                              ;   in Loop: Header=BB58_29 Depth=1
	v_cmp_gt_i32_e64 s0, s25, v158
	s_wait_loadcnt 0x0
	s_wait_alu 0xf1ff
	s_delay_alu instid0(VALU_DEP_1) | instskip(SKIP_2) | instid1(VALU_DEP_1)
	v_cndmask_b32_e64 v5, 0, v5, s0
	v_cmp_gt_i32_e64 s0, s25, v160
	s_wait_alu 0xf1ff
	v_cndmask_b32_e64 v6, 0, v6, s0
	v_cmp_gt_i32_e64 s0, s25, v159
	s_wait_alu 0xf1ff
	s_delay_alu instid0(VALU_DEP_1) | instskip(SKIP_2) | instid1(VALU_DEP_1)
	v_cndmask_b32_e64 v7, 0, v7, s0
	v_cmp_gt_i32_e64 s0, s25, v156
	s_wait_alu 0xf1ff
	v_cndmask_b32_e64 v8, 0, v8, s0
	s_wait_alu 0xfffe
	s_or_b32 exec_lo, exec_lo, s1
	global_load_b128 v[9:12], v[89:90], off offset:512
	s_and_saveexec_b32 s1, vcc_lo
	s_cbranch_execz .LBB58_31
.LBB58_58:                              ;   in Loop: Header=BB58_29 Depth=1
	v_cmp_gt_i32_e64 s0, s25, v158
	s_wait_loadcnt 0x0
	s_wait_alu 0xf1ff
	s_delay_alu instid0(VALU_DEP_1) | instskip(SKIP_2) | instid1(VALU_DEP_1)
	v_cndmask_b32_e64 v9, 0, v9, s0
	v_cmp_gt_i32_e64 s0, s25, v160
	s_wait_alu 0xf1ff
	v_cndmask_b32_e64 v10, 0, v10, s0
	v_cmp_gt_i32_e64 s0, s25, v159
	s_wait_alu 0xf1ff
	s_delay_alu instid0(VALU_DEP_1) | instskip(SKIP_2) | instid1(VALU_DEP_1)
	v_cndmask_b32_e64 v11, 0, v11, s0
	v_cmp_gt_i32_e64 s0, s25, v156
	s_wait_alu 0xf1ff
	v_cndmask_b32_e64 v12, 0, v12, s0
	s_wait_alu 0xfffe
	s_or_b32 exec_lo, exec_lo, s1
	global_load_b128 v[13:16], v[89:90], off offset:1024
	s_and_saveexec_b32 s1, vcc_lo
	s_cbranch_execz .LBB58_32
.LBB58_59:                              ;   in Loop: Header=BB58_29 Depth=1
	v_cmp_gt_i32_e64 s0, s25, v158
	s_wait_loadcnt 0x0
	s_wait_alu 0xf1ff
	s_delay_alu instid0(VALU_DEP_1) | instskip(SKIP_2) | instid1(VALU_DEP_1)
	v_cndmask_b32_e64 v13, 0, v13, s0
	v_cmp_gt_i32_e64 s0, s25, v160
	s_wait_alu 0xf1ff
	v_cndmask_b32_e64 v14, 0, v14, s0
	v_cmp_gt_i32_e64 s0, s25, v159
	s_wait_alu 0xf1ff
	s_delay_alu instid0(VALU_DEP_1) | instskip(SKIP_2) | instid1(VALU_DEP_1)
	v_cndmask_b32_e64 v15, 0, v15, s0
	v_cmp_gt_i32_e64 s0, s25, v156
	s_wait_alu 0xf1ff
	v_cndmask_b32_e64 v16, 0, v16, s0
	s_wait_alu 0xfffe
	s_or_b32 exec_lo, exec_lo, s1
	global_load_b128 v[17:20], v[89:90], off offset:1536
	s_and_saveexec_b32 s1, vcc_lo
	s_cbranch_execz .LBB58_33
.LBB58_60:                              ;   in Loop: Header=BB58_29 Depth=1
	v_cmp_gt_i32_e64 s0, s25, v158
	s_wait_loadcnt 0x0
	s_wait_alu 0xf1ff
	s_delay_alu instid0(VALU_DEP_1) | instskip(SKIP_2) | instid1(VALU_DEP_1)
	v_cndmask_b32_e64 v17, 0, v17, s0
	v_cmp_gt_i32_e64 s0, s25, v160
	s_wait_alu 0xf1ff
	v_cndmask_b32_e64 v18, 0, v18, s0
	v_cmp_gt_i32_e64 s0, s25, v159
	s_wait_alu 0xf1ff
	s_delay_alu instid0(VALU_DEP_1) | instskip(SKIP_2) | instid1(VALU_DEP_1)
	v_cndmask_b32_e64 v19, 0, v19, s0
	v_cmp_gt_i32_e64 s0, s25, v156
	s_wait_alu 0xf1ff
	v_cndmask_b32_e64 v20, 0, v20, s0
	s_wait_alu 0xfffe
	s_or_b32 exec_lo, exec_lo, s1
	global_load_b128 v[21:24], v[89:90], off offset:2048
	s_and_saveexec_b32 s1, vcc_lo
	s_cbranch_execz .LBB58_34
.LBB58_61:                              ;   in Loop: Header=BB58_29 Depth=1
	v_cmp_gt_i32_e64 s0, s25, v158
	s_wait_loadcnt 0x0
	s_wait_alu 0xf1ff
	s_delay_alu instid0(VALU_DEP_1) | instskip(SKIP_2) | instid1(VALU_DEP_1)
	v_cndmask_b32_e64 v21, 0, v21, s0
	v_cmp_gt_i32_e64 s0, s25, v160
	s_wait_alu 0xf1ff
	v_cndmask_b32_e64 v22, 0, v22, s0
	v_cmp_gt_i32_e64 s0, s25, v159
	s_wait_alu 0xf1ff
	s_delay_alu instid0(VALU_DEP_1) | instskip(SKIP_2) | instid1(VALU_DEP_1)
	v_cndmask_b32_e64 v23, 0, v23, s0
	v_cmp_gt_i32_e64 s0, s25, v156
	s_wait_alu 0xf1ff
	v_cndmask_b32_e64 v24, 0, v24, s0
	s_wait_alu 0xfffe
	s_or_b32 exec_lo, exec_lo, s1
	global_load_b128 v[25:28], v[89:90], off offset:2560
	s_and_saveexec_b32 s1, vcc_lo
	s_cbranch_execz .LBB58_35
.LBB58_62:                              ;   in Loop: Header=BB58_29 Depth=1
	v_cmp_gt_i32_e64 s0, s25, v158
	s_wait_loadcnt 0x0
	s_wait_alu 0xf1ff
	s_delay_alu instid0(VALU_DEP_1) | instskip(SKIP_2) | instid1(VALU_DEP_1)
	v_cndmask_b32_e64 v25, 0, v25, s0
	v_cmp_gt_i32_e64 s0, s25, v160
	s_wait_alu 0xf1ff
	v_cndmask_b32_e64 v26, 0, v26, s0
	v_cmp_gt_i32_e64 s0, s25, v159
	s_wait_alu 0xf1ff
	s_delay_alu instid0(VALU_DEP_1) | instskip(SKIP_2) | instid1(VALU_DEP_1)
	v_cndmask_b32_e64 v27, 0, v27, s0
	v_cmp_gt_i32_e64 s0, s25, v156
	s_wait_alu 0xf1ff
	v_cndmask_b32_e64 v28, 0, v28, s0
	s_wait_alu 0xfffe
	s_or_b32 exec_lo, exec_lo, s1
	global_load_b128 v[29:32], v[89:90], off offset:3072
	s_and_saveexec_b32 s1, vcc_lo
	s_cbranch_execz .LBB58_36
.LBB58_63:                              ;   in Loop: Header=BB58_29 Depth=1
	v_cmp_gt_i32_e64 s0, s25, v158
	s_wait_loadcnt 0x0
	s_wait_alu 0xf1ff
	s_delay_alu instid0(VALU_DEP_1) | instskip(SKIP_2) | instid1(VALU_DEP_1)
	v_cndmask_b32_e64 v29, 0, v29, s0
	v_cmp_gt_i32_e64 s0, s25, v160
	s_wait_alu 0xf1ff
	v_cndmask_b32_e64 v30, 0, v30, s0
	v_cmp_gt_i32_e64 s0, s25, v159
	s_wait_alu 0xf1ff
	s_delay_alu instid0(VALU_DEP_1) | instskip(SKIP_2) | instid1(VALU_DEP_1)
	v_cndmask_b32_e64 v31, 0, v31, s0
	v_cmp_gt_i32_e64 s0, s25, v156
	s_wait_alu 0xf1ff
	v_cndmask_b32_e64 v32, 0, v32, s0
	s_wait_alu 0xfffe
	s_or_b32 exec_lo, exec_lo, s1
	global_load_b128 v[33:36], v[89:90], off offset:3584
	s_and_saveexec_b32 s1, vcc_lo
	s_cbranch_execz .LBB58_37
.LBB58_64:                              ;   in Loop: Header=BB58_29 Depth=1
	v_cmp_gt_i32_e64 s0, s25, v158
	s_wait_loadcnt 0x0
	s_wait_alu 0xf1ff
	s_delay_alu instid0(VALU_DEP_1) | instskip(SKIP_2) | instid1(VALU_DEP_1)
	v_cndmask_b32_e64 v33, 0, v33, s0
	v_cmp_gt_i32_e64 s0, s25, v160
	s_wait_alu 0xf1ff
	v_cndmask_b32_e64 v34, 0, v34, s0
	v_cmp_gt_i32_e64 s0, s25, v159
	s_wait_alu 0xf1ff
	s_delay_alu instid0(VALU_DEP_1) | instskip(SKIP_2) | instid1(VALU_DEP_1)
	v_cndmask_b32_e64 v35, 0, v35, s0
	v_cmp_gt_i32_e64 s0, s25, v156
	s_wait_alu 0xf1ff
	v_cndmask_b32_e64 v36, 0, v36, s0
	s_wait_alu 0xfffe
	s_or_b32 exec_lo, exec_lo, s1
	global_load_b128 v[37:40], v[89:90], off offset:4096
	s_and_saveexec_b32 s1, vcc_lo
	s_cbranch_execz .LBB58_38
.LBB58_65:                              ;   in Loop: Header=BB58_29 Depth=1
	v_cmp_gt_i32_e64 s0, s25, v158
	s_wait_loadcnt 0x0
	s_wait_alu 0xf1ff
	s_delay_alu instid0(VALU_DEP_1) | instskip(SKIP_2) | instid1(VALU_DEP_1)
	v_cndmask_b32_e64 v37, 0, v37, s0
	v_cmp_gt_i32_e64 s0, s25, v160
	s_wait_alu 0xf1ff
	v_cndmask_b32_e64 v38, 0, v38, s0
	v_cmp_gt_i32_e64 s0, s25, v159
	s_wait_alu 0xf1ff
	s_delay_alu instid0(VALU_DEP_1) | instskip(SKIP_2) | instid1(VALU_DEP_1)
	v_cndmask_b32_e64 v39, 0, v39, s0
	v_cmp_gt_i32_e64 s0, s25, v156
	s_wait_alu 0xf1ff
	v_cndmask_b32_e64 v40, 0, v40, s0
	s_wait_alu 0xfffe
	s_or_b32 exec_lo, exec_lo, s1
	global_load_b128 v[41:44], v[89:90], off offset:4608
	s_and_saveexec_b32 s1, vcc_lo
	s_cbranch_execz .LBB58_39
.LBB58_66:                              ;   in Loop: Header=BB58_29 Depth=1
	v_cmp_gt_i32_e64 s0, s25, v158
	s_wait_loadcnt 0x0
	s_wait_alu 0xf1ff
	s_delay_alu instid0(VALU_DEP_1) | instskip(SKIP_2) | instid1(VALU_DEP_1)
	v_cndmask_b32_e64 v41, 0, v41, s0
	v_cmp_gt_i32_e64 s0, s25, v160
	s_wait_alu 0xf1ff
	v_cndmask_b32_e64 v42, 0, v42, s0
	v_cmp_gt_i32_e64 s0, s25, v159
	s_wait_alu 0xf1ff
	s_delay_alu instid0(VALU_DEP_1) | instskip(SKIP_2) | instid1(VALU_DEP_1)
	v_cndmask_b32_e64 v43, 0, v43, s0
	v_cmp_gt_i32_e64 s0, s25, v156
	s_wait_alu 0xf1ff
	v_cndmask_b32_e64 v44, 0, v44, s0
	s_wait_alu 0xfffe
	s_or_b32 exec_lo, exec_lo, s1
	global_load_b128 v[45:48], v[89:90], off offset:5120
	s_and_saveexec_b32 s1, vcc_lo
	s_cbranch_execz .LBB58_40
.LBB58_67:                              ;   in Loop: Header=BB58_29 Depth=1
	v_cmp_gt_i32_e64 s0, s25, v158
	s_wait_loadcnt 0x0
	s_wait_alu 0xf1ff
	s_delay_alu instid0(VALU_DEP_1) | instskip(SKIP_2) | instid1(VALU_DEP_1)
	v_cndmask_b32_e64 v45, 0, v45, s0
	v_cmp_gt_i32_e64 s0, s25, v160
	s_wait_alu 0xf1ff
	v_cndmask_b32_e64 v46, 0, v46, s0
	v_cmp_gt_i32_e64 s0, s25, v159
	s_wait_alu 0xf1ff
	s_delay_alu instid0(VALU_DEP_1) | instskip(SKIP_2) | instid1(VALU_DEP_1)
	v_cndmask_b32_e64 v47, 0, v47, s0
	v_cmp_gt_i32_e64 s0, s25, v156
	s_wait_alu 0xf1ff
	v_cndmask_b32_e64 v48, 0, v48, s0
	s_wait_alu 0xfffe
	s_or_b32 exec_lo, exec_lo, s1
	global_load_b128 v[49:52], v[89:90], off offset:5632
	s_and_saveexec_b32 s1, vcc_lo
	s_cbranch_execz .LBB58_41
.LBB58_68:                              ;   in Loop: Header=BB58_29 Depth=1
	v_cmp_gt_i32_e64 s0, s25, v158
	s_wait_loadcnt 0x0
	s_wait_alu 0xf1ff
	s_delay_alu instid0(VALU_DEP_1) | instskip(SKIP_2) | instid1(VALU_DEP_1)
	v_cndmask_b32_e64 v49, 0, v49, s0
	v_cmp_gt_i32_e64 s0, s25, v160
	s_wait_alu 0xf1ff
	v_cndmask_b32_e64 v50, 0, v50, s0
	v_cmp_gt_i32_e64 s0, s25, v159
	s_wait_alu 0xf1ff
	s_delay_alu instid0(VALU_DEP_1) | instskip(SKIP_2) | instid1(VALU_DEP_1)
	v_cndmask_b32_e64 v51, 0, v51, s0
	v_cmp_gt_i32_e64 s0, s25, v156
	s_wait_alu 0xf1ff
	v_cndmask_b32_e64 v52, 0, v52, s0
	s_wait_alu 0xfffe
	s_or_b32 exec_lo, exec_lo, s1
	global_load_b128 v[53:56], v[89:90], off offset:6144
	s_and_saveexec_b32 s1, vcc_lo
	s_cbranch_execz .LBB58_42
.LBB58_69:                              ;   in Loop: Header=BB58_29 Depth=1
	v_cmp_gt_i32_e64 s0, s25, v158
	s_wait_loadcnt 0x0
	s_wait_alu 0xf1ff
	s_delay_alu instid0(VALU_DEP_1) | instskip(SKIP_2) | instid1(VALU_DEP_1)
	v_cndmask_b32_e64 v53, 0, v53, s0
	v_cmp_gt_i32_e64 s0, s25, v160
	s_wait_alu 0xf1ff
	v_cndmask_b32_e64 v54, 0, v54, s0
	v_cmp_gt_i32_e64 s0, s25, v159
	s_wait_alu 0xf1ff
	s_delay_alu instid0(VALU_DEP_1) | instskip(SKIP_2) | instid1(VALU_DEP_1)
	v_cndmask_b32_e64 v55, 0, v55, s0
	v_cmp_gt_i32_e64 s0, s25, v156
	s_wait_alu 0xf1ff
	v_cndmask_b32_e64 v56, 0, v56, s0
	s_wait_alu 0xfffe
	s_or_b32 exec_lo, exec_lo, s1
	global_load_b128 v[57:60], v[89:90], off offset:6656
	s_and_saveexec_b32 s1, vcc_lo
	s_cbranch_execz .LBB58_43
.LBB58_70:                              ;   in Loop: Header=BB58_29 Depth=1
	v_cmp_gt_i32_e64 s0, s25, v158
	s_wait_loadcnt 0x0
	s_wait_alu 0xf1ff
	s_delay_alu instid0(VALU_DEP_1) | instskip(SKIP_2) | instid1(VALU_DEP_1)
	v_cndmask_b32_e64 v57, 0, v57, s0
	v_cmp_gt_i32_e64 s0, s25, v160
	s_wait_alu 0xf1ff
	v_cndmask_b32_e64 v58, 0, v58, s0
	v_cmp_gt_i32_e64 s0, s25, v159
	s_wait_alu 0xf1ff
	s_delay_alu instid0(VALU_DEP_1) | instskip(SKIP_2) | instid1(VALU_DEP_1)
	v_cndmask_b32_e64 v59, 0, v59, s0
	v_cmp_gt_i32_e64 s0, s25, v156
	s_wait_alu 0xf1ff
	v_cndmask_b32_e64 v60, 0, v60, s0
	s_wait_alu 0xfffe
	s_or_b32 exec_lo, exec_lo, s1
	global_load_b128 v[61:64], v[89:90], off offset:7168
	s_and_saveexec_b32 s1, vcc_lo
	s_cbranch_execz .LBB58_44
.LBB58_71:                              ;   in Loop: Header=BB58_29 Depth=1
	v_cmp_gt_i32_e64 s0, s25, v158
	s_wait_loadcnt 0x0
	s_wait_alu 0xf1ff
	s_delay_alu instid0(VALU_DEP_1) | instskip(SKIP_2) | instid1(VALU_DEP_1)
	v_cndmask_b32_e64 v61, 0, v61, s0
	v_cmp_gt_i32_e64 s0, s25, v160
	s_wait_alu 0xf1ff
	v_cndmask_b32_e64 v62, 0, v62, s0
	v_cmp_gt_i32_e64 s0, s25, v159
	s_wait_alu 0xf1ff
	s_delay_alu instid0(VALU_DEP_1) | instskip(SKIP_2) | instid1(VALU_DEP_1)
	v_cndmask_b32_e64 v63, 0, v63, s0
	v_cmp_gt_i32_e64 s0, s25, v156
	s_wait_alu 0xf1ff
	v_cndmask_b32_e64 v64, 0, v64, s0
	s_wait_alu 0xfffe
	s_or_b32 exec_lo, exec_lo, s1
	global_load_b128 v[65:68], v[89:90], off offset:7680
	s_and_saveexec_b32 s1, vcc_lo
	s_cbranch_execz .LBB58_45
.LBB58_72:                              ;   in Loop: Header=BB58_29 Depth=1
	v_cmp_gt_i32_e64 s0, s25, v158
	s_wait_loadcnt 0x0
	s_wait_alu 0xf1ff
	s_delay_alu instid0(VALU_DEP_1) | instskip(SKIP_2) | instid1(VALU_DEP_1)
	v_cndmask_b32_e64 v65, 0, v65, s0
	v_cmp_gt_i32_e64 s0, s25, v160
	s_wait_alu 0xf1ff
	v_cndmask_b32_e64 v66, 0, v66, s0
	v_cmp_gt_i32_e64 s0, s25, v159
	s_wait_alu 0xf1ff
	s_delay_alu instid0(VALU_DEP_1) | instskip(SKIP_2) | instid1(VALU_DEP_1)
	v_cndmask_b32_e64 v67, 0, v67, s0
	v_cmp_gt_i32_e64 s0, s25, v156
	s_wait_alu 0xf1ff
	v_cndmask_b32_e64 v68, 0, v68, s0
	s_wait_alu 0xfffe
	s_or_b32 exec_lo, exec_lo, s1
	global_load_b128 v[69:72], v[89:90], off offset:8192
	s_and_saveexec_b32 s1, vcc_lo
	s_cbranch_execz .LBB58_46
.LBB58_73:                              ;   in Loop: Header=BB58_29 Depth=1
	v_cmp_gt_i32_e64 s0, s25, v158
	s_wait_loadcnt 0x0
	s_wait_alu 0xf1ff
	s_delay_alu instid0(VALU_DEP_1) | instskip(SKIP_2) | instid1(VALU_DEP_1)
	v_cndmask_b32_e64 v69, 0, v69, s0
	v_cmp_gt_i32_e64 s0, s25, v160
	s_wait_alu 0xf1ff
	v_cndmask_b32_e64 v70, 0, v70, s0
	v_cmp_gt_i32_e64 s0, s25, v159
	s_wait_alu 0xf1ff
	s_delay_alu instid0(VALU_DEP_1) | instskip(SKIP_2) | instid1(VALU_DEP_1)
	v_cndmask_b32_e64 v71, 0, v71, s0
	v_cmp_gt_i32_e64 s0, s25, v156
	s_wait_alu 0xf1ff
	v_cndmask_b32_e64 v72, 0, v72, s0
	s_wait_alu 0xfffe
	s_or_b32 exec_lo, exec_lo, s1
	global_load_b128 v[73:76], v[89:90], off offset:8704
	s_and_saveexec_b32 s1, vcc_lo
	s_cbranch_execz .LBB58_47
.LBB58_74:                              ;   in Loop: Header=BB58_29 Depth=1
	v_cmp_gt_i32_e64 s0, s25, v158
	s_wait_loadcnt 0x0
	s_wait_alu 0xf1ff
	s_delay_alu instid0(VALU_DEP_1) | instskip(SKIP_2) | instid1(VALU_DEP_1)
	v_cndmask_b32_e64 v73, 0, v73, s0
	v_cmp_gt_i32_e64 s0, s25, v160
	s_wait_alu 0xf1ff
	v_cndmask_b32_e64 v74, 0, v74, s0
	v_cmp_gt_i32_e64 s0, s25, v159
	s_wait_alu 0xf1ff
	s_delay_alu instid0(VALU_DEP_1) | instskip(SKIP_2) | instid1(VALU_DEP_1)
	v_cndmask_b32_e64 v75, 0, v75, s0
	v_cmp_gt_i32_e64 s0, s25, v156
	s_wait_alu 0xf1ff
	v_cndmask_b32_e64 v76, 0, v76, s0
	s_wait_alu 0xfffe
	s_or_b32 exec_lo, exec_lo, s1
	global_load_b128 v[77:80], v[89:90], off offset:9216
	s_and_saveexec_b32 s1, vcc_lo
	s_cbranch_execz .LBB58_48
.LBB58_75:                              ;   in Loop: Header=BB58_29 Depth=1
	v_cmp_gt_i32_e64 s0, s25, v158
	s_wait_loadcnt 0x0
	s_wait_alu 0xf1ff
	s_delay_alu instid0(VALU_DEP_1) | instskip(SKIP_2) | instid1(VALU_DEP_1)
	v_cndmask_b32_e64 v77, 0, v77, s0
	v_cmp_gt_i32_e64 s0, s25, v160
	s_wait_alu 0xf1ff
	v_cndmask_b32_e64 v78, 0, v78, s0
	v_cmp_gt_i32_e64 s0, s25, v159
	s_wait_alu 0xf1ff
	s_delay_alu instid0(VALU_DEP_1) | instskip(SKIP_2) | instid1(VALU_DEP_1)
	v_cndmask_b32_e64 v79, 0, v79, s0
	v_cmp_gt_i32_e64 s0, s25, v156
	s_wait_alu 0xf1ff
	v_cndmask_b32_e64 v80, 0, v80, s0
	s_wait_alu 0xfffe
	s_or_b32 exec_lo, exec_lo, s1
	global_load_b128 v[81:84], v[89:90], off offset:9728
	s_and_saveexec_b32 s1, vcc_lo
	s_cbranch_execz .LBB58_49
.LBB58_76:                              ;   in Loop: Header=BB58_29 Depth=1
	v_cmp_gt_i32_e64 s0, s25, v158
	s_wait_loadcnt 0x0
	s_wait_alu 0xf1ff
	s_delay_alu instid0(VALU_DEP_1) | instskip(SKIP_2) | instid1(VALU_DEP_1)
	v_cndmask_b32_e64 v81, 0, v81, s0
	v_cmp_gt_i32_e64 s0, s25, v160
	s_wait_alu 0xf1ff
	v_cndmask_b32_e64 v82, 0, v82, s0
	v_cmp_gt_i32_e64 s0, s25, v159
	s_wait_alu 0xf1ff
	s_delay_alu instid0(VALU_DEP_1) | instskip(SKIP_2) | instid1(VALU_DEP_1)
	v_cndmask_b32_e64 v83, 0, v83, s0
	v_cmp_gt_i32_e64 s0, s25, v156
	s_wait_alu 0xf1ff
	v_cndmask_b32_e64 v84, 0, v84, s0
	s_wait_alu 0xfffe
	s_or_b32 exec_lo, exec_lo, s1
	global_load_b128 v[85:88], v[89:90], off offset:10240
	s_and_saveexec_b32 s1, vcc_lo
	s_cbranch_execz .LBB58_50
.LBB58_77:                              ;   in Loop: Header=BB58_29 Depth=1
	v_cmp_gt_i32_e64 s0, s25, v158
	s_wait_loadcnt 0x0
	s_wait_alu 0xf1ff
	s_delay_alu instid0(VALU_DEP_1) | instskip(SKIP_2) | instid1(VALU_DEP_1)
	v_cndmask_b32_e64 v85, 0, v85, s0
	v_cmp_gt_i32_e64 s0, s25, v160
	s_wait_alu 0xf1ff
	v_cndmask_b32_e64 v86, 0, v86, s0
	v_cmp_gt_i32_e64 s0, s25, v159
	s_wait_alu 0xf1ff
	s_delay_alu instid0(VALU_DEP_1) | instskip(SKIP_2) | instid1(VALU_DEP_1)
	v_cndmask_b32_e64 v87, 0, v87, s0
	v_cmp_gt_i32_e64 s0, s25, v156
	s_wait_alu 0xf1ff
	v_cndmask_b32_e64 v88, 0, v88, s0
	s_wait_alu 0xfffe
	s_or_b32 exec_lo, exec_lo, s1
	global_load_b128 v[93:96], v[89:90], off offset:10752
	s_and_saveexec_b32 s1, vcc_lo
	s_cbranch_execz .LBB58_51
.LBB58_78:                              ;   in Loop: Header=BB58_29 Depth=1
	v_cmp_gt_i32_e64 s0, s25, v158
	s_wait_loadcnt 0x0
	s_wait_alu 0xf1ff
	s_delay_alu instid0(VALU_DEP_1) | instskip(SKIP_2) | instid1(VALU_DEP_1)
	v_cndmask_b32_e64 v93, 0, v93, s0
	v_cmp_gt_i32_e64 s0, s25, v160
	s_wait_alu 0xf1ff
	v_cndmask_b32_e64 v94, 0, v94, s0
	v_cmp_gt_i32_e64 s0, s25, v159
	s_wait_alu 0xf1ff
	s_delay_alu instid0(VALU_DEP_1) | instskip(SKIP_2) | instid1(VALU_DEP_1)
	v_cndmask_b32_e64 v95, 0, v95, s0
	v_cmp_gt_i32_e64 s0, s25, v156
	s_wait_alu 0xf1ff
	v_cndmask_b32_e64 v96, 0, v96, s0
	s_wait_alu 0xfffe
	s_or_b32 exec_lo, exec_lo, s1
	global_load_b128 v[97:100], v[89:90], off offset:11264
	s_and_saveexec_b32 s1, vcc_lo
	s_cbranch_execz .LBB58_52
.LBB58_79:                              ;   in Loop: Header=BB58_29 Depth=1
	v_cmp_gt_i32_e64 s0, s25, v158
	s_wait_loadcnt 0x0
	s_wait_alu 0xf1ff
	s_delay_alu instid0(VALU_DEP_1) | instskip(SKIP_2) | instid1(VALU_DEP_1)
	v_cndmask_b32_e64 v97, 0, v97, s0
	v_cmp_gt_i32_e64 s0, s25, v160
	s_wait_alu 0xf1ff
	v_cndmask_b32_e64 v98, 0, v98, s0
	v_cmp_gt_i32_e64 s0, s25, v159
	s_wait_alu 0xf1ff
	s_delay_alu instid0(VALU_DEP_1) | instskip(SKIP_2) | instid1(VALU_DEP_1)
	v_cndmask_b32_e64 v99, 0, v99, s0
	v_cmp_gt_i32_e64 s0, s25, v156
	s_wait_alu 0xf1ff
	v_cndmask_b32_e64 v100, 0, v100, s0
	s_wait_alu 0xfffe
	s_or_b32 exec_lo, exec_lo, s1
	global_load_b128 v[101:104], v[89:90], off offset:11776
	s_and_saveexec_b32 s9, vcc_lo
	s_cbranch_execz .LBB58_53
.LBB58_80:                              ;   in Loop: Header=BB58_29 Depth=1
	v_cmp_gt_i32_e64 s0, s25, v158
	v_cmp_gt_i32_e64 s1, s25, v160
	v_cmp_gt_i32_e64 s2, s25, v159
	v_cmp_gt_i32_e64 s3, s25, v156
	s_wait_loadcnt 0x0
	s_wait_alu 0xf1ff
	v_cndmask_b32_e64 v101, 0, v101, s0
	v_cndmask_b32_e64 v102, 0, v102, s1
	;; [unrolled: 1-line block ×4, first 2 shown]
	s_or_b32 exec_lo, exec_lo, s9
	global_load_b128 v[105:108], v[89:90], off offset:12288
	s_and_saveexec_b32 s1, vcc_lo
	s_cbranch_execz .LBB58_54
.LBB58_81:                              ;   in Loop: Header=BB58_29 Depth=1
	v_cmp_gt_i32_e64 s0, s25, v158
	s_wait_loadcnt 0x0
	s_wait_alu 0xf1ff
	s_delay_alu instid0(VALU_DEP_1) | instskip(SKIP_2) | instid1(VALU_DEP_1)
	v_cndmask_b32_e64 v105, 0, v105, s0
	v_cmp_gt_i32_e64 s0, s25, v160
	s_wait_alu 0xf1ff
	v_cndmask_b32_e64 v106, 0, v106, s0
	v_cmp_gt_i32_e64 s0, s25, v159
	s_wait_alu 0xf1ff
	s_delay_alu instid0(VALU_DEP_1) | instskip(SKIP_2) | instid1(VALU_DEP_1)
	v_cndmask_b32_e64 v107, 0, v107, s0
	v_cmp_gt_i32_e64 s0, s25, v156
	s_wait_alu 0xf1ff
	v_cndmask_b32_e64 v108, 0, v108, s0
	s_wait_alu 0xfffe
	s_or_b32 exec_lo, exec_lo, s1
	global_load_b128 v[109:112], v[89:90], off offset:12800
	s_and_saveexec_b32 s1, vcc_lo
	s_cbranch_execz .LBB58_55
.LBB58_82:                              ;   in Loop: Header=BB58_29 Depth=1
	v_cmp_gt_i32_e64 s0, s25, v158
	s_wait_loadcnt 0x0
	s_wait_alu 0xf1ff
	s_delay_alu instid0(VALU_DEP_1) | instskip(SKIP_2) | instid1(VALU_DEP_1)
	v_cndmask_b32_e64 v109, 0, v109, s0
	v_cmp_gt_i32_e64 s0, s25, v160
	s_wait_alu 0xf1ff
	v_cndmask_b32_e64 v110, 0, v110, s0
	v_cmp_gt_i32_e64 s0, s25, v159
	s_wait_alu 0xf1ff
	s_delay_alu instid0(VALU_DEP_1) | instskip(SKIP_2) | instid1(VALU_DEP_1)
	v_cndmask_b32_e64 v111, 0, v111, s0
	v_cmp_gt_i32_e64 s0, s25, v156
	s_wait_alu 0xf1ff
	v_cndmask_b32_e64 v112, 0, v112, s0
	s_wait_alu 0xfffe
	s_or_b32 exec_lo, exec_lo, s1
	global_load_b128 v[113:116], v[89:90], off offset:13312
	s_and_saveexec_b32 s1, vcc_lo
	s_cbranch_execz .LBB58_56
.LBB58_83:                              ;   in Loop: Header=BB58_29 Depth=1
	v_cmp_gt_i32_e64 s0, s25, v158
	s_wait_loadcnt 0x0
	s_wait_alu 0xf1ff
	s_delay_alu instid0(VALU_DEP_1) | instskip(SKIP_2) | instid1(VALU_DEP_1)
	v_cndmask_b32_e64 v113, 0, v113, s0
	v_cmp_gt_i32_e64 s0, s25, v160
	s_wait_alu 0xf1ff
	v_cndmask_b32_e64 v114, 0, v114, s0
	v_cmp_gt_i32_e64 s0, s25, v159
	s_wait_alu 0xf1ff
	s_delay_alu instid0(VALU_DEP_1) | instskip(SKIP_2) | instid1(VALU_DEP_1)
	v_cndmask_b32_e64 v115, 0, v115, s0
	v_cmp_gt_i32_e64 s0, s25, v156
	s_wait_alu 0xf1ff
	v_cndmask_b32_e64 v116, 0, v116, s0
	s_wait_alu 0xfffe
	s_or_b32 exec_lo, exec_lo, s1
	global_load_b128 v[89:92], v[89:90], off offset:13824
	s_and_saveexec_b32 s0, vcc_lo
	s_cbranch_execz .LBB58_28
.LBB58_84:                              ;   in Loop: Header=BB58_29 Depth=1
	v_cmp_gt_i32_e32 vcc_lo, s25, v158
	s_wait_loadcnt 0x0
	s_wait_alu 0xfffd
	v_cndmask_b32_e32 v89, 0, v89, vcc_lo
	v_cmp_gt_i32_e32 vcc_lo, s25, v160
	s_wait_alu 0xfffd
	v_cndmask_b32_e32 v90, 0, v90, vcc_lo
	v_cmp_gt_i32_e32 vcc_lo, s25, v159
	;; [unrolled: 3-line block ×3, first 2 shown]
	s_wait_alu 0xfffd
	v_cndmask_b32_e32 v92, 0, v92, vcc_lo
	s_branch .LBB58_28
.LBB58_85:
	s_or_b32 exec_lo, exec_lo, s6
.LBB58_86:
	s_wait_alu 0xfffe
	s_or_b32 exec_lo, exec_lo, s4
	ds_bpermute_b32 v1, v124, v151
	ds_bpermute_b32 v3, v124, v152
	;; [unrolled: 1-line block ×20, first 2 shown]
	s_wait_dscnt 0x13
	v_add_f32_e32 v1, v151, v1
	s_wait_dscnt 0x11
	v_dual_add_f32 v3, v152, v3 :: v_dual_add_f32 v4, v150, v4
	s_wait_dscnt 0x10
	v_add_f32_e32 v5, v149, v5
	s_wait_dscnt 0xf
	v_add_f32_e32 v2, v153, v2
	s_wait_dscnt 0xd
	v_dual_add_f32 v6, v148, v6 :: v_dual_add_f32 v7, v147, v7
	s_wait_dscnt 0xc
	v_add_f32_e32 v8, v146, v8
	ds_bpermute_b32 v11, v123, v1
	ds_bpermute_b32 v13, v123, v3
	ds_bpermute_b32 v14, v123, v4
	ds_bpermute_b32 v15, v123, v5
	ds_bpermute_b32 v12, v123, v2
	ds_bpermute_b32 v16, v123, v6
	ds_bpermute_b32 v17, v123, v7
	ds_bpermute_b32 v18, v123, v8
	s_wait_dscnt 0x12
	v_dual_add_f32 v9, v145, v9 :: v_dual_add_f32 v10, v144, v10
	s_wait_dscnt 0x10
	v_dual_add_f32 v19, v143, v19 :: v_dual_add_f32 v20, v142, v20
	;; [unrolled: 2-line block ×3, first 2 shown]
	ds_bpermute_b32 v24, v123, v9
	ds_bpermute_b32 v25, v123, v10
	;; [unrolled: 1-line block ×5, first 2 shown]
	s_wait_dscnt 0x12
	v_add_f32_e32 v23, v139, v23
	s_wait_dscnt 0xc
	v_add_f32_e32 v1, v1, v11
	s_wait_dscnt 0xa
	v_dual_add_f32 v3, v3, v13 :: v_dual_add_f32 v4, v4, v14
	s_wait_dscnt 0x8
	v_dual_add_f32 v5, v5, v15 :: v_dual_add_f32 v2, v2, v12
	;; [unrolled: 2-line block ×3, first 2 shown]
	s_wait_dscnt 0x5
	v_add_f32_e32 v8, v8, v18
	ds_bpermute_b32 v11, v122, v1
	ds_bpermute_b32 v14, v122, v4
	;; [unrolled: 1-line block ×9, first 2 shown]
	s_wait_dscnt 0xc
	v_dual_add_f32 v9, v9, v24 :: v_dual_add_f32 v10, v10, v25
	ds_bpermute_b32 v24, v124, v134
	v_dual_add_f32 v35, v127, v35 :: v_dual_add_f32 v36, v126, v36
	s_mov_b32 s0, exec_lo
	s_wait_storecnt 0x0
	s_wait_loadcnt_dscnt 0x0
	s_barrier_signal -1
	s_barrier_wait -1
	ds_bpermute_b32 v45, v123, v36
	s_wait_dscnt 0x0
	global_inv scope:SCOPE_SE
	v_dual_add_f32 v1, v1, v11 :: v_dual_add_f32 v4, v4, v14
	v_add_f32_e32 v5, v5, v15
	ds_bpermute_b32 v11, v124, v137
	ds_bpermute_b32 v14, v123, v23
	;; [unrolled: 1-line block ×3, first 2 shown]
	v_dual_add_f32 v3, v3, v13 :: v_dual_add_f32 v6, v6, v16
	v_dual_add_f32 v7, v7, v17 :: v_dual_add_f32 v22, v22, v30
	v_dual_add_f32 v16, v19, v27 :: v_dual_add_f32 v17, v20, v28
	ds_bpermute_b32 v20, v124, v135
	v_add_f32_e32 v8, v8, v18
	v_dual_add_f32 v18, v21, v29 :: v_dual_add_f32 v19, v138, v26
	ds_bpermute_b32 v28, v124, v133
	ds_bpermute_b32 v29, v124, v132
	;; [unrolled: 1-line block ×3, first 2 shown]
	v_add_f32_e32 v31, v130, v31
	ds_bpermute_b32 v26, v123, v19
	v_add_f32_e32 v24, v134, v24
	s_wait_dscnt 0x7
	v_dual_add_f32 v2, v2, v12 :: v_dual_add_f32 v11, v137, v11
	s_wait_dscnt 0x5
	v_dual_add_f32 v23, v23, v14 :: v_dual_add_f32 v14, v136, v15
	ds_bpermute_b32 v15, v124, v128
	v_add_f32_e32 v32, v129, v32
	ds_bpermute_b32 v43, v123, v31
	ds_bpermute_b32 v12, v122, v9
	;; [unrolled: 1-line block ×4, first 2 shown]
	s_wait_dscnt 0x9
	v_add_f32_e32 v20, v135, v20
	ds_bpermute_b32 v34, v123, v11
	ds_bpermute_b32 v21, v122, v16
	;; [unrolled: 1-line block ×3, first 2 shown]
	s_wait_dscnt 0xa
	v_dual_add_f32 v28, v133, v28 :: v_dual_add_f32 v29, v132, v29
	s_wait_dscnt 0x9
	v_add_f32_e32 v30, v131, v30
	ds_bpermute_b32 v38, v122, v23
	s_wait_dscnt 0x9
	v_add_f32_e32 v19, v19, v26
	ds_bpermute_b32 v26, v123, v20
	ds_bpermute_b32 v41, v123, v29
	;; [unrolled: 1-line block ×5, first 2 shown]
	s_wait_dscnt 0xd
	v_add_f32_e32 v15, v128, v15
	ds_bpermute_b32 v44, v123, v32
	ds_bpermute_b32 v33, v122, v22
	s_wait_dscnt 0xe
	v_add_f32_e32 v31, v31, v43
	s_wait_dscnt 0xc
	v_add_f32_e32 v37, v14, v37
	ds_bpermute_b32 v14, v123, v35
	v_add_f32_e32 v36, v36, v45
	s_wait_dscnt 0xb
	v_add_f32_e32 v34, v11, v34
	ds_bpermute_b32 v11, v123, v15
	ds_bpermute_b32 v25, v122, v17
	;; [unrolled: 1-line block ×3, first 2 shown]
	s_wait_dscnt 0xa
	v_dual_add_f32 v9, v9, v12 :: v_dual_add_f32 v20, v20, v26
	s_wait_dscnt 0x8
	v_dual_add_f32 v29, v29, v41 :: v_dual_add_f32 v24, v24, v39
	s_wait_dscnt 0x7
	v_add_f32_e32 v28, v28, v40
	s_wait_dscnt 0x6
	v_add_f32_e32 v30, v30, v42
	ds_bpermute_b32 v26, v122, v19
	s_wait_dscnt 0x6
	v_add_f32_e32 v32, v32, v44
	ds_bpermute_b32 v42, v122, v29
	ds_bpermute_b32 v39, v122, v34
	;; [unrolled: 1-line block ×3, first 2 shown]
	s_wait_dscnt 0x7
	v_add_f32_e32 v35, v35, v14
	ds_bpermute_b32 v40, v122, v24
	ds_bpermute_b32 v41, v122, v28
	s_wait_dscnt 0x8
	v_dual_add_f32 v48, v15, v11 :: v_dual_add_f32 v11, v16, v21
	ds_bpermute_b32 v43, v122, v30
	ds_bpermute_b32 v44, v122, v31
	v_add_f32_e32 v10, v10, v13
	ds_bpermute_b32 v45, v122, v48
	ds_bpermute_b32 v50, v122, v35
	v_add_f32_e32 v13, v18, v27
	ds_bpermute_b32 v49, v122, v32
	v_add_f32_e32 v15, v23, v38
	ds_bpermute_b32 v51, v122, v36
	v_add_f32_e32 v14, v22, v33
	s_wait_dscnt 0xd
	v_add_f32_e32 v12, v17, v25
	s_wait_dscnt 0xb
	v_add_f32_e32 v16, v19, v26
	;; [unrolled: 2-line block ×3, first 2 shown]
	v_lshrrev_b32_e32 v29, 3, v120
	s_wait_dscnt 0x9
	v_dual_add_f32 v17, v34, v39 :: v_dual_add_f32 v18, v37, v46
	s_wait_dscnt 0x8
	v_add_f32_e32 v19, v20, v47
	s_wait_dscnt 0x7
	v_add_f32_e32 v20, v24, v40
	;; [unrolled: 2-line block ×3, first 2 shown]
	s_wait_dscnt 0x4
	v_dual_add_f32 v23, v30, v43 :: v_dual_add_f32 v24, v31, v44
	v_lshl_add_u32 v30, v29, 2, 0x1e0
	s_wait_dscnt 0x2
	v_dual_add_f32 v26, v48, v45 :: v_dual_add_f32 v27, v35, v50
	v_mul_u32_u24_e32 v31, 0x1c0, v119
	s_wait_dscnt 0x1
	v_dual_add_f32 v25, v32, v49 :: v_dual_and_b32 v32, 0x3c7, v0
	s_wait_dscnt 0x0
	v_add_f32_e32 v28, v36, v51
	s_delay_alu instid0(VALU_DEP_2)
	v_cmpx_eq_u32_e32 64, v32
	s_cbranch_execz .LBB58_88
; %bb.87:
	v_add_nc_u32_e32 v32, v30, v31
	s_delay_alu instid0(VALU_DEP_1)
	v_add_nc_u32_e32 v33, 0xfffffc80, v32
	v_add_nc_u32_e32 v34, 0xfffffc90, v32
	;; [unrolled: 1-line block ×8, first 2 shown]
	ds_store_b32 v33, v1
	ds_store_b32 v34, v2
	;; [unrolled: 1-line block ×8, first 2 shown]
	v_add_nc_u32_e32 v33, 0xfffffd00, v32
	v_add_nc_u32_e32 v34, 0xfffffd10, v32
	;; [unrolled: 1-line block ×8, first 2 shown]
	ds_store_b32 v33, v9
	ds_store_b32 v34, v10
	;; [unrolled: 1-line block ×8, first 2 shown]
	v_add_nc_u32_e32 v33, 0xfffffd80, v32
	v_add_nc_u32_e32 v34, 0xfffffd90, v32
	;; [unrolled: 1-line block ×12, first 2 shown]
	ds_store_b32 v33, v17
	ds_store_b32 v34, v18
	;; [unrolled: 1-line block ×12, first 2 shown]
.LBB58_88:
	s_wait_alu 0xfffe
	s_or_b32 exec_lo, exec_lo, s0
	v_lshlrev_b32_e32 v29, 2, v29
	s_mov_b32 s1, exec_lo
	v_cmp_eq_u32_e32 vcc_lo, 0, v125
	s_wait_loadcnt_dscnt 0x0
	s_barrier_signal -1
	v_add3_u32 v29, 0x1e0, v31, v29
	s_barrier_wait -1
	global_inv scope:SCOPE_SE
	v_cmpx_gt_u32_e32 64, v0
	s_cbranch_execz .LBB58_119
; %bb.89:
	s_and_saveexec_b32 s0, vcc_lo
	s_cbranch_execnz .LBB58_155
; %bb.90:
	s_wait_alu 0xfffe
	s_or_b32 exec_lo, exec_lo, s0
	s_and_saveexec_b32 s0, vcc_lo
	s_cbranch_execnz .LBB58_156
.LBB58_91:
	s_wait_alu 0xfffe
	s_or_b32 exec_lo, exec_lo, s0
	s_and_saveexec_b32 s0, vcc_lo
	s_cbranch_execnz .LBB58_157
.LBB58_92:
	s_wait_alu 0xfffe
	s_or_b32 exec_lo, exec_lo, s0
	s_and_saveexec_b32 s0, vcc_lo
	s_cbranch_execnz .LBB58_158
.LBB58_93:
	s_wait_alu 0xfffe
	s_or_b32 exec_lo, exec_lo, s0
	s_and_saveexec_b32 s0, vcc_lo
	s_cbranch_execnz .LBB58_159
.LBB58_94:
	s_wait_alu 0xfffe
	s_or_b32 exec_lo, exec_lo, s0
	s_and_saveexec_b32 s0, vcc_lo
	s_cbranch_execnz .LBB58_160
.LBB58_95:
	s_wait_alu 0xfffe
	s_or_b32 exec_lo, exec_lo, s0
	s_and_saveexec_b32 s0, vcc_lo
	s_cbranch_execnz .LBB58_161
.LBB58_96:
	s_wait_alu 0xfffe
	s_or_b32 exec_lo, exec_lo, s0
	s_and_saveexec_b32 s0, vcc_lo
	s_cbranch_execnz .LBB58_162
.LBB58_97:
	s_wait_alu 0xfffe
	s_or_b32 exec_lo, exec_lo, s0
	s_and_saveexec_b32 s0, vcc_lo
	s_cbranch_execnz .LBB58_163
.LBB58_98:
	s_wait_alu 0xfffe
	s_or_b32 exec_lo, exec_lo, s0
	s_and_saveexec_b32 s0, vcc_lo
	s_cbranch_execnz .LBB58_164
.LBB58_99:
	s_wait_alu 0xfffe
	s_or_b32 exec_lo, exec_lo, s0
	s_and_saveexec_b32 s0, vcc_lo
	s_cbranch_execnz .LBB58_165
.LBB58_100:
	s_wait_alu 0xfffe
	s_or_b32 exec_lo, exec_lo, s0
	s_and_saveexec_b32 s0, vcc_lo
	s_cbranch_execnz .LBB58_166
.LBB58_101:
	s_wait_alu 0xfffe
	s_or_b32 exec_lo, exec_lo, s0
	s_and_saveexec_b32 s0, vcc_lo
	s_cbranch_execnz .LBB58_167
.LBB58_102:
	s_wait_alu 0xfffe
	s_or_b32 exec_lo, exec_lo, s0
	s_and_saveexec_b32 s0, vcc_lo
	s_cbranch_execnz .LBB58_168
.LBB58_103:
	s_wait_alu 0xfffe
	s_or_b32 exec_lo, exec_lo, s0
	s_and_saveexec_b32 s0, vcc_lo
	s_cbranch_execnz .LBB58_169
.LBB58_104:
	s_wait_alu 0xfffe
	s_or_b32 exec_lo, exec_lo, s0
	s_and_saveexec_b32 s0, vcc_lo
	s_cbranch_execnz .LBB58_170
.LBB58_105:
	s_wait_alu 0xfffe
	s_or_b32 exec_lo, exec_lo, s0
	s_and_saveexec_b32 s0, vcc_lo
	s_cbranch_execnz .LBB58_171
.LBB58_106:
	s_wait_alu 0xfffe
	s_or_b32 exec_lo, exec_lo, s0
	s_and_saveexec_b32 s0, vcc_lo
	s_cbranch_execnz .LBB58_172
.LBB58_107:
	s_wait_alu 0xfffe
	s_or_b32 exec_lo, exec_lo, s0
	s_and_saveexec_b32 s0, vcc_lo
	s_cbranch_execnz .LBB58_173
.LBB58_108:
	s_wait_alu 0xfffe
	s_or_b32 exec_lo, exec_lo, s0
	s_and_saveexec_b32 s0, vcc_lo
	s_cbranch_execnz .LBB58_174
.LBB58_109:
	s_wait_alu 0xfffe
	s_or_b32 exec_lo, exec_lo, s0
	s_and_saveexec_b32 s0, vcc_lo
	s_cbranch_execnz .LBB58_175
.LBB58_110:
	s_wait_alu 0xfffe
	s_or_b32 exec_lo, exec_lo, s0
	s_and_saveexec_b32 s0, vcc_lo
	s_cbranch_execnz .LBB58_176
.LBB58_111:
	s_wait_alu 0xfffe
	s_or_b32 exec_lo, exec_lo, s0
	s_and_saveexec_b32 s0, vcc_lo
	s_cbranch_execnz .LBB58_177
.LBB58_112:
	s_wait_alu 0xfffe
	s_or_b32 exec_lo, exec_lo, s0
	s_and_saveexec_b32 s0, vcc_lo
	s_cbranch_execnz .LBB58_178
.LBB58_113:
	s_wait_alu 0xfffe
	s_or_b32 exec_lo, exec_lo, s0
	s_and_saveexec_b32 s0, vcc_lo
	s_cbranch_execnz .LBB58_179
.LBB58_114:
	s_wait_alu 0xfffe
	s_or_b32 exec_lo, exec_lo, s0
	s_and_saveexec_b32 s0, vcc_lo
	s_cbranch_execnz .LBB58_180
.LBB58_115:
	s_wait_alu 0xfffe
	s_or_b32 exec_lo, exec_lo, s0
	s_and_saveexec_b32 s0, vcc_lo
	s_cbranch_execnz .LBB58_181
.LBB58_116:
	s_wait_alu 0xfffe
	s_or_b32 exec_lo, exec_lo, s0
	s_and_saveexec_b32 s0, vcc_lo
	s_cbranch_execz .LBB58_118
.LBB58_117:
	ds_load_b32 v31, v29 offset:432
	s_wait_dscnt 0x0
	v_add_f32_e32 v28, v28, v31
.LBB58_118:
	s_wait_alu 0xfffe
	s_or_b32 exec_lo, exec_lo, s0
.LBB58_119:
	s_wait_alu 0xfffe
	s_or_b32 exec_lo, exec_lo, s1
	v_and_b32_e32 v31, 0x3e7, v0
	s_mov_b32 s1, exec_lo
	s_wait_loadcnt 0x0
	s_barrier_signal -1
	s_barrier_wait -1
	global_inv scope:SCOPE_SE
	v_cmpx_eq_u32_e32 32, v31
	s_cbranch_execz .LBB58_121
; %bb.120:
	ds_store_2addr_b32 v30, v1, v2 offset1:4
	ds_store_2addr_b32 v30, v3, v4 offset0:8 offset1:12
	ds_store_2addr_b32 v30, v5, v6 offset0:16 offset1:20
	;; [unrolled: 1-line block ×13, first 2 shown]
.LBB58_121:
	s_wait_alu 0xfffe
	s_or_b32 exec_lo, exec_lo, s1
	s_delay_alu instid0(SALU_CYCLE_1)
	s_mov_b32 s1, exec_lo
	s_wait_loadcnt_dscnt 0x0
	s_barrier_signal -1
	s_barrier_wait -1
	global_inv scope:SCOPE_SE
	v_cmpx_gt_u32_e32 32, v0
	s_cbranch_execz .LBB58_152
; %bb.122:
	s_and_saveexec_b32 s0, vcc_lo
	s_cbranch_execnz .LBB58_182
; %bb.123:
	s_wait_alu 0xfffe
	s_or_b32 exec_lo, exec_lo, s0
	s_and_saveexec_b32 s0, vcc_lo
	s_cbranch_execnz .LBB58_183
.LBB58_124:
	s_wait_alu 0xfffe
	s_or_b32 exec_lo, exec_lo, s0
	s_and_saveexec_b32 s0, vcc_lo
	s_cbranch_execnz .LBB58_184
.LBB58_125:
	s_wait_alu 0xfffe
	s_or_b32 exec_lo, exec_lo, s0
	s_and_saveexec_b32 s0, vcc_lo
	s_cbranch_execnz .LBB58_185
.LBB58_126:
	s_wait_alu 0xfffe
	s_or_b32 exec_lo, exec_lo, s0
	s_and_saveexec_b32 s0, vcc_lo
	s_cbranch_execnz .LBB58_186
.LBB58_127:
	s_wait_alu 0xfffe
	s_or_b32 exec_lo, exec_lo, s0
	s_and_saveexec_b32 s0, vcc_lo
	s_cbranch_execnz .LBB58_187
.LBB58_128:
	s_wait_alu 0xfffe
	s_or_b32 exec_lo, exec_lo, s0
	s_and_saveexec_b32 s0, vcc_lo
	s_cbranch_execnz .LBB58_188
.LBB58_129:
	s_wait_alu 0xfffe
	s_or_b32 exec_lo, exec_lo, s0
	s_and_saveexec_b32 s0, vcc_lo
	s_cbranch_execnz .LBB58_189
.LBB58_130:
	s_wait_alu 0xfffe
	s_or_b32 exec_lo, exec_lo, s0
	s_and_saveexec_b32 s0, vcc_lo
	s_cbranch_execnz .LBB58_190
.LBB58_131:
	s_wait_alu 0xfffe
	s_or_b32 exec_lo, exec_lo, s0
	s_and_saveexec_b32 s0, vcc_lo
	s_cbranch_execnz .LBB58_191
.LBB58_132:
	s_wait_alu 0xfffe
	s_or_b32 exec_lo, exec_lo, s0
	s_and_saveexec_b32 s0, vcc_lo
	s_cbranch_execnz .LBB58_192
.LBB58_133:
	s_wait_alu 0xfffe
	s_or_b32 exec_lo, exec_lo, s0
	s_and_saveexec_b32 s0, vcc_lo
	s_cbranch_execnz .LBB58_193
.LBB58_134:
	s_wait_alu 0xfffe
	s_or_b32 exec_lo, exec_lo, s0
	s_and_saveexec_b32 s0, vcc_lo
	s_cbranch_execnz .LBB58_194
.LBB58_135:
	s_wait_alu 0xfffe
	s_or_b32 exec_lo, exec_lo, s0
	s_and_saveexec_b32 s0, vcc_lo
	s_cbranch_execnz .LBB58_195
.LBB58_136:
	s_wait_alu 0xfffe
	s_or_b32 exec_lo, exec_lo, s0
	s_and_saveexec_b32 s0, vcc_lo
	s_cbranch_execnz .LBB58_196
.LBB58_137:
	s_wait_alu 0xfffe
	s_or_b32 exec_lo, exec_lo, s0
	s_and_saveexec_b32 s0, vcc_lo
	s_cbranch_execnz .LBB58_197
.LBB58_138:
	s_wait_alu 0xfffe
	s_or_b32 exec_lo, exec_lo, s0
	s_and_saveexec_b32 s0, vcc_lo
	s_cbranch_execnz .LBB58_198
.LBB58_139:
	s_wait_alu 0xfffe
	s_or_b32 exec_lo, exec_lo, s0
	s_and_saveexec_b32 s0, vcc_lo
	s_cbranch_execnz .LBB58_199
.LBB58_140:
	s_wait_alu 0xfffe
	s_or_b32 exec_lo, exec_lo, s0
	s_and_saveexec_b32 s0, vcc_lo
	s_cbranch_execnz .LBB58_200
.LBB58_141:
	s_wait_alu 0xfffe
	s_or_b32 exec_lo, exec_lo, s0
	s_and_saveexec_b32 s0, vcc_lo
	s_cbranch_execnz .LBB58_201
.LBB58_142:
	s_wait_alu 0xfffe
	s_or_b32 exec_lo, exec_lo, s0
	s_and_saveexec_b32 s0, vcc_lo
	s_cbranch_execnz .LBB58_202
.LBB58_143:
	s_wait_alu 0xfffe
	s_or_b32 exec_lo, exec_lo, s0
	s_and_saveexec_b32 s0, vcc_lo
	s_cbranch_execnz .LBB58_203
.LBB58_144:
	s_wait_alu 0xfffe
	s_or_b32 exec_lo, exec_lo, s0
	s_and_saveexec_b32 s0, vcc_lo
	s_cbranch_execnz .LBB58_204
.LBB58_145:
	s_wait_alu 0xfffe
	s_or_b32 exec_lo, exec_lo, s0
	s_and_saveexec_b32 s0, vcc_lo
	s_cbranch_execnz .LBB58_205
.LBB58_146:
	s_wait_alu 0xfffe
	s_or_b32 exec_lo, exec_lo, s0
	s_and_saveexec_b32 s0, vcc_lo
	s_cbranch_execnz .LBB58_206
.LBB58_147:
	s_wait_alu 0xfffe
	s_or_b32 exec_lo, exec_lo, s0
	s_and_saveexec_b32 s0, vcc_lo
	s_cbranch_execnz .LBB58_207
.LBB58_148:
	s_wait_alu 0xfffe
	s_or_b32 exec_lo, exec_lo, s0
	s_and_saveexec_b32 s0, vcc_lo
	s_cbranch_execnz .LBB58_208
.LBB58_149:
	s_wait_alu 0xfffe
	s_or_b32 exec_lo, exec_lo, s0
	s_and_saveexec_b32 s0, vcc_lo
	s_cbranch_execz .LBB58_151
.LBB58_150:
	ds_load_b32 v29, v29 offset:432
	s_wait_dscnt 0x0
	v_add_f32_e32 v28, v28, v29
.LBB58_151:
	s_wait_alu 0xfffe
	s_or_b32 exec_lo, exec_lo, s0
.LBB58_152:
	s_wait_alu 0xfffe
	s_or_b32 exec_lo, exec_lo, s1
	s_mov_b32 s1, 0
	s_wait_loadcnt 0x0
	s_barrier_signal -1
	s_barrier_wait -1
	global_inv scope:SCOPE_SE
	s_mov_b32 s0, exec_lo
	v_cmpx_eq_u32_e32 0, v31
	s_cbranch_execz .LBB58_154
; %bb.153:
	s_mul_i32 s2, s14, 0x70
	s_mul_i32 s4, s8, s12
	s_wait_alu 0xfffe
	s_ashr_i32 s3, s2, 31
	s_ashr_i32 s5, s4, 31
	s_wait_alu 0xfffe
	s_lshl_b64 s[2:3], s[2:3], 2
	s_lshl_b64 s[4:5], s[4:5], 2
	s_wait_alu 0xfffe
	s_add_nc_u64 s[2:3], s[10:11], s[2:3]
	v_lshrrev_b32_e32 v0, 1, v0
	s_mul_i32 s0, s24, 0x1c0
	s_wait_alu 0xfffe
	s_add_nc_u64 s[2:3], s[2:3], s[4:5]
	s_wait_alu 0xfffe
	s_add_nc_u64 s[0:1], s[2:3], s[0:1]
	s_clause 0x1b
	global_store_b32 v0, v1, s[0:1]
	global_store_b32 v0, v2, s[0:1] offset:16
	global_store_b32 v0, v3, s[0:1] offset:32
	;; [unrolled: 1-line block ×27, first 2 shown]
.LBB58_154:
	s_nop 0
	s_sendmsg sendmsg(MSG_DEALLOC_VGPRS)
	s_endpgm
.LBB58_155:
	ds_load_b32 v31, v29
	s_wait_dscnt 0x0
	v_add_f32_e32 v1, v1, v31
	s_wait_alu 0xfffe
	s_or_b32 exec_lo, exec_lo, s0
	s_and_saveexec_b32 s0, vcc_lo
	s_cbranch_execz .LBB58_91
.LBB58_156:
	ds_load_b32 v31, v29 offset:16
	s_wait_dscnt 0x0
	v_add_f32_e32 v2, v2, v31
	s_wait_alu 0xfffe
	s_or_b32 exec_lo, exec_lo, s0
	s_and_saveexec_b32 s0, vcc_lo
	s_cbranch_execz .LBB58_92
.LBB58_157:
	ds_load_b32 v31, v29 offset:32
	s_wait_dscnt 0x0
	v_add_f32_e32 v3, v3, v31
	s_wait_alu 0xfffe
	s_or_b32 exec_lo, exec_lo, s0
	s_and_saveexec_b32 s0, vcc_lo
	s_cbranch_execz .LBB58_93
.LBB58_158:
	ds_load_b32 v31, v29 offset:48
	s_wait_dscnt 0x0
	v_add_f32_e32 v4, v4, v31
	s_wait_alu 0xfffe
	s_or_b32 exec_lo, exec_lo, s0
	s_and_saveexec_b32 s0, vcc_lo
	s_cbranch_execz .LBB58_94
.LBB58_159:
	ds_load_b32 v31, v29 offset:64
	s_wait_dscnt 0x0
	v_add_f32_e32 v5, v5, v31
	s_wait_alu 0xfffe
	s_or_b32 exec_lo, exec_lo, s0
	s_and_saveexec_b32 s0, vcc_lo
	s_cbranch_execz .LBB58_95
.LBB58_160:
	ds_load_b32 v31, v29 offset:80
	s_wait_dscnt 0x0
	v_add_f32_e32 v6, v6, v31
	s_wait_alu 0xfffe
	s_or_b32 exec_lo, exec_lo, s0
	s_and_saveexec_b32 s0, vcc_lo
	s_cbranch_execz .LBB58_96
.LBB58_161:
	ds_load_b32 v31, v29 offset:96
	s_wait_dscnt 0x0
	v_add_f32_e32 v7, v7, v31
	s_wait_alu 0xfffe
	s_or_b32 exec_lo, exec_lo, s0
	s_and_saveexec_b32 s0, vcc_lo
	s_cbranch_execz .LBB58_97
.LBB58_162:
	ds_load_b32 v31, v29 offset:112
	s_wait_dscnt 0x0
	v_add_f32_e32 v8, v8, v31
	s_wait_alu 0xfffe
	s_or_b32 exec_lo, exec_lo, s0
	s_and_saveexec_b32 s0, vcc_lo
	s_cbranch_execz .LBB58_98
.LBB58_163:
	ds_load_b32 v31, v29 offset:128
	s_wait_dscnt 0x0
	v_add_f32_e32 v9, v9, v31
	s_wait_alu 0xfffe
	s_or_b32 exec_lo, exec_lo, s0
	s_and_saveexec_b32 s0, vcc_lo
	s_cbranch_execz .LBB58_99
.LBB58_164:
	ds_load_b32 v31, v29 offset:144
	s_wait_dscnt 0x0
	v_add_f32_e32 v10, v10, v31
	s_wait_alu 0xfffe
	s_or_b32 exec_lo, exec_lo, s0
	s_and_saveexec_b32 s0, vcc_lo
	s_cbranch_execz .LBB58_100
.LBB58_165:
	ds_load_b32 v31, v29 offset:160
	s_wait_dscnt 0x0
	v_add_f32_e32 v11, v11, v31
	s_wait_alu 0xfffe
	s_or_b32 exec_lo, exec_lo, s0
	s_and_saveexec_b32 s0, vcc_lo
	s_cbranch_execz .LBB58_101
.LBB58_166:
	ds_load_b32 v31, v29 offset:176
	s_wait_dscnt 0x0
	v_add_f32_e32 v12, v12, v31
	s_wait_alu 0xfffe
	s_or_b32 exec_lo, exec_lo, s0
	s_and_saveexec_b32 s0, vcc_lo
	s_cbranch_execz .LBB58_102
.LBB58_167:
	ds_load_b32 v31, v29 offset:192
	s_wait_dscnt 0x0
	v_add_f32_e32 v13, v13, v31
	s_wait_alu 0xfffe
	s_or_b32 exec_lo, exec_lo, s0
	s_and_saveexec_b32 s0, vcc_lo
	s_cbranch_execz .LBB58_103
.LBB58_168:
	ds_load_b32 v31, v29 offset:208
	s_wait_dscnt 0x0
	v_add_f32_e32 v14, v14, v31
	s_wait_alu 0xfffe
	s_or_b32 exec_lo, exec_lo, s0
	s_and_saveexec_b32 s0, vcc_lo
	s_cbranch_execz .LBB58_104
.LBB58_169:
	ds_load_b32 v31, v29 offset:224
	s_wait_dscnt 0x0
	v_add_f32_e32 v15, v15, v31
	s_wait_alu 0xfffe
	s_or_b32 exec_lo, exec_lo, s0
	s_and_saveexec_b32 s0, vcc_lo
	s_cbranch_execz .LBB58_105
.LBB58_170:
	ds_load_b32 v31, v29 offset:240
	s_wait_dscnt 0x0
	v_add_f32_e32 v16, v16, v31
	s_wait_alu 0xfffe
	s_or_b32 exec_lo, exec_lo, s0
	s_and_saveexec_b32 s0, vcc_lo
	s_cbranch_execz .LBB58_106
.LBB58_171:
	ds_load_b32 v31, v29 offset:256
	s_wait_dscnt 0x0
	v_add_f32_e32 v17, v17, v31
	s_wait_alu 0xfffe
	s_or_b32 exec_lo, exec_lo, s0
	s_and_saveexec_b32 s0, vcc_lo
	s_cbranch_execz .LBB58_107
.LBB58_172:
	ds_load_b32 v31, v29 offset:272
	s_wait_dscnt 0x0
	v_add_f32_e32 v18, v18, v31
	s_wait_alu 0xfffe
	s_or_b32 exec_lo, exec_lo, s0
	s_and_saveexec_b32 s0, vcc_lo
	s_cbranch_execz .LBB58_108
.LBB58_173:
	ds_load_b32 v31, v29 offset:288
	s_wait_dscnt 0x0
	v_add_f32_e32 v19, v19, v31
	s_wait_alu 0xfffe
	s_or_b32 exec_lo, exec_lo, s0
	s_and_saveexec_b32 s0, vcc_lo
	s_cbranch_execz .LBB58_109
.LBB58_174:
	ds_load_b32 v31, v29 offset:304
	s_wait_dscnt 0x0
	v_add_f32_e32 v20, v20, v31
	s_wait_alu 0xfffe
	s_or_b32 exec_lo, exec_lo, s0
	s_and_saveexec_b32 s0, vcc_lo
	s_cbranch_execz .LBB58_110
.LBB58_175:
	ds_load_b32 v31, v29 offset:320
	s_wait_dscnt 0x0
	v_add_f32_e32 v21, v21, v31
	s_wait_alu 0xfffe
	s_or_b32 exec_lo, exec_lo, s0
	s_and_saveexec_b32 s0, vcc_lo
	s_cbranch_execz .LBB58_111
.LBB58_176:
	ds_load_b32 v31, v29 offset:336
	s_wait_dscnt 0x0
	v_add_f32_e32 v22, v22, v31
	s_wait_alu 0xfffe
	s_or_b32 exec_lo, exec_lo, s0
	s_and_saveexec_b32 s0, vcc_lo
	s_cbranch_execz .LBB58_112
.LBB58_177:
	ds_load_b32 v31, v29 offset:352
	s_wait_dscnt 0x0
	v_add_f32_e32 v23, v23, v31
	s_wait_alu 0xfffe
	s_or_b32 exec_lo, exec_lo, s0
	s_and_saveexec_b32 s0, vcc_lo
	s_cbranch_execz .LBB58_113
.LBB58_178:
	ds_load_b32 v31, v29 offset:368
	s_wait_dscnt 0x0
	v_add_f32_e32 v24, v24, v31
	s_wait_alu 0xfffe
	s_or_b32 exec_lo, exec_lo, s0
	s_and_saveexec_b32 s0, vcc_lo
	s_cbranch_execz .LBB58_114
.LBB58_179:
	ds_load_b32 v31, v29 offset:384
	s_wait_dscnt 0x0
	v_add_f32_e32 v25, v25, v31
	s_wait_alu 0xfffe
	s_or_b32 exec_lo, exec_lo, s0
	s_and_saveexec_b32 s0, vcc_lo
	s_cbranch_execz .LBB58_115
.LBB58_180:
	ds_load_b32 v31, v29 offset:400
	s_wait_dscnt 0x0
	v_add_f32_e32 v26, v26, v31
	s_wait_alu 0xfffe
	s_or_b32 exec_lo, exec_lo, s0
	s_and_saveexec_b32 s0, vcc_lo
	s_cbranch_execz .LBB58_116
.LBB58_181:
	ds_load_b32 v31, v29 offset:416
	s_wait_dscnt 0x0
	v_add_f32_e32 v27, v27, v31
	s_wait_alu 0xfffe
	s_or_b32 exec_lo, exec_lo, s0
	s_and_saveexec_b32 s0, vcc_lo
	s_cbranch_execnz .LBB58_117
	s_branch .LBB58_118
.LBB58_182:
	ds_load_b32 v30, v29
	s_wait_dscnt 0x0
	v_add_f32_e32 v1, v1, v30
	s_wait_alu 0xfffe
	s_or_b32 exec_lo, exec_lo, s0
	s_and_saveexec_b32 s0, vcc_lo
	s_cbranch_execz .LBB58_124
.LBB58_183:
	ds_load_b32 v30, v29 offset:16
	s_wait_dscnt 0x0
	v_add_f32_e32 v2, v2, v30
	s_wait_alu 0xfffe
	s_or_b32 exec_lo, exec_lo, s0
	s_and_saveexec_b32 s0, vcc_lo
	s_cbranch_execz .LBB58_125
.LBB58_184:
	ds_load_b32 v30, v29 offset:32
	s_wait_dscnt 0x0
	v_add_f32_e32 v3, v3, v30
	s_wait_alu 0xfffe
	s_or_b32 exec_lo, exec_lo, s0
	s_and_saveexec_b32 s0, vcc_lo
	s_cbranch_execz .LBB58_126
.LBB58_185:
	ds_load_b32 v30, v29 offset:48
	s_wait_dscnt 0x0
	v_add_f32_e32 v4, v4, v30
	s_wait_alu 0xfffe
	s_or_b32 exec_lo, exec_lo, s0
	s_and_saveexec_b32 s0, vcc_lo
	s_cbranch_execz .LBB58_127
.LBB58_186:
	ds_load_b32 v30, v29 offset:64
	s_wait_dscnt 0x0
	v_add_f32_e32 v5, v5, v30
	s_wait_alu 0xfffe
	s_or_b32 exec_lo, exec_lo, s0
	s_and_saveexec_b32 s0, vcc_lo
	s_cbranch_execz .LBB58_128
.LBB58_187:
	ds_load_b32 v30, v29 offset:80
	s_wait_dscnt 0x0
	v_add_f32_e32 v6, v6, v30
	s_wait_alu 0xfffe
	s_or_b32 exec_lo, exec_lo, s0
	s_and_saveexec_b32 s0, vcc_lo
	s_cbranch_execz .LBB58_129
.LBB58_188:
	ds_load_b32 v30, v29 offset:96
	s_wait_dscnt 0x0
	v_add_f32_e32 v7, v7, v30
	s_wait_alu 0xfffe
	s_or_b32 exec_lo, exec_lo, s0
	s_and_saveexec_b32 s0, vcc_lo
	s_cbranch_execz .LBB58_130
.LBB58_189:
	ds_load_b32 v30, v29 offset:112
	s_wait_dscnt 0x0
	v_add_f32_e32 v8, v8, v30
	s_wait_alu 0xfffe
	s_or_b32 exec_lo, exec_lo, s0
	s_and_saveexec_b32 s0, vcc_lo
	s_cbranch_execz .LBB58_131
.LBB58_190:
	ds_load_b32 v30, v29 offset:128
	s_wait_dscnt 0x0
	v_add_f32_e32 v9, v9, v30
	s_wait_alu 0xfffe
	s_or_b32 exec_lo, exec_lo, s0
	s_and_saveexec_b32 s0, vcc_lo
	s_cbranch_execz .LBB58_132
.LBB58_191:
	ds_load_b32 v30, v29 offset:144
	s_wait_dscnt 0x0
	v_add_f32_e32 v10, v10, v30
	s_wait_alu 0xfffe
	s_or_b32 exec_lo, exec_lo, s0
	s_and_saveexec_b32 s0, vcc_lo
	s_cbranch_execz .LBB58_133
.LBB58_192:
	ds_load_b32 v30, v29 offset:160
	s_wait_dscnt 0x0
	v_add_f32_e32 v11, v11, v30
	s_wait_alu 0xfffe
	s_or_b32 exec_lo, exec_lo, s0
	s_and_saveexec_b32 s0, vcc_lo
	s_cbranch_execz .LBB58_134
.LBB58_193:
	ds_load_b32 v30, v29 offset:176
	s_wait_dscnt 0x0
	v_add_f32_e32 v12, v12, v30
	s_wait_alu 0xfffe
	s_or_b32 exec_lo, exec_lo, s0
	s_and_saveexec_b32 s0, vcc_lo
	s_cbranch_execz .LBB58_135
.LBB58_194:
	ds_load_b32 v30, v29 offset:192
	s_wait_dscnt 0x0
	v_add_f32_e32 v13, v13, v30
	s_wait_alu 0xfffe
	s_or_b32 exec_lo, exec_lo, s0
	s_and_saveexec_b32 s0, vcc_lo
	s_cbranch_execz .LBB58_136
.LBB58_195:
	ds_load_b32 v30, v29 offset:208
	s_wait_dscnt 0x0
	v_add_f32_e32 v14, v14, v30
	s_wait_alu 0xfffe
	s_or_b32 exec_lo, exec_lo, s0
	s_and_saveexec_b32 s0, vcc_lo
	s_cbranch_execz .LBB58_137
.LBB58_196:
	ds_load_b32 v30, v29 offset:224
	s_wait_dscnt 0x0
	v_add_f32_e32 v15, v15, v30
	s_wait_alu 0xfffe
	s_or_b32 exec_lo, exec_lo, s0
	s_and_saveexec_b32 s0, vcc_lo
	s_cbranch_execz .LBB58_138
.LBB58_197:
	ds_load_b32 v30, v29 offset:240
	s_wait_dscnt 0x0
	v_add_f32_e32 v16, v16, v30
	s_wait_alu 0xfffe
	s_or_b32 exec_lo, exec_lo, s0
	s_and_saveexec_b32 s0, vcc_lo
	s_cbranch_execz .LBB58_139
.LBB58_198:
	ds_load_b32 v30, v29 offset:256
	s_wait_dscnt 0x0
	v_add_f32_e32 v17, v17, v30
	s_wait_alu 0xfffe
	s_or_b32 exec_lo, exec_lo, s0
	s_and_saveexec_b32 s0, vcc_lo
	s_cbranch_execz .LBB58_140
.LBB58_199:
	ds_load_b32 v30, v29 offset:272
	s_wait_dscnt 0x0
	v_add_f32_e32 v18, v18, v30
	s_wait_alu 0xfffe
	s_or_b32 exec_lo, exec_lo, s0
	s_and_saveexec_b32 s0, vcc_lo
	s_cbranch_execz .LBB58_141
.LBB58_200:
	ds_load_b32 v30, v29 offset:288
	s_wait_dscnt 0x0
	v_add_f32_e32 v19, v19, v30
	s_wait_alu 0xfffe
	s_or_b32 exec_lo, exec_lo, s0
	s_and_saveexec_b32 s0, vcc_lo
	s_cbranch_execz .LBB58_142
.LBB58_201:
	ds_load_b32 v30, v29 offset:304
	s_wait_dscnt 0x0
	v_add_f32_e32 v20, v20, v30
	s_wait_alu 0xfffe
	s_or_b32 exec_lo, exec_lo, s0
	s_and_saveexec_b32 s0, vcc_lo
	s_cbranch_execz .LBB58_143
.LBB58_202:
	ds_load_b32 v30, v29 offset:320
	s_wait_dscnt 0x0
	v_add_f32_e32 v21, v21, v30
	s_wait_alu 0xfffe
	s_or_b32 exec_lo, exec_lo, s0
	s_and_saveexec_b32 s0, vcc_lo
	s_cbranch_execz .LBB58_144
.LBB58_203:
	ds_load_b32 v30, v29 offset:336
	s_wait_dscnt 0x0
	v_add_f32_e32 v22, v22, v30
	s_wait_alu 0xfffe
	s_or_b32 exec_lo, exec_lo, s0
	s_and_saveexec_b32 s0, vcc_lo
	s_cbranch_execz .LBB58_145
.LBB58_204:
	ds_load_b32 v30, v29 offset:352
	s_wait_dscnt 0x0
	v_add_f32_e32 v23, v23, v30
	s_wait_alu 0xfffe
	s_or_b32 exec_lo, exec_lo, s0
	s_and_saveexec_b32 s0, vcc_lo
	s_cbranch_execz .LBB58_146
.LBB58_205:
	ds_load_b32 v30, v29 offset:368
	s_wait_dscnt 0x0
	v_add_f32_e32 v24, v24, v30
	s_wait_alu 0xfffe
	s_or_b32 exec_lo, exec_lo, s0
	s_and_saveexec_b32 s0, vcc_lo
	s_cbranch_execz .LBB58_147
.LBB58_206:
	ds_load_b32 v30, v29 offset:384
	s_wait_dscnt 0x0
	v_add_f32_e32 v25, v25, v30
	s_wait_alu 0xfffe
	s_or_b32 exec_lo, exec_lo, s0
	s_and_saveexec_b32 s0, vcc_lo
	s_cbranch_execz .LBB58_148
.LBB58_207:
	ds_load_b32 v30, v29 offset:400
	s_wait_dscnt 0x0
	v_add_f32_e32 v26, v26, v30
	s_wait_alu 0xfffe
	s_or_b32 exec_lo, exec_lo, s0
	s_and_saveexec_b32 s0, vcc_lo
	s_cbranch_execz .LBB58_149
.LBB58_208:
	ds_load_b32 v30, v29 offset:416
	s_wait_dscnt 0x0
	v_add_f32_e32 v27, v27, v30
	s_wait_alu 0xfffe
	s_or_b32 exec_lo, exec_lo, s0
	s_and_saveexec_b32 s0, vcc_lo
	s_cbranch_execnz .LBB58_150
	s_branch .LBB58_151
	.section	.rodata,"a",@progbits
	.p2align	6, 0x0
	.amdhsa_kernel _ZN4vllm25paged_attention_v2_kernelIffLi112ELi32ELi128ELNS_18Fp8KVCacheDataTypeE0ELb0ELi512EEEvPfS2_PT_PKS3_PKT0_S9_ifPKiSB_iPKfiiiSD_SD_iiiii
		.amdhsa_group_segment_fixed_size 480
		.amdhsa_private_segment_fixed_size 0
		.amdhsa_kernarg_size 400
		.amdhsa_user_sgpr_count 2
		.amdhsa_user_sgpr_dispatch_ptr 0
		.amdhsa_user_sgpr_queue_ptr 0
		.amdhsa_user_sgpr_kernarg_segment_ptr 1
		.amdhsa_user_sgpr_dispatch_id 0
		.amdhsa_user_sgpr_private_segment_size 0
		.amdhsa_wavefront_size32 1
		.amdhsa_uses_dynamic_stack 0
		.amdhsa_enable_private_segment 0
		.amdhsa_system_sgpr_workgroup_id_x 1
		.amdhsa_system_sgpr_workgroup_id_y 1
		.amdhsa_system_sgpr_workgroup_id_z 1
		.amdhsa_system_sgpr_workgroup_info 0
		.amdhsa_system_vgpr_workitem_id 0
		.amdhsa_next_free_vgpr 173
		.amdhsa_next_free_sgpr 32
		.amdhsa_reserve_vcc 1
		.amdhsa_float_round_mode_32 0
		.amdhsa_float_round_mode_16_64 0
		.amdhsa_float_denorm_mode_32 3
		.amdhsa_float_denorm_mode_16_64 3
		.amdhsa_fp16_overflow 0
		.amdhsa_workgroup_processor_mode 1
		.amdhsa_memory_ordered 1
		.amdhsa_forward_progress 1
		.amdhsa_inst_pref_size 107
		.amdhsa_round_robin_scheduling 0
		.amdhsa_exception_fp_ieee_invalid_op 0
		.amdhsa_exception_fp_denorm_src 0
		.amdhsa_exception_fp_ieee_div_zero 0
		.amdhsa_exception_fp_ieee_overflow 0
		.amdhsa_exception_fp_ieee_underflow 0
		.amdhsa_exception_fp_ieee_inexact 0
		.amdhsa_exception_int_div_zero 0
	.end_amdhsa_kernel
	.section	.text._ZN4vllm25paged_attention_v2_kernelIffLi112ELi32ELi128ELNS_18Fp8KVCacheDataTypeE0ELb0ELi512EEEvPfS2_PT_PKS3_PKT0_S9_ifPKiSB_iPKfiiiSD_SD_iiiii,"axG",@progbits,_ZN4vllm25paged_attention_v2_kernelIffLi112ELi32ELi128ELNS_18Fp8KVCacheDataTypeE0ELb0ELi512EEEvPfS2_PT_PKS3_PKT0_S9_ifPKiSB_iPKfiiiSD_SD_iiiii,comdat
.Lfunc_end58:
	.size	_ZN4vllm25paged_attention_v2_kernelIffLi112ELi32ELi128ELNS_18Fp8KVCacheDataTypeE0ELb0ELi512EEEvPfS2_PT_PKS3_PKT0_S9_ifPKiSB_iPKfiiiSD_SD_iiiii, .Lfunc_end58-_ZN4vllm25paged_attention_v2_kernelIffLi112ELi32ELi128ELNS_18Fp8KVCacheDataTypeE0ELb0ELi512EEEvPfS2_PT_PKS3_PKT0_S9_ifPKiSB_iPKfiiiSD_SD_iiiii
                                        ; -- End function
	.set _ZN4vllm25paged_attention_v2_kernelIffLi112ELi32ELi128ELNS_18Fp8KVCacheDataTypeE0ELb0ELi512EEEvPfS2_PT_PKS3_PKT0_S9_ifPKiSB_iPKfiiiSD_SD_iiiii.num_vgpr, 173
	.set _ZN4vllm25paged_attention_v2_kernelIffLi112ELi32ELi128ELNS_18Fp8KVCacheDataTypeE0ELb0ELi512EEEvPfS2_PT_PKS3_PKT0_S9_ifPKiSB_iPKfiiiSD_SD_iiiii.num_agpr, 0
	.set _ZN4vllm25paged_attention_v2_kernelIffLi112ELi32ELi128ELNS_18Fp8KVCacheDataTypeE0ELb0ELi512EEEvPfS2_PT_PKS3_PKT0_S9_ifPKiSB_iPKfiiiSD_SD_iiiii.numbered_sgpr, 32
	.set _ZN4vllm25paged_attention_v2_kernelIffLi112ELi32ELi128ELNS_18Fp8KVCacheDataTypeE0ELb0ELi512EEEvPfS2_PT_PKS3_PKT0_S9_ifPKiSB_iPKfiiiSD_SD_iiiii.num_named_barrier, 0
	.set _ZN4vllm25paged_attention_v2_kernelIffLi112ELi32ELi128ELNS_18Fp8KVCacheDataTypeE0ELb0ELi512EEEvPfS2_PT_PKS3_PKT0_S9_ifPKiSB_iPKfiiiSD_SD_iiiii.private_seg_size, 0
	.set _ZN4vllm25paged_attention_v2_kernelIffLi112ELi32ELi128ELNS_18Fp8KVCacheDataTypeE0ELb0ELi512EEEvPfS2_PT_PKS3_PKT0_S9_ifPKiSB_iPKfiiiSD_SD_iiiii.uses_vcc, 1
	.set _ZN4vllm25paged_attention_v2_kernelIffLi112ELi32ELi128ELNS_18Fp8KVCacheDataTypeE0ELb0ELi512EEEvPfS2_PT_PKS3_PKT0_S9_ifPKiSB_iPKfiiiSD_SD_iiiii.uses_flat_scratch, 0
	.set _ZN4vllm25paged_attention_v2_kernelIffLi112ELi32ELi128ELNS_18Fp8KVCacheDataTypeE0ELb0ELi512EEEvPfS2_PT_PKS3_PKT0_S9_ifPKiSB_iPKfiiiSD_SD_iiiii.has_dyn_sized_stack, 0
	.set _ZN4vllm25paged_attention_v2_kernelIffLi112ELi32ELi128ELNS_18Fp8KVCacheDataTypeE0ELb0ELi512EEEvPfS2_PT_PKS3_PKT0_S9_ifPKiSB_iPKfiiiSD_SD_iiiii.has_recursion, 0
	.set _ZN4vllm25paged_attention_v2_kernelIffLi112ELi32ELi128ELNS_18Fp8KVCacheDataTypeE0ELb0ELi512EEEvPfS2_PT_PKS3_PKT0_S9_ifPKiSB_iPKfiiiSD_SD_iiiii.has_indirect_call, 0
	.section	.AMDGPU.csdata,"",@progbits
; Kernel info:
; codeLenInByte = 13696
; TotalNumSgprs: 34
; NumVgprs: 173
; ScratchSize: 0
; MemoryBound: 0
; FloatMode: 240
; IeeeMode: 1
; LDSByteSize: 480 bytes/workgroup (compile time only)
; SGPRBlocks: 0
; VGPRBlocks: 21
; NumSGPRsForWavesPerEU: 34
; NumVGPRsForWavesPerEU: 173
; Occupancy: 8
; WaveLimiterHint : 1
; COMPUTE_PGM_RSRC2:SCRATCH_EN: 0
; COMPUTE_PGM_RSRC2:USER_SGPR: 2
; COMPUTE_PGM_RSRC2:TRAP_HANDLER: 0
; COMPUTE_PGM_RSRC2:TGID_X_EN: 1
; COMPUTE_PGM_RSRC2:TGID_Y_EN: 1
; COMPUTE_PGM_RSRC2:TGID_Z_EN: 1
; COMPUTE_PGM_RSRC2:TIDIG_COMP_CNT: 0
	.section	.text._ZN4vllm25paged_attention_v2_kernelIffLi120ELi32ELi128ELNS_18Fp8KVCacheDataTypeE0ELb0ELi512EEEvPfS2_PT_PKS3_PKT0_S9_ifPKiSB_iPKfiiiSD_SD_iiiii,"axG",@progbits,_ZN4vllm25paged_attention_v2_kernelIffLi120ELi32ELi128ELNS_18Fp8KVCacheDataTypeE0ELb0ELi512EEEvPfS2_PT_PKS3_PKT0_S9_ifPKiSB_iPKfiiiSD_SD_iiiii,comdat
	.protected	_ZN4vllm25paged_attention_v2_kernelIffLi120ELi32ELi128ELNS_18Fp8KVCacheDataTypeE0ELb0ELi512EEEvPfS2_PT_PKS3_PKT0_S9_ifPKiSB_iPKfiiiSD_SD_iiiii ; -- Begin function _ZN4vllm25paged_attention_v2_kernelIffLi120ELi32ELi128ELNS_18Fp8KVCacheDataTypeE0ELb0ELi512EEEvPfS2_PT_PKS3_PKT0_S9_ifPKiSB_iPKfiiiSD_SD_iiiii
	.globl	_ZN4vllm25paged_attention_v2_kernelIffLi120ELi32ELi128ELNS_18Fp8KVCacheDataTypeE0ELb0ELi512EEEvPfS2_PT_PKS3_PKT0_S9_ifPKiSB_iPKfiiiSD_SD_iiiii
	.p2align	8
	.type	_ZN4vllm25paged_attention_v2_kernelIffLi120ELi32ELi128ELNS_18Fp8KVCacheDataTypeE0ELb0ELi512EEEvPfS2_PT_PKS3_PKT0_S9_ifPKiSB_iPKfiiiSD_SD_iiiii,@function
_ZN4vllm25paged_attention_v2_kernelIffLi120ELi32ELi128ELNS_18Fp8KVCacheDataTypeE0ELb0ELi512EEEvPfS2_PT_PKS3_PKT0_S9_ifPKiSB_iPKfiiiSD_SD_iiiii: ; @_ZN4vllm25paged_attention_v2_kernelIffLi120ELi32ELi128ELNS_18Fp8KVCacheDataTypeE0ELb0ELi512EEEvPfS2_PT_PKS3_PKT0_S9_ifPKiSB_iPKfiiiSD_SD_iiiii
; %bb.0:
	s_load_b64 s[2:3], s[0:1], 0x40
	s_and_b32 s14, ttmp7, 0xffff
	s_lshr_b32 s24, ttmp7, 16
	s_lshl_b32 s4, s14, 2
	s_lshl_b32 s26, s24, 9
	s_wait_kmcnt 0x0
	s_load_b32 s25, s[2:3], s4 offset:0x0
	s_wait_kmcnt 0x0
	s_cmp_ge_i32 s26, s25
	s_cbranch_scc1 .LBB59_162
; %bb.1:
	s_clause 0x1
	s_load_b32 s15, s[0:1], 0x90
	s_load_b64 s[4:5], s[0:1], 0x30
	s_wait_kmcnt 0x0
	s_abs_i32 s7, s15
	s_abs_i32 s2, s4
	s_xor_b32 s4, s15, s4
	s_cvt_f32_u32 s3, s2
	s_sub_co_i32 s6, 0, s2
	s_ashr_i32 s4, s4, 31
	s_delay_alu instid0(SALU_CYCLE_1) | instskip(NEXT) | instid1(TRANS32_DEP_1)
	v_rcp_iflag_f32_e32 v1, s3
	v_readfirstlane_b32 s3, v1
	s_mul_f32 s3, s3, 0x4f7ffffe
	s_wait_alu 0xfffe
	s_delay_alu instid0(SALU_CYCLE_2) | instskip(SKIP_1) | instid1(SALU_CYCLE_2)
	s_cvt_u32_f32 s3, s3
	s_wait_alu 0xfffe
	s_mul_i32 s6, s6, s3
	s_delay_alu instid0(SALU_CYCLE_1) | instskip(NEXT) | instid1(SALU_CYCLE_1)
	s_mul_hi_u32 s6, s3, s6
	s_add_co_i32 s3, s3, s6
	s_wait_alu 0xfffe
	s_mul_hi_u32 s3, s7, s3
	s_wait_alu 0xfffe
	s_mul_i32 s6, s3, s2
	s_delay_alu instid0(SALU_CYCLE_1)
	s_sub_co_i32 s6, s7, s6
	s_add_co_i32 s7, s3, 1
	s_sub_co_i32 s8, s6, s2
	s_cmp_ge_u32 s6, s2
	s_cselect_b32 s3, s7, s3
	s_cselect_b32 s6, s8, s6
	s_wait_alu 0xfffe
	s_add_co_i32 s7, s3, 1
	s_cmp_ge_u32 s6, s2
	s_load_b64 s[8:9], s[0:1], 0x50
	s_cselect_b32 s2, s7, s3
	s_mov_b32 s3, 0
	s_wait_alu 0xfffe
	s_xor_b32 s2, s2, s4
	s_mov_b32 s11, s3
	s_wait_alu 0xfffe
	s_sub_co_i32 s12, s2, s4
	s_delay_alu instid0(SALU_CYCLE_1) | instskip(NEXT) | instid1(SALU_CYCLE_1)
	s_abs_i32 s4, s12
	s_cvt_f32_u32 s2, s4
	s_wait_alu 0xfffe
	s_delay_alu instid0(SALU_CYCLE_2) | instskip(NEXT) | instid1(TRANS32_DEP_1)
	v_rcp_iflag_f32_e32 v1, s2
	v_readfirstlane_b32 s2, v1
	s_mul_f32 s2, s2, 0x4f7ffffe
	s_wait_alu 0xfffe
	s_delay_alu instid0(SALU_CYCLE_2) | instskip(SKIP_2) | instid1(SALU_CYCLE_1)
	s_cvt_u32_f32 s6, s2
	s_sub_co_i32 s2, 0, s4
	s_wait_alu 0xfffe
	s_mul_i32 s2, s2, s6
	s_wait_alu 0xfffe
	s_mul_hi_u32 s7, s6, s2
	s_abs_i32 s2, ttmp9
	s_add_co_i32 s6, s6, s7
	s_mov_b32 s7, s3
	s_wait_kmcnt 0x0
	s_cmp_eq_u64 s[8:9], 0
	s_cbranch_scc1 .LBB59_3
; %bb.2:
	s_mov_b32 s10, ttmp9
	s_ashr_i32 s11, ttmp9, 31
	s_delay_alu instid0(SALU_CYCLE_1) | instskip(NEXT) | instid1(SALU_CYCLE_1)
	s_lshl_b64 s[10:11], s[10:11], 2
	s_add_nc_u64 s[8:9], s[8:9], s[10:11]
	s_load_b32 s11, s[8:9], 0x0
.LBB59_3:
	s_load_b96 s[8:10], s[0:1], 0x58
	v_lshlrev_b32_e32 v125, 4, v0
	s_mul_u64 s[6:7], s[2:3], s[6:7]
	s_ashr_i32 s3, ttmp9, 31
	s_ashr_i32 s6, s12, 31
	s_mul_i32 s12, ttmp9, 0x78
	s_mov_b32 s16, exec_lo
	v_cmpx_gt_u32_e32 30, v0
	s_cbranch_execz .LBB59_5
; %bb.4:
	s_load_b64 s[18:19], s[0:1], 0x18
	s_wait_kmcnt 0x0
	s_mul_i32 s20, s8, s14
	s_ashr_i32 s13, s12, 31
	s_ashr_i32 s21, s20, 31
	s_delay_alu instid0(SALU_CYCLE_1) | instskip(NEXT) | instid1(SALU_CYCLE_1)
	s_lshl_b64 s[20:21], s[20:21], 2
	s_add_nc_u64 s[18:19], s[18:19], s[20:21]
	s_lshl_b64 s[20:21], s[12:13], 2
	s_delay_alu instid0(SALU_CYCLE_1)
	s_add_nc_u64 s[18:19], s[18:19], s[20:21]
	global_load_b128 v[1:4], v125, s[18:19]
	s_wait_loadcnt 0x0
	ds_store_b128 v125, v[1:4]
.LBB59_5:
	s_or_b32 exec_lo, exec_lo, s16
	s_wait_kmcnt 0x0
	s_add_co_i32 s8, s25, 31
	s_lshl_b32 s28, s24, 4
	s_ashr_i32 s13, s8, 31
	s_mul_i32 s19, s7, s4
	s_lshr_b32 s13, s13, 27
	s_sub_co_i32 s2, s2, s19
	s_add_co_i32 s8, s8, s13
	s_add_co_i32 s13, s28, 16
	s_ashr_i32 s27, s8, 5
	s_clause 0x2
	s_load_b64 s[16:17], s[0:1], 0x38
	s_load_b32 s8, s[0:1], 0x98
	s_load_b32 s18, s[0:1], 0x48
	s_min_i32 s13, s13, s27
	s_xor_b32 s3, s3, s6
	s_add_co_i32 s6, s7, 1
	s_sub_co_i32 s19, s2, s4
	s_cmp_ge_u32 s2, s4
	v_lshrrev_b32_e32 v127, 5, v0
	s_cselect_b32 s6, s6, s7
	s_cselect_b32 s2, s19, s2
	s_add_co_i32 s7, s6, 1
	s_wait_alu 0xfffe
	s_cmp_ge_u32 s2, s4
	v_and_b32_e32 v128, 31, v0
	v_dual_mov_b32 v130, 0xff7fffff :: v_dual_add_nc_u32 v129, s28, v127
	s_cselect_b32 s2, s7, s6
	s_wait_dscnt 0x0
	s_wait_alu 0xfffe
	s_xor_b32 s2, s2, s3
	v_lshlrev_b32_e32 v133, 2, v128
	s_wait_alu 0xfffe
	s_sub_co_i32 s3, s2, s3
	v_cmp_gt_i32_e64 s2, s13, v129
	v_lshlrev_b32_e32 v126, 2, v129
	s_wait_kmcnt 0x0
	s_mul_i32 s18, s18, s14
	s_wait_alu 0xfffe
	s_mul_i32 s20, s3, s10
	s_ashr_i32 s19, s18, 31
	s_barrier_signal -1
	s_barrier_wait -1
	global_inv scope:SCOPE_SE
	s_and_saveexec_b32 s6, s2
	s_cbranch_execz .LBB59_9
; %bb.6:
	v_dual_mov_b32 v117, 0 :: v_dual_lshlrev_b32 v122, 5, v127
	s_load_b64 s[22:23], s[0:1], 0x20
	s_ashr_i32 s21, s20, 31
	v_dual_mov_b32 v130, 0xff7fffff :: v_dual_lshlrev_b32 v121, 4, v128
	ds_load_b128 v[1:4], v117
	ds_load_b128 v[5:8], v117 offset:16
	ds_load_b128 v[9:12], v117 offset:32
	;; [unrolled: 1-line block ×29, first 2 shown]
	s_lshl_b64 s[30:31], s[20:21], 2
	s_cmp_neq_f32 s11, 0
	v_lshl_or_b32 v123, v127, 7, v133
	v_add3_u32 v134, s26, v122, v128
	v_mov_b32_e32 v136, v129
	s_cselect_b32 vcc_lo, -1, 0
	s_mov_b32 s10, s9
	v_add_nc_u32_e32 v135, 0x200, v123
	s_mov_b32 s7, 0
	s_sub_co_i32 s21, 1, s25
	s_wait_kmcnt 0x0
	s_add_nc_u64 s[22:23], s[22:23], s[30:31]
	s_delay_alu instid0(SALU_CYCLE_1)
	v_add_co_u32 v131, s3, s22, v121
	s_wait_alu 0xf1ff
	v_add_co_ci_u32_e64 v132, null, s23, 0, s3
	s_lshl_b64 s[22:23], s[18:19], 2
	s_wait_alu 0xfffe
	s_add_nc_u64 s[22:23], s[16:17], s[22:23]
	s_wait_alu 0xfffe
	v_add_co_u32 v121, s3, s22, v126
	s_wait_alu 0xf1ff
	v_add_co_ci_u32_e64 v122, null, s23, 0, s3
.LBB59_7:                               ; =>This Inner Loop Header: Depth=1
	global_load_b32 v123, v[121:122], off
	s_wait_loadcnt 0x0
	v_mad_co_i64_i32 v[123:124], null, v123, s10, 0
	s_delay_alu instid0(VALU_DEP_1) | instskip(NEXT) | instid1(VALU_DEP_1)
	v_lshlrev_b64_e32 v[123:124], 2, v[123:124]
	v_add_co_u32 v123, s3, v131, v123
	s_wait_alu 0xf1ff
	s_delay_alu instid0(VALU_DEP_2)
	v_add_co_ci_u32_e64 v124, null, v132, v124, s3
	v_add_co_u32 v121, s3, v121, 16
	s_wait_alu 0xf1ff
	v_add_co_ci_u32_e64 v122, null, 0, v122, s3
	global_load_b128 v[139:142], v[123:124], off offset:512
	v_cmp_gt_i32_e64 s3, s25, v134
	s_wait_loadcnt_dscnt 0x1c
	v_dual_mul_f32 v138, v7, v141 :: v_dual_mul_f32 v137, v8, v142
	global_load_b128 v[141:144], v[123:124], off
	v_dual_mul_f32 v139, v5, v139 :: v_dual_mul_f32 v140, v6, v140
	s_wait_loadcnt 0x0
	s_delay_alu instid0(VALU_DEP_1)
	v_dual_fmac_f32 v139, v1, v141 :: v_dual_fmac_f32 v140, v2, v142
	v_dual_fmac_f32 v138, v3, v143 :: v_dual_fmac_f32 v137, v4, v144
	s_clause 0x1
	global_load_b128 v[141:144], v[123:124], off offset:1024
	global_load_b128 v[145:148], v[123:124], off offset:1536
	s_wait_loadcnt_dscnt 0x11b
	v_dual_fmac_f32 v139, v9, v141 :: v_dual_fmac_f32 v140, v10, v142
	v_dual_fmac_f32 v138, v11, v143 :: v_dual_fmac_f32 v137, v12, v144
	s_wait_loadcnt_dscnt 0x1a
	s_delay_alu instid0(VALU_DEP_2) | instskip(NEXT) | instid1(VALU_DEP_2)
	v_dual_fmac_f32 v139, v13, v145 :: v_dual_fmac_f32 v140, v14, v146
	v_dual_fmac_f32 v138, v15, v147 :: v_dual_fmac_f32 v137, v16, v148
	s_clause 0x1
	global_load_b128 v[141:144], v[123:124], off offset:2048
	global_load_b128 v[145:148], v[123:124], off offset:2560
	s_wait_loadcnt_dscnt 0x119
	v_dual_fmac_f32 v139, v17, v141 :: v_dual_fmac_f32 v140, v18, v142
	v_dual_fmac_f32 v138, v19, v143 :: v_dual_fmac_f32 v137, v20, v144
	s_wait_loadcnt_dscnt 0x18
	s_delay_alu instid0(VALU_DEP_2) | instskip(NEXT) | instid1(VALU_DEP_2)
	;; [unrolled: 10-line block ×13, first 2 shown]
	v_dual_fmac_f32 v139, v109, v145 :: v_dual_fmac_f32 v140, v110, v146
	v_dual_fmac_f32 v138, v111, v147 :: v_dual_fmac_f32 v137, v112, v148
	s_clause 0x1
	global_load_b128 v[141:144], v[123:124], off offset:14336
	global_load_b128 v[145:148], v[123:124], off offset:14848
	s_wait_loadcnt_dscnt 0x101
	v_dual_fmac_f32 v139, v113, v141 :: v_dual_fmac_f32 v140, v114, v142
	v_dual_fmac_f32 v138, v115, v143 :: v_dual_fmac_f32 v137, v116, v144
	v_add_nc_u32_e32 v123, s21, v134
	s_wait_loadcnt_dscnt 0x0
	s_delay_alu instid0(VALU_DEP_3) | instskip(NEXT) | instid1(VALU_DEP_3)
	v_dual_max_num_f32 v124, v130, v130 :: v_dual_fmac_f32 v139, v117, v145
	v_fmac_f32_e32 v138, v119, v147
	v_add_nc_u32_e32 v134, 0x80, v134
	v_cvt_f32_i32_e32 v123, v123
	s_delay_alu instid0(VALU_DEP_1) | instskip(NEXT) | instid1(VALU_DEP_1)
	v_dual_fmac_f32 v140, v118, v146 :: v_dual_mul_f32 v123, s11, v123
	v_add_f32_e32 v139, v139, v140
	v_fmac_f32_e32 v137, v120, v148
	s_delay_alu instid0(VALU_DEP_3) | instskip(NEXT) | instid1(VALU_DEP_3)
	v_dual_cndmask_b32 v123, 0, v123 :: v_dual_add_nc_u32 v136, 4, v136
	v_add_f32_e32 v138, v138, v139
	s_delay_alu instid0(VALU_DEP_2) | instskip(NEXT) | instid1(VALU_DEP_2)
	v_cmp_le_i32_e64 s4, s13, v136
	v_add_f32_e32 v137, v137, v138
	s_or_b32 s7, s4, s7
	s_delay_alu instid0(VALU_DEP_1) | instskip(NEXT) | instid1(VALU_DEP_1)
	v_fmac_f32_e32 v123, s5, v137
	v_max_num_f32_e32 v124, v124, v123
	v_cndmask_b32_e64 v123, 0, v123, s3
	s_delay_alu instid0(VALU_DEP_2)
	v_cndmask_b32_e64 v130, v130, v124, s3
	ds_store_b32 v135, v123
	v_add_nc_u32_e32 v135, 0x200, v135
	s_and_not1_b32 exec_lo, exec_lo, s7
	s_cbranch_execnz .LBB59_7
; %bb.8:
	s_or_b32 exec_lo, exec_lo, s7
.LBB59_9:
	s_delay_alu instid0(SALU_CYCLE_1)
	s_or_b32 exec_lo, exec_lo, s6
	v_mbcnt_lo_u32_b32 v1, -1, 0
	s_clause 0x2
	s_load_b128 s[4:7], s[0:1], 0x0
	s_load_b64 s[10:11], s[0:1], 0x10
	s_load_b64 s[22:23], s[0:1], 0x28
	v_xor_b32_e32 v2, 16, v1
	v_xor_b32_e32 v4, 8, v1
	s_delay_alu instid0(VALU_DEP_2) | instskip(SKIP_2) | instid1(VALU_DEP_3)
	v_cmp_gt_i32_e32 vcc_lo, 32, v2
	s_wait_alu 0xfffd
	v_cndmask_b32_e32 v2, v1, v2, vcc_lo
	v_cmp_gt_i32_e32 vcc_lo, 32, v4
	v_max_num_f32_e32 v5, v130, v130
	s_delay_alu instid0(VALU_DEP_3)
	v_lshlrev_b32_e32 v2, 2, v2
	s_wait_alu 0xfffd
	v_cndmask_b32_e32 v4, v1, v4, vcc_lo
	ds_bpermute_b32 v3, v2, v130
	s_wait_dscnt 0x0
	v_dual_max_num_f32 v6, v3, v3 :: v_dual_lshlrev_b32 v3, 2, v4
	s_delay_alu instid0(VALU_DEP_1)
	v_max_num_f32_e32 v4, v5, v6
	v_xor_b32_e32 v6, 4, v1
	ds_bpermute_b32 v5, v3, v4
	v_cmp_gt_i32_e32 vcc_lo, 32, v6
	s_wait_alu 0xfffd
	v_cndmask_b32_e32 v6, v1, v6, vcc_lo
	s_delay_alu instid0(VALU_DEP_1) | instskip(SKIP_1) | instid1(VALU_DEP_1)
	v_lshlrev_b32_e32 v132, 2, v6
	v_xor_b32_e32 v6, 2, v1
	v_cmp_gt_i32_e32 vcc_lo, 32, v6
	s_wait_dscnt 0x0
	v_max_num_f32_e32 v5, v5, v5
	s_wait_alu 0xfffd
	v_cndmask_b32_e32 v6, v1, v6, vcc_lo
	s_delay_alu instid0(VALU_DEP_1)
	v_dual_max_num_f32 v4, v4, v5 :: v_dual_lshlrev_b32 v131, 2, v6
	v_xor_b32_e32 v6, 1, v1
	ds_bpermute_b32 v5, v132, v4
	v_cmp_gt_i32_e32 vcc_lo, 32, v6
	s_wait_alu 0xfffd
	v_cndmask_b32_e32 v6, v1, v6, vcc_lo
	v_cmp_eq_u32_e32 vcc_lo, 0, v128
	s_wait_dscnt 0x0
	s_delay_alu instid0(VALU_DEP_2) | instskip(NEXT) | instid1(VALU_DEP_1)
	v_dual_max_num_f32 v5, v5, v5 :: v_dual_lshlrev_b32 v130, 2, v6
	v_max_num_f32_e32 v4, v4, v5
	ds_bpermute_b32 v5, v131, v4
	s_wait_dscnt 0x0
	v_max_num_f32_e32 v5, v5, v5
	s_delay_alu instid0(VALU_DEP_1)
	v_max_num_f32_e32 v1, v4, v5
	v_lshlrev_b32_e32 v5, 2, v127
	ds_bpermute_b32 v4, v130, v1
	s_and_saveexec_b32 s0, vcc_lo
	s_cbranch_execz .LBB59_11
; %bb.10:
	s_wait_dscnt 0x0
	v_dual_max_num_f32 v4, v4, v4 :: v_dual_max_num_f32 v1, v1, v1
	s_delay_alu instid0(VALU_DEP_1)
	v_max_num_f32_e32 v1, v1, v4
	ds_store_b32 v5, v1 offset:480
.LBB59_11:
	s_or_b32 exec_lo, exec_lo, s0
	v_cmp_gt_u32_e64 s0, 4, v128
	v_mov_b32_e32 v1, 0xff7fffff
	s_wait_loadcnt_dscnt 0x0
	s_barrier_signal -1
	s_barrier_wait -1
	global_inv scope:SCOPE_SE
	s_and_saveexec_b32 s1, s0
; %bb.12:
	ds_load_b32 v1, v133 offset:480
; %bb.13:
	s_or_b32 exec_lo, exec_lo, s1
	s_wait_dscnt 0x0
	ds_bpermute_b32 v4, v131, v1
	v_max_num_f32_e32 v1, v1, v1
	s_sub_co_i32 s1, s13, s28
	v_mov_b32_e32 v6, 0
	s_lshl_b32 s1, s1, 5
	s_delay_alu instid0(SALU_CYCLE_1) | instskip(NEXT) | instid1(SALU_CYCLE_1)
	s_add_co_i32 s1, s1, s26
	s_min_i32 s1, s1, s25
	s_delay_alu instid0(SALU_CYCLE_1) | instskip(SKIP_4) | instid1(VALU_DEP_1)
	s_sub_co_i32 s21, s1, s26
	s_wait_alu 0xfffe
	v_cmp_gt_i32_e64 s1, s21, v0
	s_wait_dscnt 0x0
	v_max_num_f32_e32 v4, v4, v4
	v_max_num_f32_e32 v1, v1, v4
	ds_bpermute_b32 v4, v130, v1
	s_wait_dscnt 0x0
	v_max_num_f32_e32 v4, v4, v4
	s_delay_alu instid0(VALU_DEP_1)
	v_max_num_f32_e32 v1, v1, v4
	v_lshl_add_u32 v4, v0, 2, 0x200
	ds_bpermute_b32 v1, v6, v1
	s_and_saveexec_b32 s28, s1
	s_cbranch_execz .LBB59_17
; %bb.14:
	v_lshl_add_u32 v7, v0, 2, 0x200
	v_mov_b32_e32 v6, 0
	v_mov_b32_e32 v8, v0
	s_mov_b32 s29, 0
.LBB59_15:                              ; =>This Inner Loop Header: Depth=1
	ds_load_b32 v9, v7
	v_add_nc_u32_e32 v8, 0x80, v8
	s_delay_alu instid0(VALU_DEP_1) | instskip(SKIP_4) | instid1(VALU_DEP_1)
	v_cmp_le_i32_e64 s3, s21, v8
	s_wait_alu 0xfffe
	s_or_b32 s29, s3, s29
	s_wait_dscnt 0x0
	v_sub_f32_e32 v9, v9, v1
	v_mul_f32_e32 v9, 0x3fb8aa3b, v9
	s_delay_alu instid0(VALU_DEP_1)
	v_exp_f32_e32 v9, v9
	ds_store_b32 v7, v9
	v_dual_add_f32 v6, v6, v9 :: v_dual_add_nc_u32 v7, 0x200, v7
	s_wait_alu 0xfffe
	s_and_not1_b32 exec_lo, exec_lo, s29
	s_cbranch_execnz .LBB59_15
; %bb.16:
	s_or_b32 exec_lo, exec_lo, s29
.LBB59_17:
	s_wait_alu 0xfffe
	s_or_b32 exec_lo, exec_lo, s28
	ds_bpermute_b32 v2, v2, v6
	s_wait_dscnt 0x0
	v_add_f32_e32 v2, v6, v2
	ds_bpermute_b32 v3, v3, v2
	s_wait_dscnt 0x0
	v_add_f32_e32 v2, v2, v3
	;; [unrolled: 3-line block ×5, first 2 shown]
	s_and_saveexec_b32 s3, vcc_lo
; %bb.18:
	ds_store_b32 v5, v2 offset:496
; %bb.19:
	s_wait_alu 0xfffe
	s_or_b32 exec_lo, exec_lo, s3
	s_wait_loadcnt_dscnt 0x0
	s_barrier_signal -1
	s_barrier_wait -1
	global_inv scope:SCOPE_SE
	s_and_saveexec_b32 s3, s0
; %bb.20:
	ds_load_b32 v2, v133 offset:496
; %bb.21:
	s_wait_alu 0xfffe
	s_or_b32 exec_lo, exec_lo, s3
	s_wait_dscnt 0x0
	ds_bpermute_b32 v3, v131, v2
	s_wait_dscnt 0x0
	v_add_f32_e32 v2, v2, v3
	ds_bpermute_b32 v3, v130, v2
	s_wait_dscnt 0x0
	v_dual_add_f32 v2, v2, v3 :: v_dual_mov_b32 v3, 0
	ds_bpermute_b32 v2, v3, v2
	s_and_saveexec_b32 s0, s1
	s_cbranch_execz .LBB59_24
; %bb.22:
	s_wait_dscnt 0x0
	v_add_f32_e32 v3, 0x358637bd, v2
	s_mov_b32 s1, 0
	s_delay_alu instid0(VALU_DEP_1) | instskip(SKIP_1) | instid1(VALU_DEP_2)
	v_div_scale_f32 v5, null, v3, v3, 1.0
	v_div_scale_f32 v8, vcc_lo, 1.0, v3, 1.0
	v_rcp_f32_e32 v6, v5
	s_delay_alu instid0(TRANS32_DEP_1) | instskip(NEXT) | instid1(VALU_DEP_1)
	v_fma_f32 v7, -v5, v6, 1.0
	v_fmac_f32_e32 v6, v7, v6
	s_delay_alu instid0(VALU_DEP_1) | instskip(NEXT) | instid1(VALU_DEP_1)
	v_mul_f32_e32 v7, v8, v6
	v_fma_f32 v9, -v5, v7, v8
	s_delay_alu instid0(VALU_DEP_1) | instskip(NEXT) | instid1(VALU_DEP_1)
	v_fmac_f32_e32 v7, v9, v6
	v_fma_f32 v5, -v5, v7, v8
	s_wait_alu 0xfffd
	s_delay_alu instid0(VALU_DEP_1) | instskip(NEXT) | instid1(VALU_DEP_1)
	v_div_fmas_f32 v5, v5, v6, v7
	v_div_fixup_f32 v3, v5, v3, 1.0
	v_mov_b32_e32 v5, v0
.LBB59_23:                              ; =>This Inner Loop Header: Depth=1
	ds_load_b32 v6, v4
	s_wait_dscnt 0x0
	v_dual_mul_f32 v6, v3, v6 :: v_dual_add_nc_u32 v5, 0x80, v5
	s_delay_alu instid0(VALU_DEP_1) | instskip(SKIP_3) | instid1(SALU_CYCLE_1)
	v_cmp_le_i32_e32 vcc_lo, s21, v5
	ds_store_b32 v4, v6
	v_add_nc_u32_e32 v4, 0x200, v4
	s_or_b32 s1, vcc_lo, s1
	s_and_not1_b32 exec_lo, exec_lo, s1
	s_cbranch_execnz .LBB59_23
.LBB59_24:
	s_or_b32 exec_lo, exec_lo, s0
	s_mul_i32 s0, s8, s14
	s_wait_loadcnt_dscnt 0x0
	s_mul_i32 s14, s0, s15
	s_mov_b32 s0, exec_lo
	s_barrier_signal -1
	s_barrier_wait -1
	global_inv scope:SCOPE_SE
	v_cmpx_eq_u32_e32 0, v0
	s_cbranch_execz .LBB59_26
; %bb.25:
	s_ashr_i32 s15, s14, 31
	s_mul_i32 s28, s8, ttmp9
	s_lshl_b32 s1, s24, 2
	s_lshl_b64 s[30:31], s[14:15], 2
	s_wait_alu 0xfffe
	s_ashr_i32 s29, s28, 31
	v_mov_b32_e32 v3, s1
	s_wait_kmcnt 0x0
	s_add_nc_u64 s[6:7], s[6:7], s[30:31]
	s_wait_alu 0xfffe
	s_lshl_b64 s[28:29], s[28:29], 2
	s_add_nc_u64 s[4:5], s[4:5], s[30:31]
	s_wait_alu 0xfffe
	s_add_nc_u64 s[6:7], s[6:7], s[28:29]
	s_add_nc_u64 s[4:5], s[4:5], s[28:29]
	s_clause 0x1
	global_store_b32 v3, v1, s[6:7]
	global_store_b32 v3, v2, s[4:5]
.LBB59_26:
	s_or_b32 exec_lo, exec_lo, s0
	v_dual_mov_b32 v161, 0 :: v_dual_mov_b32 v162, 0
	v_dual_mov_b32 v160, 0 :: v_dual_and_b32 v133, 7, v0
	v_dual_mov_b32 v163, 0 :: v_dual_mov_b32 v158, 0
	v_dual_mov_b32 v159, 0 :: v_dual_mov_b32 v156, 0
	;; [unrolled: 1-line block ×13, first 2 shown]
	v_mov_b32_e32 v135, 0
	s_wait_kmcnt 0x0
	s_and_saveexec_b32 s4, s2
	s_cbranch_execz .LBB59_90
; %bb.27:
	s_ashr_i32 s21, s20, 31
	v_dual_mov_b32 v138, 0 :: v_dual_and_b32 v3, 0x1f0, v125
	s_wait_alu 0xfffe
	s_lshl_b64 s[0:1], s[20:21], 2
	v_dual_mov_b32 v134, 0 :: v_dual_lshlrev_b32 v1, 2, v0
	v_dual_mov_b32 v135, 0 :: v_dual_lshlrev_b32 v2, 4, v133
	s_wait_alu 0xfffe
	s_add_nc_u64 s[0:1], s[22:23], s[0:1]
	s_delay_alu instid0(VALU_DEP_2)
	v_dual_mov_b32 v136, 0 :: v_dual_and_b32 v1, 28, v1
	s_wait_alu 0xfffe
	v_add_co_u32 v164, s0, s0, v3
	s_wait_alu 0xf1ff
	v_add_co_ci_u32_e64 v165, null, s1, 0, s0
	s_lshl_b64 s[0:1], s[18:19], 2
	v_lshl_add_u32 v4, v127, 5, s26
	v_lshl_or_b32 v2, v127, 7, v2
	s_wait_alu 0xfffe
	s_add_nc_u64 s[0:1], s[16:17], s[0:1]
	v_dual_mov_b32 v137, 0 :: v_dual_mov_b32 v142, 0
	s_wait_alu 0xfffe
	v_add_co_u32 v125, s0, s0, v126
	v_add3_u32 v166, v4, v1, 3
	v_dual_mov_b32 v140, 0 :: v_dual_add_nc_u32 v167, 0x200, v2
	s_wait_alu 0xf1ff
	v_add_co_ci_u32_e64 v126, null, s1, 0, s0
	v_dual_mov_b32 v139, 0 :: v_dual_mov_b32 v144, 0
	v_dual_mov_b32 v141, 0 :: v_dual_mov_b32 v146, 0
	;; [unrolled: 1-line block ×10, first 2 shown]
	v_mov_b32_e32 v159, 0
	v_mov_b32_e32 v163, 0
	v_mov_b32_e32 v161, 0
	s_mov_b32 s5, s9
	s_add_co_i32 s7, s27, -1
	s_mov_b32 s6, 0
	s_branch .LBB59_29
.LBB59_28:                              ;   in Loop: Header=BB59_29 Depth=1
	s_wait_alu 0xfffe
	s_or_b32 exec_lo, exec_lo, s0
	s_wait_loadcnt_dscnt 0x1600
	v_mul_f32_e32 v33, v1, v33
	s_wait_loadcnt 0x6
	v_mul_f32_e32 v101, v1, v101
	v_mul_f32_e32 v89, v1, v89
	;; [unrolled: 1-line block ×4, first 2 shown]
	v_fmac_f32_e32 v33, v2, v34
	s_wait_loadcnt 0x2
	v_mul_f32_e32 v117, v1, v117
	v_mul_f32_e32 v81, v1, v81
	v_fmac_f32_e32 v89, v2, v90
	v_fmac_f32_e32 v65, v2, v66
	;; [unrolled: 1-line block ×3, first 2 shown]
	v_mul_f32_e32 v57, v1, v57
	v_mul_f32_e32 v49, v1, v49
	;; [unrolled: 1-line block ×3, first 2 shown]
	v_fmac_f32_e32 v13, v2, v14
	v_fmac_f32_e32 v33, v4, v36
	;; [unrolled: 1-line block ×3, first 2 shown]
	v_mul_f32_e32 v109, v1, v109
	v_fmac_f32_e32 v81, v2, v82
	s_delay_alu instid0(VALU_DEP_4) | instskip(NEXT) | instid1(VALU_DEP_4)
	v_dual_fmac_f32 v89, v3, v91 :: v_dual_add_f32 v156, v156, v33
	v_fmac_f32_e32 v101, v3, v103
	v_mul_f32_e32 v73, v1, v73
	v_fmac_f32_e32 v65, v3, v67
	v_fmac_f32_e32 v57, v2, v58
	v_mul_f32_e32 v41, v1, v41
	v_fmac_f32_e32 v101, v4, v104
	v_fmac_f32_e32 v117, v2, v118
	;; [unrolled: 1-line block ×5, first 2 shown]
	s_wait_loadcnt 0x1
	v_dual_mul_f32 v121, v1, v121 :: v_dual_add_nc_u32 v166, 0x80, v166
	v_mul_f32_e32 v113, v1, v113
	v_mul_f32_e32 v105, v1, v105
	;; [unrolled: 1-line block ×4, first 2 shown]
	v_fmac_f32_e32 v81, v3, v83
	v_fmac_f32_e32 v89, v4, v92
	v_dual_add_f32 v140, v140, v101 :: v_dual_fmac_f32 v117, v3, v119
	v_mul_f32_e32 v77, v1, v77
	v_mul_f32_e32 v69, v1, v69
	;; [unrolled: 1-line block ×3, first 2 shown]
	v_fmac_f32_e32 v73, v2, v74
	v_fmac_f32_e32 v65, v4, v68
	;; [unrolled: 1-line block ×3, first 2 shown]
	v_mul_f32_e32 v53, v1, v53
	v_mul_f32_e32 v45, v1, v45
	v_fmac_f32_e32 v57, v3, v59
	v_fmac_f32_e32 v41, v2, v42
	;; [unrolled: 1-line block ×3, first 2 shown]
	v_mul_f32_e32 v37, v1, v37
	v_mul_f32_e32 v29, v1, v29
	;; [unrolled: 1-line block ×6, first 2 shown]
	s_wait_loadcnt 0x0
	v_mul_f32_e32 v1, v1, v97
	v_fmac_f32_e32 v17, v3, v19
	v_fmac_f32_e32 v13, v4, v16
	;; [unrolled: 1-line block ×5, first 2 shown]
	v_dual_add_f32 v142, v142, v89 :: v_dual_fmac_f32 v117, v4, v120
	v_add_f32_e32 v162, v162, v13
	v_fmac_f32_e32 v121, v2, v122
	v_fmac_f32_e32 v77, v2, v78
	;; [unrolled: 1-line block ×4, first 2 shown]
	v_dual_fmac_f32 v73, v3, v75 :: v_dual_add_f32 v148, v148, v65
	v_fmac_f32_e32 v53, v2, v54
	v_fmac_f32_e32 v45, v2, v46
	;; [unrolled: 1-line block ×15, first 2 shown]
	v_dual_fmac_f32 v93, v2, v94 :: v_dual_add_f32 v136, v136, v117
	v_dual_fmac_f32 v85, v3, v87 :: v_dual_add_f32 v144, v144, v81
	v_fmac_f32_e32 v77, v3, v79
	v_fmac_f32_e32 v69, v3, v71
	;; [unrolled: 1-line block ×6, first 2 shown]
	v_dual_fmac_f32 v45, v3, v47 :: v_dual_add_f32 v150, v150, v57
	v_fmac_f32_e32 v109, v4, v112
	v_fmac_f32_e32 v121, v3, v123
	;; [unrolled: 1-line block ×3, first 2 shown]
	v_dual_add_f32 v152, v152, v49 :: v_dual_fmac_f32 v105, v3, v107
	v_fmac_f32_e32 v37, v3, v39
	v_fmac_f32_e32 v29, v3, v31
	;; [unrolled: 1-line block ×6, first 2 shown]
	v_dual_fmac_f32 v1, v3, v99 :: v_dual_add_f32 v160, v160, v17
	v_fmac_f32_e32 v93, v3, v95
	v_add_nc_u32_e32 v129, 4, v129
	v_dual_add_f32 v138, v138, v109 :: v_dual_fmac_f32 v85, v4, v88
	v_fmac_f32_e32 v77, v4, v80
	s_delay_alu instid0(VALU_DEP_4)
	v_fmac_f32_e32 v93, v4, v96
	v_fmac_f32_e32 v69, v4, v72
	v_dual_fmac_f32 v61, v4, v64 :: v_dual_add_f32 v146, v146, v73
	v_fmac_f32_e32 v53, v4, v56
	v_dual_fmac_f32 v45, v4, v48 :: v_dual_add_f32 v154, v154, v41
	v_fmac_f32_e32 v105, v4, v108
	v_fmac_f32_e32 v37, v4, v40
	;; [unrolled: 1-line block ×10, first 2 shown]
	v_cmp_le_i32_e32 vcc_lo, s13, v129
	v_add_co_u32 v125, s0, v125, 16
	v_add_f32_e32 v139, v139, v105
	v_add_f32_e32 v141, v141, v93
	;; [unrolled: 1-line block ×17, first 2 shown]
	v_add_nc_u32_e32 v167, 0x200, v167
	s_wait_alu 0xf1ff
	v_add_co_ci_u32_e64 v126, null, 0, v126, s0
	s_or_b32 s6, vcc_lo, s6
	s_wait_alu 0xfffe
	s_and_not1_b32 exec_lo, exec_lo, s6
	s_cbranch_execz .LBB59_89
.LBB59_29:                              ; =>This Inner Loop Header: Depth=1
	global_load_b32 v1, v[125:126], off
	v_add_nc_u32_e32 v168, -3, v166
	v_add_nc_u32_e32 v170, -2, v166
	v_add_nc_u32_e32 v169, -1, v166
	s_wait_loadcnt 0x0
	s_wait_alu 0xfffe
	v_mad_co_i64_i32 v[1:2], null, v1, s5, 0
	s_delay_alu instid0(VALU_DEP_1) | instskip(NEXT) | instid1(VALU_DEP_1)
	v_lshlrev_b64_e32 v[1:2], 2, v[1:2]
	v_add_co_u32 v97, vcc_lo, v164, v1
	s_wait_alu 0xfffd
	s_delay_alu instid0(VALU_DEP_2)
	v_add_co_ci_u32_e64 v98, null, v165, v2, vcc_lo
	ds_load_b128 v[1:4], v167
	v_cmp_eq_u32_e32 vcc_lo, s7, v129
	global_load_b128 v[5:8], v[97:98], off
	s_and_saveexec_b32 s1, vcc_lo
	s_cbranch_execnz .LBB59_59
; %bb.30:                               ;   in Loop: Header=BB59_29 Depth=1
	s_wait_alu 0xfffe
	s_or_b32 exec_lo, exec_lo, s1
	global_load_b128 v[9:12], v[97:98], off offset:512
	s_and_saveexec_b32 s1, vcc_lo
	s_cbranch_execnz .LBB59_60
.LBB59_31:                              ;   in Loop: Header=BB59_29 Depth=1
	s_wait_alu 0xfffe
	s_or_b32 exec_lo, exec_lo, s1
	global_load_b128 v[13:16], v[97:98], off offset:1024
	s_and_saveexec_b32 s1, vcc_lo
	s_cbranch_execnz .LBB59_61
.LBB59_32:                              ;   in Loop: Header=BB59_29 Depth=1
	s_wait_alu 0xfffe
	s_or_b32 exec_lo, exec_lo, s1
	global_load_b128 v[17:20], v[97:98], off offset:1536
	s_and_saveexec_b32 s1, vcc_lo
	s_cbranch_execnz .LBB59_62
.LBB59_33:                              ;   in Loop: Header=BB59_29 Depth=1
	s_wait_alu 0xfffe
	s_or_b32 exec_lo, exec_lo, s1
	global_load_b128 v[21:24], v[97:98], off offset:2048
	s_and_saveexec_b32 s1, vcc_lo
	s_cbranch_execnz .LBB59_63
.LBB59_34:                              ;   in Loop: Header=BB59_29 Depth=1
	s_wait_alu 0xfffe
	s_or_b32 exec_lo, exec_lo, s1
	global_load_b128 v[25:28], v[97:98], off offset:2560
	s_and_saveexec_b32 s1, vcc_lo
	s_cbranch_execnz .LBB59_64
.LBB59_35:                              ;   in Loop: Header=BB59_29 Depth=1
	s_wait_alu 0xfffe
	s_or_b32 exec_lo, exec_lo, s1
	global_load_b128 v[29:32], v[97:98], off offset:3072
	s_and_saveexec_b32 s1, vcc_lo
	s_cbranch_execnz .LBB59_65
.LBB59_36:                              ;   in Loop: Header=BB59_29 Depth=1
	s_wait_alu 0xfffe
	s_or_b32 exec_lo, exec_lo, s1
	global_load_b128 v[33:36], v[97:98], off offset:3584
	s_and_saveexec_b32 s1, vcc_lo
	s_cbranch_execnz .LBB59_66
.LBB59_37:                              ;   in Loop: Header=BB59_29 Depth=1
	s_wait_alu 0xfffe
	s_or_b32 exec_lo, exec_lo, s1
	global_load_b128 v[37:40], v[97:98], off offset:4096
	s_and_saveexec_b32 s1, vcc_lo
	s_cbranch_execnz .LBB59_67
.LBB59_38:                              ;   in Loop: Header=BB59_29 Depth=1
	s_wait_alu 0xfffe
	s_or_b32 exec_lo, exec_lo, s1
	global_load_b128 v[41:44], v[97:98], off offset:4608
	s_and_saveexec_b32 s1, vcc_lo
	s_cbranch_execnz .LBB59_68
.LBB59_39:                              ;   in Loop: Header=BB59_29 Depth=1
	s_wait_alu 0xfffe
	s_or_b32 exec_lo, exec_lo, s1
	global_load_b128 v[45:48], v[97:98], off offset:5120
	s_and_saveexec_b32 s1, vcc_lo
	s_cbranch_execnz .LBB59_69
.LBB59_40:                              ;   in Loop: Header=BB59_29 Depth=1
	s_wait_alu 0xfffe
	s_or_b32 exec_lo, exec_lo, s1
	global_load_b128 v[49:52], v[97:98], off offset:5632
	s_and_saveexec_b32 s1, vcc_lo
	s_cbranch_execnz .LBB59_70
.LBB59_41:                              ;   in Loop: Header=BB59_29 Depth=1
	s_wait_alu 0xfffe
	s_or_b32 exec_lo, exec_lo, s1
	global_load_b128 v[53:56], v[97:98], off offset:6144
	s_and_saveexec_b32 s1, vcc_lo
	s_cbranch_execnz .LBB59_71
.LBB59_42:                              ;   in Loop: Header=BB59_29 Depth=1
	s_wait_alu 0xfffe
	s_or_b32 exec_lo, exec_lo, s1
	global_load_b128 v[57:60], v[97:98], off offset:6656
	s_and_saveexec_b32 s1, vcc_lo
	s_cbranch_execnz .LBB59_72
.LBB59_43:                              ;   in Loop: Header=BB59_29 Depth=1
	s_wait_alu 0xfffe
	s_or_b32 exec_lo, exec_lo, s1
	global_load_b128 v[61:64], v[97:98], off offset:7168
	s_and_saveexec_b32 s1, vcc_lo
	s_cbranch_execnz .LBB59_73
.LBB59_44:                              ;   in Loop: Header=BB59_29 Depth=1
	s_wait_alu 0xfffe
	s_or_b32 exec_lo, exec_lo, s1
	global_load_b128 v[65:68], v[97:98], off offset:7680
	s_and_saveexec_b32 s1, vcc_lo
	s_cbranch_execnz .LBB59_74
.LBB59_45:                              ;   in Loop: Header=BB59_29 Depth=1
	s_wait_alu 0xfffe
	s_or_b32 exec_lo, exec_lo, s1
	global_load_b128 v[69:72], v[97:98], off offset:8192
	s_and_saveexec_b32 s1, vcc_lo
	s_cbranch_execnz .LBB59_75
.LBB59_46:                              ;   in Loop: Header=BB59_29 Depth=1
	s_wait_alu 0xfffe
	s_or_b32 exec_lo, exec_lo, s1
	global_load_b128 v[73:76], v[97:98], off offset:8704
	s_and_saveexec_b32 s1, vcc_lo
	s_cbranch_execnz .LBB59_76
.LBB59_47:                              ;   in Loop: Header=BB59_29 Depth=1
	s_wait_alu 0xfffe
	s_or_b32 exec_lo, exec_lo, s1
	global_load_b128 v[77:80], v[97:98], off offset:9216
	s_and_saveexec_b32 s1, vcc_lo
	s_cbranch_execnz .LBB59_77
.LBB59_48:                              ;   in Loop: Header=BB59_29 Depth=1
	s_wait_alu 0xfffe
	s_or_b32 exec_lo, exec_lo, s1
	global_load_b128 v[81:84], v[97:98], off offset:9728
	s_and_saveexec_b32 s1, vcc_lo
	s_cbranch_execnz .LBB59_78
.LBB59_49:                              ;   in Loop: Header=BB59_29 Depth=1
	s_wait_alu 0xfffe
	s_or_b32 exec_lo, exec_lo, s1
	global_load_b128 v[85:88], v[97:98], off offset:10240
	s_and_saveexec_b32 s1, vcc_lo
	s_cbranch_execnz .LBB59_79
.LBB59_50:                              ;   in Loop: Header=BB59_29 Depth=1
	s_wait_alu 0xfffe
	s_or_b32 exec_lo, exec_lo, s1
	global_load_b128 v[89:92], v[97:98], off offset:10752
	s_and_saveexec_b32 s1, vcc_lo
	s_cbranch_execnz .LBB59_80
.LBB59_51:                              ;   in Loop: Header=BB59_29 Depth=1
	s_wait_alu 0xfffe
	s_or_b32 exec_lo, exec_lo, s1
	global_load_b128 v[93:96], v[97:98], off offset:11264
	s_and_saveexec_b32 s1, vcc_lo
	s_cbranch_execnz .LBB59_81
.LBB59_52:                              ;   in Loop: Header=BB59_29 Depth=1
	s_wait_alu 0xfffe
	s_or_b32 exec_lo, exec_lo, s1
	global_load_b128 v[101:104], v[97:98], off offset:11776
	s_and_saveexec_b32 s1, vcc_lo
	s_cbranch_execnz .LBB59_82
.LBB59_53:                              ;   in Loop: Header=BB59_29 Depth=1
	s_wait_alu 0xfffe
	s_or_b32 exec_lo, exec_lo, s1
	global_load_b128 v[105:108], v[97:98], off offset:12288
	s_and_saveexec_b32 s1, vcc_lo
	s_cbranch_execnz .LBB59_83
.LBB59_54:                              ;   in Loop: Header=BB59_29 Depth=1
	s_wait_alu 0xfffe
	s_or_b32 exec_lo, exec_lo, s1
	global_load_b128 v[109:112], v[97:98], off offset:12800
	s_and_saveexec_b32 s1, vcc_lo
	s_cbranch_execnz .LBB59_84
.LBB59_55:                              ;   in Loop: Header=BB59_29 Depth=1
	s_wait_alu 0xfffe
	s_or_b32 exec_lo, exec_lo, s1
	global_load_b128 v[113:116], v[97:98], off offset:13312
	s_and_saveexec_b32 s1, vcc_lo
	s_cbranch_execnz .LBB59_85
.LBB59_56:                              ;   in Loop: Header=BB59_29 Depth=1
	s_wait_alu 0xfffe
	s_or_b32 exec_lo, exec_lo, s1
	global_load_b128 v[117:120], v[97:98], off offset:13824
	s_and_saveexec_b32 s1, vcc_lo
	s_cbranch_execnz .LBB59_86
.LBB59_57:                              ;   in Loop: Header=BB59_29 Depth=1
	s_wait_alu 0xfffe
	s_or_b32 exec_lo, exec_lo, s1
	global_load_b128 v[121:124], v[97:98], off offset:14336
	s_and_saveexec_b32 s9, vcc_lo
	s_cbranch_execnz .LBB59_87
.LBB59_58:                              ;   in Loop: Header=BB59_29 Depth=1
	s_or_b32 exec_lo, exec_lo, s9
	global_load_b128 v[97:100], v[97:98], off offset:14848
	s_and_saveexec_b32 s0, vcc_lo
	s_cbranch_execz .LBB59_28
	s_branch .LBB59_88
.LBB59_59:                              ;   in Loop: Header=BB59_29 Depth=1
	v_cmp_gt_i32_e64 s0, s25, v168
	s_wait_loadcnt 0x0
	s_wait_alu 0xf1ff
	s_delay_alu instid0(VALU_DEP_1) | instskip(SKIP_2) | instid1(VALU_DEP_1)
	v_cndmask_b32_e64 v5, 0, v5, s0
	v_cmp_gt_i32_e64 s0, s25, v170
	s_wait_alu 0xf1ff
	v_cndmask_b32_e64 v6, 0, v6, s0
	v_cmp_gt_i32_e64 s0, s25, v169
	s_wait_alu 0xf1ff
	s_delay_alu instid0(VALU_DEP_1) | instskip(SKIP_2) | instid1(VALU_DEP_1)
	v_cndmask_b32_e64 v7, 0, v7, s0
	v_cmp_gt_i32_e64 s0, s25, v166
	s_wait_alu 0xf1ff
	v_cndmask_b32_e64 v8, 0, v8, s0
	s_wait_alu 0xfffe
	s_or_b32 exec_lo, exec_lo, s1
	global_load_b128 v[9:12], v[97:98], off offset:512
	s_and_saveexec_b32 s1, vcc_lo
	s_cbranch_execz .LBB59_31
.LBB59_60:                              ;   in Loop: Header=BB59_29 Depth=1
	v_cmp_gt_i32_e64 s0, s25, v168
	s_wait_loadcnt 0x0
	s_wait_alu 0xf1ff
	s_delay_alu instid0(VALU_DEP_1) | instskip(SKIP_2) | instid1(VALU_DEP_1)
	v_cndmask_b32_e64 v9, 0, v9, s0
	v_cmp_gt_i32_e64 s0, s25, v170
	s_wait_alu 0xf1ff
	v_cndmask_b32_e64 v10, 0, v10, s0
	v_cmp_gt_i32_e64 s0, s25, v169
	s_wait_alu 0xf1ff
	s_delay_alu instid0(VALU_DEP_1) | instskip(SKIP_2) | instid1(VALU_DEP_1)
	v_cndmask_b32_e64 v11, 0, v11, s0
	v_cmp_gt_i32_e64 s0, s25, v166
	s_wait_alu 0xf1ff
	v_cndmask_b32_e64 v12, 0, v12, s0
	s_wait_alu 0xfffe
	s_or_b32 exec_lo, exec_lo, s1
	global_load_b128 v[13:16], v[97:98], off offset:1024
	s_and_saveexec_b32 s1, vcc_lo
	s_cbranch_execz .LBB59_32
.LBB59_61:                              ;   in Loop: Header=BB59_29 Depth=1
	v_cmp_gt_i32_e64 s0, s25, v168
	s_wait_loadcnt 0x0
	s_wait_alu 0xf1ff
	s_delay_alu instid0(VALU_DEP_1) | instskip(SKIP_2) | instid1(VALU_DEP_1)
	v_cndmask_b32_e64 v13, 0, v13, s0
	v_cmp_gt_i32_e64 s0, s25, v170
	s_wait_alu 0xf1ff
	v_cndmask_b32_e64 v14, 0, v14, s0
	v_cmp_gt_i32_e64 s0, s25, v169
	s_wait_alu 0xf1ff
	s_delay_alu instid0(VALU_DEP_1) | instskip(SKIP_2) | instid1(VALU_DEP_1)
	v_cndmask_b32_e64 v15, 0, v15, s0
	v_cmp_gt_i32_e64 s0, s25, v166
	s_wait_alu 0xf1ff
	v_cndmask_b32_e64 v16, 0, v16, s0
	s_wait_alu 0xfffe
	s_or_b32 exec_lo, exec_lo, s1
	global_load_b128 v[17:20], v[97:98], off offset:1536
	s_and_saveexec_b32 s1, vcc_lo
	s_cbranch_execz .LBB59_33
.LBB59_62:                              ;   in Loop: Header=BB59_29 Depth=1
	v_cmp_gt_i32_e64 s0, s25, v168
	s_wait_loadcnt 0x0
	s_wait_alu 0xf1ff
	s_delay_alu instid0(VALU_DEP_1) | instskip(SKIP_2) | instid1(VALU_DEP_1)
	v_cndmask_b32_e64 v17, 0, v17, s0
	v_cmp_gt_i32_e64 s0, s25, v170
	s_wait_alu 0xf1ff
	v_cndmask_b32_e64 v18, 0, v18, s0
	v_cmp_gt_i32_e64 s0, s25, v169
	s_wait_alu 0xf1ff
	s_delay_alu instid0(VALU_DEP_1) | instskip(SKIP_2) | instid1(VALU_DEP_1)
	v_cndmask_b32_e64 v19, 0, v19, s0
	v_cmp_gt_i32_e64 s0, s25, v166
	s_wait_alu 0xf1ff
	v_cndmask_b32_e64 v20, 0, v20, s0
	s_wait_alu 0xfffe
	s_or_b32 exec_lo, exec_lo, s1
	global_load_b128 v[21:24], v[97:98], off offset:2048
	s_and_saveexec_b32 s1, vcc_lo
	s_cbranch_execz .LBB59_34
.LBB59_63:                              ;   in Loop: Header=BB59_29 Depth=1
	v_cmp_gt_i32_e64 s0, s25, v168
	s_wait_loadcnt 0x0
	s_wait_alu 0xf1ff
	s_delay_alu instid0(VALU_DEP_1) | instskip(SKIP_2) | instid1(VALU_DEP_1)
	v_cndmask_b32_e64 v21, 0, v21, s0
	v_cmp_gt_i32_e64 s0, s25, v170
	s_wait_alu 0xf1ff
	v_cndmask_b32_e64 v22, 0, v22, s0
	v_cmp_gt_i32_e64 s0, s25, v169
	s_wait_alu 0xf1ff
	s_delay_alu instid0(VALU_DEP_1) | instskip(SKIP_2) | instid1(VALU_DEP_1)
	v_cndmask_b32_e64 v23, 0, v23, s0
	v_cmp_gt_i32_e64 s0, s25, v166
	s_wait_alu 0xf1ff
	v_cndmask_b32_e64 v24, 0, v24, s0
	s_wait_alu 0xfffe
	s_or_b32 exec_lo, exec_lo, s1
	global_load_b128 v[25:28], v[97:98], off offset:2560
	s_and_saveexec_b32 s1, vcc_lo
	s_cbranch_execz .LBB59_35
.LBB59_64:                              ;   in Loop: Header=BB59_29 Depth=1
	v_cmp_gt_i32_e64 s0, s25, v168
	s_wait_loadcnt 0x0
	s_wait_alu 0xf1ff
	s_delay_alu instid0(VALU_DEP_1) | instskip(SKIP_2) | instid1(VALU_DEP_1)
	v_cndmask_b32_e64 v25, 0, v25, s0
	v_cmp_gt_i32_e64 s0, s25, v170
	s_wait_alu 0xf1ff
	v_cndmask_b32_e64 v26, 0, v26, s0
	v_cmp_gt_i32_e64 s0, s25, v169
	s_wait_alu 0xf1ff
	s_delay_alu instid0(VALU_DEP_1) | instskip(SKIP_2) | instid1(VALU_DEP_1)
	v_cndmask_b32_e64 v27, 0, v27, s0
	v_cmp_gt_i32_e64 s0, s25, v166
	s_wait_alu 0xf1ff
	v_cndmask_b32_e64 v28, 0, v28, s0
	s_wait_alu 0xfffe
	s_or_b32 exec_lo, exec_lo, s1
	global_load_b128 v[29:32], v[97:98], off offset:3072
	s_and_saveexec_b32 s1, vcc_lo
	s_cbranch_execz .LBB59_36
.LBB59_65:                              ;   in Loop: Header=BB59_29 Depth=1
	v_cmp_gt_i32_e64 s0, s25, v168
	s_wait_loadcnt 0x0
	s_wait_alu 0xf1ff
	s_delay_alu instid0(VALU_DEP_1) | instskip(SKIP_2) | instid1(VALU_DEP_1)
	v_cndmask_b32_e64 v29, 0, v29, s0
	v_cmp_gt_i32_e64 s0, s25, v170
	s_wait_alu 0xf1ff
	v_cndmask_b32_e64 v30, 0, v30, s0
	v_cmp_gt_i32_e64 s0, s25, v169
	s_wait_alu 0xf1ff
	s_delay_alu instid0(VALU_DEP_1) | instskip(SKIP_2) | instid1(VALU_DEP_1)
	v_cndmask_b32_e64 v31, 0, v31, s0
	v_cmp_gt_i32_e64 s0, s25, v166
	s_wait_alu 0xf1ff
	v_cndmask_b32_e64 v32, 0, v32, s0
	s_wait_alu 0xfffe
	s_or_b32 exec_lo, exec_lo, s1
	global_load_b128 v[33:36], v[97:98], off offset:3584
	s_and_saveexec_b32 s1, vcc_lo
	s_cbranch_execz .LBB59_37
.LBB59_66:                              ;   in Loop: Header=BB59_29 Depth=1
	v_cmp_gt_i32_e64 s0, s25, v168
	s_wait_loadcnt 0x0
	s_wait_alu 0xf1ff
	s_delay_alu instid0(VALU_DEP_1) | instskip(SKIP_2) | instid1(VALU_DEP_1)
	v_cndmask_b32_e64 v33, 0, v33, s0
	v_cmp_gt_i32_e64 s0, s25, v170
	s_wait_alu 0xf1ff
	v_cndmask_b32_e64 v34, 0, v34, s0
	v_cmp_gt_i32_e64 s0, s25, v169
	s_wait_alu 0xf1ff
	s_delay_alu instid0(VALU_DEP_1) | instskip(SKIP_2) | instid1(VALU_DEP_1)
	v_cndmask_b32_e64 v35, 0, v35, s0
	v_cmp_gt_i32_e64 s0, s25, v166
	s_wait_alu 0xf1ff
	v_cndmask_b32_e64 v36, 0, v36, s0
	s_wait_alu 0xfffe
	s_or_b32 exec_lo, exec_lo, s1
	global_load_b128 v[37:40], v[97:98], off offset:4096
	s_and_saveexec_b32 s1, vcc_lo
	s_cbranch_execz .LBB59_38
.LBB59_67:                              ;   in Loop: Header=BB59_29 Depth=1
	v_cmp_gt_i32_e64 s0, s25, v168
	s_wait_loadcnt 0x0
	s_wait_alu 0xf1ff
	s_delay_alu instid0(VALU_DEP_1) | instskip(SKIP_2) | instid1(VALU_DEP_1)
	v_cndmask_b32_e64 v37, 0, v37, s0
	v_cmp_gt_i32_e64 s0, s25, v170
	s_wait_alu 0xf1ff
	v_cndmask_b32_e64 v38, 0, v38, s0
	v_cmp_gt_i32_e64 s0, s25, v169
	s_wait_alu 0xf1ff
	s_delay_alu instid0(VALU_DEP_1) | instskip(SKIP_2) | instid1(VALU_DEP_1)
	v_cndmask_b32_e64 v39, 0, v39, s0
	v_cmp_gt_i32_e64 s0, s25, v166
	s_wait_alu 0xf1ff
	v_cndmask_b32_e64 v40, 0, v40, s0
	s_wait_alu 0xfffe
	s_or_b32 exec_lo, exec_lo, s1
	global_load_b128 v[41:44], v[97:98], off offset:4608
	s_and_saveexec_b32 s1, vcc_lo
	s_cbranch_execz .LBB59_39
.LBB59_68:                              ;   in Loop: Header=BB59_29 Depth=1
	v_cmp_gt_i32_e64 s0, s25, v168
	s_wait_loadcnt 0x0
	s_wait_alu 0xf1ff
	s_delay_alu instid0(VALU_DEP_1) | instskip(SKIP_2) | instid1(VALU_DEP_1)
	v_cndmask_b32_e64 v41, 0, v41, s0
	v_cmp_gt_i32_e64 s0, s25, v170
	s_wait_alu 0xf1ff
	v_cndmask_b32_e64 v42, 0, v42, s0
	v_cmp_gt_i32_e64 s0, s25, v169
	s_wait_alu 0xf1ff
	s_delay_alu instid0(VALU_DEP_1) | instskip(SKIP_2) | instid1(VALU_DEP_1)
	v_cndmask_b32_e64 v43, 0, v43, s0
	v_cmp_gt_i32_e64 s0, s25, v166
	s_wait_alu 0xf1ff
	v_cndmask_b32_e64 v44, 0, v44, s0
	s_wait_alu 0xfffe
	s_or_b32 exec_lo, exec_lo, s1
	global_load_b128 v[45:48], v[97:98], off offset:5120
	s_and_saveexec_b32 s1, vcc_lo
	s_cbranch_execz .LBB59_40
.LBB59_69:                              ;   in Loop: Header=BB59_29 Depth=1
	v_cmp_gt_i32_e64 s0, s25, v168
	s_wait_loadcnt 0x0
	s_wait_alu 0xf1ff
	s_delay_alu instid0(VALU_DEP_1) | instskip(SKIP_2) | instid1(VALU_DEP_1)
	v_cndmask_b32_e64 v45, 0, v45, s0
	v_cmp_gt_i32_e64 s0, s25, v170
	s_wait_alu 0xf1ff
	v_cndmask_b32_e64 v46, 0, v46, s0
	v_cmp_gt_i32_e64 s0, s25, v169
	s_wait_alu 0xf1ff
	s_delay_alu instid0(VALU_DEP_1) | instskip(SKIP_2) | instid1(VALU_DEP_1)
	v_cndmask_b32_e64 v47, 0, v47, s0
	v_cmp_gt_i32_e64 s0, s25, v166
	s_wait_alu 0xf1ff
	v_cndmask_b32_e64 v48, 0, v48, s0
	s_wait_alu 0xfffe
	s_or_b32 exec_lo, exec_lo, s1
	global_load_b128 v[49:52], v[97:98], off offset:5632
	s_and_saveexec_b32 s1, vcc_lo
	s_cbranch_execz .LBB59_41
.LBB59_70:                              ;   in Loop: Header=BB59_29 Depth=1
	v_cmp_gt_i32_e64 s0, s25, v168
	s_wait_loadcnt 0x0
	s_wait_alu 0xf1ff
	s_delay_alu instid0(VALU_DEP_1) | instskip(SKIP_2) | instid1(VALU_DEP_1)
	v_cndmask_b32_e64 v49, 0, v49, s0
	v_cmp_gt_i32_e64 s0, s25, v170
	s_wait_alu 0xf1ff
	v_cndmask_b32_e64 v50, 0, v50, s0
	v_cmp_gt_i32_e64 s0, s25, v169
	s_wait_alu 0xf1ff
	s_delay_alu instid0(VALU_DEP_1) | instskip(SKIP_2) | instid1(VALU_DEP_1)
	v_cndmask_b32_e64 v51, 0, v51, s0
	v_cmp_gt_i32_e64 s0, s25, v166
	s_wait_alu 0xf1ff
	v_cndmask_b32_e64 v52, 0, v52, s0
	s_wait_alu 0xfffe
	s_or_b32 exec_lo, exec_lo, s1
	global_load_b128 v[53:56], v[97:98], off offset:6144
	s_and_saveexec_b32 s1, vcc_lo
	s_cbranch_execz .LBB59_42
.LBB59_71:                              ;   in Loop: Header=BB59_29 Depth=1
	v_cmp_gt_i32_e64 s0, s25, v168
	s_wait_loadcnt 0x0
	s_wait_alu 0xf1ff
	s_delay_alu instid0(VALU_DEP_1) | instskip(SKIP_2) | instid1(VALU_DEP_1)
	v_cndmask_b32_e64 v53, 0, v53, s0
	v_cmp_gt_i32_e64 s0, s25, v170
	s_wait_alu 0xf1ff
	v_cndmask_b32_e64 v54, 0, v54, s0
	v_cmp_gt_i32_e64 s0, s25, v169
	s_wait_alu 0xf1ff
	s_delay_alu instid0(VALU_DEP_1) | instskip(SKIP_2) | instid1(VALU_DEP_1)
	v_cndmask_b32_e64 v55, 0, v55, s0
	v_cmp_gt_i32_e64 s0, s25, v166
	s_wait_alu 0xf1ff
	v_cndmask_b32_e64 v56, 0, v56, s0
	s_wait_alu 0xfffe
	s_or_b32 exec_lo, exec_lo, s1
	global_load_b128 v[57:60], v[97:98], off offset:6656
	s_and_saveexec_b32 s1, vcc_lo
	s_cbranch_execz .LBB59_43
.LBB59_72:                              ;   in Loop: Header=BB59_29 Depth=1
	v_cmp_gt_i32_e64 s0, s25, v168
	s_wait_loadcnt 0x0
	s_wait_alu 0xf1ff
	s_delay_alu instid0(VALU_DEP_1) | instskip(SKIP_2) | instid1(VALU_DEP_1)
	v_cndmask_b32_e64 v57, 0, v57, s0
	v_cmp_gt_i32_e64 s0, s25, v170
	s_wait_alu 0xf1ff
	v_cndmask_b32_e64 v58, 0, v58, s0
	v_cmp_gt_i32_e64 s0, s25, v169
	s_wait_alu 0xf1ff
	s_delay_alu instid0(VALU_DEP_1) | instskip(SKIP_2) | instid1(VALU_DEP_1)
	v_cndmask_b32_e64 v59, 0, v59, s0
	v_cmp_gt_i32_e64 s0, s25, v166
	s_wait_alu 0xf1ff
	v_cndmask_b32_e64 v60, 0, v60, s0
	s_wait_alu 0xfffe
	s_or_b32 exec_lo, exec_lo, s1
	global_load_b128 v[61:64], v[97:98], off offset:7168
	s_and_saveexec_b32 s1, vcc_lo
	s_cbranch_execz .LBB59_44
.LBB59_73:                              ;   in Loop: Header=BB59_29 Depth=1
	v_cmp_gt_i32_e64 s0, s25, v168
	s_wait_loadcnt 0x0
	s_wait_alu 0xf1ff
	s_delay_alu instid0(VALU_DEP_1) | instskip(SKIP_2) | instid1(VALU_DEP_1)
	v_cndmask_b32_e64 v61, 0, v61, s0
	v_cmp_gt_i32_e64 s0, s25, v170
	s_wait_alu 0xf1ff
	v_cndmask_b32_e64 v62, 0, v62, s0
	v_cmp_gt_i32_e64 s0, s25, v169
	s_wait_alu 0xf1ff
	s_delay_alu instid0(VALU_DEP_1) | instskip(SKIP_2) | instid1(VALU_DEP_1)
	v_cndmask_b32_e64 v63, 0, v63, s0
	v_cmp_gt_i32_e64 s0, s25, v166
	s_wait_alu 0xf1ff
	v_cndmask_b32_e64 v64, 0, v64, s0
	s_wait_alu 0xfffe
	s_or_b32 exec_lo, exec_lo, s1
	global_load_b128 v[65:68], v[97:98], off offset:7680
	s_and_saveexec_b32 s1, vcc_lo
	s_cbranch_execz .LBB59_45
.LBB59_74:                              ;   in Loop: Header=BB59_29 Depth=1
	v_cmp_gt_i32_e64 s0, s25, v168
	s_wait_loadcnt 0x0
	s_wait_alu 0xf1ff
	s_delay_alu instid0(VALU_DEP_1) | instskip(SKIP_2) | instid1(VALU_DEP_1)
	v_cndmask_b32_e64 v65, 0, v65, s0
	v_cmp_gt_i32_e64 s0, s25, v170
	s_wait_alu 0xf1ff
	v_cndmask_b32_e64 v66, 0, v66, s0
	v_cmp_gt_i32_e64 s0, s25, v169
	s_wait_alu 0xf1ff
	s_delay_alu instid0(VALU_DEP_1) | instskip(SKIP_2) | instid1(VALU_DEP_1)
	v_cndmask_b32_e64 v67, 0, v67, s0
	v_cmp_gt_i32_e64 s0, s25, v166
	s_wait_alu 0xf1ff
	v_cndmask_b32_e64 v68, 0, v68, s0
	s_wait_alu 0xfffe
	s_or_b32 exec_lo, exec_lo, s1
	global_load_b128 v[69:72], v[97:98], off offset:8192
	s_and_saveexec_b32 s1, vcc_lo
	s_cbranch_execz .LBB59_46
.LBB59_75:                              ;   in Loop: Header=BB59_29 Depth=1
	v_cmp_gt_i32_e64 s0, s25, v168
	s_wait_loadcnt 0x0
	s_wait_alu 0xf1ff
	s_delay_alu instid0(VALU_DEP_1) | instskip(SKIP_2) | instid1(VALU_DEP_1)
	v_cndmask_b32_e64 v69, 0, v69, s0
	v_cmp_gt_i32_e64 s0, s25, v170
	s_wait_alu 0xf1ff
	v_cndmask_b32_e64 v70, 0, v70, s0
	v_cmp_gt_i32_e64 s0, s25, v169
	s_wait_alu 0xf1ff
	s_delay_alu instid0(VALU_DEP_1) | instskip(SKIP_2) | instid1(VALU_DEP_1)
	v_cndmask_b32_e64 v71, 0, v71, s0
	v_cmp_gt_i32_e64 s0, s25, v166
	s_wait_alu 0xf1ff
	v_cndmask_b32_e64 v72, 0, v72, s0
	s_wait_alu 0xfffe
	s_or_b32 exec_lo, exec_lo, s1
	global_load_b128 v[73:76], v[97:98], off offset:8704
	s_and_saveexec_b32 s1, vcc_lo
	s_cbranch_execz .LBB59_47
.LBB59_76:                              ;   in Loop: Header=BB59_29 Depth=1
	v_cmp_gt_i32_e64 s0, s25, v168
	s_wait_loadcnt 0x0
	s_wait_alu 0xf1ff
	s_delay_alu instid0(VALU_DEP_1) | instskip(SKIP_2) | instid1(VALU_DEP_1)
	v_cndmask_b32_e64 v73, 0, v73, s0
	v_cmp_gt_i32_e64 s0, s25, v170
	s_wait_alu 0xf1ff
	v_cndmask_b32_e64 v74, 0, v74, s0
	v_cmp_gt_i32_e64 s0, s25, v169
	s_wait_alu 0xf1ff
	s_delay_alu instid0(VALU_DEP_1) | instskip(SKIP_2) | instid1(VALU_DEP_1)
	v_cndmask_b32_e64 v75, 0, v75, s0
	v_cmp_gt_i32_e64 s0, s25, v166
	s_wait_alu 0xf1ff
	v_cndmask_b32_e64 v76, 0, v76, s0
	s_wait_alu 0xfffe
	s_or_b32 exec_lo, exec_lo, s1
	global_load_b128 v[77:80], v[97:98], off offset:9216
	s_and_saveexec_b32 s1, vcc_lo
	s_cbranch_execz .LBB59_48
.LBB59_77:                              ;   in Loop: Header=BB59_29 Depth=1
	v_cmp_gt_i32_e64 s0, s25, v168
	s_wait_loadcnt 0x0
	s_wait_alu 0xf1ff
	s_delay_alu instid0(VALU_DEP_1) | instskip(SKIP_2) | instid1(VALU_DEP_1)
	v_cndmask_b32_e64 v77, 0, v77, s0
	v_cmp_gt_i32_e64 s0, s25, v170
	s_wait_alu 0xf1ff
	v_cndmask_b32_e64 v78, 0, v78, s0
	v_cmp_gt_i32_e64 s0, s25, v169
	s_wait_alu 0xf1ff
	s_delay_alu instid0(VALU_DEP_1) | instskip(SKIP_2) | instid1(VALU_DEP_1)
	v_cndmask_b32_e64 v79, 0, v79, s0
	v_cmp_gt_i32_e64 s0, s25, v166
	s_wait_alu 0xf1ff
	v_cndmask_b32_e64 v80, 0, v80, s0
	s_wait_alu 0xfffe
	s_or_b32 exec_lo, exec_lo, s1
	global_load_b128 v[81:84], v[97:98], off offset:9728
	s_and_saveexec_b32 s1, vcc_lo
	s_cbranch_execz .LBB59_49
.LBB59_78:                              ;   in Loop: Header=BB59_29 Depth=1
	v_cmp_gt_i32_e64 s0, s25, v168
	s_wait_loadcnt 0x0
	s_wait_alu 0xf1ff
	s_delay_alu instid0(VALU_DEP_1) | instskip(SKIP_2) | instid1(VALU_DEP_1)
	v_cndmask_b32_e64 v81, 0, v81, s0
	v_cmp_gt_i32_e64 s0, s25, v170
	s_wait_alu 0xf1ff
	v_cndmask_b32_e64 v82, 0, v82, s0
	v_cmp_gt_i32_e64 s0, s25, v169
	s_wait_alu 0xf1ff
	s_delay_alu instid0(VALU_DEP_1) | instskip(SKIP_2) | instid1(VALU_DEP_1)
	v_cndmask_b32_e64 v83, 0, v83, s0
	v_cmp_gt_i32_e64 s0, s25, v166
	s_wait_alu 0xf1ff
	v_cndmask_b32_e64 v84, 0, v84, s0
	s_wait_alu 0xfffe
	s_or_b32 exec_lo, exec_lo, s1
	global_load_b128 v[85:88], v[97:98], off offset:10240
	s_and_saveexec_b32 s1, vcc_lo
	s_cbranch_execz .LBB59_50
.LBB59_79:                              ;   in Loop: Header=BB59_29 Depth=1
	v_cmp_gt_i32_e64 s0, s25, v168
	s_wait_loadcnt 0x0
	s_wait_alu 0xf1ff
	s_delay_alu instid0(VALU_DEP_1) | instskip(SKIP_2) | instid1(VALU_DEP_1)
	v_cndmask_b32_e64 v85, 0, v85, s0
	v_cmp_gt_i32_e64 s0, s25, v170
	s_wait_alu 0xf1ff
	v_cndmask_b32_e64 v86, 0, v86, s0
	v_cmp_gt_i32_e64 s0, s25, v169
	s_wait_alu 0xf1ff
	s_delay_alu instid0(VALU_DEP_1) | instskip(SKIP_2) | instid1(VALU_DEP_1)
	v_cndmask_b32_e64 v87, 0, v87, s0
	v_cmp_gt_i32_e64 s0, s25, v166
	s_wait_alu 0xf1ff
	v_cndmask_b32_e64 v88, 0, v88, s0
	s_wait_alu 0xfffe
	s_or_b32 exec_lo, exec_lo, s1
	global_load_b128 v[89:92], v[97:98], off offset:10752
	s_and_saveexec_b32 s1, vcc_lo
	s_cbranch_execz .LBB59_51
.LBB59_80:                              ;   in Loop: Header=BB59_29 Depth=1
	v_cmp_gt_i32_e64 s0, s25, v168
	s_wait_loadcnt 0x0
	s_wait_alu 0xf1ff
	s_delay_alu instid0(VALU_DEP_1) | instskip(SKIP_2) | instid1(VALU_DEP_1)
	v_cndmask_b32_e64 v89, 0, v89, s0
	v_cmp_gt_i32_e64 s0, s25, v170
	s_wait_alu 0xf1ff
	v_cndmask_b32_e64 v90, 0, v90, s0
	v_cmp_gt_i32_e64 s0, s25, v169
	s_wait_alu 0xf1ff
	s_delay_alu instid0(VALU_DEP_1) | instskip(SKIP_2) | instid1(VALU_DEP_1)
	v_cndmask_b32_e64 v91, 0, v91, s0
	v_cmp_gt_i32_e64 s0, s25, v166
	s_wait_alu 0xf1ff
	v_cndmask_b32_e64 v92, 0, v92, s0
	s_wait_alu 0xfffe
	s_or_b32 exec_lo, exec_lo, s1
	global_load_b128 v[93:96], v[97:98], off offset:11264
	s_and_saveexec_b32 s1, vcc_lo
	s_cbranch_execz .LBB59_52
.LBB59_81:                              ;   in Loop: Header=BB59_29 Depth=1
	v_cmp_gt_i32_e64 s0, s25, v168
	s_wait_loadcnt 0x0
	s_wait_alu 0xf1ff
	s_delay_alu instid0(VALU_DEP_1) | instskip(SKIP_2) | instid1(VALU_DEP_1)
	v_cndmask_b32_e64 v93, 0, v93, s0
	v_cmp_gt_i32_e64 s0, s25, v170
	s_wait_alu 0xf1ff
	v_cndmask_b32_e64 v94, 0, v94, s0
	v_cmp_gt_i32_e64 s0, s25, v169
	s_wait_alu 0xf1ff
	s_delay_alu instid0(VALU_DEP_1) | instskip(SKIP_2) | instid1(VALU_DEP_1)
	v_cndmask_b32_e64 v95, 0, v95, s0
	v_cmp_gt_i32_e64 s0, s25, v166
	s_wait_alu 0xf1ff
	v_cndmask_b32_e64 v96, 0, v96, s0
	s_wait_alu 0xfffe
	s_or_b32 exec_lo, exec_lo, s1
	global_load_b128 v[101:104], v[97:98], off offset:11776
	s_and_saveexec_b32 s1, vcc_lo
	s_cbranch_execz .LBB59_53
.LBB59_82:                              ;   in Loop: Header=BB59_29 Depth=1
	v_cmp_gt_i32_e64 s0, s25, v168
	s_wait_loadcnt 0x0
	s_wait_alu 0xf1ff
	s_delay_alu instid0(VALU_DEP_1) | instskip(SKIP_2) | instid1(VALU_DEP_1)
	v_cndmask_b32_e64 v101, 0, v101, s0
	v_cmp_gt_i32_e64 s0, s25, v170
	s_wait_alu 0xf1ff
	v_cndmask_b32_e64 v102, 0, v102, s0
	v_cmp_gt_i32_e64 s0, s25, v169
	s_wait_alu 0xf1ff
	s_delay_alu instid0(VALU_DEP_1) | instskip(SKIP_2) | instid1(VALU_DEP_1)
	v_cndmask_b32_e64 v103, 0, v103, s0
	v_cmp_gt_i32_e64 s0, s25, v166
	s_wait_alu 0xf1ff
	v_cndmask_b32_e64 v104, 0, v104, s0
	s_wait_alu 0xfffe
	s_or_b32 exec_lo, exec_lo, s1
	global_load_b128 v[105:108], v[97:98], off offset:12288
	s_and_saveexec_b32 s1, vcc_lo
	s_cbranch_execz .LBB59_54
.LBB59_83:                              ;   in Loop: Header=BB59_29 Depth=1
	v_cmp_gt_i32_e64 s0, s25, v168
	s_wait_loadcnt 0x0
	s_wait_alu 0xf1ff
	s_delay_alu instid0(VALU_DEP_1) | instskip(SKIP_2) | instid1(VALU_DEP_1)
	v_cndmask_b32_e64 v105, 0, v105, s0
	v_cmp_gt_i32_e64 s0, s25, v170
	s_wait_alu 0xf1ff
	v_cndmask_b32_e64 v106, 0, v106, s0
	v_cmp_gt_i32_e64 s0, s25, v169
	s_wait_alu 0xf1ff
	s_delay_alu instid0(VALU_DEP_1) | instskip(SKIP_2) | instid1(VALU_DEP_1)
	v_cndmask_b32_e64 v107, 0, v107, s0
	v_cmp_gt_i32_e64 s0, s25, v166
	s_wait_alu 0xf1ff
	v_cndmask_b32_e64 v108, 0, v108, s0
	s_wait_alu 0xfffe
	s_or_b32 exec_lo, exec_lo, s1
	global_load_b128 v[109:112], v[97:98], off offset:12800
	s_and_saveexec_b32 s1, vcc_lo
	s_cbranch_execz .LBB59_55
.LBB59_84:                              ;   in Loop: Header=BB59_29 Depth=1
	v_cmp_gt_i32_e64 s0, s25, v168
	s_wait_loadcnt 0x0
	s_wait_alu 0xf1ff
	s_delay_alu instid0(VALU_DEP_1) | instskip(SKIP_2) | instid1(VALU_DEP_1)
	v_cndmask_b32_e64 v109, 0, v109, s0
	v_cmp_gt_i32_e64 s0, s25, v170
	s_wait_alu 0xf1ff
	v_cndmask_b32_e64 v110, 0, v110, s0
	v_cmp_gt_i32_e64 s0, s25, v169
	s_wait_alu 0xf1ff
	s_delay_alu instid0(VALU_DEP_1) | instskip(SKIP_2) | instid1(VALU_DEP_1)
	v_cndmask_b32_e64 v111, 0, v111, s0
	v_cmp_gt_i32_e64 s0, s25, v166
	s_wait_alu 0xf1ff
	v_cndmask_b32_e64 v112, 0, v112, s0
	s_wait_alu 0xfffe
	s_or_b32 exec_lo, exec_lo, s1
	global_load_b128 v[113:116], v[97:98], off offset:13312
	s_and_saveexec_b32 s1, vcc_lo
	s_cbranch_execz .LBB59_56
.LBB59_85:                              ;   in Loop: Header=BB59_29 Depth=1
	v_cmp_gt_i32_e64 s0, s25, v168
	s_wait_loadcnt 0x0
	s_wait_alu 0xf1ff
	s_delay_alu instid0(VALU_DEP_1) | instskip(SKIP_2) | instid1(VALU_DEP_1)
	v_cndmask_b32_e64 v113, 0, v113, s0
	v_cmp_gt_i32_e64 s0, s25, v170
	s_wait_alu 0xf1ff
	v_cndmask_b32_e64 v114, 0, v114, s0
	v_cmp_gt_i32_e64 s0, s25, v169
	s_wait_alu 0xf1ff
	s_delay_alu instid0(VALU_DEP_1) | instskip(SKIP_2) | instid1(VALU_DEP_1)
	v_cndmask_b32_e64 v115, 0, v115, s0
	v_cmp_gt_i32_e64 s0, s25, v166
	s_wait_alu 0xf1ff
	v_cndmask_b32_e64 v116, 0, v116, s0
	s_wait_alu 0xfffe
	s_or_b32 exec_lo, exec_lo, s1
	global_load_b128 v[117:120], v[97:98], off offset:13824
	s_and_saveexec_b32 s1, vcc_lo
	s_cbranch_execz .LBB59_57
.LBB59_86:                              ;   in Loop: Header=BB59_29 Depth=1
	v_cmp_gt_i32_e64 s0, s25, v168
	s_wait_loadcnt 0x0
	s_wait_alu 0xf1ff
	s_delay_alu instid0(VALU_DEP_1) | instskip(SKIP_2) | instid1(VALU_DEP_1)
	v_cndmask_b32_e64 v117, 0, v117, s0
	v_cmp_gt_i32_e64 s0, s25, v170
	s_wait_alu 0xf1ff
	v_cndmask_b32_e64 v118, 0, v118, s0
	v_cmp_gt_i32_e64 s0, s25, v169
	s_wait_alu 0xf1ff
	s_delay_alu instid0(VALU_DEP_1) | instskip(SKIP_2) | instid1(VALU_DEP_1)
	v_cndmask_b32_e64 v119, 0, v119, s0
	v_cmp_gt_i32_e64 s0, s25, v166
	s_wait_alu 0xf1ff
	v_cndmask_b32_e64 v120, 0, v120, s0
	s_wait_alu 0xfffe
	s_or_b32 exec_lo, exec_lo, s1
	global_load_b128 v[121:124], v[97:98], off offset:14336
	s_and_saveexec_b32 s9, vcc_lo
	s_cbranch_execz .LBB59_58
.LBB59_87:                              ;   in Loop: Header=BB59_29 Depth=1
	v_cmp_gt_i32_e64 s0, s25, v168
	v_cmp_gt_i32_e64 s1, s25, v170
	;; [unrolled: 1-line block ×4, first 2 shown]
	s_wait_loadcnt 0x0
	s_wait_alu 0xf1ff
	v_cndmask_b32_e64 v121, 0, v121, s0
	v_cndmask_b32_e64 v122, 0, v122, s1
	;; [unrolled: 1-line block ×4, first 2 shown]
	s_or_b32 exec_lo, exec_lo, s9
	global_load_b128 v[97:100], v[97:98], off offset:14848
	s_and_saveexec_b32 s0, vcc_lo
	s_cbranch_execz .LBB59_28
.LBB59_88:                              ;   in Loop: Header=BB59_29 Depth=1
	v_cmp_gt_i32_e32 vcc_lo, s25, v168
	s_wait_loadcnt 0x0
	s_wait_alu 0xfffd
	v_cndmask_b32_e32 v97, 0, v97, vcc_lo
	v_cmp_gt_i32_e32 vcc_lo, s25, v170
	s_wait_alu 0xfffd
	v_cndmask_b32_e32 v98, 0, v98, vcc_lo
	v_cmp_gt_i32_e32 vcc_lo, s25, v169
	;; [unrolled: 3-line block ×3, first 2 shown]
	s_wait_alu 0xfffd
	v_cndmask_b32_e32 v100, 0, v100, vcc_lo
	s_branch .LBB59_28
.LBB59_89:
	s_or_b32 exec_lo, exec_lo, s6
.LBB59_90:
	s_wait_alu 0xfffe
	s_or_b32 exec_lo, exec_lo, s4
	ds_bpermute_b32 v1, v132, v161
	ds_bpermute_b32 v2, v132, v163
	;; [unrolled: 1-line block ×20, first 2 shown]
	s_wait_dscnt 0x12
	v_dual_add_f32 v1, v161, v1 :: v_dual_add_f32 v2, v163, v2
	s_wait_dscnt 0x10
	v_dual_add_f32 v3, v162, v3 :: v_dual_add_f32 v4, v160, v4
	;; [unrolled: 2-line block ×3, first 2 shown]
	ds_bpermute_b32 v14, v131, v1
	ds_bpermute_b32 v15, v131, v2
	;; [unrolled: 1-line block ×3, first 2 shown]
	s_wait_dscnt 0xf
	v_dual_add_f32 v7, v157, v7 :: v_dual_add_f32 v8, v156, v8
	ds_bpermute_b32 v16, v131, v3
	s_wait_dscnt 0xe
	v_dual_add_f32 v9, v155, v9 :: v_dual_add_f32 v10, v154, v10
	ds_bpermute_b32 v18, v131, v5
	ds_bpermute_b32 v19, v131, v6
	;; [unrolled: 1-line block ×4, first 2 shown]
	s_wait_dscnt 0x11
	v_add_f32_e32 v13, v151, v13
	ds_bpermute_b32 v26, v131, v10
	ds_bpermute_b32 v23, v131, v9
	s_wait_dscnt 0x12
	v_add_f32_e32 v24, v149, v24
	s_wait_dscnt 0xe
	v_dual_add_f32 v11, v153, v11 :: v_dual_add_f32 v12, v152, v12
	ds_bpermute_b32 v37, v132, v135
	s_wait_dscnt 0xe
	v_add_f32_e32 v22, v150, v22
	s_wait_dscnt 0x9
	v_dual_add_f32 v1, v1, v14 :: v_dual_add_f32 v2, v2, v15
	s_wait_dscnt 0x8
	v_add_f32_e32 v4, v4, v17
	ds_bpermute_b32 v30, v131, v13
	ds_bpermute_b32 v31, v131, v22
	;; [unrolled: 1-line block ×4, first 2 shown]
	s_wait_dscnt 0xb
	v_add_f32_e32 v3, v3, v16
	s_wait_dscnt 0x9
	v_dual_add_f32 v5, v5, v18 :: v_dual_add_f32 v6, v6, v19
	s_wait_dscnt 0x7
	v_dual_add_f32 v7, v7, v20 :: v_dual_add_f32 v8, v8, v21
	ds_bpermute_b32 v16, v130, v3
	ds_bpermute_b32 v17, v130, v4
	s_wait_dscnt 0x8
	v_add_f32_e32 v10, v10, v26
	ds_bpermute_b32 v20, v130, v7
	ds_bpermute_b32 v21, v130, v8
	s_wait_dscnt 0x9
	v_add_f32_e32 v9, v9, v23
	ds_bpermute_b32 v18, v130, v5
	ds_bpermute_b32 v26, v131, v11
	ds_bpermute_b32 v29, v130, v10
	ds_bpermute_b32 v19, v130, v6
	ds_bpermute_b32 v23, v130, v9
	ds_bpermute_b32 v28, v131, v12
	s_wait_dscnt 0xc
	v_dual_add_f32 v13, v13, v30 :: v_dual_add_f32 v22, v22, v31
	s_wait_dscnt 0xa
	v_dual_add_f32 v1, v1, v14 :: v_dual_add_f32 v2, v2, v15
	v_add_f32_e32 v15, v148, v25
	ds_bpermute_b32 v32, v131, v24
	ds_bpermute_b32 v14, v132, v146
	;; [unrolled: 1-line block ×3, first 2 shown]
	s_wait_dscnt 0xb
	v_dual_add_f32 v3, v3, v16 :: v_dual_add_f32 v4, v4, v17
	v_add_f32_e32 v17, v147, v27
	s_wait_dscnt 0x9
	v_dual_add_f32 v7, v7, v20 :: v_dual_add_f32 v8, v8, v21
	ds_bpermute_b32 v16, v131, v15
	s_wait_dscnt 0x9
	v_add_f32_e32 v5, v5, v18
	ds_bpermute_b32 v18, v132, v145
	s_wait_dscnt 0x8
	v_dual_add_f32 v11, v11, v26 :: v_dual_add_f32 v10, v10, v29
	s_wait_dscnt 0x5
	v_dual_add_f32 v9, v9, v23 :: v_dual_add_f32 v12, v12, v28
	ds_bpermute_b32 v23, v132, v144
	ds_bpermute_b32 v27, v132, v142
	;; [unrolled: 1-line block ×3, first 2 shown]
	v_add_f32_e32 v38, v134, v38
	ds_bpermute_b32 v28, v130, v22
	s_wait_dscnt 0x8
	v_add_f32_e32 v24, v24, v32
	ds_bpermute_b32 v21, v131, v17
	s_wait_dscnt 0x8
	v_add_f32_e32 v14, v146, v14
	ds_bpermute_b32 v32, v132, v139
	s_wait_dscnt 0x8
	v_add_f32_e32 v25, v143, v25
	ds_bpermute_b32 v47, v131, v38
	v_add_f32_e32 v37, v135, v37
	ds_bpermute_b32 v20, v130, v12
	s_wait_dscnt 0x9
	v_add_f32_e32 v16, v15, v16
	ds_bpermute_b32 v15, v132, v140
	s_wait_dscnt 0x9
	v_add_f32_e32 v18, v145, v18
	ds_bpermute_b32 v30, v130, v24
	v_add_f32_e32 v6, v6, v19
	ds_bpermute_b32 v19, v130, v11
	ds_bpermute_b32 v26, v130, v13
	;; [unrolled: 1-line block ×3, first 2 shown]
	s_wait_dscnt 0xb
	v_add_f32_e32 v27, v142, v27
	s_wait_dscnt 0xa
	v_add_f32_e32 v31, v141, v31
	s_mov_b32 s0, exec_lo
	s_wait_storecnt 0x0
	s_wait_loadcnt_dscnt 0x0
	s_barrier_signal -1
	v_add_f32_e32 v17, v17, v21
	ds_bpermute_b32 v29, v131, v14
	v_add_f32_e32 v21, v144, v23
	ds_bpermute_b32 v23, v132, v136
	;; [unrolled: 2-line block ×3, first 2 shown]
	ds_bpermute_b32 v42, v131, v31
	ds_bpermute_b32 v39, v131, v21
	v_add_f32_e32 v15, v140, v15
	ds_bpermute_b32 v44, v131, v32
	v_add_f32_e32 v33, v138, v33
	;; [unrolled: 2-line block ×4, first 2 shown]
	v_add_f32_e32 v36, v18, v36
	ds_bpermute_b32 v43, v131, v15
	ds_bpermute_b32 v54, v130, v38
	s_barrier_wait -1
	ds_bpermute_b32 v46, v131, v34
	s_wait_dscnt 0x0
	global_inv scope:SCOPE_SE
	v_add_f32_e32 v29, v14, v29
	ds_bpermute_b32 v14, v131, v25
	v_add_f32_e32 v23, v136, v23
	v_dual_add_f32 v12, v12, v20 :: v_dual_add_f32 v27, v27, v41
	ds_bpermute_b32 v48, v130, v29
	v_add_f32_e32 v31, v31, v42
	ds_bpermute_b32 v41, v130, v36
	v_add_f32_e32 v32, v32, v44
	;; [unrolled: 2-line block ×4, first 2 shown]
	v_dual_add_f32 v43, v15, v43 :: v_dual_add_f32 v34, v34, v46
	ds_bpermute_b32 v18, v131, v23
	v_add_f32_e32 v21, v21, v39
	ds_bpermute_b32 v39, v131, v37
	s_wait_dscnt 0x6
	v_dual_add_f32 v25, v25, v14 :: v_dual_add_f32 v14, v22, v28
	ds_bpermute_b32 v42, v130, v27
	ds_bpermute_b32 v46, v130, v32
	;; [unrolled: 1-line block ×4, first 2 shown]
	s_wait_dscnt 0x5
	v_dual_add_f32 v33, v33, v45 :: v_dual_add_f32 v52, v23, v18
	v_add_f32_e32 v18, v29, v48
	ds_bpermute_b32 v45, v130, v43
	s_wait_dscnt 0x5
	v_add_f32_e32 v37, v37, v39
	ds_bpermute_b32 v49, v130, v21
	ds_bpermute_b32 v39, v130, v52
	s_wait_dscnt 0x6
	v_add_f32_e32 v22, v27, v42
	ds_bpermute_b32 v51, v130, v33
	v_add_f32_e32 v15, v24, v30
	v_add_f32_e32 v23, v31, v44
	v_lshrrev_b32_e32 v31, 3, v128
	v_add_f32_e32 v11, v11, v19
	v_add_f32_e32 v13, v13, v26
	;; [unrolled: 1-line block ×3, first 2 shown]
	s_wait_dscnt 0x5
	v_dual_add_f32 v27, v34, v53 :: v_dual_and_b32 v34, 0x3c7, v0
	v_add_f32_e32 v30, v38, v54
	s_wait_dscnt 0x3
	v_add_f32_e32 v24, v43, v45
	ds_bpermute_b32 v47, v130, v37
	s_wait_dscnt 0x3
	v_add_f32_e32 v20, v21, v49
	v_add_f32_e32 v21, v25, v50
	s_wait_dscnt 0x1
	v_dual_add_f32 v25, v32, v46 :: v_dual_add_f32 v26, v33, v51
	v_add_f32_e32 v28, v52, v39
	v_lshl_add_u32 v32, v31, 2, 0x200
	v_mul_u32_u24_e32 v33, 0x1e0, v127
	s_wait_dscnt 0x0
	v_add_f32_e32 v29, v37, v47
	v_cmpx_eq_u32_e32 64, v34
	s_cbranch_execz .LBB59_92
; %bb.91:
	v_add_nc_u32_e32 v34, v32, v33
	s_delay_alu instid0(VALU_DEP_1)
	v_add_nc_u32_e32 v35, 0xfffffc40, v34
	v_add_nc_u32_e32 v36, 0xfffffc50, v34
	v_add_nc_u32_e32 v37, 0xfffffc60, v34
	v_add_nc_u32_e32 v38, 0xfffffc70, v34
	v_add_nc_u32_e32 v39, 0xfffffc80, v34
	v_add_nc_u32_e32 v40, 0xfffffc90, v34
	v_add_nc_u32_e32 v41, 0xfffffca0, v34
	v_add_nc_u32_e32 v42, 0xfffffcb0, v34
	ds_store_b32 v35, v1
	ds_store_b32 v36, v2
	ds_store_b32 v37, v3
	ds_store_b32 v38, v4
	ds_store_b32 v39, v5
	ds_store_b32 v40, v6
	ds_store_b32 v41, v7
	ds_store_b32 v42, v8
	v_add_nc_u32_e32 v35, 0xfffffcc0, v34
	v_add_nc_u32_e32 v36, 0xfffffcd0, v34
	v_add_nc_u32_e32 v37, 0xfffffce0, v34
	v_add_nc_u32_e32 v38, 0xfffffcf0, v34
	v_add_nc_u32_e32 v39, 0xfffffd00, v34
	v_add_nc_u32_e32 v40, 0xfffffd10, v34
	v_add_nc_u32_e32 v41, 0xfffffd20, v34
	v_add_nc_u32_e32 v42, 0xfffffd30, v34
	ds_store_b32 v35, v9
	ds_store_b32 v36, v10
	ds_store_b32 v37, v11
	ds_store_b32 v38, v12
	ds_store_b32 v39, v13
	ds_store_b32 v40, v14
	ds_store_b32 v41, v15
	ds_store_b32 v42, v16
	;; [unrolled: 16-line block ×3, first 2 shown]
	v_add_nc_u32_e32 v35, 0xfffffdc0, v34
	v_add_nc_u32_e32 v36, 0xfffffdd0, v34
	v_add_nc_u32_e32 v37, 0xfffffde0, v34
	v_add_nc_u32_e32 v38, 0xfffffdf0, v34
	v_add_nc_u32_e32 v39, 0xfffffe00, v34
	v_add_nc_u32_e32 v34, 0xfffffe10, v34
	ds_store_b32 v35, v25
	ds_store_b32 v36, v26
	;; [unrolled: 1-line block ×6, first 2 shown]
.LBB59_92:
	s_wait_alu 0xfffe
	s_or_b32 exec_lo, exec_lo, s0
	v_lshlrev_b32_e32 v31, 2, v31
	s_mov_b32 s1, exec_lo
	v_cmp_eq_u32_e32 vcc_lo, 0, v133
	s_wait_loadcnt_dscnt 0x0
	s_barrier_signal -1
	v_add3_u32 v31, 0x200, v33, v31
	s_barrier_wait -1
	global_inv scope:SCOPE_SE
	v_cmpx_gt_u32_e32 64, v0
	s_cbranch_execz .LBB59_125
; %bb.93:
	s_and_saveexec_b32 s0, vcc_lo
	s_cbranch_execnz .LBB59_163
; %bb.94:
	s_wait_alu 0xfffe
	s_or_b32 exec_lo, exec_lo, s0
	s_and_saveexec_b32 s0, vcc_lo
	s_cbranch_execnz .LBB59_164
.LBB59_95:
	s_wait_alu 0xfffe
	s_or_b32 exec_lo, exec_lo, s0
	s_and_saveexec_b32 s0, vcc_lo
	s_cbranch_execnz .LBB59_165
.LBB59_96:
	s_wait_alu 0xfffe
	s_or_b32 exec_lo, exec_lo, s0
	s_and_saveexec_b32 s0, vcc_lo
	s_cbranch_execnz .LBB59_166
.LBB59_97:
	s_wait_alu 0xfffe
	s_or_b32 exec_lo, exec_lo, s0
	s_and_saveexec_b32 s0, vcc_lo
	s_cbranch_execnz .LBB59_167
.LBB59_98:
	s_wait_alu 0xfffe
	s_or_b32 exec_lo, exec_lo, s0
	s_and_saveexec_b32 s0, vcc_lo
	s_cbranch_execnz .LBB59_168
.LBB59_99:
	s_wait_alu 0xfffe
	s_or_b32 exec_lo, exec_lo, s0
	s_and_saveexec_b32 s0, vcc_lo
	s_cbranch_execnz .LBB59_169
.LBB59_100:
	s_wait_alu 0xfffe
	s_or_b32 exec_lo, exec_lo, s0
	s_and_saveexec_b32 s0, vcc_lo
	s_cbranch_execnz .LBB59_170
.LBB59_101:
	s_wait_alu 0xfffe
	s_or_b32 exec_lo, exec_lo, s0
	s_and_saveexec_b32 s0, vcc_lo
	s_cbranch_execnz .LBB59_171
.LBB59_102:
	s_wait_alu 0xfffe
	s_or_b32 exec_lo, exec_lo, s0
	s_and_saveexec_b32 s0, vcc_lo
	s_cbranch_execnz .LBB59_172
.LBB59_103:
	s_wait_alu 0xfffe
	s_or_b32 exec_lo, exec_lo, s0
	s_and_saveexec_b32 s0, vcc_lo
	s_cbranch_execnz .LBB59_173
.LBB59_104:
	s_wait_alu 0xfffe
	s_or_b32 exec_lo, exec_lo, s0
	s_and_saveexec_b32 s0, vcc_lo
	s_cbranch_execnz .LBB59_174
.LBB59_105:
	s_wait_alu 0xfffe
	s_or_b32 exec_lo, exec_lo, s0
	s_and_saveexec_b32 s0, vcc_lo
	s_cbranch_execnz .LBB59_175
.LBB59_106:
	s_wait_alu 0xfffe
	s_or_b32 exec_lo, exec_lo, s0
	s_and_saveexec_b32 s0, vcc_lo
	s_cbranch_execnz .LBB59_176
.LBB59_107:
	s_wait_alu 0xfffe
	s_or_b32 exec_lo, exec_lo, s0
	s_and_saveexec_b32 s0, vcc_lo
	s_cbranch_execnz .LBB59_177
.LBB59_108:
	s_wait_alu 0xfffe
	s_or_b32 exec_lo, exec_lo, s0
	s_and_saveexec_b32 s0, vcc_lo
	s_cbranch_execnz .LBB59_178
.LBB59_109:
	s_wait_alu 0xfffe
	s_or_b32 exec_lo, exec_lo, s0
	s_and_saveexec_b32 s0, vcc_lo
	s_cbranch_execnz .LBB59_179
.LBB59_110:
	s_wait_alu 0xfffe
	s_or_b32 exec_lo, exec_lo, s0
	s_and_saveexec_b32 s0, vcc_lo
	s_cbranch_execnz .LBB59_180
.LBB59_111:
	s_wait_alu 0xfffe
	s_or_b32 exec_lo, exec_lo, s0
	s_and_saveexec_b32 s0, vcc_lo
	s_cbranch_execnz .LBB59_181
.LBB59_112:
	s_wait_alu 0xfffe
	s_or_b32 exec_lo, exec_lo, s0
	s_and_saveexec_b32 s0, vcc_lo
	s_cbranch_execnz .LBB59_182
.LBB59_113:
	s_wait_alu 0xfffe
	s_or_b32 exec_lo, exec_lo, s0
	s_and_saveexec_b32 s0, vcc_lo
	s_cbranch_execnz .LBB59_183
.LBB59_114:
	s_wait_alu 0xfffe
	s_or_b32 exec_lo, exec_lo, s0
	s_and_saveexec_b32 s0, vcc_lo
	s_cbranch_execnz .LBB59_184
.LBB59_115:
	s_wait_alu 0xfffe
	s_or_b32 exec_lo, exec_lo, s0
	s_and_saveexec_b32 s0, vcc_lo
	s_cbranch_execnz .LBB59_185
.LBB59_116:
	s_wait_alu 0xfffe
	s_or_b32 exec_lo, exec_lo, s0
	s_and_saveexec_b32 s0, vcc_lo
	s_cbranch_execnz .LBB59_186
.LBB59_117:
	s_wait_alu 0xfffe
	s_or_b32 exec_lo, exec_lo, s0
	s_and_saveexec_b32 s0, vcc_lo
	s_cbranch_execnz .LBB59_187
.LBB59_118:
	s_wait_alu 0xfffe
	s_or_b32 exec_lo, exec_lo, s0
	s_and_saveexec_b32 s0, vcc_lo
	s_cbranch_execnz .LBB59_188
.LBB59_119:
	s_wait_alu 0xfffe
	s_or_b32 exec_lo, exec_lo, s0
	s_and_saveexec_b32 s0, vcc_lo
	s_cbranch_execnz .LBB59_189
.LBB59_120:
	s_wait_alu 0xfffe
	s_or_b32 exec_lo, exec_lo, s0
	s_and_saveexec_b32 s0, vcc_lo
	s_cbranch_execnz .LBB59_190
.LBB59_121:
	s_wait_alu 0xfffe
	s_or_b32 exec_lo, exec_lo, s0
	s_and_saveexec_b32 s0, vcc_lo
	s_cbranch_execnz .LBB59_191
.LBB59_122:
	s_wait_alu 0xfffe
	s_or_b32 exec_lo, exec_lo, s0
	s_and_saveexec_b32 s0, vcc_lo
	s_cbranch_execz .LBB59_124
.LBB59_123:
	ds_load_b32 v33, v31 offset:464
	s_wait_dscnt 0x0
	v_add_f32_e32 v30, v30, v33
.LBB59_124:
	s_wait_alu 0xfffe
	s_or_b32 exec_lo, exec_lo, s0
.LBB59_125:
	s_wait_alu 0xfffe
	s_or_b32 exec_lo, exec_lo, s1
	v_and_b32_e32 v33, 0x3e7, v0
	s_mov_b32 s1, exec_lo
	s_wait_loadcnt 0x0
	s_barrier_signal -1
	s_barrier_wait -1
	global_inv scope:SCOPE_SE
	v_cmpx_eq_u32_e32 32, v33
	s_cbranch_execz .LBB59_127
; %bb.126:
	ds_store_2addr_b32 v32, v1, v2 offset1:4
	ds_store_2addr_b32 v32, v3, v4 offset0:8 offset1:12
	ds_store_2addr_b32 v32, v5, v6 offset0:16 offset1:20
	;; [unrolled: 1-line block ×14, first 2 shown]
.LBB59_127:
	s_wait_alu 0xfffe
	s_or_b32 exec_lo, exec_lo, s1
	s_delay_alu instid0(SALU_CYCLE_1)
	s_mov_b32 s1, exec_lo
	s_wait_loadcnt_dscnt 0x0
	s_barrier_signal -1
	s_barrier_wait -1
	global_inv scope:SCOPE_SE
	v_cmpx_gt_u32_e32 32, v0
	s_cbranch_execz .LBB59_160
; %bb.128:
	s_and_saveexec_b32 s0, vcc_lo
	s_cbranch_execnz .LBB59_192
; %bb.129:
	s_wait_alu 0xfffe
	s_or_b32 exec_lo, exec_lo, s0
	s_and_saveexec_b32 s0, vcc_lo
	s_cbranch_execnz .LBB59_193
.LBB59_130:
	s_wait_alu 0xfffe
	s_or_b32 exec_lo, exec_lo, s0
	s_and_saveexec_b32 s0, vcc_lo
	s_cbranch_execnz .LBB59_194
.LBB59_131:
	s_wait_alu 0xfffe
	s_or_b32 exec_lo, exec_lo, s0
	s_and_saveexec_b32 s0, vcc_lo
	s_cbranch_execnz .LBB59_195
.LBB59_132:
	s_wait_alu 0xfffe
	s_or_b32 exec_lo, exec_lo, s0
	s_and_saveexec_b32 s0, vcc_lo
	s_cbranch_execnz .LBB59_196
.LBB59_133:
	s_wait_alu 0xfffe
	s_or_b32 exec_lo, exec_lo, s0
	s_and_saveexec_b32 s0, vcc_lo
	s_cbranch_execnz .LBB59_197
.LBB59_134:
	s_wait_alu 0xfffe
	s_or_b32 exec_lo, exec_lo, s0
	s_and_saveexec_b32 s0, vcc_lo
	s_cbranch_execnz .LBB59_198
.LBB59_135:
	s_wait_alu 0xfffe
	s_or_b32 exec_lo, exec_lo, s0
	s_and_saveexec_b32 s0, vcc_lo
	s_cbranch_execnz .LBB59_199
.LBB59_136:
	s_wait_alu 0xfffe
	s_or_b32 exec_lo, exec_lo, s0
	s_and_saveexec_b32 s0, vcc_lo
	s_cbranch_execnz .LBB59_200
.LBB59_137:
	s_wait_alu 0xfffe
	s_or_b32 exec_lo, exec_lo, s0
	s_and_saveexec_b32 s0, vcc_lo
	s_cbranch_execnz .LBB59_201
.LBB59_138:
	s_wait_alu 0xfffe
	s_or_b32 exec_lo, exec_lo, s0
	s_and_saveexec_b32 s0, vcc_lo
	s_cbranch_execnz .LBB59_202
.LBB59_139:
	s_wait_alu 0xfffe
	s_or_b32 exec_lo, exec_lo, s0
	s_and_saveexec_b32 s0, vcc_lo
	s_cbranch_execnz .LBB59_203
.LBB59_140:
	s_wait_alu 0xfffe
	s_or_b32 exec_lo, exec_lo, s0
	s_and_saveexec_b32 s0, vcc_lo
	s_cbranch_execnz .LBB59_204
.LBB59_141:
	s_wait_alu 0xfffe
	s_or_b32 exec_lo, exec_lo, s0
	s_and_saveexec_b32 s0, vcc_lo
	s_cbranch_execnz .LBB59_205
.LBB59_142:
	s_wait_alu 0xfffe
	s_or_b32 exec_lo, exec_lo, s0
	s_and_saveexec_b32 s0, vcc_lo
	s_cbranch_execnz .LBB59_206
.LBB59_143:
	s_wait_alu 0xfffe
	s_or_b32 exec_lo, exec_lo, s0
	s_and_saveexec_b32 s0, vcc_lo
	s_cbranch_execnz .LBB59_207
.LBB59_144:
	s_wait_alu 0xfffe
	s_or_b32 exec_lo, exec_lo, s0
	s_and_saveexec_b32 s0, vcc_lo
	s_cbranch_execnz .LBB59_208
.LBB59_145:
	s_wait_alu 0xfffe
	s_or_b32 exec_lo, exec_lo, s0
	s_and_saveexec_b32 s0, vcc_lo
	s_cbranch_execnz .LBB59_209
.LBB59_146:
	s_wait_alu 0xfffe
	s_or_b32 exec_lo, exec_lo, s0
	s_and_saveexec_b32 s0, vcc_lo
	s_cbranch_execnz .LBB59_210
.LBB59_147:
	s_wait_alu 0xfffe
	s_or_b32 exec_lo, exec_lo, s0
	s_and_saveexec_b32 s0, vcc_lo
	s_cbranch_execnz .LBB59_211
.LBB59_148:
	s_wait_alu 0xfffe
	s_or_b32 exec_lo, exec_lo, s0
	s_and_saveexec_b32 s0, vcc_lo
	s_cbranch_execnz .LBB59_212
.LBB59_149:
	s_wait_alu 0xfffe
	s_or_b32 exec_lo, exec_lo, s0
	s_and_saveexec_b32 s0, vcc_lo
	s_cbranch_execnz .LBB59_213
.LBB59_150:
	s_wait_alu 0xfffe
	s_or_b32 exec_lo, exec_lo, s0
	s_and_saveexec_b32 s0, vcc_lo
	s_cbranch_execnz .LBB59_214
.LBB59_151:
	s_wait_alu 0xfffe
	s_or_b32 exec_lo, exec_lo, s0
	s_and_saveexec_b32 s0, vcc_lo
	s_cbranch_execnz .LBB59_215
.LBB59_152:
	s_wait_alu 0xfffe
	s_or_b32 exec_lo, exec_lo, s0
	s_and_saveexec_b32 s0, vcc_lo
	s_cbranch_execnz .LBB59_216
.LBB59_153:
	s_wait_alu 0xfffe
	s_or_b32 exec_lo, exec_lo, s0
	s_and_saveexec_b32 s0, vcc_lo
	s_cbranch_execnz .LBB59_217
.LBB59_154:
	s_wait_alu 0xfffe
	s_or_b32 exec_lo, exec_lo, s0
	s_and_saveexec_b32 s0, vcc_lo
	s_cbranch_execnz .LBB59_218
.LBB59_155:
	s_wait_alu 0xfffe
	s_or_b32 exec_lo, exec_lo, s0
	s_and_saveexec_b32 s0, vcc_lo
	s_cbranch_execnz .LBB59_219
.LBB59_156:
	s_wait_alu 0xfffe
	s_or_b32 exec_lo, exec_lo, s0
	s_and_saveexec_b32 s0, vcc_lo
	s_cbranch_execnz .LBB59_220
.LBB59_157:
	s_wait_alu 0xfffe
	s_or_b32 exec_lo, exec_lo, s0
	s_and_saveexec_b32 s0, vcc_lo
	s_cbranch_execz .LBB59_159
.LBB59_158:
	ds_load_b32 v31, v31 offset:464
	s_wait_dscnt 0x0
	v_add_f32_e32 v30, v30, v31
.LBB59_159:
	s_wait_alu 0xfffe
	s_or_b32 exec_lo, exec_lo, s0
.LBB59_160:
	s_wait_alu 0xfffe
	s_or_b32 exec_lo, exec_lo, s1
	s_mov_b32 s1, 0
	s_wait_loadcnt 0x0
	s_barrier_signal -1
	s_barrier_wait -1
	global_inv scope:SCOPE_SE
	s_mov_b32 s0, exec_lo
	v_cmpx_eq_u32_e32 0, v33
	s_cbranch_execz .LBB59_162
; %bb.161:
	s_mul_i32 s2, s14, 0x78
	s_mul_i32 s4, s8, s12
	s_wait_alu 0xfffe
	s_ashr_i32 s3, s2, 31
	s_ashr_i32 s5, s4, 31
	s_wait_alu 0xfffe
	s_lshl_b64 s[2:3], s[2:3], 2
	s_lshl_b64 s[4:5], s[4:5], 2
	s_wait_alu 0xfffe
	s_add_nc_u64 s[2:3], s[10:11], s[2:3]
	v_lshrrev_b32_e32 v0, 1, v0
	s_mul_i32 s0, s24, 0x1e0
	s_wait_alu 0xfffe
	s_add_nc_u64 s[2:3], s[2:3], s[4:5]
	s_wait_alu 0xfffe
	s_add_nc_u64 s[0:1], s[2:3], s[0:1]
	s_clause 0x1d
	global_store_b32 v0, v1, s[0:1]
	global_store_b32 v0, v2, s[0:1] offset:16
	global_store_b32 v0, v3, s[0:1] offset:32
	;; [unrolled: 1-line block ×29, first 2 shown]
.LBB59_162:
	s_nop 0
	s_sendmsg sendmsg(MSG_DEALLOC_VGPRS)
	s_endpgm
.LBB59_163:
	ds_load_b32 v33, v31
	s_wait_dscnt 0x0
	v_add_f32_e32 v1, v1, v33
	s_wait_alu 0xfffe
	s_or_b32 exec_lo, exec_lo, s0
	s_and_saveexec_b32 s0, vcc_lo
	s_cbranch_execz .LBB59_95
.LBB59_164:
	ds_load_b32 v33, v31 offset:16
	s_wait_dscnt 0x0
	v_add_f32_e32 v2, v2, v33
	s_wait_alu 0xfffe
	s_or_b32 exec_lo, exec_lo, s0
	s_and_saveexec_b32 s0, vcc_lo
	s_cbranch_execz .LBB59_96
.LBB59_165:
	ds_load_b32 v33, v31 offset:32
	s_wait_dscnt 0x0
	v_add_f32_e32 v3, v3, v33
	s_wait_alu 0xfffe
	s_or_b32 exec_lo, exec_lo, s0
	s_and_saveexec_b32 s0, vcc_lo
	s_cbranch_execz .LBB59_97
.LBB59_166:
	ds_load_b32 v33, v31 offset:48
	s_wait_dscnt 0x0
	v_add_f32_e32 v4, v4, v33
	s_wait_alu 0xfffe
	s_or_b32 exec_lo, exec_lo, s0
	s_and_saveexec_b32 s0, vcc_lo
	s_cbranch_execz .LBB59_98
.LBB59_167:
	ds_load_b32 v33, v31 offset:64
	s_wait_dscnt 0x0
	v_add_f32_e32 v5, v5, v33
	s_wait_alu 0xfffe
	s_or_b32 exec_lo, exec_lo, s0
	s_and_saveexec_b32 s0, vcc_lo
	s_cbranch_execz .LBB59_99
.LBB59_168:
	ds_load_b32 v33, v31 offset:80
	s_wait_dscnt 0x0
	v_add_f32_e32 v6, v6, v33
	s_wait_alu 0xfffe
	s_or_b32 exec_lo, exec_lo, s0
	s_and_saveexec_b32 s0, vcc_lo
	s_cbranch_execz .LBB59_100
.LBB59_169:
	ds_load_b32 v33, v31 offset:96
	s_wait_dscnt 0x0
	v_add_f32_e32 v7, v7, v33
	s_wait_alu 0xfffe
	s_or_b32 exec_lo, exec_lo, s0
	s_and_saveexec_b32 s0, vcc_lo
	s_cbranch_execz .LBB59_101
.LBB59_170:
	ds_load_b32 v33, v31 offset:112
	s_wait_dscnt 0x0
	v_add_f32_e32 v8, v8, v33
	s_wait_alu 0xfffe
	s_or_b32 exec_lo, exec_lo, s0
	s_and_saveexec_b32 s0, vcc_lo
	s_cbranch_execz .LBB59_102
.LBB59_171:
	ds_load_b32 v33, v31 offset:128
	s_wait_dscnt 0x0
	v_add_f32_e32 v9, v9, v33
	s_wait_alu 0xfffe
	s_or_b32 exec_lo, exec_lo, s0
	s_and_saveexec_b32 s0, vcc_lo
	s_cbranch_execz .LBB59_103
.LBB59_172:
	ds_load_b32 v33, v31 offset:144
	s_wait_dscnt 0x0
	v_add_f32_e32 v10, v10, v33
	s_wait_alu 0xfffe
	s_or_b32 exec_lo, exec_lo, s0
	s_and_saveexec_b32 s0, vcc_lo
	s_cbranch_execz .LBB59_104
.LBB59_173:
	ds_load_b32 v33, v31 offset:160
	s_wait_dscnt 0x0
	v_add_f32_e32 v11, v11, v33
	s_wait_alu 0xfffe
	s_or_b32 exec_lo, exec_lo, s0
	s_and_saveexec_b32 s0, vcc_lo
	s_cbranch_execz .LBB59_105
.LBB59_174:
	ds_load_b32 v33, v31 offset:176
	s_wait_dscnt 0x0
	v_add_f32_e32 v12, v12, v33
	s_wait_alu 0xfffe
	s_or_b32 exec_lo, exec_lo, s0
	s_and_saveexec_b32 s0, vcc_lo
	s_cbranch_execz .LBB59_106
.LBB59_175:
	ds_load_b32 v33, v31 offset:192
	s_wait_dscnt 0x0
	v_add_f32_e32 v13, v13, v33
	s_wait_alu 0xfffe
	s_or_b32 exec_lo, exec_lo, s0
	s_and_saveexec_b32 s0, vcc_lo
	s_cbranch_execz .LBB59_107
.LBB59_176:
	ds_load_b32 v33, v31 offset:208
	s_wait_dscnt 0x0
	v_add_f32_e32 v14, v14, v33
	s_wait_alu 0xfffe
	s_or_b32 exec_lo, exec_lo, s0
	s_and_saveexec_b32 s0, vcc_lo
	s_cbranch_execz .LBB59_108
.LBB59_177:
	ds_load_b32 v33, v31 offset:224
	s_wait_dscnt 0x0
	v_add_f32_e32 v15, v15, v33
	s_wait_alu 0xfffe
	s_or_b32 exec_lo, exec_lo, s0
	s_and_saveexec_b32 s0, vcc_lo
	s_cbranch_execz .LBB59_109
.LBB59_178:
	ds_load_b32 v33, v31 offset:240
	s_wait_dscnt 0x0
	v_add_f32_e32 v16, v16, v33
	s_wait_alu 0xfffe
	s_or_b32 exec_lo, exec_lo, s0
	s_and_saveexec_b32 s0, vcc_lo
	s_cbranch_execz .LBB59_110
.LBB59_179:
	ds_load_b32 v33, v31 offset:256
	s_wait_dscnt 0x0
	v_add_f32_e32 v17, v17, v33
	s_wait_alu 0xfffe
	s_or_b32 exec_lo, exec_lo, s0
	s_and_saveexec_b32 s0, vcc_lo
	s_cbranch_execz .LBB59_111
.LBB59_180:
	ds_load_b32 v33, v31 offset:272
	s_wait_dscnt 0x0
	v_add_f32_e32 v18, v18, v33
	s_wait_alu 0xfffe
	s_or_b32 exec_lo, exec_lo, s0
	s_and_saveexec_b32 s0, vcc_lo
	s_cbranch_execz .LBB59_112
.LBB59_181:
	ds_load_b32 v33, v31 offset:288
	s_wait_dscnt 0x0
	v_add_f32_e32 v19, v19, v33
	s_wait_alu 0xfffe
	s_or_b32 exec_lo, exec_lo, s0
	s_and_saveexec_b32 s0, vcc_lo
	s_cbranch_execz .LBB59_113
.LBB59_182:
	ds_load_b32 v33, v31 offset:304
	s_wait_dscnt 0x0
	v_add_f32_e32 v20, v20, v33
	s_wait_alu 0xfffe
	s_or_b32 exec_lo, exec_lo, s0
	s_and_saveexec_b32 s0, vcc_lo
	s_cbranch_execz .LBB59_114
.LBB59_183:
	ds_load_b32 v33, v31 offset:320
	s_wait_dscnt 0x0
	v_add_f32_e32 v21, v21, v33
	s_wait_alu 0xfffe
	s_or_b32 exec_lo, exec_lo, s0
	s_and_saveexec_b32 s0, vcc_lo
	s_cbranch_execz .LBB59_115
.LBB59_184:
	ds_load_b32 v33, v31 offset:336
	s_wait_dscnt 0x0
	v_add_f32_e32 v22, v22, v33
	s_wait_alu 0xfffe
	s_or_b32 exec_lo, exec_lo, s0
	s_and_saveexec_b32 s0, vcc_lo
	s_cbranch_execz .LBB59_116
.LBB59_185:
	ds_load_b32 v33, v31 offset:352
	s_wait_dscnt 0x0
	v_add_f32_e32 v23, v23, v33
	s_wait_alu 0xfffe
	s_or_b32 exec_lo, exec_lo, s0
	s_and_saveexec_b32 s0, vcc_lo
	s_cbranch_execz .LBB59_117
.LBB59_186:
	ds_load_b32 v33, v31 offset:368
	s_wait_dscnt 0x0
	v_add_f32_e32 v24, v24, v33
	s_wait_alu 0xfffe
	s_or_b32 exec_lo, exec_lo, s0
	s_and_saveexec_b32 s0, vcc_lo
	s_cbranch_execz .LBB59_118
.LBB59_187:
	ds_load_b32 v33, v31 offset:384
	s_wait_dscnt 0x0
	v_add_f32_e32 v25, v25, v33
	s_wait_alu 0xfffe
	s_or_b32 exec_lo, exec_lo, s0
	s_and_saveexec_b32 s0, vcc_lo
	s_cbranch_execz .LBB59_119
.LBB59_188:
	ds_load_b32 v33, v31 offset:400
	s_wait_dscnt 0x0
	v_add_f32_e32 v26, v26, v33
	s_wait_alu 0xfffe
	s_or_b32 exec_lo, exec_lo, s0
	s_and_saveexec_b32 s0, vcc_lo
	s_cbranch_execz .LBB59_120
.LBB59_189:
	ds_load_b32 v33, v31 offset:416
	s_wait_dscnt 0x0
	v_add_f32_e32 v27, v27, v33
	s_wait_alu 0xfffe
	s_or_b32 exec_lo, exec_lo, s0
	s_and_saveexec_b32 s0, vcc_lo
	s_cbranch_execz .LBB59_121
.LBB59_190:
	ds_load_b32 v33, v31 offset:432
	s_wait_dscnt 0x0
	v_add_f32_e32 v28, v28, v33
	s_wait_alu 0xfffe
	s_or_b32 exec_lo, exec_lo, s0
	s_and_saveexec_b32 s0, vcc_lo
	s_cbranch_execz .LBB59_122
.LBB59_191:
	ds_load_b32 v33, v31 offset:448
	s_wait_dscnt 0x0
	v_add_f32_e32 v29, v29, v33
	s_wait_alu 0xfffe
	s_or_b32 exec_lo, exec_lo, s0
	s_and_saveexec_b32 s0, vcc_lo
	s_cbranch_execnz .LBB59_123
	s_branch .LBB59_124
.LBB59_192:
	ds_load_b32 v32, v31
	s_wait_dscnt 0x0
	v_add_f32_e32 v1, v1, v32
	s_wait_alu 0xfffe
	s_or_b32 exec_lo, exec_lo, s0
	s_and_saveexec_b32 s0, vcc_lo
	s_cbranch_execz .LBB59_130
.LBB59_193:
	ds_load_b32 v32, v31 offset:16
	s_wait_dscnt 0x0
	v_add_f32_e32 v2, v2, v32
	s_wait_alu 0xfffe
	s_or_b32 exec_lo, exec_lo, s0
	s_and_saveexec_b32 s0, vcc_lo
	s_cbranch_execz .LBB59_131
.LBB59_194:
	ds_load_b32 v32, v31 offset:32
	s_wait_dscnt 0x0
	v_add_f32_e32 v3, v3, v32
	s_wait_alu 0xfffe
	s_or_b32 exec_lo, exec_lo, s0
	s_and_saveexec_b32 s0, vcc_lo
	s_cbranch_execz .LBB59_132
.LBB59_195:
	ds_load_b32 v32, v31 offset:48
	s_wait_dscnt 0x0
	v_add_f32_e32 v4, v4, v32
	s_wait_alu 0xfffe
	s_or_b32 exec_lo, exec_lo, s0
	s_and_saveexec_b32 s0, vcc_lo
	s_cbranch_execz .LBB59_133
.LBB59_196:
	ds_load_b32 v32, v31 offset:64
	s_wait_dscnt 0x0
	v_add_f32_e32 v5, v5, v32
	s_wait_alu 0xfffe
	s_or_b32 exec_lo, exec_lo, s0
	s_and_saveexec_b32 s0, vcc_lo
	s_cbranch_execz .LBB59_134
.LBB59_197:
	ds_load_b32 v32, v31 offset:80
	s_wait_dscnt 0x0
	v_add_f32_e32 v6, v6, v32
	s_wait_alu 0xfffe
	s_or_b32 exec_lo, exec_lo, s0
	s_and_saveexec_b32 s0, vcc_lo
	s_cbranch_execz .LBB59_135
.LBB59_198:
	ds_load_b32 v32, v31 offset:96
	s_wait_dscnt 0x0
	v_add_f32_e32 v7, v7, v32
	s_wait_alu 0xfffe
	s_or_b32 exec_lo, exec_lo, s0
	s_and_saveexec_b32 s0, vcc_lo
	s_cbranch_execz .LBB59_136
.LBB59_199:
	ds_load_b32 v32, v31 offset:112
	s_wait_dscnt 0x0
	v_add_f32_e32 v8, v8, v32
	s_wait_alu 0xfffe
	s_or_b32 exec_lo, exec_lo, s0
	s_and_saveexec_b32 s0, vcc_lo
	s_cbranch_execz .LBB59_137
.LBB59_200:
	ds_load_b32 v32, v31 offset:128
	s_wait_dscnt 0x0
	v_add_f32_e32 v9, v9, v32
	s_wait_alu 0xfffe
	s_or_b32 exec_lo, exec_lo, s0
	s_and_saveexec_b32 s0, vcc_lo
	s_cbranch_execz .LBB59_138
.LBB59_201:
	ds_load_b32 v32, v31 offset:144
	s_wait_dscnt 0x0
	v_add_f32_e32 v10, v10, v32
	s_wait_alu 0xfffe
	s_or_b32 exec_lo, exec_lo, s0
	s_and_saveexec_b32 s0, vcc_lo
	s_cbranch_execz .LBB59_139
.LBB59_202:
	ds_load_b32 v32, v31 offset:160
	s_wait_dscnt 0x0
	v_add_f32_e32 v11, v11, v32
	s_wait_alu 0xfffe
	s_or_b32 exec_lo, exec_lo, s0
	s_and_saveexec_b32 s0, vcc_lo
	s_cbranch_execz .LBB59_140
.LBB59_203:
	ds_load_b32 v32, v31 offset:176
	s_wait_dscnt 0x0
	v_add_f32_e32 v12, v12, v32
	s_wait_alu 0xfffe
	s_or_b32 exec_lo, exec_lo, s0
	s_and_saveexec_b32 s0, vcc_lo
	s_cbranch_execz .LBB59_141
.LBB59_204:
	ds_load_b32 v32, v31 offset:192
	s_wait_dscnt 0x0
	v_add_f32_e32 v13, v13, v32
	s_wait_alu 0xfffe
	s_or_b32 exec_lo, exec_lo, s0
	s_and_saveexec_b32 s0, vcc_lo
	s_cbranch_execz .LBB59_142
.LBB59_205:
	ds_load_b32 v32, v31 offset:208
	s_wait_dscnt 0x0
	v_add_f32_e32 v14, v14, v32
	s_wait_alu 0xfffe
	s_or_b32 exec_lo, exec_lo, s0
	s_and_saveexec_b32 s0, vcc_lo
	s_cbranch_execz .LBB59_143
.LBB59_206:
	ds_load_b32 v32, v31 offset:224
	s_wait_dscnt 0x0
	v_add_f32_e32 v15, v15, v32
	s_wait_alu 0xfffe
	s_or_b32 exec_lo, exec_lo, s0
	s_and_saveexec_b32 s0, vcc_lo
	s_cbranch_execz .LBB59_144
.LBB59_207:
	ds_load_b32 v32, v31 offset:240
	s_wait_dscnt 0x0
	v_add_f32_e32 v16, v16, v32
	s_wait_alu 0xfffe
	s_or_b32 exec_lo, exec_lo, s0
	s_and_saveexec_b32 s0, vcc_lo
	s_cbranch_execz .LBB59_145
.LBB59_208:
	ds_load_b32 v32, v31 offset:256
	s_wait_dscnt 0x0
	v_add_f32_e32 v17, v17, v32
	s_wait_alu 0xfffe
	s_or_b32 exec_lo, exec_lo, s0
	s_and_saveexec_b32 s0, vcc_lo
	s_cbranch_execz .LBB59_146
.LBB59_209:
	ds_load_b32 v32, v31 offset:272
	s_wait_dscnt 0x0
	v_add_f32_e32 v18, v18, v32
	s_wait_alu 0xfffe
	s_or_b32 exec_lo, exec_lo, s0
	s_and_saveexec_b32 s0, vcc_lo
	s_cbranch_execz .LBB59_147
.LBB59_210:
	ds_load_b32 v32, v31 offset:288
	s_wait_dscnt 0x0
	v_add_f32_e32 v19, v19, v32
	s_wait_alu 0xfffe
	s_or_b32 exec_lo, exec_lo, s0
	s_and_saveexec_b32 s0, vcc_lo
	s_cbranch_execz .LBB59_148
.LBB59_211:
	ds_load_b32 v32, v31 offset:304
	s_wait_dscnt 0x0
	v_add_f32_e32 v20, v20, v32
	s_wait_alu 0xfffe
	s_or_b32 exec_lo, exec_lo, s0
	s_and_saveexec_b32 s0, vcc_lo
	s_cbranch_execz .LBB59_149
.LBB59_212:
	ds_load_b32 v32, v31 offset:320
	s_wait_dscnt 0x0
	v_add_f32_e32 v21, v21, v32
	s_wait_alu 0xfffe
	s_or_b32 exec_lo, exec_lo, s0
	s_and_saveexec_b32 s0, vcc_lo
	s_cbranch_execz .LBB59_150
.LBB59_213:
	ds_load_b32 v32, v31 offset:336
	s_wait_dscnt 0x0
	v_add_f32_e32 v22, v22, v32
	s_wait_alu 0xfffe
	s_or_b32 exec_lo, exec_lo, s0
	s_and_saveexec_b32 s0, vcc_lo
	s_cbranch_execz .LBB59_151
.LBB59_214:
	ds_load_b32 v32, v31 offset:352
	s_wait_dscnt 0x0
	v_add_f32_e32 v23, v23, v32
	s_wait_alu 0xfffe
	s_or_b32 exec_lo, exec_lo, s0
	s_and_saveexec_b32 s0, vcc_lo
	s_cbranch_execz .LBB59_152
.LBB59_215:
	ds_load_b32 v32, v31 offset:368
	s_wait_dscnt 0x0
	v_add_f32_e32 v24, v24, v32
	s_wait_alu 0xfffe
	s_or_b32 exec_lo, exec_lo, s0
	s_and_saveexec_b32 s0, vcc_lo
	s_cbranch_execz .LBB59_153
.LBB59_216:
	ds_load_b32 v32, v31 offset:384
	s_wait_dscnt 0x0
	v_add_f32_e32 v25, v25, v32
	s_wait_alu 0xfffe
	s_or_b32 exec_lo, exec_lo, s0
	s_and_saveexec_b32 s0, vcc_lo
	s_cbranch_execz .LBB59_154
.LBB59_217:
	ds_load_b32 v32, v31 offset:400
	s_wait_dscnt 0x0
	v_add_f32_e32 v26, v26, v32
	s_wait_alu 0xfffe
	s_or_b32 exec_lo, exec_lo, s0
	s_and_saveexec_b32 s0, vcc_lo
	s_cbranch_execz .LBB59_155
.LBB59_218:
	ds_load_b32 v32, v31 offset:416
	s_wait_dscnt 0x0
	v_add_f32_e32 v27, v27, v32
	s_wait_alu 0xfffe
	s_or_b32 exec_lo, exec_lo, s0
	s_and_saveexec_b32 s0, vcc_lo
	s_cbranch_execz .LBB59_156
.LBB59_219:
	ds_load_b32 v32, v31 offset:432
	s_wait_dscnt 0x0
	v_add_f32_e32 v28, v28, v32
	s_wait_alu 0xfffe
	s_or_b32 exec_lo, exec_lo, s0
	s_and_saveexec_b32 s0, vcc_lo
	s_cbranch_execz .LBB59_157
.LBB59_220:
	ds_load_b32 v32, v31 offset:448
	s_wait_dscnt 0x0
	v_add_f32_e32 v29, v29, v32
	s_wait_alu 0xfffe
	s_or_b32 exec_lo, exec_lo, s0
	s_and_saveexec_b32 s0, vcc_lo
	s_cbranch_execnz .LBB59_158
	s_branch .LBB59_159
	.section	.rodata,"a",@progbits
	.p2align	6, 0x0
	.amdhsa_kernel _ZN4vllm25paged_attention_v2_kernelIffLi120ELi32ELi128ELNS_18Fp8KVCacheDataTypeE0ELb0ELi512EEEvPfS2_PT_PKS3_PKT0_S9_ifPKiSB_iPKfiiiSD_SD_iiiii
		.amdhsa_group_segment_fixed_size 512
		.amdhsa_private_segment_fixed_size 0
		.amdhsa_kernarg_size 400
		.amdhsa_user_sgpr_count 2
		.amdhsa_user_sgpr_dispatch_ptr 0
		.amdhsa_user_sgpr_queue_ptr 0
		.amdhsa_user_sgpr_kernarg_segment_ptr 1
		.amdhsa_user_sgpr_dispatch_id 0
		.amdhsa_user_sgpr_private_segment_size 0
		.amdhsa_wavefront_size32 1
		.amdhsa_uses_dynamic_stack 0
		.amdhsa_enable_private_segment 0
		.amdhsa_system_sgpr_workgroup_id_x 1
		.amdhsa_system_sgpr_workgroup_id_y 1
		.amdhsa_system_sgpr_workgroup_id_z 1
		.amdhsa_system_sgpr_workgroup_info 0
		.amdhsa_system_vgpr_workitem_id 0
		.amdhsa_next_free_vgpr 171
		.amdhsa_next_free_sgpr 32
		.amdhsa_reserve_vcc 1
		.amdhsa_float_round_mode_32 0
		.amdhsa_float_round_mode_16_64 0
		.amdhsa_float_denorm_mode_32 3
		.amdhsa_float_denorm_mode_16_64 3
		.amdhsa_fp16_overflow 0
		.amdhsa_workgroup_processor_mode 1
		.amdhsa_memory_ordered 1
		.amdhsa_forward_progress 1
		.amdhsa_inst_pref_size 114
		.amdhsa_round_robin_scheduling 0
		.amdhsa_exception_fp_ieee_invalid_op 0
		.amdhsa_exception_fp_denorm_src 0
		.amdhsa_exception_fp_ieee_div_zero 0
		.amdhsa_exception_fp_ieee_overflow 0
		.amdhsa_exception_fp_ieee_underflow 0
		.amdhsa_exception_fp_ieee_inexact 0
		.amdhsa_exception_int_div_zero 0
	.end_amdhsa_kernel
	.section	.text._ZN4vllm25paged_attention_v2_kernelIffLi120ELi32ELi128ELNS_18Fp8KVCacheDataTypeE0ELb0ELi512EEEvPfS2_PT_PKS3_PKT0_S9_ifPKiSB_iPKfiiiSD_SD_iiiii,"axG",@progbits,_ZN4vllm25paged_attention_v2_kernelIffLi120ELi32ELi128ELNS_18Fp8KVCacheDataTypeE0ELb0ELi512EEEvPfS2_PT_PKS3_PKT0_S9_ifPKiSB_iPKfiiiSD_SD_iiiii,comdat
.Lfunc_end59:
	.size	_ZN4vllm25paged_attention_v2_kernelIffLi120ELi32ELi128ELNS_18Fp8KVCacheDataTypeE0ELb0ELi512EEEvPfS2_PT_PKS3_PKT0_S9_ifPKiSB_iPKfiiiSD_SD_iiiii, .Lfunc_end59-_ZN4vllm25paged_attention_v2_kernelIffLi120ELi32ELi128ELNS_18Fp8KVCacheDataTypeE0ELb0ELi512EEEvPfS2_PT_PKS3_PKT0_S9_ifPKiSB_iPKfiiiSD_SD_iiiii
                                        ; -- End function
	.set _ZN4vllm25paged_attention_v2_kernelIffLi120ELi32ELi128ELNS_18Fp8KVCacheDataTypeE0ELb0ELi512EEEvPfS2_PT_PKS3_PKT0_S9_ifPKiSB_iPKfiiiSD_SD_iiiii.num_vgpr, 171
	.set _ZN4vllm25paged_attention_v2_kernelIffLi120ELi32ELi128ELNS_18Fp8KVCacheDataTypeE0ELb0ELi512EEEvPfS2_PT_PKS3_PKT0_S9_ifPKiSB_iPKfiiiSD_SD_iiiii.num_agpr, 0
	.set _ZN4vllm25paged_attention_v2_kernelIffLi120ELi32ELi128ELNS_18Fp8KVCacheDataTypeE0ELb0ELi512EEEvPfS2_PT_PKS3_PKT0_S9_ifPKiSB_iPKfiiiSD_SD_iiiii.numbered_sgpr, 32
	.set _ZN4vllm25paged_attention_v2_kernelIffLi120ELi32ELi128ELNS_18Fp8KVCacheDataTypeE0ELb0ELi512EEEvPfS2_PT_PKS3_PKT0_S9_ifPKiSB_iPKfiiiSD_SD_iiiii.num_named_barrier, 0
	.set _ZN4vllm25paged_attention_v2_kernelIffLi120ELi32ELi128ELNS_18Fp8KVCacheDataTypeE0ELb0ELi512EEEvPfS2_PT_PKS3_PKT0_S9_ifPKiSB_iPKfiiiSD_SD_iiiii.private_seg_size, 0
	.set _ZN4vllm25paged_attention_v2_kernelIffLi120ELi32ELi128ELNS_18Fp8KVCacheDataTypeE0ELb0ELi512EEEvPfS2_PT_PKS3_PKT0_S9_ifPKiSB_iPKfiiiSD_SD_iiiii.uses_vcc, 1
	.set _ZN4vllm25paged_attention_v2_kernelIffLi120ELi32ELi128ELNS_18Fp8KVCacheDataTypeE0ELb0ELi512EEEvPfS2_PT_PKS3_PKT0_S9_ifPKiSB_iPKfiiiSD_SD_iiiii.uses_flat_scratch, 0
	.set _ZN4vllm25paged_attention_v2_kernelIffLi120ELi32ELi128ELNS_18Fp8KVCacheDataTypeE0ELb0ELi512EEEvPfS2_PT_PKS3_PKT0_S9_ifPKiSB_iPKfiiiSD_SD_iiiii.has_dyn_sized_stack, 0
	.set _ZN4vllm25paged_attention_v2_kernelIffLi120ELi32ELi128ELNS_18Fp8KVCacheDataTypeE0ELb0ELi512EEEvPfS2_PT_PKS3_PKT0_S9_ifPKiSB_iPKfiiiSD_SD_iiiii.has_recursion, 0
	.set _ZN4vllm25paged_attention_v2_kernelIffLi120ELi32ELi128ELNS_18Fp8KVCacheDataTypeE0ELb0ELi512EEEvPfS2_PT_PKS3_PKT0_S9_ifPKiSB_iPKfiiiSD_SD_iiiii.has_indirect_call, 0
	.section	.AMDGPU.csdata,"",@progbits
; Kernel info:
; codeLenInByte = 14496
; TotalNumSgprs: 34
; NumVgprs: 171
; ScratchSize: 0
; MemoryBound: 0
; FloatMode: 240
; IeeeMode: 1
; LDSByteSize: 512 bytes/workgroup (compile time only)
; SGPRBlocks: 0
; VGPRBlocks: 21
; NumSGPRsForWavesPerEU: 34
; NumVGPRsForWavesPerEU: 171
; Occupancy: 8
; WaveLimiterHint : 1
; COMPUTE_PGM_RSRC2:SCRATCH_EN: 0
; COMPUTE_PGM_RSRC2:USER_SGPR: 2
; COMPUTE_PGM_RSRC2:TRAP_HANDLER: 0
; COMPUTE_PGM_RSRC2:TGID_X_EN: 1
; COMPUTE_PGM_RSRC2:TGID_Y_EN: 1
; COMPUTE_PGM_RSRC2:TGID_Z_EN: 1
; COMPUTE_PGM_RSRC2:TIDIG_COMP_CNT: 0
	.section	.text._ZN4vllm25paged_attention_v2_kernelIffLi128ELi32ELi128ELNS_18Fp8KVCacheDataTypeE0ELb0ELi512EEEvPfS2_PT_PKS3_PKT0_S9_ifPKiSB_iPKfiiiSD_SD_iiiii,"axG",@progbits,_ZN4vllm25paged_attention_v2_kernelIffLi128ELi32ELi128ELNS_18Fp8KVCacheDataTypeE0ELb0ELi512EEEvPfS2_PT_PKS3_PKT0_S9_ifPKiSB_iPKfiiiSD_SD_iiiii,comdat
	.protected	_ZN4vllm25paged_attention_v2_kernelIffLi128ELi32ELi128ELNS_18Fp8KVCacheDataTypeE0ELb0ELi512EEEvPfS2_PT_PKS3_PKT0_S9_ifPKiSB_iPKfiiiSD_SD_iiiii ; -- Begin function _ZN4vllm25paged_attention_v2_kernelIffLi128ELi32ELi128ELNS_18Fp8KVCacheDataTypeE0ELb0ELi512EEEvPfS2_PT_PKS3_PKT0_S9_ifPKiSB_iPKfiiiSD_SD_iiiii
	.globl	_ZN4vllm25paged_attention_v2_kernelIffLi128ELi32ELi128ELNS_18Fp8KVCacheDataTypeE0ELb0ELi512EEEvPfS2_PT_PKS3_PKT0_S9_ifPKiSB_iPKfiiiSD_SD_iiiii
	.p2align	8
	.type	_ZN4vllm25paged_attention_v2_kernelIffLi128ELi32ELi128ELNS_18Fp8KVCacheDataTypeE0ELb0ELi512EEEvPfS2_PT_PKS3_PKT0_S9_ifPKiSB_iPKfiiiSD_SD_iiiii,@function
_ZN4vllm25paged_attention_v2_kernelIffLi128ELi32ELi128ELNS_18Fp8KVCacheDataTypeE0ELb0ELi512EEEvPfS2_PT_PKS3_PKT0_S9_ifPKiSB_iPKfiiiSD_SD_iiiii: ; @_ZN4vllm25paged_attention_v2_kernelIffLi128ELi32ELi128ELNS_18Fp8KVCacheDataTypeE0ELb0ELi512EEEvPfS2_PT_PKS3_PKT0_S9_ifPKiSB_iPKfiiiSD_SD_iiiii
; %bb.0:
	s_load_b64 s[2:3], s[0:1], 0x40
	s_and_b32 s18, ttmp7, 0xffff
	s_lshr_b32 s29, ttmp7, 16
	s_lshl_b32 s4, s18, 2
	s_lshl_b32 s6, s29, 9
	s_wait_kmcnt 0x0
	s_load_b32 s7, s[2:3], s4 offset:0x0
	s_wait_kmcnt 0x0
	s_cmp_ge_i32 s6, s7
	s_cbranch_scc1 .LBB60_170
; %bb.1:
	s_clause 0x1
	s_load_b32 s19, s[0:1], 0x90
	s_load_b64 s[8:9], s[0:1], 0x30
	s_wait_kmcnt 0x0
	s_abs_i32 s5, s19
	s_abs_i32 s2, s8
	s_delay_alu instid0(SALU_CYCLE_1) | instskip(SKIP_1) | instid1(SALU_CYCLE_2)
	s_cvt_f32_u32 s3, s2
	s_sub_co_i32 s4, 0, s2
	v_rcp_iflag_f32_e32 v1, s3
	s_delay_alu instid0(TRANS32_DEP_1) | instskip(SKIP_2) | instid1(SALU_CYCLE_2)
	v_readfirstlane_b32 s3, v1
	s_mul_f32 s3, s3, 0x4f7ffffe
	s_wait_alu 0xfffe
	s_cvt_u32_f32 s3, s3
	s_wait_alu 0xfffe
	s_delay_alu instid0(SALU_CYCLE_2) | instskip(NEXT) | instid1(SALU_CYCLE_1)
	s_mul_i32 s4, s4, s3
	s_mul_hi_u32 s4, s3, s4
	s_delay_alu instid0(SALU_CYCLE_1)
	s_add_co_i32 s3, s3, s4
	s_xor_b32 s4, s19, s8
	s_wait_alu 0xfffe
	s_mul_hi_u32 s3, s5, s3
	s_ashr_i32 s4, s4, 31
	s_wait_alu 0xfffe
	s_mul_i32 s8, s3, s2
	s_delay_alu instid0(SALU_CYCLE_1)
	s_sub_co_i32 s5, s5, s8
	s_add_co_i32 s8, s3, 1
	s_sub_co_i32 s10, s5, s2
	s_cmp_ge_u32 s5, s2
	s_cselect_b32 s3, s8, s3
	s_cselect_b32 s5, s10, s5
	s_wait_alu 0xfffe
	s_add_co_i32 s8, s3, 1
	s_cmp_ge_u32 s5, s2
	s_load_b64 s[10:11], s[0:1], 0x50
	s_cselect_b32 s2, s8, s3
	s_mov_b32 s5, 0
	s_wait_alu 0xfffe
	s_xor_b32 s2, s2, s4
	s_mov_b32 s8, s5
	s_wait_alu 0xfffe
	s_sub_co_i32 s16, s2, s4
	s_abs_i32 s4, ttmp9
	s_abs_i32 s15, s16
	s_delay_alu instid0(SALU_CYCLE_1) | instskip(SKIP_2) | instid1(SALU_CYCLE_1)
	s_cvt_f32_u32 s2, s15
	s_sub_co_i32 s3, 0, s15
	s_wait_alu 0xfffe
	v_rcp_iflag_f32_e32 v1, s2
	s_delay_alu instid0(TRANS32_DEP_1) | instskip(SKIP_2) | instid1(SALU_CYCLE_2)
	v_readfirstlane_b32 s2, v1
	s_mul_f32 s2, s2, 0x4f7ffffe
	s_wait_alu 0xfffe
	s_cvt_u32_f32 s2, s2
	s_wait_alu 0xfffe
	s_delay_alu instid0(SALU_CYCLE_2)
	s_mul_i32 s3, s3, s2
	s_wait_alu 0xfffe
	s_mul_hi_u32 s3, s2, s3
	s_wait_alu 0xfffe
	s_add_co_i32 s2, s2, s3
	s_mov_b32 s3, s5
	s_wait_kmcnt 0x0
	s_cmp_eq_u64 s[10:11], 0
	s_cbranch_scc1 .LBB60_3
; %bb.2:
	s_mov_b32 s12, ttmp9
	s_ashr_i32 s13, ttmp9, 31
	s_delay_alu instid0(SALU_CYCLE_1) | instskip(NEXT) | instid1(SALU_CYCLE_1)
	s_lshl_b64 s[12:13], s[12:13], 2
	s_add_nc_u64 s[10:11], s[10:11], s[12:13]
	s_load_b32 s8, s[10:11], 0x0
.LBB60_3:
	s_load_b96 s[12:14], s[0:1], 0x58
	s_mul_u64 s[2:3], s[4:5], s[2:3]
	v_cmp_gt_u32_e64 s2, 32, v0
	s_ashr_i32 s5, ttmp9, 31
	s_ashr_i32 s10, s16, 31
	s_lshl_b32 s16, ttmp9, 7
	s_wait_alu 0xfffe
	s_and_saveexec_b32 s11, s2
	s_cbranch_execz .LBB60_5
; %bb.4:
	s_load_b64 s[20:21], s[0:1], 0x18
	s_wait_kmcnt 0x0
	s_mul_i32 s22, s12, s18
	s_ashr_i32 s17, s16, 31
	s_ashr_i32 s23, s22, 31
	v_lshlrev_b32_e32 v5, 4, v0
	s_lshl_b64 s[22:23], s[22:23], 2
	s_delay_alu instid0(SALU_CYCLE_1) | instskip(SKIP_1) | instid1(SALU_CYCLE_1)
	s_add_nc_u64 s[20:21], s[20:21], s[22:23]
	s_lshl_b64 s[22:23], s[16:17], 2
	s_add_nc_u64 s[20:21], s[20:21], s[22:23]
	global_load_b128 v[1:4], v5, s[20:21]
	s_wait_loadcnt 0x0
	ds_store_b128 v5, v[1:4]
.LBB60_5:
	s_or_b32 exec_lo, exec_lo, s11
	s_add_co_i32 s11, s7, 31
	s_lshl_b32 s30, s29, 4
	s_wait_kmcnt 0x0
	s_ashr_i32 s12, s11, 31
	s_mul_i32 s22, s3, s15
	s_lshr_b32 s12, s12, 27
	s_add_co_i32 s17, s30, 16
	s_add_co_i32 s11, s11, s12
	s_sub_co_i32 s4, s4, s22
	s_ashr_i32 s28, s11, 5
	s_clause 0x2
	s_load_b64 s[20:21], s[0:1], 0x38
	s_load_b32 s12, s[0:1], 0x98
	s_load_b32 s11, s[0:1], 0x48
	s_min_i32 s17, s17, s28
	s_xor_b32 s5, s5, s10
	s_add_co_i32 s10, s3, 1
	s_sub_co_i32 s22, s4, s15
	s_cmp_ge_u32 s4, s15
	v_lshrrev_b32_e32 v135, 5, v0
	s_cselect_b32 s3, s10, s3
	s_cselect_b32 s4, s22, s4
	s_wait_alu 0xfffe
	s_add_co_i32 s10, s3, 1
	s_cmp_ge_u32 s4, s15
	v_and_b32_e32 v136, 31, v0
	v_dual_mov_b32 v138, 0xff7fffff :: v_dual_add_nc_u32 v137, s30, v135
	s_cselect_b32 s3, s10, s3
	s_wait_dscnt 0x0
	s_wait_alu 0xfffe
	s_xor_b32 s3, s3, s5
	v_lshlrev_b32_e32 v134, 2, v136
	s_wait_alu 0xfffe
	s_sub_co_i32 s4, s3, s5
	v_cmp_gt_i32_e64 s3, s17, v137
	v_lshlrev_b32_e32 v133, 2, v137
	s_wait_kmcnt 0x0
	s_mul_i32 s22, s11, s18
	s_mul_i32 s24, s4, s14
	s_ashr_i32 s23, s22, 31
	s_barrier_signal -1
	s_barrier_wait -1
	global_inv scope:SCOPE_SE
	s_and_saveexec_b32 s10, s3
	s_cbranch_execz .LBB60_9
; %bb.6:
	v_dual_mov_b32 v125, 0 :: v_dual_lshlrev_b32 v130, 5, v135
	s_load_b64 s[4:5], s[0:1], 0x20
	s_ashr_i32 s25, s24, 31
	v_dual_mov_b32 v138, 0xff7fffff :: v_dual_lshlrev_b32 v129, 4, v136
	ds_load_b128 v[1:4], v125
	ds_load_b128 v[5:8], v125 offset:16
	ds_load_b128 v[9:12], v125 offset:32
	;; [unrolled: 1-line block ×31, first 2 shown]
	s_lshl_b64 s[14:15], s[24:25], 2
	s_cmp_neq_f32 s8, 0
	v_lshl_or_b32 v131, v135, 7, v134
	v_add3_u32 v141, s6, v130, v136
	v_mov_b32_e32 v143, v137
	s_cselect_b32 vcc_lo, -1, 0
	s_mov_b32 s11, 0
	v_add_nc_u32_e32 v142, 0x220, v131
	s_wait_kmcnt 0x0
	s_add_nc_u64 s[4:5], s[4:5], s[14:15]
	s_mov_b32 s14, s13
	v_add_co_u32 v139, s4, s4, v129
	s_wait_alu 0xf1ff
	v_add_co_ci_u32_e64 v140, null, s5, 0, s4
	s_lshl_b64 s[4:5], s[22:23], 2
	s_sub_co_i32 s15, 1, s7
	s_wait_alu 0xfffe
	s_add_nc_u64 s[4:5], s[20:21], s[4:5]
	s_wait_alu 0xfffe
	v_add_co_u32 v129, s4, s4, v133
	s_wait_alu 0xf1ff
	v_add_co_ci_u32_e64 v130, null, s5, 0, s4
.LBB60_7:                               ; =>This Inner Loop Header: Depth=1
	global_load_b32 v131, v[129:130], off
	s_wait_loadcnt 0x0
	v_mad_co_i64_i32 v[131:132], null, v131, s14, 0
	s_delay_alu instid0(VALU_DEP_1) | instskip(NEXT) | instid1(VALU_DEP_1)
	v_lshlrev_b64_e32 v[131:132], 2, v[131:132]
	v_add_co_u32 v131, s4, v139, v131
	s_wait_alu 0xf1ff
	s_delay_alu instid0(VALU_DEP_2)
	v_add_co_ci_u32_e64 v132, null, v140, v132, s4
	v_add_co_u32 v129, s4, v129, 16
	s_wait_alu 0xf1ff
	v_add_co_ci_u32_e64 v130, null, 0, v130, s4
	global_load_b128 v[146:149], v[131:132], off offset:512
	v_cmp_gt_i32_e64 s4, s7, v141
	s_wait_loadcnt_dscnt 0x1e
	v_dual_mul_f32 v145, v7, v148 :: v_dual_mul_f32 v144, v8, v149
	global_load_b128 v[148:151], v[131:132], off
	v_dual_mul_f32 v146, v5, v146 :: v_dual_mul_f32 v147, v6, v147
	s_wait_loadcnt 0x0
	s_delay_alu instid0(VALU_DEP_1)
	v_dual_fmac_f32 v146, v1, v148 :: v_dual_fmac_f32 v147, v2, v149
	v_dual_fmac_f32 v145, v3, v150 :: v_dual_fmac_f32 v144, v4, v151
	s_clause 0x1
	global_load_b128 v[148:151], v[131:132], off offset:1024
	global_load_b128 v[152:155], v[131:132], off offset:1536
	s_wait_loadcnt_dscnt 0x11d
	v_dual_fmac_f32 v146, v9, v148 :: v_dual_fmac_f32 v147, v10, v149
	v_dual_fmac_f32 v145, v11, v150 :: v_dual_fmac_f32 v144, v12, v151
	s_wait_loadcnt_dscnt 0x1c
	s_delay_alu instid0(VALU_DEP_2) | instskip(NEXT) | instid1(VALU_DEP_2)
	v_dual_fmac_f32 v146, v13, v152 :: v_dual_fmac_f32 v147, v14, v153
	v_dual_fmac_f32 v145, v15, v154 :: v_dual_fmac_f32 v144, v16, v155
	s_clause 0x1
	global_load_b128 v[148:151], v[131:132], off offset:2048
	global_load_b128 v[152:155], v[131:132], off offset:2560
	s_wait_loadcnt_dscnt 0x11b
	v_dual_fmac_f32 v146, v17, v148 :: v_dual_fmac_f32 v147, v18, v149
	v_dual_fmac_f32 v145, v19, v150 :: v_dual_fmac_f32 v144, v20, v151
	s_wait_loadcnt_dscnt 0x1a
	s_delay_alu instid0(VALU_DEP_2) | instskip(NEXT) | instid1(VALU_DEP_2)
	;; [unrolled: 10-line block ×14, first 2 shown]
	v_dual_fmac_f32 v146, v117, v152 :: v_dual_fmac_f32 v147, v118, v153
	v_dual_fmac_f32 v145, v119, v154 :: v_dual_fmac_f32 v144, v120, v155
	s_clause 0x1
	global_load_b128 v[148:151], v[131:132], off offset:15360
	global_load_b128 v[152:155], v[131:132], off offset:15872
	v_add_nc_u32_e32 v132, s15, v141
	v_add_nc_u32_e32 v141, 0x80, v141
	s_delay_alu instid0(VALU_DEP_2) | instskip(NEXT) | instid1(VALU_DEP_1)
	v_cvt_f32_i32_e32 v132, v132
	v_mul_f32_e32 v132, s8, v132
	s_delay_alu instid0(VALU_DEP_1) | instskip(SKIP_4) | instid1(VALU_DEP_2)
	v_cndmask_b32_e32 v132, 0, v132, vcc_lo
	s_wait_loadcnt_dscnt 0x101
	v_dual_fmac_f32 v146, v121, v148 :: v_dual_fmac_f32 v147, v122, v149
	v_dual_fmac_f32 v145, v123, v150 :: v_dual_fmac_f32 v144, v124, v151
	s_wait_loadcnt_dscnt 0x0
	v_dual_fmac_f32 v146, v125, v152 :: v_dual_fmac_f32 v147, v126, v153
	s_delay_alu instid0(VALU_DEP_2) | instskip(NEXT) | instid1(VALU_DEP_2)
	v_dual_fmac_f32 v145, v127, v154 :: v_dual_fmac_f32 v144, v128, v155
	v_add_f32_e32 v131, v146, v147
	s_delay_alu instid0(VALU_DEP_1) | instskip(SKIP_1) | instid1(VALU_DEP_2)
	v_add_f32_e32 v131, v145, v131
	v_max_num_f32_e32 v145, v138, v138
	v_add_f32_e32 v131, v144, v131
	s_delay_alu instid0(VALU_DEP_1) | instskip(SKIP_2) | instid1(VALU_DEP_2)
	v_fmac_f32_e32 v132, s9, v131
	v_add_nc_u32_e32 v143, 4, v143
	s_wait_alu 0xf1ff
	v_cndmask_b32_e64 v131, 0, v132, s4
	v_max_num_f32_e32 v132, v145, v132
	s_delay_alu instid0(VALU_DEP_3) | instskip(SKIP_4) | instid1(SALU_CYCLE_1)
	v_cmp_le_i32_e64 s5, s17, v143
	ds_store_b32 v142, v131
	v_cndmask_b32_e64 v138, v138, v132, s4
	v_add_nc_u32_e32 v142, 0x200, v142
	s_or_b32 s11, s5, s11
	s_and_not1_b32 exec_lo, exec_lo, s11
	s_cbranch_execnz .LBB60_7
; %bb.8:
	s_or_b32 exec_lo, exec_lo, s11
.LBB60_9:
	s_delay_alu instid0(SALU_CYCLE_1)
	s_or_b32 exec_lo, exec_lo, s10
	v_mbcnt_lo_u32_b32 v1, -1, 0
	s_clause 0x2
	s_load_b128 s[8:11], s[0:1], 0x0
	s_load_b64 s[14:15], s[0:1], 0x10
	s_load_b64 s[26:27], s[0:1], 0x28
	v_xor_b32_e32 v2, 16, v1
	v_xor_b32_e32 v4, 8, v1
	s_delay_alu instid0(VALU_DEP_2) | instskip(SKIP_2) | instid1(VALU_DEP_3)
	v_cmp_gt_i32_e32 vcc_lo, 32, v2
	s_wait_alu 0xfffd
	v_cndmask_b32_e32 v2, v1, v2, vcc_lo
	v_cmp_gt_i32_e32 vcc_lo, 32, v4
	v_max_num_f32_e32 v5, v138, v138
	s_delay_alu instid0(VALU_DEP_3)
	v_lshlrev_b32_e32 v2, 2, v2
	s_wait_alu 0xfffd
	v_cndmask_b32_e32 v4, v1, v4, vcc_lo
	ds_bpermute_b32 v3, v2, v138
	s_wait_dscnt 0x0
	v_dual_max_num_f32 v6, v3, v3 :: v_dual_lshlrev_b32 v3, 2, v4
	s_delay_alu instid0(VALU_DEP_1)
	v_max_num_f32_e32 v4, v5, v6
	v_xor_b32_e32 v6, 4, v1
	ds_bpermute_b32 v5, v3, v4
	v_cmp_gt_i32_e32 vcc_lo, 32, v6
	s_wait_alu 0xfffd
	v_cndmask_b32_e32 v6, v1, v6, vcc_lo
	s_delay_alu instid0(VALU_DEP_1) | instskip(SKIP_1) | instid1(VALU_DEP_1)
	v_lshlrev_b32_e32 v140, 2, v6
	v_xor_b32_e32 v6, 2, v1
	v_cmp_gt_i32_e32 vcc_lo, 32, v6
	s_wait_dscnt 0x0
	v_max_num_f32_e32 v5, v5, v5
	s_wait_alu 0xfffd
	v_cndmask_b32_e32 v6, v1, v6, vcc_lo
	s_delay_alu instid0(VALU_DEP_1)
	v_dual_max_num_f32 v4, v4, v5 :: v_dual_lshlrev_b32 v139, 2, v6
	v_xor_b32_e32 v6, 1, v1
	ds_bpermute_b32 v5, v140, v4
	v_cmp_gt_i32_e32 vcc_lo, 32, v6
	s_wait_alu 0xfffd
	v_cndmask_b32_e32 v6, v1, v6, vcc_lo
	v_cmp_eq_u32_e32 vcc_lo, 0, v136
	s_wait_dscnt 0x0
	s_delay_alu instid0(VALU_DEP_2) | instskip(NEXT) | instid1(VALU_DEP_1)
	v_dual_max_num_f32 v5, v5, v5 :: v_dual_lshlrev_b32 v138, 2, v6
	v_max_num_f32_e32 v4, v4, v5
	ds_bpermute_b32 v5, v139, v4
	s_wait_dscnt 0x0
	v_max_num_f32_e32 v5, v5, v5
	s_delay_alu instid0(VALU_DEP_1)
	v_max_num_f32_e32 v1, v4, v5
	v_lshlrev_b32_e32 v5, 2, v135
	ds_bpermute_b32 v4, v138, v1
	s_and_saveexec_b32 s0, vcc_lo
	s_cbranch_execz .LBB60_11
; %bb.10:
	s_wait_dscnt 0x0
	v_dual_max_num_f32 v4, v4, v4 :: v_dual_max_num_f32 v1, v1, v1
	s_delay_alu instid0(VALU_DEP_1)
	v_max_num_f32_e32 v1, v1, v4
	ds_store_b32 v5, v1 offset:512
.LBB60_11:
	s_or_b32 exec_lo, exec_lo, s0
	v_cmp_gt_u32_e64 s0, 4, v136
	v_mov_b32_e32 v1, 0xff7fffff
	s_wait_loadcnt_dscnt 0x0
	s_barrier_signal -1
	s_barrier_wait -1
	global_inv scope:SCOPE_SE
	s_and_saveexec_b32 s1, s0
; %bb.12:
	ds_load_b32 v1, v134 offset:512
; %bb.13:
	s_or_b32 exec_lo, exec_lo, s1
	s_wait_dscnt 0x0
	ds_bpermute_b32 v4, v139, v1
	v_max_num_f32_e32 v1, v1, v1
	s_sub_co_i32 s1, s17, s30
	v_mov_b32_e32 v6, 0
	s_lshl_b32 s1, s1, 5
	s_delay_alu instid0(SALU_CYCLE_1) | instskip(NEXT) | instid1(SALU_CYCLE_1)
	s_add_co_i32 s1, s1, s6
	s_min_i32 s1, s1, s7
	s_delay_alu instid0(SALU_CYCLE_1) | instskip(SKIP_4) | instid1(VALU_DEP_1)
	s_sub_co_i32 s5, s1, s6
	s_wait_alu 0xfffe
	v_cmp_gt_i32_e64 s1, s5, v0
	s_wait_dscnt 0x0
	v_max_num_f32_e32 v4, v4, v4
	v_max_num_f32_e32 v1, v1, v4
	ds_bpermute_b32 v4, v138, v1
	s_wait_dscnt 0x0
	v_max_num_f32_e32 v4, v4, v4
	s_delay_alu instid0(VALU_DEP_1)
	v_max_num_f32_e32 v1, v1, v4
	v_lshl_add_u32 v4, v0, 2, 0x220
	ds_bpermute_b32 v1, v6, v1
	s_and_saveexec_b32 s25, s1
	s_cbranch_execz .LBB60_17
; %bb.14:
	v_lshl_add_u32 v7, v0, 2, 0x220
	v_mov_b32_e32 v6, 0
	v_mov_b32_e32 v8, v0
	s_mov_b32 s30, 0
.LBB60_15:                              ; =>This Inner Loop Header: Depth=1
	ds_load_b32 v9, v7
	v_add_nc_u32_e32 v8, 0x80, v8
	s_delay_alu instid0(VALU_DEP_1) | instskip(SKIP_4) | instid1(VALU_DEP_1)
	v_cmp_le_i32_e64 s4, s5, v8
	s_wait_alu 0xfffe
	s_or_b32 s30, s4, s30
	s_wait_dscnt 0x0
	v_sub_f32_e32 v9, v9, v1
	v_mul_f32_e32 v9, 0x3fb8aa3b, v9
	s_delay_alu instid0(VALU_DEP_1)
	v_exp_f32_e32 v9, v9
	ds_store_b32 v7, v9
	v_dual_add_f32 v6, v6, v9 :: v_dual_add_nc_u32 v7, 0x200, v7
	s_wait_alu 0xfffe
	s_and_not1_b32 exec_lo, exec_lo, s30
	s_cbranch_execnz .LBB60_15
; %bb.16:
	s_or_b32 exec_lo, exec_lo, s30
.LBB60_17:
	s_delay_alu instid0(SALU_CYCLE_1)
	s_or_b32 exec_lo, exec_lo, s25
	ds_bpermute_b32 v2, v2, v6
	s_wait_dscnt 0x0
	v_add_f32_e32 v2, v6, v2
	ds_bpermute_b32 v3, v3, v2
	s_wait_dscnt 0x0
	v_add_f32_e32 v2, v2, v3
	;; [unrolled: 3-line block ×5, first 2 shown]
	s_and_saveexec_b32 s4, vcc_lo
; %bb.18:
	ds_store_b32 v5, v2 offset:528
; %bb.19:
	s_wait_alu 0xfffe
	s_or_b32 exec_lo, exec_lo, s4
	s_wait_loadcnt_dscnt 0x0
	s_barrier_signal -1
	s_barrier_wait -1
	global_inv scope:SCOPE_SE
	s_and_saveexec_b32 s4, s0
; %bb.20:
	ds_load_b32 v2, v134 offset:528
; %bb.21:
	s_wait_alu 0xfffe
	s_or_b32 exec_lo, exec_lo, s4
	s_wait_dscnt 0x0
	ds_bpermute_b32 v3, v139, v2
	s_wait_dscnt 0x0
	v_add_f32_e32 v2, v2, v3
	ds_bpermute_b32 v3, v138, v2
	s_wait_dscnt 0x0
	v_dual_add_f32 v2, v2, v3 :: v_dual_mov_b32 v3, 0
	ds_bpermute_b32 v2, v3, v2
	s_and_saveexec_b32 s0, s1
	s_cbranch_execz .LBB60_24
; %bb.22:
	s_wait_dscnt 0x0
	v_add_f32_e32 v3, 0x358637bd, v2
	s_mov_b32 s1, 0
	s_delay_alu instid0(VALU_DEP_1) | instskip(SKIP_1) | instid1(VALU_DEP_2)
	v_div_scale_f32 v5, null, v3, v3, 1.0
	v_div_scale_f32 v8, vcc_lo, 1.0, v3, 1.0
	v_rcp_f32_e32 v6, v5
	s_delay_alu instid0(TRANS32_DEP_1) | instskip(NEXT) | instid1(VALU_DEP_1)
	v_fma_f32 v7, -v5, v6, 1.0
	v_fmac_f32_e32 v6, v7, v6
	s_delay_alu instid0(VALU_DEP_1) | instskip(NEXT) | instid1(VALU_DEP_1)
	v_mul_f32_e32 v7, v8, v6
	v_fma_f32 v9, -v5, v7, v8
	s_delay_alu instid0(VALU_DEP_1) | instskip(NEXT) | instid1(VALU_DEP_1)
	v_fmac_f32_e32 v7, v9, v6
	v_fma_f32 v5, -v5, v7, v8
	s_wait_alu 0xfffd
	s_delay_alu instid0(VALU_DEP_1) | instskip(NEXT) | instid1(VALU_DEP_1)
	v_div_fmas_f32 v5, v5, v6, v7
	v_div_fixup_f32 v3, v5, v3, 1.0
	v_mov_b32_e32 v5, v0
.LBB60_23:                              ; =>This Inner Loop Header: Depth=1
	ds_load_b32 v6, v4
	s_wait_dscnt 0x0
	v_dual_mul_f32 v6, v3, v6 :: v_dual_add_nc_u32 v5, 0x80, v5
	s_delay_alu instid0(VALU_DEP_1) | instskip(SKIP_3) | instid1(SALU_CYCLE_1)
	v_cmp_le_i32_e32 vcc_lo, s5, v5
	ds_store_b32 v4, v6
	v_add_nc_u32_e32 v4, 0x200, v4
	s_or_b32 s1, vcc_lo, s1
	s_and_not1_b32 exec_lo, exec_lo, s1
	s_cbranch_execnz .LBB60_23
.LBB60_24:
	s_or_b32 exec_lo, exec_lo, s0
	s_mul_i32 s0, s12, s18
	s_wait_loadcnt_dscnt 0x0
	s_mul_i32 s18, s0, s19
	s_mov_b32 s0, exec_lo
	s_barrier_signal -1
	s_barrier_wait -1
	global_inv scope:SCOPE_SE
	v_cmpx_eq_u32_e32 0, v0
	s_cbranch_execz .LBB60_26
; %bb.25:
	s_ashr_i32 s19, s18, 31
	s_mul_i32 s4, s12, ttmp9
	s_lshl_b32 s1, s29, 2
	s_lshl_b64 s[30:31], s[18:19], 2
	s_wait_alu 0xfffe
	s_ashr_i32 s5, s4, 31
	v_mov_b32_e32 v3, s1
	s_wait_kmcnt 0x0
	s_add_nc_u64 s[10:11], s[10:11], s[30:31]
	s_wait_alu 0xfffe
	s_lshl_b64 s[4:5], s[4:5], 2
	s_add_nc_u64 s[8:9], s[8:9], s[30:31]
	s_wait_alu 0xfffe
	s_add_nc_u64 s[10:11], s[10:11], s[4:5]
	s_add_nc_u64 s[4:5], s[8:9], s[4:5]
	s_clause 0x1
	global_store_b32 v3, v1, s[10:11]
	global_store_b32 v3, v2, s[4:5]
.LBB60_26:
	s_or_b32 exec_lo, exec_lo, s0
	v_dual_mov_b32 v171, 0 :: v_dual_mov_b32 v172, 0
	v_dual_mov_b32 v170, 0 :: v_dual_and_b32 v141, 7, v0
	v_dual_mov_b32 v173, 0 :: v_dual_mov_b32 v168, 0
	v_dual_mov_b32 v169, 0 :: v_dual_mov_b32 v166, 0
	;; [unrolled: 1-line block ×14, first 2 shown]
	v_mov_b32_e32 v143, 0
	s_and_saveexec_b32 s5, s3
	s_cbranch_execz .LBB60_94
; %bb.27:
	v_dual_mov_b32 v142, 0 :: v_dual_lshlrev_b32 v1, 2, v0
	v_dual_mov_b32 v143, 0 :: v_dual_lshlrev_b32 v2, 4, v141
	s_wait_kmcnt 0x0
	s_lshl_b64 s[8:9], s[22:23], 2
	s_delay_alu instid0(VALU_DEP_2)
	v_dual_mov_b32 v144, 0 :: v_dual_and_b32 v3, 28, v1
	v_lshl_add_u32 v4, v135, 5, s6
	v_dual_mov_b32 v146, 0 :: v_dual_and_b32 v5, 0x7c, v1
	v_lshl_or_b32 v2, v135, 7, v2
	v_or_b32_e32 v1, 0xf80, v1
	s_wait_alu 0xfffe
	s_add_nc_u64 s[8:9], s[20:21], s[8:9]
	s_ashr_i32 s25, s24, 31
	s_wait_alu 0xfffe
	v_add_co_u32 v133, s3, s8, v133
	v_add3_u32 v174, v4, v3, 3
	v_dual_mov_b32 v148, 0 :: v_dual_add_nc_u32 v175, 0x220, v2
	s_wait_alu 0xf1ff
	v_add_co_ci_u32_e64 v134, null, s9, 0, s3
	v_dual_mov_b32 v145, 0 :: v_dual_lshlrev_b32 v176, 2, v5
	v_dual_mov_b32 v150, 0 :: v_dual_lshlrev_b32 v177, 2, v1
	v_dual_mov_b32 v147, 0 :: v_dual_mov_b32 v152, 0
	v_dual_mov_b32 v149, 0 :: v_dual_mov_b32 v154, 0
	;; [unrolled: 1-line block ×11, first 2 shown]
	v_mov_b32_e32 v169, 0
	v_mov_b32_e32 v173, 0
	;; [unrolled: 1-line block ×3, first 2 shown]
	s_lshl_b64 s[0:1], s[24:25], 2
	s_mov_b32 s10, s13
	s_wait_alu 0xfffe
	s_add_nc_u64 s[8:9], s[26:27], s[0:1]
	s_add_co_i32 s13, s28, -1
	s_mov_b32 s11, 0
	s_branch .LBB60_29
.LBB60_28:                              ;   in Loop: Header=BB60_29 Depth=1
	s_wait_alu 0xfffe
	s_or_b32 exec_lo, exec_lo, s0
	s_wait_loadcnt_dscnt 0x1600
	v_mul_f32_e32 v41, v1, v41
	v_mul_f32_e32 v13, v1, v13
	s_wait_loadcnt 0x6
	v_mul_f32_e32 v109, v1, v109
	v_mul_f32_e32 v97, v1, v97
	;; [unrolled: 1-line block ×3, first 2 shown]
	v_fmac_f32_e32 v41, v2, v42
	v_fmac_f32_e32 v13, v2, v14
	v_mul_f32_e32 v65, v1, v65
	s_wait_loadcnt 0x2
	v_mul_f32_e32 v125, v1, v125
	v_mul_f32_e32 v89, v1, v89
	v_fmac_f32_e32 v41, v3, v43
	v_fmac_f32_e32 v13, v3, v15
	;; [unrolled: 1-line block ×7, first 2 shown]
	v_mul_f32_e32 v57, v1, v57
	v_mul_f32_e32 v33, v1, v33
	;; [unrolled: 1-line block ×3, first 2 shown]
	v_add_f32_e32 v164, v164, v41
	v_fmac_f32_e32 v13, v4, v16
	v_fmac_f32_e32 v109, v3, v111
	v_mul_f32_e32 v117, v1, v117
	v_fmac_f32_e32 v89, v2, v90
	v_fmac_f32_e32 v97, v3, v99
	;; [unrolled: 1-line block ×4, first 2 shown]
	v_mul_f32_e32 v49, v1, v49
	v_fmac_f32_e32 v57, v2, v58
	v_fmac_f32_e32 v33, v2, v34
	;; [unrolled: 1-line block ×3, first 2 shown]
	v_mul_f32_e32 v17, v1, v17
	v_add_f32_e32 v172, v172, v13
	v_fmac_f32_e32 v109, v4, v112
	v_fmac_f32_e32 v125, v2, v126
	s_wait_loadcnt 0x1
	v_dual_mul_f32 v129, v1, v129 :: v_dual_add_nc_u32 v174, 0x80, v174
	v_mul_f32_e32 v121, v1, v121
	v_mul_f32_e32 v113, v1, v113
	;; [unrolled: 1-line block ×3, first 2 shown]
	v_add_f32_e32 v148, v148, v109
	v_mul_f32_e32 v93, v1, v93
	v_mul_f32_e32 v85, v1, v85
	v_mul_f32_e32 v81, v1, v81
	v_fmac_f32_e32 v89, v3, v91
	v_fmac_f32_e32 v97, v4, v100
	;; [unrolled: 1-line block ×3, first 2 shown]
	v_mul_f32_e32 v77, v1, v77
	v_mul_f32_e32 v69, v1, v69
	;; [unrolled: 1-line block ×3, first 2 shown]
	v_fmac_f32_e32 v73, v4, v76
	v_fmac_f32_e32 v117, v2, v118
	;; [unrolled: 1-line block ×3, first 2 shown]
	v_mul_f32_e32 v53, v1, v53
	v_mul_f32_e32 v45, v1, v45
	v_fmac_f32_e32 v49, v2, v50
	v_fmac_f32_e32 v57, v3, v59
	v_mul_f32_e32 v37, v1, v37
	v_mul_f32_e32 v29, v1, v29
	;; [unrolled: 1-line block ×3, first 2 shown]
	v_fmac_f32_e32 v33, v3, v35
	v_fmac_f32_e32 v25, v3, v27
	v_mul_f32_e32 v9, v1, v9
	v_fmac_f32_e32 v17, v2, v18
	v_mul_f32_e32 v5, v1, v5
	s_wait_loadcnt 0x0
	v_mul_f32_e32 v1, v1, v101
	v_fmac_f32_e32 v93, v2, v94
	v_fmac_f32_e32 v85, v2, v86
	;; [unrolled: 1-line block ×5, first 2 shown]
	v_dual_add_f32 v150, v150, v97 :: v_dual_fmac_f32 v125, v4, v128
	v_add_f32_e32 v158, v158, v65
	v_fmac_f32_e32 v129, v2, v130
	v_fmac_f32_e32 v77, v2, v78
	;; [unrolled: 1-line block ×3, first 2 shown]
	v_dual_fmac_f32 v61, v2, v62 :: v_dual_add_f32 v156, v156, v73
	v_fmac_f32_e32 v53, v2, v54
	v_fmac_f32_e32 v45, v2, v46
	v_fmac_f32_e32 v49, v3, v51
	v_fmac_f32_e32 v57, v4, v60
	v_fmac_f32_e32 v113, v2, v114
	v_fmac_f32_e32 v37, v2, v38
	v_fmac_f32_e32 v29, v2, v30
	v_fmac_f32_e32 v21, v2, v22
	v_fmac_f32_e32 v33, v4, v36
	v_fmac_f32_e32 v117, v3, v119
	v_fmac_f32_e32 v25, v4, v28
	v_fmac_f32_e32 v105, v2, v106
	v_fmac_f32_e32 v9, v2, v10
	v_fmac_f32_e32 v17, v3, v19
	v_fmac_f32_e32 v5, v2, v6
	v_dual_fmac_f32 v1, v2, v102 :: v_dual_add_f32 v144, v144, v125
	v_fmac_f32_e32 v93, v3, v95
	v_fmac_f32_e32 v85, v3, v87
	v_dual_fmac_f32 v81, v3, v83 :: v_dual_add_f32 v152, v152, v89
	v_fmac_f32_e32 v77, v3, v79
	v_fmac_f32_e32 v69, v3, v71
	;; [unrolled: 1-line block ×6, first 2 shown]
	v_dual_fmac_f32 v121, v3, v123 :: v_dual_add_f32 v160, v160, v57
	v_fmac_f32_e32 v37, v3, v39
	v_fmac_f32_e32 v29, v3, v31
	v_dual_fmac_f32 v21, v3, v23 :: v_dual_add_f32 v166, v166, v33
	v_fmac_f32_e32 v117, v4, v120
	v_dual_fmac_f32 v129, v3, v131 :: v_dual_add_f32 v168, v168, v25
	v_fmac_f32_e32 v105, v3, v107
	v_fmac_f32_e32 v9, v3, v11
	v_fmac_f32_e32 v17, v4, v20
	v_fmac_f32_e32 v113, v3, v115
	v_fmac_f32_e32 v5, v3, v7
	v_fmac_f32_e32 v1, v3, v103
	v_add_nc_u32_e32 v137, 4, v137
	v_dual_fmac_f32 v105, v4, v108 :: v_dual_add_f32 v146, v146, v117
	v_fmac_f32_e32 v93, v4, v96
	v_fmac_f32_e32 v85, v4, v88
	;; [unrolled: 1-line block ×8, first 2 shown]
	v_dual_fmac_f32 v45, v4, v48 :: v_dual_add_f32 v162, v162, v49
	v_fmac_f32_e32 v37, v4, v40
	v_fmac_f32_e32 v29, v4, v32
	;; [unrolled: 1-line block ×3, first 2 shown]
	v_dual_fmac_f32 v9, v4, v12 :: v_dual_add_f32 v170, v170, v17
	v_fmac_f32_e32 v113, v4, v116
	v_fmac_f32_e32 v5, v4, v8
	;; [unrolled: 1-line block ×4, first 2 shown]
	v_cmp_le_i32_e32 vcc_lo, s17, v137
	v_add_co_u32 v133, s0, v133, 16
	v_add_f32_e32 v147, v147, v113
	v_add_f32_e32 v149, v149, v105
	;; [unrolled: 1-line block ×18, first 2 shown]
	v_add_nc_u32_e32 v175, 0x200, v175
	s_wait_alu 0xf1ff
	v_add_co_ci_u32_e64 v134, null, 0, v134, s0
	s_or_b32 s11, vcc_lo, s11
	s_wait_alu 0xfffe
	s_and_not1_b32 exec_lo, exec_lo, s11
	s_cbranch_execz .LBB60_93
.LBB60_29:                              ; =>This Inner Loop Header: Depth=1
	global_load_b32 v1, v[133:134], off
	v_add_nc_u32_e32 v178, -3, v174
	v_add_nc_u32_e32 v180, -2, v174
	;; [unrolled: 1-line block ×3, first 2 shown]
	s_wait_loadcnt 0x0
	v_mad_co_i64_i32 v[1:2], null, v1, s10, 0
	s_delay_alu instid0(VALU_DEP_1) | instskip(SKIP_1) | instid1(VALU_DEP_1)
	v_lshlrev_b64_e32 v[1:2], 2, v[1:2]
	s_wait_alu 0xfffe
	v_add_co_u32 v103, vcc_lo, s8, v1
	s_wait_alu 0xfffd
	s_delay_alu instid0(VALU_DEP_2)
	v_add_co_ci_u32_e64 v104, null, s9, v2, vcc_lo
	ds_load_b128 v[1:4], v175
	v_add_co_u32 v101, vcc_lo, v103, v176
	s_wait_alu 0xfffd
	v_add_co_ci_u32_e64 v102, null, 0, v104, vcc_lo
	v_cmp_eq_u32_e32 vcc_lo, s13, v137
	global_load_b128 v[5:8], v[101:102], off
	s_and_saveexec_b32 s1, vcc_lo
	s_cbranch_execnz .LBB60_63
; %bb.30:                               ;   in Loop: Header=BB60_29 Depth=1
	s_wait_alu 0xfffe
	s_or_b32 exec_lo, exec_lo, s1
	global_load_b128 v[9:12], v[101:102], off offset:512
	s_and_saveexec_b32 s1, vcc_lo
	s_cbranch_execnz .LBB60_64
.LBB60_31:                              ;   in Loop: Header=BB60_29 Depth=1
	s_wait_alu 0xfffe
	s_or_b32 exec_lo, exec_lo, s1
	global_load_b128 v[13:16], v[101:102], off offset:1024
	s_and_saveexec_b32 s1, vcc_lo
	s_cbranch_execnz .LBB60_65
.LBB60_32:                              ;   in Loop: Header=BB60_29 Depth=1
	s_wait_alu 0xfffe
	s_or_b32 exec_lo, exec_lo, s1
	global_load_b128 v[17:20], v[101:102], off offset:1536
	s_and_saveexec_b32 s1, vcc_lo
	s_cbranch_execnz .LBB60_66
.LBB60_33:                              ;   in Loop: Header=BB60_29 Depth=1
	s_wait_alu 0xfffe
	s_or_b32 exec_lo, exec_lo, s1
	global_load_b128 v[21:24], v[101:102], off offset:2048
	s_and_saveexec_b32 s1, vcc_lo
	s_cbranch_execnz .LBB60_67
.LBB60_34:                              ;   in Loop: Header=BB60_29 Depth=1
	s_wait_alu 0xfffe
	s_or_b32 exec_lo, exec_lo, s1
	global_load_b128 v[25:28], v[101:102], off offset:2560
	s_and_saveexec_b32 s1, vcc_lo
	s_cbranch_execnz .LBB60_68
.LBB60_35:                              ;   in Loop: Header=BB60_29 Depth=1
	s_wait_alu 0xfffe
	s_or_b32 exec_lo, exec_lo, s1
	global_load_b128 v[29:32], v[101:102], off offset:3072
	s_and_saveexec_b32 s1, vcc_lo
	s_cbranch_execnz .LBB60_69
.LBB60_36:                              ;   in Loop: Header=BB60_29 Depth=1
	s_wait_alu 0xfffe
	s_or_b32 exec_lo, exec_lo, s1
	global_load_b128 v[33:36], v[101:102], off offset:3584
	s_and_saveexec_b32 s1, vcc_lo
	s_cbranch_execnz .LBB60_70
.LBB60_37:                              ;   in Loop: Header=BB60_29 Depth=1
	s_wait_alu 0xfffe
	s_or_b32 exec_lo, exec_lo, s1
	global_load_b128 v[37:40], v[101:102], off offset:4096
	s_and_saveexec_b32 s1, vcc_lo
	s_cbranch_execnz .LBB60_71
.LBB60_38:                              ;   in Loop: Header=BB60_29 Depth=1
	s_wait_alu 0xfffe
	s_or_b32 exec_lo, exec_lo, s1
	global_load_b128 v[41:44], v[101:102], off offset:4608
	s_and_saveexec_b32 s1, vcc_lo
	s_cbranch_execnz .LBB60_72
.LBB60_39:                              ;   in Loop: Header=BB60_29 Depth=1
	s_wait_alu 0xfffe
	s_or_b32 exec_lo, exec_lo, s1
	global_load_b128 v[45:48], v[101:102], off offset:5120
	s_and_saveexec_b32 s1, vcc_lo
	s_cbranch_execnz .LBB60_73
.LBB60_40:                              ;   in Loop: Header=BB60_29 Depth=1
	s_wait_alu 0xfffe
	s_or_b32 exec_lo, exec_lo, s1
	global_load_b128 v[49:52], v[101:102], off offset:5632
	s_and_saveexec_b32 s1, vcc_lo
	s_cbranch_execnz .LBB60_74
.LBB60_41:                              ;   in Loop: Header=BB60_29 Depth=1
	s_wait_alu 0xfffe
	s_or_b32 exec_lo, exec_lo, s1
	global_load_b128 v[53:56], v[101:102], off offset:6144
	s_and_saveexec_b32 s1, vcc_lo
	s_cbranch_execnz .LBB60_75
.LBB60_42:                              ;   in Loop: Header=BB60_29 Depth=1
	s_wait_alu 0xfffe
	s_or_b32 exec_lo, exec_lo, s1
	global_load_b128 v[57:60], v[101:102], off offset:6656
	s_and_saveexec_b32 s1, vcc_lo
	s_cbranch_execnz .LBB60_76
.LBB60_43:                              ;   in Loop: Header=BB60_29 Depth=1
	s_wait_alu 0xfffe
	s_or_b32 exec_lo, exec_lo, s1
	global_load_b128 v[61:64], v[101:102], off offset:7168
	s_and_saveexec_b32 s1, vcc_lo
	s_cbranch_execnz .LBB60_77
.LBB60_44:                              ;   in Loop: Header=BB60_29 Depth=1
	s_wait_alu 0xfffe
	s_or_b32 exec_lo, exec_lo, s1
	global_load_b128 v[65:68], v[101:102], off offset:7680
	s_and_saveexec_b32 s1, vcc_lo
	s_cbranch_execnz .LBB60_78
.LBB60_45:                              ;   in Loop: Header=BB60_29 Depth=1
	s_wait_alu 0xfffe
	s_or_b32 exec_lo, exec_lo, s1
	global_load_b128 v[69:72], v[101:102], off offset:8192
	s_and_saveexec_b32 s1, vcc_lo
	s_cbranch_execnz .LBB60_79
.LBB60_46:                              ;   in Loop: Header=BB60_29 Depth=1
	s_wait_alu 0xfffe
	s_or_b32 exec_lo, exec_lo, s1
	global_load_b128 v[73:76], v[101:102], off offset:8704
	s_and_saveexec_b32 s1, vcc_lo
	s_cbranch_execnz .LBB60_80
.LBB60_47:                              ;   in Loop: Header=BB60_29 Depth=1
	s_wait_alu 0xfffe
	s_or_b32 exec_lo, exec_lo, s1
	global_load_b128 v[77:80], v[101:102], off offset:9216
	s_and_saveexec_b32 s1, vcc_lo
	s_cbranch_execnz .LBB60_81
.LBB60_48:                              ;   in Loop: Header=BB60_29 Depth=1
	s_wait_alu 0xfffe
	s_or_b32 exec_lo, exec_lo, s1
	global_load_b128 v[81:84], v[101:102], off offset:9728
	s_and_saveexec_b32 s1, vcc_lo
	s_cbranch_execnz .LBB60_82
.LBB60_49:                              ;   in Loop: Header=BB60_29 Depth=1
	s_wait_alu 0xfffe
	s_or_b32 exec_lo, exec_lo, s1
	global_load_b128 v[85:88], v[101:102], off offset:10240
	s_and_saveexec_b32 s1, vcc_lo
	s_cbranch_execnz .LBB60_83
.LBB60_50:                              ;   in Loop: Header=BB60_29 Depth=1
	s_wait_alu 0xfffe
	s_or_b32 exec_lo, exec_lo, s1
	global_load_b128 v[89:92], v[101:102], off offset:10752
	s_and_saveexec_b32 s1, vcc_lo
	s_cbranch_execnz .LBB60_84
.LBB60_51:                              ;   in Loop: Header=BB60_29 Depth=1
	s_wait_alu 0xfffe
	s_or_b32 exec_lo, exec_lo, s1
	global_load_b128 v[93:96], v[101:102], off offset:11264
	s_and_saveexec_b32 s1, vcc_lo
	s_cbranch_execnz .LBB60_85
.LBB60_52:                              ;   in Loop: Header=BB60_29 Depth=1
	s_wait_alu 0xfffe
	s_or_b32 exec_lo, exec_lo, s1
	global_load_b128 v[97:100], v[101:102], off offset:11776
	s_and_saveexec_b32 s1, vcc_lo
	s_cbranch_execnz .LBB60_86
.LBB60_53:                              ;   in Loop: Header=BB60_29 Depth=1
	s_wait_alu 0xfffe
	s_or_b32 exec_lo, exec_lo, s1
	global_load_b128 v[105:108], v[101:102], off offset:12288
	s_and_saveexec_b32 s1, vcc_lo
	s_cbranch_execnz .LBB60_87
.LBB60_54:                              ;   in Loop: Header=BB60_29 Depth=1
	s_wait_alu 0xfffe
	s_or_b32 exec_lo, exec_lo, s1
	global_load_b128 v[109:112], v[101:102], off offset:12800
	s_and_saveexec_b32 s1, vcc_lo
	s_cbranch_execnz .LBB60_88
.LBB60_55:                              ;   in Loop: Header=BB60_29 Depth=1
	s_wait_alu 0xfffe
	s_or_b32 exec_lo, exec_lo, s1
	global_load_b128 v[113:116], v[101:102], off offset:13312
	s_and_saveexec_b32 s1, vcc_lo
	s_cbranch_execnz .LBB60_89
.LBB60_56:                              ;   in Loop: Header=BB60_29 Depth=1
	s_wait_alu 0xfffe
	s_or_b32 exec_lo, exec_lo, s1
	global_load_b128 v[117:120], v[101:102], off offset:13824
	s_and_saveexec_b32 s19, vcc_lo
	s_cbranch_execnz .LBB60_90
.LBB60_57:                              ;   in Loop: Header=BB60_29 Depth=1
	s_or_b32 exec_lo, exec_lo, s19
	global_load_b128 v[121:124], v[101:102], off offset:14336
	s_and_saveexec_b32 s1, vcc_lo
	s_cbranch_execnz .LBB60_91
.LBB60_58:                              ;   in Loop: Header=BB60_29 Depth=1
	s_wait_alu 0xfffe
	s_or_b32 exec_lo, exec_lo, s1
	global_load_b128 v[125:128], v[101:102], off offset:14848
	s_and_saveexec_b32 s1, vcc_lo
	s_cbranch_execnz .LBB60_92
.LBB60_59:                              ;   in Loop: Header=BB60_29 Depth=1
	s_wait_alu 0xfffe
	s_or_b32 exec_lo, exec_lo, s1
	global_load_b128 v[129:132], v[101:102], off offset:15360
	s_and_saveexec_b32 s1, vcc_lo
	s_cbranch_execz .LBB60_61
.LBB60_60:                              ;   in Loop: Header=BB60_29 Depth=1
	v_cmp_gt_i32_e64 s0, s7, v178
	s_wait_loadcnt 0x0
	s_wait_alu 0xf1ff
	s_delay_alu instid0(VALU_DEP_1) | instskip(SKIP_2) | instid1(VALU_DEP_1)
	v_cndmask_b32_e64 v129, 0, v129, s0
	v_cmp_gt_i32_e64 s0, s7, v180
	s_wait_alu 0xf1ff
	v_cndmask_b32_e64 v130, 0, v130, s0
	v_cmp_gt_i32_e64 s0, s7, v179
	s_wait_alu 0xf1ff
	s_delay_alu instid0(VALU_DEP_1) | instskip(SKIP_2) | instid1(VALU_DEP_1)
	v_cndmask_b32_e64 v131, 0, v131, s0
	v_cmp_gt_i32_e64 s0, s7, v174
	s_wait_alu 0xf1ff
	v_cndmask_b32_e64 v132, 0, v132, s0
.LBB60_61:                              ;   in Loop: Header=BB60_29 Depth=1
	s_wait_alu 0xfffe
	s_or_b32 exec_lo, exec_lo, s1
	v_add_co_u32 v101, s0, v103, v177
	s_wait_alu 0xf1ff
	v_add_co_ci_u32_e64 v102, null, 0, v104, s0
	global_load_b128 v[101:104], v[101:102], off
	s_and_saveexec_b32 s0, vcc_lo
	s_cbranch_execz .LBB60_28
; %bb.62:                               ;   in Loop: Header=BB60_29 Depth=1
	v_cmp_gt_i32_e32 vcc_lo, s7, v178
	s_wait_loadcnt 0x0
	s_wait_alu 0xfffd
	v_cndmask_b32_e32 v101, 0, v101, vcc_lo
	v_cmp_gt_i32_e32 vcc_lo, s7, v180
	s_wait_alu 0xfffd
	v_cndmask_b32_e32 v102, 0, v102, vcc_lo
	v_cmp_gt_i32_e32 vcc_lo, s7, v179
	;; [unrolled: 3-line block ×3, first 2 shown]
	s_wait_alu 0xfffd
	v_cndmask_b32_e32 v104, 0, v104, vcc_lo
	s_branch .LBB60_28
.LBB60_63:                              ;   in Loop: Header=BB60_29 Depth=1
	v_cmp_gt_i32_e64 s0, s7, v178
	s_wait_loadcnt 0x0
	s_wait_alu 0xf1ff
	s_delay_alu instid0(VALU_DEP_1) | instskip(SKIP_2) | instid1(VALU_DEP_1)
	v_cndmask_b32_e64 v5, 0, v5, s0
	v_cmp_gt_i32_e64 s0, s7, v180
	s_wait_alu 0xf1ff
	v_cndmask_b32_e64 v6, 0, v6, s0
	v_cmp_gt_i32_e64 s0, s7, v179
	s_wait_alu 0xf1ff
	s_delay_alu instid0(VALU_DEP_1) | instskip(SKIP_2) | instid1(VALU_DEP_1)
	v_cndmask_b32_e64 v7, 0, v7, s0
	v_cmp_gt_i32_e64 s0, s7, v174
	s_wait_alu 0xf1ff
	v_cndmask_b32_e64 v8, 0, v8, s0
	s_wait_alu 0xfffe
	s_or_b32 exec_lo, exec_lo, s1
	global_load_b128 v[9:12], v[101:102], off offset:512
	s_and_saveexec_b32 s1, vcc_lo
	s_cbranch_execz .LBB60_31
.LBB60_64:                              ;   in Loop: Header=BB60_29 Depth=1
	v_cmp_gt_i32_e64 s0, s7, v178
	s_wait_loadcnt 0x0
	s_wait_alu 0xf1ff
	s_delay_alu instid0(VALU_DEP_1) | instskip(SKIP_2) | instid1(VALU_DEP_1)
	v_cndmask_b32_e64 v9, 0, v9, s0
	v_cmp_gt_i32_e64 s0, s7, v180
	s_wait_alu 0xf1ff
	v_cndmask_b32_e64 v10, 0, v10, s0
	v_cmp_gt_i32_e64 s0, s7, v179
	s_wait_alu 0xf1ff
	s_delay_alu instid0(VALU_DEP_1) | instskip(SKIP_2) | instid1(VALU_DEP_1)
	v_cndmask_b32_e64 v11, 0, v11, s0
	v_cmp_gt_i32_e64 s0, s7, v174
	s_wait_alu 0xf1ff
	v_cndmask_b32_e64 v12, 0, v12, s0
	s_wait_alu 0xfffe
	s_or_b32 exec_lo, exec_lo, s1
	global_load_b128 v[13:16], v[101:102], off offset:1024
	s_and_saveexec_b32 s1, vcc_lo
	s_cbranch_execz .LBB60_32
.LBB60_65:                              ;   in Loop: Header=BB60_29 Depth=1
	v_cmp_gt_i32_e64 s0, s7, v178
	s_wait_loadcnt 0x0
	s_wait_alu 0xf1ff
	s_delay_alu instid0(VALU_DEP_1) | instskip(SKIP_2) | instid1(VALU_DEP_1)
	v_cndmask_b32_e64 v13, 0, v13, s0
	v_cmp_gt_i32_e64 s0, s7, v180
	s_wait_alu 0xf1ff
	v_cndmask_b32_e64 v14, 0, v14, s0
	v_cmp_gt_i32_e64 s0, s7, v179
	s_wait_alu 0xf1ff
	s_delay_alu instid0(VALU_DEP_1) | instskip(SKIP_2) | instid1(VALU_DEP_1)
	v_cndmask_b32_e64 v15, 0, v15, s0
	v_cmp_gt_i32_e64 s0, s7, v174
	s_wait_alu 0xf1ff
	v_cndmask_b32_e64 v16, 0, v16, s0
	s_wait_alu 0xfffe
	s_or_b32 exec_lo, exec_lo, s1
	global_load_b128 v[17:20], v[101:102], off offset:1536
	s_and_saveexec_b32 s1, vcc_lo
	s_cbranch_execz .LBB60_33
.LBB60_66:                              ;   in Loop: Header=BB60_29 Depth=1
	v_cmp_gt_i32_e64 s0, s7, v178
	s_wait_loadcnt 0x0
	s_wait_alu 0xf1ff
	s_delay_alu instid0(VALU_DEP_1) | instskip(SKIP_2) | instid1(VALU_DEP_1)
	v_cndmask_b32_e64 v17, 0, v17, s0
	v_cmp_gt_i32_e64 s0, s7, v180
	s_wait_alu 0xf1ff
	v_cndmask_b32_e64 v18, 0, v18, s0
	v_cmp_gt_i32_e64 s0, s7, v179
	s_wait_alu 0xf1ff
	s_delay_alu instid0(VALU_DEP_1) | instskip(SKIP_2) | instid1(VALU_DEP_1)
	v_cndmask_b32_e64 v19, 0, v19, s0
	v_cmp_gt_i32_e64 s0, s7, v174
	s_wait_alu 0xf1ff
	v_cndmask_b32_e64 v20, 0, v20, s0
	s_wait_alu 0xfffe
	s_or_b32 exec_lo, exec_lo, s1
	global_load_b128 v[21:24], v[101:102], off offset:2048
	s_and_saveexec_b32 s1, vcc_lo
	s_cbranch_execz .LBB60_34
.LBB60_67:                              ;   in Loop: Header=BB60_29 Depth=1
	v_cmp_gt_i32_e64 s0, s7, v178
	s_wait_loadcnt 0x0
	s_wait_alu 0xf1ff
	s_delay_alu instid0(VALU_DEP_1) | instskip(SKIP_2) | instid1(VALU_DEP_1)
	v_cndmask_b32_e64 v21, 0, v21, s0
	v_cmp_gt_i32_e64 s0, s7, v180
	s_wait_alu 0xf1ff
	v_cndmask_b32_e64 v22, 0, v22, s0
	v_cmp_gt_i32_e64 s0, s7, v179
	s_wait_alu 0xf1ff
	s_delay_alu instid0(VALU_DEP_1) | instskip(SKIP_2) | instid1(VALU_DEP_1)
	v_cndmask_b32_e64 v23, 0, v23, s0
	v_cmp_gt_i32_e64 s0, s7, v174
	s_wait_alu 0xf1ff
	v_cndmask_b32_e64 v24, 0, v24, s0
	s_wait_alu 0xfffe
	s_or_b32 exec_lo, exec_lo, s1
	global_load_b128 v[25:28], v[101:102], off offset:2560
	s_and_saveexec_b32 s1, vcc_lo
	s_cbranch_execz .LBB60_35
.LBB60_68:                              ;   in Loop: Header=BB60_29 Depth=1
	v_cmp_gt_i32_e64 s0, s7, v178
	s_wait_loadcnt 0x0
	s_wait_alu 0xf1ff
	s_delay_alu instid0(VALU_DEP_1) | instskip(SKIP_2) | instid1(VALU_DEP_1)
	v_cndmask_b32_e64 v25, 0, v25, s0
	v_cmp_gt_i32_e64 s0, s7, v180
	s_wait_alu 0xf1ff
	v_cndmask_b32_e64 v26, 0, v26, s0
	v_cmp_gt_i32_e64 s0, s7, v179
	s_wait_alu 0xf1ff
	s_delay_alu instid0(VALU_DEP_1) | instskip(SKIP_2) | instid1(VALU_DEP_1)
	v_cndmask_b32_e64 v27, 0, v27, s0
	v_cmp_gt_i32_e64 s0, s7, v174
	s_wait_alu 0xf1ff
	v_cndmask_b32_e64 v28, 0, v28, s0
	s_wait_alu 0xfffe
	s_or_b32 exec_lo, exec_lo, s1
	global_load_b128 v[29:32], v[101:102], off offset:3072
	s_and_saveexec_b32 s1, vcc_lo
	s_cbranch_execz .LBB60_36
.LBB60_69:                              ;   in Loop: Header=BB60_29 Depth=1
	v_cmp_gt_i32_e64 s0, s7, v178
	s_wait_loadcnt 0x0
	s_wait_alu 0xf1ff
	s_delay_alu instid0(VALU_DEP_1) | instskip(SKIP_2) | instid1(VALU_DEP_1)
	v_cndmask_b32_e64 v29, 0, v29, s0
	v_cmp_gt_i32_e64 s0, s7, v180
	s_wait_alu 0xf1ff
	v_cndmask_b32_e64 v30, 0, v30, s0
	v_cmp_gt_i32_e64 s0, s7, v179
	s_wait_alu 0xf1ff
	s_delay_alu instid0(VALU_DEP_1) | instskip(SKIP_2) | instid1(VALU_DEP_1)
	v_cndmask_b32_e64 v31, 0, v31, s0
	v_cmp_gt_i32_e64 s0, s7, v174
	s_wait_alu 0xf1ff
	v_cndmask_b32_e64 v32, 0, v32, s0
	s_wait_alu 0xfffe
	s_or_b32 exec_lo, exec_lo, s1
	global_load_b128 v[33:36], v[101:102], off offset:3584
	s_and_saveexec_b32 s1, vcc_lo
	s_cbranch_execz .LBB60_37
.LBB60_70:                              ;   in Loop: Header=BB60_29 Depth=1
	v_cmp_gt_i32_e64 s0, s7, v178
	s_wait_loadcnt 0x0
	s_wait_alu 0xf1ff
	s_delay_alu instid0(VALU_DEP_1) | instskip(SKIP_2) | instid1(VALU_DEP_1)
	v_cndmask_b32_e64 v33, 0, v33, s0
	v_cmp_gt_i32_e64 s0, s7, v180
	s_wait_alu 0xf1ff
	v_cndmask_b32_e64 v34, 0, v34, s0
	v_cmp_gt_i32_e64 s0, s7, v179
	s_wait_alu 0xf1ff
	s_delay_alu instid0(VALU_DEP_1) | instskip(SKIP_2) | instid1(VALU_DEP_1)
	v_cndmask_b32_e64 v35, 0, v35, s0
	v_cmp_gt_i32_e64 s0, s7, v174
	s_wait_alu 0xf1ff
	v_cndmask_b32_e64 v36, 0, v36, s0
	s_wait_alu 0xfffe
	s_or_b32 exec_lo, exec_lo, s1
	global_load_b128 v[37:40], v[101:102], off offset:4096
	s_and_saveexec_b32 s1, vcc_lo
	s_cbranch_execz .LBB60_38
.LBB60_71:                              ;   in Loop: Header=BB60_29 Depth=1
	v_cmp_gt_i32_e64 s0, s7, v178
	s_wait_loadcnt 0x0
	s_wait_alu 0xf1ff
	s_delay_alu instid0(VALU_DEP_1) | instskip(SKIP_2) | instid1(VALU_DEP_1)
	v_cndmask_b32_e64 v37, 0, v37, s0
	v_cmp_gt_i32_e64 s0, s7, v180
	s_wait_alu 0xf1ff
	v_cndmask_b32_e64 v38, 0, v38, s0
	v_cmp_gt_i32_e64 s0, s7, v179
	s_wait_alu 0xf1ff
	s_delay_alu instid0(VALU_DEP_1) | instskip(SKIP_2) | instid1(VALU_DEP_1)
	v_cndmask_b32_e64 v39, 0, v39, s0
	v_cmp_gt_i32_e64 s0, s7, v174
	s_wait_alu 0xf1ff
	v_cndmask_b32_e64 v40, 0, v40, s0
	s_wait_alu 0xfffe
	s_or_b32 exec_lo, exec_lo, s1
	global_load_b128 v[41:44], v[101:102], off offset:4608
	s_and_saveexec_b32 s1, vcc_lo
	s_cbranch_execz .LBB60_39
.LBB60_72:                              ;   in Loop: Header=BB60_29 Depth=1
	v_cmp_gt_i32_e64 s0, s7, v178
	s_wait_loadcnt 0x0
	s_wait_alu 0xf1ff
	s_delay_alu instid0(VALU_DEP_1) | instskip(SKIP_2) | instid1(VALU_DEP_1)
	v_cndmask_b32_e64 v41, 0, v41, s0
	v_cmp_gt_i32_e64 s0, s7, v180
	s_wait_alu 0xf1ff
	v_cndmask_b32_e64 v42, 0, v42, s0
	v_cmp_gt_i32_e64 s0, s7, v179
	s_wait_alu 0xf1ff
	s_delay_alu instid0(VALU_DEP_1) | instskip(SKIP_2) | instid1(VALU_DEP_1)
	v_cndmask_b32_e64 v43, 0, v43, s0
	v_cmp_gt_i32_e64 s0, s7, v174
	s_wait_alu 0xf1ff
	v_cndmask_b32_e64 v44, 0, v44, s0
	s_wait_alu 0xfffe
	s_or_b32 exec_lo, exec_lo, s1
	global_load_b128 v[45:48], v[101:102], off offset:5120
	s_and_saveexec_b32 s1, vcc_lo
	s_cbranch_execz .LBB60_40
.LBB60_73:                              ;   in Loop: Header=BB60_29 Depth=1
	v_cmp_gt_i32_e64 s0, s7, v178
	s_wait_loadcnt 0x0
	s_wait_alu 0xf1ff
	s_delay_alu instid0(VALU_DEP_1) | instskip(SKIP_2) | instid1(VALU_DEP_1)
	v_cndmask_b32_e64 v45, 0, v45, s0
	v_cmp_gt_i32_e64 s0, s7, v180
	s_wait_alu 0xf1ff
	v_cndmask_b32_e64 v46, 0, v46, s0
	v_cmp_gt_i32_e64 s0, s7, v179
	s_wait_alu 0xf1ff
	s_delay_alu instid0(VALU_DEP_1) | instskip(SKIP_2) | instid1(VALU_DEP_1)
	v_cndmask_b32_e64 v47, 0, v47, s0
	v_cmp_gt_i32_e64 s0, s7, v174
	s_wait_alu 0xf1ff
	v_cndmask_b32_e64 v48, 0, v48, s0
	s_wait_alu 0xfffe
	s_or_b32 exec_lo, exec_lo, s1
	global_load_b128 v[49:52], v[101:102], off offset:5632
	s_and_saveexec_b32 s1, vcc_lo
	s_cbranch_execz .LBB60_41
.LBB60_74:                              ;   in Loop: Header=BB60_29 Depth=1
	v_cmp_gt_i32_e64 s0, s7, v178
	s_wait_loadcnt 0x0
	s_wait_alu 0xf1ff
	s_delay_alu instid0(VALU_DEP_1) | instskip(SKIP_2) | instid1(VALU_DEP_1)
	v_cndmask_b32_e64 v49, 0, v49, s0
	v_cmp_gt_i32_e64 s0, s7, v180
	s_wait_alu 0xf1ff
	v_cndmask_b32_e64 v50, 0, v50, s0
	v_cmp_gt_i32_e64 s0, s7, v179
	s_wait_alu 0xf1ff
	s_delay_alu instid0(VALU_DEP_1) | instskip(SKIP_2) | instid1(VALU_DEP_1)
	v_cndmask_b32_e64 v51, 0, v51, s0
	v_cmp_gt_i32_e64 s0, s7, v174
	s_wait_alu 0xf1ff
	v_cndmask_b32_e64 v52, 0, v52, s0
	s_wait_alu 0xfffe
	s_or_b32 exec_lo, exec_lo, s1
	global_load_b128 v[53:56], v[101:102], off offset:6144
	s_and_saveexec_b32 s1, vcc_lo
	s_cbranch_execz .LBB60_42
.LBB60_75:                              ;   in Loop: Header=BB60_29 Depth=1
	v_cmp_gt_i32_e64 s0, s7, v178
	s_wait_loadcnt 0x0
	s_wait_alu 0xf1ff
	s_delay_alu instid0(VALU_DEP_1) | instskip(SKIP_2) | instid1(VALU_DEP_1)
	v_cndmask_b32_e64 v53, 0, v53, s0
	v_cmp_gt_i32_e64 s0, s7, v180
	s_wait_alu 0xf1ff
	v_cndmask_b32_e64 v54, 0, v54, s0
	v_cmp_gt_i32_e64 s0, s7, v179
	s_wait_alu 0xf1ff
	s_delay_alu instid0(VALU_DEP_1) | instskip(SKIP_2) | instid1(VALU_DEP_1)
	v_cndmask_b32_e64 v55, 0, v55, s0
	v_cmp_gt_i32_e64 s0, s7, v174
	s_wait_alu 0xf1ff
	v_cndmask_b32_e64 v56, 0, v56, s0
	s_wait_alu 0xfffe
	s_or_b32 exec_lo, exec_lo, s1
	global_load_b128 v[57:60], v[101:102], off offset:6656
	s_and_saveexec_b32 s1, vcc_lo
	s_cbranch_execz .LBB60_43
.LBB60_76:                              ;   in Loop: Header=BB60_29 Depth=1
	v_cmp_gt_i32_e64 s0, s7, v178
	s_wait_loadcnt 0x0
	s_wait_alu 0xf1ff
	s_delay_alu instid0(VALU_DEP_1) | instskip(SKIP_2) | instid1(VALU_DEP_1)
	v_cndmask_b32_e64 v57, 0, v57, s0
	v_cmp_gt_i32_e64 s0, s7, v180
	s_wait_alu 0xf1ff
	v_cndmask_b32_e64 v58, 0, v58, s0
	v_cmp_gt_i32_e64 s0, s7, v179
	s_wait_alu 0xf1ff
	s_delay_alu instid0(VALU_DEP_1) | instskip(SKIP_2) | instid1(VALU_DEP_1)
	v_cndmask_b32_e64 v59, 0, v59, s0
	v_cmp_gt_i32_e64 s0, s7, v174
	s_wait_alu 0xf1ff
	v_cndmask_b32_e64 v60, 0, v60, s0
	s_wait_alu 0xfffe
	s_or_b32 exec_lo, exec_lo, s1
	global_load_b128 v[61:64], v[101:102], off offset:7168
	s_and_saveexec_b32 s1, vcc_lo
	s_cbranch_execz .LBB60_44
.LBB60_77:                              ;   in Loop: Header=BB60_29 Depth=1
	v_cmp_gt_i32_e64 s0, s7, v178
	s_wait_loadcnt 0x0
	s_wait_alu 0xf1ff
	s_delay_alu instid0(VALU_DEP_1) | instskip(SKIP_2) | instid1(VALU_DEP_1)
	v_cndmask_b32_e64 v61, 0, v61, s0
	v_cmp_gt_i32_e64 s0, s7, v180
	s_wait_alu 0xf1ff
	v_cndmask_b32_e64 v62, 0, v62, s0
	v_cmp_gt_i32_e64 s0, s7, v179
	s_wait_alu 0xf1ff
	s_delay_alu instid0(VALU_DEP_1) | instskip(SKIP_2) | instid1(VALU_DEP_1)
	v_cndmask_b32_e64 v63, 0, v63, s0
	v_cmp_gt_i32_e64 s0, s7, v174
	s_wait_alu 0xf1ff
	v_cndmask_b32_e64 v64, 0, v64, s0
	s_wait_alu 0xfffe
	s_or_b32 exec_lo, exec_lo, s1
	global_load_b128 v[65:68], v[101:102], off offset:7680
	s_and_saveexec_b32 s1, vcc_lo
	s_cbranch_execz .LBB60_45
.LBB60_78:                              ;   in Loop: Header=BB60_29 Depth=1
	v_cmp_gt_i32_e64 s0, s7, v178
	s_wait_loadcnt 0x0
	s_wait_alu 0xf1ff
	s_delay_alu instid0(VALU_DEP_1) | instskip(SKIP_2) | instid1(VALU_DEP_1)
	v_cndmask_b32_e64 v65, 0, v65, s0
	v_cmp_gt_i32_e64 s0, s7, v180
	s_wait_alu 0xf1ff
	v_cndmask_b32_e64 v66, 0, v66, s0
	v_cmp_gt_i32_e64 s0, s7, v179
	s_wait_alu 0xf1ff
	s_delay_alu instid0(VALU_DEP_1) | instskip(SKIP_2) | instid1(VALU_DEP_1)
	v_cndmask_b32_e64 v67, 0, v67, s0
	v_cmp_gt_i32_e64 s0, s7, v174
	s_wait_alu 0xf1ff
	v_cndmask_b32_e64 v68, 0, v68, s0
	s_wait_alu 0xfffe
	s_or_b32 exec_lo, exec_lo, s1
	global_load_b128 v[69:72], v[101:102], off offset:8192
	s_and_saveexec_b32 s1, vcc_lo
	s_cbranch_execz .LBB60_46
.LBB60_79:                              ;   in Loop: Header=BB60_29 Depth=1
	v_cmp_gt_i32_e64 s0, s7, v178
	s_wait_loadcnt 0x0
	s_wait_alu 0xf1ff
	s_delay_alu instid0(VALU_DEP_1) | instskip(SKIP_2) | instid1(VALU_DEP_1)
	v_cndmask_b32_e64 v69, 0, v69, s0
	v_cmp_gt_i32_e64 s0, s7, v180
	s_wait_alu 0xf1ff
	v_cndmask_b32_e64 v70, 0, v70, s0
	v_cmp_gt_i32_e64 s0, s7, v179
	s_wait_alu 0xf1ff
	s_delay_alu instid0(VALU_DEP_1) | instskip(SKIP_2) | instid1(VALU_DEP_1)
	v_cndmask_b32_e64 v71, 0, v71, s0
	v_cmp_gt_i32_e64 s0, s7, v174
	s_wait_alu 0xf1ff
	v_cndmask_b32_e64 v72, 0, v72, s0
	s_wait_alu 0xfffe
	s_or_b32 exec_lo, exec_lo, s1
	global_load_b128 v[73:76], v[101:102], off offset:8704
	s_and_saveexec_b32 s1, vcc_lo
	s_cbranch_execz .LBB60_47
.LBB60_80:                              ;   in Loop: Header=BB60_29 Depth=1
	v_cmp_gt_i32_e64 s0, s7, v178
	s_wait_loadcnt 0x0
	s_wait_alu 0xf1ff
	s_delay_alu instid0(VALU_DEP_1) | instskip(SKIP_2) | instid1(VALU_DEP_1)
	v_cndmask_b32_e64 v73, 0, v73, s0
	v_cmp_gt_i32_e64 s0, s7, v180
	s_wait_alu 0xf1ff
	v_cndmask_b32_e64 v74, 0, v74, s0
	v_cmp_gt_i32_e64 s0, s7, v179
	s_wait_alu 0xf1ff
	s_delay_alu instid0(VALU_DEP_1) | instskip(SKIP_2) | instid1(VALU_DEP_1)
	v_cndmask_b32_e64 v75, 0, v75, s0
	v_cmp_gt_i32_e64 s0, s7, v174
	s_wait_alu 0xf1ff
	v_cndmask_b32_e64 v76, 0, v76, s0
	s_wait_alu 0xfffe
	s_or_b32 exec_lo, exec_lo, s1
	global_load_b128 v[77:80], v[101:102], off offset:9216
	s_and_saveexec_b32 s1, vcc_lo
	s_cbranch_execz .LBB60_48
.LBB60_81:                              ;   in Loop: Header=BB60_29 Depth=1
	v_cmp_gt_i32_e64 s0, s7, v178
	s_wait_loadcnt 0x0
	s_wait_alu 0xf1ff
	s_delay_alu instid0(VALU_DEP_1) | instskip(SKIP_2) | instid1(VALU_DEP_1)
	v_cndmask_b32_e64 v77, 0, v77, s0
	v_cmp_gt_i32_e64 s0, s7, v180
	s_wait_alu 0xf1ff
	v_cndmask_b32_e64 v78, 0, v78, s0
	v_cmp_gt_i32_e64 s0, s7, v179
	s_wait_alu 0xf1ff
	s_delay_alu instid0(VALU_DEP_1) | instskip(SKIP_2) | instid1(VALU_DEP_1)
	v_cndmask_b32_e64 v79, 0, v79, s0
	v_cmp_gt_i32_e64 s0, s7, v174
	s_wait_alu 0xf1ff
	v_cndmask_b32_e64 v80, 0, v80, s0
	s_wait_alu 0xfffe
	s_or_b32 exec_lo, exec_lo, s1
	global_load_b128 v[81:84], v[101:102], off offset:9728
	s_and_saveexec_b32 s1, vcc_lo
	s_cbranch_execz .LBB60_49
.LBB60_82:                              ;   in Loop: Header=BB60_29 Depth=1
	v_cmp_gt_i32_e64 s0, s7, v178
	s_wait_loadcnt 0x0
	s_wait_alu 0xf1ff
	s_delay_alu instid0(VALU_DEP_1) | instskip(SKIP_2) | instid1(VALU_DEP_1)
	v_cndmask_b32_e64 v81, 0, v81, s0
	v_cmp_gt_i32_e64 s0, s7, v180
	s_wait_alu 0xf1ff
	v_cndmask_b32_e64 v82, 0, v82, s0
	v_cmp_gt_i32_e64 s0, s7, v179
	s_wait_alu 0xf1ff
	s_delay_alu instid0(VALU_DEP_1) | instskip(SKIP_2) | instid1(VALU_DEP_1)
	v_cndmask_b32_e64 v83, 0, v83, s0
	v_cmp_gt_i32_e64 s0, s7, v174
	s_wait_alu 0xf1ff
	v_cndmask_b32_e64 v84, 0, v84, s0
	s_wait_alu 0xfffe
	s_or_b32 exec_lo, exec_lo, s1
	global_load_b128 v[85:88], v[101:102], off offset:10240
	s_and_saveexec_b32 s1, vcc_lo
	s_cbranch_execz .LBB60_50
.LBB60_83:                              ;   in Loop: Header=BB60_29 Depth=1
	v_cmp_gt_i32_e64 s0, s7, v178
	s_wait_loadcnt 0x0
	s_wait_alu 0xf1ff
	s_delay_alu instid0(VALU_DEP_1) | instskip(SKIP_2) | instid1(VALU_DEP_1)
	v_cndmask_b32_e64 v85, 0, v85, s0
	v_cmp_gt_i32_e64 s0, s7, v180
	s_wait_alu 0xf1ff
	v_cndmask_b32_e64 v86, 0, v86, s0
	v_cmp_gt_i32_e64 s0, s7, v179
	s_wait_alu 0xf1ff
	s_delay_alu instid0(VALU_DEP_1) | instskip(SKIP_2) | instid1(VALU_DEP_1)
	v_cndmask_b32_e64 v87, 0, v87, s0
	v_cmp_gt_i32_e64 s0, s7, v174
	s_wait_alu 0xf1ff
	v_cndmask_b32_e64 v88, 0, v88, s0
	s_wait_alu 0xfffe
	s_or_b32 exec_lo, exec_lo, s1
	global_load_b128 v[89:92], v[101:102], off offset:10752
	s_and_saveexec_b32 s1, vcc_lo
	s_cbranch_execz .LBB60_51
.LBB60_84:                              ;   in Loop: Header=BB60_29 Depth=1
	v_cmp_gt_i32_e64 s0, s7, v178
	s_wait_loadcnt 0x0
	s_wait_alu 0xf1ff
	s_delay_alu instid0(VALU_DEP_1) | instskip(SKIP_2) | instid1(VALU_DEP_1)
	v_cndmask_b32_e64 v89, 0, v89, s0
	v_cmp_gt_i32_e64 s0, s7, v180
	s_wait_alu 0xf1ff
	v_cndmask_b32_e64 v90, 0, v90, s0
	v_cmp_gt_i32_e64 s0, s7, v179
	s_wait_alu 0xf1ff
	s_delay_alu instid0(VALU_DEP_1) | instskip(SKIP_2) | instid1(VALU_DEP_1)
	v_cndmask_b32_e64 v91, 0, v91, s0
	v_cmp_gt_i32_e64 s0, s7, v174
	s_wait_alu 0xf1ff
	v_cndmask_b32_e64 v92, 0, v92, s0
	s_wait_alu 0xfffe
	s_or_b32 exec_lo, exec_lo, s1
	global_load_b128 v[93:96], v[101:102], off offset:11264
	s_and_saveexec_b32 s1, vcc_lo
	s_cbranch_execz .LBB60_52
.LBB60_85:                              ;   in Loop: Header=BB60_29 Depth=1
	v_cmp_gt_i32_e64 s0, s7, v178
	s_wait_loadcnt 0x0
	s_wait_alu 0xf1ff
	s_delay_alu instid0(VALU_DEP_1) | instskip(SKIP_2) | instid1(VALU_DEP_1)
	v_cndmask_b32_e64 v93, 0, v93, s0
	v_cmp_gt_i32_e64 s0, s7, v180
	s_wait_alu 0xf1ff
	v_cndmask_b32_e64 v94, 0, v94, s0
	v_cmp_gt_i32_e64 s0, s7, v179
	s_wait_alu 0xf1ff
	s_delay_alu instid0(VALU_DEP_1) | instskip(SKIP_2) | instid1(VALU_DEP_1)
	v_cndmask_b32_e64 v95, 0, v95, s0
	v_cmp_gt_i32_e64 s0, s7, v174
	s_wait_alu 0xf1ff
	v_cndmask_b32_e64 v96, 0, v96, s0
	s_wait_alu 0xfffe
	s_or_b32 exec_lo, exec_lo, s1
	global_load_b128 v[97:100], v[101:102], off offset:11776
	s_and_saveexec_b32 s1, vcc_lo
	s_cbranch_execz .LBB60_53
.LBB60_86:                              ;   in Loop: Header=BB60_29 Depth=1
	v_cmp_gt_i32_e64 s0, s7, v178
	s_wait_loadcnt 0x0
	s_wait_alu 0xf1ff
	s_delay_alu instid0(VALU_DEP_1) | instskip(SKIP_2) | instid1(VALU_DEP_1)
	v_cndmask_b32_e64 v97, 0, v97, s0
	v_cmp_gt_i32_e64 s0, s7, v180
	s_wait_alu 0xf1ff
	v_cndmask_b32_e64 v98, 0, v98, s0
	v_cmp_gt_i32_e64 s0, s7, v179
	s_wait_alu 0xf1ff
	s_delay_alu instid0(VALU_DEP_1) | instskip(SKIP_2) | instid1(VALU_DEP_1)
	v_cndmask_b32_e64 v99, 0, v99, s0
	v_cmp_gt_i32_e64 s0, s7, v174
	s_wait_alu 0xf1ff
	v_cndmask_b32_e64 v100, 0, v100, s0
	s_wait_alu 0xfffe
	s_or_b32 exec_lo, exec_lo, s1
	global_load_b128 v[105:108], v[101:102], off offset:12288
	s_and_saveexec_b32 s1, vcc_lo
	s_cbranch_execz .LBB60_54
.LBB60_87:                              ;   in Loop: Header=BB60_29 Depth=1
	v_cmp_gt_i32_e64 s0, s7, v178
	s_wait_loadcnt 0x0
	s_wait_alu 0xf1ff
	s_delay_alu instid0(VALU_DEP_1) | instskip(SKIP_2) | instid1(VALU_DEP_1)
	v_cndmask_b32_e64 v105, 0, v105, s0
	v_cmp_gt_i32_e64 s0, s7, v180
	s_wait_alu 0xf1ff
	v_cndmask_b32_e64 v106, 0, v106, s0
	v_cmp_gt_i32_e64 s0, s7, v179
	s_wait_alu 0xf1ff
	s_delay_alu instid0(VALU_DEP_1) | instskip(SKIP_2) | instid1(VALU_DEP_1)
	v_cndmask_b32_e64 v107, 0, v107, s0
	v_cmp_gt_i32_e64 s0, s7, v174
	s_wait_alu 0xf1ff
	v_cndmask_b32_e64 v108, 0, v108, s0
	s_wait_alu 0xfffe
	s_or_b32 exec_lo, exec_lo, s1
	global_load_b128 v[109:112], v[101:102], off offset:12800
	s_and_saveexec_b32 s1, vcc_lo
	s_cbranch_execz .LBB60_55
.LBB60_88:                              ;   in Loop: Header=BB60_29 Depth=1
	v_cmp_gt_i32_e64 s0, s7, v178
	s_wait_loadcnt 0x0
	s_wait_alu 0xf1ff
	s_delay_alu instid0(VALU_DEP_1) | instskip(SKIP_2) | instid1(VALU_DEP_1)
	v_cndmask_b32_e64 v109, 0, v109, s0
	v_cmp_gt_i32_e64 s0, s7, v180
	s_wait_alu 0xf1ff
	v_cndmask_b32_e64 v110, 0, v110, s0
	v_cmp_gt_i32_e64 s0, s7, v179
	s_wait_alu 0xf1ff
	s_delay_alu instid0(VALU_DEP_1) | instskip(SKIP_2) | instid1(VALU_DEP_1)
	v_cndmask_b32_e64 v111, 0, v111, s0
	v_cmp_gt_i32_e64 s0, s7, v174
	s_wait_alu 0xf1ff
	v_cndmask_b32_e64 v112, 0, v112, s0
	s_wait_alu 0xfffe
	s_or_b32 exec_lo, exec_lo, s1
	global_load_b128 v[113:116], v[101:102], off offset:13312
	s_and_saveexec_b32 s1, vcc_lo
	s_cbranch_execz .LBB60_56
.LBB60_89:                              ;   in Loop: Header=BB60_29 Depth=1
	v_cmp_gt_i32_e64 s0, s7, v178
	s_wait_loadcnt 0x0
	s_wait_alu 0xf1ff
	s_delay_alu instid0(VALU_DEP_1) | instskip(SKIP_2) | instid1(VALU_DEP_1)
	v_cndmask_b32_e64 v113, 0, v113, s0
	v_cmp_gt_i32_e64 s0, s7, v180
	s_wait_alu 0xf1ff
	v_cndmask_b32_e64 v114, 0, v114, s0
	v_cmp_gt_i32_e64 s0, s7, v179
	s_wait_alu 0xf1ff
	s_delay_alu instid0(VALU_DEP_1) | instskip(SKIP_2) | instid1(VALU_DEP_1)
	v_cndmask_b32_e64 v115, 0, v115, s0
	v_cmp_gt_i32_e64 s0, s7, v174
	s_wait_alu 0xf1ff
	v_cndmask_b32_e64 v116, 0, v116, s0
	s_wait_alu 0xfffe
	s_or_b32 exec_lo, exec_lo, s1
	global_load_b128 v[117:120], v[101:102], off offset:13824
	s_and_saveexec_b32 s19, vcc_lo
	s_cbranch_execz .LBB60_57
.LBB60_90:                              ;   in Loop: Header=BB60_29 Depth=1
	v_cmp_gt_i32_e64 s0, s7, v178
	v_cmp_gt_i32_e64 s1, s7, v180
	;; [unrolled: 1-line block ×4, first 2 shown]
	s_wait_loadcnt 0x0
	s_wait_alu 0xf1ff
	v_cndmask_b32_e64 v117, 0, v117, s0
	v_cndmask_b32_e64 v118, 0, v118, s1
	;; [unrolled: 1-line block ×4, first 2 shown]
	s_or_b32 exec_lo, exec_lo, s19
	global_load_b128 v[121:124], v[101:102], off offset:14336
	s_and_saveexec_b32 s1, vcc_lo
	s_cbranch_execz .LBB60_58
.LBB60_91:                              ;   in Loop: Header=BB60_29 Depth=1
	v_cmp_gt_i32_e64 s0, s7, v178
	s_wait_loadcnt 0x0
	s_wait_alu 0xf1ff
	s_delay_alu instid0(VALU_DEP_1) | instskip(SKIP_2) | instid1(VALU_DEP_1)
	v_cndmask_b32_e64 v121, 0, v121, s0
	v_cmp_gt_i32_e64 s0, s7, v180
	s_wait_alu 0xf1ff
	v_cndmask_b32_e64 v122, 0, v122, s0
	v_cmp_gt_i32_e64 s0, s7, v179
	s_wait_alu 0xf1ff
	s_delay_alu instid0(VALU_DEP_1) | instskip(SKIP_2) | instid1(VALU_DEP_1)
	v_cndmask_b32_e64 v123, 0, v123, s0
	v_cmp_gt_i32_e64 s0, s7, v174
	s_wait_alu 0xf1ff
	v_cndmask_b32_e64 v124, 0, v124, s0
	s_wait_alu 0xfffe
	s_or_b32 exec_lo, exec_lo, s1
	global_load_b128 v[125:128], v[101:102], off offset:14848
	s_and_saveexec_b32 s1, vcc_lo
	s_cbranch_execz .LBB60_59
.LBB60_92:                              ;   in Loop: Header=BB60_29 Depth=1
	v_cmp_gt_i32_e64 s0, s7, v178
	s_wait_loadcnt 0x0
	s_wait_alu 0xf1ff
	s_delay_alu instid0(VALU_DEP_1) | instskip(SKIP_2) | instid1(VALU_DEP_1)
	v_cndmask_b32_e64 v125, 0, v125, s0
	v_cmp_gt_i32_e64 s0, s7, v180
	s_wait_alu 0xf1ff
	v_cndmask_b32_e64 v126, 0, v126, s0
	v_cmp_gt_i32_e64 s0, s7, v179
	s_wait_alu 0xf1ff
	s_delay_alu instid0(VALU_DEP_1) | instskip(SKIP_2) | instid1(VALU_DEP_1)
	v_cndmask_b32_e64 v127, 0, v127, s0
	v_cmp_gt_i32_e64 s0, s7, v174
	s_wait_alu 0xf1ff
	v_cndmask_b32_e64 v128, 0, v128, s0
	s_wait_alu 0xfffe
	s_or_b32 exec_lo, exec_lo, s1
	global_load_b128 v[129:132], v[101:102], off offset:15360
	s_and_saveexec_b32 s1, vcc_lo
	s_cbranch_execnz .LBB60_60
	s_branch .LBB60_61
.LBB60_93:
	s_or_b32 exec_lo, exec_lo, s11
.LBB60_94:
	s_wait_alu 0xfffe
	s_or_b32 exec_lo, exec_lo, s5
	ds_bpermute_b32 v1, v140, v171
	ds_bpermute_b32 v2, v140, v173
	;; [unrolled: 1-line block ×20, first 2 shown]
	s_wait_dscnt 0x12
	v_dual_add_f32 v1, v171, v1 :: v_dual_add_f32 v2, v173, v2
	s_wait_dscnt 0x10
	v_dual_add_f32 v3, v172, v3 :: v_dual_add_f32 v4, v170, v4
	s_wait_dscnt 0xf
	v_add_f32_e32 v7, v167, v7
	ds_bpermute_b32 v18, v139, v1
	ds_bpermute_b32 v19, v139, v2
	;; [unrolled: 1-line block ×4, first 2 shown]
	s_wait_dscnt 0x12
	v_add_f32_e32 v11, v163, v11
	s_wait_dscnt 0x10
	v_dual_add_f32 v5, v169, v5 :: v_dual_add_f32 v6, v168, v6
	s_wait_dscnt 0xe
	v_dual_add_f32 v8, v166, v8 :: v_dual_add_f32 v9, v165, v9
	s_wait_dscnt 0xd
	v_add_f32_e32 v10, v164, v10
	s_wait_dscnt 0xc
	v_add_f32_e32 v12, v162, v12
	ds_bpermute_b32 v24, v139, v7
	s_wait_dscnt 0xc
	v_add_f32_e32 v13, v161, v13
	ds_bpermute_b32 v29, v139, v11
	ds_bpermute_b32 v22, v139, v5
	;; [unrolled: 1-line block ×7, first 2 shown]
	s_wait_dscnt 0xa
	v_dual_add_f32 v1, v1, v18 :: v_dual_add_f32 v2, v2, v19
	s_wait_dscnt 0x9
	v_dual_add_f32 v3, v3, v20 :: v_dual_add_f32 v14, v160, v14
	s_wait_dscnt 0x8
	v_add_f32_e32 v4, v4, v21
	ds_bpermute_b32 v18, v138, v1
	ds_bpermute_b32 v19, v138, v2
	;; [unrolled: 1-line block ×3, first 2 shown]
	v_dual_add_f32 v15, v159, v15 :: v_dual_add_f32 v16, v158, v16
	ds_bpermute_b32 v21, v138, v4
	s_wait_dscnt 0xb
	v_add_f32_e32 v7, v7, v24
	ds_bpermute_b32 v31, v139, v13
	s_wait_dscnt 0xb
	v_add_f32_e32 v11, v11, v29
	s_wait_dscnt 0x9
	v_dual_add_f32 v5, v5, v22 :: v_dual_add_f32 v6, v6, v23
	s_wait_dscnt 0x7
	v_dual_add_f32 v8, v8, v25 :: v_dual_add_f32 v9, v9, v26
	s_wait_dscnt 0x6
	v_add_f32_e32 v10, v10, v28
	s_wait_dscnt 0x5
	v_add_f32_e32 v12, v12, v30
	ds_bpermute_b32 v24, v138, v7
	ds_bpermute_b32 v29, v138, v11
	;; [unrolled: 1-line block ×5, first 2 shown]
	s_wait_dscnt 0x8
	v_dual_add_f32 v1, v1, v18 :: v_dual_add_f32 v2, v2, v19
	ds_bpermute_b32 v18, v139, v14
	ds_bpermute_b32 v19, v140, v155
	;; [unrolled: 1-line block ×4, first 2 shown]
	s_wait_dscnt 0xa
	v_dual_add_f32 v3, v3, v20 :: v_dual_add_f32 v4, v4, v21
	ds_bpermute_b32 v21, v139, v15
	ds_bpermute_b32 v30, v140, v154
	v_add_f32_e32 v17, v157, v17
	ds_bpermute_b32 v40, v140, v142
	ds_bpermute_b32 v20, v138, v12
	s_wait_dscnt 0xd
	v_add_f32_e32 v13, v13, v31
	ds_bpermute_b32 v35, v140, v146
	s_wait_dscnt 0xd
	v_dual_add_f32 v7, v7, v24 :: v_dual_add_f32 v24, v156, v27
	s_wait_dscnt 0xc
	v_add_f32_e32 v11, v11, v29
	s_wait_dscnt 0x9
	v_dual_add_f32 v5, v5, v22 :: v_dual_add_f32 v8, v8, v25
	v_add_f32_e32 v6, v6, v23
	ds_bpermute_b32 v22, v139, v16
	s_wait_dscnt 0x9
	v_add_f32_e32 v14, v14, v18
	s_wait_dscnt 0x8
	v_add_f32_e32 v18, v155, v19
	ds_bpermute_b32 v23, v139, v17
	s_wait_dscnt 0x7
	v_dual_add_f32 v9, v9, v26 :: v_dual_add_f32 v10, v10, v28
	ds_bpermute_b32 v25, v139, v24
	ds_bpermute_b32 v19, v140, v153
	;; [unrolled: 1-line block ×3, first 2 shown]
	s_wait_dscnt 0x9
	v_add_f32_e32 v15, v15, v21
	s_wait_dscnt 0x8
	v_add_f32_e32 v21, v154, v30
	ds_bpermute_b32 v27, v139, v18
	ds_bpermute_b32 v29, v140, v150
	;; [unrolled: 1-line block ×5, first 2 shown]
	v_dual_add_f32 v34, v147, v34 :: v_dual_add_f32 v33, v149, v33
	s_wait_dscnt 0xc
	v_add_f32_e32 v40, v142, v40
	ds_bpermute_b32 v26, v138, v14
	s_wait_dscnt 0xa
	v_add_f32_e32 v16, v16, v22
	ds_bpermute_b32 v22, v140, v151
	ds_bpermute_b32 v46, v139, v34
	s_wait_dscnt 0xb
	v_add_f32_e32 v17, v17, v23
	ds_bpermute_b32 v44, v139, v33
	;; [unrolled: 4-line block ×3, first 2 shown]
	s_wait_dscnt 0xc
	v_add_f32_e32 v19, v153, v19
	ds_bpermute_b32 v30, v138, v16
	s_wait_dscnt 0xb
	v_dual_add_f32 v12, v12, v20 :: v_dual_add_f32 v27, v18, v27
	v_add_f32_e32 v18, v152, v28
	ds_bpermute_b32 v28, v140, v144
	s_wait_dscnt 0xb
	v_add_f32_e32 v29, v150, v29
	ds_bpermute_b32 v38, v139, v19
	s_wait_dscnt 0x9
	v_add_f32_e32 v21, v21, v31
	ds_bpermute_b32 v41, v139, v18
	v_add_f32_e32 v35, v146, v35
	ds_bpermute_b32 v43, v139, v29
	v_add_f32_e32 v36, v145, v36
	s_wait_dscnt 0x9
	v_add_f32_e32 v22, v151, v22
	s_wait_dscnt 0x8
	v_dual_add_f32 v39, v143, v39 :: v_dual_add_f32 v34, v34, v46
	ds_bpermute_b32 v37, v138, v24
	ds_bpermute_b32 v48, v139, v36
	;; [unrolled: 1-line block ×3, first 2 shown]
	s_wait_dscnt 0x8
	v_dual_add_f32 v25, v148, v25 :: v_dual_add_f32 v14, v14, v26
	v_add_f32_e32 v40, v40, v49
	ds_bpermute_b32 v20, v138, v13
	ds_bpermute_b32 v23, v138, v15
	;; [unrolled: 1-line block ×3, first 2 shown]
	s_wait_dscnt 0x9
	v_add_f32_e32 v28, v144, v28
	ds_bpermute_b32 v32, v138, v17
	s_wait_dscnt 0x9
	v_add_f32_e32 v38, v19, v38
	ds_bpermute_b32 v47, v139, v35
	;; [unrolled: 3-line block ×3, first 2 shown]
	ds_bpermute_b32 v18, v139, v39
	s_wait_dscnt 0xa
	v_add_f32_e32 v29, v29, v43
	v_add_f32_e32 v33, v33, v44
	ds_bpermute_b32 v42, v138, v27
	ds_bpermute_b32 v43, v138, v38
	;; [unrolled: 1-line block ×4, first 2 shown]
	s_wait_dscnt 0xb
	v_dual_add_f32 v31, v22, v31 :: v_dual_add_f32 v36, v36, v48
	ds_bpermute_b32 v22, v138, v21
	ds_bpermute_b32 v50, v138, v41
	v_add_f32_e32 v16, v16, v30
	ds_bpermute_b32 v51, v138, v31
	s_wait_dscnt 0xb
	v_add_f32_e32 v45, v25, v45
	ds_bpermute_b32 v53, v138, v36
	v_add_f32_e32 v15, v15, v23
	s_wait_dscnt 0xb
	v_add_f32_e32 v17, v17, v32
	s_wait_dscnt 0xa
	v_add_f32_e32 v35, v35, v47
	ds_bpermute_b32 v46, v138, v45
	s_wait_dscnt 0xa
	v_add_f32_e32 v52, v28, v19
	ds_bpermute_b32 v25, v138, v33
	;; [unrolled: 3-line block ×3, first 2 shown]
	v_add_f32_e32 v18, v24, v37
	ds_bpermute_b32 v48, v138, v35
	ds_bpermute_b32 v49, v138, v52
	s_wait_dscnt 0x9
	v_add_f32_e32 v24, v29, v44
	ds_bpermute_b32 v54, v138, v39
	v_add_f32_e32 v13, v13, v20
	v_add_f32_e32 v19, v27, v42
	s_wait_dscnt 0x9
	v_dual_add_f32 v20, v21, v22 :: v_dual_add_f32 v21, v38, v43
	s_wait_dscnt 0x7
	v_dual_add_f32 v22, v41, v50 :: v_dual_add_f32 v23, v31, v51
	s_wait_dscnt 0x6
	v_dual_add_f32 v29, v36, v53 :: v_dual_and_b32 v36, 0x3c7, v0
	v_add_f32_e32 v32, v40, v55
	s_mov_b32 s0, exec_lo
	s_wait_dscnt 0x5
	v_add_f32_e32 v26, v45, v46
	s_wait_storecnt 0x0
	s_wait_loadcnt_dscnt 0x0
	v_add_f32_e32 v25, v33, v25
	v_lshrrev_b32_e32 v33, 3, v136
	v_add_f32_e32 v27, v34, v47
	s_barrier_signal -1
	v_add_f32_e32 v28, v35, v48
	v_add_f32_e32 v30, v52, v49
	v_lshl_add_u32 v34, v33, 2, 0x220
	v_add_f32_e32 v31, v39, v54
	v_lshlrev_b32_e32 v35, 9, v135
	s_barrier_wait -1
	global_inv scope:SCOPE_SE
	v_cmpx_eq_u32_e32 64, v36
	s_cbranch_execz .LBB60_96
; %bb.95:
	v_add_nc_u32_e32 v36, v34, v35
	s_delay_alu instid0(VALU_DEP_1)
	v_add_nc_u32_e32 v37, 0xfffffc00, v36
	v_add_nc_u32_e32 v38, 0xfffffc10, v36
	v_add_nc_u32_e32 v39, 0xfffffc20, v36
	v_add_nc_u32_e32 v40, 0xfffffc30, v36
	v_add_nc_u32_e32 v41, 0xfffffc40, v36
	v_add_nc_u32_e32 v42, 0xfffffc50, v36
	v_add_nc_u32_e32 v43, 0xfffffc60, v36
	v_add_nc_u32_e32 v44, 0xfffffc70, v36
	ds_store_b32 v37, v1
	ds_store_b32 v38, v2
	ds_store_b32 v39, v3
	ds_store_b32 v40, v4
	ds_store_b32 v41, v5
	ds_store_b32 v42, v6
	ds_store_b32 v43, v7
	ds_store_b32 v44, v8
	v_add_nc_u32_e32 v37, 0xfffffc80, v36
	v_add_nc_u32_e32 v38, 0xfffffc90, v36
	v_add_nc_u32_e32 v39, 0xfffffca0, v36
	v_add_nc_u32_e32 v40, 0xfffffcb0, v36
	v_add_nc_u32_e32 v41, 0xfffffcc0, v36
	v_add_nc_u32_e32 v42, 0xfffffcd0, v36
	v_add_nc_u32_e32 v43, 0xfffffce0, v36
	v_add_nc_u32_e32 v44, 0xfffffcf0, v36
	ds_store_b32 v37, v9
	ds_store_b32 v38, v10
	ds_store_b32 v39, v11
	ds_store_b32 v40, v12
	ds_store_b32 v41, v13
	ds_store_b32 v42, v14
	ds_store_b32 v43, v15
	ds_store_b32 v44, v16
	;; [unrolled: 16-line block ×4, first 2 shown]
.LBB60_96:
	s_wait_alu 0xfffe
	s_or_b32 exec_lo, exec_lo, s0
	v_lshlrev_b32_e32 v33, 2, v33
	s_mov_b32 s1, exec_lo
	v_cmp_eq_u32_e32 vcc_lo, 0, v141
	s_wait_loadcnt_dscnt 0x0
	s_barrier_signal -1
	v_add3_u32 v33, 0x220, v35, v33
	s_barrier_wait -1
	global_inv scope:SCOPE_SE
	v_cmpx_gt_u32_e32 64, v0
	s_cbranch_execz .LBB60_131
; %bb.97:
	s_and_saveexec_b32 s0, vcc_lo
	s_cbranch_execnz .LBB60_171
; %bb.98:
	s_wait_alu 0xfffe
	s_or_b32 exec_lo, exec_lo, s0
	s_and_saveexec_b32 s0, vcc_lo
	s_cbranch_execnz .LBB60_172
.LBB60_99:
	s_wait_alu 0xfffe
	s_or_b32 exec_lo, exec_lo, s0
	s_and_saveexec_b32 s0, vcc_lo
	s_cbranch_execnz .LBB60_173
.LBB60_100:
	s_wait_alu 0xfffe
	s_or_b32 exec_lo, exec_lo, s0
	s_and_saveexec_b32 s0, vcc_lo
	s_cbranch_execnz .LBB60_174
.LBB60_101:
	s_wait_alu 0xfffe
	s_or_b32 exec_lo, exec_lo, s0
	s_and_saveexec_b32 s0, vcc_lo
	s_cbranch_execnz .LBB60_175
.LBB60_102:
	s_wait_alu 0xfffe
	s_or_b32 exec_lo, exec_lo, s0
	s_and_saveexec_b32 s0, vcc_lo
	s_cbranch_execnz .LBB60_176
.LBB60_103:
	s_wait_alu 0xfffe
	s_or_b32 exec_lo, exec_lo, s0
	s_and_saveexec_b32 s0, vcc_lo
	s_cbranch_execnz .LBB60_177
.LBB60_104:
	s_wait_alu 0xfffe
	s_or_b32 exec_lo, exec_lo, s0
	s_and_saveexec_b32 s0, vcc_lo
	s_cbranch_execnz .LBB60_178
.LBB60_105:
	s_wait_alu 0xfffe
	s_or_b32 exec_lo, exec_lo, s0
	s_and_saveexec_b32 s0, vcc_lo
	s_cbranch_execnz .LBB60_179
.LBB60_106:
	s_wait_alu 0xfffe
	s_or_b32 exec_lo, exec_lo, s0
	s_and_saveexec_b32 s0, vcc_lo
	s_cbranch_execnz .LBB60_180
.LBB60_107:
	s_wait_alu 0xfffe
	s_or_b32 exec_lo, exec_lo, s0
	s_and_saveexec_b32 s0, vcc_lo
	s_cbranch_execnz .LBB60_181
.LBB60_108:
	s_wait_alu 0xfffe
	s_or_b32 exec_lo, exec_lo, s0
	s_and_saveexec_b32 s0, vcc_lo
	s_cbranch_execnz .LBB60_182
.LBB60_109:
	s_wait_alu 0xfffe
	s_or_b32 exec_lo, exec_lo, s0
	s_and_saveexec_b32 s0, vcc_lo
	s_cbranch_execnz .LBB60_183
.LBB60_110:
	s_wait_alu 0xfffe
	s_or_b32 exec_lo, exec_lo, s0
	s_and_saveexec_b32 s0, vcc_lo
	s_cbranch_execnz .LBB60_184
.LBB60_111:
	s_wait_alu 0xfffe
	s_or_b32 exec_lo, exec_lo, s0
	s_and_saveexec_b32 s0, vcc_lo
	s_cbranch_execnz .LBB60_185
.LBB60_112:
	s_wait_alu 0xfffe
	s_or_b32 exec_lo, exec_lo, s0
	s_and_saveexec_b32 s0, vcc_lo
	s_cbranch_execnz .LBB60_186
.LBB60_113:
	s_wait_alu 0xfffe
	s_or_b32 exec_lo, exec_lo, s0
	s_and_saveexec_b32 s0, vcc_lo
	s_cbranch_execnz .LBB60_187
.LBB60_114:
	s_wait_alu 0xfffe
	s_or_b32 exec_lo, exec_lo, s0
	s_and_saveexec_b32 s0, vcc_lo
	s_cbranch_execnz .LBB60_188
.LBB60_115:
	s_wait_alu 0xfffe
	s_or_b32 exec_lo, exec_lo, s0
	s_and_saveexec_b32 s0, vcc_lo
	s_cbranch_execnz .LBB60_189
.LBB60_116:
	s_wait_alu 0xfffe
	s_or_b32 exec_lo, exec_lo, s0
	s_and_saveexec_b32 s0, vcc_lo
	s_cbranch_execnz .LBB60_190
.LBB60_117:
	s_wait_alu 0xfffe
	s_or_b32 exec_lo, exec_lo, s0
	s_and_saveexec_b32 s0, vcc_lo
	s_cbranch_execnz .LBB60_191
.LBB60_118:
	s_wait_alu 0xfffe
	s_or_b32 exec_lo, exec_lo, s0
	s_and_saveexec_b32 s0, vcc_lo
	s_cbranch_execnz .LBB60_192
.LBB60_119:
	s_wait_alu 0xfffe
	s_or_b32 exec_lo, exec_lo, s0
	s_and_saveexec_b32 s0, vcc_lo
	s_cbranch_execnz .LBB60_193
.LBB60_120:
	s_wait_alu 0xfffe
	s_or_b32 exec_lo, exec_lo, s0
	s_and_saveexec_b32 s0, vcc_lo
	s_cbranch_execnz .LBB60_194
.LBB60_121:
	s_wait_alu 0xfffe
	s_or_b32 exec_lo, exec_lo, s0
	s_and_saveexec_b32 s0, vcc_lo
	s_cbranch_execnz .LBB60_195
.LBB60_122:
	s_wait_alu 0xfffe
	s_or_b32 exec_lo, exec_lo, s0
	s_and_saveexec_b32 s0, vcc_lo
	s_cbranch_execnz .LBB60_196
.LBB60_123:
	s_wait_alu 0xfffe
	s_or_b32 exec_lo, exec_lo, s0
	s_and_saveexec_b32 s0, vcc_lo
	s_cbranch_execnz .LBB60_197
.LBB60_124:
	s_wait_alu 0xfffe
	s_or_b32 exec_lo, exec_lo, s0
	s_and_saveexec_b32 s0, vcc_lo
	s_cbranch_execnz .LBB60_198
.LBB60_125:
	s_wait_alu 0xfffe
	s_or_b32 exec_lo, exec_lo, s0
	s_and_saveexec_b32 s0, vcc_lo
	s_cbranch_execnz .LBB60_199
.LBB60_126:
	s_wait_alu 0xfffe
	s_or_b32 exec_lo, exec_lo, s0
	s_and_saveexec_b32 s0, vcc_lo
	s_cbranch_execnz .LBB60_200
.LBB60_127:
	s_wait_alu 0xfffe
	s_or_b32 exec_lo, exec_lo, s0
	s_and_saveexec_b32 s0, vcc_lo
	s_cbranch_execnz .LBB60_201
.LBB60_128:
	s_wait_alu 0xfffe
	s_or_b32 exec_lo, exec_lo, s0
	s_and_saveexec_b32 s0, vcc_lo
	s_cbranch_execz .LBB60_130
.LBB60_129:
	ds_load_b32 v35, v33 offset:496
	s_wait_dscnt 0x0
	v_add_f32_e32 v32, v32, v35
.LBB60_130:
	s_wait_alu 0xfffe
	s_or_b32 exec_lo, exec_lo, s0
.LBB60_131:
	s_wait_alu 0xfffe
	s_or_b32 exec_lo, exec_lo, s1
	v_and_b32_e32 v35, 0x3e7, v0
	s_mov_b32 s1, exec_lo
	s_wait_loadcnt 0x0
	s_barrier_signal -1
	s_barrier_wait -1
	global_inv scope:SCOPE_SE
	v_cmpx_eq_u32_e32 32, v35
	s_cbranch_execz .LBB60_133
; %bb.132:
	ds_store_2addr_b32 v34, v1, v2 offset1:4
	ds_store_2addr_b32 v34, v3, v4 offset0:8 offset1:12
	ds_store_2addr_b32 v34, v5, v6 offset0:16 offset1:20
	;; [unrolled: 1-line block ×15, first 2 shown]
.LBB60_133:
	s_wait_alu 0xfffe
	s_or_b32 exec_lo, exec_lo, s1
	s_wait_loadcnt_dscnt 0x0
	s_barrier_signal -1
	s_barrier_wait -1
	global_inv scope:SCOPE_SE
	s_and_saveexec_b32 s0, s2
	s_cbranch_execz .LBB60_168
; %bb.134:
	s_and_saveexec_b32 s1, vcc_lo
	s_cbranch_execnz .LBB60_202
; %bb.135:
	s_wait_alu 0xfffe
	s_or_b32 exec_lo, exec_lo, s1
	s_and_saveexec_b32 s1, vcc_lo
	s_cbranch_execnz .LBB60_203
.LBB60_136:
	s_wait_alu 0xfffe
	s_or_b32 exec_lo, exec_lo, s1
	s_and_saveexec_b32 s1, vcc_lo
	s_cbranch_execnz .LBB60_204
.LBB60_137:
	s_wait_alu 0xfffe
	s_or_b32 exec_lo, exec_lo, s1
	s_and_saveexec_b32 s1, vcc_lo
	s_cbranch_execnz .LBB60_205
.LBB60_138:
	s_wait_alu 0xfffe
	s_or_b32 exec_lo, exec_lo, s1
	s_and_saveexec_b32 s1, vcc_lo
	s_cbranch_execnz .LBB60_206
.LBB60_139:
	s_wait_alu 0xfffe
	s_or_b32 exec_lo, exec_lo, s1
	s_and_saveexec_b32 s1, vcc_lo
	s_cbranch_execnz .LBB60_207
.LBB60_140:
	s_wait_alu 0xfffe
	s_or_b32 exec_lo, exec_lo, s1
	s_and_saveexec_b32 s1, vcc_lo
	s_cbranch_execnz .LBB60_208
.LBB60_141:
	s_wait_alu 0xfffe
	s_or_b32 exec_lo, exec_lo, s1
	s_and_saveexec_b32 s1, vcc_lo
	s_cbranch_execnz .LBB60_209
.LBB60_142:
	s_wait_alu 0xfffe
	s_or_b32 exec_lo, exec_lo, s1
	s_and_saveexec_b32 s1, vcc_lo
	s_cbranch_execnz .LBB60_210
.LBB60_143:
	s_wait_alu 0xfffe
	s_or_b32 exec_lo, exec_lo, s1
	s_and_saveexec_b32 s1, vcc_lo
	s_cbranch_execnz .LBB60_211
.LBB60_144:
	s_wait_alu 0xfffe
	s_or_b32 exec_lo, exec_lo, s1
	s_and_saveexec_b32 s1, vcc_lo
	s_cbranch_execnz .LBB60_212
.LBB60_145:
	s_wait_alu 0xfffe
	s_or_b32 exec_lo, exec_lo, s1
	s_and_saveexec_b32 s1, vcc_lo
	s_cbranch_execnz .LBB60_213
.LBB60_146:
	s_wait_alu 0xfffe
	s_or_b32 exec_lo, exec_lo, s1
	s_and_saveexec_b32 s1, vcc_lo
	s_cbranch_execnz .LBB60_214
.LBB60_147:
	s_wait_alu 0xfffe
	s_or_b32 exec_lo, exec_lo, s1
	s_and_saveexec_b32 s1, vcc_lo
	s_cbranch_execnz .LBB60_215
.LBB60_148:
	s_wait_alu 0xfffe
	s_or_b32 exec_lo, exec_lo, s1
	s_and_saveexec_b32 s1, vcc_lo
	s_cbranch_execnz .LBB60_216
.LBB60_149:
	s_wait_alu 0xfffe
	s_or_b32 exec_lo, exec_lo, s1
	s_and_saveexec_b32 s1, vcc_lo
	s_cbranch_execnz .LBB60_217
.LBB60_150:
	s_wait_alu 0xfffe
	s_or_b32 exec_lo, exec_lo, s1
	s_and_saveexec_b32 s1, vcc_lo
	s_cbranch_execnz .LBB60_218
.LBB60_151:
	s_wait_alu 0xfffe
	s_or_b32 exec_lo, exec_lo, s1
	s_and_saveexec_b32 s1, vcc_lo
	s_cbranch_execnz .LBB60_219
.LBB60_152:
	s_wait_alu 0xfffe
	s_or_b32 exec_lo, exec_lo, s1
	s_and_saveexec_b32 s1, vcc_lo
	s_cbranch_execnz .LBB60_220
.LBB60_153:
	s_wait_alu 0xfffe
	s_or_b32 exec_lo, exec_lo, s1
	s_and_saveexec_b32 s1, vcc_lo
	s_cbranch_execnz .LBB60_221
.LBB60_154:
	s_wait_alu 0xfffe
	s_or_b32 exec_lo, exec_lo, s1
	s_and_saveexec_b32 s1, vcc_lo
	s_cbranch_execnz .LBB60_222
.LBB60_155:
	s_wait_alu 0xfffe
	s_or_b32 exec_lo, exec_lo, s1
	s_and_saveexec_b32 s1, vcc_lo
	s_cbranch_execnz .LBB60_223
.LBB60_156:
	s_wait_alu 0xfffe
	s_or_b32 exec_lo, exec_lo, s1
	s_and_saveexec_b32 s1, vcc_lo
	s_cbranch_execnz .LBB60_224
.LBB60_157:
	s_wait_alu 0xfffe
	s_or_b32 exec_lo, exec_lo, s1
	s_and_saveexec_b32 s1, vcc_lo
	s_cbranch_execnz .LBB60_225
.LBB60_158:
	s_wait_alu 0xfffe
	s_or_b32 exec_lo, exec_lo, s1
	s_and_saveexec_b32 s1, vcc_lo
	s_cbranch_execnz .LBB60_226
.LBB60_159:
	s_wait_alu 0xfffe
	s_or_b32 exec_lo, exec_lo, s1
	s_and_saveexec_b32 s1, vcc_lo
	s_cbranch_execnz .LBB60_227
.LBB60_160:
	s_wait_alu 0xfffe
	s_or_b32 exec_lo, exec_lo, s1
	s_and_saveexec_b32 s1, vcc_lo
	s_cbranch_execnz .LBB60_228
.LBB60_161:
	s_wait_alu 0xfffe
	s_or_b32 exec_lo, exec_lo, s1
	s_and_saveexec_b32 s1, vcc_lo
	s_cbranch_execnz .LBB60_229
.LBB60_162:
	s_wait_alu 0xfffe
	s_or_b32 exec_lo, exec_lo, s1
	s_and_saveexec_b32 s1, vcc_lo
	s_cbranch_execnz .LBB60_230
.LBB60_163:
	s_wait_alu 0xfffe
	s_or_b32 exec_lo, exec_lo, s1
	s_and_saveexec_b32 s1, vcc_lo
	s_cbranch_execnz .LBB60_231
.LBB60_164:
	s_wait_alu 0xfffe
	s_or_b32 exec_lo, exec_lo, s1
	s_and_saveexec_b32 s1, vcc_lo
	s_cbranch_execnz .LBB60_232
.LBB60_165:
	s_wait_alu 0xfffe
	s_or_b32 exec_lo, exec_lo, s1
	s_and_saveexec_b32 s1, vcc_lo
	s_cbranch_execz .LBB60_167
.LBB60_166:
	ds_load_b32 v33, v33 offset:496
	s_wait_dscnt 0x0
	v_add_f32_e32 v32, v32, v33
.LBB60_167:
	s_wait_alu 0xfffe
	s_or_b32 exec_lo, exec_lo, s1
.LBB60_168:
	s_wait_alu 0xfffe
	s_or_b32 exec_lo, exec_lo, s0
	s_mov_b32 s7, 0
	s_wait_loadcnt 0x0
	s_barrier_signal -1
	s_barrier_wait -1
	global_inv scope:SCOPE_SE
	s_mov_b32 s0, exec_lo
	v_cmpx_eq_u32_e32 0, v35
	s_cbranch_execz .LBB60_170
; %bb.169:
	s_lshl_b32 s0, s18, 7
	s_mul_i32 s2, s12, s16
	s_wait_alu 0xfffe
	s_ashr_i32 s1, s0, 31
	s_ashr_i32 s3, s2, 31
	s_wait_alu 0xfffe
	s_lshl_b64 s[0:1], s[0:1], 2
	s_lshl_b64 s[2:3], s[2:3], 2
	s_wait_kmcnt 0x0
	s_wait_alu 0xfffe
	s_add_nc_u64 s[0:1], s[14:15], s[0:1]
	v_lshrrev_b32_e32 v0, 1, v0
	s_wait_alu 0xfffe
	s_add_nc_u64 s[0:1], s[0:1], s[2:3]
	s_wait_alu 0xfffe
	s_add_nc_u64 s[0:1], s[0:1], s[6:7]
	s_clause 0x1f
	global_store_b32 v0, v1, s[0:1]
	global_store_b32 v0, v2, s[0:1] offset:16
	global_store_b32 v0, v3, s[0:1] offset:32
	;; [unrolled: 1-line block ×31, first 2 shown]
.LBB60_170:
	s_nop 0
	s_sendmsg sendmsg(MSG_DEALLOC_VGPRS)
	s_endpgm
.LBB60_171:
	ds_load_b32 v35, v33
	s_wait_dscnt 0x0
	v_add_f32_e32 v1, v1, v35
	s_wait_alu 0xfffe
	s_or_b32 exec_lo, exec_lo, s0
	s_and_saveexec_b32 s0, vcc_lo
	s_cbranch_execz .LBB60_99
.LBB60_172:
	ds_load_b32 v35, v33 offset:16
	s_wait_dscnt 0x0
	v_add_f32_e32 v2, v2, v35
	s_wait_alu 0xfffe
	s_or_b32 exec_lo, exec_lo, s0
	s_and_saveexec_b32 s0, vcc_lo
	s_cbranch_execz .LBB60_100
.LBB60_173:
	ds_load_b32 v35, v33 offset:32
	s_wait_dscnt 0x0
	v_add_f32_e32 v3, v3, v35
	s_wait_alu 0xfffe
	s_or_b32 exec_lo, exec_lo, s0
	s_and_saveexec_b32 s0, vcc_lo
	s_cbranch_execz .LBB60_101
.LBB60_174:
	ds_load_b32 v35, v33 offset:48
	s_wait_dscnt 0x0
	v_add_f32_e32 v4, v4, v35
	s_wait_alu 0xfffe
	s_or_b32 exec_lo, exec_lo, s0
	s_and_saveexec_b32 s0, vcc_lo
	s_cbranch_execz .LBB60_102
.LBB60_175:
	ds_load_b32 v35, v33 offset:64
	s_wait_dscnt 0x0
	v_add_f32_e32 v5, v5, v35
	s_wait_alu 0xfffe
	s_or_b32 exec_lo, exec_lo, s0
	s_and_saveexec_b32 s0, vcc_lo
	s_cbranch_execz .LBB60_103
.LBB60_176:
	ds_load_b32 v35, v33 offset:80
	s_wait_dscnt 0x0
	v_add_f32_e32 v6, v6, v35
	s_wait_alu 0xfffe
	s_or_b32 exec_lo, exec_lo, s0
	s_and_saveexec_b32 s0, vcc_lo
	s_cbranch_execz .LBB60_104
.LBB60_177:
	ds_load_b32 v35, v33 offset:96
	s_wait_dscnt 0x0
	v_add_f32_e32 v7, v7, v35
	s_wait_alu 0xfffe
	s_or_b32 exec_lo, exec_lo, s0
	s_and_saveexec_b32 s0, vcc_lo
	s_cbranch_execz .LBB60_105
.LBB60_178:
	ds_load_b32 v35, v33 offset:112
	s_wait_dscnt 0x0
	v_add_f32_e32 v8, v8, v35
	s_wait_alu 0xfffe
	s_or_b32 exec_lo, exec_lo, s0
	s_and_saveexec_b32 s0, vcc_lo
	s_cbranch_execz .LBB60_106
.LBB60_179:
	ds_load_b32 v35, v33 offset:128
	s_wait_dscnt 0x0
	v_add_f32_e32 v9, v9, v35
	s_wait_alu 0xfffe
	s_or_b32 exec_lo, exec_lo, s0
	s_and_saveexec_b32 s0, vcc_lo
	s_cbranch_execz .LBB60_107
.LBB60_180:
	ds_load_b32 v35, v33 offset:144
	s_wait_dscnt 0x0
	v_add_f32_e32 v10, v10, v35
	s_wait_alu 0xfffe
	s_or_b32 exec_lo, exec_lo, s0
	s_and_saveexec_b32 s0, vcc_lo
	s_cbranch_execz .LBB60_108
.LBB60_181:
	ds_load_b32 v35, v33 offset:160
	s_wait_dscnt 0x0
	v_add_f32_e32 v11, v11, v35
	s_wait_alu 0xfffe
	s_or_b32 exec_lo, exec_lo, s0
	s_and_saveexec_b32 s0, vcc_lo
	s_cbranch_execz .LBB60_109
.LBB60_182:
	ds_load_b32 v35, v33 offset:176
	s_wait_dscnt 0x0
	v_add_f32_e32 v12, v12, v35
	s_wait_alu 0xfffe
	s_or_b32 exec_lo, exec_lo, s0
	s_and_saveexec_b32 s0, vcc_lo
	s_cbranch_execz .LBB60_110
.LBB60_183:
	ds_load_b32 v35, v33 offset:192
	s_wait_dscnt 0x0
	v_add_f32_e32 v13, v13, v35
	s_wait_alu 0xfffe
	s_or_b32 exec_lo, exec_lo, s0
	s_and_saveexec_b32 s0, vcc_lo
	s_cbranch_execz .LBB60_111
.LBB60_184:
	ds_load_b32 v35, v33 offset:208
	s_wait_dscnt 0x0
	v_add_f32_e32 v14, v14, v35
	s_wait_alu 0xfffe
	s_or_b32 exec_lo, exec_lo, s0
	s_and_saveexec_b32 s0, vcc_lo
	s_cbranch_execz .LBB60_112
.LBB60_185:
	ds_load_b32 v35, v33 offset:224
	s_wait_dscnt 0x0
	v_add_f32_e32 v15, v15, v35
	s_wait_alu 0xfffe
	s_or_b32 exec_lo, exec_lo, s0
	s_and_saveexec_b32 s0, vcc_lo
	s_cbranch_execz .LBB60_113
.LBB60_186:
	ds_load_b32 v35, v33 offset:240
	s_wait_dscnt 0x0
	v_add_f32_e32 v16, v16, v35
	s_wait_alu 0xfffe
	s_or_b32 exec_lo, exec_lo, s0
	s_and_saveexec_b32 s0, vcc_lo
	s_cbranch_execz .LBB60_114
.LBB60_187:
	ds_load_b32 v35, v33 offset:256
	s_wait_dscnt 0x0
	v_add_f32_e32 v17, v17, v35
	s_wait_alu 0xfffe
	s_or_b32 exec_lo, exec_lo, s0
	s_and_saveexec_b32 s0, vcc_lo
	s_cbranch_execz .LBB60_115
.LBB60_188:
	ds_load_b32 v35, v33 offset:272
	s_wait_dscnt 0x0
	v_add_f32_e32 v18, v18, v35
	s_wait_alu 0xfffe
	s_or_b32 exec_lo, exec_lo, s0
	s_and_saveexec_b32 s0, vcc_lo
	s_cbranch_execz .LBB60_116
.LBB60_189:
	ds_load_b32 v35, v33 offset:288
	s_wait_dscnt 0x0
	v_add_f32_e32 v19, v19, v35
	s_wait_alu 0xfffe
	s_or_b32 exec_lo, exec_lo, s0
	s_and_saveexec_b32 s0, vcc_lo
	s_cbranch_execz .LBB60_117
.LBB60_190:
	ds_load_b32 v35, v33 offset:304
	s_wait_dscnt 0x0
	v_add_f32_e32 v20, v20, v35
	s_wait_alu 0xfffe
	s_or_b32 exec_lo, exec_lo, s0
	s_and_saveexec_b32 s0, vcc_lo
	s_cbranch_execz .LBB60_118
.LBB60_191:
	ds_load_b32 v35, v33 offset:320
	s_wait_dscnt 0x0
	v_add_f32_e32 v21, v21, v35
	s_wait_alu 0xfffe
	s_or_b32 exec_lo, exec_lo, s0
	s_and_saveexec_b32 s0, vcc_lo
	s_cbranch_execz .LBB60_119
.LBB60_192:
	ds_load_b32 v35, v33 offset:336
	s_wait_dscnt 0x0
	v_add_f32_e32 v22, v22, v35
	s_wait_alu 0xfffe
	s_or_b32 exec_lo, exec_lo, s0
	s_and_saveexec_b32 s0, vcc_lo
	s_cbranch_execz .LBB60_120
.LBB60_193:
	ds_load_b32 v35, v33 offset:352
	s_wait_dscnt 0x0
	v_add_f32_e32 v23, v23, v35
	s_wait_alu 0xfffe
	s_or_b32 exec_lo, exec_lo, s0
	s_and_saveexec_b32 s0, vcc_lo
	s_cbranch_execz .LBB60_121
.LBB60_194:
	ds_load_b32 v35, v33 offset:368
	s_wait_dscnt 0x0
	v_add_f32_e32 v24, v24, v35
	s_wait_alu 0xfffe
	s_or_b32 exec_lo, exec_lo, s0
	s_and_saveexec_b32 s0, vcc_lo
	s_cbranch_execz .LBB60_122
.LBB60_195:
	ds_load_b32 v35, v33 offset:384
	s_wait_dscnt 0x0
	v_add_f32_e32 v25, v25, v35
	s_wait_alu 0xfffe
	s_or_b32 exec_lo, exec_lo, s0
	s_and_saveexec_b32 s0, vcc_lo
	s_cbranch_execz .LBB60_123
.LBB60_196:
	ds_load_b32 v35, v33 offset:400
	s_wait_dscnt 0x0
	v_add_f32_e32 v26, v26, v35
	s_wait_alu 0xfffe
	s_or_b32 exec_lo, exec_lo, s0
	s_and_saveexec_b32 s0, vcc_lo
	s_cbranch_execz .LBB60_124
.LBB60_197:
	ds_load_b32 v35, v33 offset:416
	s_wait_dscnt 0x0
	v_add_f32_e32 v27, v27, v35
	s_wait_alu 0xfffe
	s_or_b32 exec_lo, exec_lo, s0
	s_and_saveexec_b32 s0, vcc_lo
	s_cbranch_execz .LBB60_125
.LBB60_198:
	ds_load_b32 v35, v33 offset:432
	s_wait_dscnt 0x0
	v_add_f32_e32 v28, v28, v35
	s_wait_alu 0xfffe
	s_or_b32 exec_lo, exec_lo, s0
	s_and_saveexec_b32 s0, vcc_lo
	s_cbranch_execz .LBB60_126
.LBB60_199:
	ds_load_b32 v35, v33 offset:448
	s_wait_dscnt 0x0
	v_add_f32_e32 v29, v29, v35
	s_wait_alu 0xfffe
	s_or_b32 exec_lo, exec_lo, s0
	s_and_saveexec_b32 s0, vcc_lo
	s_cbranch_execz .LBB60_127
.LBB60_200:
	ds_load_b32 v35, v33 offset:464
	s_wait_dscnt 0x0
	v_add_f32_e32 v30, v30, v35
	s_wait_alu 0xfffe
	s_or_b32 exec_lo, exec_lo, s0
	s_and_saveexec_b32 s0, vcc_lo
	s_cbranch_execz .LBB60_128
.LBB60_201:
	ds_load_b32 v35, v33 offset:480
	s_wait_dscnt 0x0
	v_add_f32_e32 v31, v31, v35
	s_wait_alu 0xfffe
	s_or_b32 exec_lo, exec_lo, s0
	s_and_saveexec_b32 s0, vcc_lo
	s_cbranch_execnz .LBB60_129
	s_branch .LBB60_130
.LBB60_202:
	ds_load_b32 v34, v33
	s_wait_dscnt 0x0
	v_add_f32_e32 v1, v1, v34
	s_wait_alu 0xfffe
	s_or_b32 exec_lo, exec_lo, s1
	s_and_saveexec_b32 s1, vcc_lo
	s_cbranch_execz .LBB60_136
.LBB60_203:
	ds_load_b32 v34, v33 offset:16
	s_wait_dscnt 0x0
	v_add_f32_e32 v2, v2, v34
	s_wait_alu 0xfffe
	s_or_b32 exec_lo, exec_lo, s1
	s_and_saveexec_b32 s1, vcc_lo
	s_cbranch_execz .LBB60_137
.LBB60_204:
	ds_load_b32 v34, v33 offset:32
	s_wait_dscnt 0x0
	v_add_f32_e32 v3, v3, v34
	s_wait_alu 0xfffe
	s_or_b32 exec_lo, exec_lo, s1
	s_and_saveexec_b32 s1, vcc_lo
	s_cbranch_execz .LBB60_138
.LBB60_205:
	ds_load_b32 v34, v33 offset:48
	s_wait_dscnt 0x0
	v_add_f32_e32 v4, v4, v34
	s_wait_alu 0xfffe
	s_or_b32 exec_lo, exec_lo, s1
	s_and_saveexec_b32 s1, vcc_lo
	s_cbranch_execz .LBB60_139
.LBB60_206:
	ds_load_b32 v34, v33 offset:64
	s_wait_dscnt 0x0
	v_add_f32_e32 v5, v5, v34
	s_wait_alu 0xfffe
	s_or_b32 exec_lo, exec_lo, s1
	s_and_saveexec_b32 s1, vcc_lo
	s_cbranch_execz .LBB60_140
.LBB60_207:
	ds_load_b32 v34, v33 offset:80
	s_wait_dscnt 0x0
	v_add_f32_e32 v6, v6, v34
	s_wait_alu 0xfffe
	s_or_b32 exec_lo, exec_lo, s1
	s_and_saveexec_b32 s1, vcc_lo
	s_cbranch_execz .LBB60_141
.LBB60_208:
	ds_load_b32 v34, v33 offset:96
	s_wait_dscnt 0x0
	v_add_f32_e32 v7, v7, v34
	s_wait_alu 0xfffe
	s_or_b32 exec_lo, exec_lo, s1
	s_and_saveexec_b32 s1, vcc_lo
	s_cbranch_execz .LBB60_142
.LBB60_209:
	ds_load_b32 v34, v33 offset:112
	s_wait_dscnt 0x0
	v_add_f32_e32 v8, v8, v34
	s_wait_alu 0xfffe
	s_or_b32 exec_lo, exec_lo, s1
	s_and_saveexec_b32 s1, vcc_lo
	s_cbranch_execz .LBB60_143
.LBB60_210:
	ds_load_b32 v34, v33 offset:128
	s_wait_dscnt 0x0
	v_add_f32_e32 v9, v9, v34
	s_wait_alu 0xfffe
	s_or_b32 exec_lo, exec_lo, s1
	s_and_saveexec_b32 s1, vcc_lo
	s_cbranch_execz .LBB60_144
.LBB60_211:
	ds_load_b32 v34, v33 offset:144
	s_wait_dscnt 0x0
	v_add_f32_e32 v10, v10, v34
	s_wait_alu 0xfffe
	s_or_b32 exec_lo, exec_lo, s1
	s_and_saveexec_b32 s1, vcc_lo
	s_cbranch_execz .LBB60_145
.LBB60_212:
	ds_load_b32 v34, v33 offset:160
	s_wait_dscnt 0x0
	v_add_f32_e32 v11, v11, v34
	s_wait_alu 0xfffe
	s_or_b32 exec_lo, exec_lo, s1
	s_and_saveexec_b32 s1, vcc_lo
	s_cbranch_execz .LBB60_146
.LBB60_213:
	ds_load_b32 v34, v33 offset:176
	s_wait_dscnt 0x0
	v_add_f32_e32 v12, v12, v34
	s_wait_alu 0xfffe
	s_or_b32 exec_lo, exec_lo, s1
	s_and_saveexec_b32 s1, vcc_lo
	s_cbranch_execz .LBB60_147
.LBB60_214:
	ds_load_b32 v34, v33 offset:192
	s_wait_dscnt 0x0
	v_add_f32_e32 v13, v13, v34
	s_wait_alu 0xfffe
	s_or_b32 exec_lo, exec_lo, s1
	s_and_saveexec_b32 s1, vcc_lo
	s_cbranch_execz .LBB60_148
.LBB60_215:
	ds_load_b32 v34, v33 offset:208
	s_wait_dscnt 0x0
	v_add_f32_e32 v14, v14, v34
	s_wait_alu 0xfffe
	s_or_b32 exec_lo, exec_lo, s1
	s_and_saveexec_b32 s1, vcc_lo
	s_cbranch_execz .LBB60_149
.LBB60_216:
	ds_load_b32 v34, v33 offset:224
	s_wait_dscnt 0x0
	v_add_f32_e32 v15, v15, v34
	s_wait_alu 0xfffe
	s_or_b32 exec_lo, exec_lo, s1
	s_and_saveexec_b32 s1, vcc_lo
	s_cbranch_execz .LBB60_150
.LBB60_217:
	ds_load_b32 v34, v33 offset:240
	s_wait_dscnt 0x0
	v_add_f32_e32 v16, v16, v34
	s_wait_alu 0xfffe
	s_or_b32 exec_lo, exec_lo, s1
	s_and_saveexec_b32 s1, vcc_lo
	s_cbranch_execz .LBB60_151
.LBB60_218:
	ds_load_b32 v34, v33 offset:256
	s_wait_dscnt 0x0
	v_add_f32_e32 v17, v17, v34
	s_wait_alu 0xfffe
	s_or_b32 exec_lo, exec_lo, s1
	s_and_saveexec_b32 s1, vcc_lo
	s_cbranch_execz .LBB60_152
.LBB60_219:
	ds_load_b32 v34, v33 offset:272
	s_wait_dscnt 0x0
	v_add_f32_e32 v18, v18, v34
	s_wait_alu 0xfffe
	s_or_b32 exec_lo, exec_lo, s1
	s_and_saveexec_b32 s1, vcc_lo
	s_cbranch_execz .LBB60_153
.LBB60_220:
	ds_load_b32 v34, v33 offset:288
	s_wait_dscnt 0x0
	v_add_f32_e32 v19, v19, v34
	s_wait_alu 0xfffe
	s_or_b32 exec_lo, exec_lo, s1
	s_and_saveexec_b32 s1, vcc_lo
	s_cbranch_execz .LBB60_154
.LBB60_221:
	ds_load_b32 v34, v33 offset:304
	s_wait_dscnt 0x0
	v_add_f32_e32 v20, v20, v34
	s_wait_alu 0xfffe
	s_or_b32 exec_lo, exec_lo, s1
	s_and_saveexec_b32 s1, vcc_lo
	s_cbranch_execz .LBB60_155
.LBB60_222:
	ds_load_b32 v34, v33 offset:320
	s_wait_dscnt 0x0
	v_add_f32_e32 v21, v21, v34
	s_wait_alu 0xfffe
	s_or_b32 exec_lo, exec_lo, s1
	s_and_saveexec_b32 s1, vcc_lo
	s_cbranch_execz .LBB60_156
.LBB60_223:
	ds_load_b32 v34, v33 offset:336
	s_wait_dscnt 0x0
	v_add_f32_e32 v22, v22, v34
	s_wait_alu 0xfffe
	s_or_b32 exec_lo, exec_lo, s1
	s_and_saveexec_b32 s1, vcc_lo
	s_cbranch_execz .LBB60_157
.LBB60_224:
	ds_load_b32 v34, v33 offset:352
	s_wait_dscnt 0x0
	v_add_f32_e32 v23, v23, v34
	s_wait_alu 0xfffe
	s_or_b32 exec_lo, exec_lo, s1
	s_and_saveexec_b32 s1, vcc_lo
	s_cbranch_execz .LBB60_158
.LBB60_225:
	ds_load_b32 v34, v33 offset:368
	s_wait_dscnt 0x0
	v_add_f32_e32 v24, v24, v34
	s_wait_alu 0xfffe
	s_or_b32 exec_lo, exec_lo, s1
	s_and_saveexec_b32 s1, vcc_lo
	s_cbranch_execz .LBB60_159
.LBB60_226:
	ds_load_b32 v34, v33 offset:384
	s_wait_dscnt 0x0
	v_add_f32_e32 v25, v25, v34
	s_wait_alu 0xfffe
	s_or_b32 exec_lo, exec_lo, s1
	s_and_saveexec_b32 s1, vcc_lo
	s_cbranch_execz .LBB60_160
.LBB60_227:
	ds_load_b32 v34, v33 offset:400
	s_wait_dscnt 0x0
	v_add_f32_e32 v26, v26, v34
	s_wait_alu 0xfffe
	s_or_b32 exec_lo, exec_lo, s1
	s_and_saveexec_b32 s1, vcc_lo
	s_cbranch_execz .LBB60_161
.LBB60_228:
	ds_load_b32 v34, v33 offset:416
	s_wait_dscnt 0x0
	v_add_f32_e32 v27, v27, v34
	s_wait_alu 0xfffe
	s_or_b32 exec_lo, exec_lo, s1
	s_and_saveexec_b32 s1, vcc_lo
	s_cbranch_execz .LBB60_162
.LBB60_229:
	ds_load_b32 v34, v33 offset:432
	s_wait_dscnt 0x0
	v_add_f32_e32 v28, v28, v34
	s_wait_alu 0xfffe
	s_or_b32 exec_lo, exec_lo, s1
	s_and_saveexec_b32 s1, vcc_lo
	s_cbranch_execz .LBB60_163
.LBB60_230:
	ds_load_b32 v34, v33 offset:448
	s_wait_dscnt 0x0
	v_add_f32_e32 v29, v29, v34
	s_wait_alu 0xfffe
	s_or_b32 exec_lo, exec_lo, s1
	s_and_saveexec_b32 s1, vcc_lo
	s_cbranch_execz .LBB60_164
.LBB60_231:
	ds_load_b32 v34, v33 offset:464
	s_wait_dscnt 0x0
	v_add_f32_e32 v30, v30, v34
	s_wait_alu 0xfffe
	s_or_b32 exec_lo, exec_lo, s1
	s_and_saveexec_b32 s1, vcc_lo
	s_cbranch_execz .LBB60_165
.LBB60_232:
	ds_load_b32 v34, v33 offset:480
	s_wait_dscnt 0x0
	v_add_f32_e32 v31, v31, v34
	s_wait_alu 0xfffe
	s_or_b32 exec_lo, exec_lo, s1
	s_and_saveexec_b32 s1, vcc_lo
	s_cbranch_execnz .LBB60_166
	s_branch .LBB60_167
	.section	.rodata,"a",@progbits
	.p2align	6, 0x0
	.amdhsa_kernel _ZN4vllm25paged_attention_v2_kernelIffLi128ELi32ELi128ELNS_18Fp8KVCacheDataTypeE0ELb0ELi512EEEvPfS2_PT_PKS3_PKT0_S9_ifPKiSB_iPKfiiiSD_SD_iiiii
		.amdhsa_group_segment_fixed_size 544
		.amdhsa_private_segment_fixed_size 0
		.amdhsa_kernarg_size 400
		.amdhsa_user_sgpr_count 2
		.amdhsa_user_sgpr_dispatch_ptr 0
		.amdhsa_user_sgpr_queue_ptr 0
		.amdhsa_user_sgpr_kernarg_segment_ptr 1
		.amdhsa_user_sgpr_dispatch_id 0
		.amdhsa_user_sgpr_private_segment_size 0
		.amdhsa_wavefront_size32 1
		.amdhsa_uses_dynamic_stack 0
		.amdhsa_enable_private_segment 0
		.amdhsa_system_sgpr_workgroup_id_x 1
		.amdhsa_system_sgpr_workgroup_id_y 1
		.amdhsa_system_sgpr_workgroup_id_z 1
		.amdhsa_system_sgpr_workgroup_info 0
		.amdhsa_system_vgpr_workitem_id 0
		.amdhsa_next_free_vgpr 181
		.amdhsa_next_free_sgpr 32
		.amdhsa_reserve_vcc 1
		.amdhsa_float_round_mode_32 0
		.amdhsa_float_round_mode_16_64 0
		.amdhsa_float_denorm_mode_32 3
		.amdhsa_float_denorm_mode_16_64 3
		.amdhsa_fp16_overflow 0
		.amdhsa_workgroup_processor_mode 1
		.amdhsa_memory_ordered 1
		.amdhsa_forward_progress 1
		.amdhsa_inst_pref_size 120
		.amdhsa_round_robin_scheduling 0
		.amdhsa_exception_fp_ieee_invalid_op 0
		.amdhsa_exception_fp_denorm_src 0
		.amdhsa_exception_fp_ieee_div_zero 0
		.amdhsa_exception_fp_ieee_overflow 0
		.amdhsa_exception_fp_ieee_underflow 0
		.amdhsa_exception_fp_ieee_inexact 0
		.amdhsa_exception_int_div_zero 0
	.end_amdhsa_kernel
	.section	.text._ZN4vllm25paged_attention_v2_kernelIffLi128ELi32ELi128ELNS_18Fp8KVCacheDataTypeE0ELb0ELi512EEEvPfS2_PT_PKS3_PKT0_S9_ifPKiSB_iPKfiiiSD_SD_iiiii,"axG",@progbits,_ZN4vllm25paged_attention_v2_kernelIffLi128ELi32ELi128ELNS_18Fp8KVCacheDataTypeE0ELb0ELi512EEEvPfS2_PT_PKS3_PKT0_S9_ifPKiSB_iPKfiiiSD_SD_iiiii,comdat
.Lfunc_end60:
	.size	_ZN4vllm25paged_attention_v2_kernelIffLi128ELi32ELi128ELNS_18Fp8KVCacheDataTypeE0ELb0ELi512EEEvPfS2_PT_PKS3_PKT0_S9_ifPKiSB_iPKfiiiSD_SD_iiiii, .Lfunc_end60-_ZN4vllm25paged_attention_v2_kernelIffLi128ELi32ELi128ELNS_18Fp8KVCacheDataTypeE0ELb0ELi512EEEvPfS2_PT_PKS3_PKT0_S9_ifPKiSB_iPKfiiiSD_SD_iiiii
                                        ; -- End function
	.set _ZN4vllm25paged_attention_v2_kernelIffLi128ELi32ELi128ELNS_18Fp8KVCacheDataTypeE0ELb0ELi512EEEvPfS2_PT_PKS3_PKT0_S9_ifPKiSB_iPKfiiiSD_SD_iiiii.num_vgpr, 181
	.set _ZN4vllm25paged_attention_v2_kernelIffLi128ELi32ELi128ELNS_18Fp8KVCacheDataTypeE0ELb0ELi512EEEvPfS2_PT_PKS3_PKT0_S9_ifPKiSB_iPKfiiiSD_SD_iiiii.num_agpr, 0
	.set _ZN4vllm25paged_attention_v2_kernelIffLi128ELi32ELi128ELNS_18Fp8KVCacheDataTypeE0ELb0ELi512EEEvPfS2_PT_PKS3_PKT0_S9_ifPKiSB_iPKfiiiSD_SD_iiiii.numbered_sgpr, 32
	.set _ZN4vllm25paged_attention_v2_kernelIffLi128ELi32ELi128ELNS_18Fp8KVCacheDataTypeE0ELb0ELi512EEEvPfS2_PT_PKS3_PKT0_S9_ifPKiSB_iPKfiiiSD_SD_iiiii.num_named_barrier, 0
	.set _ZN4vllm25paged_attention_v2_kernelIffLi128ELi32ELi128ELNS_18Fp8KVCacheDataTypeE0ELb0ELi512EEEvPfS2_PT_PKS3_PKT0_S9_ifPKiSB_iPKfiiiSD_SD_iiiii.private_seg_size, 0
	.set _ZN4vllm25paged_attention_v2_kernelIffLi128ELi32ELi128ELNS_18Fp8KVCacheDataTypeE0ELb0ELi512EEEvPfS2_PT_PKS3_PKT0_S9_ifPKiSB_iPKfiiiSD_SD_iiiii.uses_vcc, 1
	.set _ZN4vllm25paged_attention_v2_kernelIffLi128ELi32ELi128ELNS_18Fp8KVCacheDataTypeE0ELb0ELi512EEEvPfS2_PT_PKS3_PKT0_S9_ifPKiSB_iPKfiiiSD_SD_iiiii.uses_flat_scratch, 0
	.set _ZN4vllm25paged_attention_v2_kernelIffLi128ELi32ELi128ELNS_18Fp8KVCacheDataTypeE0ELb0ELi512EEEvPfS2_PT_PKS3_PKT0_S9_ifPKiSB_iPKfiiiSD_SD_iiiii.has_dyn_sized_stack, 0
	.set _ZN4vllm25paged_attention_v2_kernelIffLi128ELi32ELi128ELNS_18Fp8KVCacheDataTypeE0ELb0ELi512EEEvPfS2_PT_PKS3_PKT0_S9_ifPKiSB_iPKfiiiSD_SD_iiiii.has_recursion, 0
	.set _ZN4vllm25paged_attention_v2_kernelIffLi128ELi32ELi128ELNS_18Fp8KVCacheDataTypeE0ELb0ELi512EEEvPfS2_PT_PKS3_PKT0_S9_ifPKiSB_iPKfiiiSD_SD_iiiii.has_indirect_call, 0
	.section	.AMDGPU.csdata,"",@progbits
; Kernel info:
; codeLenInByte = 15300
; TotalNumSgprs: 34
; NumVgprs: 181
; ScratchSize: 0
; MemoryBound: 0
; FloatMode: 240
; IeeeMode: 1
; LDSByteSize: 544 bytes/workgroup (compile time only)
; SGPRBlocks: 0
; VGPRBlocks: 22
; NumSGPRsForWavesPerEU: 34
; NumVGPRsForWavesPerEU: 181
; Occupancy: 8
; WaveLimiterHint : 1
; COMPUTE_PGM_RSRC2:SCRATCH_EN: 0
; COMPUTE_PGM_RSRC2:USER_SGPR: 2
; COMPUTE_PGM_RSRC2:TRAP_HANDLER: 0
; COMPUTE_PGM_RSRC2:TGID_X_EN: 1
; COMPUTE_PGM_RSRC2:TGID_Y_EN: 1
; COMPUTE_PGM_RSRC2:TGID_Z_EN: 1
; COMPUTE_PGM_RSRC2:TIDIG_COMP_CNT: 0
	.section	.text._ZN4vllm25paged_attention_v2_kernelIffLi192ELi32ELi128ELNS_18Fp8KVCacheDataTypeE0ELb0ELi512EEEvPfS2_PT_PKS3_PKT0_S9_ifPKiSB_iPKfiiiSD_SD_iiiii,"axG",@progbits,_ZN4vllm25paged_attention_v2_kernelIffLi192ELi32ELi128ELNS_18Fp8KVCacheDataTypeE0ELb0ELi512EEEvPfS2_PT_PKS3_PKT0_S9_ifPKiSB_iPKfiiiSD_SD_iiiii,comdat
	.protected	_ZN4vllm25paged_attention_v2_kernelIffLi192ELi32ELi128ELNS_18Fp8KVCacheDataTypeE0ELb0ELi512EEEvPfS2_PT_PKS3_PKT0_S9_ifPKiSB_iPKfiiiSD_SD_iiiii ; -- Begin function _ZN4vllm25paged_attention_v2_kernelIffLi192ELi32ELi128ELNS_18Fp8KVCacheDataTypeE0ELb0ELi512EEEvPfS2_PT_PKS3_PKT0_S9_ifPKiSB_iPKfiiiSD_SD_iiiii
	.globl	_ZN4vllm25paged_attention_v2_kernelIffLi192ELi32ELi128ELNS_18Fp8KVCacheDataTypeE0ELb0ELi512EEEvPfS2_PT_PKS3_PKT0_S9_ifPKiSB_iPKfiiiSD_SD_iiiii
	.p2align	8
	.type	_ZN4vllm25paged_attention_v2_kernelIffLi192ELi32ELi128ELNS_18Fp8KVCacheDataTypeE0ELb0ELi512EEEvPfS2_PT_PKS3_PKT0_S9_ifPKiSB_iPKfiiiSD_SD_iiiii,@function
_ZN4vllm25paged_attention_v2_kernelIffLi192ELi32ELi128ELNS_18Fp8KVCacheDataTypeE0ELb0ELi512EEEvPfS2_PT_PKS3_PKT0_S9_ifPKiSB_iPKfiiiSD_SD_iiiii: ; @_ZN4vllm25paged_attention_v2_kernelIffLi192ELi32ELi128ELNS_18Fp8KVCacheDataTypeE0ELb0ELi512EEEvPfS2_PT_PKS3_PKT0_S9_ifPKiSB_iPKfiiiSD_SD_iiiii
; %bb.0:
	s_load_b64 s[2:3], s[0:1], 0x40
	s_and_b32 s14, ttmp7, 0xffff
	s_lshr_b32 s24, ttmp7, 16
	s_lshl_b32 s4, s14, 2
	s_lshl_b32 s26, s24, 9
	s_wait_kmcnt 0x0
	s_load_b32 s25, s[2:3], s4 offset:0x0
	s_wait_kmcnt 0x0
	s_cmp_ge_i32 s26, s25
	s_cbranch_scc1 .LBB61_235
; %bb.1:
	s_clause 0x1
	s_load_b32 s15, s[0:1], 0x90
	s_load_b64 s[4:5], s[0:1], 0x30
	v_mov_b32_e32 v71, v0
	s_wait_kmcnt 0x0
	s_abs_i32 s7, s15
	s_abs_i32 s2, s4
	s_xor_b32 s4, s15, s4
	s_cvt_f32_u32 s3, s2
	s_sub_co_i32 s6, 0, s2
	s_ashr_i32 s4, s4, 31
	s_delay_alu instid0(SALU_CYCLE_1) | instskip(NEXT) | instid1(TRANS32_DEP_1)
	v_rcp_iflag_f32_e32 v0, s3
	v_readfirstlane_b32 s3, v0
	s_mul_f32 s3, s3, 0x4f7ffffe
	s_wait_alu 0xfffe
	s_delay_alu instid0(SALU_CYCLE_2) | instskip(SKIP_1) | instid1(SALU_CYCLE_2)
	s_cvt_u32_f32 s3, s3
	s_wait_alu 0xfffe
	s_mul_i32 s6, s6, s3
	s_delay_alu instid0(SALU_CYCLE_1) | instskip(NEXT) | instid1(SALU_CYCLE_1)
	s_mul_hi_u32 s6, s3, s6
	s_add_co_i32 s3, s3, s6
	s_wait_alu 0xfffe
	s_mul_hi_u32 s3, s7, s3
	s_wait_alu 0xfffe
	s_mul_i32 s6, s3, s2
	s_delay_alu instid0(SALU_CYCLE_1)
	s_sub_co_i32 s6, s7, s6
	s_add_co_i32 s7, s3, 1
	s_sub_co_i32 s8, s6, s2
	s_cmp_ge_u32 s6, s2
	s_cselect_b32 s3, s7, s3
	s_cselect_b32 s6, s8, s6
	s_wait_alu 0xfffe
	s_add_co_i32 s7, s3, 1
	s_cmp_ge_u32 s6, s2
	s_load_b64 s[8:9], s[0:1], 0x50
	s_cselect_b32 s2, s7, s3
	s_mov_b32 s3, 0
	s_wait_alu 0xfffe
	s_xor_b32 s2, s2, s4
	s_mov_b32 s11, s3
	s_wait_alu 0xfffe
	s_sub_co_i32 s12, s2, s4
	s_delay_alu instid0(SALU_CYCLE_1) | instskip(NEXT) | instid1(SALU_CYCLE_1)
	s_abs_i32 s4, s12
	s_cvt_f32_u32 s2, s4
	s_wait_alu 0xfffe
	s_delay_alu instid0(SALU_CYCLE_2) | instskip(NEXT) | instid1(TRANS32_DEP_1)
	v_rcp_iflag_f32_e32 v0, s2
	v_readfirstlane_b32 s2, v0
	s_mul_f32 s2, s2, 0x4f7ffffe
	s_wait_alu 0xfffe
	s_delay_alu instid0(SALU_CYCLE_2) | instskip(SKIP_2) | instid1(SALU_CYCLE_1)
	s_cvt_u32_f32 s6, s2
	s_sub_co_i32 s2, 0, s4
	s_wait_alu 0xfffe
	s_mul_i32 s2, s2, s6
	s_wait_alu 0xfffe
	s_mul_hi_u32 s7, s6, s2
	s_abs_i32 s2, ttmp9
	s_add_co_i32 s6, s6, s7
	s_mov_b32 s7, s3
	s_wait_kmcnt 0x0
	s_cmp_eq_u64 s[8:9], 0
	s_cbranch_scc1 .LBB61_3
; %bb.2:
	s_mov_b32 s10, ttmp9
	s_ashr_i32 s11, ttmp9, 31
	s_delay_alu instid0(SALU_CYCLE_1) | instskip(NEXT) | instid1(SALU_CYCLE_1)
	s_lshl_b64 s[10:11], s[10:11], 2
	s_add_nc_u64 s[8:9], s[8:9], s[10:11]
	s_load_b32 s11, s[8:9], 0x0
.LBB61_3:
	s_load_b96 s[8:10], s[0:1], 0x58
	s_mul_u64 s[6:7], s[2:3], s[6:7]
	s_ashr_i32 s3, ttmp9, 31
	s_ashr_i32 s6, s12, 31
	s_mul_i32 s12, ttmp9, 0xc0
	s_mov_b32 s16, exec_lo
	v_cmpx_gt_u32_e32 48, v71
	s_cbranch_execz .LBB61_5
; %bb.4:
	s_load_b64 s[18:19], s[0:1], 0x18
	s_wait_kmcnt 0x0
	s_mul_i32 s20, s8, s14
	s_ashr_i32 s13, s12, 31
	s_ashr_i32 s21, s20, 31
	v_lshlrev_b32_e32 v4, 4, v71
	s_lshl_b64 s[20:21], s[20:21], 2
	s_delay_alu instid0(SALU_CYCLE_1) | instskip(SKIP_1) | instid1(SALU_CYCLE_1)
	s_add_nc_u64 s[18:19], s[18:19], s[20:21]
	s_lshl_b64 s[20:21], s[12:13], 2
	s_add_nc_u64 s[18:19], s[18:19], s[20:21]
	global_load_b128 v[0:3], v4, s[18:19]
	s_wait_loadcnt 0x0
	ds_store_b128 v4, v[0:3]
.LBB61_5:
	s_or_b32 exec_lo, exec_lo, s16
	s_wait_kmcnt 0x0
	s_add_co_i32 s8, s25, 31
	s_lshl_b32 s28, s24, 4
	s_ashr_i32 s13, s8, 31
	s_mul_i32 s19, s7, s4
	s_lshr_b32 s13, s13, 27
	s_sub_co_i32 s2, s2, s19
	s_add_co_i32 s8, s8, s13
	s_add_co_i32 s13, s28, 16
	s_ashr_i32 s27, s8, 5
	s_clause 0x2
	s_load_b64 s[16:17], s[0:1], 0x38
	s_load_b32 s8, s[0:1], 0x98
	s_load_b32 s18, s[0:1], 0x48
	s_min_i32 s13, s13, s27
	s_xor_b32 s3, s3, s6
	s_add_co_i32 s6, s7, 1
	s_sub_co_i32 s19, s2, s4
	s_cmp_ge_u32 s2, s4
	v_lshrrev_b32_e32 v189, 5, v71
	s_cselect_b32 s6, s6, s7
	s_cselect_b32 s2, s19, s2
	s_add_co_i32 s7, s6, 1
	s_wait_alu 0xfffe
	s_cmp_ge_u32 s2, s4
	v_dual_mov_b32 v7, 0xff7fffff :: v_dual_and_b32 v190, 31, v71
	v_add_nc_u32_e32 v191, s28, v189
	s_cselect_b32 s2, s7, s6
	s_wait_dscnt 0x0
	s_wait_alu 0xfffe
	s_xor_b32 s2, s2, s3
	v_lshlrev_b32_e32 v10, 2, v190
	s_wait_alu 0xfffe
	s_sub_co_i32 s3, s2, s3
	v_cmp_gt_i32_e64 s2, s13, v191
	v_lshlrev_b32_e32 v9, 2, v191
	s_wait_kmcnt 0x0
	s_mul_i32 s18, s18, s14
	s_wait_alu 0xfffe
	s_mul_i32 s20, s3, s10
	s_ashr_i32 s19, s18, 31
	s_barrier_signal -1
	s_barrier_wait -1
	global_inv scope:SCOPE_SE
	s_mov_b32 s6, exec_lo
	s_delay_alu instid0(SALU_CYCLE_1)
	s_and_b32 s3, s6, s2
	s_clause 0x2
	scratch_store_b32 off, v71, off offset:312
	scratch_store_b32 off, v189, off offset:316
	;; [unrolled: 1-line block ×3, first 2 shown]
	s_wait_alu 0xfffe
	s_mov_b32 exec_lo, s3
	s_cbranch_execz .LBB61_9
; %bb.6:
	s_load_b64 s[22:23], s[0:1], 0x20
	v_dual_mov_b32 v1, 0 :: v_dual_lshlrev_b32 v0, 4, v190
	s_ashr_i32 s21, s20, 31
	s_mov_b32 s7, s9
	s_lshl_b64 s[30:31], s[20:21], 2
	s_cmp_neq_f32 s11, 0
	ds_load_b128 v[2:5], v1
	s_mov_b32 s10, 0
	v_mov_b32_e32 v7, 0xff7fffff
	s_cselect_b32 vcc_lo, -1, 0
	s_sub_co_i32 s21, 1, s25
	s_wait_kmcnt 0x0
	s_add_nc_u64 s[22:23], s[22:23], s[30:31]
	s_delay_alu instid0(SALU_CYCLE_1)
	v_add_co_u32 v0, s3, s22, v0
	scratch_store_b32 off, v0, off          ; 4-byte Folded Spill
	s_wait_dscnt 0x0
	scratch_store_b128 off, v[2:5], off offset:32 ; 16-byte Folded Spill
	ds_load_b128 v[2:5], v1 offset:16
	s_wait_alu 0xf1ff
	v_add_co_ci_u32_e64 v0, null, s23, 0, s3
	s_lshl_b64 s[22:23], s[18:19], 2
	s_wait_alu 0xfffe
	s_add_nc_u64 s[22:23], s[16:17], s[22:23]
	scratch_store_b32 off, v0, off offset:16 ; 4-byte Folded Spill
	v_lshlrev_b32_e32 v0, 5, v189
	s_delay_alu instid0(VALU_DEP_1)
	v_add3_u32 v0, s26, v0, v190
	s_wait_dscnt 0x0
	scratch_store_b128 off, v[2:5], off offset:52 ; 16-byte Folded Spill
	ds_load_b128 v[2:5], v1 offset:32
	s_wait_dscnt 0x0
	scratch_store_b128 off, v[2:5], off offset:68 ; 16-byte Folded Spill
	ds_load_b128 v[2:5], v1 offset:48
	;; [unrolled: 3-line block ×4, first 2 shown]
	ds_load_b128 v[25:28], v1 offset:96
	ds_load_b128 v[29:32], v1 offset:112
	;; [unrolled: 1-line block ×42, first 2 shown]
	v_lshl_or_b32 v5, v189, 7, v10
	s_wait_alu 0xfffe
	v_add_co_u32 v189, s3, s22, v9
	s_wait_alu 0xf1ff
	v_add_co_ci_u32_e64 v190, null, s23, 0, s3
	v_add_nc_u32_e32 v8, 0x320, v5
	s_clause 0x2
	scratch_store_b32 off, v10, off offset:120
	scratch_store_b32 off, v9, off offset:116
	;; [unrolled: 1-line block ×3, first 2 shown]
.LBB61_7:                               ; =>This Inner Loop Header: Depth=1
	global_load_b32 v5, v[189:190], off
	scratch_load_b32 v9, off, off           ; 4-byte Folded Reload
	v_add_nc_u32_e32 v191, 4, v191
	s_delay_alu instid0(VALU_DEP_1) | instskip(SKIP_3) | instid1(VALU_DEP_1)
	v_cmp_le_i32_e64 s4, s13, v191
	s_or_b32 s10, s4, s10
	s_wait_loadcnt 0x1
	v_mad_co_i64_i32 v[5:6], null, v5, s7, 0
	v_lshlrev_b64_e32 v[5:6], 2, v[5:6]
	s_wait_loadcnt 0x0
	s_delay_alu instid0(VALU_DEP_1)
	v_add_co_u32 v5, s3, v9, v5
	scratch_load_b32 v9, off, off offset:16 ; 4-byte Folded Reload
	s_wait_loadcnt 0x0
	s_wait_alu 0xf1ff
	v_add_co_ci_u32_e64 v6, null, v9, v6, s3
	v_cmp_gt_i32_e64 s3, s25, v0
	global_load_b128 v[9:12], v[5:6], off offset:512
	scratch_load_b128 v[13:16], off, off offset:52 ; 16-byte Folded Reload
	s_wait_loadcnt 0x0
	v_dual_mul_f32 v9, v13, v9 :: v_dual_mul_f32 v10, v14, v10
	v_dual_mul_f32 v11, v15, v11 :: v_dual_mul_f32 v12, v16, v12
	global_load_b128 v[13:16], v[5:6], off
	scratch_load_b128 v[17:20], off, off offset:32 ; 16-byte Folded Reload
	s_wait_loadcnt 0x0
	v_dual_fmac_f32 v9, v17, v13 :: v_dual_fmac_f32 v10, v18, v14
	v_dual_fmac_f32 v11, v19, v15 :: v_dual_fmac_f32 v12, v20, v16
	global_load_b128 v[13:16], v[5:6], off offset:1024
	scratch_load_b128 v[17:20], off, off offset:68 ; 16-byte Folded Reload
	s_wait_loadcnt 0x0
	v_dual_fmac_f32 v9, v17, v13 :: v_dual_fmac_f32 v10, v18, v14
	v_dual_fmac_f32 v11, v19, v15 :: v_dual_fmac_f32 v12, v20, v16
	global_load_b128 v[13:16], v[5:6], off offset:1536
	;; [unrolled: 5-line block ×4, first 2 shown]
	s_wait_loadcnt_dscnt 0x2a
	v_dual_fmac_f32 v9, v21, v13 :: v_dual_fmac_f32 v10, v22, v14
	v_dual_fmac_f32 v11, v23, v15 :: v_dual_fmac_f32 v12, v24, v16
	global_load_b128 v[13:16], v[5:6], off offset:3072
	s_wait_loadcnt_dscnt 0x29
	v_dual_fmac_f32 v9, v25, v13 :: v_dual_fmac_f32 v10, v26, v14
	v_dual_fmac_f32 v11, v27, v15 :: v_dual_fmac_f32 v12, v28, v16
	global_load_b128 v[13:16], v[5:6], off offset:3584
	;; [unrolled: 4-line block ×42, first 2 shown]
	v_add_nc_u32_e32 v6, s21, v0
	v_add_nc_u32_e32 v0, 0x80, v0
	s_delay_alu instid0(VALU_DEP_2) | instskip(NEXT) | instid1(VALU_DEP_1)
	v_cvt_f32_i32_e32 v6, v6
	v_mul_f32_e32 v6, s11, v6
	s_wait_loadcnt_dscnt 0x0
	s_delay_alu instid0(VALU_DEP_1) | instskip(SKIP_1) | instid1(VALU_DEP_1)
	v_dual_cndmask_b32 v6, 0, v6 :: v_dual_fmac_f32 v9, v1, v13
	v_dual_fmac_f32 v10, v2, v14 :: v_dual_fmac_f32 v11, v3, v15
	v_dual_fmac_f32 v12, v4, v16 :: v_dual_add_f32 v5, v9, v10
	s_delay_alu instid0(VALU_DEP_1) | instskip(NEXT) | instid1(VALU_DEP_1)
	v_add_f32_e32 v5, v11, v5
	v_add_f32_e32 v5, v12, v5
	s_delay_alu instid0(VALU_DEP_1) | instskip(NEXT) | instid1(VALU_DEP_1)
	v_dual_fmac_f32 v6, s5, v5 :: v_dual_max_num_f32 v5, v7, v7
	v_max_num_f32_e32 v5, v5, v6
	s_wait_alu 0xf1ff
	v_cndmask_b32_e64 v6, 0, v6, s3
	s_delay_alu instid0(VALU_DEP_2)
	v_cndmask_b32_e64 v7, v7, v5, s3
	v_add_co_u32 v189, s3, v189, 16
	ds_store_b32 v8, v6
	s_wait_alu 0xf1ff
	v_add_co_ci_u32_e64 v190, null, 0, v190, s3
	v_add_nc_u32_e32 v8, 0x200, v8
	s_wait_alu 0xfffe
	s_and_not1_b32 exec_lo, exec_lo, s10
	s_cbranch_execnz .LBB61_7
; %bb.8:
	s_or_b32 exec_lo, exec_lo, s10
	s_clause 0x5
	scratch_load_b32 v71, off, off offset:312
	scratch_load_b32 v189, off, off offset:316
	;; [unrolled: 1-line block ×6, first 2 shown]
.LBB61_9:
	s_or_b32 exec_lo, exec_lo, s6
	v_mbcnt_lo_u32_b32 v0, -1, 0
	s_clause 0x2
	s_load_b128 s[4:7], s[0:1], 0x0
	s_load_b64 s[10:11], s[0:1], 0x10
	s_load_b64 s[22:23], s[0:1], 0x28
	v_max_num_f32_e32 v4, v7, v7
	v_xor_b32_e32 v1, 16, v0
	v_xor_b32_e32 v3, 8, v0
	s_delay_alu instid0(VALU_DEP_2) | instskip(SKIP_2) | instid1(VALU_DEP_3)
	v_cmp_gt_i32_e32 vcc_lo, 32, v1
	s_wait_alu 0xfffd
	v_cndmask_b32_e32 v1, v0, v1, vcc_lo
	v_cmp_gt_i32_e32 vcc_lo, 32, v3
	s_delay_alu instid0(VALU_DEP_2)
	v_lshlrev_b32_e32 v1, 2, v1
	s_wait_alu 0xfffd
	v_cndmask_b32_e32 v3, v0, v3, vcc_lo
	ds_bpermute_b32 v2, v1, v7
	s_wait_dscnt 0x0
	v_dual_max_num_f32 v5, v2, v2 :: v_dual_lshlrev_b32 v2, 2, v3
	s_delay_alu instid0(VALU_DEP_1)
	v_max_num_f32_e32 v3, v4, v5
	v_xor_b32_e32 v5, 4, v0
	ds_bpermute_b32 v4, v2, v3
	v_cmp_gt_i32_e32 vcc_lo, 32, v5
	s_wait_alu 0xfffd
	v_cndmask_b32_e32 v5, v0, v5, vcc_lo
	s_wait_dscnt 0x0
	s_delay_alu instid0(VALU_DEP_1) | instskip(NEXT) | instid1(VALU_DEP_1)
	v_dual_max_num_f32 v4, v4, v4 :: v_dual_lshlrev_b32 v5, 2, v5
	v_max_num_f32_e32 v3, v3, v4
	ds_bpermute_b32 v4, v5, v3
	s_wait_dscnt 0x0
	v_max_num_f32_e32 v4, v4, v4
	scratch_store_b32 off, v5, off offset:300 ; 4-byte Folded Spill
	v_xor_b32_e32 v5, 2, v0
	v_max_num_f32_e32 v3, v3, v4
	s_delay_alu instid0(VALU_DEP_2) | instskip(SKIP_2) | instid1(VALU_DEP_1)
	v_cmp_gt_i32_e32 vcc_lo, 32, v5
	s_wait_alu 0xfffd
	v_cndmask_b32_e32 v5, v0, v5, vcc_lo
	v_lshlrev_b32_e32 v6, 2, v5
	v_xor_b32_e32 v5, 1, v0
	ds_bpermute_b32 v4, v6, v3
	v_cmp_gt_i32_e32 vcc_lo, 32, v5
	s_wait_alu 0xfffd
	v_cndmask_b32_e32 v5, v0, v5, vcc_lo
	s_wait_loadcnt 0x3
	v_cmp_eq_u32_e32 vcc_lo, 0, v190
	s_wait_dscnt 0x0
	s_delay_alu instid0(VALU_DEP_2) | instskip(NEXT) | instid1(VALU_DEP_1)
	v_dual_max_num_f32 v4, v4, v4 :: v_dual_lshlrev_b32 v5, 2, v5
	v_max_num_f32_e32 v0, v3, v4
	v_lshlrev_b32_e32 v4, 2, v189
	ds_bpermute_b32 v3, v5, v0
	s_and_saveexec_b32 s0, vcc_lo
	s_cbranch_execz .LBB61_11
; %bb.10:
	s_wait_dscnt 0x0
	v_dual_max_num_f32 v3, v3, v3 :: v_dual_max_num_f32 v0, v0, v0
	s_delay_alu instid0(VALU_DEP_1)
	v_max_num_f32_e32 v0, v0, v3
	ds_store_b32 v4, v0 offset:768
.LBB61_11:
	s_or_b32 exec_lo, exec_lo, s0
	v_cmp_gt_u32_e64 s0, 4, v190
	v_mov_b32_e32 v0, 0xff7fffff
	s_wait_storecnt 0x0
	s_wait_loadcnt_dscnt 0x0
	s_barrier_signal -1
	s_barrier_wait -1
	global_inv scope:SCOPE_SE
	s_and_saveexec_b32 s1, s0
; %bb.12:
	ds_load_b32 v0, v10 offset:768
; %bb.13:
	s_or_b32 exec_lo, exec_lo, s1
	s_wait_dscnt 0x0
	ds_bpermute_b32 v3, v6, v0
	v_max_num_f32_e32 v0, v0, v0
	scratch_store_b32 off, v5, off offset:296 ; 4-byte Folded Spill
	s_sub_co_i32 s1, s13, s28
	s_delay_alu instid0(SALU_CYCLE_1) | instskip(NEXT) | instid1(SALU_CYCLE_1)
	s_lshl_b32 s1, s1, 5
	s_add_co_i32 s1, s1, s26
	s_delay_alu instid0(SALU_CYCLE_1) | instskip(NEXT) | instid1(SALU_CYCLE_1)
	s_min_i32 s1, s1, s25
	s_sub_co_i32 s21, s1, s26
	s_wait_alu 0xfffe
	v_cmp_gt_i32_e64 s1, s21, v71
	s_wait_dscnt 0x0
	v_max_num_f32_e32 v3, v3, v3
	s_delay_alu instid0(VALU_DEP_1) | instskip(SKIP_4) | instid1(VALU_DEP_1)
	v_max_num_f32_e32 v0, v0, v3
	ds_bpermute_b32 v3, v5, v0
	v_mov_b32_e32 v5, 0
	s_wait_dscnt 0x0
	v_max_num_f32_e32 v3, v3, v3
	v_max_num_f32_e32 v0, v0, v3
	v_lshl_add_u32 v3, v71, 2, 0x320
	ds_bpermute_b32 v0, v5, v0
	s_mov_b32 s28, exec_lo
	s_wait_alu 0xfffe
	s_and_b32 s3, s28, s1
	scratch_store_b32 off, v6, off offset:304 ; 4-byte Folded Spill
	s_wait_alu 0xfffe
	s_mov_b32 exec_lo, s3
	s_cbranch_execz .LBB61_17
; %bb.14:
	v_lshl_add_u32 v6, v71, 2, 0x320
	v_mov_b32_e32 v5, 0
	v_mov_b32_e32 v7, v71
	s_mov_b32 s29, 0
.LBB61_15:                              ; =>This Inner Loop Header: Depth=1
	ds_load_b32 v8, v6
	v_add_nc_u32_e32 v7, 0x80, v7
	s_delay_alu instid0(VALU_DEP_1) | instskip(SKIP_4) | instid1(VALU_DEP_1)
	v_cmp_le_i32_e64 s3, s21, v7
	s_wait_alu 0xfffe
	s_or_b32 s29, s3, s29
	s_wait_dscnt 0x0
	v_sub_f32_e32 v8, v8, v0
	v_mul_f32_e32 v8, 0x3fb8aa3b, v8
	s_delay_alu instid0(VALU_DEP_1)
	v_exp_f32_e32 v8, v8
	ds_store_b32 v6, v8
	v_dual_add_f32 v5, v5, v8 :: v_dual_add_nc_u32 v6, 0x200, v6
	s_wait_alu 0xfffe
	s_and_not1_b32 exec_lo, exec_lo, s29
	s_cbranch_execnz .LBB61_15
; %bb.16:
	s_or_b32 exec_lo, exec_lo, s29
	scratch_load_b32 v6, off, off offset:304 ; 4-byte Folded Reload
.LBB61_17:
	s_or_b32 exec_lo, exec_lo, s28
	ds_bpermute_b32 v1, v1, v5
	s_wait_dscnt 0x0
	v_add_f32_e32 v1, v5, v1
	scratch_load_b32 v5, off, off offset:296 ; 4-byte Folded Reload
	ds_bpermute_b32 v2, v2, v1
	s_wait_dscnt 0x0
	v_add_f32_e32 v1, v1, v2
	scratch_load_b32 v2, off, off offset:300 ; 4-byte Folded Reload
	s_wait_loadcnt 0x0
	ds_bpermute_b32 v2, v2, v1
	s_wait_dscnt 0x0
	v_add_f32_e32 v1, v1, v2
	ds_bpermute_b32 v2, v6, v1
	s_wait_dscnt 0x0
	v_add_f32_e32 v1, v1, v2
	;; [unrolled: 3-line block ×3, first 2 shown]
	s_and_saveexec_b32 s3, vcc_lo
; %bb.18:
	ds_store_b32 v4, v1 offset:784
; %bb.19:
	s_wait_alu 0xfffe
	s_or_b32 exec_lo, exec_lo, s3
	s_wait_storecnt_dscnt 0x0
	s_barrier_signal -1
	s_barrier_wait -1
	global_inv scope:SCOPE_SE
	s_and_saveexec_b32 s3, s0
; %bb.20:
	ds_load_b32 v1, v10 offset:784
; %bb.21:
	s_wait_alu 0xfffe
	s_or_b32 exec_lo, exec_lo, s3
	s_wait_dscnt 0x0
	ds_bpermute_b32 v2, v6, v1
	s_wait_dscnt 0x0
	v_add_f32_e32 v1, v1, v2
	ds_bpermute_b32 v2, v5, v1
	s_wait_dscnt 0x0
	v_dual_add_f32 v1, v1, v2 :: v_dual_mov_b32 v2, 0
	ds_bpermute_b32 v1, v2, v1
	s_and_saveexec_b32 s0, s1
	s_cbranch_execz .LBB61_24
; %bb.22:
	s_wait_dscnt 0x0
	v_add_f32_e32 v2, 0x358637bd, v1
	s_mov_b32 s1, 0
	s_delay_alu instid0(VALU_DEP_1) | instskip(SKIP_1) | instid1(VALU_DEP_2)
	v_div_scale_f32 v4, null, v2, v2, 1.0
	v_div_scale_f32 v7, vcc_lo, 1.0, v2, 1.0
	v_rcp_f32_e32 v5, v4
	s_delay_alu instid0(TRANS32_DEP_1) | instskip(NEXT) | instid1(VALU_DEP_1)
	v_fma_f32 v6, -v4, v5, 1.0
	v_fmac_f32_e32 v5, v6, v5
	s_delay_alu instid0(VALU_DEP_1) | instskip(NEXT) | instid1(VALU_DEP_1)
	v_mul_f32_e32 v6, v7, v5
	v_fma_f32 v8, -v4, v6, v7
	s_delay_alu instid0(VALU_DEP_1) | instskip(NEXT) | instid1(VALU_DEP_1)
	v_fmac_f32_e32 v6, v8, v5
	v_fma_f32 v4, -v4, v6, v7
	s_wait_alu 0xfffd
	s_delay_alu instid0(VALU_DEP_1) | instskip(NEXT) | instid1(VALU_DEP_1)
	v_div_fmas_f32 v4, v4, v5, v6
	v_div_fixup_f32 v2, v4, v2, 1.0
	v_mov_b32_e32 v4, v71
.LBB61_23:                              ; =>This Inner Loop Header: Depth=1
	ds_load_b32 v5, v3
	s_wait_dscnt 0x0
	v_dual_mul_f32 v5, v2, v5 :: v_dual_add_nc_u32 v4, 0x80, v4
	s_delay_alu instid0(VALU_DEP_1) | instskip(SKIP_3) | instid1(SALU_CYCLE_1)
	v_cmp_le_i32_e32 vcc_lo, s21, v4
	ds_store_b32 v3, v5
	v_add_nc_u32_e32 v3, 0x200, v3
	s_or_b32 s1, vcc_lo, s1
	s_and_not1_b32 exec_lo, exec_lo, s1
	s_cbranch_execnz .LBB61_23
.LBB61_24:
	s_or_b32 exec_lo, exec_lo, s0
	s_mul_i32 s0, s8, s14
	s_wait_loadcnt_dscnt 0x0
	s_mul_i32 s14, s0, s15
	s_mov_b32 s0, exec_lo
	s_barrier_signal -1
	s_barrier_wait -1
	global_inv scope:SCOPE_SE
	v_cmpx_eq_u32_e32 0, v71
	s_cbranch_execz .LBB61_26
; %bb.25:
	s_ashr_i32 s15, s14, 31
	s_mul_i32 s28, s8, ttmp9
	s_lshl_b32 s1, s24, 2
	s_lshl_b64 s[30:31], s[14:15], 2
	s_wait_alu 0xfffe
	s_ashr_i32 s29, s28, 31
	v_mov_b32_e32 v2, s1
	s_wait_kmcnt 0x0
	s_add_nc_u64 s[6:7], s[6:7], s[30:31]
	s_wait_alu 0xfffe
	s_lshl_b64 s[28:29], s[28:29], 2
	s_add_nc_u64 s[4:5], s[4:5], s[30:31]
	s_wait_alu 0xfffe
	s_add_nc_u64 s[6:7], s[6:7], s[28:29]
	s_add_nc_u64 s[4:5], s[4:5], s[28:29]
	s_clause 0x1
	global_store_b32 v2, v0, s[6:7]
	global_store_b32 v2, v1, s[4:5]
.LBB61_26:
	s_or_b32 exec_lo, exec_lo, s0
	v_dual_mov_b32 v18, 0 :: v_dual_mov_b32 v19, 0
	v_dual_mov_b32 v17, 0 :: v_dual_and_b32 v0, 7, v71
	v_dual_mov_b32 v20, 0 :: v_dual_mov_b32 v5, 0
	v_dual_mov_b32 v22, 0 :: v_dual_mov_b32 v23, 0
	;; [unrolled: 1-line block ×21, first 2 shown]
	v_mov_b32_e32 v60, 0
	v_mov_b32_e32 v62, 0
	;; [unrolled: 1-line block ×3, first 2 shown]
	scratch_store_b32 off, v0, off offset:308 ; 4-byte Folded Spill
	s_and_saveexec_b32 s1, s2
	s_cbranch_execz .LBB61_126
; %bb.27:
	scratch_load_b32 v1, off, off offset:308 ; 4-byte Folded Reload
	v_dual_mov_b32 v7, v191 :: v_dual_lshlrev_b32 v0, 2, v71
	v_lshl_add_u32 v3, v189, 5, s26
	s_wait_kmcnt 0x0
	s_lshl_b64 s[6:7], s[18:19], 2
	s_delay_alu instid0(VALU_DEP_2)
	v_dual_mov_b32 v5, 0 :: v_dual_and_b32 v2, 28, v0
	v_dual_mov_b32 v15, 0 :: v_dual_and_b32 v4, 0x7c, v0
	v_or_b32_e32 v0, 0xf80, v0
	s_wait_alu 0xfffe
	s_add_nc_u64 s[6:7], s[16:17], s[6:7]
	v_add3_u32 v191, v3, v2, 3
	s_ashr_i32 s21, s20, 31
	v_mov_b32_e32 v6, 0
	v_lshlrev_b32_e32 v0, 2, v0
	v_mov_b32_e32 v16, 0
	s_wait_alu 0xfffe
	s_lshl_b64 s[2:3], s[20:21], 2
	s_mov_b32 s4, s9
	s_wait_alu 0xfffe
	s_add_nc_u64 s[2:3], s[22:23], s[2:3]
	scratch_store_b32 off, v0, off offset:292 ; 4-byte Folded Spill
	s_mov_b32 s5, 0
	v_mov_b32_e32 v64, 0
	v_mov_b32_e32 v0, 0
	scratch_store_b32 off, v0, off offset:52 ; 4-byte Folded Spill
	v_mov_b32_e32 v0, 0
	scratch_store_b32 off, v0, off offset:68 ; 4-byte Folded Spill
	;; [unrolled: 2-line block ×43, first 2 shown]
	s_wait_loadcnt 0x0
	v_lshlrev_b32_e32 v1, 4, v1
	s_delay_alu instid0(VALU_DEP_1) | instskip(SKIP_3) | instid1(VALU_DEP_3)
	v_lshl_or_b32 v1, v189, 7, v1
	v_add_co_u32 v189, s0, s6, v9
	s_wait_alu 0xf1ff
	v_add_co_ci_u32_e64 v190, null, s7, 0, s0
	v_add_nc_u32_e32 v2, 0x320, v1
	v_lshlrev_b32_e32 v1, 2, v4
	s_add_co_i32 s6, s27, -1
	scratch_store_b32 off, v1, off offset:288 ; 4-byte Folded Spill
	s_branch .LBB61_29
.LBB61_28:                              ;   in Loop: Header=BB61_29 Depth=1
	s_wait_alu 0xfffe
	s_or_b32 exec_lo, exec_lo, s0
	s_wait_loadcnt_dscnt 0x100
	v_mul_f32_e32 v0, v1, v9
	scratch_load_b32 v9, off, off offset:52 ; 4-byte Folded Reload
	v_add_co_u32 v189, vcc_lo, v189, 16
	s_wait_alu 0xfffd
	v_add_co_ci_u32_e64 v190, null, 0, v190, vcc_lo
	v_dual_fmac_f32 v0, v2, v10 :: v_dual_add_nc_u32 v191, 0x80, v191
	s_delay_alu instid0(VALU_DEP_1) | instskip(NEXT) | instid1(VALU_DEP_1)
	v_fmac_f32_e32 v0, v3, v11
	v_fmac_f32_e32 v0, v4, v12
	s_wait_loadcnt 0x0
	s_delay_alu instid0(VALU_DEP_1)
	v_add_f32_e32 v9, v9, v0
	v_mul_f32_e32 v0, v1, v5
	scratch_load_b32 v5, off, off offset:68 ; 4-byte Folded Reload
	v_fmac_f32_e32 v0, v2, v6
	scratch_load_b32 v6, off, off offset:276 th:TH_LOAD_LU ; 4-byte Folded Reload
	v_fmac_f32_e32 v0, v3, v7
	scratch_load_b32 v7, off, off offset:260 ; 4-byte Folded Reload
	v_fmac_f32_e32 v0, v4, v8
	s_wait_loadcnt 0x2
	s_delay_alu instid0(VALU_DEP_1) | instskip(SKIP_1) | instid1(VALU_DEP_1)
	v_add_f32_e32 v5, v5, v0
	v_mul_f32_e32 v0, v1, v185
	v_fmac_f32_e32 v0, v2, v186
	s_clause 0x1
	scratch_store_b32 off, v9, off offset:52
	scratch_store_b32 off, v5, off offset:68
	scratch_load_b32 v5, off, off offset:84 ; 4-byte Folded Reload
	v_fmac_f32_e32 v0, v3, v187
	s_delay_alu instid0(VALU_DEP_1) | instskip(SKIP_1) | instid1(VALU_DEP_1)
	v_fmac_f32_e32 v0, v4, v188
	s_wait_loadcnt 0x0
	v_add_f32_e32 v5, v5, v0
	v_mul_f32_e32 v0, v1, v181
	s_delay_alu instid0(VALU_DEP_1) | instskip(SKIP_3) | instid1(VALU_DEP_1)
	v_fmac_f32_e32 v0, v2, v182
	scratch_store_b32 off, v5, off offset:84 ; 4-byte Folded Spill
	scratch_load_b32 v5, off, off offset:100 ; 4-byte Folded Reload
	v_fmac_f32_e32 v0, v3, v183
	v_fmac_f32_e32 v0, v4, v184
	s_wait_loadcnt 0x0
	s_delay_alu instid0(VALU_DEP_1) | instskip(SKIP_1) | instid1(VALU_DEP_1)
	v_add_f32_e32 v5, v5, v0
	v_mul_f32_e32 v0, v1, v177
	v_fmac_f32_e32 v0, v2, v178
	scratch_store_b32 off, v5, off offset:100 ; 4-byte Folded Spill
	scratch_load_b32 v5, off, off offset:116 ; 4-byte Folded Reload
	v_fmac_f32_e32 v0, v3, v179
	s_delay_alu instid0(VALU_DEP_1) | instskip(SKIP_1) | instid1(VALU_DEP_1)
	v_fmac_f32_e32 v0, v4, v180
	s_wait_loadcnt 0x0
	v_add_f32_e32 v5, v5, v0
	v_mul_f32_e32 v0, v1, v173
	s_delay_alu instid0(VALU_DEP_1) | instskip(SKIP_3) | instid1(VALU_DEP_1)
	v_fmac_f32_e32 v0, v2, v174
	scratch_store_b32 off, v5, off offset:116 ; 4-byte Folded Spill
	scratch_load_b32 v5, off, off offset:120 ; 4-byte Folded Reload
	v_fmac_f32_e32 v0, v3, v175
	v_fmac_f32_e32 v0, v4, v176
	s_wait_loadcnt 0x0
	s_delay_alu instid0(VALU_DEP_1) | instskip(SKIP_1) | instid1(VALU_DEP_1)
	v_add_f32_e32 v5, v5, v0
	v_mul_f32_e32 v0, v1, v169
	v_fmac_f32_e32 v0, v2, v170
	scratch_store_b32 off, v5, off offset:120 ; 4-byte Folded Spill
	;; [unrolled: 19-line block ×15, first 2 shown]
	scratch_load_b32 v5, off, off offset:228 ; 4-byte Folded Reload
	v_fmac_f32_e32 v0, v3, v63
	s_delay_alu instid0(VALU_DEP_1) | instskip(SKIP_4) | instid1(VALU_DEP_1)
	v_fmac_f32_e32 v0, v4, v64
	scratch_load_b32 v64, off, off offset:272 th:TH_LOAD_LU ; 4-byte Folded Reload
	s_wait_loadcnt 0x1
	v_add_f32_e32 v5, v5, v0
	v_mul_f32_e32 v0, v1, v57
	v_fmac_f32_e32 v0, v2, v58
	scratch_store_b32 off, v5, off offset:228 ; 4-byte Folded Spill
	scratch_load_b32 v5, off, off offset:232 ; 4-byte Folded Reload
	v_fmac_f32_e32 v0, v3, v59
	s_delay_alu instid0(VALU_DEP_1) | instskip(SKIP_1) | instid1(VALU_DEP_1)
	v_fmac_f32_e32 v0, v4, v60
	s_wait_loadcnt 0x0
	v_add_f32_e32 v5, v5, v0
	v_mul_f32_e32 v0, v1, v53
	s_delay_alu instid0(VALU_DEP_1) | instskip(SKIP_3) | instid1(VALU_DEP_1)
	v_fmac_f32_e32 v0, v2, v54
	scratch_store_b32 off, v5, off offset:232 ; 4-byte Folded Spill
	scratch_load_b32 v5, off, off offset:236 ; 4-byte Folded Reload
	v_fmac_f32_e32 v0, v3, v55
	v_fmac_f32_e32 v0, v4, v56
	s_wait_loadcnt 0x0
	s_delay_alu instid0(VALU_DEP_1) | instskip(SKIP_1) | instid1(VALU_DEP_1)
	v_add_f32_e32 v5, v5, v0
	v_mul_f32_e32 v0, v1, v49
	v_fmac_f32_e32 v0, v2, v50
	scratch_store_b32 off, v5, off offset:236 ; 4-byte Folded Spill
	scratch_load_b32 v5, off, off offset:240 ; 4-byte Folded Reload
	v_fmac_f32_e32 v0, v3, v51
	s_delay_alu instid0(VALU_DEP_1) | instskip(SKIP_1) | instid1(VALU_DEP_1)
	v_fmac_f32_e32 v0, v4, v52
	s_wait_loadcnt 0x0
	v_add_f32_e32 v5, v5, v0
	v_mul_f32_e32 v0, v1, v45
	s_delay_alu instid0(VALU_DEP_1) | instskip(SKIP_3) | instid1(VALU_DEP_1)
	v_fmac_f32_e32 v0, v2, v46
	scratch_store_b32 off, v5, off offset:240 ; 4-byte Folded Spill
	scratch_load_b32 v5, off, off offset:244 ; 4-byte Folded Reload
	v_fmac_f32_e32 v0, v3, v47
	v_fmac_f32_e32 v0, v4, v48
	s_wait_loadcnt 0x0
	s_delay_alu instid0(VALU_DEP_1) | instskip(SKIP_1) | instid1(VALU_DEP_1)
	;; [unrolled: 19-line block ×3, first 2 shown]
	v_add_f32_e32 v5, v5, v0
	v_mul_f32_e32 v0, v1, v33
	v_fmac_f32_e32 v0, v2, v34
	scratch_store_b32 off, v5, off offset:252 ; 4-byte Folded Spill
	scratch_load_b32 v5, off, off offset:256 ; 4-byte Folded Reload
	v_fmac_f32_e32 v0, v3, v35
	s_delay_alu instid0(VALU_DEP_1) | instskip(SKIP_1) | instid1(VALU_DEP_1)
	v_fmac_f32_e32 v0, v4, v36
	s_wait_loadcnt 0x0
	v_add_f32_e32 v5, v5, v0
	v_mul_f32_e32 v0, v1, v29
	s_delay_alu instid0(VALU_DEP_1) | instskip(SKIP_3) | instid1(VALU_DEP_1)
	v_fmac_f32_e32 v0, v2, v30
	scratch_store_b32 off, v5, off offset:256 ; 4-byte Folded Spill
	scratch_load_b32 v5, off, off offset:280 th:TH_LOAD_LU ; 4-byte Folded Reload
	v_fmac_f32_e32 v0, v3, v31
	v_fmac_f32_e32 v0, v4, v32
	s_delay_alu instid0(VALU_DEP_1) | instskip(SKIP_1) | instid1(VALU_DEP_1)
	v_add_f32_e32 v6, v6, v0
	v_mul_f32_e32 v0, v1, v25
	v_fmac_f32_e32 v0, v2, v26
	s_delay_alu instid0(VALU_DEP_1) | instskip(NEXT) | instid1(VALU_DEP_1)
	v_fmac_f32_e32 v0, v3, v27
	v_fmac_f32_e32 v0, v4, v28
	s_wait_loadcnt 0x0
	s_delay_alu instid0(VALU_DEP_1) | instskip(SKIP_1) | instid1(VALU_DEP_1)
	v_add_f32_e32 v5, v5, v0
	v_mul_f32_e32 v0, v1, v21
	v_fmac_f32_e32 v0, v2, v22
	s_delay_alu instid0(VALU_DEP_1) | instskip(NEXT) | instid1(VALU_DEP_1)
	v_fmac_f32_e32 v0, v3, v23
	v_fmac_f32_e32 v0, v4, v24
	s_delay_alu instid0(VALU_DEP_1) | instskip(SKIP_3) | instid1(VALU_DEP_1)
	v_dual_add_f32 v7, v7, v0 :: v_dual_mul_f32 v0, v1, v17
	scratch_store_b32 off, v7, off offset:260 ; 4-byte Folded Spill
	scratch_load_b32 v7, off, off offset:264 ; 4-byte Folded Reload
	v_fmac_f32_e32 v0, v2, v18
	v_fmac_f32_e32 v0, v3, v19
	s_delay_alu instid0(VALU_DEP_1) | instskip(SKIP_1) | instid1(VALU_DEP_1)
	v_fmac_f32_e32 v0, v4, v20
	s_wait_loadcnt 0x0
	v_add_f32_e32 v7, v7, v0
	scratch_store_b32 off, v7, off offset:264 ; 4-byte Folded Spill
	scratch_load_b128 v[7:10], off, off offset:32 th:TH_LOAD_LU ; 16-byte Folded Reload
	s_wait_loadcnt 0x0
	v_mul_f32_e32 v0, v1, v7
	scratch_load_b32 v7, off, off offset:268 ; 4-byte Folded Reload
	v_fmac_f32_e32 v0, v2, v8
	s_delay_alu instid0(VALU_DEP_1) | instskip(NEXT) | instid1(VALU_DEP_1)
	v_fmac_f32_e32 v0, v3, v9
	v_fmac_f32_e32 v0, v4, v10
	s_wait_loadcnt 0x0
	s_delay_alu instid0(VALU_DEP_1) | instskip(SKIP_4) | instid1(VALU_DEP_1)
	v_add_f32_e32 v7, v7, v0
	scratch_store_b32 off, v7, off offset:268 ; 4-byte Folded Spill
	scratch_load_b128 v[7:10], off, off offset:16 th:TH_LOAD_LU ; 16-byte Folded Reload
	s_wait_loadcnt 0x0
	v_mul_f32_e32 v0, v1, v7
	v_fmac_f32_e32 v0, v2, v8
	s_delay_alu instid0(VALU_DEP_1) | instskip(NEXT) | instid1(VALU_DEP_1)
	v_fmac_f32_e32 v0, v3, v9
	v_fmac_f32_e32 v0, v4, v10
	scratch_load_b128 v[7:10], off, off th:TH_LOAD_LU ; 16-byte Folded Reload
	s_wait_loadcnt 0x0
	v_dual_add_f32 v15, v15, v0 :: v_dual_mul_f32 v0, v1, v7
	scratch_load_b32 v7, off, off offset:48 th:TH_LOAD_LU ; 4-byte Folded Reload
	v_fmac_f32_e32 v0, v2, v8
	s_delay_alu instid0(VALU_DEP_1) | instskip(NEXT) | instid1(VALU_DEP_1)
	v_fmac_f32_e32 v0, v3, v9
	v_fmac_f32_e32 v0, v4, v10
	s_delay_alu instid0(VALU_DEP_1) | instskip(SKIP_1) | instid1(VALU_DEP_1)
	v_add_f32_e32 v16, v16, v0
	v_mul_f32_e32 v0, v1, v137
	v_fmac_f32_e32 v0, v2, v138
	scratch_load_b32 v2, off, off offset:284 th:TH_LOAD_LU ; 4-byte Folded Reload
	v_fmac_f32_e32 v0, v3, v139
	s_delay_alu instid0(VALU_DEP_1) | instskip(SKIP_1) | instid1(VALU_DEP_1)
	v_fmac_f32_e32 v0, v4, v140
	s_wait_loadcnt 0x1
	v_dual_add_f32 v64, v64, v0 :: v_dual_add_nc_u32 v7, 4, v7
	s_delay_alu instid0(VALU_DEP_1)
	v_cmp_le_i32_e32 vcc_lo, s13, v7
	s_or_b32 s5, vcc_lo, s5
	s_wait_loadcnt 0x0
	v_add_nc_u32_e32 v2, 0x200, v2
	s_wait_alu 0xfffe
	s_and_not1_b32 exec_lo, exec_lo, s5
	s_cbranch_execz .LBB61_125
.LBB61_29:                              ; =>This Inner Loop Header: Depth=1
	s_clause 0x2
	scratch_store_b32 off, v5, off offset:280
	scratch_store_b32 off, v6, off offset:276
	;; [unrolled: 1-line block ×3, first 2 shown]
	global_load_b32 v0, v[189:190], off
	v_add_nc_u32_e32 v14, -2, v191
	v_add_nc_u32_e32 v13, -1, v191
	s_wait_loadcnt 0x0
	v_mad_co_i64_i32 v[0:1], null, v0, s4, 0
	s_delay_alu instid0(VALU_DEP_1) | instskip(SKIP_1) | instid1(VALU_DEP_1)
	v_lshlrev_b64_e32 v[0:1], 2, v[0:1]
	s_wait_alu 0xfffe
	v_add_co_u32 v5, vcc_lo, s2, v0
	scratch_load_b32 v0, off, off offset:288 ; 4-byte Folded Reload
	s_wait_alu 0xfffd
	v_add_co_ci_u32_e64 v6, null, s3, v1, vcc_lo
	s_wait_loadcnt 0x0
	v_add_co_u32 v137, vcc_lo, v5, v0
	s_wait_alu 0xfffd
	s_delay_alu instid0(VALU_DEP_2)
	v_add_co_ci_u32_e64 v138, null, 0, v6, vcc_lo
	v_add_nc_u32_e32 v0, -3, v191
	v_cmp_eq_u32_e32 vcc_lo, s6, v7
	global_load_b128 v[8:11], v[137:138], off
	s_wait_loadcnt 0x0
	s_clause 0x1
	scratch_store_b128 off, v[8:11], off
	scratch_store_b32 off, v2, off offset:284
	ds_load_b128 v[1:4], v2
	scratch_store_b32 off, v7, off offset:48 ; 4-byte Folded Spill
	s_and_saveexec_b32 s7, vcc_lo
	s_cbranch_execz .LBB61_31
; %bb.30:                               ;   in Loop: Header=BB61_29 Depth=1
	scratch_load_b128 v[7:10], off, off th:TH_LOAD_LU ; 16-byte Folded Reload
	v_cmp_gt_i32_e64 s0, s25, v0
	s_wait_loadcnt 0x0
	s_wait_alu 0xf1ff
	s_delay_alu instid0(VALU_DEP_1) | instskip(SKIP_2) | instid1(VALU_DEP_1)
	v_cndmask_b32_e64 v7, 0, v7, s0
	v_cmp_gt_i32_e64 s0, s25, v14
	s_wait_alu 0xf1ff
	v_cndmask_b32_e64 v8, 0, v8, s0
	v_cmp_gt_i32_e64 s0, s25, v13
	s_wait_alu 0xf1ff
	s_delay_alu instid0(VALU_DEP_1) | instskip(SKIP_2) | instid1(VALU_DEP_1)
	v_cndmask_b32_e64 v9, 0, v9, s0
	v_cmp_gt_i32_e64 s0, s25, v191
	s_wait_alu 0xf1ff
	v_cndmask_b32_e64 v10, 0, v10, s0
	scratch_store_b128 off, v[7:10], off    ; 16-byte Folded Spill
.LBB61_31:                              ;   in Loop: Header=BB61_29 Depth=1
	s_wait_alu 0xfffe
	s_or_b32 exec_lo, exec_lo, s7
	global_load_b128 v[7:10], v[137:138], off offset:512
	s_wait_loadcnt 0x0
	scratch_store_b128 off, v[7:10], off offset:16 ; 16-byte Folded Spill
	s_and_saveexec_b32 s7, vcc_lo
	s_cbranch_execz .LBB61_33
; %bb.32:                               ;   in Loop: Header=BB61_29 Depth=1
	scratch_load_b128 v[7:10], off, off offset:16 th:TH_LOAD_LU ; 16-byte Folded Reload
	v_cmp_gt_i32_e64 s0, s25, v0
	s_wait_loadcnt 0x0
	s_wait_alu 0xf1ff
	s_delay_alu instid0(VALU_DEP_1) | instskip(SKIP_2) | instid1(VALU_DEP_1)
	v_cndmask_b32_e64 v7, 0, v7, s0
	v_cmp_gt_i32_e64 s0, s25, v14
	s_wait_alu 0xf1ff
	v_cndmask_b32_e64 v8, 0, v8, s0
	v_cmp_gt_i32_e64 s0, s25, v13
	s_wait_alu 0xf1ff
	s_delay_alu instid0(VALU_DEP_1) | instskip(SKIP_2) | instid1(VALU_DEP_1)
	v_cndmask_b32_e64 v9, 0, v9, s0
	v_cmp_gt_i32_e64 s0, s25, v191
	s_wait_alu 0xf1ff
	v_cndmask_b32_e64 v10, 0, v10, s0
	scratch_store_b128 off, v[7:10], off offset:16 ; 16-byte Folded Spill
.LBB61_33:                              ;   in Loop: Header=BB61_29 Depth=1
	s_wait_alu 0xfffe
	s_or_b32 exec_lo, exec_lo, s7
	global_load_b128 v[7:10], v[137:138], off offset:1024
	s_wait_loadcnt 0x0
	scratch_store_b128 off, v[7:10], off offset:32 ; 16-byte Folded Spill
	s_and_saveexec_b32 s7, vcc_lo
	s_cbranch_execnz .LBB61_80
; %bb.34:                               ;   in Loop: Header=BB61_29 Depth=1
	s_wait_alu 0xfffe
	s_or_b32 exec_lo, exec_lo, s7
	global_load_b128 v[17:20], v[137:138], off offset:1536
	s_and_saveexec_b32 s7, vcc_lo
	s_cbranch_execnz .LBB61_81
.LBB61_35:                              ;   in Loop: Header=BB61_29 Depth=1
	s_wait_alu 0xfffe
	s_or_b32 exec_lo, exec_lo, s7
	global_load_b128 v[21:24], v[137:138], off offset:2048
	s_and_saveexec_b32 s7, vcc_lo
	s_cbranch_execnz .LBB61_82
.LBB61_36:                              ;   in Loop: Header=BB61_29 Depth=1
	s_wait_alu 0xfffe
	s_or_b32 exec_lo, exec_lo, s7
	global_load_b128 v[25:28], v[137:138], off offset:2560
	s_and_saveexec_b32 s7, vcc_lo
	s_cbranch_execnz .LBB61_83
.LBB61_37:                              ;   in Loop: Header=BB61_29 Depth=1
	s_wait_alu 0xfffe
	s_or_b32 exec_lo, exec_lo, s7
	global_load_b128 v[29:32], v[137:138], off offset:3072
	s_and_saveexec_b32 s7, vcc_lo
	s_cbranch_execnz .LBB61_84
.LBB61_38:                              ;   in Loop: Header=BB61_29 Depth=1
	s_wait_alu 0xfffe
	s_or_b32 exec_lo, exec_lo, s7
	global_load_b128 v[33:36], v[137:138], off offset:3584
	s_and_saveexec_b32 s7, vcc_lo
	s_cbranch_execnz .LBB61_85
.LBB61_39:                              ;   in Loop: Header=BB61_29 Depth=1
	s_wait_alu 0xfffe
	s_or_b32 exec_lo, exec_lo, s7
	global_load_b128 v[37:40], v[137:138], off offset:4096
	s_and_saveexec_b32 s7, vcc_lo
	s_cbranch_execnz .LBB61_86
.LBB61_40:                              ;   in Loop: Header=BB61_29 Depth=1
	s_wait_alu 0xfffe
	s_or_b32 exec_lo, exec_lo, s7
	global_load_b128 v[41:44], v[137:138], off offset:4608
	s_and_saveexec_b32 s7, vcc_lo
	s_cbranch_execnz .LBB61_87
.LBB61_41:                              ;   in Loop: Header=BB61_29 Depth=1
	s_wait_alu 0xfffe
	s_or_b32 exec_lo, exec_lo, s7
	global_load_b128 v[45:48], v[137:138], off offset:5120
	s_and_saveexec_b32 s7, vcc_lo
	s_cbranch_execnz .LBB61_88
.LBB61_42:                              ;   in Loop: Header=BB61_29 Depth=1
	s_wait_alu 0xfffe
	s_or_b32 exec_lo, exec_lo, s7
	global_load_b128 v[49:52], v[137:138], off offset:5632
	s_and_saveexec_b32 s7, vcc_lo
	s_cbranch_execnz .LBB61_89
.LBB61_43:                              ;   in Loop: Header=BB61_29 Depth=1
	s_wait_alu 0xfffe
	s_or_b32 exec_lo, exec_lo, s7
	global_load_b128 v[53:56], v[137:138], off offset:6144
	s_and_saveexec_b32 s7, vcc_lo
	s_cbranch_execnz .LBB61_90
.LBB61_44:                              ;   in Loop: Header=BB61_29 Depth=1
	s_wait_alu 0xfffe
	s_or_b32 exec_lo, exec_lo, s7
	global_load_b128 v[57:60], v[137:138], off offset:6656
	s_and_saveexec_b32 s7, vcc_lo
	s_cbranch_execnz .LBB61_91
.LBB61_45:                              ;   in Loop: Header=BB61_29 Depth=1
	s_wait_alu 0xfffe
	s_or_b32 exec_lo, exec_lo, s7
	global_load_b128 v[61:64], v[137:138], off offset:7168
	s_and_saveexec_b32 s7, vcc_lo
	s_cbranch_execnz .LBB61_92
.LBB61_46:                              ;   in Loop: Header=BB61_29 Depth=1
	s_wait_alu 0xfffe
	s_or_b32 exec_lo, exec_lo, s7
	global_load_b128 v[65:68], v[137:138], off offset:7680
	s_and_saveexec_b32 s7, vcc_lo
	s_cbranch_execnz .LBB61_93
.LBB61_47:                              ;   in Loop: Header=BB61_29 Depth=1
	s_wait_alu 0xfffe
	s_or_b32 exec_lo, exec_lo, s7
	global_load_b128 v[69:72], v[137:138], off offset:8192
	s_and_saveexec_b32 s7, vcc_lo
	s_cbranch_execnz .LBB61_94
.LBB61_48:                              ;   in Loop: Header=BB61_29 Depth=1
	s_wait_alu 0xfffe
	s_or_b32 exec_lo, exec_lo, s7
	global_load_b128 v[73:76], v[137:138], off offset:8704
	s_and_saveexec_b32 s7, vcc_lo
	s_cbranch_execnz .LBB61_95
.LBB61_49:                              ;   in Loop: Header=BB61_29 Depth=1
	s_wait_alu 0xfffe
	s_or_b32 exec_lo, exec_lo, s7
	global_load_b128 v[77:80], v[137:138], off offset:9216
	s_and_saveexec_b32 s7, vcc_lo
	s_cbranch_execnz .LBB61_96
.LBB61_50:                              ;   in Loop: Header=BB61_29 Depth=1
	s_wait_alu 0xfffe
	s_or_b32 exec_lo, exec_lo, s7
	global_load_b128 v[81:84], v[137:138], off offset:9728
	s_and_saveexec_b32 s7, vcc_lo
	s_cbranch_execnz .LBB61_97
.LBB61_51:                              ;   in Loop: Header=BB61_29 Depth=1
	s_wait_alu 0xfffe
	s_or_b32 exec_lo, exec_lo, s7
	global_load_b128 v[85:88], v[137:138], off offset:10240
	s_and_saveexec_b32 s7, vcc_lo
	s_cbranch_execnz .LBB61_98
.LBB61_52:                              ;   in Loop: Header=BB61_29 Depth=1
	s_wait_alu 0xfffe
	s_or_b32 exec_lo, exec_lo, s7
	global_load_b128 v[89:92], v[137:138], off offset:10752
	s_and_saveexec_b32 s7, vcc_lo
	s_cbranch_execnz .LBB61_99
.LBB61_53:                              ;   in Loop: Header=BB61_29 Depth=1
	s_wait_alu 0xfffe
	s_or_b32 exec_lo, exec_lo, s7
	global_load_b128 v[93:96], v[137:138], off offset:11264
	s_and_saveexec_b32 s7, vcc_lo
	s_cbranch_execnz .LBB61_100
.LBB61_54:                              ;   in Loop: Header=BB61_29 Depth=1
	s_wait_alu 0xfffe
	s_or_b32 exec_lo, exec_lo, s7
	global_load_b128 v[97:100], v[137:138], off offset:11776
	s_and_saveexec_b32 s7, vcc_lo
	s_cbranch_execnz .LBB61_101
.LBB61_55:                              ;   in Loop: Header=BB61_29 Depth=1
	s_wait_alu 0xfffe
	s_or_b32 exec_lo, exec_lo, s7
	global_load_b128 v[101:104], v[137:138], off offset:12288
	s_and_saveexec_b32 s7, vcc_lo
	s_cbranch_execnz .LBB61_102
.LBB61_56:                              ;   in Loop: Header=BB61_29 Depth=1
	s_wait_alu 0xfffe
	s_or_b32 exec_lo, exec_lo, s7
	global_load_b128 v[105:108], v[137:138], off offset:12800
	s_and_saveexec_b32 s7, vcc_lo
	s_cbranch_execnz .LBB61_103
.LBB61_57:                              ;   in Loop: Header=BB61_29 Depth=1
	s_wait_alu 0xfffe
	s_or_b32 exec_lo, exec_lo, s7
	global_load_b128 v[109:112], v[137:138], off offset:13312
	s_and_saveexec_b32 s7, vcc_lo
	s_cbranch_execnz .LBB61_104
.LBB61_58:                              ;   in Loop: Header=BB61_29 Depth=1
	s_wait_alu 0xfffe
	s_or_b32 exec_lo, exec_lo, s7
	global_load_b128 v[113:116], v[137:138], off offset:13824
	s_and_saveexec_b32 s7, vcc_lo
	s_cbranch_execnz .LBB61_105
.LBB61_59:                              ;   in Loop: Header=BB61_29 Depth=1
	s_wait_alu 0xfffe
	s_or_b32 exec_lo, exec_lo, s7
	global_load_b128 v[117:120], v[137:138], off offset:14336
	s_and_saveexec_b32 s7, vcc_lo
	s_cbranch_execnz .LBB61_106
.LBB61_60:                              ;   in Loop: Header=BB61_29 Depth=1
	s_wait_alu 0xfffe
	s_or_b32 exec_lo, exec_lo, s7
	global_load_b128 v[121:124], v[137:138], off offset:14848
	s_and_saveexec_b32 s7, vcc_lo
	s_cbranch_execnz .LBB61_107
.LBB61_61:                              ;   in Loop: Header=BB61_29 Depth=1
	s_wait_alu 0xfffe
	s_or_b32 exec_lo, exec_lo, s7
	global_load_b128 v[125:128], v[137:138], off offset:15360
	s_and_saveexec_b32 s7, vcc_lo
	s_cbranch_execz .LBB61_63
.LBB61_62:                              ;   in Loop: Header=BB61_29 Depth=1
	v_cmp_gt_i32_e64 s0, s25, v0
	s_wait_loadcnt 0x0
	s_wait_alu 0xf1ff
	s_delay_alu instid0(VALU_DEP_1) | instskip(SKIP_2) | instid1(VALU_DEP_1)
	v_cndmask_b32_e64 v125, 0, v125, s0
	v_cmp_gt_i32_e64 s0, s25, v14
	s_wait_alu 0xf1ff
	v_cndmask_b32_e64 v126, 0, v126, s0
	v_cmp_gt_i32_e64 s0, s25, v13
	s_wait_alu 0xf1ff
	s_delay_alu instid0(VALU_DEP_1) | instskip(SKIP_2) | instid1(VALU_DEP_1)
	v_cndmask_b32_e64 v127, 0, v127, s0
	v_cmp_gt_i32_e64 s0, s25, v191
	s_wait_alu 0xf1ff
	v_cndmask_b32_e64 v128, 0, v128, s0
.LBB61_63:                              ;   in Loop: Header=BB61_29 Depth=1
	s_wait_alu 0xfffe
	s_or_b32 exec_lo, exec_lo, s7
	scratch_load_b32 v7, off, off offset:292 ; 4-byte Folded Reload
	s_wait_loadcnt 0x0
	v_add_co_u32 v5, s0, v5, v7
	s_wait_alu 0xf1ff
	v_add_co_ci_u32_e64 v6, null, 0, v6, s0
	global_load_b128 v[129:132], v[5:6], off
	s_and_saveexec_b32 s7, vcc_lo
	s_cbranch_execnz .LBB61_108
; %bb.64:                               ;   in Loop: Header=BB61_29 Depth=1
	s_wait_alu 0xfffe
	s_or_b32 exec_lo, exec_lo, s7
	global_load_b128 v[133:136], v[137:138], off offset:16384
	s_and_saveexec_b32 s7, vcc_lo
	s_cbranch_execnz .LBB61_109
.LBB61_65:                              ;   in Loop: Header=BB61_29 Depth=1
	s_wait_alu 0xfffe
	s_or_b32 exec_lo, exec_lo, s7
	global_load_b128 v[141:144], v[137:138], off offset:16896
	s_and_saveexec_b32 s7, vcc_lo
	s_cbranch_execnz .LBB61_110
.LBB61_66:                              ;   in Loop: Header=BB61_29 Depth=1
	s_wait_alu 0xfffe
	s_or_b32 exec_lo, exec_lo, s7
	global_load_b128 v[145:148], v[137:138], off offset:17408
	s_and_saveexec_b32 s7, vcc_lo
	s_cbranch_execnz .LBB61_111
.LBB61_67:                              ;   in Loop: Header=BB61_29 Depth=1
	s_wait_alu 0xfffe
	s_or_b32 exec_lo, exec_lo, s7
	global_load_b128 v[149:152], v[137:138], off offset:17920
	s_and_saveexec_b32 s7, vcc_lo
	s_cbranch_execnz .LBB61_112
.LBB61_68:                              ;   in Loop: Header=BB61_29 Depth=1
	s_wait_alu 0xfffe
	s_or_b32 exec_lo, exec_lo, s7
	global_load_b128 v[153:156], v[137:138], off offset:18432
	s_and_saveexec_b32 s7, vcc_lo
	s_cbranch_execnz .LBB61_113
.LBB61_69:                              ;   in Loop: Header=BB61_29 Depth=1
	s_wait_alu 0xfffe
	s_or_b32 exec_lo, exec_lo, s7
	global_load_b128 v[157:160], v[137:138], off offset:18944
	s_and_saveexec_b32 s7, vcc_lo
	s_cbranch_execnz .LBB61_114
.LBB61_70:                              ;   in Loop: Header=BB61_29 Depth=1
	s_wait_alu 0xfffe
	s_or_b32 exec_lo, exec_lo, s7
	global_load_b128 v[161:164], v[137:138], off offset:19456
	s_and_saveexec_b32 s7, vcc_lo
	s_cbranch_execnz .LBB61_115
.LBB61_71:                              ;   in Loop: Header=BB61_29 Depth=1
	s_wait_alu 0xfffe
	s_or_b32 exec_lo, exec_lo, s7
	global_load_b128 v[165:168], v[137:138], off offset:19968
	s_and_saveexec_b32 s7, vcc_lo
	s_cbranch_execnz .LBB61_116
.LBB61_72:                              ;   in Loop: Header=BB61_29 Depth=1
	s_wait_alu 0xfffe
	s_or_b32 exec_lo, exec_lo, s7
	global_load_b128 v[169:172], v[137:138], off offset:20480
	s_and_saveexec_b32 s7, vcc_lo
	s_cbranch_execnz .LBB61_117
.LBB61_73:                              ;   in Loop: Header=BB61_29 Depth=1
	s_wait_alu 0xfffe
	s_or_b32 exec_lo, exec_lo, s7
	global_load_b128 v[173:176], v[137:138], off offset:20992
	s_and_saveexec_b32 s7, vcc_lo
	s_cbranch_execnz .LBB61_118
.LBB61_74:                              ;   in Loop: Header=BB61_29 Depth=1
	s_wait_alu 0xfffe
	s_or_b32 exec_lo, exec_lo, s7
	global_load_b128 v[177:180], v[137:138], off offset:21504
	s_and_saveexec_b32 s7, vcc_lo
	s_cbranch_execnz .LBB61_119
.LBB61_75:                              ;   in Loop: Header=BB61_29 Depth=1
	s_wait_alu 0xfffe
	s_or_b32 exec_lo, exec_lo, s7
	global_load_b128 v[181:184], v[137:138], off offset:22016
	s_and_saveexec_b32 s7, vcc_lo
	s_cbranch_execnz .LBB61_120
.LBB61_76:                              ;   in Loop: Header=BB61_29 Depth=1
	s_wait_alu 0xfffe
	s_or_b32 exec_lo, exec_lo, s7
	global_load_b128 v[185:188], v[137:138], off offset:22528
	s_and_saveexec_b32 s7, vcc_lo
	s_cbranch_execnz .LBB61_121
.LBB61_77:                              ;   in Loop: Header=BB61_29 Depth=1
	s_wait_alu 0xfffe
	s_or_b32 exec_lo, exec_lo, s7
	global_load_b128 v[5:8], v[137:138], off offset:23040
	s_and_saveexec_b32 s7, vcc_lo
	s_cbranch_execnz .LBB61_122
.LBB61_78:                              ;   in Loop: Header=BB61_29 Depth=1
	s_wait_alu 0xfffe
	s_or_b32 exec_lo, exec_lo, s7
	global_load_b128 v[9:12], v[137:138], off offset:23552
	s_and_saveexec_b32 s7, vcc_lo
	s_cbranch_execnz .LBB61_123
.LBB61_79:                              ;   in Loop: Header=BB61_29 Depth=1
	s_wait_alu 0xfffe
	s_or_b32 exec_lo, exec_lo, s7
	global_load_b128 v[137:140], v[137:138], off offset:24064
	s_and_saveexec_b32 s0, vcc_lo
	s_cbranch_execz .LBB61_28
	s_branch .LBB61_124
.LBB61_80:                              ;   in Loop: Header=BB61_29 Depth=1
	scratch_load_b128 v[7:10], off, off offset:32 th:TH_LOAD_LU ; 16-byte Folded Reload
	v_cmp_gt_i32_e64 s0, s25, v0
	s_wait_loadcnt 0x0
	s_wait_alu 0xf1ff
	s_delay_alu instid0(VALU_DEP_1) | instskip(SKIP_2) | instid1(VALU_DEP_1)
	v_cndmask_b32_e64 v7, 0, v7, s0
	v_cmp_gt_i32_e64 s0, s25, v14
	s_wait_alu 0xf1ff
	v_cndmask_b32_e64 v8, 0, v8, s0
	v_cmp_gt_i32_e64 s0, s25, v13
	s_wait_alu 0xf1ff
	s_delay_alu instid0(VALU_DEP_1) | instskip(SKIP_2) | instid1(VALU_DEP_1)
	v_cndmask_b32_e64 v9, 0, v9, s0
	v_cmp_gt_i32_e64 s0, s25, v191
	s_wait_alu 0xf1ff
	v_cndmask_b32_e64 v10, 0, v10, s0
	scratch_store_b128 off, v[7:10], off offset:32 ; 16-byte Folded Spill
	s_wait_alu 0xfffe
	s_or_b32 exec_lo, exec_lo, s7
	global_load_b128 v[17:20], v[137:138], off offset:1536
	s_and_saveexec_b32 s7, vcc_lo
	s_cbranch_execz .LBB61_35
.LBB61_81:                              ;   in Loop: Header=BB61_29 Depth=1
	v_cmp_gt_i32_e64 s0, s25, v0
	s_wait_loadcnt 0x0
	s_wait_alu 0xf1ff
	s_delay_alu instid0(VALU_DEP_1) | instskip(SKIP_2) | instid1(VALU_DEP_1)
	v_cndmask_b32_e64 v17, 0, v17, s0
	v_cmp_gt_i32_e64 s0, s25, v14
	s_wait_alu 0xf1ff
	v_cndmask_b32_e64 v18, 0, v18, s0
	v_cmp_gt_i32_e64 s0, s25, v13
	s_wait_alu 0xf1ff
	s_delay_alu instid0(VALU_DEP_1) | instskip(SKIP_2) | instid1(VALU_DEP_1)
	v_cndmask_b32_e64 v19, 0, v19, s0
	v_cmp_gt_i32_e64 s0, s25, v191
	s_wait_alu 0xf1ff
	v_cndmask_b32_e64 v20, 0, v20, s0
	s_wait_alu 0xfffe
	s_or_b32 exec_lo, exec_lo, s7
	global_load_b128 v[21:24], v[137:138], off offset:2048
	s_and_saveexec_b32 s7, vcc_lo
	s_cbranch_execz .LBB61_36
.LBB61_82:                              ;   in Loop: Header=BB61_29 Depth=1
	v_cmp_gt_i32_e64 s0, s25, v0
	s_wait_loadcnt 0x0
	s_wait_alu 0xf1ff
	s_delay_alu instid0(VALU_DEP_1) | instskip(SKIP_2) | instid1(VALU_DEP_1)
	v_cndmask_b32_e64 v21, 0, v21, s0
	v_cmp_gt_i32_e64 s0, s25, v14
	s_wait_alu 0xf1ff
	v_cndmask_b32_e64 v22, 0, v22, s0
	v_cmp_gt_i32_e64 s0, s25, v13
	s_wait_alu 0xf1ff
	s_delay_alu instid0(VALU_DEP_1) | instskip(SKIP_2) | instid1(VALU_DEP_1)
	v_cndmask_b32_e64 v23, 0, v23, s0
	v_cmp_gt_i32_e64 s0, s25, v191
	s_wait_alu 0xf1ff
	v_cndmask_b32_e64 v24, 0, v24, s0
	s_wait_alu 0xfffe
	s_or_b32 exec_lo, exec_lo, s7
	global_load_b128 v[25:28], v[137:138], off offset:2560
	s_and_saveexec_b32 s7, vcc_lo
	s_cbranch_execz .LBB61_37
.LBB61_83:                              ;   in Loop: Header=BB61_29 Depth=1
	v_cmp_gt_i32_e64 s0, s25, v0
	s_wait_loadcnt 0x0
	s_wait_alu 0xf1ff
	s_delay_alu instid0(VALU_DEP_1) | instskip(SKIP_2) | instid1(VALU_DEP_1)
	v_cndmask_b32_e64 v25, 0, v25, s0
	v_cmp_gt_i32_e64 s0, s25, v14
	s_wait_alu 0xf1ff
	v_cndmask_b32_e64 v26, 0, v26, s0
	v_cmp_gt_i32_e64 s0, s25, v13
	s_wait_alu 0xf1ff
	s_delay_alu instid0(VALU_DEP_1) | instskip(SKIP_2) | instid1(VALU_DEP_1)
	v_cndmask_b32_e64 v27, 0, v27, s0
	v_cmp_gt_i32_e64 s0, s25, v191
	s_wait_alu 0xf1ff
	v_cndmask_b32_e64 v28, 0, v28, s0
	s_wait_alu 0xfffe
	s_or_b32 exec_lo, exec_lo, s7
	global_load_b128 v[29:32], v[137:138], off offset:3072
	s_and_saveexec_b32 s7, vcc_lo
	s_cbranch_execz .LBB61_38
.LBB61_84:                              ;   in Loop: Header=BB61_29 Depth=1
	v_cmp_gt_i32_e64 s0, s25, v0
	s_wait_loadcnt 0x0
	s_wait_alu 0xf1ff
	s_delay_alu instid0(VALU_DEP_1) | instskip(SKIP_2) | instid1(VALU_DEP_1)
	v_cndmask_b32_e64 v29, 0, v29, s0
	v_cmp_gt_i32_e64 s0, s25, v14
	s_wait_alu 0xf1ff
	v_cndmask_b32_e64 v30, 0, v30, s0
	v_cmp_gt_i32_e64 s0, s25, v13
	s_wait_alu 0xf1ff
	s_delay_alu instid0(VALU_DEP_1) | instskip(SKIP_2) | instid1(VALU_DEP_1)
	v_cndmask_b32_e64 v31, 0, v31, s0
	v_cmp_gt_i32_e64 s0, s25, v191
	s_wait_alu 0xf1ff
	v_cndmask_b32_e64 v32, 0, v32, s0
	s_wait_alu 0xfffe
	s_or_b32 exec_lo, exec_lo, s7
	global_load_b128 v[33:36], v[137:138], off offset:3584
	s_and_saveexec_b32 s7, vcc_lo
	s_cbranch_execz .LBB61_39
.LBB61_85:                              ;   in Loop: Header=BB61_29 Depth=1
	v_cmp_gt_i32_e64 s0, s25, v0
	s_wait_loadcnt 0x0
	s_wait_alu 0xf1ff
	s_delay_alu instid0(VALU_DEP_1) | instskip(SKIP_2) | instid1(VALU_DEP_1)
	v_cndmask_b32_e64 v33, 0, v33, s0
	v_cmp_gt_i32_e64 s0, s25, v14
	s_wait_alu 0xf1ff
	v_cndmask_b32_e64 v34, 0, v34, s0
	v_cmp_gt_i32_e64 s0, s25, v13
	s_wait_alu 0xf1ff
	s_delay_alu instid0(VALU_DEP_1) | instskip(SKIP_2) | instid1(VALU_DEP_1)
	v_cndmask_b32_e64 v35, 0, v35, s0
	v_cmp_gt_i32_e64 s0, s25, v191
	s_wait_alu 0xf1ff
	v_cndmask_b32_e64 v36, 0, v36, s0
	s_wait_alu 0xfffe
	s_or_b32 exec_lo, exec_lo, s7
	global_load_b128 v[37:40], v[137:138], off offset:4096
	s_and_saveexec_b32 s7, vcc_lo
	s_cbranch_execz .LBB61_40
.LBB61_86:                              ;   in Loop: Header=BB61_29 Depth=1
	v_cmp_gt_i32_e64 s0, s25, v0
	s_wait_loadcnt 0x0
	s_wait_alu 0xf1ff
	s_delay_alu instid0(VALU_DEP_1) | instskip(SKIP_2) | instid1(VALU_DEP_1)
	v_cndmask_b32_e64 v37, 0, v37, s0
	v_cmp_gt_i32_e64 s0, s25, v14
	s_wait_alu 0xf1ff
	v_cndmask_b32_e64 v38, 0, v38, s0
	v_cmp_gt_i32_e64 s0, s25, v13
	s_wait_alu 0xf1ff
	s_delay_alu instid0(VALU_DEP_1) | instskip(SKIP_2) | instid1(VALU_DEP_1)
	v_cndmask_b32_e64 v39, 0, v39, s0
	v_cmp_gt_i32_e64 s0, s25, v191
	s_wait_alu 0xf1ff
	v_cndmask_b32_e64 v40, 0, v40, s0
	s_wait_alu 0xfffe
	s_or_b32 exec_lo, exec_lo, s7
	global_load_b128 v[41:44], v[137:138], off offset:4608
	s_and_saveexec_b32 s7, vcc_lo
	s_cbranch_execz .LBB61_41
.LBB61_87:                              ;   in Loop: Header=BB61_29 Depth=1
	v_cmp_gt_i32_e64 s0, s25, v0
	s_wait_loadcnt 0x0
	s_wait_alu 0xf1ff
	s_delay_alu instid0(VALU_DEP_1) | instskip(SKIP_2) | instid1(VALU_DEP_1)
	v_cndmask_b32_e64 v41, 0, v41, s0
	v_cmp_gt_i32_e64 s0, s25, v14
	s_wait_alu 0xf1ff
	v_cndmask_b32_e64 v42, 0, v42, s0
	v_cmp_gt_i32_e64 s0, s25, v13
	s_wait_alu 0xf1ff
	s_delay_alu instid0(VALU_DEP_1) | instskip(SKIP_2) | instid1(VALU_DEP_1)
	v_cndmask_b32_e64 v43, 0, v43, s0
	v_cmp_gt_i32_e64 s0, s25, v191
	s_wait_alu 0xf1ff
	v_cndmask_b32_e64 v44, 0, v44, s0
	s_wait_alu 0xfffe
	s_or_b32 exec_lo, exec_lo, s7
	global_load_b128 v[45:48], v[137:138], off offset:5120
	s_and_saveexec_b32 s7, vcc_lo
	s_cbranch_execz .LBB61_42
.LBB61_88:                              ;   in Loop: Header=BB61_29 Depth=1
	v_cmp_gt_i32_e64 s0, s25, v0
	s_wait_loadcnt 0x0
	s_wait_alu 0xf1ff
	s_delay_alu instid0(VALU_DEP_1) | instskip(SKIP_2) | instid1(VALU_DEP_1)
	v_cndmask_b32_e64 v45, 0, v45, s0
	v_cmp_gt_i32_e64 s0, s25, v14
	s_wait_alu 0xf1ff
	v_cndmask_b32_e64 v46, 0, v46, s0
	v_cmp_gt_i32_e64 s0, s25, v13
	s_wait_alu 0xf1ff
	s_delay_alu instid0(VALU_DEP_1) | instskip(SKIP_2) | instid1(VALU_DEP_1)
	v_cndmask_b32_e64 v47, 0, v47, s0
	v_cmp_gt_i32_e64 s0, s25, v191
	s_wait_alu 0xf1ff
	v_cndmask_b32_e64 v48, 0, v48, s0
	s_wait_alu 0xfffe
	s_or_b32 exec_lo, exec_lo, s7
	global_load_b128 v[49:52], v[137:138], off offset:5632
	s_and_saveexec_b32 s7, vcc_lo
	s_cbranch_execz .LBB61_43
.LBB61_89:                              ;   in Loop: Header=BB61_29 Depth=1
	v_cmp_gt_i32_e64 s0, s25, v0
	s_wait_loadcnt 0x0
	s_wait_alu 0xf1ff
	s_delay_alu instid0(VALU_DEP_1) | instskip(SKIP_2) | instid1(VALU_DEP_1)
	v_cndmask_b32_e64 v49, 0, v49, s0
	v_cmp_gt_i32_e64 s0, s25, v14
	s_wait_alu 0xf1ff
	v_cndmask_b32_e64 v50, 0, v50, s0
	v_cmp_gt_i32_e64 s0, s25, v13
	s_wait_alu 0xf1ff
	s_delay_alu instid0(VALU_DEP_1) | instskip(SKIP_2) | instid1(VALU_DEP_1)
	v_cndmask_b32_e64 v51, 0, v51, s0
	v_cmp_gt_i32_e64 s0, s25, v191
	s_wait_alu 0xf1ff
	v_cndmask_b32_e64 v52, 0, v52, s0
	s_wait_alu 0xfffe
	s_or_b32 exec_lo, exec_lo, s7
	global_load_b128 v[53:56], v[137:138], off offset:6144
	s_and_saveexec_b32 s7, vcc_lo
	s_cbranch_execz .LBB61_44
.LBB61_90:                              ;   in Loop: Header=BB61_29 Depth=1
	v_cmp_gt_i32_e64 s0, s25, v0
	s_wait_loadcnt 0x0
	s_wait_alu 0xf1ff
	s_delay_alu instid0(VALU_DEP_1) | instskip(SKIP_2) | instid1(VALU_DEP_1)
	v_cndmask_b32_e64 v53, 0, v53, s0
	v_cmp_gt_i32_e64 s0, s25, v14
	s_wait_alu 0xf1ff
	v_cndmask_b32_e64 v54, 0, v54, s0
	v_cmp_gt_i32_e64 s0, s25, v13
	s_wait_alu 0xf1ff
	s_delay_alu instid0(VALU_DEP_1) | instskip(SKIP_2) | instid1(VALU_DEP_1)
	v_cndmask_b32_e64 v55, 0, v55, s0
	v_cmp_gt_i32_e64 s0, s25, v191
	s_wait_alu 0xf1ff
	v_cndmask_b32_e64 v56, 0, v56, s0
	s_wait_alu 0xfffe
	s_or_b32 exec_lo, exec_lo, s7
	global_load_b128 v[57:60], v[137:138], off offset:6656
	s_and_saveexec_b32 s7, vcc_lo
	s_cbranch_execz .LBB61_45
.LBB61_91:                              ;   in Loop: Header=BB61_29 Depth=1
	v_cmp_gt_i32_e64 s0, s25, v0
	s_wait_loadcnt 0x0
	s_wait_alu 0xf1ff
	s_delay_alu instid0(VALU_DEP_1) | instskip(SKIP_2) | instid1(VALU_DEP_1)
	v_cndmask_b32_e64 v57, 0, v57, s0
	v_cmp_gt_i32_e64 s0, s25, v14
	s_wait_alu 0xf1ff
	v_cndmask_b32_e64 v58, 0, v58, s0
	v_cmp_gt_i32_e64 s0, s25, v13
	s_wait_alu 0xf1ff
	s_delay_alu instid0(VALU_DEP_1) | instskip(SKIP_2) | instid1(VALU_DEP_1)
	v_cndmask_b32_e64 v59, 0, v59, s0
	v_cmp_gt_i32_e64 s0, s25, v191
	s_wait_alu 0xf1ff
	v_cndmask_b32_e64 v60, 0, v60, s0
	s_wait_alu 0xfffe
	s_or_b32 exec_lo, exec_lo, s7
	global_load_b128 v[61:64], v[137:138], off offset:7168
	s_and_saveexec_b32 s7, vcc_lo
	s_cbranch_execz .LBB61_46
.LBB61_92:                              ;   in Loop: Header=BB61_29 Depth=1
	v_cmp_gt_i32_e64 s0, s25, v0
	s_wait_loadcnt 0x0
	s_wait_alu 0xf1ff
	s_delay_alu instid0(VALU_DEP_1) | instskip(SKIP_2) | instid1(VALU_DEP_1)
	v_cndmask_b32_e64 v61, 0, v61, s0
	v_cmp_gt_i32_e64 s0, s25, v14
	s_wait_alu 0xf1ff
	v_cndmask_b32_e64 v62, 0, v62, s0
	v_cmp_gt_i32_e64 s0, s25, v13
	s_wait_alu 0xf1ff
	s_delay_alu instid0(VALU_DEP_1) | instskip(SKIP_2) | instid1(VALU_DEP_1)
	v_cndmask_b32_e64 v63, 0, v63, s0
	v_cmp_gt_i32_e64 s0, s25, v191
	s_wait_alu 0xf1ff
	v_cndmask_b32_e64 v64, 0, v64, s0
	s_wait_alu 0xfffe
	s_or_b32 exec_lo, exec_lo, s7
	global_load_b128 v[65:68], v[137:138], off offset:7680
	s_and_saveexec_b32 s7, vcc_lo
	s_cbranch_execz .LBB61_47
.LBB61_93:                              ;   in Loop: Header=BB61_29 Depth=1
	v_cmp_gt_i32_e64 s0, s25, v0
	s_wait_loadcnt 0x0
	s_wait_alu 0xf1ff
	s_delay_alu instid0(VALU_DEP_1) | instskip(SKIP_2) | instid1(VALU_DEP_1)
	v_cndmask_b32_e64 v65, 0, v65, s0
	v_cmp_gt_i32_e64 s0, s25, v14
	s_wait_alu 0xf1ff
	v_cndmask_b32_e64 v66, 0, v66, s0
	v_cmp_gt_i32_e64 s0, s25, v13
	s_wait_alu 0xf1ff
	s_delay_alu instid0(VALU_DEP_1) | instskip(SKIP_2) | instid1(VALU_DEP_1)
	v_cndmask_b32_e64 v67, 0, v67, s0
	v_cmp_gt_i32_e64 s0, s25, v191
	s_wait_alu 0xf1ff
	v_cndmask_b32_e64 v68, 0, v68, s0
	s_wait_alu 0xfffe
	s_or_b32 exec_lo, exec_lo, s7
	global_load_b128 v[69:72], v[137:138], off offset:8192
	s_and_saveexec_b32 s7, vcc_lo
	s_cbranch_execz .LBB61_48
.LBB61_94:                              ;   in Loop: Header=BB61_29 Depth=1
	v_cmp_gt_i32_e64 s0, s25, v0
	s_wait_loadcnt 0x0
	s_wait_alu 0xf1ff
	s_delay_alu instid0(VALU_DEP_1) | instskip(SKIP_2) | instid1(VALU_DEP_1)
	v_cndmask_b32_e64 v69, 0, v69, s0
	v_cmp_gt_i32_e64 s0, s25, v14
	s_wait_alu 0xf1ff
	v_cndmask_b32_e64 v70, 0, v70, s0
	v_cmp_gt_i32_e64 s0, s25, v13
	s_wait_alu 0xf1ff
	s_delay_alu instid0(VALU_DEP_1) | instskip(SKIP_2) | instid1(VALU_DEP_1)
	v_cndmask_b32_e64 v71, 0, v71, s0
	v_cmp_gt_i32_e64 s0, s25, v191
	s_wait_alu 0xf1ff
	v_cndmask_b32_e64 v72, 0, v72, s0
	s_wait_alu 0xfffe
	s_or_b32 exec_lo, exec_lo, s7
	global_load_b128 v[73:76], v[137:138], off offset:8704
	s_and_saveexec_b32 s7, vcc_lo
	s_cbranch_execz .LBB61_49
.LBB61_95:                              ;   in Loop: Header=BB61_29 Depth=1
	v_cmp_gt_i32_e64 s0, s25, v0
	s_wait_loadcnt 0x0
	s_wait_alu 0xf1ff
	s_delay_alu instid0(VALU_DEP_1) | instskip(SKIP_2) | instid1(VALU_DEP_1)
	v_cndmask_b32_e64 v73, 0, v73, s0
	v_cmp_gt_i32_e64 s0, s25, v14
	s_wait_alu 0xf1ff
	v_cndmask_b32_e64 v74, 0, v74, s0
	v_cmp_gt_i32_e64 s0, s25, v13
	s_wait_alu 0xf1ff
	s_delay_alu instid0(VALU_DEP_1) | instskip(SKIP_2) | instid1(VALU_DEP_1)
	v_cndmask_b32_e64 v75, 0, v75, s0
	v_cmp_gt_i32_e64 s0, s25, v191
	s_wait_alu 0xf1ff
	v_cndmask_b32_e64 v76, 0, v76, s0
	s_wait_alu 0xfffe
	s_or_b32 exec_lo, exec_lo, s7
	global_load_b128 v[77:80], v[137:138], off offset:9216
	s_and_saveexec_b32 s7, vcc_lo
	s_cbranch_execz .LBB61_50
.LBB61_96:                              ;   in Loop: Header=BB61_29 Depth=1
	v_cmp_gt_i32_e64 s0, s25, v0
	s_wait_loadcnt 0x0
	s_wait_alu 0xf1ff
	s_delay_alu instid0(VALU_DEP_1) | instskip(SKIP_2) | instid1(VALU_DEP_1)
	v_cndmask_b32_e64 v77, 0, v77, s0
	v_cmp_gt_i32_e64 s0, s25, v14
	s_wait_alu 0xf1ff
	v_cndmask_b32_e64 v78, 0, v78, s0
	v_cmp_gt_i32_e64 s0, s25, v13
	s_wait_alu 0xf1ff
	s_delay_alu instid0(VALU_DEP_1) | instskip(SKIP_2) | instid1(VALU_DEP_1)
	v_cndmask_b32_e64 v79, 0, v79, s0
	v_cmp_gt_i32_e64 s0, s25, v191
	s_wait_alu 0xf1ff
	v_cndmask_b32_e64 v80, 0, v80, s0
	s_wait_alu 0xfffe
	s_or_b32 exec_lo, exec_lo, s7
	global_load_b128 v[81:84], v[137:138], off offset:9728
	s_and_saveexec_b32 s7, vcc_lo
	s_cbranch_execz .LBB61_51
.LBB61_97:                              ;   in Loop: Header=BB61_29 Depth=1
	v_cmp_gt_i32_e64 s0, s25, v0
	s_wait_loadcnt 0x0
	s_wait_alu 0xf1ff
	s_delay_alu instid0(VALU_DEP_1) | instskip(SKIP_2) | instid1(VALU_DEP_1)
	v_cndmask_b32_e64 v81, 0, v81, s0
	v_cmp_gt_i32_e64 s0, s25, v14
	s_wait_alu 0xf1ff
	v_cndmask_b32_e64 v82, 0, v82, s0
	v_cmp_gt_i32_e64 s0, s25, v13
	s_wait_alu 0xf1ff
	s_delay_alu instid0(VALU_DEP_1) | instskip(SKIP_2) | instid1(VALU_DEP_1)
	v_cndmask_b32_e64 v83, 0, v83, s0
	v_cmp_gt_i32_e64 s0, s25, v191
	s_wait_alu 0xf1ff
	v_cndmask_b32_e64 v84, 0, v84, s0
	s_wait_alu 0xfffe
	s_or_b32 exec_lo, exec_lo, s7
	global_load_b128 v[85:88], v[137:138], off offset:10240
	s_and_saveexec_b32 s7, vcc_lo
	s_cbranch_execz .LBB61_52
.LBB61_98:                              ;   in Loop: Header=BB61_29 Depth=1
	v_cmp_gt_i32_e64 s0, s25, v0
	s_wait_loadcnt 0x0
	s_wait_alu 0xf1ff
	s_delay_alu instid0(VALU_DEP_1) | instskip(SKIP_2) | instid1(VALU_DEP_1)
	v_cndmask_b32_e64 v85, 0, v85, s0
	v_cmp_gt_i32_e64 s0, s25, v14
	s_wait_alu 0xf1ff
	v_cndmask_b32_e64 v86, 0, v86, s0
	v_cmp_gt_i32_e64 s0, s25, v13
	s_wait_alu 0xf1ff
	s_delay_alu instid0(VALU_DEP_1) | instskip(SKIP_2) | instid1(VALU_DEP_1)
	v_cndmask_b32_e64 v87, 0, v87, s0
	v_cmp_gt_i32_e64 s0, s25, v191
	s_wait_alu 0xf1ff
	v_cndmask_b32_e64 v88, 0, v88, s0
	s_wait_alu 0xfffe
	s_or_b32 exec_lo, exec_lo, s7
	global_load_b128 v[89:92], v[137:138], off offset:10752
	s_and_saveexec_b32 s7, vcc_lo
	s_cbranch_execz .LBB61_53
.LBB61_99:                              ;   in Loop: Header=BB61_29 Depth=1
	v_cmp_gt_i32_e64 s0, s25, v0
	s_wait_loadcnt 0x0
	s_wait_alu 0xf1ff
	s_delay_alu instid0(VALU_DEP_1) | instskip(SKIP_2) | instid1(VALU_DEP_1)
	v_cndmask_b32_e64 v89, 0, v89, s0
	v_cmp_gt_i32_e64 s0, s25, v14
	s_wait_alu 0xf1ff
	v_cndmask_b32_e64 v90, 0, v90, s0
	v_cmp_gt_i32_e64 s0, s25, v13
	s_wait_alu 0xf1ff
	s_delay_alu instid0(VALU_DEP_1) | instskip(SKIP_2) | instid1(VALU_DEP_1)
	v_cndmask_b32_e64 v91, 0, v91, s0
	v_cmp_gt_i32_e64 s0, s25, v191
	s_wait_alu 0xf1ff
	v_cndmask_b32_e64 v92, 0, v92, s0
	s_wait_alu 0xfffe
	s_or_b32 exec_lo, exec_lo, s7
	global_load_b128 v[93:96], v[137:138], off offset:11264
	s_and_saveexec_b32 s7, vcc_lo
	s_cbranch_execz .LBB61_54
.LBB61_100:                             ;   in Loop: Header=BB61_29 Depth=1
	v_cmp_gt_i32_e64 s0, s25, v0
	s_wait_loadcnt 0x0
	s_wait_alu 0xf1ff
	s_delay_alu instid0(VALU_DEP_1) | instskip(SKIP_2) | instid1(VALU_DEP_1)
	v_cndmask_b32_e64 v93, 0, v93, s0
	v_cmp_gt_i32_e64 s0, s25, v14
	s_wait_alu 0xf1ff
	v_cndmask_b32_e64 v94, 0, v94, s0
	v_cmp_gt_i32_e64 s0, s25, v13
	s_wait_alu 0xf1ff
	s_delay_alu instid0(VALU_DEP_1) | instskip(SKIP_2) | instid1(VALU_DEP_1)
	v_cndmask_b32_e64 v95, 0, v95, s0
	v_cmp_gt_i32_e64 s0, s25, v191
	s_wait_alu 0xf1ff
	v_cndmask_b32_e64 v96, 0, v96, s0
	s_wait_alu 0xfffe
	s_or_b32 exec_lo, exec_lo, s7
	global_load_b128 v[97:100], v[137:138], off offset:11776
	s_and_saveexec_b32 s7, vcc_lo
	s_cbranch_execz .LBB61_55
.LBB61_101:                             ;   in Loop: Header=BB61_29 Depth=1
	v_cmp_gt_i32_e64 s0, s25, v0
	s_wait_loadcnt 0x0
	s_wait_alu 0xf1ff
	s_delay_alu instid0(VALU_DEP_1) | instskip(SKIP_2) | instid1(VALU_DEP_1)
	v_cndmask_b32_e64 v97, 0, v97, s0
	v_cmp_gt_i32_e64 s0, s25, v14
	s_wait_alu 0xf1ff
	v_cndmask_b32_e64 v98, 0, v98, s0
	v_cmp_gt_i32_e64 s0, s25, v13
	s_wait_alu 0xf1ff
	s_delay_alu instid0(VALU_DEP_1) | instskip(SKIP_2) | instid1(VALU_DEP_1)
	v_cndmask_b32_e64 v99, 0, v99, s0
	v_cmp_gt_i32_e64 s0, s25, v191
	s_wait_alu 0xf1ff
	v_cndmask_b32_e64 v100, 0, v100, s0
	s_wait_alu 0xfffe
	s_or_b32 exec_lo, exec_lo, s7
	global_load_b128 v[101:104], v[137:138], off offset:12288
	s_and_saveexec_b32 s7, vcc_lo
	s_cbranch_execz .LBB61_56
.LBB61_102:                             ;   in Loop: Header=BB61_29 Depth=1
	v_cmp_gt_i32_e64 s0, s25, v0
	s_wait_loadcnt 0x0
	s_wait_alu 0xf1ff
	s_delay_alu instid0(VALU_DEP_1) | instskip(SKIP_2) | instid1(VALU_DEP_1)
	v_cndmask_b32_e64 v101, 0, v101, s0
	v_cmp_gt_i32_e64 s0, s25, v14
	s_wait_alu 0xf1ff
	v_cndmask_b32_e64 v102, 0, v102, s0
	v_cmp_gt_i32_e64 s0, s25, v13
	s_wait_alu 0xf1ff
	s_delay_alu instid0(VALU_DEP_1) | instskip(SKIP_2) | instid1(VALU_DEP_1)
	v_cndmask_b32_e64 v103, 0, v103, s0
	v_cmp_gt_i32_e64 s0, s25, v191
	s_wait_alu 0xf1ff
	v_cndmask_b32_e64 v104, 0, v104, s0
	s_wait_alu 0xfffe
	s_or_b32 exec_lo, exec_lo, s7
	global_load_b128 v[105:108], v[137:138], off offset:12800
	s_and_saveexec_b32 s7, vcc_lo
	s_cbranch_execz .LBB61_57
.LBB61_103:                             ;   in Loop: Header=BB61_29 Depth=1
	v_cmp_gt_i32_e64 s0, s25, v0
	s_wait_loadcnt 0x0
	s_wait_alu 0xf1ff
	s_delay_alu instid0(VALU_DEP_1) | instskip(SKIP_2) | instid1(VALU_DEP_1)
	v_cndmask_b32_e64 v105, 0, v105, s0
	v_cmp_gt_i32_e64 s0, s25, v14
	s_wait_alu 0xf1ff
	v_cndmask_b32_e64 v106, 0, v106, s0
	v_cmp_gt_i32_e64 s0, s25, v13
	s_wait_alu 0xf1ff
	s_delay_alu instid0(VALU_DEP_1) | instskip(SKIP_2) | instid1(VALU_DEP_1)
	v_cndmask_b32_e64 v107, 0, v107, s0
	v_cmp_gt_i32_e64 s0, s25, v191
	s_wait_alu 0xf1ff
	v_cndmask_b32_e64 v108, 0, v108, s0
	s_wait_alu 0xfffe
	s_or_b32 exec_lo, exec_lo, s7
	global_load_b128 v[109:112], v[137:138], off offset:13312
	s_and_saveexec_b32 s7, vcc_lo
	s_cbranch_execz .LBB61_58
.LBB61_104:                             ;   in Loop: Header=BB61_29 Depth=1
	v_cmp_gt_i32_e64 s0, s25, v0
	s_wait_loadcnt 0x0
	s_wait_alu 0xf1ff
	s_delay_alu instid0(VALU_DEP_1) | instskip(SKIP_2) | instid1(VALU_DEP_1)
	v_cndmask_b32_e64 v109, 0, v109, s0
	v_cmp_gt_i32_e64 s0, s25, v14
	s_wait_alu 0xf1ff
	v_cndmask_b32_e64 v110, 0, v110, s0
	v_cmp_gt_i32_e64 s0, s25, v13
	s_wait_alu 0xf1ff
	s_delay_alu instid0(VALU_DEP_1) | instskip(SKIP_2) | instid1(VALU_DEP_1)
	v_cndmask_b32_e64 v111, 0, v111, s0
	v_cmp_gt_i32_e64 s0, s25, v191
	s_wait_alu 0xf1ff
	v_cndmask_b32_e64 v112, 0, v112, s0
	s_wait_alu 0xfffe
	s_or_b32 exec_lo, exec_lo, s7
	global_load_b128 v[113:116], v[137:138], off offset:13824
	s_and_saveexec_b32 s7, vcc_lo
	s_cbranch_execz .LBB61_59
.LBB61_105:                             ;   in Loop: Header=BB61_29 Depth=1
	v_cmp_gt_i32_e64 s0, s25, v0
	s_wait_loadcnt 0x0
	s_wait_alu 0xf1ff
	s_delay_alu instid0(VALU_DEP_1) | instskip(SKIP_2) | instid1(VALU_DEP_1)
	v_cndmask_b32_e64 v113, 0, v113, s0
	v_cmp_gt_i32_e64 s0, s25, v14
	s_wait_alu 0xf1ff
	v_cndmask_b32_e64 v114, 0, v114, s0
	v_cmp_gt_i32_e64 s0, s25, v13
	s_wait_alu 0xf1ff
	s_delay_alu instid0(VALU_DEP_1) | instskip(SKIP_2) | instid1(VALU_DEP_1)
	v_cndmask_b32_e64 v115, 0, v115, s0
	v_cmp_gt_i32_e64 s0, s25, v191
	s_wait_alu 0xf1ff
	v_cndmask_b32_e64 v116, 0, v116, s0
	s_wait_alu 0xfffe
	s_or_b32 exec_lo, exec_lo, s7
	global_load_b128 v[117:120], v[137:138], off offset:14336
	s_and_saveexec_b32 s7, vcc_lo
	s_cbranch_execz .LBB61_60
.LBB61_106:                             ;   in Loop: Header=BB61_29 Depth=1
	v_cmp_gt_i32_e64 s0, s25, v0
	s_wait_loadcnt 0x0
	s_wait_alu 0xf1ff
	s_delay_alu instid0(VALU_DEP_1) | instskip(SKIP_2) | instid1(VALU_DEP_1)
	v_cndmask_b32_e64 v117, 0, v117, s0
	v_cmp_gt_i32_e64 s0, s25, v14
	s_wait_alu 0xf1ff
	v_cndmask_b32_e64 v118, 0, v118, s0
	v_cmp_gt_i32_e64 s0, s25, v13
	s_wait_alu 0xf1ff
	s_delay_alu instid0(VALU_DEP_1) | instskip(SKIP_2) | instid1(VALU_DEP_1)
	v_cndmask_b32_e64 v119, 0, v119, s0
	v_cmp_gt_i32_e64 s0, s25, v191
	s_wait_alu 0xf1ff
	v_cndmask_b32_e64 v120, 0, v120, s0
	s_wait_alu 0xfffe
	s_or_b32 exec_lo, exec_lo, s7
	global_load_b128 v[121:124], v[137:138], off offset:14848
	s_and_saveexec_b32 s7, vcc_lo
	s_cbranch_execz .LBB61_61
.LBB61_107:                             ;   in Loop: Header=BB61_29 Depth=1
	v_cmp_gt_i32_e64 s0, s25, v0
	s_wait_loadcnt 0x0
	s_wait_alu 0xf1ff
	s_delay_alu instid0(VALU_DEP_1) | instskip(SKIP_2) | instid1(VALU_DEP_1)
	v_cndmask_b32_e64 v121, 0, v121, s0
	v_cmp_gt_i32_e64 s0, s25, v14
	s_wait_alu 0xf1ff
	v_cndmask_b32_e64 v122, 0, v122, s0
	v_cmp_gt_i32_e64 s0, s25, v13
	s_wait_alu 0xf1ff
	s_delay_alu instid0(VALU_DEP_1) | instskip(SKIP_2) | instid1(VALU_DEP_1)
	v_cndmask_b32_e64 v123, 0, v123, s0
	v_cmp_gt_i32_e64 s0, s25, v191
	s_wait_alu 0xf1ff
	v_cndmask_b32_e64 v124, 0, v124, s0
	s_wait_alu 0xfffe
	s_or_b32 exec_lo, exec_lo, s7
	global_load_b128 v[125:128], v[137:138], off offset:15360
	s_and_saveexec_b32 s7, vcc_lo
	s_cbranch_execnz .LBB61_62
	s_branch .LBB61_63
.LBB61_108:                             ;   in Loop: Header=BB61_29 Depth=1
	v_cmp_gt_i32_e64 s0, s25, v0
	s_wait_loadcnt 0x0
	s_wait_alu 0xf1ff
	s_delay_alu instid0(VALU_DEP_1) | instskip(SKIP_2) | instid1(VALU_DEP_1)
	v_cndmask_b32_e64 v129, 0, v129, s0
	v_cmp_gt_i32_e64 s0, s25, v14
	s_wait_alu 0xf1ff
	v_cndmask_b32_e64 v130, 0, v130, s0
	v_cmp_gt_i32_e64 s0, s25, v13
	s_wait_alu 0xf1ff
	s_delay_alu instid0(VALU_DEP_1) | instskip(SKIP_2) | instid1(VALU_DEP_1)
	v_cndmask_b32_e64 v131, 0, v131, s0
	v_cmp_gt_i32_e64 s0, s25, v191
	s_wait_alu 0xf1ff
	v_cndmask_b32_e64 v132, 0, v132, s0
	s_wait_alu 0xfffe
	s_or_b32 exec_lo, exec_lo, s7
	global_load_b128 v[133:136], v[137:138], off offset:16384
	s_and_saveexec_b32 s7, vcc_lo
	s_cbranch_execz .LBB61_65
.LBB61_109:                             ;   in Loop: Header=BB61_29 Depth=1
	v_cmp_gt_i32_e64 s0, s25, v0
	s_wait_loadcnt 0x0
	s_wait_alu 0xf1ff
	s_delay_alu instid0(VALU_DEP_1) | instskip(SKIP_2) | instid1(VALU_DEP_1)
	v_cndmask_b32_e64 v133, 0, v133, s0
	v_cmp_gt_i32_e64 s0, s25, v14
	s_wait_alu 0xf1ff
	v_cndmask_b32_e64 v134, 0, v134, s0
	v_cmp_gt_i32_e64 s0, s25, v13
	s_wait_alu 0xf1ff
	s_delay_alu instid0(VALU_DEP_1) | instskip(SKIP_2) | instid1(VALU_DEP_1)
	v_cndmask_b32_e64 v135, 0, v135, s0
	v_cmp_gt_i32_e64 s0, s25, v191
	s_wait_alu 0xf1ff
	v_cndmask_b32_e64 v136, 0, v136, s0
	s_wait_alu 0xfffe
	s_or_b32 exec_lo, exec_lo, s7
	global_load_b128 v[141:144], v[137:138], off offset:16896
	s_and_saveexec_b32 s7, vcc_lo
	s_cbranch_execz .LBB61_66
.LBB61_110:                             ;   in Loop: Header=BB61_29 Depth=1
	v_cmp_gt_i32_e64 s0, s25, v0
	s_wait_loadcnt 0x0
	s_wait_alu 0xf1ff
	s_delay_alu instid0(VALU_DEP_1) | instskip(SKIP_2) | instid1(VALU_DEP_1)
	v_cndmask_b32_e64 v141, 0, v141, s0
	v_cmp_gt_i32_e64 s0, s25, v14
	s_wait_alu 0xf1ff
	v_cndmask_b32_e64 v142, 0, v142, s0
	v_cmp_gt_i32_e64 s0, s25, v13
	s_wait_alu 0xf1ff
	s_delay_alu instid0(VALU_DEP_1) | instskip(SKIP_2) | instid1(VALU_DEP_1)
	v_cndmask_b32_e64 v143, 0, v143, s0
	v_cmp_gt_i32_e64 s0, s25, v191
	s_wait_alu 0xf1ff
	v_cndmask_b32_e64 v144, 0, v144, s0
	s_wait_alu 0xfffe
	s_or_b32 exec_lo, exec_lo, s7
	global_load_b128 v[145:148], v[137:138], off offset:17408
	s_and_saveexec_b32 s7, vcc_lo
	s_cbranch_execz .LBB61_67
.LBB61_111:                             ;   in Loop: Header=BB61_29 Depth=1
	v_cmp_gt_i32_e64 s0, s25, v0
	s_wait_loadcnt 0x0
	s_wait_alu 0xf1ff
	s_delay_alu instid0(VALU_DEP_1) | instskip(SKIP_2) | instid1(VALU_DEP_1)
	v_cndmask_b32_e64 v145, 0, v145, s0
	v_cmp_gt_i32_e64 s0, s25, v14
	s_wait_alu 0xf1ff
	v_cndmask_b32_e64 v146, 0, v146, s0
	v_cmp_gt_i32_e64 s0, s25, v13
	s_wait_alu 0xf1ff
	s_delay_alu instid0(VALU_DEP_1) | instskip(SKIP_2) | instid1(VALU_DEP_1)
	v_cndmask_b32_e64 v147, 0, v147, s0
	v_cmp_gt_i32_e64 s0, s25, v191
	s_wait_alu 0xf1ff
	v_cndmask_b32_e64 v148, 0, v148, s0
	s_wait_alu 0xfffe
	s_or_b32 exec_lo, exec_lo, s7
	global_load_b128 v[149:152], v[137:138], off offset:17920
	s_and_saveexec_b32 s7, vcc_lo
	s_cbranch_execz .LBB61_68
.LBB61_112:                             ;   in Loop: Header=BB61_29 Depth=1
	v_cmp_gt_i32_e64 s0, s25, v0
	s_wait_loadcnt 0x0
	s_wait_alu 0xf1ff
	s_delay_alu instid0(VALU_DEP_1) | instskip(SKIP_2) | instid1(VALU_DEP_1)
	v_cndmask_b32_e64 v149, 0, v149, s0
	v_cmp_gt_i32_e64 s0, s25, v14
	s_wait_alu 0xf1ff
	v_cndmask_b32_e64 v150, 0, v150, s0
	v_cmp_gt_i32_e64 s0, s25, v13
	s_wait_alu 0xf1ff
	s_delay_alu instid0(VALU_DEP_1) | instskip(SKIP_2) | instid1(VALU_DEP_1)
	v_cndmask_b32_e64 v151, 0, v151, s0
	v_cmp_gt_i32_e64 s0, s25, v191
	s_wait_alu 0xf1ff
	v_cndmask_b32_e64 v152, 0, v152, s0
	s_wait_alu 0xfffe
	s_or_b32 exec_lo, exec_lo, s7
	global_load_b128 v[153:156], v[137:138], off offset:18432
	s_and_saveexec_b32 s7, vcc_lo
	s_cbranch_execz .LBB61_69
.LBB61_113:                             ;   in Loop: Header=BB61_29 Depth=1
	v_cmp_gt_i32_e64 s0, s25, v0
	s_wait_loadcnt 0x0
	s_wait_alu 0xf1ff
	s_delay_alu instid0(VALU_DEP_1) | instskip(SKIP_2) | instid1(VALU_DEP_1)
	v_cndmask_b32_e64 v153, 0, v153, s0
	v_cmp_gt_i32_e64 s0, s25, v14
	s_wait_alu 0xf1ff
	v_cndmask_b32_e64 v154, 0, v154, s0
	v_cmp_gt_i32_e64 s0, s25, v13
	s_wait_alu 0xf1ff
	s_delay_alu instid0(VALU_DEP_1) | instskip(SKIP_2) | instid1(VALU_DEP_1)
	v_cndmask_b32_e64 v155, 0, v155, s0
	v_cmp_gt_i32_e64 s0, s25, v191
	s_wait_alu 0xf1ff
	v_cndmask_b32_e64 v156, 0, v156, s0
	s_wait_alu 0xfffe
	s_or_b32 exec_lo, exec_lo, s7
	global_load_b128 v[157:160], v[137:138], off offset:18944
	s_and_saveexec_b32 s7, vcc_lo
	s_cbranch_execz .LBB61_70
.LBB61_114:                             ;   in Loop: Header=BB61_29 Depth=1
	v_cmp_gt_i32_e64 s0, s25, v0
	s_wait_loadcnt 0x0
	s_wait_alu 0xf1ff
	s_delay_alu instid0(VALU_DEP_1) | instskip(SKIP_2) | instid1(VALU_DEP_1)
	v_cndmask_b32_e64 v157, 0, v157, s0
	v_cmp_gt_i32_e64 s0, s25, v14
	s_wait_alu 0xf1ff
	v_cndmask_b32_e64 v158, 0, v158, s0
	v_cmp_gt_i32_e64 s0, s25, v13
	s_wait_alu 0xf1ff
	s_delay_alu instid0(VALU_DEP_1) | instskip(SKIP_2) | instid1(VALU_DEP_1)
	v_cndmask_b32_e64 v159, 0, v159, s0
	v_cmp_gt_i32_e64 s0, s25, v191
	s_wait_alu 0xf1ff
	v_cndmask_b32_e64 v160, 0, v160, s0
	s_wait_alu 0xfffe
	s_or_b32 exec_lo, exec_lo, s7
	global_load_b128 v[161:164], v[137:138], off offset:19456
	s_and_saveexec_b32 s7, vcc_lo
	s_cbranch_execz .LBB61_71
.LBB61_115:                             ;   in Loop: Header=BB61_29 Depth=1
	v_cmp_gt_i32_e64 s0, s25, v0
	s_wait_loadcnt 0x0
	s_wait_alu 0xf1ff
	s_delay_alu instid0(VALU_DEP_1) | instskip(SKIP_2) | instid1(VALU_DEP_1)
	v_cndmask_b32_e64 v161, 0, v161, s0
	v_cmp_gt_i32_e64 s0, s25, v14
	s_wait_alu 0xf1ff
	v_cndmask_b32_e64 v162, 0, v162, s0
	v_cmp_gt_i32_e64 s0, s25, v13
	s_wait_alu 0xf1ff
	s_delay_alu instid0(VALU_DEP_1) | instskip(SKIP_2) | instid1(VALU_DEP_1)
	v_cndmask_b32_e64 v163, 0, v163, s0
	v_cmp_gt_i32_e64 s0, s25, v191
	s_wait_alu 0xf1ff
	v_cndmask_b32_e64 v164, 0, v164, s0
	s_wait_alu 0xfffe
	s_or_b32 exec_lo, exec_lo, s7
	global_load_b128 v[165:168], v[137:138], off offset:19968
	s_and_saveexec_b32 s7, vcc_lo
	s_cbranch_execz .LBB61_72
.LBB61_116:                             ;   in Loop: Header=BB61_29 Depth=1
	v_cmp_gt_i32_e64 s0, s25, v0
	s_wait_loadcnt 0x0
	s_wait_alu 0xf1ff
	s_delay_alu instid0(VALU_DEP_1) | instskip(SKIP_2) | instid1(VALU_DEP_1)
	v_cndmask_b32_e64 v165, 0, v165, s0
	v_cmp_gt_i32_e64 s0, s25, v14
	s_wait_alu 0xf1ff
	v_cndmask_b32_e64 v166, 0, v166, s0
	v_cmp_gt_i32_e64 s0, s25, v13
	s_wait_alu 0xf1ff
	s_delay_alu instid0(VALU_DEP_1) | instskip(SKIP_2) | instid1(VALU_DEP_1)
	v_cndmask_b32_e64 v167, 0, v167, s0
	v_cmp_gt_i32_e64 s0, s25, v191
	s_wait_alu 0xf1ff
	v_cndmask_b32_e64 v168, 0, v168, s0
	s_wait_alu 0xfffe
	s_or_b32 exec_lo, exec_lo, s7
	global_load_b128 v[169:172], v[137:138], off offset:20480
	s_and_saveexec_b32 s7, vcc_lo
	s_cbranch_execz .LBB61_73
.LBB61_117:                             ;   in Loop: Header=BB61_29 Depth=1
	v_cmp_gt_i32_e64 s0, s25, v0
	s_wait_loadcnt 0x0
	s_wait_alu 0xf1ff
	s_delay_alu instid0(VALU_DEP_1) | instskip(SKIP_2) | instid1(VALU_DEP_1)
	v_cndmask_b32_e64 v169, 0, v169, s0
	v_cmp_gt_i32_e64 s0, s25, v14
	s_wait_alu 0xf1ff
	v_cndmask_b32_e64 v170, 0, v170, s0
	v_cmp_gt_i32_e64 s0, s25, v13
	s_wait_alu 0xf1ff
	s_delay_alu instid0(VALU_DEP_1) | instskip(SKIP_2) | instid1(VALU_DEP_1)
	v_cndmask_b32_e64 v171, 0, v171, s0
	v_cmp_gt_i32_e64 s0, s25, v191
	s_wait_alu 0xf1ff
	v_cndmask_b32_e64 v172, 0, v172, s0
	s_wait_alu 0xfffe
	s_or_b32 exec_lo, exec_lo, s7
	global_load_b128 v[173:176], v[137:138], off offset:20992
	s_and_saveexec_b32 s7, vcc_lo
	s_cbranch_execz .LBB61_74
.LBB61_118:                             ;   in Loop: Header=BB61_29 Depth=1
	v_cmp_gt_i32_e64 s0, s25, v0
	s_wait_loadcnt 0x0
	s_wait_alu 0xf1ff
	s_delay_alu instid0(VALU_DEP_1) | instskip(SKIP_2) | instid1(VALU_DEP_1)
	v_cndmask_b32_e64 v173, 0, v173, s0
	v_cmp_gt_i32_e64 s0, s25, v14
	s_wait_alu 0xf1ff
	v_cndmask_b32_e64 v174, 0, v174, s0
	v_cmp_gt_i32_e64 s0, s25, v13
	s_wait_alu 0xf1ff
	s_delay_alu instid0(VALU_DEP_1) | instskip(SKIP_2) | instid1(VALU_DEP_1)
	v_cndmask_b32_e64 v175, 0, v175, s0
	v_cmp_gt_i32_e64 s0, s25, v191
	s_wait_alu 0xf1ff
	v_cndmask_b32_e64 v176, 0, v176, s0
	s_wait_alu 0xfffe
	s_or_b32 exec_lo, exec_lo, s7
	global_load_b128 v[177:180], v[137:138], off offset:21504
	s_and_saveexec_b32 s7, vcc_lo
	s_cbranch_execz .LBB61_75
.LBB61_119:                             ;   in Loop: Header=BB61_29 Depth=1
	v_cmp_gt_i32_e64 s0, s25, v0
	s_wait_loadcnt 0x0
	s_wait_alu 0xf1ff
	s_delay_alu instid0(VALU_DEP_1) | instskip(SKIP_2) | instid1(VALU_DEP_1)
	v_cndmask_b32_e64 v177, 0, v177, s0
	v_cmp_gt_i32_e64 s0, s25, v14
	s_wait_alu 0xf1ff
	v_cndmask_b32_e64 v178, 0, v178, s0
	v_cmp_gt_i32_e64 s0, s25, v13
	s_wait_alu 0xf1ff
	s_delay_alu instid0(VALU_DEP_1) | instskip(SKIP_2) | instid1(VALU_DEP_1)
	v_cndmask_b32_e64 v179, 0, v179, s0
	v_cmp_gt_i32_e64 s0, s25, v191
	s_wait_alu 0xf1ff
	v_cndmask_b32_e64 v180, 0, v180, s0
	s_wait_alu 0xfffe
	s_or_b32 exec_lo, exec_lo, s7
	global_load_b128 v[181:184], v[137:138], off offset:22016
	s_and_saveexec_b32 s7, vcc_lo
	s_cbranch_execz .LBB61_76
.LBB61_120:                             ;   in Loop: Header=BB61_29 Depth=1
	v_cmp_gt_i32_e64 s0, s25, v0
	s_wait_loadcnt 0x0
	s_wait_alu 0xf1ff
	s_delay_alu instid0(VALU_DEP_1) | instskip(SKIP_2) | instid1(VALU_DEP_1)
	v_cndmask_b32_e64 v181, 0, v181, s0
	v_cmp_gt_i32_e64 s0, s25, v14
	s_wait_alu 0xf1ff
	v_cndmask_b32_e64 v182, 0, v182, s0
	v_cmp_gt_i32_e64 s0, s25, v13
	s_wait_alu 0xf1ff
	s_delay_alu instid0(VALU_DEP_1) | instskip(SKIP_2) | instid1(VALU_DEP_1)
	v_cndmask_b32_e64 v183, 0, v183, s0
	v_cmp_gt_i32_e64 s0, s25, v191
	s_wait_alu 0xf1ff
	v_cndmask_b32_e64 v184, 0, v184, s0
	s_wait_alu 0xfffe
	s_or_b32 exec_lo, exec_lo, s7
	global_load_b128 v[185:188], v[137:138], off offset:22528
	s_and_saveexec_b32 s7, vcc_lo
	s_cbranch_execz .LBB61_77
.LBB61_121:                             ;   in Loop: Header=BB61_29 Depth=1
	v_cmp_gt_i32_e64 s0, s25, v0
	s_wait_loadcnt 0x0
	s_wait_alu 0xf1ff
	s_delay_alu instid0(VALU_DEP_1) | instskip(SKIP_2) | instid1(VALU_DEP_1)
	v_cndmask_b32_e64 v185, 0, v185, s0
	v_cmp_gt_i32_e64 s0, s25, v14
	s_wait_alu 0xf1ff
	v_cndmask_b32_e64 v186, 0, v186, s0
	v_cmp_gt_i32_e64 s0, s25, v13
	s_wait_alu 0xf1ff
	s_delay_alu instid0(VALU_DEP_1) | instskip(SKIP_2) | instid1(VALU_DEP_1)
	v_cndmask_b32_e64 v187, 0, v187, s0
	v_cmp_gt_i32_e64 s0, s25, v191
	s_wait_alu 0xf1ff
	v_cndmask_b32_e64 v188, 0, v188, s0
	s_wait_alu 0xfffe
	s_or_b32 exec_lo, exec_lo, s7
	global_load_b128 v[5:8], v[137:138], off offset:23040
	s_and_saveexec_b32 s7, vcc_lo
	s_cbranch_execz .LBB61_78
.LBB61_122:                             ;   in Loop: Header=BB61_29 Depth=1
	v_cmp_gt_i32_e64 s0, s25, v0
	s_wait_loadcnt 0x0
	s_wait_alu 0xf1ff
	s_delay_alu instid0(VALU_DEP_1) | instskip(SKIP_2) | instid1(VALU_DEP_1)
	v_cndmask_b32_e64 v5, 0, v5, s0
	v_cmp_gt_i32_e64 s0, s25, v14
	s_wait_alu 0xf1ff
	v_cndmask_b32_e64 v6, 0, v6, s0
	v_cmp_gt_i32_e64 s0, s25, v13
	s_wait_alu 0xf1ff
	s_delay_alu instid0(VALU_DEP_1) | instskip(SKIP_2) | instid1(VALU_DEP_1)
	v_cndmask_b32_e64 v7, 0, v7, s0
	v_cmp_gt_i32_e64 s0, s25, v191
	s_wait_alu 0xf1ff
	v_cndmask_b32_e64 v8, 0, v8, s0
	s_wait_alu 0xfffe
	s_or_b32 exec_lo, exec_lo, s7
	global_load_b128 v[9:12], v[137:138], off offset:23552
	s_and_saveexec_b32 s7, vcc_lo
	s_cbranch_execz .LBB61_79
.LBB61_123:                             ;   in Loop: Header=BB61_29 Depth=1
	v_cmp_gt_i32_e64 s0, s25, v0
	s_wait_loadcnt 0x0
	s_wait_alu 0xf1ff
	s_delay_alu instid0(VALU_DEP_1) | instskip(SKIP_2) | instid1(VALU_DEP_1)
	v_cndmask_b32_e64 v9, 0, v9, s0
	v_cmp_gt_i32_e64 s0, s25, v14
	s_wait_alu 0xf1ff
	v_cndmask_b32_e64 v10, 0, v10, s0
	v_cmp_gt_i32_e64 s0, s25, v13
	s_wait_alu 0xf1ff
	s_delay_alu instid0(VALU_DEP_1) | instskip(SKIP_2) | instid1(VALU_DEP_1)
	v_cndmask_b32_e64 v11, 0, v11, s0
	v_cmp_gt_i32_e64 s0, s25, v191
	s_wait_alu 0xf1ff
	v_cndmask_b32_e64 v12, 0, v12, s0
	s_wait_alu 0xfffe
	s_or_b32 exec_lo, exec_lo, s7
	global_load_b128 v[137:140], v[137:138], off offset:24064
	s_and_saveexec_b32 s0, vcc_lo
	s_cbranch_execz .LBB61_28
.LBB61_124:                             ;   in Loop: Header=BB61_29 Depth=1
	v_cmp_gt_i32_e32 vcc_lo, s25, v0
	s_wait_loadcnt 0x0
	s_wait_alu 0xfffd
	v_cndmask_b32_e32 v137, 0, v137, vcc_lo
	v_cmp_gt_i32_e32 vcc_lo, s25, v14
	s_wait_alu 0xfffd
	v_cndmask_b32_e32 v138, 0, v138, vcc_lo
	v_cmp_gt_i32_e32 vcc_lo, s25, v13
	;; [unrolled: 3-line block ×3, first 2 shown]
	s_wait_alu 0xfffd
	v_cndmask_b32_e32 v140, 0, v140, vcc_lo
	s_branch .LBB61_28
.LBB61_125:
	s_or_b32 exec_lo, exec_lo, s5
	s_clause 0x1f
	scratch_load_b32 v71, off, off offset:312
	scratch_load_b32 v189, off, off offset:316
	;; [unrolled: 1-line block ×32, first 2 shown]
	s_clause 0xd
	scratch_load_b32 v36, off, off offset:216
	scratch_load_b32 v46, off, off offset:220
	;; [unrolled: 1-line block ×14, first 2 shown]
	v_mov_b32_e32 v18, v16
	v_mov_b32_e32 v20, v15
.LBB61_126:
	s_wait_alu 0xfffe
	s_or_b32 exec_lo, exec_lo, s1
	s_clause 0x2
	scratch_load_b32 v55, off, off offset:300 th:TH_LOAD_LU
	scratch_load_b32 v65, off, off offset:304 th:TH_LOAD_LU
	;; [unrolled: 1-line block ×3, first 2 shown]
	v_dual_mov_b32 v56, v5 :: v_dual_mov_b32 v29, v6
	s_mov_b32 s1, exec_lo
	s_wait_loadcnt 0x2
	ds_bpermute_b32 v0, v55, v18
	ds_bpermute_b32 v1, v55, v20
	;; [unrolled: 1-line block ×17, first 2 shown]
	s_wait_dscnt 0xf
	v_dual_add_f32 v0, v18, v0 :: v_dual_add_f32 v1, v20, v1
	s_wait_dscnt 0xd
	v_dual_add_f32 v2, v19, v2 :: v_dual_add_f32 v3, v17, v3
	;; [unrolled: 2-line block ×3, first 2 shown]
	s_wait_loadcnt 0x1
	ds_bpermute_b32 v18, v65, v0
	ds_bpermute_b32 v19, v65, v1
	;; [unrolled: 1-line block ×4, first 2 shown]
	s_wait_dscnt 0xd
	v_dual_add_f32 v6, v29, v6 :: v_dual_add_f32 v7, v23, v7
	ds_bpermute_b32 v23, v65, v4
	s_wait_dscnt 0xd
	v_add_f32_e32 v12, v24, v12
	ds_bpermute_b32 v24, v65, v5
	s_wait_dscnt 0xc
	v_dual_add_f32 v10, v26, v10 :: v_dual_add_f32 v11, v25, v11
	ds_bpermute_b32 v25, v65, v6
	s_wait_dscnt 0xb
	v_dual_add_f32 v8, v28, v8 :: v_dual_add_f32 v9, v27, v9
	ds_bpermute_b32 v26, v65, v7
	ds_bpermute_b32 v17, v55, v36
	;; [unrolled: 1-line block ×5, first 2 shown]
	s_wait_dscnt 0xf
	v_add_f32_e32 v14, v30, v14
	s_wait_dscnt 0xa
	v_dual_add_f32 v0, v0, v18 :: v_dual_add_f32 v1, v1, v19
	s_wait_dscnt 0x8
	v_dual_add_f32 v3, v3, v21 :: v_dual_add_f32 v2, v2, v20
	v_add_f32_e32 v13, v31, v13
	s_wait_loadcnt 0x0
	ds_bpermute_b32 v19, v70, v0
	ds_bpermute_b32 v18, v65, v10
	;; [unrolled: 1-line block ×4, first 2 shown]
	s_wait_dscnt 0xa
	v_dual_add_f32 v4, v4, v23 :: v_dual_add_f32 v5, v5, v24
	ds_bpermute_b32 v30, v65, v12
	ds_bpermute_b32 v21, v70, v2
	;; [unrolled: 1-line block ×3, first 2 shown]
	s_wait_dscnt 0xb
	v_dual_add_f32 v6, v6, v25 :: v_dual_add_f32 v7, v7, v26
	ds_bpermute_b32 v24, v70, v5
	s_wait_dscnt 0x8
	v_dual_add_f32 v8, v8, v27 :: v_dual_add_f32 v9, v9, v28
	ds_bpermute_b32 v25, v70, v6
	v_dual_add_f32 v16, v46, v16 :: v_dual_add_f32 v17, v36, v17
	v_add_f32_e32 v15, v47, v15
	ds_bpermute_b32 v31, v70, v4
	ds_bpermute_b32 v26, v70, v7
	s_wait_dscnt 0xa
	v_add_f32_e32 v0, v0, v19
	ds_bpermute_b32 v19, v65, v14
	s_wait_dscnt 0x9
	v_add_f32_e32 v1, v1, v20
	ds_bpermute_b32 v27, v70, v8
	s_wait_dscnt 0x9
	v_dual_add_f32 v3, v3, v29 :: v_dual_add_f32 v10, v10, v18
	ds_bpermute_b32 v18, v65, v13
	s_wait_dscnt 0x9
	v_add_f32_e32 v12, v12, v30
	ds_bpermute_b32 v29, v65, v17
	s_wait_dscnt 0x8
	v_dual_add_f32 v2, v2, v21 :: v_dual_add_f32 v11, v11, v23
	ds_bpermute_b32 v20, v70, v10
	s_wait_dscnt 0x8
	v_add_f32_e32 v5, v5, v24
	ds_bpermute_b32 v23, v70, v12
	ds_bpermute_b32 v24, v65, v15
	;; [unrolled: 1-line block ×4, first 2 shown]
	s_wait_dscnt 0xb
	v_add_f32_e32 v6, v6, v25
	ds_bpermute_b32 v25, v65, v16
	v_add_f32_e32 v22, v35, v22
	s_wait_dscnt 0xa
	v_dual_add_f32 v4, v4, v31 :: v_dual_add_f32 v7, v7, v26
	s_wait_dscnt 0x9
	v_add_f32_e32 v14, v14, v19
	ds_bpermute_b32 v19, v55, v34
	s_wait_dscnt 0x9
	v_add_f32_e32 v8, v8, v27
	ds_bpermute_b32 v26, v55, v33
	;; [unrolled: 3-line block ×4, first 2 shown]
	ds_bpermute_b32 v30, v55, v37
	s_wait_dscnt 0xa
	v_add_f32_e32 v10, v10, v20
	ds_bpermute_b32 v20, v70, v13
	s_wait_dscnt 0x9
	v_dual_add_f32 v12, v12, v23 :: v_dual_add_f32 v15, v15, v24
	ds_bpermute_b32 v23, v55, v42
	ds_bpermute_b32 v24, v55, v41
	s_wait_dscnt 0xa
	v_add_f32_e32 v9, v9, v28
	s_wait_dscnt 0x9
	v_add_f32_e32 v11, v11, v21
	ds_bpermute_b32 v21, v70, v14
	s_wait_dscnt 0x9
	v_add_f32_e32 v16, v16, v25
	ds_bpermute_b32 v25, v55, v40
	ds_bpermute_b32 v28, v55, v39
	;; [unrolled: 1-line block ×3, first 2 shown]
	s_wait_dscnt 0xb
	v_add_f32_e32 v19, v34, v19
	ds_bpermute_b32 v31, v70, v16
	s_wait_dscnt 0xa
	v_dual_add_f32 v26, v33, v26 :: v_dual_add_f32 v27, v32, v27
	ds_bpermute_b32 v33, v55, v38
	s_wait_dscnt 0xa
	v_add_f32_e32 v18, v22, v18
	ds_bpermute_b32 v22, v70, v17
	ds_bpermute_b32 v34, v65, v19
	s_wait_dscnt 0xa
	v_add_f32_e32 v13, v13, v20
	ds_bpermute_b32 v36, v65, v27
	ds_bpermute_b32 v32, v70, v18
	s_wait_dscnt 0xa
	v_dual_add_f32 v23, v42, v23 :: v_dual_add_f32 v20, v41, v24
	ds_bpermute_b32 v35, v65, v26
	v_add_f32_e32 v30, v37, v30
	s_wait_dscnt 0xa
	v_add_f32_e32 v14, v14, v21
	ds_bpermute_b32 v24, v65, v23
	s_wait_dscnt 0xa
	v_add_f32_e32 v21, v40, v25
	s_wait_dscnt 0x9
	v_add_f32_e32 v25, v39, v28
	ds_bpermute_b32 v28, v65, v20
	s_wait_dscnt 0x8
	v_dual_add_f32 v15, v15, v29 :: v_dual_add_f32 v16, v16, v31
	ds_bpermute_b32 v37, v65, v21
	ds_bpermute_b32 v29, v65, v25
	;; [unrolled: 1-line block ×3, first 2 shown]
	s_wait_dscnt 0x9
	v_dual_add_f32 v17, v17, v22 :: v_dual_add_f32 v22, v38, v33
	s_wait_dscnt 0x8
	v_add_f32_e32 v19, v19, v34
	s_wait_dscnt 0x7
	v_add_f32_e32 v27, v27, v36
	;; [unrolled: 2-line block ×3, first 2 shown]
	ds_bpermute_b32 v32, v55, v45
	ds_bpermute_b32 v33, v65, v22
	s_wait_dscnt 0x7
	v_add_f32_e32 v26, v26, v35
	ds_bpermute_b32 v34, v55, v44
	ds_bpermute_b32 v35, v55, v43
	;; [unrolled: 1-line block ×3, first 2 shown]
	s_wait_dscnt 0x9
	v_add_f32_e32 v23, v23, v24
	ds_bpermute_b32 v38, v70, v26
	s_wait_dscnt 0x9
	v_add_f32_e32 v24, v20, v28
	ds_bpermute_b32 v20, v55, v54
	ds_bpermute_b32 v39, v70, v27
	s_wait_dscnt 0xa
	v_add_f32_e32 v28, v21, v37
	s_wait_dscnt 0x9
	v_add_f32_e32 v25, v25, v29
	ds_bpermute_b32 v21, v55, v49
	s_wait_dscnt 0x9
	v_add_f32_e32 v29, v30, v31
	ds_bpermute_b32 v30, v55, v48
	ds_bpermute_b32 v31, v70, v23
	ds_bpermute_b32 v37, v70, v24
	ds_bpermute_b32 v40, v70, v28
	ds_bpermute_b32 v41, v70, v25
	s_wait_dscnt 0xc
	v_dual_add_f32 v32, v45, v32 :: v_dual_add_f32 v33, v22, v33
	ds_bpermute_b32 v42, v70, v29
	s_wait_dscnt 0xb
	v_dual_add_f32 v34, v44, v34 :: v_dual_add_f32 v35, v43, v35
	ds_bpermute_b32 v43, v55, v51
	ds_bpermute_b32 v44, v65, v32
	s_wait_dscnt 0xc
	v_add_f32_e32 v19, v19, v36
	ds_bpermute_b32 v46, v65, v34
	s_wait_dscnt 0xb
	v_add_f32_e32 v36, v54, v20
	v_add_f32_e32 v20, v26, v38
	ds_bpermute_b32 v45, v70, v33
	ds_bpermute_b32 v47, v65, v35
	s_wait_dscnt 0xb
	v_dual_add_f32 v38, v49, v21 :: v_dual_add_f32 v21, v27, v39
	s_wait_dscnt 0xa
	v_add_f32_e32 v30, v48, v30
	ds_bpermute_b32 v39, v65, v36
	ds_bpermute_b32 v48, v55, v50
	s_wait_dscnt 0xa
	v_dual_add_f32 v22, v23, v31 :: v_dual_add_f32 v23, v24, v37
	s_wait_dscnt 0x8
	v_dual_add_f32 v24, v28, v40 :: v_dual_add_f32 v25, v25, v41
	ds_bpermute_b32 v31, v65, v30
	s_wait_dscnt 0x8
	v_add_f32_e32 v26, v29, v42
	ds_bpermute_b32 v37, v55, v52
	s_wait_dscnt 0x7
	v_dual_add_f32 v28, v51, v43 :: v_dual_add_f32 v29, v32, v44
	ds_bpermute_b32 v49, v65, v38
	s_wait_dscnt 0x7
	v_add_f32_e32 v32, v34, v46
	ds_bpermute_b32 v41, v55, v53
	ds_bpermute_b32 v43, v55, v57
	s_wait_dscnt 0x8
	v_add_f32_e32 v27, v33, v45
	s_wait_dscnt 0x7
	v_add_f32_e32 v33, v35, v47
	ds_bpermute_b32 v45, v55, v66
	ds_bpermute_b32 v47, v55, v58
	;; [unrolled: 1-line block ×3, first 2 shown]
	s_wait_dscnt 0x8
	v_dual_add_f32 v36, v36, v39 :: v_dual_add_f32 v39, v50, v48
	ds_bpermute_b32 v34, v65, v28
	ds_bpermute_b32 v51, v55, v60
	;; [unrolled: 1-line block ×3, first 2 shown]
	s_wait_dscnt 0x9
	v_add_f32_e32 v37, v52, v37
	ds_bpermute_b32 v40, v70, v32
	ds_bpermute_b32 v52, v55, v62
	s_wait_dscnt 0xa
	v_add_f32_e32 v38, v38, v49
	ds_bpermute_b32 v49, v55, v59
	v_add_f32_e32 v44, v30, v31
	ds_bpermute_b32 v30, v55, v67
	ds_bpermute_b32 v31, v65, v39
	s_wait_dscnt 0xc
	v_add_f32_e32 v41, v53, v41
	ds_bpermute_b32 v53, v55, v63
	s_wait_dscnt 0xc
	v_add_f32_e32 v43, v57, v43
	ds_bpermute_b32 v56, v65, v37
	ds_bpermute_b32 v48, v70, v38
	;; [unrolled: 1-line block ×3, first 2 shown]
	s_wait_dscnt 0xb
	v_add_f32_e32 v34, v28, v34
	ds_bpermute_b32 v28, v55, v61
	v_add_f32_e32 v47, v58, v47
	s_wait_dscnt 0xb
	v_add_f32_e32 v51, v60, v51
	ds_bpermute_b32 v55, v55, v64
	ds_bpermute_b32 v46, v70, v36
	s_wait_dscnt 0xa
	v_add_f32_e32 v52, v62, v52
	ds_bpermute_b32 v62, v65, v51
	s_wait_dscnt 0xa
	v_add_f32_e32 v49, v59, v49
	;; [unrolled: 3-line block ×3, first 2 shown]
	s_wait_dscnt 0x9
	v_add_f32_e32 v39, v39, v31
	v_add_f32_e32 v31, v66, v45
	ds_bpermute_b32 v45, v65, v43
	ds_bpermute_b32 v54, v70, v34
	;; [unrolled: 1-line block ×3, first 2 shown]
	s_wait_dscnt 0xb
	v_add_f32_e32 v53, v63, v53
	ds_bpermute_b32 v59, v65, v31
	s_wait_dscnt 0xb
	v_add_f32_e32 v37, v37, v56
	s_wait_dscnt 0x8
	v_add_f32_e32 v28, v61, v28
	ds_bpermute_b32 v61, v65, v49
	ds_bpermute_b32 v60, v65, v47
	s_wait_dscnt 0x9
	v_add_f32_e32 v55, v64, v55
	ds_bpermute_b32 v64, v65, v52
	ds_bpermute_b32 v63, v65, v28
	v_add_f32_e32 v41, v41, v57
	s_wait_dscnt 0x6
	v_dual_add_f32 v43, v43, v45 :: v_dual_add_f32 v34, v34, v54
	s_wait_dscnt 0x5
	v_add_f32_e32 v58, v30, v58
	ds_bpermute_b32 v56, v65, v53
	s_wait_dscnt 0x5
	v_dual_add_f32 v59, v31, v59 :: v_dual_add_f32 v30, v33, v42
	ds_bpermute_b32 v57, v65, v55
	ds_bpermute_b32 v45, v70, v37
	s_wait_dscnt 0x5
	v_add_f32_e32 v47, v47, v60
	ds_bpermute_b32 v65, v70, v39
	s_wait_dscnt 0x5
	v_add_f32_e32 v52, v52, v64
	s_wait_dscnt 0x4
	v_add_f32_e32 v63, v28, v63
	v_add_f32_e32 v28, v29, v35
	ds_bpermute_b32 v67, v70, v43
	v_add_f32_e32 v49, v49, v61
	ds_bpermute_b32 v66, v70, v41
	ds_bpermute_b32 v60, v70, v58
	v_add_f32_e32 v33, v44, v50
	v_mul_u32_u24_e32 v50, 0x300, v189
	s_wait_dscnt 0x6
	v_add_f32_e32 v53, v53, v56
	s_wait_dscnt 0x5
	v_add_f32_e32 v55, v55, v57
	ds_bpermute_b32 v57, v70, v52
	ds_bpermute_b32 v69, v70, v53
	v_add_f32_e32 v29, v32, v40
	v_add_f32_e32 v32, v38, v48
	ds_bpermute_b32 v61, v70, v59
	v_lshrrev_b32_e32 v48, 3, v190
	s_wait_dscnt 0x5
	v_add_f32_e32 v38, v43, v67
	ds_bpermute_b32 v68, v70, v49
	v_add_f32_e32 v51, v51, v62
	v_add_f32_e32 v35, v39, v65
	s_wait_dscnt 0x1
	v_dual_add_f32 v39, v58, v60 :: v_dual_add_f32 v40, v59, v61
	ds_bpermute_b32 v56, v70, v63
	s_wait_dscnt 0x1
	v_dual_add_f32 v31, v36, v46 :: v_dual_add_f32 v42, v49, v68
	scratch_load_b32 v49, off, off offset:308 th:TH_LOAD_LU ; 4-byte Folded Reload
	ds_bpermute_b32 v64, v70, v51
	v_add_f32_e32 v36, v37, v45
	ds_bpermute_b32 v62, v70, v47
	ds_bpermute_b32 v70, v70, v55
	v_add_f32_e32 v37, v41, v66
	v_add_f32_e32 v45, v52, v57
	;; [unrolled: 1-line block ×3, first 2 shown]
	s_wait_storecnt 0x0
	s_wait_loadcnt_dscnt 0x0
	s_barrier_signal -1
	s_barrier_wait -1
	global_inv scope:SCOPE_SE
	v_add_f32_e32 v44, v63, v56
	v_add_f32_e32 v43, v51, v64
	v_and_b32_e32 v51, 0x3c0, v71
	v_add_f32_e32 v41, v47, v62
	v_add_f32_e32 v47, v55, v70
	v_cmp_eq_u32_e32 vcc_lo, 0, v49
	v_lshl_add_u32 v49, v48, 2, 0x320
	v_cmpx_eq_u32_e32 64, v51
	s_cbranch_execz .LBB61_129
; %bb.127:
	s_and_b32 exec_lo, exec_lo, vcc_lo
	s_cbranch_execz .LBB61_129
; %bb.128:
	v_add_nc_u32_e32 v51, v49, v50
	s_delay_alu instid0(VALU_DEP_1)
	v_add_nc_u32_e32 v52, 0xfffffa00, v51
	v_add_nc_u32_e32 v53, 0xfffffa10, v51
	v_add_nc_u32_e32 v54, 0xfffffa20, v51
	v_add_nc_u32_e32 v55, 0xfffffa30, v51
	v_add_nc_u32_e32 v56, 0xfffffa40, v51
	v_add_nc_u32_e32 v57, 0xfffffa50, v51
	v_add_nc_u32_e32 v58, 0xfffffa60, v51
	v_add_nc_u32_e32 v59, 0xfffffa70, v51
	ds_store_b32 v52, v0
	ds_store_b32 v53, v1
	ds_store_b32 v54, v2
	ds_store_b32 v55, v3
	ds_store_b32 v56, v4
	ds_store_b32 v57, v5
	ds_store_b32 v58, v6
	ds_store_b32 v59, v7
	v_add_nc_u32_e32 v52, 0xfffffa80, v51
	v_add_nc_u32_e32 v53, 0xfffffa90, v51
	v_add_nc_u32_e32 v54, 0xfffffaa0, v51
	v_add_nc_u32_e32 v55, 0xfffffab0, v51
	v_add_nc_u32_e32 v56, 0xfffffac0, v51
	v_add_nc_u32_e32 v57, 0xfffffad0, v51
	v_add_nc_u32_e32 v58, 0xfffffae0, v51
	v_add_nc_u32_e32 v59, 0xfffffaf0, v51
	ds_store_b32 v52, v8
	ds_store_b32 v53, v9
	ds_store_b32 v54, v10
	ds_store_b32 v55, v11
	ds_store_b32 v56, v12
	ds_store_b32 v57, v13
	ds_store_b32 v58, v14
	ds_store_b32 v59, v15
	;; [unrolled: 16-line block ×6, first 2 shown]
.LBB61_129:
	s_wait_alu 0xfffe
	s_or_b32 exec_lo, exec_lo, s1
	v_lshlrev_b32_e32 v48, 2, v48
	s_mov_b32 s1, exec_lo
	s_wait_loadcnt_dscnt 0x0
	s_barrier_signal -1
	s_barrier_wait -1
	v_add3_u32 v48, 0x320, v50, v48
	global_inv scope:SCOPE_SE
	v_cmpx_gt_u32_e32 64, v71
	s_cbranch_execz .LBB61_180
; %bb.130:
	s_and_saveexec_b32 s0, vcc_lo
	s_cbranch_execnz .LBB61_236
; %bb.131:
	s_wait_alu 0xfffe
	s_or_b32 exec_lo, exec_lo, s0
	s_and_saveexec_b32 s0, vcc_lo
	s_cbranch_execnz .LBB61_237
.LBB61_132:
	s_wait_alu 0xfffe
	s_or_b32 exec_lo, exec_lo, s0
	s_and_saveexec_b32 s0, vcc_lo
	s_cbranch_execnz .LBB61_238
.LBB61_133:
	s_wait_alu 0xfffe
	s_or_b32 exec_lo, exec_lo, s0
	s_and_saveexec_b32 s0, vcc_lo
	s_cbranch_execnz .LBB61_239
.LBB61_134:
	s_wait_alu 0xfffe
	s_or_b32 exec_lo, exec_lo, s0
	s_and_saveexec_b32 s0, vcc_lo
	s_cbranch_execnz .LBB61_240
.LBB61_135:
	s_wait_alu 0xfffe
	s_or_b32 exec_lo, exec_lo, s0
	s_and_saveexec_b32 s0, vcc_lo
	s_cbranch_execnz .LBB61_241
.LBB61_136:
	s_wait_alu 0xfffe
	s_or_b32 exec_lo, exec_lo, s0
	s_and_saveexec_b32 s0, vcc_lo
	s_cbranch_execnz .LBB61_242
.LBB61_137:
	s_wait_alu 0xfffe
	s_or_b32 exec_lo, exec_lo, s0
	s_and_saveexec_b32 s0, vcc_lo
	s_cbranch_execnz .LBB61_243
.LBB61_138:
	s_wait_alu 0xfffe
	s_or_b32 exec_lo, exec_lo, s0
	s_and_saveexec_b32 s0, vcc_lo
	s_cbranch_execnz .LBB61_244
.LBB61_139:
	s_wait_alu 0xfffe
	s_or_b32 exec_lo, exec_lo, s0
	s_and_saveexec_b32 s0, vcc_lo
	s_cbranch_execnz .LBB61_245
.LBB61_140:
	s_wait_alu 0xfffe
	s_or_b32 exec_lo, exec_lo, s0
	s_and_saveexec_b32 s0, vcc_lo
	s_cbranch_execnz .LBB61_246
.LBB61_141:
	s_wait_alu 0xfffe
	s_or_b32 exec_lo, exec_lo, s0
	s_and_saveexec_b32 s0, vcc_lo
	s_cbranch_execnz .LBB61_247
.LBB61_142:
	s_wait_alu 0xfffe
	s_or_b32 exec_lo, exec_lo, s0
	s_and_saveexec_b32 s0, vcc_lo
	s_cbranch_execnz .LBB61_248
.LBB61_143:
	s_wait_alu 0xfffe
	s_or_b32 exec_lo, exec_lo, s0
	s_and_saveexec_b32 s0, vcc_lo
	s_cbranch_execnz .LBB61_249
.LBB61_144:
	s_wait_alu 0xfffe
	s_or_b32 exec_lo, exec_lo, s0
	s_and_saveexec_b32 s0, vcc_lo
	s_cbranch_execnz .LBB61_250
.LBB61_145:
	s_wait_alu 0xfffe
	s_or_b32 exec_lo, exec_lo, s0
	s_and_saveexec_b32 s0, vcc_lo
	s_cbranch_execnz .LBB61_251
.LBB61_146:
	s_wait_alu 0xfffe
	s_or_b32 exec_lo, exec_lo, s0
	s_and_saveexec_b32 s0, vcc_lo
	s_cbranch_execnz .LBB61_252
.LBB61_147:
	s_wait_alu 0xfffe
	s_or_b32 exec_lo, exec_lo, s0
	s_and_saveexec_b32 s0, vcc_lo
	s_cbranch_execnz .LBB61_253
.LBB61_148:
	s_wait_alu 0xfffe
	s_or_b32 exec_lo, exec_lo, s0
	s_and_saveexec_b32 s0, vcc_lo
	s_cbranch_execnz .LBB61_254
.LBB61_149:
	s_wait_alu 0xfffe
	s_or_b32 exec_lo, exec_lo, s0
	s_and_saveexec_b32 s0, vcc_lo
	s_cbranch_execnz .LBB61_255
.LBB61_150:
	s_wait_alu 0xfffe
	s_or_b32 exec_lo, exec_lo, s0
	s_and_saveexec_b32 s0, vcc_lo
	s_cbranch_execnz .LBB61_256
.LBB61_151:
	s_wait_alu 0xfffe
	s_or_b32 exec_lo, exec_lo, s0
	s_and_saveexec_b32 s0, vcc_lo
	s_cbranch_execnz .LBB61_257
.LBB61_152:
	s_wait_alu 0xfffe
	s_or_b32 exec_lo, exec_lo, s0
	s_and_saveexec_b32 s0, vcc_lo
	s_cbranch_execnz .LBB61_258
.LBB61_153:
	s_wait_alu 0xfffe
	s_or_b32 exec_lo, exec_lo, s0
	s_and_saveexec_b32 s0, vcc_lo
	s_cbranch_execnz .LBB61_259
.LBB61_154:
	s_wait_alu 0xfffe
	s_or_b32 exec_lo, exec_lo, s0
	s_and_saveexec_b32 s0, vcc_lo
	s_cbranch_execnz .LBB61_260
.LBB61_155:
	s_wait_alu 0xfffe
	s_or_b32 exec_lo, exec_lo, s0
	s_and_saveexec_b32 s0, vcc_lo
	s_cbranch_execnz .LBB61_261
.LBB61_156:
	s_wait_alu 0xfffe
	s_or_b32 exec_lo, exec_lo, s0
	s_and_saveexec_b32 s0, vcc_lo
	s_cbranch_execnz .LBB61_262
.LBB61_157:
	s_wait_alu 0xfffe
	s_or_b32 exec_lo, exec_lo, s0
	s_and_saveexec_b32 s0, vcc_lo
	s_cbranch_execnz .LBB61_263
.LBB61_158:
	s_wait_alu 0xfffe
	s_or_b32 exec_lo, exec_lo, s0
	s_and_saveexec_b32 s0, vcc_lo
	s_cbranch_execnz .LBB61_264
.LBB61_159:
	s_wait_alu 0xfffe
	s_or_b32 exec_lo, exec_lo, s0
	s_and_saveexec_b32 s0, vcc_lo
	s_cbranch_execnz .LBB61_265
.LBB61_160:
	s_wait_alu 0xfffe
	s_or_b32 exec_lo, exec_lo, s0
	s_and_saveexec_b32 s0, vcc_lo
	s_cbranch_execnz .LBB61_266
.LBB61_161:
	s_wait_alu 0xfffe
	s_or_b32 exec_lo, exec_lo, s0
	s_and_saveexec_b32 s0, vcc_lo
	s_cbranch_execnz .LBB61_267
.LBB61_162:
	s_wait_alu 0xfffe
	s_or_b32 exec_lo, exec_lo, s0
	s_and_saveexec_b32 s0, vcc_lo
	s_cbranch_execnz .LBB61_268
.LBB61_163:
	s_wait_alu 0xfffe
	s_or_b32 exec_lo, exec_lo, s0
	s_and_saveexec_b32 s0, vcc_lo
	s_cbranch_execnz .LBB61_269
.LBB61_164:
	s_wait_alu 0xfffe
	s_or_b32 exec_lo, exec_lo, s0
	s_and_saveexec_b32 s0, vcc_lo
	s_cbranch_execnz .LBB61_270
.LBB61_165:
	s_wait_alu 0xfffe
	s_or_b32 exec_lo, exec_lo, s0
	s_and_saveexec_b32 s0, vcc_lo
	s_cbranch_execnz .LBB61_271
.LBB61_166:
	s_wait_alu 0xfffe
	s_or_b32 exec_lo, exec_lo, s0
	s_and_saveexec_b32 s0, vcc_lo
	s_cbranch_execnz .LBB61_272
.LBB61_167:
	s_wait_alu 0xfffe
	s_or_b32 exec_lo, exec_lo, s0
	s_and_saveexec_b32 s0, vcc_lo
	s_cbranch_execnz .LBB61_273
.LBB61_168:
	s_wait_alu 0xfffe
	s_or_b32 exec_lo, exec_lo, s0
	s_and_saveexec_b32 s0, vcc_lo
	s_cbranch_execnz .LBB61_274
.LBB61_169:
	s_wait_alu 0xfffe
	s_or_b32 exec_lo, exec_lo, s0
	s_and_saveexec_b32 s0, vcc_lo
	s_cbranch_execnz .LBB61_275
.LBB61_170:
	s_wait_alu 0xfffe
	s_or_b32 exec_lo, exec_lo, s0
	s_and_saveexec_b32 s0, vcc_lo
	s_cbranch_execnz .LBB61_276
.LBB61_171:
	s_wait_alu 0xfffe
	s_or_b32 exec_lo, exec_lo, s0
	s_and_saveexec_b32 s0, vcc_lo
	s_cbranch_execnz .LBB61_277
.LBB61_172:
	s_wait_alu 0xfffe
	s_or_b32 exec_lo, exec_lo, s0
	s_and_saveexec_b32 s0, vcc_lo
	s_cbranch_execnz .LBB61_278
.LBB61_173:
	s_wait_alu 0xfffe
	s_or_b32 exec_lo, exec_lo, s0
	s_and_saveexec_b32 s0, vcc_lo
	s_cbranch_execnz .LBB61_279
.LBB61_174:
	s_wait_alu 0xfffe
	s_or_b32 exec_lo, exec_lo, s0
	s_and_saveexec_b32 s0, vcc_lo
	s_cbranch_execnz .LBB61_280
.LBB61_175:
	s_wait_alu 0xfffe
	s_or_b32 exec_lo, exec_lo, s0
	s_and_saveexec_b32 s0, vcc_lo
	s_cbranch_execnz .LBB61_281
.LBB61_176:
	s_wait_alu 0xfffe
	s_or_b32 exec_lo, exec_lo, s0
	s_and_saveexec_b32 s0, vcc_lo
	s_cbranch_execnz .LBB61_282
.LBB61_177:
	s_wait_alu 0xfffe
	s_or_b32 exec_lo, exec_lo, s0
	s_and_saveexec_b32 s0, vcc_lo
	s_cbranch_execz .LBB61_179
.LBB61_178:
	ds_load_b32 v50, v48 offset:752
	s_wait_dscnt 0x0
	v_add_f32_e32 v47, v47, v50
.LBB61_179:
	s_wait_alu 0xfffe
	s_or_b32 exec_lo, exec_lo, s0
.LBB61_180:
	s_wait_alu 0xfffe
	s_or_b32 exec_lo, exec_lo, s1
	v_and_b32_e32 v50, 0x3e7, v71
	s_mov_b32 s1, exec_lo
	s_wait_loadcnt 0x0
	s_barrier_signal -1
	s_barrier_wait -1
	global_inv scope:SCOPE_SE
	v_cmpx_eq_u32_e32 32, v50
	s_cbranch_execz .LBB61_182
; %bb.181:
	ds_store_2addr_b32 v49, v0, v1 offset1:4
	ds_store_2addr_b32 v49, v2, v3 offset0:8 offset1:12
	ds_store_2addr_b32 v49, v4, v5 offset0:16 offset1:20
	;; [unrolled: 1-line block ×23, first 2 shown]
.LBB61_182:
	s_wait_alu 0xfffe
	s_or_b32 exec_lo, exec_lo, s1
	s_delay_alu instid0(SALU_CYCLE_1)
	s_mov_b32 s1, exec_lo
	s_wait_loadcnt_dscnt 0x0
	s_barrier_signal -1
	s_barrier_wait -1
	global_inv scope:SCOPE_SE
	v_cmpx_gt_u32_e32 32, v71
	s_cbranch_execz .LBB61_233
; %bb.183:
	s_and_saveexec_b32 s0, vcc_lo
	s_cbranch_execnz .LBB61_283
; %bb.184:
	s_wait_alu 0xfffe
	s_or_b32 exec_lo, exec_lo, s0
	s_and_saveexec_b32 s0, vcc_lo
	s_cbranch_execnz .LBB61_284
.LBB61_185:
	s_wait_alu 0xfffe
	s_or_b32 exec_lo, exec_lo, s0
	s_and_saveexec_b32 s0, vcc_lo
	s_cbranch_execnz .LBB61_285
.LBB61_186:
	s_wait_alu 0xfffe
	s_or_b32 exec_lo, exec_lo, s0
	s_and_saveexec_b32 s0, vcc_lo
	s_cbranch_execnz .LBB61_286
.LBB61_187:
	s_wait_alu 0xfffe
	s_or_b32 exec_lo, exec_lo, s0
	s_and_saveexec_b32 s0, vcc_lo
	s_cbranch_execnz .LBB61_287
.LBB61_188:
	s_wait_alu 0xfffe
	s_or_b32 exec_lo, exec_lo, s0
	s_and_saveexec_b32 s0, vcc_lo
	s_cbranch_execnz .LBB61_288
.LBB61_189:
	s_wait_alu 0xfffe
	s_or_b32 exec_lo, exec_lo, s0
	s_and_saveexec_b32 s0, vcc_lo
	s_cbranch_execnz .LBB61_289
.LBB61_190:
	s_wait_alu 0xfffe
	s_or_b32 exec_lo, exec_lo, s0
	s_and_saveexec_b32 s0, vcc_lo
	s_cbranch_execnz .LBB61_290
.LBB61_191:
	s_wait_alu 0xfffe
	s_or_b32 exec_lo, exec_lo, s0
	s_and_saveexec_b32 s0, vcc_lo
	s_cbranch_execnz .LBB61_291
.LBB61_192:
	s_wait_alu 0xfffe
	s_or_b32 exec_lo, exec_lo, s0
	s_and_saveexec_b32 s0, vcc_lo
	s_cbranch_execnz .LBB61_292
.LBB61_193:
	s_wait_alu 0xfffe
	s_or_b32 exec_lo, exec_lo, s0
	s_and_saveexec_b32 s0, vcc_lo
	s_cbranch_execnz .LBB61_293
.LBB61_194:
	s_wait_alu 0xfffe
	s_or_b32 exec_lo, exec_lo, s0
	s_and_saveexec_b32 s0, vcc_lo
	s_cbranch_execnz .LBB61_294
.LBB61_195:
	s_wait_alu 0xfffe
	s_or_b32 exec_lo, exec_lo, s0
	s_and_saveexec_b32 s0, vcc_lo
	s_cbranch_execnz .LBB61_295
.LBB61_196:
	s_wait_alu 0xfffe
	s_or_b32 exec_lo, exec_lo, s0
	s_and_saveexec_b32 s0, vcc_lo
	s_cbranch_execnz .LBB61_296
.LBB61_197:
	s_wait_alu 0xfffe
	s_or_b32 exec_lo, exec_lo, s0
	s_and_saveexec_b32 s0, vcc_lo
	s_cbranch_execnz .LBB61_297
.LBB61_198:
	s_wait_alu 0xfffe
	s_or_b32 exec_lo, exec_lo, s0
	s_and_saveexec_b32 s0, vcc_lo
	s_cbranch_execnz .LBB61_298
.LBB61_199:
	s_wait_alu 0xfffe
	s_or_b32 exec_lo, exec_lo, s0
	s_and_saveexec_b32 s0, vcc_lo
	s_cbranch_execnz .LBB61_299
.LBB61_200:
	s_wait_alu 0xfffe
	s_or_b32 exec_lo, exec_lo, s0
	s_and_saveexec_b32 s0, vcc_lo
	s_cbranch_execnz .LBB61_300
.LBB61_201:
	s_wait_alu 0xfffe
	s_or_b32 exec_lo, exec_lo, s0
	s_and_saveexec_b32 s0, vcc_lo
	s_cbranch_execnz .LBB61_301
.LBB61_202:
	s_wait_alu 0xfffe
	s_or_b32 exec_lo, exec_lo, s0
	s_and_saveexec_b32 s0, vcc_lo
	s_cbranch_execnz .LBB61_302
.LBB61_203:
	s_wait_alu 0xfffe
	s_or_b32 exec_lo, exec_lo, s0
	s_and_saveexec_b32 s0, vcc_lo
	s_cbranch_execnz .LBB61_303
.LBB61_204:
	s_wait_alu 0xfffe
	s_or_b32 exec_lo, exec_lo, s0
	s_and_saveexec_b32 s0, vcc_lo
	s_cbranch_execnz .LBB61_304
.LBB61_205:
	s_wait_alu 0xfffe
	s_or_b32 exec_lo, exec_lo, s0
	s_and_saveexec_b32 s0, vcc_lo
	s_cbranch_execnz .LBB61_305
.LBB61_206:
	s_wait_alu 0xfffe
	s_or_b32 exec_lo, exec_lo, s0
	s_and_saveexec_b32 s0, vcc_lo
	s_cbranch_execnz .LBB61_306
.LBB61_207:
	s_wait_alu 0xfffe
	s_or_b32 exec_lo, exec_lo, s0
	s_and_saveexec_b32 s0, vcc_lo
	s_cbranch_execnz .LBB61_307
.LBB61_208:
	s_wait_alu 0xfffe
	s_or_b32 exec_lo, exec_lo, s0
	s_and_saveexec_b32 s0, vcc_lo
	s_cbranch_execnz .LBB61_308
.LBB61_209:
	s_wait_alu 0xfffe
	s_or_b32 exec_lo, exec_lo, s0
	s_and_saveexec_b32 s0, vcc_lo
	s_cbranch_execnz .LBB61_309
.LBB61_210:
	s_wait_alu 0xfffe
	s_or_b32 exec_lo, exec_lo, s0
	s_and_saveexec_b32 s0, vcc_lo
	s_cbranch_execnz .LBB61_310
.LBB61_211:
	s_wait_alu 0xfffe
	s_or_b32 exec_lo, exec_lo, s0
	s_and_saveexec_b32 s0, vcc_lo
	s_cbranch_execnz .LBB61_311
.LBB61_212:
	s_wait_alu 0xfffe
	s_or_b32 exec_lo, exec_lo, s0
	s_and_saveexec_b32 s0, vcc_lo
	s_cbranch_execnz .LBB61_312
.LBB61_213:
	s_wait_alu 0xfffe
	s_or_b32 exec_lo, exec_lo, s0
	s_and_saveexec_b32 s0, vcc_lo
	s_cbranch_execnz .LBB61_313
.LBB61_214:
	s_wait_alu 0xfffe
	s_or_b32 exec_lo, exec_lo, s0
	s_and_saveexec_b32 s0, vcc_lo
	s_cbranch_execnz .LBB61_314
.LBB61_215:
	s_wait_alu 0xfffe
	s_or_b32 exec_lo, exec_lo, s0
	s_and_saveexec_b32 s0, vcc_lo
	s_cbranch_execnz .LBB61_315
.LBB61_216:
	s_wait_alu 0xfffe
	s_or_b32 exec_lo, exec_lo, s0
	s_and_saveexec_b32 s0, vcc_lo
	s_cbranch_execnz .LBB61_316
.LBB61_217:
	s_wait_alu 0xfffe
	s_or_b32 exec_lo, exec_lo, s0
	s_and_saveexec_b32 s0, vcc_lo
	s_cbranch_execnz .LBB61_317
.LBB61_218:
	s_wait_alu 0xfffe
	s_or_b32 exec_lo, exec_lo, s0
	s_and_saveexec_b32 s0, vcc_lo
	s_cbranch_execnz .LBB61_318
.LBB61_219:
	s_wait_alu 0xfffe
	s_or_b32 exec_lo, exec_lo, s0
	s_and_saveexec_b32 s0, vcc_lo
	s_cbranch_execnz .LBB61_319
.LBB61_220:
	s_wait_alu 0xfffe
	s_or_b32 exec_lo, exec_lo, s0
	s_and_saveexec_b32 s0, vcc_lo
	s_cbranch_execnz .LBB61_320
.LBB61_221:
	s_wait_alu 0xfffe
	s_or_b32 exec_lo, exec_lo, s0
	s_and_saveexec_b32 s0, vcc_lo
	s_cbranch_execnz .LBB61_321
.LBB61_222:
	s_wait_alu 0xfffe
	s_or_b32 exec_lo, exec_lo, s0
	s_and_saveexec_b32 s0, vcc_lo
	s_cbranch_execnz .LBB61_322
.LBB61_223:
	s_wait_alu 0xfffe
	s_or_b32 exec_lo, exec_lo, s0
	s_and_saveexec_b32 s0, vcc_lo
	s_cbranch_execnz .LBB61_323
.LBB61_224:
	s_wait_alu 0xfffe
	s_or_b32 exec_lo, exec_lo, s0
	s_and_saveexec_b32 s0, vcc_lo
	s_cbranch_execnz .LBB61_324
.LBB61_225:
	s_wait_alu 0xfffe
	s_or_b32 exec_lo, exec_lo, s0
	s_and_saveexec_b32 s0, vcc_lo
	s_cbranch_execnz .LBB61_325
.LBB61_226:
	s_wait_alu 0xfffe
	s_or_b32 exec_lo, exec_lo, s0
	s_and_saveexec_b32 s0, vcc_lo
	s_cbranch_execnz .LBB61_326
.LBB61_227:
	s_wait_alu 0xfffe
	s_or_b32 exec_lo, exec_lo, s0
	s_and_saveexec_b32 s0, vcc_lo
	s_cbranch_execnz .LBB61_327
.LBB61_228:
	s_wait_alu 0xfffe
	s_or_b32 exec_lo, exec_lo, s0
	s_and_saveexec_b32 s0, vcc_lo
	s_cbranch_execnz .LBB61_328
.LBB61_229:
	s_wait_alu 0xfffe
	s_or_b32 exec_lo, exec_lo, s0
	s_and_saveexec_b32 s0, vcc_lo
	s_cbranch_execnz .LBB61_329
.LBB61_230:
	s_wait_alu 0xfffe
	s_or_b32 exec_lo, exec_lo, s0
	s_and_saveexec_b32 s0, vcc_lo
	s_cbranch_execz .LBB61_232
.LBB61_231:
	ds_load_b32 v48, v48 offset:752
	s_wait_dscnt 0x0
	v_add_f32_e32 v47, v47, v48
.LBB61_232:
	s_wait_alu 0xfffe
	s_or_b32 exec_lo, exec_lo, s0
.LBB61_233:
	s_wait_alu 0xfffe
	s_or_b32 exec_lo, exec_lo, s1
	s_mov_b32 s1, 0
	s_wait_loadcnt 0x0
	s_barrier_signal -1
	s_barrier_wait -1
	global_inv scope:SCOPE_SE
	s_mov_b32 s0, exec_lo
	v_cmpx_eq_u32_e32 0, v50
	s_cbranch_execz .LBB61_235
; %bb.234:
	s_mul_i32 s2, s14, 0xc0
	s_wait_kmcnt 0x0
	s_mul_i32 s4, s8, s12
	s_wait_alu 0xfffe
	s_ashr_i32 s3, s2, 31
	s_ashr_i32 s5, s4, 31
	s_wait_alu 0xfffe
	s_lshl_b64 s[2:3], s[2:3], 2
	s_lshl_b64 s[4:5], s[4:5], 2
	s_wait_alu 0xfffe
	s_add_nc_u64 s[2:3], s[10:11], s[2:3]
	v_lshrrev_b32_e32 v48, 1, v71
	s_mul_i32 s0, s24, 0x300
	s_wait_alu 0xfffe
	s_add_nc_u64 s[2:3], s[2:3], s[4:5]
	s_wait_alu 0xfffe
	s_add_nc_u64 s[0:1], s[2:3], s[0:1]
	s_clause 0x1f
	global_store_b32 v48, v0, s[0:1]
	global_store_b32 v48, v1, s[0:1] offset:16
	global_store_b32 v48, v2, s[0:1] offset:32
	;; [unrolled: 1-line block ×31, first 2 shown]
	s_clause 0xf
	global_store_b32 v48, v32, s[0:1] offset:512
	global_store_b32 v48, v33, s[0:1] offset:528
	;; [unrolled: 1-line block ×16, first 2 shown]
.LBB61_235:
	s_nop 0
	s_sendmsg sendmsg(MSG_DEALLOC_VGPRS)
	s_endpgm
.LBB61_236:
	ds_load_b32 v50, v48
	s_wait_dscnt 0x0
	v_add_f32_e32 v0, v0, v50
	s_wait_alu 0xfffe
	s_or_b32 exec_lo, exec_lo, s0
	s_and_saveexec_b32 s0, vcc_lo
	s_cbranch_execz .LBB61_132
.LBB61_237:
	ds_load_b32 v50, v48 offset:16
	s_wait_dscnt 0x0
	v_add_f32_e32 v1, v1, v50
	s_wait_alu 0xfffe
	s_or_b32 exec_lo, exec_lo, s0
	s_and_saveexec_b32 s0, vcc_lo
	s_cbranch_execz .LBB61_133
.LBB61_238:
	ds_load_b32 v50, v48 offset:32
	s_wait_dscnt 0x0
	v_add_f32_e32 v2, v2, v50
	s_wait_alu 0xfffe
	s_or_b32 exec_lo, exec_lo, s0
	s_and_saveexec_b32 s0, vcc_lo
	s_cbranch_execz .LBB61_134
.LBB61_239:
	ds_load_b32 v50, v48 offset:48
	s_wait_dscnt 0x0
	v_add_f32_e32 v3, v3, v50
	s_wait_alu 0xfffe
	s_or_b32 exec_lo, exec_lo, s0
	s_and_saveexec_b32 s0, vcc_lo
	s_cbranch_execz .LBB61_135
.LBB61_240:
	ds_load_b32 v50, v48 offset:64
	s_wait_dscnt 0x0
	v_add_f32_e32 v4, v4, v50
	s_wait_alu 0xfffe
	s_or_b32 exec_lo, exec_lo, s0
	s_and_saveexec_b32 s0, vcc_lo
	s_cbranch_execz .LBB61_136
.LBB61_241:
	ds_load_b32 v50, v48 offset:80
	s_wait_dscnt 0x0
	v_add_f32_e32 v5, v5, v50
	s_wait_alu 0xfffe
	s_or_b32 exec_lo, exec_lo, s0
	s_and_saveexec_b32 s0, vcc_lo
	s_cbranch_execz .LBB61_137
.LBB61_242:
	ds_load_b32 v50, v48 offset:96
	s_wait_dscnt 0x0
	v_add_f32_e32 v6, v6, v50
	s_wait_alu 0xfffe
	s_or_b32 exec_lo, exec_lo, s0
	s_and_saveexec_b32 s0, vcc_lo
	s_cbranch_execz .LBB61_138
.LBB61_243:
	ds_load_b32 v50, v48 offset:112
	s_wait_dscnt 0x0
	v_add_f32_e32 v7, v7, v50
	s_wait_alu 0xfffe
	s_or_b32 exec_lo, exec_lo, s0
	s_and_saveexec_b32 s0, vcc_lo
	s_cbranch_execz .LBB61_139
.LBB61_244:
	ds_load_b32 v50, v48 offset:128
	s_wait_dscnt 0x0
	v_add_f32_e32 v8, v8, v50
	s_wait_alu 0xfffe
	s_or_b32 exec_lo, exec_lo, s0
	s_and_saveexec_b32 s0, vcc_lo
	s_cbranch_execz .LBB61_140
.LBB61_245:
	ds_load_b32 v50, v48 offset:144
	s_wait_dscnt 0x0
	v_add_f32_e32 v9, v9, v50
	s_wait_alu 0xfffe
	s_or_b32 exec_lo, exec_lo, s0
	s_and_saveexec_b32 s0, vcc_lo
	s_cbranch_execz .LBB61_141
.LBB61_246:
	ds_load_b32 v50, v48 offset:160
	s_wait_dscnt 0x0
	v_add_f32_e32 v10, v10, v50
	s_wait_alu 0xfffe
	s_or_b32 exec_lo, exec_lo, s0
	s_and_saveexec_b32 s0, vcc_lo
	s_cbranch_execz .LBB61_142
.LBB61_247:
	ds_load_b32 v50, v48 offset:176
	s_wait_dscnt 0x0
	v_add_f32_e32 v11, v11, v50
	s_wait_alu 0xfffe
	s_or_b32 exec_lo, exec_lo, s0
	s_and_saveexec_b32 s0, vcc_lo
	s_cbranch_execz .LBB61_143
.LBB61_248:
	ds_load_b32 v50, v48 offset:192
	s_wait_dscnt 0x0
	v_add_f32_e32 v12, v12, v50
	s_wait_alu 0xfffe
	s_or_b32 exec_lo, exec_lo, s0
	s_and_saveexec_b32 s0, vcc_lo
	s_cbranch_execz .LBB61_144
.LBB61_249:
	ds_load_b32 v50, v48 offset:208
	s_wait_dscnt 0x0
	v_add_f32_e32 v13, v13, v50
	s_wait_alu 0xfffe
	s_or_b32 exec_lo, exec_lo, s0
	s_and_saveexec_b32 s0, vcc_lo
	s_cbranch_execz .LBB61_145
.LBB61_250:
	ds_load_b32 v50, v48 offset:224
	s_wait_dscnt 0x0
	v_add_f32_e32 v14, v14, v50
	s_wait_alu 0xfffe
	s_or_b32 exec_lo, exec_lo, s0
	s_and_saveexec_b32 s0, vcc_lo
	s_cbranch_execz .LBB61_146
.LBB61_251:
	ds_load_b32 v50, v48 offset:240
	s_wait_dscnt 0x0
	v_add_f32_e32 v15, v15, v50
	s_wait_alu 0xfffe
	s_or_b32 exec_lo, exec_lo, s0
	s_and_saveexec_b32 s0, vcc_lo
	s_cbranch_execz .LBB61_147
.LBB61_252:
	ds_load_b32 v50, v48 offset:256
	s_wait_dscnt 0x0
	v_add_f32_e32 v16, v16, v50
	s_wait_alu 0xfffe
	s_or_b32 exec_lo, exec_lo, s0
	s_and_saveexec_b32 s0, vcc_lo
	s_cbranch_execz .LBB61_148
.LBB61_253:
	ds_load_b32 v50, v48 offset:272
	s_wait_dscnt 0x0
	v_add_f32_e32 v17, v17, v50
	s_wait_alu 0xfffe
	s_or_b32 exec_lo, exec_lo, s0
	s_and_saveexec_b32 s0, vcc_lo
	s_cbranch_execz .LBB61_149
.LBB61_254:
	ds_load_b32 v50, v48 offset:288
	s_wait_dscnt 0x0
	v_add_f32_e32 v18, v18, v50
	s_wait_alu 0xfffe
	s_or_b32 exec_lo, exec_lo, s0
	s_and_saveexec_b32 s0, vcc_lo
	s_cbranch_execz .LBB61_150
.LBB61_255:
	ds_load_b32 v50, v48 offset:304
	s_wait_dscnt 0x0
	v_add_f32_e32 v19, v19, v50
	s_wait_alu 0xfffe
	s_or_b32 exec_lo, exec_lo, s0
	s_and_saveexec_b32 s0, vcc_lo
	s_cbranch_execz .LBB61_151
.LBB61_256:
	ds_load_b32 v50, v48 offset:320
	s_wait_dscnt 0x0
	v_add_f32_e32 v20, v20, v50
	s_wait_alu 0xfffe
	s_or_b32 exec_lo, exec_lo, s0
	s_and_saveexec_b32 s0, vcc_lo
	s_cbranch_execz .LBB61_152
.LBB61_257:
	ds_load_b32 v50, v48 offset:336
	s_wait_dscnt 0x0
	v_add_f32_e32 v21, v21, v50
	s_wait_alu 0xfffe
	s_or_b32 exec_lo, exec_lo, s0
	s_and_saveexec_b32 s0, vcc_lo
	s_cbranch_execz .LBB61_153
.LBB61_258:
	ds_load_b32 v50, v48 offset:352
	s_wait_dscnt 0x0
	v_add_f32_e32 v22, v22, v50
	s_wait_alu 0xfffe
	s_or_b32 exec_lo, exec_lo, s0
	s_and_saveexec_b32 s0, vcc_lo
	s_cbranch_execz .LBB61_154
.LBB61_259:
	ds_load_b32 v50, v48 offset:368
	s_wait_dscnt 0x0
	v_add_f32_e32 v23, v23, v50
	s_wait_alu 0xfffe
	s_or_b32 exec_lo, exec_lo, s0
	s_and_saveexec_b32 s0, vcc_lo
	s_cbranch_execz .LBB61_155
.LBB61_260:
	ds_load_b32 v50, v48 offset:384
	s_wait_dscnt 0x0
	v_add_f32_e32 v24, v24, v50
	s_wait_alu 0xfffe
	s_or_b32 exec_lo, exec_lo, s0
	s_and_saveexec_b32 s0, vcc_lo
	s_cbranch_execz .LBB61_156
.LBB61_261:
	ds_load_b32 v50, v48 offset:400
	s_wait_dscnt 0x0
	v_add_f32_e32 v25, v25, v50
	s_wait_alu 0xfffe
	s_or_b32 exec_lo, exec_lo, s0
	s_and_saveexec_b32 s0, vcc_lo
	s_cbranch_execz .LBB61_157
.LBB61_262:
	ds_load_b32 v50, v48 offset:416
	s_wait_dscnt 0x0
	v_add_f32_e32 v26, v26, v50
	s_wait_alu 0xfffe
	s_or_b32 exec_lo, exec_lo, s0
	s_and_saveexec_b32 s0, vcc_lo
	s_cbranch_execz .LBB61_158
.LBB61_263:
	ds_load_b32 v50, v48 offset:432
	s_wait_dscnt 0x0
	v_add_f32_e32 v27, v27, v50
	s_wait_alu 0xfffe
	s_or_b32 exec_lo, exec_lo, s0
	s_and_saveexec_b32 s0, vcc_lo
	s_cbranch_execz .LBB61_159
.LBB61_264:
	ds_load_b32 v50, v48 offset:448
	s_wait_dscnt 0x0
	v_add_f32_e32 v28, v28, v50
	s_wait_alu 0xfffe
	s_or_b32 exec_lo, exec_lo, s0
	s_and_saveexec_b32 s0, vcc_lo
	s_cbranch_execz .LBB61_160
.LBB61_265:
	ds_load_b32 v50, v48 offset:464
	s_wait_dscnt 0x0
	v_add_f32_e32 v29, v29, v50
	s_wait_alu 0xfffe
	s_or_b32 exec_lo, exec_lo, s0
	s_and_saveexec_b32 s0, vcc_lo
	s_cbranch_execz .LBB61_161
.LBB61_266:
	ds_load_b32 v50, v48 offset:480
	s_wait_dscnt 0x0
	v_add_f32_e32 v30, v30, v50
	s_wait_alu 0xfffe
	s_or_b32 exec_lo, exec_lo, s0
	s_and_saveexec_b32 s0, vcc_lo
	s_cbranch_execz .LBB61_162
.LBB61_267:
	ds_load_b32 v50, v48 offset:496
	s_wait_dscnt 0x0
	v_add_f32_e32 v31, v31, v50
	s_wait_alu 0xfffe
	s_or_b32 exec_lo, exec_lo, s0
	s_and_saveexec_b32 s0, vcc_lo
	s_cbranch_execz .LBB61_163
.LBB61_268:
	ds_load_b32 v50, v48 offset:512
	s_wait_dscnt 0x0
	v_add_f32_e32 v32, v32, v50
	s_wait_alu 0xfffe
	s_or_b32 exec_lo, exec_lo, s0
	s_and_saveexec_b32 s0, vcc_lo
	s_cbranch_execz .LBB61_164
.LBB61_269:
	ds_load_b32 v50, v48 offset:528
	s_wait_dscnt 0x0
	v_add_f32_e32 v33, v33, v50
	s_wait_alu 0xfffe
	s_or_b32 exec_lo, exec_lo, s0
	s_and_saveexec_b32 s0, vcc_lo
	s_cbranch_execz .LBB61_165
.LBB61_270:
	ds_load_b32 v50, v48 offset:544
	s_wait_dscnt 0x0
	v_add_f32_e32 v34, v34, v50
	s_wait_alu 0xfffe
	s_or_b32 exec_lo, exec_lo, s0
	s_and_saveexec_b32 s0, vcc_lo
	s_cbranch_execz .LBB61_166
.LBB61_271:
	ds_load_b32 v50, v48 offset:560
	s_wait_dscnt 0x0
	v_add_f32_e32 v35, v35, v50
	s_wait_alu 0xfffe
	s_or_b32 exec_lo, exec_lo, s0
	s_and_saveexec_b32 s0, vcc_lo
	s_cbranch_execz .LBB61_167
.LBB61_272:
	ds_load_b32 v50, v48 offset:576
	s_wait_dscnt 0x0
	v_add_f32_e32 v36, v36, v50
	s_wait_alu 0xfffe
	s_or_b32 exec_lo, exec_lo, s0
	s_and_saveexec_b32 s0, vcc_lo
	s_cbranch_execz .LBB61_168
.LBB61_273:
	ds_load_b32 v50, v48 offset:592
	s_wait_dscnt 0x0
	v_add_f32_e32 v37, v37, v50
	s_wait_alu 0xfffe
	s_or_b32 exec_lo, exec_lo, s0
	s_and_saveexec_b32 s0, vcc_lo
	s_cbranch_execz .LBB61_169
.LBB61_274:
	ds_load_b32 v50, v48 offset:608
	s_wait_dscnt 0x0
	v_add_f32_e32 v38, v38, v50
	s_wait_alu 0xfffe
	s_or_b32 exec_lo, exec_lo, s0
	s_and_saveexec_b32 s0, vcc_lo
	s_cbranch_execz .LBB61_170
.LBB61_275:
	ds_load_b32 v50, v48 offset:624
	s_wait_dscnt 0x0
	v_add_f32_e32 v39, v39, v50
	s_wait_alu 0xfffe
	s_or_b32 exec_lo, exec_lo, s0
	s_and_saveexec_b32 s0, vcc_lo
	s_cbranch_execz .LBB61_171
.LBB61_276:
	ds_load_b32 v50, v48 offset:640
	s_wait_dscnt 0x0
	v_add_f32_e32 v40, v40, v50
	s_wait_alu 0xfffe
	s_or_b32 exec_lo, exec_lo, s0
	s_and_saveexec_b32 s0, vcc_lo
	s_cbranch_execz .LBB61_172
.LBB61_277:
	ds_load_b32 v50, v48 offset:656
	s_wait_dscnt 0x0
	v_add_f32_e32 v41, v41, v50
	s_wait_alu 0xfffe
	s_or_b32 exec_lo, exec_lo, s0
	s_and_saveexec_b32 s0, vcc_lo
	s_cbranch_execz .LBB61_173
.LBB61_278:
	ds_load_b32 v50, v48 offset:672
	s_wait_dscnt 0x0
	v_add_f32_e32 v42, v42, v50
	s_wait_alu 0xfffe
	s_or_b32 exec_lo, exec_lo, s0
	s_and_saveexec_b32 s0, vcc_lo
	s_cbranch_execz .LBB61_174
.LBB61_279:
	ds_load_b32 v50, v48 offset:688
	s_wait_dscnt 0x0
	v_add_f32_e32 v43, v43, v50
	s_wait_alu 0xfffe
	s_or_b32 exec_lo, exec_lo, s0
	s_and_saveexec_b32 s0, vcc_lo
	s_cbranch_execz .LBB61_175
.LBB61_280:
	ds_load_b32 v50, v48 offset:704
	s_wait_dscnt 0x0
	v_add_f32_e32 v44, v44, v50
	s_wait_alu 0xfffe
	s_or_b32 exec_lo, exec_lo, s0
	s_and_saveexec_b32 s0, vcc_lo
	s_cbranch_execz .LBB61_176
.LBB61_281:
	ds_load_b32 v50, v48 offset:720
	s_wait_dscnt 0x0
	v_add_f32_e32 v45, v45, v50
	s_wait_alu 0xfffe
	s_or_b32 exec_lo, exec_lo, s0
	s_and_saveexec_b32 s0, vcc_lo
	s_cbranch_execz .LBB61_177
.LBB61_282:
	ds_load_b32 v50, v48 offset:736
	s_wait_dscnt 0x0
	v_add_f32_e32 v46, v46, v50
	s_wait_alu 0xfffe
	s_or_b32 exec_lo, exec_lo, s0
	s_and_saveexec_b32 s0, vcc_lo
	s_cbranch_execnz .LBB61_178
	s_branch .LBB61_179
.LBB61_283:
	ds_load_b32 v49, v48
	s_wait_dscnt 0x0
	v_add_f32_e32 v0, v0, v49
	s_wait_alu 0xfffe
	s_or_b32 exec_lo, exec_lo, s0
	s_and_saveexec_b32 s0, vcc_lo
	s_cbranch_execz .LBB61_185
.LBB61_284:
	ds_load_b32 v49, v48 offset:16
	s_wait_dscnt 0x0
	v_add_f32_e32 v1, v1, v49
	s_wait_alu 0xfffe
	s_or_b32 exec_lo, exec_lo, s0
	s_and_saveexec_b32 s0, vcc_lo
	s_cbranch_execz .LBB61_186
.LBB61_285:
	ds_load_b32 v49, v48 offset:32
	s_wait_dscnt 0x0
	v_add_f32_e32 v2, v2, v49
	s_wait_alu 0xfffe
	s_or_b32 exec_lo, exec_lo, s0
	s_and_saveexec_b32 s0, vcc_lo
	s_cbranch_execz .LBB61_187
.LBB61_286:
	ds_load_b32 v49, v48 offset:48
	s_wait_dscnt 0x0
	v_add_f32_e32 v3, v3, v49
	s_wait_alu 0xfffe
	s_or_b32 exec_lo, exec_lo, s0
	s_and_saveexec_b32 s0, vcc_lo
	s_cbranch_execz .LBB61_188
.LBB61_287:
	ds_load_b32 v49, v48 offset:64
	s_wait_dscnt 0x0
	v_add_f32_e32 v4, v4, v49
	s_wait_alu 0xfffe
	s_or_b32 exec_lo, exec_lo, s0
	s_and_saveexec_b32 s0, vcc_lo
	s_cbranch_execz .LBB61_189
.LBB61_288:
	ds_load_b32 v49, v48 offset:80
	s_wait_dscnt 0x0
	v_add_f32_e32 v5, v5, v49
	s_wait_alu 0xfffe
	s_or_b32 exec_lo, exec_lo, s0
	s_and_saveexec_b32 s0, vcc_lo
	s_cbranch_execz .LBB61_190
.LBB61_289:
	ds_load_b32 v49, v48 offset:96
	s_wait_dscnt 0x0
	v_add_f32_e32 v6, v6, v49
	s_wait_alu 0xfffe
	s_or_b32 exec_lo, exec_lo, s0
	s_and_saveexec_b32 s0, vcc_lo
	s_cbranch_execz .LBB61_191
.LBB61_290:
	ds_load_b32 v49, v48 offset:112
	s_wait_dscnt 0x0
	v_add_f32_e32 v7, v7, v49
	s_wait_alu 0xfffe
	s_or_b32 exec_lo, exec_lo, s0
	s_and_saveexec_b32 s0, vcc_lo
	s_cbranch_execz .LBB61_192
.LBB61_291:
	ds_load_b32 v49, v48 offset:128
	s_wait_dscnt 0x0
	v_add_f32_e32 v8, v8, v49
	s_wait_alu 0xfffe
	s_or_b32 exec_lo, exec_lo, s0
	s_and_saveexec_b32 s0, vcc_lo
	s_cbranch_execz .LBB61_193
.LBB61_292:
	ds_load_b32 v49, v48 offset:144
	s_wait_dscnt 0x0
	v_add_f32_e32 v9, v9, v49
	s_wait_alu 0xfffe
	s_or_b32 exec_lo, exec_lo, s0
	s_and_saveexec_b32 s0, vcc_lo
	s_cbranch_execz .LBB61_194
.LBB61_293:
	ds_load_b32 v49, v48 offset:160
	s_wait_dscnt 0x0
	v_add_f32_e32 v10, v10, v49
	s_wait_alu 0xfffe
	s_or_b32 exec_lo, exec_lo, s0
	s_and_saveexec_b32 s0, vcc_lo
	s_cbranch_execz .LBB61_195
.LBB61_294:
	ds_load_b32 v49, v48 offset:176
	s_wait_dscnt 0x0
	v_add_f32_e32 v11, v11, v49
	s_wait_alu 0xfffe
	s_or_b32 exec_lo, exec_lo, s0
	s_and_saveexec_b32 s0, vcc_lo
	s_cbranch_execz .LBB61_196
.LBB61_295:
	ds_load_b32 v49, v48 offset:192
	s_wait_dscnt 0x0
	v_add_f32_e32 v12, v12, v49
	s_wait_alu 0xfffe
	s_or_b32 exec_lo, exec_lo, s0
	s_and_saveexec_b32 s0, vcc_lo
	s_cbranch_execz .LBB61_197
.LBB61_296:
	ds_load_b32 v49, v48 offset:208
	s_wait_dscnt 0x0
	v_add_f32_e32 v13, v13, v49
	s_wait_alu 0xfffe
	s_or_b32 exec_lo, exec_lo, s0
	s_and_saveexec_b32 s0, vcc_lo
	s_cbranch_execz .LBB61_198
.LBB61_297:
	ds_load_b32 v49, v48 offset:224
	s_wait_dscnt 0x0
	v_add_f32_e32 v14, v14, v49
	s_wait_alu 0xfffe
	s_or_b32 exec_lo, exec_lo, s0
	s_and_saveexec_b32 s0, vcc_lo
	s_cbranch_execz .LBB61_199
.LBB61_298:
	ds_load_b32 v49, v48 offset:240
	s_wait_dscnt 0x0
	v_add_f32_e32 v15, v15, v49
	s_wait_alu 0xfffe
	s_or_b32 exec_lo, exec_lo, s0
	s_and_saveexec_b32 s0, vcc_lo
	s_cbranch_execz .LBB61_200
.LBB61_299:
	ds_load_b32 v49, v48 offset:256
	s_wait_dscnt 0x0
	v_add_f32_e32 v16, v16, v49
	s_wait_alu 0xfffe
	s_or_b32 exec_lo, exec_lo, s0
	s_and_saveexec_b32 s0, vcc_lo
	s_cbranch_execz .LBB61_201
.LBB61_300:
	ds_load_b32 v49, v48 offset:272
	s_wait_dscnt 0x0
	v_add_f32_e32 v17, v17, v49
	s_wait_alu 0xfffe
	s_or_b32 exec_lo, exec_lo, s0
	s_and_saveexec_b32 s0, vcc_lo
	s_cbranch_execz .LBB61_202
.LBB61_301:
	ds_load_b32 v49, v48 offset:288
	s_wait_dscnt 0x0
	v_add_f32_e32 v18, v18, v49
	s_wait_alu 0xfffe
	s_or_b32 exec_lo, exec_lo, s0
	s_and_saveexec_b32 s0, vcc_lo
	s_cbranch_execz .LBB61_203
.LBB61_302:
	ds_load_b32 v49, v48 offset:304
	s_wait_dscnt 0x0
	v_add_f32_e32 v19, v19, v49
	s_wait_alu 0xfffe
	s_or_b32 exec_lo, exec_lo, s0
	s_and_saveexec_b32 s0, vcc_lo
	s_cbranch_execz .LBB61_204
.LBB61_303:
	ds_load_b32 v49, v48 offset:320
	s_wait_dscnt 0x0
	v_add_f32_e32 v20, v20, v49
	s_wait_alu 0xfffe
	s_or_b32 exec_lo, exec_lo, s0
	s_and_saveexec_b32 s0, vcc_lo
	s_cbranch_execz .LBB61_205
.LBB61_304:
	ds_load_b32 v49, v48 offset:336
	s_wait_dscnt 0x0
	v_add_f32_e32 v21, v21, v49
	s_wait_alu 0xfffe
	s_or_b32 exec_lo, exec_lo, s0
	s_and_saveexec_b32 s0, vcc_lo
	s_cbranch_execz .LBB61_206
.LBB61_305:
	ds_load_b32 v49, v48 offset:352
	s_wait_dscnt 0x0
	v_add_f32_e32 v22, v22, v49
	s_wait_alu 0xfffe
	s_or_b32 exec_lo, exec_lo, s0
	s_and_saveexec_b32 s0, vcc_lo
	s_cbranch_execz .LBB61_207
.LBB61_306:
	ds_load_b32 v49, v48 offset:368
	s_wait_dscnt 0x0
	v_add_f32_e32 v23, v23, v49
	s_wait_alu 0xfffe
	s_or_b32 exec_lo, exec_lo, s0
	s_and_saveexec_b32 s0, vcc_lo
	s_cbranch_execz .LBB61_208
.LBB61_307:
	ds_load_b32 v49, v48 offset:384
	s_wait_dscnt 0x0
	v_add_f32_e32 v24, v24, v49
	s_wait_alu 0xfffe
	s_or_b32 exec_lo, exec_lo, s0
	s_and_saveexec_b32 s0, vcc_lo
	s_cbranch_execz .LBB61_209
.LBB61_308:
	ds_load_b32 v49, v48 offset:400
	s_wait_dscnt 0x0
	v_add_f32_e32 v25, v25, v49
	s_wait_alu 0xfffe
	s_or_b32 exec_lo, exec_lo, s0
	s_and_saveexec_b32 s0, vcc_lo
	s_cbranch_execz .LBB61_210
.LBB61_309:
	ds_load_b32 v49, v48 offset:416
	s_wait_dscnt 0x0
	v_add_f32_e32 v26, v26, v49
	s_wait_alu 0xfffe
	s_or_b32 exec_lo, exec_lo, s0
	s_and_saveexec_b32 s0, vcc_lo
	s_cbranch_execz .LBB61_211
.LBB61_310:
	ds_load_b32 v49, v48 offset:432
	s_wait_dscnt 0x0
	v_add_f32_e32 v27, v27, v49
	s_wait_alu 0xfffe
	s_or_b32 exec_lo, exec_lo, s0
	s_and_saveexec_b32 s0, vcc_lo
	s_cbranch_execz .LBB61_212
.LBB61_311:
	ds_load_b32 v49, v48 offset:448
	s_wait_dscnt 0x0
	v_add_f32_e32 v28, v28, v49
	s_wait_alu 0xfffe
	s_or_b32 exec_lo, exec_lo, s0
	s_and_saveexec_b32 s0, vcc_lo
	s_cbranch_execz .LBB61_213
.LBB61_312:
	ds_load_b32 v49, v48 offset:464
	s_wait_dscnt 0x0
	v_add_f32_e32 v29, v29, v49
	s_wait_alu 0xfffe
	s_or_b32 exec_lo, exec_lo, s0
	s_and_saveexec_b32 s0, vcc_lo
	s_cbranch_execz .LBB61_214
.LBB61_313:
	ds_load_b32 v49, v48 offset:480
	s_wait_dscnt 0x0
	v_add_f32_e32 v30, v30, v49
	s_wait_alu 0xfffe
	s_or_b32 exec_lo, exec_lo, s0
	s_and_saveexec_b32 s0, vcc_lo
	s_cbranch_execz .LBB61_215
.LBB61_314:
	ds_load_b32 v49, v48 offset:496
	s_wait_dscnt 0x0
	v_add_f32_e32 v31, v31, v49
	s_wait_alu 0xfffe
	s_or_b32 exec_lo, exec_lo, s0
	s_and_saveexec_b32 s0, vcc_lo
	s_cbranch_execz .LBB61_216
.LBB61_315:
	ds_load_b32 v49, v48 offset:512
	s_wait_dscnt 0x0
	v_add_f32_e32 v32, v32, v49
	s_wait_alu 0xfffe
	s_or_b32 exec_lo, exec_lo, s0
	s_and_saveexec_b32 s0, vcc_lo
	s_cbranch_execz .LBB61_217
.LBB61_316:
	ds_load_b32 v49, v48 offset:528
	s_wait_dscnt 0x0
	v_add_f32_e32 v33, v33, v49
	s_wait_alu 0xfffe
	s_or_b32 exec_lo, exec_lo, s0
	s_and_saveexec_b32 s0, vcc_lo
	s_cbranch_execz .LBB61_218
.LBB61_317:
	ds_load_b32 v49, v48 offset:544
	s_wait_dscnt 0x0
	v_add_f32_e32 v34, v34, v49
	s_wait_alu 0xfffe
	s_or_b32 exec_lo, exec_lo, s0
	s_and_saveexec_b32 s0, vcc_lo
	s_cbranch_execz .LBB61_219
.LBB61_318:
	ds_load_b32 v49, v48 offset:560
	s_wait_dscnt 0x0
	v_add_f32_e32 v35, v35, v49
	s_wait_alu 0xfffe
	s_or_b32 exec_lo, exec_lo, s0
	s_and_saveexec_b32 s0, vcc_lo
	s_cbranch_execz .LBB61_220
.LBB61_319:
	ds_load_b32 v49, v48 offset:576
	s_wait_dscnt 0x0
	v_add_f32_e32 v36, v36, v49
	s_wait_alu 0xfffe
	s_or_b32 exec_lo, exec_lo, s0
	s_and_saveexec_b32 s0, vcc_lo
	s_cbranch_execz .LBB61_221
.LBB61_320:
	ds_load_b32 v49, v48 offset:592
	s_wait_dscnt 0x0
	v_add_f32_e32 v37, v37, v49
	s_wait_alu 0xfffe
	s_or_b32 exec_lo, exec_lo, s0
	s_and_saveexec_b32 s0, vcc_lo
	s_cbranch_execz .LBB61_222
.LBB61_321:
	ds_load_b32 v49, v48 offset:608
	s_wait_dscnt 0x0
	v_add_f32_e32 v38, v38, v49
	s_wait_alu 0xfffe
	s_or_b32 exec_lo, exec_lo, s0
	s_and_saveexec_b32 s0, vcc_lo
	s_cbranch_execz .LBB61_223
.LBB61_322:
	ds_load_b32 v49, v48 offset:624
	s_wait_dscnt 0x0
	v_add_f32_e32 v39, v39, v49
	s_wait_alu 0xfffe
	s_or_b32 exec_lo, exec_lo, s0
	s_and_saveexec_b32 s0, vcc_lo
	s_cbranch_execz .LBB61_224
.LBB61_323:
	ds_load_b32 v49, v48 offset:640
	s_wait_dscnt 0x0
	v_add_f32_e32 v40, v40, v49
	s_wait_alu 0xfffe
	s_or_b32 exec_lo, exec_lo, s0
	s_and_saveexec_b32 s0, vcc_lo
	s_cbranch_execz .LBB61_225
.LBB61_324:
	ds_load_b32 v49, v48 offset:656
	s_wait_dscnt 0x0
	v_add_f32_e32 v41, v41, v49
	s_wait_alu 0xfffe
	s_or_b32 exec_lo, exec_lo, s0
	s_and_saveexec_b32 s0, vcc_lo
	s_cbranch_execz .LBB61_226
.LBB61_325:
	ds_load_b32 v49, v48 offset:672
	s_wait_dscnt 0x0
	v_add_f32_e32 v42, v42, v49
	s_wait_alu 0xfffe
	s_or_b32 exec_lo, exec_lo, s0
	s_and_saveexec_b32 s0, vcc_lo
	s_cbranch_execz .LBB61_227
.LBB61_326:
	ds_load_b32 v49, v48 offset:688
	s_wait_dscnt 0x0
	v_add_f32_e32 v43, v43, v49
	s_wait_alu 0xfffe
	s_or_b32 exec_lo, exec_lo, s0
	s_and_saveexec_b32 s0, vcc_lo
	s_cbranch_execz .LBB61_228
.LBB61_327:
	ds_load_b32 v49, v48 offset:704
	s_wait_dscnt 0x0
	v_add_f32_e32 v44, v44, v49
	s_wait_alu 0xfffe
	s_or_b32 exec_lo, exec_lo, s0
	s_and_saveexec_b32 s0, vcc_lo
	s_cbranch_execz .LBB61_229
.LBB61_328:
	ds_load_b32 v49, v48 offset:720
	s_wait_dscnt 0x0
	v_add_f32_e32 v45, v45, v49
	s_wait_alu 0xfffe
	s_or_b32 exec_lo, exec_lo, s0
	s_and_saveexec_b32 s0, vcc_lo
	s_cbranch_execz .LBB61_230
.LBB61_329:
	ds_load_b32 v49, v48 offset:736
	s_wait_dscnt 0x0
	v_add_f32_e32 v46, v46, v49
	s_wait_alu 0xfffe
	s_or_b32 exec_lo, exec_lo, s0
	s_and_saveexec_b32 s0, vcc_lo
	s_cbranch_execnz .LBB61_231
	s_branch .LBB61_232
	.section	.rodata,"a",@progbits
	.p2align	6, 0x0
	.amdhsa_kernel _ZN4vllm25paged_attention_v2_kernelIffLi192ELi32ELi128ELNS_18Fp8KVCacheDataTypeE0ELb0ELi512EEEvPfS2_PT_PKS3_PKT0_S9_ifPKiSB_iPKfiiiSD_SD_iiiii
		.amdhsa_group_segment_fixed_size 800
		.amdhsa_private_segment_fixed_size 328
		.amdhsa_kernarg_size 400
		.amdhsa_user_sgpr_count 2
		.amdhsa_user_sgpr_dispatch_ptr 0
		.amdhsa_user_sgpr_queue_ptr 0
		.amdhsa_user_sgpr_kernarg_segment_ptr 1
		.amdhsa_user_sgpr_dispatch_id 0
		.amdhsa_user_sgpr_private_segment_size 0
		.amdhsa_wavefront_size32 1
		.amdhsa_uses_dynamic_stack 0
		.amdhsa_enable_private_segment 1
		.amdhsa_system_sgpr_workgroup_id_x 1
		.amdhsa_system_sgpr_workgroup_id_y 1
		.amdhsa_system_sgpr_workgroup_id_z 1
		.amdhsa_system_sgpr_workgroup_info 0
		.amdhsa_system_vgpr_workitem_id 0
		.amdhsa_next_free_vgpr 192
		.amdhsa_next_free_sgpr 32
		.amdhsa_reserve_vcc 1
		.amdhsa_float_round_mode_32 0
		.amdhsa_float_round_mode_16_64 0
		.amdhsa_float_denorm_mode_32 3
		.amdhsa_float_denorm_mode_16_64 3
		.amdhsa_fp16_overflow 0
		.amdhsa_workgroup_processor_mode 1
		.amdhsa_memory_ordered 1
		.amdhsa_forward_progress 1
		.amdhsa_inst_pref_size 195
		.amdhsa_round_robin_scheduling 0
		.amdhsa_exception_fp_ieee_invalid_op 0
		.amdhsa_exception_fp_denorm_src 0
		.amdhsa_exception_fp_ieee_div_zero 0
		.amdhsa_exception_fp_ieee_overflow 0
		.amdhsa_exception_fp_ieee_underflow 0
		.amdhsa_exception_fp_ieee_inexact 0
		.amdhsa_exception_int_div_zero 0
	.end_amdhsa_kernel
	.section	.text._ZN4vllm25paged_attention_v2_kernelIffLi192ELi32ELi128ELNS_18Fp8KVCacheDataTypeE0ELb0ELi512EEEvPfS2_PT_PKS3_PKT0_S9_ifPKiSB_iPKfiiiSD_SD_iiiii,"axG",@progbits,_ZN4vllm25paged_attention_v2_kernelIffLi192ELi32ELi128ELNS_18Fp8KVCacheDataTypeE0ELb0ELi512EEEvPfS2_PT_PKS3_PKT0_S9_ifPKiSB_iPKfiiiSD_SD_iiiii,comdat
.Lfunc_end61:
	.size	_ZN4vllm25paged_attention_v2_kernelIffLi192ELi32ELi128ELNS_18Fp8KVCacheDataTypeE0ELb0ELi512EEEvPfS2_PT_PKS3_PKT0_S9_ifPKiSB_iPKfiiiSD_SD_iiiii, .Lfunc_end61-_ZN4vllm25paged_attention_v2_kernelIffLi192ELi32ELi128ELNS_18Fp8KVCacheDataTypeE0ELb0ELi512EEEvPfS2_PT_PKS3_PKT0_S9_ifPKiSB_iPKfiiiSD_SD_iiiii
                                        ; -- End function
	.set _ZN4vllm25paged_attention_v2_kernelIffLi192ELi32ELi128ELNS_18Fp8KVCacheDataTypeE0ELb0ELi512EEEvPfS2_PT_PKS3_PKT0_S9_ifPKiSB_iPKfiiiSD_SD_iiiii.num_vgpr, 192
	.set _ZN4vllm25paged_attention_v2_kernelIffLi192ELi32ELi128ELNS_18Fp8KVCacheDataTypeE0ELb0ELi512EEEvPfS2_PT_PKS3_PKT0_S9_ifPKiSB_iPKfiiiSD_SD_iiiii.num_agpr, 0
	.set _ZN4vllm25paged_attention_v2_kernelIffLi192ELi32ELi128ELNS_18Fp8KVCacheDataTypeE0ELb0ELi512EEEvPfS2_PT_PKS3_PKT0_S9_ifPKiSB_iPKfiiiSD_SD_iiiii.numbered_sgpr, 32
	.set _ZN4vllm25paged_attention_v2_kernelIffLi192ELi32ELi128ELNS_18Fp8KVCacheDataTypeE0ELb0ELi512EEEvPfS2_PT_PKS3_PKT0_S9_ifPKiSB_iPKfiiiSD_SD_iiiii.num_named_barrier, 0
	.set _ZN4vllm25paged_attention_v2_kernelIffLi192ELi32ELi128ELNS_18Fp8KVCacheDataTypeE0ELb0ELi512EEEvPfS2_PT_PKS3_PKT0_S9_ifPKiSB_iPKfiiiSD_SD_iiiii.private_seg_size, 328
	.set _ZN4vllm25paged_attention_v2_kernelIffLi192ELi32ELi128ELNS_18Fp8KVCacheDataTypeE0ELb0ELi512EEEvPfS2_PT_PKS3_PKT0_S9_ifPKiSB_iPKfiiiSD_SD_iiiii.uses_vcc, 1
	.set _ZN4vllm25paged_attention_v2_kernelIffLi192ELi32ELi128ELNS_18Fp8KVCacheDataTypeE0ELb0ELi512EEEvPfS2_PT_PKS3_PKT0_S9_ifPKiSB_iPKfiiiSD_SD_iiiii.uses_flat_scratch, 1
	.set _ZN4vllm25paged_attention_v2_kernelIffLi192ELi32ELi128ELNS_18Fp8KVCacheDataTypeE0ELb0ELi512EEEvPfS2_PT_PKS3_PKT0_S9_ifPKiSB_iPKfiiiSD_SD_iiiii.has_dyn_sized_stack, 0
	.set _ZN4vllm25paged_attention_v2_kernelIffLi192ELi32ELi128ELNS_18Fp8KVCacheDataTypeE0ELb0ELi512EEEvPfS2_PT_PKS3_PKT0_S9_ifPKiSB_iPKfiiiSD_SD_iiiii.has_recursion, 0
	.set _ZN4vllm25paged_attention_v2_kernelIffLi192ELi32ELi128ELNS_18Fp8KVCacheDataTypeE0ELb0ELi512EEEvPfS2_PT_PKS3_PKT0_S9_ifPKiSB_iPKfiiiSD_SD_iiiii.has_indirect_call, 0
	.section	.AMDGPU.csdata,"",@progbits
; Kernel info:
; codeLenInByte = 24896
; TotalNumSgprs: 34
; NumVgprs: 192
; ScratchSize: 328
; MemoryBound: 0
; FloatMode: 240
; IeeeMode: 1
; LDSByteSize: 800 bytes/workgroup (compile time only)
; SGPRBlocks: 0
; VGPRBlocks: 23
; NumSGPRsForWavesPerEU: 34
; NumVGPRsForWavesPerEU: 192
; Occupancy: 8
; WaveLimiterHint : 1
; COMPUTE_PGM_RSRC2:SCRATCH_EN: 1
; COMPUTE_PGM_RSRC2:USER_SGPR: 2
; COMPUTE_PGM_RSRC2:TRAP_HANDLER: 0
; COMPUTE_PGM_RSRC2:TGID_X_EN: 1
; COMPUTE_PGM_RSRC2:TGID_Y_EN: 1
; COMPUTE_PGM_RSRC2:TGID_Z_EN: 1
; COMPUTE_PGM_RSRC2:TIDIG_COMP_CNT: 0
	.section	.text._ZN4vllm25paged_attention_v2_kernelIffLi256ELi32ELi128ELNS_18Fp8KVCacheDataTypeE0ELb0ELi512EEEvPfS2_PT_PKS3_PKT0_S9_ifPKiSB_iPKfiiiSD_SD_iiiii,"axG",@progbits,_ZN4vllm25paged_attention_v2_kernelIffLi256ELi32ELi128ELNS_18Fp8KVCacheDataTypeE0ELb0ELi512EEEvPfS2_PT_PKS3_PKT0_S9_ifPKiSB_iPKfiiiSD_SD_iiiii,comdat
	.protected	_ZN4vllm25paged_attention_v2_kernelIffLi256ELi32ELi128ELNS_18Fp8KVCacheDataTypeE0ELb0ELi512EEEvPfS2_PT_PKS3_PKT0_S9_ifPKiSB_iPKfiiiSD_SD_iiiii ; -- Begin function _ZN4vllm25paged_attention_v2_kernelIffLi256ELi32ELi128ELNS_18Fp8KVCacheDataTypeE0ELb0ELi512EEEvPfS2_PT_PKS3_PKT0_S9_ifPKiSB_iPKfiiiSD_SD_iiiii
	.globl	_ZN4vllm25paged_attention_v2_kernelIffLi256ELi32ELi128ELNS_18Fp8KVCacheDataTypeE0ELb0ELi512EEEvPfS2_PT_PKS3_PKT0_S9_ifPKiSB_iPKfiiiSD_SD_iiiii
	.p2align	8
	.type	_ZN4vllm25paged_attention_v2_kernelIffLi256ELi32ELi128ELNS_18Fp8KVCacheDataTypeE0ELb0ELi512EEEvPfS2_PT_PKS3_PKT0_S9_ifPKiSB_iPKfiiiSD_SD_iiiii,@function
_ZN4vllm25paged_attention_v2_kernelIffLi256ELi32ELi128ELNS_18Fp8KVCacheDataTypeE0ELb0ELi512EEEvPfS2_PT_PKS3_PKT0_S9_ifPKiSB_iPKfiiiSD_SD_iiiii: ; @_ZN4vllm25paged_attention_v2_kernelIffLi256ELi32ELi128ELNS_18Fp8KVCacheDataTypeE0ELb0ELi512EEEvPfS2_PT_PKS3_PKT0_S9_ifPKiSB_iPKfiiiSD_SD_iiiii
; %bb.0:
	s_load_b64 s[2:3], s[0:1], 0x40
	s_and_b32 s28, ttmp7, 0xffff
	s_lshr_b32 s24, ttmp7, 16
	s_lshl_b32 s4, s28, 2
	s_lshl_b32 s26, s24, 9
	s_wait_kmcnt 0x0
	s_load_b32 s25, s[2:3], s4 offset:0x0
	s_wait_kmcnt 0x0
	s_cmp_ge_i32 s26, s25
	s_cbranch_scc1 .LBB62_299
; %bb.1:
	s_clause 0x1
	s_load_b32 s29, s[0:1], 0x90
	s_load_b64 s[8:9], s[0:1], 0x30
	s_wait_kmcnt 0x0
	s_abs_i32 s5, s29
	s_abs_i32 s2, s8
	s_delay_alu instid0(SALU_CYCLE_1) | instskip(SKIP_1) | instid1(SALU_CYCLE_2)
	s_cvt_f32_u32 s3, s2
	s_sub_co_i32 s4, 0, s2
	v_rcp_iflag_f32_e32 v1, s3
	s_delay_alu instid0(TRANS32_DEP_1) | instskip(SKIP_2) | instid1(SALU_CYCLE_2)
	v_readfirstlane_b32 s3, v1
	s_mul_f32 s3, s3, 0x4f7ffffe
	s_wait_alu 0xfffe
	s_cvt_u32_f32 s3, s3
	s_wait_alu 0xfffe
	s_delay_alu instid0(SALU_CYCLE_2) | instskip(NEXT) | instid1(SALU_CYCLE_1)
	s_mul_i32 s4, s4, s3
	s_mul_hi_u32 s4, s3, s4
	s_delay_alu instid0(SALU_CYCLE_1)
	s_add_co_i32 s3, s3, s4
	s_xor_b32 s4, s29, s8
	s_wait_alu 0xfffe
	s_mul_hi_u32 s3, s5, s3
	s_ashr_i32 s4, s4, 31
	s_wait_alu 0xfffe
	s_mul_i32 s6, s3, s2
	s_delay_alu instid0(SALU_CYCLE_1)
	s_sub_co_i32 s5, s5, s6
	s_add_co_i32 s6, s3, 1
	s_sub_co_i32 s7, s5, s2
	s_cmp_ge_u32 s5, s2
	s_cselect_b32 s3, s6, s3
	s_cselect_b32 s5, s7, s5
	s_wait_alu 0xfffe
	s_add_co_i32 s6, s3, 1
	s_cmp_ge_u32 s5, s2
	s_mov_b32 s5, 0
	s_cselect_b32 s2, s6, s3
	s_load_b64 s[6:7], s[0:1], 0x50
	s_xor_b32 s2, s2, s4
	s_mov_b32 s8, s5
	s_wait_alu 0xfffe
	s_sub_co_i32 s11, s2, s4
	s_abs_i32 s4, ttmp9
	s_abs_i32 s10, s11
	s_delay_alu instid0(SALU_CYCLE_1) | instskip(SKIP_2) | instid1(SALU_CYCLE_1)
	s_cvt_f32_u32 s2, s10
	s_sub_co_i32 s3, 0, s10
	s_wait_alu 0xfffe
	v_rcp_iflag_f32_e32 v1, s2
	s_delay_alu instid0(TRANS32_DEP_1) | instskip(SKIP_2) | instid1(SALU_CYCLE_2)
	v_readfirstlane_b32 s2, v1
	s_mul_f32 s2, s2, 0x4f7ffffe
	s_wait_alu 0xfffe
	s_cvt_u32_f32 s2, s2
	s_wait_alu 0xfffe
	s_delay_alu instid0(SALU_CYCLE_2)
	s_mul_i32 s3, s3, s2
	s_wait_alu 0xfffe
	s_mul_hi_u32 s3, s2, s3
	s_wait_alu 0xfffe
	s_add_co_i32 s2, s2, s3
	s_mov_b32 s3, s5
	s_wait_kmcnt 0x0
	s_cmp_eq_u64 s[6:7], 0
	s_cbranch_scc1 .LBB62_3
; %bb.2:
	s_mov_b32 s12, ttmp9
	s_ashr_i32 s13, ttmp9, 31
	s_delay_alu instid0(SALU_CYCLE_1) | instskip(NEXT) | instid1(SALU_CYCLE_1)
	s_lshl_b64 s[12:13], s[12:13], 2
	s_add_nc_u64 s[6:7], s[6:7], s[12:13]
	s_load_b32 s8, s[6:7], 0x0
.LBB62_3:
	s_load_b96 s[12:14], s[0:1], 0x58
	s_mul_u64 s[2:3], s[4:5], s[2:3]
	v_cmp_gt_u32_e64 s2, 64, v0
	s_ashr_i32 s5, ttmp9, 31
	s_ashr_i32 s11, s11, 31
	s_lshl_b32 s6, ttmp9, 8
	s_mov_b32 s15, exec_lo
	s_wait_alu 0xfffe
	s_and_b32 s7, s15, s2
	scratch_store_b32 off, v0, off offset:628 ; 4-byte Folded Spill
	s_mov_b32 exec_lo, s7
	s_cbranch_execz .LBB62_5
; %bb.4:
	s_load_b64 s[16:17], s[0:1], 0x18
	s_wait_kmcnt 0x0
	s_mul_i32 s18, s12, s28
	s_ashr_i32 s7, s6, 31
	s_ashr_i32 s19, s18, 31
	v_lshlrev_b32_e32 v4, 4, v0
	s_lshl_b64 s[18:19], s[18:19], 2
	s_delay_alu instid0(SALU_CYCLE_1) | instskip(SKIP_1) | instid1(SALU_CYCLE_1)
	s_add_nc_u64 s[16:17], s[16:17], s[18:19]
	s_lshl_b64 s[18:19], s[6:7], 2
	s_add_nc_u64 s[16:17], s[16:17], s[18:19]
	global_load_b128 v[0:3], v4, s[16:17]
	s_wait_loadcnt 0x0
	ds_store_b128 v4, v[0:3]
	scratch_load_b32 v0, off, off offset:628 ; 4-byte Folded Reload
.LBB62_5:
	s_or_b32 exec_lo, exec_lo, s15
	s_add_co_i32 s7, s25, 31
	s_lshl_b32 s30, s24, 4
	s_wait_kmcnt 0x0
	s_ashr_i32 s12, s7, 31
	s_mul_i32 s18, s3, s10
	s_lshr_b32 s12, s12, 27
	s_sub_co_i32 s4, s4, s18
	s_add_co_i32 s7, s7, s12
	s_add_co_i32 s12, s30, 16
	s_ashr_i32 s27, s7, 5
	s_clause 0x2
	s_load_b64 s[16:17], s[0:1], 0x38
	s_load_b32 s7, s[0:1], 0x98
	s_load_b32 s15, s[0:1], 0x48
	s_min_i32 s12, s12, s27
	s_xor_b32 s5, s5, s11
	s_add_co_i32 s11, s3, 1
	s_sub_co_i32 s18, s4, s10
	s_cmp_ge_u32 s4, s10
	s_wait_loadcnt 0x0
	v_lshrrev_b32_e32 v1, 5, v0
	s_cselect_b32 s3, s11, s3
	s_cselect_b32 s4, s18, s4
	s_wait_alu 0xfffe
	s_add_co_i32 s11, s3, 1
	s_cmp_ge_u32 s4, s10
	v_dual_mov_b32 v71, 0xff7fffff :: v_dual_and_b32 v0, 31, v0
	v_add_nc_u32_e32 v9, s30, v1
	s_cselect_b32 s3, s11, s3
	scratch_store_b32 off, v1, off offset:640 ; 4-byte Folded Spill
	s_wait_alu 0xfffe
	s_xor_b32 s3, s3, s5
	v_lshlrev_b32_e32 v73, 2, v0
	s_wait_alu 0xfffe
	s_sub_co_i32 s4, s3, s5
	v_cmp_gt_i32_e64 s3, s12, v9
	s_wait_kmcnt 0x0
	s_mul_i32 s20, s15, s28
	s_mul_i32 s18, s4, s14
	s_ashr_i32 s21, s20, 31
	s_wait_storecnt_dscnt 0x0
	s_barrier_signal -1
	scratch_store_b32 off, v0, off offset:636 ; 4-byte Folded Spill
	s_barrier_wait -1
	s_wait_storecnt 0x0
	global_inv scope:SCOPE_SE
	s_and_saveexec_b32 s10, s3
	s_cbranch_execz .LBB62_9
; %bb.6:
	scratch_load_b32 v70, off, off offset:636 ; 4-byte Folded Reload
	s_load_b64 s[4:5], s[0:1], 0x20
	s_ashr_i32 s19, s18, 31
	v_dual_mov_b32 v72, v9 :: v_dual_mov_b32 v71, 0xff7fffff
	s_lshl_b64 s[14:15], s[18:19], 2
	s_cmp_neq_f32 s8, 0
	s_mov_b32 s11, s13
	v_mov_b32_e32 v65, 0
	s_cselect_b32 vcc_lo, -1, 0
	s_wait_kmcnt 0x0
	s_add_nc_u64 s[4:5], s[4:5], s[14:15]
	s_mov_b32 s14, 0
	s_sub_co_i32 s15, 1, s25
	s_wait_loadcnt 0x0
	v_lshlrev_b32_e32 v0, 4, v70
	s_delay_alu instid0(VALU_DEP_1)
	v_add_co_u32 v0, s4, s4, v0
	scratch_store_b32 off, v0, off          ; 4-byte Folded Spill
	s_wait_alu 0xf1ff
	v_add_co_ci_u32_e64 v0, null, s5, 0, s4
	s_lshl_b64 s[4:5], s[20:21], 2
	s_wait_alu 0xfffe
	s_add_nc_u64 s[4:5], s[16:17], s[4:5]
	scratch_store_b32 off, v0, off offset:16 ; 4-byte Folded Spill
	ds_load_b128 v[0:3], v65
	s_wait_dscnt 0x0
	scratch_store_b128 off, v[0:3], off offset:32 ; 16-byte Folded Spill
	ds_load_b128 v[0:3], v65 offset:16
	s_wait_dscnt 0x0
	scratch_store_b128 off, v[0:3], off offset:48 ; 16-byte Folded Spill
	ds_load_b128 v[0:3], v65 offset:32
	;; [unrolled: 3-line block ×21, first 2 shown]
	ds_load_b128 v[89:92], v65 offset:352
	ds_load_b128 v[93:96], v65 offset:368
	;; [unrolled: 1-line block ×42, first 2 shown]
	scratch_load_b32 v69, off, off offset:640 ; 4-byte Folded Reload
	s_wait_loadcnt 0x0
	v_lshlrev_b32_e32 v0, 5, v69
	s_delay_alu instid0(VALU_DEP_1) | instskip(SKIP_2) | instid1(VALU_DEP_2)
	v_add3_u32 v189, s26, v0, v70
	v_lshl_or_b32 v0, v69, 7, v73
	v_lshlrev_b32_e32 v69, 2, v72
	v_add_nc_u32_e32 v0, 0x420, v0
	s_wait_alu 0xfffe
	s_delay_alu instid0(VALU_DEP_2)
	v_add_co_u32 v190, s4, s4, v69
	s_wait_alu 0xf1ff
	v_add_co_ci_u32_e64 v191, null, s5, 0, s4
	v_mov_b32_e32 v69, v72
	s_clause 0x1
	scratch_store_b32 off, v73, off offset:376
	scratch_store_b64 off, v[69:70], off offset:288
.LBB62_7:                               ; =>This Inner Loop Header: Depth=1
	global_load_b32 v69, v[190:191], off
	scratch_load_b32 v73, off, off          ; 4-byte Folded Reload
	v_add_nc_u32_e32 v72, 4, v72
	s_delay_alu instid0(VALU_DEP_1) | instskip(SKIP_3) | instid1(VALU_DEP_1)
	v_cmp_le_i32_e64 s5, s12, v72
	s_or_b32 s14, s5, s14
	s_wait_loadcnt 0x1
	v_mad_co_i64_i32 v[69:70], null, v69, s11, 0
	v_lshlrev_b64_e32 v[69:70], 2, v[69:70]
	s_wait_loadcnt 0x0
	s_delay_alu instid0(VALU_DEP_1)
	v_add_co_u32 v69, s4, v73, v69
	scratch_load_b32 v73, off, off offset:16 ; 4-byte Folded Reload
	s_wait_loadcnt 0x0
	s_wait_alu 0xf1ff
	v_add_co_ci_u32_e64 v70, null, v73, v70, s4
	global_load_b128 v[73:76], v[69:70], off offset:512
	scratch_load_b128 v[77:80], off, off offset:48 ; 16-byte Folded Reload
	v_cmp_gt_i32_e64 s4, s25, v189
	s_wait_loadcnt 0x0
	v_dual_mul_f32 v73, v77, v73 :: v_dual_mul_f32 v74, v78, v74
	v_dual_mul_f32 v75, v79, v75 :: v_dual_mul_f32 v76, v80, v76
	global_load_b128 v[77:80], v[69:70], off
	scratch_load_b128 v[81:84], off, off offset:32 ; 16-byte Folded Reload
	s_wait_loadcnt 0x0
	v_dual_fmac_f32 v73, v81, v77 :: v_dual_fmac_f32 v74, v82, v78
	v_dual_fmac_f32 v75, v83, v79 :: v_dual_fmac_f32 v76, v84, v80
	global_load_b128 v[77:80], v[69:70], off offset:1024
	scratch_load_b128 v[81:84], off, off offset:64 ; 16-byte Folded Reload
	s_wait_loadcnt 0x0
	v_dual_fmac_f32 v73, v81, v77 :: v_dual_fmac_f32 v74, v82, v78
	v_dual_fmac_f32 v75, v83, v79 :: v_dual_fmac_f32 v76, v84, v80
	global_load_b128 v[77:80], v[69:70], off offset:1536
	;; [unrolled: 5-line block ×20, first 2 shown]
	s_wait_loadcnt_dscnt 0x2a
	v_dual_fmac_f32 v73, v85, v77 :: v_dual_fmac_f32 v74, v86, v78
	v_dual_fmac_f32 v75, v87, v79 :: v_dual_fmac_f32 v76, v88, v80
	global_load_b128 v[77:80], v[69:70], off offset:11264
	s_wait_loadcnt_dscnt 0x29
	v_dual_fmac_f32 v73, v89, v77 :: v_dual_fmac_f32 v74, v90, v78
	v_dual_fmac_f32 v75, v91, v79 :: v_dual_fmac_f32 v76, v92, v80
	global_load_b128 v[77:80], v[69:70], off offset:11776
	;; [unrolled: 4-line block ×42, first 2 shown]
	v_add_nc_u32_e32 v70, s15, v189
	v_add_nc_u32_e32 v189, 0x80, v189
	s_delay_alu instid0(VALU_DEP_2) | instskip(NEXT) | instid1(VALU_DEP_1)
	v_cvt_f32_i32_e32 v70, v70
	v_mul_f32_e32 v70, s8, v70
	s_wait_loadcnt_dscnt 0x0
	s_delay_alu instid0(VALU_DEP_1) | instskip(SKIP_1) | instid1(VALU_DEP_1)
	v_dual_cndmask_b32 v70, 0, v70 :: v_dual_fmac_f32 v73, v77, v65
	v_dual_fmac_f32 v74, v78, v66 :: v_dual_fmac_f32 v75, v79, v67
	v_dual_fmac_f32 v76, v80, v68 :: v_dual_add_f32 v69, v73, v74
	s_delay_alu instid0(VALU_DEP_1) | instskip(NEXT) | instid1(VALU_DEP_1)
	v_add_f32_e32 v69, v75, v69
	v_add_f32_e32 v69, v76, v69
	s_delay_alu instid0(VALU_DEP_1) | instskip(NEXT) | instid1(VALU_DEP_1)
	v_dual_fmac_f32 v70, s9, v69 :: v_dual_max_num_f32 v69, v71, v71
	v_max_num_f32_e32 v69, v69, v70
	s_wait_alu 0xf1ff
	v_cndmask_b32_e64 v70, 0, v70, s4
	s_delay_alu instid0(VALU_DEP_2)
	v_cndmask_b32_e64 v71, v71, v69, s4
	v_add_co_u32 v190, s4, v190, 16
	ds_store_b32 v0, v70
	s_wait_alu 0xf1ff
	v_add_co_ci_u32_e64 v191, null, 0, v191, s4
	v_add_nc_u32_e32 v0, 0x200, v0
	s_wait_alu 0xfffe
	s_and_not1_b32 exec_lo, exec_lo, s14
	s_cbranch_execnz .LBB62_7
; %bb.8:
	s_or_b32 exec_lo, exec_lo, s14
	s_clause 0x1
	scratch_load_b64 v[9:10], off, off offset:288
	scratch_load_b32 v73, off, off offset:376
.LBB62_9:
	s_or_b32 exec_lo, exec_lo, s10
	v_mbcnt_lo_u32_b32 v0, -1, 0
	s_clause 0x2
	s_load_b128 s[8:11], s[0:1], 0x0
	s_load_b64 s[14:15], s[0:1], 0x10
	s_load_b64 s[22:23], s[0:1], 0x28
	v_max_num_f32_e32 v4, v71, v71
	v_xor_b32_e32 v1, 16, v0
	v_xor_b32_e32 v3, 8, v0
	s_delay_alu instid0(VALU_DEP_2) | instskip(SKIP_2) | instid1(VALU_DEP_3)
	v_cmp_gt_i32_e32 vcc_lo, 32, v1
	s_wait_alu 0xfffd
	v_cndmask_b32_e32 v1, v0, v1, vcc_lo
	v_cmp_gt_i32_e32 vcc_lo, 32, v3
	s_delay_alu instid0(VALU_DEP_2)
	v_lshlrev_b32_e32 v1, 2, v1
	s_wait_alu 0xfffd
	v_cndmask_b32_e32 v3, v0, v3, vcc_lo
	ds_bpermute_b32 v2, v1, v71
	s_wait_dscnt 0x0
	v_dual_max_num_f32 v5, v2, v2 :: v_dual_lshlrev_b32 v2, 2, v3
	s_delay_alu instid0(VALU_DEP_1)
	v_max_num_f32_e32 v3, v4, v5
	v_xor_b32_e32 v5, 4, v0
	ds_bpermute_b32 v4, v2, v3
	v_cmp_gt_i32_e32 vcc_lo, 32, v5
	s_wait_alu 0xfffd
	v_cndmask_b32_e32 v5, v0, v5, vcc_lo
	s_wait_dscnt 0x0
	s_delay_alu instid0(VALU_DEP_1) | instskip(NEXT) | instid1(VALU_DEP_1)
	v_dual_max_num_f32 v4, v4, v4 :: v_dual_lshlrev_b32 v5, 2, v5
	v_max_num_f32_e32 v3, v3, v4
	ds_bpermute_b32 v4, v5, v3
	s_wait_dscnt 0x0
	v_max_num_f32_e32 v4, v4, v4
	scratch_store_b32 off, v5, off offset:648 ; 4-byte Folded Spill
	v_xor_b32_e32 v5, 2, v0
	v_max_num_f32_e32 v3, v3, v4
	s_delay_alu instid0(VALU_DEP_2) | instskip(SKIP_2) | instid1(VALU_DEP_1)
	v_cmp_gt_i32_e32 vcc_lo, 32, v5
	s_wait_alu 0xfffd
	v_cndmask_b32_e32 v5, v0, v5, vcc_lo
	v_lshlrev_b32_e32 v5, 2, v5
	ds_bpermute_b32 v4, v5, v3
	s_wait_dscnt 0x0
	v_max_num_f32_e32 v4, v4, v4
	scratch_store_b32 off, v5, off offset:632 ; 4-byte Folded Spill
	v_xor_b32_e32 v5, 1, v0
	s_delay_alu instid0(VALU_DEP_1)
	v_cmp_gt_i32_e32 vcc_lo, 32, v5
	s_wait_alu 0xfffd
	v_dual_cndmask_b32 v5, v0, v5 :: v_dual_max_num_f32 v0, v3, v4
	scratch_load_b32 v4, off, off offset:636 ; 4-byte Folded Reload
	v_lshlrev_b32_e32 v5, 2, v5
	ds_bpermute_b32 v3, v5, v0
	s_wait_loadcnt 0x0
	v_cmp_eq_u32_e32 vcc_lo, 0, v4
	scratch_load_b32 v4, off, off offset:640 ; 4-byte Folded Reload
	s_wait_loadcnt 0x0
	v_lshlrev_b32_e32 v4, 2, v4
	s_and_saveexec_b32 s0, vcc_lo
	s_cbranch_execz .LBB62_11
; %bb.10:
	s_wait_dscnt 0x0
	v_dual_max_num_f32 v3, v3, v3 :: v_dual_max_num_f32 v0, v0, v0
	s_delay_alu instid0(VALU_DEP_1)
	v_max_num_f32_e32 v0, v0, v3
	ds_store_b32 v4, v0 offset:1024
.LBB62_11:
	s_or_b32 exec_lo, exec_lo, s0
	scratch_load_b32 v0, off, off offset:636 ; 4-byte Folded Reload
	s_wait_storecnt 0x0
	s_wait_loadcnt_dscnt 0x0
	s_barrier_signal -1
	s_barrier_wait -1
	global_inv scope:SCOPE_SE
	v_cmp_gt_u32_e64 s0, 4, v0
	v_mov_b32_e32 v0, 0xff7fffff
	s_and_saveexec_b32 s1, s0
; %bb.12:
	ds_load_b32 v0, v73 offset:1024
; %bb.13:
	s_or_b32 exec_lo, exec_lo, s1
	scratch_load_b32 v3, off, off offset:632 ; 4-byte Folded Reload
	scratch_store_b32 off, v5, off offset:644 ; 4-byte Folded Spill
	s_sub_co_i32 s1, s12, s30
	s_delay_alu instid0(SALU_CYCLE_1) | instskip(NEXT) | instid1(SALU_CYCLE_1)
	s_lshl_b32 s1, s1, 5
	s_add_co_i32 s1, s1, s26
	s_delay_alu instid0(SALU_CYCLE_1) | instskip(NEXT) | instid1(SALU_CYCLE_1)
	s_min_i32 s1, s1, s25
	s_sub_co_i32 s5, s1, s26
	s_wait_loadcnt_dscnt 0x0
	ds_bpermute_b32 v3, v3, v0
	s_wait_dscnt 0x0
	v_dual_max_num_f32 v0, v0, v0 :: v_dual_max_num_f32 v3, v3, v3
	s_delay_alu instid0(VALU_DEP_1) | instskip(SKIP_4) | instid1(VALU_DEP_1)
	v_max_num_f32_e32 v0, v0, v3
	ds_bpermute_b32 v3, v5, v0
	v_mov_b32_e32 v5, 0
	s_wait_dscnt 0x0
	v_max_num_f32_e32 v3, v3, v3
	v_max_num_f32_e32 v0, v0, v3
	scratch_load_b32 v3, off, off offset:628 ; 4-byte Folded Reload
	ds_bpermute_b32 v0, v5, v0
	s_wait_loadcnt 0x0
	s_wait_alu 0xfffe
	v_cmp_gt_i32_e64 s1, s5, v3
	v_lshl_add_u32 v3, v3, 2, 0x420
	s_and_saveexec_b32 s19, s1
	s_cbranch_execz .LBB62_17
; %bb.14:
	scratch_load_b32 v7, off, off offset:628 ; 4-byte Folded Reload
	v_mov_b32_e32 v5, 0
	s_mov_b32 s30, 0
	s_wait_loadcnt 0x0
	v_lshl_add_u32 v6, v7, 2, 0x420
.LBB62_15:                              ; =>This Inner Loop Header: Depth=1
	ds_load_b32 v8, v6
	v_add_nc_u32_e32 v7, 0x80, v7
	s_delay_alu instid0(VALU_DEP_1) | instskip(SKIP_4) | instid1(VALU_DEP_1)
	v_cmp_le_i32_e64 s4, s5, v7
	s_wait_alu 0xfffe
	s_or_b32 s30, s4, s30
	s_wait_dscnt 0x0
	v_sub_f32_e32 v8, v8, v0
	v_mul_f32_e32 v8, 0x3fb8aa3b, v8
	s_delay_alu instid0(VALU_DEP_1)
	v_exp_f32_e32 v8, v8
	ds_store_b32 v6, v8
	v_dual_add_f32 v5, v5, v8 :: v_dual_add_nc_u32 v6, 0x200, v6
	s_wait_alu 0xfffe
	s_and_not1_b32 exec_lo, exec_lo, s30
	s_cbranch_execnz .LBB62_15
; %bb.16:
	s_or_b32 exec_lo, exec_lo, s30
.LBB62_17:
	s_delay_alu instid0(SALU_CYCLE_1)
	s_or_b32 exec_lo, exec_lo, s19
	ds_bpermute_b32 v1, v1, v5
	s_wait_dscnt 0x0
	v_add_f32_e32 v1, v5, v1
	scratch_load_b32 v5, off, off offset:644 ; 4-byte Folded Reload
	ds_bpermute_b32 v2, v2, v1
	s_wait_dscnt 0x0
	v_add_f32_e32 v1, v1, v2
	scratch_load_b32 v2, off, off offset:648 ; 4-byte Folded Reload
	s_wait_loadcnt 0x0
	ds_bpermute_b32 v2, v2, v1
	s_wait_dscnt 0x0
	v_add_f32_e32 v1, v1, v2
	scratch_load_b32 v2, off, off offset:632 ; 4-byte Folded Reload
	s_wait_loadcnt 0x0
	ds_bpermute_b32 v2, v2, v1
	s_wait_dscnt 0x0
	v_add_f32_e32 v1, v1, v2
	ds_bpermute_b32 v2, v5, v1
	s_wait_dscnt 0x0
	v_add_f32_e32 v1, v1, v2
	s_and_saveexec_b32 s4, vcc_lo
; %bb.18:
	ds_store_b32 v4, v1 offset:1040
; %bb.19:
	s_wait_alu 0xfffe
	s_or_b32 exec_lo, exec_lo, s4
	s_wait_storecnt_dscnt 0x0
	s_barrier_signal -1
	s_barrier_wait -1
	global_inv scope:SCOPE_SE
	s_and_saveexec_b32 s4, s0
; %bb.20:
	ds_load_b32 v1, v73 offset:1040
; %bb.21:
	s_wait_alu 0xfffe
	s_or_b32 exec_lo, exec_lo, s4
	scratch_load_b32 v2, off, off offset:632 ; 4-byte Folded Reload
	s_wait_loadcnt_dscnt 0x0
	ds_bpermute_b32 v2, v2, v1
	s_wait_dscnt 0x0
	v_add_f32_e32 v1, v1, v2
	ds_bpermute_b32 v2, v5, v1
	s_wait_dscnt 0x0
	v_dual_add_f32 v1, v1, v2 :: v_dual_mov_b32 v2, 0
	ds_bpermute_b32 v1, v2, v1
	s_and_saveexec_b32 s0, s1
	s_cbranch_execz .LBB62_24
; %bb.22:
	s_wait_dscnt 0x0
	v_add_f32_e32 v2, 0x358637bd, v1
	s_mov_b32 s1, 0
	s_delay_alu instid0(VALU_DEP_1) | instskip(SKIP_1) | instid1(VALU_DEP_2)
	v_div_scale_f32 v4, null, v2, v2, 1.0
	v_div_scale_f32 v7, vcc_lo, 1.0, v2, 1.0
	v_rcp_f32_e32 v5, v4
	s_delay_alu instid0(TRANS32_DEP_1) | instskip(NEXT) | instid1(VALU_DEP_1)
	v_fma_f32 v6, -v4, v5, 1.0
	v_fmac_f32_e32 v5, v6, v5
	s_delay_alu instid0(VALU_DEP_1) | instskip(NEXT) | instid1(VALU_DEP_1)
	v_mul_f32_e32 v6, v7, v5
	v_fma_f32 v8, -v4, v6, v7
	s_delay_alu instid0(VALU_DEP_1) | instskip(NEXT) | instid1(VALU_DEP_1)
	v_fmac_f32_e32 v6, v8, v5
	v_fma_f32 v4, -v4, v6, v7
	s_wait_alu 0xfffd
	s_delay_alu instid0(VALU_DEP_1) | instskip(NEXT) | instid1(VALU_DEP_1)
	v_div_fmas_f32 v4, v4, v5, v6
	v_div_fixup_f32 v2, v4, v2, 1.0
	scratch_load_b32 v4, off, off offset:628 ; 4-byte Folded Reload
.LBB62_23:                              ; =>This Inner Loop Header: Depth=1
	ds_load_b32 v5, v3
	s_wait_loadcnt_dscnt 0x0
	v_dual_mul_f32 v5, v2, v5 :: v_dual_add_nc_u32 v4, 0x80, v4
	s_delay_alu instid0(VALU_DEP_1) | instskip(SKIP_3) | instid1(SALU_CYCLE_1)
	v_cmp_le_i32_e32 vcc_lo, s5, v4
	ds_store_b32 v3, v5
	v_add_nc_u32_e32 v3, 0x200, v3
	s_or_b32 s1, vcc_lo, s1
	s_and_not1_b32 exec_lo, exec_lo, s1
	s_cbranch_execnz .LBB62_23
.LBB62_24:
	s_or_b32 exec_lo, exec_lo, s0
	s_wait_dscnt 0x0
	s_barrier_signal -1
	scratch_load_b32 v2, off, off offset:628 ; 4-byte Folded Reload
	s_mul_i32 s0, s7, s28
	s_barrier_wait -1
	s_mul_i32 s4, s0, s29
	s_mov_b32 s0, exec_lo
	s_wait_loadcnt 0x0
	global_inv scope:SCOPE_SE
	v_cmpx_eq_u32_e32 0, v2
	s_cbranch_execz .LBB62_26
; %bb.25:
	s_wait_alu 0xfffe
	s_ashr_i32 s5, s4, 31
	s_mul_i32 s28, s7, ttmp9
	s_lshl_b32 s1, s24, 2
	s_wait_alu 0xfffe
	s_lshl_b64 s[30:31], s[4:5], 2
	s_ashr_i32 s29, s28, 31
	v_mov_b32_e32 v2, s1
	s_wait_kmcnt 0x0
	s_wait_alu 0xfffe
	s_add_nc_u64 s[10:11], s[10:11], s[30:31]
	s_lshl_b64 s[28:29], s[28:29], 2
	s_add_nc_u64 s[8:9], s[8:9], s[30:31]
	s_wait_alu 0xfffe
	s_add_nc_u64 s[10:11], s[10:11], s[28:29]
	s_add_nc_u64 s[8:9], s[8:9], s[28:29]
	s_clause 0x1
	global_store_b32 v2, v0, s[10:11]
	global_store_b32 v2, v1, s[8:9]
.LBB62_26:
	s_or_b32 exec_lo, exec_lo, s0
	v_dual_mov_b32 v19, 0 :: v_dual_mov_b32 v20, 0
	v_dual_mov_b32 v18, 0 :: v_dual_mov_b32 v17, 0
	;; [unrolled: 1-line block ×27, first 2 shown]
	v_mov_b32_e32 v71, 0
	v_mov_b32_e32 v65, 0
	v_mov_b32_e32 v69, 0
	v_mov_b32_e32 v67, 0
	v_mov_b32_e32 v83, 0
	v_mov_b32_e32 v73, 0
	v_mov_b32_e32 v75, 0
	v_mov_b32_e32 v79, 0
	v_mov_b32_e32 v77, 0
	v_mov_b32_e32 v81, 0
	s_and_saveexec_b32 s1, s3
	s_cbranch_execz .LBB62_158
; %bb.27:
	scratch_load_b32 v0, off, off offset:628 ; 4-byte Folded Reload
	s_ashr_i32 s19, s18, 31
	v_dual_mov_b32 v79, 0 :: v_dual_mov_b32 v70, 0
	v_dual_mov_b32 v75, 0 :: v_dual_mov_b32 v66, 0
	;; [unrolled: 1-line block ×23, first 2 shown]
	v_mov_b32_e32 v103, 0
	v_mov_b32_e32 v35, 0
	;; [unrolled: 1-line block ×12, first 2 shown]
	s_wait_kmcnt 0x0
	s_lshl_b64 s[8:9], s[20:21], 2
	s_lshl_b32 s0, s26, 2
	s_lshl_b64 s[10:11], s[18:19], 2
	s_wait_alu 0xfffe
	s_add_nc_u64 s[8:9], s[16:17], s[8:9]
	s_sub_co_i32 s3, 0x420, s0
	s_mov_b32 s5, s13
	s_add_nc_u64 s[10:11], s[22:23], s[10:11]
	s_add_co_i32 s16, s27, -1
	s_mov_b32 s13, 0
	v_dual_mov_b32 v81, 0 :: v_dual_mov_b32 v80, 0
	v_dual_mov_b32 v76, 0 :: v_dual_mov_b32 v77, 0
	v_mov_b32_e32 v78, 0
	v_mov_b32_e32 v74, 0
	s_wait_loadcnt 0x0
	v_lshlrev_b32_e32 v0, 2, v0
	s_delay_alu instid0(VALU_DEP_1) | instskip(SKIP_4) | instid1(VALU_DEP_2)
	v_and_b32_e32 v1, 28, v0
	v_or_b32_e32 v2, 0xf80, v0
	scratch_store_b32 off, v1, off offset:612 ; 4-byte Folded Spill
	v_and_b32_e32 v1, 0x7c, v0
	v_or_b32_e32 v0, 0x1f80, v0
	v_lshlrev_b32_e32 v1, 2, v1
	s_delay_alu instid0(VALU_DEP_2)
	v_lshlrev_b32_e32 v0, 2, v0
	s_clause 0x1
	scratch_store_b32 off, v1, off offset:616
	scratch_store_b32 off, v0, off offset:624
	v_lshlrev_b32_e32 v1, 2, v2
	scratch_store_b32 off, v1, off offset:620 ; 4-byte Folded Spill
	s_branch .LBB62_29
.LBB62_28:                              ;   in Loop: Header=BB62_29 Depth=1
	s_wait_alu 0xfffe
	s_or_b32 exec_lo, exec_lo, s0
	v_mul_f32_e32 v25, v1, v25
	v_mul_f32_e32 v5, v1, v5
	;; [unrolled: 1-line block ×5, first 2 shown]
	v_fmac_f32_e32 v25, v2, v26
	v_dual_fmac_f32 v5, v2, v6 :: v_dual_mul_f32 v6, v1, v185
	v_mul_f32_e32 v69, v1, v69
	v_fmac_f32_e32 v9, v2, v10
	v_fmac_f32_e32 v13, v2, v14
	s_delay_alu instid0(VALU_DEP_4) | instskip(NEXT) | instid1(VALU_DEP_4)
	v_dual_fmac_f32 v5, v3, v7 :: v_dual_fmac_f32 v6, v2, v186
	v_dual_mul_f32 v0, v1, v73 :: v_dual_fmac_f32 v69, v2, v70
	s_delay_alu instid0(VALU_DEP_4) | instskip(NEXT) | instid1(VALU_DEP_3)
	v_fmac_f32_e32 v9, v3, v11
	v_fmac_f32_e32 v5, v4, v8
	s_delay_alu instid0(VALU_DEP_3) | instskip(NEXT) | instid1(VALU_DEP_4)
	v_dual_fmac_f32 v13, v3, v15 :: v_dual_fmac_f32 v0, v2, v74
	v_fmac_f32_e32 v69, v3, v71
	s_delay_alu instid0(VALU_DEP_4) | instskip(SKIP_1) | instid1(VALU_DEP_4)
	v_fmac_f32_e32 v9, v4, v12
	v_fmac_f32_e32 v17, v2, v18
	v_dual_fmac_f32 v13, v4, v16 :: v_dual_fmac_f32 v0, v3, v75
	s_delay_alu instid0(VALU_DEP_4) | instskip(SKIP_4) | instid1(VALU_DEP_3)
	v_fmac_f32_e32 v69, v4, v72
	scratch_load_b128 v[70:73], off, off offset:272 th:TH_LOAD_LU ; 16-byte Folded Reload
	v_mul_f32_e32 v65, v1, v65
	v_dual_fmac_f32 v17, v3, v19 :: v_dual_fmac_f32 v0, v4, v76
	v_dual_mul_f32 v21, v1, v21 :: v_dual_fmac_f32 v6, v3, v187
	v_fmac_f32_e32 v65, v2, v66
	s_delay_alu instid0(VALU_DEP_3) | instskip(NEXT) | instid1(VALU_DEP_3)
	v_dual_fmac_f32 v17, v4, v20 :: v_dual_mul_f32 v8, v1, v173
	v_dual_mul_f32 v61, v1, v61 :: v_dual_fmac_f32 v6, v4, v188
	s_delay_alu instid0(VALU_DEP_3) | instskip(SKIP_1) | instid1(VALU_DEP_4)
	v_fmac_f32_e32 v65, v3, v67
	v_fmac_f32_e32 v21, v2, v22
	;; [unrolled: 1-line block ×3, first 2 shown]
	s_delay_alu instid0(VALU_DEP_4) | instskip(NEXT) | instid1(VALU_DEP_4)
	v_dual_fmac_f32 v61, v2, v62 :: v_dual_mul_f32 v10, v1, v169
	v_fmac_f32_e32 v65, v4, v68
	s_delay_alu instid0(VALU_DEP_3) | instskip(NEXT) | instid1(VALU_DEP_3)
	v_dual_mul_f32 v57, v1, v57 :: v_dual_fmac_f32 v8, v3, v175
	v_fmac_f32_e32 v61, v3, v63
	s_delay_alu instid0(VALU_DEP_4) | instskip(NEXT) | instid1(VALU_DEP_3)
	v_dual_fmac_f32 v21, v3, v23 :: v_dual_fmac_f32 v10, v2, v170
	v_dual_fmac_f32 v57, v2, v58 :: v_dual_fmac_f32 v8, v4, v176
	s_delay_alu instid0(VALU_DEP_3) | instskip(NEXT) | instid1(VALU_DEP_3)
	v_fmac_f32_e32 v61, v4, v64
	v_dual_fmac_f32 v21, v4, v24 :: v_dual_fmac_f32 v10, v3, v171
	s_delay_alu instid0(VALU_DEP_3) | instskip(SKIP_2) | instid1(VALU_DEP_4)
	v_dual_fmac_f32 v57, v3, v59 :: v_dual_mul_f32 v12, v1, v161
	v_mul_f32_e32 v53, v1, v53
	v_mul_f32_e32 v14, v1, v157
	v_fmac_f32_e32 v10, v4, v172
	s_delay_alu instid0(VALU_DEP_4) | instskip(NEXT) | instid1(VALU_DEP_4)
	v_dual_fmac_f32 v57, v4, v60 :: v_dual_fmac_f32 v12, v2, v162
	v_fmac_f32_e32 v53, v2, v54
	s_delay_alu instid0(VALU_DEP_4) | instskip(SKIP_1) | instid1(VALU_DEP_4)
	v_dual_mul_f32 v49, v1, v49 :: v_dual_fmac_f32 v14, v2, v158
	v_mul_f32_e32 v16, v1, v149
	v_fmac_f32_e32 v12, v3, v163
	s_delay_alu instid0(VALU_DEP_4) | instskip(NEXT) | instid1(VALU_DEP_4)
	v_fmac_f32_e32 v53, v3, v55
	v_dual_fmac_f32 v49, v2, v50 :: v_dual_fmac_f32 v14, v3, v159
	s_delay_alu instid0(VALU_DEP_4) | instskip(NEXT) | instid1(VALU_DEP_4)
	v_dual_mul_f32 v45, v1, v45 :: v_dual_fmac_f32 v16, v2, v150
	v_fmac_f32_e32 v12, v4, v164
	s_delay_alu instid0(VALU_DEP_4) | instskip(NEXT) | instid1(VALU_DEP_4)
	v_fmac_f32_e32 v53, v4, v56
	v_dual_fmac_f32 v49, v3, v51 :: v_dual_fmac_f32 v14, v4, v160
	s_delay_alu instid0(VALU_DEP_4) | instskip(NEXT) | instid1(VALU_DEP_2)
	v_dual_fmac_f32 v45, v2, v46 :: v_dual_fmac_f32 v16, v3, v151
	v_dual_mul_f32 v18, v1, v145 :: v_dual_fmac_f32 v49, v4, v52
	v_mul_f32_e32 v41, v1, v41
	s_delay_alu instid0(VALU_DEP_3) | instskip(NEXT) | instid1(VALU_DEP_3)
	v_dual_fmac_f32 v45, v3, v47 :: v_dual_fmac_f32 v16, v4, v152
	v_fmac_f32_e32 v18, v2, v146
	s_delay_alu instid0(VALU_DEP_3) | instskip(NEXT) | instid1(VALU_DEP_3)
	v_dual_mul_f32 v20, v1, v137 :: v_dual_fmac_f32 v41, v2, v42
	v_fmac_f32_e32 v45, v4, v48
	s_delay_alu instid0(VALU_DEP_3) | instskip(NEXT) | instid1(VALU_DEP_3)
	v_dual_mul_f32 v37, v1, v37 :: v_dual_fmac_f32 v18, v3, v147
	v_dual_fmac_f32 v20, v2, v138 :: v_dual_fmac_f32 v41, v3, v43
	s_delay_alu instid0(VALU_DEP_2) | instskip(NEXT) | instid1(VALU_DEP_3)
	v_dual_mul_f32 v22, v1, v133 :: v_dual_fmac_f32 v37, v2, v38
	v_fmac_f32_e32 v18, v4, v148
	s_delay_alu instid0(VALU_DEP_3) | instskip(NEXT) | instid1(VALU_DEP_3)
	v_dual_fmac_f32 v20, v3, v139 :: v_dual_fmac_f32 v41, v4, v44
	v_dual_mul_f32 v33, v1, v33 :: v_dual_fmac_f32 v22, v2, v134
	s_delay_alu instid0(VALU_DEP_2) | instskip(NEXT) | instid1(VALU_DEP_2)
	v_dual_fmac_f32 v37, v3, v39 :: v_dual_fmac_f32 v20, v4, v140
	v_dual_mul_f32 v38, v1, v85 :: v_dual_fmac_f32 v33, v2, v34
	s_delay_alu instid0(VALU_DEP_2) | instskip(NEXT) | instid1(VALU_DEP_2)
	v_dual_fmac_f32 v22, v3, v135 :: v_dual_fmac_f32 v37, v4, v40
	v_dual_mul_f32 v11, v1, v165 :: v_dual_fmac_f32 v38, v2, v86
	s_delay_alu instid0(VALU_DEP_2) | instskip(SKIP_2) | instid1(VALU_DEP_3)
	v_dual_fmac_f32 v33, v3, v35 :: v_dual_fmac_f32 v22, v4, v136
	v_mul_f32_e32 v24, v1, v125
	v_mul_f32_e32 v29, v1, v29
	v_dual_mul_f32 v34, v1, v97 :: v_dual_fmac_f32 v33, v4, v36
	v_mul_f32_e32 v36, v1, v89
	scratch_load_b32 v89, off, off offset:448 th:TH_LOAD_LU ; 4-byte Folded Reload
	v_dual_mul_f32 v39, v1, v81 :: v_dual_fmac_f32 v34, v2, v98
	v_fmac_f32_e32 v24, v2, v126
	v_fmac_f32_e32 v36, v2, v90
	;; [unrolled: 1-line block ×3, first 2 shown]
	s_delay_alu instid0(VALU_DEP_4) | instskip(SKIP_1) | instid1(VALU_DEP_4)
	v_dual_fmac_f32 v39, v2, v82 :: v_dual_fmac_f32 v34, v3, v99
	v_mul_f32_e32 v30, v1, v109
	v_dual_fmac_f32 v36, v3, v91 :: v_dual_mul_f32 v7, v1, v177
	v_fmac_f32_e32 v24, v3, v127
	s_delay_alu instid0(VALU_DEP_4) | instskip(NEXT) | instid1(VALU_DEP_4)
	v_dual_fmac_f32 v29, v3, v31 :: v_dual_fmac_f32 v34, v4, v100
	v_dual_fmac_f32 v39, v3, v83 :: v_dual_fmac_f32 v30, v2, v110
	s_delay_alu instid0(VALU_DEP_4)
	v_dual_fmac_f32 v36, v4, v92 :: v_dual_fmac_f32 v7, v2, v178
	v_fmac_f32_e32 v38, v3, v87
	v_fmac_f32_e32 v24, v4, v128
	v_dual_fmac_f32 v29, v4, v32 :: v_dual_mul_f32 v26, v1, v121
	v_dual_mul_f32 v32, v1, v101 :: v_dual_fmac_f32 v39, v4, v84
	v_fmac_f32_e32 v30, v3, v111
	v_dual_fmac_f32 v7, v3, v179 :: v_dual_fmac_f32 v38, v4, v88
	s_delay_alu instid0(VALU_DEP_3) | instskip(SKIP_1) | instid1(VALU_DEP_4)
	v_fmac_f32_e32 v32, v2, v102
	v_fmac_f32_e32 v26, v2, v122
	;; [unrolled: 1-line block ×3, first 2 shown]
	s_delay_alu instid0(VALU_DEP_4) | instskip(NEXT) | instid1(VALU_DEP_4)
	v_dual_fmac_f32 v7, v4, v180 :: v_dual_mul_f32 v40, v1, v77
	v_dual_mul_f32 v15, v1, v153 :: v_dual_fmac_f32 v32, v3, v103
	s_delay_alu instid0(VALU_DEP_4) | instskip(NEXT) | instid1(VALU_DEP_3)
	v_fmac_f32_e32 v26, v3, v123
	v_dual_fmac_f32 v25, v3, v27 :: v_dual_fmac_f32 v40, v2, v78
	s_delay_alu instid0(VALU_DEP_3) | instskip(NEXT) | instid1(VALU_DEP_3)
	v_dual_fmac_f32 v11, v2, v166 :: v_dual_fmac_f32 v32, v4, v104
	v_fmac_f32_e32 v26, v4, v124
	s_delay_alu instid0(VALU_DEP_3) | instskip(NEXT) | instid1(VALU_DEP_4)
	v_dual_fmac_f32 v25, v4, v28 :: v_dual_mul_f32 v28, v1, v113
	v_fmac_f32_e32 v40, v3, v79
	s_delay_alu instid0(VALU_DEP_4)
	v_fmac_f32_e32 v11, v3, v167
	s_clause 0x1
	scratch_load_b32 v87, off, off offset:444 th:TH_LOAD_LU
	scratch_load_b32 v103, off, off offset:520 th:TH_LOAD_LU
	v_fmac_f32_e32 v28, v2, v114
	v_fmac_f32_e32 v40, v4, v80
	;; [unrolled: 1-line block ×3, first 2 shown]
	s_clause 0x1
	scratch_load_b32 v86, off, off offset:440 th:TH_LOAD_LU
	scratch_load_b32 v102, off, off offset:516 th:TH_LOAD_LU
	v_fmac_f32_e32 v28, v3, v115
	s_clause 0x3
	scratch_load_b32 v85, off, off offset:432 th:TH_LOAD_LU
	scratch_load_b32 v100, off, off offset:508 th:TH_LOAD_LU
	;; [unrolled: 1-line block ×4, first 2 shown]
	v_fmac_f32_e32 v28, v4, v116
	s_clause 0x10
	scratch_load_b32 v68, off, off offset:408 th:TH_LOAD_LU
	scratch_load_b32 v97, off, off offset:488 th:TH_LOAD_LU
	;; [unrolled: 1-line block ×17, first 2 shown]
	s_wait_loadcnt 0x1a
	v_mul_f32_e32 v42, v1, v70
	s_delay_alu instid0(VALU_DEP_1) | instskip(NEXT) | instid1(VALU_DEP_1)
	v_dual_mul_f32 v19, v1, v141 :: v_dual_fmac_f32 v42, v2, v71
	v_dual_fmac_f32 v15, v2, v154 :: v_dual_fmac_f32 v42, v3, v72
	s_delay_alu instid0(VALU_DEP_1)
	v_dual_fmac_f32 v15, v3, v155 :: v_dual_fmac_f32 v42, v4, v73
	scratch_load_b128 v[70:73], off, off offset:256 th:TH_LOAD_LU ; 16-byte Folded Reload
	s_wait_loadcnt 0x1a
	v_add_f32_e32 v89, v89, v11
	s_wait_loadcnt 0x17
	v_dual_add_f32 v87, v87, v10 :: v_dual_add_f32 v86, v86, v8
	s_wait_loadcnt 0x16
	v_add_f32_e32 v102, v102, v34
	scratch_load_b32 v34, off, off offset:528 th:TH_LOAD_LU ; 4-byte Folded Reload
	s_wait_loadcnt 0x14
	v_dual_add_f32 v85, v85, v6 :: v_dual_add_f32 v84, v84, v5
	s_wait_loadcnt 0x12
	v_dual_add_f32 v99, v99, v30 :: v_dual_add_f32 v68, v68, v25
	scratch_load_b32 v25, off, off offset:572 th:TH_LOAD_LU ; 4-byte Folded Reload
	s_wait_loadcnt 0x12
	v_add_f32_e32 v97, v97, v24
	scratch_load_b32 v24, off, off offset:568 th:TH_LOAD_LU ; 4-byte Folded Reload
	s_wait_loadcnt 0x7
	v_add_f32_e32 v101, v101, v32
	s_wait_loadcnt 0x3
	v_mul_f32_e32 v43, v1, v70
	s_delay_alu instid0(VALU_DEP_1) | instskip(NEXT) | instid1(VALU_DEP_1)
	v_fmac_f32_e32 v43, v2, v71
	v_fmac_f32_e32 v43, v3, v72
	s_delay_alu instid0(VALU_DEP_1)
	v_fmac_f32_e32 v43, v4, v73
	scratch_load_b128 v[70:73], off, off offset:240 th:TH_LOAD_LU ; 16-byte Folded Reload
	s_wait_loadcnt 0x3
	v_dual_fmac_f32 v15, v4, v156 :: v_dual_add_f32 v34, v34, v38
	scratch_load_b32 v38, off, off offset:544 th:TH_LOAD_LU ; 4-byte Folded Reload
	s_wait_loadcnt 0x1
	v_mul_f32_e32 v44, v1, v70
	s_delay_alu instid0(VALU_DEP_1) | instskip(NEXT) | instid1(VALU_DEP_1)
	v_dual_mul_f32 v23, v1, v129 :: v_dual_fmac_f32 v44, v2, v71
	v_dual_fmac_f32 v19, v2, v142 :: v_dual_fmac_f32 v44, v3, v72
	s_delay_alu instid0(VALU_DEP_1) | instskip(SKIP_3) | instid1(VALU_DEP_1)
	v_dual_fmac_f32 v19, v3, v143 :: v_dual_fmac_f32 v44, v4, v73
	scratch_load_b128 v[70:73], off, off offset:224 th:TH_LOAD_LU ; 16-byte Folded Reload
	s_wait_loadcnt 0x0
	v_dual_fmac_f32 v19, v4, v144 :: v_dual_mul_f32 v46, v1, v70
	v_dual_mul_f32 v27, v1, v117 :: v_dual_fmac_f32 v46, v2, v71
	s_delay_alu instid0(VALU_DEP_1) | instskip(NEXT) | instid1(VALU_DEP_1)
	v_dual_fmac_f32 v23, v2, v130 :: v_dual_fmac_f32 v46, v3, v72
	v_dual_fmac_f32 v23, v3, v131 :: v_dual_fmac_f32 v46, v4, v73
	scratch_load_b128 v[70:73], off, off offset:208 th:TH_LOAD_LU ; 16-byte Folded Reload
	s_wait_loadcnt 0x0
	v_mul_f32_e32 v47, v1, v70
	s_delay_alu instid0(VALU_DEP_1) | instskip(NEXT) | instid1(VALU_DEP_1)
	v_fmac_f32_e32 v47, v2, v71
	v_fmac_f32_e32 v47, v3, v72
	s_delay_alu instid0(VALU_DEP_1) | instskip(SKIP_3) | instid1(VALU_DEP_1)
	v_fmac_f32_e32 v47, v4, v73
	scratch_load_b128 v[70:73], off, off offset:192 th:TH_LOAD_LU ; 16-byte Folded Reload
	s_wait_loadcnt 0x0
	v_dual_fmac_f32 v23, v4, v132 :: v_dual_mul_f32 v48, v1, v70
	v_dual_mul_f32 v31, v1, v105 :: v_dual_fmac_f32 v48, v2, v71
	s_delay_alu instid0(VALU_DEP_1) | instskip(NEXT) | instid1(VALU_DEP_1)
	v_dual_fmac_f32 v27, v2, v118 :: v_dual_fmac_f32 v48, v3, v72
	v_dual_fmac_f32 v27, v3, v119 :: v_dual_fmac_f32 v48, v4, v73
	scratch_load_b128 v[70:73], off, off offset:176 th:TH_LOAD_LU ; 16-byte Folded Reload
	v_mul_f32_e32 v35, v1, v93
	scratch_load_b32 v93, off, off offset:468 th:TH_LOAD_LU ; 4-byte Folded Reload
	v_fmac_f32_e32 v35, v2, v94
	scratch_load_b32 v94, off, off offset:472 th:TH_LOAD_LU ; 4-byte Folded Reload
	v_fmac_f32_e32 v35, v3, v95
	scratch_load_b32 v95, off, off offset:476 th:TH_LOAD_LU ; 4-byte Folded Reload
	v_add_f32_e32 v67, v67, v33
	scratch_load_b32 v33, off, off offset:532 th:TH_LOAD_LU ; 4-byte Folded Reload
	v_add_f32_e32 v75, v75, v53
	v_fmac_f32_e32 v35, v4, v96
	scratch_load_b32 v96, off, off offset:480 th:TH_LOAD_LU ; 4-byte Folded Reload
	v_fmac_f32_e32 v27, v4, v120
	v_add_f32_e32 v83, v83, v41
	s_clause 0x2
	scratch_load_b32 v41, off, off offset:496 th:TH_LOAD_LU
	scratch_load_b32 v53, off, off offset:460 th:TH_LOAD_LU
	;; [unrolled: 1-line block ×3, first 2 shown]
	v_add_f32_e32 v92, v92, v16
	v_add_f32_e32 v66, v66, v29
	s_clause 0x1
	scratch_load_b32 v29, off, off offset:588 th:TH_LOAD_LU
	scratch_load_b32 v16, off, off offset:592 th:TH_LOAD_LU
	s_wait_loadcnt 0xa
	v_mul_f32_e32 v50, v1, v70
	s_delay_alu instid0(VALU_DEP_1)
	v_fmac_f32_e32 v50, v2, v71
	v_fmac_f32_e32 v31, v2, v106
	s_wait_loadcnt 0x8
	v_add_f32_e32 v94, v94, v19
	scratch_load_b32 v19, off, off offset:604 th:TH_LOAD_LU ; 4-byte Folded Reload
	v_fmac_f32_e32 v50, v3, v72
	s_delay_alu instid0(VALU_DEP_1)
	v_dual_fmac_f32 v31, v3, v107 :: v_dual_fmac_f32 v50, v4, v73
	scratch_load_b128 v[70:73], off, off offset:160 th:TH_LOAD_LU ; 16-byte Folded Reload
	s_wait_loadcnt 0x7
	v_add_f32_e32 v96, v96, v22
	scratch_load_b32 v22, off, off offset:560 th:TH_LOAD_LU ; 4-byte Folded Reload
	v_add_f32_e32 v74, v74, v49
	scratch_load_b32 v49, off, off offset:484 th:TH_LOAD_LU ; 4-byte Folded Reload
	s_wait_loadcnt 0x8
	v_add_f32_e32 v41, v41, v27
	scratch_load_b32 v27, off, off offset:580 th:TH_LOAD_LU ; 4-byte Folded Reload
	s_wait_loadcnt 0x2
	v_dual_mul_f32 v51, v1, v70 :: v_dual_add_f32 v22, v22, v48
	s_wait_loadcnt 0x1
	v_add_f32_e32 v49, v49, v23
	s_delay_alu instid0(VALU_DEP_2) | instskip(SKIP_2) | instid1(VALU_DEP_1)
	v_fmac_f32_e32 v51, v2, v71
	scratch_load_b32 v23, off, off offset:564 th:TH_LOAD_LU ; 4-byte Folded Reload
	v_fmac_f32_e32 v51, v3, v72
	v_fmac_f32_e32 v51, v4, v73
	scratch_load_b128 v[70:73], off, off offset:144 th:TH_LOAD_LU ; 16-byte Folded Reload
	s_wait_loadcnt 0x0
	v_dual_fmac_f32 v31, v4, v108 :: v_dual_mul_f32 v52, v1, v70
	s_delay_alu instid0(VALU_DEP_1)
	v_dual_add_f32 v79, v79, v57 :: v_dual_add_f32 v100, v100, v31
	scratch_load_b32 v57, off, off offset:436 th:TH_LOAD_LU ; 4-byte Folded Reload
	v_add_f32_e32 v76, v76, v65
	v_fmac_f32_e32 v52, v2, v71
	v_add_f32_e32 v103, v103, v35
	scratch_load_b32 v35, off, off offset:524 th:TH_LOAD_LU ; 4-byte Folded Reload
	v_add_f32_e32 v78, v78, v61
	scratch_load_b32 v61, off, off offset:424 th:TH_LOAD_LU ; 4-byte Folded Reload
	v_fmac_f32_e32 v52, v3, v72
	scratch_load_b32 v65, off, off offset:416 th:TH_LOAD_LU ; 4-byte Folded Reload
	v_add_f32_e32 v77, v77, v69
	scratch_load_b32 v69, off, off offset:412 th:TH_LOAD_LU ; 4-byte Folded Reload
	v_add_f32_e32 v80, v80, v0
	v_fmac_f32_e32 v52, v4, v73
	scratch_load_b128 v[70:73], off, off offset:128 th:TH_LOAD_LU ; 16-byte Folded Reload
	v_add_f32_e32 v90, v90, v12
	v_add_f32_e32 v25, v25, v52
	s_wait_loadcnt 0x5
	v_add_f32_e32 v57, v57, v7
	s_wait_loadcnt 0x4
	v_add_f32_e32 v35, v35, v36
	scratch_load_b32 v36, off, off offset:536 th:TH_LOAD_LU ; 4-byte Folded Reload
	s_wait_loadcnt 0x1
	v_mul_f32_e32 v54, v1, v70
	s_delay_alu instid0(VALU_DEP_1) | instskip(NEXT) | instid1(VALU_DEP_1)
	v_fmac_f32_e32 v54, v2, v71
	v_fmac_f32_e32 v54, v3, v72
	s_delay_alu instid0(VALU_DEP_1) | instskip(SKIP_3) | instid1(VALU_DEP_1)
	v_fmac_f32_e32 v54, v4, v73
	scratch_load_b128 v[70:73], off, off offset:112 th:TH_LOAD_LU ; 16-byte Folded Reload
	s_wait_loadcnt 0x0
	v_mul_f32_e32 v55, v1, v70
	v_fmac_f32_e32 v55, v2, v71
	s_delay_alu instid0(VALU_DEP_1) | instskip(NEXT) | instid1(VALU_DEP_1)
	v_fmac_f32_e32 v55, v3, v72
	v_fmac_f32_e32 v55, v4, v73
	scratch_load_b128 v[70:73], off, off offset:96 th:TH_LOAD_LU ; 16-byte Folded Reload
	s_wait_loadcnt 0x0
	v_mul_f32_e32 v56, v1, v70
	v_add_f32_e32 v33, v33, v39
	scratch_load_b32 v39, off, off offset:548 th:TH_LOAD_LU ; 4-byte Folded Reload
	v_fmac_f32_e32 v56, v2, v71
	s_delay_alu instid0(VALU_DEP_1) | instskip(NEXT) | instid1(VALU_DEP_1)
	v_fmac_f32_e32 v56, v3, v72
	v_fmac_f32_e32 v56, v4, v73
	scratch_load_b128 v[70:73], off, off offset:80 th:TH_LOAD_LU ; 16-byte Folded Reload
	s_wait_loadcnt 0x0
	v_mul_f32_e32 v58, v1, v70
	v_add_f32_e32 v69, v69, v21
	scratch_load_b32 v21, off, off offset:556 th:TH_LOAD_LU ; 4-byte Folded Reload
	v_add_f32_e32 v98, v98, v26
	v_add_f32_e32 v36, v36, v40
	v_fmac_f32_e32 v58, v2, v71
	s_clause 0x1
	scratch_load_b32 v40, off, off offset:552 th:TH_LOAD_LU
	scratch_load_b32 v26, off, off offset:576 th:TH_LOAD_LU
	v_add_f32_e32 v65, v65, v17
	scratch_load_b32 v17, off, off offset:596 th:TH_LOAD_LU ; 4-byte Folded Reload
	v_dual_fmac_f32 v58, v3, v72 :: v_dual_add_f32 v53, v53, v15
	v_dual_add_f32 v38, v38, v43 :: v_dual_add_f32 v39, v39, v44
	s_delay_alu instid0(VALU_DEP_2)
	v_dual_add_f32 v23, v23, v50 :: v_dual_fmac_f32 v58, v4, v73
	scratch_load_b128 v[70:73], off, off offset:64 th:TH_LOAD_LU ; 16-byte Folded Reload
	v_add_f32_e32 v29, v29, v58
	s_wait_loadcnt 0x3
	v_add_f32_e32 v40, v40, v46
	s_wait_loadcnt 0x2
	;; [unrolled: 2-line block ×3, first 2 shown]
	v_mul_f32_e32 v59, v1, v70
	s_delay_alu instid0(VALU_DEP_1) | instskip(NEXT) | instid1(VALU_DEP_1)
	v_fmac_f32_e32 v59, v2, v71
	v_fmac_f32_e32 v59, v3, v72
	s_delay_alu instid0(VALU_DEP_1)
	v_fmac_f32_e32 v59, v4, v73
	scratch_load_b128 v[70:73], off, off offset:48 th:TH_LOAD_LU ; 16-byte Folded Reload
	v_add_f32_e32 v93, v93, v18
	scratch_load_b32 v18, off, off offset:600 th:TH_LOAD_LU ; 4-byte Folded Reload
	v_add_f32_e32 v16, v16, v59
	s_wait_loadcnt 0x1
	v_mul_f32_e32 v60, v1, v70
	v_add_f32_e32 v21, v21, v47
	s_delay_alu instid0(VALU_DEP_2) | instskip(NEXT) | instid1(VALU_DEP_1)
	v_fmac_f32_e32 v60, v2, v71
	v_fmac_f32_e32 v60, v3, v72
	s_delay_alu instid0(VALU_DEP_1)
	v_fmac_f32_e32 v60, v4, v73
	scratch_load_b128 v[70:73], off, off offset:32 th:TH_LOAD_LU ; 16-byte Folded Reload
	v_add_f32_e32 v17, v17, v60
	s_wait_loadcnt 0x0
	v_mul_f32_e32 v62, v1, v70
	v_dual_add_f32 v61, v61, v9 :: v_dual_add_f32 v24, v24, v51
	scratch_load_b64 v[9:10], off, off offset:288 th:TH_LOAD_LU ; 8-byte Folded Reload
	v_fmac_f32_e32 v62, v2, v71
	s_delay_alu instid0(VALU_DEP_1) | instskip(NEXT) | instid1(VALU_DEP_1)
	v_fmac_f32_e32 v62, v3, v72
	v_fmac_f32_e32 v62, v4, v73
	scratch_load_b128 v[70:73], off, off offset:16 th:TH_LOAD_LU ; 16-byte Folded Reload
	v_add_f32_e32 v95, v95, v20
	scratch_load_b32 v20, off, off offset:608 th:TH_LOAD_LU ; 4-byte Folded Reload
	s_wait_loadcnt 0x2
	v_dual_add_f32 v18, v18, v62 :: v_dual_add_nc_u32 v9, 4, v9
	s_delay_alu instid0(VALU_DEP_1) | instskip(SKIP_3) | instid1(VALU_DEP_1)
	v_cmp_le_i32_e32 vcc_lo, s12, v9
	s_or_b32 s13, vcc_lo, s13
	s_wait_loadcnt 0x1
	v_mul_f32_e32 v63, v1, v70
	v_fmac_f32_e32 v63, v2, v71
	s_delay_alu instid0(VALU_DEP_1) | instskip(NEXT) | instid1(VALU_DEP_1)
	v_fmac_f32_e32 v63, v3, v72
	v_fmac_f32_e32 v63, v4, v73
	scratch_load_b128 v[70:73], off, off th:TH_LOAD_LU ; 16-byte Folded Reload
	s_wait_loadcnt 0x1
	v_add_f32_e32 v20, v20, v63
	s_wait_loadcnt 0x0
	v_mul_f32_e32 v64, v1, v70
	scratch_load_b32 v70, off, off offset:396 th:TH_LOAD_LU ; 4-byte Folded Reload
	v_mul_f32_e32 v1, v1, v181
	v_add_f32_e32 v27, v27, v55
	v_fmac_f32_e32 v64, v2, v71
	scratch_load_b32 v71, off, off offset:420 th:TH_LOAD_LU ; 4-byte Folded Reload
	v_dual_fmac_f32 v1, v2, v182 :: v_dual_fmac_f32 v64, v3, v72
	s_delay_alu instid0(VALU_DEP_1) | instskip(SKIP_3) | instid1(VALU_DEP_2)
	v_dual_fmac_f32 v1, v3, v183 :: v_dual_fmac_f32 v64, v4, v73
	scratch_load_b32 v73, off, off offset:388 th:TH_LOAD_LU ; 4-byte Folded Reload
	v_fmac_f32_e32 v1, v4, v184
	v_add_f32_e32 v19, v19, v64
	v_add_f32_e32 v81, v81, v1
	s_wait_loadcnt 0x2
	v_add_f32_e32 v70, v70, v37
	scratch_load_b32 v37, off, off offset:540 th:TH_LOAD_LU ; 4-byte Folded Reload
	s_wait_loadcnt 0x2
	v_add_f32_e32 v71, v71, v13
	s_wait_loadcnt 0x1
	v_add_f32_e32 v73, v73, v45
	scratch_load_b32 v45, off, off offset:500 th:TH_LOAD_LU ; 4-byte Folded Reload
	s_wait_loadcnt 0x1
	;; [unrolled: 5-line block ×3, first 2 shown]
	v_dual_add_f32 v91, v91, v14 :: v_dual_add_f32 v28, v28, v56
	s_wait_alu 0xfffe
	s_and_not1_b32 exec_lo, exec_lo, s13
	s_cbranch_execz .LBB62_157
.LBB62_29:                              ; =>This Inner Loop Header: Depth=1
	v_ashrrev_i32_e32 v10, 31, v9
	s_clause 0x1f
	scratch_store_b32 off, v20, off offset:608
	scratch_store_b32 off, v19, off offset:604
	;; [unrolled: 1-line block ×32, first 2 shown]
	s_clause 0x1f
	scratch_store_b32 off, v96, off offset:480
	scratch_store_b32 off, v95, off offset:476
	;; [unrolled: 1-line block ×32, first 2 shown]
	v_lshlrev_b64_e32 v[0:1], 2, v[9:10]
	s_wait_alu 0xfffe
	s_delay_alu instid0(VALU_DEP_1) | instskip(SKIP_1) | instid1(VALU_DEP_2)
	v_add_co_u32 v0, vcc_lo, s8, v0
	s_wait_alu 0xfffd
	v_add_co_ci_u32_e64 v1, null, s9, v1, vcc_lo
	global_load_b32 v0, v[0:1], off
	s_wait_loadcnt 0x0
	v_mad_co_i64_i32 v[0:1], null, v0, s5, 0
	s_delay_alu instid0(VALU_DEP_1) | instskip(NEXT) | instid1(VALU_DEP_1)
	v_lshlrev_b64_e32 v[0:1], 2, v[0:1]
	v_add_co_u32 v181, vcc_lo, s10, v0
	scratch_load_b32 v0, off, off offset:616 ; 4-byte Folded Reload
	s_wait_alu 0xfffd
	v_add_co_ci_u32_e64 v182, null, s11, v1, vcc_lo
	s_wait_loadcnt 0x0
	v_add_co_u32 v73, vcc_lo, v181, v0
	s_wait_alu 0xfffd
	s_delay_alu instid0(VALU_DEP_2)
	v_add_co_ci_u32_e64 v74, null, 0, v182, vcc_lo
	v_cmp_eq_u32_e32 vcc_lo, s16, v9
	global_load_b128 v[0:3], v[73:74], off
	s_wait_loadcnt 0x0
	scratch_store_b128 off, v[0:3], off     ; 16-byte Folded Spill
	scratch_load_b32 v0, off, off offset:612 ; 4-byte Folded Reload
	s_wait_loadcnt 0x0
	v_lshl_or_b32 v190, v9, 5, v0
	s_delay_alu instid0(VALU_DEP_1)
	v_lshl_add_u32 v0, v190, 2, s3
	v_or_b32_e32 v189, 1, v190
	v_or_b32_e32 v191, 2, v190
	ds_load_b128 v[1:4], v0
	v_mov_b32_e32 v0, v9
	s_wait_dscnt 0x0
	scratch_store_b64 off, v[0:1], off offset:288 ; 8-byte Folded Spill
	v_or_b32_e32 v0, 3, v190
	s_and_saveexec_b32 s17, vcc_lo
	s_cbranch_execz .LBB62_31
; %bb.30:                               ;   in Loop: Header=BB62_29 Depth=1
	scratch_load_b128 v[5:8], off, off th:TH_LOAD_LU ; 16-byte Folded Reload
	v_cmp_gt_i32_e64 s0, s25, v190
	s_wait_loadcnt 0x0
	s_wait_alu 0xf1ff
	s_delay_alu instid0(VALU_DEP_1) | instskip(SKIP_2) | instid1(VALU_DEP_1)
	v_cndmask_b32_e64 v5, 0, v5, s0
	v_cmp_gt_i32_e64 s0, s25, v189
	s_wait_alu 0xf1ff
	v_cndmask_b32_e64 v6, 0, v6, s0
	v_cmp_gt_i32_e64 s0, s25, v191
	s_wait_alu 0xf1ff
	s_delay_alu instid0(VALU_DEP_1) | instskip(SKIP_2) | instid1(VALU_DEP_1)
	v_cndmask_b32_e64 v7, 0, v7, s0
	v_cmp_gt_i32_e64 s0, s25, v0
	s_wait_alu 0xf1ff
	v_cndmask_b32_e64 v8, 0, v8, s0
	scratch_store_b128 off, v[5:8], off     ; 16-byte Folded Spill
.LBB62_31:                              ;   in Loop: Header=BB62_29 Depth=1
	s_wait_alu 0xfffe
	s_or_b32 exec_lo, exec_lo, s17
	global_load_b128 v[5:8], v[73:74], off offset:512
	s_wait_loadcnt 0x0
	scratch_store_b128 off, v[5:8], off offset:16 ; 16-byte Folded Spill
	s_and_saveexec_b32 s17, vcc_lo
	s_cbranch_execz .LBB62_33
; %bb.32:                               ;   in Loop: Header=BB62_29 Depth=1
	scratch_load_b128 v[5:8], off, off offset:16 th:TH_LOAD_LU ; 16-byte Folded Reload
	v_cmp_gt_i32_e64 s0, s25, v190
	s_wait_loadcnt 0x0
	s_wait_alu 0xf1ff
	s_delay_alu instid0(VALU_DEP_1) | instskip(SKIP_2) | instid1(VALU_DEP_1)
	v_cndmask_b32_e64 v5, 0, v5, s0
	v_cmp_gt_i32_e64 s0, s25, v189
	s_wait_alu 0xf1ff
	v_cndmask_b32_e64 v6, 0, v6, s0
	v_cmp_gt_i32_e64 s0, s25, v191
	s_wait_alu 0xf1ff
	s_delay_alu instid0(VALU_DEP_1) | instskip(SKIP_2) | instid1(VALU_DEP_1)
	v_cndmask_b32_e64 v7, 0, v7, s0
	v_cmp_gt_i32_e64 s0, s25, v0
	s_wait_alu 0xf1ff
	v_cndmask_b32_e64 v8, 0, v8, s0
	scratch_store_b128 off, v[5:8], off offset:16 ; 16-byte Folded Spill
.LBB62_33:                              ;   in Loop: Header=BB62_29 Depth=1
	s_wait_alu 0xfffe
	s_or_b32 exec_lo, exec_lo, s17
	global_load_b128 v[5:8], v[73:74], off offset:1024
	s_wait_loadcnt 0x0
	scratch_store_b128 off, v[5:8], off offset:32 ; 16-byte Folded Spill
	s_and_saveexec_b32 s17, vcc_lo
	s_cbranch_execz .LBB62_35
; %bb.34:                               ;   in Loop: Header=BB62_29 Depth=1
	scratch_load_b128 v[5:8], off, off offset:32 th:TH_LOAD_LU ; 16-byte Folded Reload
	v_cmp_gt_i32_e64 s0, s25, v190
	s_wait_loadcnt 0x0
	s_wait_alu 0xf1ff
	s_delay_alu instid0(VALU_DEP_1) | instskip(SKIP_2) | instid1(VALU_DEP_1)
	v_cndmask_b32_e64 v5, 0, v5, s0
	v_cmp_gt_i32_e64 s0, s25, v189
	s_wait_alu 0xf1ff
	v_cndmask_b32_e64 v6, 0, v6, s0
	v_cmp_gt_i32_e64 s0, s25, v191
	s_wait_alu 0xf1ff
	s_delay_alu instid0(VALU_DEP_1) | instskip(SKIP_2) | instid1(VALU_DEP_1)
	v_cndmask_b32_e64 v7, 0, v7, s0
	v_cmp_gt_i32_e64 s0, s25, v0
	s_wait_alu 0xf1ff
	v_cndmask_b32_e64 v8, 0, v8, s0
	scratch_store_b128 off, v[5:8], off offset:32 ; 16-byte Folded Spill
.LBB62_35:                              ;   in Loop: Header=BB62_29 Depth=1
	;; [unrolled: 26-line block ×16, first 2 shown]
	s_wait_alu 0xfffe
	s_or_b32 exec_lo, exec_lo, s17
	global_load_b128 v[5:8], v[73:74], off offset:8704
	s_wait_loadcnt 0x0
	scratch_store_b128 off, v[5:8], off offset:272 ; 16-byte Folded Spill
	s_and_saveexec_b32 s17, vcc_lo
	s_cbranch_execnz .LBB62_113
; %bb.64:                               ;   in Loop: Header=BB62_29 Depth=1
	s_wait_alu 0xfffe
	s_or_b32 exec_lo, exec_lo, s17
	global_load_b128 v[77:80], v[73:74], off offset:9216
	s_and_saveexec_b32 s17, vcc_lo
	s_cbranch_execnz .LBB62_114
.LBB62_65:                              ;   in Loop: Header=BB62_29 Depth=1
	s_wait_alu 0xfffe
	s_or_b32 exec_lo, exec_lo, s17
	global_load_b128 v[81:84], v[73:74], off offset:9728
	s_and_saveexec_b32 s17, vcc_lo
	s_cbranch_execnz .LBB62_115
.LBB62_66:                              ;   in Loop: Header=BB62_29 Depth=1
	s_wait_alu 0xfffe
	s_or_b32 exec_lo, exec_lo, s17
	global_load_b128 v[85:88], v[73:74], off offset:10240
	s_and_saveexec_b32 s17, vcc_lo
	s_cbranch_execnz .LBB62_116
.LBB62_67:                              ;   in Loop: Header=BB62_29 Depth=1
	s_wait_alu 0xfffe
	s_or_b32 exec_lo, exec_lo, s17
	global_load_b128 v[89:92], v[73:74], off offset:10752
	s_and_saveexec_b32 s17, vcc_lo
	s_cbranch_execnz .LBB62_117
.LBB62_68:                              ;   in Loop: Header=BB62_29 Depth=1
	s_wait_alu 0xfffe
	s_or_b32 exec_lo, exec_lo, s17
	global_load_b128 v[93:96], v[73:74], off offset:11264
	s_and_saveexec_b32 s17, vcc_lo
	s_cbranch_execnz .LBB62_118
.LBB62_69:                              ;   in Loop: Header=BB62_29 Depth=1
	s_wait_alu 0xfffe
	s_or_b32 exec_lo, exec_lo, s17
	global_load_b128 v[97:100], v[73:74], off offset:11776
	s_and_saveexec_b32 s17, vcc_lo
	s_cbranch_execnz .LBB62_119
.LBB62_70:                              ;   in Loop: Header=BB62_29 Depth=1
	s_wait_alu 0xfffe
	s_or_b32 exec_lo, exec_lo, s17
	global_load_b128 v[101:104], v[73:74], off offset:12288
	s_and_saveexec_b32 s17, vcc_lo
	s_cbranch_execnz .LBB62_120
.LBB62_71:                              ;   in Loop: Header=BB62_29 Depth=1
	s_wait_alu 0xfffe
	s_or_b32 exec_lo, exec_lo, s17
	global_load_b128 v[105:108], v[73:74], off offset:12800
	s_and_saveexec_b32 s17, vcc_lo
	s_cbranch_execnz .LBB62_121
.LBB62_72:                              ;   in Loop: Header=BB62_29 Depth=1
	s_wait_alu 0xfffe
	s_or_b32 exec_lo, exec_lo, s17
	global_load_b128 v[109:112], v[73:74], off offset:13312
	s_and_saveexec_b32 s17, vcc_lo
	s_cbranch_execnz .LBB62_122
.LBB62_73:                              ;   in Loop: Header=BB62_29 Depth=1
	s_wait_alu 0xfffe
	s_or_b32 exec_lo, exec_lo, s17
	global_load_b128 v[113:116], v[73:74], off offset:13824
	s_and_saveexec_b32 s17, vcc_lo
	s_cbranch_execnz .LBB62_123
.LBB62_74:                              ;   in Loop: Header=BB62_29 Depth=1
	s_wait_alu 0xfffe
	s_or_b32 exec_lo, exec_lo, s17
	global_load_b128 v[117:120], v[73:74], off offset:14336
	s_and_saveexec_b32 s17, vcc_lo
	s_cbranch_execnz .LBB62_124
.LBB62_75:                              ;   in Loop: Header=BB62_29 Depth=1
	s_wait_alu 0xfffe
	s_or_b32 exec_lo, exec_lo, s17
	global_load_b128 v[121:124], v[73:74], off offset:14848
	s_and_saveexec_b32 s17, vcc_lo
	s_cbranch_execnz .LBB62_125
.LBB62_76:                              ;   in Loop: Header=BB62_29 Depth=1
	s_wait_alu 0xfffe
	s_or_b32 exec_lo, exec_lo, s17
	global_load_b128 v[125:128], v[73:74], off offset:15360
	s_and_saveexec_b32 s17, vcc_lo
	s_cbranch_execz .LBB62_78
.LBB62_77:                              ;   in Loop: Header=BB62_29 Depth=1
	v_cmp_gt_i32_e64 s0, s25, v190
	s_wait_loadcnt 0x0
	s_wait_alu 0xf1ff
	s_delay_alu instid0(VALU_DEP_1) | instskip(SKIP_2) | instid1(VALU_DEP_1)
	v_cndmask_b32_e64 v125, 0, v125, s0
	v_cmp_gt_i32_e64 s0, s25, v189
	s_wait_alu 0xf1ff
	v_cndmask_b32_e64 v126, 0, v126, s0
	v_cmp_gt_i32_e64 s0, s25, v191
	s_wait_alu 0xf1ff
	s_delay_alu instid0(VALU_DEP_1) | instskip(SKIP_2) | instid1(VALU_DEP_1)
	v_cndmask_b32_e64 v127, 0, v127, s0
	v_cmp_gt_i32_e64 s0, s25, v0
	s_wait_alu 0xf1ff
	v_cndmask_b32_e64 v128, 0, v128, s0
.LBB62_78:                              ;   in Loop: Header=BB62_29 Depth=1
	s_wait_alu 0xfffe
	s_or_b32 exec_lo, exec_lo, s17
	scratch_load_b32 v5, off, off offset:620 ; 4-byte Folded Reload
	s_wait_loadcnt 0x0
	v_add_co_u32 v5, s0, v181, v5
	s_wait_alu 0xf1ff
	v_add_co_ci_u32_e64 v6, null, 0, v182, s0
	global_load_b128 v[129:132], v[5:6], off
	s_and_saveexec_b32 s17, vcc_lo
	s_cbranch_execnz .LBB62_126
; %bb.79:                               ;   in Loop: Header=BB62_29 Depth=1
	s_wait_alu 0xfffe
	s_or_b32 exec_lo, exec_lo, s17
	global_load_b128 v[133:136], v[73:74], off offset:16384
	s_and_saveexec_b32 s17, vcc_lo
	s_cbranch_execnz .LBB62_127
.LBB62_80:                              ;   in Loop: Header=BB62_29 Depth=1
	s_wait_alu 0xfffe
	s_or_b32 exec_lo, exec_lo, s17
	global_load_b128 v[137:140], v[73:74], off offset:16896
	s_and_saveexec_b32 s17, vcc_lo
	s_cbranch_execnz .LBB62_128
.LBB62_81:                              ;   in Loop: Header=BB62_29 Depth=1
	s_wait_alu 0xfffe
	s_or_b32 exec_lo, exec_lo, s17
	global_load_b128 v[141:144], v[73:74], off offset:17408
	s_and_saveexec_b32 s17, vcc_lo
	s_cbranch_execnz .LBB62_129
.LBB62_82:                              ;   in Loop: Header=BB62_29 Depth=1
	s_wait_alu 0xfffe
	s_or_b32 exec_lo, exec_lo, s17
	global_load_b128 v[145:148], v[73:74], off offset:17920
	s_and_saveexec_b32 s17, vcc_lo
	s_cbranch_execnz .LBB62_130
.LBB62_83:                              ;   in Loop: Header=BB62_29 Depth=1
	s_wait_alu 0xfffe
	s_or_b32 exec_lo, exec_lo, s17
	global_load_b128 v[149:152], v[73:74], off offset:18432
	s_and_saveexec_b32 s17, vcc_lo
	s_cbranch_execnz .LBB62_131
.LBB62_84:                              ;   in Loop: Header=BB62_29 Depth=1
	s_wait_alu 0xfffe
	s_or_b32 exec_lo, exec_lo, s17
	global_load_b128 v[153:156], v[73:74], off offset:18944
	s_and_saveexec_b32 s17, vcc_lo
	s_cbranch_execnz .LBB62_132
.LBB62_85:                              ;   in Loop: Header=BB62_29 Depth=1
	s_wait_alu 0xfffe
	s_or_b32 exec_lo, exec_lo, s17
	global_load_b128 v[157:160], v[73:74], off offset:19456
	s_and_saveexec_b32 s17, vcc_lo
	s_cbranch_execnz .LBB62_133
.LBB62_86:                              ;   in Loop: Header=BB62_29 Depth=1
	s_wait_alu 0xfffe
	s_or_b32 exec_lo, exec_lo, s17
	global_load_b128 v[161:164], v[73:74], off offset:19968
	s_and_saveexec_b32 s17, vcc_lo
	s_cbranch_execnz .LBB62_134
.LBB62_87:                              ;   in Loop: Header=BB62_29 Depth=1
	s_wait_alu 0xfffe
	s_or_b32 exec_lo, exec_lo, s17
	global_load_b128 v[165:168], v[73:74], off offset:20480
	s_and_saveexec_b32 s17, vcc_lo
	s_cbranch_execnz .LBB62_135
.LBB62_88:                              ;   in Loop: Header=BB62_29 Depth=1
	s_wait_alu 0xfffe
	s_or_b32 exec_lo, exec_lo, s17
	global_load_b128 v[169:172], v[73:74], off offset:20992
	s_and_saveexec_b32 s17, vcc_lo
	s_cbranch_execnz .LBB62_136
.LBB62_89:                              ;   in Loop: Header=BB62_29 Depth=1
	s_wait_alu 0xfffe
	s_or_b32 exec_lo, exec_lo, s17
	global_load_b128 v[173:176], v[73:74], off offset:21504
	s_and_saveexec_b32 s17, vcc_lo
	s_cbranch_execnz .LBB62_137
.LBB62_90:                              ;   in Loop: Header=BB62_29 Depth=1
	s_wait_alu 0xfffe
	s_or_b32 exec_lo, exec_lo, s17
	global_load_b128 v[177:180], v[73:74], off offset:22016
	s_and_saveexec_b32 s17, vcc_lo
	s_cbranch_execnz .LBB62_138
.LBB62_91:                              ;   in Loop: Header=BB62_29 Depth=1
	s_wait_alu 0xfffe
	s_or_b32 exec_lo, exec_lo, s17
	global_load_b128 v[185:188], v[73:74], off offset:22528
	s_and_saveexec_b32 s17, vcc_lo
	s_cbranch_execnz .LBB62_139
.LBB62_92:                              ;   in Loop: Header=BB62_29 Depth=1
	s_wait_alu 0xfffe
	s_or_b32 exec_lo, exec_lo, s17
	global_load_b128 v[5:8], v[73:74], off offset:23040
	s_and_saveexec_b32 s17, vcc_lo
	s_cbranch_execnz .LBB62_140
.LBB62_93:                              ;   in Loop: Header=BB62_29 Depth=1
	s_wait_alu 0xfffe
	s_or_b32 exec_lo, exec_lo, s17
	global_load_b128 v[9:12], v[73:74], off offset:23552
	s_and_saveexec_b32 s17, vcc_lo
	s_cbranch_execnz .LBB62_141
.LBB62_94:                              ;   in Loop: Header=BB62_29 Depth=1
	s_wait_alu 0xfffe
	s_or_b32 exec_lo, exec_lo, s17
	global_load_b128 v[13:16], v[73:74], off offset:24064
	s_and_saveexec_b32 s17, vcc_lo
	s_cbranch_execnz .LBB62_142
.LBB62_95:                              ;   in Loop: Header=BB62_29 Depth=1
	s_wait_alu 0xfffe
	s_or_b32 exec_lo, exec_lo, s17
	global_load_b128 v[17:20], v[73:74], off offset:24576
	s_and_saveexec_b32 s17, vcc_lo
	s_cbranch_execnz .LBB62_143
.LBB62_96:                              ;   in Loop: Header=BB62_29 Depth=1
	s_wait_alu 0xfffe
	s_or_b32 exec_lo, exec_lo, s17
	global_load_b128 v[21:24], v[73:74], off offset:25088
	s_and_saveexec_b32 s17, vcc_lo
	s_cbranch_execnz .LBB62_144
.LBB62_97:                              ;   in Loop: Header=BB62_29 Depth=1
	s_wait_alu 0xfffe
	s_or_b32 exec_lo, exec_lo, s17
	global_load_b128 v[25:28], v[73:74], off offset:25600
	s_and_saveexec_b32 s17, vcc_lo
	s_cbranch_execnz .LBB62_145
.LBB62_98:                              ;   in Loop: Header=BB62_29 Depth=1
	s_wait_alu 0xfffe
	s_or_b32 exec_lo, exec_lo, s17
	global_load_b128 v[29:32], v[73:74], off offset:26112
	s_and_saveexec_b32 s17, vcc_lo
	s_cbranch_execnz .LBB62_146
.LBB62_99:                              ;   in Loop: Header=BB62_29 Depth=1
	s_wait_alu 0xfffe
	s_or_b32 exec_lo, exec_lo, s17
	global_load_b128 v[33:36], v[73:74], off offset:26624
	s_and_saveexec_b32 s17, vcc_lo
	s_cbranch_execnz .LBB62_147
.LBB62_100:                             ;   in Loop: Header=BB62_29 Depth=1
	s_wait_alu 0xfffe
	s_or_b32 exec_lo, exec_lo, s17
	global_load_b128 v[37:40], v[73:74], off offset:27136
	s_and_saveexec_b32 s17, vcc_lo
	s_cbranch_execnz .LBB62_148
.LBB62_101:                             ;   in Loop: Header=BB62_29 Depth=1
	s_wait_alu 0xfffe
	s_or_b32 exec_lo, exec_lo, s17
	global_load_b128 v[41:44], v[73:74], off offset:27648
	s_and_saveexec_b32 s17, vcc_lo
	s_cbranch_execnz .LBB62_149
.LBB62_102:                             ;   in Loop: Header=BB62_29 Depth=1
	s_wait_alu 0xfffe
	s_or_b32 exec_lo, exec_lo, s17
	global_load_b128 v[45:48], v[73:74], off offset:28160
	s_and_saveexec_b32 s17, vcc_lo
	s_cbranch_execnz .LBB62_150
.LBB62_103:                             ;   in Loop: Header=BB62_29 Depth=1
	s_wait_alu 0xfffe
	s_or_b32 exec_lo, exec_lo, s17
	global_load_b128 v[49:52], v[73:74], off offset:28672
	s_and_saveexec_b32 s17, vcc_lo
	s_cbranch_execnz .LBB62_151
.LBB62_104:                             ;   in Loop: Header=BB62_29 Depth=1
	s_wait_alu 0xfffe
	s_or_b32 exec_lo, exec_lo, s17
	global_load_b128 v[53:56], v[73:74], off offset:29184
	s_and_saveexec_b32 s17, vcc_lo
	s_cbranch_execnz .LBB62_152
.LBB62_105:                             ;   in Loop: Header=BB62_29 Depth=1
	s_wait_alu 0xfffe
	s_or_b32 exec_lo, exec_lo, s17
	global_load_b128 v[57:60], v[73:74], off offset:29696
	s_and_saveexec_b32 s17, vcc_lo
	s_cbranch_execnz .LBB62_153
.LBB62_106:                             ;   in Loop: Header=BB62_29 Depth=1
	s_wait_alu 0xfffe
	s_or_b32 exec_lo, exec_lo, s17
	global_load_b128 v[61:64], v[73:74], off offset:30208
	s_and_saveexec_b32 s17, vcc_lo
	s_cbranch_execnz .LBB62_154
.LBB62_107:                             ;   in Loop: Header=BB62_29 Depth=1
	s_wait_alu 0xfffe
	s_or_b32 exec_lo, exec_lo, s17
	global_load_b128 v[65:68], v[73:74], off offset:30720
	s_and_saveexec_b32 s17, vcc_lo
	s_cbranch_execnz .LBB62_155
.LBB62_108:                             ;   in Loop: Header=BB62_29 Depth=1
	s_wait_alu 0xfffe
	s_or_b32 exec_lo, exec_lo, s17
	global_load_b128 v[69:72], v[73:74], off offset:31232
	s_and_saveexec_b32 s17, vcc_lo
	s_cbranch_execnz .LBB62_156
.LBB62_109:                             ;   in Loop: Header=BB62_29 Depth=1
	s_wait_alu 0xfffe
	s_or_b32 exec_lo, exec_lo, s17
	global_load_b128 v[73:76], v[73:74], off offset:31744
	s_and_saveexec_b32 s17, vcc_lo
	s_cbranch_execz .LBB62_111
.LBB62_110:                             ;   in Loop: Header=BB62_29 Depth=1
	v_cmp_gt_i32_e64 s0, s25, v190
	s_wait_loadcnt 0x0
	s_wait_alu 0xf1ff
	s_delay_alu instid0(VALU_DEP_1) | instskip(SKIP_2) | instid1(VALU_DEP_1)
	v_cndmask_b32_e64 v73, 0, v73, s0
	v_cmp_gt_i32_e64 s0, s25, v189
	s_wait_alu 0xf1ff
	v_cndmask_b32_e64 v74, 0, v74, s0
	v_cmp_gt_i32_e64 s0, s25, v191
	s_wait_alu 0xf1ff
	s_delay_alu instid0(VALU_DEP_1) | instskip(SKIP_2) | instid1(VALU_DEP_1)
	v_cndmask_b32_e64 v75, 0, v75, s0
	v_cmp_gt_i32_e64 s0, s25, v0
	s_wait_alu 0xf1ff
	v_cndmask_b32_e64 v76, 0, v76, s0
.LBB62_111:                             ;   in Loop: Header=BB62_29 Depth=1
	s_wait_alu 0xfffe
	s_or_b32 exec_lo, exec_lo, s17
	scratch_load_b32 v183, off, off offset:624 ; 4-byte Folded Reload
	s_wait_loadcnt 0x0
	v_add_co_u32 v181, s0, v181, v183
	s_wait_alu 0xf1ff
	v_add_co_ci_u32_e64 v182, null, 0, v182, s0
	global_load_b128 v[181:184], v[181:182], off
	s_and_saveexec_b32 s0, vcc_lo
	s_cbranch_execz .LBB62_28
; %bb.112:                              ;   in Loop: Header=BB62_29 Depth=1
	v_cmp_gt_i32_e32 vcc_lo, s25, v190
	s_wait_loadcnt 0x0
	s_wait_alu 0xfffd
	v_cndmask_b32_e32 v181, 0, v181, vcc_lo
	v_cmp_gt_i32_e32 vcc_lo, s25, v189
	s_wait_alu 0xfffd
	v_cndmask_b32_e32 v182, 0, v182, vcc_lo
	v_cmp_gt_i32_e32 vcc_lo, s25, v191
	;; [unrolled: 3-line block ×3, first 2 shown]
	s_wait_alu 0xfffd
	v_cndmask_b32_e32 v184, 0, v184, vcc_lo
	s_branch .LBB62_28
.LBB62_113:                             ;   in Loop: Header=BB62_29 Depth=1
	scratch_load_b128 v[5:8], off, off offset:272 th:TH_LOAD_LU ; 16-byte Folded Reload
	v_cmp_gt_i32_e64 s0, s25, v190
	s_wait_loadcnt 0x0
	s_wait_alu 0xf1ff
	s_delay_alu instid0(VALU_DEP_1) | instskip(SKIP_2) | instid1(VALU_DEP_1)
	v_cndmask_b32_e64 v5, 0, v5, s0
	v_cmp_gt_i32_e64 s0, s25, v189
	s_wait_alu 0xf1ff
	v_cndmask_b32_e64 v6, 0, v6, s0
	v_cmp_gt_i32_e64 s0, s25, v191
	s_wait_alu 0xf1ff
	s_delay_alu instid0(VALU_DEP_1) | instskip(SKIP_2) | instid1(VALU_DEP_1)
	v_cndmask_b32_e64 v7, 0, v7, s0
	v_cmp_gt_i32_e64 s0, s25, v0
	s_wait_alu 0xf1ff
	v_cndmask_b32_e64 v8, 0, v8, s0
	scratch_store_b128 off, v[5:8], off offset:272 ; 16-byte Folded Spill
	s_wait_alu 0xfffe
	s_or_b32 exec_lo, exec_lo, s17
	global_load_b128 v[77:80], v[73:74], off offset:9216
	s_and_saveexec_b32 s17, vcc_lo
	s_cbranch_execz .LBB62_65
.LBB62_114:                             ;   in Loop: Header=BB62_29 Depth=1
	v_cmp_gt_i32_e64 s0, s25, v190
	s_wait_loadcnt 0x0
	s_wait_alu 0xf1ff
	s_delay_alu instid0(VALU_DEP_1) | instskip(SKIP_2) | instid1(VALU_DEP_1)
	v_cndmask_b32_e64 v77, 0, v77, s0
	v_cmp_gt_i32_e64 s0, s25, v189
	s_wait_alu 0xf1ff
	v_cndmask_b32_e64 v78, 0, v78, s0
	v_cmp_gt_i32_e64 s0, s25, v191
	s_wait_alu 0xf1ff
	s_delay_alu instid0(VALU_DEP_1) | instskip(SKIP_2) | instid1(VALU_DEP_1)
	v_cndmask_b32_e64 v79, 0, v79, s0
	v_cmp_gt_i32_e64 s0, s25, v0
	s_wait_alu 0xf1ff
	v_cndmask_b32_e64 v80, 0, v80, s0
	s_wait_alu 0xfffe
	s_or_b32 exec_lo, exec_lo, s17
	global_load_b128 v[81:84], v[73:74], off offset:9728
	s_and_saveexec_b32 s17, vcc_lo
	s_cbranch_execz .LBB62_66
.LBB62_115:                             ;   in Loop: Header=BB62_29 Depth=1
	v_cmp_gt_i32_e64 s0, s25, v190
	s_wait_loadcnt 0x0
	s_wait_alu 0xf1ff
	s_delay_alu instid0(VALU_DEP_1) | instskip(SKIP_2) | instid1(VALU_DEP_1)
	v_cndmask_b32_e64 v81, 0, v81, s0
	v_cmp_gt_i32_e64 s0, s25, v189
	s_wait_alu 0xf1ff
	v_cndmask_b32_e64 v82, 0, v82, s0
	v_cmp_gt_i32_e64 s0, s25, v191
	s_wait_alu 0xf1ff
	s_delay_alu instid0(VALU_DEP_1) | instskip(SKIP_2) | instid1(VALU_DEP_1)
	v_cndmask_b32_e64 v83, 0, v83, s0
	v_cmp_gt_i32_e64 s0, s25, v0
	s_wait_alu 0xf1ff
	v_cndmask_b32_e64 v84, 0, v84, s0
	s_wait_alu 0xfffe
	s_or_b32 exec_lo, exec_lo, s17
	global_load_b128 v[85:88], v[73:74], off offset:10240
	s_and_saveexec_b32 s17, vcc_lo
	s_cbranch_execz .LBB62_67
.LBB62_116:                             ;   in Loop: Header=BB62_29 Depth=1
	v_cmp_gt_i32_e64 s0, s25, v190
	s_wait_loadcnt 0x0
	s_wait_alu 0xf1ff
	s_delay_alu instid0(VALU_DEP_1) | instskip(SKIP_2) | instid1(VALU_DEP_1)
	v_cndmask_b32_e64 v85, 0, v85, s0
	v_cmp_gt_i32_e64 s0, s25, v189
	s_wait_alu 0xf1ff
	v_cndmask_b32_e64 v86, 0, v86, s0
	v_cmp_gt_i32_e64 s0, s25, v191
	s_wait_alu 0xf1ff
	s_delay_alu instid0(VALU_DEP_1) | instskip(SKIP_2) | instid1(VALU_DEP_1)
	v_cndmask_b32_e64 v87, 0, v87, s0
	v_cmp_gt_i32_e64 s0, s25, v0
	s_wait_alu 0xf1ff
	v_cndmask_b32_e64 v88, 0, v88, s0
	s_wait_alu 0xfffe
	s_or_b32 exec_lo, exec_lo, s17
	global_load_b128 v[89:92], v[73:74], off offset:10752
	s_and_saveexec_b32 s17, vcc_lo
	s_cbranch_execz .LBB62_68
.LBB62_117:                             ;   in Loop: Header=BB62_29 Depth=1
	v_cmp_gt_i32_e64 s0, s25, v190
	s_wait_loadcnt 0x0
	s_wait_alu 0xf1ff
	s_delay_alu instid0(VALU_DEP_1) | instskip(SKIP_2) | instid1(VALU_DEP_1)
	v_cndmask_b32_e64 v89, 0, v89, s0
	v_cmp_gt_i32_e64 s0, s25, v189
	s_wait_alu 0xf1ff
	v_cndmask_b32_e64 v90, 0, v90, s0
	v_cmp_gt_i32_e64 s0, s25, v191
	s_wait_alu 0xf1ff
	s_delay_alu instid0(VALU_DEP_1) | instskip(SKIP_2) | instid1(VALU_DEP_1)
	v_cndmask_b32_e64 v91, 0, v91, s0
	v_cmp_gt_i32_e64 s0, s25, v0
	s_wait_alu 0xf1ff
	v_cndmask_b32_e64 v92, 0, v92, s0
	s_wait_alu 0xfffe
	s_or_b32 exec_lo, exec_lo, s17
	global_load_b128 v[93:96], v[73:74], off offset:11264
	s_and_saveexec_b32 s17, vcc_lo
	s_cbranch_execz .LBB62_69
.LBB62_118:                             ;   in Loop: Header=BB62_29 Depth=1
	v_cmp_gt_i32_e64 s0, s25, v190
	s_wait_loadcnt 0x0
	s_wait_alu 0xf1ff
	s_delay_alu instid0(VALU_DEP_1) | instskip(SKIP_2) | instid1(VALU_DEP_1)
	v_cndmask_b32_e64 v93, 0, v93, s0
	v_cmp_gt_i32_e64 s0, s25, v189
	s_wait_alu 0xf1ff
	v_cndmask_b32_e64 v94, 0, v94, s0
	v_cmp_gt_i32_e64 s0, s25, v191
	s_wait_alu 0xf1ff
	s_delay_alu instid0(VALU_DEP_1) | instskip(SKIP_2) | instid1(VALU_DEP_1)
	v_cndmask_b32_e64 v95, 0, v95, s0
	v_cmp_gt_i32_e64 s0, s25, v0
	s_wait_alu 0xf1ff
	v_cndmask_b32_e64 v96, 0, v96, s0
	s_wait_alu 0xfffe
	s_or_b32 exec_lo, exec_lo, s17
	global_load_b128 v[97:100], v[73:74], off offset:11776
	s_and_saveexec_b32 s17, vcc_lo
	s_cbranch_execz .LBB62_70
.LBB62_119:                             ;   in Loop: Header=BB62_29 Depth=1
	v_cmp_gt_i32_e64 s0, s25, v190
	s_wait_loadcnt 0x0
	s_wait_alu 0xf1ff
	s_delay_alu instid0(VALU_DEP_1) | instskip(SKIP_2) | instid1(VALU_DEP_1)
	v_cndmask_b32_e64 v97, 0, v97, s0
	v_cmp_gt_i32_e64 s0, s25, v189
	s_wait_alu 0xf1ff
	v_cndmask_b32_e64 v98, 0, v98, s0
	v_cmp_gt_i32_e64 s0, s25, v191
	s_wait_alu 0xf1ff
	s_delay_alu instid0(VALU_DEP_1) | instskip(SKIP_2) | instid1(VALU_DEP_1)
	v_cndmask_b32_e64 v99, 0, v99, s0
	v_cmp_gt_i32_e64 s0, s25, v0
	s_wait_alu 0xf1ff
	v_cndmask_b32_e64 v100, 0, v100, s0
	s_wait_alu 0xfffe
	s_or_b32 exec_lo, exec_lo, s17
	global_load_b128 v[101:104], v[73:74], off offset:12288
	s_and_saveexec_b32 s17, vcc_lo
	s_cbranch_execz .LBB62_71
.LBB62_120:                             ;   in Loop: Header=BB62_29 Depth=1
	v_cmp_gt_i32_e64 s0, s25, v190
	s_wait_loadcnt 0x0
	s_wait_alu 0xf1ff
	s_delay_alu instid0(VALU_DEP_1) | instskip(SKIP_2) | instid1(VALU_DEP_1)
	v_cndmask_b32_e64 v101, 0, v101, s0
	v_cmp_gt_i32_e64 s0, s25, v189
	s_wait_alu 0xf1ff
	v_cndmask_b32_e64 v102, 0, v102, s0
	v_cmp_gt_i32_e64 s0, s25, v191
	s_wait_alu 0xf1ff
	s_delay_alu instid0(VALU_DEP_1) | instskip(SKIP_2) | instid1(VALU_DEP_1)
	v_cndmask_b32_e64 v103, 0, v103, s0
	v_cmp_gt_i32_e64 s0, s25, v0
	s_wait_alu 0xf1ff
	v_cndmask_b32_e64 v104, 0, v104, s0
	s_wait_alu 0xfffe
	s_or_b32 exec_lo, exec_lo, s17
	global_load_b128 v[105:108], v[73:74], off offset:12800
	s_and_saveexec_b32 s17, vcc_lo
	s_cbranch_execz .LBB62_72
.LBB62_121:                             ;   in Loop: Header=BB62_29 Depth=1
	v_cmp_gt_i32_e64 s0, s25, v190
	s_wait_loadcnt 0x0
	s_wait_alu 0xf1ff
	s_delay_alu instid0(VALU_DEP_1) | instskip(SKIP_2) | instid1(VALU_DEP_1)
	v_cndmask_b32_e64 v105, 0, v105, s0
	v_cmp_gt_i32_e64 s0, s25, v189
	s_wait_alu 0xf1ff
	v_cndmask_b32_e64 v106, 0, v106, s0
	v_cmp_gt_i32_e64 s0, s25, v191
	s_wait_alu 0xf1ff
	s_delay_alu instid0(VALU_DEP_1) | instskip(SKIP_2) | instid1(VALU_DEP_1)
	v_cndmask_b32_e64 v107, 0, v107, s0
	v_cmp_gt_i32_e64 s0, s25, v0
	s_wait_alu 0xf1ff
	v_cndmask_b32_e64 v108, 0, v108, s0
	s_wait_alu 0xfffe
	s_or_b32 exec_lo, exec_lo, s17
	global_load_b128 v[109:112], v[73:74], off offset:13312
	s_and_saveexec_b32 s17, vcc_lo
	s_cbranch_execz .LBB62_73
.LBB62_122:                             ;   in Loop: Header=BB62_29 Depth=1
	v_cmp_gt_i32_e64 s0, s25, v190
	s_wait_loadcnt 0x0
	s_wait_alu 0xf1ff
	s_delay_alu instid0(VALU_DEP_1) | instskip(SKIP_2) | instid1(VALU_DEP_1)
	v_cndmask_b32_e64 v109, 0, v109, s0
	v_cmp_gt_i32_e64 s0, s25, v189
	s_wait_alu 0xf1ff
	v_cndmask_b32_e64 v110, 0, v110, s0
	v_cmp_gt_i32_e64 s0, s25, v191
	s_wait_alu 0xf1ff
	s_delay_alu instid0(VALU_DEP_1) | instskip(SKIP_2) | instid1(VALU_DEP_1)
	v_cndmask_b32_e64 v111, 0, v111, s0
	v_cmp_gt_i32_e64 s0, s25, v0
	s_wait_alu 0xf1ff
	v_cndmask_b32_e64 v112, 0, v112, s0
	s_wait_alu 0xfffe
	s_or_b32 exec_lo, exec_lo, s17
	global_load_b128 v[113:116], v[73:74], off offset:13824
	s_and_saveexec_b32 s17, vcc_lo
	s_cbranch_execz .LBB62_74
.LBB62_123:                             ;   in Loop: Header=BB62_29 Depth=1
	v_cmp_gt_i32_e64 s0, s25, v190
	s_wait_loadcnt 0x0
	s_wait_alu 0xf1ff
	s_delay_alu instid0(VALU_DEP_1) | instskip(SKIP_2) | instid1(VALU_DEP_1)
	v_cndmask_b32_e64 v113, 0, v113, s0
	v_cmp_gt_i32_e64 s0, s25, v189
	s_wait_alu 0xf1ff
	v_cndmask_b32_e64 v114, 0, v114, s0
	v_cmp_gt_i32_e64 s0, s25, v191
	s_wait_alu 0xf1ff
	s_delay_alu instid0(VALU_DEP_1) | instskip(SKIP_2) | instid1(VALU_DEP_1)
	v_cndmask_b32_e64 v115, 0, v115, s0
	v_cmp_gt_i32_e64 s0, s25, v0
	s_wait_alu 0xf1ff
	v_cndmask_b32_e64 v116, 0, v116, s0
	s_wait_alu 0xfffe
	s_or_b32 exec_lo, exec_lo, s17
	global_load_b128 v[117:120], v[73:74], off offset:14336
	s_and_saveexec_b32 s17, vcc_lo
	s_cbranch_execz .LBB62_75
.LBB62_124:                             ;   in Loop: Header=BB62_29 Depth=1
	v_cmp_gt_i32_e64 s0, s25, v190
	s_wait_loadcnt 0x0
	s_wait_alu 0xf1ff
	s_delay_alu instid0(VALU_DEP_1) | instskip(SKIP_2) | instid1(VALU_DEP_1)
	v_cndmask_b32_e64 v117, 0, v117, s0
	v_cmp_gt_i32_e64 s0, s25, v189
	s_wait_alu 0xf1ff
	v_cndmask_b32_e64 v118, 0, v118, s0
	v_cmp_gt_i32_e64 s0, s25, v191
	s_wait_alu 0xf1ff
	s_delay_alu instid0(VALU_DEP_1) | instskip(SKIP_2) | instid1(VALU_DEP_1)
	v_cndmask_b32_e64 v119, 0, v119, s0
	v_cmp_gt_i32_e64 s0, s25, v0
	s_wait_alu 0xf1ff
	v_cndmask_b32_e64 v120, 0, v120, s0
	s_wait_alu 0xfffe
	s_or_b32 exec_lo, exec_lo, s17
	global_load_b128 v[121:124], v[73:74], off offset:14848
	s_and_saveexec_b32 s17, vcc_lo
	s_cbranch_execz .LBB62_76
.LBB62_125:                             ;   in Loop: Header=BB62_29 Depth=1
	v_cmp_gt_i32_e64 s0, s25, v190
	s_wait_loadcnt 0x0
	s_wait_alu 0xf1ff
	s_delay_alu instid0(VALU_DEP_1) | instskip(SKIP_2) | instid1(VALU_DEP_1)
	v_cndmask_b32_e64 v121, 0, v121, s0
	v_cmp_gt_i32_e64 s0, s25, v189
	s_wait_alu 0xf1ff
	v_cndmask_b32_e64 v122, 0, v122, s0
	v_cmp_gt_i32_e64 s0, s25, v191
	s_wait_alu 0xf1ff
	s_delay_alu instid0(VALU_DEP_1) | instskip(SKIP_2) | instid1(VALU_DEP_1)
	v_cndmask_b32_e64 v123, 0, v123, s0
	v_cmp_gt_i32_e64 s0, s25, v0
	s_wait_alu 0xf1ff
	v_cndmask_b32_e64 v124, 0, v124, s0
	s_wait_alu 0xfffe
	s_or_b32 exec_lo, exec_lo, s17
	global_load_b128 v[125:128], v[73:74], off offset:15360
	s_and_saveexec_b32 s17, vcc_lo
	s_cbranch_execnz .LBB62_77
	s_branch .LBB62_78
.LBB62_126:                             ;   in Loop: Header=BB62_29 Depth=1
	v_cmp_gt_i32_e64 s0, s25, v190
	s_wait_loadcnt 0x0
	s_wait_alu 0xf1ff
	s_delay_alu instid0(VALU_DEP_1) | instskip(SKIP_2) | instid1(VALU_DEP_1)
	v_cndmask_b32_e64 v129, 0, v129, s0
	v_cmp_gt_i32_e64 s0, s25, v189
	s_wait_alu 0xf1ff
	v_cndmask_b32_e64 v130, 0, v130, s0
	v_cmp_gt_i32_e64 s0, s25, v191
	s_wait_alu 0xf1ff
	s_delay_alu instid0(VALU_DEP_1) | instskip(SKIP_2) | instid1(VALU_DEP_1)
	v_cndmask_b32_e64 v131, 0, v131, s0
	v_cmp_gt_i32_e64 s0, s25, v0
	s_wait_alu 0xf1ff
	v_cndmask_b32_e64 v132, 0, v132, s0
	s_wait_alu 0xfffe
	s_or_b32 exec_lo, exec_lo, s17
	global_load_b128 v[133:136], v[73:74], off offset:16384
	s_and_saveexec_b32 s17, vcc_lo
	s_cbranch_execz .LBB62_80
.LBB62_127:                             ;   in Loop: Header=BB62_29 Depth=1
	v_cmp_gt_i32_e64 s0, s25, v190
	s_wait_loadcnt 0x0
	s_wait_alu 0xf1ff
	s_delay_alu instid0(VALU_DEP_1) | instskip(SKIP_2) | instid1(VALU_DEP_1)
	v_cndmask_b32_e64 v133, 0, v133, s0
	v_cmp_gt_i32_e64 s0, s25, v189
	s_wait_alu 0xf1ff
	v_cndmask_b32_e64 v134, 0, v134, s0
	v_cmp_gt_i32_e64 s0, s25, v191
	s_wait_alu 0xf1ff
	s_delay_alu instid0(VALU_DEP_1) | instskip(SKIP_2) | instid1(VALU_DEP_1)
	v_cndmask_b32_e64 v135, 0, v135, s0
	v_cmp_gt_i32_e64 s0, s25, v0
	s_wait_alu 0xf1ff
	v_cndmask_b32_e64 v136, 0, v136, s0
	s_wait_alu 0xfffe
	s_or_b32 exec_lo, exec_lo, s17
	global_load_b128 v[137:140], v[73:74], off offset:16896
	s_and_saveexec_b32 s17, vcc_lo
	s_cbranch_execz .LBB62_81
.LBB62_128:                             ;   in Loop: Header=BB62_29 Depth=1
	v_cmp_gt_i32_e64 s0, s25, v190
	s_wait_loadcnt 0x0
	s_wait_alu 0xf1ff
	s_delay_alu instid0(VALU_DEP_1) | instskip(SKIP_2) | instid1(VALU_DEP_1)
	v_cndmask_b32_e64 v137, 0, v137, s0
	v_cmp_gt_i32_e64 s0, s25, v189
	s_wait_alu 0xf1ff
	v_cndmask_b32_e64 v138, 0, v138, s0
	v_cmp_gt_i32_e64 s0, s25, v191
	s_wait_alu 0xf1ff
	s_delay_alu instid0(VALU_DEP_1) | instskip(SKIP_2) | instid1(VALU_DEP_1)
	v_cndmask_b32_e64 v139, 0, v139, s0
	v_cmp_gt_i32_e64 s0, s25, v0
	s_wait_alu 0xf1ff
	v_cndmask_b32_e64 v140, 0, v140, s0
	s_wait_alu 0xfffe
	s_or_b32 exec_lo, exec_lo, s17
	global_load_b128 v[141:144], v[73:74], off offset:17408
	s_and_saveexec_b32 s17, vcc_lo
	s_cbranch_execz .LBB62_82
.LBB62_129:                             ;   in Loop: Header=BB62_29 Depth=1
	v_cmp_gt_i32_e64 s0, s25, v190
	s_wait_loadcnt 0x0
	s_wait_alu 0xf1ff
	s_delay_alu instid0(VALU_DEP_1) | instskip(SKIP_2) | instid1(VALU_DEP_1)
	v_cndmask_b32_e64 v141, 0, v141, s0
	v_cmp_gt_i32_e64 s0, s25, v189
	s_wait_alu 0xf1ff
	v_cndmask_b32_e64 v142, 0, v142, s0
	v_cmp_gt_i32_e64 s0, s25, v191
	s_wait_alu 0xf1ff
	s_delay_alu instid0(VALU_DEP_1) | instskip(SKIP_2) | instid1(VALU_DEP_1)
	v_cndmask_b32_e64 v143, 0, v143, s0
	v_cmp_gt_i32_e64 s0, s25, v0
	s_wait_alu 0xf1ff
	v_cndmask_b32_e64 v144, 0, v144, s0
	s_wait_alu 0xfffe
	s_or_b32 exec_lo, exec_lo, s17
	global_load_b128 v[145:148], v[73:74], off offset:17920
	s_and_saveexec_b32 s17, vcc_lo
	s_cbranch_execz .LBB62_83
.LBB62_130:                             ;   in Loop: Header=BB62_29 Depth=1
	v_cmp_gt_i32_e64 s0, s25, v190
	s_wait_loadcnt 0x0
	s_wait_alu 0xf1ff
	s_delay_alu instid0(VALU_DEP_1) | instskip(SKIP_2) | instid1(VALU_DEP_1)
	v_cndmask_b32_e64 v145, 0, v145, s0
	v_cmp_gt_i32_e64 s0, s25, v189
	s_wait_alu 0xf1ff
	v_cndmask_b32_e64 v146, 0, v146, s0
	v_cmp_gt_i32_e64 s0, s25, v191
	s_wait_alu 0xf1ff
	s_delay_alu instid0(VALU_DEP_1) | instskip(SKIP_2) | instid1(VALU_DEP_1)
	v_cndmask_b32_e64 v147, 0, v147, s0
	v_cmp_gt_i32_e64 s0, s25, v0
	s_wait_alu 0xf1ff
	v_cndmask_b32_e64 v148, 0, v148, s0
	s_wait_alu 0xfffe
	s_or_b32 exec_lo, exec_lo, s17
	global_load_b128 v[149:152], v[73:74], off offset:18432
	s_and_saveexec_b32 s17, vcc_lo
	s_cbranch_execz .LBB62_84
.LBB62_131:                             ;   in Loop: Header=BB62_29 Depth=1
	v_cmp_gt_i32_e64 s0, s25, v190
	s_wait_loadcnt 0x0
	s_wait_alu 0xf1ff
	s_delay_alu instid0(VALU_DEP_1) | instskip(SKIP_2) | instid1(VALU_DEP_1)
	v_cndmask_b32_e64 v149, 0, v149, s0
	v_cmp_gt_i32_e64 s0, s25, v189
	s_wait_alu 0xf1ff
	v_cndmask_b32_e64 v150, 0, v150, s0
	v_cmp_gt_i32_e64 s0, s25, v191
	s_wait_alu 0xf1ff
	s_delay_alu instid0(VALU_DEP_1) | instskip(SKIP_2) | instid1(VALU_DEP_1)
	v_cndmask_b32_e64 v151, 0, v151, s0
	v_cmp_gt_i32_e64 s0, s25, v0
	s_wait_alu 0xf1ff
	v_cndmask_b32_e64 v152, 0, v152, s0
	s_wait_alu 0xfffe
	s_or_b32 exec_lo, exec_lo, s17
	global_load_b128 v[153:156], v[73:74], off offset:18944
	s_and_saveexec_b32 s17, vcc_lo
	s_cbranch_execz .LBB62_85
.LBB62_132:                             ;   in Loop: Header=BB62_29 Depth=1
	v_cmp_gt_i32_e64 s0, s25, v190
	s_wait_loadcnt 0x0
	s_wait_alu 0xf1ff
	s_delay_alu instid0(VALU_DEP_1) | instskip(SKIP_2) | instid1(VALU_DEP_1)
	v_cndmask_b32_e64 v153, 0, v153, s0
	v_cmp_gt_i32_e64 s0, s25, v189
	s_wait_alu 0xf1ff
	v_cndmask_b32_e64 v154, 0, v154, s0
	v_cmp_gt_i32_e64 s0, s25, v191
	s_wait_alu 0xf1ff
	s_delay_alu instid0(VALU_DEP_1) | instskip(SKIP_2) | instid1(VALU_DEP_1)
	v_cndmask_b32_e64 v155, 0, v155, s0
	v_cmp_gt_i32_e64 s0, s25, v0
	s_wait_alu 0xf1ff
	v_cndmask_b32_e64 v156, 0, v156, s0
	s_wait_alu 0xfffe
	s_or_b32 exec_lo, exec_lo, s17
	global_load_b128 v[157:160], v[73:74], off offset:19456
	s_and_saveexec_b32 s17, vcc_lo
	s_cbranch_execz .LBB62_86
.LBB62_133:                             ;   in Loop: Header=BB62_29 Depth=1
	v_cmp_gt_i32_e64 s0, s25, v190
	s_wait_loadcnt 0x0
	s_wait_alu 0xf1ff
	s_delay_alu instid0(VALU_DEP_1) | instskip(SKIP_2) | instid1(VALU_DEP_1)
	v_cndmask_b32_e64 v157, 0, v157, s0
	v_cmp_gt_i32_e64 s0, s25, v189
	s_wait_alu 0xf1ff
	v_cndmask_b32_e64 v158, 0, v158, s0
	v_cmp_gt_i32_e64 s0, s25, v191
	s_wait_alu 0xf1ff
	s_delay_alu instid0(VALU_DEP_1) | instskip(SKIP_2) | instid1(VALU_DEP_1)
	v_cndmask_b32_e64 v159, 0, v159, s0
	v_cmp_gt_i32_e64 s0, s25, v0
	s_wait_alu 0xf1ff
	v_cndmask_b32_e64 v160, 0, v160, s0
	s_wait_alu 0xfffe
	s_or_b32 exec_lo, exec_lo, s17
	global_load_b128 v[161:164], v[73:74], off offset:19968
	s_and_saveexec_b32 s17, vcc_lo
	s_cbranch_execz .LBB62_87
.LBB62_134:                             ;   in Loop: Header=BB62_29 Depth=1
	v_cmp_gt_i32_e64 s0, s25, v190
	s_wait_loadcnt 0x0
	s_wait_alu 0xf1ff
	s_delay_alu instid0(VALU_DEP_1) | instskip(SKIP_2) | instid1(VALU_DEP_1)
	v_cndmask_b32_e64 v161, 0, v161, s0
	v_cmp_gt_i32_e64 s0, s25, v189
	s_wait_alu 0xf1ff
	v_cndmask_b32_e64 v162, 0, v162, s0
	v_cmp_gt_i32_e64 s0, s25, v191
	s_wait_alu 0xf1ff
	s_delay_alu instid0(VALU_DEP_1) | instskip(SKIP_2) | instid1(VALU_DEP_1)
	v_cndmask_b32_e64 v163, 0, v163, s0
	v_cmp_gt_i32_e64 s0, s25, v0
	s_wait_alu 0xf1ff
	v_cndmask_b32_e64 v164, 0, v164, s0
	s_wait_alu 0xfffe
	s_or_b32 exec_lo, exec_lo, s17
	global_load_b128 v[165:168], v[73:74], off offset:20480
	s_and_saveexec_b32 s17, vcc_lo
	s_cbranch_execz .LBB62_88
.LBB62_135:                             ;   in Loop: Header=BB62_29 Depth=1
	v_cmp_gt_i32_e64 s0, s25, v190
	s_wait_loadcnt 0x0
	s_wait_alu 0xf1ff
	s_delay_alu instid0(VALU_DEP_1) | instskip(SKIP_2) | instid1(VALU_DEP_1)
	v_cndmask_b32_e64 v165, 0, v165, s0
	v_cmp_gt_i32_e64 s0, s25, v189
	s_wait_alu 0xf1ff
	v_cndmask_b32_e64 v166, 0, v166, s0
	v_cmp_gt_i32_e64 s0, s25, v191
	s_wait_alu 0xf1ff
	s_delay_alu instid0(VALU_DEP_1) | instskip(SKIP_2) | instid1(VALU_DEP_1)
	v_cndmask_b32_e64 v167, 0, v167, s0
	v_cmp_gt_i32_e64 s0, s25, v0
	s_wait_alu 0xf1ff
	v_cndmask_b32_e64 v168, 0, v168, s0
	s_wait_alu 0xfffe
	s_or_b32 exec_lo, exec_lo, s17
	global_load_b128 v[169:172], v[73:74], off offset:20992
	s_and_saveexec_b32 s17, vcc_lo
	s_cbranch_execz .LBB62_89
.LBB62_136:                             ;   in Loop: Header=BB62_29 Depth=1
	v_cmp_gt_i32_e64 s0, s25, v190
	s_wait_loadcnt 0x0
	s_wait_alu 0xf1ff
	s_delay_alu instid0(VALU_DEP_1) | instskip(SKIP_2) | instid1(VALU_DEP_1)
	v_cndmask_b32_e64 v169, 0, v169, s0
	v_cmp_gt_i32_e64 s0, s25, v189
	s_wait_alu 0xf1ff
	v_cndmask_b32_e64 v170, 0, v170, s0
	v_cmp_gt_i32_e64 s0, s25, v191
	s_wait_alu 0xf1ff
	s_delay_alu instid0(VALU_DEP_1) | instskip(SKIP_2) | instid1(VALU_DEP_1)
	v_cndmask_b32_e64 v171, 0, v171, s0
	v_cmp_gt_i32_e64 s0, s25, v0
	s_wait_alu 0xf1ff
	v_cndmask_b32_e64 v172, 0, v172, s0
	s_wait_alu 0xfffe
	s_or_b32 exec_lo, exec_lo, s17
	global_load_b128 v[173:176], v[73:74], off offset:21504
	s_and_saveexec_b32 s17, vcc_lo
	s_cbranch_execz .LBB62_90
.LBB62_137:                             ;   in Loop: Header=BB62_29 Depth=1
	v_cmp_gt_i32_e64 s0, s25, v190
	s_wait_loadcnt 0x0
	s_wait_alu 0xf1ff
	s_delay_alu instid0(VALU_DEP_1) | instskip(SKIP_2) | instid1(VALU_DEP_1)
	v_cndmask_b32_e64 v173, 0, v173, s0
	v_cmp_gt_i32_e64 s0, s25, v189
	s_wait_alu 0xf1ff
	v_cndmask_b32_e64 v174, 0, v174, s0
	v_cmp_gt_i32_e64 s0, s25, v191
	s_wait_alu 0xf1ff
	s_delay_alu instid0(VALU_DEP_1) | instskip(SKIP_2) | instid1(VALU_DEP_1)
	v_cndmask_b32_e64 v175, 0, v175, s0
	v_cmp_gt_i32_e64 s0, s25, v0
	s_wait_alu 0xf1ff
	v_cndmask_b32_e64 v176, 0, v176, s0
	s_wait_alu 0xfffe
	s_or_b32 exec_lo, exec_lo, s17
	global_load_b128 v[177:180], v[73:74], off offset:22016
	s_and_saveexec_b32 s17, vcc_lo
	s_cbranch_execz .LBB62_91
.LBB62_138:                             ;   in Loop: Header=BB62_29 Depth=1
	v_cmp_gt_i32_e64 s0, s25, v190
	s_wait_loadcnt 0x0
	s_wait_alu 0xf1ff
	s_delay_alu instid0(VALU_DEP_1) | instskip(SKIP_2) | instid1(VALU_DEP_1)
	v_cndmask_b32_e64 v177, 0, v177, s0
	v_cmp_gt_i32_e64 s0, s25, v189
	s_wait_alu 0xf1ff
	v_cndmask_b32_e64 v178, 0, v178, s0
	v_cmp_gt_i32_e64 s0, s25, v191
	s_wait_alu 0xf1ff
	s_delay_alu instid0(VALU_DEP_1) | instskip(SKIP_2) | instid1(VALU_DEP_1)
	v_cndmask_b32_e64 v179, 0, v179, s0
	v_cmp_gt_i32_e64 s0, s25, v0
	s_wait_alu 0xf1ff
	v_cndmask_b32_e64 v180, 0, v180, s0
	s_wait_alu 0xfffe
	s_or_b32 exec_lo, exec_lo, s17
	global_load_b128 v[185:188], v[73:74], off offset:22528
	s_and_saveexec_b32 s17, vcc_lo
	s_cbranch_execz .LBB62_92
.LBB62_139:                             ;   in Loop: Header=BB62_29 Depth=1
	v_cmp_gt_i32_e64 s0, s25, v190
	s_wait_loadcnt 0x0
	s_wait_alu 0xf1ff
	s_delay_alu instid0(VALU_DEP_1) | instskip(SKIP_2) | instid1(VALU_DEP_1)
	v_cndmask_b32_e64 v185, 0, v185, s0
	v_cmp_gt_i32_e64 s0, s25, v189
	s_wait_alu 0xf1ff
	v_cndmask_b32_e64 v186, 0, v186, s0
	v_cmp_gt_i32_e64 s0, s25, v191
	s_wait_alu 0xf1ff
	s_delay_alu instid0(VALU_DEP_1) | instskip(SKIP_2) | instid1(VALU_DEP_1)
	v_cndmask_b32_e64 v187, 0, v187, s0
	v_cmp_gt_i32_e64 s0, s25, v0
	s_wait_alu 0xf1ff
	v_cndmask_b32_e64 v188, 0, v188, s0
	s_wait_alu 0xfffe
	s_or_b32 exec_lo, exec_lo, s17
	global_load_b128 v[5:8], v[73:74], off offset:23040
	s_and_saveexec_b32 s17, vcc_lo
	s_cbranch_execz .LBB62_93
.LBB62_140:                             ;   in Loop: Header=BB62_29 Depth=1
	v_cmp_gt_i32_e64 s0, s25, v190
	s_wait_loadcnt 0x0
	s_wait_alu 0xf1ff
	s_delay_alu instid0(VALU_DEP_1) | instskip(SKIP_2) | instid1(VALU_DEP_1)
	v_cndmask_b32_e64 v5, 0, v5, s0
	v_cmp_gt_i32_e64 s0, s25, v189
	s_wait_alu 0xf1ff
	v_cndmask_b32_e64 v6, 0, v6, s0
	v_cmp_gt_i32_e64 s0, s25, v191
	s_wait_alu 0xf1ff
	s_delay_alu instid0(VALU_DEP_1) | instskip(SKIP_2) | instid1(VALU_DEP_1)
	v_cndmask_b32_e64 v7, 0, v7, s0
	v_cmp_gt_i32_e64 s0, s25, v0
	s_wait_alu 0xf1ff
	v_cndmask_b32_e64 v8, 0, v8, s0
	s_wait_alu 0xfffe
	s_or_b32 exec_lo, exec_lo, s17
	global_load_b128 v[9:12], v[73:74], off offset:23552
	s_and_saveexec_b32 s17, vcc_lo
	s_cbranch_execz .LBB62_94
.LBB62_141:                             ;   in Loop: Header=BB62_29 Depth=1
	v_cmp_gt_i32_e64 s0, s25, v190
	s_wait_loadcnt 0x0
	s_wait_alu 0xf1ff
	s_delay_alu instid0(VALU_DEP_1) | instskip(SKIP_2) | instid1(VALU_DEP_1)
	v_cndmask_b32_e64 v9, 0, v9, s0
	v_cmp_gt_i32_e64 s0, s25, v189
	s_wait_alu 0xf1ff
	v_cndmask_b32_e64 v10, 0, v10, s0
	v_cmp_gt_i32_e64 s0, s25, v191
	s_wait_alu 0xf1ff
	s_delay_alu instid0(VALU_DEP_1) | instskip(SKIP_2) | instid1(VALU_DEP_1)
	v_cndmask_b32_e64 v11, 0, v11, s0
	v_cmp_gt_i32_e64 s0, s25, v0
	s_wait_alu 0xf1ff
	v_cndmask_b32_e64 v12, 0, v12, s0
	s_wait_alu 0xfffe
	s_or_b32 exec_lo, exec_lo, s17
	global_load_b128 v[13:16], v[73:74], off offset:24064
	s_and_saveexec_b32 s17, vcc_lo
	s_cbranch_execz .LBB62_95
.LBB62_142:                             ;   in Loop: Header=BB62_29 Depth=1
	v_cmp_gt_i32_e64 s0, s25, v190
	s_wait_loadcnt 0x0
	s_wait_alu 0xf1ff
	s_delay_alu instid0(VALU_DEP_1) | instskip(SKIP_2) | instid1(VALU_DEP_1)
	v_cndmask_b32_e64 v13, 0, v13, s0
	v_cmp_gt_i32_e64 s0, s25, v189
	s_wait_alu 0xf1ff
	v_cndmask_b32_e64 v14, 0, v14, s0
	v_cmp_gt_i32_e64 s0, s25, v191
	s_wait_alu 0xf1ff
	s_delay_alu instid0(VALU_DEP_1) | instskip(SKIP_2) | instid1(VALU_DEP_1)
	v_cndmask_b32_e64 v15, 0, v15, s0
	v_cmp_gt_i32_e64 s0, s25, v0
	s_wait_alu 0xf1ff
	v_cndmask_b32_e64 v16, 0, v16, s0
	s_wait_alu 0xfffe
	s_or_b32 exec_lo, exec_lo, s17
	global_load_b128 v[17:20], v[73:74], off offset:24576
	s_and_saveexec_b32 s17, vcc_lo
	s_cbranch_execz .LBB62_96
.LBB62_143:                             ;   in Loop: Header=BB62_29 Depth=1
	v_cmp_gt_i32_e64 s0, s25, v190
	s_wait_loadcnt 0x0
	s_wait_alu 0xf1ff
	s_delay_alu instid0(VALU_DEP_1) | instskip(SKIP_2) | instid1(VALU_DEP_1)
	v_cndmask_b32_e64 v17, 0, v17, s0
	v_cmp_gt_i32_e64 s0, s25, v189
	s_wait_alu 0xf1ff
	v_cndmask_b32_e64 v18, 0, v18, s0
	v_cmp_gt_i32_e64 s0, s25, v191
	s_wait_alu 0xf1ff
	s_delay_alu instid0(VALU_DEP_1) | instskip(SKIP_2) | instid1(VALU_DEP_1)
	v_cndmask_b32_e64 v19, 0, v19, s0
	v_cmp_gt_i32_e64 s0, s25, v0
	s_wait_alu 0xf1ff
	v_cndmask_b32_e64 v20, 0, v20, s0
	s_wait_alu 0xfffe
	s_or_b32 exec_lo, exec_lo, s17
	global_load_b128 v[21:24], v[73:74], off offset:25088
	s_and_saveexec_b32 s17, vcc_lo
	s_cbranch_execz .LBB62_97
.LBB62_144:                             ;   in Loop: Header=BB62_29 Depth=1
	v_cmp_gt_i32_e64 s0, s25, v190
	s_wait_loadcnt 0x0
	s_wait_alu 0xf1ff
	s_delay_alu instid0(VALU_DEP_1) | instskip(SKIP_2) | instid1(VALU_DEP_1)
	v_cndmask_b32_e64 v21, 0, v21, s0
	v_cmp_gt_i32_e64 s0, s25, v189
	s_wait_alu 0xf1ff
	v_cndmask_b32_e64 v22, 0, v22, s0
	v_cmp_gt_i32_e64 s0, s25, v191
	s_wait_alu 0xf1ff
	s_delay_alu instid0(VALU_DEP_1) | instskip(SKIP_2) | instid1(VALU_DEP_1)
	v_cndmask_b32_e64 v23, 0, v23, s0
	v_cmp_gt_i32_e64 s0, s25, v0
	s_wait_alu 0xf1ff
	v_cndmask_b32_e64 v24, 0, v24, s0
	s_wait_alu 0xfffe
	s_or_b32 exec_lo, exec_lo, s17
	global_load_b128 v[25:28], v[73:74], off offset:25600
	s_and_saveexec_b32 s17, vcc_lo
	s_cbranch_execz .LBB62_98
.LBB62_145:                             ;   in Loop: Header=BB62_29 Depth=1
	v_cmp_gt_i32_e64 s0, s25, v190
	s_wait_loadcnt 0x0
	s_wait_alu 0xf1ff
	s_delay_alu instid0(VALU_DEP_1) | instskip(SKIP_2) | instid1(VALU_DEP_1)
	v_cndmask_b32_e64 v25, 0, v25, s0
	v_cmp_gt_i32_e64 s0, s25, v189
	s_wait_alu 0xf1ff
	v_cndmask_b32_e64 v26, 0, v26, s0
	v_cmp_gt_i32_e64 s0, s25, v191
	s_wait_alu 0xf1ff
	s_delay_alu instid0(VALU_DEP_1) | instskip(SKIP_2) | instid1(VALU_DEP_1)
	v_cndmask_b32_e64 v27, 0, v27, s0
	v_cmp_gt_i32_e64 s0, s25, v0
	s_wait_alu 0xf1ff
	v_cndmask_b32_e64 v28, 0, v28, s0
	s_wait_alu 0xfffe
	s_or_b32 exec_lo, exec_lo, s17
	global_load_b128 v[29:32], v[73:74], off offset:26112
	s_and_saveexec_b32 s17, vcc_lo
	s_cbranch_execz .LBB62_99
.LBB62_146:                             ;   in Loop: Header=BB62_29 Depth=1
	v_cmp_gt_i32_e64 s0, s25, v190
	s_wait_loadcnt 0x0
	s_wait_alu 0xf1ff
	s_delay_alu instid0(VALU_DEP_1) | instskip(SKIP_2) | instid1(VALU_DEP_1)
	v_cndmask_b32_e64 v29, 0, v29, s0
	v_cmp_gt_i32_e64 s0, s25, v189
	s_wait_alu 0xf1ff
	v_cndmask_b32_e64 v30, 0, v30, s0
	v_cmp_gt_i32_e64 s0, s25, v191
	s_wait_alu 0xf1ff
	s_delay_alu instid0(VALU_DEP_1) | instskip(SKIP_2) | instid1(VALU_DEP_1)
	v_cndmask_b32_e64 v31, 0, v31, s0
	v_cmp_gt_i32_e64 s0, s25, v0
	s_wait_alu 0xf1ff
	v_cndmask_b32_e64 v32, 0, v32, s0
	s_wait_alu 0xfffe
	s_or_b32 exec_lo, exec_lo, s17
	global_load_b128 v[33:36], v[73:74], off offset:26624
	s_and_saveexec_b32 s17, vcc_lo
	s_cbranch_execz .LBB62_100
.LBB62_147:                             ;   in Loop: Header=BB62_29 Depth=1
	v_cmp_gt_i32_e64 s0, s25, v190
	s_wait_loadcnt 0x0
	s_wait_alu 0xf1ff
	s_delay_alu instid0(VALU_DEP_1) | instskip(SKIP_2) | instid1(VALU_DEP_1)
	v_cndmask_b32_e64 v33, 0, v33, s0
	v_cmp_gt_i32_e64 s0, s25, v189
	s_wait_alu 0xf1ff
	v_cndmask_b32_e64 v34, 0, v34, s0
	v_cmp_gt_i32_e64 s0, s25, v191
	s_wait_alu 0xf1ff
	s_delay_alu instid0(VALU_DEP_1) | instskip(SKIP_2) | instid1(VALU_DEP_1)
	v_cndmask_b32_e64 v35, 0, v35, s0
	v_cmp_gt_i32_e64 s0, s25, v0
	s_wait_alu 0xf1ff
	v_cndmask_b32_e64 v36, 0, v36, s0
	s_wait_alu 0xfffe
	s_or_b32 exec_lo, exec_lo, s17
	global_load_b128 v[37:40], v[73:74], off offset:27136
	s_and_saveexec_b32 s17, vcc_lo
	s_cbranch_execz .LBB62_101
.LBB62_148:                             ;   in Loop: Header=BB62_29 Depth=1
	v_cmp_gt_i32_e64 s0, s25, v190
	s_wait_loadcnt 0x0
	s_wait_alu 0xf1ff
	s_delay_alu instid0(VALU_DEP_1) | instskip(SKIP_2) | instid1(VALU_DEP_1)
	v_cndmask_b32_e64 v37, 0, v37, s0
	v_cmp_gt_i32_e64 s0, s25, v189
	s_wait_alu 0xf1ff
	v_cndmask_b32_e64 v38, 0, v38, s0
	v_cmp_gt_i32_e64 s0, s25, v191
	s_wait_alu 0xf1ff
	s_delay_alu instid0(VALU_DEP_1) | instskip(SKIP_2) | instid1(VALU_DEP_1)
	v_cndmask_b32_e64 v39, 0, v39, s0
	v_cmp_gt_i32_e64 s0, s25, v0
	s_wait_alu 0xf1ff
	v_cndmask_b32_e64 v40, 0, v40, s0
	s_wait_alu 0xfffe
	s_or_b32 exec_lo, exec_lo, s17
	global_load_b128 v[41:44], v[73:74], off offset:27648
	s_and_saveexec_b32 s17, vcc_lo
	s_cbranch_execz .LBB62_102
.LBB62_149:                             ;   in Loop: Header=BB62_29 Depth=1
	v_cmp_gt_i32_e64 s0, s25, v190
	s_wait_loadcnt 0x0
	s_wait_alu 0xf1ff
	s_delay_alu instid0(VALU_DEP_1) | instskip(SKIP_2) | instid1(VALU_DEP_1)
	v_cndmask_b32_e64 v41, 0, v41, s0
	v_cmp_gt_i32_e64 s0, s25, v189
	s_wait_alu 0xf1ff
	v_cndmask_b32_e64 v42, 0, v42, s0
	v_cmp_gt_i32_e64 s0, s25, v191
	s_wait_alu 0xf1ff
	s_delay_alu instid0(VALU_DEP_1) | instskip(SKIP_2) | instid1(VALU_DEP_1)
	v_cndmask_b32_e64 v43, 0, v43, s0
	v_cmp_gt_i32_e64 s0, s25, v0
	s_wait_alu 0xf1ff
	v_cndmask_b32_e64 v44, 0, v44, s0
	s_wait_alu 0xfffe
	s_or_b32 exec_lo, exec_lo, s17
	global_load_b128 v[45:48], v[73:74], off offset:28160
	s_and_saveexec_b32 s17, vcc_lo
	s_cbranch_execz .LBB62_103
.LBB62_150:                             ;   in Loop: Header=BB62_29 Depth=1
	v_cmp_gt_i32_e64 s0, s25, v190
	s_wait_loadcnt 0x0
	s_wait_alu 0xf1ff
	s_delay_alu instid0(VALU_DEP_1) | instskip(SKIP_2) | instid1(VALU_DEP_1)
	v_cndmask_b32_e64 v45, 0, v45, s0
	v_cmp_gt_i32_e64 s0, s25, v189
	s_wait_alu 0xf1ff
	v_cndmask_b32_e64 v46, 0, v46, s0
	v_cmp_gt_i32_e64 s0, s25, v191
	s_wait_alu 0xf1ff
	s_delay_alu instid0(VALU_DEP_1) | instskip(SKIP_2) | instid1(VALU_DEP_1)
	v_cndmask_b32_e64 v47, 0, v47, s0
	v_cmp_gt_i32_e64 s0, s25, v0
	s_wait_alu 0xf1ff
	v_cndmask_b32_e64 v48, 0, v48, s0
	s_wait_alu 0xfffe
	s_or_b32 exec_lo, exec_lo, s17
	global_load_b128 v[49:52], v[73:74], off offset:28672
	s_and_saveexec_b32 s17, vcc_lo
	s_cbranch_execz .LBB62_104
.LBB62_151:                             ;   in Loop: Header=BB62_29 Depth=1
	v_cmp_gt_i32_e64 s0, s25, v190
	s_wait_loadcnt 0x0
	s_wait_alu 0xf1ff
	s_delay_alu instid0(VALU_DEP_1) | instskip(SKIP_2) | instid1(VALU_DEP_1)
	v_cndmask_b32_e64 v49, 0, v49, s0
	v_cmp_gt_i32_e64 s0, s25, v189
	s_wait_alu 0xf1ff
	v_cndmask_b32_e64 v50, 0, v50, s0
	v_cmp_gt_i32_e64 s0, s25, v191
	s_wait_alu 0xf1ff
	s_delay_alu instid0(VALU_DEP_1) | instskip(SKIP_2) | instid1(VALU_DEP_1)
	v_cndmask_b32_e64 v51, 0, v51, s0
	v_cmp_gt_i32_e64 s0, s25, v0
	s_wait_alu 0xf1ff
	v_cndmask_b32_e64 v52, 0, v52, s0
	s_wait_alu 0xfffe
	s_or_b32 exec_lo, exec_lo, s17
	global_load_b128 v[53:56], v[73:74], off offset:29184
	s_and_saveexec_b32 s17, vcc_lo
	s_cbranch_execz .LBB62_105
.LBB62_152:                             ;   in Loop: Header=BB62_29 Depth=1
	v_cmp_gt_i32_e64 s0, s25, v190
	s_wait_loadcnt 0x0
	s_wait_alu 0xf1ff
	s_delay_alu instid0(VALU_DEP_1) | instskip(SKIP_2) | instid1(VALU_DEP_1)
	v_cndmask_b32_e64 v53, 0, v53, s0
	v_cmp_gt_i32_e64 s0, s25, v189
	s_wait_alu 0xf1ff
	v_cndmask_b32_e64 v54, 0, v54, s0
	v_cmp_gt_i32_e64 s0, s25, v191
	s_wait_alu 0xf1ff
	s_delay_alu instid0(VALU_DEP_1) | instskip(SKIP_2) | instid1(VALU_DEP_1)
	v_cndmask_b32_e64 v55, 0, v55, s0
	v_cmp_gt_i32_e64 s0, s25, v0
	s_wait_alu 0xf1ff
	v_cndmask_b32_e64 v56, 0, v56, s0
	s_wait_alu 0xfffe
	s_or_b32 exec_lo, exec_lo, s17
	global_load_b128 v[57:60], v[73:74], off offset:29696
	s_and_saveexec_b32 s17, vcc_lo
	s_cbranch_execz .LBB62_106
.LBB62_153:                             ;   in Loop: Header=BB62_29 Depth=1
	v_cmp_gt_i32_e64 s0, s25, v190
	s_wait_loadcnt 0x0
	s_wait_alu 0xf1ff
	s_delay_alu instid0(VALU_DEP_1) | instskip(SKIP_2) | instid1(VALU_DEP_1)
	v_cndmask_b32_e64 v57, 0, v57, s0
	v_cmp_gt_i32_e64 s0, s25, v189
	s_wait_alu 0xf1ff
	v_cndmask_b32_e64 v58, 0, v58, s0
	v_cmp_gt_i32_e64 s0, s25, v191
	s_wait_alu 0xf1ff
	s_delay_alu instid0(VALU_DEP_1) | instskip(SKIP_2) | instid1(VALU_DEP_1)
	v_cndmask_b32_e64 v59, 0, v59, s0
	v_cmp_gt_i32_e64 s0, s25, v0
	s_wait_alu 0xf1ff
	v_cndmask_b32_e64 v60, 0, v60, s0
	s_wait_alu 0xfffe
	s_or_b32 exec_lo, exec_lo, s17
	global_load_b128 v[61:64], v[73:74], off offset:30208
	s_and_saveexec_b32 s17, vcc_lo
	s_cbranch_execz .LBB62_107
.LBB62_154:                             ;   in Loop: Header=BB62_29 Depth=1
	v_cmp_gt_i32_e64 s0, s25, v190
	s_wait_loadcnt 0x0
	s_wait_alu 0xf1ff
	s_delay_alu instid0(VALU_DEP_1) | instskip(SKIP_2) | instid1(VALU_DEP_1)
	v_cndmask_b32_e64 v61, 0, v61, s0
	v_cmp_gt_i32_e64 s0, s25, v189
	s_wait_alu 0xf1ff
	v_cndmask_b32_e64 v62, 0, v62, s0
	v_cmp_gt_i32_e64 s0, s25, v191
	s_wait_alu 0xf1ff
	s_delay_alu instid0(VALU_DEP_1) | instskip(SKIP_2) | instid1(VALU_DEP_1)
	v_cndmask_b32_e64 v63, 0, v63, s0
	v_cmp_gt_i32_e64 s0, s25, v0
	s_wait_alu 0xf1ff
	v_cndmask_b32_e64 v64, 0, v64, s0
	s_wait_alu 0xfffe
	s_or_b32 exec_lo, exec_lo, s17
	global_load_b128 v[65:68], v[73:74], off offset:30720
	s_and_saveexec_b32 s17, vcc_lo
	s_cbranch_execz .LBB62_108
.LBB62_155:                             ;   in Loop: Header=BB62_29 Depth=1
	v_cmp_gt_i32_e64 s0, s25, v190
	s_wait_loadcnt 0x0
	s_wait_alu 0xf1ff
	s_delay_alu instid0(VALU_DEP_1) | instskip(SKIP_2) | instid1(VALU_DEP_1)
	v_cndmask_b32_e64 v65, 0, v65, s0
	v_cmp_gt_i32_e64 s0, s25, v189
	s_wait_alu 0xf1ff
	v_cndmask_b32_e64 v66, 0, v66, s0
	v_cmp_gt_i32_e64 s0, s25, v191
	s_wait_alu 0xf1ff
	s_delay_alu instid0(VALU_DEP_1) | instskip(SKIP_2) | instid1(VALU_DEP_1)
	v_cndmask_b32_e64 v67, 0, v67, s0
	v_cmp_gt_i32_e64 s0, s25, v0
	s_wait_alu 0xf1ff
	v_cndmask_b32_e64 v68, 0, v68, s0
	s_wait_alu 0xfffe
	s_or_b32 exec_lo, exec_lo, s17
	global_load_b128 v[69:72], v[73:74], off offset:31232
	s_and_saveexec_b32 s17, vcc_lo
	s_cbranch_execz .LBB62_109
.LBB62_156:                             ;   in Loop: Header=BB62_29 Depth=1
	v_cmp_gt_i32_e64 s0, s25, v190
	s_wait_loadcnt 0x0
	s_wait_alu 0xf1ff
	s_delay_alu instid0(VALU_DEP_1) | instskip(SKIP_2) | instid1(VALU_DEP_1)
	v_cndmask_b32_e64 v69, 0, v69, s0
	v_cmp_gt_i32_e64 s0, s25, v189
	s_wait_alu 0xf1ff
	v_cndmask_b32_e64 v70, 0, v70, s0
	v_cmp_gt_i32_e64 s0, s25, v191
	s_wait_alu 0xf1ff
	s_delay_alu instid0(VALU_DEP_1) | instskip(SKIP_2) | instid1(VALU_DEP_1)
	v_cndmask_b32_e64 v71, 0, v71, s0
	v_cmp_gt_i32_e64 s0, s25, v0
	s_wait_alu 0xf1ff
	v_cndmask_b32_e64 v72, 0, v72, s0
	s_wait_alu 0xfffe
	s_or_b32 exec_lo, exec_lo, s17
	global_load_b128 v[73:76], v[73:74], off offset:31744
	s_and_saveexec_b32 s17, vcc_lo
	s_cbranch_execnz .LBB62_110
	s_branch .LBB62_111
.LBB62_157:
	s_or_b32 exec_lo, exec_lo, s13
.LBB62_158:
	s_wait_alu 0xfffe
	s_or_b32 exec_lo, exec_lo, s1
	s_clause 0x2
	scratch_load_b32 v72, off, off offset:648 th:TH_LOAD_LU
	scratch_load_b32 v82, off, off offset:632 th:TH_LOAD_LU
	;; [unrolled: 1-line block ×3, first 2 shown]
	s_mov_b32 s1, exec_lo
	s_wait_loadcnt 0x2
	ds_bpermute_b32 v0, v72, v19
	ds_bpermute_b32 v1, v72, v20
	ds_bpermute_b32 v2, v72, v18
	ds_bpermute_b32 v3, v72, v17
	ds_bpermute_b32 v4, v72, v16
	ds_bpermute_b32 v5, v72, v29
	ds_bpermute_b32 v6, v72, v28
	ds_bpermute_b32 v7, v72, v27
	ds_bpermute_b32 v10, v72, v24
	ds_bpermute_b32 v12, v72, v22
	ds_bpermute_b32 v13, v72, v21
	ds_bpermute_b32 v8, v72, v26
	ds_bpermute_b32 v11, v72, v23
	ds_bpermute_b32 v9, v72, v25
	ds_bpermute_b32 v30, v72, v36
	ds_bpermute_b32 v14, v72, v40
	ds_bpermute_b32 v15, v72, v39
	ds_bpermute_b32 v43, v72, v95
	ds_bpermute_b32 v44, v72, v94
	ds_bpermute_b32 v58, v72, v69
	s_wait_dscnt 0x12
	v_dual_add_f32 v0, v19, v0 :: v_dual_add_f32 v1, v20, v1
	s_wait_dscnt 0x10
	v_dual_add_f32 v2, v18, v2 :: v_dual_add_f32 v3, v17, v3
	;; [unrolled: 2-line block ×3, first 2 shown]
	s_wait_loadcnt 0x1
	ds_bpermute_b32 v16, v82, v0
	ds_bpermute_b32 v17, v82, v1
	;; [unrolled: 1-line block ×5, first 2 shown]
	s_wait_dscnt 0x11
	v_dual_add_f32 v6, v28, v6 :: v_dual_add_f32 v7, v27, v7
	s_wait_dscnt 0xc
	v_dual_add_f32 v10, v24, v10 :: v_dual_add_f32 v11, v23, v11
	v_dual_add_f32 v12, v22, v12 :: v_dual_add_f32 v13, v21, v13
	ds_bpermute_b32 v21, v82, v5
	s_wait_dscnt 0xc
	v_dual_add_f32 v8, v26, v8 :: v_dual_add_f32 v9, v25, v9
	ds_bpermute_b32 v22, v82, v6
	ds_bpermute_b32 v23, v82, v7
	;; [unrolled: 1-line block ×6, first 2 shown]
	s_wait_dscnt 0xa
	v_dual_add_f32 v0, v0, v16 :: v_dual_add_f32 v1, v1, v17
	s_wait_dscnt 0x8
	v_dual_add_f32 v2, v2, v18 :: v_dual_add_f32 v3, v3, v19
	s_wait_dscnt 0x7
	v_add_f32_e32 v4, v4, v20
	s_wait_loadcnt 0x0
	ds_bpermute_b32 v16, v88, v0
	ds_bpermute_b32 v17, v88, v1
	;; [unrolled: 1-line block ×6, first 2 shown]
	s_wait_dscnt 0xc
	v_add_f32_e32 v5, v5, v21
	ds_bpermute_b32 v32, v82, v13
	ds_bpermute_b32 v20, v88, v4
	s_wait_dscnt 0xc
	v_dual_add_f32 v6, v6, v22 :: v_dual_add_f32 v7, v7, v23
	s_wait_dscnt 0xb
	v_add_f32_e32 v10, v10, v26
	ds_bpermute_b32 v21, v88, v5
	ds_bpermute_b32 v29, v72, v37
	;; [unrolled: 1-line block ×4, first 2 shown]
	s_wait_dscnt 0xd
	v_dual_add_f32 v8, v8, v24 :: v_dual_add_f32 v9, v9, v25
	s_wait_dscnt 0xc
	v_dual_add_f32 v14, v40, v14 :: v_dual_add_f32 v11, v11, v27
	;; [unrolled: 2-line block ×4, first 2 shown]
	ds_bpermute_b32 v19, v88, v10
	ds_bpermute_b32 v17, v72, v33
	s_wait_dscnt 0x7
	v_dual_add_f32 v12, v12, v31 :: v_dual_add_f32 v13, v13, v32
	v_add_f32_e32 v24, v38, v28
	s_wait_dscnt 0x6
	v_dual_add_f32 v4, v4, v20 :: v_dual_add_f32 v15, v39, v15
	ds_bpermute_b32 v16, v88, v8
	s_wait_dscnt 0x6
	v_add_f32_e32 v5, v5, v21
	v_add_f32_e32 v21, v36, v30
	ds_bpermute_b32 v18, v88, v9
	ds_bpermute_b32 v20, v88, v11
	;; [unrolled: 1-line block ×4, first 2 shown]
	s_wait_dscnt 0x8
	v_dual_add_f32 v29, v37, v29 :: v_dual_add_f32 v6, v6, v22
	s_wait_dscnt 0x7
	v_add_f32_e32 v7, v7, v23
	ds_bpermute_b32 v25, v88, v12
	ds_bpermute_b32 v27, v82, v14
	;; [unrolled: 1-line block ×3, first 2 shown]
	s_wait_dscnt 0x9
	v_add_f32_e32 v10, v10, v19
	ds_bpermute_b32 v23, v82, v21
	ds_bpermute_b32 v22, v82, v29
	s_wait_dscnt 0xa
	v_add_f32_e32 v17, v33, v17
	ds_bpermute_b32 v19, v72, v35
	ds_bpermute_b32 v30, v72, v99
	;; [unrolled: 1-line block ×3, first 2 shown]
	s_wait_dscnt 0xc
	v_add_f32_e32 v8, v8, v16
	ds_bpermute_b32 v16, v82, v17
	ds_bpermute_b32 v59, v72, v68
	s_wait_dscnt 0xd
	v_add_f32_e32 v9, v9, v18
	s_wait_dscnt 0xc
	v_add_f32_e32 v11, v11, v20
	ds_bpermute_b32 v18, v72, v34
	s_wait_dscnt 0xb
	v_dual_add_f32 v13, v13, v26 :: v_dual_add_f32 v20, v24, v31
	ds_bpermute_b32 v24, v72, v103
	ds_bpermute_b32 v26, v72, v101
	s_wait_dscnt 0xc
	v_add_f32_e32 v12, v12, v25
	s_wait_dscnt 0xa
	v_dual_add_f32 v14, v14, v27 :: v_dual_add_f32 v15, v15, v28
	ds_bpermute_b32 v25, v72, v102
	s_wait_dscnt 0xa
	v_add_f32_e32 v21, v21, v23
	ds_bpermute_b32 v23, v72, v100
	s_wait_dscnt 0xa
	v_add_f32_e32 v22, v29, v22
	ds_bpermute_b32 v29, v88, v20
	ds_bpermute_b32 v27, v88, v14
	;; [unrolled: 1-line block ×3, first 2 shown]
	s_wait_dscnt 0x9
	v_dual_add_f32 v35, v35, v19 :: v_dual_add_f32 v32, v17, v16
	ds_bpermute_b32 v31, v88, v22
	ds_bpermute_b32 v19, v72, v45
	v_add_f32_e32 v30, v99, v30
	s_wait_dscnt 0x9
	v_add_f32_e32 v34, v34, v18
	ds_bpermute_b32 v33, v88, v21
	ds_bpermute_b32 v36, v88, v32
	s_wait_dscnt 0xa
	v_add_f32_e32 v24, v103, v24
	ds_bpermute_b32 v39, v82, v35
	ds_bpermute_b32 v38, v82, v34
	s_wait_dscnt 0xa
	v_dual_add_f32 v26, v101, v26 :: v_dual_add_f32 v25, v102, v25
	s_wait_dscnt 0x9
	v_add_f32_e32 v23, v100, v23
	s_wait_dscnt 0x8
	v_add_f32_e32 v16, v20, v29
	s_wait_dscnt 0x6
	v_dual_add_f32 v14, v14, v27 :: v_dual_add_f32 v15, v15, v28
	ds_bpermute_b32 v20, v82, v23
	ds_bpermute_b32 v27, v82, v24
	ds_bpermute_b32 v28, v82, v25
	s_wait_dscnt 0x8
	v_add_f32_e32 v17, v22, v31
	s_wait_dscnt 0x7
	v_add_f32_e32 v22, v45, v19
	ds_bpermute_b32 v40, v82, v26
	s_wait_dscnt 0x7
	v_add_f32_e32 v18, v21, v33
	ds_bpermute_b32 v21, v82, v30
	v_add_f32_e32 v29, v41, v37
	s_wait_dscnt 0x7
	v_add_f32_e32 v19, v32, v36
	s_wait_dscnt 0x5
	v_add_f32_e32 v31, v34, v38
	ds_bpermute_b32 v34, v72, v98
	v_add_f32_e32 v32, v35, v39
	ds_bpermute_b32 v35, v82, v29
	ds_bpermute_b32 v36, v72, v97
	;; [unrolled: 1-line block ×4, first 2 shown]
	s_wait_dscnt 0x9
	v_add_f32_e32 v41, v23, v20
	ds_bpermute_b32 v33, v82, v22
	s_wait_dscnt 0x8
	v_dual_add_f32 v24, v24, v27 :: v_dual_add_f32 v25, v25, v28
	ds_bpermute_b32 v28, v72, v96
	ds_bpermute_b32 v27, v88, v32
	s_wait_dscnt 0x9
	v_add_f32_e32 v26, v26, v40
	ds_bpermute_b32 v39, v88, v24
	ds_bpermute_b32 v40, v88, v25
	s_wait_dscnt 0xa
	v_add_f32_e32 v30, v30, v21
	ds_bpermute_b32 v45, v88, v41
	s_wait_dscnt 0x9
	v_dual_add_f32 v34, v98, v34 :: v_dual_add_f32 v29, v29, v35
	ds_bpermute_b32 v42, v88, v26
	s_wait_dscnt 0x9
	v_add_f32_e32 v35, v97, v36
	ds_bpermute_b32 v46, v88, v30
	s_wait_dscnt 0x9
	v_add_f32_e32 v36, v49, v37
	s_wait_dscnt 0x8
	v_add_f32_e32 v20, v31, v38
	ds_bpermute_b32 v48, v88, v29
	ds_bpermute_b32 v49, v82, v35
	s_wait_dscnt 0x9
	v_add_f32_e32 v33, v22, v33
	s_wait_dscnt 0x8
	v_add_f32_e32 v51, v96, v28
	ds_bpermute_b32 v47, v82, v34
	ds_bpermute_b32 v37, v88, v33
	s_wait_dscnt 0x9
	v_add_f32_e32 v21, v32, v27
	ds_bpermute_b32 v50, v82, v36
	s_wait_dscnt 0x8
	v_dual_add_f32 v22, v24, v39 :: v_dual_add_f32 v23, v25, v40
	ds_bpermute_b32 v31, v82, v51
	s_wait_dscnt 0x8
	v_dual_add_f32 v32, v95, v43 :: v_dual_add_f32 v25, v41, v45
	ds_bpermute_b32 v39, v72, v93
	v_add_f32_e32 v38, v94, v44
	s_wait_dscnt 0x8
	v_add_f32_e32 v24, v26, v42
	ds_bpermute_b32 v40, v82, v32
	s_wait_dscnt 0x8
	v_add_f32_e32 v26, v30, v46
	ds_bpermute_b32 v30, v72, v92
	ds_bpermute_b32 v42, v72, v53
	s_wait_dscnt 0x9
	v_add_f32_e32 v28, v29, v48
	ds_bpermute_b32 v45, v72, v89
	s_wait_dscnt 0x7
	v_dual_add_f32 v34, v34, v47 :: v_dual_add_f32 v27, v33, v37
	ds_bpermute_b32 v41, v82, v38
	v_add_f32_e32 v33, v35, v49
	s_wait_dscnt 0x7
	v_add_f32_e32 v35, v36, v50
	ds_bpermute_b32 v29, v88, v34
	ds_bpermute_b32 v36, v72, v91
	ds_bpermute_b32 v37, v72, v90
	ds_bpermute_b32 v43, v88, v33
	s_wait_dscnt 0xa
	v_add_f32_e32 v46, v51, v31
	s_wait_dscnt 0x9
	v_add_f32_e32 v39, v93, v39
	ds_bpermute_b32 v31, v72, v87
	ds_bpermute_b32 v47, v72, v86
	ds_bpermute_b32 v44, v88, v35
	s_wait_dscnt 0xb
	v_add_f32_e32 v40, v32, v40
	ds_bpermute_b32 v32, v82, v39
	s_wait_dscnt 0xa
	v_add_f32_e32 v42, v53, v42
	ds_bpermute_b32 v53, v72, v57
	s_wait_dscnt 0x9
	v_dual_add_f32 v38, v38, v41 :: v_dual_add_f32 v41, v92, v30
	s_wait_dscnt 0x8
	v_add_f32_e32 v29, v34, v29
	ds_bpermute_b32 v49, v88, v40
	s_wait_dscnt 0x8
	v_add_f32_e32 v36, v91, v36
	ds_bpermute_b32 v51, v82, v41
	s_wait_dscnt 0x8
	v_add_f32_e32 v37, v90, v37
	ds_bpermute_b32 v48, v88, v46
	s_wait_dscnt 0x8
	v_add_f32_e32 v30, v33, v43
	v_add_f32_e32 v43, v89, v45
	ds_bpermute_b32 v45, v82, v36
	s_wait_dscnt 0x8
	v_add_f32_e32 v55, v87, v31
	ds_bpermute_b32 v50, v88, v38
	s_wait_dscnt 0x8
	v_add_f32_e32 v47, v86, v47
	ds_bpermute_b32 v52, v82, v42
	ds_bpermute_b32 v54, v82, v37
	s_wait_dscnt 0x9
	v_add_f32_e32 v31, v35, v44
	s_wait_dscnt 0x8
	v_add_f32_e32 v35, v39, v32
	ds_bpermute_b32 v39, v82, v55
	ds_bpermute_b32 v56, v82, v43
	;; [unrolled: 1-line block ×3, first 2 shown]
	s_wait_dscnt 0x9
	v_add_f32_e32 v33, v40, v49
	ds_bpermute_b32 v49, v72, v61
	s_wait_dscnt 0x9
	v_add_f32_e32 v40, v41, v51
	s_wait_dscnt 0x8
	v_dual_add_f32 v41, v57, v53 :: v_dual_add_f32 v32, v46, v48
	ds_bpermute_b32 v48, v72, v84
	ds_bpermute_b32 v46, v72, v85
	s_wait_dscnt 0x9
	v_add_f32_e32 v45, v36, v45
	ds_bpermute_b32 v36, v72, v71
	s_wait_dscnt 0x9
	v_add_f32_e32 v34, v38, v50
	;; [unrolled: 3-line block ×5, first 2 shown]
	ds_bpermute_b32 v52, v88, v42
	ds_bpermute_b32 v39, v88, v45
	;; [unrolled: 1-line block ×3, first 2 shown]
	s_wait_dscnt 0xb
	v_add_f32_e32 v43, v43, v56
	s_wait_dscnt 0x9
	v_dual_add_f32 v44, v47, v44 :: v_dual_add_f32 v49, v61, v49
	ds_bpermute_b32 v47, v88, v53
	ds_bpermute_b32 v56, v88, v54
	s_wait_dscnt 0xa
	v_add_f32_e32 v48, v84, v48
	ds_bpermute_b32 v57, v88, v44
	s_wait_dscnt 0xa
	v_add_f32_e32 v46, v85, v46
	s_wait_dscnt 0x9
	v_add_f32_e32 v64, v71, v36
	ds_bpermute_b32 v55, v88, v43
	s_wait_dscnt 0x9
	v_add_f32_e32 v35, v35, v38
	ds_bpermute_b32 v61, v82, v48
	s_wait_dscnt 0x9
	v_add_f32_e32 v50, v41, v50
	ds_bpermute_b32 v60, v82, v46
	s_wait_dscnt 0x9
	v_add_f32_e32 v65, v65, v37
	ds_bpermute_b32 v62, v82, v49
	s_wait_dscnt 0x9
	v_add_f32_e32 v37, v42, v52
	ds_bpermute_b32 v63, v88, v50
	s_wait_dscnt 0x9
	v_add_f32_e32 v38, v45, v39
	ds_bpermute_b32 v45, v82, v64
	ds_bpermute_b32 v52, v72, v66
	s_wait_dscnt 0xa
	v_add_f32_e32 v36, v40, v51
	s_wait_dscnt 0x9
	v_add_f32_e32 v39, v53, v47
	v_add_f32_e32 v47, v69, v58
	ds_bpermute_b32 v51, v82, v65
	v_add_f32_e32 v53, v68, v59
	s_wait_dscnt 0x8
	v_dual_add_f32 v42, v44, v57 :: v_dual_add_f32 v41, v54, v56
	ds_bpermute_b32 v44, v82, v47
	s_wait_dscnt 0x8
	v_add_f32_e32 v40, v43, v55
	ds_bpermute_b32 v58, v72, v70
	s_wait_dscnt 0x8
	v_add_f32_e32 v48, v48, v61
	s_wait_dscnt 0x7
	v_add_f32_e32 v46, v46, v60
	ds_bpermute_b32 v54, v82, v53
	s_wait_dscnt 0x7
	v_add_f32_e32 v49, v49, v62
	ds_bpermute_b32 v60, v72, v73
	;; [unrolled: 3-line block ×3, first 2 shown]
	s_wait_dscnt 0x7
	v_add_f32_e32 v59, v64, v45
	s_wait_dscnt 0x6
	v_add_f32_e32 v45, v66, v52
	ds_bpermute_b32 v66, v72, v76
	ds_bpermute_b32 v62, v72, v74
	;; [unrolled: 1-line block ×3, first 2 shown]
	s_wait_dscnt 0x8
	v_add_f32_e32 v51, v65, v51
	ds_bpermute_b32 v56, v88, v48
	ds_bpermute_b32 v55, v88, v46
	;; [unrolled: 1-line block ×3, first 2 shown]
	s_wait_dscnt 0xa
	v_add_f32_e32 v65, v47, v44
	ds_bpermute_b32 v44, v72, v75
	ds_bpermute_b32 v47, v72, v79
	s_wait_dscnt 0xb
	v_add_f32_e32 v58, v70, v58
	ds_bpermute_b32 v70, v72, v80
	ds_bpermute_b32 v64, v88, v51
	s_wait_dscnt 0xc
	v_add_f32_e32 v53, v53, v54
	ds_bpermute_b32 v54, v72, v78
	s_wait_dscnt 0xc
	v_add_f32_e32 v60, v73, v60
	;; [unrolled: 3-line block ×3, first 2 shown]
	ds_bpermute_b32 v67, v72, v77
	ds_bpermute_b32 v72, v72, v81
	s_wait_dscnt 0xd
	v_add_f32_e32 v66, v76, v66
	ds_bpermute_b32 v63, v82, v45
	s_wait_dscnt 0xd
	v_add_f32_e32 v62, v74, v62
	s_wait_dscnt 0xc
	v_add_f32_e32 v52, v83, v52
	ds_bpermute_b32 v61, v88, v59
	ds_bpermute_b32 v71, v82, v50
	;; [unrolled: 1-line block ×4, first 2 shown]
	s_wait_dscnt 0xc
	v_add_f32_e32 v44, v75, v44
	ds_bpermute_b32 v75, v82, v62
	s_wait_dscnt 0xc
	v_add_f32_e32 v47, v79, v47
	ds_bpermute_b32 v74, v82, v60
	;; [unrolled: 3-line block ×5, first 2 shown]
	ds_bpermute_b32 v78, v82, v54
	s_wait_dscnt 0xa
	v_add_f32_e32 v63, v45, v63
	ds_bpermute_b32 v45, v82, v52
	v_add_f32_e32 v72, v81, v72
	ds_bpermute_b32 v80, v82, v67
	s_wait_dscnt 0xa
	v_add_f32_e32 v71, v50, v71
	ds_bpermute_b32 v81, v88, v63
	ds_bpermute_b32 v50, v82, v70
	v_add_f32_e32 v58, v58, v73
	s_wait_dscnt 0x9
	v_add_f32_e32 v62, v62, v75
	s_wait_dscnt 0x8
	;; [unrolled: 2-line block ×4, first 2 shown]
	v_dual_add_f32 v44, v46, v55 :: v_dual_add_f32 v77, v47, v77
	ds_bpermute_b32 v73, v82, v72
	v_add_f32_e32 v47, v59, v61
	s_wait_dscnt 0x4
	v_add_f32_e32 v82, v52, v45
	ds_bpermute_b32 v83, v88, v60
	v_add_f32_e32 v45, v48, v56
	ds_bpermute_b32 v84, v88, v62
	s_wait_dscnt 0x5
	v_dual_add_f32 v78, v54, v78 :: v_dual_add_f32 v67, v67, v80
	ds_bpermute_b32 v74, v88, v58
	ds_bpermute_b32 v52, v88, v71
	;; [unrolled: 1-line block ×4, first 2 shown]
	v_add_f32_e32 v46, v49, v57
	v_add_f32_e32 v49, v65, v68
	ds_bpermute_b32 v75, v88, v82
	s_wait_dscnt 0x7
	v_add_f32_e32 v72, v72, v73
	s_wait_dscnt 0x6
	v_add_f32_e32 v55, v60, v83
	ds_bpermute_b32 v85, v88, v78
	v_add_f32_e32 v48, v51, v64
	s_wait_dscnt 0x6
	v_dual_add_f32 v51, v63, v81 :: v_dual_add_f32 v56, v62, v84
	s_clause 0x1
	scratch_load_b32 v63, off, off offset:628
	scratch_load_b32 v62, off, off offset:636 th:TH_LOAD_LU
	v_add_f32_e32 v66, v66, v79
	ds_bpermute_b32 v79, v88, v76
	s_wait_dscnt 0x3
	v_dual_add_f32 v70, v70, v50 :: v_dual_add_f32 v61, v67, v87
	ds_bpermute_b32 v86, v88, v66
	s_wait_dscnt 0x3
	v_add_f32_e32 v54, v82, v75
	s_wait_dscnt 0x2
	v_add_f32_e32 v59, v78, v85
	;; [unrolled: 2-line block ×3, first 2 shown]
	ds_bpermute_b32 v73, v88, v70
	s_wait_dscnt 0x1
	v_add_f32_e32 v60, v66, v86
	scratch_load_b32 v66, off, off offset:640 th:TH_LOAD_LU ; 4-byte Folded Reload
	v_dual_add_f32 v50, v53, v69 :: v_dual_add_f32 v53, v58, v74
	ds_bpermute_b32 v88, v88, v72
	v_add_f32_e32 v52, v71, v52
	v_add_f32_e32 v58, v77, v80
	s_wait_storecnt 0x0
	s_wait_loadcnt_dscnt 0x0
	s_barrier_signal -1
	s_barrier_wait -1
	global_inv scope:SCOPE_SE
	v_and_b32_e32 v65, 7, v63
	v_lshrrev_b32_e32 v64, 3, v62
	v_dual_add_f32 v62, v70, v73 :: v_dual_and_b32 v67, 0x3c0, v63
	v_add_f32_e32 v63, v72, v88
	s_delay_alu instid0(VALU_DEP_4) | instskip(NEXT) | instid1(VALU_DEP_4)
	v_cmp_eq_u32_e32 vcc_lo, 0, v65
	v_lshl_add_u32 v65, v64, 2, 0x420
	v_lshlrev_b32_e32 v66, 10, v66
	v_cmpx_eq_u32_e32 64, v67
	s_cbranch_execz .LBB62_161
; %bb.159:
	s_and_b32 exec_lo, exec_lo, vcc_lo
	s_cbranch_execz .LBB62_161
; %bb.160:
	v_add_nc_u32_e32 v67, v65, v66
	s_delay_alu instid0(VALU_DEP_1)
	v_add_nc_u32_e32 v68, 0xfffff800, v67
	v_add_nc_u32_e32 v69, 0xfffff810, v67
	v_add_nc_u32_e32 v70, 0xfffff820, v67
	v_add_nc_u32_e32 v71, 0xfffff830, v67
	v_add_nc_u32_e32 v72, 0xfffff840, v67
	v_add_nc_u32_e32 v73, 0xfffff850, v67
	v_add_nc_u32_e32 v74, 0xfffff860, v67
	v_add_nc_u32_e32 v75, 0xfffff870, v67
	ds_store_b32 v68, v0
	ds_store_b32 v69, v1
	ds_store_b32 v70, v2
	ds_store_b32 v71, v3
	ds_store_b32 v72, v4
	ds_store_b32 v73, v5
	ds_store_b32 v74, v6
	ds_store_b32 v75, v7
	v_add_nc_u32_e32 v68, 0xfffff880, v67
	v_add_nc_u32_e32 v69, 0xfffff890, v67
	v_add_nc_u32_e32 v70, 0xfffff8a0, v67
	v_add_nc_u32_e32 v71, 0xfffff8b0, v67
	v_add_nc_u32_e32 v72, 0xfffff8c0, v67
	v_add_nc_u32_e32 v73, 0xfffff8d0, v67
	v_add_nc_u32_e32 v74, 0xfffff8e0, v67
	v_add_nc_u32_e32 v75, 0xfffff8f0, v67
	ds_store_b32 v68, v8
	ds_store_b32 v69, v9
	ds_store_b32 v70, v10
	ds_store_b32 v71, v11
	ds_store_b32 v72, v12
	ds_store_b32 v73, v13
	ds_store_b32 v74, v14
	ds_store_b32 v75, v15
	;; [unrolled: 16-line block ×8, first 2 shown]
.LBB62_161:
	s_wait_alu 0xfffe
	s_or_b32 exec_lo, exec_lo, s1
	v_lshlrev_b32_e32 v64, 2, v64
	s_wait_loadcnt_dscnt 0x0
	s_barrier_signal -1
	s_barrier_wait -1
	global_inv scope:SCOPE_SE
	v_add3_u32 v64, 0x420, v66, v64
	s_and_saveexec_b32 s0, s2
	s_cbranch_execz .LBB62_228
; %bb.162:
	s_and_saveexec_b32 s1, vcc_lo
	s_cbranch_execnz .LBB62_300
; %bb.163:
	s_wait_alu 0xfffe
	s_or_b32 exec_lo, exec_lo, s1
	s_and_saveexec_b32 s1, vcc_lo
	s_cbranch_execnz .LBB62_301
.LBB62_164:
	s_wait_alu 0xfffe
	s_or_b32 exec_lo, exec_lo, s1
	s_and_saveexec_b32 s1, vcc_lo
	s_cbranch_execnz .LBB62_302
.LBB62_165:
	s_wait_alu 0xfffe
	s_or_b32 exec_lo, exec_lo, s1
	s_and_saveexec_b32 s1, vcc_lo
	s_cbranch_execnz .LBB62_303
.LBB62_166:
	s_wait_alu 0xfffe
	s_or_b32 exec_lo, exec_lo, s1
	s_and_saveexec_b32 s1, vcc_lo
	s_cbranch_execnz .LBB62_304
.LBB62_167:
	s_wait_alu 0xfffe
	s_or_b32 exec_lo, exec_lo, s1
	s_and_saveexec_b32 s1, vcc_lo
	s_cbranch_execnz .LBB62_305
.LBB62_168:
	s_wait_alu 0xfffe
	s_or_b32 exec_lo, exec_lo, s1
	s_and_saveexec_b32 s1, vcc_lo
	s_cbranch_execnz .LBB62_306
.LBB62_169:
	s_wait_alu 0xfffe
	s_or_b32 exec_lo, exec_lo, s1
	s_and_saveexec_b32 s1, vcc_lo
	s_cbranch_execnz .LBB62_307
.LBB62_170:
	s_wait_alu 0xfffe
	s_or_b32 exec_lo, exec_lo, s1
	s_and_saveexec_b32 s1, vcc_lo
	s_cbranch_execnz .LBB62_308
.LBB62_171:
	s_wait_alu 0xfffe
	s_or_b32 exec_lo, exec_lo, s1
	s_and_saveexec_b32 s1, vcc_lo
	s_cbranch_execnz .LBB62_309
.LBB62_172:
	s_wait_alu 0xfffe
	s_or_b32 exec_lo, exec_lo, s1
	s_and_saveexec_b32 s1, vcc_lo
	s_cbranch_execnz .LBB62_310
.LBB62_173:
	s_wait_alu 0xfffe
	s_or_b32 exec_lo, exec_lo, s1
	s_and_saveexec_b32 s1, vcc_lo
	s_cbranch_execnz .LBB62_311
.LBB62_174:
	s_wait_alu 0xfffe
	s_or_b32 exec_lo, exec_lo, s1
	s_and_saveexec_b32 s1, vcc_lo
	s_cbranch_execnz .LBB62_312
.LBB62_175:
	s_wait_alu 0xfffe
	s_or_b32 exec_lo, exec_lo, s1
	s_and_saveexec_b32 s1, vcc_lo
	s_cbranch_execnz .LBB62_313
.LBB62_176:
	s_wait_alu 0xfffe
	s_or_b32 exec_lo, exec_lo, s1
	s_and_saveexec_b32 s1, vcc_lo
	s_cbranch_execnz .LBB62_314
.LBB62_177:
	s_wait_alu 0xfffe
	s_or_b32 exec_lo, exec_lo, s1
	s_and_saveexec_b32 s1, vcc_lo
	s_cbranch_execnz .LBB62_315
.LBB62_178:
	s_wait_alu 0xfffe
	s_or_b32 exec_lo, exec_lo, s1
	s_and_saveexec_b32 s1, vcc_lo
	s_cbranch_execnz .LBB62_316
.LBB62_179:
	s_wait_alu 0xfffe
	s_or_b32 exec_lo, exec_lo, s1
	s_and_saveexec_b32 s1, vcc_lo
	s_cbranch_execnz .LBB62_317
.LBB62_180:
	s_wait_alu 0xfffe
	s_or_b32 exec_lo, exec_lo, s1
	s_and_saveexec_b32 s1, vcc_lo
	s_cbranch_execnz .LBB62_318
.LBB62_181:
	s_wait_alu 0xfffe
	s_or_b32 exec_lo, exec_lo, s1
	s_and_saveexec_b32 s1, vcc_lo
	s_cbranch_execnz .LBB62_319
.LBB62_182:
	s_wait_alu 0xfffe
	s_or_b32 exec_lo, exec_lo, s1
	s_and_saveexec_b32 s1, vcc_lo
	s_cbranch_execnz .LBB62_320
.LBB62_183:
	s_wait_alu 0xfffe
	s_or_b32 exec_lo, exec_lo, s1
	s_and_saveexec_b32 s1, vcc_lo
	s_cbranch_execnz .LBB62_321
.LBB62_184:
	s_wait_alu 0xfffe
	s_or_b32 exec_lo, exec_lo, s1
	s_and_saveexec_b32 s1, vcc_lo
	s_cbranch_execnz .LBB62_322
.LBB62_185:
	s_wait_alu 0xfffe
	s_or_b32 exec_lo, exec_lo, s1
	s_and_saveexec_b32 s1, vcc_lo
	s_cbranch_execnz .LBB62_323
.LBB62_186:
	s_wait_alu 0xfffe
	s_or_b32 exec_lo, exec_lo, s1
	s_and_saveexec_b32 s1, vcc_lo
	s_cbranch_execnz .LBB62_324
.LBB62_187:
	s_wait_alu 0xfffe
	s_or_b32 exec_lo, exec_lo, s1
	s_and_saveexec_b32 s1, vcc_lo
	s_cbranch_execnz .LBB62_325
.LBB62_188:
	s_wait_alu 0xfffe
	s_or_b32 exec_lo, exec_lo, s1
	s_and_saveexec_b32 s1, vcc_lo
	s_cbranch_execnz .LBB62_326
.LBB62_189:
	s_wait_alu 0xfffe
	s_or_b32 exec_lo, exec_lo, s1
	s_and_saveexec_b32 s1, vcc_lo
	s_cbranch_execnz .LBB62_327
.LBB62_190:
	s_wait_alu 0xfffe
	s_or_b32 exec_lo, exec_lo, s1
	s_and_saveexec_b32 s1, vcc_lo
	s_cbranch_execnz .LBB62_328
.LBB62_191:
	s_wait_alu 0xfffe
	s_or_b32 exec_lo, exec_lo, s1
	s_and_saveexec_b32 s1, vcc_lo
	s_cbranch_execnz .LBB62_329
.LBB62_192:
	s_wait_alu 0xfffe
	s_or_b32 exec_lo, exec_lo, s1
	s_and_saveexec_b32 s1, vcc_lo
	s_cbranch_execnz .LBB62_330
.LBB62_193:
	s_wait_alu 0xfffe
	s_or_b32 exec_lo, exec_lo, s1
	s_and_saveexec_b32 s1, vcc_lo
	s_cbranch_execnz .LBB62_331
.LBB62_194:
	s_wait_alu 0xfffe
	s_or_b32 exec_lo, exec_lo, s1
	s_and_saveexec_b32 s1, vcc_lo
	s_cbranch_execnz .LBB62_332
.LBB62_195:
	s_wait_alu 0xfffe
	s_or_b32 exec_lo, exec_lo, s1
	s_and_saveexec_b32 s1, vcc_lo
	s_cbranch_execnz .LBB62_333
.LBB62_196:
	s_wait_alu 0xfffe
	s_or_b32 exec_lo, exec_lo, s1
	s_and_saveexec_b32 s1, vcc_lo
	s_cbranch_execnz .LBB62_334
.LBB62_197:
	s_wait_alu 0xfffe
	s_or_b32 exec_lo, exec_lo, s1
	s_and_saveexec_b32 s1, vcc_lo
	s_cbranch_execnz .LBB62_335
.LBB62_198:
	s_wait_alu 0xfffe
	s_or_b32 exec_lo, exec_lo, s1
	s_and_saveexec_b32 s1, vcc_lo
	s_cbranch_execnz .LBB62_336
.LBB62_199:
	s_wait_alu 0xfffe
	s_or_b32 exec_lo, exec_lo, s1
	s_and_saveexec_b32 s1, vcc_lo
	s_cbranch_execnz .LBB62_337
.LBB62_200:
	s_wait_alu 0xfffe
	s_or_b32 exec_lo, exec_lo, s1
	s_and_saveexec_b32 s1, vcc_lo
	s_cbranch_execnz .LBB62_338
.LBB62_201:
	s_wait_alu 0xfffe
	s_or_b32 exec_lo, exec_lo, s1
	s_and_saveexec_b32 s1, vcc_lo
	s_cbranch_execnz .LBB62_339
.LBB62_202:
	s_wait_alu 0xfffe
	s_or_b32 exec_lo, exec_lo, s1
	s_and_saveexec_b32 s1, vcc_lo
	s_cbranch_execnz .LBB62_340
.LBB62_203:
	s_wait_alu 0xfffe
	s_or_b32 exec_lo, exec_lo, s1
	s_and_saveexec_b32 s1, vcc_lo
	s_cbranch_execnz .LBB62_341
.LBB62_204:
	s_wait_alu 0xfffe
	s_or_b32 exec_lo, exec_lo, s1
	s_and_saveexec_b32 s1, vcc_lo
	s_cbranch_execnz .LBB62_342
.LBB62_205:
	s_wait_alu 0xfffe
	s_or_b32 exec_lo, exec_lo, s1
	s_and_saveexec_b32 s1, vcc_lo
	s_cbranch_execnz .LBB62_343
.LBB62_206:
	s_wait_alu 0xfffe
	s_or_b32 exec_lo, exec_lo, s1
	s_and_saveexec_b32 s1, vcc_lo
	s_cbranch_execnz .LBB62_344
.LBB62_207:
	s_wait_alu 0xfffe
	s_or_b32 exec_lo, exec_lo, s1
	s_and_saveexec_b32 s1, vcc_lo
	s_cbranch_execnz .LBB62_345
.LBB62_208:
	s_wait_alu 0xfffe
	s_or_b32 exec_lo, exec_lo, s1
	s_and_saveexec_b32 s1, vcc_lo
	s_cbranch_execnz .LBB62_346
.LBB62_209:
	s_wait_alu 0xfffe
	s_or_b32 exec_lo, exec_lo, s1
	s_and_saveexec_b32 s1, vcc_lo
	s_cbranch_execnz .LBB62_347
.LBB62_210:
	s_wait_alu 0xfffe
	s_or_b32 exec_lo, exec_lo, s1
	s_and_saveexec_b32 s1, vcc_lo
	s_cbranch_execnz .LBB62_348
.LBB62_211:
	s_wait_alu 0xfffe
	s_or_b32 exec_lo, exec_lo, s1
	s_and_saveexec_b32 s1, vcc_lo
	s_cbranch_execnz .LBB62_349
.LBB62_212:
	s_wait_alu 0xfffe
	s_or_b32 exec_lo, exec_lo, s1
	s_and_saveexec_b32 s1, vcc_lo
	s_cbranch_execnz .LBB62_350
.LBB62_213:
	s_wait_alu 0xfffe
	s_or_b32 exec_lo, exec_lo, s1
	s_and_saveexec_b32 s1, vcc_lo
	s_cbranch_execnz .LBB62_351
.LBB62_214:
	s_wait_alu 0xfffe
	s_or_b32 exec_lo, exec_lo, s1
	s_and_saveexec_b32 s1, vcc_lo
	s_cbranch_execnz .LBB62_352
.LBB62_215:
	s_wait_alu 0xfffe
	s_or_b32 exec_lo, exec_lo, s1
	s_and_saveexec_b32 s1, vcc_lo
	s_cbranch_execnz .LBB62_353
.LBB62_216:
	s_wait_alu 0xfffe
	s_or_b32 exec_lo, exec_lo, s1
	s_and_saveexec_b32 s1, vcc_lo
	s_cbranch_execnz .LBB62_354
.LBB62_217:
	s_wait_alu 0xfffe
	s_or_b32 exec_lo, exec_lo, s1
	s_and_saveexec_b32 s1, vcc_lo
	s_cbranch_execnz .LBB62_355
.LBB62_218:
	s_wait_alu 0xfffe
	s_or_b32 exec_lo, exec_lo, s1
	s_and_saveexec_b32 s1, vcc_lo
	s_cbranch_execnz .LBB62_356
.LBB62_219:
	s_wait_alu 0xfffe
	s_or_b32 exec_lo, exec_lo, s1
	s_and_saveexec_b32 s1, vcc_lo
	s_cbranch_execnz .LBB62_357
.LBB62_220:
	s_wait_alu 0xfffe
	s_or_b32 exec_lo, exec_lo, s1
	s_and_saveexec_b32 s1, vcc_lo
	s_cbranch_execnz .LBB62_358
.LBB62_221:
	s_wait_alu 0xfffe
	s_or_b32 exec_lo, exec_lo, s1
	s_and_saveexec_b32 s1, vcc_lo
	s_cbranch_execnz .LBB62_359
.LBB62_222:
	s_wait_alu 0xfffe
	s_or_b32 exec_lo, exec_lo, s1
	s_and_saveexec_b32 s1, vcc_lo
	s_cbranch_execnz .LBB62_360
.LBB62_223:
	s_wait_alu 0xfffe
	s_or_b32 exec_lo, exec_lo, s1
	s_and_saveexec_b32 s1, vcc_lo
	s_cbranch_execnz .LBB62_361
.LBB62_224:
	s_wait_alu 0xfffe
	s_or_b32 exec_lo, exec_lo, s1
	s_and_saveexec_b32 s1, vcc_lo
	s_cbranch_execnz .LBB62_362
.LBB62_225:
	s_wait_alu 0xfffe
	s_or_b32 exec_lo, exec_lo, s1
	s_and_saveexec_b32 s1, vcc_lo
	s_cbranch_execz .LBB62_227
.LBB62_226:
	ds_load_b32 v66, v64 offset:1008
	s_wait_dscnt 0x0
	v_add_f32_e32 v63, v63, v66
.LBB62_227:
	s_wait_alu 0xfffe
	s_or_b32 exec_lo, exec_lo, s1
.LBB62_228:
	s_wait_alu 0xfffe
	s_or_b32 exec_lo, exec_lo, s0
	scratch_load_b32 v66, off, off offset:628 ; 4-byte Folded Reload
	s_mov_b32 s1, exec_lo
	s_wait_loadcnt 0x0
	s_barrier_signal -1
	s_barrier_wait -1
	global_inv scope:SCOPE_SE
	v_and_b32_e32 v66, 0x3e7, v66
	s_delay_alu instid0(VALU_DEP_1)
	v_cmpx_eq_u32_e32 32, v66
	s_cbranch_execz .LBB62_230
; %bb.229:
	ds_store_2addr_b32 v65, v0, v1 offset1:4
	ds_store_2addr_b32 v65, v2, v3 offset0:8 offset1:12
	ds_store_2addr_b32 v65, v4, v5 offset0:16 offset1:20
	;; [unrolled: 1-line block ×31, first 2 shown]
.LBB62_230:
	s_wait_alu 0xfffe
	s_or_b32 exec_lo, exec_lo, s1
	scratch_load_b32 v65, off, off offset:628 ; 4-byte Folded Reload
	s_mov_b32 s1, exec_lo
	s_wait_loadcnt_dscnt 0x0
	s_barrier_signal -1
	s_barrier_wait -1
	global_inv scope:SCOPE_SE
	v_cmpx_gt_u32_e32 32, v65
	s_cbranch_execz .LBB62_297
; %bb.231:
	s_and_saveexec_b32 s0, vcc_lo
	s_cbranch_execnz .LBB62_363
; %bb.232:
	s_wait_alu 0xfffe
	s_or_b32 exec_lo, exec_lo, s0
	s_and_saveexec_b32 s0, vcc_lo
	s_cbranch_execnz .LBB62_364
.LBB62_233:
	s_wait_alu 0xfffe
	s_or_b32 exec_lo, exec_lo, s0
	s_and_saveexec_b32 s0, vcc_lo
	s_cbranch_execnz .LBB62_365
.LBB62_234:
	s_wait_alu 0xfffe
	s_or_b32 exec_lo, exec_lo, s0
	s_and_saveexec_b32 s0, vcc_lo
	s_cbranch_execnz .LBB62_366
.LBB62_235:
	s_wait_alu 0xfffe
	s_or_b32 exec_lo, exec_lo, s0
	s_and_saveexec_b32 s0, vcc_lo
	s_cbranch_execnz .LBB62_367
.LBB62_236:
	s_wait_alu 0xfffe
	s_or_b32 exec_lo, exec_lo, s0
	s_and_saveexec_b32 s0, vcc_lo
	s_cbranch_execnz .LBB62_368
.LBB62_237:
	s_wait_alu 0xfffe
	s_or_b32 exec_lo, exec_lo, s0
	s_and_saveexec_b32 s0, vcc_lo
	s_cbranch_execnz .LBB62_369
.LBB62_238:
	s_wait_alu 0xfffe
	s_or_b32 exec_lo, exec_lo, s0
	s_and_saveexec_b32 s0, vcc_lo
	s_cbranch_execnz .LBB62_370
.LBB62_239:
	s_wait_alu 0xfffe
	s_or_b32 exec_lo, exec_lo, s0
	s_and_saveexec_b32 s0, vcc_lo
	s_cbranch_execnz .LBB62_371
.LBB62_240:
	s_wait_alu 0xfffe
	s_or_b32 exec_lo, exec_lo, s0
	s_and_saveexec_b32 s0, vcc_lo
	s_cbranch_execnz .LBB62_372
.LBB62_241:
	s_wait_alu 0xfffe
	s_or_b32 exec_lo, exec_lo, s0
	s_and_saveexec_b32 s0, vcc_lo
	s_cbranch_execnz .LBB62_373
.LBB62_242:
	s_wait_alu 0xfffe
	s_or_b32 exec_lo, exec_lo, s0
	s_and_saveexec_b32 s0, vcc_lo
	s_cbranch_execnz .LBB62_374
.LBB62_243:
	s_wait_alu 0xfffe
	s_or_b32 exec_lo, exec_lo, s0
	s_and_saveexec_b32 s0, vcc_lo
	s_cbranch_execnz .LBB62_375
.LBB62_244:
	s_wait_alu 0xfffe
	s_or_b32 exec_lo, exec_lo, s0
	s_and_saveexec_b32 s0, vcc_lo
	s_cbranch_execnz .LBB62_376
.LBB62_245:
	s_wait_alu 0xfffe
	s_or_b32 exec_lo, exec_lo, s0
	s_and_saveexec_b32 s0, vcc_lo
	s_cbranch_execnz .LBB62_377
.LBB62_246:
	s_wait_alu 0xfffe
	s_or_b32 exec_lo, exec_lo, s0
	s_and_saveexec_b32 s0, vcc_lo
	s_cbranch_execnz .LBB62_378
.LBB62_247:
	s_wait_alu 0xfffe
	s_or_b32 exec_lo, exec_lo, s0
	s_and_saveexec_b32 s0, vcc_lo
	s_cbranch_execnz .LBB62_379
.LBB62_248:
	s_wait_alu 0xfffe
	s_or_b32 exec_lo, exec_lo, s0
	s_and_saveexec_b32 s0, vcc_lo
	s_cbranch_execnz .LBB62_380
.LBB62_249:
	s_wait_alu 0xfffe
	s_or_b32 exec_lo, exec_lo, s0
	s_and_saveexec_b32 s0, vcc_lo
	s_cbranch_execnz .LBB62_381
.LBB62_250:
	s_wait_alu 0xfffe
	s_or_b32 exec_lo, exec_lo, s0
	s_and_saveexec_b32 s0, vcc_lo
	s_cbranch_execnz .LBB62_382
.LBB62_251:
	s_wait_alu 0xfffe
	s_or_b32 exec_lo, exec_lo, s0
	s_and_saveexec_b32 s0, vcc_lo
	s_cbranch_execnz .LBB62_383
.LBB62_252:
	s_wait_alu 0xfffe
	s_or_b32 exec_lo, exec_lo, s0
	s_and_saveexec_b32 s0, vcc_lo
	s_cbranch_execnz .LBB62_384
.LBB62_253:
	s_wait_alu 0xfffe
	s_or_b32 exec_lo, exec_lo, s0
	s_and_saveexec_b32 s0, vcc_lo
	s_cbranch_execnz .LBB62_385
.LBB62_254:
	s_wait_alu 0xfffe
	s_or_b32 exec_lo, exec_lo, s0
	s_and_saveexec_b32 s0, vcc_lo
	s_cbranch_execnz .LBB62_386
.LBB62_255:
	s_wait_alu 0xfffe
	s_or_b32 exec_lo, exec_lo, s0
	s_and_saveexec_b32 s0, vcc_lo
	s_cbranch_execnz .LBB62_387
.LBB62_256:
	s_wait_alu 0xfffe
	s_or_b32 exec_lo, exec_lo, s0
	s_and_saveexec_b32 s0, vcc_lo
	s_cbranch_execnz .LBB62_388
.LBB62_257:
	s_wait_alu 0xfffe
	s_or_b32 exec_lo, exec_lo, s0
	s_and_saveexec_b32 s0, vcc_lo
	s_cbranch_execnz .LBB62_389
.LBB62_258:
	s_wait_alu 0xfffe
	s_or_b32 exec_lo, exec_lo, s0
	s_and_saveexec_b32 s0, vcc_lo
	s_cbranch_execnz .LBB62_390
.LBB62_259:
	s_wait_alu 0xfffe
	s_or_b32 exec_lo, exec_lo, s0
	s_and_saveexec_b32 s0, vcc_lo
	s_cbranch_execnz .LBB62_391
.LBB62_260:
	s_wait_alu 0xfffe
	s_or_b32 exec_lo, exec_lo, s0
	s_and_saveexec_b32 s0, vcc_lo
	s_cbranch_execnz .LBB62_392
.LBB62_261:
	s_wait_alu 0xfffe
	s_or_b32 exec_lo, exec_lo, s0
	s_and_saveexec_b32 s0, vcc_lo
	s_cbranch_execnz .LBB62_393
.LBB62_262:
	s_wait_alu 0xfffe
	s_or_b32 exec_lo, exec_lo, s0
	s_and_saveexec_b32 s0, vcc_lo
	s_cbranch_execnz .LBB62_394
.LBB62_263:
	s_wait_alu 0xfffe
	s_or_b32 exec_lo, exec_lo, s0
	s_and_saveexec_b32 s0, vcc_lo
	s_cbranch_execnz .LBB62_395
.LBB62_264:
	s_wait_alu 0xfffe
	s_or_b32 exec_lo, exec_lo, s0
	s_and_saveexec_b32 s0, vcc_lo
	s_cbranch_execnz .LBB62_396
.LBB62_265:
	s_wait_alu 0xfffe
	s_or_b32 exec_lo, exec_lo, s0
	s_and_saveexec_b32 s0, vcc_lo
	s_cbranch_execnz .LBB62_397
.LBB62_266:
	s_wait_alu 0xfffe
	s_or_b32 exec_lo, exec_lo, s0
	s_and_saveexec_b32 s0, vcc_lo
	s_cbranch_execnz .LBB62_398
.LBB62_267:
	s_wait_alu 0xfffe
	s_or_b32 exec_lo, exec_lo, s0
	s_and_saveexec_b32 s0, vcc_lo
	s_cbranch_execnz .LBB62_399
.LBB62_268:
	s_wait_alu 0xfffe
	s_or_b32 exec_lo, exec_lo, s0
	s_and_saveexec_b32 s0, vcc_lo
	s_cbranch_execnz .LBB62_400
.LBB62_269:
	s_wait_alu 0xfffe
	s_or_b32 exec_lo, exec_lo, s0
	s_and_saveexec_b32 s0, vcc_lo
	s_cbranch_execnz .LBB62_401
.LBB62_270:
	s_wait_alu 0xfffe
	s_or_b32 exec_lo, exec_lo, s0
	s_and_saveexec_b32 s0, vcc_lo
	s_cbranch_execnz .LBB62_402
.LBB62_271:
	s_wait_alu 0xfffe
	s_or_b32 exec_lo, exec_lo, s0
	s_and_saveexec_b32 s0, vcc_lo
	s_cbranch_execnz .LBB62_403
.LBB62_272:
	s_wait_alu 0xfffe
	s_or_b32 exec_lo, exec_lo, s0
	s_and_saveexec_b32 s0, vcc_lo
	s_cbranch_execnz .LBB62_404
.LBB62_273:
	s_wait_alu 0xfffe
	s_or_b32 exec_lo, exec_lo, s0
	s_and_saveexec_b32 s0, vcc_lo
	s_cbranch_execnz .LBB62_405
.LBB62_274:
	s_wait_alu 0xfffe
	s_or_b32 exec_lo, exec_lo, s0
	s_and_saveexec_b32 s0, vcc_lo
	s_cbranch_execnz .LBB62_406
.LBB62_275:
	s_wait_alu 0xfffe
	s_or_b32 exec_lo, exec_lo, s0
	s_and_saveexec_b32 s0, vcc_lo
	s_cbranch_execnz .LBB62_407
.LBB62_276:
	s_wait_alu 0xfffe
	s_or_b32 exec_lo, exec_lo, s0
	s_and_saveexec_b32 s0, vcc_lo
	s_cbranch_execnz .LBB62_408
.LBB62_277:
	s_wait_alu 0xfffe
	s_or_b32 exec_lo, exec_lo, s0
	s_and_saveexec_b32 s0, vcc_lo
	s_cbranch_execnz .LBB62_409
.LBB62_278:
	s_wait_alu 0xfffe
	s_or_b32 exec_lo, exec_lo, s0
	s_and_saveexec_b32 s0, vcc_lo
	s_cbranch_execnz .LBB62_410
.LBB62_279:
	s_wait_alu 0xfffe
	s_or_b32 exec_lo, exec_lo, s0
	s_and_saveexec_b32 s0, vcc_lo
	s_cbranch_execnz .LBB62_411
.LBB62_280:
	s_wait_alu 0xfffe
	s_or_b32 exec_lo, exec_lo, s0
	s_and_saveexec_b32 s0, vcc_lo
	s_cbranch_execnz .LBB62_412
.LBB62_281:
	s_wait_alu 0xfffe
	s_or_b32 exec_lo, exec_lo, s0
	s_and_saveexec_b32 s0, vcc_lo
	s_cbranch_execnz .LBB62_413
.LBB62_282:
	s_wait_alu 0xfffe
	s_or_b32 exec_lo, exec_lo, s0
	s_and_saveexec_b32 s0, vcc_lo
	s_cbranch_execnz .LBB62_414
.LBB62_283:
	s_wait_alu 0xfffe
	s_or_b32 exec_lo, exec_lo, s0
	s_and_saveexec_b32 s0, vcc_lo
	s_cbranch_execnz .LBB62_415
.LBB62_284:
	s_wait_alu 0xfffe
	s_or_b32 exec_lo, exec_lo, s0
	s_and_saveexec_b32 s0, vcc_lo
	s_cbranch_execnz .LBB62_416
.LBB62_285:
	s_wait_alu 0xfffe
	s_or_b32 exec_lo, exec_lo, s0
	s_and_saveexec_b32 s0, vcc_lo
	s_cbranch_execnz .LBB62_417
.LBB62_286:
	s_wait_alu 0xfffe
	s_or_b32 exec_lo, exec_lo, s0
	s_and_saveexec_b32 s0, vcc_lo
	s_cbranch_execnz .LBB62_418
.LBB62_287:
	s_wait_alu 0xfffe
	s_or_b32 exec_lo, exec_lo, s0
	s_and_saveexec_b32 s0, vcc_lo
	s_cbranch_execnz .LBB62_419
.LBB62_288:
	s_wait_alu 0xfffe
	s_or_b32 exec_lo, exec_lo, s0
	s_and_saveexec_b32 s0, vcc_lo
	s_cbranch_execnz .LBB62_420
.LBB62_289:
	s_wait_alu 0xfffe
	s_or_b32 exec_lo, exec_lo, s0
	s_and_saveexec_b32 s0, vcc_lo
	s_cbranch_execnz .LBB62_421
.LBB62_290:
	s_wait_alu 0xfffe
	s_or_b32 exec_lo, exec_lo, s0
	s_and_saveexec_b32 s0, vcc_lo
	s_cbranch_execnz .LBB62_422
.LBB62_291:
	s_wait_alu 0xfffe
	s_or_b32 exec_lo, exec_lo, s0
	s_and_saveexec_b32 s0, vcc_lo
	s_cbranch_execnz .LBB62_423
.LBB62_292:
	s_wait_alu 0xfffe
	s_or_b32 exec_lo, exec_lo, s0
	s_and_saveexec_b32 s0, vcc_lo
	s_cbranch_execnz .LBB62_424
.LBB62_293:
	s_wait_alu 0xfffe
	s_or_b32 exec_lo, exec_lo, s0
	s_and_saveexec_b32 s0, vcc_lo
	s_cbranch_execnz .LBB62_425
.LBB62_294:
	s_wait_alu 0xfffe
	s_or_b32 exec_lo, exec_lo, s0
	s_and_saveexec_b32 s0, vcc_lo
	s_cbranch_execz .LBB62_296
.LBB62_295:
	ds_load_b32 v64, v64 offset:1008
	s_wait_dscnt 0x0
	v_add_f32_e32 v63, v63, v64
.LBB62_296:
	s_wait_alu 0xfffe
	s_or_b32 exec_lo, exec_lo, s0
.LBB62_297:
	s_wait_alu 0xfffe
	s_or_b32 exec_lo, exec_lo, s1
	s_mov_b32 s1, 0
	s_wait_loadcnt 0x0
	s_barrier_signal -1
	s_barrier_wait -1
	global_inv scope:SCOPE_SE
	s_mov_b32 s0, exec_lo
	v_cmpx_eq_u32_e32 0, v66
	s_cbranch_execz .LBB62_299
; %bb.298:
	scratch_load_b32 v64, off, off offset:628 th:TH_LOAD_LU ; 4-byte Folded Reload
	s_lshl_b32 s2, s4, 8
	s_mul_i32 s4, s7, s6
	s_wait_alu 0xfffe
	s_ashr_i32 s3, s2, 31
	s_ashr_i32 s5, s4, 31
	s_wait_alu 0xfffe
	s_lshl_b64 s[2:3], s[2:3], 2
	s_lshl_b64 s[4:5], s[4:5], 2
	s_wait_kmcnt 0x0
	s_wait_alu 0xfffe
	s_add_nc_u64 s[2:3], s[14:15], s[2:3]
	s_lshl_b32 s0, s24, 10
	s_wait_alu 0xfffe
	s_add_nc_u64 s[2:3], s[2:3], s[4:5]
	s_wait_alu 0xfffe
	s_add_nc_u64 s[0:1], s[2:3], s[0:1]
	s_wait_loadcnt 0x0
	v_lshrrev_b32_e32 v64, 1, v64
	s_clause 0x1f
	global_store_b32 v64, v0, s[0:1]
	global_store_b32 v64, v1, s[0:1] offset:16
	global_store_b32 v64, v2, s[0:1] offset:32
	;; [unrolled: 1-line block ×31, first 2 shown]
	s_clause 0x1f
	global_store_b32 v64, v32, s[0:1] offset:512
	global_store_b32 v64, v33, s[0:1] offset:528
	;; [unrolled: 1-line block ×32, first 2 shown]
.LBB62_299:
	s_nop 0
	s_sendmsg sendmsg(MSG_DEALLOC_VGPRS)
	s_endpgm
.LBB62_300:
	ds_load_b32 v66, v64
	s_wait_dscnt 0x0
	v_add_f32_e32 v0, v0, v66
	s_wait_alu 0xfffe
	s_or_b32 exec_lo, exec_lo, s1
	s_and_saveexec_b32 s1, vcc_lo
	s_cbranch_execz .LBB62_164
.LBB62_301:
	ds_load_b32 v66, v64 offset:16
	s_wait_dscnt 0x0
	v_add_f32_e32 v1, v1, v66
	s_wait_alu 0xfffe
	s_or_b32 exec_lo, exec_lo, s1
	s_and_saveexec_b32 s1, vcc_lo
	s_cbranch_execz .LBB62_165
.LBB62_302:
	ds_load_b32 v66, v64 offset:32
	s_wait_dscnt 0x0
	v_add_f32_e32 v2, v2, v66
	s_wait_alu 0xfffe
	s_or_b32 exec_lo, exec_lo, s1
	s_and_saveexec_b32 s1, vcc_lo
	s_cbranch_execz .LBB62_166
.LBB62_303:
	ds_load_b32 v66, v64 offset:48
	s_wait_dscnt 0x0
	v_add_f32_e32 v3, v3, v66
	s_wait_alu 0xfffe
	s_or_b32 exec_lo, exec_lo, s1
	s_and_saveexec_b32 s1, vcc_lo
	s_cbranch_execz .LBB62_167
.LBB62_304:
	ds_load_b32 v66, v64 offset:64
	s_wait_dscnt 0x0
	v_add_f32_e32 v4, v4, v66
	s_wait_alu 0xfffe
	s_or_b32 exec_lo, exec_lo, s1
	s_and_saveexec_b32 s1, vcc_lo
	s_cbranch_execz .LBB62_168
.LBB62_305:
	ds_load_b32 v66, v64 offset:80
	s_wait_dscnt 0x0
	v_add_f32_e32 v5, v5, v66
	s_wait_alu 0xfffe
	s_or_b32 exec_lo, exec_lo, s1
	s_and_saveexec_b32 s1, vcc_lo
	s_cbranch_execz .LBB62_169
.LBB62_306:
	ds_load_b32 v66, v64 offset:96
	s_wait_dscnt 0x0
	v_add_f32_e32 v6, v6, v66
	s_wait_alu 0xfffe
	s_or_b32 exec_lo, exec_lo, s1
	s_and_saveexec_b32 s1, vcc_lo
	s_cbranch_execz .LBB62_170
.LBB62_307:
	ds_load_b32 v66, v64 offset:112
	s_wait_dscnt 0x0
	v_add_f32_e32 v7, v7, v66
	s_wait_alu 0xfffe
	s_or_b32 exec_lo, exec_lo, s1
	s_and_saveexec_b32 s1, vcc_lo
	s_cbranch_execz .LBB62_171
.LBB62_308:
	ds_load_b32 v66, v64 offset:128
	s_wait_dscnt 0x0
	v_add_f32_e32 v8, v8, v66
	s_wait_alu 0xfffe
	s_or_b32 exec_lo, exec_lo, s1
	s_and_saveexec_b32 s1, vcc_lo
	s_cbranch_execz .LBB62_172
.LBB62_309:
	ds_load_b32 v66, v64 offset:144
	s_wait_dscnt 0x0
	v_add_f32_e32 v9, v9, v66
	s_wait_alu 0xfffe
	s_or_b32 exec_lo, exec_lo, s1
	s_and_saveexec_b32 s1, vcc_lo
	s_cbranch_execz .LBB62_173
.LBB62_310:
	ds_load_b32 v66, v64 offset:160
	s_wait_dscnt 0x0
	v_add_f32_e32 v10, v10, v66
	s_wait_alu 0xfffe
	s_or_b32 exec_lo, exec_lo, s1
	s_and_saveexec_b32 s1, vcc_lo
	s_cbranch_execz .LBB62_174
.LBB62_311:
	ds_load_b32 v66, v64 offset:176
	s_wait_dscnt 0x0
	v_add_f32_e32 v11, v11, v66
	s_wait_alu 0xfffe
	s_or_b32 exec_lo, exec_lo, s1
	s_and_saveexec_b32 s1, vcc_lo
	s_cbranch_execz .LBB62_175
.LBB62_312:
	ds_load_b32 v66, v64 offset:192
	s_wait_dscnt 0x0
	v_add_f32_e32 v12, v12, v66
	s_wait_alu 0xfffe
	s_or_b32 exec_lo, exec_lo, s1
	s_and_saveexec_b32 s1, vcc_lo
	s_cbranch_execz .LBB62_176
.LBB62_313:
	ds_load_b32 v66, v64 offset:208
	s_wait_dscnt 0x0
	v_add_f32_e32 v13, v13, v66
	s_wait_alu 0xfffe
	s_or_b32 exec_lo, exec_lo, s1
	s_and_saveexec_b32 s1, vcc_lo
	s_cbranch_execz .LBB62_177
.LBB62_314:
	ds_load_b32 v66, v64 offset:224
	s_wait_dscnt 0x0
	v_add_f32_e32 v14, v14, v66
	s_wait_alu 0xfffe
	s_or_b32 exec_lo, exec_lo, s1
	s_and_saveexec_b32 s1, vcc_lo
	s_cbranch_execz .LBB62_178
.LBB62_315:
	ds_load_b32 v66, v64 offset:240
	s_wait_dscnt 0x0
	v_add_f32_e32 v15, v15, v66
	s_wait_alu 0xfffe
	s_or_b32 exec_lo, exec_lo, s1
	s_and_saveexec_b32 s1, vcc_lo
	s_cbranch_execz .LBB62_179
.LBB62_316:
	ds_load_b32 v66, v64 offset:256
	s_wait_dscnt 0x0
	v_add_f32_e32 v16, v16, v66
	s_wait_alu 0xfffe
	s_or_b32 exec_lo, exec_lo, s1
	s_and_saveexec_b32 s1, vcc_lo
	s_cbranch_execz .LBB62_180
.LBB62_317:
	ds_load_b32 v66, v64 offset:272
	s_wait_dscnt 0x0
	v_add_f32_e32 v17, v17, v66
	s_wait_alu 0xfffe
	s_or_b32 exec_lo, exec_lo, s1
	s_and_saveexec_b32 s1, vcc_lo
	s_cbranch_execz .LBB62_181
.LBB62_318:
	ds_load_b32 v66, v64 offset:288
	s_wait_dscnt 0x0
	v_add_f32_e32 v18, v18, v66
	s_wait_alu 0xfffe
	s_or_b32 exec_lo, exec_lo, s1
	s_and_saveexec_b32 s1, vcc_lo
	s_cbranch_execz .LBB62_182
.LBB62_319:
	ds_load_b32 v66, v64 offset:304
	s_wait_dscnt 0x0
	v_add_f32_e32 v19, v19, v66
	s_wait_alu 0xfffe
	s_or_b32 exec_lo, exec_lo, s1
	s_and_saveexec_b32 s1, vcc_lo
	s_cbranch_execz .LBB62_183
.LBB62_320:
	ds_load_b32 v66, v64 offset:320
	s_wait_dscnt 0x0
	v_add_f32_e32 v20, v20, v66
	s_wait_alu 0xfffe
	s_or_b32 exec_lo, exec_lo, s1
	s_and_saveexec_b32 s1, vcc_lo
	s_cbranch_execz .LBB62_184
.LBB62_321:
	ds_load_b32 v66, v64 offset:336
	s_wait_dscnt 0x0
	v_add_f32_e32 v21, v21, v66
	s_wait_alu 0xfffe
	s_or_b32 exec_lo, exec_lo, s1
	s_and_saveexec_b32 s1, vcc_lo
	s_cbranch_execz .LBB62_185
.LBB62_322:
	ds_load_b32 v66, v64 offset:352
	s_wait_dscnt 0x0
	v_add_f32_e32 v22, v22, v66
	s_wait_alu 0xfffe
	s_or_b32 exec_lo, exec_lo, s1
	s_and_saveexec_b32 s1, vcc_lo
	s_cbranch_execz .LBB62_186
.LBB62_323:
	ds_load_b32 v66, v64 offset:368
	s_wait_dscnt 0x0
	v_add_f32_e32 v23, v23, v66
	s_wait_alu 0xfffe
	s_or_b32 exec_lo, exec_lo, s1
	s_and_saveexec_b32 s1, vcc_lo
	s_cbranch_execz .LBB62_187
.LBB62_324:
	ds_load_b32 v66, v64 offset:384
	s_wait_dscnt 0x0
	v_add_f32_e32 v24, v24, v66
	s_wait_alu 0xfffe
	s_or_b32 exec_lo, exec_lo, s1
	s_and_saveexec_b32 s1, vcc_lo
	s_cbranch_execz .LBB62_188
.LBB62_325:
	ds_load_b32 v66, v64 offset:400
	s_wait_dscnt 0x0
	v_add_f32_e32 v25, v25, v66
	s_wait_alu 0xfffe
	s_or_b32 exec_lo, exec_lo, s1
	s_and_saveexec_b32 s1, vcc_lo
	s_cbranch_execz .LBB62_189
.LBB62_326:
	ds_load_b32 v66, v64 offset:416
	s_wait_dscnt 0x0
	v_add_f32_e32 v26, v26, v66
	s_wait_alu 0xfffe
	s_or_b32 exec_lo, exec_lo, s1
	s_and_saveexec_b32 s1, vcc_lo
	s_cbranch_execz .LBB62_190
.LBB62_327:
	ds_load_b32 v66, v64 offset:432
	s_wait_dscnt 0x0
	v_add_f32_e32 v27, v27, v66
	s_wait_alu 0xfffe
	s_or_b32 exec_lo, exec_lo, s1
	s_and_saveexec_b32 s1, vcc_lo
	s_cbranch_execz .LBB62_191
.LBB62_328:
	ds_load_b32 v66, v64 offset:448
	s_wait_dscnt 0x0
	v_add_f32_e32 v28, v28, v66
	s_wait_alu 0xfffe
	s_or_b32 exec_lo, exec_lo, s1
	s_and_saveexec_b32 s1, vcc_lo
	s_cbranch_execz .LBB62_192
.LBB62_329:
	ds_load_b32 v66, v64 offset:464
	s_wait_dscnt 0x0
	v_add_f32_e32 v29, v29, v66
	s_wait_alu 0xfffe
	s_or_b32 exec_lo, exec_lo, s1
	s_and_saveexec_b32 s1, vcc_lo
	s_cbranch_execz .LBB62_193
.LBB62_330:
	ds_load_b32 v66, v64 offset:480
	s_wait_dscnt 0x0
	v_add_f32_e32 v30, v30, v66
	s_wait_alu 0xfffe
	s_or_b32 exec_lo, exec_lo, s1
	s_and_saveexec_b32 s1, vcc_lo
	s_cbranch_execz .LBB62_194
.LBB62_331:
	ds_load_b32 v66, v64 offset:496
	s_wait_dscnt 0x0
	v_add_f32_e32 v31, v31, v66
	s_wait_alu 0xfffe
	s_or_b32 exec_lo, exec_lo, s1
	s_and_saveexec_b32 s1, vcc_lo
	s_cbranch_execz .LBB62_195
.LBB62_332:
	ds_load_b32 v66, v64 offset:512
	s_wait_dscnt 0x0
	v_add_f32_e32 v32, v32, v66
	s_wait_alu 0xfffe
	s_or_b32 exec_lo, exec_lo, s1
	s_and_saveexec_b32 s1, vcc_lo
	s_cbranch_execz .LBB62_196
.LBB62_333:
	ds_load_b32 v66, v64 offset:528
	s_wait_dscnt 0x0
	v_add_f32_e32 v33, v33, v66
	s_wait_alu 0xfffe
	s_or_b32 exec_lo, exec_lo, s1
	s_and_saveexec_b32 s1, vcc_lo
	s_cbranch_execz .LBB62_197
.LBB62_334:
	ds_load_b32 v66, v64 offset:544
	s_wait_dscnt 0x0
	v_add_f32_e32 v34, v34, v66
	s_wait_alu 0xfffe
	s_or_b32 exec_lo, exec_lo, s1
	s_and_saveexec_b32 s1, vcc_lo
	s_cbranch_execz .LBB62_198
.LBB62_335:
	ds_load_b32 v66, v64 offset:560
	s_wait_dscnt 0x0
	v_add_f32_e32 v35, v35, v66
	s_wait_alu 0xfffe
	s_or_b32 exec_lo, exec_lo, s1
	s_and_saveexec_b32 s1, vcc_lo
	s_cbranch_execz .LBB62_199
.LBB62_336:
	ds_load_b32 v66, v64 offset:576
	s_wait_dscnt 0x0
	v_add_f32_e32 v36, v36, v66
	s_wait_alu 0xfffe
	s_or_b32 exec_lo, exec_lo, s1
	s_and_saveexec_b32 s1, vcc_lo
	s_cbranch_execz .LBB62_200
.LBB62_337:
	ds_load_b32 v66, v64 offset:592
	s_wait_dscnt 0x0
	v_add_f32_e32 v37, v37, v66
	s_wait_alu 0xfffe
	s_or_b32 exec_lo, exec_lo, s1
	s_and_saveexec_b32 s1, vcc_lo
	s_cbranch_execz .LBB62_201
.LBB62_338:
	ds_load_b32 v66, v64 offset:608
	s_wait_dscnt 0x0
	v_add_f32_e32 v38, v38, v66
	s_wait_alu 0xfffe
	s_or_b32 exec_lo, exec_lo, s1
	s_and_saveexec_b32 s1, vcc_lo
	s_cbranch_execz .LBB62_202
.LBB62_339:
	ds_load_b32 v66, v64 offset:624
	s_wait_dscnt 0x0
	v_add_f32_e32 v39, v39, v66
	s_wait_alu 0xfffe
	s_or_b32 exec_lo, exec_lo, s1
	s_and_saveexec_b32 s1, vcc_lo
	s_cbranch_execz .LBB62_203
.LBB62_340:
	ds_load_b32 v66, v64 offset:640
	s_wait_dscnt 0x0
	v_add_f32_e32 v40, v40, v66
	s_wait_alu 0xfffe
	s_or_b32 exec_lo, exec_lo, s1
	s_and_saveexec_b32 s1, vcc_lo
	s_cbranch_execz .LBB62_204
.LBB62_341:
	ds_load_b32 v66, v64 offset:656
	s_wait_dscnt 0x0
	v_add_f32_e32 v41, v41, v66
	s_wait_alu 0xfffe
	s_or_b32 exec_lo, exec_lo, s1
	s_and_saveexec_b32 s1, vcc_lo
	s_cbranch_execz .LBB62_205
.LBB62_342:
	ds_load_b32 v66, v64 offset:672
	s_wait_dscnt 0x0
	v_add_f32_e32 v42, v42, v66
	s_wait_alu 0xfffe
	s_or_b32 exec_lo, exec_lo, s1
	s_and_saveexec_b32 s1, vcc_lo
	s_cbranch_execz .LBB62_206
.LBB62_343:
	ds_load_b32 v66, v64 offset:688
	s_wait_dscnt 0x0
	v_add_f32_e32 v43, v43, v66
	s_wait_alu 0xfffe
	s_or_b32 exec_lo, exec_lo, s1
	s_and_saveexec_b32 s1, vcc_lo
	s_cbranch_execz .LBB62_207
.LBB62_344:
	ds_load_b32 v66, v64 offset:704
	s_wait_dscnt 0x0
	v_add_f32_e32 v44, v44, v66
	s_wait_alu 0xfffe
	s_or_b32 exec_lo, exec_lo, s1
	s_and_saveexec_b32 s1, vcc_lo
	s_cbranch_execz .LBB62_208
.LBB62_345:
	ds_load_b32 v66, v64 offset:720
	s_wait_dscnt 0x0
	v_add_f32_e32 v45, v45, v66
	s_wait_alu 0xfffe
	s_or_b32 exec_lo, exec_lo, s1
	s_and_saveexec_b32 s1, vcc_lo
	s_cbranch_execz .LBB62_209
.LBB62_346:
	ds_load_b32 v66, v64 offset:736
	s_wait_dscnt 0x0
	v_add_f32_e32 v46, v46, v66
	s_wait_alu 0xfffe
	s_or_b32 exec_lo, exec_lo, s1
	s_and_saveexec_b32 s1, vcc_lo
	s_cbranch_execz .LBB62_210
.LBB62_347:
	ds_load_b32 v66, v64 offset:752
	s_wait_dscnt 0x0
	v_add_f32_e32 v47, v47, v66
	s_wait_alu 0xfffe
	s_or_b32 exec_lo, exec_lo, s1
	s_and_saveexec_b32 s1, vcc_lo
	s_cbranch_execz .LBB62_211
.LBB62_348:
	ds_load_b32 v66, v64 offset:768
	s_wait_dscnt 0x0
	v_add_f32_e32 v48, v48, v66
	s_wait_alu 0xfffe
	s_or_b32 exec_lo, exec_lo, s1
	s_and_saveexec_b32 s1, vcc_lo
	s_cbranch_execz .LBB62_212
.LBB62_349:
	ds_load_b32 v66, v64 offset:784
	s_wait_dscnt 0x0
	v_add_f32_e32 v49, v49, v66
	s_wait_alu 0xfffe
	s_or_b32 exec_lo, exec_lo, s1
	s_and_saveexec_b32 s1, vcc_lo
	s_cbranch_execz .LBB62_213
.LBB62_350:
	ds_load_b32 v66, v64 offset:800
	s_wait_dscnt 0x0
	v_add_f32_e32 v50, v50, v66
	s_wait_alu 0xfffe
	s_or_b32 exec_lo, exec_lo, s1
	s_and_saveexec_b32 s1, vcc_lo
	s_cbranch_execz .LBB62_214
.LBB62_351:
	ds_load_b32 v66, v64 offset:816
	s_wait_dscnt 0x0
	v_add_f32_e32 v51, v51, v66
	s_wait_alu 0xfffe
	s_or_b32 exec_lo, exec_lo, s1
	s_and_saveexec_b32 s1, vcc_lo
	s_cbranch_execz .LBB62_215
.LBB62_352:
	ds_load_b32 v66, v64 offset:832
	s_wait_dscnt 0x0
	v_add_f32_e32 v52, v52, v66
	s_wait_alu 0xfffe
	s_or_b32 exec_lo, exec_lo, s1
	s_and_saveexec_b32 s1, vcc_lo
	s_cbranch_execz .LBB62_216
.LBB62_353:
	ds_load_b32 v66, v64 offset:848
	s_wait_dscnt 0x0
	v_add_f32_e32 v53, v53, v66
	s_wait_alu 0xfffe
	s_or_b32 exec_lo, exec_lo, s1
	s_and_saveexec_b32 s1, vcc_lo
	s_cbranch_execz .LBB62_217
.LBB62_354:
	ds_load_b32 v66, v64 offset:864
	s_wait_dscnt 0x0
	v_add_f32_e32 v54, v54, v66
	s_wait_alu 0xfffe
	s_or_b32 exec_lo, exec_lo, s1
	s_and_saveexec_b32 s1, vcc_lo
	s_cbranch_execz .LBB62_218
.LBB62_355:
	ds_load_b32 v66, v64 offset:880
	s_wait_dscnt 0x0
	v_add_f32_e32 v55, v55, v66
	s_wait_alu 0xfffe
	s_or_b32 exec_lo, exec_lo, s1
	s_and_saveexec_b32 s1, vcc_lo
	s_cbranch_execz .LBB62_219
.LBB62_356:
	ds_load_b32 v66, v64 offset:896
	s_wait_dscnt 0x0
	v_add_f32_e32 v56, v56, v66
	s_wait_alu 0xfffe
	s_or_b32 exec_lo, exec_lo, s1
	s_and_saveexec_b32 s1, vcc_lo
	s_cbranch_execz .LBB62_220
.LBB62_357:
	ds_load_b32 v66, v64 offset:912
	s_wait_dscnt 0x0
	v_add_f32_e32 v57, v57, v66
	s_wait_alu 0xfffe
	s_or_b32 exec_lo, exec_lo, s1
	s_and_saveexec_b32 s1, vcc_lo
	s_cbranch_execz .LBB62_221
.LBB62_358:
	ds_load_b32 v66, v64 offset:928
	s_wait_dscnt 0x0
	v_add_f32_e32 v58, v58, v66
	s_wait_alu 0xfffe
	s_or_b32 exec_lo, exec_lo, s1
	s_and_saveexec_b32 s1, vcc_lo
	s_cbranch_execz .LBB62_222
.LBB62_359:
	ds_load_b32 v66, v64 offset:944
	s_wait_dscnt 0x0
	v_add_f32_e32 v59, v59, v66
	s_wait_alu 0xfffe
	s_or_b32 exec_lo, exec_lo, s1
	s_and_saveexec_b32 s1, vcc_lo
	s_cbranch_execz .LBB62_223
.LBB62_360:
	ds_load_b32 v66, v64 offset:960
	s_wait_dscnt 0x0
	v_add_f32_e32 v60, v60, v66
	s_wait_alu 0xfffe
	s_or_b32 exec_lo, exec_lo, s1
	s_and_saveexec_b32 s1, vcc_lo
	s_cbranch_execz .LBB62_224
.LBB62_361:
	ds_load_b32 v66, v64 offset:976
	s_wait_dscnt 0x0
	v_add_f32_e32 v61, v61, v66
	s_wait_alu 0xfffe
	s_or_b32 exec_lo, exec_lo, s1
	s_and_saveexec_b32 s1, vcc_lo
	s_cbranch_execz .LBB62_225
.LBB62_362:
	ds_load_b32 v66, v64 offset:992
	s_wait_dscnt 0x0
	v_add_f32_e32 v62, v62, v66
	s_wait_alu 0xfffe
	s_or_b32 exec_lo, exec_lo, s1
	s_and_saveexec_b32 s1, vcc_lo
	s_cbranch_execnz .LBB62_226
	s_branch .LBB62_227
.LBB62_363:
	ds_load_b32 v65, v64
	s_wait_dscnt 0x0
	v_add_f32_e32 v0, v0, v65
	s_wait_alu 0xfffe
	s_or_b32 exec_lo, exec_lo, s0
	s_and_saveexec_b32 s0, vcc_lo
	s_cbranch_execz .LBB62_233
.LBB62_364:
	ds_load_b32 v65, v64 offset:16
	s_wait_dscnt 0x0
	v_add_f32_e32 v1, v1, v65
	s_wait_alu 0xfffe
	s_or_b32 exec_lo, exec_lo, s0
	s_and_saveexec_b32 s0, vcc_lo
	s_cbranch_execz .LBB62_234
.LBB62_365:
	ds_load_b32 v65, v64 offset:32
	s_wait_dscnt 0x0
	v_add_f32_e32 v2, v2, v65
	s_wait_alu 0xfffe
	s_or_b32 exec_lo, exec_lo, s0
	s_and_saveexec_b32 s0, vcc_lo
	s_cbranch_execz .LBB62_235
.LBB62_366:
	ds_load_b32 v65, v64 offset:48
	s_wait_dscnt 0x0
	v_add_f32_e32 v3, v3, v65
	s_wait_alu 0xfffe
	s_or_b32 exec_lo, exec_lo, s0
	s_and_saveexec_b32 s0, vcc_lo
	s_cbranch_execz .LBB62_236
.LBB62_367:
	ds_load_b32 v65, v64 offset:64
	s_wait_dscnt 0x0
	v_add_f32_e32 v4, v4, v65
	s_wait_alu 0xfffe
	s_or_b32 exec_lo, exec_lo, s0
	s_and_saveexec_b32 s0, vcc_lo
	s_cbranch_execz .LBB62_237
.LBB62_368:
	ds_load_b32 v65, v64 offset:80
	s_wait_dscnt 0x0
	v_add_f32_e32 v5, v5, v65
	s_wait_alu 0xfffe
	s_or_b32 exec_lo, exec_lo, s0
	s_and_saveexec_b32 s0, vcc_lo
	s_cbranch_execz .LBB62_238
.LBB62_369:
	ds_load_b32 v65, v64 offset:96
	s_wait_dscnt 0x0
	v_add_f32_e32 v6, v6, v65
	s_wait_alu 0xfffe
	s_or_b32 exec_lo, exec_lo, s0
	s_and_saveexec_b32 s0, vcc_lo
	s_cbranch_execz .LBB62_239
.LBB62_370:
	ds_load_b32 v65, v64 offset:112
	s_wait_dscnt 0x0
	v_add_f32_e32 v7, v7, v65
	s_wait_alu 0xfffe
	s_or_b32 exec_lo, exec_lo, s0
	s_and_saveexec_b32 s0, vcc_lo
	s_cbranch_execz .LBB62_240
.LBB62_371:
	ds_load_b32 v65, v64 offset:128
	s_wait_dscnt 0x0
	v_add_f32_e32 v8, v8, v65
	s_wait_alu 0xfffe
	s_or_b32 exec_lo, exec_lo, s0
	s_and_saveexec_b32 s0, vcc_lo
	s_cbranch_execz .LBB62_241
.LBB62_372:
	ds_load_b32 v65, v64 offset:144
	s_wait_dscnt 0x0
	v_add_f32_e32 v9, v9, v65
	s_wait_alu 0xfffe
	s_or_b32 exec_lo, exec_lo, s0
	s_and_saveexec_b32 s0, vcc_lo
	s_cbranch_execz .LBB62_242
.LBB62_373:
	ds_load_b32 v65, v64 offset:160
	s_wait_dscnt 0x0
	v_add_f32_e32 v10, v10, v65
	s_wait_alu 0xfffe
	s_or_b32 exec_lo, exec_lo, s0
	s_and_saveexec_b32 s0, vcc_lo
	s_cbranch_execz .LBB62_243
.LBB62_374:
	ds_load_b32 v65, v64 offset:176
	s_wait_dscnt 0x0
	v_add_f32_e32 v11, v11, v65
	s_wait_alu 0xfffe
	s_or_b32 exec_lo, exec_lo, s0
	s_and_saveexec_b32 s0, vcc_lo
	s_cbranch_execz .LBB62_244
.LBB62_375:
	ds_load_b32 v65, v64 offset:192
	s_wait_dscnt 0x0
	v_add_f32_e32 v12, v12, v65
	s_wait_alu 0xfffe
	s_or_b32 exec_lo, exec_lo, s0
	s_and_saveexec_b32 s0, vcc_lo
	s_cbranch_execz .LBB62_245
.LBB62_376:
	ds_load_b32 v65, v64 offset:208
	s_wait_dscnt 0x0
	v_add_f32_e32 v13, v13, v65
	s_wait_alu 0xfffe
	s_or_b32 exec_lo, exec_lo, s0
	s_and_saveexec_b32 s0, vcc_lo
	s_cbranch_execz .LBB62_246
.LBB62_377:
	ds_load_b32 v65, v64 offset:224
	s_wait_dscnt 0x0
	v_add_f32_e32 v14, v14, v65
	s_wait_alu 0xfffe
	s_or_b32 exec_lo, exec_lo, s0
	s_and_saveexec_b32 s0, vcc_lo
	s_cbranch_execz .LBB62_247
.LBB62_378:
	ds_load_b32 v65, v64 offset:240
	s_wait_dscnt 0x0
	v_add_f32_e32 v15, v15, v65
	s_wait_alu 0xfffe
	s_or_b32 exec_lo, exec_lo, s0
	s_and_saveexec_b32 s0, vcc_lo
	s_cbranch_execz .LBB62_248
.LBB62_379:
	ds_load_b32 v65, v64 offset:256
	s_wait_dscnt 0x0
	v_add_f32_e32 v16, v16, v65
	s_wait_alu 0xfffe
	s_or_b32 exec_lo, exec_lo, s0
	s_and_saveexec_b32 s0, vcc_lo
	s_cbranch_execz .LBB62_249
.LBB62_380:
	ds_load_b32 v65, v64 offset:272
	s_wait_dscnt 0x0
	v_add_f32_e32 v17, v17, v65
	s_wait_alu 0xfffe
	s_or_b32 exec_lo, exec_lo, s0
	s_and_saveexec_b32 s0, vcc_lo
	s_cbranch_execz .LBB62_250
.LBB62_381:
	ds_load_b32 v65, v64 offset:288
	s_wait_dscnt 0x0
	v_add_f32_e32 v18, v18, v65
	s_wait_alu 0xfffe
	s_or_b32 exec_lo, exec_lo, s0
	s_and_saveexec_b32 s0, vcc_lo
	s_cbranch_execz .LBB62_251
.LBB62_382:
	ds_load_b32 v65, v64 offset:304
	s_wait_dscnt 0x0
	v_add_f32_e32 v19, v19, v65
	s_wait_alu 0xfffe
	s_or_b32 exec_lo, exec_lo, s0
	s_and_saveexec_b32 s0, vcc_lo
	s_cbranch_execz .LBB62_252
.LBB62_383:
	ds_load_b32 v65, v64 offset:320
	s_wait_dscnt 0x0
	v_add_f32_e32 v20, v20, v65
	s_wait_alu 0xfffe
	s_or_b32 exec_lo, exec_lo, s0
	s_and_saveexec_b32 s0, vcc_lo
	s_cbranch_execz .LBB62_253
.LBB62_384:
	ds_load_b32 v65, v64 offset:336
	s_wait_dscnt 0x0
	v_add_f32_e32 v21, v21, v65
	s_wait_alu 0xfffe
	s_or_b32 exec_lo, exec_lo, s0
	s_and_saveexec_b32 s0, vcc_lo
	s_cbranch_execz .LBB62_254
.LBB62_385:
	ds_load_b32 v65, v64 offset:352
	s_wait_dscnt 0x0
	v_add_f32_e32 v22, v22, v65
	s_wait_alu 0xfffe
	s_or_b32 exec_lo, exec_lo, s0
	s_and_saveexec_b32 s0, vcc_lo
	s_cbranch_execz .LBB62_255
.LBB62_386:
	ds_load_b32 v65, v64 offset:368
	s_wait_dscnt 0x0
	v_add_f32_e32 v23, v23, v65
	s_wait_alu 0xfffe
	s_or_b32 exec_lo, exec_lo, s0
	s_and_saveexec_b32 s0, vcc_lo
	s_cbranch_execz .LBB62_256
.LBB62_387:
	ds_load_b32 v65, v64 offset:384
	s_wait_dscnt 0x0
	v_add_f32_e32 v24, v24, v65
	s_wait_alu 0xfffe
	s_or_b32 exec_lo, exec_lo, s0
	s_and_saveexec_b32 s0, vcc_lo
	s_cbranch_execz .LBB62_257
.LBB62_388:
	ds_load_b32 v65, v64 offset:400
	s_wait_dscnt 0x0
	v_add_f32_e32 v25, v25, v65
	s_wait_alu 0xfffe
	s_or_b32 exec_lo, exec_lo, s0
	s_and_saveexec_b32 s0, vcc_lo
	s_cbranch_execz .LBB62_258
.LBB62_389:
	ds_load_b32 v65, v64 offset:416
	s_wait_dscnt 0x0
	v_add_f32_e32 v26, v26, v65
	s_wait_alu 0xfffe
	s_or_b32 exec_lo, exec_lo, s0
	s_and_saveexec_b32 s0, vcc_lo
	s_cbranch_execz .LBB62_259
.LBB62_390:
	ds_load_b32 v65, v64 offset:432
	s_wait_dscnt 0x0
	v_add_f32_e32 v27, v27, v65
	s_wait_alu 0xfffe
	s_or_b32 exec_lo, exec_lo, s0
	s_and_saveexec_b32 s0, vcc_lo
	s_cbranch_execz .LBB62_260
.LBB62_391:
	ds_load_b32 v65, v64 offset:448
	s_wait_dscnt 0x0
	v_add_f32_e32 v28, v28, v65
	s_wait_alu 0xfffe
	s_or_b32 exec_lo, exec_lo, s0
	s_and_saveexec_b32 s0, vcc_lo
	s_cbranch_execz .LBB62_261
.LBB62_392:
	ds_load_b32 v65, v64 offset:464
	s_wait_dscnt 0x0
	v_add_f32_e32 v29, v29, v65
	s_wait_alu 0xfffe
	s_or_b32 exec_lo, exec_lo, s0
	s_and_saveexec_b32 s0, vcc_lo
	s_cbranch_execz .LBB62_262
.LBB62_393:
	ds_load_b32 v65, v64 offset:480
	s_wait_dscnt 0x0
	v_add_f32_e32 v30, v30, v65
	s_wait_alu 0xfffe
	s_or_b32 exec_lo, exec_lo, s0
	s_and_saveexec_b32 s0, vcc_lo
	s_cbranch_execz .LBB62_263
.LBB62_394:
	ds_load_b32 v65, v64 offset:496
	s_wait_dscnt 0x0
	v_add_f32_e32 v31, v31, v65
	s_wait_alu 0xfffe
	s_or_b32 exec_lo, exec_lo, s0
	s_and_saveexec_b32 s0, vcc_lo
	s_cbranch_execz .LBB62_264
.LBB62_395:
	ds_load_b32 v65, v64 offset:512
	s_wait_dscnt 0x0
	v_add_f32_e32 v32, v32, v65
	s_wait_alu 0xfffe
	s_or_b32 exec_lo, exec_lo, s0
	s_and_saveexec_b32 s0, vcc_lo
	s_cbranch_execz .LBB62_265
.LBB62_396:
	ds_load_b32 v65, v64 offset:528
	s_wait_dscnt 0x0
	v_add_f32_e32 v33, v33, v65
	s_wait_alu 0xfffe
	s_or_b32 exec_lo, exec_lo, s0
	s_and_saveexec_b32 s0, vcc_lo
	s_cbranch_execz .LBB62_266
.LBB62_397:
	ds_load_b32 v65, v64 offset:544
	s_wait_dscnt 0x0
	v_add_f32_e32 v34, v34, v65
	s_wait_alu 0xfffe
	s_or_b32 exec_lo, exec_lo, s0
	s_and_saveexec_b32 s0, vcc_lo
	s_cbranch_execz .LBB62_267
.LBB62_398:
	ds_load_b32 v65, v64 offset:560
	s_wait_dscnt 0x0
	v_add_f32_e32 v35, v35, v65
	s_wait_alu 0xfffe
	s_or_b32 exec_lo, exec_lo, s0
	s_and_saveexec_b32 s0, vcc_lo
	s_cbranch_execz .LBB62_268
.LBB62_399:
	ds_load_b32 v65, v64 offset:576
	s_wait_dscnt 0x0
	v_add_f32_e32 v36, v36, v65
	s_wait_alu 0xfffe
	s_or_b32 exec_lo, exec_lo, s0
	s_and_saveexec_b32 s0, vcc_lo
	s_cbranch_execz .LBB62_269
.LBB62_400:
	ds_load_b32 v65, v64 offset:592
	s_wait_dscnt 0x0
	v_add_f32_e32 v37, v37, v65
	s_wait_alu 0xfffe
	s_or_b32 exec_lo, exec_lo, s0
	s_and_saveexec_b32 s0, vcc_lo
	s_cbranch_execz .LBB62_270
.LBB62_401:
	ds_load_b32 v65, v64 offset:608
	s_wait_dscnt 0x0
	v_add_f32_e32 v38, v38, v65
	s_wait_alu 0xfffe
	s_or_b32 exec_lo, exec_lo, s0
	s_and_saveexec_b32 s0, vcc_lo
	s_cbranch_execz .LBB62_271
.LBB62_402:
	ds_load_b32 v65, v64 offset:624
	s_wait_dscnt 0x0
	v_add_f32_e32 v39, v39, v65
	s_wait_alu 0xfffe
	s_or_b32 exec_lo, exec_lo, s0
	s_and_saveexec_b32 s0, vcc_lo
	s_cbranch_execz .LBB62_272
.LBB62_403:
	ds_load_b32 v65, v64 offset:640
	s_wait_dscnt 0x0
	v_add_f32_e32 v40, v40, v65
	s_wait_alu 0xfffe
	s_or_b32 exec_lo, exec_lo, s0
	s_and_saveexec_b32 s0, vcc_lo
	s_cbranch_execz .LBB62_273
.LBB62_404:
	ds_load_b32 v65, v64 offset:656
	s_wait_dscnt 0x0
	v_add_f32_e32 v41, v41, v65
	s_wait_alu 0xfffe
	s_or_b32 exec_lo, exec_lo, s0
	s_and_saveexec_b32 s0, vcc_lo
	s_cbranch_execz .LBB62_274
.LBB62_405:
	ds_load_b32 v65, v64 offset:672
	s_wait_dscnt 0x0
	v_add_f32_e32 v42, v42, v65
	s_wait_alu 0xfffe
	s_or_b32 exec_lo, exec_lo, s0
	s_and_saveexec_b32 s0, vcc_lo
	s_cbranch_execz .LBB62_275
.LBB62_406:
	ds_load_b32 v65, v64 offset:688
	s_wait_dscnt 0x0
	v_add_f32_e32 v43, v43, v65
	s_wait_alu 0xfffe
	s_or_b32 exec_lo, exec_lo, s0
	s_and_saveexec_b32 s0, vcc_lo
	s_cbranch_execz .LBB62_276
.LBB62_407:
	ds_load_b32 v65, v64 offset:704
	s_wait_dscnt 0x0
	v_add_f32_e32 v44, v44, v65
	s_wait_alu 0xfffe
	s_or_b32 exec_lo, exec_lo, s0
	s_and_saveexec_b32 s0, vcc_lo
	s_cbranch_execz .LBB62_277
.LBB62_408:
	ds_load_b32 v65, v64 offset:720
	s_wait_dscnt 0x0
	v_add_f32_e32 v45, v45, v65
	s_wait_alu 0xfffe
	s_or_b32 exec_lo, exec_lo, s0
	s_and_saveexec_b32 s0, vcc_lo
	s_cbranch_execz .LBB62_278
.LBB62_409:
	ds_load_b32 v65, v64 offset:736
	s_wait_dscnt 0x0
	v_add_f32_e32 v46, v46, v65
	s_wait_alu 0xfffe
	s_or_b32 exec_lo, exec_lo, s0
	s_and_saveexec_b32 s0, vcc_lo
	s_cbranch_execz .LBB62_279
.LBB62_410:
	ds_load_b32 v65, v64 offset:752
	s_wait_dscnt 0x0
	v_add_f32_e32 v47, v47, v65
	s_wait_alu 0xfffe
	s_or_b32 exec_lo, exec_lo, s0
	s_and_saveexec_b32 s0, vcc_lo
	s_cbranch_execz .LBB62_280
.LBB62_411:
	ds_load_b32 v65, v64 offset:768
	s_wait_dscnt 0x0
	v_add_f32_e32 v48, v48, v65
	s_wait_alu 0xfffe
	s_or_b32 exec_lo, exec_lo, s0
	s_and_saveexec_b32 s0, vcc_lo
	s_cbranch_execz .LBB62_281
.LBB62_412:
	ds_load_b32 v65, v64 offset:784
	s_wait_dscnt 0x0
	v_add_f32_e32 v49, v49, v65
	s_wait_alu 0xfffe
	s_or_b32 exec_lo, exec_lo, s0
	s_and_saveexec_b32 s0, vcc_lo
	s_cbranch_execz .LBB62_282
.LBB62_413:
	ds_load_b32 v65, v64 offset:800
	s_wait_dscnt 0x0
	v_add_f32_e32 v50, v50, v65
	s_wait_alu 0xfffe
	s_or_b32 exec_lo, exec_lo, s0
	s_and_saveexec_b32 s0, vcc_lo
	s_cbranch_execz .LBB62_283
.LBB62_414:
	ds_load_b32 v65, v64 offset:816
	s_wait_dscnt 0x0
	v_add_f32_e32 v51, v51, v65
	s_wait_alu 0xfffe
	s_or_b32 exec_lo, exec_lo, s0
	s_and_saveexec_b32 s0, vcc_lo
	s_cbranch_execz .LBB62_284
.LBB62_415:
	ds_load_b32 v65, v64 offset:832
	s_wait_dscnt 0x0
	v_add_f32_e32 v52, v52, v65
	s_wait_alu 0xfffe
	s_or_b32 exec_lo, exec_lo, s0
	s_and_saveexec_b32 s0, vcc_lo
	s_cbranch_execz .LBB62_285
.LBB62_416:
	ds_load_b32 v65, v64 offset:848
	s_wait_dscnt 0x0
	v_add_f32_e32 v53, v53, v65
	s_wait_alu 0xfffe
	s_or_b32 exec_lo, exec_lo, s0
	s_and_saveexec_b32 s0, vcc_lo
	s_cbranch_execz .LBB62_286
.LBB62_417:
	ds_load_b32 v65, v64 offset:864
	s_wait_dscnt 0x0
	v_add_f32_e32 v54, v54, v65
	s_wait_alu 0xfffe
	s_or_b32 exec_lo, exec_lo, s0
	s_and_saveexec_b32 s0, vcc_lo
	s_cbranch_execz .LBB62_287
.LBB62_418:
	ds_load_b32 v65, v64 offset:880
	s_wait_dscnt 0x0
	v_add_f32_e32 v55, v55, v65
	s_wait_alu 0xfffe
	s_or_b32 exec_lo, exec_lo, s0
	s_and_saveexec_b32 s0, vcc_lo
	s_cbranch_execz .LBB62_288
.LBB62_419:
	ds_load_b32 v65, v64 offset:896
	s_wait_dscnt 0x0
	v_add_f32_e32 v56, v56, v65
	s_wait_alu 0xfffe
	s_or_b32 exec_lo, exec_lo, s0
	s_and_saveexec_b32 s0, vcc_lo
	s_cbranch_execz .LBB62_289
.LBB62_420:
	ds_load_b32 v65, v64 offset:912
	s_wait_dscnt 0x0
	v_add_f32_e32 v57, v57, v65
	s_wait_alu 0xfffe
	s_or_b32 exec_lo, exec_lo, s0
	s_and_saveexec_b32 s0, vcc_lo
	s_cbranch_execz .LBB62_290
.LBB62_421:
	ds_load_b32 v65, v64 offset:928
	s_wait_dscnt 0x0
	v_add_f32_e32 v58, v58, v65
	s_wait_alu 0xfffe
	s_or_b32 exec_lo, exec_lo, s0
	s_and_saveexec_b32 s0, vcc_lo
	s_cbranch_execz .LBB62_291
.LBB62_422:
	ds_load_b32 v65, v64 offset:944
	s_wait_dscnt 0x0
	v_add_f32_e32 v59, v59, v65
	s_wait_alu 0xfffe
	s_or_b32 exec_lo, exec_lo, s0
	s_and_saveexec_b32 s0, vcc_lo
	s_cbranch_execz .LBB62_292
.LBB62_423:
	ds_load_b32 v65, v64 offset:960
	s_wait_dscnt 0x0
	v_add_f32_e32 v60, v60, v65
	s_wait_alu 0xfffe
	s_or_b32 exec_lo, exec_lo, s0
	s_and_saveexec_b32 s0, vcc_lo
	s_cbranch_execz .LBB62_293
.LBB62_424:
	ds_load_b32 v65, v64 offset:976
	s_wait_dscnt 0x0
	v_add_f32_e32 v61, v61, v65
	s_wait_alu 0xfffe
	s_or_b32 exec_lo, exec_lo, s0
	s_and_saveexec_b32 s0, vcc_lo
	s_cbranch_execz .LBB62_294
.LBB62_425:
	ds_load_b32 v65, v64 offset:992
	s_wait_dscnt 0x0
	v_add_f32_e32 v62, v62, v65
	s_wait_alu 0xfffe
	s_or_b32 exec_lo, exec_lo, s0
	s_and_saveexec_b32 s0, vcc_lo
	s_cbranch_execnz .LBB62_295
	s_branch .LBB62_296
	.section	.rodata,"a",@progbits
	.p2align	6, 0x0
	.amdhsa_kernel _ZN4vllm25paged_attention_v2_kernelIffLi256ELi32ELi128ELNS_18Fp8KVCacheDataTypeE0ELb0ELi512EEEvPfS2_PT_PKS3_PKT0_S9_ifPKiSB_iPKfiiiSD_SD_iiiii
		.amdhsa_group_segment_fixed_size 1056
		.amdhsa_private_segment_fixed_size 656
		.amdhsa_kernarg_size 400
		.amdhsa_user_sgpr_count 2
		.amdhsa_user_sgpr_dispatch_ptr 0
		.amdhsa_user_sgpr_queue_ptr 0
		.amdhsa_user_sgpr_kernarg_segment_ptr 1
		.amdhsa_user_sgpr_dispatch_id 0
		.amdhsa_user_sgpr_private_segment_size 0
		.amdhsa_wavefront_size32 1
		.amdhsa_uses_dynamic_stack 0
		.amdhsa_enable_private_segment 1
		.amdhsa_system_sgpr_workgroup_id_x 1
		.amdhsa_system_sgpr_workgroup_id_y 1
		.amdhsa_system_sgpr_workgroup_id_z 1
		.amdhsa_system_sgpr_workgroup_info 0
		.amdhsa_system_vgpr_workitem_id 0
		.amdhsa_next_free_vgpr 192
		.amdhsa_next_free_sgpr 32
		.amdhsa_reserve_vcc 1
		.amdhsa_float_round_mode_32 0
		.amdhsa_float_round_mode_16_64 0
		.amdhsa_float_denorm_mode_32 3
		.amdhsa_float_denorm_mode_16_64 3
		.amdhsa_fp16_overflow 0
		.amdhsa_workgroup_processor_mode 1
		.amdhsa_memory_ordered 1
		.amdhsa_forward_progress 1
		.amdhsa_inst_pref_size 246
		.amdhsa_round_robin_scheduling 0
		.amdhsa_exception_fp_ieee_invalid_op 0
		.amdhsa_exception_fp_denorm_src 0
		.amdhsa_exception_fp_ieee_div_zero 0
		.amdhsa_exception_fp_ieee_overflow 0
		.amdhsa_exception_fp_ieee_underflow 0
		.amdhsa_exception_fp_ieee_inexact 0
		.amdhsa_exception_int_div_zero 0
	.end_amdhsa_kernel
	.section	.text._ZN4vllm25paged_attention_v2_kernelIffLi256ELi32ELi128ELNS_18Fp8KVCacheDataTypeE0ELb0ELi512EEEvPfS2_PT_PKS3_PKT0_S9_ifPKiSB_iPKfiiiSD_SD_iiiii,"axG",@progbits,_ZN4vllm25paged_attention_v2_kernelIffLi256ELi32ELi128ELNS_18Fp8KVCacheDataTypeE0ELb0ELi512EEEvPfS2_PT_PKS3_PKT0_S9_ifPKiSB_iPKfiiiSD_SD_iiiii,comdat
.Lfunc_end62:
	.size	_ZN4vllm25paged_attention_v2_kernelIffLi256ELi32ELi128ELNS_18Fp8KVCacheDataTypeE0ELb0ELi512EEEvPfS2_PT_PKS3_PKT0_S9_ifPKiSB_iPKfiiiSD_SD_iiiii, .Lfunc_end62-_ZN4vllm25paged_attention_v2_kernelIffLi256ELi32ELi128ELNS_18Fp8KVCacheDataTypeE0ELb0ELi512EEEvPfS2_PT_PKS3_PKT0_S9_ifPKiSB_iPKfiiiSD_SD_iiiii
                                        ; -- End function
	.set _ZN4vllm25paged_attention_v2_kernelIffLi256ELi32ELi128ELNS_18Fp8KVCacheDataTypeE0ELb0ELi512EEEvPfS2_PT_PKS3_PKT0_S9_ifPKiSB_iPKfiiiSD_SD_iiiii.num_vgpr, 192
	.set _ZN4vllm25paged_attention_v2_kernelIffLi256ELi32ELi128ELNS_18Fp8KVCacheDataTypeE0ELb0ELi512EEEvPfS2_PT_PKS3_PKT0_S9_ifPKiSB_iPKfiiiSD_SD_iiiii.num_agpr, 0
	.set _ZN4vllm25paged_attention_v2_kernelIffLi256ELi32ELi128ELNS_18Fp8KVCacheDataTypeE0ELb0ELi512EEEvPfS2_PT_PKS3_PKT0_S9_ifPKiSB_iPKfiiiSD_SD_iiiii.numbered_sgpr, 32
	.set _ZN4vllm25paged_attention_v2_kernelIffLi256ELi32ELi128ELNS_18Fp8KVCacheDataTypeE0ELb0ELi512EEEvPfS2_PT_PKS3_PKT0_S9_ifPKiSB_iPKfiiiSD_SD_iiiii.num_named_barrier, 0
	.set _ZN4vllm25paged_attention_v2_kernelIffLi256ELi32ELi128ELNS_18Fp8KVCacheDataTypeE0ELb0ELi512EEEvPfS2_PT_PKS3_PKT0_S9_ifPKiSB_iPKfiiiSD_SD_iiiii.private_seg_size, 656
	.set _ZN4vllm25paged_attention_v2_kernelIffLi256ELi32ELi128ELNS_18Fp8KVCacheDataTypeE0ELb0ELi512EEEvPfS2_PT_PKS3_PKT0_S9_ifPKiSB_iPKfiiiSD_SD_iiiii.uses_vcc, 1
	.set _ZN4vllm25paged_attention_v2_kernelIffLi256ELi32ELi128ELNS_18Fp8KVCacheDataTypeE0ELb0ELi512EEEvPfS2_PT_PKS3_PKT0_S9_ifPKiSB_iPKfiiiSD_SD_iiiii.uses_flat_scratch, 1
	.set _ZN4vllm25paged_attention_v2_kernelIffLi256ELi32ELi128ELNS_18Fp8KVCacheDataTypeE0ELb0ELi512EEEvPfS2_PT_PKS3_PKT0_S9_ifPKiSB_iPKfiiiSD_SD_iiiii.has_dyn_sized_stack, 0
	.set _ZN4vllm25paged_attention_v2_kernelIffLi256ELi32ELi128ELNS_18Fp8KVCacheDataTypeE0ELb0ELi512EEEvPfS2_PT_PKS3_PKT0_S9_ifPKiSB_iPKfiiiSD_SD_iiiii.has_recursion, 0
	.set _ZN4vllm25paged_attention_v2_kernelIffLi256ELi32ELi128ELNS_18Fp8KVCacheDataTypeE0ELb0ELi512EEEvPfS2_PT_PKS3_PKT0_S9_ifPKiSB_iPKfiiiSD_SD_iiiii.has_indirect_call, 0
	.section	.AMDGPU.csdata,"",@progbits
; Kernel info:
; codeLenInByte = 31408
; TotalNumSgprs: 34
; NumVgprs: 192
; ScratchSize: 656
; MemoryBound: 0
; FloatMode: 240
; IeeeMode: 1
; LDSByteSize: 1056 bytes/workgroup (compile time only)
; SGPRBlocks: 0
; VGPRBlocks: 23
; NumSGPRsForWavesPerEU: 34
; NumVGPRsForWavesPerEU: 192
; Occupancy: 8
; WaveLimiterHint : 1
; COMPUTE_PGM_RSRC2:SCRATCH_EN: 1
; COMPUTE_PGM_RSRC2:USER_SGPR: 2
; COMPUTE_PGM_RSRC2:TRAP_HANDLER: 0
; COMPUTE_PGM_RSRC2:TGID_X_EN: 1
; COMPUTE_PGM_RSRC2:TGID_Y_EN: 1
; COMPUTE_PGM_RSRC2:TGID_Z_EN: 1
; COMPUTE_PGM_RSRC2:TIDIG_COMP_CNT: 0
	.section	.text._ZN4vllm25paged_attention_v2_kernelIttLi32ELi8ELi128ELNS_18Fp8KVCacheDataTypeE0ELb1ELi512EEEvPfS2_PT_PKS3_PKT0_S9_ifPKiSB_iPKfiiiSD_SD_iiiii,"axG",@progbits,_ZN4vllm25paged_attention_v2_kernelIttLi32ELi8ELi128ELNS_18Fp8KVCacheDataTypeE0ELb1ELi512EEEvPfS2_PT_PKS3_PKT0_S9_ifPKiSB_iPKfiiiSD_SD_iiiii,comdat
	.protected	_ZN4vllm25paged_attention_v2_kernelIttLi32ELi8ELi128ELNS_18Fp8KVCacheDataTypeE0ELb1ELi512EEEvPfS2_PT_PKS3_PKT0_S9_ifPKiSB_iPKfiiiSD_SD_iiiii ; -- Begin function _ZN4vllm25paged_attention_v2_kernelIttLi32ELi8ELi128ELNS_18Fp8KVCacheDataTypeE0ELb1ELi512EEEvPfS2_PT_PKS3_PKT0_S9_ifPKiSB_iPKfiiiSD_SD_iiiii
	.globl	_ZN4vllm25paged_attention_v2_kernelIttLi32ELi8ELi128ELNS_18Fp8KVCacheDataTypeE0ELb1ELi512EEEvPfS2_PT_PKS3_PKT0_S9_ifPKiSB_iPKfiiiSD_SD_iiiii
	.p2align	8
	.type	_ZN4vllm25paged_attention_v2_kernelIttLi32ELi8ELi128ELNS_18Fp8KVCacheDataTypeE0ELb1ELi512EEEvPfS2_PT_PKS3_PKT0_S9_ifPKiSB_iPKfiiiSD_SD_iiiii,@function
_ZN4vllm25paged_attention_v2_kernelIttLi32ELi8ELi128ELNS_18Fp8KVCacheDataTypeE0ELb1ELi512EEEvPfS2_PT_PKS3_PKT0_S9_ifPKiSB_iPKfiiiSD_SD_iiiii: ; @_ZN4vllm25paged_attention_v2_kernelIttLi32ELi8ELi128ELNS_18Fp8KVCacheDataTypeE0ELb1ELi512EEEvPfS2_PT_PKS3_PKT0_S9_ifPKiSB_iPKfiiiSD_SD_iiiii
; %bb.0:
	s_load_b64 s[2:3], s[0:1], 0x40
	s_and_b32 s26, ttmp7, 0xffff
	s_lshr_b32 s33, ttmp7, 16
	s_lshl_b32 s4, s26, 2
	s_lshl_b32 s34, s33, 9
	s_wait_kmcnt 0x0
	s_load_b32 s30, s[2:3], s4 offset:0x0
	s_wait_kmcnt 0x0
	s_cmp_ge_i32 s34, s30
	s_cbranch_scc1 .LBB63_56
; %bb.1:
	s_clause 0x1
	s_load_b32 s27, s[0:1], 0x90
	s_load_b64 s[6:7], s[0:1], 0x30
	s_wait_kmcnt 0x0
	s_abs_i32 s5, s27
	s_abs_i32 s2, s6
	s_delay_alu instid0(SALU_CYCLE_1) | instskip(SKIP_1) | instid1(SALU_CYCLE_2)
	s_cvt_f32_u32 s3, s2
	s_sub_co_i32 s4, 0, s2
	v_rcp_iflag_f32_e32 v1, s3
	s_delay_alu instid0(TRANS32_DEP_1) | instskip(SKIP_2) | instid1(SALU_CYCLE_2)
	v_readfirstlane_b32 s3, v1
	s_mul_f32 s3, s3, 0x4f7ffffe
	s_wait_alu 0xfffe
	s_cvt_u32_f32 s3, s3
	s_wait_alu 0xfffe
	s_delay_alu instid0(SALU_CYCLE_2) | instskip(NEXT) | instid1(SALU_CYCLE_1)
	s_mul_i32 s4, s4, s3
	s_mul_hi_u32 s4, s3, s4
	s_delay_alu instid0(SALU_CYCLE_1)
	s_add_co_i32 s3, s3, s4
	s_xor_b32 s4, s27, s6
	s_wait_alu 0xfffe
	s_mul_hi_u32 s3, s5, s3
	s_ashr_i32 s4, s4, 31
	s_wait_alu 0xfffe
	s_mul_i32 s8, s3, s2
	s_delay_alu instid0(SALU_CYCLE_1)
	s_sub_co_i32 s5, s5, s8
	s_add_co_i32 s8, s3, 1
	s_sub_co_i32 s9, s5, s2
	s_cmp_ge_u32 s5, s2
	s_cselect_b32 s3, s8, s3
	s_cselect_b32 s5, s9, s5
	s_wait_alu 0xfffe
	s_add_co_i32 s8, s3, 1
	s_cmp_ge_u32 s5, s2
	s_cselect_b32 s2, s8, s3
	s_load_b64 s[8:9], s[0:1], 0x50
	s_xor_b32 s2, s2, s4
	s_mov_b32 s3, 0
	s_wait_alu 0xfffe
	s_sub_co_i32 s10, s2, s4
	s_mov_b32 s15, s3
	s_abs_i32 s18, s10
	s_delay_alu instid0(SALU_CYCLE_1) | instskip(SKIP_1) | instid1(SALU_CYCLE_2)
	s_cvt_f32_u32 s2, s18
	s_wait_alu 0xfffe
	v_rcp_iflag_f32_e32 v1, s2
	s_delay_alu instid0(TRANS32_DEP_1) | instskip(SKIP_2) | instid1(SALU_CYCLE_2)
	v_readfirstlane_b32 s2, v1
	s_mul_f32 s2, s2, 0x4f7ffffe
	s_wait_alu 0xfffe
	s_cvt_u32_f32 s4, s2
	s_sub_co_i32 s2, 0, s18
	s_wait_alu 0xfffe
	s_delay_alu instid0(SALU_CYCLE_1)
	s_mul_i32 s2, s2, s4
	s_wait_alu 0xfffe
	s_mul_hi_u32 s5, s4, s2
	s_abs_i32 s2, ttmp9
	s_add_co_i32 s4, s4, s5
	s_mov_b32 s5, s3
	s_wait_kmcnt 0x0
	s_cmp_eq_u64 s[8:9], 0
	s_cbranch_scc1 .LBB63_3
; %bb.2:
	s_mov_b32 s12, ttmp9
	s_ashr_i32 s13, ttmp9, 31
	s_delay_alu instid0(SALU_CYCLE_1) | instskip(NEXT) | instid1(SALU_CYCLE_1)
	s_lshl_b64 s[12:13], s[12:13], 2
	s_add_nc_u64 s[8:9], s[8:9], s[12:13]
	s_load_b32 s15, s[8:9], 0x0
.LBB63_3:
	s_load_b96 s[12:14], s[0:1], 0x58
	v_and_b32_e32 v1, 3, v0
	v_lshlrev_b32_e32 v2, 2, v0
	s_mul_u64 s[4:5], s[2:3], s[4:5]
	s_ashr_i32 s3, ttmp9, 31
	s_ashr_i32 s4, s10, 31
	s_lshl_b32 s16, ttmp9, 5
	s_mov_b32 s8, exec_lo
	v_cmpx_gt_u32_e32 16, v0
	s_cbranch_execz .LBB63_5
; %bb.4:
	s_load_b64 s[10:11], s[0:1], 0x18
	s_wait_kmcnt 0x0
	s_mul_i32 s20, s12, s26
	s_ashr_i32 s17, s16, 31
	s_ashr_i32 s21, s20, 31
	v_and_b32_e32 v4, 0x3fc, v0
	s_lshl_b64 s[20:21], s[20:21], 1
	s_delay_alu instid0(VALU_DEP_1) | instskip(SKIP_2) | instid1(SALU_CYCLE_1)
	v_lshl_add_u32 v4, v1, 4, v4
	s_add_nc_u64 s[10:11], s[10:11], s[20:21]
	s_lshl_b64 s[20:21], s[16:17], 1
	s_add_nc_u64 s[10:11], s[10:11], s[20:21]
	global_load_b32 v3, v2, s[10:11]
	s_wait_loadcnt 0x0
	ds_store_b32 v4, v3
.LBB63_5:
	s_or_b32 exec_lo, exec_lo, s8
	s_clause 0x1
	s_load_b128 s[8:11], s[0:1], 0x78
	s_load_b32 s20, s[0:1], 0x88
	s_wait_kmcnt 0x0
	s_mul_i32 s12, s5, s18
	s_xor_b32 s3, s3, s4
	s_sub_co_i32 s2, s2, s12
	s_add_co_i32 s4, s5, 1
	s_wait_alu 0xfffe
	s_sub_co_i32 s12, s2, s18
	s_cmp_ge_u32 s2, s18
	s_mov_b32 s22, -1
	s_cselect_b32 s4, s4, s5
	s_cselect_b32 s2, s12, s2
	s_add_co_i32 s5, s4, 1
	s_wait_alu 0xfffe
	s_cmp_ge_u32 s2, s18
	s_wait_dscnt 0x0
	s_cselect_b32 s2, s5, s4
	s_add_co_i32 s21, s30, -1
	s_wait_alu 0xfffe
	s_xor_b32 s2, s2, s3
	s_barrier_signal -1
	s_wait_alu 0xfffe
	s_sub_co_i32 s24, s2, s3
	s_barrier_wait -1
	s_abs_i32 s12, s11
	global_inv scope:SCOPE_SE
	s_cvt_f32_u32 s4, s12
                                        ; implicit-def: $sgpr17
	s_delay_alu instid0(SALU_CYCLE_3) | instskip(NEXT) | instid1(TRANS32_DEP_1)
	v_rcp_iflag_f32_e32 v3, s4
	v_readfirstlane_b32 s4, v3
	s_mul_f32 s2, s4, 0x4f7ffffe
	s_wait_alu 0xfffe
	s_delay_alu instid0(SALU_CYCLE_2) | instskip(SKIP_2) | instid1(SALU_CYCLE_1)
	s_cvt_u32_f32 s4, s2
	s_sub_co_i32 s2, 0, s12
	s_wait_alu 0xfffe
	s_mul_i32 s3, s2, s4
	s_abs_i32 s2, s21
	s_wait_alu 0xfffe
	s_mul_hi_u32 s5, s4, s3
	s_mov_b32 s3, 0
	s_wait_alu 0xfffe
	s_add_co_i32 s18, s4, s5
	s_cmp_lt_i32 s20, 0
	s_mov_b32 s19, s3
	s_cbranch_scc0 .LBB63_7
; %bb.6:
	s_mul_i32 s4, s8, s6
	s_mov_b32 s22, s3
	s_wait_alu 0xfffe
	s_add_co_i32 s4, s24, s4
	s_wait_alu 0xfffe
	s_mul_i32 s4, s4, s20
	s_wait_alu 0xfffe
	s_sub_co_i32 s17, 1, s4
.LBB63_7:
	s_mul_u64 s[4:5], s[2:3], s[18:19]
	s_ashr_i32 s3, s21, 31
	s_and_not1_b32 vcc_lo, exec_lo, s22
	s_ashr_i32 s19, s11, 31
	s_cbranch_vccnz .LBB63_9
; %bb.8:
	s_mul_i32 s4, s27, s8
	s_wait_alu 0xfffe
	s_add_co_i32 s4, s4, ttmp9
	s_wait_alu 0xfffe
	s_mul_i32 s4, s4, s20
	s_wait_alu 0xfffe
	s_add_co_i32 s17, s4, 1
.LBB63_9:
	s_clause 0x2
	s_load_b32 s4, s[0:1], 0x48
	s_load_b64 s[20:21], s[0:1], 0x38
	s_load_b32 s11, s[0:1], 0x98
	s_mul_i32 s6, s5, s12
	s_xor_b32 s3, s3, s19
	s_sub_co_i32 s2, s2, s6
	s_add_co_i32 s8, s5, 1
	v_lshrrev_b32_e32 v7, 5, v0
	v_mbcnt_lo_u32_b32 v4, -1, 0
	s_mul_i32 s24, s24, s14
	s_delay_alu instid0(VALU_DEP_2)
	v_lshl_add_u32 v8, v7, 3, s34
	s_wait_kmcnt 0x0
	s_mul_i32 s22, s4, s26
	s_wait_alu 0xfffe
	s_sub_co_i32 s4, s2, s12
	s_ashr_i32 s23, s22, 31
	s_cmp_ge_u32 s2, s12
	s_cselect_b32 s5, s8, s5
	s_wait_alu 0xfffe
	s_cselect_b32 s2, s4, s2
	s_add_co_i32 s4, s5, 1
	s_wait_alu 0xfffe
	s_cmp_ge_u32 s2, s12
	s_cselect_b32 s2, s4, s5
	s_add_co_i32 s4, s30, 7
	s_lshl_b32 s8, s33, 6
	s_wait_alu 0xfffe
	s_ashr_i32 s5, s4, 31
	v_or_b32_e32 v9, s8, v7
	s_wait_alu 0xfffe
	s_lshr_b32 s5, s5, 29
	v_mov_b32_e32 v6, 0xff7fffff
	s_wait_alu 0xfffe
	s_add_co_i32 s4, s4, s5
	s_add_co_i32 s5, s8, 64
	s_wait_alu 0xfffe
	s_ashr_i32 s35, s4, 3
	s_xor_b32 s4, s2, s3
	s_wait_alu 0xfffe
	s_min_i32 s31, s5, s35
	v_lshlrev_b32_e32 v3, 2, v9
	v_cmp_gt_i32_e64 s2, s31, v9
	s_sub_co_i32 s36, s4, s3
	s_and_saveexec_b32 s6, s2
	s_cbranch_execz .LBB63_21
; %bb.10:
	s_ashr_i32 s25, s24, 31
	s_sub_co_i32 s14, s36, s9
	s_lshl_b64 s[4:5], s[24:25], 1
	s_cmp_neq_f32 s15, 0
	s_load_b64 s[38:39], s[0:1], 0x20
	v_bfe_u32 v5, v0, 2, 3
	v_lshlrev_b32_e32 v10, 4, v1
	s_cselect_b32 vcc_lo, -1, 0
	s_abs_i32 s25, s10
	v_dual_mov_b32 v19, v9 :: v_dual_and_b32 v2, 12, v2
	s_cvt_f32_u32 s3, s25
	v_dual_mov_b32 v16, 0xff7fffff :: v_dual_lshlrev_b32 v11, 2, v5
	s_lshl_b64 s[40:41], s[22:23], 2
	s_wait_alu 0xfffe
	v_rcp_iflag_f32_e32 v6, s3
	v_cmp_eq_u32_e64 s3, 0, v1
	v_lshlrev_b32_e32 v1, 4, v5
	v_subrev_nc_u32_e32 v14, s30, v5
	s_add_nc_u64 s[40:41], s[20:21], s[40:41]
	s_sub_co_i32 s37, 0, s25
	v_lshl_add_u32 v13, v7, 3, s34
	v_xor_b32_e32 v17, 2, v4
	v_add_nc_u32_e32 v14, 1, v14
	s_wait_kmcnt 0x0
	s_add_nc_u64 s[4:5], s[38:39], s[4:5]
	v_readfirstlane_b32 s29, v6
	s_wait_alu 0xfffe
	v_add_co_u32 v1, s4, s4, v1
	s_wait_alu 0xf1ff
	v_add_co_ci_u32_e64 v12, null, s5, 0, s4
	s_mul_f32 s29, s29, 0x4f7ffffe
	v_lshl_or_b32 v6, v7, 5, v11
	v_add_co_u32 v11, s4, v1, v2
	s_delay_alu instid0(SALU_CYCLE_1)
	s_cvt_u32_f32 s5, s29
	s_wait_alu 0xf1ff
	v_add_co_ci_u32_e64 v12, null, 0, v12, s4
	v_add_co_u32 v1, s4, s40, v3
	s_wait_alu 0xfffe
	s_mul_i32 s37, s37, s5
	v_add_co_ci_u32_e64 v2, null, s41, 0, s4
	v_add_nc_u32_e32 v15, 0x60, v6
	v_xor_b32_e32 v18, 1, v4
	v_mov_b32_e32 v6, 0xff7fffff
	s_mul_hi_u32 s4, s5, s37
	s_mov_b32 s28, 0
	s_mov_b32 s29, s13
	s_wait_alu 0xfffe
	s_add_co_i32 s37, s5, s4
	s_branch .LBB63_13
.LBB63_11:                              ;   in Loop: Header=BB63_13 Depth=1
	s_or_b32 exec_lo, exec_lo, s38
.LBB63_12:                              ;   in Loop: Header=BB63_13 Depth=1
	s_wait_alu 0xfffe
	s_or_b32 exec_lo, exec_lo, s5
	v_add_nc_u32_e32 v19, 4, v19
	v_add_co_u32 v1, s5, v1, 16
	s_wait_alu 0xf1ff
	v_add_co_ci_u32_e64 v2, null, 0, v2, s5
	s_delay_alu instid0(VALU_DEP_3)
	v_cmp_le_i32_e64 s4, s31, v19
	v_add_nc_u32_e32 v13, 32, v13
	v_add_nc_u32_e32 v15, 0x80, v15
	s_or_b32 s28, s4, s28
	s_wait_alu 0xfffe
	s_and_not1_b32 exec_lo, exec_lo, s28
	s_cbranch_execz .LBB63_20
.LBB63_13:                              ; =>This Inner Loop Header: Depth=1
	v_sub_nc_u32_e32 v20, 0, v13
	s_delay_alu instid0(VALU_DEP_1) | instskip(SKIP_1) | instid1(VALU_DEP_1)
	v_max_i32_e32 v20, v13, v20
	s_wait_dscnt 0x0
	v_mul_hi_u32 v21, v20, s18
	s_delay_alu instid0(VALU_DEP_1) | instskip(NEXT) | instid1(VALU_DEP_1)
	v_mul_lo_u32 v22, v21, s12
	v_sub_nc_u32_e32 v20, v20, v22
	v_add_nc_u32_e32 v22, 1, v21
	s_delay_alu instid0(VALU_DEP_2) | instskip(SKIP_2) | instid1(VALU_DEP_1)
	v_subrev_nc_u32_e32 v23, s12, v20
	v_cmp_le_u32_e64 s4, s12, v20
	s_wait_alu 0xf1ff
	v_cndmask_b32_e64 v21, v21, v22, s4
	s_delay_alu instid0(VALU_DEP_3) | instskip(SKIP_1) | instid1(VALU_DEP_3)
	v_cndmask_b32_e64 v20, v20, v23, s4
	v_ashrrev_i32_e32 v22, 31, v13
	v_add_nc_u32_e32 v23, 1, v21
	s_delay_alu instid0(VALU_DEP_3) | instskip(NEXT) | instid1(VALU_DEP_3)
	v_cmp_le_u32_e64 s4, s12, v20
	v_xor_b32_e32 v22, s19, v22
	s_wait_alu 0xf1ff
	s_delay_alu instid0(VALU_DEP_2) | instskip(NEXT) | instid1(VALU_DEP_1)
	v_cndmask_b32_e64 v20, v21, v23, s4
	v_xor_b32_e32 v20, v20, v22
	s_delay_alu instid0(VALU_DEP_1) | instskip(NEXT) | instid1(VALU_DEP_1)
	v_sub_nc_u32_e32 v20, v20, v22
	v_add_nc_u32_e32 v21, s17, v20
	v_cmp_ge_i32_e64 s5, s14, v20
	s_delay_alu instid0(VALU_DEP_2) | instskip(NEXT) | instid1(VALU_DEP_1)
	v_sub_nc_u32_e32 v22, 0, v21
	v_max_i32_e32 v22, v21, v22
	v_ashrrev_i32_e32 v21, 31, v21
	s_delay_alu instid0(VALU_DEP_2) | instskip(NEXT) | instid1(VALU_DEP_1)
	v_mul_hi_u32 v23, v22, s37
	v_mul_lo_u32 v23, v23, s25
	s_delay_alu instid0(VALU_DEP_1) | instskip(NEXT) | instid1(VALU_DEP_1)
	v_sub_nc_u32_e32 v22, v22, v23
	v_subrev_nc_u32_e32 v23, s25, v22
	v_cmp_le_u32_e64 s4, s25, v22
	s_wait_alu 0xf1ff
	s_delay_alu instid0(VALU_DEP_1) | instskip(NEXT) | instid1(VALU_DEP_1)
	v_cndmask_b32_e64 v22, v22, v23, s4
	v_subrev_nc_u32_e32 v23, s25, v22
	v_cmp_le_u32_e64 s4, s25, v22
	s_wait_alu 0xf1ff
	s_delay_alu instid0(VALU_DEP_1) | instskip(NEXT) | instid1(VALU_DEP_1)
	v_cndmask_b32_e64 v22, v22, v23, s4
	v_xor_b32_e32 v22, v22, v21
	s_delay_alu instid0(VALU_DEP_1) | instskip(NEXT) | instid1(VALU_DEP_1)
	v_sub_nc_u32_e32 v21, v22, v21
	v_cmp_ne_u32_e64 s4, 0, v21
	s_and_b32 s4, s4, s5
	s_wait_alu 0xfffe
	s_and_saveexec_b32 s5, s4
	s_wait_alu 0xfffe
	s_xor_b32 s4, exec_lo, s5
	s_cbranch_execz .LBB63_17
; %bb.14:                               ;   in Loop: Header=BB63_13 Depth=1
	s_and_saveexec_b32 s5, s3
; %bb.15:                               ;   in Loop: Header=BB63_13 Depth=1
	ds_store_b32 v15, v16
; %bb.16:                               ;   in Loop: Header=BB63_13 Depth=1
	s_wait_alu 0xfffe
	s_or_b32 exec_lo, exec_lo, s5
.LBB63_17:                              ;   in Loop: Header=BB63_13 Depth=1
	s_wait_alu 0xfffe
	s_and_not1_saveexec_b32 s5, s4
	s_cbranch_execz .LBB63_12
; %bb.18:                               ;   in Loop: Header=BB63_13 Depth=1
	global_load_b32 v20, v[1:2], off
	s_wait_loadcnt 0x0
	v_mad_co_i64_i32 v[20:21], null, v20, s29, 0
	s_delay_alu instid0(VALU_DEP_1) | instskip(NEXT) | instid1(VALU_DEP_1)
	v_lshlrev_b64_e32 v[20:21], 1, v[20:21]
	v_add_co_u32 v20, s4, v11, v20
	s_wait_alu 0xf1ff
	s_delay_alu instid0(VALU_DEP_2)
	v_add_co_ci_u32_e64 v21, null, v12, v21, s4
	v_cmp_gt_i32_e64 s4, 32, v17
	s_clause 0x3
	global_load_b32 v22, v[20:21], off
	global_load_b32 v23, v[20:21], off offset:128
	global_load_b32 v24, v[20:21], off offset:256
	;; [unrolled: 1-line block ×3, first 2 shown]
	ds_load_b32 v21, v10
	s_wait_dscnt 0x0
	v_and_b32_e32 v25, 0xffff, v21
	v_lshrrev_b32_e32 v26, 16, v21
	;;#ASMSTART
	v_cvt_f32_f16 v21, v25;
	;;#ASMEND
	s_wait_loadcnt 0x3
	v_and_b32_e32 v27, 0xffff, v22
	v_lshrrev_b32_e32 v28, 16, v22
	;;#ASMSTART
	v_cvt_f32_f16 v22, v26;
	;;#ASMEND
	;;#ASMSTART
	v_cvt_f32_f16 v25, v27;
	;;#ASMEND
	;; [unrolled: 3-line block ×3, first 2 shown]
	ds_load_b32 v27, v10 offset:4
	s_wait_loadcnt 0x2
	v_and_b32_e32 v29, 0xffff, v23
	v_lshrrev_b32_e32 v30, 16, v23
	s_wait_loadcnt 0x1
	v_lshrrev_b32_e32 v33, 16, v24
	s_wait_dscnt 0x0
	v_and_b32_e32 v28, 0xffff, v27
	v_lshrrev_b32_e32 v27, 16, v27
	;;#ASMSTART
	v_cvt_f32_f16 v23, v28;
	;;#ASMEND
	;;#ASMSTART
	v_cvt_f32_f16 v27, v27;
	;;#ASMEND
	;; [unrolled: 3-line block ×4, first 2 shown]
	ds_load_b32 v30, v10 offset:8
	v_mul_f32_e32 v23, v23, v28
	v_dual_mul_f32 v27, v27, v29 :: v_dual_and_b32 v32, 0xffff, v24
	s_wait_alu 0xf1ff
	v_cndmask_b32_e64 v28, v4, v17, s4
	s_wait_loadcnt 0x0
	v_lshrrev_b32_e32 v29, 16, v20
	v_fmac_f32_e32 v23, v21, v25
	v_and_b32_e32 v25, 0xffff, v20
	v_fmac_f32_e32 v27, v22, v26
	v_cmp_gt_i32_e64 s4, 32, v18
	s_wait_dscnt 0x0
	v_and_b32_e32 v31, 0xffff, v30
	v_lshrrev_b32_e32 v30, 16, v30
	;;#ASMSTART
	v_cvt_f32_f16 v24, v31;
	;;#ASMEND
	;;#ASMSTART
	v_cvt_f32_f16 v30, v30;
	;;#ASMEND
	;; [unrolled: 3-line block ×4, first 2 shown]
	ds_load_b32 v33, v10 offset:12
	v_fmac_f32_e32 v23, v24, v31
	s_wait_dscnt 0x0
	v_and_b32_e32 v21, 0xffff, v33
	v_lshrrev_b32_e32 v22, 16, v33
	;;#ASMSTART
	v_cvt_f32_f16 v20, v21;
	;;#ASMEND
	;;#ASMSTART
	v_cvt_f32_f16 v21, v22;
	;;#ASMEND
	;; [unrolled: 3-line block ×3, first 2 shown]
	s_delay_alu instid0(VALU_DEP_1) | instskip(SKIP_4) | instid1(VALU_DEP_2)
	v_dual_fmac_f32 v23, v20, v22 :: v_dual_lshlrev_b32 v20, 2, v28
	v_fmac_f32_e32 v27, v30, v32
	;;#ASMSTART
	v_cvt_f32_f16 v24, v29;
	;;#ASMEND
	s_wait_alu 0xf1ff
	v_cndmask_b32_e64 v22, v4, v18, s4
	v_fmac_f32_e32 v27, v21, v24
	s_delay_alu instid0(VALU_DEP_1)
	v_add_f32_e32 v21, v23, v27
	ds_bpermute_b32 v20, v20, v21
	s_wait_dscnt 0x0
	v_dual_add_f32 v20, v21, v20 :: v_dual_lshlrev_b32 v21, 2, v22
	ds_bpermute_b32 v21, v21, v20
	s_and_saveexec_b32 s38, s3
	s_cbranch_execz .LBB63_11
; %bb.19:                               ;   in Loop: Header=BB63_13 Depth=1
	s_wait_dscnt 0x0
	v_add_f32_e32 v20, v20, v21
	v_add_nc_u32_e32 v22, v14, v13
	s_delay_alu instid0(VALU_DEP_1) | instskip(NEXT) | instid1(VALU_DEP_1)
	v_cvt_f32_i32_e32 v22, v22
	v_mul_f32_e32 v22, s15, v22
	s_delay_alu instid0(VALU_DEP_1) | instskip(NEXT) | instid1(VALU_DEP_1)
	v_cndmask_b32_e32 v21, 0, v22, vcc_lo
	v_dual_max_num_f32 v22, v6, v6 :: v_dual_fmac_f32 v21, s7, v20
	v_add_nc_u32_e32 v20, v5, v13
	s_delay_alu instid0(VALU_DEP_2) | instskip(NEXT) | instid1(VALU_DEP_2)
	v_max_num_f32_e32 v22, v22, v21
	v_cmp_gt_i32_e64 s4, s30, v20
	s_wait_alu 0xf1ff
	s_delay_alu instid0(VALU_DEP_1) | instskip(NEXT) | instid1(VALU_DEP_3)
	v_cndmask_b32_e64 v20, 0, v21, s4
	v_cndmask_b32_e64 v6, v6, v22, s4
	ds_store_b32 v15, v20
	s_branch .LBB63_11
.LBB63_20:
	s_or_b32 exec_lo, exec_lo, s28
.LBB63_21:
	s_delay_alu instid0(SALU_CYCLE_1)
	s_or_b32 exec_lo, exec_lo, s6
	v_xor_b32_e32 v1, 16, v4
	v_xor_b32_e32 v5, 8, v4
	;; [unrolled: 1-line block ×3, first 2 shown]
	s_clause 0x2
	s_load_b128 s[4:7], s[0:1], 0x0
	s_load_b64 s[14:15], s[0:1], 0x10
	s_load_b64 s[28:29], s[0:1], 0x28
	v_cmp_gt_i32_e32 vcc_lo, 32, v1
	s_wait_alu 0xfffd
	v_cndmask_b32_e32 v1, v4, v1, vcc_lo
	v_cmp_gt_i32_e32 vcc_lo, 32, v5
	s_delay_alu instid0(VALU_DEP_2)
	v_lshlrev_b32_e32 v2, 2, v1
	s_wait_alu 0xfffd
	v_cndmask_b32_e32 v5, v4, v5, vcc_lo
	v_cmp_gt_i32_e32 vcc_lo, 32, v10
	ds_bpermute_b32 v1, v2, v6
	v_dual_max_num_f32 v6, v6, v6 :: v_dual_lshlrev_b32 v5, 2, v5
	s_wait_alu 0xfffd
	v_cndmask_b32_e32 v10, v4, v10, vcc_lo
	s_delay_alu instid0(VALU_DEP_1) | instskip(SKIP_1) | instid1(VALU_DEP_1)
	v_lshlrev_b32_e32 v12, 2, v10
	v_and_b32_e32 v10, 31, v0
	v_cmp_eq_u32_e32 vcc_lo, 0, v10
	s_wait_dscnt 0x0
	v_max_num_f32_e32 v1, v1, v1
	s_delay_alu instid0(VALU_DEP_1) | instskip(SKIP_3) | instid1(VALU_DEP_1)
	v_max_num_f32_e32 v1, v6, v1
	ds_bpermute_b32 v6, v5, v1
	s_wait_dscnt 0x0
	v_max_num_f32_e32 v6, v6, v6
	v_dual_max_num_f32 v1, v1, v6 :: v_dual_lshlrev_b32 v6, 2, v7
	ds_bpermute_b32 v11, v12, v1
	s_and_saveexec_b32 s0, vcc_lo
	s_cbranch_execz .LBB63_23
; %bb.22:
	s_wait_dscnt 0x0
	v_max_num_f32_e32 v11, v11, v11
	v_max_num_f32_e32 v1, v1, v1
	s_delay_alu instid0(VALU_DEP_1)
	v_max_num_f32_e32 v1, v1, v11
	ds_store_b32 v6, v1 offset:64
.LBB63_23:
	s_or_b32 exec_lo, exec_lo, s0
	v_cmp_gt_u32_e64 s0, 4, v10
	v_mov_b32_e32 v1, 0xff7fffff
	s_wait_dscnt 0x0
	v_lshlrev_b32_e32 v11, 2, v10
	s_wait_loadcnt 0x0
	s_barrier_signal -1
	s_barrier_wait -1
	global_inv scope:SCOPE_SE
	s_and_saveexec_b32 s1, s0
; %bb.24:
	ds_load_b32 v1, v11 offset:64
; %bb.25:
	s_or_b32 exec_lo, exec_lo, s1
	v_xor_b32_e32 v13, 2, v4
	v_xor_b32_e32 v15, 1, v4
	s_delay_alu instid0(VALU_DEP_2) | instskip(NEXT) | instid1(VALU_DEP_1)
	v_cmp_gt_i32_e64 s1, 32, v13
	v_cndmask_b32_e64 v13, v4, v13, s1
	s_delay_alu instid0(VALU_DEP_3) | instskip(NEXT) | instid1(VALU_DEP_2)
	v_cmp_gt_i32_e64 s1, 32, v15
	v_lshlrev_b32_e32 v13, 2, v13
	s_wait_alu 0xf1ff
	s_delay_alu instid0(VALU_DEP_2)
	v_cndmask_b32_e64 v4, v4, v15, s1
	s_sub_co_i32 s1, s31, s8
	s_wait_alu 0xfffe
	s_lshl_b32 s1, s1, 3
	s_wait_dscnt 0x0
	ds_bpermute_b32 v14, v13, v1
	v_max_num_f32_e32 v1, v1, v1
	s_wait_alu 0xfffe
	s_add_co_i32 s1, s1, s34
	s_wait_alu 0xfffe
	s_min_i32 s1, s1, s30
	s_wait_alu 0xfffe
	s_sub_co_i32 s25, s1, s34
	s_wait_alu 0xfffe
	v_cmp_gt_i32_e64 s1, s25, v0
	s_wait_dscnt 0x0
	v_dual_max_num_f32 v15, v14, v14 :: v_dual_lshlrev_b32 v14, 2, v4
	s_delay_alu instid0(VALU_DEP_1) | instskip(SKIP_4) | instid1(VALU_DEP_1)
	v_max_num_f32_e32 v1, v1, v15
	v_mov_b32_e32 v15, 0
	ds_bpermute_b32 v4, v14, v1
	s_wait_dscnt 0x0
	v_max_num_f32_e32 v4, v4, v4
	v_max_num_f32_e32 v1, v1, v4
	v_lshl_add_u32 v4, v0, 2, 0x60
	ds_bpermute_b32 v1, v15, v1
	s_and_saveexec_b32 s34, s1
	s_cbranch_execz .LBB63_29
; %bb.26:
	v_lshl_add_u32 v16, v0, 2, 0x60
	v_mov_b32_e32 v15, 0
	v_mov_b32_e32 v17, v0
	s_mov_b32 s37, 0
.LBB63_27:                              ; =>This Inner Loop Header: Depth=1
	ds_load_b32 v18, v16
	v_add_nc_u32_e32 v17, 0x80, v17
	s_delay_alu instid0(VALU_DEP_1) | instskip(SKIP_4) | instid1(VALU_DEP_1)
	v_cmp_le_i32_e64 s3, s25, v17
	s_wait_alu 0xfffe
	s_or_b32 s37, s3, s37
	s_wait_dscnt 0x0
	v_sub_f32_e32 v18, v18, v1
	v_mul_f32_e32 v18, 0x3fb8aa3b, v18
	s_delay_alu instid0(VALU_DEP_1)
	v_exp_f32_e32 v18, v18
	ds_store_b32 v16, v18
	v_dual_add_f32 v15, v15, v18 :: v_dual_add_nc_u32 v16, 0x200, v16
	s_wait_alu 0xfffe
	s_and_not1_b32 exec_lo, exec_lo, s37
	s_cbranch_execnz .LBB63_27
; %bb.28:
	s_or_b32 exec_lo, exec_lo, s37
.LBB63_29:
	s_wait_alu 0xfffe
	s_or_b32 exec_lo, exec_lo, s34
	ds_bpermute_b32 v2, v2, v15
	s_wait_dscnt 0x0
	v_add_f32_e32 v2, v15, v2
	ds_bpermute_b32 v5, v5, v2
	s_wait_dscnt 0x0
	v_add_f32_e32 v2, v2, v5
	;; [unrolled: 3-line block ×5, first 2 shown]
	s_and_saveexec_b32 s3, vcc_lo
; %bb.30:
	ds_store_b32 v6, v2 offset:80
; %bb.31:
	s_wait_alu 0xfffe
	s_or_b32 exec_lo, exec_lo, s3
	s_wait_loadcnt_dscnt 0x0
	s_barrier_signal -1
	s_barrier_wait -1
	global_inv scope:SCOPE_SE
	s_and_saveexec_b32 s3, s0
; %bb.32:
	ds_load_b32 v2, v11 offset:80
; %bb.33:
	s_wait_alu 0xfffe
	s_or_b32 exec_lo, exec_lo, s3
	s_wait_dscnt 0x0
	ds_bpermute_b32 v5, v13, v2
	s_wait_dscnt 0x0
	v_add_f32_e32 v2, v2, v5
	ds_bpermute_b32 v5, v14, v2
	s_wait_dscnt 0x0
	v_dual_add_f32 v2, v2, v5 :: v_dual_mov_b32 v5, 0
	ds_bpermute_b32 v2, v5, v2
	s_and_saveexec_b32 s0, s1
	s_cbranch_execz .LBB63_36
; %bb.34:
	s_wait_dscnt 0x0
	v_add_f32_e32 v5, 0x358637bd, v2
	s_mov_b32 s1, 0
	s_delay_alu instid0(VALU_DEP_1) | instskip(SKIP_1) | instid1(VALU_DEP_2)
	v_div_scale_f32 v6, null, v5, v5, 1.0
	v_div_scale_f32 v13, vcc_lo, 1.0, v5, 1.0
	v_rcp_f32_e32 v11, v6
	s_delay_alu instid0(TRANS32_DEP_1) | instskip(NEXT) | instid1(VALU_DEP_1)
	v_fma_f32 v12, -v6, v11, 1.0
	v_fmac_f32_e32 v11, v12, v11
	s_delay_alu instid0(VALU_DEP_1) | instskip(NEXT) | instid1(VALU_DEP_1)
	v_mul_f32_e32 v12, v13, v11
	v_fma_f32 v14, -v6, v12, v13
	s_delay_alu instid0(VALU_DEP_1) | instskip(NEXT) | instid1(VALU_DEP_1)
	v_fmac_f32_e32 v12, v14, v11
	v_fma_f32 v6, -v6, v12, v13
	s_wait_alu 0xfffd
	s_delay_alu instid0(VALU_DEP_1) | instskip(NEXT) | instid1(VALU_DEP_1)
	v_div_fmas_f32 v6, v6, v11, v12
	v_div_fixup_f32 v5, v6, v5, 1.0
	v_mov_b32_e32 v6, v0
.LBB63_35:                              ; =>This Inner Loop Header: Depth=1
	ds_load_b32 v11, v4
	s_wait_dscnt 0x0
	v_dual_mul_f32 v11, v5, v11 :: v_dual_add_nc_u32 v6, 0x80, v6
	s_delay_alu instid0(VALU_DEP_1)
	v_cmp_le_i32_e32 vcc_lo, s25, v6
	ds_store_b32 v4, v11
	v_add_nc_u32_e32 v4, 0x200, v4
	s_wait_alu 0xfffe
	s_or_b32 s1, vcc_lo, s1
	s_wait_alu 0xfffe
	s_and_not1_b32 exec_lo, exec_lo, s1
	s_cbranch_execnz .LBB63_35
.LBB63_36:
	s_wait_alu 0xfffe
	s_or_b32 exec_lo, exec_lo, s0
	s_mul_i32 s0, s11, s26
	s_wait_loadcnt_dscnt 0x0
	s_wait_alu 0xfffe
	s_mul_i32 s26, s0, s27
	s_mov_b32 s0, exec_lo
	s_barrier_signal -1
	s_barrier_wait -1
	global_inv scope:SCOPE_SE
	v_cmpx_eq_u32_e32 0, v0
	s_cbranch_execz .LBB63_38
; %bb.37:
	s_ashr_i32 s27, s26, 31
	s_wait_alu 0xfffe
	s_mul_i32 s38, s11, ttmp9
	s_lshl_b32 s1, s33, 2
	s_lshl_b64 s[40:41], s[26:27], 2
	s_ashr_i32 s39, s38, 31
	s_wait_alu 0xfffe
	v_mov_b32_e32 v4, s1
	s_wait_kmcnt 0x0
	s_add_nc_u64 s[6:7], s[6:7], s[40:41]
	s_lshl_b64 s[38:39], s[38:39], 2
	s_add_nc_u64 s[4:5], s[4:5], s[40:41]
	s_wait_alu 0xfffe
	s_add_nc_u64 s[6:7], s[6:7], s[38:39]
	s_add_nc_u64 s[4:5], s[4:5], s[38:39]
	s_clause 0x1
	global_store_b32 v4, v1, s[6:7]
	global_store_b32 v4, v2, s[4:5]
.LBB63_38:
	s_wait_alu 0xfffe
	s_or_b32 exec_lo, exec_lo, s0
	v_mov_b32_e32 v11, 0
	s_and_saveexec_b32 s1, s2
	s_cbranch_execz .LBB63_46
; %bb.39:
	s_abs_i32 s2, s10
	s_ashr_i32 s25, s24, 31
	s_wait_alu 0xfffe
	s_cvt_f32_u32 s0, s2
	v_dual_mov_b32 v11, 0 :: v_dual_lshlrev_b32 v2, 4, v10
	s_wait_kmcnt 0x0
	s_lshl_b64 s[6:7], s[22:23], 2
	s_wait_alu 0xfffe
	v_rcp_iflag_f32_e32 v1, s0
	s_lshl_b64 s[22:23], s[24:25], 1
	s_add_nc_u64 s[6:7], s[20:21], s[6:7]
	s_add_nc_u64 s[20:21], s[28:29], s[22:23]
	s_sub_co_i32 s3, s36, s9
	s_sub_co_i32 s9, 0, s2
	v_add_co_u32 v12, s10, s20, v2
	s_wait_alu 0xfffe
	v_add_co_u32 v5, s6, s6, v3
	s_delay_alu instid0(TRANS32_DEP_1)
	v_readfirstlane_b32 s0, v1
	v_add_co_ci_u32_e64 v13, null, s21, 0, s10
	s_wait_alu 0xf1ff
	v_add_co_ci_u32_e64 v6, null, s7, 0, s6
	s_mul_f32 s0, s0, 0x4f7ffffe
	v_lshl_add_u32 v14, v7, 5, 0x60
	s_mov_b32 s4, s13
	s_mov_b32 s5, 0
	s_wait_alu 0xfffe
	s_cvt_u32_f32 s0, s0
	s_add_co_i32 s35, s35, -1
	s_wait_alu 0xfffe
	s_delay_alu instid0(SALU_CYCLE_1)
	s_mul_i32 s9, s9, s0
	s_wait_alu 0xfffe
	s_mul_hi_u32 s6, s0, s9
	s_wait_alu 0xfffe
	s_add_co_i32 s6, s0, s6
	s_branch .LBB63_42
.LBB63_40:                              ;   in Loop: Header=BB63_42 Depth=1
	s_wait_alu 0xfffe
	s_or_b32 exec_lo, exec_lo, s7
	v_and_b32_e32 v20, 0xffff, v20
	v_and_b32_e32 v21, 0xffff, v21
	v_lshlrev_b32_e32 v25, 16, v25
	v_and_b32_e32 v22, 0xffff, v22
	v_and_b32_e32 v19, 0xffff, v19
	v_lshl_or_b32 v17, v17, 16, v20
	v_lshl_or_b32 v18, v18, 16, v21
	v_lshlrev_b32_e32 v20, 16, v24
	v_lshlrev_b32_e32 v21, 16, v23
	v_and_or_b32 v1, 0xffff, v1, v25
	;;#ASMSTART
	v_pk_mul_f16 v1, v17, v1;

	;;#ASMEND
	v_lshl_or_b32 v16, v16, 16, v22
	v_and_or_b32 v2, 0xffff, v2, v20
	v_and_or_b32 v3, 0xffff, v3, v21
	v_lshl_or_b32 v15, v15, 16, v19
	;;#ASMSTART
	v_pk_mul_f16 v2, v18, v2;

	;;#ASMEND
	;;#ASMSTART
	v_pk_mul_f16 v3, v16, v3;

	;;#ASMEND
	;; [unrolled: 4-line block ×3, first 2 shown]
	;;#ASMSTART
	v_pk_add_f16 v1, v1, v2;

	;;#ASMEND
	;;#ASMSTART
	v_pk_add_f16 v1, v1, v3;

	;;#ASMEND
	;; [unrolled: 4-line block ×3, first 2 shown]
	v_and_b32_e32 v2, 0xffff, v1
	v_lshrrev_b32_e32 v3, 16, v1
	;;#ASMSTART
	v_cvt_f32_f16 v1, v2;
	;;#ASMEND
	;;#ASMSTART
	v_cvt_f32_f16 v2, v3;
	;;#ASMEND
	s_delay_alu instid0(VALU_DEP_2) | instskip(NEXT) | instid1(VALU_DEP_1)
	v_add_f32_e32 v1, v1, v2
	v_add_f32_e32 v11, v11, v1
.LBB63_41:                              ;   in Loop: Header=BB63_42 Depth=1
	s_wait_alu 0xfffe
	s_or_b32 exec_lo, exec_lo, s0
	v_add_nc_u32_e32 v9, 4, v9
	v_add_co_u32 v5, s0, v5, 16
	s_wait_alu 0xf1ff
	v_add_co_ci_u32_e64 v6, null, 0, v6, s0
	s_delay_alu instid0(VALU_DEP_3)
	v_cmp_le_i32_e32 vcc_lo, s31, v9
	v_add_nc_u32_e32 v8, 32, v8
	v_add_nc_u32_e32 v14, 0x80, v14
	s_or_b32 s5, vcc_lo, s5
	s_wait_alu 0xfffe
	s_and_not1_b32 exec_lo, exec_lo, s5
	s_cbranch_execz .LBB63_45
.LBB63_42:                              ; =>This Inner Loop Header: Depth=1
	v_sub_nc_u32_e32 v1, 0, v8
	s_delay_alu instid0(VALU_DEP_1) | instskip(NEXT) | instid1(VALU_DEP_1)
	v_max_i32_e32 v1, v8, v1
	v_mul_hi_u32 v2, v1, s18
	s_delay_alu instid0(VALU_DEP_1) | instskip(NEXT) | instid1(VALU_DEP_1)
	v_mul_lo_u32 v3, v2, s12
	v_sub_nc_u32_e32 v1, v1, v3
	v_add_nc_u32_e32 v3, 1, v2
	s_delay_alu instid0(VALU_DEP_2) | instskip(SKIP_2) | instid1(VALU_DEP_2)
	v_subrev_nc_u32_e32 v4, s12, v1
	v_cmp_le_u32_e32 vcc_lo, s12, v1
	s_wait_alu 0xfffd
	v_dual_cndmask_b32 v2, v2, v3 :: v_dual_cndmask_b32 v1, v1, v4
	v_ashrrev_i32_e32 v3, 31, v8
	s_delay_alu instid0(VALU_DEP_2) | instskip(NEXT) | instid1(VALU_DEP_3)
	v_add_nc_u32_e32 v4, 1, v2
	v_cmp_le_u32_e32 vcc_lo, s12, v1
	s_delay_alu instid0(VALU_DEP_3) | instskip(SKIP_1) | instid1(VALU_DEP_3)
	v_xor_b32_e32 v3, s19, v3
	s_wait_alu 0xfffd
	v_cndmask_b32_e32 v1, v2, v4, vcc_lo
	s_delay_alu instid0(VALU_DEP_1) | instskip(NEXT) | instid1(VALU_DEP_1)
	v_xor_b32_e32 v1, v1, v3
	v_sub_nc_u32_e32 v1, v1, v3
	s_delay_alu instid0(VALU_DEP_1) | instskip(SKIP_1) | instid1(VALU_DEP_2)
	v_add_nc_u32_e32 v2, s17, v1
	v_cmp_lt_i32_e64 s0, s3, v1
	v_sub_nc_u32_e32 v3, 0, v2
	s_delay_alu instid0(VALU_DEP_1) | instskip(SKIP_1) | instid1(VALU_DEP_1)
	v_max_i32_e32 v3, v2, v3
	s_wait_alu 0xfffe
	v_mul_hi_u32 v4, v3, s6
	s_delay_alu instid0(VALU_DEP_1) | instskip(NEXT) | instid1(VALU_DEP_1)
	v_mul_lo_u32 v4, v4, s2
	v_sub_nc_u32_e32 v3, v3, v4
	s_delay_alu instid0(VALU_DEP_1) | instskip(SKIP_2) | instid1(VALU_DEP_2)
	v_subrev_nc_u32_e32 v4, s2, v3
	v_cmp_le_u32_e32 vcc_lo, s2, v3
	s_wait_alu 0xfffd
	v_cndmask_b32_e32 v3, v3, v4, vcc_lo
	v_ashrrev_i32_e32 v2, 31, v2
	s_delay_alu instid0(VALU_DEP_2) | instskip(SKIP_2) | instid1(VALU_DEP_2)
	v_subrev_nc_u32_e32 v4, s2, v3
	v_cmp_le_u32_e32 vcc_lo, s2, v3
	s_wait_alu 0xfffd
	v_cndmask_b32_e32 v3, v3, v4, vcc_lo
	s_delay_alu instid0(VALU_DEP_1) | instskip(NEXT) | instid1(VALU_DEP_1)
	v_xor_b32_e32 v3, v3, v2
	v_sub_nc_u32_e32 v2, v3, v2
	s_delay_alu instid0(VALU_DEP_1)
	v_cmp_eq_u32_e32 vcc_lo, 0, v2
	s_or_b32 s7, vcc_lo, s0
	s_wait_alu 0xfffe
	s_and_saveexec_b32 s0, s7
	s_cbranch_execz .LBB63_41
; %bb.43:                               ;   in Loop: Header=BB63_42 Depth=1
	global_load_b32 v15, v[5:6], off
	ds_load_2addr_b64 v[1:4], v14 offset1:1
	ds_load_2addr_b64 v[22:25], v14 offset0:2 offset1:3
	s_mov_b32 s7, exec_lo
	s_wait_dscnt 0x1
	;;#ASMSTART
	v_cvt_f16_f32 v20, v1;

	;;#ASMEND
	;;#ASMSTART
	v_cvt_f16_f32 v17, v2;

	;;#ASMEND
	;; [unrolled: 4-line block ×4, first 2 shown]
	s_wait_dscnt 0x0
	;;#ASMSTART
	v_cvt_f16_f32 v22, v22;

	;;#ASMEND
	s_wait_loadcnt 0x0
	v_mad_co_i64_i32 v[15:16], null, v15, s4, 0
	s_delay_alu instid0(VALU_DEP_1) | instskip(NEXT) | instid1(VALU_DEP_1)
	v_lshlrev_b64_e32 v[15:16], 1, v[15:16]
	v_add_co_u32 v1, vcc_lo, v12, v15
	s_wait_alu 0xfffd
	s_delay_alu instid0(VALU_DEP_2)
	v_add_co_ci_u32_e64 v2, null, v13, v16, vcc_lo
	;;#ASMSTART
	v_cvt_f16_f32 v16, v23;

	;;#ASMEND
	;;#ASMSTART
	v_cvt_f16_f32 v19, v24;

	;;#ASMEND
	;; [unrolled: 4-line block ×3, first 2 shown]
	global_load_b128 v[1:4], v[1:2], off
	s_wait_loadcnt 0x0
	v_lshrrev_b32_e32 v25, 16, v1
	v_lshrrev_b32_e32 v24, 16, v2
	;; [unrolled: 1-line block ×3, first 2 shown]
	v_cmpx_eq_u32_e64 s35, v9
	s_cbranch_execz .LBB63_40
; %bb.44:                               ;   in Loop: Header=BB63_42 Depth=1
	v_cmp_gt_i32_e32 vcc_lo, s30, v8
	v_add_nc_u32_e32 v26, 1, v8
	v_add_nc_u32_e32 v27, 2, v8
	;; [unrolled: 1-line block ×3, first 2 shown]
	s_wait_alu 0xfffd
	v_dual_cndmask_b32 v1, 0, v1 :: v_dual_add_nc_u32 v30, 5, v8
	v_cmp_gt_i32_e32 vcc_lo, s30, v26
	v_add_nc_u32_e32 v28, 3, v8
	s_wait_alu 0xfffd
	v_dual_cndmask_b32 v25, 0, v25 :: v_dual_add_nc_u32 v26, 4, v8
	v_cmp_gt_i32_e32 vcc_lo, s30, v27
	s_wait_alu 0xfffd
	v_dual_cndmask_b32 v2, 0, v2 :: v_dual_add_nc_u32 v27, 6, v8
	v_cmp_gt_i32_e32 vcc_lo, s30, v28
	v_and_b32_e32 v28, 0xffff, v4
	v_and_b32_e32 v4, 0xffff0000, v4
	s_wait_alu 0xfffd
	v_cndmask_b32_e32 v24, 0, v24, vcc_lo
	v_cmp_gt_i32_e32 vcc_lo, s30, v27
	s_wait_alu 0xfffd
	v_cndmask_b32_e32 v27, 0, v28, vcc_lo
	v_cmp_gt_i32_e32 vcc_lo, s30, v29
	s_wait_alu 0xfffd
	v_cndmask_b32_e32 v4, 0, v4, vcc_lo
	v_cmp_gt_i32_e32 vcc_lo, s30, v26
	s_delay_alu instid0(VALU_DEP_2)
	v_or_b32_e32 v4, v27, v4
	s_wait_alu 0xfffd
	v_cndmask_b32_e32 v3, 0, v3, vcc_lo
	v_cmp_gt_i32_e32 vcc_lo, s30, v30
	s_wait_alu 0xfffd
	v_cndmask_b32_e32 v23, 0, v23, vcc_lo
	s_branch .LBB63_40
.LBB63_45:
	s_or_b32 exec_lo, exec_lo, s5
.LBB63_46:
	s_wait_alu 0xfffe
	s_or_b32 exec_lo, exec_lo, s1
	v_and_b32_e32 v1, 0x3c0, v0
	v_lshl_add_u32 v2, v10, 2, 0x60
	s_mov_b32 s0, exec_lo
	s_wait_loadcnt 0x0
	s_wait_storecnt 0x0
	s_barrier_signal -1
	s_barrier_wait -1
	global_inv scope:SCOPE_SE
	v_cmpx_eq_u32_e32 64, v1
; %bb.47:
	v_lshlrev_b32_e32 v1, 7, v7
	s_delay_alu instid0(VALU_DEP_1)
	v_add3_u32 v1, v2, v1, 0xffffff00
	ds_store_b32 v1, v11
; %bb.48:
	s_wait_alu 0xfffe
	s_or_b32 exec_lo, exec_lo, s0
	v_and_b32_e32 v3, 0x3e0, v0
	s_mov_b32 s0, exec_lo
	s_wait_loadcnt_dscnt 0x0
	s_barrier_signal -1
	s_barrier_wait -1
	v_lshl_add_u32 v1, v3, 2, v2
	global_inv scope:SCOPE_SE
	v_cmpx_gt_u32_e32 64, v0
	s_cbranch_execz .LBB63_50
; %bb.49:
	ds_load_b32 v4, v1
	s_wait_dscnt 0x0
	v_add_f32_e32 v11, v11, v4
.LBB63_50:
	s_wait_alu 0xfffe
	s_or_b32 exec_lo, exec_lo, s0
	s_delay_alu instid0(SALU_CYCLE_1)
	s_mov_b32 s0, exec_lo
	s_wait_loadcnt 0x0
	s_barrier_signal -1
	s_barrier_wait -1
	global_inv scope:SCOPE_SE
	v_cmpx_eq_u32_e32 32, v3
; %bb.51:
	ds_store_b32 v2, v11
; %bb.52:
	s_wait_alu 0xfffe
	s_or_b32 exec_lo, exec_lo, s0
	v_cmp_gt_u32_e32 vcc_lo, 32, v0
	s_wait_loadcnt_dscnt 0x0
	s_barrier_signal -1
	s_barrier_wait -1
	global_inv scope:SCOPE_SE
	s_and_saveexec_b32 s0, vcc_lo
	s_cbranch_execz .LBB63_54
; %bb.53:
	ds_load_b32 v0, v1
	s_wait_dscnt 0x0
	v_add_f32_e32 v11, v11, v0
.LBB63_54:
	s_wait_alu 0xfffe
	s_or_b32 exec_lo, exec_lo, s0
	s_wait_loadcnt 0x0
	s_barrier_signal -1
	s_barrier_wait -1
	global_inv scope:SCOPE_SE
	s_and_saveexec_b32 s0, vcc_lo
	s_cbranch_execz .LBB63_56
; %bb.55:
	s_lshl_b32 s0, s26, 5
	s_mul_i32 s2, s11, s16
	s_wait_alu 0xfffe
	s_ashr_i32 s1, s0, 31
	s_ashr_i32 s3, s2, 31
	s_wait_alu 0xfffe
	s_lshl_b64 s[0:1], s[0:1], 1
	s_lshl_b64 s[2:3], s[2:3], 1
	s_wait_kmcnt 0x0
	s_wait_alu 0xfffe
	s_add_nc_u64 s[0:1], s[14:15], s[0:1]
	v_lshlrev_b32_e32 v0, 1, v10
	s_wait_alu 0xfffe
	s_add_nc_u64 s[0:1], s[0:1], s[2:3]
	s_mov_b32 s9, 0
	;;#ASMSTART
	v_cvt_f16_f32 v1, v11;

	;;#ASMEND
	s_wait_alu 0xfffe
	s_add_nc_u64 s[0:1], s[0:1], s[8:9]
	global_store_b16 v0, v1, s[0:1]
.LBB63_56:
	s_endpgm
	.section	.rodata,"a",@progbits
	.p2align	6, 0x0
	.amdhsa_kernel _ZN4vllm25paged_attention_v2_kernelIttLi32ELi8ELi128ELNS_18Fp8KVCacheDataTypeE0ELb1ELi512EEEvPfS2_PT_PKS3_PKT0_S9_ifPKiSB_iPKfiiiSD_SD_iiiii
		.amdhsa_group_segment_fixed_size 96
		.amdhsa_private_segment_fixed_size 0
		.amdhsa_kernarg_size 400
		.amdhsa_user_sgpr_count 2
		.amdhsa_user_sgpr_dispatch_ptr 0
		.amdhsa_user_sgpr_queue_ptr 0
		.amdhsa_user_sgpr_kernarg_segment_ptr 1
		.amdhsa_user_sgpr_dispatch_id 0
		.amdhsa_user_sgpr_private_segment_size 0
		.amdhsa_wavefront_size32 1
		.amdhsa_uses_dynamic_stack 0
		.amdhsa_enable_private_segment 0
		.amdhsa_system_sgpr_workgroup_id_x 1
		.amdhsa_system_sgpr_workgroup_id_y 1
		.amdhsa_system_sgpr_workgroup_id_z 1
		.amdhsa_system_sgpr_workgroup_info 0
		.amdhsa_system_vgpr_workitem_id 0
		.amdhsa_next_free_vgpr 34
		.amdhsa_next_free_sgpr 42
		.amdhsa_reserve_vcc 1
		.amdhsa_float_round_mode_32 0
		.amdhsa_float_round_mode_16_64 0
		.amdhsa_float_denorm_mode_32 3
		.amdhsa_float_denorm_mode_16_64 3
		.amdhsa_fp16_overflow 0
		.amdhsa_workgroup_processor_mode 1
		.amdhsa_memory_ordered 1
		.amdhsa_forward_progress 1
		.amdhsa_inst_pref_size 37
		.amdhsa_round_robin_scheduling 0
		.amdhsa_exception_fp_ieee_invalid_op 0
		.amdhsa_exception_fp_denorm_src 0
		.amdhsa_exception_fp_ieee_div_zero 0
		.amdhsa_exception_fp_ieee_overflow 0
		.amdhsa_exception_fp_ieee_underflow 0
		.amdhsa_exception_fp_ieee_inexact 0
		.amdhsa_exception_int_div_zero 0
	.end_amdhsa_kernel
	.section	.text._ZN4vllm25paged_attention_v2_kernelIttLi32ELi8ELi128ELNS_18Fp8KVCacheDataTypeE0ELb1ELi512EEEvPfS2_PT_PKS3_PKT0_S9_ifPKiSB_iPKfiiiSD_SD_iiiii,"axG",@progbits,_ZN4vllm25paged_attention_v2_kernelIttLi32ELi8ELi128ELNS_18Fp8KVCacheDataTypeE0ELb1ELi512EEEvPfS2_PT_PKS3_PKT0_S9_ifPKiSB_iPKfiiiSD_SD_iiiii,comdat
.Lfunc_end63:
	.size	_ZN4vllm25paged_attention_v2_kernelIttLi32ELi8ELi128ELNS_18Fp8KVCacheDataTypeE0ELb1ELi512EEEvPfS2_PT_PKS3_PKT0_S9_ifPKiSB_iPKfiiiSD_SD_iiiii, .Lfunc_end63-_ZN4vllm25paged_attention_v2_kernelIttLi32ELi8ELi128ELNS_18Fp8KVCacheDataTypeE0ELb1ELi512EEEvPfS2_PT_PKS3_PKT0_S9_ifPKiSB_iPKfiiiSD_SD_iiiii
                                        ; -- End function
	.set _ZN4vllm25paged_attention_v2_kernelIttLi32ELi8ELi128ELNS_18Fp8KVCacheDataTypeE0ELb1ELi512EEEvPfS2_PT_PKS3_PKT0_S9_ifPKiSB_iPKfiiiSD_SD_iiiii.num_vgpr, 34
	.set _ZN4vllm25paged_attention_v2_kernelIttLi32ELi8ELi128ELNS_18Fp8KVCacheDataTypeE0ELb1ELi512EEEvPfS2_PT_PKS3_PKT0_S9_ifPKiSB_iPKfiiiSD_SD_iiiii.num_agpr, 0
	.set _ZN4vllm25paged_attention_v2_kernelIttLi32ELi8ELi128ELNS_18Fp8KVCacheDataTypeE0ELb1ELi512EEEvPfS2_PT_PKS3_PKT0_S9_ifPKiSB_iPKfiiiSD_SD_iiiii.numbered_sgpr, 42
	.set _ZN4vllm25paged_attention_v2_kernelIttLi32ELi8ELi128ELNS_18Fp8KVCacheDataTypeE0ELb1ELi512EEEvPfS2_PT_PKS3_PKT0_S9_ifPKiSB_iPKfiiiSD_SD_iiiii.num_named_barrier, 0
	.set _ZN4vllm25paged_attention_v2_kernelIttLi32ELi8ELi128ELNS_18Fp8KVCacheDataTypeE0ELb1ELi512EEEvPfS2_PT_PKS3_PKT0_S9_ifPKiSB_iPKfiiiSD_SD_iiiii.private_seg_size, 0
	.set _ZN4vllm25paged_attention_v2_kernelIttLi32ELi8ELi128ELNS_18Fp8KVCacheDataTypeE0ELb1ELi512EEEvPfS2_PT_PKS3_PKT0_S9_ifPKiSB_iPKfiiiSD_SD_iiiii.uses_vcc, 1
	.set _ZN4vllm25paged_attention_v2_kernelIttLi32ELi8ELi128ELNS_18Fp8KVCacheDataTypeE0ELb1ELi512EEEvPfS2_PT_PKS3_PKT0_S9_ifPKiSB_iPKfiiiSD_SD_iiiii.uses_flat_scratch, 0
	.set _ZN4vllm25paged_attention_v2_kernelIttLi32ELi8ELi128ELNS_18Fp8KVCacheDataTypeE0ELb1ELi512EEEvPfS2_PT_PKS3_PKT0_S9_ifPKiSB_iPKfiiiSD_SD_iiiii.has_dyn_sized_stack, 0
	.set _ZN4vllm25paged_attention_v2_kernelIttLi32ELi8ELi128ELNS_18Fp8KVCacheDataTypeE0ELb1ELi512EEEvPfS2_PT_PKS3_PKT0_S9_ifPKiSB_iPKfiiiSD_SD_iiiii.has_recursion, 0
	.set _ZN4vllm25paged_attention_v2_kernelIttLi32ELi8ELi128ELNS_18Fp8KVCacheDataTypeE0ELb1ELi512EEEvPfS2_PT_PKS3_PKT0_S9_ifPKiSB_iPKfiiiSD_SD_iiiii.has_indirect_call, 0
	.section	.AMDGPU.csdata,"",@progbits
; Kernel info:
; codeLenInByte = 4632
; TotalNumSgprs: 44
; NumVgprs: 34
; ScratchSize: 0
; MemoryBound: 0
; FloatMode: 240
; IeeeMode: 1
; LDSByteSize: 96 bytes/workgroup (compile time only)
; SGPRBlocks: 0
; VGPRBlocks: 4
; NumSGPRsForWavesPerEU: 44
; NumVGPRsForWavesPerEU: 34
; Occupancy: 16
; WaveLimiterHint : 1
; COMPUTE_PGM_RSRC2:SCRATCH_EN: 0
; COMPUTE_PGM_RSRC2:USER_SGPR: 2
; COMPUTE_PGM_RSRC2:TRAP_HANDLER: 0
; COMPUTE_PGM_RSRC2:TGID_X_EN: 1
; COMPUTE_PGM_RSRC2:TGID_Y_EN: 1
; COMPUTE_PGM_RSRC2:TGID_Z_EN: 1
; COMPUTE_PGM_RSRC2:TIDIG_COMP_CNT: 0
	.section	.text._ZN4vllm32paged_attention_v2_reduce_kernelItLi32ELi128ELi512EEEvPT_PKfS4_PKS1_PKii,"axG",@progbits,_ZN4vllm32paged_attention_v2_reduce_kernelItLi32ELi128ELi512EEEvPT_PKfS4_PKS1_PKii,comdat
	.protected	_ZN4vllm32paged_attention_v2_reduce_kernelItLi32ELi128ELi512EEEvPT_PKfS4_PKS1_PKii ; -- Begin function _ZN4vllm32paged_attention_v2_reduce_kernelItLi32ELi128ELi512EEEvPT_PKfS4_PKS1_PKii
	.globl	_ZN4vllm32paged_attention_v2_reduce_kernelItLi32ELi128ELi512EEEvPT_PKfS4_PKS1_PKii
	.p2align	8
	.type	_ZN4vllm32paged_attention_v2_reduce_kernelItLi32ELi128ELi512EEEvPT_PKfS4_PKS1_PKii,@function
_ZN4vllm32paged_attention_v2_reduce_kernelItLi32ELi128ELi512EEEvPT_PKfS4_PKS1_PKii: ; @_ZN4vllm32paged_attention_v2_reduce_kernelItLi32ELi128ELi512EEEvPT_PKfS4_PKS1_PKii
; %bb.0:
	s_load_b128 s[4:7], s[0:1], 0x18
	s_mov_b32 s2, ttmp7
	s_ashr_i32 s3, ttmp7, 31
	s_add_nc_u64 s[8:9], s[0:1], 48
	s_lshl_b64 s[2:3], s[2:3], 2
	s_wait_kmcnt 0x0
	s_add_nc_u64 s[2:3], s[6:7], s[2:3]
	s_load_b32 s18, s[2:3], 0x0
	s_clause 0x2
	s_load_b64 s[6:7], s[0:1], 0x0
	s_load_b32 s14, s[0:1], 0x28
	s_load_b32 s15, s[0:1], 0x30
	s_wait_kmcnt 0x0
	s_add_co_i32 s2, s18, -1
	s_delay_alu instid0(SALU_CYCLE_1)
	s_cmp_gt_u32 s2, 0x1ff
	s_mov_b32 s2, -1
	s_cbranch_scc0 .LBB64_25
; %bb.1:
	s_add_co_i32 s2, s18, 0x1ff
	s_mul_i32 s16, s15, ttmp7
	s_ashr_i32 s3, s2, 31
	v_dual_mov_b32 v4, 0xff7fffff :: v_dual_lshlrev_b32 v3, 2, v0
	s_lshr_b32 s3, s3, 23
	s_mul_i32 s12, s16, s14
	s_add_co_i32 s2, s2, s3
	s_mul_i32 s10, s14, ttmp9
	s_ashr_i32 s17, s2, 9
	s_ashr_i32 s13, s12, 31
	v_cmp_gt_i32_e32 vcc_lo, s17, v0
	s_ashr_i32 s11, s10, 31
	s_and_saveexec_b32 s3, vcc_lo
	s_cbranch_execz .LBB64_5
; %bb.2:
	s_load_b64 s[20:21], s[0:1], 0x10
	s_load_b32 s2, s[8:9], 0xc
	s_lshl_b64 s[22:23], s[12:13], 2
	s_lshl_b64 s[24:25], s[10:11], 2
	v_dual_mov_b32 v4, 0xff7fffff :: v_dual_add_nc_u32 v5, 32, v3
	s_add_nc_u64 s[22:23], s[22:23], s[24:25]
	v_mov_b32_e32 v6, v0
	s_wait_kmcnt 0x0
	s_add_nc_u64 s[20:21], s[20:21], s[22:23]
	s_delay_alu instid0(SALU_CYCLE_1) | instskip(NEXT) | instid1(VALU_DEP_1)
	v_add_co_u32 v1, s19, s20, v3
	v_add_co_ci_u32_e64 v2, null, s21, 0, s19
	s_and_b32 s20, s2, 0xffff
	s_mov_b32 s19, 0
	s_wait_alu 0xfffe
	s_lshl_b32 s21, s20, 2
.LBB64_3:                               ; =>This Inner Loop Header: Depth=1
	global_load_b32 v7, v[1:2], off
	v_add_nc_u32_e32 v6, s20, v6
	v_max_num_f32_e32 v4, v4, v4
	s_wait_alu 0xfffe
	v_add_co_u32 v1, s2, v1, s21
	s_wait_alu 0xf1ff
	v_add_co_ci_u32_e64 v2, null, 0, v2, s2
	v_cmp_le_i32_e64 s2, s17, v6
	s_or_b32 s19, s2, s19
	s_wait_loadcnt 0x0
	v_max_num_f32_e32 v8, v7, v7
	ds_store_b32 v5, v7
	v_dual_max_num_f32 v4, v4, v8 :: v_dual_add_nc_u32 v5, s21, v5
	s_wait_alu 0xfffe
	s_and_not1_b32 exec_lo, exec_lo, s19
	s_cbranch_execnz .LBB64_3
; %bb.4:
	s_or_b32 exec_lo, exec_lo, s19
.LBB64_5:
	s_delay_alu instid0(SALU_CYCLE_1)
	s_or_b32 exec_lo, exec_lo, s3
	v_mbcnt_lo_u32_b32 v1, -1, 0
	s_load_b64 s[2:3], s[0:1], 0x8
	s_wait_dscnt 0x0
	s_barrier_signal -1
	s_barrier_wait -1
	v_xor_b32_e32 v2, 16, v1
	v_xor_b32_e32 v5, 8, v1
	global_inv scope:SCOPE_SE
	v_cmp_gt_i32_e64 s0, 32, v2
	s_delay_alu instid0(VALU_DEP_1) | instskip(SKIP_1) | instid1(VALU_DEP_2)
	v_cndmask_b32_e64 v2, v1, v2, s0
	v_cmp_gt_i32_e64 s0, 32, v5
	v_lshlrev_b32_e32 v6, 2, v2
	s_wait_alu 0xf1ff
	s_delay_alu instid0(VALU_DEP_2) | instskip(SKIP_3) | instid1(VALU_DEP_1)
	v_cndmask_b32_e64 v5, v1, v5, s0
	ds_bpermute_b32 v2, v6, v4
	v_dual_max_num_f32 v4, v4, v4 :: v_dual_lshlrev_b32 v7, 2, v5
	v_xor_b32_e32 v5, 4, v1
	v_cmp_gt_i32_e64 s0, 32, v5
	s_wait_alu 0xf1ff
	s_delay_alu instid0(VALU_DEP_1) | instskip(NEXT) | instid1(VALU_DEP_1)
	v_cndmask_b32_e64 v5, v1, v5, s0
	v_lshlrev_b32_e32 v8, 2, v5
	v_xor_b32_e32 v5, 2, v1
	s_wait_dscnt 0x0
	v_max_num_f32_e32 v2, v2, v2
	s_delay_alu instid0(VALU_DEP_2) | instskip(NEXT) | instid1(VALU_DEP_2)
	v_cmp_gt_i32_e64 s0, 32, v5
	v_max_num_f32_e32 v2, v4, v2
	s_wait_alu 0xf1ff
	s_delay_alu instid0(VALU_DEP_2) | instskip(SKIP_3) | instid1(VALU_DEP_1)
	v_cndmask_b32_e64 v5, v1, v5, s0
	ds_bpermute_b32 v4, v7, v2
	s_wait_dscnt 0x0
	v_max_num_f32_e32 v4, v4, v4
	v_max_num_f32_e32 v2, v2, v4
	ds_bpermute_b32 v4, v8, v2
	s_wait_dscnt 0x0
	v_dual_max_num_f32 v9, v4, v4 :: v_dual_lshlrev_b32 v4, 2, v5
	s_delay_alu instid0(VALU_DEP_1) | instskip(SKIP_4) | instid1(VALU_DEP_1)
	v_max_num_f32_e32 v2, v2, v9
	v_xor_b32_e32 v9, 1, v1
	ds_bpermute_b32 v5, v4, v2
	v_cmp_gt_i32_e64 s0, 32, v9
	s_wait_alu 0xf1ff
	v_cndmask_b32_e64 v1, v1, v9, s0
	v_lshrrev_b32_e32 v9, 5, v0
	s_delay_alu instid0(VALU_DEP_1) | instskip(SKIP_2) | instid1(VALU_DEP_1)
	v_lshlrev_b32_e32 v9, 2, v9
	s_wait_dscnt 0x0
	v_max_num_f32_e32 v5, v5, v5
	v_max_num_f32_e32 v2, v2, v5
	v_lshlrev_b32_e32 v5, 2, v1
	v_and_b32_e32 v1, 31, v0
	ds_bpermute_b32 v10, v5, v2
	v_cmp_eq_u32_e64 s0, 0, v1
	s_and_saveexec_b32 s1, s0
	s_cbranch_execz .LBB64_7
; %bb.6:
	s_wait_dscnt 0x0
	v_max_num_f32_e32 v10, v10, v10
	v_max_num_f32_e32 v2, v2, v2
	s_delay_alu instid0(VALU_DEP_1)
	v_max_num_f32_e32 v2, v2, v10
	ds_store_b32 v9, v2
.LBB64_7:
	s_wait_alu 0xfffe
	s_or_b32 exec_lo, exec_lo, s1
	v_cmp_gt_u32_e64 s1, 4, v1
	v_mov_b32_e32 v2, 0xff7fffff
	s_wait_dscnt 0x0
	v_lshlrev_b32_e32 v10, 2, v1
	s_wait_loadcnt 0x0
	s_barrier_signal -1
	s_barrier_wait -1
	global_inv scope:SCOPE_SE
	s_and_saveexec_b32 s19, s1
; %bb.8:
	ds_load_b32 v2, v10
; %bb.9:
	s_wait_alu 0xfffe
	s_or_b32 exec_lo, exec_lo, s19
	s_wait_dscnt 0x0
	ds_bpermute_b32 v1, v4, v2
	v_max_num_f32_e32 v2, v2, v2
	s_lshl_b32 s19, s17, 2
	v_mov_b32_e32 v11, 0
	s_wait_dscnt 0x0
	v_max_num_f32_e32 v1, v1, v1
	s_delay_alu instid0(VALU_DEP_1) | instskip(SKIP_3) | instid1(VALU_DEP_1)
	v_max_num_f32_e32 v1, v2, v1
	ds_bpermute_b32 v2, v5, v1
	s_wait_dscnt 0x0
	v_max_num_f32_e32 v2, v2, v2
	v_max_num_f32_e32 v1, v1, v2
	ds_bpermute_b32 v12, v11, v1
	s_and_saveexec_b32 s20, vcc_lo
	s_cbranch_execz .LBB64_13
; %bb.10:
	s_load_b32 s21, s[8:9], 0xc
	s_lshl_b64 s[22:23], s[12:13], 2
	s_lshl_b64 s[24:25], s[10:11], 2
	v_mov_b32_e32 v11, 0
	s_add_nc_u64 s[22:23], s[22:23], s[24:25]
	v_mov_b32_e32 v13, v0
	s_wait_kmcnt 0x0
	s_add_nc_u64 s[2:3], s[2:3], s[22:23]
	s_wait_alu 0xfffe
	v_add_co_u32 v1, s2, s2, v3
	s_wait_alu 0xf1ff
	v_add_co_ci_u32_e64 v2, null, s3, 0, s2
	v_add_nc_u32_e32 v3, 32, v3
	s_mov_b32 s3, 0
	s_and_b32 s11, s21, 0xffff
	s_delay_alu instid0(SALU_CYCLE_1)
	s_lshl_b32 s13, s11, 2
.LBB64_11:                              ; =>This Inner Loop Header: Depth=1
	global_load_b32 v14, v[1:2], off
	ds_load_b32 v15, v3
	v_add_nc_u32_e32 v13, s11, v13
	s_wait_dscnt 0x0
	v_sub_f32_e32 v15, v15, v12
	s_delay_alu instid0(VALU_DEP_1) | instskip(NEXT) | instid1(VALU_DEP_1)
	v_mul_f32_e32 v16, 0x3fb8aa3b, v15
	v_fma_f32 v17, 0x3fb8aa3b, v15, -v16
	v_rndne_f32_e32 v18, v16
	s_delay_alu instid0(VALU_DEP_1) | instskip(SKIP_1) | instid1(VALU_DEP_4)
	v_sub_f32_e32 v16, v16, v18
	v_cmp_ngt_f32_e32 vcc_lo, 0xc2ce8ed0, v15
	v_fmac_f32_e32 v17, 0x32a5705f, v15
	v_cmp_nlt_f32_e64 s2, 0x42b17218, v15
	s_delay_alu instid0(VALU_DEP_2) | instskip(SKIP_1) | instid1(VALU_DEP_2)
	v_add_f32_e32 v16, v16, v17
	v_cvt_i32_f32_e32 v17, v18
	v_exp_f32_e32 v16, v16
	s_delay_alu instid0(TRANS32_DEP_1) | instskip(SKIP_2) | instid1(VALU_DEP_2)
	v_ldexp_f32 v16, v16, v17
	v_add_nc_u32_e32 v17, s19, v3
	s_wait_alu 0xfffd
	v_dual_cndmask_b32 v16, 0, v16 :: v_dual_add_nc_u32 v3, s13, v3
	v_add_co_u32 v1, vcc_lo, v1, s13
	s_wait_alu 0xfffd
	v_add_co_ci_u32_e64 v2, null, 0, v2, vcc_lo
	s_wait_alu 0xf1ff
	v_cndmask_b32_e64 v15, 0x7f800000, v16, s2
	v_cmp_le_i32_e32 vcc_lo, s17, v13
	s_wait_alu 0xfffe
	s_or_b32 s3, vcc_lo, s3
	s_wait_loadcnt 0x0
	v_mul_f32_e32 v16, v14, v15
	v_fmac_f32_e32 v11, v14, v15
	ds_store_b32 v17, v16
	s_wait_alu 0xfffe
	s_and_not1_b32 exec_lo, exec_lo, s3
	s_cbranch_execnz .LBB64_11
; %bb.12:
	s_or_b32 exec_lo, exec_lo, s3
.LBB64_13:
	s_wait_alu 0xfffe
	s_or_b32 exec_lo, exec_lo, s20
	ds_bpermute_b32 v1, v6, v11
	s_wait_loadcnt_dscnt 0x0
	s_barrier_signal -1
	s_barrier_wait -1
	global_inv scope:SCOPE_SE
	v_add_f32_e32 v1, v11, v1
	ds_bpermute_b32 v2, v7, v1
	s_wait_dscnt 0x0
	v_add_f32_e32 v1, v1, v2
	ds_bpermute_b32 v2, v8, v1
	s_wait_dscnt 0x0
	;; [unrolled: 3-line block ×4, first 2 shown]
	v_add_f32_e32 v1, v1, v2
	s_wait_kmcnt 0x0
	s_and_saveexec_b32 s2, s0
; %bb.14:
	ds_store_b32 v9, v1 offset:16
; %bb.15:
	s_wait_alu 0xfffe
	s_or_b32 exec_lo, exec_lo, s2
	s_wait_loadcnt_dscnt 0x0
	s_barrier_signal -1
	s_barrier_wait -1
	global_inv scope:SCOPE_SE
	s_and_saveexec_b32 s0, s1
; %bb.16:
	ds_load_b32 v1, v10 offset:16
; %bb.17:
	s_wait_alu 0xfffe
	s_or_b32 exec_lo, exec_lo, s0
	s_wait_dscnt 0x0
	ds_bpermute_b32 v2, v4, v1
	s_mov_b32 s0, exec_lo
	s_wait_dscnt 0x0
	v_add_f32_e32 v1, v1, v2
	ds_bpermute_b32 v2, v5, v1
	s_wait_dscnt 0x0
	v_dual_add_f32 v1, v1, v2 :: v_dual_mov_b32 v2, 0
	ds_bpermute_b32 v2, v2, v1
	v_cmpx_gt_u32_e32 32, v0
	s_cbranch_execz .LBB64_24
; %bb.18:
	s_cmp_gt_i32 s18, 0
	s_mov_b32 s1, 0
	s_cbranch_scc1 .LBB64_20
; %bb.19:
	v_dual_mov_b32 v1, 0 :: v_dual_mov_b32 v4, 0
	s_wait_alu 0xfffe
	s_and_not1_b32 vcc_lo, exec_lo, s1
	s_wait_alu 0xfffe
	s_cbranch_vccz .LBB64_21
	s_branch .LBB64_23
.LBB64_20:
	v_mov_b32_e32 v4, 0
.LBB64_21:
	s_wait_dscnt 0x0
	v_add_f32_e32 v4, 0x358637bd, v2
	s_lshl_b32 s2, s12, 5
	s_lshl_b32 s10, s10, 5
	s_wait_alu 0xfffe
	s_ashr_i32 s3, s2, 31
	s_ashr_i32 s11, s10, 31
	v_div_scale_f32 v2, null, v4, v4, 1.0
	s_wait_alu 0xfffe
	s_lshl_b64 s[2:3], s[2:3], 1
	s_lshl_b64 s[10:11], s[10:11], 1
	s_wait_alu 0xfffe
	s_add_nc_u64 s[2:3], s[2:3], s[10:11]
	v_rcp_f32_e32 v3, v2
	s_wait_alu 0xfffe
	s_add_nc_u64 s[2:3], s[4:5], s[2:3]
	s_delay_alu instid0(TRANS32_DEP_1) | instskip(NEXT) | instid1(VALU_DEP_1)
	v_fma_f32 v1, -v2, v3, 1.0
	v_fmac_f32_e32 v3, v1, v3
	v_div_scale_f32 v5, vcc_lo, 1.0, v4, 1.0
	s_delay_alu instid0(VALU_DEP_1) | instskip(NEXT) | instid1(VALU_DEP_1)
	v_mul_f32_e32 v6, v5, v3
	v_fma_f32 v1, -v2, v6, v5
	s_delay_alu instid0(VALU_DEP_1) | instskip(NEXT) | instid1(VALU_DEP_1)
	v_dual_fmac_f32 v6, v1, v3 :: v_dual_mov_b32 v1, 0
	v_fma_f32 v2, -v2, v6, v5
	v_lshlrev_b32_e32 v5, 1, v0
	s_wait_alu 0xfffd
	s_delay_alu instid0(VALU_DEP_2) | instskip(SKIP_1) | instid1(VALU_DEP_2)
	v_div_fmas_f32 v6, v2, v3, v6
	s_wait_alu 0xfffe
	v_add_co_u32 v2, s1, s2, v5
	s_wait_alu 0xf1ff
	v_add_co_ci_u32_e64 v3, null, s3, 0, s1
	v_div_fixup_f32 v5, v6, v4, 1.0
	v_mov_b32_e32 v4, v1
	s_max_i32 s1, s17, 1
	s_add_co_i32 s2, s19, 32
.LBB64_22:                              ; =>This Inner Loop Header: Depth=1
	s_wait_alu 0xfffe
	v_mov_b32_e32 v6, s2
	global_load_u16 v7, v[2:3], off
	s_wait_loadcnt 0x0
	;;#ASMSTART
	v_cvt_f32_f16 v7, v7;
	;;#ASMEND
	v_add_co_u32 v2, vcc_lo, v2, 64
	ds_load_b32 v6, v6
	s_wait_alu 0xfffd
	v_add_co_ci_u32_e64 v3, null, 0, v3, vcc_lo
	s_add_co_i32 s1, s1, -1
	s_add_co_i32 s2, s2, 4
	s_wait_alu 0xfffe
	s_cmp_eq_u32 s1, 0
	s_wait_dscnt 0x0
	v_mul_f32_e32 v6, v7, v6
	s_delay_alu instid0(VALU_DEP_1)
	v_fmac_f32_e32 v4, v5, v6
	s_cbranch_scc0 .LBB64_22
.LBB64_23:
	s_lshl_b32 s2, s16, 5
	s_lshl_b32 s10, ttmp9, 5
	s_wait_alu 0xfffe
	s_ashr_i32 s3, s2, 31
	s_ashr_i32 s11, s10, 31
	s_wait_alu 0xfffe
	s_lshl_b64 s[2:3], s[2:3], 1
	s_wait_dscnt 0x0
	v_lshlrev_b64_e32 v[1:2], 1, v[0:1]
	s_lshl_b64 s[10:11], s[10:11], 1
	s_wait_alu 0xfffe
	s_add_nc_u64 s[2:3], s[6:7], s[2:3]
	;;#ASMSTART
	v_cvt_f16_f32 v3, v4;

	;;#ASMEND
	s_wait_alu 0xfffe
	s_add_nc_u64 s[2:3], s[2:3], s[10:11]
	s_wait_alu 0xfffe
	v_add_co_u32 v1, vcc_lo, s2, v1
	s_wait_alu 0xfffd
	v_add_co_ci_u32_e64 v2, null, s3, v2, vcc_lo
	global_store_b16 v[1:2], v3, off
.LBB64_24:
	s_wait_alu 0xfffe
	s_or_b32 exec_lo, exec_lo, s0
	s_mov_b32 s2, 0
.LBB64_25:
	s_wait_alu 0xfffe
	s_and_b32 vcc_lo, exec_lo, s2
	s_wait_alu 0xfffe
	s_cbranch_vccz .LBB64_34
; %bb.26:
	s_mov_b32 s0, exec_lo
	v_cmpx_gt_u32_e32 32, v0
	s_cbranch_execz .LBB64_34
; %bb.27:
	s_load_b32 s0, s[8:9], 0xc
	s_mul_i32 s15, s15, ttmp7
	s_mul_i32 s1, s14, ttmp9
	s_mul_i32 s14, s14, s15
	s_lshl_b32 s2, ttmp9, 5
	s_lshl_b32 s10, s15, 5
	s_wait_alu 0xfffe
	s_lshl_b32 s8, s1, 5
	s_lshl_b32 s12, s14, 5
	v_cmp_gt_u32_e32 vcc_lo, 29, v0
	s_ashr_i32 s3, s2, 31
	s_ashr_i32 s11, s10, 31
	;; [unrolled: 1-line block ×3, first 2 shown]
	s_wait_alu 0xfffe
	s_ashr_i32 s13, s12, 31
	s_wait_kmcnt 0x0
	s_and_b32 s1, s0, 0xffff
	s_wait_alu 0xfffe
	s_cmp_eq_u32 s1, 1
	s_cselect_b32 s0, -1, 0
	s_wait_alu 0xfffe
	s_and_b32 s15, vcc_lo, s0
	s_mov_b32 s0, -1
	s_and_saveexec_b32 s14, s15
	s_cbranch_execz .LBB64_31
; %bb.28:
	s_lshl_b64 s[16:17], s[12:13], 1
	s_lshl_b64 s[18:19], s[8:9], 1
	v_lshlrev_b32_e32 v1, 1, v0
	s_wait_alu 0xfffe
	s_add_nc_u64 s[16:17], s[16:17], s[18:19]
	s_lshl_b64 s[18:19], s[10:11], 1
	s_lshl_b64 s[20:21], s[2:3], 1
	s_wait_alu 0xfffe
	s_add_nc_u64 s[16:17], s[4:5], s[16:17]
	s_add_nc_u64 s[18:19], s[18:19], s[20:21]
	s_wait_dscnt 0x0
	s_wait_alu 0xfffe
	v_add_co_u32 v2, s0, s16, v1
	v_sub_nc_u32_e32 v5, 32, v0
	s_wait_alu 0xf1ff
	v_add_co_ci_u32_e64 v3, null, s17, 0, s0
	s_add_nc_u64 s[16:17], s[6:7], s[18:19]
	s_mov_b32 s15, 0
	s_wait_alu 0xfffe
	v_add_co_u32 v4, s0, s16, v1
	v_and_b32_e32 v6, 60, v5
	s_wait_alu 0xf1ff
	v_add_co_ci_u32_e64 v7, null, s17, 0, s0
	v_add_co_u32 v1, vcc_lo, v2, 4
	s_wait_alu 0xfffd
	v_add_co_ci_u32_e64 v2, null, 0, v3, vcc_lo
	v_add_co_u32 v3, vcc_lo, v4, 4
	s_wait_alu 0xfffd
	v_add_co_ci_u32_e64 v4, null, 0, v7, vcc_lo
	v_mov_b32_e32 v7, v6
.LBB64_29:                              ; =>This Inner Loop Header: Depth=1
	global_load_b64 v[8:9], v[1:2], off offset:-4
	v_add_nc_u32_e32 v7, -4, v7
	v_add_co_u32 v1, vcc_lo, v1, 8
	s_wait_alu 0xfffd
	v_add_co_ci_u32_e64 v2, null, 0, v2, vcc_lo
	s_delay_alu instid0(VALU_DEP_3)
	v_cmp_eq_u32_e32 vcc_lo, 0, v7
	s_or_b32 s15, vcc_lo, s15
	s_wait_loadcnt 0x0
	global_store_b64 v[3:4], v[8:9], off offset:-4
	v_add_co_u32 v3, s0, v3, 8
	s_wait_alu 0xf1ff
	v_add_co_ci_u32_e64 v4, null, 0, v4, s0
	s_and_not1_b32 exec_lo, exec_lo, s15
	s_cbranch_execnz .LBB64_29
; %bb.30:
	s_or_b32 exec_lo, exec_lo, s15
	v_cmp_ne_u32_e32 vcc_lo, v5, v6
	v_add_nc_u32_e32 v0, v0, v6
	s_or_not1_b32 s0, vcc_lo, exec_lo
.LBB64_31:
	s_or_b32 exec_lo, exec_lo, s14
	s_wait_alu 0xfffe
	s_and_b32 exec_lo, exec_lo, s0
	s_cbranch_execz .LBB64_34
; %bb.32:
	s_lshl_b64 s[10:11], s[10:11], 1
	s_lshl_b64 s[2:3], s[2:3], 1
	s_wait_alu 0xfffe
	s_add_nc_u64 s[6:7], s[6:7], s[10:11]
	s_lshl_b64 s[10:11], s[12:13], 1
	s_wait_dscnt 0x0
	v_dual_mov_b32 v2, 0 :: v_dual_lshlrev_b32 v1, 1, v0
	s_add_nc_u64 s[2:3], s[6:7], s[2:3]
	s_wait_alu 0xfffe
	s_add_nc_u64 s[4:5], s[4:5], s[10:11]
	s_lshl_b64 s[6:7], s[8:9], 1
	s_delay_alu instid0(SALU_CYCLE_1)
	s_add_nc_u64 s[4:5], s[4:5], s[6:7]
	s_mov_b32 s6, 0
	s_lshl_b32 s7, s1, 1
.LBB64_33:                              ; =>This Inner Loop Header: Depth=1
	v_add_co_u32 v3, vcc_lo, s4, v1
	s_wait_alu 0xfffd
	v_add_co_ci_u32_e64 v4, null, s5, v2, vcc_lo
	v_add_nc_u32_e32 v0, s1, v0
	global_load_u16 v5, v[3:4], off
	v_add_co_u32 v3, vcc_lo, s2, v1
	s_wait_alu 0xfffd
	v_add_co_ci_u32_e64 v4, null, s3, v2, vcc_lo
	v_cmp_lt_u32_e32 vcc_lo, 31, v0
	v_add_co_u32 v1, s0, v1, s7
	s_wait_alu 0xf1ff
	v_add_co_ci_u32_e64 v2, null, 0, v2, s0
	s_or_b32 s6, vcc_lo, s6
	s_wait_loadcnt 0x0
	global_store_b16 v[3:4], v5, off
	s_wait_alu 0xfffe
	s_and_not1_b32 exec_lo, exec_lo, s6
	s_cbranch_execnz .LBB64_33
.LBB64_34:
	s_endpgm
	.section	.rodata,"a",@progbits
	.p2align	6, 0x0
	.amdhsa_kernel _ZN4vllm32paged_attention_v2_reduce_kernelItLi32ELi128ELi512EEEvPT_PKfS4_PKS1_PKii
		.amdhsa_group_segment_fixed_size 32
		.amdhsa_private_segment_fixed_size 0
		.amdhsa_kernarg_size 304
		.amdhsa_user_sgpr_count 2
		.amdhsa_user_sgpr_dispatch_ptr 0
		.amdhsa_user_sgpr_queue_ptr 0
		.amdhsa_user_sgpr_kernarg_segment_ptr 1
		.amdhsa_user_sgpr_dispatch_id 0
		.amdhsa_user_sgpr_private_segment_size 0
		.amdhsa_wavefront_size32 1
		.amdhsa_uses_dynamic_stack 0
		.amdhsa_enable_private_segment 0
		.amdhsa_system_sgpr_workgroup_id_x 1
		.amdhsa_system_sgpr_workgroup_id_y 1
		.amdhsa_system_sgpr_workgroup_id_z 0
		.amdhsa_system_sgpr_workgroup_info 0
		.amdhsa_system_vgpr_workitem_id 0
		.amdhsa_next_free_vgpr 19
		.amdhsa_next_free_sgpr 26
		.amdhsa_reserve_vcc 1
		.amdhsa_float_round_mode_32 0
		.amdhsa_float_round_mode_16_64 0
		.amdhsa_float_denorm_mode_32 3
		.amdhsa_float_denorm_mode_16_64 3
		.amdhsa_fp16_overflow 0
		.amdhsa_workgroup_processor_mode 1
		.amdhsa_memory_ordered 1
		.amdhsa_forward_progress 1
		.amdhsa_inst_pref_size 19
		.amdhsa_round_robin_scheduling 0
		.amdhsa_exception_fp_ieee_invalid_op 0
		.amdhsa_exception_fp_denorm_src 0
		.amdhsa_exception_fp_ieee_div_zero 0
		.amdhsa_exception_fp_ieee_overflow 0
		.amdhsa_exception_fp_ieee_underflow 0
		.amdhsa_exception_fp_ieee_inexact 0
		.amdhsa_exception_int_div_zero 0
	.end_amdhsa_kernel
	.section	.text._ZN4vllm32paged_attention_v2_reduce_kernelItLi32ELi128ELi512EEEvPT_PKfS4_PKS1_PKii,"axG",@progbits,_ZN4vllm32paged_attention_v2_reduce_kernelItLi32ELi128ELi512EEEvPT_PKfS4_PKS1_PKii,comdat
.Lfunc_end64:
	.size	_ZN4vllm32paged_attention_v2_reduce_kernelItLi32ELi128ELi512EEEvPT_PKfS4_PKS1_PKii, .Lfunc_end64-_ZN4vllm32paged_attention_v2_reduce_kernelItLi32ELi128ELi512EEEvPT_PKfS4_PKS1_PKii
                                        ; -- End function
	.set _ZN4vllm32paged_attention_v2_reduce_kernelItLi32ELi128ELi512EEEvPT_PKfS4_PKS1_PKii.num_vgpr, 19
	.set _ZN4vllm32paged_attention_v2_reduce_kernelItLi32ELi128ELi512EEEvPT_PKfS4_PKS1_PKii.num_agpr, 0
	.set _ZN4vllm32paged_attention_v2_reduce_kernelItLi32ELi128ELi512EEEvPT_PKfS4_PKS1_PKii.numbered_sgpr, 26
	.set _ZN4vllm32paged_attention_v2_reduce_kernelItLi32ELi128ELi512EEEvPT_PKfS4_PKS1_PKii.num_named_barrier, 0
	.set _ZN4vllm32paged_attention_v2_reduce_kernelItLi32ELi128ELi512EEEvPT_PKfS4_PKS1_PKii.private_seg_size, 0
	.set _ZN4vllm32paged_attention_v2_reduce_kernelItLi32ELi128ELi512EEEvPT_PKfS4_PKS1_PKii.uses_vcc, 1
	.set _ZN4vllm32paged_attention_v2_reduce_kernelItLi32ELi128ELi512EEEvPT_PKfS4_PKS1_PKii.uses_flat_scratch, 0
	.set _ZN4vllm32paged_attention_v2_reduce_kernelItLi32ELi128ELi512EEEvPT_PKfS4_PKS1_PKii.has_dyn_sized_stack, 0
	.set _ZN4vllm32paged_attention_v2_reduce_kernelItLi32ELi128ELi512EEEvPT_PKfS4_PKS1_PKii.has_recursion, 0
	.set _ZN4vllm32paged_attention_v2_reduce_kernelItLi32ELi128ELi512EEEvPT_PKfS4_PKS1_PKii.has_indirect_call, 0
	.section	.AMDGPU.csdata,"",@progbits
; Kernel info:
; codeLenInByte = 2432
; TotalNumSgprs: 28
; NumVgprs: 19
; ScratchSize: 0
; MemoryBound: 0
; FloatMode: 240
; IeeeMode: 1
; LDSByteSize: 32 bytes/workgroup (compile time only)
; SGPRBlocks: 0
; VGPRBlocks: 2
; NumSGPRsForWavesPerEU: 28
; NumVGPRsForWavesPerEU: 19
; Occupancy: 16
; WaveLimiterHint : 0
; COMPUTE_PGM_RSRC2:SCRATCH_EN: 0
; COMPUTE_PGM_RSRC2:USER_SGPR: 2
; COMPUTE_PGM_RSRC2:TRAP_HANDLER: 0
; COMPUTE_PGM_RSRC2:TGID_X_EN: 1
; COMPUTE_PGM_RSRC2:TGID_Y_EN: 1
; COMPUTE_PGM_RSRC2:TGID_Z_EN: 0
; COMPUTE_PGM_RSRC2:TIDIG_COMP_CNT: 0
	.section	.text._ZN4vllm25paged_attention_v2_kernelIttLi64ELi8ELi128ELNS_18Fp8KVCacheDataTypeE0ELb1ELi512EEEvPfS2_PT_PKS3_PKT0_S9_ifPKiSB_iPKfiiiSD_SD_iiiii,"axG",@progbits,_ZN4vllm25paged_attention_v2_kernelIttLi64ELi8ELi128ELNS_18Fp8KVCacheDataTypeE0ELb1ELi512EEEvPfS2_PT_PKS3_PKT0_S9_ifPKiSB_iPKfiiiSD_SD_iiiii,comdat
	.protected	_ZN4vllm25paged_attention_v2_kernelIttLi64ELi8ELi128ELNS_18Fp8KVCacheDataTypeE0ELb1ELi512EEEvPfS2_PT_PKS3_PKT0_S9_ifPKiSB_iPKfiiiSD_SD_iiiii ; -- Begin function _ZN4vllm25paged_attention_v2_kernelIttLi64ELi8ELi128ELNS_18Fp8KVCacheDataTypeE0ELb1ELi512EEEvPfS2_PT_PKS3_PKT0_S9_ifPKiSB_iPKfiiiSD_SD_iiiii
	.globl	_ZN4vllm25paged_attention_v2_kernelIttLi64ELi8ELi128ELNS_18Fp8KVCacheDataTypeE0ELb1ELi512EEEvPfS2_PT_PKS3_PKT0_S9_ifPKiSB_iPKfiiiSD_SD_iiiii
	.p2align	8
	.type	_ZN4vllm25paged_attention_v2_kernelIttLi64ELi8ELi128ELNS_18Fp8KVCacheDataTypeE0ELb1ELi512EEEvPfS2_PT_PKS3_PKT0_S9_ifPKiSB_iPKfiiiSD_SD_iiiii,@function
_ZN4vllm25paged_attention_v2_kernelIttLi64ELi8ELi128ELNS_18Fp8KVCacheDataTypeE0ELb1ELi512EEEvPfS2_PT_PKS3_PKT0_S9_ifPKiSB_iPKfiiiSD_SD_iiiii: ; @_ZN4vllm25paged_attention_v2_kernelIttLi64ELi8ELi128ELNS_18Fp8KVCacheDataTypeE0ELb1ELi512EEEvPfS2_PT_PKS3_PKT0_S9_ifPKiSB_iPKfiiiSD_SD_iiiii
; %bb.0:
	s_load_b64 s[2:3], s[0:1], 0x40
	s_and_b32 s34, ttmp7, 0xffff
	s_lshr_b32 s33, ttmp7, 16
	s_lshl_b32 s4, s34, 2
	s_lshl_b32 s36, s33, 9
	s_wait_kmcnt 0x0
	s_load_b32 s30, s[2:3], s4 offset:0x0
	s_wait_kmcnt 0x0
	s_cmp_ge_i32 s36, s30
	s_cbranch_scc1 .LBB65_58
; %bb.1:
	s_clause 0x1
	s_load_b32 s35, s[0:1], 0x90
	s_load_b64 s[6:7], s[0:1], 0x30
	s_wait_kmcnt 0x0
	s_abs_i32 s5, s35
	s_abs_i32 s2, s6
	s_delay_alu instid0(SALU_CYCLE_1) | instskip(SKIP_1) | instid1(SALU_CYCLE_2)
	s_cvt_f32_u32 s3, s2
	s_sub_co_i32 s4, 0, s2
	v_rcp_iflag_f32_e32 v1, s3
	s_delay_alu instid0(TRANS32_DEP_1) | instskip(SKIP_2) | instid1(SALU_CYCLE_2)
	v_readfirstlane_b32 s3, v1
	s_mul_f32 s3, s3, 0x4f7ffffe
	s_wait_alu 0xfffe
	s_cvt_u32_f32 s3, s3
	s_wait_alu 0xfffe
	s_delay_alu instid0(SALU_CYCLE_2) | instskip(NEXT) | instid1(SALU_CYCLE_1)
	s_mul_i32 s4, s4, s3
	s_mul_hi_u32 s4, s3, s4
	s_delay_alu instid0(SALU_CYCLE_1)
	s_add_co_i32 s3, s3, s4
	s_xor_b32 s4, s35, s6
	s_wait_alu 0xfffe
	s_mul_hi_u32 s3, s5, s3
	s_ashr_i32 s4, s4, 31
	s_wait_alu 0xfffe
	s_mul_i32 s8, s3, s2
	s_delay_alu instid0(SALU_CYCLE_1)
	s_sub_co_i32 s5, s5, s8
	s_add_co_i32 s8, s3, 1
	s_sub_co_i32 s9, s5, s2
	s_cmp_ge_u32 s5, s2
	s_cselect_b32 s3, s8, s3
	s_cselect_b32 s5, s9, s5
	s_wait_alu 0xfffe
	s_add_co_i32 s8, s3, 1
	s_cmp_ge_u32 s5, s2
	s_mov_b32 s5, 0
	s_cselect_b32 s2, s8, s3
	s_load_b64 s[8:9], s[0:1], 0x50
	s_xor_b32 s2, s2, s4
	s_mov_b32 s14, s5
	s_wait_alu 0xfffe
	s_sub_co_i32 s10, s2, s4
	s_abs_i32 s4, ttmp9
	s_abs_i32 s12, s10
	s_delay_alu instid0(SALU_CYCLE_1) | instskip(SKIP_2) | instid1(SALU_CYCLE_1)
	s_cvt_f32_u32 s2, s12
	s_sub_co_i32 s3, 0, s12
	s_wait_alu 0xfffe
	v_rcp_iflag_f32_e32 v1, s2
	s_delay_alu instid0(TRANS32_DEP_1) | instskip(SKIP_2) | instid1(SALU_CYCLE_2)
	v_readfirstlane_b32 s2, v1
	s_mul_f32 s2, s2, 0x4f7ffffe
	s_wait_alu 0xfffe
	s_cvt_u32_f32 s2, s2
	s_wait_alu 0xfffe
	s_delay_alu instid0(SALU_CYCLE_2)
	s_mul_i32 s3, s3, s2
	s_wait_alu 0xfffe
	s_mul_hi_u32 s3, s2, s3
	s_wait_alu 0xfffe
	s_add_co_i32 s2, s2, s3
	s_mov_b32 s3, s5
	s_wait_kmcnt 0x0
	s_cmp_eq_u64 s[8:9], 0
	s_cbranch_scc1 .LBB65_3
; %bb.2:
	s_mov_b32 s14, ttmp9
	s_ashr_i32 s15, ttmp9, 31
	s_delay_alu instid0(SALU_CYCLE_1) | instskip(NEXT) | instid1(SALU_CYCLE_1)
	s_lshl_b64 s[14:15], s[14:15], 2
	s_add_nc_u64 s[8:9], s[8:9], s[14:15]
	s_load_b32 s14, s[8:9], 0x0
.LBB65_3:
	s_load_b96 s[16:18], s[0:1], 0x58
	s_mul_u64 s[2:3], s[4:5], s[2:3]
	v_and_b32_e32 v1, 3, v0
	v_cmp_gt_u32_e64 s2, 32, v0
	v_lshlrev_b32_e32 v2, 2, v0
	s_ashr_i32 s5, ttmp9, 31
	s_ashr_i32 s13, s10, 31
	s_lshl_b32 s20, ttmp9, 6
	s_wait_alu 0xfffe
	s_and_saveexec_b32 s8, s2
	s_cbranch_execz .LBB65_5
; %bb.4:
	s_load_b64 s[10:11], s[0:1], 0x18
	s_wait_kmcnt 0x0
	s_mul_i32 s22, s16, s34
	s_ashr_i32 s21, s20, 31
	s_ashr_i32 s23, s22, 31
	v_and_b32_e32 v4, 0x3fc, v0
	s_lshl_b64 s[22:23], s[22:23], 1
	s_delay_alu instid0(VALU_DEP_1) | instskip(SKIP_2) | instid1(SALU_CYCLE_1)
	v_lshl_add_u32 v4, v1, 5, v4
	s_add_nc_u64 s[10:11], s[10:11], s[22:23]
	s_lshl_b64 s[22:23], s[20:21], 1
	s_add_nc_u64 s[10:11], s[10:11], s[22:23]
	global_load_b32 v3, v2, s[10:11]
	s_wait_loadcnt 0x0
	ds_store_b32 v4, v3
.LBB65_5:
	s_or_b32 exec_lo, exec_lo, s8
	s_load_b128 s[8:11], s[0:1], 0x78
	s_mul_i32 s15, s3, s12
	s_xor_b32 s5, s5, s13
	s_sub_co_i32 s4, s4, s15
	s_add_co_i32 s13, s3, 1
	s_sub_co_i32 s15, s4, s12
	s_cmp_ge_u32 s4, s12
	s_mov_b32 s24, -1
	s_cselect_b32 s3, s13, s3
	s_cselect_b32 s4, s15, s4
	s_wait_alu 0xfffe
	s_add_co_i32 s13, s3, 1
	s_cmp_ge_u32 s4, s12
                                        ; implicit-def: $sgpr21
	s_cselect_b32 s4, s13, s3
	s_load_b32 s3, s[0:1], 0x88
	s_xor_b32 s4, s4, s5
	s_add_co_i32 s19, s30, -1
	s_sub_co_i32 s15, s4, s5
	s_wait_dscnt 0x0
	s_barrier_signal -1
	s_wait_kmcnt 0x0
	s_abs_i32 s16, s11
	s_barrier_wait -1
	s_cvt_f32_u32 s12, s16
	global_inv scope:SCOPE_SE
	v_rcp_iflag_f32_e32 v3, s12
	s_delay_alu instid0(TRANS32_DEP_1) | instskip(SKIP_1) | instid1(SALU_CYCLE_3)
	v_readfirstlane_b32 s12, v3
	s_mul_f32 s4, s12, 0x4f7ffffe
	s_cvt_u32_f32 s12, s4
	s_sub_co_i32 s4, 0, s16
	s_wait_alu 0xfffe
	s_delay_alu instid0(SALU_CYCLE_1)
	s_mul_i32 s5, s4, s12
	s_abs_i32 s4, s19
	s_mul_hi_u32 s13, s12, s5
	s_mov_b32 s5, 0
	s_wait_alu 0xfffe
	s_add_co_i32 s22, s12, s13
	s_cmp_lt_i32 s3, 0
	s_mov_b32 s23, s5
	s_cbranch_scc0 .LBB65_7
; %bb.6:
	s_mul_i32 s6, s8, s6
	s_mov_b32 s24, s5
	s_add_co_i32 s6, s15, s6
	s_delay_alu instid0(SALU_CYCLE_1) | instskip(NEXT) | instid1(SALU_CYCLE_1)
	s_mul_i32 s6, s6, s3
	s_sub_co_i32 s21, 1, s6
.LBB65_7:
	s_mul_u64 s[12:13], s[4:5], s[22:23]
	s_ashr_i32 s5, s19, 31
	s_and_not1_b32 vcc_lo, exec_lo, s24
	s_ashr_i32 s23, s11, 31
	s_cbranch_vccnz .LBB65_9
; %bb.8:
	s_mul_i32 s6, s35, s8
	s_delay_alu instid0(SALU_CYCLE_1) | instskip(NEXT) | instid1(SALU_CYCLE_1)
	s_add_co_i32 s6, s6, ttmp9
	s_mul_i32 s3, s6, s3
	s_wait_alu 0xfffe
	s_add_co_i32 s21, s3, 1
.LBB65_9:
	s_clause 0x2
	s_load_b32 s3, s[0:1], 0x48
	s_load_b64 s[24:25], s[0:1], 0x38
	s_load_b32 s8, s[0:1], 0x98
	s_mul_i32 s6, s13, s16
	s_xor_b32 s5, s5, s23
	s_sub_co_i32 s4, s4, s6
	s_add_co_i32 s11, s13, 1
	v_lshrrev_b32_e32 v9, 5, v0
	v_mbcnt_lo_u32_b32 v4, -1, 0
	s_mul_i32 s18, s15, s18
	s_delay_alu instid0(VALU_DEP_2)
	v_lshl_add_u32 v10, v9, 3, s36
	s_wait_kmcnt 0x0
	s_mul_i32 s26, s3, s34
	s_sub_co_i32 s3, s4, s16
	s_ashr_i32 s27, s26, 31
	s_cmp_ge_u32 s4, s16
	s_cselect_b32 s6, s11, s13
	s_wait_alu 0xfffe
	s_cselect_b32 s3, s3, s4
	s_add_co_i32 s4, s6, 1
	s_wait_alu 0xfffe
	s_cmp_ge_u32 s3, s16
	s_cselect_b32 s3, s4, s6
	s_add_co_i32 s4, s30, 7
	s_lshl_b32 s11, s33, 6
	s_ashr_i32 s6, s4, 31
	v_or_b32_e32 v11, s11, v9
	s_lshr_b32 s6, s6, 29
	v_mov_b32_e32 v6, 0xff7fffff
	s_add_co_i32 s4, s4, s6
	s_add_co_i32 s6, s11, 64
	s_ashr_i32 s37, s4, 3
	s_wait_alu 0xfffe
	s_xor_b32 s4, s3, s5
	s_min_i32 s31, s6, s37
	v_lshlrev_b32_e32 v3, 2, v11
	v_cmp_gt_i32_e64 s3, s31, v11
	s_sub_co_i32 s38, s4, s5
	s_and_saveexec_b32 s12, s3
	s_cbranch_execz .LBB65_21
; %bb.10:
	s_ashr_i32 s19, s18, 31
	s_sub_co_i32 s13, s38, s9
	s_lshl_b64 s[28:29], s[18:19], 1
	s_cmp_neq_f32 s14, 0
	s_load_b64 s[40:41], s[0:1], 0x20
	v_bfe_u32 v5, v0, 2, 3
	v_dual_mov_b32 v16, 0xff7fffff :: v_dual_lshlrev_b32 v7, 5, v1
	s_cselect_b32 vcc_lo, -1, 0
	s_abs_i32 s15, s10
	s_delay_alu instid0(VALU_DEP_2) | instskip(SKIP_3) | instid1(SALU_CYCLE_1)
	v_lshlrev_b32_e32 v8, 2, v5
	s_cvt_f32_u32 s4, s15
	v_dual_mov_b32 v19, v11 :: v_dual_and_b32 v2, 12, v2
	s_lshl_b64 s[42:43], s[26:27], 2
	v_rcp_iflag_f32_e32 v6, s4
	v_cmp_eq_u32_e64 s4, 0, v1
	v_lshlrev_b32_e32 v1, 4, v5
	v_subrev_nc_u32_e32 v14, s30, v5
	s_add_nc_u64 s[42:43], s[24:25], s[42:43]
	s_sub_co_i32 s6, 0, s15
	v_lshl_add_u32 v13, v9, 3, s36
	v_xor_b32_e32 v17, 2, v4
	v_add_nc_u32_e32 v14, 1, v14
	s_wait_kmcnt 0x0
	s_add_nc_u64 s[28:29], s[40:41], s[28:29]
	v_readfirstlane_b32 s5, v6
	v_lshl_or_b32 v6, v9, 5, v8
	v_xor_b32_e32 v18, 1, v4
	s_mov_b32 s19, 0
	s_mul_f32 s5, s5, 0x4f7ffffe
	s_delay_alu instid0(VALU_DEP_2)
	v_add_nc_u32_e32 v15, 0xa0, v6
	v_mov_b32_e32 v6, 0xff7fffff
	v_add_co_u32 v1, s28, s28, v1
	s_wait_alu 0xf1ff
	v_add_co_ci_u32_e64 v12, null, s29, 0, s28
	s_wait_alu 0xfffe
	s_cvt_u32_f32 s29, s5
	v_add_co_u32 v8, s5, v1, v2
	s_wait_alu 0xf1ff
	v_add_co_ci_u32_e64 v12, null, 0, v12, s5
	v_add_co_u32 v1, s5, s42, v3
	s_wait_alu 0xfffe
	s_mul_i32 s6, s6, s29
	v_add_co_ci_u32_e64 v2, null, s43, 0, s5
	s_mul_hi_u32 s5, s29, s6
	s_mov_b32 s28, s17
	s_wait_alu 0xfffe
	s_add_co_i32 s29, s29, s5
	s_branch .LBB65_13
.LBB65_11:                              ;   in Loop: Header=BB65_13 Depth=1
	s_or_b32 exec_lo, exec_lo, s39
.LBB65_12:                              ;   in Loop: Header=BB65_13 Depth=1
	s_wait_alu 0xfffe
	s_or_b32 exec_lo, exec_lo, s6
	v_add_nc_u32_e32 v19, 4, v19
	v_add_co_u32 v1, s6, v1, 16
	s_wait_alu 0xf1ff
	v_add_co_ci_u32_e64 v2, null, 0, v2, s6
	s_delay_alu instid0(VALU_DEP_3) | instskip(SKIP_3) | instid1(SALU_CYCLE_1)
	v_cmp_le_i32_e64 s5, s31, v19
	v_add_nc_u32_e32 v13, 32, v13
	v_add_nc_u32_e32 v15, 0x80, v15
	s_or_b32 s19, s5, s19
	s_and_not1_b32 exec_lo, exec_lo, s19
	s_cbranch_execz .LBB65_20
.LBB65_13:                              ; =>This Inner Loop Header: Depth=1
	v_sub_nc_u32_e32 v20, 0, v13
	s_delay_alu instid0(VALU_DEP_1) | instskip(SKIP_1) | instid1(VALU_DEP_1)
	v_max_i32_e32 v20, v13, v20
	s_wait_dscnt 0x0
	v_mul_hi_u32 v21, v20, s22
	s_delay_alu instid0(VALU_DEP_1) | instskip(NEXT) | instid1(VALU_DEP_1)
	v_mul_lo_u32 v22, v21, s16
	v_sub_nc_u32_e32 v20, v20, v22
	v_add_nc_u32_e32 v22, 1, v21
	s_delay_alu instid0(VALU_DEP_2) | instskip(SKIP_2) | instid1(VALU_DEP_1)
	v_subrev_nc_u32_e32 v23, s16, v20
	v_cmp_le_u32_e64 s5, s16, v20
	s_wait_alu 0xf1ff
	v_cndmask_b32_e64 v21, v21, v22, s5
	s_delay_alu instid0(VALU_DEP_3) | instskip(SKIP_1) | instid1(VALU_DEP_3)
	v_cndmask_b32_e64 v20, v20, v23, s5
	v_ashrrev_i32_e32 v22, 31, v13
	v_add_nc_u32_e32 v23, 1, v21
	s_delay_alu instid0(VALU_DEP_3) | instskip(NEXT) | instid1(VALU_DEP_3)
	v_cmp_le_u32_e64 s5, s16, v20
	v_xor_b32_e32 v22, s23, v22
	s_wait_alu 0xf1ff
	s_delay_alu instid0(VALU_DEP_2) | instskip(NEXT) | instid1(VALU_DEP_1)
	v_cndmask_b32_e64 v20, v21, v23, s5
	v_xor_b32_e32 v20, v20, v22
	s_delay_alu instid0(VALU_DEP_1) | instskip(NEXT) | instid1(VALU_DEP_1)
	v_sub_nc_u32_e32 v20, v20, v22
	v_add_nc_u32_e32 v21, s21, v20
	v_cmp_ge_i32_e64 s6, s13, v20
	s_delay_alu instid0(VALU_DEP_2) | instskip(NEXT) | instid1(VALU_DEP_1)
	v_sub_nc_u32_e32 v22, 0, v21
	v_max_i32_e32 v22, v21, v22
	v_ashrrev_i32_e32 v21, 31, v21
	s_wait_alu 0xfffe
	s_delay_alu instid0(VALU_DEP_2) | instskip(NEXT) | instid1(VALU_DEP_1)
	v_mul_hi_u32 v23, v22, s29
	v_mul_lo_u32 v23, v23, s15
	s_delay_alu instid0(VALU_DEP_1) | instskip(NEXT) | instid1(VALU_DEP_1)
	v_sub_nc_u32_e32 v22, v22, v23
	v_subrev_nc_u32_e32 v23, s15, v22
	v_cmp_le_u32_e64 s5, s15, v22
	s_wait_alu 0xf1ff
	s_delay_alu instid0(VALU_DEP_1) | instskip(NEXT) | instid1(VALU_DEP_1)
	v_cndmask_b32_e64 v22, v22, v23, s5
	v_subrev_nc_u32_e32 v23, s15, v22
	v_cmp_le_u32_e64 s5, s15, v22
	s_wait_alu 0xf1ff
	s_delay_alu instid0(VALU_DEP_1) | instskip(NEXT) | instid1(VALU_DEP_1)
	v_cndmask_b32_e64 v22, v22, v23, s5
	v_xor_b32_e32 v22, v22, v21
	s_delay_alu instid0(VALU_DEP_1) | instskip(NEXT) | instid1(VALU_DEP_1)
	v_sub_nc_u32_e32 v21, v22, v21
	v_cmp_ne_u32_e64 s5, 0, v21
	s_and_b32 s5, s5, s6
	s_wait_alu 0xfffe
	s_and_saveexec_b32 s6, s5
	s_wait_alu 0xfffe
	s_xor_b32 s5, exec_lo, s6
	s_cbranch_execz .LBB65_17
; %bb.14:                               ;   in Loop: Header=BB65_13 Depth=1
	s_and_saveexec_b32 s6, s4
; %bb.15:                               ;   in Loop: Header=BB65_13 Depth=1
	ds_store_b32 v15, v16
; %bb.16:                               ;   in Loop: Header=BB65_13 Depth=1
	s_wait_alu 0xfffe
	s_or_b32 exec_lo, exec_lo, s6
.LBB65_17:                              ;   in Loop: Header=BB65_13 Depth=1
	s_wait_alu 0xfffe
	s_and_not1_saveexec_b32 s6, s5
	s_cbranch_execz .LBB65_12
; %bb.18:                               ;   in Loop: Header=BB65_13 Depth=1
	global_load_b32 v20, v[1:2], off
	s_wait_loadcnt 0x0
	v_mad_co_i64_i32 v[20:21], null, v20, s28, 0
	s_delay_alu instid0(VALU_DEP_1) | instskip(NEXT) | instid1(VALU_DEP_1)
	v_lshlrev_b64_e32 v[20:21], 1, v[20:21]
	v_add_co_u32 v20, s5, v8, v20
	s_wait_alu 0xf1ff
	s_delay_alu instid0(VALU_DEP_2)
	v_add_co_ci_u32_e64 v21, null, v12, v21, s5
	v_cmp_gt_i32_e64 s5, 32, v17
	s_clause 0x7
	global_load_b32 v22, v[20:21], off
	global_load_b32 v23, v[20:21], off offset:128
	global_load_b32 v24, v[20:21], off offset:256
	;; [unrolled: 1-line block ×7, first 2 shown]
	ds_load_b32 v21, v7
	s_wait_dscnt 0x0
	v_and_b32_e32 v29, 0xffff, v21
	v_lshrrev_b32_e32 v30, 16, v21
	;;#ASMSTART
	v_cvt_f32_f16 v21, v29;
	;;#ASMEND
	s_wait_loadcnt 0x7
	v_and_b32_e32 v31, 0xffff, v22
	v_lshrrev_b32_e32 v32, 16, v22
	;;#ASMSTART
	v_cvt_f32_f16 v22, v30;
	;;#ASMEND
	;;#ASMSTART
	v_cvt_f32_f16 v29, v31;
	;;#ASMEND
	;; [unrolled: 3-line block ×3, first 2 shown]
	ds_load_b32 v31, v7 offset:4
	s_wait_loadcnt 0x6
	v_and_b32_e32 v33, 0xffff, v23
	v_lshrrev_b32_e32 v34, 16, v23
	s_wait_loadcnt 0x5
	v_lshrrev_b32_e32 v37, 16, v24
	s_wait_loadcnt 0x4
	v_and_b32_e32 v39, 0xffff, v25
	v_lshrrev_b32_e32 v40, 16, v25
	s_wait_loadcnt 0x3
	v_lshrrev_b32_e32 v43, 16, v26
	s_wait_loadcnt 0x2
	v_and_b32_e32 v45, 0xffff, v27
	v_lshrrev_b32_e32 v46, 16, v27
	s_wait_loadcnt 0x1
	v_lshrrev_b32_e32 v47, 16, v28
	s_wait_dscnt 0x0
	v_and_b32_e32 v32, 0xffff, v31
	v_lshrrev_b32_e32 v31, 16, v31
	;;#ASMSTART
	v_cvt_f32_f16 v23, v32;
	;;#ASMEND
	;;#ASMSTART
	v_cvt_f32_f16 v31, v31;
	;;#ASMEND
	;; [unrolled: 3-line block ×4, first 2 shown]
	ds_load_b32 v34, v7 offset:8
	v_dual_mul_f32 v23, v23, v32 :: v_dual_and_b32 v42, 0xffff, v26
	v_dual_mul_f32 v31, v31, v33 :: v_dual_and_b32 v36, 0xffff, v24
	s_delay_alu instid0(VALU_DEP_2) | instskip(NEXT) | instid1(VALU_DEP_2)
	v_fmac_f32_e32 v23, v21, v29
	v_fmac_f32_e32 v31, v22, v30
	s_wait_dscnt 0x0
	v_and_b32_e32 v35, 0xffff, v34
	v_lshrrev_b32_e32 v34, 16, v34
	;;#ASMSTART
	v_cvt_f32_f16 v24, v35;
	;;#ASMEND
	;;#ASMSTART
	v_cvt_f32_f16 v34, v34;
	;;#ASMEND
	;; [unrolled: 3-line block ×4, first 2 shown]
	ds_load_b32 v37, v7 offset:12
	v_fmac_f32_e32 v31, v34, v36
	v_fmac_f32_e32 v23, v24, v35
	s_wait_alu 0xf1ff
	v_cndmask_b32_e64 v24, v4, v17, s5
	v_cmp_gt_i32_e64 s5, 32, v18
	s_wait_dscnt 0x0
	v_and_b32_e32 v38, 0xffff, v37
	v_lshrrev_b32_e32 v37, 16, v37
	;;#ASMSTART
	v_cvt_f32_f16 v25, v38;
	;;#ASMEND
	;;#ASMSTART
	v_cvt_f32_f16 v37, v37;
	;;#ASMEND
	;; [unrolled: 3-line block ×4, first 2 shown]
	ds_load_b32 v40, v7 offset:16
	v_dual_fmac_f32 v23, v25, v38 :: v_dual_and_b32 v28, 0xffff, v28
	s_wait_loadcnt 0x0
	v_lshrrev_b32_e32 v25, 16, v20
	s_wait_dscnt 0x0
	v_and_b32_e32 v41, 0xffff, v40
	v_lshrrev_b32_e32 v40, 16, v40
	;;#ASMSTART
	v_cvt_f32_f16 v26, v41;
	;;#ASMEND
	;;#ASMSTART
	v_cvt_f32_f16 v40, v40;
	;;#ASMEND
	;; [unrolled: 3-line block ×4, first 2 shown]
	ds_load_b32 v43, v7 offset:20
	s_wait_dscnt 0x0
	v_dual_fmac_f32 v23, v26, v41 :: v_dual_and_b32 v44, 0xffff, v43
	v_lshrrev_b32_e32 v43, 16, v43
	;;#ASMSTART
	v_cvt_f32_f16 v27, v44;
	;;#ASMEND
	;;#ASMSTART
	v_cvt_f32_f16 v43, v43;
	;;#ASMEND
	;; [unrolled: 3-line block ×4, first 2 shown]
	ds_load_b32 v46, v7 offset:24
	s_wait_dscnt 0x0
	v_dual_fmac_f32 v23, v27, v44 :: v_dual_and_b32 v32, 0xffff, v46
	v_lshrrev_b32_e32 v33, 16, v46
	;;#ASMSTART
	v_cvt_f32_f16 v21, v32;
	;;#ASMEND
	;;#ASMSTART
	v_cvt_f32_f16 v22, v33;
	;;#ASMEND
	;; [unrolled: 3-line block ×4, first 2 shown]
	ds_load_b32 v30, v7 offset:28
	v_fmac_f32_e32 v31, v37, v39
	s_wait_dscnt 0x0
	v_dual_fmac_f32 v23, v21, v28 :: v_dual_and_b32 v26, 0xffff, v30
	s_delay_alu instid0(VALU_DEP_2)
	v_fmac_f32_e32 v31, v40, v42
	v_lshrrev_b32_e32 v27, 16, v30
	v_and_b32_e32 v30, 0xffff, v20
	;;#ASMSTART
	v_cvt_f32_f16 v20, v26;
	;;#ASMEND
	;;#ASMSTART
	v_cvt_f32_f16 v21, v27;
	;;#ASMEND
	v_fmac_f32_e32 v31, v43, v45
	s_delay_alu instid0(VALU_DEP_1) | instskip(SKIP_3) | instid1(VALU_DEP_2)
	v_fmac_f32_e32 v31, v22, v29
	;;#ASMSTART
	v_cvt_f32_f16 v22, v30;
	;;#ASMEND
	;;#ASMSTART
	v_cvt_f32_f16 v25, v25;
	;;#ASMEND
	v_dual_fmac_f32 v23, v20, v22 :: v_dual_lshlrev_b32 v20, 2, v24
	v_fmac_f32_e32 v31, v21, v25
	s_wait_alu 0xf1ff
	v_cndmask_b32_e64 v22, v4, v18, s5
	s_delay_alu instid0(VALU_DEP_2)
	v_add_f32_e32 v21, v23, v31
	ds_bpermute_b32 v20, v20, v21
	s_wait_dscnt 0x0
	v_dual_add_f32 v20, v21, v20 :: v_dual_lshlrev_b32 v21, 2, v22
	ds_bpermute_b32 v21, v21, v20
	s_and_saveexec_b32 s39, s4
	s_cbranch_execz .LBB65_11
; %bb.19:                               ;   in Loop: Header=BB65_13 Depth=1
	s_wait_dscnt 0x0
	v_add_f32_e32 v20, v20, v21
	v_add_nc_u32_e32 v22, v14, v13
	s_delay_alu instid0(VALU_DEP_1) | instskip(NEXT) | instid1(VALU_DEP_1)
	v_cvt_f32_i32_e32 v22, v22
	v_mul_f32_e32 v22, s14, v22
	s_delay_alu instid0(VALU_DEP_1) | instskip(NEXT) | instid1(VALU_DEP_1)
	v_cndmask_b32_e32 v21, 0, v22, vcc_lo
	v_dual_max_num_f32 v22, v6, v6 :: v_dual_fmac_f32 v21, s7, v20
	v_add_nc_u32_e32 v20, v5, v13
	s_delay_alu instid0(VALU_DEP_2) | instskip(NEXT) | instid1(VALU_DEP_2)
	v_max_num_f32_e32 v22, v22, v21
	v_cmp_gt_i32_e64 s5, s30, v20
	s_wait_alu 0xf1ff
	s_delay_alu instid0(VALU_DEP_1) | instskip(NEXT) | instid1(VALU_DEP_3)
	v_cndmask_b32_e64 v20, 0, v21, s5
	v_cndmask_b32_e64 v6, v6, v22, s5
	ds_store_b32 v15, v20
	s_branch .LBB65_11
.LBB65_20:
	s_or_b32 exec_lo, exec_lo, s19
.LBB65_21:
	s_wait_alu 0xfffe
	s_or_b32 exec_lo, exec_lo, s12
	v_xor_b32_e32 v1, 16, v4
	v_xor_b32_e32 v5, 8, v4
	;; [unrolled: 1-line block ×3, first 2 shown]
	s_clause 0x2
	s_load_b128 s[12:15], s[0:1], 0x0
	s_load_b64 s[6:7], s[0:1], 0x10
	s_load_b64 s[28:29], s[0:1], 0x28
	v_and_b32_e32 v12, 31, v0
	v_cmp_gt_i32_e32 vcc_lo, 32, v1
	s_wait_alu 0xfffd
	v_cndmask_b32_e32 v1, v4, v1, vcc_lo
	v_cmp_gt_i32_e32 vcc_lo, 32, v5
	s_wait_alu 0xfffd
	v_cndmask_b32_e32 v5, v4, v5, vcc_lo
	v_cmp_gt_i32_e32 vcc_lo, 32, v7
	v_lshlrev_b32_e32 v2, 2, v1
	s_delay_alu instid0(VALU_DEP_3)
	v_lshlrev_b32_e32 v5, 2, v5
	s_wait_alu 0xfffd
	v_cndmask_b32_e32 v7, v4, v7, vcc_lo
	ds_bpermute_b32 v1, v2, v6
	v_max_num_f32_e32 v6, v6, v6
	v_cmp_eq_u32_e32 vcc_lo, 0, v12
	s_wait_dscnt 0x0
	v_dual_max_num_f32 v1, v1, v1 :: v_dual_lshlrev_b32 v8, 2, v7
	s_delay_alu instid0(VALU_DEP_1) | instskip(SKIP_3) | instid1(VALU_DEP_1)
	v_max_num_f32_e32 v1, v6, v1
	ds_bpermute_b32 v6, v5, v1
	s_wait_dscnt 0x0
	v_max_num_f32_e32 v6, v6, v6
	v_dual_max_num_f32 v1, v1, v6 :: v_dual_lshlrev_b32 v6, 2, v9
	ds_bpermute_b32 v7, v8, v1
	s_and_saveexec_b32 s0, vcc_lo
	s_cbranch_execz .LBB65_23
; %bb.22:
	s_wait_dscnt 0x0
	v_max_num_f32_e32 v7, v7, v7
	v_max_num_f32_e32 v1, v1, v1
	s_delay_alu instid0(VALU_DEP_1)
	v_max_num_f32_e32 v1, v1, v7
	ds_store_b32 v6, v1 offset:128
.LBB65_23:
	s_or_b32 exec_lo, exec_lo, s0
	v_cmp_gt_u32_e64 s0, 4, v12
	v_mov_b32_e32 v1, 0xff7fffff
	s_wait_dscnt 0x0
	v_lshlrev_b32_e32 v7, 2, v12
	s_wait_loadcnt 0x0
	s_barrier_signal -1
	s_barrier_wait -1
	global_inv scope:SCOPE_SE
	s_and_saveexec_b32 s1, s0
; %bb.24:
	ds_load_b32 v1, v7 offset:128
; %bb.25:
	s_or_b32 exec_lo, exec_lo, s1
	v_xor_b32_e32 v13, 2, v4
	v_xor_b32_e32 v15, 1, v4
	s_delay_alu instid0(VALU_DEP_2) | instskip(NEXT) | instid1(VALU_DEP_1)
	v_cmp_gt_i32_e64 s1, 32, v13
	v_cndmask_b32_e64 v13, v4, v13, s1
	s_delay_alu instid0(VALU_DEP_3) | instskip(NEXT) | instid1(VALU_DEP_2)
	v_cmp_gt_i32_e64 s1, 32, v15
	v_lshlrev_b32_e32 v13, 2, v13
	s_wait_alu 0xf1ff
	s_delay_alu instid0(VALU_DEP_2)
	v_cndmask_b32_e64 v4, v4, v15, s1
	s_sub_co_i32 s1, s31, s11
	s_wait_alu 0xfffe
	s_lshl_b32 s1, s1, 3
	s_wait_dscnt 0x0
	ds_bpermute_b32 v14, v13, v1
	v_max_num_f32_e32 v1, v1, v1
	s_wait_alu 0xfffe
	s_add_co_i32 s1, s1, s36
	s_wait_alu 0xfffe
	s_min_i32 s1, s1, s30
	s_wait_alu 0xfffe
	s_sub_co_i32 s5, s1, s36
	s_wait_alu 0xfffe
	v_cmp_gt_i32_e64 s1, s5, v0
	s_wait_dscnt 0x0
	v_dual_max_num_f32 v15, v14, v14 :: v_dual_lshlrev_b32 v14, 2, v4
	s_delay_alu instid0(VALU_DEP_1) | instskip(SKIP_4) | instid1(VALU_DEP_1)
	v_max_num_f32_e32 v1, v1, v15
	v_mov_b32_e32 v15, 0
	ds_bpermute_b32 v4, v14, v1
	s_wait_dscnt 0x0
	v_max_num_f32_e32 v4, v4, v4
	v_max_num_f32_e32 v1, v1, v4
	v_lshl_add_u32 v4, v0, 2, 0xa0
	ds_bpermute_b32 v1, v15, v1
	s_and_saveexec_b32 s19, s1
	s_cbranch_execz .LBB65_29
; %bb.26:
	v_lshl_add_u32 v16, v0, 2, 0xa0
	v_mov_b32_e32 v15, 0
	v_mov_b32_e32 v17, v0
	s_mov_b32 s36, 0
.LBB65_27:                              ; =>This Inner Loop Header: Depth=1
	ds_load_b32 v18, v16
	v_add_nc_u32_e32 v17, 0x80, v17
	s_delay_alu instid0(VALU_DEP_1) | instskip(SKIP_4) | instid1(VALU_DEP_1)
	v_cmp_le_i32_e64 s4, s5, v17
	s_wait_alu 0xfffe
	s_or_b32 s36, s4, s36
	s_wait_dscnt 0x0
	v_sub_f32_e32 v18, v18, v1
	v_mul_f32_e32 v18, 0x3fb8aa3b, v18
	s_delay_alu instid0(VALU_DEP_1)
	v_exp_f32_e32 v18, v18
	ds_store_b32 v16, v18
	v_dual_add_f32 v15, v15, v18 :: v_dual_add_nc_u32 v16, 0x200, v16
	s_wait_alu 0xfffe
	s_and_not1_b32 exec_lo, exec_lo, s36
	s_cbranch_execnz .LBB65_27
; %bb.28:
	s_or_b32 exec_lo, exec_lo, s36
.LBB65_29:
	s_delay_alu instid0(SALU_CYCLE_1)
	s_or_b32 exec_lo, exec_lo, s19
	ds_bpermute_b32 v2, v2, v15
	s_wait_dscnt 0x0
	v_add_f32_e32 v2, v15, v2
	ds_bpermute_b32 v5, v5, v2
	s_wait_dscnt 0x0
	v_add_f32_e32 v2, v2, v5
	;; [unrolled: 3-line block ×5, first 2 shown]
	s_and_saveexec_b32 s4, vcc_lo
; %bb.30:
	ds_store_b32 v6, v2 offset:144
; %bb.31:
	s_wait_alu 0xfffe
	s_or_b32 exec_lo, exec_lo, s4
	s_wait_loadcnt_dscnt 0x0
	s_barrier_signal -1
	s_barrier_wait -1
	global_inv scope:SCOPE_SE
	s_and_saveexec_b32 s4, s0
; %bb.32:
	ds_load_b32 v2, v7 offset:144
; %bb.33:
	s_wait_alu 0xfffe
	s_or_b32 exec_lo, exec_lo, s4
	s_wait_dscnt 0x0
	ds_bpermute_b32 v5, v13, v2
	s_wait_dscnt 0x0
	v_add_f32_e32 v2, v2, v5
	ds_bpermute_b32 v5, v14, v2
	s_wait_dscnt 0x0
	v_dual_add_f32 v2, v2, v5 :: v_dual_mov_b32 v5, 0
	ds_bpermute_b32 v2, v5, v2
	s_and_saveexec_b32 s0, s1
	s_cbranch_execz .LBB65_36
; %bb.34:
	s_wait_dscnt 0x0
	v_add_f32_e32 v5, 0x358637bd, v2
	s_mov_b32 s1, 0
	s_delay_alu instid0(VALU_DEP_1) | instskip(SKIP_1) | instid1(VALU_DEP_2)
	v_div_scale_f32 v6, null, v5, v5, 1.0
	v_div_scale_f32 v13, vcc_lo, 1.0, v5, 1.0
	v_rcp_f32_e32 v7, v6
	s_delay_alu instid0(TRANS32_DEP_1) | instskip(NEXT) | instid1(VALU_DEP_1)
	v_fma_f32 v8, -v6, v7, 1.0
	v_fmac_f32_e32 v7, v8, v7
	s_delay_alu instid0(VALU_DEP_1) | instskip(NEXT) | instid1(VALU_DEP_1)
	v_mul_f32_e32 v8, v13, v7
	v_fma_f32 v14, -v6, v8, v13
	s_delay_alu instid0(VALU_DEP_1) | instskip(NEXT) | instid1(VALU_DEP_1)
	v_fmac_f32_e32 v8, v14, v7
	v_fma_f32 v6, -v6, v8, v13
	s_wait_alu 0xfffd
	s_delay_alu instid0(VALU_DEP_1) | instskip(NEXT) | instid1(VALU_DEP_1)
	v_div_fmas_f32 v6, v6, v7, v8
	v_div_fixup_f32 v5, v6, v5, 1.0
	v_mov_b32_e32 v6, v0
.LBB65_35:                              ; =>This Inner Loop Header: Depth=1
	ds_load_b32 v7, v4
	s_wait_dscnt 0x0
	v_dual_mul_f32 v7, v5, v7 :: v_dual_add_nc_u32 v6, 0x80, v6
	s_delay_alu instid0(VALU_DEP_1)
	v_cmp_le_i32_e32 vcc_lo, s5, v6
	ds_store_b32 v4, v7
	v_add_nc_u32_e32 v4, 0x200, v4
	s_wait_alu 0xfffe
	s_or_b32 s1, vcc_lo, s1
	s_wait_alu 0xfffe
	s_and_not1_b32 exec_lo, exec_lo, s1
	s_cbranch_execnz .LBB65_35
.LBB65_36:
	s_wait_alu 0xfffe
	s_or_b32 exec_lo, exec_lo, s0
	s_mul_i32 s0, s8, s34
	s_wait_loadcnt_dscnt 0x0
	s_wait_alu 0xfffe
	s_mul_i32 s4, s0, s35
	s_mov_b32 s0, exec_lo
	s_barrier_signal -1
	s_barrier_wait -1
	global_inv scope:SCOPE_SE
	v_cmpx_eq_u32_e32 0, v0
	s_cbranch_execz .LBB65_38
; %bb.37:
	s_wait_alu 0xfffe
	s_ashr_i32 s5, s4, 31
	s_mul_i32 s34, s8, ttmp9
	s_lshl_b32 s1, s33, 2
	s_wait_alu 0xfffe
	s_lshl_b64 s[40:41], s[4:5], 2
	s_ashr_i32 s35, s34, 31
	v_mov_b32_e32 v4, s1
	s_wait_kmcnt 0x0
	s_add_nc_u64 s[14:15], s[14:15], s[40:41]
	s_lshl_b64 s[34:35], s[34:35], 2
	s_add_nc_u64 s[12:13], s[12:13], s[40:41]
	s_wait_alu 0xfffe
	s_add_nc_u64 s[14:15], s[14:15], s[34:35]
	s_add_nc_u64 s[12:13], s[12:13], s[34:35]
	s_clause 0x1
	global_store_b32 v4, v1, s[14:15]
	global_store_b32 v4, v2, s[12:13]
.LBB65_38:
	s_wait_alu 0xfffe
	s_or_b32 exec_lo, exec_lo, s0
	v_dual_mov_b32 v14, 0 :: v_dual_mov_b32 v13, 0
	s_and_saveexec_b32 s1, s3
	s_cbranch_execz .LBB65_48
; %bb.39:
	s_abs_i32 s3, s10
	s_ashr_i32 s19, s18, 31
	s_wait_alu 0xfffe
	s_cvt_f32_u32 s0, s3
	s_wait_kmcnt 0x0
	s_lshl_b64 s[12:13], s[26:27], 2
	v_dual_mov_b32 v13, 0 :: v_dual_lshlrev_b32 v2, 4, v12
	s_wait_alu 0xfffe
	v_rcp_iflag_f32_e32 v1, s0
	s_lshl_b64 s[14:15], s[18:19], 1
	s_add_nc_u64 s[12:13], s[24:25], s[12:13]
	s_wait_alu 0xfffe
	s_add_nc_u64 s[14:15], s[28:29], s[14:15]
	v_add_co_u32 v5, s12, s12, v3
	s_sub_co_i32 s10, 0, s3
	v_add_co_ci_u32_e64 v6, null, s13, 0, s12
	s_wait_alu 0xfffe
	v_add_co_u32 v15, s12, s14, v2
	v_readfirstlane_b32 s0, v1
	s_wait_alu 0xf1ff
	v_add_co_ci_u32_e64 v16, null, s15, 0, s12
	v_lshl_add_u32 v17, v9, 5, 0xa0
	v_mov_b32_e32 v14, 0
	s_mul_f32 s0, s0, 0x4f7ffffe
	s_sub_co_i32 s5, s38, s9
	s_mov_b32 s9, s17
	s_add_co_i32 s37, s37, -1
	s_wait_alu 0xfffe
	s_cvt_u32_f32 s0, s0
	s_wait_alu 0xfffe
	s_delay_alu instid0(SALU_CYCLE_2)
	s_mul_i32 s10, s10, s0
	s_wait_alu 0xfffe
	s_mul_hi_u32 s12, s0, s10
	s_mov_b32 s10, 0
	s_wait_alu 0xfffe
	s_add_co_i32 s12, s0, s12
	s_branch .LBB65_42
.LBB65_40:                              ;   in Loop: Header=BB65_42 Depth=1
	s_wait_alu 0xfffe
	s_or_b32 exec_lo, exec_lo, s0
	v_lshlrev_b32_e32 v18, 16, v31
	v_lshlrev_b32_e32 v8, 16, v8
	;; [unrolled: 1-line block ×3, first 2 shown]
	s_delay_alu instid0(VALU_DEP_3) | instskip(NEXT) | instid1(VALU_DEP_3)
	v_and_or_b32 v1, 0xffff, v1, v18
	v_and_or_b32 v2, 0xffff, v2, v8
	s_delay_alu instid0(VALU_DEP_3)
	v_and_or_b32 v3, 0xffff, v3, v7
	;;#ASMSTART
	v_pk_mul_f16 v1, v26, v1;

	;;#ASMEND
	;;#ASMSTART
	v_pk_mul_f16 v2, v25, v2;

	;;#ASMEND
	;;#ASMSTART
	v_pk_mul_f16 v3, v28, v3;

	;;#ASMEND
	;;#ASMSTART
	v_pk_mul_f16 v4, v29, v4;

	;;#ASMEND
	;;#ASMSTART
	v_pk_add_f16 v1, v1, v2;

	;;#ASMEND
	;;#ASMSTART
	v_pk_add_f16 v1, v1, v3;

	;;#ASMEND
	;; [unrolled: 4-line block ×3, first 2 shown]
	v_and_b32_e32 v2, 0xffff, v1
	v_lshrrev_b32_e32 v3, 16, v1
	;;#ASMSTART
	v_cvt_f32_f16 v2, v2;
	;;#ASMEND
	v_add_f32_e32 v1, v27, v30
	;;#ASMSTART
	v_cvt_f32_f16 v3, v3;
	;;#ASMEND
	s_delay_alu instid0(VALU_DEP_2) | instskip(NEXT) | instid1(VALU_DEP_1)
	v_add_f32_e32 v2, v2, v3
	v_dual_add_f32 v14, v14, v1 :: v_dual_add_f32 v13, v13, v2
.LBB65_41:                              ;   in Loop: Header=BB65_42 Depth=1
	s_wait_alu 0xfffe
	s_or_b32 exec_lo, exec_lo, s13
	v_add_nc_u32_e32 v11, 4, v11
	v_add_co_u32 v5, s0, v5, 16
	s_wait_alu 0xf1ff
	v_add_co_ci_u32_e64 v6, null, 0, v6, s0
	s_delay_alu instid0(VALU_DEP_3)
	v_cmp_le_i32_e32 vcc_lo, s31, v11
	v_add_nc_u32_e32 v10, 32, v10
	v_add_nc_u32_e32 v17, 0x80, v17
	s_or_b32 s10, vcc_lo, s10
	s_wait_alu 0xfffe
	s_and_not1_b32 exec_lo, exec_lo, s10
	s_cbranch_execz .LBB65_47
.LBB65_42:                              ; =>This Inner Loop Header: Depth=1
	v_sub_nc_u32_e32 v1, 0, v10
	s_delay_alu instid0(VALU_DEP_1) | instskip(NEXT) | instid1(VALU_DEP_1)
	v_max_i32_e32 v1, v10, v1
	v_mul_hi_u32 v2, v1, s22
	s_delay_alu instid0(VALU_DEP_1) | instskip(NEXT) | instid1(VALU_DEP_1)
	v_mul_lo_u32 v3, v2, s16
	v_sub_nc_u32_e32 v1, v1, v3
	v_add_nc_u32_e32 v3, 1, v2
	s_delay_alu instid0(VALU_DEP_2) | instskip(SKIP_2) | instid1(VALU_DEP_2)
	v_subrev_nc_u32_e32 v4, s16, v1
	v_cmp_le_u32_e32 vcc_lo, s16, v1
	s_wait_alu 0xfffd
	v_dual_cndmask_b32 v2, v2, v3 :: v_dual_cndmask_b32 v1, v1, v4
	v_ashrrev_i32_e32 v3, 31, v10
	s_delay_alu instid0(VALU_DEP_2) | instskip(NEXT) | instid1(VALU_DEP_3)
	v_add_nc_u32_e32 v4, 1, v2
	v_cmp_le_u32_e32 vcc_lo, s16, v1
	s_delay_alu instid0(VALU_DEP_3) | instskip(SKIP_1) | instid1(VALU_DEP_3)
	v_xor_b32_e32 v3, s23, v3
	s_wait_alu 0xfffd
	v_cndmask_b32_e32 v1, v2, v4, vcc_lo
	s_delay_alu instid0(VALU_DEP_1) | instskip(NEXT) | instid1(VALU_DEP_1)
	v_xor_b32_e32 v1, v1, v3
	v_sub_nc_u32_e32 v1, v1, v3
	s_delay_alu instid0(VALU_DEP_1) | instskip(SKIP_1) | instid1(VALU_DEP_2)
	v_add_nc_u32_e32 v2, s21, v1
	v_cmp_lt_i32_e64 s0, s5, v1
	v_sub_nc_u32_e32 v3, 0, v2
	s_delay_alu instid0(VALU_DEP_1) | instskip(SKIP_1) | instid1(VALU_DEP_1)
	v_max_i32_e32 v3, v2, v3
	s_wait_alu 0xfffe
	v_mul_hi_u32 v4, v3, s12
	s_delay_alu instid0(VALU_DEP_1) | instskip(NEXT) | instid1(VALU_DEP_1)
	v_mul_lo_u32 v4, v4, s3
	v_sub_nc_u32_e32 v3, v3, v4
	s_delay_alu instid0(VALU_DEP_1) | instskip(SKIP_2) | instid1(VALU_DEP_2)
	v_subrev_nc_u32_e32 v4, s3, v3
	v_cmp_le_u32_e32 vcc_lo, s3, v3
	s_wait_alu 0xfffd
	v_cndmask_b32_e32 v3, v3, v4, vcc_lo
	v_ashrrev_i32_e32 v2, 31, v2
	s_delay_alu instid0(VALU_DEP_2) | instskip(SKIP_2) | instid1(VALU_DEP_2)
	v_subrev_nc_u32_e32 v4, s3, v3
	v_cmp_le_u32_e32 vcc_lo, s3, v3
	s_wait_alu 0xfffd
	v_cndmask_b32_e32 v3, v3, v4, vcc_lo
	s_delay_alu instid0(VALU_DEP_1) | instskip(NEXT) | instid1(VALU_DEP_1)
	v_xor_b32_e32 v3, v3, v2
	v_sub_nc_u32_e32 v2, v3, v2
	s_delay_alu instid0(VALU_DEP_1)
	v_cmp_eq_u32_e32 vcc_lo, 0, v2
	s_or_b32 s0, vcc_lo, s0
	s_wait_alu 0xfffe
	s_and_saveexec_b32 s13, s0
	s_cbranch_execz .LBB65_41
; %bb.43:                               ;   in Loop: Header=BB65_42 Depth=1
	global_load_b32 v7, v[5:6], off
	ds_load_2addr_b64 v[1:4], v17 offset1:1
	ds_load_2addr_b64 v[18:21], v17 offset0:2 offset1:3
	v_add_nc_u32_e32 v24, 1, v10
	v_add_nc_u32_e32 v23, 2, v10
	;; [unrolled: 1-line block ×3, first 2 shown]
	s_wait_dscnt 0x1
	;;#ASMSTART
	v_cvt_f16_f32 v26, v1;

	;;#ASMEND
	;;#ASMSTART
	v_cvt_f16_f32 v25, v2;

	;;#ASMEND
	;;#ASMSTART
	v_cvt_f16_f32 v31, v3;

	;;#ASMEND
	;;#ASMSTART
	v_cvt_f16_f32 v29, v4;

	;;#ASMEND
	s_wait_dscnt 0x0
	;;#ASMSTART
	v_cvt_f16_f32 v32, v18;

	;;#ASMEND
	;;#ASMSTART
	v_cvt_f16_f32 v28, v19;

	;;#ASMEND
	;; [unrolled: 4-line block ×4, first 2 shown]
	v_add_nc_u32_e32 v20, 3, v10
	v_add_nc_u32_e32 v19, 4, v10
	;; [unrolled: 1-line block ×4, first 2 shown]
	s_wait_loadcnt 0x0
	v_mad_co_i64_i32 v[7:8], null, v7, s9, 0
	s_delay_alu instid0(VALU_DEP_1) | instskip(NEXT) | instid1(VALU_DEP_1)
	v_lshlrev_b64_e32 v[7:8], 1, v[7:8]
	v_add_co_u32 v7, vcc_lo, v15, v7
	s_wait_alu 0xfffd
	s_delay_alu instid0(VALU_DEP_2)
	v_add_co_ci_u32_e64 v8, null, v16, v8, vcc_lo
	v_cmp_eq_u32_e32 vcc_lo, s37, v11
	global_load_b128 v[1:4], v[7:8], off
	s_wait_loadcnt 0x0
	v_lshrrev_b32_e32 v35, 16, v1
	v_lshrrev_b32_e32 v34, 16, v2
	;; [unrolled: 1-line block ×3, first 2 shown]
	s_and_saveexec_b32 s14, vcc_lo
	s_cbranch_execz .LBB65_45
; %bb.44:                               ;   in Loop: Header=BB65_42 Depth=1
	v_cmp_gt_i32_e64 s0, s30, v10
	v_and_b32_e32 v36, 0xffff, v4
	v_and_b32_e32 v4, 0xffff0000, v4
	s_wait_alu 0xf1ff
	s_delay_alu instid0(VALU_DEP_3) | instskip(SKIP_2) | instid1(VALU_DEP_1)
	v_cndmask_b32_e64 v1, 0, v1, s0
	v_cmp_gt_i32_e64 s0, s30, v24
	s_wait_alu 0xf1ff
	v_cndmask_b32_e64 v35, 0, v35, s0
	v_cmp_gt_i32_e64 s0, s30, v23
	s_wait_alu 0xf1ff
	s_delay_alu instid0(VALU_DEP_1) | instskip(SKIP_2) | instid1(VALU_DEP_1)
	v_cndmask_b32_e64 v2, 0, v2, s0
	v_cmp_gt_i32_e64 s0, s30, v20
	s_wait_alu 0xf1ff
	v_cndmask_b32_e64 v34, 0, v34, s0
	v_cmp_gt_i32_e64 s0, s30, v21
	s_wait_alu 0xf1ff
	s_delay_alu instid0(VALU_DEP_1) | instskip(SKIP_2) | instid1(VALU_DEP_1)
	v_cndmask_b32_e64 v36, 0, v36, s0
	v_cmp_gt_i32_e64 s0, s30, v22
	s_wait_alu 0xf1ff
	v_cndmask_b32_e64 v4, 0, v4, s0
	v_cmp_gt_i32_e64 s0, s30, v19
	s_delay_alu instid0(VALU_DEP_2) | instskip(SKIP_1) | instid1(VALU_DEP_2)
	v_or_b32_e32 v4, v36, v4
	s_wait_alu 0xf1ff
	v_cndmask_b32_e64 v3, 0, v3, s0
	v_cmp_gt_i32_e64 s0, s30, v18
	s_wait_alu 0xf1ff
	s_delay_alu instid0(VALU_DEP_1)
	v_cndmask_b32_e64 v33, 0, v33, s0
.LBB65_45:                              ;   in Loop: Header=BB65_42 Depth=1
	s_wait_alu 0xfffe
	s_or_b32 exec_lo, exec_lo, s14
	v_and_b32_e32 v26, 0xffff, v26
	v_and_b32_e32 v31, 0xffff, v31
	v_lshlrev_b32_e32 v35, 16, v35
	v_and_b32_e32 v32, 0xffff, v32
	v_and_b32_e32 v30, 0xffff, v30
	v_lshl_or_b32 v26, v25, 16, v26
	v_lshl_or_b32 v25, v29, 16, v31
	v_lshlrev_b32_e32 v29, 16, v34
	v_lshlrev_b32_e32 v31, 16, v33
	v_and_or_b32 v1, 0xffff, v1, v35
	;;#ASMSTART
	v_pk_mul_f16 v1, v26, v1;

	;;#ASMEND
	v_lshl_or_b32 v28, v28, 16, v32
	v_and_or_b32 v2, 0xffff, v2, v29
	v_and_or_b32 v3, 0xffff, v3, v31
	v_lshl_or_b32 v29, v27, 16, v30
	;;#ASMSTART
	v_pk_mul_f16 v2, v25, v2;

	;;#ASMEND
	;;#ASMSTART
	v_pk_mul_f16 v3, v28, v3;

	;;#ASMEND
	;; [unrolled: 4-line block ×3, first 2 shown]
	;;#ASMSTART
	v_pk_add_f16 v1, v1, v2;

	;;#ASMEND
	;;#ASMSTART
	v_pk_add_f16 v1, v1, v3;

	;;#ASMEND
	;; [unrolled: 4-line block ×3, first 2 shown]
	v_and_b32_e32 v2, 0xffff, v1
	v_lshrrev_b32_e32 v1, 16, v1
	;;#ASMSTART
	v_cvt_f32_f16 v27, v2;
	;;#ASMEND
	;;#ASMSTART
	v_cvt_f32_f16 v30, v1;
	;;#ASMEND
	global_load_b128 v[1:4], v[7:8], off offset:512
	s_wait_loadcnt 0x0
	v_lshrrev_b32_e32 v31, 16, v1
	v_lshrrev_b32_e32 v8, 16, v2
	;; [unrolled: 1-line block ×3, first 2 shown]
	s_and_saveexec_b32 s0, vcc_lo
	s_cbranch_execz .LBB65_40
; %bb.46:                               ;   in Loop: Header=BB65_42 Depth=1
	v_cmp_gt_i32_e32 vcc_lo, s30, v10
	s_wait_alu 0xfffd
	v_cndmask_b32_e32 v1, 0, v1, vcc_lo
	v_cmp_gt_i32_e32 vcc_lo, s30, v24
	s_wait_alu 0xfffd
	v_cndmask_b32_e32 v31, 0, v31, vcc_lo
	v_cmp_gt_i32_e32 vcc_lo, s30, v23
	v_and_b32_e32 v23, 0xffff, v4
	v_and_b32_e32 v4, 0xffff0000, v4
	s_wait_alu 0xfffd
	v_cndmask_b32_e32 v2, 0, v2, vcc_lo
	v_cmp_gt_i32_e32 vcc_lo, s30, v20
	s_wait_alu 0xfffd
	v_cndmask_b32_e32 v8, 0, v8, vcc_lo
	v_cmp_gt_i32_e32 vcc_lo, s30, v21
	;; [unrolled: 3-line block ×5, first 2 shown]
	s_wait_alu 0xfffd
	v_cndmask_b32_e32 v7, 0, v7, vcc_lo
	v_or_b32_e32 v4, v20, v4
	s_branch .LBB65_40
.LBB65_47:
	s_or_b32 exec_lo, exec_lo, s10
.LBB65_48:
	s_wait_alu 0xfffe
	s_or_b32 exec_lo, exec_lo, s1
	v_lshl_add_u32 v2, v12, 2, 0xa0
	v_and_b32_e32 v3, 0x3c0, v0
	s_mov_b32 s0, exec_lo
	s_wait_loadcnt 0x0
	s_wait_storecnt 0x0
	s_barrier_signal -1
	v_lshl_add_u32 v1, v9, 8, v2
	s_barrier_wait -1
	global_inv scope:SCOPE_SE
	v_cmpx_eq_u32_e32 64, v3
	s_cbranch_execz .LBB65_50
; %bb.49:
	v_add_nc_u32_e32 v3, 0xfffffe00, v1
	v_add_nc_u32_e32 v4, 0xfffffe80, v1
	ds_store_b32 v3, v14
	ds_store_b32 v4, v13
.LBB65_50:
	s_wait_alu 0xfffe
	s_or_b32 exec_lo, exec_lo, s0
	s_delay_alu instid0(SALU_CYCLE_1)
	s_mov_b32 s0, exec_lo
	s_wait_loadcnt_dscnt 0x0
	s_barrier_signal -1
	s_barrier_wait -1
	global_inv scope:SCOPE_SE
	v_cmpx_gt_u32_e32 64, v0
	s_cbranch_execz .LBB65_52
; %bb.51:
	ds_load_2addr_b32 v[3:4], v1 offset1:32
	s_wait_dscnt 0x0
	v_dual_add_f32 v14, v14, v3 :: v_dual_add_f32 v13, v13, v4
.LBB65_52:
	s_wait_alu 0xfffe
	s_or_b32 exec_lo, exec_lo, s0
	v_and_b32_e32 v3, 0x3e0, v0
	s_mov_b32 s0, exec_lo
	s_wait_loadcnt 0x0
	s_barrier_signal -1
	s_barrier_wait -1
	global_inv scope:SCOPE_SE
	v_cmpx_eq_u32_e32 32, v3
; %bb.53:
	ds_store_2addr_b32 v2, v14, v13 offset1:32
; %bb.54:
	s_wait_alu 0xfffe
	s_or_b32 exec_lo, exec_lo, s0
	s_wait_loadcnt_dscnt 0x0
	s_barrier_signal -1
	s_barrier_wait -1
	global_inv scope:SCOPE_SE
	s_and_saveexec_b32 s0, s2
	s_cbranch_execz .LBB65_56
; %bb.55:
	ds_load_2addr_b32 v[1:2], v1 offset1:32
	s_wait_dscnt 0x0
	v_dual_add_f32 v14, v14, v1 :: v_dual_add_f32 v13, v13, v2
.LBB65_56:
	s_wait_alu 0xfffe
	s_or_b32 exec_lo, exec_lo, s0
	s_wait_loadcnt 0x0
	s_barrier_signal -1
	s_barrier_wait -1
	global_inv scope:SCOPE_SE
	s_and_saveexec_b32 s0, s2
	s_cbranch_execz .LBB65_58
; %bb.57:
	s_lshl_b32 s0, s4, 6
	s_mul_i32 s2, s8, s20
	s_wait_alu 0xfffe
	s_ashr_i32 s1, s0, 31
	s_ashr_i32 s3, s2, 31
	s_wait_alu 0xfffe
	s_lshl_b64 s[0:1], s[0:1], 1
	s_lshl_b64 s[2:3], s[2:3], 1
	s_wait_kmcnt 0x0
	s_wait_alu 0xfffe
	s_add_nc_u64 s[0:1], s[6:7], s[0:1]
	v_lshlrev_b32_e32 v0, 1, v0
	s_lshl_b32 s4, s11, 1
	s_wait_alu 0xfffe
	s_add_nc_u64 s[0:1], s[0:1], s[2:3]
	s_mov_b32 s5, 0
	;;#ASMSTART
	v_cvt_f16_f32 v1, v14;

	;;#ASMEND
	s_wait_alu 0xfffe
	s_add_nc_u64 s[0:1], s[0:1], s[4:5]
	global_store_b16 v0, v1, s[0:1]
	;;#ASMSTART
	v_cvt_f16_f32 v1, v13;

	;;#ASMEND
	global_store_b16 v0, v1, s[0:1] offset:64
.LBB65_58:
	s_endpgm
	.section	.rodata,"a",@progbits
	.p2align	6, 0x0
	.amdhsa_kernel _ZN4vllm25paged_attention_v2_kernelIttLi64ELi8ELi128ELNS_18Fp8KVCacheDataTypeE0ELb1ELi512EEEvPfS2_PT_PKS3_PKT0_S9_ifPKiSB_iPKfiiiSD_SD_iiiii
		.amdhsa_group_segment_fixed_size 160
		.amdhsa_private_segment_fixed_size 0
		.amdhsa_kernarg_size 400
		.amdhsa_user_sgpr_count 2
		.amdhsa_user_sgpr_dispatch_ptr 0
		.amdhsa_user_sgpr_queue_ptr 0
		.amdhsa_user_sgpr_kernarg_segment_ptr 1
		.amdhsa_user_sgpr_dispatch_id 0
		.amdhsa_user_sgpr_private_segment_size 0
		.amdhsa_wavefront_size32 1
		.amdhsa_uses_dynamic_stack 0
		.amdhsa_enable_private_segment 0
		.amdhsa_system_sgpr_workgroup_id_x 1
		.amdhsa_system_sgpr_workgroup_id_y 1
		.amdhsa_system_sgpr_workgroup_id_z 1
		.amdhsa_system_sgpr_workgroup_info 0
		.amdhsa_system_vgpr_workitem_id 0
		.amdhsa_next_free_vgpr 48
		.amdhsa_next_free_sgpr 44
		.amdhsa_reserve_vcc 1
		.amdhsa_float_round_mode_32 0
		.amdhsa_float_round_mode_16_64 0
		.amdhsa_float_denorm_mode_32 3
		.amdhsa_float_denorm_mode_16_64 3
		.amdhsa_fp16_overflow 0
		.amdhsa_workgroup_processor_mode 1
		.amdhsa_memory_ordered 1
		.amdhsa_forward_progress 1
		.amdhsa_inst_pref_size 41
		.amdhsa_round_robin_scheduling 0
		.amdhsa_exception_fp_ieee_invalid_op 0
		.amdhsa_exception_fp_denorm_src 0
		.amdhsa_exception_fp_ieee_div_zero 0
		.amdhsa_exception_fp_ieee_overflow 0
		.amdhsa_exception_fp_ieee_underflow 0
		.amdhsa_exception_fp_ieee_inexact 0
		.amdhsa_exception_int_div_zero 0
	.end_amdhsa_kernel
	.section	.text._ZN4vllm25paged_attention_v2_kernelIttLi64ELi8ELi128ELNS_18Fp8KVCacheDataTypeE0ELb1ELi512EEEvPfS2_PT_PKS3_PKT0_S9_ifPKiSB_iPKfiiiSD_SD_iiiii,"axG",@progbits,_ZN4vllm25paged_attention_v2_kernelIttLi64ELi8ELi128ELNS_18Fp8KVCacheDataTypeE0ELb1ELi512EEEvPfS2_PT_PKS3_PKT0_S9_ifPKiSB_iPKfiiiSD_SD_iiiii,comdat
.Lfunc_end65:
	.size	_ZN4vllm25paged_attention_v2_kernelIttLi64ELi8ELi128ELNS_18Fp8KVCacheDataTypeE0ELb1ELi512EEEvPfS2_PT_PKS3_PKT0_S9_ifPKiSB_iPKfiiiSD_SD_iiiii, .Lfunc_end65-_ZN4vllm25paged_attention_v2_kernelIttLi64ELi8ELi128ELNS_18Fp8KVCacheDataTypeE0ELb1ELi512EEEvPfS2_PT_PKS3_PKT0_S9_ifPKiSB_iPKfiiiSD_SD_iiiii
                                        ; -- End function
	.set _ZN4vllm25paged_attention_v2_kernelIttLi64ELi8ELi128ELNS_18Fp8KVCacheDataTypeE0ELb1ELi512EEEvPfS2_PT_PKS3_PKT0_S9_ifPKiSB_iPKfiiiSD_SD_iiiii.num_vgpr, 48
	.set _ZN4vllm25paged_attention_v2_kernelIttLi64ELi8ELi128ELNS_18Fp8KVCacheDataTypeE0ELb1ELi512EEEvPfS2_PT_PKS3_PKT0_S9_ifPKiSB_iPKfiiiSD_SD_iiiii.num_agpr, 0
	.set _ZN4vllm25paged_attention_v2_kernelIttLi64ELi8ELi128ELNS_18Fp8KVCacheDataTypeE0ELb1ELi512EEEvPfS2_PT_PKS3_PKT0_S9_ifPKiSB_iPKfiiiSD_SD_iiiii.numbered_sgpr, 44
	.set _ZN4vllm25paged_attention_v2_kernelIttLi64ELi8ELi128ELNS_18Fp8KVCacheDataTypeE0ELb1ELi512EEEvPfS2_PT_PKS3_PKT0_S9_ifPKiSB_iPKfiiiSD_SD_iiiii.num_named_barrier, 0
	.set _ZN4vllm25paged_attention_v2_kernelIttLi64ELi8ELi128ELNS_18Fp8KVCacheDataTypeE0ELb1ELi512EEEvPfS2_PT_PKS3_PKT0_S9_ifPKiSB_iPKfiiiSD_SD_iiiii.private_seg_size, 0
	.set _ZN4vllm25paged_attention_v2_kernelIttLi64ELi8ELi128ELNS_18Fp8KVCacheDataTypeE0ELb1ELi512EEEvPfS2_PT_PKS3_PKT0_S9_ifPKiSB_iPKfiiiSD_SD_iiiii.uses_vcc, 1
	.set _ZN4vllm25paged_attention_v2_kernelIttLi64ELi8ELi128ELNS_18Fp8KVCacheDataTypeE0ELb1ELi512EEEvPfS2_PT_PKS3_PKT0_S9_ifPKiSB_iPKfiiiSD_SD_iiiii.uses_flat_scratch, 0
	.set _ZN4vllm25paged_attention_v2_kernelIttLi64ELi8ELi128ELNS_18Fp8KVCacheDataTypeE0ELb1ELi512EEEvPfS2_PT_PKS3_PKT0_S9_ifPKiSB_iPKfiiiSD_SD_iiiii.has_dyn_sized_stack, 0
	.set _ZN4vllm25paged_attention_v2_kernelIttLi64ELi8ELi128ELNS_18Fp8KVCacheDataTypeE0ELb1ELi512EEEvPfS2_PT_PKS3_PKT0_S9_ifPKiSB_iPKfiiiSD_SD_iiiii.has_recursion, 0
	.set _ZN4vllm25paged_attention_v2_kernelIttLi64ELi8ELi128ELNS_18Fp8KVCacheDataTypeE0ELb1ELi512EEEvPfS2_PT_PKS3_PKT0_S9_ifPKiSB_iPKfiiiSD_SD_iiiii.has_indirect_call, 0
	.section	.AMDGPU.csdata,"",@progbits
; Kernel info:
; codeLenInByte = 5180
; TotalNumSgprs: 46
; NumVgprs: 48
; ScratchSize: 0
; MemoryBound: 0
; FloatMode: 240
; IeeeMode: 1
; LDSByteSize: 160 bytes/workgroup (compile time only)
; SGPRBlocks: 0
; VGPRBlocks: 5
; NumSGPRsForWavesPerEU: 46
; NumVGPRsForWavesPerEU: 48
; Occupancy: 16
; WaveLimiterHint : 1
; COMPUTE_PGM_RSRC2:SCRATCH_EN: 0
; COMPUTE_PGM_RSRC2:USER_SGPR: 2
; COMPUTE_PGM_RSRC2:TRAP_HANDLER: 0
; COMPUTE_PGM_RSRC2:TGID_X_EN: 1
; COMPUTE_PGM_RSRC2:TGID_Y_EN: 1
; COMPUTE_PGM_RSRC2:TGID_Z_EN: 1
; COMPUTE_PGM_RSRC2:TIDIG_COMP_CNT: 0
	.section	.text._ZN4vllm32paged_attention_v2_reduce_kernelItLi64ELi128ELi512EEEvPT_PKfS4_PKS1_PKii,"axG",@progbits,_ZN4vllm32paged_attention_v2_reduce_kernelItLi64ELi128ELi512EEEvPT_PKfS4_PKS1_PKii,comdat
	.protected	_ZN4vllm32paged_attention_v2_reduce_kernelItLi64ELi128ELi512EEEvPT_PKfS4_PKS1_PKii ; -- Begin function _ZN4vllm32paged_attention_v2_reduce_kernelItLi64ELi128ELi512EEEvPT_PKfS4_PKS1_PKii
	.globl	_ZN4vllm32paged_attention_v2_reduce_kernelItLi64ELi128ELi512EEEvPT_PKfS4_PKS1_PKii
	.p2align	8
	.type	_ZN4vllm32paged_attention_v2_reduce_kernelItLi64ELi128ELi512EEEvPT_PKfS4_PKS1_PKii,@function
_ZN4vllm32paged_attention_v2_reduce_kernelItLi64ELi128ELi512EEEvPT_PKfS4_PKS1_PKii: ; @_ZN4vllm32paged_attention_v2_reduce_kernelItLi64ELi128ELi512EEEvPT_PKfS4_PKS1_PKii
; %bb.0:
	s_load_b128 s[4:7], s[0:1], 0x18
	s_mov_b32 s2, ttmp7
	s_ashr_i32 s3, ttmp7, 31
	s_add_nc_u64 s[8:9], s[0:1], 48
	s_lshl_b64 s[2:3], s[2:3], 2
	s_wait_kmcnt 0x0
	s_add_nc_u64 s[2:3], s[6:7], s[2:3]
	s_load_b32 s18, s[2:3], 0x0
	s_clause 0x2
	s_load_b64 s[6:7], s[0:1], 0x0
	s_load_b32 s14, s[0:1], 0x28
	s_load_b32 s15, s[0:1], 0x30
	s_wait_kmcnt 0x0
	s_add_co_i32 s2, s18, -1
	s_delay_alu instid0(SALU_CYCLE_1)
	s_cmp_gt_u32 s2, 0x1ff
	s_mov_b32 s2, -1
	s_cbranch_scc0 .LBB66_25
; %bb.1:
	s_add_co_i32 s2, s18, 0x1ff
	s_mul_i32 s16, s15, ttmp7
	s_ashr_i32 s3, s2, 31
	v_dual_mov_b32 v4, 0xff7fffff :: v_dual_lshlrev_b32 v3, 2, v0
	s_lshr_b32 s3, s3, 23
	s_mul_i32 s12, s16, s14
	s_add_co_i32 s2, s2, s3
	s_mul_i32 s10, s14, ttmp9
	s_ashr_i32 s17, s2, 9
	s_ashr_i32 s13, s12, 31
	v_cmp_gt_i32_e32 vcc_lo, s17, v0
	s_ashr_i32 s11, s10, 31
	s_and_saveexec_b32 s3, vcc_lo
	s_cbranch_execz .LBB66_5
; %bb.2:
	s_load_b64 s[20:21], s[0:1], 0x10
	s_load_b32 s2, s[8:9], 0xc
	s_lshl_b64 s[22:23], s[12:13], 2
	s_lshl_b64 s[24:25], s[10:11], 2
	v_dual_mov_b32 v4, 0xff7fffff :: v_dual_add_nc_u32 v5, 32, v3
	s_add_nc_u64 s[22:23], s[22:23], s[24:25]
	v_mov_b32_e32 v6, v0
	s_wait_kmcnt 0x0
	s_add_nc_u64 s[20:21], s[20:21], s[22:23]
	s_delay_alu instid0(SALU_CYCLE_1) | instskip(NEXT) | instid1(VALU_DEP_1)
	v_add_co_u32 v1, s19, s20, v3
	v_add_co_ci_u32_e64 v2, null, s21, 0, s19
	s_and_b32 s20, s2, 0xffff
	s_mov_b32 s19, 0
	s_wait_alu 0xfffe
	s_lshl_b32 s21, s20, 2
.LBB66_3:                               ; =>This Inner Loop Header: Depth=1
	global_load_b32 v7, v[1:2], off
	v_add_nc_u32_e32 v6, s20, v6
	v_max_num_f32_e32 v4, v4, v4
	s_wait_alu 0xfffe
	v_add_co_u32 v1, s2, v1, s21
	s_wait_alu 0xf1ff
	v_add_co_ci_u32_e64 v2, null, 0, v2, s2
	v_cmp_le_i32_e64 s2, s17, v6
	s_or_b32 s19, s2, s19
	s_wait_loadcnt 0x0
	v_max_num_f32_e32 v8, v7, v7
	ds_store_b32 v5, v7
	v_dual_max_num_f32 v4, v4, v8 :: v_dual_add_nc_u32 v5, s21, v5
	s_wait_alu 0xfffe
	s_and_not1_b32 exec_lo, exec_lo, s19
	s_cbranch_execnz .LBB66_3
; %bb.4:
	s_or_b32 exec_lo, exec_lo, s19
.LBB66_5:
	s_delay_alu instid0(SALU_CYCLE_1)
	s_or_b32 exec_lo, exec_lo, s3
	v_mbcnt_lo_u32_b32 v1, -1, 0
	s_load_b64 s[2:3], s[0:1], 0x8
	s_wait_dscnt 0x0
	s_barrier_signal -1
	s_barrier_wait -1
	v_xor_b32_e32 v2, 16, v1
	v_xor_b32_e32 v5, 8, v1
	global_inv scope:SCOPE_SE
	v_cmp_gt_i32_e64 s0, 32, v2
	s_delay_alu instid0(VALU_DEP_1) | instskip(SKIP_1) | instid1(VALU_DEP_2)
	v_cndmask_b32_e64 v2, v1, v2, s0
	v_cmp_gt_i32_e64 s0, 32, v5
	v_lshlrev_b32_e32 v6, 2, v2
	s_wait_alu 0xf1ff
	s_delay_alu instid0(VALU_DEP_2) | instskip(SKIP_3) | instid1(VALU_DEP_1)
	v_cndmask_b32_e64 v5, v1, v5, s0
	ds_bpermute_b32 v2, v6, v4
	v_dual_max_num_f32 v4, v4, v4 :: v_dual_lshlrev_b32 v7, 2, v5
	v_xor_b32_e32 v5, 4, v1
	v_cmp_gt_i32_e64 s0, 32, v5
	s_wait_alu 0xf1ff
	s_delay_alu instid0(VALU_DEP_1) | instskip(NEXT) | instid1(VALU_DEP_1)
	v_cndmask_b32_e64 v5, v1, v5, s0
	v_lshlrev_b32_e32 v8, 2, v5
	v_xor_b32_e32 v5, 2, v1
	s_wait_dscnt 0x0
	v_max_num_f32_e32 v2, v2, v2
	s_delay_alu instid0(VALU_DEP_2) | instskip(NEXT) | instid1(VALU_DEP_2)
	v_cmp_gt_i32_e64 s0, 32, v5
	v_max_num_f32_e32 v2, v4, v2
	s_wait_alu 0xf1ff
	s_delay_alu instid0(VALU_DEP_2) | instskip(SKIP_3) | instid1(VALU_DEP_1)
	v_cndmask_b32_e64 v5, v1, v5, s0
	ds_bpermute_b32 v4, v7, v2
	s_wait_dscnt 0x0
	v_max_num_f32_e32 v4, v4, v4
	v_max_num_f32_e32 v2, v2, v4
	ds_bpermute_b32 v4, v8, v2
	s_wait_dscnt 0x0
	v_dual_max_num_f32 v9, v4, v4 :: v_dual_lshlrev_b32 v4, 2, v5
	s_delay_alu instid0(VALU_DEP_1) | instskip(SKIP_4) | instid1(VALU_DEP_1)
	v_max_num_f32_e32 v2, v2, v9
	v_xor_b32_e32 v9, 1, v1
	ds_bpermute_b32 v5, v4, v2
	v_cmp_gt_i32_e64 s0, 32, v9
	s_wait_alu 0xf1ff
	v_cndmask_b32_e64 v1, v1, v9, s0
	v_lshrrev_b32_e32 v9, 5, v0
	s_delay_alu instid0(VALU_DEP_1) | instskip(SKIP_2) | instid1(VALU_DEP_1)
	v_lshlrev_b32_e32 v9, 2, v9
	s_wait_dscnt 0x0
	v_max_num_f32_e32 v5, v5, v5
	v_max_num_f32_e32 v2, v2, v5
	v_lshlrev_b32_e32 v5, 2, v1
	v_and_b32_e32 v1, 31, v0
	ds_bpermute_b32 v10, v5, v2
	v_cmp_eq_u32_e64 s0, 0, v1
	s_and_saveexec_b32 s1, s0
	s_cbranch_execz .LBB66_7
; %bb.6:
	s_wait_dscnt 0x0
	v_max_num_f32_e32 v10, v10, v10
	v_max_num_f32_e32 v2, v2, v2
	s_delay_alu instid0(VALU_DEP_1)
	v_max_num_f32_e32 v2, v2, v10
	ds_store_b32 v9, v2
.LBB66_7:
	s_wait_alu 0xfffe
	s_or_b32 exec_lo, exec_lo, s1
	v_cmp_gt_u32_e64 s1, 4, v1
	v_mov_b32_e32 v2, 0xff7fffff
	s_wait_dscnt 0x0
	v_lshlrev_b32_e32 v10, 2, v1
	s_wait_loadcnt 0x0
	s_barrier_signal -1
	s_barrier_wait -1
	global_inv scope:SCOPE_SE
	s_and_saveexec_b32 s19, s1
; %bb.8:
	ds_load_b32 v2, v10
; %bb.9:
	s_wait_alu 0xfffe
	s_or_b32 exec_lo, exec_lo, s19
	s_wait_dscnt 0x0
	ds_bpermute_b32 v1, v4, v2
	v_max_num_f32_e32 v2, v2, v2
	s_lshl_b32 s19, s17, 2
	v_mov_b32_e32 v11, 0
	s_wait_dscnt 0x0
	v_max_num_f32_e32 v1, v1, v1
	s_delay_alu instid0(VALU_DEP_1) | instskip(SKIP_3) | instid1(VALU_DEP_1)
	v_max_num_f32_e32 v1, v2, v1
	ds_bpermute_b32 v2, v5, v1
	s_wait_dscnt 0x0
	v_max_num_f32_e32 v2, v2, v2
	v_max_num_f32_e32 v1, v1, v2
	ds_bpermute_b32 v12, v11, v1
	s_and_saveexec_b32 s20, vcc_lo
	s_cbranch_execz .LBB66_13
; %bb.10:
	s_load_b32 s21, s[8:9], 0xc
	s_lshl_b64 s[22:23], s[12:13], 2
	s_lshl_b64 s[24:25], s[10:11], 2
	v_mov_b32_e32 v11, 0
	s_add_nc_u64 s[22:23], s[22:23], s[24:25]
	v_mov_b32_e32 v13, v0
	s_wait_kmcnt 0x0
	s_add_nc_u64 s[2:3], s[2:3], s[22:23]
	s_wait_alu 0xfffe
	v_add_co_u32 v1, s2, s2, v3
	s_wait_alu 0xf1ff
	v_add_co_ci_u32_e64 v2, null, s3, 0, s2
	v_add_nc_u32_e32 v3, 32, v3
	s_mov_b32 s3, 0
	s_and_b32 s11, s21, 0xffff
	s_delay_alu instid0(SALU_CYCLE_1)
	s_lshl_b32 s13, s11, 2
.LBB66_11:                              ; =>This Inner Loop Header: Depth=1
	global_load_b32 v14, v[1:2], off
	ds_load_b32 v15, v3
	v_add_nc_u32_e32 v13, s11, v13
	s_wait_dscnt 0x0
	v_sub_f32_e32 v15, v15, v12
	s_delay_alu instid0(VALU_DEP_1) | instskip(NEXT) | instid1(VALU_DEP_1)
	v_mul_f32_e32 v16, 0x3fb8aa3b, v15
	v_fma_f32 v17, 0x3fb8aa3b, v15, -v16
	v_rndne_f32_e32 v18, v16
	s_delay_alu instid0(VALU_DEP_1) | instskip(SKIP_1) | instid1(VALU_DEP_4)
	v_sub_f32_e32 v16, v16, v18
	v_cmp_ngt_f32_e32 vcc_lo, 0xc2ce8ed0, v15
	v_fmac_f32_e32 v17, 0x32a5705f, v15
	v_cmp_nlt_f32_e64 s2, 0x42b17218, v15
	s_delay_alu instid0(VALU_DEP_2) | instskip(SKIP_1) | instid1(VALU_DEP_2)
	v_add_f32_e32 v16, v16, v17
	v_cvt_i32_f32_e32 v17, v18
	v_exp_f32_e32 v16, v16
	s_delay_alu instid0(TRANS32_DEP_1) | instskip(SKIP_2) | instid1(VALU_DEP_2)
	v_ldexp_f32 v16, v16, v17
	v_add_nc_u32_e32 v17, s19, v3
	s_wait_alu 0xfffd
	v_dual_cndmask_b32 v16, 0, v16 :: v_dual_add_nc_u32 v3, s13, v3
	v_add_co_u32 v1, vcc_lo, v1, s13
	s_wait_alu 0xfffd
	v_add_co_ci_u32_e64 v2, null, 0, v2, vcc_lo
	s_wait_alu 0xf1ff
	v_cndmask_b32_e64 v15, 0x7f800000, v16, s2
	v_cmp_le_i32_e32 vcc_lo, s17, v13
	s_wait_alu 0xfffe
	s_or_b32 s3, vcc_lo, s3
	s_wait_loadcnt 0x0
	v_mul_f32_e32 v16, v14, v15
	v_fmac_f32_e32 v11, v14, v15
	ds_store_b32 v17, v16
	s_wait_alu 0xfffe
	s_and_not1_b32 exec_lo, exec_lo, s3
	s_cbranch_execnz .LBB66_11
; %bb.12:
	s_or_b32 exec_lo, exec_lo, s3
.LBB66_13:
	s_wait_alu 0xfffe
	s_or_b32 exec_lo, exec_lo, s20
	ds_bpermute_b32 v1, v6, v11
	s_wait_loadcnt_dscnt 0x0
	s_barrier_signal -1
	s_barrier_wait -1
	global_inv scope:SCOPE_SE
	v_add_f32_e32 v1, v11, v1
	ds_bpermute_b32 v2, v7, v1
	s_wait_dscnt 0x0
	v_add_f32_e32 v1, v1, v2
	ds_bpermute_b32 v2, v8, v1
	s_wait_dscnt 0x0
	;; [unrolled: 3-line block ×4, first 2 shown]
	v_add_f32_e32 v1, v1, v2
	s_wait_kmcnt 0x0
	s_and_saveexec_b32 s2, s0
; %bb.14:
	ds_store_b32 v9, v1 offset:16
; %bb.15:
	s_wait_alu 0xfffe
	s_or_b32 exec_lo, exec_lo, s2
	s_wait_loadcnt_dscnt 0x0
	s_barrier_signal -1
	s_barrier_wait -1
	global_inv scope:SCOPE_SE
	s_and_saveexec_b32 s0, s1
; %bb.16:
	ds_load_b32 v1, v10 offset:16
; %bb.17:
	s_wait_alu 0xfffe
	s_or_b32 exec_lo, exec_lo, s0
	s_wait_dscnt 0x0
	ds_bpermute_b32 v2, v4, v1
	s_mov_b32 s0, exec_lo
	s_wait_dscnt 0x0
	v_add_f32_e32 v1, v1, v2
	ds_bpermute_b32 v2, v5, v1
	s_wait_dscnt 0x0
	v_dual_add_f32 v1, v1, v2 :: v_dual_mov_b32 v2, 0
	ds_bpermute_b32 v2, v2, v1
	v_cmpx_gt_u32_e32 64, v0
	s_cbranch_execz .LBB66_24
; %bb.18:
	s_cmp_gt_i32 s18, 0
	s_mov_b32 s1, 0
	s_cbranch_scc1 .LBB66_20
; %bb.19:
	v_dual_mov_b32 v1, 0 :: v_dual_mov_b32 v4, 0
	s_wait_alu 0xfffe
	s_and_not1_b32 vcc_lo, exec_lo, s1
	s_wait_alu 0xfffe
	s_cbranch_vccz .LBB66_21
	s_branch .LBB66_23
.LBB66_20:
	v_mov_b32_e32 v4, 0
.LBB66_21:
	s_wait_dscnt 0x0
	v_add_f32_e32 v4, 0x358637bd, v2
	s_lshl_b32 s2, s12, 6
	s_lshl_b32 s10, s10, 6
	s_wait_alu 0xfffe
	s_ashr_i32 s3, s2, 31
	s_ashr_i32 s11, s10, 31
	v_div_scale_f32 v2, null, v4, v4, 1.0
	s_wait_alu 0xfffe
	s_lshl_b64 s[2:3], s[2:3], 1
	s_lshl_b64 s[10:11], s[10:11], 1
	s_wait_alu 0xfffe
	s_add_nc_u64 s[2:3], s[2:3], s[10:11]
	v_rcp_f32_e32 v3, v2
	s_wait_alu 0xfffe
	s_add_nc_u64 s[2:3], s[4:5], s[2:3]
	s_delay_alu instid0(TRANS32_DEP_1) | instskip(NEXT) | instid1(VALU_DEP_1)
	v_fma_f32 v1, -v2, v3, 1.0
	v_fmac_f32_e32 v3, v1, v3
	v_div_scale_f32 v5, vcc_lo, 1.0, v4, 1.0
	s_delay_alu instid0(VALU_DEP_1) | instskip(NEXT) | instid1(VALU_DEP_1)
	v_mul_f32_e32 v6, v5, v3
	v_fma_f32 v1, -v2, v6, v5
	s_delay_alu instid0(VALU_DEP_1) | instskip(NEXT) | instid1(VALU_DEP_1)
	v_dual_fmac_f32 v6, v1, v3 :: v_dual_mov_b32 v1, 0
	v_fma_f32 v2, -v2, v6, v5
	v_lshlrev_b32_e32 v5, 1, v0
	s_wait_alu 0xfffd
	s_delay_alu instid0(VALU_DEP_2) | instskip(SKIP_1) | instid1(VALU_DEP_2)
	v_div_fmas_f32 v6, v2, v3, v6
	s_wait_alu 0xfffe
	v_add_co_u32 v2, s1, s2, v5
	s_wait_alu 0xf1ff
	v_add_co_ci_u32_e64 v3, null, s3, 0, s1
	v_div_fixup_f32 v5, v6, v4, 1.0
	v_mov_b32_e32 v4, v1
	s_max_i32 s1, s17, 1
	s_add_co_i32 s2, s19, 32
.LBB66_22:                              ; =>This Inner Loop Header: Depth=1
	s_wait_alu 0xfffe
	v_mov_b32_e32 v6, s2
	global_load_u16 v7, v[2:3], off
	s_wait_loadcnt 0x0
	;;#ASMSTART
	v_cvt_f32_f16 v7, v7;
	;;#ASMEND
	v_add_co_u32 v2, vcc_lo, 0x80, v2
	ds_load_b32 v6, v6
	s_wait_alu 0xfffd
	v_add_co_ci_u32_e64 v3, null, 0, v3, vcc_lo
	s_add_co_i32 s1, s1, -1
	s_add_co_i32 s2, s2, 4
	s_wait_alu 0xfffe
	s_cmp_eq_u32 s1, 0
	s_wait_dscnt 0x0
	v_mul_f32_e32 v6, v7, v6
	s_delay_alu instid0(VALU_DEP_1)
	v_fmac_f32_e32 v4, v5, v6
	s_cbranch_scc0 .LBB66_22
.LBB66_23:
	s_lshl_b32 s2, s16, 6
	s_lshl_b32 s10, ttmp9, 6
	s_wait_alu 0xfffe
	s_ashr_i32 s3, s2, 31
	s_ashr_i32 s11, s10, 31
	s_wait_alu 0xfffe
	s_lshl_b64 s[2:3], s[2:3], 1
	s_wait_dscnt 0x0
	v_lshlrev_b64_e32 v[1:2], 1, v[0:1]
	s_lshl_b64 s[10:11], s[10:11], 1
	s_wait_alu 0xfffe
	s_add_nc_u64 s[2:3], s[6:7], s[2:3]
	;;#ASMSTART
	v_cvt_f16_f32 v3, v4;

	;;#ASMEND
	s_wait_alu 0xfffe
	s_add_nc_u64 s[2:3], s[2:3], s[10:11]
	s_wait_alu 0xfffe
	v_add_co_u32 v1, vcc_lo, s2, v1
	s_wait_alu 0xfffd
	v_add_co_ci_u32_e64 v2, null, s3, v2, vcc_lo
	global_store_b16 v[1:2], v3, off
.LBB66_24:
	s_wait_alu 0xfffe
	s_or_b32 exec_lo, exec_lo, s0
	s_mov_b32 s2, 0
.LBB66_25:
	s_wait_alu 0xfffe
	s_and_b32 vcc_lo, exec_lo, s2
	s_wait_alu 0xfffe
	s_cbranch_vccz .LBB66_34
; %bb.26:
	s_mov_b32 s0, exec_lo
	v_cmpx_gt_u32_e32 64, v0
	s_cbranch_execz .LBB66_34
; %bb.27:
	s_load_b32 s0, s[8:9], 0xc
	s_mul_i32 s15, s15, ttmp7
	s_mul_i32 s1, s14, ttmp9
	s_mul_i32 s14, s14, s15
	s_lshl_b32 s2, ttmp9, 6
	s_lshl_b32 s10, s15, 6
	s_wait_alu 0xfffe
	s_lshl_b32 s8, s1, 6
	s_lshl_b32 s12, s14, 6
	v_cmp_gt_u32_e32 vcc_lo, 61, v0
	s_ashr_i32 s3, s2, 31
	s_ashr_i32 s11, s10, 31
	;; [unrolled: 1-line block ×3, first 2 shown]
	s_wait_alu 0xfffe
	s_ashr_i32 s13, s12, 31
	s_wait_kmcnt 0x0
	s_and_b32 s1, s0, 0xffff
	s_wait_alu 0xfffe
	s_cmp_eq_u32 s1, 1
	s_cselect_b32 s0, -1, 0
	s_wait_alu 0xfffe
	s_and_b32 s15, vcc_lo, s0
	s_mov_b32 s0, -1
	s_and_saveexec_b32 s14, s15
	s_cbranch_execz .LBB66_31
; %bb.28:
	s_lshl_b64 s[16:17], s[12:13], 1
	s_lshl_b64 s[18:19], s[8:9], 1
	v_lshlrev_b32_e32 v1, 1, v0
	s_wait_alu 0xfffe
	s_add_nc_u64 s[16:17], s[16:17], s[18:19]
	s_lshl_b64 s[18:19], s[10:11], 1
	s_lshl_b64 s[20:21], s[2:3], 1
	s_wait_alu 0xfffe
	s_add_nc_u64 s[16:17], s[4:5], s[16:17]
	s_add_nc_u64 s[18:19], s[18:19], s[20:21]
	s_wait_dscnt 0x0
	s_wait_alu 0xfffe
	v_add_co_u32 v2, s0, s16, v1
	v_sub_nc_u32_e32 v5, 64, v0
	s_wait_alu 0xf1ff
	v_add_co_ci_u32_e64 v3, null, s17, 0, s0
	s_add_nc_u64 s[16:17], s[6:7], s[18:19]
	s_mov_b32 s15, 0
	s_wait_alu 0xfffe
	v_add_co_u32 v4, s0, s16, v1
	v_and_b32_e32 v6, 0x7c, v5
	s_wait_alu 0xf1ff
	v_add_co_ci_u32_e64 v7, null, s17, 0, s0
	v_add_co_u32 v1, vcc_lo, v2, 4
	s_wait_alu 0xfffd
	v_add_co_ci_u32_e64 v2, null, 0, v3, vcc_lo
	v_add_co_u32 v3, vcc_lo, v4, 4
	s_wait_alu 0xfffd
	v_add_co_ci_u32_e64 v4, null, 0, v7, vcc_lo
	v_mov_b32_e32 v7, v6
.LBB66_29:                              ; =>This Inner Loop Header: Depth=1
	global_load_b64 v[8:9], v[1:2], off offset:-4
	v_add_nc_u32_e32 v7, -4, v7
	v_add_co_u32 v1, vcc_lo, v1, 8
	s_wait_alu 0xfffd
	v_add_co_ci_u32_e64 v2, null, 0, v2, vcc_lo
	s_delay_alu instid0(VALU_DEP_3)
	v_cmp_eq_u32_e32 vcc_lo, 0, v7
	s_or_b32 s15, vcc_lo, s15
	s_wait_loadcnt 0x0
	global_store_b64 v[3:4], v[8:9], off offset:-4
	v_add_co_u32 v3, s0, v3, 8
	s_wait_alu 0xf1ff
	v_add_co_ci_u32_e64 v4, null, 0, v4, s0
	s_and_not1_b32 exec_lo, exec_lo, s15
	s_cbranch_execnz .LBB66_29
; %bb.30:
	s_or_b32 exec_lo, exec_lo, s15
	v_cmp_ne_u32_e32 vcc_lo, v5, v6
	v_add_nc_u32_e32 v0, v0, v6
	s_or_not1_b32 s0, vcc_lo, exec_lo
.LBB66_31:
	s_or_b32 exec_lo, exec_lo, s14
	s_wait_alu 0xfffe
	s_and_b32 exec_lo, exec_lo, s0
	s_cbranch_execz .LBB66_34
; %bb.32:
	s_lshl_b64 s[10:11], s[10:11], 1
	s_lshl_b64 s[2:3], s[2:3], 1
	s_wait_alu 0xfffe
	s_add_nc_u64 s[6:7], s[6:7], s[10:11]
	s_lshl_b64 s[10:11], s[12:13], 1
	s_wait_dscnt 0x0
	v_dual_mov_b32 v2, 0 :: v_dual_lshlrev_b32 v1, 1, v0
	s_add_nc_u64 s[2:3], s[6:7], s[2:3]
	s_wait_alu 0xfffe
	s_add_nc_u64 s[4:5], s[4:5], s[10:11]
	s_lshl_b64 s[6:7], s[8:9], 1
	s_delay_alu instid0(SALU_CYCLE_1)
	s_add_nc_u64 s[4:5], s[4:5], s[6:7]
	s_mov_b32 s6, 0
	s_lshl_b32 s7, s1, 1
.LBB66_33:                              ; =>This Inner Loop Header: Depth=1
	v_add_co_u32 v3, vcc_lo, s4, v1
	s_wait_alu 0xfffd
	v_add_co_ci_u32_e64 v4, null, s5, v2, vcc_lo
	v_add_nc_u32_e32 v0, s1, v0
	global_load_u16 v5, v[3:4], off
	v_add_co_u32 v3, vcc_lo, s2, v1
	s_wait_alu 0xfffd
	v_add_co_ci_u32_e64 v4, null, s3, v2, vcc_lo
	v_cmp_lt_u32_e32 vcc_lo, 63, v0
	v_add_co_u32 v1, s0, v1, s7
	s_wait_alu 0xf1ff
	v_add_co_ci_u32_e64 v2, null, 0, v2, s0
	s_or_b32 s6, vcc_lo, s6
	s_wait_loadcnt 0x0
	global_store_b16 v[3:4], v5, off
	s_wait_alu 0xfffe
	s_and_not1_b32 exec_lo, exec_lo, s6
	s_cbranch_execnz .LBB66_33
.LBB66_34:
	s_endpgm
	.section	.rodata,"a",@progbits
	.p2align	6, 0x0
	.amdhsa_kernel _ZN4vllm32paged_attention_v2_reduce_kernelItLi64ELi128ELi512EEEvPT_PKfS4_PKS1_PKii
		.amdhsa_group_segment_fixed_size 32
		.amdhsa_private_segment_fixed_size 0
		.amdhsa_kernarg_size 304
		.amdhsa_user_sgpr_count 2
		.amdhsa_user_sgpr_dispatch_ptr 0
		.amdhsa_user_sgpr_queue_ptr 0
		.amdhsa_user_sgpr_kernarg_segment_ptr 1
		.amdhsa_user_sgpr_dispatch_id 0
		.amdhsa_user_sgpr_private_segment_size 0
		.amdhsa_wavefront_size32 1
		.amdhsa_uses_dynamic_stack 0
		.amdhsa_enable_private_segment 0
		.amdhsa_system_sgpr_workgroup_id_x 1
		.amdhsa_system_sgpr_workgroup_id_y 1
		.amdhsa_system_sgpr_workgroup_id_z 0
		.amdhsa_system_sgpr_workgroup_info 0
		.amdhsa_system_vgpr_workitem_id 0
		.amdhsa_next_free_vgpr 19
		.amdhsa_next_free_sgpr 26
		.amdhsa_reserve_vcc 1
		.amdhsa_float_round_mode_32 0
		.amdhsa_float_round_mode_16_64 0
		.amdhsa_float_denorm_mode_32 3
		.amdhsa_float_denorm_mode_16_64 3
		.amdhsa_fp16_overflow 0
		.amdhsa_workgroup_processor_mode 1
		.amdhsa_memory_ordered 1
		.amdhsa_forward_progress 1
		.amdhsa_inst_pref_size 20
		.amdhsa_round_robin_scheduling 0
		.amdhsa_exception_fp_ieee_invalid_op 0
		.amdhsa_exception_fp_denorm_src 0
		.amdhsa_exception_fp_ieee_div_zero 0
		.amdhsa_exception_fp_ieee_overflow 0
		.amdhsa_exception_fp_ieee_underflow 0
		.amdhsa_exception_fp_ieee_inexact 0
		.amdhsa_exception_int_div_zero 0
	.end_amdhsa_kernel
	.section	.text._ZN4vllm32paged_attention_v2_reduce_kernelItLi64ELi128ELi512EEEvPT_PKfS4_PKS1_PKii,"axG",@progbits,_ZN4vllm32paged_attention_v2_reduce_kernelItLi64ELi128ELi512EEEvPT_PKfS4_PKS1_PKii,comdat
.Lfunc_end66:
	.size	_ZN4vllm32paged_attention_v2_reduce_kernelItLi64ELi128ELi512EEEvPT_PKfS4_PKS1_PKii, .Lfunc_end66-_ZN4vllm32paged_attention_v2_reduce_kernelItLi64ELi128ELi512EEEvPT_PKfS4_PKS1_PKii
                                        ; -- End function
	.set _ZN4vllm32paged_attention_v2_reduce_kernelItLi64ELi128ELi512EEEvPT_PKfS4_PKS1_PKii.num_vgpr, 19
	.set _ZN4vllm32paged_attention_v2_reduce_kernelItLi64ELi128ELi512EEEvPT_PKfS4_PKS1_PKii.num_agpr, 0
	.set _ZN4vllm32paged_attention_v2_reduce_kernelItLi64ELi128ELi512EEEvPT_PKfS4_PKS1_PKii.numbered_sgpr, 26
	.set _ZN4vllm32paged_attention_v2_reduce_kernelItLi64ELi128ELi512EEEvPT_PKfS4_PKS1_PKii.num_named_barrier, 0
	.set _ZN4vllm32paged_attention_v2_reduce_kernelItLi64ELi128ELi512EEEvPT_PKfS4_PKS1_PKii.private_seg_size, 0
	.set _ZN4vllm32paged_attention_v2_reduce_kernelItLi64ELi128ELi512EEEvPT_PKfS4_PKS1_PKii.uses_vcc, 1
	.set _ZN4vllm32paged_attention_v2_reduce_kernelItLi64ELi128ELi512EEEvPT_PKfS4_PKS1_PKii.uses_flat_scratch, 0
	.set _ZN4vllm32paged_attention_v2_reduce_kernelItLi64ELi128ELi512EEEvPT_PKfS4_PKS1_PKii.has_dyn_sized_stack, 0
	.set _ZN4vllm32paged_attention_v2_reduce_kernelItLi64ELi128ELi512EEEvPT_PKfS4_PKS1_PKii.has_recursion, 0
	.set _ZN4vllm32paged_attention_v2_reduce_kernelItLi64ELi128ELi512EEEvPT_PKfS4_PKS1_PKii.has_indirect_call, 0
	.section	.AMDGPU.csdata,"",@progbits
; Kernel info:
; codeLenInByte = 2440
; TotalNumSgprs: 28
; NumVgprs: 19
; ScratchSize: 0
; MemoryBound: 0
; FloatMode: 240
; IeeeMode: 1
; LDSByteSize: 32 bytes/workgroup (compile time only)
; SGPRBlocks: 0
; VGPRBlocks: 2
; NumSGPRsForWavesPerEU: 28
; NumVGPRsForWavesPerEU: 19
; Occupancy: 16
; WaveLimiterHint : 0
; COMPUTE_PGM_RSRC2:SCRATCH_EN: 0
; COMPUTE_PGM_RSRC2:USER_SGPR: 2
; COMPUTE_PGM_RSRC2:TRAP_HANDLER: 0
; COMPUTE_PGM_RSRC2:TGID_X_EN: 1
; COMPUTE_PGM_RSRC2:TGID_Y_EN: 1
; COMPUTE_PGM_RSRC2:TGID_Z_EN: 0
; COMPUTE_PGM_RSRC2:TIDIG_COMP_CNT: 0
	.section	.text._ZN4vllm25paged_attention_v2_kernelIttLi80ELi8ELi128ELNS_18Fp8KVCacheDataTypeE0ELb1ELi512EEEvPfS2_PT_PKS3_PKT0_S9_ifPKiSB_iPKfiiiSD_SD_iiiii,"axG",@progbits,_ZN4vllm25paged_attention_v2_kernelIttLi80ELi8ELi128ELNS_18Fp8KVCacheDataTypeE0ELb1ELi512EEEvPfS2_PT_PKS3_PKT0_S9_ifPKiSB_iPKfiiiSD_SD_iiiii,comdat
	.protected	_ZN4vllm25paged_attention_v2_kernelIttLi80ELi8ELi128ELNS_18Fp8KVCacheDataTypeE0ELb1ELi512EEEvPfS2_PT_PKS3_PKT0_S9_ifPKiSB_iPKfiiiSD_SD_iiiii ; -- Begin function _ZN4vllm25paged_attention_v2_kernelIttLi80ELi8ELi128ELNS_18Fp8KVCacheDataTypeE0ELb1ELi512EEEvPfS2_PT_PKS3_PKT0_S9_ifPKiSB_iPKfiiiSD_SD_iiiii
	.globl	_ZN4vllm25paged_attention_v2_kernelIttLi80ELi8ELi128ELNS_18Fp8KVCacheDataTypeE0ELb1ELi512EEEvPfS2_PT_PKS3_PKT0_S9_ifPKiSB_iPKfiiiSD_SD_iiiii
	.p2align	8
	.type	_ZN4vllm25paged_attention_v2_kernelIttLi80ELi8ELi128ELNS_18Fp8KVCacheDataTypeE0ELb1ELi512EEEvPfS2_PT_PKS3_PKT0_S9_ifPKiSB_iPKfiiiSD_SD_iiiii,@function
_ZN4vllm25paged_attention_v2_kernelIttLi80ELi8ELi128ELNS_18Fp8KVCacheDataTypeE0ELb1ELi512EEEvPfS2_PT_PKS3_PKT0_S9_ifPKiSB_iPKfiiiSD_SD_iiiii: ; @_ZN4vllm25paged_attention_v2_kernelIttLi80ELi8ELi128ELNS_18Fp8KVCacheDataTypeE0ELb1ELi512EEEvPfS2_PT_PKS3_PKT0_S9_ifPKiSB_iPKfiiiSD_SD_iiiii
; %bb.0:
	s_load_b64 s[2:3], s[0:1], 0x40
	s_and_b32 s26, ttmp7, 0xffff
	s_lshr_b32 s30, ttmp7, 16
	s_lshl_b32 s4, s26, 2
	s_lshl_b32 s33, s30, 9
	s_wait_kmcnt 0x0
	s_load_b32 s31, s[2:3], s4 offset:0x0
	s_wait_kmcnt 0x0
	s_cmp_ge_i32 s33, s31
	s_cbranch_scc1 .LBB67_69
; %bb.1:
	s_clause 0x1
	s_load_b32 s27, s[0:1], 0x90
	s_load_b64 s[6:7], s[0:1], 0x30
	s_wait_kmcnt 0x0
	s_abs_i32 s5, s27
	s_abs_i32 s2, s6
	s_delay_alu instid0(SALU_CYCLE_1) | instskip(SKIP_1) | instid1(SALU_CYCLE_2)
	s_cvt_f32_u32 s3, s2
	s_sub_co_i32 s4, 0, s2
	v_rcp_iflag_f32_e32 v1, s3
	s_delay_alu instid0(TRANS32_DEP_1) | instskip(SKIP_2) | instid1(SALU_CYCLE_2)
	v_readfirstlane_b32 s3, v1
	s_mul_f32 s3, s3, 0x4f7ffffe
	s_wait_alu 0xfffe
	s_cvt_u32_f32 s3, s3
	s_wait_alu 0xfffe
	s_delay_alu instid0(SALU_CYCLE_2) | instskip(NEXT) | instid1(SALU_CYCLE_1)
	s_mul_i32 s4, s4, s3
	s_mul_hi_u32 s4, s3, s4
	s_delay_alu instid0(SALU_CYCLE_1)
	s_add_co_i32 s3, s3, s4
	s_xor_b32 s4, s27, s6
	s_wait_alu 0xfffe
	s_mul_hi_u32 s3, s5, s3
	s_ashr_i32 s4, s4, 31
	s_wait_alu 0xfffe
	s_mul_i32 s8, s3, s2
	s_delay_alu instid0(SALU_CYCLE_1)
	s_sub_co_i32 s5, s5, s8
	s_add_co_i32 s8, s3, 1
	s_sub_co_i32 s9, s5, s2
	s_cmp_ge_u32 s5, s2
	s_cselect_b32 s3, s8, s3
	s_cselect_b32 s5, s9, s5
	s_wait_alu 0xfffe
	s_add_co_i32 s8, s3, 1
	s_cmp_ge_u32 s5, s2
	s_cselect_b32 s2, s8, s3
	s_load_b64 s[8:9], s[0:1], 0x50
	s_xor_b32 s2, s2, s4
	s_mov_b32 s3, 0
	s_wait_alu 0xfffe
	s_sub_co_i32 s10, s2, s4
	s_mov_b32 s15, s3
	s_abs_i32 s18, s10
	s_delay_alu instid0(SALU_CYCLE_1) | instskip(SKIP_1) | instid1(SALU_CYCLE_2)
	s_cvt_f32_u32 s2, s18
	s_wait_alu 0xfffe
	v_rcp_iflag_f32_e32 v1, s2
	s_delay_alu instid0(TRANS32_DEP_1) | instskip(SKIP_2) | instid1(SALU_CYCLE_2)
	v_readfirstlane_b32 s2, v1
	s_mul_f32 s2, s2, 0x4f7ffffe
	s_wait_alu 0xfffe
	s_cvt_u32_f32 s4, s2
	s_sub_co_i32 s2, 0, s18
	s_wait_alu 0xfffe
	s_delay_alu instid0(SALU_CYCLE_1)
	s_mul_i32 s2, s2, s4
	s_wait_alu 0xfffe
	s_mul_hi_u32 s5, s4, s2
	s_abs_i32 s2, ttmp9
	s_add_co_i32 s4, s4, s5
	s_mov_b32 s5, s3
	s_wait_kmcnt 0x0
	s_cmp_eq_u64 s[8:9], 0
	s_cbranch_scc1 .LBB67_3
; %bb.2:
	s_mov_b32 s12, ttmp9
	s_ashr_i32 s13, ttmp9, 31
	s_delay_alu instid0(SALU_CYCLE_1) | instskip(NEXT) | instid1(SALU_CYCLE_1)
	s_lshl_b64 s[12:13], s[12:13], 2
	s_add_nc_u64 s[8:9], s[8:9], s[12:13]
	s_load_b32 s15, s[8:9], 0x0
.LBB67_3:
	s_load_b96 s[12:14], s[0:1], 0x58
	v_and_b32_e32 v1, 3, v0
	v_lshlrev_b32_e32 v2, 2, v0
	s_mul_u64 s[4:5], s[2:3], s[4:5]
	s_ashr_i32 s3, ttmp9, 31
	s_ashr_i32 s4, s10, 31
	s_mul_i32 s16, ttmp9, 0x50
	s_mov_b32 s8, exec_lo
	v_cmpx_gt_u32_e32 40, v0
	s_cbranch_execz .LBB67_5
; %bb.4:
	s_load_b64 s[10:11], s[0:1], 0x18
	s_wait_kmcnt 0x0
	s_mul_i32 s20, s12, s26
	s_ashr_i32 s17, s16, 31
	s_ashr_i32 s21, s20, 31
	v_and_b32_e32 v4, 0x3fc, v0
	s_lshl_b64 s[20:21], s[20:21], 1
	s_delay_alu instid0(VALU_DEP_1) | instskip(SKIP_2) | instid1(SALU_CYCLE_1)
	v_mad_u32_u24 v4, v1, 40, v4
	s_add_nc_u64 s[10:11], s[10:11], s[20:21]
	s_lshl_b64 s[20:21], s[16:17], 1
	s_add_nc_u64 s[10:11], s[10:11], s[20:21]
	global_load_b32 v3, v2, s[10:11]
	s_wait_loadcnt 0x0
	ds_store_b32 v4, v3
.LBB67_5:
	s_or_b32 exec_lo, exec_lo, s8
	s_clause 0x1
	s_load_b128 s[8:11], s[0:1], 0x78
	s_load_b32 s20, s[0:1], 0x88
	s_wait_kmcnt 0x0
	s_mul_i32 s12, s5, s18
	s_xor_b32 s3, s3, s4
	s_sub_co_i32 s2, s2, s12
	s_add_co_i32 s4, s5, 1
	s_wait_alu 0xfffe
	s_sub_co_i32 s12, s2, s18
	s_cmp_ge_u32 s2, s18
	s_mov_b32 s22, -1
	s_cselect_b32 s4, s4, s5
	s_cselect_b32 s2, s12, s2
	s_add_co_i32 s5, s4, 1
	s_wait_alu 0xfffe
	s_cmp_ge_u32 s2, s18
	s_wait_dscnt 0x0
	s_cselect_b32 s2, s5, s4
	s_add_co_i32 s21, s31, -1
	s_wait_alu 0xfffe
	s_xor_b32 s2, s2, s3
	s_barrier_signal -1
	s_wait_alu 0xfffe
	s_sub_co_i32 s24, s2, s3
	s_barrier_wait -1
	s_abs_i32 s12, s11
	global_inv scope:SCOPE_SE
	s_cvt_f32_u32 s4, s12
                                        ; implicit-def: $sgpr17
	s_delay_alu instid0(SALU_CYCLE_3) | instskip(NEXT) | instid1(TRANS32_DEP_1)
	v_rcp_iflag_f32_e32 v3, s4
	v_readfirstlane_b32 s4, v3
	s_mul_f32 s2, s4, 0x4f7ffffe
	s_wait_alu 0xfffe
	s_delay_alu instid0(SALU_CYCLE_2) | instskip(SKIP_2) | instid1(SALU_CYCLE_1)
	s_cvt_u32_f32 s4, s2
	s_sub_co_i32 s2, 0, s12
	s_wait_alu 0xfffe
	s_mul_i32 s3, s2, s4
	s_abs_i32 s2, s21
	s_wait_alu 0xfffe
	s_mul_hi_u32 s5, s4, s3
	s_mov_b32 s3, 0
	s_wait_alu 0xfffe
	s_add_co_i32 s18, s4, s5
	s_cmp_lt_i32 s20, 0
	s_mov_b32 s19, s3
	s_cbranch_scc0 .LBB67_7
; %bb.6:
	s_mul_i32 s4, s8, s6
	s_mov_b32 s22, s3
	s_wait_alu 0xfffe
	s_add_co_i32 s4, s24, s4
	s_wait_alu 0xfffe
	s_mul_i32 s4, s4, s20
	s_wait_alu 0xfffe
	s_sub_co_i32 s17, 1, s4
.LBB67_7:
	s_mul_u64 s[4:5], s[2:3], s[18:19]
	s_ashr_i32 s3, s21, 31
	s_and_not1_b32 vcc_lo, exec_lo, s22
	s_ashr_i32 s11, s11, 31
	s_cbranch_vccnz .LBB67_9
; %bb.8:
	s_mul_i32 s4, s27, s8
	s_wait_alu 0xfffe
	s_add_co_i32 s4, s4, ttmp9
	s_wait_alu 0xfffe
	s_mul_i32 s4, s4, s20
	s_wait_alu 0xfffe
	s_add_co_i32 s17, s4, 1
.LBB67_9:
	s_clause 0x2
	s_load_b32 s4, s[0:1], 0x48
	s_load_b64 s[20:21], s[0:1], 0x38
	s_load_b32 s8, s[0:1], 0x98
	s_mul_i32 s6, s5, s12
	s_xor_b32 s3, s3, s11
	s_sub_co_i32 s2, s2, s6
	s_add_co_i32 s19, s5, 1
	v_lshrrev_b32_e32 v9, 5, v0
	v_mbcnt_lo_u32_b32 v4, -1, 0
	s_mul_i32 s24, s24, s14
	s_delay_alu instid0(VALU_DEP_2)
	v_lshl_add_u32 v10, v9, 3, s33
	s_wait_kmcnt 0x0
	s_mul_i32 s22, s4, s26
	s_wait_alu 0xfffe
	s_sub_co_i32 s4, s2, s12
	s_ashr_i32 s23, s22, 31
	s_cmp_ge_u32 s2, s12
	s_cselect_b32 s5, s19, s5
	s_wait_alu 0xfffe
	s_cselect_b32 s2, s4, s2
	s_add_co_i32 s4, s5, 1
	s_wait_alu 0xfffe
	s_cmp_ge_u32 s2, s12
	s_cselect_b32 s2, s4, s5
	s_add_co_i32 s4, s31, 7
	s_lshl_b32 s36, s30, 6
	s_wait_alu 0xfffe
	s_ashr_i32 s5, s4, 31
	v_or_b32_e32 v11, s36, v9
	s_wait_alu 0xfffe
	s_lshr_b32 s5, s5, 29
	v_mov_b32_e32 v6, 0xff7fffff
	s_wait_alu 0xfffe
	s_add_co_i32 s4, s4, s5
	s_add_co_i32 s5, s36, 64
	s_wait_alu 0xfffe
	s_ashr_i32 s34, s4, 3
	s_xor_b32 s4, s2, s3
	s_min_i32 s19, s5, s34
	v_lshlrev_b32_e32 v3, 2, v11
	v_cmp_gt_i32_e64 s2, s19, v11
	s_wait_alu 0xfffe
	s_sub_co_i32 s35, s4, s3
	s_and_saveexec_b32 s6, s2
	s_cbranch_execz .LBB67_21
; %bb.10:
	s_ashr_i32 s25, s24, 31
	s_sub_co_i32 s14, s35, s9
	s_lshl_b64 s[4:5], s[24:25], 1
	s_cmp_neq_f32 s15, 0
	s_load_b64 s[38:39], s[0:1], 0x20
	v_bfe_u32 v5, v0, 2, 3
	v_mul_u32_u24_e32 v7, 40, v1
	s_cselect_b32 vcc_lo, -1, 0
	s_abs_i32 s25, s10
	v_dual_mov_b32 v19, v11 :: v_dual_and_b32 v2, 12, v2
	s_cvt_f32_u32 s3, s25
	v_lshlrev_b32_e32 v8, 2, v5
	v_mov_b32_e32 v16, 0xff7fffff
	s_lshl_b64 s[40:41], s[22:23], 2
	s_wait_alu 0xfffe
	v_rcp_iflag_f32_e32 v6, s3
	v_cmp_eq_u32_e64 s3, 0, v1
	v_lshlrev_b32_e32 v1, 4, v5
	v_subrev_nc_u32_e32 v14, s31, v5
	s_add_nc_u64 s[40:41], s[20:21], s[40:41]
	s_sub_co_i32 s37, 0, s25
	v_lshl_add_u32 v13, v9, 3, s33
	v_xor_b32_e32 v17, 2, v4
	v_add_nc_u32_e32 v14, 1, v14
	s_wait_kmcnt 0x0
	s_add_nc_u64 s[4:5], s[38:39], s[4:5]
	v_readfirstlane_b32 s29, v6
	s_wait_alu 0xfffe
	v_add_co_u32 v1, s4, s4, v1
	s_wait_alu 0xf1ff
	v_add_co_ci_u32_e64 v12, null, s5, 0, s4
	s_mul_f32 s29, s29, 0x4f7ffffe
	v_lshl_or_b32 v6, v9, 5, v8
	v_add_co_u32 v8, s4, v1, v2
	s_delay_alu instid0(SALU_CYCLE_1)
	s_cvt_u32_f32 s5, s29
	s_wait_alu 0xf1ff
	v_add_co_ci_u32_e64 v12, null, 0, v12, s4
	v_add_co_u32 v1, s4, s40, v3
	s_wait_alu 0xfffe
	s_mul_i32 s37, s37, s5
	v_add_co_ci_u32_e64 v2, null, s41, 0, s4
	v_add_nc_u32_e32 v15, 0xc0, v6
	v_xor_b32_e32 v18, 1, v4
	v_mov_b32_e32 v6, 0xff7fffff
	s_wait_alu 0xfffe
	s_mul_hi_u32 s4, s5, s37
	s_mov_b32 s28, 0
	s_mov_b32 s29, s13
	s_wait_alu 0xfffe
	s_add_co_i32 s37, s5, s4
	s_branch .LBB67_13
.LBB67_11:                              ;   in Loop: Header=BB67_13 Depth=1
	s_or_b32 exec_lo, exec_lo, s38
.LBB67_12:                              ;   in Loop: Header=BB67_13 Depth=1
	s_wait_alu 0xfffe
	s_or_b32 exec_lo, exec_lo, s5
	v_add_nc_u32_e32 v19, 4, v19
	v_add_co_u32 v1, s5, v1, 16
	s_wait_alu 0xf1ff
	v_add_co_ci_u32_e64 v2, null, 0, v2, s5
	s_delay_alu instid0(VALU_DEP_3)
	v_cmp_le_i32_e64 s4, s19, v19
	v_add_nc_u32_e32 v13, 32, v13
	v_add_nc_u32_e32 v15, 0x80, v15
	s_or_b32 s28, s4, s28
	s_wait_alu 0xfffe
	s_and_not1_b32 exec_lo, exec_lo, s28
	s_cbranch_execz .LBB67_20
.LBB67_13:                              ; =>This Inner Loop Header: Depth=1
	v_sub_nc_u32_e32 v20, 0, v13
	s_delay_alu instid0(VALU_DEP_1) | instskip(SKIP_1) | instid1(VALU_DEP_1)
	v_max_i32_e32 v20, v13, v20
	s_wait_dscnt 0x0
	v_mul_hi_u32 v21, v20, s18
	s_delay_alu instid0(VALU_DEP_1) | instskip(NEXT) | instid1(VALU_DEP_1)
	v_mul_lo_u32 v22, v21, s12
	v_sub_nc_u32_e32 v20, v20, v22
	v_add_nc_u32_e32 v22, 1, v21
	s_delay_alu instid0(VALU_DEP_2) | instskip(SKIP_2) | instid1(VALU_DEP_1)
	v_subrev_nc_u32_e32 v23, s12, v20
	v_cmp_le_u32_e64 s4, s12, v20
	s_wait_alu 0xf1ff
	v_cndmask_b32_e64 v21, v21, v22, s4
	s_delay_alu instid0(VALU_DEP_3) | instskip(SKIP_1) | instid1(VALU_DEP_3)
	v_cndmask_b32_e64 v20, v20, v23, s4
	v_ashrrev_i32_e32 v22, 31, v13
	v_add_nc_u32_e32 v23, 1, v21
	s_delay_alu instid0(VALU_DEP_3) | instskip(NEXT) | instid1(VALU_DEP_3)
	v_cmp_le_u32_e64 s4, s12, v20
	v_xor_b32_e32 v22, s11, v22
	s_wait_alu 0xf1ff
	s_delay_alu instid0(VALU_DEP_2) | instskip(NEXT) | instid1(VALU_DEP_1)
	v_cndmask_b32_e64 v20, v21, v23, s4
	v_xor_b32_e32 v20, v20, v22
	s_delay_alu instid0(VALU_DEP_1) | instskip(NEXT) | instid1(VALU_DEP_1)
	v_sub_nc_u32_e32 v20, v20, v22
	v_add_nc_u32_e32 v21, s17, v20
	v_cmp_ge_i32_e64 s5, s14, v20
	s_delay_alu instid0(VALU_DEP_2) | instskip(NEXT) | instid1(VALU_DEP_1)
	v_sub_nc_u32_e32 v22, 0, v21
	v_max_i32_e32 v22, v21, v22
	v_ashrrev_i32_e32 v21, 31, v21
	s_wait_alu 0xfffe
	s_delay_alu instid0(VALU_DEP_2) | instskip(NEXT) | instid1(VALU_DEP_1)
	v_mul_hi_u32 v23, v22, s37
	v_mul_lo_u32 v23, v23, s25
	s_delay_alu instid0(VALU_DEP_1) | instskip(NEXT) | instid1(VALU_DEP_1)
	v_sub_nc_u32_e32 v22, v22, v23
	v_subrev_nc_u32_e32 v23, s25, v22
	v_cmp_le_u32_e64 s4, s25, v22
	s_wait_alu 0xf1ff
	s_delay_alu instid0(VALU_DEP_1) | instskip(NEXT) | instid1(VALU_DEP_1)
	v_cndmask_b32_e64 v22, v22, v23, s4
	v_subrev_nc_u32_e32 v23, s25, v22
	v_cmp_le_u32_e64 s4, s25, v22
	s_wait_alu 0xf1ff
	s_delay_alu instid0(VALU_DEP_1) | instskip(NEXT) | instid1(VALU_DEP_1)
	v_cndmask_b32_e64 v22, v22, v23, s4
	v_xor_b32_e32 v22, v22, v21
	s_delay_alu instid0(VALU_DEP_1) | instskip(NEXT) | instid1(VALU_DEP_1)
	v_sub_nc_u32_e32 v21, v22, v21
	v_cmp_ne_u32_e64 s4, 0, v21
	s_and_b32 s4, s4, s5
	s_wait_alu 0xfffe
	s_and_saveexec_b32 s5, s4
	s_wait_alu 0xfffe
	s_xor_b32 s4, exec_lo, s5
	s_cbranch_execz .LBB67_17
; %bb.14:                               ;   in Loop: Header=BB67_13 Depth=1
	s_and_saveexec_b32 s5, s3
; %bb.15:                               ;   in Loop: Header=BB67_13 Depth=1
	ds_store_b32 v15, v16
; %bb.16:                               ;   in Loop: Header=BB67_13 Depth=1
	s_wait_alu 0xfffe
	s_or_b32 exec_lo, exec_lo, s5
.LBB67_17:                              ;   in Loop: Header=BB67_13 Depth=1
	s_wait_alu 0xfffe
	s_and_not1_saveexec_b32 s5, s4
	s_cbranch_execz .LBB67_12
; %bb.18:                               ;   in Loop: Header=BB67_13 Depth=1
	global_load_b32 v20, v[1:2], off
	s_wait_loadcnt 0x0
	v_mad_co_i64_i32 v[20:21], null, v20, s29, 0
	s_delay_alu instid0(VALU_DEP_1) | instskip(NEXT) | instid1(VALU_DEP_1)
	v_lshlrev_b64_e32 v[20:21], 1, v[20:21]
	v_add_co_u32 v20, s4, v8, v20
	s_wait_alu 0xf1ff
	s_delay_alu instid0(VALU_DEP_2)
	v_add_co_ci_u32_e64 v21, null, v12, v21, s4
	v_cmp_gt_i32_e64 s4, 32, v17
	s_clause 0x9
	global_load_b32 v22, v[20:21], off
	global_load_b32 v23, v[20:21], off offset:128
	global_load_b32 v24, v[20:21], off offset:256
	;; [unrolled: 1-line block ×9, first 2 shown]
	ds_load_b32 v21, v7
	s_wait_dscnt 0x0
	v_and_b32_e32 v31, 0xffff, v21
	v_lshrrev_b32_e32 v32, 16, v21
	;;#ASMSTART
	v_cvt_f32_f16 v21, v31;
	;;#ASMEND
	s_wait_loadcnt 0x9
	v_and_b32_e32 v33, 0xffff, v22
	v_lshrrev_b32_e32 v34, 16, v22
	;;#ASMSTART
	v_cvt_f32_f16 v22, v32;
	;;#ASMEND
	;;#ASMSTART
	v_cvt_f32_f16 v31, v33;
	;;#ASMEND
	;; [unrolled: 3-line block ×3, first 2 shown]
	ds_load_b32 v33, v7 offset:4
	s_wait_loadcnt 0x8
	v_and_b32_e32 v35, 0xffff, v23
	v_lshrrev_b32_e32 v36, 16, v23
	s_wait_loadcnt 0x7
	v_lshrrev_b32_e32 v39, 16, v24
	s_wait_loadcnt 0x6
	v_and_b32_e32 v41, 0xffff, v25
	v_lshrrev_b32_e32 v42, 16, v25
	s_wait_loadcnt 0x5
	v_lshrrev_b32_e32 v45, 16, v26
	;; [unrolled: 5-line block ×3, first 2 shown]
	s_wait_loadcnt 0x2
	v_and_b32_e32 v53, 0xffff, v29
	v_lshrrev_b32_e32 v54, 16, v29
	s_wait_dscnt 0x0
	v_and_b32_e32 v34, 0xffff, v33
	v_lshrrev_b32_e32 v33, 16, v33
	;;#ASMSTART
	v_cvt_f32_f16 v23, v34;
	;;#ASMEND
	;;#ASMSTART
	v_cvt_f32_f16 v33, v33;
	;;#ASMEND
	;;#ASMSTART
	v_cvt_f32_f16 v34, v35;
	;;#ASMEND
	;;#ASMSTART
	v_cvt_f32_f16 v35, v36;
	;;#ASMEND
	ds_load_b32 v36, v7 offset:8
	v_dual_mul_f32 v23, v23, v34 :: v_dual_and_b32 v38, 0xffff, v24
	v_dual_mul_f32 v33, v33, v35 :: v_dual_and_b32 v44, 0xffff, v26
	s_delay_alu instid0(VALU_DEP_2) | instskip(SKIP_2) | instid1(VALU_DEP_3)
	v_fmac_f32_e32 v23, v21, v31
	s_wait_loadcnt 0x1
	v_lshrrev_b32_e32 v31, 16, v30
	v_fmac_f32_e32 v33, v22, v32
	s_wait_dscnt 0x0
	v_and_b32_e32 v37, 0xffff, v36
	v_lshrrev_b32_e32 v36, 16, v36
	;;#ASMSTART
	v_cvt_f32_f16 v24, v37;
	;;#ASMEND
	;;#ASMSTART
	v_cvt_f32_f16 v36, v36;
	;;#ASMEND
	;; [unrolled: 3-line block ×4, first 2 shown]
	ds_load_b32 v39, v7 offset:12
	v_dual_fmac_f32 v23, v24, v37 :: v_dual_and_b32 v50, 0xffff, v28
	s_wait_dscnt 0x0
	v_dual_fmac_f32 v33, v36, v38 :: v_dual_and_b32 v40, 0xffff, v39
	v_lshrrev_b32_e32 v39, 16, v39
	;;#ASMSTART
	v_cvt_f32_f16 v25, v40;
	;;#ASMEND
	;;#ASMSTART
	v_cvt_f32_f16 v39, v39;
	;;#ASMEND
	;; [unrolled: 3-line block ×4, first 2 shown]
	ds_load_b32 v42, v7 offset:16
	v_dual_fmac_f32 v33, v39, v41 :: v_dual_and_b32 v24, 0xffff, v30
	v_fmac_f32_e32 v23, v25, v40
	s_wait_dscnt 0x0
	v_and_b32_e32 v43, 0xffff, v42
	v_lshrrev_b32_e32 v42, 16, v42
	;;#ASMSTART
	v_cvt_f32_f16 v26, v43;
	;;#ASMEND
	;;#ASMSTART
	v_cvt_f32_f16 v42, v42;
	;;#ASMEND
	;;#ASMSTART
	v_cvt_f32_f16 v43, v44;
	;;#ASMEND
	;;#ASMSTART
	v_cvt_f32_f16 v44, v45;
	;;#ASMEND
	ds_load_b32 v45, v7 offset:20
	s_wait_dscnt 0x0
	v_and_b32_e32 v46, 0xffff, v45
	v_lshrrev_b32_e32 v45, 16, v45
	;;#ASMSTART
	v_cvt_f32_f16 v27, v46;
	;;#ASMEND
	;;#ASMSTART
	v_cvt_f32_f16 v45, v45;
	;;#ASMEND
	;;#ASMSTART
	v_cvt_f32_f16 v46, v47;
	;;#ASMEND
	;;#ASMSTART
	v_cvt_f32_f16 v47, v48;
	;;#ASMEND
	ds_load_b32 v48, v7 offset:24
	;; [unrolled: 16-line block ×5, first 2 shown]
	v_fmac_f32_e32 v23, v26, v43
	s_wait_alu 0xf1ff
	v_cndmask_b32_e64 v26, v4, v17, s4
	v_fmac_f32_e32 v33, v42, v44
	v_cmp_gt_i32_e64 s4, 32, v18
	v_fmac_f32_e32 v23, v27, v46
	s_wait_loadcnt 0x0
	v_lshrrev_b32_e32 v27, 16, v20
	v_fmac_f32_e32 v33, v45, v47
	s_delay_alu instid0(VALU_DEP_3) | instskip(NEXT) | instid1(VALU_DEP_2)
	v_fmac_f32_e32 v23, v28, v49
	v_fmac_f32_e32 v33, v48, v50
	s_delay_alu instid0(VALU_DEP_2) | instskip(SKIP_1) | instid1(VALU_DEP_2)
	v_fmac_f32_e32 v23, v29, v52
	s_wait_dscnt 0x0
	v_dual_fmac_f32 v33, v51, v53 :: v_dual_and_b32 v28, 0xffff, v30
	s_delay_alu instid0(VALU_DEP_2) | instskip(SKIP_1) | instid1(VALU_DEP_3)
	v_fmac_f32_e32 v23, v21, v24
	v_lshrrev_b32_e32 v29, 16, v30
	v_dual_fmac_f32 v33, v22, v25 :: v_dual_and_b32 v30, 0xffff, v20
	;;#ASMSTART
	v_cvt_f32_f16 v20, v28;
	;;#ASMEND
	;;#ASMSTART
	v_cvt_f32_f16 v21, v29;
	;;#ASMEND
	;; [unrolled: 3-line block ×4, first 2 shown]
	v_fmac_f32_e32 v23, v20, v22
	v_dual_fmac_f32 v33, v21, v24 :: v_dual_lshlrev_b32 v20, 2, v26
	s_wait_alu 0xf1ff
	v_cndmask_b32_e64 v22, v4, v18, s4
	s_delay_alu instid0(VALU_DEP_2)
	v_add_f32_e32 v21, v23, v33
	ds_bpermute_b32 v20, v20, v21
	s_wait_dscnt 0x0
	v_dual_add_f32 v20, v21, v20 :: v_dual_lshlrev_b32 v21, 2, v22
	ds_bpermute_b32 v21, v21, v20
	s_and_saveexec_b32 s38, s3
	s_cbranch_execz .LBB67_11
; %bb.19:                               ;   in Loop: Header=BB67_13 Depth=1
	s_wait_dscnt 0x0
	v_add_f32_e32 v20, v20, v21
	v_add_nc_u32_e32 v22, v14, v13
	s_delay_alu instid0(VALU_DEP_1) | instskip(NEXT) | instid1(VALU_DEP_1)
	v_cvt_f32_i32_e32 v22, v22
	v_mul_f32_e32 v22, s15, v22
	s_delay_alu instid0(VALU_DEP_1) | instskip(NEXT) | instid1(VALU_DEP_1)
	v_cndmask_b32_e32 v21, 0, v22, vcc_lo
	v_dual_max_num_f32 v22, v6, v6 :: v_dual_fmac_f32 v21, s7, v20
	v_add_nc_u32_e32 v20, v5, v13
	s_delay_alu instid0(VALU_DEP_2) | instskip(NEXT) | instid1(VALU_DEP_2)
	v_max_num_f32_e32 v22, v22, v21
	v_cmp_gt_i32_e64 s4, s31, v20
	s_wait_alu 0xf1ff
	s_delay_alu instid0(VALU_DEP_1) | instskip(NEXT) | instid1(VALU_DEP_3)
	v_cndmask_b32_e64 v20, 0, v21, s4
	v_cndmask_b32_e64 v6, v6, v22, s4
	ds_store_b32 v15, v20
	s_branch .LBB67_11
.LBB67_20:
	s_or_b32 exec_lo, exec_lo, s28
.LBB67_21:
	s_delay_alu instid0(SALU_CYCLE_1)
	s_or_b32 exec_lo, exec_lo, s6
	v_xor_b32_e32 v1, 16, v4
	v_xor_b32_e32 v5, 8, v4
	;; [unrolled: 1-line block ×3, first 2 shown]
	s_clause 0x2
	s_load_b128 s[4:7], s[0:1], 0x0
	s_load_b64 s[14:15], s[0:1], 0x10
	s_load_b64 s[28:29], s[0:1], 0x28
	v_and_b32_e32 v12, 31, v0
	v_cmp_gt_i32_e32 vcc_lo, 32, v1
	s_wait_alu 0xfffd
	v_cndmask_b32_e32 v1, v4, v1, vcc_lo
	v_cmp_gt_i32_e32 vcc_lo, 32, v5
	s_wait_alu 0xfffd
	v_cndmask_b32_e32 v5, v4, v5, vcc_lo
	v_cmp_gt_i32_e32 vcc_lo, 32, v7
	v_lshlrev_b32_e32 v2, 2, v1
	s_delay_alu instid0(VALU_DEP_3)
	v_lshlrev_b32_e32 v5, 2, v5
	s_wait_alu 0xfffd
	v_cndmask_b32_e32 v7, v4, v7, vcc_lo
	ds_bpermute_b32 v1, v2, v6
	v_max_num_f32_e32 v6, v6, v6
	v_cmp_eq_u32_e32 vcc_lo, 0, v12
	s_wait_dscnt 0x0
	v_dual_max_num_f32 v1, v1, v1 :: v_dual_lshlrev_b32 v8, 2, v7
	s_delay_alu instid0(VALU_DEP_1) | instskip(SKIP_3) | instid1(VALU_DEP_1)
	v_max_num_f32_e32 v1, v6, v1
	ds_bpermute_b32 v6, v5, v1
	s_wait_dscnt 0x0
	v_max_num_f32_e32 v6, v6, v6
	v_dual_max_num_f32 v1, v1, v6 :: v_dual_lshlrev_b32 v6, 2, v9
	ds_bpermute_b32 v7, v8, v1
	s_and_saveexec_b32 s0, vcc_lo
	s_cbranch_execz .LBB67_23
; %bb.22:
	s_wait_dscnt 0x0
	v_max_num_f32_e32 v7, v7, v7
	v_max_num_f32_e32 v1, v1, v1
	s_delay_alu instid0(VALU_DEP_1)
	v_max_num_f32_e32 v1, v1, v7
	ds_store_b32 v6, v1 offset:160
.LBB67_23:
	s_or_b32 exec_lo, exec_lo, s0
	v_cmp_gt_u32_e64 s0, 4, v12
	v_mov_b32_e32 v1, 0xff7fffff
	s_wait_dscnt 0x0
	v_lshlrev_b32_e32 v7, 2, v12
	s_wait_loadcnt 0x0
	s_barrier_signal -1
	s_barrier_wait -1
	global_inv scope:SCOPE_SE
	s_and_saveexec_b32 s1, s0
; %bb.24:
	ds_load_b32 v1, v7 offset:160
; %bb.25:
	s_or_b32 exec_lo, exec_lo, s1
	v_xor_b32_e32 v13, 2, v4
	v_xor_b32_e32 v15, 1, v4
	s_delay_alu instid0(VALU_DEP_2) | instskip(NEXT) | instid1(VALU_DEP_1)
	v_cmp_gt_i32_e64 s1, 32, v13
	v_cndmask_b32_e64 v13, v4, v13, s1
	s_delay_alu instid0(VALU_DEP_3) | instskip(NEXT) | instid1(VALU_DEP_2)
	v_cmp_gt_i32_e64 s1, 32, v15
	v_lshlrev_b32_e32 v14, 2, v13
	s_wait_alu 0xf1ff
	s_delay_alu instid0(VALU_DEP_2)
	v_cndmask_b32_e64 v4, v4, v15, s1
	v_mov_b32_e32 v15, 0
	s_sub_co_i32 s1, s19, s36
	s_wait_alu 0xfffe
	s_lshl_b32 s1, s1, 3
	s_wait_dscnt 0x0
	ds_bpermute_b32 v13, v14, v1
	v_dual_max_num_f32 v1, v1, v1 :: v_dual_lshlrev_b32 v4, 2, v4
	s_wait_alu 0xfffe
	s_add_co_i32 s1, s1, s33
	s_wait_alu 0xfffe
	s_min_i32 s1, s1, s31
	s_wait_alu 0xfffe
	s_sub_co_i32 s25, s1, s33
	s_wait_alu 0xfffe
	v_cmp_gt_i32_e64 s1, s25, v0
	s_wait_dscnt 0x0
	v_max_num_f32_e32 v13, v13, v13
	s_delay_alu instid0(VALU_DEP_1) | instskip(SKIP_3) | instid1(VALU_DEP_1)
	v_max_num_f32_e32 v1, v1, v13
	ds_bpermute_b32 v13, v4, v1
	s_wait_dscnt 0x0
	v_max_num_f32_e32 v13, v13, v13
	v_max_num_f32_e32 v1, v1, v13
	v_lshl_add_u32 v13, v0, 2, 0xc0
	ds_bpermute_b32 v1, v15, v1
	s_and_saveexec_b32 s33, s1
	s_cbranch_execz .LBB67_29
; %bb.26:
	v_lshl_add_u32 v16, v0, 2, 0xc0
	v_mov_b32_e32 v15, 0
	v_mov_b32_e32 v17, v0
	s_mov_b32 s36, 0
.LBB67_27:                              ; =>This Inner Loop Header: Depth=1
	ds_load_b32 v18, v16
	v_add_nc_u32_e32 v17, 0x80, v17
	s_delay_alu instid0(VALU_DEP_1) | instskip(SKIP_4) | instid1(VALU_DEP_1)
	v_cmp_le_i32_e64 s3, s25, v17
	s_wait_alu 0xfffe
	s_or_b32 s36, s3, s36
	s_wait_dscnt 0x0
	v_sub_f32_e32 v18, v18, v1
	v_mul_f32_e32 v18, 0x3fb8aa3b, v18
	s_delay_alu instid0(VALU_DEP_1)
	v_exp_f32_e32 v18, v18
	ds_store_b32 v16, v18
	v_dual_add_f32 v15, v15, v18 :: v_dual_add_nc_u32 v16, 0x200, v16
	s_wait_alu 0xfffe
	s_and_not1_b32 exec_lo, exec_lo, s36
	s_cbranch_execnz .LBB67_27
; %bb.28:
	s_or_b32 exec_lo, exec_lo, s36
.LBB67_29:
	s_wait_alu 0xfffe
	s_or_b32 exec_lo, exec_lo, s33
	ds_bpermute_b32 v2, v2, v15
	s_wait_dscnt 0x0
	v_add_f32_e32 v2, v15, v2
	ds_bpermute_b32 v5, v5, v2
	s_wait_dscnt 0x0
	v_add_f32_e32 v2, v2, v5
	ds_bpermute_b32 v5, v8, v2
	s_wait_dscnt 0x0
	v_add_f32_e32 v2, v2, v5
	ds_bpermute_b32 v5, v14, v2
	s_wait_dscnt 0x0
	v_add_f32_e32 v2, v2, v5
	ds_bpermute_b32 v5, v4, v2
	s_wait_dscnt 0x0
	v_add_f32_e32 v2, v2, v5
	s_and_saveexec_b32 s3, vcc_lo
; %bb.30:
	ds_store_b32 v6, v2 offset:176
; %bb.31:
	s_wait_alu 0xfffe
	s_or_b32 exec_lo, exec_lo, s3
	s_wait_loadcnt_dscnt 0x0
	s_barrier_signal -1
	s_barrier_wait -1
	global_inv scope:SCOPE_SE
	s_and_saveexec_b32 s3, s0
; %bb.32:
	ds_load_b32 v2, v7 offset:176
; %bb.33:
	s_wait_alu 0xfffe
	s_or_b32 exec_lo, exec_lo, s3
	s_wait_dscnt 0x0
	ds_bpermute_b32 v5, v14, v2
	s_wait_dscnt 0x0
	v_add_f32_e32 v2, v2, v5
	ds_bpermute_b32 v4, v4, v2
	s_wait_dscnt 0x0
	v_add_f32_e32 v2, v2, v4
	v_mov_b32_e32 v4, 0
	ds_bpermute_b32 v2, v4, v2
	s_and_saveexec_b32 s0, s1
	s_cbranch_execz .LBB67_36
; %bb.34:
	s_wait_dscnt 0x0
	v_add_f32_e32 v5, 0x358637bd, v2
	s_mov_b32 s1, 0
	s_delay_alu instid0(VALU_DEP_1) | instskip(SKIP_1) | instid1(VALU_DEP_2)
	v_div_scale_f32 v4, null, v5, v5, 1.0
	v_div_scale_f32 v8, vcc_lo, 1.0, v5, 1.0
	v_rcp_f32_e32 v6, v4
	s_delay_alu instid0(TRANS32_DEP_1) | instskip(NEXT) | instid1(VALU_DEP_1)
	v_fma_f32 v7, -v4, v6, 1.0
	v_fmac_f32_e32 v6, v7, v6
	s_delay_alu instid0(VALU_DEP_1) | instskip(NEXT) | instid1(VALU_DEP_1)
	v_mul_f32_e32 v7, v8, v6
	v_fma_f32 v14, -v4, v7, v8
	s_delay_alu instid0(VALU_DEP_1) | instskip(NEXT) | instid1(VALU_DEP_1)
	v_fmac_f32_e32 v7, v14, v6
	v_fma_f32 v4, -v4, v7, v8
	s_wait_alu 0xfffd
	s_delay_alu instid0(VALU_DEP_1) | instskip(SKIP_1) | instid1(VALU_DEP_2)
	v_div_fmas_f32 v6, v4, v6, v7
	v_mov_b32_e32 v4, v13
	v_div_fixup_f32 v5, v6, v5, 1.0
	v_mov_b32_e32 v6, v0
.LBB67_35:                              ; =>This Inner Loop Header: Depth=1
	ds_load_b32 v7, v4
	s_wait_dscnt 0x0
	v_dual_mul_f32 v7, v5, v7 :: v_dual_add_nc_u32 v6, 0x80, v6
	s_delay_alu instid0(VALU_DEP_1)
	v_cmp_le_i32_e32 vcc_lo, s25, v6
	ds_store_b32 v4, v7
	v_add_nc_u32_e32 v4, 0x200, v4
	s_wait_alu 0xfffe
	s_or_b32 s1, vcc_lo, s1
	s_wait_alu 0xfffe
	s_and_not1_b32 exec_lo, exec_lo, s1
	s_cbranch_execnz .LBB67_35
.LBB67_36:
	s_wait_alu 0xfffe
	s_or_b32 exec_lo, exec_lo, s0
	s_mul_i32 s0, s8, s26
	s_wait_loadcnt_dscnt 0x0
	s_wait_alu 0xfffe
	s_mul_i32 s26, s0, s27
	s_mov_b32 s0, exec_lo
	s_barrier_signal -1
	s_barrier_wait -1
	global_inv scope:SCOPE_SE
	v_cmpx_eq_u32_e32 0, v0
	s_cbranch_execz .LBB67_38
; %bb.37:
	s_ashr_i32 s27, s26, 31
	s_wait_alu 0xfffe
	s_mul_i32 s36, s8, ttmp9
	s_lshl_b32 s1, s30, 2
	s_lshl_b64 s[38:39], s[26:27], 2
	s_wait_alu 0xfffe
	s_ashr_i32 s37, s36, 31
	v_mov_b32_e32 v4, s1
	s_wait_kmcnt 0x0
	s_add_nc_u64 s[6:7], s[6:7], s[38:39]
	s_wait_alu 0xfffe
	s_lshl_b64 s[36:37], s[36:37], 2
	s_add_nc_u64 s[4:5], s[4:5], s[38:39]
	s_wait_alu 0xfffe
	s_add_nc_u64 s[6:7], s[6:7], s[36:37]
	s_add_nc_u64 s[4:5], s[4:5], s[36:37]
	s_clause 0x1
	global_store_b32 v4, v1, s[6:7]
	global_store_b32 v4, v2, s[4:5]
.LBB67_38:
	s_wait_alu 0xfffe
	s_or_b32 exec_lo, exec_lo, s0
	v_dual_mov_b32 v16, 0 :: v_dual_mov_b32 v15, 0
	v_or_b32_e32 v17, 64, v12
	v_mov_b32_e32 v14, 0
	s_wait_kmcnt 0x0
	s_and_saveexec_b32 s4, s2
	s_cbranch_execz .LBB67_52
; %bb.39:
	s_abs_i32 s5, s10
	s_sub_co_i32 s6, s35, s9
	s_wait_alu 0xfffe
	s_cvt_f32_u32 s0, s5
	s_mov_b32 s7, s13
	v_dual_mov_b32 v15, 0 :: v_dual_lshlrev_b32 v2, 3, v12
	s_wait_alu 0xfffe
	v_rcp_iflag_f32_e32 v1, s0
	s_lshl_b64 s[0:1], s[22:23], 2
	v_mov_b32_e32 v14, 0
	s_wait_alu 0xfffe
	s_add_nc_u64 s[0:1], s[20:21], s[0:1]
	s_sub_co_i32 s10, 0, s5
	s_wait_alu 0xfffe
	v_add_co_u32 v5, s0, s0, v3
	s_ashr_i32 s25, s24, 31
	v_lshl_add_u32 v18, v9, 5, 0xc0
	v_add_co_ci_u32_e64 v6, null, s1, 0, s0
	v_readfirstlane_b32 s9, v1
	v_lshlrev_b32_e32 v1, 3, v17
	v_dual_mov_b32 v16, 0 :: v_dual_lshlrev_b32 v19, 1, v2
	s_wait_alu 0xfffe
	s_lshl_b64 s[2:3], s[24:25], 1
	s_mul_f32 s9, s9, 0x4f7ffffe
	v_lshlrev_b32_e32 v20, 1, v1
	s_add_co_i32 s34, s34, -1
	s_wait_alu 0xfffe
	s_add_nc_u64 s[2:3], s[28:29], s[2:3]
	s_cvt_u32_f32 s13, s9
	s_mov_b32 s9, 0
	v_cmp_gt_u32_e32 vcc_lo, 0x50, v17
	s_wait_alu 0xfffe
	s_mul_i32 s10, s10, s13
	s_wait_alu 0xfffe
	s_mul_hi_u32 s0, s13, s10
	s_wait_alu 0xfffe
	s_add_co_i32 s10, s13, s0
	s_branch .LBB67_43
.LBB67_40:                              ;   in Loop: Header=BB67_43 Depth=1
	s_wait_alu 0xfffe
	s_or_b32 exec_lo, exec_lo, s1
	v_lshlrev_b32_e32 v29, 16, v29
	v_lshlrev_b32_e32 v22, 16, v22
	v_lshlrev_b32_e32 v21, 16, v21
	s_delay_alu instid0(VALU_DEP_3) | instskip(NEXT) | instid1(VALU_DEP_3)
	v_and_or_b32 v1, 0xffff, v1, v29
	v_and_or_b32 v2, 0xffff, v2, v22
	s_delay_alu instid0(VALU_DEP_3)
	v_and_or_b32 v3, 0xffff, v3, v21
	;;#ASMSTART
	v_pk_mul_f16 v1, v26, v1;

	;;#ASMEND
	;;#ASMSTART
	v_pk_mul_f16 v2, v25, v2;

	;;#ASMEND
	;; [unrolled: 4-line block ×4, first 2 shown]
	;;#ASMSTART
	v_pk_add_f16 v1, v1, v2;

	;;#ASMEND
	;;#ASMSTART
	v_pk_add_f16 v1, v1, v3;

	;;#ASMEND
	;; [unrolled: 4-line block ×3, first 2 shown]
	v_and_b32_e32 v2, 0xffff, v1
	v_lshrrev_b32_e32 v3, 16, v1
	;;#ASMSTART
	v_cvt_f32_f16 v1, v2;
	;;#ASMEND
	;;#ASMSTART
	v_cvt_f32_f16 v2, v3;
	;;#ASMEND
	s_delay_alu instid0(VALU_DEP_2) | instskip(NEXT) | instid1(VALU_DEP_1)
	v_add_f32_e32 v1, v1, v2
	v_add_f32_e32 v14, v14, v1
.LBB67_41:                              ;   in Loop: Header=BB67_43 Depth=1
	s_or_b32 exec_lo, exec_lo, s20
	v_add_f32_e32 v1, v23, v24
	v_add_f32_e32 v2, v7, v8
	s_delay_alu instid0(VALU_DEP_1)
	v_dual_add_f32 v16, v16, v1 :: v_dual_add_f32 v15, v15, v2
.LBB67_42:                              ;   in Loop: Header=BB67_43 Depth=1
	s_wait_alu 0xfffe
	s_or_b32 exec_lo, exec_lo, s13
	v_add_nc_u32_e32 v11, 4, v11
	v_add_co_u32 v5, s1, v5, 16
	s_wait_alu 0xf1ff
	v_add_co_ci_u32_e64 v6, null, 0, v6, s1
	s_delay_alu instid0(VALU_DEP_3) | instskip(SKIP_3) | instid1(SALU_CYCLE_1)
	v_cmp_le_i32_e64 s0, s19, v11
	v_add_nc_u32_e32 v10, 32, v10
	v_add_nc_u32_e32 v18, 0x80, v18
	s_or_b32 s9, s0, s9
	s_and_not1_b32 exec_lo, exec_lo, s9
	s_cbranch_execz .LBB67_51
.LBB67_43:                              ; =>This Inner Loop Header: Depth=1
	v_sub_nc_u32_e32 v1, 0, v10
	s_delay_alu instid0(VALU_DEP_1) | instskip(NEXT) | instid1(VALU_DEP_1)
	v_max_i32_e32 v1, v10, v1
	v_mul_hi_u32 v2, v1, s18
	s_delay_alu instid0(VALU_DEP_1) | instskip(NEXT) | instid1(VALU_DEP_1)
	v_mul_lo_u32 v3, v2, s12
	v_sub_nc_u32_e32 v1, v1, v3
	v_add_nc_u32_e32 v3, 1, v2
	s_delay_alu instid0(VALU_DEP_2) | instskip(SKIP_2) | instid1(VALU_DEP_1)
	v_subrev_nc_u32_e32 v4, s12, v1
	v_cmp_le_u32_e64 s0, s12, v1
	s_wait_alu 0xf1ff
	v_cndmask_b32_e64 v2, v2, v3, s0
	s_delay_alu instid0(VALU_DEP_3) | instskip(SKIP_1) | instid1(VALU_DEP_3)
	v_cndmask_b32_e64 v1, v1, v4, s0
	v_ashrrev_i32_e32 v3, 31, v10
	v_add_nc_u32_e32 v4, 1, v2
	s_delay_alu instid0(VALU_DEP_3) | instskip(NEXT) | instid1(VALU_DEP_3)
	v_cmp_le_u32_e64 s0, s12, v1
	v_xor_b32_e32 v3, s11, v3
	s_wait_alu 0xf1ff
	s_delay_alu instid0(VALU_DEP_2) | instskip(NEXT) | instid1(VALU_DEP_1)
	v_cndmask_b32_e64 v1, v2, v4, s0
	v_xor_b32_e32 v1, v1, v3
	s_delay_alu instid0(VALU_DEP_1) | instskip(NEXT) | instid1(VALU_DEP_1)
	v_sub_nc_u32_e32 v1, v1, v3
	v_add_nc_u32_e32 v2, s17, v1
	v_cmp_lt_i32_e64 s1, s6, v1
	s_delay_alu instid0(VALU_DEP_2) | instskip(NEXT) | instid1(VALU_DEP_1)
	v_sub_nc_u32_e32 v3, 0, v2
	v_max_i32_e32 v3, v2, v3
	v_ashrrev_i32_e32 v2, 31, v2
	s_wait_alu 0xfffe
	s_delay_alu instid0(VALU_DEP_2) | instskip(NEXT) | instid1(VALU_DEP_1)
	v_mul_hi_u32 v4, v3, s10
	v_mul_lo_u32 v4, v4, s5
	s_delay_alu instid0(VALU_DEP_1) | instskip(NEXT) | instid1(VALU_DEP_1)
	v_sub_nc_u32_e32 v3, v3, v4
	v_subrev_nc_u32_e32 v4, s5, v3
	v_cmp_le_u32_e64 s0, s5, v3
	s_wait_alu 0xf1ff
	s_delay_alu instid0(VALU_DEP_1) | instskip(NEXT) | instid1(VALU_DEP_1)
	v_cndmask_b32_e64 v3, v3, v4, s0
	v_subrev_nc_u32_e32 v4, s5, v3
	v_cmp_le_u32_e64 s0, s5, v3
	s_wait_alu 0xf1ff
	s_delay_alu instid0(VALU_DEP_1) | instskip(NEXT) | instid1(VALU_DEP_1)
	v_cndmask_b32_e64 v3, v3, v4, s0
	v_xor_b32_e32 v3, v3, v2
	s_delay_alu instid0(VALU_DEP_1) | instskip(NEXT) | instid1(VALU_DEP_1)
	v_sub_nc_u32_e32 v2, v3, v2
	v_cmp_eq_u32_e64 s0, 0, v2
	s_or_b32 s0, s0, s1
	s_wait_alu 0xfffe
	s_and_saveexec_b32 s13, s0
	s_cbranch_execz .LBB67_42
; %bb.44:                               ;   in Loop: Header=BB67_43 Depth=1
	global_load_b32 v7, v[5:6], off
	ds_load_2addr_b64 v[1:4], v18 offset1:1
	ds_load_2addr_b64 v[30:33], v18 offset0:2 offset1:3
	s_wait_dscnt 0x1
	;;#ASMSTART
	v_cvt_f16_f32 v26, v1;

	;;#ASMEND
	;;#ASMSTART
	v_cvt_f16_f32 v23, v2;

	;;#ASMEND
	;; [unrolled: 4-line block ×4, first 2 shown]
	s_wait_dscnt 0x0
	;;#ASMSTART
	v_cvt_f16_f32 v30, v30;

	;;#ASMEND
	;;#ASMSTART
	v_cvt_f16_f32 v27, v31;

	;;#ASMEND
	;; [unrolled: 4-line block ×4, first 2 shown]
	s_wait_loadcnt 0x0
	v_mad_co_i64_i32 v[7:8], null, v7, s7, 0
	s_delay_alu instid0(VALU_DEP_1) | instskip(NEXT) | instid1(VALU_DEP_1)
	v_lshlrev_b64_e32 v[7:8], 1, v[7:8]
	v_add_co_u32 v21, s0, s2, v7
	s_wait_alu 0xf1ff
	s_delay_alu instid0(VALU_DEP_2) | instskip(NEXT) | instid1(VALU_DEP_2)
	v_add_co_ci_u32_e64 v22, null, s3, v8, s0
	v_add_co_u32 v7, s0, v21, v19
	s_wait_alu 0xf1ff
	s_delay_alu instid0(VALU_DEP_2)
	v_add_co_ci_u32_e64 v8, null, 0, v22, s0
	v_cmp_eq_u32_e64 s0, s34, v11
	global_load_b128 v[1:4], v[7:8], off
	s_wait_loadcnt 0x0
	v_lshrrev_b32_e32 v33, 16, v1
	v_lshrrev_b32_e32 v32, 16, v2
	;; [unrolled: 1-line block ×3, first 2 shown]
	s_and_saveexec_b32 s20, s0
	s_cbranch_execz .LBB67_46
; %bb.45:                               ;   in Loop: Header=BB67_43 Depth=1
	v_add_nc_u32_e32 v34, 1, v10
	v_cmp_gt_i32_e64 s1, s31, v10
	v_add_nc_u32_e32 v35, 2, v10
	v_add_nc_u32_e32 v36, 3, v10
	;; [unrolled: 1-line block ×4, first 2 shown]
	s_wait_alu 0xf1ff
	v_cndmask_b32_e64 v1, 0, v1, s1
	v_cmp_gt_i32_e64 s1, s31, v34
	v_add_nc_u32_e32 v34, 4, v10
	s_wait_alu 0xf1ff
	s_delay_alu instid0(VALU_DEP_2) | instskip(SKIP_3) | instid1(VALU_DEP_2)
	v_cndmask_b32_e64 v33, 0, v33, s1
	v_cmp_gt_i32_e64 s1, s31, v35
	v_add_nc_u32_e32 v35, 6, v10
	s_wait_alu 0xf1ff
	v_cndmask_b32_e64 v2, 0, v2, s1
	v_cmp_gt_i32_e64 s1, s31, v36
	v_and_b32_e32 v36, 0xffff, v4
	v_and_b32_e32 v4, 0xffff0000, v4
	s_wait_alu 0xf1ff
	s_delay_alu instid0(VALU_DEP_3) | instskip(SKIP_2) | instid1(VALU_DEP_1)
	v_cndmask_b32_e64 v32, 0, v32, s1
	v_cmp_gt_i32_e64 s1, s31, v35
	s_wait_alu 0xf1ff
	v_cndmask_b32_e64 v35, 0, v36, s1
	v_cmp_gt_i32_e64 s1, s31, v37
	s_wait_alu 0xf1ff
	s_delay_alu instid0(VALU_DEP_1) | instskip(SKIP_1) | instid1(VALU_DEP_2)
	v_cndmask_b32_e64 v4, 0, v4, s1
	v_cmp_gt_i32_e64 s1, s31, v34
	v_or_b32_e32 v4, v35, v4
	s_wait_alu 0xf1ff
	s_delay_alu instid0(VALU_DEP_2) | instskip(SKIP_2) | instid1(VALU_DEP_1)
	v_cndmask_b32_e64 v3, 0, v3, s1
	v_cmp_gt_i32_e64 s1, s31, v38
	s_wait_alu 0xf1ff
	v_cndmask_b32_e64 v31, 0, v31, s1
.LBB67_46:                              ;   in Loop: Header=BB67_43 Depth=1
	s_or_b32 exec_lo, exec_lo, s20
	v_and_b32_e32 v26, 0xffff, v26
	v_and_b32_e32 v29, 0xffff, v29
	v_lshlrev_b32_e32 v33, 16, v33
	v_and_b32_e32 v30, 0xffff, v30
	v_and_b32_e32 v28, 0xffff, v28
	v_lshl_or_b32 v26, v23, 16, v26
	v_lshl_or_b32 v25, v25, 16, v29
	v_lshlrev_b32_e32 v23, 16, v32
	v_lshlrev_b32_e32 v29, 16, v31
	v_and_or_b32 v1, 0xffff, v1, v33
	;;#ASMSTART
	v_pk_mul_f16 v1, v26, v1;

	;;#ASMEND
	v_lshl_or_b32 v27, v27, 16, v30
	v_and_or_b32 v2, 0xffff, v2, v23
	v_and_or_b32 v3, 0xffff, v3, v29
	v_lshl_or_b32 v28, v24, 16, v28
	;;#ASMSTART
	v_pk_mul_f16 v2, v25, v2;

	;;#ASMEND
	;;#ASMSTART
	v_pk_mul_f16 v3, v27, v3;

	;;#ASMEND
	;; [unrolled: 4-line block ×3, first 2 shown]
	;;#ASMSTART
	v_pk_add_f16 v1, v1, v2;

	;;#ASMEND
	;;#ASMSTART
	v_pk_add_f16 v1, v1, v3;

	;;#ASMEND
	;; [unrolled: 4-line block ×3, first 2 shown]
	v_and_b32_e32 v2, 0xffff, v1
	v_lshrrev_b32_e32 v1, 16, v1
	;;#ASMSTART
	v_cvt_f32_f16 v23, v2;
	;;#ASMEND
	;;#ASMSTART
	v_cvt_f32_f16 v24, v1;
	;;#ASMEND
	global_load_b128 v[1:4], v[7:8], off offset:512
	s_wait_loadcnt 0x0
	v_lshrrev_b32_e32 v29, 16, v1
	v_lshrrev_b32_e32 v8, 16, v2
	;; [unrolled: 1-line block ×3, first 2 shown]
	s_and_saveexec_b32 s20, s0
	s_cbranch_execz .LBB67_48
; %bb.47:                               ;   in Loop: Header=BB67_43 Depth=1
	v_add_nc_u32_e32 v30, 1, v10
	v_cmp_gt_i32_e64 s1, s31, v10
	v_add_nc_u32_e32 v31, 2, v10
	v_add_nc_u32_e32 v32, 3, v10
	;; [unrolled: 1-line block ×4, first 2 shown]
	s_wait_alu 0xf1ff
	v_cndmask_b32_e64 v1, 0, v1, s1
	v_cmp_gt_i32_e64 s1, s31, v30
	v_add_nc_u32_e32 v30, 4, v10
	s_wait_alu 0xf1ff
	s_delay_alu instid0(VALU_DEP_2) | instskip(SKIP_3) | instid1(VALU_DEP_2)
	v_cndmask_b32_e64 v29, 0, v29, s1
	v_cmp_gt_i32_e64 s1, s31, v31
	v_add_nc_u32_e32 v31, 6, v10
	s_wait_alu 0xf1ff
	v_cndmask_b32_e64 v2, 0, v2, s1
	v_cmp_gt_i32_e64 s1, s31, v32
	v_and_b32_e32 v32, 0xffff, v4
	v_and_b32_e32 v4, 0xffff0000, v4
	s_wait_alu 0xf1ff
	s_delay_alu instid0(VALU_DEP_3) | instskip(SKIP_2) | instid1(VALU_DEP_1)
	v_cndmask_b32_e64 v8, 0, v8, s1
	v_cmp_gt_i32_e64 s1, s31, v31
	s_wait_alu 0xf1ff
	v_cndmask_b32_e64 v31, 0, v32, s1
	v_cmp_gt_i32_e64 s1, s31, v33
	s_wait_alu 0xf1ff
	s_delay_alu instid0(VALU_DEP_1) | instskip(SKIP_1) | instid1(VALU_DEP_2)
	v_cndmask_b32_e64 v4, 0, v4, s1
	v_cmp_gt_i32_e64 s1, s31, v30
	v_or_b32_e32 v4, v31, v4
	s_wait_alu 0xf1ff
	s_delay_alu instid0(VALU_DEP_2) | instskip(SKIP_2) | instid1(VALU_DEP_1)
	v_cndmask_b32_e64 v3, 0, v3, s1
	v_cmp_gt_i32_e64 s1, s31, v34
	s_wait_alu 0xf1ff
	v_cndmask_b32_e64 v7, 0, v7, s1
.LBB67_48:                              ;   in Loop: Header=BB67_43 Depth=1
	s_or_b32 exec_lo, exec_lo, s20
	v_lshlrev_b32_e32 v29, 16, v29
	v_lshlrev_b32_e32 v8, 16, v8
	s_delay_alu instid0(VALU_DEP_3) | instskip(NEXT) | instid1(VALU_DEP_3)
	v_lshlrev_b32_e32 v7, 16, v7
	v_and_or_b32 v1, 0xffff, v1, v29
	s_delay_alu instid0(VALU_DEP_3) | instskip(NEXT) | instid1(VALU_DEP_3)
	v_and_or_b32 v2, 0xffff, v2, v8
	v_and_or_b32 v3, 0xffff, v3, v7
	;;#ASMSTART
	v_pk_mul_f16 v1, v26, v1;

	;;#ASMEND
	;;#ASMSTART
	v_pk_mul_f16 v2, v25, v2;

	;;#ASMEND
	;; [unrolled: 4-line block ×4, first 2 shown]
	;;#ASMSTART
	v_pk_add_f16 v1, v1, v2;

	;;#ASMEND
	;;#ASMSTART
	v_pk_add_f16 v1, v1, v3;

	;;#ASMEND
	;; [unrolled: 4-line block ×3, first 2 shown]
	v_and_b32_e32 v2, 0xffff, v1
	v_lshrrev_b32_e32 v1, 16, v1
	;;#ASMSTART
	v_cvt_f32_f16 v7, v2;
	;;#ASMEND
	;;#ASMSTART
	v_cvt_f32_f16 v8, v1;
	;;#ASMEND
	s_and_saveexec_b32 s20, vcc_lo
	s_cbranch_execz .LBB67_41
; %bb.49:                               ;   in Loop: Header=BB67_43 Depth=1
	v_add_co_u32 v1, s1, v21, v20
	s_wait_alu 0xf1ff
	v_add_co_ci_u32_e64 v2, null, 0, v22, s1
	global_load_b128 v[1:4], v[1:2], off
	s_wait_loadcnt 0x0
	v_lshrrev_b32_e32 v29, 16, v1
	v_lshrrev_b32_e32 v22, 16, v2
	;; [unrolled: 1-line block ×3, first 2 shown]
	s_and_saveexec_b32 s1, s0
	s_cbranch_execz .LBB67_40
; %bb.50:                               ;   in Loop: Header=BB67_43 Depth=1
	v_add_nc_u32_e32 v30, 1, v10
	v_cmp_gt_i32_e64 s0, s31, v10
	v_add_nc_u32_e32 v31, 2, v10
	v_add_nc_u32_e32 v32, 3, v10
	;; [unrolled: 1-line block ×4, first 2 shown]
	s_wait_alu 0xf1ff
	v_cndmask_b32_e64 v1, 0, v1, s0
	v_cmp_gt_i32_e64 s0, s31, v30
	v_add_nc_u32_e32 v30, 4, v10
	s_wait_alu 0xf1ff
	s_delay_alu instid0(VALU_DEP_2) | instskip(SKIP_3) | instid1(VALU_DEP_2)
	v_cndmask_b32_e64 v29, 0, v29, s0
	v_cmp_gt_i32_e64 s0, s31, v31
	v_add_nc_u32_e32 v31, 6, v10
	s_wait_alu 0xf1ff
	v_cndmask_b32_e64 v2, 0, v2, s0
	v_cmp_gt_i32_e64 s0, s31, v32
	v_and_b32_e32 v32, 0xffff, v4
	v_and_b32_e32 v4, 0xffff0000, v4
	s_wait_alu 0xf1ff
	s_delay_alu instid0(VALU_DEP_3) | instskip(SKIP_2) | instid1(VALU_DEP_1)
	v_cndmask_b32_e64 v22, 0, v22, s0
	v_cmp_gt_i32_e64 s0, s31, v31
	s_wait_alu 0xf1ff
	v_cndmask_b32_e64 v31, 0, v32, s0
	v_cmp_gt_i32_e64 s0, s31, v33
	s_wait_alu 0xf1ff
	s_delay_alu instid0(VALU_DEP_1) | instskip(SKIP_1) | instid1(VALU_DEP_2)
	v_cndmask_b32_e64 v4, 0, v4, s0
	v_cmp_gt_i32_e64 s0, s31, v30
	v_or_b32_e32 v4, v31, v4
	s_wait_alu 0xf1ff
	s_delay_alu instid0(VALU_DEP_2) | instskip(SKIP_2) | instid1(VALU_DEP_1)
	v_cndmask_b32_e64 v3, 0, v3, s0
	v_cmp_gt_i32_e64 s0, s31, v34
	s_wait_alu 0xf1ff
	v_cndmask_b32_e64 v21, 0, v21, s0
	s_branch .LBB67_40
.LBB67_51:
	s_or_b32 exec_lo, exec_lo, s9
.LBB67_52:
	s_wait_alu 0xfffe
	s_or_b32 exec_lo, exec_lo, s4
	s_movk_i32 s0, 0x140
	v_and_b32_e32 v2, 0x3c0, v0
	s_wait_alu 0xfffe
	v_mad_u32_u24 v1, v9, s0, 0xc0
	s_mov_b32 s0, exec_lo
	s_wait_loadcnt 0x0
	s_wait_storecnt 0x0
	s_barrier_signal -1
	s_barrier_wait -1
	global_inv scope:SCOPE_SE
	v_cmpx_eq_u32_e32 64, v2
	s_cbranch_execz .LBB67_55
; %bb.53:
	v_add_nc_u32_e32 v2, 0xfffffd80, v1
	v_cmp_gt_u32_e32 vcc_lo, 0x50, v17
	s_delay_alu instid0(VALU_DEP_2)
	v_lshl_add_u32 v3, v12, 2, v2
	ds_store_2addr_b32 v3, v16, v15 offset1:32
	s_and_b32 exec_lo, exec_lo, vcc_lo
; %bb.54:
	v_lshl_add_u32 v2, v17, 2, v2
	ds_store_b32 v2, v14
.LBB67_55:
	s_wait_alu 0xfffe
	s_or_b32 exec_lo, exec_lo, s0
	v_lshl_add_u32 v2, v12, 2, v1
	s_mov_b32 s0, exec_lo
	s_wait_loadcnt_dscnt 0x0
	s_barrier_signal -1
	s_barrier_wait -1
	global_inv scope:SCOPE_SE
	v_cmpx_gt_u32_e32 64, v0
	s_cbranch_execz .LBB67_59
; %bb.56:
	v_lshl_or_b32 v3, v0, 2, 0x80
	s_mov_b32 s1, exec_lo
	s_delay_alu instid0(VALU_DEP_1)
	v_add_nc_u32_e32 v4, v1, v3
	ds_load_b32 v3, v2
	ds_load_b32 v4, v4
	v_cmpx_gt_u32_e32 0x50, v17
	s_cbranch_execz .LBB67_58
; %bb.57:
	ds_load_b32 v5, v2 offset:256
	s_wait_dscnt 0x0
	v_add_f32_e32 v14, v14, v5
.LBB67_58:
	s_wait_alu 0xfffe
	s_or_b32 exec_lo, exec_lo, s1
	s_wait_dscnt 0x0
	v_dual_add_f32 v16, v16, v3 :: v_dual_add_f32 v15, v15, v4
.LBB67_59:
	s_wait_alu 0xfffe
	s_or_b32 exec_lo, exec_lo, s0
	v_and_b32_e32 v3, 0x3e0, v0
	s_mov_b32 s0, exec_lo
	s_wait_loadcnt 0x0
	s_barrier_signal -1
	s_barrier_wait -1
	global_inv scope:SCOPE_SE
	v_cmpx_eq_u32_e32 32, v3
	s_cbranch_execz .LBB67_62
; %bb.60:
	v_lshl_add_u32 v3, v12, 2, 0xc0
	v_cmp_gt_u32_e32 vcc_lo, 0x50, v17
	ds_store_b32 v3, v16
	ds_store_b32 v13, v15
	s_and_b32 exec_lo, exec_lo, vcc_lo
; %bb.61:
	ds_store_b32 v3, v14 offset:256
.LBB67_62:
	s_wait_alu 0xfffe
	s_or_b32 exec_lo, exec_lo, s0
	v_cmp_gt_u32_e32 vcc_lo, 32, v0
	v_or_b32_e32 v3, 64, v0
	s_wait_loadcnt_dscnt 0x0
	s_barrier_signal -1
	s_barrier_wait -1
	global_inv scope:SCOPE_SE
	s_and_saveexec_b32 s1, vcc_lo
	s_cbranch_execz .LBB67_66
; %bb.63:
	v_lshl_add_u32 v4, v0, 2, v1
	s_mov_b32 s2, exec_lo
	ds_load_b32 v1, v2
	ds_load_b32 v2, v4 offset:128
	v_cmpx_gt_u32_e32 0x50, v3
	s_cbranch_execz .LBB67_65
; %bb.64:
	ds_load_b32 v4, v4 offset:256
	s_wait_dscnt 0x0
	v_add_f32_e32 v14, v14, v4
.LBB67_65:
	s_wait_alu 0xfffe
	s_or_b32 exec_lo, exec_lo, s2
	s_wait_dscnt 0x0
	v_dual_add_f32 v16, v16, v1 :: v_dual_add_f32 v15, v15, v2
.LBB67_66:
	s_wait_alu 0xfffe
	s_or_b32 exec_lo, exec_lo, s1
	s_wait_loadcnt 0x0
	s_barrier_signal -1
	s_barrier_wait -1
	global_inv scope:SCOPE_SE
	s_and_saveexec_b32 s0, vcc_lo
	s_cbranch_execz .LBB67_69
; %bb.67:
	s_mul_i32 s0, s26, 0x50
	s_mul_i32 s2, s8, s16
	s_wait_alu 0xfffe
	s_ashr_i32 s1, s0, 31
	s_ashr_i32 s3, s2, 31
	s_wait_alu 0xfffe
	s_lshl_b64 s[0:1], s[0:1], 1
	s_lshl_b64 s[2:3], s[2:3], 1
	s_wait_alu 0xfffe
	s_add_nc_u64 s[0:1], s[14:15], s[0:1]
	v_lshlrev_b32_e32 v0, 1, v0
	v_cmp_gt_u32_e32 vcc_lo, 0x50, v3
	s_mul_i32 s4, s30, 0xa0
	s_wait_alu 0xfffe
	s_add_nc_u64 s[0:1], s[0:1], s[2:3]
	s_mov_b32 s5, 0
	;;#ASMSTART
	v_cvt_f16_f32 v1, v16;

	;;#ASMEND
	s_wait_alu 0xfffe
	s_add_nc_u64 s[0:1], s[0:1], s[4:5]
	global_store_b16 v0, v1, s[0:1]
	;;#ASMSTART
	v_cvt_f16_f32 v1, v15;

	;;#ASMEND
	global_store_b16 v0, v1, s[0:1] offset:64
	s_and_b32 exec_lo, exec_lo, vcc_lo
	s_cbranch_execz .LBB67_69
; %bb.68:
	s_wait_alu 0xfffe
	v_add_co_u32 v0, s0, s0, v0
	s_wait_alu 0xf1ff
	v_add_co_ci_u32_e64 v1, null, s1, 0, s0
	;;#ASMSTART
	v_cvt_f16_f32 v2, v14;

	;;#ASMEND
	global_store_b16 v[0:1], v2, off offset:128
.LBB67_69:
	s_endpgm
	.section	.rodata,"a",@progbits
	.p2align	6, 0x0
	.amdhsa_kernel _ZN4vllm25paged_attention_v2_kernelIttLi80ELi8ELi128ELNS_18Fp8KVCacheDataTypeE0ELb1ELi512EEEvPfS2_PT_PKS3_PKT0_S9_ifPKiSB_iPKfiiiSD_SD_iiiii
		.amdhsa_group_segment_fixed_size 192
		.amdhsa_private_segment_fixed_size 0
		.amdhsa_kernarg_size 400
		.amdhsa_user_sgpr_count 2
		.amdhsa_user_sgpr_dispatch_ptr 0
		.amdhsa_user_sgpr_queue_ptr 0
		.amdhsa_user_sgpr_kernarg_segment_ptr 1
		.amdhsa_user_sgpr_dispatch_id 0
		.amdhsa_user_sgpr_private_segment_size 0
		.amdhsa_wavefront_size32 1
		.amdhsa_uses_dynamic_stack 0
		.amdhsa_enable_private_segment 0
		.amdhsa_system_sgpr_workgroup_id_x 1
		.amdhsa_system_sgpr_workgroup_id_y 1
		.amdhsa_system_sgpr_workgroup_id_z 1
		.amdhsa_system_sgpr_workgroup_info 0
		.amdhsa_system_vgpr_workitem_id 0
		.amdhsa_next_free_vgpr 55
		.amdhsa_next_free_sgpr 42
		.amdhsa_reserve_vcc 1
		.amdhsa_float_round_mode_32 0
		.amdhsa_float_round_mode_16_64 0
		.amdhsa_float_denorm_mode_32 3
		.amdhsa_float_denorm_mode_16_64 3
		.amdhsa_fp16_overflow 0
		.amdhsa_workgroup_processor_mode 1
		.amdhsa_memory_ordered 1
		.amdhsa_forward_progress 1
		.amdhsa_inst_pref_size 49
		.amdhsa_round_robin_scheduling 0
		.amdhsa_exception_fp_ieee_invalid_op 0
		.amdhsa_exception_fp_denorm_src 0
		.amdhsa_exception_fp_ieee_div_zero 0
		.amdhsa_exception_fp_ieee_overflow 0
		.amdhsa_exception_fp_ieee_underflow 0
		.amdhsa_exception_fp_ieee_inexact 0
		.amdhsa_exception_int_div_zero 0
	.end_amdhsa_kernel
	.section	.text._ZN4vllm25paged_attention_v2_kernelIttLi80ELi8ELi128ELNS_18Fp8KVCacheDataTypeE0ELb1ELi512EEEvPfS2_PT_PKS3_PKT0_S9_ifPKiSB_iPKfiiiSD_SD_iiiii,"axG",@progbits,_ZN4vllm25paged_attention_v2_kernelIttLi80ELi8ELi128ELNS_18Fp8KVCacheDataTypeE0ELb1ELi512EEEvPfS2_PT_PKS3_PKT0_S9_ifPKiSB_iPKfiiiSD_SD_iiiii,comdat
.Lfunc_end67:
	.size	_ZN4vllm25paged_attention_v2_kernelIttLi80ELi8ELi128ELNS_18Fp8KVCacheDataTypeE0ELb1ELi512EEEvPfS2_PT_PKS3_PKT0_S9_ifPKiSB_iPKfiiiSD_SD_iiiii, .Lfunc_end67-_ZN4vllm25paged_attention_v2_kernelIttLi80ELi8ELi128ELNS_18Fp8KVCacheDataTypeE0ELb1ELi512EEEvPfS2_PT_PKS3_PKT0_S9_ifPKiSB_iPKfiiiSD_SD_iiiii
                                        ; -- End function
	.set _ZN4vllm25paged_attention_v2_kernelIttLi80ELi8ELi128ELNS_18Fp8KVCacheDataTypeE0ELb1ELi512EEEvPfS2_PT_PKS3_PKT0_S9_ifPKiSB_iPKfiiiSD_SD_iiiii.num_vgpr, 55
	.set _ZN4vllm25paged_attention_v2_kernelIttLi80ELi8ELi128ELNS_18Fp8KVCacheDataTypeE0ELb1ELi512EEEvPfS2_PT_PKS3_PKT0_S9_ifPKiSB_iPKfiiiSD_SD_iiiii.num_agpr, 0
	.set _ZN4vllm25paged_attention_v2_kernelIttLi80ELi8ELi128ELNS_18Fp8KVCacheDataTypeE0ELb1ELi512EEEvPfS2_PT_PKS3_PKT0_S9_ifPKiSB_iPKfiiiSD_SD_iiiii.numbered_sgpr, 42
	.set _ZN4vllm25paged_attention_v2_kernelIttLi80ELi8ELi128ELNS_18Fp8KVCacheDataTypeE0ELb1ELi512EEEvPfS2_PT_PKS3_PKT0_S9_ifPKiSB_iPKfiiiSD_SD_iiiii.num_named_barrier, 0
	.set _ZN4vllm25paged_attention_v2_kernelIttLi80ELi8ELi128ELNS_18Fp8KVCacheDataTypeE0ELb1ELi512EEEvPfS2_PT_PKS3_PKT0_S9_ifPKiSB_iPKfiiiSD_SD_iiiii.private_seg_size, 0
	.set _ZN4vllm25paged_attention_v2_kernelIttLi80ELi8ELi128ELNS_18Fp8KVCacheDataTypeE0ELb1ELi512EEEvPfS2_PT_PKS3_PKT0_S9_ifPKiSB_iPKfiiiSD_SD_iiiii.uses_vcc, 1
	.set _ZN4vllm25paged_attention_v2_kernelIttLi80ELi8ELi128ELNS_18Fp8KVCacheDataTypeE0ELb1ELi512EEEvPfS2_PT_PKS3_PKT0_S9_ifPKiSB_iPKfiiiSD_SD_iiiii.uses_flat_scratch, 0
	.set _ZN4vllm25paged_attention_v2_kernelIttLi80ELi8ELi128ELNS_18Fp8KVCacheDataTypeE0ELb1ELi512EEEvPfS2_PT_PKS3_PKT0_S9_ifPKiSB_iPKfiiiSD_SD_iiiii.has_dyn_sized_stack, 0
	.set _ZN4vllm25paged_attention_v2_kernelIttLi80ELi8ELi128ELNS_18Fp8KVCacheDataTypeE0ELb1ELi512EEEvPfS2_PT_PKS3_PKT0_S9_ifPKiSB_iPKfiiiSD_SD_iiiii.has_recursion, 0
	.set _ZN4vllm25paged_attention_v2_kernelIttLi80ELi8ELi128ELNS_18Fp8KVCacheDataTypeE0ELb1ELi512EEEvPfS2_PT_PKS3_PKT0_S9_ifPKiSB_iPKfiiiSD_SD_iiiii.has_indirect_call, 0
	.section	.AMDGPU.csdata,"",@progbits
; Kernel info:
; codeLenInByte = 6184
; TotalNumSgprs: 44
; NumVgprs: 55
; ScratchSize: 0
; MemoryBound: 0
; FloatMode: 240
; IeeeMode: 1
; LDSByteSize: 192 bytes/workgroup (compile time only)
; SGPRBlocks: 0
; VGPRBlocks: 6
; NumSGPRsForWavesPerEU: 44
; NumVGPRsForWavesPerEU: 55
; Occupancy: 16
; WaveLimiterHint : 1
; COMPUTE_PGM_RSRC2:SCRATCH_EN: 0
; COMPUTE_PGM_RSRC2:USER_SGPR: 2
; COMPUTE_PGM_RSRC2:TRAP_HANDLER: 0
; COMPUTE_PGM_RSRC2:TGID_X_EN: 1
; COMPUTE_PGM_RSRC2:TGID_Y_EN: 1
; COMPUTE_PGM_RSRC2:TGID_Z_EN: 1
; COMPUTE_PGM_RSRC2:TIDIG_COMP_CNT: 0
	.section	.text._ZN4vllm32paged_attention_v2_reduce_kernelItLi80ELi128ELi512EEEvPT_PKfS4_PKS1_PKii,"axG",@progbits,_ZN4vllm32paged_attention_v2_reduce_kernelItLi80ELi128ELi512EEEvPT_PKfS4_PKS1_PKii,comdat
	.protected	_ZN4vllm32paged_attention_v2_reduce_kernelItLi80ELi128ELi512EEEvPT_PKfS4_PKS1_PKii ; -- Begin function _ZN4vllm32paged_attention_v2_reduce_kernelItLi80ELi128ELi512EEEvPT_PKfS4_PKS1_PKii
	.globl	_ZN4vllm32paged_attention_v2_reduce_kernelItLi80ELi128ELi512EEEvPT_PKfS4_PKS1_PKii
	.p2align	8
	.type	_ZN4vllm32paged_attention_v2_reduce_kernelItLi80ELi128ELi512EEEvPT_PKfS4_PKS1_PKii,@function
_ZN4vllm32paged_attention_v2_reduce_kernelItLi80ELi128ELi512EEEvPT_PKfS4_PKS1_PKii: ; @_ZN4vllm32paged_attention_v2_reduce_kernelItLi80ELi128ELi512EEEvPT_PKfS4_PKS1_PKii
; %bb.0:
	s_load_b128 s[4:7], s[0:1], 0x18
	s_mov_b32 s2, ttmp7
	s_ashr_i32 s3, ttmp7, 31
	s_add_nc_u64 s[8:9], s[0:1], 48
	s_lshl_b64 s[2:3], s[2:3], 2
	s_wait_kmcnt 0x0
	s_add_nc_u64 s[2:3], s[6:7], s[2:3]
	s_load_b32 s18, s[2:3], 0x0
	s_clause 0x2
	s_load_b64 s[6:7], s[0:1], 0x0
	s_load_b32 s14, s[0:1], 0x28
	s_load_b32 s15, s[0:1], 0x30
	s_wait_kmcnt 0x0
	s_add_co_i32 s2, s18, -1
	s_delay_alu instid0(SALU_CYCLE_1)
	s_cmp_gt_u32 s2, 0x1ff
	s_mov_b32 s2, -1
	s_cbranch_scc0 .LBB68_25
; %bb.1:
	s_add_co_i32 s2, s18, 0x1ff
	s_mul_i32 s16, s15, ttmp7
	s_ashr_i32 s3, s2, 31
	v_dual_mov_b32 v4, 0xff7fffff :: v_dual_lshlrev_b32 v3, 2, v0
	s_lshr_b32 s3, s3, 23
	s_mul_i32 s12, s16, s14
	s_add_co_i32 s2, s2, s3
	s_mul_i32 s10, s14, ttmp9
	s_ashr_i32 s17, s2, 9
	s_ashr_i32 s13, s12, 31
	v_cmp_gt_i32_e32 vcc_lo, s17, v0
	s_ashr_i32 s11, s10, 31
	s_and_saveexec_b32 s3, vcc_lo
	s_cbranch_execz .LBB68_5
; %bb.2:
	s_load_b64 s[20:21], s[0:1], 0x10
	s_load_b32 s2, s[8:9], 0xc
	s_lshl_b64 s[22:23], s[12:13], 2
	s_lshl_b64 s[24:25], s[10:11], 2
	v_dual_mov_b32 v4, 0xff7fffff :: v_dual_add_nc_u32 v5, 32, v3
	s_add_nc_u64 s[22:23], s[22:23], s[24:25]
	v_mov_b32_e32 v6, v0
	s_wait_kmcnt 0x0
	s_add_nc_u64 s[20:21], s[20:21], s[22:23]
	s_delay_alu instid0(SALU_CYCLE_1) | instskip(NEXT) | instid1(VALU_DEP_1)
	v_add_co_u32 v1, s19, s20, v3
	v_add_co_ci_u32_e64 v2, null, s21, 0, s19
	s_and_b32 s20, s2, 0xffff
	s_mov_b32 s19, 0
	s_wait_alu 0xfffe
	s_lshl_b32 s21, s20, 2
.LBB68_3:                               ; =>This Inner Loop Header: Depth=1
	global_load_b32 v7, v[1:2], off
	v_add_nc_u32_e32 v6, s20, v6
	v_max_num_f32_e32 v4, v4, v4
	s_wait_alu 0xfffe
	v_add_co_u32 v1, s2, v1, s21
	s_wait_alu 0xf1ff
	v_add_co_ci_u32_e64 v2, null, 0, v2, s2
	v_cmp_le_i32_e64 s2, s17, v6
	s_or_b32 s19, s2, s19
	s_wait_loadcnt 0x0
	v_max_num_f32_e32 v8, v7, v7
	ds_store_b32 v5, v7
	v_dual_max_num_f32 v4, v4, v8 :: v_dual_add_nc_u32 v5, s21, v5
	s_wait_alu 0xfffe
	s_and_not1_b32 exec_lo, exec_lo, s19
	s_cbranch_execnz .LBB68_3
; %bb.4:
	s_or_b32 exec_lo, exec_lo, s19
.LBB68_5:
	s_delay_alu instid0(SALU_CYCLE_1)
	s_or_b32 exec_lo, exec_lo, s3
	v_mbcnt_lo_u32_b32 v1, -1, 0
	s_load_b64 s[2:3], s[0:1], 0x8
	s_wait_dscnt 0x0
	s_barrier_signal -1
	s_barrier_wait -1
	v_xor_b32_e32 v2, 16, v1
	v_xor_b32_e32 v5, 8, v1
	global_inv scope:SCOPE_SE
	v_cmp_gt_i32_e64 s0, 32, v2
	s_delay_alu instid0(VALU_DEP_1) | instskip(SKIP_1) | instid1(VALU_DEP_2)
	v_cndmask_b32_e64 v2, v1, v2, s0
	v_cmp_gt_i32_e64 s0, 32, v5
	v_lshlrev_b32_e32 v6, 2, v2
	s_wait_alu 0xf1ff
	s_delay_alu instid0(VALU_DEP_2) | instskip(SKIP_3) | instid1(VALU_DEP_1)
	v_cndmask_b32_e64 v5, v1, v5, s0
	ds_bpermute_b32 v2, v6, v4
	v_dual_max_num_f32 v4, v4, v4 :: v_dual_lshlrev_b32 v7, 2, v5
	v_xor_b32_e32 v5, 4, v1
	v_cmp_gt_i32_e64 s0, 32, v5
	s_wait_alu 0xf1ff
	s_delay_alu instid0(VALU_DEP_1) | instskip(NEXT) | instid1(VALU_DEP_1)
	v_cndmask_b32_e64 v5, v1, v5, s0
	v_lshlrev_b32_e32 v8, 2, v5
	v_xor_b32_e32 v5, 2, v1
	s_wait_dscnt 0x0
	v_max_num_f32_e32 v2, v2, v2
	s_delay_alu instid0(VALU_DEP_2) | instskip(NEXT) | instid1(VALU_DEP_2)
	v_cmp_gt_i32_e64 s0, 32, v5
	v_max_num_f32_e32 v2, v4, v2
	s_wait_alu 0xf1ff
	s_delay_alu instid0(VALU_DEP_2) | instskip(SKIP_3) | instid1(VALU_DEP_1)
	v_cndmask_b32_e64 v5, v1, v5, s0
	ds_bpermute_b32 v4, v7, v2
	s_wait_dscnt 0x0
	v_max_num_f32_e32 v4, v4, v4
	v_max_num_f32_e32 v2, v2, v4
	ds_bpermute_b32 v4, v8, v2
	s_wait_dscnt 0x0
	v_dual_max_num_f32 v9, v4, v4 :: v_dual_lshlrev_b32 v4, 2, v5
	s_delay_alu instid0(VALU_DEP_1) | instskip(SKIP_4) | instid1(VALU_DEP_1)
	v_max_num_f32_e32 v2, v2, v9
	v_xor_b32_e32 v9, 1, v1
	ds_bpermute_b32 v5, v4, v2
	v_cmp_gt_i32_e64 s0, 32, v9
	s_wait_alu 0xf1ff
	v_cndmask_b32_e64 v1, v1, v9, s0
	v_lshrrev_b32_e32 v9, 5, v0
	s_delay_alu instid0(VALU_DEP_1) | instskip(SKIP_2) | instid1(VALU_DEP_1)
	v_lshlrev_b32_e32 v9, 2, v9
	s_wait_dscnt 0x0
	v_max_num_f32_e32 v5, v5, v5
	v_max_num_f32_e32 v2, v2, v5
	v_lshlrev_b32_e32 v5, 2, v1
	v_and_b32_e32 v1, 31, v0
	ds_bpermute_b32 v10, v5, v2
	v_cmp_eq_u32_e64 s0, 0, v1
	s_and_saveexec_b32 s1, s0
	s_cbranch_execz .LBB68_7
; %bb.6:
	s_wait_dscnt 0x0
	v_max_num_f32_e32 v10, v10, v10
	v_max_num_f32_e32 v2, v2, v2
	s_delay_alu instid0(VALU_DEP_1)
	v_max_num_f32_e32 v2, v2, v10
	ds_store_b32 v9, v2
.LBB68_7:
	s_wait_alu 0xfffe
	s_or_b32 exec_lo, exec_lo, s1
	v_cmp_gt_u32_e64 s1, 4, v1
	v_mov_b32_e32 v2, 0xff7fffff
	s_wait_dscnt 0x0
	v_lshlrev_b32_e32 v10, 2, v1
	s_wait_loadcnt 0x0
	s_barrier_signal -1
	s_barrier_wait -1
	global_inv scope:SCOPE_SE
	s_and_saveexec_b32 s19, s1
; %bb.8:
	ds_load_b32 v2, v10
; %bb.9:
	s_wait_alu 0xfffe
	s_or_b32 exec_lo, exec_lo, s19
	s_wait_dscnt 0x0
	ds_bpermute_b32 v1, v4, v2
	v_max_num_f32_e32 v2, v2, v2
	s_lshl_b32 s19, s17, 2
	v_mov_b32_e32 v11, 0
	s_wait_dscnt 0x0
	v_max_num_f32_e32 v1, v1, v1
	s_delay_alu instid0(VALU_DEP_1) | instskip(SKIP_3) | instid1(VALU_DEP_1)
	v_max_num_f32_e32 v1, v2, v1
	ds_bpermute_b32 v2, v5, v1
	s_wait_dscnt 0x0
	v_max_num_f32_e32 v2, v2, v2
	v_max_num_f32_e32 v1, v1, v2
	ds_bpermute_b32 v12, v11, v1
	s_and_saveexec_b32 s20, vcc_lo
	s_cbranch_execz .LBB68_13
; %bb.10:
	s_load_b32 s21, s[8:9], 0xc
	s_lshl_b64 s[22:23], s[12:13], 2
	s_lshl_b64 s[24:25], s[10:11], 2
	v_mov_b32_e32 v11, 0
	s_add_nc_u64 s[22:23], s[22:23], s[24:25]
	v_mov_b32_e32 v13, v0
	s_wait_kmcnt 0x0
	s_add_nc_u64 s[2:3], s[2:3], s[22:23]
	s_wait_alu 0xfffe
	v_add_co_u32 v1, s2, s2, v3
	s_wait_alu 0xf1ff
	v_add_co_ci_u32_e64 v2, null, s3, 0, s2
	v_add_nc_u32_e32 v3, 32, v3
	s_mov_b32 s3, 0
	s_and_b32 s11, s21, 0xffff
	s_delay_alu instid0(SALU_CYCLE_1)
	s_lshl_b32 s13, s11, 2
.LBB68_11:                              ; =>This Inner Loop Header: Depth=1
	global_load_b32 v14, v[1:2], off
	ds_load_b32 v15, v3
	v_add_nc_u32_e32 v13, s11, v13
	s_wait_dscnt 0x0
	v_sub_f32_e32 v15, v15, v12
	s_delay_alu instid0(VALU_DEP_1) | instskip(NEXT) | instid1(VALU_DEP_1)
	v_mul_f32_e32 v16, 0x3fb8aa3b, v15
	v_fma_f32 v17, 0x3fb8aa3b, v15, -v16
	v_rndne_f32_e32 v18, v16
	s_delay_alu instid0(VALU_DEP_1) | instskip(SKIP_1) | instid1(VALU_DEP_4)
	v_sub_f32_e32 v16, v16, v18
	v_cmp_ngt_f32_e32 vcc_lo, 0xc2ce8ed0, v15
	v_fmac_f32_e32 v17, 0x32a5705f, v15
	v_cmp_nlt_f32_e64 s2, 0x42b17218, v15
	s_delay_alu instid0(VALU_DEP_2) | instskip(SKIP_1) | instid1(VALU_DEP_2)
	v_add_f32_e32 v16, v16, v17
	v_cvt_i32_f32_e32 v17, v18
	v_exp_f32_e32 v16, v16
	s_delay_alu instid0(TRANS32_DEP_1) | instskip(SKIP_2) | instid1(VALU_DEP_2)
	v_ldexp_f32 v16, v16, v17
	v_add_nc_u32_e32 v17, s19, v3
	s_wait_alu 0xfffd
	v_dual_cndmask_b32 v16, 0, v16 :: v_dual_add_nc_u32 v3, s13, v3
	v_add_co_u32 v1, vcc_lo, v1, s13
	s_wait_alu 0xfffd
	v_add_co_ci_u32_e64 v2, null, 0, v2, vcc_lo
	s_wait_alu 0xf1ff
	v_cndmask_b32_e64 v15, 0x7f800000, v16, s2
	v_cmp_le_i32_e32 vcc_lo, s17, v13
	s_wait_alu 0xfffe
	s_or_b32 s3, vcc_lo, s3
	s_wait_loadcnt 0x0
	v_mul_f32_e32 v16, v14, v15
	v_fmac_f32_e32 v11, v14, v15
	ds_store_b32 v17, v16
	s_wait_alu 0xfffe
	s_and_not1_b32 exec_lo, exec_lo, s3
	s_cbranch_execnz .LBB68_11
; %bb.12:
	s_or_b32 exec_lo, exec_lo, s3
.LBB68_13:
	s_wait_alu 0xfffe
	s_or_b32 exec_lo, exec_lo, s20
	ds_bpermute_b32 v1, v6, v11
	s_wait_loadcnt_dscnt 0x0
	s_barrier_signal -1
	s_barrier_wait -1
	global_inv scope:SCOPE_SE
	v_add_f32_e32 v1, v11, v1
	ds_bpermute_b32 v2, v7, v1
	s_wait_dscnt 0x0
	v_add_f32_e32 v1, v1, v2
	ds_bpermute_b32 v2, v8, v1
	s_wait_dscnt 0x0
	v_add_f32_e32 v1, v1, v2
	ds_bpermute_b32 v2, v4, v1
	s_wait_dscnt 0x0
	v_add_f32_e32 v1, v1, v2
	ds_bpermute_b32 v2, v5, v1
	s_wait_dscnt 0x0
	v_add_f32_e32 v1, v1, v2
	s_wait_kmcnt 0x0
	s_and_saveexec_b32 s2, s0
; %bb.14:
	ds_store_b32 v9, v1 offset:16
; %bb.15:
	s_wait_alu 0xfffe
	s_or_b32 exec_lo, exec_lo, s2
	s_wait_loadcnt_dscnt 0x0
	s_barrier_signal -1
	s_barrier_wait -1
	global_inv scope:SCOPE_SE
	s_and_saveexec_b32 s0, s1
; %bb.16:
	ds_load_b32 v1, v10 offset:16
; %bb.17:
	s_wait_alu 0xfffe
	s_or_b32 exec_lo, exec_lo, s0
	s_wait_dscnt 0x0
	ds_bpermute_b32 v2, v4, v1
	s_mov_b32 s0, exec_lo
	s_wait_dscnt 0x0
	v_add_f32_e32 v1, v1, v2
	ds_bpermute_b32 v2, v5, v1
	s_wait_dscnt 0x0
	v_dual_add_f32 v1, v1, v2 :: v_dual_mov_b32 v2, 0
	ds_bpermute_b32 v2, v2, v1
	v_cmpx_gt_u32_e32 0x50, v0
	s_cbranch_execz .LBB68_24
; %bb.18:
	s_cmp_gt_i32 s18, 0
	s_mov_b32 s1, 0
	s_cbranch_scc1 .LBB68_20
; %bb.19:
	v_dual_mov_b32 v1, 0 :: v_dual_mov_b32 v4, 0
	s_wait_alu 0xfffe
	s_and_not1_b32 vcc_lo, exec_lo, s1
	s_wait_alu 0xfffe
	s_cbranch_vccz .LBB68_21
	s_branch .LBB68_23
.LBB68_20:
	v_mov_b32_e32 v4, 0
.LBB68_21:
	s_wait_dscnt 0x0
	v_add_f32_e32 v4, 0x358637bd, v2
	s_mul_i32 s2, s12, 0x50
	s_mulk_i32 s10, 0x50
	s_wait_alu 0xfffe
	s_ashr_i32 s3, s2, 31
	s_ashr_i32 s11, s10, 31
	v_div_scale_f32 v2, null, v4, v4, 1.0
	s_wait_alu 0xfffe
	s_lshl_b64 s[2:3], s[2:3], 1
	s_lshl_b64 s[10:11], s[10:11], 1
	s_wait_alu 0xfffe
	s_add_nc_u64 s[2:3], s[2:3], s[10:11]
	v_rcp_f32_e32 v3, v2
	s_wait_alu 0xfffe
	s_add_nc_u64 s[2:3], s[4:5], s[2:3]
	s_delay_alu instid0(TRANS32_DEP_1) | instskip(NEXT) | instid1(VALU_DEP_1)
	v_fma_f32 v1, -v2, v3, 1.0
	v_fmac_f32_e32 v3, v1, v3
	v_div_scale_f32 v5, vcc_lo, 1.0, v4, 1.0
	s_delay_alu instid0(VALU_DEP_1) | instskip(NEXT) | instid1(VALU_DEP_1)
	v_mul_f32_e32 v6, v5, v3
	v_fma_f32 v1, -v2, v6, v5
	s_delay_alu instid0(VALU_DEP_1) | instskip(NEXT) | instid1(VALU_DEP_1)
	v_dual_fmac_f32 v6, v1, v3 :: v_dual_mov_b32 v1, 0
	v_fma_f32 v2, -v2, v6, v5
	v_lshlrev_b32_e32 v5, 1, v0
	s_wait_alu 0xfffd
	s_delay_alu instid0(VALU_DEP_2) | instskip(SKIP_1) | instid1(VALU_DEP_2)
	v_div_fmas_f32 v6, v2, v3, v6
	s_wait_alu 0xfffe
	v_add_co_u32 v2, s1, s2, v5
	s_wait_alu 0xf1ff
	v_add_co_ci_u32_e64 v3, null, s3, 0, s1
	v_div_fixup_f32 v5, v6, v4, 1.0
	v_mov_b32_e32 v4, v1
	s_max_i32 s1, s17, 1
	s_add_co_i32 s2, s19, 32
.LBB68_22:                              ; =>This Inner Loop Header: Depth=1
	s_wait_alu 0xfffe
	v_mov_b32_e32 v6, s2
	global_load_u16 v7, v[2:3], off
	s_wait_loadcnt 0x0
	;;#ASMSTART
	v_cvt_f32_f16 v7, v7;
	;;#ASMEND
	v_add_co_u32 v2, vcc_lo, 0xa0, v2
	ds_load_b32 v6, v6
	s_wait_alu 0xfffd
	v_add_co_ci_u32_e64 v3, null, 0, v3, vcc_lo
	s_add_co_i32 s1, s1, -1
	s_add_co_i32 s2, s2, 4
	s_wait_alu 0xfffe
	s_cmp_eq_u32 s1, 0
	s_wait_dscnt 0x0
	v_mul_f32_e32 v6, v7, v6
	s_delay_alu instid0(VALU_DEP_1)
	v_fmac_f32_e32 v4, v5, v6
	s_cbranch_scc0 .LBB68_22
.LBB68_23:
	s_mul_i32 s2, s16, 0x50
	s_mul_i32 s10, ttmp9, 0x50
	s_wait_alu 0xfffe
	s_ashr_i32 s3, s2, 31
	s_ashr_i32 s11, s10, 31
	s_wait_alu 0xfffe
	s_lshl_b64 s[2:3], s[2:3], 1
	s_wait_dscnt 0x0
	v_lshlrev_b64_e32 v[1:2], 1, v[0:1]
	s_lshl_b64 s[10:11], s[10:11], 1
	s_wait_alu 0xfffe
	s_add_nc_u64 s[2:3], s[6:7], s[2:3]
	;;#ASMSTART
	v_cvt_f16_f32 v3, v4;

	;;#ASMEND
	s_wait_alu 0xfffe
	s_add_nc_u64 s[2:3], s[2:3], s[10:11]
	s_wait_alu 0xfffe
	v_add_co_u32 v1, vcc_lo, s2, v1
	s_wait_alu 0xfffd
	v_add_co_ci_u32_e64 v2, null, s3, v2, vcc_lo
	global_store_b16 v[1:2], v3, off
.LBB68_24:
	s_wait_alu 0xfffe
	s_or_b32 exec_lo, exec_lo, s0
	s_mov_b32 s2, 0
.LBB68_25:
	s_wait_alu 0xfffe
	s_and_b32 vcc_lo, exec_lo, s2
	s_wait_alu 0xfffe
	s_cbranch_vccz .LBB68_34
; %bb.26:
	s_mov_b32 s0, exec_lo
	v_cmpx_gt_u32_e32 0x50, v0
	s_cbranch_execz .LBB68_34
; %bb.27:
	s_load_b32 s0, s[8:9], 0xc
	s_mul_i32 s1, s15, ttmp7
	s_mul_i32 s8, ttmp9, 0x50
	s_wait_alu 0xfffe
	s_mul_i32 s12, s1, 0x50
	s_mul_i32 s2, s8, s14
	s_wait_alu 0xfffe
	s_mul_i32 s10, s12, s14
	v_cmp_gt_u32_e32 vcc_lo, 0x4d, v0
	s_ashr_i32 s9, s8, 31
	s_ashr_i32 s13, s12, 31
	;; [unrolled: 1-line block ×3, first 2 shown]
	s_wait_alu 0xfffe
	s_ashr_i32 s11, s10, 31
	s_wait_kmcnt 0x0
	s_and_b32 s1, s0, 0xffff
	s_wait_alu 0xfffe
	s_cmp_eq_u32 s1, 1
	s_cselect_b32 s0, -1, 0
	s_wait_alu 0xfffe
	s_and_b32 s15, vcc_lo, s0
	s_mov_b32 s0, -1
	s_and_saveexec_b32 s14, s15
	s_cbranch_execz .LBB68_31
; %bb.28:
	s_lshl_b64 s[16:17], s[10:11], 1
	s_lshl_b64 s[18:19], s[2:3], 1
	v_lshlrev_b32_e32 v1, 1, v0
	s_wait_alu 0xfffe
	s_add_nc_u64 s[16:17], s[16:17], s[18:19]
	s_lshl_b64 s[18:19], s[12:13], 1
	s_lshl_b64 s[20:21], s[8:9], 1
	s_wait_alu 0xfffe
	s_add_nc_u64 s[16:17], s[4:5], s[16:17]
	s_add_nc_u64 s[18:19], s[18:19], s[20:21]
	s_wait_dscnt 0x0
	s_wait_alu 0xfffe
	v_add_co_u32 v2, s0, s16, v1
	v_sub_nc_u32_e32 v5, 0x50, v0
	s_wait_alu 0xf1ff
	v_add_co_ci_u32_e64 v3, null, s17, 0, s0
	s_add_nc_u64 s[16:17], s[6:7], s[18:19]
	s_mov_b32 s15, 0
	s_wait_alu 0xfffe
	v_add_co_u32 v4, s0, s16, v1
	v_and_b32_e32 v6, 0x7c, v5
	s_wait_alu 0xf1ff
	v_add_co_ci_u32_e64 v7, null, s17, 0, s0
	v_add_co_u32 v1, vcc_lo, v2, 4
	s_wait_alu 0xfffd
	v_add_co_ci_u32_e64 v2, null, 0, v3, vcc_lo
	v_add_co_u32 v3, vcc_lo, v4, 4
	s_wait_alu 0xfffd
	v_add_co_ci_u32_e64 v4, null, 0, v7, vcc_lo
	v_mov_b32_e32 v7, v6
.LBB68_29:                              ; =>This Inner Loop Header: Depth=1
	global_load_b64 v[8:9], v[1:2], off offset:-4
	v_add_nc_u32_e32 v7, -4, v7
	v_add_co_u32 v1, vcc_lo, v1, 8
	s_wait_alu 0xfffd
	v_add_co_ci_u32_e64 v2, null, 0, v2, vcc_lo
	s_delay_alu instid0(VALU_DEP_3)
	v_cmp_eq_u32_e32 vcc_lo, 0, v7
	s_or_b32 s15, vcc_lo, s15
	s_wait_loadcnt 0x0
	global_store_b64 v[3:4], v[8:9], off offset:-4
	v_add_co_u32 v3, s0, v3, 8
	s_wait_alu 0xf1ff
	v_add_co_ci_u32_e64 v4, null, 0, v4, s0
	s_and_not1_b32 exec_lo, exec_lo, s15
	s_cbranch_execnz .LBB68_29
; %bb.30:
	s_or_b32 exec_lo, exec_lo, s15
	v_cmp_ne_u32_e32 vcc_lo, v5, v6
	v_add_nc_u32_e32 v0, v0, v6
	s_or_not1_b32 s0, vcc_lo, exec_lo
.LBB68_31:
	s_or_b32 exec_lo, exec_lo, s14
	s_wait_alu 0xfffe
	s_and_b32 exec_lo, exec_lo, s0
	s_cbranch_execz .LBB68_34
; %bb.32:
	s_lshl_b64 s[12:13], s[12:13], 1
	s_lshl_b64 s[10:11], s[10:11], 1
	s_wait_dscnt 0x0
	v_dual_mov_b32 v2, 0 :: v_dual_lshlrev_b32 v1, 1, v0
	s_lshl_b64 s[8:9], s[8:9], 1
	s_wait_alu 0xfffe
	s_add_nc_u64 s[6:7], s[6:7], s[12:13]
	s_add_nc_u64 s[4:5], s[4:5], s[10:11]
	s_lshl_b64 s[2:3], s[2:3], 1
	s_add_nc_u64 s[6:7], s[6:7], s[8:9]
	s_wait_alu 0xfffe
	s_add_nc_u64 s[2:3], s[4:5], s[2:3]
	s_mov_b32 s4, 0
	s_lshl_b32 s5, s1, 1
.LBB68_33:                              ; =>This Inner Loop Header: Depth=1
	s_wait_alu 0xfffe
	v_add_co_u32 v3, vcc_lo, s2, v1
	s_wait_alu 0xfffd
	v_add_co_ci_u32_e64 v4, null, s3, v2, vcc_lo
	v_add_nc_u32_e32 v0, s1, v0
	global_load_u16 v5, v[3:4], off
	v_add_co_u32 v3, vcc_lo, s6, v1
	s_wait_alu 0xfffd
	v_add_co_ci_u32_e64 v4, null, s7, v2, vcc_lo
	v_cmp_lt_u32_e32 vcc_lo, 0x4f, v0
	v_add_co_u32 v1, s0, v1, s5
	s_wait_alu 0xf1ff
	v_add_co_ci_u32_e64 v2, null, 0, v2, s0
	s_or_b32 s4, vcc_lo, s4
	s_wait_loadcnt 0x0
	global_store_b16 v[3:4], v5, off
	s_wait_alu 0xfffe
	s_and_not1_b32 exec_lo, exec_lo, s4
	s_cbranch_execnz .LBB68_33
.LBB68_34:
	s_endpgm
	.section	.rodata,"a",@progbits
	.p2align	6, 0x0
	.amdhsa_kernel _ZN4vllm32paged_attention_v2_reduce_kernelItLi80ELi128ELi512EEEvPT_PKfS4_PKS1_PKii
		.amdhsa_group_segment_fixed_size 32
		.amdhsa_private_segment_fixed_size 0
		.amdhsa_kernarg_size 304
		.amdhsa_user_sgpr_count 2
		.amdhsa_user_sgpr_dispatch_ptr 0
		.amdhsa_user_sgpr_queue_ptr 0
		.amdhsa_user_sgpr_kernarg_segment_ptr 1
		.amdhsa_user_sgpr_dispatch_id 0
		.amdhsa_user_sgpr_private_segment_size 0
		.amdhsa_wavefront_size32 1
		.amdhsa_uses_dynamic_stack 0
		.amdhsa_enable_private_segment 0
		.amdhsa_system_sgpr_workgroup_id_x 1
		.amdhsa_system_sgpr_workgroup_id_y 1
		.amdhsa_system_sgpr_workgroup_id_z 0
		.amdhsa_system_sgpr_workgroup_info 0
		.amdhsa_system_vgpr_workitem_id 0
		.amdhsa_next_free_vgpr 19
		.amdhsa_next_free_sgpr 26
		.amdhsa_reserve_vcc 1
		.amdhsa_float_round_mode_32 0
		.amdhsa_float_round_mode_16_64 0
		.amdhsa_float_denorm_mode_32 3
		.amdhsa_float_denorm_mode_16_64 3
		.amdhsa_fp16_overflow 0
		.amdhsa_workgroup_processor_mode 1
		.amdhsa_memory_ordered 1
		.amdhsa_forward_progress 1
		.amdhsa_inst_pref_size 20
		.amdhsa_round_robin_scheduling 0
		.amdhsa_exception_fp_ieee_invalid_op 0
		.amdhsa_exception_fp_denorm_src 0
		.amdhsa_exception_fp_ieee_div_zero 0
		.amdhsa_exception_fp_ieee_overflow 0
		.amdhsa_exception_fp_ieee_underflow 0
		.amdhsa_exception_fp_ieee_inexact 0
		.amdhsa_exception_int_div_zero 0
	.end_amdhsa_kernel
	.section	.text._ZN4vllm32paged_attention_v2_reduce_kernelItLi80ELi128ELi512EEEvPT_PKfS4_PKS1_PKii,"axG",@progbits,_ZN4vllm32paged_attention_v2_reduce_kernelItLi80ELi128ELi512EEEvPT_PKfS4_PKS1_PKii,comdat
.Lfunc_end68:
	.size	_ZN4vllm32paged_attention_v2_reduce_kernelItLi80ELi128ELi512EEEvPT_PKfS4_PKS1_PKii, .Lfunc_end68-_ZN4vllm32paged_attention_v2_reduce_kernelItLi80ELi128ELi512EEEvPT_PKfS4_PKS1_PKii
                                        ; -- End function
	.set _ZN4vllm32paged_attention_v2_reduce_kernelItLi80ELi128ELi512EEEvPT_PKfS4_PKS1_PKii.num_vgpr, 19
	.set _ZN4vllm32paged_attention_v2_reduce_kernelItLi80ELi128ELi512EEEvPT_PKfS4_PKS1_PKii.num_agpr, 0
	.set _ZN4vllm32paged_attention_v2_reduce_kernelItLi80ELi128ELi512EEEvPT_PKfS4_PKS1_PKii.numbered_sgpr, 26
	.set _ZN4vllm32paged_attention_v2_reduce_kernelItLi80ELi128ELi512EEEvPT_PKfS4_PKS1_PKii.num_named_barrier, 0
	.set _ZN4vllm32paged_attention_v2_reduce_kernelItLi80ELi128ELi512EEEvPT_PKfS4_PKS1_PKii.private_seg_size, 0
	.set _ZN4vllm32paged_attention_v2_reduce_kernelItLi80ELi128ELi512EEEvPT_PKfS4_PKS1_PKii.uses_vcc, 1
	.set _ZN4vllm32paged_attention_v2_reduce_kernelItLi80ELi128ELi512EEEvPT_PKfS4_PKS1_PKii.uses_flat_scratch, 0
	.set _ZN4vllm32paged_attention_v2_reduce_kernelItLi80ELi128ELi512EEEvPT_PKfS4_PKS1_PKii.has_dyn_sized_stack, 0
	.set _ZN4vllm32paged_attention_v2_reduce_kernelItLi80ELi128ELi512EEEvPT_PKfS4_PKS1_PKii.has_recursion, 0
	.set _ZN4vllm32paged_attention_v2_reduce_kernelItLi80ELi128ELi512EEEvPT_PKfS4_PKS1_PKii.has_indirect_call, 0
	.section	.AMDGPU.csdata,"",@progbits
; Kernel info:
; codeLenInByte = 2476
; TotalNumSgprs: 28
; NumVgprs: 19
; ScratchSize: 0
; MemoryBound: 0
; FloatMode: 240
; IeeeMode: 1
; LDSByteSize: 32 bytes/workgroup (compile time only)
; SGPRBlocks: 0
; VGPRBlocks: 2
; NumSGPRsForWavesPerEU: 28
; NumVGPRsForWavesPerEU: 19
; Occupancy: 16
; WaveLimiterHint : 0
; COMPUTE_PGM_RSRC2:SCRATCH_EN: 0
; COMPUTE_PGM_RSRC2:USER_SGPR: 2
; COMPUTE_PGM_RSRC2:TRAP_HANDLER: 0
; COMPUTE_PGM_RSRC2:TGID_X_EN: 1
; COMPUTE_PGM_RSRC2:TGID_Y_EN: 1
; COMPUTE_PGM_RSRC2:TGID_Z_EN: 0
; COMPUTE_PGM_RSRC2:TIDIG_COMP_CNT: 0
	.section	.text._ZN4vllm25paged_attention_v2_kernelIttLi96ELi8ELi128ELNS_18Fp8KVCacheDataTypeE0ELb1ELi512EEEvPfS2_PT_PKS3_PKT0_S9_ifPKiSB_iPKfiiiSD_SD_iiiii,"axG",@progbits,_ZN4vllm25paged_attention_v2_kernelIttLi96ELi8ELi128ELNS_18Fp8KVCacheDataTypeE0ELb1ELi512EEEvPfS2_PT_PKS3_PKT0_S9_ifPKiSB_iPKfiiiSD_SD_iiiii,comdat
	.protected	_ZN4vllm25paged_attention_v2_kernelIttLi96ELi8ELi128ELNS_18Fp8KVCacheDataTypeE0ELb1ELi512EEEvPfS2_PT_PKS3_PKT0_S9_ifPKiSB_iPKfiiiSD_SD_iiiii ; -- Begin function _ZN4vllm25paged_attention_v2_kernelIttLi96ELi8ELi128ELNS_18Fp8KVCacheDataTypeE0ELb1ELi512EEEvPfS2_PT_PKS3_PKT0_S9_ifPKiSB_iPKfiiiSD_SD_iiiii
	.globl	_ZN4vllm25paged_attention_v2_kernelIttLi96ELi8ELi128ELNS_18Fp8KVCacheDataTypeE0ELb1ELi512EEEvPfS2_PT_PKS3_PKT0_S9_ifPKiSB_iPKfiiiSD_SD_iiiii
	.p2align	8
	.type	_ZN4vllm25paged_attention_v2_kernelIttLi96ELi8ELi128ELNS_18Fp8KVCacheDataTypeE0ELb1ELi512EEEvPfS2_PT_PKS3_PKT0_S9_ifPKiSB_iPKfiiiSD_SD_iiiii,@function
_ZN4vllm25paged_attention_v2_kernelIttLi96ELi8ELi128ELNS_18Fp8KVCacheDataTypeE0ELb1ELi512EEEvPfS2_PT_PKS3_PKT0_S9_ifPKiSB_iPKfiiiSD_SD_iiiii: ; @_ZN4vllm25paged_attention_v2_kernelIttLi96ELi8ELi128ELNS_18Fp8KVCacheDataTypeE0ELb1ELi512EEEvPfS2_PT_PKS3_PKT0_S9_ifPKiSB_iPKfiiiSD_SD_iiiii
; %bb.0:
	s_load_b64 s[2:3], s[0:1], 0x40
	s_and_b32 s26, ttmp7, 0xffff
	s_lshr_b32 s30, ttmp7, 16
	s_lshl_b32 s4, s26, 2
	s_lshl_b32 s33, s30, 9
	s_wait_kmcnt 0x0
	s_load_b32 s31, s[2:3], s4 offset:0x0
	s_wait_kmcnt 0x0
	s_cmp_ge_i32 s33, s31
	s_cbranch_scc1 .LBB69_60
; %bb.1:
	s_clause 0x1
	s_load_b32 s27, s[0:1], 0x90
	s_load_b64 s[6:7], s[0:1], 0x30
	s_wait_kmcnt 0x0
	s_abs_i32 s5, s27
	s_abs_i32 s2, s6
	s_delay_alu instid0(SALU_CYCLE_1) | instskip(SKIP_1) | instid1(SALU_CYCLE_2)
	s_cvt_f32_u32 s3, s2
	s_sub_co_i32 s4, 0, s2
	v_rcp_iflag_f32_e32 v1, s3
	s_delay_alu instid0(TRANS32_DEP_1) | instskip(SKIP_2) | instid1(SALU_CYCLE_2)
	v_readfirstlane_b32 s3, v1
	s_mul_f32 s3, s3, 0x4f7ffffe
	s_wait_alu 0xfffe
	s_cvt_u32_f32 s3, s3
	s_wait_alu 0xfffe
	s_delay_alu instid0(SALU_CYCLE_2) | instskip(NEXT) | instid1(SALU_CYCLE_1)
	s_mul_i32 s4, s4, s3
	s_mul_hi_u32 s4, s3, s4
	s_delay_alu instid0(SALU_CYCLE_1)
	s_add_co_i32 s3, s3, s4
	s_xor_b32 s4, s27, s6
	s_wait_alu 0xfffe
	s_mul_hi_u32 s3, s5, s3
	s_ashr_i32 s4, s4, 31
	s_wait_alu 0xfffe
	s_mul_i32 s8, s3, s2
	s_delay_alu instid0(SALU_CYCLE_1)
	s_sub_co_i32 s5, s5, s8
	s_add_co_i32 s8, s3, 1
	s_sub_co_i32 s9, s5, s2
	s_cmp_ge_u32 s5, s2
	s_cselect_b32 s3, s8, s3
	s_cselect_b32 s5, s9, s5
	s_wait_alu 0xfffe
	s_add_co_i32 s8, s3, 1
	s_cmp_ge_u32 s5, s2
	s_cselect_b32 s2, s8, s3
	s_load_b64 s[8:9], s[0:1], 0x50
	s_xor_b32 s2, s2, s4
	s_mov_b32 s3, 0
	s_wait_alu 0xfffe
	s_sub_co_i32 s10, s2, s4
	s_mov_b32 s15, s3
	s_abs_i32 s18, s10
	s_delay_alu instid0(SALU_CYCLE_1) | instskip(SKIP_1) | instid1(SALU_CYCLE_2)
	s_cvt_f32_u32 s2, s18
	s_wait_alu 0xfffe
	v_rcp_iflag_f32_e32 v1, s2
	s_delay_alu instid0(TRANS32_DEP_1) | instskip(SKIP_2) | instid1(SALU_CYCLE_2)
	v_readfirstlane_b32 s2, v1
	s_mul_f32 s2, s2, 0x4f7ffffe
	s_wait_alu 0xfffe
	s_cvt_u32_f32 s4, s2
	s_sub_co_i32 s2, 0, s18
	s_wait_alu 0xfffe
	s_delay_alu instid0(SALU_CYCLE_1)
	s_mul_i32 s2, s2, s4
	s_wait_alu 0xfffe
	s_mul_hi_u32 s5, s4, s2
	s_abs_i32 s2, ttmp9
	s_add_co_i32 s4, s4, s5
	s_mov_b32 s5, s3
	s_wait_kmcnt 0x0
	s_cmp_eq_u64 s[8:9], 0
	s_cbranch_scc1 .LBB69_3
; %bb.2:
	s_mov_b32 s12, ttmp9
	s_ashr_i32 s13, ttmp9, 31
	s_delay_alu instid0(SALU_CYCLE_1) | instskip(NEXT) | instid1(SALU_CYCLE_1)
	s_lshl_b64 s[12:13], s[12:13], 2
	s_add_nc_u64 s[8:9], s[8:9], s[12:13]
	s_load_b32 s15, s[8:9], 0x0
.LBB69_3:
	s_load_b96 s[12:14], s[0:1], 0x58
	v_and_b32_e32 v1, 3, v0
	v_lshlrev_b32_e32 v2, 2, v0
	s_mul_u64 s[4:5], s[2:3], s[4:5]
	s_ashr_i32 s3, ttmp9, 31
	s_ashr_i32 s4, s10, 31
	s_mul_i32 s16, ttmp9, 0x60
	s_mov_b32 s8, exec_lo
	v_cmpx_gt_u32_e32 48, v0
	s_cbranch_execz .LBB69_5
; %bb.4:
	s_load_b64 s[10:11], s[0:1], 0x18
	s_wait_kmcnt 0x0
	s_mul_i32 s20, s12, s26
	s_ashr_i32 s17, s16, 31
	s_ashr_i32 s21, s20, 31
	v_and_b32_e32 v4, 0x3fc, v0
	s_lshl_b64 s[20:21], s[20:21], 1
	s_delay_alu instid0(VALU_DEP_1) | instskip(SKIP_2) | instid1(SALU_CYCLE_1)
	v_mad_u32_u24 v4, v1, 48, v4
	s_add_nc_u64 s[10:11], s[10:11], s[20:21]
	s_lshl_b64 s[20:21], s[16:17], 1
	s_add_nc_u64 s[10:11], s[10:11], s[20:21]
	global_load_b32 v3, v2, s[10:11]
	s_wait_loadcnt 0x0
	ds_store_b32 v4, v3
.LBB69_5:
	s_or_b32 exec_lo, exec_lo, s8
	s_clause 0x1
	s_load_b128 s[8:11], s[0:1], 0x78
	s_load_b32 s20, s[0:1], 0x88
	s_wait_kmcnt 0x0
	s_mul_i32 s12, s5, s18
	s_xor_b32 s3, s3, s4
	s_sub_co_i32 s2, s2, s12
	s_add_co_i32 s4, s5, 1
	s_wait_alu 0xfffe
	s_sub_co_i32 s12, s2, s18
	s_cmp_ge_u32 s2, s18
	s_mov_b32 s22, -1
	s_cselect_b32 s4, s4, s5
	s_cselect_b32 s2, s12, s2
	s_add_co_i32 s5, s4, 1
	s_wait_alu 0xfffe
	s_cmp_ge_u32 s2, s18
	s_wait_dscnt 0x0
	s_cselect_b32 s2, s5, s4
	s_add_co_i32 s21, s31, -1
	s_wait_alu 0xfffe
	s_xor_b32 s2, s2, s3
	s_barrier_signal -1
	s_wait_alu 0xfffe
	s_sub_co_i32 s24, s2, s3
	s_barrier_wait -1
	s_abs_i32 s12, s11
	global_inv scope:SCOPE_SE
	s_cvt_f32_u32 s4, s12
                                        ; implicit-def: $sgpr17
	s_delay_alu instid0(SALU_CYCLE_3) | instskip(NEXT) | instid1(TRANS32_DEP_1)
	v_rcp_iflag_f32_e32 v3, s4
	v_readfirstlane_b32 s4, v3
	s_mul_f32 s2, s4, 0x4f7ffffe
	s_wait_alu 0xfffe
	s_delay_alu instid0(SALU_CYCLE_2) | instskip(SKIP_2) | instid1(SALU_CYCLE_1)
	s_cvt_u32_f32 s4, s2
	s_sub_co_i32 s2, 0, s12
	s_wait_alu 0xfffe
	s_mul_i32 s3, s2, s4
	s_abs_i32 s2, s21
	s_wait_alu 0xfffe
	s_mul_hi_u32 s5, s4, s3
	s_mov_b32 s3, 0
	s_wait_alu 0xfffe
	s_add_co_i32 s18, s4, s5
	s_cmp_lt_i32 s20, 0
	s_mov_b32 s19, s3
	s_cbranch_scc0 .LBB69_7
; %bb.6:
	s_mul_i32 s4, s8, s6
	s_mov_b32 s22, s3
	s_wait_alu 0xfffe
	s_add_co_i32 s4, s24, s4
	s_wait_alu 0xfffe
	s_mul_i32 s4, s4, s20
	s_wait_alu 0xfffe
	s_sub_co_i32 s17, 1, s4
.LBB69_7:
	s_mul_u64 s[4:5], s[2:3], s[18:19]
	s_ashr_i32 s3, s21, 31
	s_and_not1_b32 vcc_lo, exec_lo, s22
	s_ashr_i32 s11, s11, 31
	s_cbranch_vccnz .LBB69_9
; %bb.8:
	s_mul_i32 s4, s27, s8
	s_wait_alu 0xfffe
	s_add_co_i32 s4, s4, ttmp9
	s_wait_alu 0xfffe
	s_mul_i32 s4, s4, s20
	s_wait_alu 0xfffe
	s_add_co_i32 s17, s4, 1
.LBB69_9:
	s_clause 0x2
	s_load_b32 s4, s[0:1], 0x48
	s_load_b64 s[20:21], s[0:1], 0x38
	s_load_b32 s8, s[0:1], 0x98
	s_mul_i32 s6, s5, s12
	s_xor_b32 s3, s3, s11
	s_sub_co_i32 s2, s2, s6
	s_add_co_i32 s19, s5, 1
	v_lshrrev_b32_e32 v9, 5, v0
	v_mbcnt_lo_u32_b32 v4, -1, 0
	s_mul_i32 s24, s24, s14
	s_delay_alu instid0(VALU_DEP_2)
	v_lshl_add_u32 v10, v9, 3, s33
	s_wait_kmcnt 0x0
	s_mul_i32 s22, s4, s26
	s_wait_alu 0xfffe
	s_sub_co_i32 s4, s2, s12
	s_ashr_i32 s23, s22, 31
	s_cmp_ge_u32 s2, s12
	s_cselect_b32 s5, s19, s5
	s_wait_alu 0xfffe
	s_cselect_b32 s2, s4, s2
	s_add_co_i32 s4, s5, 1
	s_wait_alu 0xfffe
	s_cmp_ge_u32 s2, s12
	s_cselect_b32 s2, s4, s5
	s_add_co_i32 s4, s31, 7
	s_lshl_b32 s36, s30, 6
	s_wait_alu 0xfffe
	s_ashr_i32 s5, s4, 31
	v_or_b32_e32 v11, s36, v9
	s_wait_alu 0xfffe
	s_lshr_b32 s5, s5, 29
	v_mov_b32_e32 v6, 0xff7fffff
	s_wait_alu 0xfffe
	s_add_co_i32 s4, s4, s5
	s_add_co_i32 s5, s36, 64
	s_wait_alu 0xfffe
	s_ashr_i32 s34, s4, 3
	s_xor_b32 s4, s2, s3
	s_min_i32 s19, s5, s34
	v_lshlrev_b32_e32 v3, 2, v11
	v_cmp_gt_i32_e64 s2, s19, v11
	s_wait_alu 0xfffe
	s_sub_co_i32 s35, s4, s3
	s_and_saveexec_b32 s6, s2
	s_cbranch_execz .LBB69_21
; %bb.10:
	s_ashr_i32 s25, s24, 31
	s_sub_co_i32 s14, s35, s9
	s_lshl_b64 s[4:5], s[24:25], 1
	s_cmp_neq_f32 s15, 0
	s_load_b64 s[38:39], s[0:1], 0x20
	v_bfe_u32 v5, v0, 2, 3
	v_mul_u32_u24_e32 v7, 48, v1
	s_cselect_b32 vcc_lo, -1, 0
	s_abs_i32 s25, s10
	v_dual_mov_b32 v19, v11 :: v_dual_and_b32 v2, 12, v2
	s_cvt_f32_u32 s3, s25
	v_lshlrev_b32_e32 v8, 2, v5
	v_mov_b32_e32 v16, 0xff7fffff
	s_lshl_b64 s[40:41], s[22:23], 2
	s_wait_alu 0xfffe
	v_rcp_iflag_f32_e32 v6, s3
	v_cmp_eq_u32_e64 s3, 0, v1
	v_lshlrev_b32_e32 v1, 4, v5
	v_subrev_nc_u32_e32 v14, s31, v5
	s_add_nc_u64 s[40:41], s[20:21], s[40:41]
	s_sub_co_i32 s37, 0, s25
	v_lshl_add_u32 v13, v9, 3, s33
	v_xor_b32_e32 v17, 2, v4
	v_add_nc_u32_e32 v14, 1, v14
	s_wait_kmcnt 0x0
	s_add_nc_u64 s[4:5], s[38:39], s[4:5]
	v_readfirstlane_b32 s29, v6
	s_wait_alu 0xfffe
	v_add_co_u32 v1, s4, s4, v1
	s_wait_alu 0xf1ff
	v_add_co_ci_u32_e64 v12, null, s5, 0, s4
	s_mul_f32 s29, s29, 0x4f7ffffe
	v_lshl_or_b32 v6, v9, 5, v8
	v_add_co_u32 v8, s4, v1, v2
	s_delay_alu instid0(SALU_CYCLE_1)
	s_cvt_u32_f32 s5, s29
	s_wait_alu 0xf1ff
	v_add_co_ci_u32_e64 v12, null, 0, v12, s4
	v_add_co_u32 v1, s4, s40, v3
	s_wait_alu 0xfffe
	s_mul_i32 s37, s37, s5
	v_add_co_ci_u32_e64 v2, null, s41, 0, s4
	v_add_nc_u32_e32 v15, 0xe0, v6
	v_xor_b32_e32 v18, 1, v4
	v_mov_b32_e32 v6, 0xff7fffff
	s_wait_alu 0xfffe
	s_mul_hi_u32 s4, s5, s37
	s_mov_b32 s28, 0
	s_mov_b32 s29, s13
	s_wait_alu 0xfffe
	s_add_co_i32 s37, s5, s4
	s_branch .LBB69_13
.LBB69_11:                              ;   in Loop: Header=BB69_13 Depth=1
	s_or_b32 exec_lo, exec_lo, s38
.LBB69_12:                              ;   in Loop: Header=BB69_13 Depth=1
	s_wait_alu 0xfffe
	s_or_b32 exec_lo, exec_lo, s5
	v_add_nc_u32_e32 v19, 4, v19
	v_add_co_u32 v1, s5, v1, 16
	s_wait_alu 0xf1ff
	v_add_co_ci_u32_e64 v2, null, 0, v2, s5
	s_delay_alu instid0(VALU_DEP_3)
	v_cmp_le_i32_e64 s4, s19, v19
	v_add_nc_u32_e32 v13, 32, v13
	v_add_nc_u32_e32 v15, 0x80, v15
	s_or_b32 s28, s4, s28
	s_wait_alu 0xfffe
	s_and_not1_b32 exec_lo, exec_lo, s28
	s_cbranch_execz .LBB69_20
.LBB69_13:                              ; =>This Inner Loop Header: Depth=1
	v_sub_nc_u32_e32 v20, 0, v13
	s_delay_alu instid0(VALU_DEP_1) | instskip(SKIP_1) | instid1(VALU_DEP_1)
	v_max_i32_e32 v20, v13, v20
	s_wait_dscnt 0x0
	v_mul_hi_u32 v21, v20, s18
	s_delay_alu instid0(VALU_DEP_1) | instskip(NEXT) | instid1(VALU_DEP_1)
	v_mul_lo_u32 v22, v21, s12
	v_sub_nc_u32_e32 v20, v20, v22
	v_add_nc_u32_e32 v22, 1, v21
	s_delay_alu instid0(VALU_DEP_2) | instskip(SKIP_2) | instid1(VALU_DEP_1)
	v_subrev_nc_u32_e32 v23, s12, v20
	v_cmp_le_u32_e64 s4, s12, v20
	s_wait_alu 0xf1ff
	v_cndmask_b32_e64 v21, v21, v22, s4
	s_delay_alu instid0(VALU_DEP_3) | instskip(SKIP_1) | instid1(VALU_DEP_3)
	v_cndmask_b32_e64 v20, v20, v23, s4
	v_ashrrev_i32_e32 v22, 31, v13
	v_add_nc_u32_e32 v23, 1, v21
	s_delay_alu instid0(VALU_DEP_3) | instskip(NEXT) | instid1(VALU_DEP_3)
	v_cmp_le_u32_e64 s4, s12, v20
	v_xor_b32_e32 v22, s11, v22
	s_wait_alu 0xf1ff
	s_delay_alu instid0(VALU_DEP_2) | instskip(NEXT) | instid1(VALU_DEP_1)
	v_cndmask_b32_e64 v20, v21, v23, s4
	v_xor_b32_e32 v20, v20, v22
	s_delay_alu instid0(VALU_DEP_1) | instskip(NEXT) | instid1(VALU_DEP_1)
	v_sub_nc_u32_e32 v20, v20, v22
	v_add_nc_u32_e32 v21, s17, v20
	v_cmp_ge_i32_e64 s5, s14, v20
	s_delay_alu instid0(VALU_DEP_2) | instskip(NEXT) | instid1(VALU_DEP_1)
	v_sub_nc_u32_e32 v22, 0, v21
	v_max_i32_e32 v22, v21, v22
	v_ashrrev_i32_e32 v21, 31, v21
	s_wait_alu 0xfffe
	s_delay_alu instid0(VALU_DEP_2) | instskip(NEXT) | instid1(VALU_DEP_1)
	v_mul_hi_u32 v23, v22, s37
	v_mul_lo_u32 v23, v23, s25
	s_delay_alu instid0(VALU_DEP_1) | instskip(NEXT) | instid1(VALU_DEP_1)
	v_sub_nc_u32_e32 v22, v22, v23
	v_subrev_nc_u32_e32 v23, s25, v22
	v_cmp_le_u32_e64 s4, s25, v22
	s_wait_alu 0xf1ff
	s_delay_alu instid0(VALU_DEP_1) | instskip(NEXT) | instid1(VALU_DEP_1)
	v_cndmask_b32_e64 v22, v22, v23, s4
	v_subrev_nc_u32_e32 v23, s25, v22
	v_cmp_le_u32_e64 s4, s25, v22
	s_wait_alu 0xf1ff
	s_delay_alu instid0(VALU_DEP_1) | instskip(NEXT) | instid1(VALU_DEP_1)
	v_cndmask_b32_e64 v22, v22, v23, s4
	v_xor_b32_e32 v22, v22, v21
	s_delay_alu instid0(VALU_DEP_1) | instskip(NEXT) | instid1(VALU_DEP_1)
	v_sub_nc_u32_e32 v21, v22, v21
	v_cmp_ne_u32_e64 s4, 0, v21
	s_and_b32 s4, s4, s5
	s_wait_alu 0xfffe
	s_and_saveexec_b32 s5, s4
	s_wait_alu 0xfffe
	s_xor_b32 s4, exec_lo, s5
	s_cbranch_execz .LBB69_17
; %bb.14:                               ;   in Loop: Header=BB69_13 Depth=1
	s_and_saveexec_b32 s5, s3
; %bb.15:                               ;   in Loop: Header=BB69_13 Depth=1
	ds_store_b32 v15, v16
; %bb.16:                               ;   in Loop: Header=BB69_13 Depth=1
	s_wait_alu 0xfffe
	s_or_b32 exec_lo, exec_lo, s5
.LBB69_17:                              ;   in Loop: Header=BB69_13 Depth=1
	s_wait_alu 0xfffe
	s_and_not1_saveexec_b32 s5, s4
	s_cbranch_execz .LBB69_12
; %bb.18:                               ;   in Loop: Header=BB69_13 Depth=1
	global_load_b32 v20, v[1:2], off
	s_wait_loadcnt 0x0
	v_mad_co_i64_i32 v[20:21], null, v20, s29, 0
	s_delay_alu instid0(VALU_DEP_1) | instskip(NEXT) | instid1(VALU_DEP_1)
	v_lshlrev_b64_e32 v[20:21], 1, v[20:21]
	v_add_co_u32 v20, s4, v8, v20
	s_wait_alu 0xf1ff
	s_delay_alu instid0(VALU_DEP_2)
	v_add_co_ci_u32_e64 v21, null, v12, v21, s4
	v_cmp_gt_i32_e64 s4, 32, v17
	s_clause 0xb
	global_load_b32 v22, v[20:21], off
	global_load_b32 v23, v[20:21], off offset:128
	global_load_b32 v24, v[20:21], off offset:256
	;; [unrolled: 1-line block ×11, first 2 shown]
	ds_load_b32 v33, v7
	s_wait_dscnt 0x0
	v_and_b32_e32 v21, 0xffff, v33
	v_lshrrev_b32_e32 v33, 16, v33
	;;#ASMSTART
	v_cvt_f32_f16 v21, v21;
	;;#ASMEND
	s_wait_loadcnt 0xb
	v_and_b32_e32 v34, 0xffff, v22
	v_lshrrev_b32_e32 v35, 16, v22
	;;#ASMSTART
	v_cvt_f32_f16 v22, v33;
	;;#ASMEND
	;;#ASMSTART
	v_cvt_f32_f16 v33, v34;
	;;#ASMEND
	;; [unrolled: 3-line block ×3, first 2 shown]
	ds_load_b32 v35, v7 offset:4
	s_wait_loadcnt 0xa
	v_and_b32_e32 v37, 0xffff, v23
	v_lshrrev_b32_e32 v38, 16, v23
	s_wait_loadcnt 0x9
	v_lshrrev_b32_e32 v41, 16, v24
	s_wait_loadcnt 0x2
	v_lshrrev_b32_e32 v60, 16, v31
	v_and_b32_e32 v62, 0xffff, v31
	v_and_b32_e32 v43, 0xffff, v25
	v_lshrrev_b32_e32 v44, 16, v25
	v_lshrrev_b32_e32 v47, 16, v26
	v_and_b32_e32 v49, 0xffff, v27
	v_lshrrev_b32_e32 v50, 16, v27
	v_lshrrev_b32_e32 v53, 16, v28
	;; [unrolled: 3-line block ×3, first 2 shown]
	s_wait_dscnt 0x0
	v_and_b32_e32 v36, 0xffff, v35
	v_lshrrev_b32_e32 v35, 16, v35
	;;#ASMSTART
	v_cvt_f32_f16 v23, v36;
	;;#ASMEND
	;;#ASMSTART
	v_cvt_f32_f16 v35, v35;
	;;#ASMEND
	;; [unrolled: 3-line block ×4, first 2 shown]
	ds_load_b32 v38, v7 offset:8
	v_mul_f32_e32 v23, v23, v36
	v_dual_mul_f32 v31, v35, v37 :: v_dual_and_b32 v40, 0xffff, v24
	s_delay_alu instid0(VALU_DEP_2) | instskip(NEXT) | instid1(VALU_DEP_2)
	v_fmac_f32_e32 v23, v21, v33
	v_fmac_f32_e32 v31, v22, v34
	s_wait_dscnt 0x0
	v_and_b32_e32 v39, 0xffff, v38
	v_lshrrev_b32_e32 v38, 16, v38
	;;#ASMSTART
	v_cvt_f32_f16 v24, v39;
	;;#ASMEND
	;;#ASMSTART
	v_cvt_f32_f16 v38, v38;
	;;#ASMEND
	;; [unrolled: 3-line block ×4, first 2 shown]
	ds_load_b32 v41, v7 offset:12
	v_dual_fmac_f32 v23, v24, v39 :: v_dual_and_b32 v46, 0xffff, v26
	s_wait_dscnt 0x0
	v_dual_fmac_f32 v31, v38, v40 :: v_dual_and_b32 v42, 0xffff, v41
	v_lshrrev_b32_e32 v41, 16, v41
	;;#ASMSTART
	v_cvt_f32_f16 v25, v42;
	;;#ASMEND
	;;#ASMSTART
	v_cvt_f32_f16 v41, v41;
	;;#ASMEND
	;; [unrolled: 3-line block ×4, first 2 shown]
	ds_load_b32 v44, v7 offset:16
	v_dual_fmac_f32 v23, v25, v42 :: v_dual_and_b32 v52, 0xffff, v28
	s_wait_loadcnt 0x1
	v_lshrrev_b32_e32 v25, 16, v32
	v_fmac_f32_e32 v31, v41, v43
	s_wait_dscnt 0x0
	v_and_b32_e32 v45, 0xffff, v44
	v_lshrrev_b32_e32 v44, 16, v44
	;;#ASMSTART
	v_cvt_f32_f16 v26, v45;
	;;#ASMEND
	;;#ASMSTART
	v_cvt_f32_f16 v44, v44;
	;;#ASMEND
	;; [unrolled: 3-line block ×4, first 2 shown]
	ds_load_b32 v47, v7 offset:20
	v_dual_fmac_f32 v23, v26, v45 :: v_dual_and_b32 v58, 0xffff, v30
	s_wait_dscnt 0x0
	v_dual_fmac_f32 v31, v44, v46 :: v_dual_and_b32 v48, 0xffff, v47
	v_lshrrev_b32_e32 v47, 16, v47
	;;#ASMSTART
	v_cvt_f32_f16 v27, v48;
	;;#ASMEND
	;;#ASMSTART
	v_cvt_f32_f16 v47, v47;
	;;#ASMEND
	;; [unrolled: 3-line block ×4, first 2 shown]
	ds_load_b32 v50, v7 offset:24
	v_dual_fmac_f32 v31, v47, v49 :: v_dual_and_b32 v24, 0xffff, v32
	v_fmac_f32_e32 v23, v27, v48
	s_wait_alu 0xf1ff
	v_cndmask_b32_e64 v27, v4, v17, s4
	v_cmp_gt_i32_e64 s4, 32, v18
	s_wait_dscnt 0x0
	v_and_b32_e32 v51, 0xffff, v50
	v_lshrrev_b32_e32 v50, 16, v50
	;;#ASMSTART
	v_cvt_f32_f16 v28, v51;
	;;#ASMEND
	;;#ASMSTART
	v_cvt_f32_f16 v50, v50;
	;;#ASMEND
	;; [unrolled: 3-line block ×4, first 2 shown]
	ds_load_b32 v53, v7 offset:28
	v_fmac_f32_e32 v23, v28, v51
	v_fmac_f32_e32 v31, v50, v52
	s_wait_loadcnt 0x0
	v_lshrrev_b32_e32 v28, 16, v20
	s_wait_dscnt 0x0
	v_and_b32_e32 v54, 0xffff, v53
	v_lshrrev_b32_e32 v53, 16, v53
	;;#ASMSTART
	v_cvt_f32_f16 v29, v54;
	;;#ASMEND
	;;#ASMSTART
	v_cvt_f32_f16 v53, v53;
	;;#ASMEND
	;;#ASMSTART
	v_cvt_f32_f16 v54, v55;
	;;#ASMEND
	;;#ASMSTART
	v_cvt_f32_f16 v55, v56;
	;;#ASMEND
	ds_load_b32 v56, v7 offset:32
	v_fmac_f32_e32 v23, v29, v54
	v_fmac_f32_e32 v31, v53, v55
	s_wait_dscnt 0x0
	v_and_b32_e32 v57, 0xffff, v56
	v_lshrrev_b32_e32 v56, 16, v56
	;;#ASMSTART
	v_cvt_f32_f16 v30, v57;
	;;#ASMEND
	;;#ASMSTART
	v_cvt_f32_f16 v56, v56;
	;;#ASMEND
	;; [unrolled: 3-line block ×4, first 2 shown]
	ds_load_b32 v59, v7 offset:36
	v_fmac_f32_e32 v23, v30, v57
	v_dual_fmac_f32 v31, v56, v58 :: v_dual_and_b32 v30, 0xffff, v20
	s_wait_dscnt 0x0
	v_and_b32_e32 v61, 0xffff, v59
	v_lshrrev_b32_e32 v59, 16, v59
	;;#ASMSTART
	v_cvt_f32_f16 v35, v61;
	;;#ASMEND
	;;#ASMSTART
	v_cvt_f32_f16 v36, v59;
	;;#ASMEND
	;;#ASMSTART
	v_cvt_f32_f16 v37, v62;
	;;#ASMEND
	;;#ASMSTART
	v_cvt_f32_f16 v59, v60;
	;;#ASMEND
	ds_load_b32 v60, v7 offset:40
	v_fmac_f32_e32 v23, v35, v37
	v_fmac_f32_e32 v31, v36, v59
	s_wait_dscnt 0x0
	v_and_b32_e32 v21, 0xffff, v60
	v_lshrrev_b32_e32 v22, 16, v60
	;;#ASMSTART
	v_cvt_f32_f16 v21, v21;
	;;#ASMEND
	;;#ASMSTART
	v_cvt_f32_f16 v22, v22;
	;;#ASMEND
	;;#ASMSTART
	v_cvt_f32_f16 v24, v24;
	;;#ASMEND
	;;#ASMSTART
	v_cvt_f32_f16 v25, v25;
	;;#ASMEND
	ds_load_b32 v26, v7 offset:44
	v_fmac_f32_e32 v23, v21, v24
	v_fmac_f32_e32 v31, v22, v25
	s_wait_dscnt 0x0
	v_and_b32_e32 v29, 0xffff, v26
	v_lshrrev_b32_e32 v26, 16, v26
	;;#ASMSTART
	v_cvt_f32_f16 v20, v29;
	;;#ASMEND
	;;#ASMSTART
	v_cvt_f32_f16 v21, v26;
	;;#ASMEND
	;; [unrolled: 3-line block ×4, first 2 shown]
	v_fmac_f32_e32 v23, v20, v22
	v_dual_fmac_f32 v31, v21, v24 :: v_dual_lshlrev_b32 v20, 2, v27
	s_wait_alu 0xf1ff
	v_cndmask_b32_e64 v22, v4, v18, s4
	s_delay_alu instid0(VALU_DEP_2)
	v_add_f32_e32 v21, v23, v31
	ds_bpermute_b32 v20, v20, v21
	s_wait_dscnt 0x0
	v_dual_add_f32 v20, v21, v20 :: v_dual_lshlrev_b32 v21, 2, v22
	ds_bpermute_b32 v21, v21, v20
	s_and_saveexec_b32 s38, s3
	s_cbranch_execz .LBB69_11
; %bb.19:                               ;   in Loop: Header=BB69_13 Depth=1
	s_wait_dscnt 0x0
	v_add_f32_e32 v20, v20, v21
	v_add_nc_u32_e32 v22, v14, v13
	s_delay_alu instid0(VALU_DEP_1) | instskip(NEXT) | instid1(VALU_DEP_1)
	v_cvt_f32_i32_e32 v22, v22
	v_mul_f32_e32 v22, s15, v22
	s_delay_alu instid0(VALU_DEP_1) | instskip(NEXT) | instid1(VALU_DEP_1)
	v_cndmask_b32_e32 v21, 0, v22, vcc_lo
	v_dual_max_num_f32 v22, v6, v6 :: v_dual_fmac_f32 v21, s7, v20
	v_add_nc_u32_e32 v20, v5, v13
	s_delay_alu instid0(VALU_DEP_2) | instskip(NEXT) | instid1(VALU_DEP_2)
	v_max_num_f32_e32 v22, v22, v21
	v_cmp_gt_i32_e64 s4, s31, v20
	s_wait_alu 0xf1ff
	s_delay_alu instid0(VALU_DEP_1) | instskip(NEXT) | instid1(VALU_DEP_3)
	v_cndmask_b32_e64 v20, 0, v21, s4
	v_cndmask_b32_e64 v6, v6, v22, s4
	ds_store_b32 v15, v20
	s_branch .LBB69_11
.LBB69_20:
	s_or_b32 exec_lo, exec_lo, s28
.LBB69_21:
	s_delay_alu instid0(SALU_CYCLE_1)
	s_or_b32 exec_lo, exec_lo, s6
	v_xor_b32_e32 v1, 16, v4
	v_xor_b32_e32 v5, 8, v4
	;; [unrolled: 1-line block ×3, first 2 shown]
	s_clause 0x2
	s_load_b128 s[4:7], s[0:1], 0x0
	s_load_b64 s[14:15], s[0:1], 0x10
	s_load_b64 s[28:29], s[0:1], 0x28
	v_and_b32_e32 v12, 31, v0
	v_cmp_gt_i32_e32 vcc_lo, 32, v1
	s_wait_alu 0xfffd
	v_cndmask_b32_e32 v1, v4, v1, vcc_lo
	v_cmp_gt_i32_e32 vcc_lo, 32, v5
	s_wait_alu 0xfffd
	v_cndmask_b32_e32 v5, v4, v5, vcc_lo
	v_cmp_gt_i32_e32 vcc_lo, 32, v7
	v_lshlrev_b32_e32 v2, 2, v1
	s_delay_alu instid0(VALU_DEP_3)
	v_lshlrev_b32_e32 v5, 2, v5
	s_wait_alu 0xfffd
	v_cndmask_b32_e32 v7, v4, v7, vcc_lo
	ds_bpermute_b32 v1, v2, v6
	v_max_num_f32_e32 v6, v6, v6
	v_cmp_eq_u32_e32 vcc_lo, 0, v12
	s_wait_dscnt 0x0
	v_dual_max_num_f32 v1, v1, v1 :: v_dual_lshlrev_b32 v8, 2, v7
	s_delay_alu instid0(VALU_DEP_1) | instskip(SKIP_3) | instid1(VALU_DEP_1)
	v_max_num_f32_e32 v1, v6, v1
	ds_bpermute_b32 v6, v5, v1
	s_wait_dscnt 0x0
	v_max_num_f32_e32 v6, v6, v6
	v_dual_max_num_f32 v1, v1, v6 :: v_dual_lshlrev_b32 v6, 2, v9
	ds_bpermute_b32 v7, v8, v1
	s_and_saveexec_b32 s0, vcc_lo
	s_cbranch_execz .LBB69_23
; %bb.22:
	s_wait_dscnt 0x0
	v_max_num_f32_e32 v7, v7, v7
	v_max_num_f32_e32 v1, v1, v1
	s_delay_alu instid0(VALU_DEP_1)
	v_max_num_f32_e32 v1, v1, v7
	ds_store_b32 v6, v1 offset:192
.LBB69_23:
	s_or_b32 exec_lo, exec_lo, s0
	v_cmp_gt_u32_e64 s0, 4, v12
	v_mov_b32_e32 v1, 0xff7fffff
	s_wait_dscnt 0x0
	v_lshlrev_b32_e32 v7, 2, v12
	s_wait_loadcnt 0x0
	s_barrier_signal -1
	s_barrier_wait -1
	global_inv scope:SCOPE_SE
	s_and_saveexec_b32 s1, s0
; %bb.24:
	ds_load_b32 v1, v7 offset:192
; %bb.25:
	s_or_b32 exec_lo, exec_lo, s1
	v_xor_b32_e32 v13, 2, v4
	v_xor_b32_e32 v15, 1, v4
	s_delay_alu instid0(VALU_DEP_2) | instskip(NEXT) | instid1(VALU_DEP_1)
	v_cmp_gt_i32_e64 s1, 32, v13
	v_cndmask_b32_e64 v13, v4, v13, s1
	s_delay_alu instid0(VALU_DEP_3) | instskip(NEXT) | instid1(VALU_DEP_2)
	v_cmp_gt_i32_e64 s1, 32, v15
	v_lshlrev_b32_e32 v13, 2, v13
	s_wait_alu 0xf1ff
	s_delay_alu instid0(VALU_DEP_2)
	v_cndmask_b32_e64 v4, v4, v15, s1
	s_sub_co_i32 s1, s19, s36
	s_wait_alu 0xfffe
	s_lshl_b32 s1, s1, 3
	s_wait_dscnt 0x0
	ds_bpermute_b32 v14, v13, v1
	v_max_num_f32_e32 v1, v1, v1
	s_wait_alu 0xfffe
	s_add_co_i32 s1, s1, s33
	s_wait_alu 0xfffe
	s_min_i32 s1, s1, s31
	s_wait_alu 0xfffe
	s_sub_co_i32 s25, s1, s33
	s_wait_alu 0xfffe
	v_cmp_gt_i32_e64 s1, s25, v0
	s_wait_dscnt 0x0
	v_dual_max_num_f32 v15, v14, v14 :: v_dual_lshlrev_b32 v14, 2, v4
	s_delay_alu instid0(VALU_DEP_1) | instskip(SKIP_4) | instid1(VALU_DEP_1)
	v_max_num_f32_e32 v1, v1, v15
	v_mov_b32_e32 v15, 0
	ds_bpermute_b32 v4, v14, v1
	s_wait_dscnt 0x0
	v_max_num_f32_e32 v4, v4, v4
	v_max_num_f32_e32 v1, v1, v4
	v_lshl_add_u32 v4, v0, 2, 0xe0
	ds_bpermute_b32 v1, v15, v1
	s_and_saveexec_b32 s33, s1
	s_cbranch_execz .LBB69_29
; %bb.26:
	v_lshl_add_u32 v16, v0, 2, 0xe0
	v_mov_b32_e32 v15, 0
	v_mov_b32_e32 v17, v0
	s_mov_b32 s36, 0
.LBB69_27:                              ; =>This Inner Loop Header: Depth=1
	ds_load_b32 v18, v16
	v_add_nc_u32_e32 v17, 0x80, v17
	s_delay_alu instid0(VALU_DEP_1) | instskip(SKIP_4) | instid1(VALU_DEP_1)
	v_cmp_le_i32_e64 s3, s25, v17
	s_wait_alu 0xfffe
	s_or_b32 s36, s3, s36
	s_wait_dscnt 0x0
	v_sub_f32_e32 v18, v18, v1
	v_mul_f32_e32 v18, 0x3fb8aa3b, v18
	s_delay_alu instid0(VALU_DEP_1)
	v_exp_f32_e32 v18, v18
	ds_store_b32 v16, v18
	v_dual_add_f32 v15, v15, v18 :: v_dual_add_nc_u32 v16, 0x200, v16
	s_wait_alu 0xfffe
	s_and_not1_b32 exec_lo, exec_lo, s36
	s_cbranch_execnz .LBB69_27
; %bb.28:
	s_or_b32 exec_lo, exec_lo, s36
.LBB69_29:
	s_wait_alu 0xfffe
	s_or_b32 exec_lo, exec_lo, s33
	ds_bpermute_b32 v2, v2, v15
	s_wait_dscnt 0x0
	v_add_f32_e32 v2, v15, v2
	ds_bpermute_b32 v5, v5, v2
	s_wait_dscnt 0x0
	v_add_f32_e32 v2, v2, v5
	;; [unrolled: 3-line block ×5, first 2 shown]
	s_and_saveexec_b32 s3, vcc_lo
; %bb.30:
	ds_store_b32 v6, v2 offset:208
; %bb.31:
	s_wait_alu 0xfffe
	s_or_b32 exec_lo, exec_lo, s3
	s_wait_loadcnt_dscnt 0x0
	s_barrier_signal -1
	s_barrier_wait -1
	global_inv scope:SCOPE_SE
	s_and_saveexec_b32 s3, s0
; %bb.32:
	ds_load_b32 v2, v7 offset:208
; %bb.33:
	s_wait_alu 0xfffe
	s_or_b32 exec_lo, exec_lo, s3
	s_wait_dscnt 0x0
	ds_bpermute_b32 v5, v13, v2
	s_wait_dscnt 0x0
	v_add_f32_e32 v2, v2, v5
	ds_bpermute_b32 v5, v14, v2
	s_wait_dscnt 0x0
	v_dual_add_f32 v2, v2, v5 :: v_dual_mov_b32 v5, 0
	ds_bpermute_b32 v2, v5, v2
	s_and_saveexec_b32 s0, s1
	s_cbranch_execz .LBB69_36
; %bb.34:
	s_wait_dscnt 0x0
	v_add_f32_e32 v5, 0x358637bd, v2
	s_mov_b32 s1, 0
	s_delay_alu instid0(VALU_DEP_1) | instskip(SKIP_1) | instid1(VALU_DEP_2)
	v_div_scale_f32 v6, null, v5, v5, 1.0
	v_div_scale_f32 v13, vcc_lo, 1.0, v5, 1.0
	v_rcp_f32_e32 v7, v6
	s_delay_alu instid0(TRANS32_DEP_1) | instskip(NEXT) | instid1(VALU_DEP_1)
	v_fma_f32 v8, -v6, v7, 1.0
	v_fmac_f32_e32 v7, v8, v7
	s_delay_alu instid0(VALU_DEP_1) | instskip(NEXT) | instid1(VALU_DEP_1)
	v_mul_f32_e32 v8, v13, v7
	v_fma_f32 v14, -v6, v8, v13
	s_delay_alu instid0(VALU_DEP_1) | instskip(NEXT) | instid1(VALU_DEP_1)
	v_fmac_f32_e32 v8, v14, v7
	v_fma_f32 v6, -v6, v8, v13
	s_wait_alu 0xfffd
	s_delay_alu instid0(VALU_DEP_1) | instskip(NEXT) | instid1(VALU_DEP_1)
	v_div_fmas_f32 v6, v6, v7, v8
	v_div_fixup_f32 v5, v6, v5, 1.0
	v_mov_b32_e32 v6, v0
.LBB69_35:                              ; =>This Inner Loop Header: Depth=1
	ds_load_b32 v7, v4
	s_wait_dscnt 0x0
	v_dual_mul_f32 v7, v5, v7 :: v_dual_add_nc_u32 v6, 0x80, v6
	s_delay_alu instid0(VALU_DEP_1)
	v_cmp_le_i32_e32 vcc_lo, s25, v6
	ds_store_b32 v4, v7
	v_add_nc_u32_e32 v4, 0x200, v4
	s_wait_alu 0xfffe
	s_or_b32 s1, vcc_lo, s1
	s_wait_alu 0xfffe
	s_and_not1_b32 exec_lo, exec_lo, s1
	s_cbranch_execnz .LBB69_35
.LBB69_36:
	s_wait_alu 0xfffe
	s_or_b32 exec_lo, exec_lo, s0
	s_mul_i32 s0, s8, s26
	s_wait_loadcnt_dscnt 0x0
	s_wait_alu 0xfffe
	s_mul_i32 s26, s0, s27
	s_mov_b32 s0, exec_lo
	s_barrier_signal -1
	s_barrier_wait -1
	global_inv scope:SCOPE_SE
	v_cmpx_eq_u32_e32 0, v0
	s_cbranch_execz .LBB69_38
; %bb.37:
	s_ashr_i32 s27, s26, 31
	s_wait_alu 0xfffe
	s_mul_i32 s36, s8, ttmp9
	s_lshl_b32 s1, s30, 2
	s_lshl_b64 s[38:39], s[26:27], 2
	s_wait_alu 0xfffe
	s_ashr_i32 s37, s36, 31
	v_mov_b32_e32 v4, s1
	s_wait_kmcnt 0x0
	s_add_nc_u64 s[6:7], s[6:7], s[38:39]
	s_wait_alu 0xfffe
	s_lshl_b64 s[36:37], s[36:37], 2
	s_add_nc_u64 s[4:5], s[4:5], s[38:39]
	s_wait_alu 0xfffe
	s_add_nc_u64 s[6:7], s[6:7], s[36:37]
	s_add_nc_u64 s[4:5], s[4:5], s[36:37]
	s_clause 0x1
	global_store_b32 v4, v1, s[6:7]
	global_store_b32 v4, v2, s[4:5]
.LBB69_38:
	s_wait_alu 0xfffe
	s_or_b32 exec_lo, exec_lo, s0
	v_dual_mov_b32 v15, 0 :: v_dual_mov_b32 v14, 0
	v_mov_b32_e32 v13, 0
	s_and_saveexec_b32 s1, s2
	s_cbranch_execz .LBB69_50
; %bb.39:
	s_abs_i32 s2, s10
	s_ashr_i32 s25, s24, 31
	s_wait_alu 0xfffe
	s_cvt_f32_u32 s0, s2
	s_wait_kmcnt 0x0
	s_lshl_b64 s[6:7], s[22:23], 2
	v_dual_mov_b32 v13, 0 :: v_dual_lshlrev_b32 v2, 4, v12
	s_wait_alu 0xfffe
	v_rcp_iflag_f32_e32 v1, s0
	s_lshl_b64 s[22:23], s[24:25], 1
	s_add_nc_u64 s[6:7], s[20:21], s[6:7]
	s_add_nc_u64 s[20:21], s[28:29], s[22:23]
	s_wait_alu 0xfffe
	v_add_co_u32 v5, s6, s6, v3
	s_sub_co_i32 s5, 0, s2
	v_add_co_ci_u32_e64 v6, null, s7, 0, s6
	v_add_co_u32 v17, s6, s20, v2
	s_delay_alu instid0(TRANS32_DEP_1)
	v_readfirstlane_b32 s0, v1
	v_lshl_add_u32 v16, v9, 5, 0xe0
	s_wait_alu 0xf1ff
	v_add_co_ci_u32_e64 v18, null, s21, 0, s6
	v_dual_mov_b32 v14, 0 :: v_dual_mov_b32 v15, 0
	s_mul_f32 s0, s0, 0x4f7ffffe
	s_sub_co_i32 s3, s35, s9
	s_mov_b32 s4, s13
	s_add_co_i32 s34, s34, -1
	s_wait_alu 0xfffe
	s_cvt_u32_f32 s0, s0
	s_wait_alu 0xfffe
	s_delay_alu instid0(SALU_CYCLE_2)
	s_mul_i32 s5, s5, s0
	s_wait_alu 0xfffe
	s_mul_hi_u32 s6, s0, s5
	s_mov_b32 s5, 0
	s_wait_alu 0xfffe
	s_add_co_i32 s6, s0, s6
	s_branch .LBB69_42
.LBB69_40:                              ;   in Loop: Header=BB69_42 Depth=1
	s_wait_alu 0xfffe
	s_or_b32 exec_lo, exec_lo, s0
	v_lshlrev_b32_e32 v19, 16, v34
	v_lshlrev_b32_e32 v8, 16, v8
	;; [unrolled: 1-line block ×3, first 2 shown]
	s_delay_alu instid0(VALU_DEP_3) | instskip(NEXT) | instid1(VALU_DEP_3)
	v_and_or_b32 v1, 0xffff, v1, v19
	v_and_or_b32 v2, 0xffff, v2, v8
	s_delay_alu instid0(VALU_DEP_3)
	v_and_or_b32 v3, 0xffff, v3, v7
	;;#ASMSTART
	v_pk_mul_f16 v1, v27, v1;

	;;#ASMEND
	;;#ASMSTART
	v_pk_mul_f16 v2, v26, v2;

	;;#ASMEND
	;; [unrolled: 4-line block ×4, first 2 shown]
	;;#ASMSTART
	v_pk_add_f16 v1, v1, v2;

	;;#ASMEND
	;;#ASMSTART
	v_pk_add_f16 v1, v1, v3;

	;;#ASMEND
	;; [unrolled: 4-line block ×3, first 2 shown]
	v_and_b32_e32 v3, 0xffff, v1
	v_lshrrev_b32_e32 v4, 16, v1
	;;#ASMSTART
	v_cvt_f32_f16 v3, v3;
	;;#ASMEND
	v_add_f32_e32 v1, v32, v33
	v_add_f32_e32 v2, v28, v30
	;;#ASMSTART
	v_cvt_f32_f16 v4, v4;
	;;#ASMEND
	s_delay_alu instid0(VALU_DEP_2) | instskip(NEXT) | instid1(VALU_DEP_2)
	v_dual_add_f32 v3, v3, v4 :: v_dual_add_f32 v14, v14, v1
	v_add_f32_e32 v15, v15, v2
	s_delay_alu instid0(VALU_DEP_2)
	v_add_f32_e32 v13, v13, v3
.LBB69_41:                              ;   in Loop: Header=BB69_42 Depth=1
	s_wait_alu 0xfffe
	s_or_b32 exec_lo, exec_lo, s7
	v_add_nc_u32_e32 v11, 4, v11
	v_add_co_u32 v5, s0, v5, 16
	s_wait_alu 0xf1ff
	v_add_co_ci_u32_e64 v6, null, 0, v6, s0
	s_delay_alu instid0(VALU_DEP_3)
	v_cmp_le_i32_e32 vcc_lo, s19, v11
	v_add_nc_u32_e32 v10, 32, v10
	v_add_nc_u32_e32 v16, 0x80, v16
	s_or_b32 s5, vcc_lo, s5
	s_wait_alu 0xfffe
	s_and_not1_b32 exec_lo, exec_lo, s5
	s_cbranch_execz .LBB69_49
.LBB69_42:                              ; =>This Inner Loop Header: Depth=1
	v_sub_nc_u32_e32 v1, 0, v10
	s_delay_alu instid0(VALU_DEP_1) | instskip(NEXT) | instid1(VALU_DEP_1)
	v_max_i32_e32 v1, v10, v1
	v_mul_hi_u32 v2, v1, s18
	s_delay_alu instid0(VALU_DEP_1) | instskip(NEXT) | instid1(VALU_DEP_1)
	v_mul_lo_u32 v3, v2, s12
	v_sub_nc_u32_e32 v1, v1, v3
	v_add_nc_u32_e32 v3, 1, v2
	s_delay_alu instid0(VALU_DEP_2) | instskip(SKIP_2) | instid1(VALU_DEP_2)
	v_subrev_nc_u32_e32 v4, s12, v1
	v_cmp_le_u32_e32 vcc_lo, s12, v1
	s_wait_alu 0xfffd
	v_dual_cndmask_b32 v2, v2, v3 :: v_dual_cndmask_b32 v1, v1, v4
	v_ashrrev_i32_e32 v3, 31, v10
	s_delay_alu instid0(VALU_DEP_2) | instskip(NEXT) | instid1(VALU_DEP_3)
	v_add_nc_u32_e32 v4, 1, v2
	v_cmp_le_u32_e32 vcc_lo, s12, v1
	s_delay_alu instid0(VALU_DEP_3) | instskip(SKIP_1) | instid1(VALU_DEP_3)
	v_xor_b32_e32 v3, s11, v3
	s_wait_alu 0xfffd
	v_cndmask_b32_e32 v1, v2, v4, vcc_lo
	s_delay_alu instid0(VALU_DEP_1) | instskip(NEXT) | instid1(VALU_DEP_1)
	v_xor_b32_e32 v1, v1, v3
	v_sub_nc_u32_e32 v1, v1, v3
	s_delay_alu instid0(VALU_DEP_1) | instskip(SKIP_1) | instid1(VALU_DEP_2)
	v_add_nc_u32_e32 v2, s17, v1
	v_cmp_lt_i32_e64 s0, s3, v1
	v_sub_nc_u32_e32 v3, 0, v2
	s_delay_alu instid0(VALU_DEP_1) | instskip(SKIP_1) | instid1(VALU_DEP_1)
	v_max_i32_e32 v3, v2, v3
	s_wait_alu 0xfffe
	v_mul_hi_u32 v4, v3, s6
	s_delay_alu instid0(VALU_DEP_1) | instskip(NEXT) | instid1(VALU_DEP_1)
	v_mul_lo_u32 v4, v4, s2
	v_sub_nc_u32_e32 v3, v3, v4
	s_delay_alu instid0(VALU_DEP_1) | instskip(SKIP_2) | instid1(VALU_DEP_2)
	v_subrev_nc_u32_e32 v4, s2, v3
	v_cmp_le_u32_e32 vcc_lo, s2, v3
	s_wait_alu 0xfffd
	v_cndmask_b32_e32 v3, v3, v4, vcc_lo
	v_ashrrev_i32_e32 v2, 31, v2
	s_delay_alu instid0(VALU_DEP_2) | instskip(SKIP_2) | instid1(VALU_DEP_2)
	v_subrev_nc_u32_e32 v4, s2, v3
	v_cmp_le_u32_e32 vcc_lo, s2, v3
	s_wait_alu 0xfffd
	v_cndmask_b32_e32 v3, v3, v4, vcc_lo
	s_delay_alu instid0(VALU_DEP_1) | instskip(NEXT) | instid1(VALU_DEP_1)
	v_xor_b32_e32 v3, v3, v2
	v_sub_nc_u32_e32 v2, v3, v2
	s_delay_alu instid0(VALU_DEP_1)
	v_cmp_eq_u32_e32 vcc_lo, 0, v2
	s_or_b32 s0, vcc_lo, s0
	s_wait_alu 0xfffe
	s_and_saveexec_b32 s7, s0
	s_cbranch_execz .LBB69_41
; %bb.43:                               ;   in Loop: Header=BB69_42 Depth=1
	global_load_b32 v7, v[5:6], off
	ds_load_2addr_b64 v[1:4], v16 offset1:1
	ds_load_2addr_b64 v[19:22], v16 offset0:2 offset1:3
	v_add_nc_u32_e32 v25, 1, v10
	v_add_nc_u32_e32 v24, 2, v10
	;; [unrolled: 1-line block ×3, first 2 shown]
	s_wait_dscnt 0x1
	;;#ASMSTART
	v_cvt_f16_f32 v27, v1;

	;;#ASMEND
	;;#ASMSTART
	v_cvt_f16_f32 v26, v2;

	;;#ASMEND
	;; [unrolled: 4-line block ×4, first 2 shown]
	s_wait_dscnt 0x0
	;;#ASMSTART
	v_cvt_f16_f32 v33, v19;

	;;#ASMEND
	;;#ASMSTART
	v_cvt_f16_f32 v29, v20;

	;;#ASMEND
	;; [unrolled: 4-line block ×4, first 2 shown]
	v_add_nc_u32_e32 v21, 3, v10
	v_add_nc_u32_e32 v20, 4, v10
	;; [unrolled: 1-line block ×4, first 2 shown]
	s_wait_loadcnt 0x0
	v_mad_co_i64_i32 v[7:8], null, v7, s4, 0
	s_delay_alu instid0(VALU_DEP_1) | instskip(NEXT) | instid1(VALU_DEP_1)
	v_lshlrev_b64_e32 v[7:8], 1, v[7:8]
	v_add_co_u32 v7, vcc_lo, v17, v7
	s_wait_alu 0xfffd
	s_delay_alu instid0(VALU_DEP_2)
	v_add_co_ci_u32_e64 v8, null, v18, v8, vcc_lo
	v_cmp_eq_u32_e32 vcc_lo, s34, v11
	global_load_b128 v[1:4], v[7:8], off
	s_wait_loadcnt 0x0
	v_lshrrev_b32_e32 v36, 16, v1
	v_lshrrev_b32_e32 v35, 16, v2
	;; [unrolled: 1-line block ×3, first 2 shown]
	s_and_saveexec_b32 s9, vcc_lo
	s_cbranch_execz .LBB69_45
; %bb.44:                               ;   in Loop: Header=BB69_42 Depth=1
	v_cmp_gt_i32_e64 s0, s31, v10
	v_and_b32_e32 v37, 0xffff, v4
	v_and_b32_e32 v4, 0xffff0000, v4
	s_wait_alu 0xf1ff
	s_delay_alu instid0(VALU_DEP_3) | instskip(SKIP_2) | instid1(VALU_DEP_1)
	v_cndmask_b32_e64 v1, 0, v1, s0
	v_cmp_gt_i32_e64 s0, s31, v25
	s_wait_alu 0xf1ff
	v_cndmask_b32_e64 v36, 0, v36, s0
	v_cmp_gt_i32_e64 s0, s31, v24
	s_wait_alu 0xf1ff
	s_delay_alu instid0(VALU_DEP_1) | instskip(SKIP_2) | instid1(VALU_DEP_1)
	v_cndmask_b32_e64 v2, 0, v2, s0
	v_cmp_gt_i32_e64 s0, s31, v21
	s_wait_alu 0xf1ff
	v_cndmask_b32_e64 v35, 0, v35, s0
	v_cmp_gt_i32_e64 s0, s31, v22
	s_wait_alu 0xf1ff
	s_delay_alu instid0(VALU_DEP_1) | instskip(SKIP_2) | instid1(VALU_DEP_1)
	v_cndmask_b32_e64 v37, 0, v37, s0
	v_cmp_gt_i32_e64 s0, s31, v23
	s_wait_alu 0xf1ff
	v_cndmask_b32_e64 v4, 0, v4, s0
	v_cmp_gt_i32_e64 s0, s31, v20
	s_delay_alu instid0(VALU_DEP_2) | instskip(SKIP_1) | instid1(VALU_DEP_2)
	v_or_b32_e32 v4, v37, v4
	s_wait_alu 0xf1ff
	v_cndmask_b32_e64 v3, 0, v3, s0
	v_cmp_gt_i32_e64 s0, s31, v19
	s_wait_alu 0xf1ff
	s_delay_alu instid0(VALU_DEP_1)
	v_cndmask_b32_e64 v34, 0, v34, s0
.LBB69_45:                              ;   in Loop: Header=BB69_42 Depth=1
	s_or_b32 exec_lo, exec_lo, s9
	v_and_b32_e32 v27, 0xffff, v27
	v_and_b32_e32 v32, 0xffff, v32
	v_lshlrev_b32_e32 v36, 16, v36
	v_and_b32_e32 v33, 0xffff, v33
	v_and_b32_e32 v31, 0xffff, v31
	v_lshl_or_b32 v27, v26, 16, v27
	v_lshl_or_b32 v26, v30, 16, v32
	v_lshlrev_b32_e32 v30, 16, v35
	v_lshlrev_b32_e32 v32, 16, v34
	v_and_or_b32 v1, 0xffff, v1, v36
	;;#ASMSTART
	v_pk_mul_f16 v1, v27, v1;

	;;#ASMEND
	v_lshl_or_b32 v29, v29, 16, v33
	v_and_or_b32 v2, 0xffff, v2, v30
	v_and_or_b32 v3, 0xffff, v3, v32
	v_lshl_or_b32 v31, v28, 16, v31
	;;#ASMSTART
	v_pk_mul_f16 v2, v26, v2;

	;;#ASMEND
	;;#ASMSTART
	v_pk_mul_f16 v3, v29, v3;

	;;#ASMEND
	;; [unrolled: 4-line block ×3, first 2 shown]
	;;#ASMSTART
	v_pk_add_f16 v1, v1, v2;

	;;#ASMEND
	;;#ASMSTART
	v_pk_add_f16 v1, v1, v3;

	;;#ASMEND
	;; [unrolled: 4-line block ×3, first 2 shown]
	v_and_b32_e32 v2, 0xffff, v1
	v_lshrrev_b32_e32 v1, 16, v1
	;;#ASMSTART
	v_cvt_f32_f16 v28, v2;
	;;#ASMEND
	;;#ASMSTART
	v_cvt_f32_f16 v30, v1;
	;;#ASMEND
	global_load_b128 v[1:4], v[7:8], off offset:512
	s_wait_loadcnt 0x0
	v_lshrrev_b32_e32 v34, 16, v1
	v_lshrrev_b32_e32 v33, 16, v2
	;; [unrolled: 1-line block ×3, first 2 shown]
	s_and_saveexec_b32 s9, vcc_lo
	s_cbranch_execz .LBB69_47
; %bb.46:                               ;   in Loop: Header=BB69_42 Depth=1
	v_cmp_gt_i32_e64 s0, s31, v10
	v_and_b32_e32 v35, 0xffff, v4
	v_and_b32_e32 v4, 0xffff0000, v4
	s_wait_alu 0xf1ff
	s_delay_alu instid0(VALU_DEP_3) | instskip(SKIP_2) | instid1(VALU_DEP_1)
	v_cndmask_b32_e64 v1, 0, v1, s0
	v_cmp_gt_i32_e64 s0, s31, v25
	s_wait_alu 0xf1ff
	v_cndmask_b32_e64 v34, 0, v34, s0
	v_cmp_gt_i32_e64 s0, s31, v24
	s_wait_alu 0xf1ff
	s_delay_alu instid0(VALU_DEP_1) | instskip(SKIP_2) | instid1(VALU_DEP_1)
	v_cndmask_b32_e64 v2, 0, v2, s0
	v_cmp_gt_i32_e64 s0, s31, v21
	s_wait_alu 0xf1ff
	v_cndmask_b32_e64 v33, 0, v33, s0
	v_cmp_gt_i32_e64 s0, s31, v22
	s_wait_alu 0xf1ff
	s_delay_alu instid0(VALU_DEP_1) | instskip(SKIP_2) | instid1(VALU_DEP_1)
	v_cndmask_b32_e64 v35, 0, v35, s0
	v_cmp_gt_i32_e64 s0, s31, v23
	s_wait_alu 0xf1ff
	v_cndmask_b32_e64 v4, 0, v4, s0
	v_cmp_gt_i32_e64 s0, s31, v20
	s_delay_alu instid0(VALU_DEP_2) | instskip(SKIP_1) | instid1(VALU_DEP_2)
	v_or_b32_e32 v4, v35, v4
	s_wait_alu 0xf1ff
	v_cndmask_b32_e64 v3, 0, v3, s0
	v_cmp_gt_i32_e64 s0, s31, v19
	s_wait_alu 0xf1ff
	s_delay_alu instid0(VALU_DEP_1)
	v_cndmask_b32_e64 v32, 0, v32, s0
.LBB69_47:                              ;   in Loop: Header=BB69_42 Depth=1
	s_or_b32 exec_lo, exec_lo, s9
	v_lshlrev_b32_e32 v34, 16, v34
	v_lshlrev_b32_e32 v33, 16, v33
	s_delay_alu instid0(VALU_DEP_3) | instskip(NEXT) | instid1(VALU_DEP_3)
	v_lshlrev_b32_e32 v32, 16, v32
	v_and_or_b32 v1, 0xffff, v1, v34
	s_delay_alu instid0(VALU_DEP_3) | instskip(NEXT) | instid1(VALU_DEP_3)
	v_and_or_b32 v2, 0xffff, v2, v33
	v_and_or_b32 v3, 0xffff, v3, v32
	;;#ASMSTART
	v_pk_mul_f16 v1, v27, v1;

	;;#ASMEND
	;;#ASMSTART
	v_pk_mul_f16 v2, v26, v2;

	;;#ASMEND
	;; [unrolled: 4-line block ×4, first 2 shown]
	;;#ASMSTART
	v_pk_add_f16 v1, v1, v2;

	;;#ASMEND
	;;#ASMSTART
	v_pk_add_f16 v1, v1, v3;

	;;#ASMEND
	;; [unrolled: 4-line block ×3, first 2 shown]
	v_and_b32_e32 v2, 0xffff, v1
	v_lshrrev_b32_e32 v1, 16, v1
	;;#ASMSTART
	v_cvt_f32_f16 v32, v2;
	;;#ASMEND
	;;#ASMSTART
	v_cvt_f32_f16 v33, v1;
	;;#ASMEND
	global_load_b128 v[1:4], v[7:8], off offset:1024
	s_wait_loadcnt 0x0
	v_lshrrev_b32_e32 v34, 16, v1
	v_lshrrev_b32_e32 v8, 16, v2
	;; [unrolled: 1-line block ×3, first 2 shown]
	s_and_saveexec_b32 s0, vcc_lo
	s_cbranch_execz .LBB69_40
; %bb.48:                               ;   in Loop: Header=BB69_42 Depth=1
	v_cmp_gt_i32_e32 vcc_lo, s31, v10
	s_wait_alu 0xfffd
	v_cndmask_b32_e32 v1, 0, v1, vcc_lo
	v_cmp_gt_i32_e32 vcc_lo, s31, v25
	s_wait_alu 0xfffd
	v_cndmask_b32_e32 v34, 0, v34, vcc_lo
	v_cmp_gt_i32_e32 vcc_lo, s31, v24
	v_and_b32_e32 v24, 0xffff, v4
	v_and_b32_e32 v4, 0xffff0000, v4
	s_wait_alu 0xfffd
	v_cndmask_b32_e32 v2, 0, v2, vcc_lo
	v_cmp_gt_i32_e32 vcc_lo, s31, v21
	s_wait_alu 0xfffd
	v_cndmask_b32_e32 v8, 0, v8, vcc_lo
	v_cmp_gt_i32_e32 vcc_lo, s31, v22
	s_wait_alu 0xfffd
	v_cndmask_b32_e32 v21, 0, v24, vcc_lo
	v_cmp_gt_i32_e32 vcc_lo, s31, v23
	s_wait_alu 0xfffd
	v_cndmask_b32_e32 v4, 0, v4, vcc_lo
	v_cmp_gt_i32_e32 vcc_lo, s31, v20
	s_delay_alu instid0(VALU_DEP_2)
	v_or_b32_e32 v4, v21, v4
	s_wait_alu 0xfffd
	v_cndmask_b32_e32 v3, 0, v3, vcc_lo
	v_cmp_gt_i32_e32 vcc_lo, s31, v19
	s_wait_alu 0xfffd
	v_cndmask_b32_e32 v7, 0, v7, vcc_lo
	s_branch .LBB69_40
.LBB69_49:
	s_or_b32 exec_lo, exec_lo, s5
.LBB69_50:
	s_wait_alu 0xfffe
	s_or_b32 exec_lo, exec_lo, s1
	v_lshl_add_u32 v2, v12, 2, 0xe0
	v_and_b32_e32 v3, 0x3c0, v0
	s_mov_b32 s0, exec_lo
	s_wait_loadcnt 0x0
	s_wait_storecnt 0x0
	s_barrier_signal -1
	v_mad_u32_u24 v1, 0x180, v9, v2
	s_barrier_wait -1
	global_inv scope:SCOPE_SE
	v_cmpx_eq_u32_e32 64, v3
	s_cbranch_execz .LBB69_52
; %bb.51:
	v_add_nc_u32_e32 v3, 0xfffffd00, v1
	v_add_nc_u32_e32 v4, 0xfffffd80, v1
	v_add_nc_u32_e32 v5, 0xfffffe00, v1
	ds_store_b32 v3, v15
	ds_store_b32 v4, v14
	;; [unrolled: 1-line block ×3, first 2 shown]
.LBB69_52:
	s_wait_alu 0xfffe
	s_or_b32 exec_lo, exec_lo, s0
	s_delay_alu instid0(SALU_CYCLE_1)
	s_mov_b32 s0, exec_lo
	s_wait_loadcnt_dscnt 0x0
	s_barrier_signal -1
	s_barrier_wait -1
	global_inv scope:SCOPE_SE
	v_cmpx_gt_u32_e32 64, v0
	s_cbranch_execz .LBB69_54
; %bb.53:
	ds_load_2addr_b32 v[3:4], v1 offset1:32
	ds_load_b32 v5, v1 offset:256
	s_wait_dscnt 0x1
	v_dual_add_f32 v15, v15, v3 :: v_dual_add_f32 v14, v14, v4
	s_wait_dscnt 0x0
	v_add_f32_e32 v13, v13, v5
.LBB69_54:
	s_wait_alu 0xfffe
	s_or_b32 exec_lo, exec_lo, s0
	v_and_b32_e32 v3, 0x3e0, v0
	s_mov_b32 s0, exec_lo
	s_wait_loadcnt 0x0
	s_barrier_signal -1
	s_barrier_wait -1
	global_inv scope:SCOPE_SE
	v_cmpx_eq_u32_e32 32, v3
	s_cbranch_execz .LBB69_56
; %bb.55:
	ds_store_2addr_b32 v2, v15, v14 offset1:32
	ds_store_b32 v2, v13 offset:256
.LBB69_56:
	s_wait_alu 0xfffe
	s_or_b32 exec_lo, exec_lo, s0
	v_cmp_gt_u32_e32 vcc_lo, 32, v0
	s_wait_loadcnt_dscnt 0x0
	s_barrier_signal -1
	s_barrier_wait -1
	global_inv scope:SCOPE_SE
	s_and_saveexec_b32 s0, vcc_lo
	s_cbranch_execz .LBB69_58
; %bb.57:
	ds_load_2addr_b32 v[2:3], v1 offset1:32
	ds_load_b32 v1, v1 offset:256
	s_wait_dscnt 0x1
	v_dual_add_f32 v15, v15, v2 :: v_dual_add_f32 v14, v14, v3
	s_wait_dscnt 0x0
	v_add_f32_e32 v13, v13, v1
.LBB69_58:
	s_wait_alu 0xfffe
	s_or_b32 exec_lo, exec_lo, s0
	s_wait_loadcnt 0x0
	s_barrier_signal -1
	s_barrier_wait -1
	global_inv scope:SCOPE_SE
	s_and_saveexec_b32 s0, vcc_lo
	s_cbranch_execz .LBB69_60
; %bb.59:
	s_mul_i32 s0, s26, 0x60
	s_mul_i32 s2, s8, s16
	s_wait_alu 0xfffe
	s_ashr_i32 s1, s0, 31
	s_ashr_i32 s3, s2, 31
	s_wait_alu 0xfffe
	s_lshl_b64 s[0:1], s[0:1], 1
	s_lshl_b64 s[2:3], s[2:3], 1
	s_wait_kmcnt 0x0
	s_wait_alu 0xfffe
	s_add_nc_u64 s[0:1], s[14:15], s[0:1]
	v_lshlrev_b32_e32 v0, 1, v0
	s_mul_i32 s4, s30, 0xc0
	s_wait_alu 0xfffe
	s_add_nc_u64 s[0:1], s[0:1], s[2:3]
	s_mov_b32 s5, 0
	;;#ASMSTART
	v_cvt_f16_f32 v1, v15;

	;;#ASMEND
	s_wait_alu 0xfffe
	s_add_nc_u64 s[0:1], s[0:1], s[4:5]
	global_store_b16 v0, v1, s[0:1]
	;;#ASMSTART
	v_cvt_f16_f32 v1, v14;

	;;#ASMEND
	global_store_b16 v0, v1, s[0:1] offset:64
	;;#ASMSTART
	v_cvt_f16_f32 v1, v13;

	;;#ASMEND
	global_store_b16 v0, v1, s[0:1] offset:128
.LBB69_60:
	s_endpgm
	.section	.rodata,"a",@progbits
	.p2align	6, 0x0
	.amdhsa_kernel _ZN4vllm25paged_attention_v2_kernelIttLi96ELi8ELi128ELNS_18Fp8KVCacheDataTypeE0ELb1ELi512EEEvPfS2_PT_PKS3_PKT0_S9_ifPKiSB_iPKfiiiSD_SD_iiiii
		.amdhsa_group_segment_fixed_size 224
		.amdhsa_private_segment_fixed_size 0
		.amdhsa_kernarg_size 400
		.amdhsa_user_sgpr_count 2
		.amdhsa_user_sgpr_dispatch_ptr 0
		.amdhsa_user_sgpr_queue_ptr 0
		.amdhsa_user_sgpr_kernarg_segment_ptr 1
		.amdhsa_user_sgpr_dispatch_id 0
		.amdhsa_user_sgpr_private_segment_size 0
		.amdhsa_wavefront_size32 1
		.amdhsa_uses_dynamic_stack 0
		.amdhsa_enable_private_segment 0
		.amdhsa_system_sgpr_workgroup_id_x 1
		.amdhsa_system_sgpr_workgroup_id_y 1
		.amdhsa_system_sgpr_workgroup_id_z 1
		.amdhsa_system_sgpr_workgroup_info 0
		.amdhsa_system_vgpr_workitem_id 0
		.amdhsa_next_free_vgpr 63
		.amdhsa_next_free_sgpr 42
		.amdhsa_reserve_vcc 1
		.amdhsa_float_round_mode_32 0
		.amdhsa_float_round_mode_16_64 0
		.amdhsa_float_denorm_mode_32 3
		.amdhsa_float_denorm_mode_16_64 3
		.amdhsa_fp16_overflow 0
		.amdhsa_workgroup_processor_mode 1
		.amdhsa_memory_ordered 1
		.amdhsa_forward_progress 1
		.amdhsa_inst_pref_size 46
		.amdhsa_round_robin_scheduling 0
		.amdhsa_exception_fp_ieee_invalid_op 0
		.amdhsa_exception_fp_denorm_src 0
		.amdhsa_exception_fp_ieee_div_zero 0
		.amdhsa_exception_fp_ieee_overflow 0
		.amdhsa_exception_fp_ieee_underflow 0
		.amdhsa_exception_fp_ieee_inexact 0
		.amdhsa_exception_int_div_zero 0
	.end_amdhsa_kernel
	.section	.text._ZN4vllm25paged_attention_v2_kernelIttLi96ELi8ELi128ELNS_18Fp8KVCacheDataTypeE0ELb1ELi512EEEvPfS2_PT_PKS3_PKT0_S9_ifPKiSB_iPKfiiiSD_SD_iiiii,"axG",@progbits,_ZN4vllm25paged_attention_v2_kernelIttLi96ELi8ELi128ELNS_18Fp8KVCacheDataTypeE0ELb1ELi512EEEvPfS2_PT_PKS3_PKT0_S9_ifPKiSB_iPKfiiiSD_SD_iiiii,comdat
.Lfunc_end69:
	.size	_ZN4vllm25paged_attention_v2_kernelIttLi96ELi8ELi128ELNS_18Fp8KVCacheDataTypeE0ELb1ELi512EEEvPfS2_PT_PKS3_PKT0_S9_ifPKiSB_iPKfiiiSD_SD_iiiii, .Lfunc_end69-_ZN4vllm25paged_attention_v2_kernelIttLi96ELi8ELi128ELNS_18Fp8KVCacheDataTypeE0ELb1ELi512EEEvPfS2_PT_PKS3_PKT0_S9_ifPKiSB_iPKfiiiSD_SD_iiiii
                                        ; -- End function
	.set _ZN4vllm25paged_attention_v2_kernelIttLi96ELi8ELi128ELNS_18Fp8KVCacheDataTypeE0ELb1ELi512EEEvPfS2_PT_PKS3_PKT0_S9_ifPKiSB_iPKfiiiSD_SD_iiiii.num_vgpr, 63
	.set _ZN4vllm25paged_attention_v2_kernelIttLi96ELi8ELi128ELNS_18Fp8KVCacheDataTypeE0ELb1ELi512EEEvPfS2_PT_PKS3_PKT0_S9_ifPKiSB_iPKfiiiSD_SD_iiiii.num_agpr, 0
	.set _ZN4vllm25paged_attention_v2_kernelIttLi96ELi8ELi128ELNS_18Fp8KVCacheDataTypeE0ELb1ELi512EEEvPfS2_PT_PKS3_PKT0_S9_ifPKiSB_iPKfiiiSD_SD_iiiii.numbered_sgpr, 42
	.set _ZN4vllm25paged_attention_v2_kernelIttLi96ELi8ELi128ELNS_18Fp8KVCacheDataTypeE0ELb1ELi512EEEvPfS2_PT_PKS3_PKT0_S9_ifPKiSB_iPKfiiiSD_SD_iiiii.num_named_barrier, 0
	.set _ZN4vllm25paged_attention_v2_kernelIttLi96ELi8ELi128ELNS_18Fp8KVCacheDataTypeE0ELb1ELi512EEEvPfS2_PT_PKS3_PKT0_S9_ifPKiSB_iPKfiiiSD_SD_iiiii.private_seg_size, 0
	.set _ZN4vllm25paged_attention_v2_kernelIttLi96ELi8ELi128ELNS_18Fp8KVCacheDataTypeE0ELb1ELi512EEEvPfS2_PT_PKS3_PKT0_S9_ifPKiSB_iPKfiiiSD_SD_iiiii.uses_vcc, 1
	.set _ZN4vllm25paged_attention_v2_kernelIttLi96ELi8ELi128ELNS_18Fp8KVCacheDataTypeE0ELb1ELi512EEEvPfS2_PT_PKS3_PKT0_S9_ifPKiSB_iPKfiiiSD_SD_iiiii.uses_flat_scratch, 0
	.set _ZN4vllm25paged_attention_v2_kernelIttLi96ELi8ELi128ELNS_18Fp8KVCacheDataTypeE0ELb1ELi512EEEvPfS2_PT_PKS3_PKT0_S9_ifPKiSB_iPKfiiiSD_SD_iiiii.has_dyn_sized_stack, 0
	.set _ZN4vllm25paged_attention_v2_kernelIttLi96ELi8ELi128ELNS_18Fp8KVCacheDataTypeE0ELb1ELi512EEEvPfS2_PT_PKS3_PKT0_S9_ifPKiSB_iPKfiiiSD_SD_iiiii.has_recursion, 0
	.set _ZN4vllm25paged_attention_v2_kernelIttLi96ELi8ELi128ELNS_18Fp8KVCacheDataTypeE0ELb1ELi512EEEvPfS2_PT_PKS3_PKT0_S9_ifPKiSB_iPKfiiiSD_SD_iiiii.has_indirect_call, 0
	.section	.AMDGPU.csdata,"",@progbits
; Kernel info:
; codeLenInByte = 5864
; TotalNumSgprs: 44
; NumVgprs: 63
; ScratchSize: 0
; MemoryBound: 0
; FloatMode: 240
; IeeeMode: 1
; LDSByteSize: 224 bytes/workgroup (compile time only)
; SGPRBlocks: 0
; VGPRBlocks: 7
; NumSGPRsForWavesPerEU: 44
; NumVGPRsForWavesPerEU: 63
; Occupancy: 16
; WaveLimiterHint : 1
; COMPUTE_PGM_RSRC2:SCRATCH_EN: 0
; COMPUTE_PGM_RSRC2:USER_SGPR: 2
; COMPUTE_PGM_RSRC2:TRAP_HANDLER: 0
; COMPUTE_PGM_RSRC2:TGID_X_EN: 1
; COMPUTE_PGM_RSRC2:TGID_Y_EN: 1
; COMPUTE_PGM_RSRC2:TGID_Z_EN: 1
; COMPUTE_PGM_RSRC2:TIDIG_COMP_CNT: 0
	.section	.text._ZN4vllm32paged_attention_v2_reduce_kernelItLi96ELi128ELi512EEEvPT_PKfS4_PKS1_PKii,"axG",@progbits,_ZN4vllm32paged_attention_v2_reduce_kernelItLi96ELi128ELi512EEEvPT_PKfS4_PKS1_PKii,comdat
	.protected	_ZN4vllm32paged_attention_v2_reduce_kernelItLi96ELi128ELi512EEEvPT_PKfS4_PKS1_PKii ; -- Begin function _ZN4vllm32paged_attention_v2_reduce_kernelItLi96ELi128ELi512EEEvPT_PKfS4_PKS1_PKii
	.globl	_ZN4vllm32paged_attention_v2_reduce_kernelItLi96ELi128ELi512EEEvPT_PKfS4_PKS1_PKii
	.p2align	8
	.type	_ZN4vllm32paged_attention_v2_reduce_kernelItLi96ELi128ELi512EEEvPT_PKfS4_PKS1_PKii,@function
_ZN4vllm32paged_attention_v2_reduce_kernelItLi96ELi128ELi512EEEvPT_PKfS4_PKS1_PKii: ; @_ZN4vllm32paged_attention_v2_reduce_kernelItLi96ELi128ELi512EEEvPT_PKfS4_PKS1_PKii
; %bb.0:
	s_load_b128 s[4:7], s[0:1], 0x18
	s_mov_b32 s2, ttmp7
	s_ashr_i32 s3, ttmp7, 31
	s_add_nc_u64 s[8:9], s[0:1], 48
	s_lshl_b64 s[2:3], s[2:3], 2
	s_wait_kmcnt 0x0
	s_add_nc_u64 s[2:3], s[6:7], s[2:3]
	s_load_b32 s18, s[2:3], 0x0
	s_clause 0x2
	s_load_b64 s[6:7], s[0:1], 0x0
	s_load_b32 s14, s[0:1], 0x28
	s_load_b32 s15, s[0:1], 0x30
	s_wait_kmcnt 0x0
	s_add_co_i32 s2, s18, -1
	s_delay_alu instid0(SALU_CYCLE_1)
	s_cmp_gt_u32 s2, 0x1ff
	s_mov_b32 s2, -1
	s_cbranch_scc0 .LBB70_25
; %bb.1:
	s_add_co_i32 s2, s18, 0x1ff
	s_mul_i32 s16, s15, ttmp7
	s_ashr_i32 s3, s2, 31
	v_dual_mov_b32 v4, 0xff7fffff :: v_dual_lshlrev_b32 v3, 2, v0
	s_lshr_b32 s3, s3, 23
	s_mul_i32 s12, s16, s14
	s_add_co_i32 s2, s2, s3
	s_mul_i32 s10, s14, ttmp9
	s_ashr_i32 s17, s2, 9
	s_ashr_i32 s13, s12, 31
	v_cmp_gt_i32_e32 vcc_lo, s17, v0
	s_ashr_i32 s11, s10, 31
	s_and_saveexec_b32 s3, vcc_lo
	s_cbranch_execz .LBB70_5
; %bb.2:
	s_load_b64 s[20:21], s[0:1], 0x10
	s_load_b32 s2, s[8:9], 0xc
	s_lshl_b64 s[22:23], s[12:13], 2
	s_lshl_b64 s[24:25], s[10:11], 2
	v_dual_mov_b32 v4, 0xff7fffff :: v_dual_add_nc_u32 v5, 32, v3
	s_add_nc_u64 s[22:23], s[22:23], s[24:25]
	v_mov_b32_e32 v6, v0
	s_wait_kmcnt 0x0
	s_add_nc_u64 s[20:21], s[20:21], s[22:23]
	s_delay_alu instid0(SALU_CYCLE_1) | instskip(NEXT) | instid1(VALU_DEP_1)
	v_add_co_u32 v1, s19, s20, v3
	v_add_co_ci_u32_e64 v2, null, s21, 0, s19
	s_and_b32 s20, s2, 0xffff
	s_mov_b32 s19, 0
	s_wait_alu 0xfffe
	s_lshl_b32 s21, s20, 2
.LBB70_3:                               ; =>This Inner Loop Header: Depth=1
	global_load_b32 v7, v[1:2], off
	v_add_nc_u32_e32 v6, s20, v6
	v_max_num_f32_e32 v4, v4, v4
	s_wait_alu 0xfffe
	v_add_co_u32 v1, s2, v1, s21
	s_wait_alu 0xf1ff
	v_add_co_ci_u32_e64 v2, null, 0, v2, s2
	v_cmp_le_i32_e64 s2, s17, v6
	s_or_b32 s19, s2, s19
	s_wait_loadcnt 0x0
	v_max_num_f32_e32 v8, v7, v7
	ds_store_b32 v5, v7
	v_dual_max_num_f32 v4, v4, v8 :: v_dual_add_nc_u32 v5, s21, v5
	s_wait_alu 0xfffe
	s_and_not1_b32 exec_lo, exec_lo, s19
	s_cbranch_execnz .LBB70_3
; %bb.4:
	s_or_b32 exec_lo, exec_lo, s19
.LBB70_5:
	s_delay_alu instid0(SALU_CYCLE_1)
	s_or_b32 exec_lo, exec_lo, s3
	v_mbcnt_lo_u32_b32 v1, -1, 0
	s_load_b64 s[2:3], s[0:1], 0x8
	s_wait_dscnt 0x0
	s_barrier_signal -1
	s_barrier_wait -1
	v_xor_b32_e32 v2, 16, v1
	v_xor_b32_e32 v5, 8, v1
	global_inv scope:SCOPE_SE
	v_cmp_gt_i32_e64 s0, 32, v2
	s_delay_alu instid0(VALU_DEP_1) | instskip(SKIP_1) | instid1(VALU_DEP_2)
	v_cndmask_b32_e64 v2, v1, v2, s0
	v_cmp_gt_i32_e64 s0, 32, v5
	v_lshlrev_b32_e32 v6, 2, v2
	s_wait_alu 0xf1ff
	s_delay_alu instid0(VALU_DEP_2) | instskip(SKIP_3) | instid1(VALU_DEP_1)
	v_cndmask_b32_e64 v5, v1, v5, s0
	ds_bpermute_b32 v2, v6, v4
	v_dual_max_num_f32 v4, v4, v4 :: v_dual_lshlrev_b32 v7, 2, v5
	v_xor_b32_e32 v5, 4, v1
	v_cmp_gt_i32_e64 s0, 32, v5
	s_wait_alu 0xf1ff
	s_delay_alu instid0(VALU_DEP_1) | instskip(NEXT) | instid1(VALU_DEP_1)
	v_cndmask_b32_e64 v5, v1, v5, s0
	v_lshlrev_b32_e32 v8, 2, v5
	v_xor_b32_e32 v5, 2, v1
	s_wait_dscnt 0x0
	v_max_num_f32_e32 v2, v2, v2
	s_delay_alu instid0(VALU_DEP_2) | instskip(NEXT) | instid1(VALU_DEP_2)
	v_cmp_gt_i32_e64 s0, 32, v5
	v_max_num_f32_e32 v2, v4, v2
	s_wait_alu 0xf1ff
	s_delay_alu instid0(VALU_DEP_2) | instskip(SKIP_3) | instid1(VALU_DEP_1)
	v_cndmask_b32_e64 v5, v1, v5, s0
	ds_bpermute_b32 v4, v7, v2
	s_wait_dscnt 0x0
	v_max_num_f32_e32 v4, v4, v4
	v_max_num_f32_e32 v2, v2, v4
	ds_bpermute_b32 v4, v8, v2
	s_wait_dscnt 0x0
	v_dual_max_num_f32 v9, v4, v4 :: v_dual_lshlrev_b32 v4, 2, v5
	s_delay_alu instid0(VALU_DEP_1) | instskip(SKIP_4) | instid1(VALU_DEP_1)
	v_max_num_f32_e32 v2, v2, v9
	v_xor_b32_e32 v9, 1, v1
	ds_bpermute_b32 v5, v4, v2
	v_cmp_gt_i32_e64 s0, 32, v9
	s_wait_alu 0xf1ff
	v_cndmask_b32_e64 v1, v1, v9, s0
	v_lshrrev_b32_e32 v9, 5, v0
	s_delay_alu instid0(VALU_DEP_1) | instskip(SKIP_2) | instid1(VALU_DEP_1)
	v_lshlrev_b32_e32 v9, 2, v9
	s_wait_dscnt 0x0
	v_max_num_f32_e32 v5, v5, v5
	v_max_num_f32_e32 v2, v2, v5
	v_lshlrev_b32_e32 v5, 2, v1
	v_and_b32_e32 v1, 31, v0
	ds_bpermute_b32 v10, v5, v2
	v_cmp_eq_u32_e64 s0, 0, v1
	s_and_saveexec_b32 s1, s0
	s_cbranch_execz .LBB70_7
; %bb.6:
	s_wait_dscnt 0x0
	v_max_num_f32_e32 v10, v10, v10
	v_max_num_f32_e32 v2, v2, v2
	s_delay_alu instid0(VALU_DEP_1)
	v_max_num_f32_e32 v2, v2, v10
	ds_store_b32 v9, v2
.LBB70_7:
	s_wait_alu 0xfffe
	s_or_b32 exec_lo, exec_lo, s1
	v_cmp_gt_u32_e64 s1, 4, v1
	v_mov_b32_e32 v2, 0xff7fffff
	s_wait_dscnt 0x0
	v_lshlrev_b32_e32 v10, 2, v1
	s_wait_loadcnt 0x0
	s_barrier_signal -1
	s_barrier_wait -1
	global_inv scope:SCOPE_SE
	s_and_saveexec_b32 s19, s1
; %bb.8:
	ds_load_b32 v2, v10
; %bb.9:
	s_wait_alu 0xfffe
	s_or_b32 exec_lo, exec_lo, s19
	s_wait_dscnt 0x0
	ds_bpermute_b32 v1, v4, v2
	v_max_num_f32_e32 v2, v2, v2
	s_lshl_b32 s19, s17, 2
	v_mov_b32_e32 v11, 0
	s_wait_dscnt 0x0
	v_max_num_f32_e32 v1, v1, v1
	s_delay_alu instid0(VALU_DEP_1) | instskip(SKIP_3) | instid1(VALU_DEP_1)
	v_max_num_f32_e32 v1, v2, v1
	ds_bpermute_b32 v2, v5, v1
	s_wait_dscnt 0x0
	v_max_num_f32_e32 v2, v2, v2
	v_max_num_f32_e32 v1, v1, v2
	ds_bpermute_b32 v12, v11, v1
	s_and_saveexec_b32 s20, vcc_lo
	s_cbranch_execz .LBB70_13
; %bb.10:
	s_load_b32 s21, s[8:9], 0xc
	s_lshl_b64 s[22:23], s[12:13], 2
	s_lshl_b64 s[24:25], s[10:11], 2
	v_mov_b32_e32 v11, 0
	s_add_nc_u64 s[22:23], s[22:23], s[24:25]
	v_mov_b32_e32 v13, v0
	s_wait_kmcnt 0x0
	s_add_nc_u64 s[2:3], s[2:3], s[22:23]
	s_wait_alu 0xfffe
	v_add_co_u32 v1, s2, s2, v3
	s_wait_alu 0xf1ff
	v_add_co_ci_u32_e64 v2, null, s3, 0, s2
	v_add_nc_u32_e32 v3, 32, v3
	s_mov_b32 s3, 0
	s_and_b32 s11, s21, 0xffff
	s_delay_alu instid0(SALU_CYCLE_1)
	s_lshl_b32 s13, s11, 2
.LBB70_11:                              ; =>This Inner Loop Header: Depth=1
	global_load_b32 v14, v[1:2], off
	ds_load_b32 v15, v3
	v_add_nc_u32_e32 v13, s11, v13
	s_wait_dscnt 0x0
	v_sub_f32_e32 v15, v15, v12
	s_delay_alu instid0(VALU_DEP_1) | instskip(NEXT) | instid1(VALU_DEP_1)
	v_mul_f32_e32 v16, 0x3fb8aa3b, v15
	v_fma_f32 v17, 0x3fb8aa3b, v15, -v16
	v_rndne_f32_e32 v18, v16
	s_delay_alu instid0(VALU_DEP_1) | instskip(SKIP_1) | instid1(VALU_DEP_4)
	v_sub_f32_e32 v16, v16, v18
	v_cmp_ngt_f32_e32 vcc_lo, 0xc2ce8ed0, v15
	v_fmac_f32_e32 v17, 0x32a5705f, v15
	v_cmp_nlt_f32_e64 s2, 0x42b17218, v15
	s_delay_alu instid0(VALU_DEP_2) | instskip(SKIP_1) | instid1(VALU_DEP_2)
	v_add_f32_e32 v16, v16, v17
	v_cvt_i32_f32_e32 v17, v18
	v_exp_f32_e32 v16, v16
	s_delay_alu instid0(TRANS32_DEP_1) | instskip(SKIP_2) | instid1(VALU_DEP_2)
	v_ldexp_f32 v16, v16, v17
	v_add_nc_u32_e32 v17, s19, v3
	s_wait_alu 0xfffd
	v_dual_cndmask_b32 v16, 0, v16 :: v_dual_add_nc_u32 v3, s13, v3
	v_add_co_u32 v1, vcc_lo, v1, s13
	s_wait_alu 0xfffd
	v_add_co_ci_u32_e64 v2, null, 0, v2, vcc_lo
	s_wait_alu 0xf1ff
	v_cndmask_b32_e64 v15, 0x7f800000, v16, s2
	v_cmp_le_i32_e32 vcc_lo, s17, v13
	s_wait_alu 0xfffe
	s_or_b32 s3, vcc_lo, s3
	s_wait_loadcnt 0x0
	v_mul_f32_e32 v16, v14, v15
	v_fmac_f32_e32 v11, v14, v15
	ds_store_b32 v17, v16
	s_wait_alu 0xfffe
	s_and_not1_b32 exec_lo, exec_lo, s3
	s_cbranch_execnz .LBB70_11
; %bb.12:
	s_or_b32 exec_lo, exec_lo, s3
.LBB70_13:
	s_wait_alu 0xfffe
	s_or_b32 exec_lo, exec_lo, s20
	ds_bpermute_b32 v1, v6, v11
	s_wait_loadcnt_dscnt 0x0
	s_barrier_signal -1
	s_barrier_wait -1
	global_inv scope:SCOPE_SE
	v_add_f32_e32 v1, v11, v1
	ds_bpermute_b32 v2, v7, v1
	s_wait_dscnt 0x0
	v_add_f32_e32 v1, v1, v2
	ds_bpermute_b32 v2, v8, v1
	s_wait_dscnt 0x0
	v_add_f32_e32 v1, v1, v2
	ds_bpermute_b32 v2, v4, v1
	s_wait_dscnt 0x0
	v_add_f32_e32 v1, v1, v2
	ds_bpermute_b32 v2, v5, v1
	s_wait_dscnt 0x0
	v_add_f32_e32 v1, v1, v2
	s_wait_kmcnt 0x0
	s_and_saveexec_b32 s2, s0
; %bb.14:
	ds_store_b32 v9, v1 offset:16
; %bb.15:
	s_wait_alu 0xfffe
	s_or_b32 exec_lo, exec_lo, s2
	s_wait_loadcnt_dscnt 0x0
	s_barrier_signal -1
	s_barrier_wait -1
	global_inv scope:SCOPE_SE
	s_and_saveexec_b32 s0, s1
; %bb.16:
	ds_load_b32 v1, v10 offset:16
; %bb.17:
	s_wait_alu 0xfffe
	s_or_b32 exec_lo, exec_lo, s0
	s_wait_dscnt 0x0
	ds_bpermute_b32 v2, v4, v1
	s_mov_b32 s0, exec_lo
	s_wait_dscnt 0x0
	v_add_f32_e32 v1, v1, v2
	ds_bpermute_b32 v2, v5, v1
	s_wait_dscnt 0x0
	v_dual_add_f32 v1, v1, v2 :: v_dual_mov_b32 v2, 0
	ds_bpermute_b32 v2, v2, v1
	v_cmpx_gt_u32_e32 0x60, v0
	s_cbranch_execz .LBB70_24
; %bb.18:
	s_cmp_gt_i32 s18, 0
	s_mov_b32 s1, 0
	s_cbranch_scc1 .LBB70_20
; %bb.19:
	v_dual_mov_b32 v1, 0 :: v_dual_mov_b32 v4, 0
	s_wait_alu 0xfffe
	s_and_not1_b32 vcc_lo, exec_lo, s1
	s_wait_alu 0xfffe
	s_cbranch_vccz .LBB70_21
	s_branch .LBB70_23
.LBB70_20:
	v_mov_b32_e32 v4, 0
.LBB70_21:
	s_wait_dscnt 0x0
	v_add_f32_e32 v4, 0x358637bd, v2
	s_mul_i32 s2, s12, 0x60
	s_mulk_i32 s10, 0x60
	s_wait_alu 0xfffe
	s_ashr_i32 s3, s2, 31
	s_ashr_i32 s11, s10, 31
	v_div_scale_f32 v2, null, v4, v4, 1.0
	s_wait_alu 0xfffe
	s_lshl_b64 s[2:3], s[2:3], 1
	s_lshl_b64 s[10:11], s[10:11], 1
	s_wait_alu 0xfffe
	s_add_nc_u64 s[2:3], s[2:3], s[10:11]
	v_rcp_f32_e32 v3, v2
	s_wait_alu 0xfffe
	s_add_nc_u64 s[2:3], s[4:5], s[2:3]
	s_delay_alu instid0(TRANS32_DEP_1) | instskip(NEXT) | instid1(VALU_DEP_1)
	v_fma_f32 v1, -v2, v3, 1.0
	v_fmac_f32_e32 v3, v1, v3
	v_div_scale_f32 v5, vcc_lo, 1.0, v4, 1.0
	s_delay_alu instid0(VALU_DEP_1) | instskip(NEXT) | instid1(VALU_DEP_1)
	v_mul_f32_e32 v6, v5, v3
	v_fma_f32 v1, -v2, v6, v5
	s_delay_alu instid0(VALU_DEP_1) | instskip(NEXT) | instid1(VALU_DEP_1)
	v_dual_fmac_f32 v6, v1, v3 :: v_dual_mov_b32 v1, 0
	v_fma_f32 v2, -v2, v6, v5
	v_lshlrev_b32_e32 v5, 1, v0
	s_wait_alu 0xfffd
	s_delay_alu instid0(VALU_DEP_2) | instskip(SKIP_1) | instid1(VALU_DEP_2)
	v_div_fmas_f32 v6, v2, v3, v6
	s_wait_alu 0xfffe
	v_add_co_u32 v2, s1, s2, v5
	s_wait_alu 0xf1ff
	v_add_co_ci_u32_e64 v3, null, s3, 0, s1
	v_div_fixup_f32 v5, v6, v4, 1.0
	v_mov_b32_e32 v4, v1
	s_max_i32 s1, s17, 1
	s_add_co_i32 s2, s19, 32
.LBB70_22:                              ; =>This Inner Loop Header: Depth=1
	s_wait_alu 0xfffe
	v_mov_b32_e32 v6, s2
	global_load_u16 v7, v[2:3], off
	s_wait_loadcnt 0x0
	;;#ASMSTART
	v_cvt_f32_f16 v7, v7;
	;;#ASMEND
	v_add_co_u32 v2, vcc_lo, 0xc0, v2
	ds_load_b32 v6, v6
	s_wait_alu 0xfffd
	v_add_co_ci_u32_e64 v3, null, 0, v3, vcc_lo
	s_add_co_i32 s1, s1, -1
	s_add_co_i32 s2, s2, 4
	s_wait_alu 0xfffe
	s_cmp_eq_u32 s1, 0
	s_wait_dscnt 0x0
	v_mul_f32_e32 v6, v7, v6
	s_delay_alu instid0(VALU_DEP_1)
	v_fmac_f32_e32 v4, v5, v6
	s_cbranch_scc0 .LBB70_22
.LBB70_23:
	s_mul_i32 s2, s16, 0x60
	s_mul_i32 s10, ttmp9, 0x60
	s_wait_alu 0xfffe
	s_ashr_i32 s3, s2, 31
	s_ashr_i32 s11, s10, 31
	s_wait_alu 0xfffe
	s_lshl_b64 s[2:3], s[2:3], 1
	s_wait_dscnt 0x0
	v_lshlrev_b64_e32 v[1:2], 1, v[0:1]
	s_lshl_b64 s[10:11], s[10:11], 1
	s_wait_alu 0xfffe
	s_add_nc_u64 s[2:3], s[6:7], s[2:3]
	;;#ASMSTART
	v_cvt_f16_f32 v3, v4;

	;;#ASMEND
	s_wait_alu 0xfffe
	s_add_nc_u64 s[2:3], s[2:3], s[10:11]
	s_wait_alu 0xfffe
	v_add_co_u32 v1, vcc_lo, s2, v1
	s_wait_alu 0xfffd
	v_add_co_ci_u32_e64 v2, null, s3, v2, vcc_lo
	global_store_b16 v[1:2], v3, off
.LBB70_24:
	s_wait_alu 0xfffe
	s_or_b32 exec_lo, exec_lo, s0
	s_mov_b32 s2, 0
.LBB70_25:
	s_wait_alu 0xfffe
	s_and_b32 vcc_lo, exec_lo, s2
	s_wait_alu 0xfffe
	s_cbranch_vccz .LBB70_34
; %bb.26:
	s_mov_b32 s0, exec_lo
	v_cmpx_gt_u32_e32 0x60, v0
	s_cbranch_execz .LBB70_34
; %bb.27:
	s_load_b32 s0, s[8:9], 0xc
	s_mul_i32 s1, s15, ttmp7
	s_mul_i32 s8, ttmp9, 0x60
	s_wait_alu 0xfffe
	s_mul_i32 s12, s1, 0x60
	s_mul_i32 s2, s8, s14
	s_wait_alu 0xfffe
	s_mul_i32 s10, s12, s14
	v_cmp_gt_u32_e32 vcc_lo, 0x5d, v0
	s_ashr_i32 s9, s8, 31
	s_ashr_i32 s13, s12, 31
	;; [unrolled: 1-line block ×3, first 2 shown]
	s_wait_alu 0xfffe
	s_ashr_i32 s11, s10, 31
	s_wait_kmcnt 0x0
	s_and_b32 s1, s0, 0xffff
	s_wait_alu 0xfffe
	s_cmp_eq_u32 s1, 1
	s_cselect_b32 s0, -1, 0
	s_wait_alu 0xfffe
	s_and_b32 s15, vcc_lo, s0
	s_mov_b32 s0, -1
	s_and_saveexec_b32 s14, s15
	s_cbranch_execz .LBB70_31
; %bb.28:
	s_lshl_b64 s[16:17], s[10:11], 1
	s_lshl_b64 s[18:19], s[2:3], 1
	v_lshlrev_b32_e32 v1, 1, v0
	s_wait_alu 0xfffe
	s_add_nc_u64 s[16:17], s[16:17], s[18:19]
	s_lshl_b64 s[18:19], s[12:13], 1
	s_lshl_b64 s[20:21], s[8:9], 1
	s_wait_alu 0xfffe
	s_add_nc_u64 s[16:17], s[4:5], s[16:17]
	s_add_nc_u64 s[18:19], s[18:19], s[20:21]
	s_wait_dscnt 0x0
	s_wait_alu 0xfffe
	v_add_co_u32 v2, s0, s16, v1
	v_sub_nc_u32_e32 v5, 0x60, v0
	s_wait_alu 0xf1ff
	v_add_co_ci_u32_e64 v3, null, s17, 0, s0
	s_add_nc_u64 s[16:17], s[6:7], s[18:19]
	s_mov_b32 s15, 0
	s_wait_alu 0xfffe
	v_add_co_u32 v4, s0, s16, v1
	v_and_b32_e32 v6, 0x7c, v5
	s_wait_alu 0xf1ff
	v_add_co_ci_u32_e64 v7, null, s17, 0, s0
	v_add_co_u32 v1, vcc_lo, v2, 4
	s_wait_alu 0xfffd
	v_add_co_ci_u32_e64 v2, null, 0, v3, vcc_lo
	v_add_co_u32 v3, vcc_lo, v4, 4
	s_wait_alu 0xfffd
	v_add_co_ci_u32_e64 v4, null, 0, v7, vcc_lo
	v_mov_b32_e32 v7, v6
.LBB70_29:                              ; =>This Inner Loop Header: Depth=1
	global_load_b64 v[8:9], v[1:2], off offset:-4
	v_add_nc_u32_e32 v7, -4, v7
	v_add_co_u32 v1, vcc_lo, v1, 8
	s_wait_alu 0xfffd
	v_add_co_ci_u32_e64 v2, null, 0, v2, vcc_lo
	s_delay_alu instid0(VALU_DEP_3)
	v_cmp_eq_u32_e32 vcc_lo, 0, v7
	s_or_b32 s15, vcc_lo, s15
	s_wait_loadcnt 0x0
	global_store_b64 v[3:4], v[8:9], off offset:-4
	v_add_co_u32 v3, s0, v3, 8
	s_wait_alu 0xf1ff
	v_add_co_ci_u32_e64 v4, null, 0, v4, s0
	s_and_not1_b32 exec_lo, exec_lo, s15
	s_cbranch_execnz .LBB70_29
; %bb.30:
	s_or_b32 exec_lo, exec_lo, s15
	v_cmp_ne_u32_e32 vcc_lo, v5, v6
	v_add_nc_u32_e32 v0, v0, v6
	s_or_not1_b32 s0, vcc_lo, exec_lo
.LBB70_31:
	s_or_b32 exec_lo, exec_lo, s14
	s_wait_alu 0xfffe
	s_and_b32 exec_lo, exec_lo, s0
	s_cbranch_execz .LBB70_34
; %bb.32:
	s_lshl_b64 s[12:13], s[12:13], 1
	s_lshl_b64 s[10:11], s[10:11], 1
	s_wait_dscnt 0x0
	v_dual_mov_b32 v2, 0 :: v_dual_lshlrev_b32 v1, 1, v0
	s_lshl_b64 s[8:9], s[8:9], 1
	s_wait_alu 0xfffe
	s_add_nc_u64 s[6:7], s[6:7], s[12:13]
	s_add_nc_u64 s[4:5], s[4:5], s[10:11]
	s_lshl_b64 s[2:3], s[2:3], 1
	s_add_nc_u64 s[6:7], s[6:7], s[8:9]
	s_wait_alu 0xfffe
	s_add_nc_u64 s[2:3], s[4:5], s[2:3]
	s_mov_b32 s4, 0
	s_lshl_b32 s5, s1, 1
.LBB70_33:                              ; =>This Inner Loop Header: Depth=1
	s_wait_alu 0xfffe
	v_add_co_u32 v3, vcc_lo, s2, v1
	s_wait_alu 0xfffd
	v_add_co_ci_u32_e64 v4, null, s3, v2, vcc_lo
	v_add_nc_u32_e32 v0, s1, v0
	global_load_u16 v5, v[3:4], off
	v_add_co_u32 v3, vcc_lo, s6, v1
	s_wait_alu 0xfffd
	v_add_co_ci_u32_e64 v4, null, s7, v2, vcc_lo
	v_cmp_lt_u32_e32 vcc_lo, 0x5f, v0
	v_add_co_u32 v1, s0, v1, s5
	s_wait_alu 0xf1ff
	v_add_co_ci_u32_e64 v2, null, 0, v2, s0
	s_or_b32 s4, vcc_lo, s4
	s_wait_loadcnt 0x0
	global_store_b16 v[3:4], v5, off
	s_wait_alu 0xfffe
	s_and_not1_b32 exec_lo, exec_lo, s4
	s_cbranch_execnz .LBB70_33
.LBB70_34:
	s_endpgm
	.section	.rodata,"a",@progbits
	.p2align	6, 0x0
	.amdhsa_kernel _ZN4vllm32paged_attention_v2_reduce_kernelItLi96ELi128ELi512EEEvPT_PKfS4_PKS1_PKii
		.amdhsa_group_segment_fixed_size 32
		.amdhsa_private_segment_fixed_size 0
		.amdhsa_kernarg_size 304
		.amdhsa_user_sgpr_count 2
		.amdhsa_user_sgpr_dispatch_ptr 0
		.amdhsa_user_sgpr_queue_ptr 0
		.amdhsa_user_sgpr_kernarg_segment_ptr 1
		.amdhsa_user_sgpr_dispatch_id 0
		.amdhsa_user_sgpr_private_segment_size 0
		.amdhsa_wavefront_size32 1
		.amdhsa_uses_dynamic_stack 0
		.amdhsa_enable_private_segment 0
		.amdhsa_system_sgpr_workgroup_id_x 1
		.amdhsa_system_sgpr_workgroup_id_y 1
		.amdhsa_system_sgpr_workgroup_id_z 0
		.amdhsa_system_sgpr_workgroup_info 0
		.amdhsa_system_vgpr_workitem_id 0
		.amdhsa_next_free_vgpr 19
		.amdhsa_next_free_sgpr 26
		.amdhsa_reserve_vcc 1
		.amdhsa_float_round_mode_32 0
		.amdhsa_float_round_mode_16_64 0
		.amdhsa_float_denorm_mode_32 3
		.amdhsa_float_denorm_mode_16_64 3
		.amdhsa_fp16_overflow 0
		.amdhsa_workgroup_processor_mode 1
		.amdhsa_memory_ordered 1
		.amdhsa_forward_progress 1
		.amdhsa_inst_pref_size 20
		.amdhsa_round_robin_scheduling 0
		.amdhsa_exception_fp_ieee_invalid_op 0
		.amdhsa_exception_fp_denorm_src 0
		.amdhsa_exception_fp_ieee_div_zero 0
		.amdhsa_exception_fp_ieee_overflow 0
		.amdhsa_exception_fp_ieee_underflow 0
		.amdhsa_exception_fp_ieee_inexact 0
		.amdhsa_exception_int_div_zero 0
	.end_amdhsa_kernel
	.section	.text._ZN4vllm32paged_attention_v2_reduce_kernelItLi96ELi128ELi512EEEvPT_PKfS4_PKS1_PKii,"axG",@progbits,_ZN4vllm32paged_attention_v2_reduce_kernelItLi96ELi128ELi512EEEvPT_PKfS4_PKS1_PKii,comdat
.Lfunc_end70:
	.size	_ZN4vllm32paged_attention_v2_reduce_kernelItLi96ELi128ELi512EEEvPT_PKfS4_PKS1_PKii, .Lfunc_end70-_ZN4vllm32paged_attention_v2_reduce_kernelItLi96ELi128ELi512EEEvPT_PKfS4_PKS1_PKii
                                        ; -- End function
	.set _ZN4vllm32paged_attention_v2_reduce_kernelItLi96ELi128ELi512EEEvPT_PKfS4_PKS1_PKii.num_vgpr, 19
	.set _ZN4vllm32paged_attention_v2_reduce_kernelItLi96ELi128ELi512EEEvPT_PKfS4_PKS1_PKii.num_agpr, 0
	.set _ZN4vllm32paged_attention_v2_reduce_kernelItLi96ELi128ELi512EEEvPT_PKfS4_PKS1_PKii.numbered_sgpr, 26
	.set _ZN4vllm32paged_attention_v2_reduce_kernelItLi96ELi128ELi512EEEvPT_PKfS4_PKS1_PKii.num_named_barrier, 0
	.set _ZN4vllm32paged_attention_v2_reduce_kernelItLi96ELi128ELi512EEEvPT_PKfS4_PKS1_PKii.private_seg_size, 0
	.set _ZN4vllm32paged_attention_v2_reduce_kernelItLi96ELi128ELi512EEEvPT_PKfS4_PKS1_PKii.uses_vcc, 1
	.set _ZN4vllm32paged_attention_v2_reduce_kernelItLi96ELi128ELi512EEEvPT_PKfS4_PKS1_PKii.uses_flat_scratch, 0
	.set _ZN4vllm32paged_attention_v2_reduce_kernelItLi96ELi128ELi512EEEvPT_PKfS4_PKS1_PKii.has_dyn_sized_stack, 0
	.set _ZN4vllm32paged_attention_v2_reduce_kernelItLi96ELi128ELi512EEEvPT_PKfS4_PKS1_PKii.has_recursion, 0
	.set _ZN4vllm32paged_attention_v2_reduce_kernelItLi96ELi128ELi512EEEvPT_PKfS4_PKS1_PKii.has_indirect_call, 0
	.section	.AMDGPU.csdata,"",@progbits
; Kernel info:
; codeLenInByte = 2476
; TotalNumSgprs: 28
; NumVgprs: 19
; ScratchSize: 0
; MemoryBound: 0
; FloatMode: 240
; IeeeMode: 1
; LDSByteSize: 32 bytes/workgroup (compile time only)
; SGPRBlocks: 0
; VGPRBlocks: 2
; NumSGPRsForWavesPerEU: 28
; NumVGPRsForWavesPerEU: 19
; Occupancy: 16
; WaveLimiterHint : 0
; COMPUTE_PGM_RSRC2:SCRATCH_EN: 0
; COMPUTE_PGM_RSRC2:USER_SGPR: 2
; COMPUTE_PGM_RSRC2:TRAP_HANDLER: 0
; COMPUTE_PGM_RSRC2:TGID_X_EN: 1
; COMPUTE_PGM_RSRC2:TGID_Y_EN: 1
; COMPUTE_PGM_RSRC2:TGID_Z_EN: 0
; COMPUTE_PGM_RSRC2:TIDIG_COMP_CNT: 0
	.section	.text._ZN4vllm25paged_attention_v2_kernelIttLi112ELi8ELi128ELNS_18Fp8KVCacheDataTypeE0ELb1ELi512EEEvPfS2_PT_PKS3_PKT0_S9_ifPKiSB_iPKfiiiSD_SD_iiiii,"axG",@progbits,_ZN4vllm25paged_attention_v2_kernelIttLi112ELi8ELi128ELNS_18Fp8KVCacheDataTypeE0ELb1ELi512EEEvPfS2_PT_PKS3_PKT0_S9_ifPKiSB_iPKfiiiSD_SD_iiiii,comdat
	.protected	_ZN4vllm25paged_attention_v2_kernelIttLi112ELi8ELi128ELNS_18Fp8KVCacheDataTypeE0ELb1ELi512EEEvPfS2_PT_PKS3_PKT0_S9_ifPKiSB_iPKfiiiSD_SD_iiiii ; -- Begin function _ZN4vllm25paged_attention_v2_kernelIttLi112ELi8ELi128ELNS_18Fp8KVCacheDataTypeE0ELb1ELi512EEEvPfS2_PT_PKS3_PKT0_S9_ifPKiSB_iPKfiiiSD_SD_iiiii
	.globl	_ZN4vllm25paged_attention_v2_kernelIttLi112ELi8ELi128ELNS_18Fp8KVCacheDataTypeE0ELb1ELi512EEEvPfS2_PT_PKS3_PKT0_S9_ifPKiSB_iPKfiiiSD_SD_iiiii
	.p2align	8
	.type	_ZN4vllm25paged_attention_v2_kernelIttLi112ELi8ELi128ELNS_18Fp8KVCacheDataTypeE0ELb1ELi512EEEvPfS2_PT_PKS3_PKT0_S9_ifPKiSB_iPKfiiiSD_SD_iiiii,@function
_ZN4vllm25paged_attention_v2_kernelIttLi112ELi8ELi128ELNS_18Fp8KVCacheDataTypeE0ELb1ELi512EEEvPfS2_PT_PKS3_PKT0_S9_ifPKiSB_iPKfiiiSD_SD_iiiii: ; @_ZN4vllm25paged_attention_v2_kernelIttLi112ELi8ELi128ELNS_18Fp8KVCacheDataTypeE0ELb1ELi512EEEvPfS2_PT_PKS3_PKT0_S9_ifPKiSB_iPKfiiiSD_SD_iiiii
; %bb.0:
	s_load_b64 s[2:3], s[0:1], 0x40
	s_and_b32 s26, ttmp7, 0xffff
	s_lshr_b32 s30, ttmp7, 16
	s_lshl_b32 s4, s26, 2
	s_lshl_b32 s33, s30, 9
	s_wait_kmcnt 0x0
	s_load_b32 s31, s[2:3], s4 offset:0x0
	s_wait_kmcnt 0x0
	s_cmp_ge_i32 s33, s31
	s_cbranch_scc1 .LBB71_71
; %bb.1:
	s_clause 0x1
	s_load_b32 s27, s[0:1], 0x90
	s_load_b64 s[6:7], s[0:1], 0x30
	s_wait_kmcnt 0x0
	s_abs_i32 s5, s27
	s_abs_i32 s2, s6
	s_delay_alu instid0(SALU_CYCLE_1) | instskip(SKIP_1) | instid1(SALU_CYCLE_2)
	s_cvt_f32_u32 s3, s2
	s_sub_co_i32 s4, 0, s2
	v_rcp_iflag_f32_e32 v1, s3
	s_delay_alu instid0(TRANS32_DEP_1) | instskip(SKIP_2) | instid1(SALU_CYCLE_2)
	v_readfirstlane_b32 s3, v1
	s_mul_f32 s3, s3, 0x4f7ffffe
	s_wait_alu 0xfffe
	s_cvt_u32_f32 s3, s3
	s_wait_alu 0xfffe
	s_delay_alu instid0(SALU_CYCLE_2) | instskip(NEXT) | instid1(SALU_CYCLE_1)
	s_mul_i32 s4, s4, s3
	s_mul_hi_u32 s4, s3, s4
	s_delay_alu instid0(SALU_CYCLE_1)
	s_add_co_i32 s3, s3, s4
	s_xor_b32 s4, s27, s6
	s_wait_alu 0xfffe
	s_mul_hi_u32 s3, s5, s3
	s_ashr_i32 s4, s4, 31
	s_wait_alu 0xfffe
	s_mul_i32 s8, s3, s2
	s_delay_alu instid0(SALU_CYCLE_1)
	s_sub_co_i32 s5, s5, s8
	s_add_co_i32 s8, s3, 1
	s_sub_co_i32 s9, s5, s2
	s_cmp_ge_u32 s5, s2
	s_cselect_b32 s3, s8, s3
	s_cselect_b32 s5, s9, s5
	s_wait_alu 0xfffe
	s_add_co_i32 s8, s3, 1
	s_cmp_ge_u32 s5, s2
	s_cselect_b32 s2, s8, s3
	s_load_b64 s[8:9], s[0:1], 0x50
	s_xor_b32 s2, s2, s4
	s_mov_b32 s3, 0
	s_wait_alu 0xfffe
	s_sub_co_i32 s10, s2, s4
	s_mov_b32 s15, s3
	s_abs_i32 s18, s10
	s_delay_alu instid0(SALU_CYCLE_1) | instskip(SKIP_1) | instid1(SALU_CYCLE_2)
	s_cvt_f32_u32 s2, s18
	s_wait_alu 0xfffe
	v_rcp_iflag_f32_e32 v1, s2
	s_delay_alu instid0(TRANS32_DEP_1) | instskip(SKIP_2) | instid1(SALU_CYCLE_2)
	v_readfirstlane_b32 s2, v1
	s_mul_f32 s2, s2, 0x4f7ffffe
	s_wait_alu 0xfffe
	s_cvt_u32_f32 s4, s2
	s_sub_co_i32 s2, 0, s18
	s_wait_alu 0xfffe
	s_delay_alu instid0(SALU_CYCLE_1)
	s_mul_i32 s2, s2, s4
	s_wait_alu 0xfffe
	s_mul_hi_u32 s5, s4, s2
	s_abs_i32 s2, ttmp9
	s_add_co_i32 s4, s4, s5
	s_mov_b32 s5, s3
	s_wait_kmcnt 0x0
	s_cmp_eq_u64 s[8:9], 0
	s_cbranch_scc1 .LBB71_3
; %bb.2:
	s_mov_b32 s12, ttmp9
	s_ashr_i32 s13, ttmp9, 31
	s_delay_alu instid0(SALU_CYCLE_1) | instskip(NEXT) | instid1(SALU_CYCLE_1)
	s_lshl_b64 s[12:13], s[12:13], 2
	s_add_nc_u64 s[8:9], s[8:9], s[12:13]
	s_load_b32 s15, s[8:9], 0x0
.LBB71_3:
	s_load_b96 s[12:14], s[0:1], 0x58
	v_and_b32_e32 v1, 3, v0
	v_lshlrev_b32_e32 v2, 2, v0
	s_mul_u64 s[4:5], s[2:3], s[4:5]
	s_ashr_i32 s3, ttmp9, 31
	s_ashr_i32 s4, s10, 31
	s_mul_i32 s16, ttmp9, 0x70
	s_mov_b32 s8, exec_lo
	v_cmpx_gt_u32_e32 56, v0
	s_cbranch_execz .LBB71_5
; %bb.4:
	s_load_b64 s[10:11], s[0:1], 0x18
	s_wait_kmcnt 0x0
	s_mul_i32 s20, s12, s26
	s_ashr_i32 s17, s16, 31
	s_ashr_i32 s21, s20, 31
	v_and_b32_e32 v4, 0x3fc, v0
	s_lshl_b64 s[20:21], s[20:21], 1
	s_delay_alu instid0(VALU_DEP_1) | instskip(SKIP_2) | instid1(SALU_CYCLE_1)
	v_mad_u32_u24 v4, v1, 56, v4
	s_add_nc_u64 s[10:11], s[10:11], s[20:21]
	s_lshl_b64 s[20:21], s[16:17], 1
	s_add_nc_u64 s[10:11], s[10:11], s[20:21]
	global_load_b32 v3, v2, s[10:11]
	s_wait_loadcnt 0x0
	ds_store_b32 v4, v3
.LBB71_5:
	s_or_b32 exec_lo, exec_lo, s8
	s_clause 0x1
	s_load_b128 s[8:11], s[0:1], 0x78
	s_load_b32 s20, s[0:1], 0x88
	s_wait_kmcnt 0x0
	s_mul_i32 s12, s5, s18
	s_xor_b32 s3, s3, s4
	s_sub_co_i32 s2, s2, s12
	s_add_co_i32 s4, s5, 1
	s_wait_alu 0xfffe
	s_sub_co_i32 s12, s2, s18
	s_cmp_ge_u32 s2, s18
	s_mov_b32 s22, -1
	s_cselect_b32 s4, s4, s5
	s_cselect_b32 s2, s12, s2
	s_add_co_i32 s5, s4, 1
	s_wait_alu 0xfffe
	s_cmp_ge_u32 s2, s18
	s_wait_dscnt 0x0
	s_cselect_b32 s2, s5, s4
	s_add_co_i32 s21, s31, -1
	s_wait_alu 0xfffe
	s_xor_b32 s2, s2, s3
	s_barrier_signal -1
	s_wait_alu 0xfffe
	s_sub_co_i32 s24, s2, s3
	s_barrier_wait -1
	s_abs_i32 s12, s11
	global_inv scope:SCOPE_SE
	s_cvt_f32_u32 s4, s12
                                        ; implicit-def: $sgpr17
	s_delay_alu instid0(SALU_CYCLE_3) | instskip(NEXT) | instid1(TRANS32_DEP_1)
	v_rcp_iflag_f32_e32 v3, s4
	v_readfirstlane_b32 s4, v3
	s_mul_f32 s2, s4, 0x4f7ffffe
	s_wait_alu 0xfffe
	s_delay_alu instid0(SALU_CYCLE_2) | instskip(SKIP_2) | instid1(SALU_CYCLE_1)
	s_cvt_u32_f32 s4, s2
	s_sub_co_i32 s2, 0, s12
	s_wait_alu 0xfffe
	s_mul_i32 s3, s2, s4
	s_abs_i32 s2, s21
	s_wait_alu 0xfffe
	s_mul_hi_u32 s5, s4, s3
	s_mov_b32 s3, 0
	s_wait_alu 0xfffe
	s_add_co_i32 s18, s4, s5
	s_cmp_lt_i32 s20, 0
	s_mov_b32 s19, s3
	s_cbranch_scc0 .LBB71_7
; %bb.6:
	s_mul_i32 s4, s8, s6
	s_mov_b32 s22, s3
	s_wait_alu 0xfffe
	s_add_co_i32 s4, s24, s4
	s_wait_alu 0xfffe
	s_mul_i32 s4, s4, s20
	s_wait_alu 0xfffe
	s_sub_co_i32 s17, 1, s4
.LBB71_7:
	s_mul_u64 s[4:5], s[2:3], s[18:19]
	s_ashr_i32 s3, s21, 31
	s_and_not1_b32 vcc_lo, exec_lo, s22
	s_ashr_i32 s11, s11, 31
	s_cbranch_vccnz .LBB71_9
; %bb.8:
	s_mul_i32 s4, s27, s8
	s_wait_alu 0xfffe
	s_add_co_i32 s4, s4, ttmp9
	s_wait_alu 0xfffe
	s_mul_i32 s4, s4, s20
	s_wait_alu 0xfffe
	s_add_co_i32 s17, s4, 1
.LBB71_9:
	s_clause 0x2
	s_load_b32 s4, s[0:1], 0x48
	s_load_b64 s[20:21], s[0:1], 0x38
	s_load_b32 s8, s[0:1], 0x98
	s_mul_i32 s6, s5, s12
	s_xor_b32 s3, s3, s11
	s_sub_co_i32 s2, s2, s6
	s_add_co_i32 s19, s5, 1
	v_lshrrev_b32_e32 v9, 5, v0
	v_mbcnt_lo_u32_b32 v4, -1, 0
	s_mul_i32 s24, s24, s14
	s_delay_alu instid0(VALU_DEP_2)
	v_lshl_add_u32 v10, v9, 3, s33
	s_wait_kmcnt 0x0
	s_mul_i32 s22, s4, s26
	s_wait_alu 0xfffe
	s_sub_co_i32 s4, s2, s12
	s_ashr_i32 s23, s22, 31
	s_cmp_ge_u32 s2, s12
	s_cselect_b32 s5, s19, s5
	s_wait_alu 0xfffe
	s_cselect_b32 s2, s4, s2
	s_add_co_i32 s4, s5, 1
	s_wait_alu 0xfffe
	s_cmp_ge_u32 s2, s12
	s_cselect_b32 s2, s4, s5
	s_add_co_i32 s4, s31, 7
	s_lshl_b32 s36, s30, 6
	s_wait_alu 0xfffe
	s_ashr_i32 s5, s4, 31
	v_or_b32_e32 v11, s36, v9
	s_wait_alu 0xfffe
	s_lshr_b32 s5, s5, 29
	v_mov_b32_e32 v6, 0xff7fffff
	s_wait_alu 0xfffe
	s_add_co_i32 s4, s4, s5
	s_add_co_i32 s5, s36, 64
	s_wait_alu 0xfffe
	s_ashr_i32 s34, s4, 3
	s_xor_b32 s4, s2, s3
	s_min_i32 s19, s5, s34
	v_lshlrev_b32_e32 v3, 2, v11
	v_cmp_gt_i32_e64 s2, s19, v11
	s_wait_alu 0xfffe
	s_sub_co_i32 s35, s4, s3
	s_and_saveexec_b32 s6, s2
	s_cbranch_execz .LBB71_21
; %bb.10:
	s_ashr_i32 s25, s24, 31
	s_sub_co_i32 s14, s35, s9
	s_lshl_b64 s[4:5], s[24:25], 1
	s_cmp_neq_f32 s15, 0
	s_load_b64 s[38:39], s[0:1], 0x20
	v_bfe_u32 v5, v0, 2, 3
	v_mul_u32_u24_e32 v7, 56, v1
	s_cselect_b32 vcc_lo, -1, 0
	s_abs_i32 s25, s10
	v_dual_mov_b32 v19, v11 :: v_dual_and_b32 v2, 12, v2
	s_cvt_f32_u32 s3, s25
	v_lshlrev_b32_e32 v8, 2, v5
	v_mov_b32_e32 v16, 0xff7fffff
	s_lshl_b64 s[40:41], s[22:23], 2
	s_wait_alu 0xfffe
	v_rcp_iflag_f32_e32 v6, s3
	v_cmp_eq_u32_e64 s3, 0, v1
	v_lshlrev_b32_e32 v1, 4, v5
	v_subrev_nc_u32_e32 v14, s31, v5
	s_add_nc_u64 s[40:41], s[20:21], s[40:41]
	s_sub_co_i32 s37, 0, s25
	v_lshl_add_u32 v13, v9, 3, s33
	v_xor_b32_e32 v17, 2, v4
	v_add_nc_u32_e32 v14, 1, v14
	s_wait_kmcnt 0x0
	s_add_nc_u64 s[4:5], s[38:39], s[4:5]
	v_readfirstlane_b32 s29, v6
	s_wait_alu 0xfffe
	v_add_co_u32 v1, s4, s4, v1
	s_wait_alu 0xf1ff
	v_add_co_ci_u32_e64 v12, null, s5, 0, s4
	s_mul_f32 s29, s29, 0x4f7ffffe
	v_lshl_or_b32 v6, v9, 5, v8
	v_add_co_u32 v8, s4, v1, v2
	s_delay_alu instid0(SALU_CYCLE_1)
	s_cvt_u32_f32 s5, s29
	s_wait_alu 0xf1ff
	v_add_co_ci_u32_e64 v12, null, 0, v12, s4
	v_add_co_u32 v1, s4, s40, v3
	s_wait_alu 0xfffe
	s_mul_i32 s37, s37, s5
	v_add_co_ci_u32_e64 v2, null, s41, 0, s4
	v_add_nc_u32_e32 v15, 0x100, v6
	v_xor_b32_e32 v18, 1, v4
	v_mov_b32_e32 v6, 0xff7fffff
	s_wait_alu 0xfffe
	s_mul_hi_u32 s4, s5, s37
	s_mov_b32 s28, 0
	s_mov_b32 s29, s13
	s_wait_alu 0xfffe
	s_add_co_i32 s37, s5, s4
	s_branch .LBB71_13
.LBB71_11:                              ;   in Loop: Header=BB71_13 Depth=1
	s_or_b32 exec_lo, exec_lo, s38
.LBB71_12:                              ;   in Loop: Header=BB71_13 Depth=1
	s_wait_alu 0xfffe
	s_or_b32 exec_lo, exec_lo, s5
	v_add_nc_u32_e32 v19, 4, v19
	v_add_co_u32 v1, s5, v1, 16
	s_wait_alu 0xf1ff
	v_add_co_ci_u32_e64 v2, null, 0, v2, s5
	s_delay_alu instid0(VALU_DEP_3)
	v_cmp_le_i32_e64 s4, s19, v19
	v_add_nc_u32_e32 v13, 32, v13
	v_add_nc_u32_e32 v15, 0x80, v15
	s_or_b32 s28, s4, s28
	s_wait_alu 0xfffe
	s_and_not1_b32 exec_lo, exec_lo, s28
	s_cbranch_execz .LBB71_20
.LBB71_13:                              ; =>This Inner Loop Header: Depth=1
	v_sub_nc_u32_e32 v20, 0, v13
	s_delay_alu instid0(VALU_DEP_1) | instskip(SKIP_1) | instid1(VALU_DEP_1)
	v_max_i32_e32 v20, v13, v20
	s_wait_dscnt 0x0
	v_mul_hi_u32 v21, v20, s18
	s_delay_alu instid0(VALU_DEP_1) | instskip(NEXT) | instid1(VALU_DEP_1)
	v_mul_lo_u32 v22, v21, s12
	v_sub_nc_u32_e32 v20, v20, v22
	v_add_nc_u32_e32 v22, 1, v21
	s_delay_alu instid0(VALU_DEP_2) | instskip(SKIP_2) | instid1(VALU_DEP_1)
	v_subrev_nc_u32_e32 v23, s12, v20
	v_cmp_le_u32_e64 s4, s12, v20
	s_wait_alu 0xf1ff
	v_cndmask_b32_e64 v21, v21, v22, s4
	s_delay_alu instid0(VALU_DEP_3) | instskip(SKIP_1) | instid1(VALU_DEP_3)
	v_cndmask_b32_e64 v20, v20, v23, s4
	v_ashrrev_i32_e32 v22, 31, v13
	v_add_nc_u32_e32 v23, 1, v21
	s_delay_alu instid0(VALU_DEP_3) | instskip(NEXT) | instid1(VALU_DEP_3)
	v_cmp_le_u32_e64 s4, s12, v20
	v_xor_b32_e32 v22, s11, v22
	s_wait_alu 0xf1ff
	s_delay_alu instid0(VALU_DEP_2) | instskip(NEXT) | instid1(VALU_DEP_1)
	v_cndmask_b32_e64 v20, v21, v23, s4
	v_xor_b32_e32 v20, v20, v22
	s_delay_alu instid0(VALU_DEP_1) | instskip(NEXT) | instid1(VALU_DEP_1)
	v_sub_nc_u32_e32 v20, v20, v22
	v_add_nc_u32_e32 v21, s17, v20
	v_cmp_ge_i32_e64 s5, s14, v20
	s_delay_alu instid0(VALU_DEP_2) | instskip(NEXT) | instid1(VALU_DEP_1)
	v_sub_nc_u32_e32 v22, 0, v21
	v_max_i32_e32 v22, v21, v22
	v_ashrrev_i32_e32 v21, 31, v21
	s_wait_alu 0xfffe
	s_delay_alu instid0(VALU_DEP_2) | instskip(NEXT) | instid1(VALU_DEP_1)
	v_mul_hi_u32 v23, v22, s37
	v_mul_lo_u32 v23, v23, s25
	s_delay_alu instid0(VALU_DEP_1) | instskip(NEXT) | instid1(VALU_DEP_1)
	v_sub_nc_u32_e32 v22, v22, v23
	v_subrev_nc_u32_e32 v23, s25, v22
	v_cmp_le_u32_e64 s4, s25, v22
	s_wait_alu 0xf1ff
	s_delay_alu instid0(VALU_DEP_1) | instskip(NEXT) | instid1(VALU_DEP_1)
	v_cndmask_b32_e64 v22, v22, v23, s4
	v_subrev_nc_u32_e32 v23, s25, v22
	v_cmp_le_u32_e64 s4, s25, v22
	s_wait_alu 0xf1ff
	s_delay_alu instid0(VALU_DEP_1) | instskip(NEXT) | instid1(VALU_DEP_1)
	v_cndmask_b32_e64 v22, v22, v23, s4
	v_xor_b32_e32 v22, v22, v21
	s_delay_alu instid0(VALU_DEP_1) | instskip(NEXT) | instid1(VALU_DEP_1)
	v_sub_nc_u32_e32 v21, v22, v21
	v_cmp_ne_u32_e64 s4, 0, v21
	s_and_b32 s4, s4, s5
	s_wait_alu 0xfffe
	s_and_saveexec_b32 s5, s4
	s_wait_alu 0xfffe
	s_xor_b32 s4, exec_lo, s5
	s_cbranch_execz .LBB71_17
; %bb.14:                               ;   in Loop: Header=BB71_13 Depth=1
	s_and_saveexec_b32 s5, s3
; %bb.15:                               ;   in Loop: Header=BB71_13 Depth=1
	ds_store_b32 v15, v16
; %bb.16:                               ;   in Loop: Header=BB71_13 Depth=1
	s_wait_alu 0xfffe
	s_or_b32 exec_lo, exec_lo, s5
.LBB71_17:                              ;   in Loop: Header=BB71_13 Depth=1
	s_wait_alu 0xfffe
	s_and_not1_saveexec_b32 s5, s4
	s_cbranch_execz .LBB71_12
; %bb.18:                               ;   in Loop: Header=BB71_13 Depth=1
	global_load_b32 v20, v[1:2], off
	s_wait_loadcnt 0x0
	v_mad_co_i64_i32 v[20:21], null, v20, s29, 0
	s_delay_alu instid0(VALU_DEP_1) | instskip(NEXT) | instid1(VALU_DEP_1)
	v_lshlrev_b64_e32 v[20:21], 1, v[20:21]
	v_add_co_u32 v20, s4, v8, v20
	s_wait_alu 0xf1ff
	s_delay_alu instid0(VALU_DEP_2)
	v_add_co_ci_u32_e64 v21, null, v12, v21, s4
	v_cmp_gt_i32_e64 s4, 32, v17
	s_clause 0xb
	global_load_b32 v22, v[20:21], off
	global_load_b32 v23, v[20:21], off offset:128
	global_load_b32 v24, v[20:21], off offset:256
	;; [unrolled: 1-line block ×11, first 2 shown]
	ds_load_b32 v33, v7
	s_wait_dscnt 0x0
	v_lshrrev_b32_e32 v35, 16, v33
	v_and_b32_e32 v33, 0xffff, v33
	s_wait_loadcnt 0xb
	v_lshrrev_b32_e32 v36, 16, v22
	v_and_b32_e32 v37, 0xffff, v22
	s_clause 0x1
	global_load_b32 v22, v[20:21], off offset:1536
	global_load_b32 v20, v[20:21], off offset:1664
	;;#ASMSTART
	v_cvt_f32_f16 v21, v33;
	;;#ASMEND
	;;#ASMSTART
	v_cvt_f32_f16 v33, v35;
	;;#ASMEND
	;; [unrolled: 3-line block ×4, first 2 shown]
	ds_load_b32 v37, v7 offset:4
	s_wait_loadcnt 0xc
	v_and_b32_e32 v39, 0xffff, v23
	v_lshrrev_b32_e32 v40, 16, v23
	s_wait_loadcnt 0xb
	v_lshrrev_b32_e32 v43, 16, v24
	s_wait_loadcnt 0xa
	v_and_b32_e32 v45, 0xffff, v25
	v_lshrrev_b32_e32 v46, 16, v25
	s_wait_loadcnt 0x9
	v_lshrrev_b32_e32 v49, 16, v26
	;; [unrolled: 5-line block ×5, first 2 shown]
	s_wait_dscnt 0x0
	v_and_b32_e32 v38, 0xffff, v37
	v_lshrrev_b32_e32 v37, 16, v37
	;;#ASMSTART
	v_cvt_f32_f16 v23, v38;
	;;#ASMEND
	;;#ASMSTART
	v_cvt_f32_f16 v37, v37;
	;;#ASMEND
	;; [unrolled: 3-line block ×4, first 2 shown]
	ds_load_b32 v40, v7 offset:8
	v_dual_mul_f32 v23, v23, v38 :: v_dual_and_b32 v42, 0xffff, v24
	v_dual_mul_f32 v37, v37, v39 :: v_dual_and_b32 v48, 0xffff, v26
	s_wait_loadcnt 0x2
	v_lshrrev_b32_e32 v38, 16, v34
	s_delay_alu instid0(VALU_DEP_3) | instskip(NEXT) | instid1(VALU_DEP_3)
	v_fmac_f32_e32 v23, v21, v35
	v_fmac_f32_e32 v37, v33, v36
	s_wait_dscnt 0x0
	v_and_b32_e32 v41, 0xffff, v40
	v_lshrrev_b32_e32 v40, 16, v40
	;;#ASMSTART
	v_cvt_f32_f16 v24, v41;
	;;#ASMEND
	;;#ASMSTART
	v_cvt_f32_f16 v40, v40;
	;;#ASMEND
	;; [unrolled: 3-line block ×4, first 2 shown]
	ds_load_b32 v43, v7 offset:12
	v_dual_fmac_f32 v23, v24, v41 :: v_dual_and_b32 v54, 0xffff, v28
	s_wait_dscnt 0x0
	v_dual_fmac_f32 v37, v40, v42 :: v_dual_and_b32 v44, 0xffff, v43
	v_lshrrev_b32_e32 v43, 16, v43
	;;#ASMSTART
	v_cvt_f32_f16 v25, v44;
	;;#ASMEND
	;;#ASMSTART
	v_cvt_f32_f16 v43, v43;
	;;#ASMEND
	;;#ASMSTART
	v_cvt_f32_f16 v44, v45;
	;;#ASMEND
	;;#ASMSTART
	v_cvt_f32_f16 v45, v46;
	;;#ASMEND
	ds_load_b32 v46, v7 offset:16
	v_dual_fmac_f32 v37, v43, v45 :: v_dual_and_b32 v60, 0xffff, v30
	v_fmac_f32_e32 v23, v25, v44
	s_wait_dscnt 0x0
	v_and_b32_e32 v47, 0xffff, v46
	v_lshrrev_b32_e32 v46, 16, v46
	;;#ASMSTART
	v_cvt_f32_f16 v26, v47;
	;;#ASMEND
	;;#ASMSTART
	v_cvt_f32_f16 v46, v46;
	;;#ASMEND
	;; [unrolled: 3-line block ×4, first 2 shown]
	ds_load_b32 v49, v7 offset:20
	v_dual_fmac_f32 v37, v46, v48 :: v_dual_and_b32 v34, 0xffff, v34
	s_wait_dscnt 0x0
	v_dual_fmac_f32 v23, v26, v47 :: v_dual_and_b32 v50, 0xffff, v49
	v_lshrrev_b32_e32 v49, 16, v49
	;;#ASMSTART
	v_cvt_f32_f16 v27, v50;
	;;#ASMEND
	;;#ASMSTART
	v_cvt_f32_f16 v49, v49;
	;;#ASMEND
	;; [unrolled: 3-line block ×4, first 2 shown]
	ds_load_b32 v52, v7 offset:24
	v_dual_fmac_f32 v23, v27, v50 :: v_dual_and_b32 v66, 0xffff, v32
	v_fmac_f32_e32 v37, v49, v51
	s_wait_dscnt 0x0
	v_and_b32_e32 v53, 0xffff, v52
	v_lshrrev_b32_e32 v52, 16, v52
	;;#ASMSTART
	v_cvt_f32_f16 v28, v53;
	;;#ASMEND
	;;#ASMSTART
	v_cvt_f32_f16 v52, v52;
	;;#ASMEND
	;; [unrolled: 3-line block ×4, first 2 shown]
	ds_load_b32 v55, v7 offset:28
	s_wait_dscnt 0x0
	v_dual_fmac_f32 v23, v28, v53 :: v_dual_and_b32 v56, 0xffff, v55
	v_lshrrev_b32_e32 v55, 16, v55
	;;#ASMSTART
	v_cvt_f32_f16 v29, v56;
	;;#ASMEND
	;;#ASMSTART
	v_cvt_f32_f16 v55, v55;
	;;#ASMEND
	;;#ASMSTART
	v_cvt_f32_f16 v56, v57;
	;;#ASMEND
	;;#ASMSTART
	v_cvt_f32_f16 v57, v58;
	;;#ASMEND
	ds_load_b32 v58, v7 offset:32
	v_fmac_f32_e32 v23, v29, v56
	s_wait_alu 0xf1ff
	v_cndmask_b32_e64 v29, v4, v17, s4
	v_cmp_gt_i32_e64 s4, 32, v18
	s_wait_dscnt 0x0
	v_and_b32_e32 v59, 0xffff, v58
	v_lshrrev_b32_e32 v58, 16, v58
	;;#ASMSTART
	v_cvt_f32_f16 v30, v59;
	;;#ASMEND
	;;#ASMSTART
	v_cvt_f32_f16 v58, v58;
	;;#ASMEND
	;; [unrolled: 3-line block ×4, first 2 shown]
	ds_load_b32 v61, v7 offset:36
	s_wait_dscnt 0x0
	v_dual_fmac_f32 v23, v30, v59 :: v_dual_and_b32 v62, 0xffff, v61
	v_lshrrev_b32_e32 v61, 16, v61
	;;#ASMSTART
	v_cvt_f32_f16 v31, v62;
	;;#ASMEND
	;;#ASMSTART
	v_cvt_f32_f16 v61, v61;
	;;#ASMEND
	;;#ASMSTART
	v_cvt_f32_f16 v62, v63;
	;;#ASMEND
	;;#ASMSTART
	v_cvt_f32_f16 v63, v64;
	;;#ASMEND
	ds_load_b32 v64, v7 offset:40
	v_fmac_f32_e32 v23, v31, v62
	s_wait_dscnt 0x0
	v_and_b32_e32 v65, 0xffff, v64
	v_lshrrev_b32_e32 v64, 16, v64
	;;#ASMSTART
	v_cvt_f32_f16 v32, v65;
	;;#ASMEND
	;;#ASMSTART
	v_cvt_f32_f16 v64, v64;
	;;#ASMEND
	;;#ASMSTART
	v_cvt_f32_f16 v65, v66;
	;;#ASMEND
	;;#ASMSTART
	v_cvt_f32_f16 v66, v67;
	;;#ASMEND
	ds_load_b32 v67, v7 offset:44
	v_fmac_f32_e32 v23, v32, v65
	s_wait_dscnt 0x0
	v_and_b32_e32 v21, 0xffff, v67
	;; [unrolled: 17-line block ×3, first 2 shown]
	v_lshrrev_b32_e32 v26, 16, v35
	s_wait_loadcnt 0x1
	v_and_b32_e32 v28, 0xffff, v22
	v_fmac_f32_e32 v37, v52, v54
	v_lshrrev_b32_e32 v27, 16, v22
	;;#ASMSTART
	v_cvt_f32_f16 v22, v25;
	;;#ASMEND
	;;#ASMSTART
	v_cvt_f32_f16 v25, v26;
	;;#ASMEND
	;;#ASMSTART
	v_cvt_f32_f16 v26, v28;
	;;#ASMEND
	v_fmac_f32_e32 v37, v55, v57
	;;#ASMSTART
	v_cvt_f32_f16 v27, v27;
	;;#ASMEND
	ds_load_b32 v28, v7 offset:52
	v_fmac_f32_e32 v23, v22, v26
	s_wait_loadcnt 0x0
	v_lshrrev_b32_e32 v30, 16, v20
	v_fmac_f32_e32 v37, v58, v60
	s_delay_alu instid0(VALU_DEP_1) | instskip(NEXT) | instid1(VALU_DEP_1)
	v_fmac_f32_e32 v37, v61, v63
	v_fmac_f32_e32 v37, v64, v66
	s_delay_alu instid0(VALU_DEP_1) | instskip(SKIP_3) | instid1(VALU_DEP_3)
	v_fmac_f32_e32 v37, v24, v34
	s_wait_dscnt 0x0
	v_and_b32_e32 v21, 0xffff, v28
	v_lshrrev_b32_e32 v24, 16, v28
	v_dual_fmac_f32 v37, v25, v27 :: v_dual_and_b32 v28, 0xffff, v20
	;;#ASMSTART
	v_cvt_f32_f16 v20, v21;
	;;#ASMEND
	;;#ASMSTART
	v_cvt_f32_f16 v21, v24;
	;;#ASMEND
	;; [unrolled: 3-line block ×4, first 2 shown]
	v_fmac_f32_e32 v23, v20, v22
	v_dual_fmac_f32 v37, v21, v24 :: v_dual_lshlrev_b32 v20, 2, v29
	s_wait_alu 0xf1ff
	v_cndmask_b32_e64 v22, v4, v18, s4
	s_delay_alu instid0(VALU_DEP_2)
	v_add_f32_e32 v21, v23, v37
	ds_bpermute_b32 v20, v20, v21
	s_wait_dscnt 0x0
	v_dual_add_f32 v20, v21, v20 :: v_dual_lshlrev_b32 v21, 2, v22
	ds_bpermute_b32 v21, v21, v20
	s_and_saveexec_b32 s38, s3
	s_cbranch_execz .LBB71_11
; %bb.19:                               ;   in Loop: Header=BB71_13 Depth=1
	s_wait_dscnt 0x0
	v_add_f32_e32 v20, v20, v21
	v_add_nc_u32_e32 v22, v14, v13
	s_delay_alu instid0(VALU_DEP_1) | instskip(NEXT) | instid1(VALU_DEP_1)
	v_cvt_f32_i32_e32 v22, v22
	v_mul_f32_e32 v22, s15, v22
	s_delay_alu instid0(VALU_DEP_1) | instskip(NEXT) | instid1(VALU_DEP_1)
	v_cndmask_b32_e32 v21, 0, v22, vcc_lo
	v_dual_max_num_f32 v22, v6, v6 :: v_dual_fmac_f32 v21, s7, v20
	v_add_nc_u32_e32 v20, v5, v13
	s_delay_alu instid0(VALU_DEP_2) | instskip(NEXT) | instid1(VALU_DEP_2)
	v_max_num_f32_e32 v22, v22, v21
	v_cmp_gt_i32_e64 s4, s31, v20
	s_wait_alu 0xf1ff
	s_delay_alu instid0(VALU_DEP_1) | instskip(NEXT) | instid1(VALU_DEP_3)
	v_cndmask_b32_e64 v20, 0, v21, s4
	v_cndmask_b32_e64 v6, v6, v22, s4
	ds_store_b32 v15, v20
	s_branch .LBB71_11
.LBB71_20:
	s_or_b32 exec_lo, exec_lo, s28
.LBB71_21:
	s_delay_alu instid0(SALU_CYCLE_1)
	s_or_b32 exec_lo, exec_lo, s6
	v_xor_b32_e32 v1, 16, v4
	v_xor_b32_e32 v5, 8, v4
	;; [unrolled: 1-line block ×3, first 2 shown]
	s_clause 0x2
	s_load_b128 s[4:7], s[0:1], 0x0
	s_load_b64 s[14:15], s[0:1], 0x10
	s_load_b64 s[28:29], s[0:1], 0x28
	v_and_b32_e32 v12, 31, v0
	v_cmp_gt_i32_e32 vcc_lo, 32, v1
	s_wait_alu 0xfffd
	v_cndmask_b32_e32 v1, v4, v1, vcc_lo
	v_cmp_gt_i32_e32 vcc_lo, 32, v5
	s_wait_alu 0xfffd
	v_cndmask_b32_e32 v5, v4, v5, vcc_lo
	v_cmp_gt_i32_e32 vcc_lo, 32, v7
	v_lshlrev_b32_e32 v2, 2, v1
	s_delay_alu instid0(VALU_DEP_3)
	v_lshlrev_b32_e32 v5, 2, v5
	s_wait_alu 0xfffd
	v_cndmask_b32_e32 v7, v4, v7, vcc_lo
	ds_bpermute_b32 v1, v2, v6
	v_max_num_f32_e32 v6, v6, v6
	v_cmp_eq_u32_e32 vcc_lo, 0, v12
	s_wait_dscnt 0x0
	v_dual_max_num_f32 v1, v1, v1 :: v_dual_lshlrev_b32 v8, 2, v7
	s_delay_alu instid0(VALU_DEP_1) | instskip(SKIP_3) | instid1(VALU_DEP_1)
	v_max_num_f32_e32 v1, v6, v1
	ds_bpermute_b32 v6, v5, v1
	s_wait_dscnt 0x0
	v_max_num_f32_e32 v6, v6, v6
	v_dual_max_num_f32 v1, v1, v6 :: v_dual_lshlrev_b32 v6, 2, v9
	ds_bpermute_b32 v7, v8, v1
	s_and_saveexec_b32 s0, vcc_lo
	s_cbranch_execz .LBB71_23
; %bb.22:
	s_wait_dscnt 0x0
	v_max_num_f32_e32 v7, v7, v7
	v_max_num_f32_e32 v1, v1, v1
	s_delay_alu instid0(VALU_DEP_1)
	v_max_num_f32_e32 v1, v1, v7
	ds_store_b32 v6, v1 offset:224
.LBB71_23:
	s_or_b32 exec_lo, exec_lo, s0
	v_cmp_gt_u32_e64 s0, 4, v12
	v_mov_b32_e32 v1, 0xff7fffff
	s_wait_dscnt 0x0
	v_lshlrev_b32_e32 v7, 2, v12
	s_wait_loadcnt 0x0
	s_barrier_signal -1
	s_barrier_wait -1
	global_inv scope:SCOPE_SE
	s_and_saveexec_b32 s1, s0
; %bb.24:
	ds_load_b32 v1, v7 offset:224
; %bb.25:
	s_or_b32 exec_lo, exec_lo, s1
	v_xor_b32_e32 v13, 2, v4
	v_xor_b32_e32 v15, 1, v4
	s_delay_alu instid0(VALU_DEP_2) | instskip(NEXT) | instid1(VALU_DEP_1)
	v_cmp_gt_i32_e64 s1, 32, v13
	v_cndmask_b32_e64 v13, v4, v13, s1
	s_delay_alu instid0(VALU_DEP_3) | instskip(NEXT) | instid1(VALU_DEP_2)
	v_cmp_gt_i32_e64 s1, 32, v15
	v_lshlrev_b32_e32 v14, 2, v13
	s_wait_alu 0xf1ff
	s_delay_alu instid0(VALU_DEP_2)
	v_cndmask_b32_e64 v4, v4, v15, s1
	v_mov_b32_e32 v15, 0
	s_sub_co_i32 s1, s19, s36
	s_wait_alu 0xfffe
	s_lshl_b32 s1, s1, 3
	s_wait_dscnt 0x0
	ds_bpermute_b32 v13, v14, v1
	v_dual_max_num_f32 v1, v1, v1 :: v_dual_lshlrev_b32 v4, 2, v4
	s_wait_alu 0xfffe
	s_add_co_i32 s1, s1, s33
	s_wait_alu 0xfffe
	s_min_i32 s1, s1, s31
	s_wait_alu 0xfffe
	s_sub_co_i32 s25, s1, s33
	s_wait_alu 0xfffe
	v_cmp_gt_i32_e64 s1, s25, v0
	s_wait_dscnt 0x0
	v_max_num_f32_e32 v13, v13, v13
	s_delay_alu instid0(VALU_DEP_1) | instskip(SKIP_3) | instid1(VALU_DEP_1)
	v_max_num_f32_e32 v1, v1, v13
	ds_bpermute_b32 v13, v4, v1
	s_wait_dscnt 0x0
	v_max_num_f32_e32 v13, v13, v13
	v_max_num_f32_e32 v1, v1, v13
	v_lshl_add_u32 v13, v0, 2, 0x100
	ds_bpermute_b32 v1, v15, v1
	s_and_saveexec_b32 s33, s1
	s_cbranch_execz .LBB71_29
; %bb.26:
	v_lshl_add_u32 v16, v0, 2, 0x100
	v_mov_b32_e32 v15, 0
	v_mov_b32_e32 v17, v0
	s_mov_b32 s36, 0
.LBB71_27:                              ; =>This Inner Loop Header: Depth=1
	ds_load_b32 v18, v16
	v_add_nc_u32_e32 v17, 0x80, v17
	s_delay_alu instid0(VALU_DEP_1) | instskip(SKIP_4) | instid1(VALU_DEP_1)
	v_cmp_le_i32_e64 s3, s25, v17
	s_wait_alu 0xfffe
	s_or_b32 s36, s3, s36
	s_wait_dscnt 0x0
	v_sub_f32_e32 v18, v18, v1
	v_mul_f32_e32 v18, 0x3fb8aa3b, v18
	s_delay_alu instid0(VALU_DEP_1)
	v_exp_f32_e32 v18, v18
	ds_store_b32 v16, v18
	v_dual_add_f32 v15, v15, v18 :: v_dual_add_nc_u32 v16, 0x200, v16
	s_wait_alu 0xfffe
	s_and_not1_b32 exec_lo, exec_lo, s36
	s_cbranch_execnz .LBB71_27
; %bb.28:
	s_or_b32 exec_lo, exec_lo, s36
.LBB71_29:
	s_wait_alu 0xfffe
	s_or_b32 exec_lo, exec_lo, s33
	ds_bpermute_b32 v2, v2, v15
	s_wait_dscnt 0x0
	v_add_f32_e32 v2, v15, v2
	ds_bpermute_b32 v5, v5, v2
	s_wait_dscnt 0x0
	v_add_f32_e32 v2, v2, v5
	ds_bpermute_b32 v5, v8, v2
	s_wait_dscnt 0x0
	v_add_f32_e32 v2, v2, v5
	ds_bpermute_b32 v5, v14, v2
	s_wait_dscnt 0x0
	v_add_f32_e32 v2, v2, v5
	ds_bpermute_b32 v5, v4, v2
	s_wait_dscnt 0x0
	v_add_f32_e32 v2, v2, v5
	s_and_saveexec_b32 s3, vcc_lo
; %bb.30:
	ds_store_b32 v6, v2 offset:240
; %bb.31:
	s_wait_alu 0xfffe
	s_or_b32 exec_lo, exec_lo, s3
	s_wait_loadcnt_dscnt 0x0
	s_barrier_signal -1
	s_barrier_wait -1
	global_inv scope:SCOPE_SE
	s_and_saveexec_b32 s3, s0
; %bb.32:
	ds_load_b32 v2, v7 offset:240
; %bb.33:
	s_wait_alu 0xfffe
	s_or_b32 exec_lo, exec_lo, s3
	s_wait_dscnt 0x0
	ds_bpermute_b32 v5, v14, v2
	s_wait_dscnt 0x0
	v_add_f32_e32 v2, v2, v5
	ds_bpermute_b32 v4, v4, v2
	s_wait_dscnt 0x0
	v_add_f32_e32 v2, v2, v4
	v_mov_b32_e32 v4, 0
	ds_bpermute_b32 v2, v4, v2
	s_and_saveexec_b32 s0, s1
	s_cbranch_execz .LBB71_36
; %bb.34:
	s_wait_dscnt 0x0
	v_add_f32_e32 v5, 0x358637bd, v2
	s_mov_b32 s1, 0
	s_delay_alu instid0(VALU_DEP_1) | instskip(SKIP_1) | instid1(VALU_DEP_2)
	v_div_scale_f32 v4, null, v5, v5, 1.0
	v_div_scale_f32 v8, vcc_lo, 1.0, v5, 1.0
	v_rcp_f32_e32 v6, v4
	s_delay_alu instid0(TRANS32_DEP_1) | instskip(NEXT) | instid1(VALU_DEP_1)
	v_fma_f32 v7, -v4, v6, 1.0
	v_fmac_f32_e32 v6, v7, v6
	s_delay_alu instid0(VALU_DEP_1) | instskip(NEXT) | instid1(VALU_DEP_1)
	v_mul_f32_e32 v7, v8, v6
	v_fma_f32 v14, -v4, v7, v8
	s_delay_alu instid0(VALU_DEP_1) | instskip(NEXT) | instid1(VALU_DEP_1)
	v_fmac_f32_e32 v7, v14, v6
	v_fma_f32 v4, -v4, v7, v8
	s_wait_alu 0xfffd
	s_delay_alu instid0(VALU_DEP_1) | instskip(SKIP_1) | instid1(VALU_DEP_2)
	v_div_fmas_f32 v6, v4, v6, v7
	v_mov_b32_e32 v4, v13
	v_div_fixup_f32 v5, v6, v5, 1.0
	v_mov_b32_e32 v6, v0
.LBB71_35:                              ; =>This Inner Loop Header: Depth=1
	ds_load_b32 v7, v4
	s_wait_dscnt 0x0
	v_dual_mul_f32 v7, v5, v7 :: v_dual_add_nc_u32 v6, 0x80, v6
	s_delay_alu instid0(VALU_DEP_1)
	v_cmp_le_i32_e32 vcc_lo, s25, v6
	ds_store_b32 v4, v7
	v_add_nc_u32_e32 v4, 0x200, v4
	s_wait_alu 0xfffe
	s_or_b32 s1, vcc_lo, s1
	s_wait_alu 0xfffe
	s_and_not1_b32 exec_lo, exec_lo, s1
	s_cbranch_execnz .LBB71_35
.LBB71_36:
	s_wait_alu 0xfffe
	s_or_b32 exec_lo, exec_lo, s0
	s_mul_i32 s0, s8, s26
	s_wait_loadcnt_dscnt 0x0
	s_wait_alu 0xfffe
	s_mul_i32 s26, s0, s27
	s_mov_b32 s0, exec_lo
	s_barrier_signal -1
	s_barrier_wait -1
	global_inv scope:SCOPE_SE
	v_cmpx_eq_u32_e32 0, v0
	s_cbranch_execz .LBB71_38
; %bb.37:
	s_ashr_i32 s27, s26, 31
	s_wait_alu 0xfffe
	s_mul_i32 s36, s8, ttmp9
	s_lshl_b32 s1, s30, 2
	s_lshl_b64 s[38:39], s[26:27], 2
	s_wait_alu 0xfffe
	s_ashr_i32 s37, s36, 31
	v_mov_b32_e32 v4, s1
	s_wait_kmcnt 0x0
	s_add_nc_u64 s[6:7], s[6:7], s[38:39]
	s_wait_alu 0xfffe
	s_lshl_b64 s[36:37], s[36:37], 2
	s_add_nc_u64 s[4:5], s[4:5], s[38:39]
	s_wait_alu 0xfffe
	s_add_nc_u64 s[6:7], s[6:7], s[36:37]
	s_add_nc_u64 s[4:5], s[4:5], s[36:37]
	s_clause 0x1
	global_store_b32 v4, v1, s[6:7]
	global_store_b32 v4, v2, s[4:5]
.LBB71_38:
	s_wait_alu 0xfffe
	s_or_b32 exec_lo, exec_lo, s0
	v_dual_mov_b32 v17, 0 :: v_dual_mov_b32 v16, 0
	v_dual_mov_b32 v15, 0 :: v_dual_mov_b32 v14, 0
	s_wait_kmcnt 0x0
	s_and_saveexec_b32 s4, s2
	s_cbranch_execz .LBB71_54
; %bb.39:
	s_abs_i32 s5, s10
	s_sub_co_i32 s6, s35, s9
	s_wait_alu 0xfffe
	s_cvt_f32_u32 s0, s5
	v_or_b32_e32 v4, 0x60, v12
	v_dual_mov_b32 v15, 0 :: v_dual_lshlrev_b32 v2, 3, v12
	s_wait_alu 0xfffe
	v_rcp_iflag_f32_e32 v1, s0
	s_lshl_b64 s[0:1], s[22:23], 2
	v_mov_b32_e32 v14, 0
	s_wait_alu 0xfffe
	s_add_nc_u64 s[0:1], s[20:21], s[0:1]
	s_sub_co_i32 s10, 0, s5
	s_wait_alu 0xfffe
	v_add_co_u32 v5, s0, s0, v3
	s_wait_alu 0xf1ff
	v_add_co_ci_u32_e64 v6, null, s1, 0, s0
	s_ashr_i32 s25, s24, 31
	v_readfirstlane_b32 s9, v1
	v_lshlrev_b32_e32 v1, 3, v4
	v_lshl_add_u32 v18, v9, 5, 0x100
	v_dual_mov_b32 v16, 0 :: v_dual_lshlrev_b32 v19, 1, v2
	s_mul_f32 s9, s9, 0x4f7ffffe
	s_delay_alu instid0(VALU_DEP_3)
	v_dual_mov_b32 v17, 0 :: v_dual_lshlrev_b32 v20, 1, v1
	s_wait_alu 0xfffe
	s_lshl_b64 s[2:3], s[24:25], 1
	s_cvt_u32_f32 s0, s9
	s_mov_b32 s7, s13
	s_add_co_i32 s34, s34, -1
	s_wait_alu 0xfffe
	s_add_nc_u64 s[2:3], s[28:29], s[2:3]
	s_mul_i32 s10, s10, s0
	s_mov_b32 s9, 0
	s_wait_alu 0xfffe
	s_mul_hi_u32 s1, s0, s10
	v_cmp_gt_u32_e32 vcc_lo, 0x70, v4
	s_wait_alu 0xfffe
	s_add_co_i32 s10, s0, s1
	s_branch .LBB71_43
.LBB71_40:                              ;   in Loop: Header=BB71_43 Depth=1
	s_wait_alu 0xfffe
	s_or_b32 exec_lo, exec_lo, s1
	v_lshlrev_b32_e32 v31, 16, v31
	v_lshlrev_b32_e32 v23, 16, v23
	;; [unrolled: 1-line block ×3, first 2 shown]
	s_delay_alu instid0(VALU_DEP_3) | instskip(NEXT) | instid1(VALU_DEP_3)
	v_and_or_b32 v1, 0xffff, v1, v31
	v_and_or_b32 v2, 0xffff, v2, v23
	s_delay_alu instid0(VALU_DEP_3)
	v_and_or_b32 v3, 0xffff, v3, v22
	;;#ASMSTART
	v_pk_mul_f16 v1, v26, v1;

	;;#ASMEND
	;;#ASMSTART
	v_pk_mul_f16 v2, v25, v2;

	;;#ASMEND
	;; [unrolled: 4-line block ×4, first 2 shown]
	;;#ASMSTART
	v_pk_add_f16 v1, v1, v2;

	;;#ASMEND
	;;#ASMSTART
	v_pk_add_f16 v1, v1, v3;

	;;#ASMEND
	;; [unrolled: 4-line block ×3, first 2 shown]
	v_and_b32_e32 v2, 0xffff, v1
	v_lshrrev_b32_e32 v3, 16, v1
	;;#ASMSTART
	v_cvt_f32_f16 v1, v2;
	;;#ASMEND
	;;#ASMSTART
	v_cvt_f32_f16 v2, v3;
	;;#ASMEND
	s_delay_alu instid0(VALU_DEP_2) | instskip(NEXT) | instid1(VALU_DEP_1)
	v_add_f32_e32 v1, v1, v2
	v_add_f32_e32 v14, v14, v1
.LBB71_41:                              ;   in Loop: Header=BB71_43 Depth=1
	s_or_b32 exec_lo, exec_lo, s20
	v_add_f32_e32 v1, v29, v30
	s_delay_alu instid0(VALU_DEP_1) | instskip(NEXT) | instid1(VALU_DEP_1)
	v_dual_add_f32 v3, v7, v8 :: v_dual_add_f32 v16, v16, v1
	v_dual_add_f32 v2, v21, v24 :: v_dual_add_f32 v15, v15, v3
	s_delay_alu instid0(VALU_DEP_1)
	v_add_f32_e32 v17, v17, v2
.LBB71_42:                              ;   in Loop: Header=BB71_43 Depth=1
	s_wait_alu 0xfffe
	s_or_b32 exec_lo, exec_lo, s13
	v_add_nc_u32_e32 v11, 4, v11
	v_add_co_u32 v5, s1, v5, 16
	s_wait_alu 0xf1ff
	v_add_co_ci_u32_e64 v6, null, 0, v6, s1
	s_delay_alu instid0(VALU_DEP_3) | instskip(SKIP_3) | instid1(SALU_CYCLE_1)
	v_cmp_le_i32_e64 s0, s19, v11
	v_add_nc_u32_e32 v10, 32, v10
	v_add_nc_u32_e32 v18, 0x80, v18
	s_or_b32 s9, s0, s9
	s_and_not1_b32 exec_lo, exec_lo, s9
	s_cbranch_execz .LBB71_53
.LBB71_43:                              ; =>This Inner Loop Header: Depth=1
	v_sub_nc_u32_e32 v1, 0, v10
	s_delay_alu instid0(VALU_DEP_1) | instskip(NEXT) | instid1(VALU_DEP_1)
	v_max_i32_e32 v1, v10, v1
	v_mul_hi_u32 v2, v1, s18
	s_delay_alu instid0(VALU_DEP_1) | instskip(NEXT) | instid1(VALU_DEP_1)
	v_mul_lo_u32 v3, v2, s12
	v_sub_nc_u32_e32 v1, v1, v3
	v_add_nc_u32_e32 v3, 1, v2
	s_delay_alu instid0(VALU_DEP_2) | instskip(SKIP_2) | instid1(VALU_DEP_1)
	v_subrev_nc_u32_e32 v4, s12, v1
	v_cmp_le_u32_e64 s0, s12, v1
	s_wait_alu 0xf1ff
	v_cndmask_b32_e64 v2, v2, v3, s0
	s_delay_alu instid0(VALU_DEP_3) | instskip(SKIP_1) | instid1(VALU_DEP_3)
	v_cndmask_b32_e64 v1, v1, v4, s0
	v_ashrrev_i32_e32 v3, 31, v10
	v_add_nc_u32_e32 v4, 1, v2
	s_delay_alu instid0(VALU_DEP_3) | instskip(NEXT) | instid1(VALU_DEP_3)
	v_cmp_le_u32_e64 s0, s12, v1
	v_xor_b32_e32 v3, s11, v3
	s_wait_alu 0xf1ff
	s_delay_alu instid0(VALU_DEP_2) | instskip(NEXT) | instid1(VALU_DEP_1)
	v_cndmask_b32_e64 v1, v2, v4, s0
	v_xor_b32_e32 v1, v1, v3
	s_delay_alu instid0(VALU_DEP_1) | instskip(NEXT) | instid1(VALU_DEP_1)
	v_sub_nc_u32_e32 v1, v1, v3
	v_add_nc_u32_e32 v2, s17, v1
	v_cmp_lt_i32_e64 s1, s6, v1
	s_delay_alu instid0(VALU_DEP_2) | instskip(NEXT) | instid1(VALU_DEP_1)
	v_sub_nc_u32_e32 v3, 0, v2
	v_max_i32_e32 v3, v2, v3
	v_ashrrev_i32_e32 v2, 31, v2
	s_wait_alu 0xfffe
	s_delay_alu instid0(VALU_DEP_2) | instskip(NEXT) | instid1(VALU_DEP_1)
	v_mul_hi_u32 v4, v3, s10
	v_mul_lo_u32 v4, v4, s5
	s_delay_alu instid0(VALU_DEP_1) | instskip(NEXT) | instid1(VALU_DEP_1)
	v_sub_nc_u32_e32 v3, v3, v4
	v_subrev_nc_u32_e32 v4, s5, v3
	v_cmp_le_u32_e64 s0, s5, v3
	s_wait_alu 0xf1ff
	s_delay_alu instid0(VALU_DEP_1) | instskip(NEXT) | instid1(VALU_DEP_1)
	v_cndmask_b32_e64 v3, v3, v4, s0
	v_subrev_nc_u32_e32 v4, s5, v3
	v_cmp_le_u32_e64 s0, s5, v3
	s_wait_alu 0xf1ff
	s_delay_alu instid0(VALU_DEP_1) | instskip(NEXT) | instid1(VALU_DEP_1)
	v_cndmask_b32_e64 v3, v3, v4, s0
	v_xor_b32_e32 v3, v3, v2
	s_delay_alu instid0(VALU_DEP_1) | instskip(NEXT) | instid1(VALU_DEP_1)
	v_sub_nc_u32_e32 v2, v3, v2
	v_cmp_eq_u32_e64 s0, 0, v2
	s_or_b32 s0, s0, s1
	s_wait_alu 0xfffe
	s_and_saveexec_b32 s13, s0
	s_cbranch_execz .LBB71_42
; %bb.44:                               ;   in Loop: Header=BB71_43 Depth=1
	global_load_b32 v7, v[5:6], off
	ds_load_2addr_b64 v[1:4], v18 offset1:1
	ds_load_2addr_b64 v[30:33], v18 offset0:2 offset1:3
	s_wait_dscnt 0x1
	;;#ASMSTART
	v_cvt_f16_f32 v26, v1;

	;;#ASMEND
	;;#ASMSTART
	v_cvt_f16_f32 v21, v2;

	;;#ASMEND
	;; [unrolled: 4-line block ×4, first 2 shown]
	s_wait_dscnt 0x0
	;;#ASMSTART
	v_cvt_f16_f32 v30, v30;

	;;#ASMEND
	;;#ASMSTART
	v_cvt_f16_f32 v27, v31;

	;;#ASMEND
	;; [unrolled: 4-line block ×4, first 2 shown]
	s_wait_loadcnt 0x0
	v_mad_co_i64_i32 v[7:8], null, v7, s7, 0
	s_delay_alu instid0(VALU_DEP_1) | instskip(NEXT) | instid1(VALU_DEP_1)
	v_lshlrev_b64_e32 v[7:8], 1, v[7:8]
	v_add_co_u32 v22, s0, s2, v7
	s_wait_alu 0xf1ff
	s_delay_alu instid0(VALU_DEP_2) | instskip(NEXT) | instid1(VALU_DEP_2)
	v_add_co_ci_u32_e64 v23, null, s3, v8, s0
	v_add_co_u32 v7, s0, v22, v19
	s_wait_alu 0xf1ff
	s_delay_alu instid0(VALU_DEP_2)
	v_add_co_ci_u32_e64 v8, null, 0, v23, s0
	v_cmp_eq_u32_e64 s0, s34, v11
	global_load_b128 v[1:4], v[7:8], off
	s_wait_loadcnt 0x0
	v_lshrrev_b32_e32 v33, 16, v1
	v_lshrrev_b32_e32 v32, 16, v2
	;; [unrolled: 1-line block ×3, first 2 shown]
	s_and_saveexec_b32 s20, s0
	s_cbranch_execz .LBB71_46
; %bb.45:                               ;   in Loop: Header=BB71_43 Depth=1
	v_add_nc_u32_e32 v34, 1, v10
	v_cmp_gt_i32_e64 s1, s31, v10
	v_add_nc_u32_e32 v35, 2, v10
	v_add_nc_u32_e32 v36, 3, v10
	;; [unrolled: 1-line block ×4, first 2 shown]
	s_wait_alu 0xf1ff
	v_cndmask_b32_e64 v1, 0, v1, s1
	v_cmp_gt_i32_e64 s1, s31, v34
	v_add_nc_u32_e32 v34, 4, v10
	s_wait_alu 0xf1ff
	s_delay_alu instid0(VALU_DEP_2) | instskip(SKIP_3) | instid1(VALU_DEP_2)
	v_cndmask_b32_e64 v33, 0, v33, s1
	v_cmp_gt_i32_e64 s1, s31, v35
	v_add_nc_u32_e32 v35, 6, v10
	s_wait_alu 0xf1ff
	v_cndmask_b32_e64 v2, 0, v2, s1
	v_cmp_gt_i32_e64 s1, s31, v36
	v_and_b32_e32 v36, 0xffff, v4
	v_and_b32_e32 v4, 0xffff0000, v4
	s_wait_alu 0xf1ff
	s_delay_alu instid0(VALU_DEP_3) | instskip(SKIP_2) | instid1(VALU_DEP_1)
	v_cndmask_b32_e64 v32, 0, v32, s1
	v_cmp_gt_i32_e64 s1, s31, v35
	s_wait_alu 0xf1ff
	v_cndmask_b32_e64 v35, 0, v36, s1
	v_cmp_gt_i32_e64 s1, s31, v37
	s_wait_alu 0xf1ff
	s_delay_alu instid0(VALU_DEP_1) | instskip(SKIP_1) | instid1(VALU_DEP_2)
	v_cndmask_b32_e64 v4, 0, v4, s1
	v_cmp_gt_i32_e64 s1, s31, v34
	v_or_b32_e32 v4, v35, v4
	s_wait_alu 0xf1ff
	s_delay_alu instid0(VALU_DEP_2) | instskip(SKIP_2) | instid1(VALU_DEP_1)
	v_cndmask_b32_e64 v3, 0, v3, s1
	v_cmp_gt_i32_e64 s1, s31, v38
	s_wait_alu 0xf1ff
	v_cndmask_b32_e64 v31, 0, v31, s1
.LBB71_46:                              ;   in Loop: Header=BB71_43 Depth=1
	s_or_b32 exec_lo, exec_lo, s20
	v_and_b32_e32 v26, 0xffff, v26
	v_and_b32_e32 v29, 0xffff, v29
	v_lshlrev_b32_e32 v33, 16, v33
	v_and_b32_e32 v30, 0xffff, v30
	v_and_b32_e32 v28, 0xffff, v28
	v_lshl_or_b32 v26, v21, 16, v26
	v_lshl_or_b32 v25, v25, 16, v29
	v_lshlrev_b32_e32 v21, 16, v32
	v_lshlrev_b32_e32 v29, 16, v31
	v_and_or_b32 v1, 0xffff, v1, v33
	;;#ASMSTART
	v_pk_mul_f16 v1, v26, v1;

	;;#ASMEND
	v_lshl_or_b32 v27, v27, 16, v30
	v_and_or_b32 v2, 0xffff, v2, v21
	v_and_or_b32 v3, 0xffff, v3, v29
	v_lshl_or_b32 v28, v24, 16, v28
	;;#ASMSTART
	v_pk_mul_f16 v2, v25, v2;

	;;#ASMEND
	;;#ASMSTART
	v_pk_mul_f16 v3, v27, v3;

	;;#ASMEND
	;; [unrolled: 4-line block ×3, first 2 shown]
	;;#ASMSTART
	v_pk_add_f16 v1, v1, v2;

	;;#ASMEND
	;;#ASMSTART
	v_pk_add_f16 v1, v1, v3;

	;;#ASMEND
	;; [unrolled: 4-line block ×3, first 2 shown]
	v_and_b32_e32 v2, 0xffff, v1
	v_lshrrev_b32_e32 v1, 16, v1
	;;#ASMSTART
	v_cvt_f32_f16 v21, v2;
	;;#ASMEND
	;;#ASMSTART
	v_cvt_f32_f16 v24, v1;
	;;#ASMEND
	global_load_b128 v[1:4], v[7:8], off offset:512
	s_wait_loadcnt 0x0
	v_lshrrev_b32_e32 v31, 16, v1
	v_lshrrev_b32_e32 v30, 16, v2
	;; [unrolled: 1-line block ×3, first 2 shown]
	s_and_saveexec_b32 s20, s0
	s_cbranch_execz .LBB71_48
; %bb.47:                               ;   in Loop: Header=BB71_43 Depth=1
	v_add_nc_u32_e32 v32, 1, v10
	v_cmp_gt_i32_e64 s1, s31, v10
	v_add_nc_u32_e32 v33, 2, v10
	v_add_nc_u32_e32 v34, 3, v10
	;; [unrolled: 1-line block ×4, first 2 shown]
	s_wait_alu 0xf1ff
	v_cndmask_b32_e64 v1, 0, v1, s1
	v_cmp_gt_i32_e64 s1, s31, v32
	v_add_nc_u32_e32 v32, 4, v10
	s_wait_alu 0xf1ff
	s_delay_alu instid0(VALU_DEP_2) | instskip(SKIP_3) | instid1(VALU_DEP_2)
	v_cndmask_b32_e64 v31, 0, v31, s1
	v_cmp_gt_i32_e64 s1, s31, v33
	v_add_nc_u32_e32 v33, 6, v10
	s_wait_alu 0xf1ff
	v_cndmask_b32_e64 v2, 0, v2, s1
	v_cmp_gt_i32_e64 s1, s31, v34
	v_and_b32_e32 v34, 0xffff, v4
	v_and_b32_e32 v4, 0xffff0000, v4
	s_wait_alu 0xf1ff
	s_delay_alu instid0(VALU_DEP_3) | instskip(SKIP_2) | instid1(VALU_DEP_1)
	v_cndmask_b32_e64 v30, 0, v30, s1
	v_cmp_gt_i32_e64 s1, s31, v33
	s_wait_alu 0xf1ff
	v_cndmask_b32_e64 v33, 0, v34, s1
	v_cmp_gt_i32_e64 s1, s31, v35
	s_wait_alu 0xf1ff
	s_delay_alu instid0(VALU_DEP_1) | instskip(SKIP_1) | instid1(VALU_DEP_2)
	v_cndmask_b32_e64 v4, 0, v4, s1
	v_cmp_gt_i32_e64 s1, s31, v32
	v_or_b32_e32 v4, v33, v4
	s_wait_alu 0xf1ff
	s_delay_alu instid0(VALU_DEP_2) | instskip(SKIP_2) | instid1(VALU_DEP_1)
	v_cndmask_b32_e64 v3, 0, v3, s1
	v_cmp_gt_i32_e64 s1, s31, v36
	s_wait_alu 0xf1ff
	v_cndmask_b32_e64 v29, 0, v29, s1
.LBB71_48:                              ;   in Loop: Header=BB71_43 Depth=1
	s_or_b32 exec_lo, exec_lo, s20
	v_lshlrev_b32_e32 v31, 16, v31
	v_lshlrev_b32_e32 v30, 16, v30
	s_delay_alu instid0(VALU_DEP_3) | instskip(NEXT) | instid1(VALU_DEP_3)
	v_lshlrev_b32_e32 v29, 16, v29
	v_and_or_b32 v1, 0xffff, v1, v31
	s_delay_alu instid0(VALU_DEP_3) | instskip(NEXT) | instid1(VALU_DEP_3)
	v_and_or_b32 v2, 0xffff, v2, v30
	v_and_or_b32 v3, 0xffff, v3, v29
	;;#ASMSTART
	v_pk_mul_f16 v1, v26, v1;

	;;#ASMEND
	;;#ASMSTART
	v_pk_mul_f16 v2, v25, v2;

	;;#ASMEND
	;; [unrolled: 4-line block ×4, first 2 shown]
	;;#ASMSTART
	v_pk_add_f16 v1, v1, v2;

	;;#ASMEND
	;;#ASMSTART
	v_pk_add_f16 v1, v1, v3;

	;;#ASMEND
	;; [unrolled: 4-line block ×3, first 2 shown]
	v_and_b32_e32 v2, 0xffff, v1
	v_lshrrev_b32_e32 v1, 16, v1
	;;#ASMSTART
	v_cvt_f32_f16 v29, v2;
	;;#ASMEND
	;;#ASMSTART
	v_cvt_f32_f16 v30, v1;
	;;#ASMEND
	global_load_b128 v[1:4], v[7:8], off offset:1024
	s_wait_loadcnt 0x0
	v_lshrrev_b32_e32 v31, 16, v1
	v_lshrrev_b32_e32 v8, 16, v2
	;; [unrolled: 1-line block ×3, first 2 shown]
	s_and_saveexec_b32 s20, s0
	s_cbranch_execz .LBB71_50
; %bb.49:                               ;   in Loop: Header=BB71_43 Depth=1
	v_add_nc_u32_e32 v32, 1, v10
	v_cmp_gt_i32_e64 s1, s31, v10
	v_add_nc_u32_e32 v33, 2, v10
	v_add_nc_u32_e32 v34, 3, v10
	;; [unrolled: 1-line block ×4, first 2 shown]
	s_wait_alu 0xf1ff
	v_cndmask_b32_e64 v1, 0, v1, s1
	v_cmp_gt_i32_e64 s1, s31, v32
	v_add_nc_u32_e32 v32, 4, v10
	s_wait_alu 0xf1ff
	s_delay_alu instid0(VALU_DEP_2) | instskip(SKIP_3) | instid1(VALU_DEP_2)
	v_cndmask_b32_e64 v31, 0, v31, s1
	v_cmp_gt_i32_e64 s1, s31, v33
	v_add_nc_u32_e32 v33, 6, v10
	s_wait_alu 0xf1ff
	v_cndmask_b32_e64 v2, 0, v2, s1
	v_cmp_gt_i32_e64 s1, s31, v34
	v_and_b32_e32 v34, 0xffff, v4
	v_and_b32_e32 v4, 0xffff0000, v4
	s_wait_alu 0xf1ff
	s_delay_alu instid0(VALU_DEP_3) | instskip(SKIP_2) | instid1(VALU_DEP_1)
	v_cndmask_b32_e64 v8, 0, v8, s1
	v_cmp_gt_i32_e64 s1, s31, v33
	s_wait_alu 0xf1ff
	v_cndmask_b32_e64 v33, 0, v34, s1
	v_cmp_gt_i32_e64 s1, s31, v35
	s_wait_alu 0xf1ff
	s_delay_alu instid0(VALU_DEP_1) | instskip(SKIP_1) | instid1(VALU_DEP_2)
	v_cndmask_b32_e64 v4, 0, v4, s1
	v_cmp_gt_i32_e64 s1, s31, v32
	v_or_b32_e32 v4, v33, v4
	s_wait_alu 0xf1ff
	s_delay_alu instid0(VALU_DEP_2) | instskip(SKIP_2) | instid1(VALU_DEP_1)
	v_cndmask_b32_e64 v3, 0, v3, s1
	v_cmp_gt_i32_e64 s1, s31, v36
	s_wait_alu 0xf1ff
	v_cndmask_b32_e64 v7, 0, v7, s1
.LBB71_50:                              ;   in Loop: Header=BB71_43 Depth=1
	s_or_b32 exec_lo, exec_lo, s20
	v_lshlrev_b32_e32 v31, 16, v31
	v_lshlrev_b32_e32 v8, 16, v8
	s_delay_alu instid0(VALU_DEP_3) | instskip(NEXT) | instid1(VALU_DEP_3)
	v_lshlrev_b32_e32 v7, 16, v7
	v_and_or_b32 v1, 0xffff, v1, v31
	s_delay_alu instid0(VALU_DEP_3) | instskip(NEXT) | instid1(VALU_DEP_3)
	v_and_or_b32 v2, 0xffff, v2, v8
	v_and_or_b32 v3, 0xffff, v3, v7
	;;#ASMSTART
	v_pk_mul_f16 v1, v26, v1;

	;;#ASMEND
	;;#ASMSTART
	v_pk_mul_f16 v2, v25, v2;

	;;#ASMEND
	;; [unrolled: 4-line block ×4, first 2 shown]
	;;#ASMSTART
	v_pk_add_f16 v1, v1, v2;

	;;#ASMEND
	;;#ASMSTART
	v_pk_add_f16 v1, v1, v3;

	;;#ASMEND
	;; [unrolled: 4-line block ×3, first 2 shown]
	v_and_b32_e32 v2, 0xffff, v1
	v_lshrrev_b32_e32 v1, 16, v1
	;;#ASMSTART
	v_cvt_f32_f16 v7, v2;
	;;#ASMEND
	;;#ASMSTART
	v_cvt_f32_f16 v8, v1;
	;;#ASMEND
	s_and_saveexec_b32 s20, vcc_lo
	s_cbranch_execz .LBB71_41
; %bb.51:                               ;   in Loop: Header=BB71_43 Depth=1
	v_add_co_u32 v1, s1, v22, v20
	s_wait_alu 0xf1ff
	v_add_co_ci_u32_e64 v2, null, 0, v23, s1
	global_load_b128 v[1:4], v[1:2], off
	s_wait_loadcnt 0x0
	v_lshrrev_b32_e32 v31, 16, v1
	v_lshrrev_b32_e32 v23, 16, v2
	;; [unrolled: 1-line block ×3, first 2 shown]
	s_and_saveexec_b32 s1, s0
	s_cbranch_execz .LBB71_40
; %bb.52:                               ;   in Loop: Header=BB71_43 Depth=1
	v_add_nc_u32_e32 v32, 1, v10
	v_cmp_gt_i32_e64 s0, s31, v10
	v_add_nc_u32_e32 v33, 2, v10
	v_add_nc_u32_e32 v34, 3, v10
	;; [unrolled: 1-line block ×4, first 2 shown]
	s_wait_alu 0xf1ff
	v_cndmask_b32_e64 v1, 0, v1, s0
	v_cmp_gt_i32_e64 s0, s31, v32
	v_add_nc_u32_e32 v32, 4, v10
	s_wait_alu 0xf1ff
	s_delay_alu instid0(VALU_DEP_2) | instskip(SKIP_3) | instid1(VALU_DEP_2)
	v_cndmask_b32_e64 v31, 0, v31, s0
	v_cmp_gt_i32_e64 s0, s31, v33
	v_add_nc_u32_e32 v33, 6, v10
	s_wait_alu 0xf1ff
	v_cndmask_b32_e64 v2, 0, v2, s0
	v_cmp_gt_i32_e64 s0, s31, v34
	v_and_b32_e32 v34, 0xffff, v4
	v_and_b32_e32 v4, 0xffff0000, v4
	s_wait_alu 0xf1ff
	s_delay_alu instid0(VALU_DEP_3) | instskip(SKIP_2) | instid1(VALU_DEP_1)
	v_cndmask_b32_e64 v23, 0, v23, s0
	v_cmp_gt_i32_e64 s0, s31, v33
	s_wait_alu 0xf1ff
	v_cndmask_b32_e64 v33, 0, v34, s0
	v_cmp_gt_i32_e64 s0, s31, v35
	s_wait_alu 0xf1ff
	s_delay_alu instid0(VALU_DEP_1) | instskip(SKIP_1) | instid1(VALU_DEP_2)
	v_cndmask_b32_e64 v4, 0, v4, s0
	v_cmp_gt_i32_e64 s0, s31, v32
	v_or_b32_e32 v4, v33, v4
	s_wait_alu 0xf1ff
	s_delay_alu instid0(VALU_DEP_2) | instskip(SKIP_2) | instid1(VALU_DEP_1)
	v_cndmask_b32_e64 v3, 0, v3, s0
	v_cmp_gt_i32_e64 s0, s31, v36
	s_wait_alu 0xf1ff
	v_cndmask_b32_e64 v22, 0, v22, s0
	s_branch .LBB71_40
.LBB71_53:
	s_or_b32 exec_lo, exec_lo, s9
.LBB71_54:
	s_wait_alu 0xfffe
	s_or_b32 exec_lo, exec_lo, s4
	s_movk_i32 s0, 0x1c0
	v_and_b32_e32 v1, 0x3c0, v0
	s_wait_alu 0xfffe
	v_mad_u32_u24 v4, v9, s0, 0x100
	v_or_b32_e32 v3, 0x60, v0
	s_mov_b32 s0, exec_lo
	s_wait_loadcnt 0x0
	s_wait_storecnt 0x0
	s_barrier_signal -1
	s_barrier_wait -1
	global_inv scope:SCOPE_SE
	v_cmpx_eq_u32_e32 64, v1
	s_cbranch_execz .LBB71_57
; %bb.55:
	v_add_nc_u32_e32 v1, 0xfffffc80, v4
	v_cmp_gt_u32_e32 vcc_lo, 0x70, v3
	s_delay_alu instid0(VALU_DEP_2)
	v_lshl_add_u32 v2, v12, 2, v1
	ds_store_2addr_b32 v2, v17, v16 offset1:32
	ds_store_b32 v2, v15 offset:256
	s_and_b32 exec_lo, exec_lo, vcc_lo
; %bb.56:
	v_lshl_add_u32 v1, v3, 2, v1
	ds_store_b32 v1, v14
.LBB71_57:
	s_wait_alu 0xfffe
	s_or_b32 exec_lo, exec_lo, s0
	v_lshl_add_u32 v5, v12, 2, v4
	s_mov_b32 s0, exec_lo
	s_wait_loadcnt_dscnt 0x0
	s_barrier_signal -1
	s_barrier_wait -1
	global_inv scope:SCOPE_SE
	v_cmpx_gt_u32_e32 64, v0
	s_cbranch_execz .LBB71_61
; %bb.58:
	v_lshl_or_b32 v1, v0, 2, 0x80
	s_mov_b32 s1, exec_lo
	s_delay_alu instid0(VALU_DEP_1)
	v_add_nc_u32_e32 v6, v4, v1
	ds_load_2addr_stride64_b32 v[1:2], v5 offset1:1
	ds_load_b32 v6, v6
	v_cmpx_gt_u32_e32 0x70, v3
	s_cbranch_execz .LBB71_60
; %bb.59:
	v_lshl_add_u32 v7, v3, 2, v4
	ds_load_b32 v7, v7
	s_wait_dscnt 0x0
	v_add_f32_e32 v14, v14, v7
.LBB71_60:
	s_wait_alu 0xfffe
	s_or_b32 exec_lo, exec_lo, s1
	s_wait_dscnt 0x0
	v_dual_add_f32 v17, v17, v1 :: v_dual_add_f32 v16, v16, v6
	v_add_f32_e32 v15, v15, v2
.LBB71_61:
	s_wait_alu 0xfffe
	s_or_b32 exec_lo, exec_lo, s0
	v_and_b32_e32 v1, 0x3e0, v0
	s_mov_b32 s0, exec_lo
	s_wait_loadcnt 0x0
	s_barrier_signal -1
	s_barrier_wait -1
	global_inv scope:SCOPE_SE
	v_cmpx_eq_u32_e32 32, v1
	s_cbranch_execz .LBB71_64
; %bb.62:
	v_lshl_add_u32 v1, v12, 2, 0x100
	v_cmp_gt_u32_e32 vcc_lo, 0x70, v3
	ds_store_b32 v1, v17
	ds_store_b32 v13, v16
	ds_store_b32 v1, v15 offset:256
	s_and_b32 exec_lo, exec_lo, vcc_lo
; %bb.63:
	v_lshl_add_u32 v1, v3, 2, 0x100
	ds_store_b32 v1, v14
.LBB71_64:
	s_wait_alu 0xfffe
	s_or_b32 exec_lo, exec_lo, s0
	v_cmp_gt_u32_e32 vcc_lo, 32, v0
	s_wait_loadcnt_dscnt 0x0
	s_barrier_signal -1
	s_barrier_wait -1
	global_inv scope:SCOPE_SE
	s_and_saveexec_b32 s1, vcc_lo
	s_cbranch_execz .LBB71_68
; %bb.65:
	v_lshl_add_u32 v6, v0, 2, v4
	s_mov_b32 s2, exec_lo
	ds_load_b32 v4, v5
	ds_load_2addr_b32 v[1:2], v6 offset0:32 offset1:64
	v_cmpx_gt_u32_e32 0x70, v3
	s_cbranch_execz .LBB71_67
; %bb.66:
	ds_load_b32 v5, v6 offset:384
	s_wait_dscnt 0x0
	v_add_f32_e32 v14, v14, v5
.LBB71_67:
	s_wait_alu 0xfffe
	s_or_b32 exec_lo, exec_lo, s2
	s_wait_dscnt 0x0
	v_dual_add_f32 v17, v17, v4 :: v_dual_add_f32 v16, v16, v1
	v_add_f32_e32 v15, v15, v2
.LBB71_68:
	s_wait_alu 0xfffe
	s_or_b32 exec_lo, exec_lo, s1
	s_wait_loadcnt 0x0
	s_barrier_signal -1
	s_barrier_wait -1
	global_inv scope:SCOPE_SE
	s_and_saveexec_b32 s0, vcc_lo
	s_cbranch_execz .LBB71_71
; %bb.69:
	s_mul_i32 s0, s26, 0x70
	s_mul_i32 s2, s8, s16
	s_wait_alu 0xfffe
	s_ashr_i32 s1, s0, 31
	s_ashr_i32 s3, s2, 31
	s_wait_alu 0xfffe
	s_lshl_b64 s[0:1], s[0:1], 1
	s_lshl_b64 s[2:3], s[2:3], 1
	s_wait_alu 0xfffe
	s_add_nc_u64 s[0:1], s[14:15], s[0:1]
	v_lshlrev_b32_e32 v0, 1, v0
	s_mul_i32 s4, s30, 0xe0
	s_wait_alu 0xfffe
	s_add_nc_u64 s[0:1], s[0:1], s[2:3]
	s_mov_b32 s5, 0
	v_cmp_gt_u32_e32 vcc_lo, 0x70, v3
	s_wait_alu 0xfffe
	s_add_nc_u64 s[0:1], s[0:1], s[4:5]
	;;#ASMSTART
	v_cvt_f16_f32 v1, v17;

	;;#ASMEND
	global_store_b16 v0, v1, s[0:1]
	;;#ASMSTART
	v_cvt_f16_f32 v1, v16;

	;;#ASMEND
	global_store_b16 v0, v1, s[0:1] offset:64
	;;#ASMSTART
	v_cvt_f16_f32 v1, v15;

	;;#ASMEND
	global_store_b16 v0, v1, s[0:1] offset:128
	s_and_b32 exec_lo, exec_lo, vcc_lo
	s_cbranch_execz .LBB71_71
; %bb.70:
	s_wait_alu 0xfffe
	v_add_co_u32 v0, s0, s0, v0
	s_wait_alu 0xf1ff
	v_add_co_ci_u32_e64 v1, null, s1, 0, s0
	;;#ASMSTART
	v_cvt_f16_f32 v2, v14;

	;;#ASMEND
	global_store_b16 v[0:1], v2, off offset:192
.LBB71_71:
	s_endpgm
	.section	.rodata,"a",@progbits
	.p2align	6, 0x0
	.amdhsa_kernel _ZN4vllm25paged_attention_v2_kernelIttLi112ELi8ELi128ELNS_18Fp8KVCacheDataTypeE0ELb1ELi512EEEvPfS2_PT_PKS3_PKT0_S9_ifPKiSB_iPKfiiiSD_SD_iiiii
		.amdhsa_group_segment_fixed_size 256
		.amdhsa_private_segment_fixed_size 0
		.amdhsa_kernarg_size 400
		.amdhsa_user_sgpr_count 2
		.amdhsa_user_sgpr_dispatch_ptr 0
		.amdhsa_user_sgpr_queue_ptr 0
		.amdhsa_user_sgpr_kernarg_segment_ptr 1
		.amdhsa_user_sgpr_dispatch_id 0
		.amdhsa_user_sgpr_private_segment_size 0
		.amdhsa_wavefront_size32 1
		.amdhsa_uses_dynamic_stack 0
		.amdhsa_enable_private_segment 0
		.amdhsa_system_sgpr_workgroup_id_x 1
		.amdhsa_system_sgpr_workgroup_id_y 1
		.amdhsa_system_sgpr_workgroup_id_z 1
		.amdhsa_system_sgpr_workgroup_info 0
		.amdhsa_system_vgpr_workitem_id 0
		.amdhsa_next_free_vgpr 68
		.amdhsa_next_free_sgpr 42
		.amdhsa_reserve_vcc 1
		.amdhsa_float_round_mode_32 0
		.amdhsa_float_round_mode_16_64 0
		.amdhsa_float_denorm_mode_32 3
		.amdhsa_float_denorm_mode_16_64 3
		.amdhsa_fp16_overflow 0
		.amdhsa_workgroup_processor_mode 1
		.amdhsa_memory_ordered 1
		.amdhsa_forward_progress 1
		.amdhsa_inst_pref_size 54
		.amdhsa_round_robin_scheduling 0
		.amdhsa_exception_fp_ieee_invalid_op 0
		.amdhsa_exception_fp_denorm_src 0
		.amdhsa_exception_fp_ieee_div_zero 0
		.amdhsa_exception_fp_ieee_overflow 0
		.amdhsa_exception_fp_ieee_underflow 0
		.amdhsa_exception_fp_ieee_inexact 0
		.amdhsa_exception_int_div_zero 0
	.end_amdhsa_kernel
	.section	.text._ZN4vllm25paged_attention_v2_kernelIttLi112ELi8ELi128ELNS_18Fp8KVCacheDataTypeE0ELb1ELi512EEEvPfS2_PT_PKS3_PKT0_S9_ifPKiSB_iPKfiiiSD_SD_iiiii,"axG",@progbits,_ZN4vllm25paged_attention_v2_kernelIttLi112ELi8ELi128ELNS_18Fp8KVCacheDataTypeE0ELb1ELi512EEEvPfS2_PT_PKS3_PKT0_S9_ifPKiSB_iPKfiiiSD_SD_iiiii,comdat
.Lfunc_end71:
	.size	_ZN4vllm25paged_attention_v2_kernelIttLi112ELi8ELi128ELNS_18Fp8KVCacheDataTypeE0ELb1ELi512EEEvPfS2_PT_PKS3_PKT0_S9_ifPKiSB_iPKfiiiSD_SD_iiiii, .Lfunc_end71-_ZN4vllm25paged_attention_v2_kernelIttLi112ELi8ELi128ELNS_18Fp8KVCacheDataTypeE0ELb1ELi512EEEvPfS2_PT_PKS3_PKT0_S9_ifPKiSB_iPKfiiiSD_SD_iiiii
                                        ; -- End function
	.set _ZN4vllm25paged_attention_v2_kernelIttLi112ELi8ELi128ELNS_18Fp8KVCacheDataTypeE0ELb1ELi512EEEvPfS2_PT_PKS3_PKT0_S9_ifPKiSB_iPKfiiiSD_SD_iiiii.num_vgpr, 68
	.set _ZN4vllm25paged_attention_v2_kernelIttLi112ELi8ELi128ELNS_18Fp8KVCacheDataTypeE0ELb1ELi512EEEvPfS2_PT_PKS3_PKT0_S9_ifPKiSB_iPKfiiiSD_SD_iiiii.num_agpr, 0
	.set _ZN4vllm25paged_attention_v2_kernelIttLi112ELi8ELi128ELNS_18Fp8KVCacheDataTypeE0ELb1ELi512EEEvPfS2_PT_PKS3_PKT0_S9_ifPKiSB_iPKfiiiSD_SD_iiiii.numbered_sgpr, 42
	.set _ZN4vllm25paged_attention_v2_kernelIttLi112ELi8ELi128ELNS_18Fp8KVCacheDataTypeE0ELb1ELi512EEEvPfS2_PT_PKS3_PKT0_S9_ifPKiSB_iPKfiiiSD_SD_iiiii.num_named_barrier, 0
	.set _ZN4vllm25paged_attention_v2_kernelIttLi112ELi8ELi128ELNS_18Fp8KVCacheDataTypeE0ELb1ELi512EEEvPfS2_PT_PKS3_PKT0_S9_ifPKiSB_iPKfiiiSD_SD_iiiii.private_seg_size, 0
	.set _ZN4vllm25paged_attention_v2_kernelIttLi112ELi8ELi128ELNS_18Fp8KVCacheDataTypeE0ELb1ELi512EEEvPfS2_PT_PKS3_PKT0_S9_ifPKiSB_iPKfiiiSD_SD_iiiii.uses_vcc, 1
	.set _ZN4vllm25paged_attention_v2_kernelIttLi112ELi8ELi128ELNS_18Fp8KVCacheDataTypeE0ELb1ELi512EEEvPfS2_PT_PKS3_PKT0_S9_ifPKiSB_iPKfiiiSD_SD_iiiii.uses_flat_scratch, 0
	.set _ZN4vllm25paged_attention_v2_kernelIttLi112ELi8ELi128ELNS_18Fp8KVCacheDataTypeE0ELb1ELi512EEEvPfS2_PT_PKS3_PKT0_S9_ifPKiSB_iPKfiiiSD_SD_iiiii.has_dyn_sized_stack, 0
	.set _ZN4vllm25paged_attention_v2_kernelIttLi112ELi8ELi128ELNS_18Fp8KVCacheDataTypeE0ELb1ELi512EEEvPfS2_PT_PKS3_PKT0_S9_ifPKiSB_iPKfiiiSD_SD_iiiii.has_recursion, 0
	.set _ZN4vllm25paged_attention_v2_kernelIttLi112ELi8ELi128ELNS_18Fp8KVCacheDataTypeE0ELb1ELi512EEEvPfS2_PT_PKS3_PKT0_S9_ifPKiSB_iPKfiiiSD_SD_iiiii.has_indirect_call, 0
	.section	.AMDGPU.csdata,"",@progbits
; Kernel info:
; codeLenInByte = 6844
; TotalNumSgprs: 44
; NumVgprs: 68
; ScratchSize: 0
; MemoryBound: 0
; FloatMode: 240
; IeeeMode: 1
; LDSByteSize: 256 bytes/workgroup (compile time only)
; SGPRBlocks: 0
; VGPRBlocks: 8
; NumSGPRsForWavesPerEU: 44
; NumVGPRsForWavesPerEU: 68
; Occupancy: 16
; WaveLimiterHint : 1
; COMPUTE_PGM_RSRC2:SCRATCH_EN: 0
; COMPUTE_PGM_RSRC2:USER_SGPR: 2
; COMPUTE_PGM_RSRC2:TRAP_HANDLER: 0
; COMPUTE_PGM_RSRC2:TGID_X_EN: 1
; COMPUTE_PGM_RSRC2:TGID_Y_EN: 1
; COMPUTE_PGM_RSRC2:TGID_Z_EN: 1
; COMPUTE_PGM_RSRC2:TIDIG_COMP_CNT: 0
	.section	.text._ZN4vllm32paged_attention_v2_reduce_kernelItLi112ELi128ELi512EEEvPT_PKfS4_PKS1_PKii,"axG",@progbits,_ZN4vllm32paged_attention_v2_reduce_kernelItLi112ELi128ELi512EEEvPT_PKfS4_PKS1_PKii,comdat
	.protected	_ZN4vllm32paged_attention_v2_reduce_kernelItLi112ELi128ELi512EEEvPT_PKfS4_PKS1_PKii ; -- Begin function _ZN4vllm32paged_attention_v2_reduce_kernelItLi112ELi128ELi512EEEvPT_PKfS4_PKS1_PKii
	.globl	_ZN4vllm32paged_attention_v2_reduce_kernelItLi112ELi128ELi512EEEvPT_PKfS4_PKS1_PKii
	.p2align	8
	.type	_ZN4vllm32paged_attention_v2_reduce_kernelItLi112ELi128ELi512EEEvPT_PKfS4_PKS1_PKii,@function
_ZN4vllm32paged_attention_v2_reduce_kernelItLi112ELi128ELi512EEEvPT_PKfS4_PKS1_PKii: ; @_ZN4vllm32paged_attention_v2_reduce_kernelItLi112ELi128ELi512EEEvPT_PKfS4_PKS1_PKii
; %bb.0:
	s_load_b128 s[4:7], s[0:1], 0x18
	s_mov_b32 s2, ttmp7
	s_ashr_i32 s3, ttmp7, 31
	s_add_nc_u64 s[8:9], s[0:1], 48
	s_lshl_b64 s[2:3], s[2:3], 2
	s_wait_kmcnt 0x0
	s_add_nc_u64 s[2:3], s[6:7], s[2:3]
	s_load_b32 s18, s[2:3], 0x0
	s_clause 0x2
	s_load_b64 s[6:7], s[0:1], 0x0
	s_load_b32 s14, s[0:1], 0x28
	s_load_b32 s15, s[0:1], 0x30
	s_wait_kmcnt 0x0
	s_add_co_i32 s2, s18, -1
	s_delay_alu instid0(SALU_CYCLE_1)
	s_cmp_gt_u32 s2, 0x1ff
	s_mov_b32 s2, -1
	s_cbranch_scc0 .LBB72_25
; %bb.1:
	s_add_co_i32 s2, s18, 0x1ff
	s_mul_i32 s16, s15, ttmp7
	s_ashr_i32 s3, s2, 31
	v_dual_mov_b32 v4, 0xff7fffff :: v_dual_lshlrev_b32 v3, 2, v0
	s_lshr_b32 s3, s3, 23
	s_mul_i32 s12, s16, s14
	s_add_co_i32 s2, s2, s3
	s_mul_i32 s10, s14, ttmp9
	s_ashr_i32 s17, s2, 9
	s_ashr_i32 s13, s12, 31
	v_cmp_gt_i32_e32 vcc_lo, s17, v0
	s_ashr_i32 s11, s10, 31
	s_and_saveexec_b32 s3, vcc_lo
	s_cbranch_execz .LBB72_5
; %bb.2:
	s_load_b64 s[20:21], s[0:1], 0x10
	s_load_b32 s2, s[8:9], 0xc
	s_lshl_b64 s[22:23], s[12:13], 2
	s_lshl_b64 s[24:25], s[10:11], 2
	v_dual_mov_b32 v4, 0xff7fffff :: v_dual_add_nc_u32 v5, 32, v3
	s_add_nc_u64 s[22:23], s[22:23], s[24:25]
	v_mov_b32_e32 v6, v0
	s_wait_kmcnt 0x0
	s_add_nc_u64 s[20:21], s[20:21], s[22:23]
	s_delay_alu instid0(SALU_CYCLE_1) | instskip(NEXT) | instid1(VALU_DEP_1)
	v_add_co_u32 v1, s19, s20, v3
	v_add_co_ci_u32_e64 v2, null, s21, 0, s19
	s_and_b32 s20, s2, 0xffff
	s_mov_b32 s19, 0
	s_wait_alu 0xfffe
	s_lshl_b32 s21, s20, 2
.LBB72_3:                               ; =>This Inner Loop Header: Depth=1
	global_load_b32 v7, v[1:2], off
	v_add_nc_u32_e32 v6, s20, v6
	v_max_num_f32_e32 v4, v4, v4
	s_wait_alu 0xfffe
	v_add_co_u32 v1, s2, v1, s21
	s_wait_alu 0xf1ff
	v_add_co_ci_u32_e64 v2, null, 0, v2, s2
	v_cmp_le_i32_e64 s2, s17, v6
	s_or_b32 s19, s2, s19
	s_wait_loadcnt 0x0
	v_max_num_f32_e32 v8, v7, v7
	ds_store_b32 v5, v7
	v_dual_max_num_f32 v4, v4, v8 :: v_dual_add_nc_u32 v5, s21, v5
	s_wait_alu 0xfffe
	s_and_not1_b32 exec_lo, exec_lo, s19
	s_cbranch_execnz .LBB72_3
; %bb.4:
	s_or_b32 exec_lo, exec_lo, s19
.LBB72_5:
	s_delay_alu instid0(SALU_CYCLE_1)
	s_or_b32 exec_lo, exec_lo, s3
	v_mbcnt_lo_u32_b32 v1, -1, 0
	s_load_b64 s[2:3], s[0:1], 0x8
	s_wait_dscnt 0x0
	s_barrier_signal -1
	s_barrier_wait -1
	v_xor_b32_e32 v2, 16, v1
	v_xor_b32_e32 v5, 8, v1
	global_inv scope:SCOPE_SE
	v_cmp_gt_i32_e64 s0, 32, v2
	s_delay_alu instid0(VALU_DEP_1) | instskip(SKIP_1) | instid1(VALU_DEP_2)
	v_cndmask_b32_e64 v2, v1, v2, s0
	v_cmp_gt_i32_e64 s0, 32, v5
	v_lshlrev_b32_e32 v6, 2, v2
	s_wait_alu 0xf1ff
	s_delay_alu instid0(VALU_DEP_2) | instskip(SKIP_3) | instid1(VALU_DEP_1)
	v_cndmask_b32_e64 v5, v1, v5, s0
	ds_bpermute_b32 v2, v6, v4
	v_dual_max_num_f32 v4, v4, v4 :: v_dual_lshlrev_b32 v7, 2, v5
	v_xor_b32_e32 v5, 4, v1
	v_cmp_gt_i32_e64 s0, 32, v5
	s_wait_alu 0xf1ff
	s_delay_alu instid0(VALU_DEP_1) | instskip(NEXT) | instid1(VALU_DEP_1)
	v_cndmask_b32_e64 v5, v1, v5, s0
	v_lshlrev_b32_e32 v8, 2, v5
	v_xor_b32_e32 v5, 2, v1
	s_wait_dscnt 0x0
	v_max_num_f32_e32 v2, v2, v2
	s_delay_alu instid0(VALU_DEP_2) | instskip(NEXT) | instid1(VALU_DEP_2)
	v_cmp_gt_i32_e64 s0, 32, v5
	v_max_num_f32_e32 v2, v4, v2
	s_wait_alu 0xf1ff
	s_delay_alu instid0(VALU_DEP_2) | instskip(SKIP_3) | instid1(VALU_DEP_1)
	v_cndmask_b32_e64 v5, v1, v5, s0
	ds_bpermute_b32 v4, v7, v2
	s_wait_dscnt 0x0
	v_max_num_f32_e32 v4, v4, v4
	v_max_num_f32_e32 v2, v2, v4
	ds_bpermute_b32 v4, v8, v2
	s_wait_dscnt 0x0
	v_dual_max_num_f32 v9, v4, v4 :: v_dual_lshlrev_b32 v4, 2, v5
	s_delay_alu instid0(VALU_DEP_1) | instskip(SKIP_4) | instid1(VALU_DEP_1)
	v_max_num_f32_e32 v2, v2, v9
	v_xor_b32_e32 v9, 1, v1
	ds_bpermute_b32 v5, v4, v2
	v_cmp_gt_i32_e64 s0, 32, v9
	s_wait_alu 0xf1ff
	v_cndmask_b32_e64 v1, v1, v9, s0
	v_lshrrev_b32_e32 v9, 5, v0
	s_delay_alu instid0(VALU_DEP_1) | instskip(SKIP_2) | instid1(VALU_DEP_1)
	v_lshlrev_b32_e32 v9, 2, v9
	s_wait_dscnt 0x0
	v_max_num_f32_e32 v5, v5, v5
	v_max_num_f32_e32 v2, v2, v5
	v_lshlrev_b32_e32 v5, 2, v1
	v_and_b32_e32 v1, 31, v0
	ds_bpermute_b32 v10, v5, v2
	v_cmp_eq_u32_e64 s0, 0, v1
	s_and_saveexec_b32 s1, s0
	s_cbranch_execz .LBB72_7
; %bb.6:
	s_wait_dscnt 0x0
	v_max_num_f32_e32 v10, v10, v10
	v_max_num_f32_e32 v2, v2, v2
	s_delay_alu instid0(VALU_DEP_1)
	v_max_num_f32_e32 v2, v2, v10
	ds_store_b32 v9, v2
.LBB72_7:
	s_wait_alu 0xfffe
	s_or_b32 exec_lo, exec_lo, s1
	v_cmp_gt_u32_e64 s1, 4, v1
	v_mov_b32_e32 v2, 0xff7fffff
	s_wait_dscnt 0x0
	v_lshlrev_b32_e32 v10, 2, v1
	s_wait_loadcnt 0x0
	s_barrier_signal -1
	s_barrier_wait -1
	global_inv scope:SCOPE_SE
	s_and_saveexec_b32 s19, s1
; %bb.8:
	ds_load_b32 v2, v10
; %bb.9:
	s_wait_alu 0xfffe
	s_or_b32 exec_lo, exec_lo, s19
	s_wait_dscnt 0x0
	ds_bpermute_b32 v1, v4, v2
	v_max_num_f32_e32 v2, v2, v2
	s_lshl_b32 s19, s17, 2
	v_mov_b32_e32 v11, 0
	s_wait_dscnt 0x0
	v_max_num_f32_e32 v1, v1, v1
	s_delay_alu instid0(VALU_DEP_1) | instskip(SKIP_3) | instid1(VALU_DEP_1)
	v_max_num_f32_e32 v1, v2, v1
	ds_bpermute_b32 v2, v5, v1
	s_wait_dscnt 0x0
	v_max_num_f32_e32 v2, v2, v2
	v_max_num_f32_e32 v1, v1, v2
	ds_bpermute_b32 v12, v11, v1
	s_and_saveexec_b32 s20, vcc_lo
	s_cbranch_execz .LBB72_13
; %bb.10:
	s_load_b32 s21, s[8:9], 0xc
	s_lshl_b64 s[22:23], s[12:13], 2
	s_lshl_b64 s[24:25], s[10:11], 2
	v_mov_b32_e32 v11, 0
	s_add_nc_u64 s[22:23], s[22:23], s[24:25]
	v_mov_b32_e32 v13, v0
	s_wait_kmcnt 0x0
	s_add_nc_u64 s[2:3], s[2:3], s[22:23]
	s_wait_alu 0xfffe
	v_add_co_u32 v1, s2, s2, v3
	s_wait_alu 0xf1ff
	v_add_co_ci_u32_e64 v2, null, s3, 0, s2
	v_add_nc_u32_e32 v3, 32, v3
	s_mov_b32 s3, 0
	s_and_b32 s11, s21, 0xffff
	s_delay_alu instid0(SALU_CYCLE_1)
	s_lshl_b32 s13, s11, 2
.LBB72_11:                              ; =>This Inner Loop Header: Depth=1
	global_load_b32 v14, v[1:2], off
	ds_load_b32 v15, v3
	v_add_nc_u32_e32 v13, s11, v13
	s_wait_dscnt 0x0
	v_sub_f32_e32 v15, v15, v12
	s_delay_alu instid0(VALU_DEP_1) | instskip(NEXT) | instid1(VALU_DEP_1)
	v_mul_f32_e32 v16, 0x3fb8aa3b, v15
	v_fma_f32 v17, 0x3fb8aa3b, v15, -v16
	v_rndne_f32_e32 v18, v16
	s_delay_alu instid0(VALU_DEP_1) | instskip(SKIP_1) | instid1(VALU_DEP_4)
	v_sub_f32_e32 v16, v16, v18
	v_cmp_ngt_f32_e32 vcc_lo, 0xc2ce8ed0, v15
	v_fmac_f32_e32 v17, 0x32a5705f, v15
	v_cmp_nlt_f32_e64 s2, 0x42b17218, v15
	s_delay_alu instid0(VALU_DEP_2) | instskip(SKIP_1) | instid1(VALU_DEP_2)
	v_add_f32_e32 v16, v16, v17
	v_cvt_i32_f32_e32 v17, v18
	v_exp_f32_e32 v16, v16
	s_delay_alu instid0(TRANS32_DEP_1) | instskip(SKIP_2) | instid1(VALU_DEP_2)
	v_ldexp_f32 v16, v16, v17
	v_add_nc_u32_e32 v17, s19, v3
	s_wait_alu 0xfffd
	v_dual_cndmask_b32 v16, 0, v16 :: v_dual_add_nc_u32 v3, s13, v3
	v_add_co_u32 v1, vcc_lo, v1, s13
	s_wait_alu 0xfffd
	v_add_co_ci_u32_e64 v2, null, 0, v2, vcc_lo
	s_wait_alu 0xf1ff
	v_cndmask_b32_e64 v15, 0x7f800000, v16, s2
	v_cmp_le_i32_e32 vcc_lo, s17, v13
	s_wait_alu 0xfffe
	s_or_b32 s3, vcc_lo, s3
	s_wait_loadcnt 0x0
	v_mul_f32_e32 v16, v14, v15
	v_fmac_f32_e32 v11, v14, v15
	ds_store_b32 v17, v16
	s_wait_alu 0xfffe
	s_and_not1_b32 exec_lo, exec_lo, s3
	s_cbranch_execnz .LBB72_11
; %bb.12:
	s_or_b32 exec_lo, exec_lo, s3
.LBB72_13:
	s_wait_alu 0xfffe
	s_or_b32 exec_lo, exec_lo, s20
	ds_bpermute_b32 v1, v6, v11
	s_wait_loadcnt_dscnt 0x0
	s_barrier_signal -1
	s_barrier_wait -1
	global_inv scope:SCOPE_SE
	v_add_f32_e32 v1, v11, v1
	ds_bpermute_b32 v2, v7, v1
	s_wait_dscnt 0x0
	v_add_f32_e32 v1, v1, v2
	ds_bpermute_b32 v2, v8, v1
	s_wait_dscnt 0x0
	;; [unrolled: 3-line block ×4, first 2 shown]
	v_add_f32_e32 v1, v1, v2
	s_wait_kmcnt 0x0
	s_and_saveexec_b32 s2, s0
; %bb.14:
	ds_store_b32 v9, v1 offset:16
; %bb.15:
	s_wait_alu 0xfffe
	s_or_b32 exec_lo, exec_lo, s2
	s_wait_loadcnt_dscnt 0x0
	s_barrier_signal -1
	s_barrier_wait -1
	global_inv scope:SCOPE_SE
	s_and_saveexec_b32 s0, s1
; %bb.16:
	ds_load_b32 v1, v10 offset:16
; %bb.17:
	s_wait_alu 0xfffe
	s_or_b32 exec_lo, exec_lo, s0
	s_wait_dscnt 0x0
	ds_bpermute_b32 v2, v4, v1
	s_mov_b32 s0, exec_lo
	s_wait_dscnt 0x0
	v_add_f32_e32 v1, v1, v2
	ds_bpermute_b32 v2, v5, v1
	s_wait_dscnt 0x0
	v_dual_add_f32 v1, v1, v2 :: v_dual_mov_b32 v2, 0
	ds_bpermute_b32 v2, v2, v1
	v_cmpx_gt_u32_e32 0x70, v0
	s_cbranch_execz .LBB72_24
; %bb.18:
	s_cmp_gt_i32 s18, 0
	s_mov_b32 s1, 0
	s_cbranch_scc1 .LBB72_20
; %bb.19:
	v_dual_mov_b32 v1, 0 :: v_dual_mov_b32 v4, 0
	s_wait_alu 0xfffe
	s_and_not1_b32 vcc_lo, exec_lo, s1
	s_wait_alu 0xfffe
	s_cbranch_vccz .LBB72_21
	s_branch .LBB72_23
.LBB72_20:
	v_mov_b32_e32 v4, 0
.LBB72_21:
	s_wait_dscnt 0x0
	v_add_f32_e32 v4, 0x358637bd, v2
	s_mul_i32 s2, s12, 0x70
	s_mulk_i32 s10, 0x70
	s_wait_alu 0xfffe
	s_ashr_i32 s3, s2, 31
	s_ashr_i32 s11, s10, 31
	v_div_scale_f32 v2, null, v4, v4, 1.0
	s_wait_alu 0xfffe
	s_lshl_b64 s[2:3], s[2:3], 1
	s_lshl_b64 s[10:11], s[10:11], 1
	s_wait_alu 0xfffe
	s_add_nc_u64 s[2:3], s[2:3], s[10:11]
	v_rcp_f32_e32 v3, v2
	s_wait_alu 0xfffe
	s_add_nc_u64 s[2:3], s[4:5], s[2:3]
	s_delay_alu instid0(TRANS32_DEP_1) | instskip(NEXT) | instid1(VALU_DEP_1)
	v_fma_f32 v1, -v2, v3, 1.0
	v_fmac_f32_e32 v3, v1, v3
	v_div_scale_f32 v5, vcc_lo, 1.0, v4, 1.0
	s_delay_alu instid0(VALU_DEP_1) | instskip(NEXT) | instid1(VALU_DEP_1)
	v_mul_f32_e32 v6, v5, v3
	v_fma_f32 v1, -v2, v6, v5
	s_delay_alu instid0(VALU_DEP_1) | instskip(NEXT) | instid1(VALU_DEP_1)
	v_dual_fmac_f32 v6, v1, v3 :: v_dual_mov_b32 v1, 0
	v_fma_f32 v2, -v2, v6, v5
	v_lshlrev_b32_e32 v5, 1, v0
	s_wait_alu 0xfffd
	s_delay_alu instid0(VALU_DEP_2) | instskip(SKIP_1) | instid1(VALU_DEP_2)
	v_div_fmas_f32 v6, v2, v3, v6
	s_wait_alu 0xfffe
	v_add_co_u32 v2, s1, s2, v5
	s_wait_alu 0xf1ff
	v_add_co_ci_u32_e64 v3, null, s3, 0, s1
	v_div_fixup_f32 v5, v6, v4, 1.0
	v_mov_b32_e32 v4, v1
	s_max_i32 s1, s17, 1
	s_add_co_i32 s2, s19, 32
.LBB72_22:                              ; =>This Inner Loop Header: Depth=1
	s_wait_alu 0xfffe
	v_mov_b32_e32 v6, s2
	global_load_u16 v7, v[2:3], off
	s_wait_loadcnt 0x0
	;;#ASMSTART
	v_cvt_f32_f16 v7, v7;
	;;#ASMEND
	v_add_co_u32 v2, vcc_lo, 0xe0, v2
	ds_load_b32 v6, v6
	s_wait_alu 0xfffd
	v_add_co_ci_u32_e64 v3, null, 0, v3, vcc_lo
	s_add_co_i32 s1, s1, -1
	s_add_co_i32 s2, s2, 4
	s_wait_alu 0xfffe
	s_cmp_eq_u32 s1, 0
	s_wait_dscnt 0x0
	v_mul_f32_e32 v6, v7, v6
	s_delay_alu instid0(VALU_DEP_1)
	v_fmac_f32_e32 v4, v5, v6
	s_cbranch_scc0 .LBB72_22
.LBB72_23:
	s_mul_i32 s2, s16, 0x70
	s_mul_i32 s10, ttmp9, 0x70
	s_wait_alu 0xfffe
	s_ashr_i32 s3, s2, 31
	s_ashr_i32 s11, s10, 31
	s_wait_alu 0xfffe
	s_lshl_b64 s[2:3], s[2:3], 1
	s_wait_dscnt 0x0
	v_lshlrev_b64_e32 v[1:2], 1, v[0:1]
	s_lshl_b64 s[10:11], s[10:11], 1
	s_wait_alu 0xfffe
	s_add_nc_u64 s[2:3], s[6:7], s[2:3]
	;;#ASMSTART
	v_cvt_f16_f32 v3, v4;

	;;#ASMEND
	s_wait_alu 0xfffe
	s_add_nc_u64 s[2:3], s[2:3], s[10:11]
	s_wait_alu 0xfffe
	v_add_co_u32 v1, vcc_lo, s2, v1
	s_wait_alu 0xfffd
	v_add_co_ci_u32_e64 v2, null, s3, v2, vcc_lo
	global_store_b16 v[1:2], v3, off
.LBB72_24:
	s_wait_alu 0xfffe
	s_or_b32 exec_lo, exec_lo, s0
	s_mov_b32 s2, 0
.LBB72_25:
	s_wait_alu 0xfffe
	s_and_b32 vcc_lo, exec_lo, s2
	s_wait_alu 0xfffe
	s_cbranch_vccz .LBB72_34
; %bb.26:
	s_mov_b32 s0, exec_lo
	v_cmpx_gt_u32_e32 0x70, v0
	s_cbranch_execz .LBB72_34
; %bb.27:
	s_load_b32 s0, s[8:9], 0xc
	s_mul_i32 s1, s15, ttmp7
	s_mul_i32 s8, ttmp9, 0x70
	s_wait_alu 0xfffe
	s_mul_i32 s12, s1, 0x70
	s_mul_i32 s2, s8, s14
	s_wait_alu 0xfffe
	s_mul_i32 s10, s12, s14
	v_cmp_gt_u32_e32 vcc_lo, 0x6d, v0
	s_ashr_i32 s9, s8, 31
	s_ashr_i32 s13, s12, 31
	;; [unrolled: 1-line block ×3, first 2 shown]
	s_wait_alu 0xfffe
	s_ashr_i32 s11, s10, 31
	s_wait_kmcnt 0x0
	s_and_b32 s1, s0, 0xffff
	s_wait_alu 0xfffe
	s_cmp_eq_u32 s1, 1
	s_cselect_b32 s0, -1, 0
	s_wait_alu 0xfffe
	s_and_b32 s15, vcc_lo, s0
	s_mov_b32 s0, -1
	s_and_saveexec_b32 s14, s15
	s_cbranch_execz .LBB72_31
; %bb.28:
	s_lshl_b64 s[16:17], s[10:11], 1
	s_lshl_b64 s[18:19], s[2:3], 1
	v_lshlrev_b32_e32 v1, 1, v0
	s_wait_alu 0xfffe
	s_add_nc_u64 s[16:17], s[16:17], s[18:19]
	s_lshl_b64 s[18:19], s[12:13], 1
	s_lshl_b64 s[20:21], s[8:9], 1
	s_wait_alu 0xfffe
	s_add_nc_u64 s[16:17], s[4:5], s[16:17]
	s_add_nc_u64 s[18:19], s[18:19], s[20:21]
	s_wait_dscnt 0x0
	s_wait_alu 0xfffe
	v_add_co_u32 v2, s0, s16, v1
	v_sub_nc_u32_e32 v5, 0x70, v0
	s_wait_alu 0xf1ff
	v_add_co_ci_u32_e64 v3, null, s17, 0, s0
	s_add_nc_u64 s[16:17], s[6:7], s[18:19]
	s_mov_b32 s15, 0
	s_wait_alu 0xfffe
	v_add_co_u32 v4, s0, s16, v1
	v_and_b32_e32 v6, 0x7c, v5
	s_wait_alu 0xf1ff
	v_add_co_ci_u32_e64 v7, null, s17, 0, s0
	v_add_co_u32 v1, vcc_lo, v2, 4
	s_wait_alu 0xfffd
	v_add_co_ci_u32_e64 v2, null, 0, v3, vcc_lo
	v_add_co_u32 v3, vcc_lo, v4, 4
	s_wait_alu 0xfffd
	v_add_co_ci_u32_e64 v4, null, 0, v7, vcc_lo
	v_mov_b32_e32 v7, v6
.LBB72_29:                              ; =>This Inner Loop Header: Depth=1
	global_load_b64 v[8:9], v[1:2], off offset:-4
	v_add_nc_u32_e32 v7, -4, v7
	v_add_co_u32 v1, vcc_lo, v1, 8
	s_wait_alu 0xfffd
	v_add_co_ci_u32_e64 v2, null, 0, v2, vcc_lo
	s_delay_alu instid0(VALU_DEP_3)
	v_cmp_eq_u32_e32 vcc_lo, 0, v7
	s_or_b32 s15, vcc_lo, s15
	s_wait_loadcnt 0x0
	global_store_b64 v[3:4], v[8:9], off offset:-4
	v_add_co_u32 v3, s0, v3, 8
	s_wait_alu 0xf1ff
	v_add_co_ci_u32_e64 v4, null, 0, v4, s0
	s_and_not1_b32 exec_lo, exec_lo, s15
	s_cbranch_execnz .LBB72_29
; %bb.30:
	s_or_b32 exec_lo, exec_lo, s15
	v_cmp_ne_u32_e32 vcc_lo, v5, v6
	v_add_nc_u32_e32 v0, v0, v6
	s_or_not1_b32 s0, vcc_lo, exec_lo
.LBB72_31:
	s_or_b32 exec_lo, exec_lo, s14
	s_wait_alu 0xfffe
	s_and_b32 exec_lo, exec_lo, s0
	s_cbranch_execz .LBB72_34
; %bb.32:
	s_lshl_b64 s[12:13], s[12:13], 1
	s_lshl_b64 s[10:11], s[10:11], 1
	s_wait_dscnt 0x0
	v_dual_mov_b32 v2, 0 :: v_dual_lshlrev_b32 v1, 1, v0
	s_lshl_b64 s[8:9], s[8:9], 1
	s_wait_alu 0xfffe
	s_add_nc_u64 s[6:7], s[6:7], s[12:13]
	s_add_nc_u64 s[4:5], s[4:5], s[10:11]
	s_lshl_b64 s[2:3], s[2:3], 1
	s_add_nc_u64 s[6:7], s[6:7], s[8:9]
	s_wait_alu 0xfffe
	s_add_nc_u64 s[2:3], s[4:5], s[2:3]
	s_mov_b32 s4, 0
	s_lshl_b32 s5, s1, 1
.LBB72_33:                              ; =>This Inner Loop Header: Depth=1
	s_wait_alu 0xfffe
	v_add_co_u32 v3, vcc_lo, s2, v1
	s_wait_alu 0xfffd
	v_add_co_ci_u32_e64 v4, null, s3, v2, vcc_lo
	v_add_nc_u32_e32 v0, s1, v0
	global_load_u16 v5, v[3:4], off
	v_add_co_u32 v3, vcc_lo, s6, v1
	s_wait_alu 0xfffd
	v_add_co_ci_u32_e64 v4, null, s7, v2, vcc_lo
	v_cmp_lt_u32_e32 vcc_lo, 0x6f, v0
	v_add_co_u32 v1, s0, v1, s5
	s_wait_alu 0xf1ff
	v_add_co_ci_u32_e64 v2, null, 0, v2, s0
	s_or_b32 s4, vcc_lo, s4
	s_wait_loadcnt 0x0
	global_store_b16 v[3:4], v5, off
	s_wait_alu 0xfffe
	s_and_not1_b32 exec_lo, exec_lo, s4
	s_cbranch_execnz .LBB72_33
.LBB72_34:
	s_endpgm
	.section	.rodata,"a",@progbits
	.p2align	6, 0x0
	.amdhsa_kernel _ZN4vllm32paged_attention_v2_reduce_kernelItLi112ELi128ELi512EEEvPT_PKfS4_PKS1_PKii
		.amdhsa_group_segment_fixed_size 32
		.amdhsa_private_segment_fixed_size 0
		.amdhsa_kernarg_size 304
		.amdhsa_user_sgpr_count 2
		.amdhsa_user_sgpr_dispatch_ptr 0
		.amdhsa_user_sgpr_queue_ptr 0
		.amdhsa_user_sgpr_kernarg_segment_ptr 1
		.amdhsa_user_sgpr_dispatch_id 0
		.amdhsa_user_sgpr_private_segment_size 0
		.amdhsa_wavefront_size32 1
		.amdhsa_uses_dynamic_stack 0
		.amdhsa_enable_private_segment 0
		.amdhsa_system_sgpr_workgroup_id_x 1
		.amdhsa_system_sgpr_workgroup_id_y 1
		.amdhsa_system_sgpr_workgroup_id_z 0
		.amdhsa_system_sgpr_workgroup_info 0
		.amdhsa_system_vgpr_workitem_id 0
		.amdhsa_next_free_vgpr 19
		.amdhsa_next_free_sgpr 26
		.amdhsa_reserve_vcc 1
		.amdhsa_float_round_mode_32 0
		.amdhsa_float_round_mode_16_64 0
		.amdhsa_float_denorm_mode_32 3
		.amdhsa_float_denorm_mode_16_64 3
		.amdhsa_fp16_overflow 0
		.amdhsa_workgroup_processor_mode 1
		.amdhsa_memory_ordered 1
		.amdhsa_forward_progress 1
		.amdhsa_inst_pref_size 20
		.amdhsa_round_robin_scheduling 0
		.amdhsa_exception_fp_ieee_invalid_op 0
		.amdhsa_exception_fp_denorm_src 0
		.amdhsa_exception_fp_ieee_div_zero 0
		.amdhsa_exception_fp_ieee_overflow 0
		.amdhsa_exception_fp_ieee_underflow 0
		.amdhsa_exception_fp_ieee_inexact 0
		.amdhsa_exception_int_div_zero 0
	.end_amdhsa_kernel
	.section	.text._ZN4vllm32paged_attention_v2_reduce_kernelItLi112ELi128ELi512EEEvPT_PKfS4_PKS1_PKii,"axG",@progbits,_ZN4vllm32paged_attention_v2_reduce_kernelItLi112ELi128ELi512EEEvPT_PKfS4_PKS1_PKii,comdat
.Lfunc_end72:
	.size	_ZN4vllm32paged_attention_v2_reduce_kernelItLi112ELi128ELi512EEEvPT_PKfS4_PKS1_PKii, .Lfunc_end72-_ZN4vllm32paged_attention_v2_reduce_kernelItLi112ELi128ELi512EEEvPT_PKfS4_PKS1_PKii
                                        ; -- End function
	.set _ZN4vllm32paged_attention_v2_reduce_kernelItLi112ELi128ELi512EEEvPT_PKfS4_PKS1_PKii.num_vgpr, 19
	.set _ZN4vllm32paged_attention_v2_reduce_kernelItLi112ELi128ELi512EEEvPT_PKfS4_PKS1_PKii.num_agpr, 0
	.set _ZN4vllm32paged_attention_v2_reduce_kernelItLi112ELi128ELi512EEEvPT_PKfS4_PKS1_PKii.numbered_sgpr, 26
	.set _ZN4vllm32paged_attention_v2_reduce_kernelItLi112ELi128ELi512EEEvPT_PKfS4_PKS1_PKii.num_named_barrier, 0
	.set _ZN4vllm32paged_attention_v2_reduce_kernelItLi112ELi128ELi512EEEvPT_PKfS4_PKS1_PKii.private_seg_size, 0
	.set _ZN4vllm32paged_attention_v2_reduce_kernelItLi112ELi128ELi512EEEvPT_PKfS4_PKS1_PKii.uses_vcc, 1
	.set _ZN4vllm32paged_attention_v2_reduce_kernelItLi112ELi128ELi512EEEvPT_PKfS4_PKS1_PKii.uses_flat_scratch, 0
	.set _ZN4vllm32paged_attention_v2_reduce_kernelItLi112ELi128ELi512EEEvPT_PKfS4_PKS1_PKii.has_dyn_sized_stack, 0
	.set _ZN4vllm32paged_attention_v2_reduce_kernelItLi112ELi128ELi512EEEvPT_PKfS4_PKS1_PKii.has_recursion, 0
	.set _ZN4vllm32paged_attention_v2_reduce_kernelItLi112ELi128ELi512EEEvPT_PKfS4_PKS1_PKii.has_indirect_call, 0
	.section	.AMDGPU.csdata,"",@progbits
; Kernel info:
; codeLenInByte = 2476
; TotalNumSgprs: 28
; NumVgprs: 19
; ScratchSize: 0
; MemoryBound: 0
; FloatMode: 240
; IeeeMode: 1
; LDSByteSize: 32 bytes/workgroup (compile time only)
; SGPRBlocks: 0
; VGPRBlocks: 2
; NumSGPRsForWavesPerEU: 28
; NumVGPRsForWavesPerEU: 19
; Occupancy: 16
; WaveLimiterHint : 0
; COMPUTE_PGM_RSRC2:SCRATCH_EN: 0
; COMPUTE_PGM_RSRC2:USER_SGPR: 2
; COMPUTE_PGM_RSRC2:TRAP_HANDLER: 0
; COMPUTE_PGM_RSRC2:TGID_X_EN: 1
; COMPUTE_PGM_RSRC2:TGID_Y_EN: 1
; COMPUTE_PGM_RSRC2:TGID_Z_EN: 0
; COMPUTE_PGM_RSRC2:TIDIG_COMP_CNT: 0
	.section	.text._ZN4vllm25paged_attention_v2_kernelIttLi120ELi8ELi128ELNS_18Fp8KVCacheDataTypeE0ELb1ELi512EEEvPfS2_PT_PKS3_PKT0_S9_ifPKiSB_iPKfiiiSD_SD_iiiii,"axG",@progbits,_ZN4vllm25paged_attention_v2_kernelIttLi120ELi8ELi128ELNS_18Fp8KVCacheDataTypeE0ELb1ELi512EEEvPfS2_PT_PKS3_PKT0_S9_ifPKiSB_iPKfiiiSD_SD_iiiii,comdat
	.protected	_ZN4vllm25paged_attention_v2_kernelIttLi120ELi8ELi128ELNS_18Fp8KVCacheDataTypeE0ELb1ELi512EEEvPfS2_PT_PKS3_PKT0_S9_ifPKiSB_iPKfiiiSD_SD_iiiii ; -- Begin function _ZN4vllm25paged_attention_v2_kernelIttLi120ELi8ELi128ELNS_18Fp8KVCacheDataTypeE0ELb1ELi512EEEvPfS2_PT_PKS3_PKT0_S9_ifPKiSB_iPKfiiiSD_SD_iiiii
	.globl	_ZN4vllm25paged_attention_v2_kernelIttLi120ELi8ELi128ELNS_18Fp8KVCacheDataTypeE0ELb1ELi512EEEvPfS2_PT_PKS3_PKT0_S9_ifPKiSB_iPKfiiiSD_SD_iiiii
	.p2align	8
	.type	_ZN4vllm25paged_attention_v2_kernelIttLi120ELi8ELi128ELNS_18Fp8KVCacheDataTypeE0ELb1ELi512EEEvPfS2_PT_PKS3_PKT0_S9_ifPKiSB_iPKfiiiSD_SD_iiiii,@function
_ZN4vllm25paged_attention_v2_kernelIttLi120ELi8ELi128ELNS_18Fp8KVCacheDataTypeE0ELb1ELi512EEEvPfS2_PT_PKS3_PKT0_S9_ifPKiSB_iPKfiiiSD_SD_iiiii: ; @_ZN4vllm25paged_attention_v2_kernelIttLi120ELi8ELi128ELNS_18Fp8KVCacheDataTypeE0ELb1ELi512EEEvPfS2_PT_PKS3_PKT0_S9_ifPKiSB_iPKfiiiSD_SD_iiiii
; %bb.0:
	s_load_b64 s[2:3], s[0:1], 0x40
	s_and_b32 s26, ttmp7, 0xffff
	s_lshr_b32 s30, ttmp7, 16
	s_lshl_b32 s4, s26, 2
	s_lshl_b32 s33, s30, 9
	s_wait_kmcnt 0x0
	s_load_b32 s31, s[2:3], s4 offset:0x0
	s_wait_kmcnt 0x0
	s_cmp_ge_i32 s33, s31
	s_cbranch_scc1 .LBB73_71
; %bb.1:
	s_clause 0x1
	s_load_b32 s27, s[0:1], 0x90
	s_load_b64 s[6:7], s[0:1], 0x30
	s_wait_kmcnt 0x0
	s_abs_i32 s5, s27
	s_abs_i32 s2, s6
	s_delay_alu instid0(SALU_CYCLE_1) | instskip(SKIP_1) | instid1(SALU_CYCLE_2)
	s_cvt_f32_u32 s3, s2
	s_sub_co_i32 s4, 0, s2
	v_rcp_iflag_f32_e32 v1, s3
	s_delay_alu instid0(TRANS32_DEP_1) | instskip(SKIP_2) | instid1(SALU_CYCLE_2)
	v_readfirstlane_b32 s3, v1
	s_mul_f32 s3, s3, 0x4f7ffffe
	s_wait_alu 0xfffe
	s_cvt_u32_f32 s3, s3
	s_wait_alu 0xfffe
	s_delay_alu instid0(SALU_CYCLE_2) | instskip(NEXT) | instid1(SALU_CYCLE_1)
	s_mul_i32 s4, s4, s3
	s_mul_hi_u32 s4, s3, s4
	s_delay_alu instid0(SALU_CYCLE_1)
	s_add_co_i32 s3, s3, s4
	s_xor_b32 s4, s27, s6
	s_wait_alu 0xfffe
	s_mul_hi_u32 s3, s5, s3
	s_ashr_i32 s4, s4, 31
	s_wait_alu 0xfffe
	s_mul_i32 s8, s3, s2
	s_delay_alu instid0(SALU_CYCLE_1)
	s_sub_co_i32 s5, s5, s8
	s_add_co_i32 s8, s3, 1
	s_sub_co_i32 s9, s5, s2
	s_cmp_ge_u32 s5, s2
	s_cselect_b32 s3, s8, s3
	s_cselect_b32 s5, s9, s5
	s_wait_alu 0xfffe
	s_add_co_i32 s8, s3, 1
	s_cmp_ge_u32 s5, s2
	s_cselect_b32 s2, s8, s3
	s_load_b64 s[8:9], s[0:1], 0x50
	s_xor_b32 s2, s2, s4
	s_mov_b32 s3, 0
	s_wait_alu 0xfffe
	s_sub_co_i32 s10, s2, s4
	s_mov_b32 s15, s3
	s_abs_i32 s18, s10
	s_delay_alu instid0(SALU_CYCLE_1) | instskip(SKIP_1) | instid1(SALU_CYCLE_2)
	s_cvt_f32_u32 s2, s18
	s_wait_alu 0xfffe
	v_rcp_iflag_f32_e32 v1, s2
	s_delay_alu instid0(TRANS32_DEP_1) | instskip(SKIP_2) | instid1(SALU_CYCLE_2)
	v_readfirstlane_b32 s2, v1
	s_mul_f32 s2, s2, 0x4f7ffffe
	s_wait_alu 0xfffe
	s_cvt_u32_f32 s4, s2
	s_sub_co_i32 s2, 0, s18
	s_wait_alu 0xfffe
	s_delay_alu instid0(SALU_CYCLE_1)
	s_mul_i32 s2, s2, s4
	s_wait_alu 0xfffe
	s_mul_hi_u32 s5, s4, s2
	s_abs_i32 s2, ttmp9
	s_add_co_i32 s4, s4, s5
	s_mov_b32 s5, s3
	s_wait_kmcnt 0x0
	s_cmp_eq_u64 s[8:9], 0
	s_cbranch_scc1 .LBB73_3
; %bb.2:
	s_mov_b32 s12, ttmp9
	s_ashr_i32 s13, ttmp9, 31
	s_delay_alu instid0(SALU_CYCLE_1) | instskip(NEXT) | instid1(SALU_CYCLE_1)
	s_lshl_b64 s[12:13], s[12:13], 2
	s_add_nc_u64 s[8:9], s[8:9], s[12:13]
	s_load_b32 s15, s[8:9], 0x0
.LBB73_3:
	s_load_b96 s[12:14], s[0:1], 0x58
	v_and_b32_e32 v1, 3, v0
	v_lshlrev_b32_e32 v2, 2, v0
	s_mul_u64 s[4:5], s[2:3], s[4:5]
	s_ashr_i32 s3, ttmp9, 31
	s_ashr_i32 s4, s10, 31
	s_mul_i32 s16, ttmp9, 0x78
	s_mov_b32 s8, exec_lo
	v_cmpx_gt_u32_e32 60, v0
	s_cbranch_execz .LBB73_5
; %bb.4:
	s_load_b64 s[10:11], s[0:1], 0x18
	s_wait_kmcnt 0x0
	s_mul_i32 s20, s12, s26
	s_ashr_i32 s17, s16, 31
	s_ashr_i32 s21, s20, 31
	v_and_b32_e32 v4, 0x3fc, v0
	s_lshl_b64 s[20:21], s[20:21], 1
	s_delay_alu instid0(VALU_DEP_1) | instskip(SKIP_2) | instid1(SALU_CYCLE_1)
	v_mad_u32_u24 v4, v1, 60, v4
	s_add_nc_u64 s[10:11], s[10:11], s[20:21]
	s_lshl_b64 s[20:21], s[16:17], 1
	s_add_nc_u64 s[10:11], s[10:11], s[20:21]
	global_load_b32 v3, v2, s[10:11]
	s_wait_loadcnt 0x0
	ds_store_b32 v4, v3
.LBB73_5:
	s_or_b32 exec_lo, exec_lo, s8
	s_clause 0x1
	s_load_b128 s[8:11], s[0:1], 0x78
	s_load_b32 s20, s[0:1], 0x88
	s_wait_kmcnt 0x0
	s_mul_i32 s12, s5, s18
	s_xor_b32 s3, s3, s4
	s_sub_co_i32 s2, s2, s12
	s_add_co_i32 s4, s5, 1
	s_wait_alu 0xfffe
	s_sub_co_i32 s12, s2, s18
	s_cmp_ge_u32 s2, s18
	s_mov_b32 s22, -1
	s_cselect_b32 s4, s4, s5
	s_cselect_b32 s2, s12, s2
	s_add_co_i32 s5, s4, 1
	s_wait_alu 0xfffe
	s_cmp_ge_u32 s2, s18
	s_wait_dscnt 0x0
	s_cselect_b32 s2, s5, s4
	s_add_co_i32 s21, s31, -1
	s_wait_alu 0xfffe
	s_xor_b32 s2, s2, s3
	s_barrier_signal -1
	s_wait_alu 0xfffe
	s_sub_co_i32 s24, s2, s3
	s_barrier_wait -1
	s_abs_i32 s12, s11
	global_inv scope:SCOPE_SE
	s_cvt_f32_u32 s4, s12
                                        ; implicit-def: $sgpr17
	s_delay_alu instid0(SALU_CYCLE_3) | instskip(NEXT) | instid1(TRANS32_DEP_1)
	v_rcp_iflag_f32_e32 v3, s4
	v_readfirstlane_b32 s4, v3
	s_mul_f32 s2, s4, 0x4f7ffffe
	s_wait_alu 0xfffe
	s_delay_alu instid0(SALU_CYCLE_2) | instskip(SKIP_2) | instid1(SALU_CYCLE_1)
	s_cvt_u32_f32 s4, s2
	s_sub_co_i32 s2, 0, s12
	s_wait_alu 0xfffe
	s_mul_i32 s3, s2, s4
	s_abs_i32 s2, s21
	s_wait_alu 0xfffe
	s_mul_hi_u32 s5, s4, s3
	s_mov_b32 s3, 0
	s_wait_alu 0xfffe
	s_add_co_i32 s18, s4, s5
	s_cmp_lt_i32 s20, 0
	s_mov_b32 s19, s3
	s_cbranch_scc0 .LBB73_7
; %bb.6:
	s_mul_i32 s4, s8, s6
	s_mov_b32 s22, s3
	s_wait_alu 0xfffe
	s_add_co_i32 s4, s24, s4
	s_wait_alu 0xfffe
	s_mul_i32 s4, s4, s20
	s_wait_alu 0xfffe
	s_sub_co_i32 s17, 1, s4
.LBB73_7:
	s_mul_u64 s[4:5], s[2:3], s[18:19]
	s_ashr_i32 s3, s21, 31
	s_and_not1_b32 vcc_lo, exec_lo, s22
	s_ashr_i32 s11, s11, 31
	s_cbranch_vccnz .LBB73_9
; %bb.8:
	s_mul_i32 s4, s27, s8
	s_wait_alu 0xfffe
	s_add_co_i32 s4, s4, ttmp9
	s_wait_alu 0xfffe
	s_mul_i32 s4, s4, s20
	s_wait_alu 0xfffe
	s_add_co_i32 s17, s4, 1
.LBB73_9:
	s_clause 0x2
	s_load_b32 s4, s[0:1], 0x48
	s_load_b64 s[20:21], s[0:1], 0x38
	s_load_b32 s8, s[0:1], 0x98
	s_mul_i32 s6, s5, s12
	s_xor_b32 s3, s3, s11
	s_sub_co_i32 s2, s2, s6
	s_add_co_i32 s19, s5, 1
	v_lshrrev_b32_e32 v9, 5, v0
	v_mbcnt_lo_u32_b32 v4, -1, 0
	s_mul_i32 s24, s24, s14
	s_delay_alu instid0(VALU_DEP_2)
	v_lshl_add_u32 v10, v9, 3, s33
	s_wait_kmcnt 0x0
	s_mul_i32 s22, s4, s26
	s_wait_alu 0xfffe
	s_sub_co_i32 s4, s2, s12
	s_ashr_i32 s23, s22, 31
	s_cmp_ge_u32 s2, s12
	s_cselect_b32 s5, s19, s5
	s_wait_alu 0xfffe
	s_cselect_b32 s2, s4, s2
	s_add_co_i32 s4, s5, 1
	s_wait_alu 0xfffe
	s_cmp_ge_u32 s2, s12
	s_cselect_b32 s2, s4, s5
	s_add_co_i32 s4, s31, 7
	s_lshl_b32 s36, s30, 6
	s_wait_alu 0xfffe
	s_ashr_i32 s5, s4, 31
	v_or_b32_e32 v11, s36, v9
	s_wait_alu 0xfffe
	s_lshr_b32 s5, s5, 29
	v_mov_b32_e32 v6, 0xff7fffff
	s_wait_alu 0xfffe
	s_add_co_i32 s4, s4, s5
	s_add_co_i32 s5, s36, 64
	s_wait_alu 0xfffe
	s_ashr_i32 s34, s4, 3
	s_xor_b32 s4, s2, s3
	s_min_i32 s19, s5, s34
	v_lshlrev_b32_e32 v3, 2, v11
	v_cmp_gt_i32_e64 s2, s19, v11
	s_wait_alu 0xfffe
	s_sub_co_i32 s35, s4, s3
	s_and_saveexec_b32 s6, s2
	s_cbranch_execz .LBB73_21
; %bb.10:
	s_ashr_i32 s25, s24, 31
	s_sub_co_i32 s14, s35, s9
	s_lshl_b64 s[4:5], s[24:25], 1
	s_cmp_neq_f32 s15, 0
	s_load_b64 s[38:39], s[0:1], 0x20
	v_bfe_u32 v5, v0, 2, 3
	v_mul_u32_u24_e32 v7, 60, v1
	s_cselect_b32 vcc_lo, -1, 0
	s_abs_i32 s25, s10
	v_dual_mov_b32 v19, v11 :: v_dual_and_b32 v2, 12, v2
	s_cvt_f32_u32 s3, s25
	v_lshlrev_b32_e32 v8, 2, v5
	v_mov_b32_e32 v16, 0xff7fffff
	s_lshl_b64 s[40:41], s[22:23], 2
	s_wait_alu 0xfffe
	v_rcp_iflag_f32_e32 v6, s3
	v_cmp_eq_u32_e64 s3, 0, v1
	v_lshlrev_b32_e32 v1, 4, v5
	v_subrev_nc_u32_e32 v14, s31, v5
	s_add_nc_u64 s[40:41], s[20:21], s[40:41]
	s_sub_co_i32 s37, 0, s25
	v_lshl_add_u32 v13, v9, 3, s33
	v_xor_b32_e32 v17, 2, v4
	v_add_nc_u32_e32 v14, 1, v14
	s_wait_kmcnt 0x0
	s_add_nc_u64 s[4:5], s[38:39], s[4:5]
	v_readfirstlane_b32 s29, v6
	s_wait_alu 0xfffe
	v_add_co_u32 v1, s4, s4, v1
	s_wait_alu 0xf1ff
	v_add_co_ci_u32_e64 v12, null, s5, 0, s4
	s_mul_f32 s29, s29, 0x4f7ffffe
	v_lshl_or_b32 v6, v9, 5, v8
	v_add_co_u32 v8, s4, v1, v2
	s_delay_alu instid0(SALU_CYCLE_1)
	s_cvt_u32_f32 s5, s29
	s_wait_alu 0xf1ff
	v_add_co_ci_u32_e64 v12, null, 0, v12, s4
	v_add_co_u32 v1, s4, s40, v3
	s_wait_alu 0xfffe
	s_mul_i32 s37, s37, s5
	v_add_co_ci_u32_e64 v2, null, s41, 0, s4
	v_add_nc_u32_e32 v15, 0x110, v6
	v_xor_b32_e32 v18, 1, v4
	v_mov_b32_e32 v6, 0xff7fffff
	s_wait_alu 0xfffe
	s_mul_hi_u32 s4, s5, s37
	s_mov_b32 s28, 0
	s_mov_b32 s29, s13
	s_wait_alu 0xfffe
	s_add_co_i32 s37, s5, s4
	s_branch .LBB73_13
.LBB73_11:                              ;   in Loop: Header=BB73_13 Depth=1
	s_or_b32 exec_lo, exec_lo, s38
.LBB73_12:                              ;   in Loop: Header=BB73_13 Depth=1
	s_wait_alu 0xfffe
	s_or_b32 exec_lo, exec_lo, s5
	v_add_nc_u32_e32 v19, 4, v19
	v_add_co_u32 v1, s5, v1, 16
	s_wait_alu 0xf1ff
	v_add_co_ci_u32_e64 v2, null, 0, v2, s5
	s_delay_alu instid0(VALU_DEP_3)
	v_cmp_le_i32_e64 s4, s19, v19
	v_add_nc_u32_e32 v13, 32, v13
	v_add_nc_u32_e32 v15, 0x80, v15
	s_or_b32 s28, s4, s28
	s_wait_alu 0xfffe
	s_and_not1_b32 exec_lo, exec_lo, s28
	s_cbranch_execz .LBB73_20
.LBB73_13:                              ; =>This Inner Loop Header: Depth=1
	v_sub_nc_u32_e32 v20, 0, v13
	s_delay_alu instid0(VALU_DEP_1) | instskip(SKIP_1) | instid1(VALU_DEP_1)
	v_max_i32_e32 v20, v13, v20
	s_wait_dscnt 0x0
	v_mul_hi_u32 v21, v20, s18
	s_delay_alu instid0(VALU_DEP_1) | instskip(NEXT) | instid1(VALU_DEP_1)
	v_mul_lo_u32 v22, v21, s12
	v_sub_nc_u32_e32 v20, v20, v22
	v_add_nc_u32_e32 v22, 1, v21
	s_delay_alu instid0(VALU_DEP_2) | instskip(SKIP_2) | instid1(VALU_DEP_1)
	v_subrev_nc_u32_e32 v23, s12, v20
	v_cmp_le_u32_e64 s4, s12, v20
	s_wait_alu 0xf1ff
	v_cndmask_b32_e64 v21, v21, v22, s4
	s_delay_alu instid0(VALU_DEP_3) | instskip(SKIP_1) | instid1(VALU_DEP_3)
	v_cndmask_b32_e64 v20, v20, v23, s4
	v_ashrrev_i32_e32 v22, 31, v13
	v_add_nc_u32_e32 v23, 1, v21
	s_delay_alu instid0(VALU_DEP_3) | instskip(NEXT) | instid1(VALU_DEP_3)
	v_cmp_le_u32_e64 s4, s12, v20
	v_xor_b32_e32 v22, s11, v22
	s_wait_alu 0xf1ff
	s_delay_alu instid0(VALU_DEP_2) | instskip(NEXT) | instid1(VALU_DEP_1)
	v_cndmask_b32_e64 v20, v21, v23, s4
	v_xor_b32_e32 v20, v20, v22
	s_delay_alu instid0(VALU_DEP_1) | instskip(NEXT) | instid1(VALU_DEP_1)
	v_sub_nc_u32_e32 v20, v20, v22
	v_add_nc_u32_e32 v21, s17, v20
	v_cmp_ge_i32_e64 s5, s14, v20
	s_delay_alu instid0(VALU_DEP_2) | instskip(NEXT) | instid1(VALU_DEP_1)
	v_sub_nc_u32_e32 v22, 0, v21
	v_max_i32_e32 v22, v21, v22
	v_ashrrev_i32_e32 v21, 31, v21
	s_wait_alu 0xfffe
	s_delay_alu instid0(VALU_DEP_2) | instskip(NEXT) | instid1(VALU_DEP_1)
	v_mul_hi_u32 v23, v22, s37
	v_mul_lo_u32 v23, v23, s25
	s_delay_alu instid0(VALU_DEP_1) | instskip(NEXT) | instid1(VALU_DEP_1)
	v_sub_nc_u32_e32 v22, v22, v23
	v_subrev_nc_u32_e32 v23, s25, v22
	v_cmp_le_u32_e64 s4, s25, v22
	s_wait_alu 0xf1ff
	s_delay_alu instid0(VALU_DEP_1) | instskip(NEXT) | instid1(VALU_DEP_1)
	v_cndmask_b32_e64 v22, v22, v23, s4
	v_subrev_nc_u32_e32 v23, s25, v22
	v_cmp_le_u32_e64 s4, s25, v22
	s_wait_alu 0xf1ff
	s_delay_alu instid0(VALU_DEP_1) | instskip(NEXT) | instid1(VALU_DEP_1)
	v_cndmask_b32_e64 v22, v22, v23, s4
	v_xor_b32_e32 v22, v22, v21
	s_delay_alu instid0(VALU_DEP_1) | instskip(NEXT) | instid1(VALU_DEP_1)
	v_sub_nc_u32_e32 v21, v22, v21
	v_cmp_ne_u32_e64 s4, 0, v21
	s_and_b32 s4, s4, s5
	s_wait_alu 0xfffe
	s_and_saveexec_b32 s5, s4
	s_wait_alu 0xfffe
	s_xor_b32 s4, exec_lo, s5
	s_cbranch_execz .LBB73_17
; %bb.14:                               ;   in Loop: Header=BB73_13 Depth=1
	s_and_saveexec_b32 s5, s3
; %bb.15:                               ;   in Loop: Header=BB73_13 Depth=1
	ds_store_b32 v15, v16
; %bb.16:                               ;   in Loop: Header=BB73_13 Depth=1
	s_wait_alu 0xfffe
	s_or_b32 exec_lo, exec_lo, s5
.LBB73_17:                              ;   in Loop: Header=BB73_13 Depth=1
	s_wait_alu 0xfffe
	s_and_not1_saveexec_b32 s5, s4
	s_cbranch_execz .LBB73_12
; %bb.18:                               ;   in Loop: Header=BB73_13 Depth=1
	global_load_b32 v20, v[1:2], off
	s_wait_loadcnt 0x0
	v_mad_co_i64_i32 v[20:21], null, v20, s29, 0
	s_delay_alu instid0(VALU_DEP_1) | instskip(NEXT) | instid1(VALU_DEP_1)
	v_lshlrev_b64_e32 v[20:21], 1, v[20:21]
	v_add_co_u32 v20, s4, v8, v20
	s_wait_alu 0xf1ff
	s_delay_alu instid0(VALU_DEP_2)
	v_add_co_ci_u32_e64 v21, null, v12, v21, s4
	v_cmp_gt_i32_e64 s4, 32, v17
	s_clause 0xa
	global_load_b32 v22, v[20:21], off
	global_load_b32 v23, v[20:21], off offset:128
	global_load_b32 v24, v[20:21], off offset:256
	global_load_b32 v25, v[20:21], off offset:384
	global_load_b32 v26, v[20:21], off offset:512
	global_load_b32 v27, v[20:21], off offset:640
	global_load_b32 v28, v[20:21], off offset:768
	global_load_b32 v29, v[20:21], off offset:896
	global_load_b32 v30, v[20:21], off offset:1024
	global_load_b32 v31, v[20:21], off offset:1152
	global_load_b32 v32, v[20:21], off offset:1280
	ds_load_b32 v33, v7
	s_wait_dscnt 0x0
	v_lshrrev_b32_e32 v35, 16, v33
	v_and_b32_e32 v36, 0xffff, v33
	s_wait_loadcnt 0xa
	v_lshrrev_b32_e32 v37, 16, v22
	v_and_b32_e32 v38, 0xffff, v22
	s_clause 0x3
	global_load_b32 v22, v[20:21], off offset:1408
	global_load_b32 v33, v[20:21], off offset:1536
	;; [unrolled: 1-line block ×4, first 2 shown]
	;;#ASMSTART
	v_cvt_f32_f16 v21, v36;
	;;#ASMEND
	;;#ASMSTART
	v_cvt_f32_f16 v35, v35;
	;;#ASMEND
	;; [unrolled: 3-line block ×4, first 2 shown]
	ds_load_b32 v38, v7 offset:4
	s_wait_loadcnt 0xd
	v_and_b32_e32 v40, 0xffff, v23
	v_lshrrev_b32_e32 v41, 16, v23
	s_wait_loadcnt 0xc
	v_lshrrev_b32_e32 v44, 16, v24
	s_wait_loadcnt 0xb
	v_and_b32_e32 v46, 0xffff, v25
	v_lshrrev_b32_e32 v47, 16, v25
	s_wait_loadcnt 0xa
	v_and_b32_e32 v49, 0xffff, v26
	;; [unrolled: 3-line block ×3, first 2 shown]
	v_lshrrev_b32_e32 v53, 16, v27
	s_wait_loadcnt 0x8
	v_lshrrev_b32_e32 v56, 16, v28
	s_wait_loadcnt 0x7
	v_and_b32_e32 v58, 0xffff, v29
	v_lshrrev_b32_e32 v59, 16, v29
	s_wait_loadcnt 0x6
	v_and_b32_e32 v61, 0xffff, v30
	v_lshrrev_b32_e32 v62, 16, v30
	s_wait_loadcnt 0x5
	v_and_b32_e32 v64, 0xffff, v31
	v_lshrrev_b32_e32 v65, 16, v31
	s_wait_loadcnt 0x4
	v_lshrrev_b32_e32 v68, 16, v32
	s_wait_dscnt 0x0
	v_and_b32_e32 v39, 0xffff, v38
	v_lshrrev_b32_e32 v38, 16, v38
	;;#ASMSTART
	v_cvt_f32_f16 v23, v39;
	;;#ASMEND
	;;#ASMSTART
	v_cvt_f32_f16 v38, v38;
	;;#ASMEND
	;; [unrolled: 3-line block ×4, first 2 shown]
	ds_load_b32 v41, v7 offset:8
	v_mul_f32_e32 v38, v38, v40
	v_and_b32_e32 v43, 0xffff, v24
	v_mul_f32_e32 v23, v23, v39
	s_delay_alu instid0(VALU_DEP_1)
	v_dual_fmac_f32 v38, v35, v37 :: v_dual_fmac_f32 v23, v21, v36
	s_wait_dscnt 0x0
	v_and_b32_e32 v42, 0xffff, v41
	v_lshrrev_b32_e32 v41, 16, v41
	;;#ASMSTART
	v_cvt_f32_f16 v24, v42;
	;;#ASMEND
	;;#ASMSTART
	v_cvt_f32_f16 v41, v41;
	;;#ASMEND
	;; [unrolled: 3-line block ×4, first 2 shown]
	ds_load_b32 v44, v7 offset:12
	v_dual_fmac_f32 v23, v24, v42 :: v_dual_fmac_f32 v38, v41, v43
	s_wait_dscnt 0x0
	v_and_b32_e32 v45, 0xffff, v44
	v_lshrrev_b32_e32 v44, 16, v44
	;;#ASMSTART
	v_cvt_f32_f16 v25, v45;
	;;#ASMEND
	;;#ASMSTART
	v_cvt_f32_f16 v44, v44;
	;;#ASMEND
	;; [unrolled: 3-line block ×4, first 2 shown]
	ds_load_b32 v47, v7 offset:16
	v_fmac_f32_e32 v23, v25, v45
	v_dual_fmac_f32 v38, v44, v46 :: v_dual_and_b32 v55, 0xffff, v28
	s_wait_dscnt 0x0
	v_and_b32_e32 v48, 0xffff, v47
	v_lshrrev_b32_e32 v47, 16, v47
	;;#ASMSTART
	v_cvt_f32_f16 v26, v48;
	;;#ASMEND
	;;#ASMSTART
	v_cvt_f32_f16 v47, v47;
	;;#ASMEND
	;;#ASMSTART
	v_cvt_f32_f16 v48, v49;
	;;#ASMEND
	;;#ASMSTART
	v_cvt_f32_f16 v49, v50;
	;;#ASMEND
	ds_load_b32 v50, v7 offset:20
	v_dual_fmac_f32 v38, v47, v49 :: v_dual_fmac_f32 v23, v26, v48
	s_wait_dscnt 0x0
	v_and_b32_e32 v51, 0xffff, v50
	v_lshrrev_b32_e32 v50, 16, v50
	;;#ASMSTART
	v_cvt_f32_f16 v27, v51;
	;;#ASMEND
	;;#ASMSTART
	v_cvt_f32_f16 v50, v50;
	;;#ASMEND
	;;#ASMSTART
	v_cvt_f32_f16 v51, v52;
	;;#ASMEND
	;;#ASMSTART
	v_cvt_f32_f16 v52, v53;
	;;#ASMEND
	ds_load_b32 v53, v7 offset:24
	v_dual_fmac_f32 v38, v50, v52 :: v_dual_fmac_f32 v23, v27, v51
	;; [unrolled: 17-line block ×3, first 2 shown]
	s_wait_dscnt 0x0
	v_and_b32_e32 v57, 0xffff, v56
	v_lshrrev_b32_e32 v56, 16, v56
	;;#ASMSTART
	v_cvt_f32_f16 v29, v57;
	;;#ASMEND
	;;#ASMSTART
	v_cvt_f32_f16 v56, v56;
	;;#ASMEND
	;; [unrolled: 3-line block ×4, first 2 shown]
	ds_load_b32 v59, v7 offset:32
	v_fmac_f32_e32 v23, v29, v57
	v_dual_fmac_f32 v38, v56, v58 :: v_dual_and_b32 v67, 0xffff, v32
	s_wait_dscnt 0x0
	v_and_b32_e32 v60, 0xffff, v59
	v_lshrrev_b32_e32 v59, 16, v59
	;;#ASMSTART
	v_cvt_f32_f16 v30, v60;
	;;#ASMEND
	;;#ASMSTART
	v_cvt_f32_f16 v59, v59;
	;;#ASMEND
	;;#ASMSTART
	v_cvt_f32_f16 v60, v61;
	;;#ASMEND
	;;#ASMSTART
	v_cvt_f32_f16 v61, v62;
	;;#ASMEND
	ds_load_b32 v62, v7 offset:36
	v_dual_fmac_f32 v38, v59, v61 :: v_dual_fmac_f32 v23, v30, v60
	s_wait_dscnt 0x0
	v_and_b32_e32 v63, 0xffff, v62
	v_lshrrev_b32_e32 v62, 16, v62
	;;#ASMSTART
	v_cvt_f32_f16 v31, v63;
	;;#ASMEND
	;;#ASMSTART
	v_cvt_f32_f16 v62, v62;
	;;#ASMEND
	;;#ASMSTART
	v_cvt_f32_f16 v63, v64;
	;;#ASMEND
	;;#ASMSTART
	v_cvt_f32_f16 v64, v65;
	;;#ASMEND
	ds_load_b32 v65, v7 offset:40
	v_dual_fmac_f32 v23, v31, v63 :: v_dual_fmac_f32 v38, v62, v64
	;; [unrolled: 17-line block ×3, first 2 shown]
	s_wait_dscnt 0x0
	v_and_b32_e32 v69, 0xffff, v68
	v_lshrrev_b32_e32 v68, 16, v68
	s_wait_loadcnt 0x3
	v_and_b32_e32 v70, 0xffff, v22
	v_lshrrev_b32_e32 v71, 16, v22
	;;#ASMSTART
	v_cvt_f32_f16 v22, v69;
	;;#ASMEND
	;;#ASMSTART
	v_cvt_f32_f16 v68, v68;
	;;#ASMEND
	;; [unrolled: 3-line block ×4, first 2 shown]
	ds_load_b32 v71, v7 offset:48
	s_wait_loadcnt 0x2
	v_lshrrev_b32_e32 v35, 16, v33
	v_and_b32_e32 v33, 0xffff, v33
	s_wait_loadcnt 0x1
	v_dual_fmac_f32 v23, v22, v69 :: v_dual_and_b32 v28, 0xffff, v34
	v_lshrrev_b32_e32 v36, 16, v34
	s_wait_alu 0xf1ff
	v_cndmask_b32_e64 v22, v4, v17, s4
	v_cmp_gt_i32_e64 s4, 32, v18
	s_wait_loadcnt 0x0
	v_lshrrev_b32_e32 v31, 16, v20
	s_wait_dscnt 0x0
	v_dual_fmac_f32 v38, v68, v70 :: v_dual_and_b32 v21, 0xffff, v71
	v_lshrrev_b32_e32 v24, 16, v71
	;;#ASMSTART
	v_cvt_f32_f16 v21, v21;
	;;#ASMEND
	;;#ASMSTART
	v_cvt_f32_f16 v24, v24;
	;;#ASMEND
	;; [unrolled: 3-line block ×4, first 2 shown]
	ds_load_b32 v35, v7 offset:52
	s_wait_dscnt 0x0
	v_dual_fmac_f32 v23, v21, v25 :: v_dual_and_b32 v26, 0xffff, v35
	v_lshrrev_b32_e32 v27, 16, v35
	;;#ASMSTART
	v_cvt_f32_f16 v26, v26;
	;;#ASMEND
	;;#ASMSTART
	v_cvt_f32_f16 v27, v27;
	;;#ASMEND
	;; [unrolled: 3-line block ×4, first 2 shown]
	ds_load_b32 v30, v7 offset:56
	v_dual_fmac_f32 v38, v24, v33 :: v_dual_fmac_f32 v23, v26, v28
	s_wait_dscnt 0x0
	v_and_b32_e32 v21, 0xffff, v30
	s_delay_alu instid0(VALU_DEP_2)
	v_dual_fmac_f32 v38, v27, v29 :: v_dual_and_b32 v25, 0xffff, v20
	v_lshrrev_b32_e32 v24, 16, v30
	;;#ASMSTART
	v_cvt_f32_f16 v20, v21;
	;;#ASMEND
	;;#ASMSTART
	v_cvt_f32_f16 v21, v24;
	;;#ASMEND
	;; [unrolled: 3-line block ×4, first 2 shown]
	v_dual_fmac_f32 v23, v20, v24 :: v_dual_lshlrev_b32 v20, 2, v22
	s_wait_alu 0xf1ff
	v_cndmask_b32_e64 v22, v4, v18, s4
	v_fmac_f32_e32 v38, v21, v25
	s_delay_alu instid0(VALU_DEP_1)
	v_add_f32_e32 v21, v23, v38
	ds_bpermute_b32 v20, v20, v21
	s_wait_dscnt 0x0
	v_dual_add_f32 v20, v21, v20 :: v_dual_lshlrev_b32 v21, 2, v22
	ds_bpermute_b32 v21, v21, v20
	s_and_saveexec_b32 s38, s3
	s_cbranch_execz .LBB73_11
; %bb.19:                               ;   in Loop: Header=BB73_13 Depth=1
	s_wait_dscnt 0x0
	v_add_f32_e32 v20, v20, v21
	v_add_nc_u32_e32 v22, v14, v13
	s_delay_alu instid0(VALU_DEP_1) | instskip(NEXT) | instid1(VALU_DEP_1)
	v_cvt_f32_i32_e32 v22, v22
	v_mul_f32_e32 v22, s15, v22
	s_delay_alu instid0(VALU_DEP_1) | instskip(NEXT) | instid1(VALU_DEP_1)
	v_cndmask_b32_e32 v21, 0, v22, vcc_lo
	v_dual_max_num_f32 v22, v6, v6 :: v_dual_fmac_f32 v21, s7, v20
	v_add_nc_u32_e32 v20, v5, v13
	s_delay_alu instid0(VALU_DEP_2) | instskip(NEXT) | instid1(VALU_DEP_2)
	v_max_num_f32_e32 v22, v22, v21
	v_cmp_gt_i32_e64 s4, s31, v20
	s_wait_alu 0xf1ff
	s_delay_alu instid0(VALU_DEP_1) | instskip(NEXT) | instid1(VALU_DEP_3)
	v_cndmask_b32_e64 v20, 0, v21, s4
	v_cndmask_b32_e64 v6, v6, v22, s4
	ds_store_b32 v15, v20
	s_branch .LBB73_11
.LBB73_20:
	s_or_b32 exec_lo, exec_lo, s28
.LBB73_21:
	s_delay_alu instid0(SALU_CYCLE_1)
	s_or_b32 exec_lo, exec_lo, s6
	v_xor_b32_e32 v1, 16, v4
	v_xor_b32_e32 v5, 8, v4
	;; [unrolled: 1-line block ×3, first 2 shown]
	s_clause 0x2
	s_load_b128 s[4:7], s[0:1], 0x0
	s_load_b64 s[14:15], s[0:1], 0x10
	s_load_b64 s[28:29], s[0:1], 0x28
	v_and_b32_e32 v12, 31, v0
	v_cmp_gt_i32_e32 vcc_lo, 32, v1
	s_wait_alu 0xfffd
	v_cndmask_b32_e32 v1, v4, v1, vcc_lo
	v_cmp_gt_i32_e32 vcc_lo, 32, v5
	s_wait_alu 0xfffd
	v_cndmask_b32_e32 v5, v4, v5, vcc_lo
	v_cmp_gt_i32_e32 vcc_lo, 32, v7
	v_lshlrev_b32_e32 v2, 2, v1
	s_delay_alu instid0(VALU_DEP_3)
	v_lshlrev_b32_e32 v5, 2, v5
	s_wait_alu 0xfffd
	v_cndmask_b32_e32 v7, v4, v7, vcc_lo
	ds_bpermute_b32 v1, v2, v6
	v_max_num_f32_e32 v6, v6, v6
	v_cmp_eq_u32_e32 vcc_lo, 0, v12
	s_wait_dscnt 0x0
	v_dual_max_num_f32 v1, v1, v1 :: v_dual_lshlrev_b32 v8, 2, v7
	s_delay_alu instid0(VALU_DEP_1) | instskip(SKIP_3) | instid1(VALU_DEP_1)
	v_max_num_f32_e32 v1, v6, v1
	ds_bpermute_b32 v6, v5, v1
	s_wait_dscnt 0x0
	v_max_num_f32_e32 v6, v6, v6
	v_dual_max_num_f32 v1, v1, v6 :: v_dual_lshlrev_b32 v6, 2, v9
	ds_bpermute_b32 v7, v8, v1
	s_and_saveexec_b32 s0, vcc_lo
	s_cbranch_execz .LBB73_23
; %bb.22:
	s_wait_dscnt 0x0
	v_max_num_f32_e32 v7, v7, v7
	v_max_num_f32_e32 v1, v1, v1
	s_delay_alu instid0(VALU_DEP_1)
	v_max_num_f32_e32 v1, v1, v7
	ds_store_b32 v6, v1 offset:240
.LBB73_23:
	s_or_b32 exec_lo, exec_lo, s0
	v_cmp_gt_u32_e64 s0, 4, v12
	v_mov_b32_e32 v1, 0xff7fffff
	s_wait_dscnt 0x0
	v_lshlrev_b32_e32 v7, 2, v12
	s_wait_loadcnt 0x0
	s_barrier_signal -1
	s_barrier_wait -1
	global_inv scope:SCOPE_SE
	s_and_saveexec_b32 s1, s0
; %bb.24:
	ds_load_b32 v1, v7 offset:240
; %bb.25:
	s_or_b32 exec_lo, exec_lo, s1
	v_xor_b32_e32 v13, 2, v4
	v_xor_b32_e32 v15, 1, v4
	s_delay_alu instid0(VALU_DEP_2) | instskip(NEXT) | instid1(VALU_DEP_1)
	v_cmp_gt_i32_e64 s1, 32, v13
	v_cndmask_b32_e64 v13, v4, v13, s1
	s_delay_alu instid0(VALU_DEP_3) | instskip(NEXT) | instid1(VALU_DEP_2)
	v_cmp_gt_i32_e64 s1, 32, v15
	v_lshlrev_b32_e32 v14, 2, v13
	s_wait_alu 0xf1ff
	s_delay_alu instid0(VALU_DEP_2)
	v_cndmask_b32_e64 v4, v4, v15, s1
	v_mov_b32_e32 v15, 0
	s_sub_co_i32 s1, s19, s36
	s_wait_alu 0xfffe
	s_lshl_b32 s1, s1, 3
	s_wait_dscnt 0x0
	ds_bpermute_b32 v13, v14, v1
	v_dual_max_num_f32 v1, v1, v1 :: v_dual_lshlrev_b32 v4, 2, v4
	s_wait_alu 0xfffe
	s_add_co_i32 s1, s1, s33
	s_wait_alu 0xfffe
	s_min_i32 s1, s1, s31
	s_wait_alu 0xfffe
	s_sub_co_i32 s25, s1, s33
	s_wait_alu 0xfffe
	v_cmp_gt_i32_e64 s1, s25, v0
	s_wait_dscnt 0x0
	v_max_num_f32_e32 v13, v13, v13
	s_delay_alu instid0(VALU_DEP_1) | instskip(SKIP_3) | instid1(VALU_DEP_1)
	v_max_num_f32_e32 v1, v1, v13
	ds_bpermute_b32 v13, v4, v1
	s_wait_dscnt 0x0
	v_max_num_f32_e32 v13, v13, v13
	v_max_num_f32_e32 v1, v1, v13
	v_lshl_add_u32 v13, v0, 2, 0x110
	ds_bpermute_b32 v1, v15, v1
	s_and_saveexec_b32 s33, s1
	s_cbranch_execz .LBB73_29
; %bb.26:
	v_lshl_add_u32 v16, v0, 2, 0x110
	v_mov_b32_e32 v15, 0
	v_mov_b32_e32 v17, v0
	s_mov_b32 s36, 0
.LBB73_27:                              ; =>This Inner Loop Header: Depth=1
	ds_load_b32 v18, v16
	v_add_nc_u32_e32 v17, 0x80, v17
	s_delay_alu instid0(VALU_DEP_1) | instskip(SKIP_4) | instid1(VALU_DEP_1)
	v_cmp_le_i32_e64 s3, s25, v17
	s_wait_alu 0xfffe
	s_or_b32 s36, s3, s36
	s_wait_dscnt 0x0
	v_sub_f32_e32 v18, v18, v1
	v_mul_f32_e32 v18, 0x3fb8aa3b, v18
	s_delay_alu instid0(VALU_DEP_1)
	v_exp_f32_e32 v18, v18
	ds_store_b32 v16, v18
	v_dual_add_f32 v15, v15, v18 :: v_dual_add_nc_u32 v16, 0x200, v16
	s_wait_alu 0xfffe
	s_and_not1_b32 exec_lo, exec_lo, s36
	s_cbranch_execnz .LBB73_27
; %bb.28:
	s_or_b32 exec_lo, exec_lo, s36
.LBB73_29:
	s_wait_alu 0xfffe
	s_or_b32 exec_lo, exec_lo, s33
	ds_bpermute_b32 v2, v2, v15
	s_wait_dscnt 0x0
	v_add_f32_e32 v2, v15, v2
	ds_bpermute_b32 v5, v5, v2
	s_wait_dscnt 0x0
	v_add_f32_e32 v2, v2, v5
	;; [unrolled: 3-line block ×5, first 2 shown]
	s_and_saveexec_b32 s3, vcc_lo
; %bb.30:
	ds_store_b32 v6, v2 offset:256
; %bb.31:
	s_wait_alu 0xfffe
	s_or_b32 exec_lo, exec_lo, s3
	s_wait_loadcnt_dscnt 0x0
	s_barrier_signal -1
	s_barrier_wait -1
	global_inv scope:SCOPE_SE
	s_and_saveexec_b32 s3, s0
; %bb.32:
	ds_load_b32 v2, v7 offset:256
; %bb.33:
	s_wait_alu 0xfffe
	s_or_b32 exec_lo, exec_lo, s3
	s_wait_dscnt 0x0
	ds_bpermute_b32 v5, v14, v2
	s_wait_dscnt 0x0
	v_add_f32_e32 v2, v2, v5
	ds_bpermute_b32 v4, v4, v2
	s_wait_dscnt 0x0
	v_add_f32_e32 v2, v2, v4
	v_mov_b32_e32 v4, 0
	ds_bpermute_b32 v2, v4, v2
	s_and_saveexec_b32 s0, s1
	s_cbranch_execz .LBB73_36
; %bb.34:
	s_wait_dscnt 0x0
	v_add_f32_e32 v5, 0x358637bd, v2
	s_mov_b32 s1, 0
	s_delay_alu instid0(VALU_DEP_1) | instskip(SKIP_1) | instid1(VALU_DEP_2)
	v_div_scale_f32 v4, null, v5, v5, 1.0
	v_div_scale_f32 v8, vcc_lo, 1.0, v5, 1.0
	v_rcp_f32_e32 v6, v4
	s_delay_alu instid0(TRANS32_DEP_1) | instskip(NEXT) | instid1(VALU_DEP_1)
	v_fma_f32 v7, -v4, v6, 1.0
	v_fmac_f32_e32 v6, v7, v6
	s_delay_alu instid0(VALU_DEP_1) | instskip(NEXT) | instid1(VALU_DEP_1)
	v_mul_f32_e32 v7, v8, v6
	v_fma_f32 v14, -v4, v7, v8
	s_delay_alu instid0(VALU_DEP_1) | instskip(NEXT) | instid1(VALU_DEP_1)
	v_fmac_f32_e32 v7, v14, v6
	v_fma_f32 v4, -v4, v7, v8
	s_wait_alu 0xfffd
	s_delay_alu instid0(VALU_DEP_1) | instskip(SKIP_1) | instid1(VALU_DEP_2)
	v_div_fmas_f32 v6, v4, v6, v7
	v_mov_b32_e32 v4, v13
	v_div_fixup_f32 v5, v6, v5, 1.0
	v_mov_b32_e32 v6, v0
.LBB73_35:                              ; =>This Inner Loop Header: Depth=1
	ds_load_b32 v7, v4
	s_wait_dscnt 0x0
	v_dual_mul_f32 v7, v5, v7 :: v_dual_add_nc_u32 v6, 0x80, v6
	s_delay_alu instid0(VALU_DEP_1)
	v_cmp_le_i32_e32 vcc_lo, s25, v6
	ds_store_b32 v4, v7
	v_add_nc_u32_e32 v4, 0x200, v4
	s_wait_alu 0xfffe
	s_or_b32 s1, vcc_lo, s1
	s_wait_alu 0xfffe
	s_and_not1_b32 exec_lo, exec_lo, s1
	s_cbranch_execnz .LBB73_35
.LBB73_36:
	s_wait_alu 0xfffe
	s_or_b32 exec_lo, exec_lo, s0
	s_mul_i32 s0, s8, s26
	s_wait_loadcnt_dscnt 0x0
	s_wait_alu 0xfffe
	s_mul_i32 s26, s0, s27
	s_mov_b32 s0, exec_lo
	s_barrier_signal -1
	s_barrier_wait -1
	global_inv scope:SCOPE_SE
	v_cmpx_eq_u32_e32 0, v0
	s_cbranch_execz .LBB73_38
; %bb.37:
	s_ashr_i32 s27, s26, 31
	s_wait_alu 0xfffe
	s_mul_i32 s36, s8, ttmp9
	s_lshl_b32 s1, s30, 2
	s_lshl_b64 s[38:39], s[26:27], 2
	s_wait_alu 0xfffe
	s_ashr_i32 s37, s36, 31
	v_mov_b32_e32 v4, s1
	s_wait_kmcnt 0x0
	s_add_nc_u64 s[6:7], s[6:7], s[38:39]
	s_wait_alu 0xfffe
	s_lshl_b64 s[36:37], s[36:37], 2
	s_add_nc_u64 s[4:5], s[4:5], s[38:39]
	s_wait_alu 0xfffe
	s_add_nc_u64 s[6:7], s[6:7], s[36:37]
	s_add_nc_u64 s[4:5], s[4:5], s[36:37]
	s_clause 0x1
	global_store_b32 v4, v1, s[6:7]
	global_store_b32 v4, v2, s[4:5]
.LBB73_38:
	s_wait_alu 0xfffe
	s_or_b32 exec_lo, exec_lo, s0
	v_dual_mov_b32 v17, 0 :: v_dual_mov_b32 v16, 0
	v_dual_mov_b32 v15, 0 :: v_dual_mov_b32 v14, 0
	s_wait_kmcnt 0x0
	s_and_saveexec_b32 s4, s2
	s_cbranch_execz .LBB73_54
; %bb.39:
	s_abs_i32 s5, s10
	s_sub_co_i32 s6, s35, s9
	s_wait_alu 0xfffe
	s_cvt_f32_u32 s0, s5
	v_or_b32_e32 v4, 0x60, v12
	v_dual_mov_b32 v15, 0 :: v_dual_lshlrev_b32 v2, 3, v12
	s_wait_alu 0xfffe
	v_rcp_iflag_f32_e32 v1, s0
	s_lshl_b64 s[0:1], s[22:23], 2
	v_mov_b32_e32 v14, 0
	s_wait_alu 0xfffe
	s_add_nc_u64 s[0:1], s[20:21], s[0:1]
	s_sub_co_i32 s10, 0, s5
	s_wait_alu 0xfffe
	v_add_co_u32 v5, s0, s0, v3
	s_wait_alu 0xf1ff
	v_add_co_ci_u32_e64 v6, null, s1, 0, s0
	s_ashr_i32 s25, s24, 31
	v_readfirstlane_b32 s9, v1
	v_lshlrev_b32_e32 v1, 3, v4
	v_lshl_add_u32 v18, v9, 5, 0x110
	v_dual_mov_b32 v16, 0 :: v_dual_lshlrev_b32 v19, 1, v2
	s_mul_f32 s9, s9, 0x4f7ffffe
	s_delay_alu instid0(VALU_DEP_3)
	v_dual_mov_b32 v17, 0 :: v_dual_lshlrev_b32 v20, 1, v1
	s_wait_alu 0xfffe
	s_lshl_b64 s[2:3], s[24:25], 1
	s_cvt_u32_f32 s0, s9
	s_mov_b32 s7, s13
	s_add_co_i32 s34, s34, -1
	s_wait_alu 0xfffe
	s_add_nc_u64 s[2:3], s[28:29], s[2:3]
	s_mul_i32 s10, s10, s0
	s_mov_b32 s9, 0
	s_wait_alu 0xfffe
	s_mul_hi_u32 s1, s0, s10
	v_cmp_gt_u32_e32 vcc_lo, 0x78, v4
	s_wait_alu 0xfffe
	s_add_co_i32 s10, s0, s1
	s_branch .LBB73_43
.LBB73_40:                              ;   in Loop: Header=BB73_43 Depth=1
	s_wait_alu 0xfffe
	s_or_b32 exec_lo, exec_lo, s1
	v_lshlrev_b32_e32 v31, 16, v31
	v_lshlrev_b32_e32 v23, 16, v23
	;; [unrolled: 1-line block ×3, first 2 shown]
	s_delay_alu instid0(VALU_DEP_3) | instskip(NEXT) | instid1(VALU_DEP_3)
	v_and_or_b32 v1, 0xffff, v1, v31
	v_and_or_b32 v2, 0xffff, v2, v23
	s_delay_alu instid0(VALU_DEP_3)
	v_and_or_b32 v3, 0xffff, v3, v22
	;;#ASMSTART
	v_pk_mul_f16 v1, v26, v1;

	;;#ASMEND
	;;#ASMSTART
	v_pk_mul_f16 v2, v25, v2;

	;;#ASMEND
	;; [unrolled: 4-line block ×4, first 2 shown]
	;;#ASMSTART
	v_pk_add_f16 v1, v1, v2;

	;;#ASMEND
	;;#ASMSTART
	v_pk_add_f16 v1, v1, v3;

	;;#ASMEND
	;; [unrolled: 4-line block ×3, first 2 shown]
	v_and_b32_e32 v2, 0xffff, v1
	v_lshrrev_b32_e32 v3, 16, v1
	;;#ASMSTART
	v_cvt_f32_f16 v1, v2;
	;;#ASMEND
	;;#ASMSTART
	v_cvt_f32_f16 v2, v3;
	;;#ASMEND
	s_delay_alu instid0(VALU_DEP_2) | instskip(NEXT) | instid1(VALU_DEP_1)
	v_add_f32_e32 v1, v1, v2
	v_add_f32_e32 v14, v14, v1
.LBB73_41:                              ;   in Loop: Header=BB73_43 Depth=1
	s_or_b32 exec_lo, exec_lo, s20
	v_add_f32_e32 v1, v29, v30
	s_delay_alu instid0(VALU_DEP_1) | instskip(NEXT) | instid1(VALU_DEP_1)
	v_dual_add_f32 v3, v7, v8 :: v_dual_add_f32 v16, v16, v1
	v_dual_add_f32 v2, v21, v24 :: v_dual_add_f32 v15, v15, v3
	s_delay_alu instid0(VALU_DEP_1)
	v_add_f32_e32 v17, v17, v2
.LBB73_42:                              ;   in Loop: Header=BB73_43 Depth=1
	s_wait_alu 0xfffe
	s_or_b32 exec_lo, exec_lo, s13
	v_add_nc_u32_e32 v11, 4, v11
	v_add_co_u32 v5, s1, v5, 16
	s_wait_alu 0xf1ff
	v_add_co_ci_u32_e64 v6, null, 0, v6, s1
	s_delay_alu instid0(VALU_DEP_3) | instskip(SKIP_3) | instid1(SALU_CYCLE_1)
	v_cmp_le_i32_e64 s0, s19, v11
	v_add_nc_u32_e32 v10, 32, v10
	v_add_nc_u32_e32 v18, 0x80, v18
	s_or_b32 s9, s0, s9
	s_and_not1_b32 exec_lo, exec_lo, s9
	s_cbranch_execz .LBB73_53
.LBB73_43:                              ; =>This Inner Loop Header: Depth=1
	v_sub_nc_u32_e32 v1, 0, v10
	s_delay_alu instid0(VALU_DEP_1) | instskip(NEXT) | instid1(VALU_DEP_1)
	v_max_i32_e32 v1, v10, v1
	v_mul_hi_u32 v2, v1, s18
	s_delay_alu instid0(VALU_DEP_1) | instskip(NEXT) | instid1(VALU_DEP_1)
	v_mul_lo_u32 v3, v2, s12
	v_sub_nc_u32_e32 v1, v1, v3
	v_add_nc_u32_e32 v3, 1, v2
	s_delay_alu instid0(VALU_DEP_2) | instskip(SKIP_2) | instid1(VALU_DEP_1)
	v_subrev_nc_u32_e32 v4, s12, v1
	v_cmp_le_u32_e64 s0, s12, v1
	s_wait_alu 0xf1ff
	v_cndmask_b32_e64 v2, v2, v3, s0
	s_delay_alu instid0(VALU_DEP_3) | instskip(SKIP_1) | instid1(VALU_DEP_3)
	v_cndmask_b32_e64 v1, v1, v4, s0
	v_ashrrev_i32_e32 v3, 31, v10
	v_add_nc_u32_e32 v4, 1, v2
	s_delay_alu instid0(VALU_DEP_3) | instskip(NEXT) | instid1(VALU_DEP_3)
	v_cmp_le_u32_e64 s0, s12, v1
	v_xor_b32_e32 v3, s11, v3
	s_wait_alu 0xf1ff
	s_delay_alu instid0(VALU_DEP_2) | instskip(NEXT) | instid1(VALU_DEP_1)
	v_cndmask_b32_e64 v1, v2, v4, s0
	v_xor_b32_e32 v1, v1, v3
	s_delay_alu instid0(VALU_DEP_1) | instskip(NEXT) | instid1(VALU_DEP_1)
	v_sub_nc_u32_e32 v1, v1, v3
	v_add_nc_u32_e32 v2, s17, v1
	v_cmp_lt_i32_e64 s1, s6, v1
	s_delay_alu instid0(VALU_DEP_2) | instskip(NEXT) | instid1(VALU_DEP_1)
	v_sub_nc_u32_e32 v3, 0, v2
	v_max_i32_e32 v3, v2, v3
	v_ashrrev_i32_e32 v2, 31, v2
	s_wait_alu 0xfffe
	s_delay_alu instid0(VALU_DEP_2) | instskip(NEXT) | instid1(VALU_DEP_1)
	v_mul_hi_u32 v4, v3, s10
	v_mul_lo_u32 v4, v4, s5
	s_delay_alu instid0(VALU_DEP_1) | instskip(NEXT) | instid1(VALU_DEP_1)
	v_sub_nc_u32_e32 v3, v3, v4
	v_subrev_nc_u32_e32 v4, s5, v3
	v_cmp_le_u32_e64 s0, s5, v3
	s_wait_alu 0xf1ff
	s_delay_alu instid0(VALU_DEP_1) | instskip(NEXT) | instid1(VALU_DEP_1)
	v_cndmask_b32_e64 v3, v3, v4, s0
	v_subrev_nc_u32_e32 v4, s5, v3
	v_cmp_le_u32_e64 s0, s5, v3
	s_wait_alu 0xf1ff
	s_delay_alu instid0(VALU_DEP_1) | instskip(NEXT) | instid1(VALU_DEP_1)
	v_cndmask_b32_e64 v3, v3, v4, s0
	v_xor_b32_e32 v3, v3, v2
	s_delay_alu instid0(VALU_DEP_1) | instskip(NEXT) | instid1(VALU_DEP_1)
	v_sub_nc_u32_e32 v2, v3, v2
	v_cmp_eq_u32_e64 s0, 0, v2
	s_or_b32 s0, s0, s1
	s_wait_alu 0xfffe
	s_and_saveexec_b32 s13, s0
	s_cbranch_execz .LBB73_42
; %bb.44:                               ;   in Loop: Header=BB73_43 Depth=1
	global_load_b32 v7, v[5:6], off
	ds_load_2addr_b64 v[1:4], v18 offset1:1
	ds_load_2addr_b64 v[30:33], v18 offset0:2 offset1:3
	s_wait_dscnt 0x1
	;;#ASMSTART
	v_cvt_f16_f32 v26, v1;

	;;#ASMEND
	;;#ASMSTART
	v_cvt_f16_f32 v21, v2;

	;;#ASMEND
	;; [unrolled: 4-line block ×4, first 2 shown]
	s_wait_dscnt 0x0
	;;#ASMSTART
	v_cvt_f16_f32 v30, v30;

	;;#ASMEND
	;;#ASMSTART
	v_cvt_f16_f32 v27, v31;

	;;#ASMEND
	;; [unrolled: 4-line block ×4, first 2 shown]
	s_wait_loadcnt 0x0
	v_mad_co_i64_i32 v[7:8], null, v7, s7, 0
	s_delay_alu instid0(VALU_DEP_1) | instskip(NEXT) | instid1(VALU_DEP_1)
	v_lshlrev_b64_e32 v[7:8], 1, v[7:8]
	v_add_co_u32 v22, s0, s2, v7
	s_wait_alu 0xf1ff
	s_delay_alu instid0(VALU_DEP_2) | instskip(NEXT) | instid1(VALU_DEP_2)
	v_add_co_ci_u32_e64 v23, null, s3, v8, s0
	v_add_co_u32 v7, s0, v22, v19
	s_wait_alu 0xf1ff
	s_delay_alu instid0(VALU_DEP_2)
	v_add_co_ci_u32_e64 v8, null, 0, v23, s0
	v_cmp_eq_u32_e64 s0, s34, v11
	global_load_b128 v[1:4], v[7:8], off
	s_wait_loadcnt 0x0
	v_lshrrev_b32_e32 v33, 16, v1
	v_lshrrev_b32_e32 v32, 16, v2
	;; [unrolled: 1-line block ×3, first 2 shown]
	s_and_saveexec_b32 s20, s0
	s_cbranch_execz .LBB73_46
; %bb.45:                               ;   in Loop: Header=BB73_43 Depth=1
	v_add_nc_u32_e32 v34, 1, v10
	v_cmp_gt_i32_e64 s1, s31, v10
	v_add_nc_u32_e32 v35, 2, v10
	v_add_nc_u32_e32 v36, 3, v10
	;; [unrolled: 1-line block ×4, first 2 shown]
	s_wait_alu 0xf1ff
	v_cndmask_b32_e64 v1, 0, v1, s1
	v_cmp_gt_i32_e64 s1, s31, v34
	v_add_nc_u32_e32 v34, 4, v10
	s_wait_alu 0xf1ff
	s_delay_alu instid0(VALU_DEP_2) | instskip(SKIP_3) | instid1(VALU_DEP_2)
	v_cndmask_b32_e64 v33, 0, v33, s1
	v_cmp_gt_i32_e64 s1, s31, v35
	v_add_nc_u32_e32 v35, 6, v10
	s_wait_alu 0xf1ff
	v_cndmask_b32_e64 v2, 0, v2, s1
	v_cmp_gt_i32_e64 s1, s31, v36
	v_and_b32_e32 v36, 0xffff, v4
	v_and_b32_e32 v4, 0xffff0000, v4
	s_wait_alu 0xf1ff
	s_delay_alu instid0(VALU_DEP_3) | instskip(SKIP_2) | instid1(VALU_DEP_1)
	v_cndmask_b32_e64 v32, 0, v32, s1
	v_cmp_gt_i32_e64 s1, s31, v35
	s_wait_alu 0xf1ff
	v_cndmask_b32_e64 v35, 0, v36, s1
	v_cmp_gt_i32_e64 s1, s31, v37
	s_wait_alu 0xf1ff
	s_delay_alu instid0(VALU_DEP_1) | instskip(SKIP_1) | instid1(VALU_DEP_2)
	v_cndmask_b32_e64 v4, 0, v4, s1
	v_cmp_gt_i32_e64 s1, s31, v34
	v_or_b32_e32 v4, v35, v4
	s_wait_alu 0xf1ff
	s_delay_alu instid0(VALU_DEP_2) | instskip(SKIP_2) | instid1(VALU_DEP_1)
	v_cndmask_b32_e64 v3, 0, v3, s1
	v_cmp_gt_i32_e64 s1, s31, v38
	s_wait_alu 0xf1ff
	v_cndmask_b32_e64 v31, 0, v31, s1
.LBB73_46:                              ;   in Loop: Header=BB73_43 Depth=1
	s_or_b32 exec_lo, exec_lo, s20
	v_and_b32_e32 v26, 0xffff, v26
	v_and_b32_e32 v29, 0xffff, v29
	v_lshlrev_b32_e32 v33, 16, v33
	v_and_b32_e32 v30, 0xffff, v30
	v_and_b32_e32 v28, 0xffff, v28
	v_lshl_or_b32 v26, v21, 16, v26
	v_lshl_or_b32 v25, v25, 16, v29
	v_lshlrev_b32_e32 v21, 16, v32
	v_lshlrev_b32_e32 v29, 16, v31
	v_and_or_b32 v1, 0xffff, v1, v33
	;;#ASMSTART
	v_pk_mul_f16 v1, v26, v1;

	;;#ASMEND
	v_lshl_or_b32 v27, v27, 16, v30
	v_and_or_b32 v2, 0xffff, v2, v21
	v_and_or_b32 v3, 0xffff, v3, v29
	v_lshl_or_b32 v28, v24, 16, v28
	;;#ASMSTART
	v_pk_mul_f16 v2, v25, v2;

	;;#ASMEND
	;;#ASMSTART
	v_pk_mul_f16 v3, v27, v3;

	;;#ASMEND
	;; [unrolled: 4-line block ×3, first 2 shown]
	;;#ASMSTART
	v_pk_add_f16 v1, v1, v2;

	;;#ASMEND
	;;#ASMSTART
	v_pk_add_f16 v1, v1, v3;

	;;#ASMEND
	;;#ASMSTART
	v_pk_add_f16 v1, v1, v4;

	;;#ASMEND
	v_and_b32_e32 v2, 0xffff, v1
	v_lshrrev_b32_e32 v1, 16, v1
	;;#ASMSTART
	v_cvt_f32_f16 v21, v2;
	;;#ASMEND
	;;#ASMSTART
	v_cvt_f32_f16 v24, v1;
	;;#ASMEND
	global_load_b128 v[1:4], v[7:8], off offset:512
	s_wait_loadcnt 0x0
	v_lshrrev_b32_e32 v31, 16, v1
	v_lshrrev_b32_e32 v30, 16, v2
	;; [unrolled: 1-line block ×3, first 2 shown]
	s_and_saveexec_b32 s20, s0
	s_cbranch_execz .LBB73_48
; %bb.47:                               ;   in Loop: Header=BB73_43 Depth=1
	v_add_nc_u32_e32 v32, 1, v10
	v_cmp_gt_i32_e64 s1, s31, v10
	v_add_nc_u32_e32 v33, 2, v10
	v_add_nc_u32_e32 v34, 3, v10
	;; [unrolled: 1-line block ×4, first 2 shown]
	s_wait_alu 0xf1ff
	v_cndmask_b32_e64 v1, 0, v1, s1
	v_cmp_gt_i32_e64 s1, s31, v32
	v_add_nc_u32_e32 v32, 4, v10
	s_wait_alu 0xf1ff
	s_delay_alu instid0(VALU_DEP_2) | instskip(SKIP_3) | instid1(VALU_DEP_2)
	v_cndmask_b32_e64 v31, 0, v31, s1
	v_cmp_gt_i32_e64 s1, s31, v33
	v_add_nc_u32_e32 v33, 6, v10
	s_wait_alu 0xf1ff
	v_cndmask_b32_e64 v2, 0, v2, s1
	v_cmp_gt_i32_e64 s1, s31, v34
	v_and_b32_e32 v34, 0xffff, v4
	v_and_b32_e32 v4, 0xffff0000, v4
	s_wait_alu 0xf1ff
	s_delay_alu instid0(VALU_DEP_3) | instskip(SKIP_2) | instid1(VALU_DEP_1)
	v_cndmask_b32_e64 v30, 0, v30, s1
	v_cmp_gt_i32_e64 s1, s31, v33
	s_wait_alu 0xf1ff
	v_cndmask_b32_e64 v33, 0, v34, s1
	v_cmp_gt_i32_e64 s1, s31, v35
	s_wait_alu 0xf1ff
	s_delay_alu instid0(VALU_DEP_1) | instskip(SKIP_1) | instid1(VALU_DEP_2)
	v_cndmask_b32_e64 v4, 0, v4, s1
	v_cmp_gt_i32_e64 s1, s31, v32
	v_or_b32_e32 v4, v33, v4
	s_wait_alu 0xf1ff
	s_delay_alu instid0(VALU_DEP_2) | instskip(SKIP_2) | instid1(VALU_DEP_1)
	v_cndmask_b32_e64 v3, 0, v3, s1
	v_cmp_gt_i32_e64 s1, s31, v36
	s_wait_alu 0xf1ff
	v_cndmask_b32_e64 v29, 0, v29, s1
.LBB73_48:                              ;   in Loop: Header=BB73_43 Depth=1
	s_or_b32 exec_lo, exec_lo, s20
	v_lshlrev_b32_e32 v31, 16, v31
	v_lshlrev_b32_e32 v30, 16, v30
	s_delay_alu instid0(VALU_DEP_3) | instskip(NEXT) | instid1(VALU_DEP_3)
	v_lshlrev_b32_e32 v29, 16, v29
	v_and_or_b32 v1, 0xffff, v1, v31
	s_delay_alu instid0(VALU_DEP_3) | instskip(NEXT) | instid1(VALU_DEP_3)
	v_and_or_b32 v2, 0xffff, v2, v30
	v_and_or_b32 v3, 0xffff, v3, v29
	;;#ASMSTART
	v_pk_mul_f16 v1, v26, v1;

	;;#ASMEND
	;;#ASMSTART
	v_pk_mul_f16 v2, v25, v2;

	;;#ASMEND
	;; [unrolled: 4-line block ×4, first 2 shown]
	;;#ASMSTART
	v_pk_add_f16 v1, v1, v2;

	;;#ASMEND
	;;#ASMSTART
	v_pk_add_f16 v1, v1, v3;

	;;#ASMEND
	;; [unrolled: 4-line block ×3, first 2 shown]
	v_and_b32_e32 v2, 0xffff, v1
	v_lshrrev_b32_e32 v1, 16, v1
	;;#ASMSTART
	v_cvt_f32_f16 v29, v2;
	;;#ASMEND
	;;#ASMSTART
	v_cvt_f32_f16 v30, v1;
	;;#ASMEND
	global_load_b128 v[1:4], v[7:8], off offset:1024
	s_wait_loadcnt 0x0
	v_lshrrev_b32_e32 v31, 16, v1
	v_lshrrev_b32_e32 v8, 16, v2
	;; [unrolled: 1-line block ×3, first 2 shown]
	s_and_saveexec_b32 s20, s0
	s_cbranch_execz .LBB73_50
; %bb.49:                               ;   in Loop: Header=BB73_43 Depth=1
	v_add_nc_u32_e32 v32, 1, v10
	v_cmp_gt_i32_e64 s1, s31, v10
	v_add_nc_u32_e32 v33, 2, v10
	v_add_nc_u32_e32 v34, 3, v10
	;; [unrolled: 1-line block ×4, first 2 shown]
	s_wait_alu 0xf1ff
	v_cndmask_b32_e64 v1, 0, v1, s1
	v_cmp_gt_i32_e64 s1, s31, v32
	v_add_nc_u32_e32 v32, 4, v10
	s_wait_alu 0xf1ff
	s_delay_alu instid0(VALU_DEP_2) | instskip(SKIP_3) | instid1(VALU_DEP_2)
	v_cndmask_b32_e64 v31, 0, v31, s1
	v_cmp_gt_i32_e64 s1, s31, v33
	v_add_nc_u32_e32 v33, 6, v10
	s_wait_alu 0xf1ff
	v_cndmask_b32_e64 v2, 0, v2, s1
	v_cmp_gt_i32_e64 s1, s31, v34
	v_and_b32_e32 v34, 0xffff, v4
	v_and_b32_e32 v4, 0xffff0000, v4
	s_wait_alu 0xf1ff
	s_delay_alu instid0(VALU_DEP_3) | instskip(SKIP_2) | instid1(VALU_DEP_1)
	v_cndmask_b32_e64 v8, 0, v8, s1
	v_cmp_gt_i32_e64 s1, s31, v33
	s_wait_alu 0xf1ff
	v_cndmask_b32_e64 v33, 0, v34, s1
	v_cmp_gt_i32_e64 s1, s31, v35
	s_wait_alu 0xf1ff
	s_delay_alu instid0(VALU_DEP_1) | instskip(SKIP_1) | instid1(VALU_DEP_2)
	v_cndmask_b32_e64 v4, 0, v4, s1
	v_cmp_gt_i32_e64 s1, s31, v32
	v_or_b32_e32 v4, v33, v4
	s_wait_alu 0xf1ff
	s_delay_alu instid0(VALU_DEP_2) | instskip(SKIP_2) | instid1(VALU_DEP_1)
	v_cndmask_b32_e64 v3, 0, v3, s1
	v_cmp_gt_i32_e64 s1, s31, v36
	s_wait_alu 0xf1ff
	v_cndmask_b32_e64 v7, 0, v7, s1
.LBB73_50:                              ;   in Loop: Header=BB73_43 Depth=1
	s_or_b32 exec_lo, exec_lo, s20
	v_lshlrev_b32_e32 v31, 16, v31
	v_lshlrev_b32_e32 v8, 16, v8
	s_delay_alu instid0(VALU_DEP_3) | instskip(NEXT) | instid1(VALU_DEP_3)
	v_lshlrev_b32_e32 v7, 16, v7
	v_and_or_b32 v1, 0xffff, v1, v31
	s_delay_alu instid0(VALU_DEP_3) | instskip(NEXT) | instid1(VALU_DEP_3)
	v_and_or_b32 v2, 0xffff, v2, v8
	v_and_or_b32 v3, 0xffff, v3, v7
	;;#ASMSTART
	v_pk_mul_f16 v1, v26, v1;

	;;#ASMEND
	;;#ASMSTART
	v_pk_mul_f16 v2, v25, v2;

	;;#ASMEND
	;; [unrolled: 4-line block ×4, first 2 shown]
	;;#ASMSTART
	v_pk_add_f16 v1, v1, v2;

	;;#ASMEND
	;;#ASMSTART
	v_pk_add_f16 v1, v1, v3;

	;;#ASMEND
	;; [unrolled: 4-line block ×3, first 2 shown]
	v_and_b32_e32 v2, 0xffff, v1
	v_lshrrev_b32_e32 v1, 16, v1
	;;#ASMSTART
	v_cvt_f32_f16 v7, v2;
	;;#ASMEND
	;;#ASMSTART
	v_cvt_f32_f16 v8, v1;
	;;#ASMEND
	s_and_saveexec_b32 s20, vcc_lo
	s_cbranch_execz .LBB73_41
; %bb.51:                               ;   in Loop: Header=BB73_43 Depth=1
	v_add_co_u32 v1, s1, v22, v20
	s_wait_alu 0xf1ff
	v_add_co_ci_u32_e64 v2, null, 0, v23, s1
	global_load_b128 v[1:4], v[1:2], off
	s_wait_loadcnt 0x0
	v_lshrrev_b32_e32 v31, 16, v1
	v_lshrrev_b32_e32 v23, 16, v2
	;; [unrolled: 1-line block ×3, first 2 shown]
	s_and_saveexec_b32 s1, s0
	s_cbranch_execz .LBB73_40
; %bb.52:                               ;   in Loop: Header=BB73_43 Depth=1
	v_add_nc_u32_e32 v32, 1, v10
	v_cmp_gt_i32_e64 s0, s31, v10
	v_add_nc_u32_e32 v33, 2, v10
	v_add_nc_u32_e32 v34, 3, v10
	;; [unrolled: 1-line block ×4, first 2 shown]
	s_wait_alu 0xf1ff
	v_cndmask_b32_e64 v1, 0, v1, s0
	v_cmp_gt_i32_e64 s0, s31, v32
	v_add_nc_u32_e32 v32, 4, v10
	s_wait_alu 0xf1ff
	s_delay_alu instid0(VALU_DEP_2) | instskip(SKIP_3) | instid1(VALU_DEP_2)
	v_cndmask_b32_e64 v31, 0, v31, s0
	v_cmp_gt_i32_e64 s0, s31, v33
	v_add_nc_u32_e32 v33, 6, v10
	s_wait_alu 0xf1ff
	v_cndmask_b32_e64 v2, 0, v2, s0
	v_cmp_gt_i32_e64 s0, s31, v34
	v_and_b32_e32 v34, 0xffff, v4
	v_and_b32_e32 v4, 0xffff0000, v4
	s_wait_alu 0xf1ff
	s_delay_alu instid0(VALU_DEP_3) | instskip(SKIP_2) | instid1(VALU_DEP_1)
	v_cndmask_b32_e64 v23, 0, v23, s0
	v_cmp_gt_i32_e64 s0, s31, v33
	s_wait_alu 0xf1ff
	v_cndmask_b32_e64 v33, 0, v34, s0
	v_cmp_gt_i32_e64 s0, s31, v35
	s_wait_alu 0xf1ff
	s_delay_alu instid0(VALU_DEP_1) | instskip(SKIP_1) | instid1(VALU_DEP_2)
	v_cndmask_b32_e64 v4, 0, v4, s0
	v_cmp_gt_i32_e64 s0, s31, v32
	v_or_b32_e32 v4, v33, v4
	s_wait_alu 0xf1ff
	s_delay_alu instid0(VALU_DEP_2) | instskip(SKIP_2) | instid1(VALU_DEP_1)
	v_cndmask_b32_e64 v3, 0, v3, s0
	v_cmp_gt_i32_e64 s0, s31, v36
	s_wait_alu 0xf1ff
	v_cndmask_b32_e64 v22, 0, v22, s0
	s_branch .LBB73_40
.LBB73_53:
	s_or_b32 exec_lo, exec_lo, s9
.LBB73_54:
	s_wait_alu 0xfffe
	s_or_b32 exec_lo, exec_lo, s4
	s_movk_i32 s0, 0x1e0
	v_and_b32_e32 v1, 0x3c0, v0
	s_wait_alu 0xfffe
	v_mad_u32_u24 v4, v9, s0, 0x110
	v_or_b32_e32 v3, 0x60, v0
	s_mov_b32 s0, exec_lo
	s_wait_loadcnt 0x0
	s_wait_storecnt 0x0
	s_barrier_signal -1
	s_barrier_wait -1
	global_inv scope:SCOPE_SE
	v_cmpx_eq_u32_e32 64, v1
	s_cbranch_execz .LBB73_57
; %bb.55:
	v_add_nc_u32_e32 v1, 0xfffffc40, v4
	v_cmp_gt_u32_e32 vcc_lo, 0x78, v3
	s_delay_alu instid0(VALU_DEP_2)
	v_lshl_add_u32 v2, v12, 2, v1
	ds_store_2addr_b32 v2, v17, v16 offset1:32
	ds_store_b32 v2, v15 offset:256
	s_and_b32 exec_lo, exec_lo, vcc_lo
; %bb.56:
	v_lshl_add_u32 v1, v3, 2, v1
	ds_store_b32 v1, v14
.LBB73_57:
	s_wait_alu 0xfffe
	s_or_b32 exec_lo, exec_lo, s0
	v_lshl_add_u32 v5, v12, 2, v4
	s_mov_b32 s0, exec_lo
	s_wait_loadcnt_dscnt 0x0
	s_barrier_signal -1
	s_barrier_wait -1
	global_inv scope:SCOPE_SE
	v_cmpx_gt_u32_e32 64, v0
	s_cbranch_execz .LBB73_61
; %bb.58:
	v_lshl_or_b32 v1, v0, 2, 0x80
	s_mov_b32 s1, exec_lo
	s_delay_alu instid0(VALU_DEP_1)
	v_add_nc_u32_e32 v6, v4, v1
	ds_load_2addr_stride64_b32 v[1:2], v5 offset1:1
	ds_load_b32 v6, v6
	v_cmpx_gt_u32_e32 0x78, v3
	s_cbranch_execz .LBB73_60
; %bb.59:
	v_lshl_add_u32 v7, v3, 2, v4
	ds_load_b32 v7, v7
	s_wait_dscnt 0x0
	v_add_f32_e32 v14, v14, v7
.LBB73_60:
	s_wait_alu 0xfffe
	s_or_b32 exec_lo, exec_lo, s1
	s_wait_dscnt 0x0
	v_dual_add_f32 v17, v17, v1 :: v_dual_add_f32 v16, v16, v6
	v_add_f32_e32 v15, v15, v2
.LBB73_61:
	s_wait_alu 0xfffe
	s_or_b32 exec_lo, exec_lo, s0
	v_and_b32_e32 v1, 0x3e0, v0
	s_mov_b32 s0, exec_lo
	s_wait_loadcnt 0x0
	s_barrier_signal -1
	s_barrier_wait -1
	global_inv scope:SCOPE_SE
	v_cmpx_eq_u32_e32 32, v1
	s_cbranch_execz .LBB73_64
; %bb.62:
	v_lshl_add_u32 v1, v12, 2, 0x110
	v_cmp_gt_u32_e32 vcc_lo, 0x78, v3
	ds_store_b32 v1, v17
	ds_store_b32 v13, v16
	ds_store_b32 v1, v15 offset:256
	s_and_b32 exec_lo, exec_lo, vcc_lo
; %bb.63:
	v_lshl_add_u32 v1, v3, 2, 0x110
	ds_store_b32 v1, v14
.LBB73_64:
	s_wait_alu 0xfffe
	s_or_b32 exec_lo, exec_lo, s0
	v_cmp_gt_u32_e32 vcc_lo, 32, v0
	s_wait_loadcnt_dscnt 0x0
	s_barrier_signal -1
	s_barrier_wait -1
	global_inv scope:SCOPE_SE
	s_and_saveexec_b32 s1, vcc_lo
	s_cbranch_execz .LBB73_68
; %bb.65:
	v_lshl_add_u32 v6, v0, 2, v4
	s_mov_b32 s2, exec_lo
	ds_load_b32 v4, v5
	ds_load_2addr_b32 v[1:2], v6 offset0:32 offset1:64
	v_cmpx_gt_u32_e32 0x78, v3
	s_cbranch_execz .LBB73_67
; %bb.66:
	ds_load_b32 v5, v6 offset:384
	s_wait_dscnt 0x0
	v_add_f32_e32 v14, v14, v5
.LBB73_67:
	s_wait_alu 0xfffe
	s_or_b32 exec_lo, exec_lo, s2
	s_wait_dscnt 0x0
	v_dual_add_f32 v17, v17, v4 :: v_dual_add_f32 v16, v16, v1
	v_add_f32_e32 v15, v15, v2
.LBB73_68:
	s_wait_alu 0xfffe
	s_or_b32 exec_lo, exec_lo, s1
	s_wait_loadcnt 0x0
	s_barrier_signal -1
	s_barrier_wait -1
	global_inv scope:SCOPE_SE
	s_and_saveexec_b32 s0, vcc_lo
	s_cbranch_execz .LBB73_71
; %bb.69:
	s_mul_i32 s0, s26, 0x78
	s_mul_i32 s2, s8, s16
	s_wait_alu 0xfffe
	s_ashr_i32 s1, s0, 31
	s_ashr_i32 s3, s2, 31
	s_wait_alu 0xfffe
	s_lshl_b64 s[0:1], s[0:1], 1
	s_lshl_b64 s[2:3], s[2:3], 1
	s_wait_alu 0xfffe
	s_add_nc_u64 s[0:1], s[14:15], s[0:1]
	v_lshlrev_b32_e32 v0, 1, v0
	s_mul_i32 s4, s30, 0xf0
	s_wait_alu 0xfffe
	s_add_nc_u64 s[0:1], s[0:1], s[2:3]
	s_mov_b32 s5, 0
	v_cmp_gt_u32_e32 vcc_lo, 0x78, v3
	s_wait_alu 0xfffe
	s_add_nc_u64 s[0:1], s[0:1], s[4:5]
	;;#ASMSTART
	v_cvt_f16_f32 v1, v17;

	;;#ASMEND
	global_store_b16 v0, v1, s[0:1]
	;;#ASMSTART
	v_cvt_f16_f32 v1, v16;

	;;#ASMEND
	global_store_b16 v0, v1, s[0:1] offset:64
	;;#ASMSTART
	v_cvt_f16_f32 v1, v15;

	;;#ASMEND
	global_store_b16 v0, v1, s[0:1] offset:128
	s_and_b32 exec_lo, exec_lo, vcc_lo
	s_cbranch_execz .LBB73_71
; %bb.70:
	s_wait_alu 0xfffe
	v_add_co_u32 v0, s0, s0, v0
	s_wait_alu 0xf1ff
	v_add_co_ci_u32_e64 v1, null, s1, 0, s0
	;;#ASMSTART
	v_cvt_f16_f32 v2, v14;

	;;#ASMEND
	global_store_b16 v[0:1], v2, off offset:192
.LBB73_71:
	s_endpgm
	.section	.rodata,"a",@progbits
	.p2align	6, 0x0
	.amdhsa_kernel _ZN4vllm25paged_attention_v2_kernelIttLi120ELi8ELi128ELNS_18Fp8KVCacheDataTypeE0ELb1ELi512EEEvPfS2_PT_PKS3_PKT0_S9_ifPKiSB_iPKfiiiSD_SD_iiiii
		.amdhsa_group_segment_fixed_size 272
		.amdhsa_private_segment_fixed_size 0
		.amdhsa_kernarg_size 400
		.amdhsa_user_sgpr_count 2
		.amdhsa_user_sgpr_dispatch_ptr 0
		.amdhsa_user_sgpr_queue_ptr 0
		.amdhsa_user_sgpr_kernarg_segment_ptr 1
		.amdhsa_user_sgpr_dispatch_id 0
		.amdhsa_user_sgpr_private_segment_size 0
		.amdhsa_wavefront_size32 1
		.amdhsa_uses_dynamic_stack 0
		.amdhsa_enable_private_segment 0
		.amdhsa_system_sgpr_workgroup_id_x 1
		.amdhsa_system_sgpr_workgroup_id_y 1
		.amdhsa_system_sgpr_workgroup_id_z 1
		.amdhsa_system_sgpr_workgroup_info 0
		.amdhsa_system_vgpr_workitem_id 0
		.amdhsa_next_free_vgpr 72
		.amdhsa_next_free_sgpr 42
		.amdhsa_reserve_vcc 1
		.amdhsa_float_round_mode_32 0
		.amdhsa_float_round_mode_16_64 0
		.amdhsa_float_denorm_mode_32 3
		.amdhsa_float_denorm_mode_16_64 3
		.amdhsa_fp16_overflow 0
		.amdhsa_workgroup_processor_mode 1
		.amdhsa_memory_ordered 1
		.amdhsa_forward_progress 1
		.amdhsa_inst_pref_size 54
		.amdhsa_round_robin_scheduling 0
		.amdhsa_exception_fp_ieee_invalid_op 0
		.amdhsa_exception_fp_denorm_src 0
		.amdhsa_exception_fp_ieee_div_zero 0
		.amdhsa_exception_fp_ieee_overflow 0
		.amdhsa_exception_fp_ieee_underflow 0
		.amdhsa_exception_fp_ieee_inexact 0
		.amdhsa_exception_int_div_zero 0
	.end_amdhsa_kernel
	.section	.text._ZN4vllm25paged_attention_v2_kernelIttLi120ELi8ELi128ELNS_18Fp8KVCacheDataTypeE0ELb1ELi512EEEvPfS2_PT_PKS3_PKT0_S9_ifPKiSB_iPKfiiiSD_SD_iiiii,"axG",@progbits,_ZN4vllm25paged_attention_v2_kernelIttLi120ELi8ELi128ELNS_18Fp8KVCacheDataTypeE0ELb1ELi512EEEvPfS2_PT_PKS3_PKT0_S9_ifPKiSB_iPKfiiiSD_SD_iiiii,comdat
.Lfunc_end73:
	.size	_ZN4vllm25paged_attention_v2_kernelIttLi120ELi8ELi128ELNS_18Fp8KVCacheDataTypeE0ELb1ELi512EEEvPfS2_PT_PKS3_PKT0_S9_ifPKiSB_iPKfiiiSD_SD_iiiii, .Lfunc_end73-_ZN4vllm25paged_attention_v2_kernelIttLi120ELi8ELi128ELNS_18Fp8KVCacheDataTypeE0ELb1ELi512EEEvPfS2_PT_PKS3_PKT0_S9_ifPKiSB_iPKfiiiSD_SD_iiiii
                                        ; -- End function
	.set _ZN4vllm25paged_attention_v2_kernelIttLi120ELi8ELi128ELNS_18Fp8KVCacheDataTypeE0ELb1ELi512EEEvPfS2_PT_PKS3_PKT0_S9_ifPKiSB_iPKfiiiSD_SD_iiiii.num_vgpr, 72
	.set _ZN4vllm25paged_attention_v2_kernelIttLi120ELi8ELi128ELNS_18Fp8KVCacheDataTypeE0ELb1ELi512EEEvPfS2_PT_PKS3_PKT0_S9_ifPKiSB_iPKfiiiSD_SD_iiiii.num_agpr, 0
	.set _ZN4vllm25paged_attention_v2_kernelIttLi120ELi8ELi128ELNS_18Fp8KVCacheDataTypeE0ELb1ELi512EEEvPfS2_PT_PKS3_PKT0_S9_ifPKiSB_iPKfiiiSD_SD_iiiii.numbered_sgpr, 42
	.set _ZN4vllm25paged_attention_v2_kernelIttLi120ELi8ELi128ELNS_18Fp8KVCacheDataTypeE0ELb1ELi512EEEvPfS2_PT_PKS3_PKT0_S9_ifPKiSB_iPKfiiiSD_SD_iiiii.num_named_barrier, 0
	.set _ZN4vllm25paged_attention_v2_kernelIttLi120ELi8ELi128ELNS_18Fp8KVCacheDataTypeE0ELb1ELi512EEEvPfS2_PT_PKS3_PKT0_S9_ifPKiSB_iPKfiiiSD_SD_iiiii.private_seg_size, 0
	.set _ZN4vllm25paged_attention_v2_kernelIttLi120ELi8ELi128ELNS_18Fp8KVCacheDataTypeE0ELb1ELi512EEEvPfS2_PT_PKS3_PKT0_S9_ifPKiSB_iPKfiiiSD_SD_iiiii.uses_vcc, 1
	.set _ZN4vllm25paged_attention_v2_kernelIttLi120ELi8ELi128ELNS_18Fp8KVCacheDataTypeE0ELb1ELi512EEEvPfS2_PT_PKS3_PKT0_S9_ifPKiSB_iPKfiiiSD_SD_iiiii.uses_flat_scratch, 0
	.set _ZN4vllm25paged_attention_v2_kernelIttLi120ELi8ELi128ELNS_18Fp8KVCacheDataTypeE0ELb1ELi512EEEvPfS2_PT_PKS3_PKT0_S9_ifPKiSB_iPKfiiiSD_SD_iiiii.has_dyn_sized_stack, 0
	.set _ZN4vllm25paged_attention_v2_kernelIttLi120ELi8ELi128ELNS_18Fp8KVCacheDataTypeE0ELb1ELi512EEEvPfS2_PT_PKS3_PKT0_S9_ifPKiSB_iPKfiiiSD_SD_iiiii.has_recursion, 0
	.set _ZN4vllm25paged_attention_v2_kernelIttLi120ELi8ELi128ELNS_18Fp8KVCacheDataTypeE0ELb1ELi512EEEvPfS2_PT_PKS3_PKT0_S9_ifPKiSB_iPKfiiiSD_SD_iiiii.has_indirect_call, 0
	.section	.AMDGPU.csdata,"",@progbits
; Kernel info:
; codeLenInByte = 6900
; TotalNumSgprs: 44
; NumVgprs: 72
; ScratchSize: 0
; MemoryBound: 0
; FloatMode: 240
; IeeeMode: 1
; LDSByteSize: 272 bytes/workgroup (compile time only)
; SGPRBlocks: 0
; VGPRBlocks: 8
; NumSGPRsForWavesPerEU: 44
; NumVGPRsForWavesPerEU: 72
; Occupancy: 16
; WaveLimiterHint : 1
; COMPUTE_PGM_RSRC2:SCRATCH_EN: 0
; COMPUTE_PGM_RSRC2:USER_SGPR: 2
; COMPUTE_PGM_RSRC2:TRAP_HANDLER: 0
; COMPUTE_PGM_RSRC2:TGID_X_EN: 1
; COMPUTE_PGM_RSRC2:TGID_Y_EN: 1
; COMPUTE_PGM_RSRC2:TGID_Z_EN: 1
; COMPUTE_PGM_RSRC2:TIDIG_COMP_CNT: 0
	.section	.text._ZN4vllm32paged_attention_v2_reduce_kernelItLi120ELi128ELi512EEEvPT_PKfS4_PKS1_PKii,"axG",@progbits,_ZN4vllm32paged_attention_v2_reduce_kernelItLi120ELi128ELi512EEEvPT_PKfS4_PKS1_PKii,comdat
	.protected	_ZN4vllm32paged_attention_v2_reduce_kernelItLi120ELi128ELi512EEEvPT_PKfS4_PKS1_PKii ; -- Begin function _ZN4vllm32paged_attention_v2_reduce_kernelItLi120ELi128ELi512EEEvPT_PKfS4_PKS1_PKii
	.globl	_ZN4vllm32paged_attention_v2_reduce_kernelItLi120ELi128ELi512EEEvPT_PKfS4_PKS1_PKii
	.p2align	8
	.type	_ZN4vllm32paged_attention_v2_reduce_kernelItLi120ELi128ELi512EEEvPT_PKfS4_PKS1_PKii,@function
_ZN4vllm32paged_attention_v2_reduce_kernelItLi120ELi128ELi512EEEvPT_PKfS4_PKS1_PKii: ; @_ZN4vllm32paged_attention_v2_reduce_kernelItLi120ELi128ELi512EEEvPT_PKfS4_PKS1_PKii
; %bb.0:
	s_load_b128 s[4:7], s[0:1], 0x18
	s_mov_b32 s2, ttmp7
	s_ashr_i32 s3, ttmp7, 31
	s_add_nc_u64 s[8:9], s[0:1], 48
	s_lshl_b64 s[2:3], s[2:3], 2
	s_wait_kmcnt 0x0
	s_add_nc_u64 s[2:3], s[6:7], s[2:3]
	s_load_b32 s18, s[2:3], 0x0
	s_clause 0x2
	s_load_b64 s[6:7], s[0:1], 0x0
	s_load_b32 s14, s[0:1], 0x28
	s_load_b32 s15, s[0:1], 0x30
	s_wait_kmcnt 0x0
	s_add_co_i32 s2, s18, -1
	s_delay_alu instid0(SALU_CYCLE_1)
	s_cmp_gt_u32 s2, 0x1ff
	s_mov_b32 s2, -1
	s_cbranch_scc0 .LBB74_25
; %bb.1:
	s_add_co_i32 s2, s18, 0x1ff
	s_mul_i32 s16, s15, ttmp7
	s_ashr_i32 s3, s2, 31
	v_dual_mov_b32 v4, 0xff7fffff :: v_dual_lshlrev_b32 v3, 2, v0
	s_lshr_b32 s3, s3, 23
	s_mul_i32 s12, s16, s14
	s_add_co_i32 s2, s2, s3
	s_mul_i32 s10, s14, ttmp9
	s_ashr_i32 s17, s2, 9
	s_ashr_i32 s13, s12, 31
	v_cmp_gt_i32_e32 vcc_lo, s17, v0
	s_ashr_i32 s11, s10, 31
	s_and_saveexec_b32 s3, vcc_lo
	s_cbranch_execz .LBB74_5
; %bb.2:
	s_load_b64 s[20:21], s[0:1], 0x10
	s_load_b32 s2, s[8:9], 0xc
	s_lshl_b64 s[22:23], s[12:13], 2
	s_lshl_b64 s[24:25], s[10:11], 2
	v_dual_mov_b32 v4, 0xff7fffff :: v_dual_add_nc_u32 v5, 32, v3
	s_add_nc_u64 s[22:23], s[22:23], s[24:25]
	v_mov_b32_e32 v6, v0
	s_wait_kmcnt 0x0
	s_add_nc_u64 s[20:21], s[20:21], s[22:23]
	s_delay_alu instid0(SALU_CYCLE_1) | instskip(NEXT) | instid1(VALU_DEP_1)
	v_add_co_u32 v1, s19, s20, v3
	v_add_co_ci_u32_e64 v2, null, s21, 0, s19
	s_and_b32 s20, s2, 0xffff
	s_mov_b32 s19, 0
	s_wait_alu 0xfffe
	s_lshl_b32 s21, s20, 2
.LBB74_3:                               ; =>This Inner Loop Header: Depth=1
	global_load_b32 v7, v[1:2], off
	v_add_nc_u32_e32 v6, s20, v6
	v_max_num_f32_e32 v4, v4, v4
	s_wait_alu 0xfffe
	v_add_co_u32 v1, s2, v1, s21
	s_wait_alu 0xf1ff
	v_add_co_ci_u32_e64 v2, null, 0, v2, s2
	v_cmp_le_i32_e64 s2, s17, v6
	s_or_b32 s19, s2, s19
	s_wait_loadcnt 0x0
	v_max_num_f32_e32 v8, v7, v7
	ds_store_b32 v5, v7
	v_dual_max_num_f32 v4, v4, v8 :: v_dual_add_nc_u32 v5, s21, v5
	s_wait_alu 0xfffe
	s_and_not1_b32 exec_lo, exec_lo, s19
	s_cbranch_execnz .LBB74_3
; %bb.4:
	s_or_b32 exec_lo, exec_lo, s19
.LBB74_5:
	s_delay_alu instid0(SALU_CYCLE_1)
	s_or_b32 exec_lo, exec_lo, s3
	v_mbcnt_lo_u32_b32 v1, -1, 0
	s_load_b64 s[2:3], s[0:1], 0x8
	s_wait_dscnt 0x0
	s_barrier_signal -1
	s_barrier_wait -1
	v_xor_b32_e32 v2, 16, v1
	v_xor_b32_e32 v5, 8, v1
	global_inv scope:SCOPE_SE
	v_cmp_gt_i32_e64 s0, 32, v2
	s_delay_alu instid0(VALU_DEP_1) | instskip(SKIP_1) | instid1(VALU_DEP_2)
	v_cndmask_b32_e64 v2, v1, v2, s0
	v_cmp_gt_i32_e64 s0, 32, v5
	v_lshlrev_b32_e32 v6, 2, v2
	s_wait_alu 0xf1ff
	s_delay_alu instid0(VALU_DEP_2) | instskip(SKIP_3) | instid1(VALU_DEP_1)
	v_cndmask_b32_e64 v5, v1, v5, s0
	ds_bpermute_b32 v2, v6, v4
	v_dual_max_num_f32 v4, v4, v4 :: v_dual_lshlrev_b32 v7, 2, v5
	v_xor_b32_e32 v5, 4, v1
	v_cmp_gt_i32_e64 s0, 32, v5
	s_wait_alu 0xf1ff
	s_delay_alu instid0(VALU_DEP_1) | instskip(NEXT) | instid1(VALU_DEP_1)
	v_cndmask_b32_e64 v5, v1, v5, s0
	v_lshlrev_b32_e32 v8, 2, v5
	v_xor_b32_e32 v5, 2, v1
	s_wait_dscnt 0x0
	v_max_num_f32_e32 v2, v2, v2
	s_delay_alu instid0(VALU_DEP_2) | instskip(NEXT) | instid1(VALU_DEP_2)
	v_cmp_gt_i32_e64 s0, 32, v5
	v_max_num_f32_e32 v2, v4, v2
	s_wait_alu 0xf1ff
	s_delay_alu instid0(VALU_DEP_2) | instskip(SKIP_3) | instid1(VALU_DEP_1)
	v_cndmask_b32_e64 v5, v1, v5, s0
	ds_bpermute_b32 v4, v7, v2
	s_wait_dscnt 0x0
	v_max_num_f32_e32 v4, v4, v4
	v_max_num_f32_e32 v2, v2, v4
	ds_bpermute_b32 v4, v8, v2
	s_wait_dscnt 0x0
	v_dual_max_num_f32 v9, v4, v4 :: v_dual_lshlrev_b32 v4, 2, v5
	s_delay_alu instid0(VALU_DEP_1) | instskip(SKIP_4) | instid1(VALU_DEP_1)
	v_max_num_f32_e32 v2, v2, v9
	v_xor_b32_e32 v9, 1, v1
	ds_bpermute_b32 v5, v4, v2
	v_cmp_gt_i32_e64 s0, 32, v9
	s_wait_alu 0xf1ff
	v_cndmask_b32_e64 v1, v1, v9, s0
	v_lshrrev_b32_e32 v9, 5, v0
	s_delay_alu instid0(VALU_DEP_1) | instskip(SKIP_2) | instid1(VALU_DEP_1)
	v_lshlrev_b32_e32 v9, 2, v9
	s_wait_dscnt 0x0
	v_max_num_f32_e32 v5, v5, v5
	v_max_num_f32_e32 v2, v2, v5
	v_lshlrev_b32_e32 v5, 2, v1
	v_and_b32_e32 v1, 31, v0
	ds_bpermute_b32 v10, v5, v2
	v_cmp_eq_u32_e64 s0, 0, v1
	s_and_saveexec_b32 s1, s0
	s_cbranch_execz .LBB74_7
; %bb.6:
	s_wait_dscnt 0x0
	v_max_num_f32_e32 v10, v10, v10
	v_max_num_f32_e32 v2, v2, v2
	s_delay_alu instid0(VALU_DEP_1)
	v_max_num_f32_e32 v2, v2, v10
	ds_store_b32 v9, v2
.LBB74_7:
	s_wait_alu 0xfffe
	s_or_b32 exec_lo, exec_lo, s1
	v_cmp_gt_u32_e64 s1, 4, v1
	v_mov_b32_e32 v2, 0xff7fffff
	s_wait_dscnt 0x0
	v_lshlrev_b32_e32 v10, 2, v1
	s_wait_loadcnt 0x0
	s_barrier_signal -1
	s_barrier_wait -1
	global_inv scope:SCOPE_SE
	s_and_saveexec_b32 s19, s1
; %bb.8:
	ds_load_b32 v2, v10
; %bb.9:
	s_wait_alu 0xfffe
	s_or_b32 exec_lo, exec_lo, s19
	s_wait_dscnt 0x0
	ds_bpermute_b32 v1, v4, v2
	v_max_num_f32_e32 v2, v2, v2
	s_lshl_b32 s19, s17, 2
	v_mov_b32_e32 v11, 0
	s_wait_dscnt 0x0
	v_max_num_f32_e32 v1, v1, v1
	s_delay_alu instid0(VALU_DEP_1) | instskip(SKIP_3) | instid1(VALU_DEP_1)
	v_max_num_f32_e32 v1, v2, v1
	ds_bpermute_b32 v2, v5, v1
	s_wait_dscnt 0x0
	v_max_num_f32_e32 v2, v2, v2
	v_max_num_f32_e32 v1, v1, v2
	ds_bpermute_b32 v12, v11, v1
	s_and_saveexec_b32 s20, vcc_lo
	s_cbranch_execz .LBB74_13
; %bb.10:
	s_load_b32 s21, s[8:9], 0xc
	s_lshl_b64 s[22:23], s[12:13], 2
	s_lshl_b64 s[24:25], s[10:11], 2
	v_mov_b32_e32 v11, 0
	s_add_nc_u64 s[22:23], s[22:23], s[24:25]
	v_mov_b32_e32 v13, v0
	s_wait_kmcnt 0x0
	s_add_nc_u64 s[2:3], s[2:3], s[22:23]
	s_wait_alu 0xfffe
	v_add_co_u32 v1, s2, s2, v3
	s_wait_alu 0xf1ff
	v_add_co_ci_u32_e64 v2, null, s3, 0, s2
	v_add_nc_u32_e32 v3, 32, v3
	s_mov_b32 s3, 0
	s_and_b32 s11, s21, 0xffff
	s_delay_alu instid0(SALU_CYCLE_1)
	s_lshl_b32 s13, s11, 2
.LBB74_11:                              ; =>This Inner Loop Header: Depth=1
	global_load_b32 v14, v[1:2], off
	ds_load_b32 v15, v3
	v_add_nc_u32_e32 v13, s11, v13
	s_wait_dscnt 0x0
	v_sub_f32_e32 v15, v15, v12
	s_delay_alu instid0(VALU_DEP_1) | instskip(NEXT) | instid1(VALU_DEP_1)
	v_mul_f32_e32 v16, 0x3fb8aa3b, v15
	v_fma_f32 v17, 0x3fb8aa3b, v15, -v16
	v_rndne_f32_e32 v18, v16
	s_delay_alu instid0(VALU_DEP_1) | instskip(SKIP_1) | instid1(VALU_DEP_4)
	v_sub_f32_e32 v16, v16, v18
	v_cmp_ngt_f32_e32 vcc_lo, 0xc2ce8ed0, v15
	v_fmac_f32_e32 v17, 0x32a5705f, v15
	v_cmp_nlt_f32_e64 s2, 0x42b17218, v15
	s_delay_alu instid0(VALU_DEP_2) | instskip(SKIP_1) | instid1(VALU_DEP_2)
	v_add_f32_e32 v16, v16, v17
	v_cvt_i32_f32_e32 v17, v18
	v_exp_f32_e32 v16, v16
	s_delay_alu instid0(TRANS32_DEP_1) | instskip(SKIP_2) | instid1(VALU_DEP_2)
	v_ldexp_f32 v16, v16, v17
	v_add_nc_u32_e32 v17, s19, v3
	s_wait_alu 0xfffd
	v_dual_cndmask_b32 v16, 0, v16 :: v_dual_add_nc_u32 v3, s13, v3
	v_add_co_u32 v1, vcc_lo, v1, s13
	s_wait_alu 0xfffd
	v_add_co_ci_u32_e64 v2, null, 0, v2, vcc_lo
	s_wait_alu 0xf1ff
	v_cndmask_b32_e64 v15, 0x7f800000, v16, s2
	v_cmp_le_i32_e32 vcc_lo, s17, v13
	s_wait_alu 0xfffe
	s_or_b32 s3, vcc_lo, s3
	s_wait_loadcnt 0x0
	v_mul_f32_e32 v16, v14, v15
	v_fmac_f32_e32 v11, v14, v15
	ds_store_b32 v17, v16
	s_wait_alu 0xfffe
	s_and_not1_b32 exec_lo, exec_lo, s3
	s_cbranch_execnz .LBB74_11
; %bb.12:
	s_or_b32 exec_lo, exec_lo, s3
.LBB74_13:
	s_wait_alu 0xfffe
	s_or_b32 exec_lo, exec_lo, s20
	ds_bpermute_b32 v1, v6, v11
	s_wait_loadcnt_dscnt 0x0
	s_barrier_signal -1
	s_barrier_wait -1
	global_inv scope:SCOPE_SE
	v_add_f32_e32 v1, v11, v1
	ds_bpermute_b32 v2, v7, v1
	s_wait_dscnt 0x0
	v_add_f32_e32 v1, v1, v2
	ds_bpermute_b32 v2, v8, v1
	s_wait_dscnt 0x0
	;; [unrolled: 3-line block ×4, first 2 shown]
	v_add_f32_e32 v1, v1, v2
	s_wait_kmcnt 0x0
	s_and_saveexec_b32 s2, s0
; %bb.14:
	ds_store_b32 v9, v1 offset:16
; %bb.15:
	s_wait_alu 0xfffe
	s_or_b32 exec_lo, exec_lo, s2
	s_wait_loadcnt_dscnt 0x0
	s_barrier_signal -1
	s_barrier_wait -1
	global_inv scope:SCOPE_SE
	s_and_saveexec_b32 s0, s1
; %bb.16:
	ds_load_b32 v1, v10 offset:16
; %bb.17:
	s_wait_alu 0xfffe
	s_or_b32 exec_lo, exec_lo, s0
	s_wait_dscnt 0x0
	ds_bpermute_b32 v2, v4, v1
	s_mov_b32 s0, exec_lo
	s_wait_dscnt 0x0
	v_add_f32_e32 v1, v1, v2
	ds_bpermute_b32 v2, v5, v1
	s_wait_dscnt 0x0
	v_dual_add_f32 v1, v1, v2 :: v_dual_mov_b32 v2, 0
	ds_bpermute_b32 v2, v2, v1
	v_cmpx_gt_u32_e32 0x78, v0
	s_cbranch_execz .LBB74_24
; %bb.18:
	s_cmp_gt_i32 s18, 0
	s_mov_b32 s1, 0
	s_cbranch_scc1 .LBB74_20
; %bb.19:
	v_dual_mov_b32 v1, 0 :: v_dual_mov_b32 v4, 0
	s_wait_alu 0xfffe
	s_and_not1_b32 vcc_lo, exec_lo, s1
	s_wait_alu 0xfffe
	s_cbranch_vccz .LBB74_21
	s_branch .LBB74_23
.LBB74_20:
	v_mov_b32_e32 v4, 0
.LBB74_21:
	s_wait_dscnt 0x0
	v_add_f32_e32 v4, 0x358637bd, v2
	s_mul_i32 s2, s12, 0x78
	s_mulk_i32 s10, 0x78
	s_wait_alu 0xfffe
	s_ashr_i32 s3, s2, 31
	s_ashr_i32 s11, s10, 31
	v_div_scale_f32 v2, null, v4, v4, 1.0
	s_wait_alu 0xfffe
	s_lshl_b64 s[2:3], s[2:3], 1
	s_lshl_b64 s[10:11], s[10:11], 1
	s_wait_alu 0xfffe
	s_add_nc_u64 s[2:3], s[2:3], s[10:11]
	v_rcp_f32_e32 v3, v2
	s_wait_alu 0xfffe
	s_add_nc_u64 s[2:3], s[4:5], s[2:3]
	s_delay_alu instid0(TRANS32_DEP_1) | instskip(NEXT) | instid1(VALU_DEP_1)
	v_fma_f32 v1, -v2, v3, 1.0
	v_fmac_f32_e32 v3, v1, v3
	v_div_scale_f32 v5, vcc_lo, 1.0, v4, 1.0
	s_delay_alu instid0(VALU_DEP_1) | instskip(NEXT) | instid1(VALU_DEP_1)
	v_mul_f32_e32 v6, v5, v3
	v_fma_f32 v1, -v2, v6, v5
	s_delay_alu instid0(VALU_DEP_1) | instskip(NEXT) | instid1(VALU_DEP_1)
	v_dual_fmac_f32 v6, v1, v3 :: v_dual_mov_b32 v1, 0
	v_fma_f32 v2, -v2, v6, v5
	v_lshlrev_b32_e32 v5, 1, v0
	s_wait_alu 0xfffd
	s_delay_alu instid0(VALU_DEP_2) | instskip(SKIP_1) | instid1(VALU_DEP_2)
	v_div_fmas_f32 v6, v2, v3, v6
	s_wait_alu 0xfffe
	v_add_co_u32 v2, s1, s2, v5
	s_wait_alu 0xf1ff
	v_add_co_ci_u32_e64 v3, null, s3, 0, s1
	v_div_fixup_f32 v5, v6, v4, 1.0
	v_mov_b32_e32 v4, v1
	s_max_i32 s1, s17, 1
	s_add_co_i32 s2, s19, 32
.LBB74_22:                              ; =>This Inner Loop Header: Depth=1
	s_wait_alu 0xfffe
	v_mov_b32_e32 v6, s2
	global_load_u16 v7, v[2:3], off
	s_wait_loadcnt 0x0
	;;#ASMSTART
	v_cvt_f32_f16 v7, v7;
	;;#ASMEND
	v_add_co_u32 v2, vcc_lo, 0xf0, v2
	ds_load_b32 v6, v6
	s_wait_alu 0xfffd
	v_add_co_ci_u32_e64 v3, null, 0, v3, vcc_lo
	s_add_co_i32 s1, s1, -1
	s_add_co_i32 s2, s2, 4
	s_wait_alu 0xfffe
	s_cmp_eq_u32 s1, 0
	s_wait_dscnt 0x0
	v_mul_f32_e32 v6, v7, v6
	s_delay_alu instid0(VALU_DEP_1)
	v_fmac_f32_e32 v4, v5, v6
	s_cbranch_scc0 .LBB74_22
.LBB74_23:
	s_mul_i32 s2, s16, 0x78
	s_mul_i32 s10, ttmp9, 0x78
	s_wait_alu 0xfffe
	s_ashr_i32 s3, s2, 31
	s_ashr_i32 s11, s10, 31
	s_wait_alu 0xfffe
	s_lshl_b64 s[2:3], s[2:3], 1
	s_wait_dscnt 0x0
	v_lshlrev_b64_e32 v[1:2], 1, v[0:1]
	s_lshl_b64 s[10:11], s[10:11], 1
	s_wait_alu 0xfffe
	s_add_nc_u64 s[2:3], s[6:7], s[2:3]
	;;#ASMSTART
	v_cvt_f16_f32 v3, v4;

	;;#ASMEND
	s_wait_alu 0xfffe
	s_add_nc_u64 s[2:3], s[2:3], s[10:11]
	s_wait_alu 0xfffe
	v_add_co_u32 v1, vcc_lo, s2, v1
	s_wait_alu 0xfffd
	v_add_co_ci_u32_e64 v2, null, s3, v2, vcc_lo
	global_store_b16 v[1:2], v3, off
.LBB74_24:
	s_wait_alu 0xfffe
	s_or_b32 exec_lo, exec_lo, s0
	s_mov_b32 s2, 0
.LBB74_25:
	s_wait_alu 0xfffe
	s_and_b32 vcc_lo, exec_lo, s2
	s_wait_alu 0xfffe
	s_cbranch_vccz .LBB74_34
; %bb.26:
	s_mov_b32 s0, exec_lo
	v_cmpx_gt_u32_e32 0x78, v0
	s_cbranch_execz .LBB74_34
; %bb.27:
	s_load_b32 s0, s[8:9], 0xc
	s_mul_i32 s1, s15, ttmp7
	s_mul_i32 s8, ttmp9, 0x78
	s_wait_alu 0xfffe
	s_mul_i32 s12, s1, 0x78
	s_mul_i32 s2, s8, s14
	s_wait_alu 0xfffe
	s_mul_i32 s10, s12, s14
	v_cmp_gt_u32_e32 vcc_lo, 0x75, v0
	s_ashr_i32 s9, s8, 31
	s_ashr_i32 s13, s12, 31
	;; [unrolled: 1-line block ×3, first 2 shown]
	s_wait_alu 0xfffe
	s_ashr_i32 s11, s10, 31
	s_wait_kmcnt 0x0
	s_and_b32 s1, s0, 0xffff
	s_wait_alu 0xfffe
	s_cmp_eq_u32 s1, 1
	s_cselect_b32 s0, -1, 0
	s_wait_alu 0xfffe
	s_and_b32 s15, vcc_lo, s0
	s_mov_b32 s0, -1
	s_and_saveexec_b32 s14, s15
	s_cbranch_execz .LBB74_31
; %bb.28:
	s_lshl_b64 s[16:17], s[10:11], 1
	s_lshl_b64 s[18:19], s[2:3], 1
	v_lshlrev_b32_e32 v1, 1, v0
	s_wait_alu 0xfffe
	s_add_nc_u64 s[16:17], s[16:17], s[18:19]
	s_lshl_b64 s[18:19], s[12:13], 1
	s_lshl_b64 s[20:21], s[8:9], 1
	s_wait_alu 0xfffe
	s_add_nc_u64 s[16:17], s[4:5], s[16:17]
	s_add_nc_u64 s[18:19], s[18:19], s[20:21]
	s_wait_dscnt 0x0
	s_wait_alu 0xfffe
	v_add_co_u32 v2, s0, s16, v1
	v_sub_nc_u32_e32 v5, 0x78, v0
	s_wait_alu 0xf1ff
	v_add_co_ci_u32_e64 v3, null, s17, 0, s0
	s_add_nc_u64 s[16:17], s[6:7], s[18:19]
	s_mov_b32 s15, 0
	s_wait_alu 0xfffe
	v_add_co_u32 v4, s0, s16, v1
	v_and_b32_e32 v6, 0x7c, v5
	s_wait_alu 0xf1ff
	v_add_co_ci_u32_e64 v7, null, s17, 0, s0
	v_add_co_u32 v1, vcc_lo, v2, 4
	s_wait_alu 0xfffd
	v_add_co_ci_u32_e64 v2, null, 0, v3, vcc_lo
	v_add_co_u32 v3, vcc_lo, v4, 4
	s_wait_alu 0xfffd
	v_add_co_ci_u32_e64 v4, null, 0, v7, vcc_lo
	v_mov_b32_e32 v7, v6
.LBB74_29:                              ; =>This Inner Loop Header: Depth=1
	global_load_b64 v[8:9], v[1:2], off offset:-4
	v_add_nc_u32_e32 v7, -4, v7
	v_add_co_u32 v1, vcc_lo, v1, 8
	s_wait_alu 0xfffd
	v_add_co_ci_u32_e64 v2, null, 0, v2, vcc_lo
	s_delay_alu instid0(VALU_DEP_3)
	v_cmp_eq_u32_e32 vcc_lo, 0, v7
	s_or_b32 s15, vcc_lo, s15
	s_wait_loadcnt 0x0
	global_store_b64 v[3:4], v[8:9], off offset:-4
	v_add_co_u32 v3, s0, v3, 8
	s_wait_alu 0xf1ff
	v_add_co_ci_u32_e64 v4, null, 0, v4, s0
	s_and_not1_b32 exec_lo, exec_lo, s15
	s_cbranch_execnz .LBB74_29
; %bb.30:
	s_or_b32 exec_lo, exec_lo, s15
	v_cmp_ne_u32_e32 vcc_lo, v5, v6
	v_add_nc_u32_e32 v0, v0, v6
	s_or_not1_b32 s0, vcc_lo, exec_lo
.LBB74_31:
	s_or_b32 exec_lo, exec_lo, s14
	s_wait_alu 0xfffe
	s_and_b32 exec_lo, exec_lo, s0
	s_cbranch_execz .LBB74_34
; %bb.32:
	s_lshl_b64 s[12:13], s[12:13], 1
	s_lshl_b64 s[10:11], s[10:11], 1
	s_wait_dscnt 0x0
	v_dual_mov_b32 v2, 0 :: v_dual_lshlrev_b32 v1, 1, v0
	s_lshl_b64 s[8:9], s[8:9], 1
	s_wait_alu 0xfffe
	s_add_nc_u64 s[6:7], s[6:7], s[12:13]
	s_add_nc_u64 s[4:5], s[4:5], s[10:11]
	s_lshl_b64 s[2:3], s[2:3], 1
	s_add_nc_u64 s[6:7], s[6:7], s[8:9]
	s_wait_alu 0xfffe
	s_add_nc_u64 s[2:3], s[4:5], s[2:3]
	s_mov_b32 s4, 0
	s_lshl_b32 s5, s1, 1
.LBB74_33:                              ; =>This Inner Loop Header: Depth=1
	s_wait_alu 0xfffe
	v_add_co_u32 v3, vcc_lo, s2, v1
	s_wait_alu 0xfffd
	v_add_co_ci_u32_e64 v4, null, s3, v2, vcc_lo
	v_add_nc_u32_e32 v0, s1, v0
	global_load_u16 v5, v[3:4], off
	v_add_co_u32 v3, vcc_lo, s6, v1
	s_wait_alu 0xfffd
	v_add_co_ci_u32_e64 v4, null, s7, v2, vcc_lo
	v_cmp_lt_u32_e32 vcc_lo, 0x77, v0
	v_add_co_u32 v1, s0, v1, s5
	s_wait_alu 0xf1ff
	v_add_co_ci_u32_e64 v2, null, 0, v2, s0
	s_or_b32 s4, vcc_lo, s4
	s_wait_loadcnt 0x0
	global_store_b16 v[3:4], v5, off
	s_wait_alu 0xfffe
	s_and_not1_b32 exec_lo, exec_lo, s4
	s_cbranch_execnz .LBB74_33
.LBB74_34:
	s_endpgm
	.section	.rodata,"a",@progbits
	.p2align	6, 0x0
	.amdhsa_kernel _ZN4vllm32paged_attention_v2_reduce_kernelItLi120ELi128ELi512EEEvPT_PKfS4_PKS1_PKii
		.amdhsa_group_segment_fixed_size 32
		.amdhsa_private_segment_fixed_size 0
		.amdhsa_kernarg_size 304
		.amdhsa_user_sgpr_count 2
		.amdhsa_user_sgpr_dispatch_ptr 0
		.amdhsa_user_sgpr_queue_ptr 0
		.amdhsa_user_sgpr_kernarg_segment_ptr 1
		.amdhsa_user_sgpr_dispatch_id 0
		.amdhsa_user_sgpr_private_segment_size 0
		.amdhsa_wavefront_size32 1
		.amdhsa_uses_dynamic_stack 0
		.amdhsa_enable_private_segment 0
		.amdhsa_system_sgpr_workgroup_id_x 1
		.amdhsa_system_sgpr_workgroup_id_y 1
		.amdhsa_system_sgpr_workgroup_id_z 0
		.amdhsa_system_sgpr_workgroup_info 0
		.amdhsa_system_vgpr_workitem_id 0
		.amdhsa_next_free_vgpr 19
		.amdhsa_next_free_sgpr 26
		.amdhsa_reserve_vcc 1
		.amdhsa_float_round_mode_32 0
		.amdhsa_float_round_mode_16_64 0
		.amdhsa_float_denorm_mode_32 3
		.amdhsa_float_denorm_mode_16_64 3
		.amdhsa_fp16_overflow 0
		.amdhsa_workgroup_processor_mode 1
		.amdhsa_memory_ordered 1
		.amdhsa_forward_progress 1
		.amdhsa_inst_pref_size 20
		.amdhsa_round_robin_scheduling 0
		.amdhsa_exception_fp_ieee_invalid_op 0
		.amdhsa_exception_fp_denorm_src 0
		.amdhsa_exception_fp_ieee_div_zero 0
		.amdhsa_exception_fp_ieee_overflow 0
		.amdhsa_exception_fp_ieee_underflow 0
		.amdhsa_exception_fp_ieee_inexact 0
		.amdhsa_exception_int_div_zero 0
	.end_amdhsa_kernel
	.section	.text._ZN4vllm32paged_attention_v2_reduce_kernelItLi120ELi128ELi512EEEvPT_PKfS4_PKS1_PKii,"axG",@progbits,_ZN4vllm32paged_attention_v2_reduce_kernelItLi120ELi128ELi512EEEvPT_PKfS4_PKS1_PKii,comdat
.Lfunc_end74:
	.size	_ZN4vllm32paged_attention_v2_reduce_kernelItLi120ELi128ELi512EEEvPT_PKfS4_PKS1_PKii, .Lfunc_end74-_ZN4vllm32paged_attention_v2_reduce_kernelItLi120ELi128ELi512EEEvPT_PKfS4_PKS1_PKii
                                        ; -- End function
	.set _ZN4vllm32paged_attention_v2_reduce_kernelItLi120ELi128ELi512EEEvPT_PKfS4_PKS1_PKii.num_vgpr, 19
	.set _ZN4vllm32paged_attention_v2_reduce_kernelItLi120ELi128ELi512EEEvPT_PKfS4_PKS1_PKii.num_agpr, 0
	.set _ZN4vllm32paged_attention_v2_reduce_kernelItLi120ELi128ELi512EEEvPT_PKfS4_PKS1_PKii.numbered_sgpr, 26
	.set _ZN4vllm32paged_attention_v2_reduce_kernelItLi120ELi128ELi512EEEvPT_PKfS4_PKS1_PKii.num_named_barrier, 0
	.set _ZN4vllm32paged_attention_v2_reduce_kernelItLi120ELi128ELi512EEEvPT_PKfS4_PKS1_PKii.private_seg_size, 0
	.set _ZN4vllm32paged_attention_v2_reduce_kernelItLi120ELi128ELi512EEEvPT_PKfS4_PKS1_PKii.uses_vcc, 1
	.set _ZN4vllm32paged_attention_v2_reduce_kernelItLi120ELi128ELi512EEEvPT_PKfS4_PKS1_PKii.uses_flat_scratch, 0
	.set _ZN4vllm32paged_attention_v2_reduce_kernelItLi120ELi128ELi512EEEvPT_PKfS4_PKS1_PKii.has_dyn_sized_stack, 0
	.set _ZN4vllm32paged_attention_v2_reduce_kernelItLi120ELi128ELi512EEEvPT_PKfS4_PKS1_PKii.has_recursion, 0
	.set _ZN4vllm32paged_attention_v2_reduce_kernelItLi120ELi128ELi512EEEvPT_PKfS4_PKS1_PKii.has_indirect_call, 0
	.section	.AMDGPU.csdata,"",@progbits
; Kernel info:
; codeLenInByte = 2476
; TotalNumSgprs: 28
; NumVgprs: 19
; ScratchSize: 0
; MemoryBound: 0
; FloatMode: 240
; IeeeMode: 1
; LDSByteSize: 32 bytes/workgroup (compile time only)
; SGPRBlocks: 0
; VGPRBlocks: 2
; NumSGPRsForWavesPerEU: 28
; NumVGPRsForWavesPerEU: 19
; Occupancy: 16
; WaveLimiterHint : 0
; COMPUTE_PGM_RSRC2:SCRATCH_EN: 0
; COMPUTE_PGM_RSRC2:USER_SGPR: 2
; COMPUTE_PGM_RSRC2:TRAP_HANDLER: 0
; COMPUTE_PGM_RSRC2:TGID_X_EN: 1
; COMPUTE_PGM_RSRC2:TGID_Y_EN: 1
; COMPUTE_PGM_RSRC2:TGID_Z_EN: 0
; COMPUTE_PGM_RSRC2:TIDIG_COMP_CNT: 0
	.section	.text._ZN4vllm25paged_attention_v2_kernelIttLi128ELi8ELi128ELNS_18Fp8KVCacheDataTypeE0ELb1ELi512EEEvPfS2_PT_PKS3_PKT0_S9_ifPKiSB_iPKfiiiSD_SD_iiiii,"axG",@progbits,_ZN4vllm25paged_attention_v2_kernelIttLi128ELi8ELi128ELNS_18Fp8KVCacheDataTypeE0ELb1ELi512EEEvPfS2_PT_PKS3_PKT0_S9_ifPKiSB_iPKfiiiSD_SD_iiiii,comdat
	.protected	_ZN4vllm25paged_attention_v2_kernelIttLi128ELi8ELi128ELNS_18Fp8KVCacheDataTypeE0ELb1ELi512EEEvPfS2_PT_PKS3_PKT0_S9_ifPKiSB_iPKfiiiSD_SD_iiiii ; -- Begin function _ZN4vllm25paged_attention_v2_kernelIttLi128ELi8ELi128ELNS_18Fp8KVCacheDataTypeE0ELb1ELi512EEEvPfS2_PT_PKS3_PKT0_S9_ifPKiSB_iPKfiiiSD_SD_iiiii
	.globl	_ZN4vllm25paged_attention_v2_kernelIttLi128ELi8ELi128ELNS_18Fp8KVCacheDataTypeE0ELb1ELi512EEEvPfS2_PT_PKS3_PKT0_S9_ifPKiSB_iPKfiiiSD_SD_iiiii
	.p2align	8
	.type	_ZN4vllm25paged_attention_v2_kernelIttLi128ELi8ELi128ELNS_18Fp8KVCacheDataTypeE0ELb1ELi512EEEvPfS2_PT_PKS3_PKT0_S9_ifPKiSB_iPKfiiiSD_SD_iiiii,@function
_ZN4vllm25paged_attention_v2_kernelIttLi128ELi8ELi128ELNS_18Fp8KVCacheDataTypeE0ELb1ELi512EEEvPfS2_PT_PKS3_PKT0_S9_ifPKiSB_iPKfiiiSD_SD_iiiii: ; @_ZN4vllm25paged_attention_v2_kernelIttLi128ELi8ELi128ELNS_18Fp8KVCacheDataTypeE0ELb1ELi512EEEvPfS2_PT_PKS3_PKT0_S9_ifPKiSB_iPKfiiiSD_SD_iiiii
; %bb.0:
	s_load_b64 s[2:3], s[0:1], 0x40
	s_and_b32 s33, ttmp7, 0xffff
	s_lshr_b32 s30, ttmp7, 16
	s_lshl_b32 s4, s33, 2
	s_lshl_b32 s35, s30, 9
	s_wait_kmcnt 0x0
	s_load_b32 s31, s[2:3], s4 offset:0x0
	s_wait_kmcnt 0x0
	s_cmp_ge_i32 s35, s31
	s_cbranch_scc1 .LBB75_62
; %bb.1:
	s_clause 0x1
	s_load_b32 s34, s[0:1], 0x90
	s_load_b64 s[6:7], s[0:1], 0x30
	s_wait_kmcnt 0x0
	s_abs_i32 s5, s34
	s_abs_i32 s2, s6
	s_delay_alu instid0(SALU_CYCLE_1) | instskip(SKIP_1) | instid1(SALU_CYCLE_2)
	s_cvt_f32_u32 s3, s2
	s_sub_co_i32 s4, 0, s2
	v_rcp_iflag_f32_e32 v1, s3
	s_delay_alu instid0(TRANS32_DEP_1) | instskip(SKIP_2) | instid1(SALU_CYCLE_2)
	v_readfirstlane_b32 s3, v1
	s_mul_f32 s3, s3, 0x4f7ffffe
	s_wait_alu 0xfffe
	s_cvt_u32_f32 s3, s3
	s_wait_alu 0xfffe
	s_delay_alu instid0(SALU_CYCLE_2) | instskip(NEXT) | instid1(SALU_CYCLE_1)
	s_mul_i32 s4, s4, s3
	s_mul_hi_u32 s4, s3, s4
	s_delay_alu instid0(SALU_CYCLE_1)
	s_add_co_i32 s3, s3, s4
	s_xor_b32 s4, s34, s6
	s_wait_alu 0xfffe
	s_mul_hi_u32 s3, s5, s3
	s_ashr_i32 s4, s4, 31
	s_wait_alu 0xfffe
	s_mul_i32 s8, s3, s2
	s_delay_alu instid0(SALU_CYCLE_1)
	s_sub_co_i32 s5, s5, s8
	s_add_co_i32 s8, s3, 1
	s_sub_co_i32 s9, s5, s2
	s_cmp_ge_u32 s5, s2
	s_cselect_b32 s3, s8, s3
	s_cselect_b32 s5, s9, s5
	s_wait_alu 0xfffe
	s_add_co_i32 s8, s3, 1
	s_cmp_ge_u32 s5, s2
	s_mov_b32 s5, 0
	s_cselect_b32 s2, s8, s3
	s_load_b64 s[8:9], s[0:1], 0x50
	s_xor_b32 s2, s2, s4
	s_mov_b32 s14, s5
	s_wait_alu 0xfffe
	s_sub_co_i32 s10, s2, s4
	s_abs_i32 s4, ttmp9
	s_abs_i32 s12, s10
	s_delay_alu instid0(SALU_CYCLE_1) | instskip(SKIP_2) | instid1(SALU_CYCLE_1)
	s_cvt_f32_u32 s2, s12
	s_sub_co_i32 s3, 0, s12
	s_wait_alu 0xfffe
	v_rcp_iflag_f32_e32 v1, s2
	s_delay_alu instid0(TRANS32_DEP_1) | instskip(SKIP_2) | instid1(SALU_CYCLE_2)
	v_readfirstlane_b32 s2, v1
	s_mul_f32 s2, s2, 0x4f7ffffe
	s_wait_alu 0xfffe
	s_cvt_u32_f32 s2, s2
	s_wait_alu 0xfffe
	s_delay_alu instid0(SALU_CYCLE_2)
	s_mul_i32 s3, s3, s2
	s_wait_alu 0xfffe
	s_mul_hi_u32 s3, s2, s3
	s_wait_alu 0xfffe
	s_add_co_i32 s2, s2, s3
	s_mov_b32 s3, s5
	s_wait_kmcnt 0x0
	s_cmp_eq_u64 s[8:9], 0
	s_cbranch_scc1 .LBB75_3
; %bb.2:
	s_mov_b32 s14, ttmp9
	s_ashr_i32 s15, ttmp9, 31
	s_delay_alu instid0(SALU_CYCLE_1) | instskip(NEXT) | instid1(SALU_CYCLE_1)
	s_lshl_b64 s[14:15], s[14:15], 2
	s_add_nc_u64 s[8:9], s[8:9], s[14:15]
	s_load_b32 s14, s[8:9], 0x0
.LBB75_3:
	s_load_b96 s[16:18], s[0:1], 0x58
	s_mul_u64 s[2:3], s[4:5], s[2:3]
	v_and_b32_e32 v1, 3, v0
	v_cmp_gt_u32_e64 s2, 64, v0
	v_lshlrev_b32_e32 v2, 2, v0
	s_ashr_i32 s5, ttmp9, 31
	s_ashr_i32 s13, s10, 31
	s_lshl_b32 s20, ttmp9, 7
	s_wait_alu 0xfffe
	s_and_saveexec_b32 s8, s2
	s_cbranch_execz .LBB75_5
; %bb.4:
	s_load_b64 s[10:11], s[0:1], 0x18
	s_wait_kmcnt 0x0
	s_mul_i32 s22, s16, s33
	s_ashr_i32 s21, s20, 31
	s_ashr_i32 s23, s22, 31
	v_and_b32_e32 v4, 0x3fc, v0
	s_lshl_b64 s[22:23], s[22:23], 1
	s_delay_alu instid0(VALU_DEP_1) | instskip(SKIP_2) | instid1(SALU_CYCLE_1)
	v_lshl_add_u32 v4, v1, 6, v4
	s_add_nc_u64 s[10:11], s[10:11], s[22:23]
	s_lshl_b64 s[22:23], s[20:21], 1
	s_add_nc_u64 s[10:11], s[10:11], s[22:23]
	global_load_b32 v3, v2, s[10:11]
	s_wait_loadcnt 0x0
	ds_store_b32 v4, v3
.LBB75_5:
	s_or_b32 exec_lo, exec_lo, s8
	s_load_b128 s[8:11], s[0:1], 0x78
	s_mul_i32 s15, s3, s12
	s_xor_b32 s5, s5, s13
	s_sub_co_i32 s4, s4, s15
	s_add_co_i32 s13, s3, 1
	s_sub_co_i32 s15, s4, s12
	s_cmp_ge_u32 s4, s12
	s_mov_b32 s24, -1
	s_cselect_b32 s3, s13, s3
	s_cselect_b32 s4, s15, s4
	s_wait_alu 0xfffe
	s_add_co_i32 s13, s3, 1
	s_cmp_ge_u32 s4, s12
                                        ; implicit-def: $sgpr21
	s_cselect_b32 s4, s13, s3
	s_load_b32 s3, s[0:1], 0x88
	s_xor_b32 s4, s4, s5
	s_add_co_i32 s19, s31, -1
	s_sub_co_i32 s15, s4, s5
	s_wait_dscnt 0x0
	s_barrier_signal -1
	s_wait_kmcnt 0x0
	s_abs_i32 s16, s11
	s_barrier_wait -1
	s_cvt_f32_u32 s12, s16
	global_inv scope:SCOPE_SE
	v_rcp_iflag_f32_e32 v3, s12
	s_delay_alu instid0(TRANS32_DEP_1) | instskip(SKIP_1) | instid1(SALU_CYCLE_3)
	v_readfirstlane_b32 s12, v3
	s_mul_f32 s4, s12, 0x4f7ffffe
	s_cvt_u32_f32 s12, s4
	s_sub_co_i32 s4, 0, s16
	s_wait_alu 0xfffe
	s_delay_alu instid0(SALU_CYCLE_1)
	s_mul_i32 s5, s4, s12
	s_abs_i32 s4, s19
	s_mul_hi_u32 s13, s12, s5
	s_mov_b32 s5, 0
	s_wait_alu 0xfffe
	s_add_co_i32 s22, s12, s13
	s_cmp_lt_i32 s3, 0
	s_mov_b32 s23, s5
	s_cbranch_scc0 .LBB75_7
; %bb.6:
	s_mul_i32 s6, s8, s6
	s_mov_b32 s24, s5
	s_add_co_i32 s6, s15, s6
	s_delay_alu instid0(SALU_CYCLE_1) | instskip(NEXT) | instid1(SALU_CYCLE_1)
	s_mul_i32 s6, s6, s3
	s_sub_co_i32 s21, 1, s6
.LBB75_7:
	s_mul_u64 s[12:13], s[4:5], s[22:23]
	s_ashr_i32 s5, s19, 31
	s_and_not1_b32 vcc_lo, exec_lo, s24
	s_ashr_i32 s11, s11, 31
	s_cbranch_vccnz .LBB75_9
; %bb.8:
	s_mul_i32 s6, s34, s8
	s_delay_alu instid0(SALU_CYCLE_1) | instskip(NEXT) | instid1(SALU_CYCLE_1)
	s_add_co_i32 s6, s6, ttmp9
	s_mul_i32 s3, s6, s3
	s_wait_alu 0xfffe
	s_add_co_i32 s21, s3, 1
.LBB75_9:
	s_clause 0x2
	s_load_b32 s3, s[0:1], 0x48
	s_load_b64 s[24:25], s[0:1], 0x38
	s_load_b32 s8, s[0:1], 0x98
	s_mul_i32 s6, s13, s16
	s_xor_b32 s5, s5, s11
	s_sub_co_i32 s4, s4, s6
	s_add_co_i32 s12, s13, 1
	v_lshrrev_b32_e32 v9, 5, v0
	v_mbcnt_lo_u32_b32 v4, -1, 0
	s_mul_i32 s18, s15, s18
	s_delay_alu instid0(VALU_DEP_2)
	v_lshl_add_u32 v10, v9, 3, s35
	s_wait_kmcnt 0x0
	s_mul_i32 s26, s3, s33
	s_sub_co_i32 s3, s4, s16
	s_ashr_i32 s27, s26, 31
	s_cmp_ge_u32 s4, s16
	s_wait_alu 0xfffe
	s_cselect_b32 s6, s12, s13
	s_cselect_b32 s3, s3, s4
	s_add_co_i32 s4, s6, 1
	s_wait_alu 0xfffe
	s_cmp_ge_u32 s3, s16
	s_cselect_b32 s3, s4, s6
	s_add_co_i32 s4, s31, 7
	s_lshl_b32 s38, s30, 6
	s_ashr_i32 s6, s4, 31
	v_or_b32_e32 v11, s38, v9
	s_lshr_b32 s6, s6, 29
	v_mov_b32_e32 v6, 0xff7fffff
	s_add_co_i32 s4, s4, s6
	s_add_co_i32 s6, s38, 64
	s_ashr_i32 s36, s4, 3
	s_wait_alu 0xfffe
	s_xor_b32 s4, s3, s5
	s_min_i32 s23, s6, s36
	v_lshlrev_b32_e32 v3, 2, v11
	v_cmp_gt_i32_e64 s3, s23, v11
	s_sub_co_i32 s37, s4, s5
	s_and_saveexec_b32 s12, s3
	s_cbranch_execz .LBB75_21
; %bb.10:
	s_ashr_i32 s19, s18, 31
	s_sub_co_i32 s13, s37, s9
	s_lshl_b64 s[28:29], s[18:19], 1
	s_cmp_neq_f32 s14, 0
	s_load_b64 s[40:41], s[0:1], 0x20
	v_bfe_u32 v5, v0, 2, 3
	v_dual_mov_b32 v16, 0xff7fffff :: v_dual_lshlrev_b32 v7, 6, v1
	s_cselect_b32 vcc_lo, -1, 0
	s_abs_i32 s15, s10
	s_delay_alu instid0(VALU_DEP_2) | instskip(SKIP_3) | instid1(SALU_CYCLE_1)
	v_lshlrev_b32_e32 v8, 2, v5
	s_cvt_f32_u32 s4, s15
	v_dual_mov_b32 v19, v11 :: v_dual_and_b32 v2, 12, v2
	s_lshl_b64 s[42:43], s[26:27], 2
	v_rcp_iflag_f32_e32 v6, s4
	v_cmp_eq_u32_e64 s4, 0, v1
	v_lshlrev_b32_e32 v1, 4, v5
	v_subrev_nc_u32_e32 v14, s31, v5
	s_add_nc_u64 s[42:43], s[24:25], s[42:43]
	s_sub_co_i32 s6, 0, s15
	v_lshl_add_u32 v13, v9, 3, s35
	v_xor_b32_e32 v17, 2, v4
	v_add_nc_u32_e32 v14, 1, v14
	s_wait_kmcnt 0x0
	s_add_nc_u64 s[28:29], s[40:41], s[28:29]
	v_readfirstlane_b32 s5, v6
	v_lshl_or_b32 v6, v9, 5, v8
	v_xor_b32_e32 v18, 1, v4
	s_mov_b32 s19, 0
	s_mul_f32 s5, s5, 0x4f7ffffe
	s_delay_alu instid0(VALU_DEP_2)
	v_add_nc_u32_e32 v15, 0x120, v6
	v_mov_b32_e32 v6, 0xff7fffff
	v_add_co_u32 v1, s28, s28, v1
	s_wait_alu 0xf1ff
	v_add_co_ci_u32_e64 v12, null, s29, 0, s28
	s_wait_alu 0xfffe
	s_cvt_u32_f32 s29, s5
	v_add_co_u32 v8, s5, v1, v2
	s_wait_alu 0xf1ff
	v_add_co_ci_u32_e64 v12, null, 0, v12, s5
	v_add_co_u32 v1, s5, s42, v3
	s_wait_alu 0xfffe
	s_mul_i32 s6, s6, s29
	v_add_co_ci_u32_e64 v2, null, s43, 0, s5
	s_mul_hi_u32 s5, s29, s6
	s_mov_b32 s28, s17
	s_wait_alu 0xfffe
	s_add_co_i32 s29, s29, s5
	s_branch .LBB75_13
.LBB75_11:                              ;   in Loop: Header=BB75_13 Depth=1
	s_wait_alu 0xfffe
	s_or_b32 exec_lo, exec_lo, s39
.LBB75_12:                              ;   in Loop: Header=BB75_13 Depth=1
	s_wait_alu 0xfffe
	s_or_b32 exec_lo, exec_lo, s6
	v_add_nc_u32_e32 v19, 4, v19
	v_add_co_u32 v1, s6, v1, 16
	s_wait_alu 0xf1ff
	v_add_co_ci_u32_e64 v2, null, 0, v2, s6
	s_delay_alu instid0(VALU_DEP_3) | instskip(SKIP_3) | instid1(SALU_CYCLE_1)
	v_cmp_le_i32_e64 s5, s23, v19
	v_add_nc_u32_e32 v13, 32, v13
	v_add_nc_u32_e32 v15, 0x80, v15
	s_or_b32 s19, s5, s19
	s_and_not1_b32 exec_lo, exec_lo, s19
	s_cbranch_execz .LBB75_20
.LBB75_13:                              ; =>This Inner Loop Header: Depth=1
	v_sub_nc_u32_e32 v20, 0, v13
	s_delay_alu instid0(VALU_DEP_1) | instskip(SKIP_1) | instid1(VALU_DEP_1)
	v_max_i32_e32 v20, v13, v20
	s_wait_dscnt 0x0
	v_mul_hi_u32 v21, v20, s22
	s_delay_alu instid0(VALU_DEP_1) | instskip(NEXT) | instid1(VALU_DEP_1)
	v_mul_lo_u32 v22, v21, s16
	v_sub_nc_u32_e32 v20, v20, v22
	v_add_nc_u32_e32 v22, 1, v21
	s_delay_alu instid0(VALU_DEP_2) | instskip(SKIP_2) | instid1(VALU_DEP_1)
	v_subrev_nc_u32_e32 v23, s16, v20
	v_cmp_le_u32_e64 s5, s16, v20
	s_wait_alu 0xf1ff
	v_cndmask_b32_e64 v21, v21, v22, s5
	s_delay_alu instid0(VALU_DEP_3) | instskip(SKIP_1) | instid1(VALU_DEP_3)
	v_cndmask_b32_e64 v20, v20, v23, s5
	v_ashrrev_i32_e32 v22, 31, v13
	v_add_nc_u32_e32 v23, 1, v21
	s_delay_alu instid0(VALU_DEP_3) | instskip(NEXT) | instid1(VALU_DEP_3)
	v_cmp_le_u32_e64 s5, s16, v20
	v_xor_b32_e32 v22, s11, v22
	s_wait_alu 0xf1ff
	s_delay_alu instid0(VALU_DEP_2) | instskip(NEXT) | instid1(VALU_DEP_1)
	v_cndmask_b32_e64 v20, v21, v23, s5
	v_xor_b32_e32 v20, v20, v22
	s_delay_alu instid0(VALU_DEP_1) | instskip(NEXT) | instid1(VALU_DEP_1)
	v_sub_nc_u32_e32 v20, v20, v22
	v_add_nc_u32_e32 v21, s21, v20
	v_cmp_ge_i32_e64 s6, s13, v20
	s_delay_alu instid0(VALU_DEP_2) | instskip(NEXT) | instid1(VALU_DEP_1)
	v_sub_nc_u32_e32 v22, 0, v21
	v_max_i32_e32 v22, v21, v22
	v_ashrrev_i32_e32 v21, 31, v21
	s_wait_alu 0xfffe
	s_delay_alu instid0(VALU_DEP_2) | instskip(NEXT) | instid1(VALU_DEP_1)
	v_mul_hi_u32 v23, v22, s29
	v_mul_lo_u32 v23, v23, s15
	s_delay_alu instid0(VALU_DEP_1) | instskip(NEXT) | instid1(VALU_DEP_1)
	v_sub_nc_u32_e32 v22, v22, v23
	v_subrev_nc_u32_e32 v23, s15, v22
	v_cmp_le_u32_e64 s5, s15, v22
	s_wait_alu 0xf1ff
	s_delay_alu instid0(VALU_DEP_1) | instskip(NEXT) | instid1(VALU_DEP_1)
	v_cndmask_b32_e64 v22, v22, v23, s5
	v_subrev_nc_u32_e32 v23, s15, v22
	v_cmp_le_u32_e64 s5, s15, v22
	s_wait_alu 0xf1ff
	s_delay_alu instid0(VALU_DEP_1) | instskip(NEXT) | instid1(VALU_DEP_1)
	v_cndmask_b32_e64 v22, v22, v23, s5
	v_xor_b32_e32 v22, v22, v21
	s_delay_alu instid0(VALU_DEP_1) | instskip(NEXT) | instid1(VALU_DEP_1)
	v_sub_nc_u32_e32 v21, v22, v21
	v_cmp_ne_u32_e64 s5, 0, v21
	s_and_b32 s5, s5, s6
	s_wait_alu 0xfffe
	s_and_saveexec_b32 s6, s5
	s_wait_alu 0xfffe
	s_xor_b32 s5, exec_lo, s6
	s_cbranch_execz .LBB75_17
; %bb.14:                               ;   in Loop: Header=BB75_13 Depth=1
	s_and_saveexec_b32 s6, s4
; %bb.15:                               ;   in Loop: Header=BB75_13 Depth=1
	ds_store_b32 v15, v16
; %bb.16:                               ;   in Loop: Header=BB75_13 Depth=1
	s_wait_alu 0xfffe
	s_or_b32 exec_lo, exec_lo, s6
.LBB75_17:                              ;   in Loop: Header=BB75_13 Depth=1
	s_wait_alu 0xfffe
	s_and_not1_saveexec_b32 s6, s5
	s_cbranch_execz .LBB75_12
; %bb.18:                               ;   in Loop: Header=BB75_13 Depth=1
	global_load_b32 v20, v[1:2], off
	s_wait_loadcnt 0x0
	v_mad_co_i64_i32 v[20:21], null, v20, s28, 0
	s_delay_alu instid0(VALU_DEP_1) | instskip(NEXT) | instid1(VALU_DEP_1)
	v_lshlrev_b64_e32 v[20:21], 1, v[20:21]
	v_add_co_u32 v20, s5, v8, v20
	s_wait_alu 0xf1ff
	s_delay_alu instid0(VALU_DEP_2)
	v_add_co_ci_u32_e64 v21, null, v12, v21, s5
	v_cmp_gt_i32_e64 s5, 32, v17
	s_clause 0xa
	global_load_b32 v22, v[20:21], off
	global_load_b32 v23, v[20:21], off offset:128
	global_load_b32 v24, v[20:21], off offset:256
	;; [unrolled: 1-line block ×10, first 2 shown]
	ds_load_b32 v33, v7
	s_wait_dscnt 0x0
	v_lshrrev_b32_e32 v36, 16, v33
	v_and_b32_e32 v37, 0xffff, v33
	s_wait_loadcnt 0xa
	v_lshrrev_b32_e32 v38, 16, v22
	v_and_b32_e32 v39, 0xffff, v22
	s_clause 0x4
	global_load_b32 v22, v[20:21], off offset:1408
	global_load_b32 v33, v[20:21], off offset:1536
	;; [unrolled: 1-line block ×5, first 2 shown]
	;;#ASMSTART
	v_cvt_f32_f16 v21, v37;
	;;#ASMEND
	;;#ASMSTART
	v_cvt_f32_f16 v36, v36;
	;;#ASMEND
	;; [unrolled: 3-line block ×4, first 2 shown]
	ds_load_b32 v39, v7 offset:4
	s_wait_loadcnt 0xe
	v_and_b32_e32 v41, 0xffff, v23
	v_lshrrev_b32_e32 v42, 16, v23
	s_wait_loadcnt 0xd
	v_lshrrev_b32_e32 v45, 16, v24
	s_wait_loadcnt 0xc
	v_and_b32_e32 v47, 0xffff, v25
	v_lshrrev_b32_e32 v48, 16, v25
	s_wait_loadcnt 0xb
	v_lshrrev_b32_e32 v51, 16, v26
	;; [unrolled: 5-line block ×5, first 2 shown]
	s_wait_dscnt 0x0
	v_and_b32_e32 v40, 0xffff, v39
	v_lshrrev_b32_e32 v39, 16, v39
	;;#ASMSTART
	v_cvt_f32_f16 v23, v40;
	;;#ASMEND
	;;#ASMSTART
	v_cvt_f32_f16 v39, v39;
	;;#ASMEND
	;; [unrolled: 3-line block ×4, first 2 shown]
	ds_load_b32 v42, v7 offset:8
	v_dual_mul_f32 v23, v23, v40 :: v_dual_and_b32 v50, 0xffff, v26
	v_dual_mul_f32 v39, v39, v41 :: v_dual_and_b32 v44, 0xffff, v24
	s_delay_alu instid0(VALU_DEP_2) | instskip(NEXT) | instid1(VALU_DEP_2)
	v_fmac_f32_e32 v23, v21, v37
	v_fmac_f32_e32 v39, v36, v38
	s_wait_dscnt 0x0
	v_and_b32_e32 v43, 0xffff, v42
	v_lshrrev_b32_e32 v42, 16, v42
	;;#ASMSTART
	v_cvt_f32_f16 v24, v43;
	;;#ASMEND
	;;#ASMSTART
	v_cvt_f32_f16 v42, v42;
	;;#ASMEND
	;; [unrolled: 3-line block ×4, first 2 shown]
	ds_load_b32 v45, v7 offset:12
	v_dual_fmac_f32 v23, v24, v43 :: v_dual_and_b32 v56, 0xffff, v28
	s_wait_dscnt 0x0
	v_dual_fmac_f32 v39, v42, v44 :: v_dual_and_b32 v46, 0xffff, v45
	v_lshrrev_b32_e32 v45, 16, v45
	;;#ASMSTART
	v_cvt_f32_f16 v25, v46;
	;;#ASMEND
	;;#ASMSTART
	v_cvt_f32_f16 v45, v45;
	;;#ASMEND
	;; [unrolled: 3-line block ×4, first 2 shown]
	ds_load_b32 v48, v7 offset:16
	v_dual_fmac_f32 v39, v45, v47 :: v_dual_and_b32 v62, 0xffff, v30
	v_fmac_f32_e32 v23, v25, v46
	s_wait_dscnt 0x0
	v_and_b32_e32 v49, 0xffff, v48
	v_lshrrev_b32_e32 v48, 16, v48
	;;#ASMSTART
	v_cvt_f32_f16 v26, v49;
	;;#ASMEND
	;;#ASMSTART
	v_cvt_f32_f16 v48, v48;
	;;#ASMEND
	;;#ASMSTART
	v_cvt_f32_f16 v49, v50;
	;;#ASMEND
	;;#ASMSTART
	v_cvt_f32_f16 v50, v51;
	;;#ASMEND
	ds_load_b32 v51, v7 offset:20
	v_dual_fmac_f32 v39, v48, v50 :: v_dual_and_b32 v68, 0xffff, v32
	s_wait_dscnt 0x0
	v_dual_fmac_f32 v23, v26, v49 :: v_dual_and_b32 v52, 0xffff, v51
	v_lshrrev_b32_e32 v51, 16, v51
	;;#ASMSTART
	v_cvt_f32_f16 v27, v52;
	;;#ASMEND
	;;#ASMSTART
	v_cvt_f32_f16 v51, v51;
	;;#ASMEND
	;;#ASMSTART
	v_cvt_f32_f16 v52, v53;
	;;#ASMEND
	;;#ASMSTART
	v_cvt_f32_f16 v53, v54;
	;;#ASMEND
	ds_load_b32 v54, v7 offset:24
	v_fmac_f32_e32 v23, v27, v52
	s_wait_dscnt 0x0
	v_and_b32_e32 v55, 0xffff, v54
	v_lshrrev_b32_e32 v54, 16, v54
	;;#ASMSTART
	v_cvt_f32_f16 v28, v55;
	;;#ASMEND
	;;#ASMSTART
	v_cvt_f32_f16 v54, v54;
	;;#ASMEND
	;;#ASMSTART
	v_cvt_f32_f16 v55, v56;
	;;#ASMEND
	;;#ASMSTART
	v_cvt_f32_f16 v56, v57;
	;;#ASMEND
	ds_load_b32 v57, v7 offset:28
	s_wait_dscnt 0x0
	v_dual_fmac_f32 v23, v28, v55 :: v_dual_and_b32 v58, 0xffff, v57
	v_lshrrev_b32_e32 v57, 16, v57
	;;#ASMSTART
	v_cvt_f32_f16 v29, v58;
	;;#ASMEND
	;;#ASMSTART
	v_cvt_f32_f16 v57, v57;
	;;#ASMEND
	;;#ASMSTART
	v_cvt_f32_f16 v58, v59;
	;;#ASMEND
	;;#ASMSTART
	v_cvt_f32_f16 v59, v60;
	;;#ASMEND
	ds_load_b32 v60, v7 offset:32
	v_fmac_f32_e32 v23, v29, v58
	s_wait_dscnt 0x0
	v_and_b32_e32 v61, 0xffff, v60
	v_lshrrev_b32_e32 v60, 16, v60
	;;#ASMSTART
	v_cvt_f32_f16 v30, v61;
	;;#ASMEND
	;;#ASMSTART
	v_cvt_f32_f16 v60, v60;
	;;#ASMEND
	;;#ASMSTART
	v_cvt_f32_f16 v61, v62;
	;;#ASMEND
	;;#ASMSTART
	v_cvt_f32_f16 v62, v63;
	;;#ASMEND
	ds_load_b32 v63, v7 offset:36
	s_wait_dscnt 0x0
	v_dual_fmac_f32 v23, v30, v61 :: v_dual_and_b32 v64, 0xffff, v63
	v_lshrrev_b32_e32 v63, 16, v63
	;;#ASMSTART
	v_cvt_f32_f16 v31, v64;
	;;#ASMEND
	;;#ASMSTART
	v_cvt_f32_f16 v63, v63;
	;;#ASMEND
	;;#ASMSTART
	v_cvt_f32_f16 v64, v65;
	;;#ASMEND
	;;#ASMSTART
	v_cvt_f32_f16 v65, v66;
	;;#ASMEND
	ds_load_b32 v66, v7 offset:40
	v_fmac_f32_e32 v23, v31, v64
	s_wait_dscnt 0x0
	v_and_b32_e32 v67, 0xffff, v66
	v_lshrrev_b32_e32 v66, 16, v66
	;;#ASMSTART
	v_cvt_f32_f16 v32, v67;
	;;#ASMEND
	;;#ASMSTART
	v_cvt_f32_f16 v66, v66;
	;;#ASMEND
	;;#ASMSTART
	v_cvt_f32_f16 v67, v68;
	;;#ASMEND
	;;#ASMSTART
	v_cvt_f32_f16 v68, v69;
	;;#ASMEND
	ds_load_b32 v69, v7 offset:44
	s_wait_dscnt 0x0
	v_dual_fmac_f32 v23, v32, v67 :: v_dual_and_b32 v70, 0xffff, v69
	v_lshrrev_b32_e32 v69, 16, v69
	s_wait_loadcnt 0x4
	v_and_b32_e32 v71, 0xffff, v22
	v_lshrrev_b32_e32 v72, 16, v22
	;;#ASMSTART
	v_cvt_f32_f16 v22, v70;
	;;#ASMEND
	;;#ASMSTART
	v_cvt_f32_f16 v69, v69;
	;;#ASMEND
	;; [unrolled: 3-line block ×4, first 2 shown]
	ds_load_b32 v72, v7 offset:48
	s_wait_loadcnt 0x3
	v_and_b32_e32 v74, 0xffff, v33
	v_lshrrev_b32_e32 v75, 16, v33
	s_wait_loadcnt 0x2
	v_and_b32_e32 v25, 0xffff, v34
	v_lshrrev_b32_e32 v36, 16, v34
	s_wait_loadcnt 0x1
	v_and_b32_e32 v29, 0xffff, v35
	s_wait_loadcnt 0x0
	v_lshrrev_b32_e32 v32, 16, v20
	v_fmac_f32_e32 v23, v22, v70
	s_wait_alu 0xf1ff
	v_cndmask_b32_e64 v22, v4, v17, s5
	v_fmac_f32_e32 v39, v51, v53
	v_cmp_gt_i32_e64 s5, 32, v18
	s_delay_alu instid0(VALU_DEP_2) | instskip(NEXT) | instid1(VALU_DEP_1)
	v_fmac_f32_e32 v39, v54, v56
	v_fmac_f32_e32 v39, v57, v59
	s_wait_dscnt 0x0
	v_and_b32_e32 v73, 0xffff, v72
	v_lshrrev_b32_e32 v72, 16, v72
	;;#ASMSTART
	v_cvt_f32_f16 v33, v73;
	;;#ASMEND
	;;#ASMSTART
	v_cvt_f32_f16 v72, v72;
	;;#ASMEND
	;; [unrolled: 3-line block ×4, first 2 shown]
	ds_load_b32 v75, v7 offset:52
	v_fmac_f32_e32 v23, v33, v73
	v_fmac_f32_e32 v39, v60, v62
	s_delay_alu instid0(VALU_DEP_1) | instskip(NEXT) | instid1(VALU_DEP_1)
	v_fmac_f32_e32 v39, v63, v65
	v_fmac_f32_e32 v39, v66, v68
	s_delay_alu instid0(VALU_DEP_1)
	v_fmac_f32_e32 v39, v69, v71
	s_wait_dscnt 0x0
	v_and_b32_e32 v21, 0xffff, v75
	v_lshrrev_b32_e32 v24, 16, v75
	;;#ASMSTART
	v_cvt_f32_f16 v21, v21;
	;;#ASMEND
	;;#ASMSTART
	v_cvt_f32_f16 v24, v24;
	;;#ASMEND
	;; [unrolled: 3-line block ×4, first 2 shown]
	ds_load_b32 v34, v7 offset:56
	v_lshrrev_b32_e32 v36, 16, v35
	v_fmac_f32_e32 v39, v72, v74
	v_fmac_f32_e32 v23, v21, v25
	v_and_b32_e32 v25, 0xffff, v20
	s_delay_alu instid0(VALU_DEP_3)
	v_fmac_f32_e32 v39, v24, v26
	s_wait_dscnt 0x0
	v_and_b32_e32 v27, 0xffff, v34
	v_lshrrev_b32_e32 v28, 16, v34
	;;#ASMSTART
	v_cvt_f32_f16 v27, v27;
	;;#ASMEND
	;;#ASMSTART
	v_cvt_f32_f16 v28, v28;
	;;#ASMEND
	;; [unrolled: 3-line block ×4, first 2 shown]
	ds_load_b32 v31, v7 offset:60
	v_fmac_f32_e32 v23, v27, v29
	v_fmac_f32_e32 v39, v28, v30
	s_wait_dscnt 0x0
	v_and_b32_e32 v21, 0xffff, v31
	v_lshrrev_b32_e32 v24, 16, v31
	;;#ASMSTART
	v_cvt_f32_f16 v20, v21;
	;;#ASMEND
	;;#ASMSTART
	v_cvt_f32_f16 v21, v24;
	;;#ASMEND
	;; [unrolled: 3-line block ×4, first 2 shown]
	v_fmac_f32_e32 v23, v20, v24
	v_dual_fmac_f32 v39, v21, v25 :: v_dual_lshlrev_b32 v20, 2, v22
	s_wait_alu 0xf1ff
	v_cndmask_b32_e64 v22, v4, v18, s5
	s_delay_alu instid0(VALU_DEP_2)
	v_add_f32_e32 v21, v23, v39
	ds_bpermute_b32 v20, v20, v21
	s_wait_dscnt 0x0
	v_dual_add_f32 v20, v21, v20 :: v_dual_lshlrev_b32 v21, 2, v22
	ds_bpermute_b32 v21, v21, v20
	s_and_saveexec_b32 s39, s4
	s_cbranch_execz .LBB75_11
; %bb.19:                               ;   in Loop: Header=BB75_13 Depth=1
	s_wait_dscnt 0x0
	v_add_f32_e32 v20, v20, v21
	v_add_nc_u32_e32 v22, v14, v13
	s_delay_alu instid0(VALU_DEP_1) | instskip(NEXT) | instid1(VALU_DEP_1)
	v_cvt_f32_i32_e32 v22, v22
	v_mul_f32_e32 v22, s14, v22
	s_delay_alu instid0(VALU_DEP_1) | instskip(NEXT) | instid1(VALU_DEP_1)
	v_cndmask_b32_e32 v21, 0, v22, vcc_lo
	v_dual_max_num_f32 v22, v6, v6 :: v_dual_fmac_f32 v21, s7, v20
	v_add_nc_u32_e32 v20, v5, v13
	s_delay_alu instid0(VALU_DEP_2) | instskip(NEXT) | instid1(VALU_DEP_2)
	v_max_num_f32_e32 v22, v22, v21
	v_cmp_gt_i32_e64 s5, s31, v20
	s_wait_alu 0xf1ff
	s_delay_alu instid0(VALU_DEP_1) | instskip(NEXT) | instid1(VALU_DEP_3)
	v_cndmask_b32_e64 v20, 0, v21, s5
	v_cndmask_b32_e64 v6, v6, v22, s5
	ds_store_b32 v15, v20
	s_branch .LBB75_11
.LBB75_20:
	s_or_b32 exec_lo, exec_lo, s19
.LBB75_21:
	s_wait_alu 0xfffe
	s_or_b32 exec_lo, exec_lo, s12
	v_xor_b32_e32 v1, 16, v4
	v_xor_b32_e32 v5, 8, v4
	;; [unrolled: 1-line block ×3, first 2 shown]
	s_clause 0x2
	s_load_b128 s[12:15], s[0:1], 0x0
	s_load_b64 s[6:7], s[0:1], 0x10
	s_load_b64 s[28:29], s[0:1], 0x28
	v_and_b32_e32 v12, 31, v0
	v_cmp_gt_i32_e32 vcc_lo, 32, v1
	s_wait_alu 0xfffd
	v_cndmask_b32_e32 v1, v4, v1, vcc_lo
	v_cmp_gt_i32_e32 vcc_lo, 32, v5
	s_wait_alu 0xfffd
	v_cndmask_b32_e32 v5, v4, v5, vcc_lo
	v_cmp_gt_i32_e32 vcc_lo, 32, v7
	v_lshlrev_b32_e32 v2, 2, v1
	s_delay_alu instid0(VALU_DEP_3)
	v_lshlrev_b32_e32 v5, 2, v5
	s_wait_alu 0xfffd
	v_cndmask_b32_e32 v7, v4, v7, vcc_lo
	ds_bpermute_b32 v1, v2, v6
	v_max_num_f32_e32 v6, v6, v6
	v_cmp_eq_u32_e32 vcc_lo, 0, v12
	s_wait_dscnt 0x0
	v_dual_max_num_f32 v1, v1, v1 :: v_dual_lshlrev_b32 v8, 2, v7
	s_delay_alu instid0(VALU_DEP_1) | instskip(SKIP_3) | instid1(VALU_DEP_1)
	v_max_num_f32_e32 v1, v6, v1
	ds_bpermute_b32 v6, v5, v1
	s_wait_dscnt 0x0
	v_max_num_f32_e32 v6, v6, v6
	v_dual_max_num_f32 v1, v1, v6 :: v_dual_lshlrev_b32 v6, 2, v9
	ds_bpermute_b32 v7, v8, v1
	s_and_saveexec_b32 s0, vcc_lo
	s_cbranch_execz .LBB75_23
; %bb.22:
	s_wait_dscnt 0x0
	v_max_num_f32_e32 v7, v7, v7
	v_max_num_f32_e32 v1, v1, v1
	s_delay_alu instid0(VALU_DEP_1)
	v_max_num_f32_e32 v1, v1, v7
	ds_store_b32 v6, v1 offset:256
.LBB75_23:
	s_or_b32 exec_lo, exec_lo, s0
	v_cmp_gt_u32_e64 s0, 4, v12
	v_mov_b32_e32 v1, 0xff7fffff
	s_wait_dscnt 0x0
	v_lshlrev_b32_e32 v7, 2, v12
	s_wait_loadcnt 0x0
	s_barrier_signal -1
	s_barrier_wait -1
	global_inv scope:SCOPE_SE
	s_and_saveexec_b32 s1, s0
; %bb.24:
	ds_load_b32 v1, v7 offset:256
; %bb.25:
	s_or_b32 exec_lo, exec_lo, s1
	v_xor_b32_e32 v13, 2, v4
	v_xor_b32_e32 v15, 1, v4
	s_delay_alu instid0(VALU_DEP_2) | instskip(NEXT) | instid1(VALU_DEP_1)
	v_cmp_gt_i32_e64 s1, 32, v13
	v_cndmask_b32_e64 v13, v4, v13, s1
	s_delay_alu instid0(VALU_DEP_3) | instskip(NEXT) | instid1(VALU_DEP_2)
	v_cmp_gt_i32_e64 s1, 32, v15
	v_lshlrev_b32_e32 v13, 2, v13
	s_wait_alu 0xf1ff
	s_delay_alu instid0(VALU_DEP_2)
	v_cndmask_b32_e64 v4, v4, v15, s1
	s_sub_co_i32 s1, s23, s38
	s_wait_alu 0xfffe
	s_lshl_b32 s1, s1, 3
	s_wait_dscnt 0x0
	ds_bpermute_b32 v14, v13, v1
	v_max_num_f32_e32 v1, v1, v1
	s_wait_alu 0xfffe
	s_add_co_i32 s1, s1, s35
	s_wait_alu 0xfffe
	s_min_i32 s1, s1, s31
	s_wait_alu 0xfffe
	s_sub_co_i32 s5, s1, s35
	s_wait_alu 0xfffe
	v_cmp_gt_i32_e64 s1, s5, v0
	s_wait_dscnt 0x0
	v_dual_max_num_f32 v15, v14, v14 :: v_dual_lshlrev_b32 v14, 2, v4
	s_delay_alu instid0(VALU_DEP_1) | instskip(SKIP_4) | instid1(VALU_DEP_1)
	v_max_num_f32_e32 v1, v1, v15
	v_mov_b32_e32 v15, 0
	ds_bpermute_b32 v4, v14, v1
	s_wait_dscnt 0x0
	v_max_num_f32_e32 v4, v4, v4
	v_max_num_f32_e32 v1, v1, v4
	v_lshl_add_u32 v4, v0, 2, 0x120
	ds_bpermute_b32 v1, v15, v1
	s_and_saveexec_b32 s19, s1
	s_cbranch_execz .LBB75_29
; %bb.26:
	v_lshl_add_u32 v16, v0, 2, 0x120
	v_mov_b32_e32 v15, 0
	v_mov_b32_e32 v17, v0
	s_mov_b32 s35, 0
.LBB75_27:                              ; =>This Inner Loop Header: Depth=1
	ds_load_b32 v18, v16
	v_add_nc_u32_e32 v17, 0x80, v17
	s_delay_alu instid0(VALU_DEP_1) | instskip(SKIP_4) | instid1(VALU_DEP_1)
	v_cmp_le_i32_e64 s4, s5, v17
	s_wait_alu 0xfffe
	s_or_b32 s35, s4, s35
	s_wait_dscnt 0x0
	v_sub_f32_e32 v18, v18, v1
	v_mul_f32_e32 v18, 0x3fb8aa3b, v18
	s_delay_alu instid0(VALU_DEP_1)
	v_exp_f32_e32 v18, v18
	ds_store_b32 v16, v18
	v_dual_add_f32 v15, v15, v18 :: v_dual_add_nc_u32 v16, 0x200, v16
	s_wait_alu 0xfffe
	s_and_not1_b32 exec_lo, exec_lo, s35
	s_cbranch_execnz .LBB75_27
; %bb.28:
	s_or_b32 exec_lo, exec_lo, s35
.LBB75_29:
	s_delay_alu instid0(SALU_CYCLE_1)
	s_or_b32 exec_lo, exec_lo, s19
	ds_bpermute_b32 v2, v2, v15
	s_wait_dscnt 0x0
	v_add_f32_e32 v2, v15, v2
	ds_bpermute_b32 v5, v5, v2
	s_wait_dscnt 0x0
	v_add_f32_e32 v2, v2, v5
	;; [unrolled: 3-line block ×5, first 2 shown]
	s_and_saveexec_b32 s4, vcc_lo
; %bb.30:
	ds_store_b32 v6, v2 offset:272
; %bb.31:
	s_wait_alu 0xfffe
	s_or_b32 exec_lo, exec_lo, s4
	s_wait_loadcnt_dscnt 0x0
	s_barrier_signal -1
	s_barrier_wait -1
	global_inv scope:SCOPE_SE
	s_and_saveexec_b32 s4, s0
; %bb.32:
	ds_load_b32 v2, v7 offset:272
; %bb.33:
	s_wait_alu 0xfffe
	s_or_b32 exec_lo, exec_lo, s4
	s_wait_dscnt 0x0
	ds_bpermute_b32 v5, v13, v2
	s_wait_dscnt 0x0
	v_add_f32_e32 v2, v2, v5
	ds_bpermute_b32 v5, v14, v2
	s_wait_dscnt 0x0
	v_dual_add_f32 v2, v2, v5 :: v_dual_mov_b32 v5, 0
	ds_bpermute_b32 v2, v5, v2
	s_and_saveexec_b32 s0, s1
	s_cbranch_execz .LBB75_36
; %bb.34:
	s_wait_dscnt 0x0
	v_add_f32_e32 v5, 0x358637bd, v2
	s_mov_b32 s1, 0
	s_delay_alu instid0(VALU_DEP_1) | instskip(SKIP_1) | instid1(VALU_DEP_2)
	v_div_scale_f32 v6, null, v5, v5, 1.0
	v_div_scale_f32 v13, vcc_lo, 1.0, v5, 1.0
	v_rcp_f32_e32 v7, v6
	s_delay_alu instid0(TRANS32_DEP_1) | instskip(NEXT) | instid1(VALU_DEP_1)
	v_fma_f32 v8, -v6, v7, 1.0
	v_fmac_f32_e32 v7, v8, v7
	s_delay_alu instid0(VALU_DEP_1) | instskip(NEXT) | instid1(VALU_DEP_1)
	v_mul_f32_e32 v8, v13, v7
	v_fma_f32 v14, -v6, v8, v13
	s_delay_alu instid0(VALU_DEP_1) | instskip(NEXT) | instid1(VALU_DEP_1)
	v_fmac_f32_e32 v8, v14, v7
	v_fma_f32 v6, -v6, v8, v13
	s_wait_alu 0xfffd
	s_delay_alu instid0(VALU_DEP_1) | instskip(NEXT) | instid1(VALU_DEP_1)
	v_div_fmas_f32 v6, v6, v7, v8
	v_div_fixup_f32 v5, v6, v5, 1.0
	v_mov_b32_e32 v6, v0
.LBB75_35:                              ; =>This Inner Loop Header: Depth=1
	ds_load_b32 v7, v4
	s_wait_dscnt 0x0
	v_dual_mul_f32 v7, v5, v7 :: v_dual_add_nc_u32 v6, 0x80, v6
	s_delay_alu instid0(VALU_DEP_1)
	v_cmp_le_i32_e32 vcc_lo, s5, v6
	ds_store_b32 v4, v7
	v_add_nc_u32_e32 v4, 0x200, v4
	s_wait_alu 0xfffe
	s_or_b32 s1, vcc_lo, s1
	s_wait_alu 0xfffe
	s_and_not1_b32 exec_lo, exec_lo, s1
	s_cbranch_execnz .LBB75_35
.LBB75_36:
	s_wait_alu 0xfffe
	s_or_b32 exec_lo, exec_lo, s0
	s_mul_i32 s0, s8, s33
	s_wait_loadcnt_dscnt 0x0
	s_wait_alu 0xfffe
	s_mul_i32 s4, s0, s34
	s_mov_b32 s0, exec_lo
	s_barrier_signal -1
	s_barrier_wait -1
	global_inv scope:SCOPE_SE
	v_cmpx_eq_u32_e32 0, v0
	s_cbranch_execz .LBB75_38
; %bb.37:
	s_wait_alu 0xfffe
	s_ashr_i32 s5, s4, 31
	s_mul_i32 s34, s8, ttmp9
	s_lshl_b32 s1, s30, 2
	s_wait_alu 0xfffe
	s_lshl_b64 s[38:39], s[4:5], 2
	s_ashr_i32 s35, s34, 31
	v_mov_b32_e32 v4, s1
	s_wait_kmcnt 0x0
	s_wait_alu 0xfffe
	s_add_nc_u64 s[14:15], s[14:15], s[38:39]
	s_lshl_b64 s[34:35], s[34:35], 2
	s_add_nc_u64 s[12:13], s[12:13], s[38:39]
	s_wait_alu 0xfffe
	s_add_nc_u64 s[14:15], s[14:15], s[34:35]
	s_add_nc_u64 s[12:13], s[12:13], s[34:35]
	s_clause 0x1
	global_store_b32 v4, v1, s[14:15]
	global_store_b32 v4, v2, s[12:13]
.LBB75_38:
	s_wait_alu 0xfffe
	s_or_b32 exec_lo, exec_lo, s0
	v_dual_mov_b32 v16, 0 :: v_dual_mov_b32 v15, 0
	v_dual_mov_b32 v14, 0 :: v_dual_mov_b32 v13, 0
	s_and_saveexec_b32 s1, s3
	s_cbranch_execz .LBB75_52
; %bb.39:
	s_abs_i32 s3, s10
	s_ashr_i32 s19, s18, 31
	s_wait_alu 0xfffe
	s_cvt_f32_u32 s0, s3
	s_wait_kmcnt 0x0
	s_lshl_b64 s[12:13], s[26:27], 2
	v_dual_mov_b32 v13, 0 :: v_dual_lshlrev_b32 v2, 4, v12
	s_wait_alu 0xfffe
	v_rcp_iflag_f32_e32 v1, s0
	s_lshl_b64 s[14:15], s[18:19], 1
	s_add_nc_u64 s[12:13], s[24:25], s[12:13]
	s_wait_alu 0xfffe
	s_add_nc_u64 s[14:15], s[28:29], s[14:15]
	v_add_co_u32 v5, s12, s12, v3
	s_sub_co_i32 s10, 0, s3
	v_add_co_ci_u32_e64 v6, null, s13, 0, s12
	s_wait_alu 0xfffe
	v_add_co_u32 v18, s12, s14, v2
	v_readfirstlane_b32 s0, v1
	v_lshl_add_u32 v17, v9, 5, 0x120
	v_dual_mov_b32 v14, 0 :: v_dual_mov_b32 v15, 0
	s_wait_alu 0xf1ff
	v_add_co_ci_u32_e64 v19, null, s15, 0, s12
	s_mul_f32 s0, s0, 0x4f7ffffe
	v_mov_b32_e32 v16, 0
	s_sub_co_i32 s5, s37, s9
	s_mov_b32 s9, s17
	s_wait_alu 0xfffe
	s_cvt_u32_f32 s0, s0
	s_add_co_i32 s36, s36, -1
	s_wait_alu 0xfffe
	s_delay_alu instid0(SALU_CYCLE_1)
	s_mul_i32 s10, s10, s0
	s_wait_alu 0xfffe
	s_mul_hi_u32 s12, s0, s10
	s_mov_b32 s10, 0
	s_wait_alu 0xfffe
	s_add_co_i32 s12, s0, s12
	s_branch .LBB75_42
.LBB75_40:                              ;   in Loop: Header=BB75_42 Depth=1
	s_wait_alu 0xfffe
	s_or_b32 exec_lo, exec_lo, s0
	v_lshlrev_b32_e32 v20, 16, v37
	v_lshlrev_b32_e32 v8, 16, v8
	;; [unrolled: 1-line block ×3, first 2 shown]
	s_delay_alu instid0(VALU_DEP_3) | instskip(NEXT) | instid1(VALU_DEP_3)
	v_and_or_b32 v1, 0xffff, v1, v20
	v_and_or_b32 v2, 0xffff, v2, v8
	s_delay_alu instid0(VALU_DEP_3)
	v_and_or_b32 v3, 0xffff, v3, v7
	;;#ASMSTART
	v_pk_mul_f16 v1, v28, v1;

	;;#ASMEND
	;;#ASMSTART
	v_pk_mul_f16 v2, v27, v2;

	;;#ASMEND
	;; [unrolled: 4-line block ×4, first 2 shown]
	;;#ASMSTART
	v_pk_add_f16 v1, v1, v2;

	;;#ASMEND
	v_add_f32_e32 v2, v33, v34
	;;#ASMSTART
	v_pk_add_f16 v1, v1, v3;

	;;#ASMEND
	;;#ASMSTART
	v_pk_add_f16 v1, v1, v4;

	;;#ASMEND
	v_and_b32_e32 v4, 0xffff, v1
	v_lshrrev_b32_e32 v7, 16, v1
	v_add_f32_e32 v15, v15, v2
	;;#ASMSTART
	v_cvt_f32_f16 v4, v4;
	;;#ASMEND
	v_add_f32_e32 v1, v35, v36
	v_add_f32_e32 v3, v29, v30
	;;#ASMSTART
	v_cvt_f32_f16 v7, v7;
	;;#ASMEND
	v_add_f32_e32 v4, v4, v7
	s_delay_alu instid0(VALU_DEP_3) | instskip(NEXT) | instid1(VALU_DEP_2)
	v_add_f32_e32 v14, v14, v1
	v_dual_add_f32 v16, v16, v3 :: v_dual_add_f32 v13, v13, v4
.LBB75_41:                              ;   in Loop: Header=BB75_42 Depth=1
	s_wait_alu 0xfffe
	s_or_b32 exec_lo, exec_lo, s13
	v_add_nc_u32_e32 v11, 4, v11
	v_add_co_u32 v5, s0, v5, 16
	s_wait_alu 0xf1ff
	v_add_co_ci_u32_e64 v6, null, 0, v6, s0
	s_delay_alu instid0(VALU_DEP_3)
	v_cmp_le_i32_e32 vcc_lo, s23, v11
	v_add_nc_u32_e32 v10, 32, v10
	v_add_nc_u32_e32 v17, 0x80, v17
	s_or_b32 s10, vcc_lo, s10
	s_wait_alu 0xfffe
	s_and_not1_b32 exec_lo, exec_lo, s10
	s_cbranch_execz .LBB75_51
.LBB75_42:                              ; =>This Inner Loop Header: Depth=1
	v_sub_nc_u32_e32 v1, 0, v10
	s_delay_alu instid0(VALU_DEP_1) | instskip(NEXT) | instid1(VALU_DEP_1)
	v_max_i32_e32 v1, v10, v1
	v_mul_hi_u32 v2, v1, s22
	s_delay_alu instid0(VALU_DEP_1) | instskip(NEXT) | instid1(VALU_DEP_1)
	v_mul_lo_u32 v3, v2, s16
	v_sub_nc_u32_e32 v1, v1, v3
	v_add_nc_u32_e32 v3, 1, v2
	s_delay_alu instid0(VALU_DEP_2) | instskip(SKIP_2) | instid1(VALU_DEP_2)
	v_subrev_nc_u32_e32 v4, s16, v1
	v_cmp_le_u32_e32 vcc_lo, s16, v1
	s_wait_alu 0xfffd
	v_dual_cndmask_b32 v2, v2, v3 :: v_dual_cndmask_b32 v1, v1, v4
	v_ashrrev_i32_e32 v3, 31, v10
	s_delay_alu instid0(VALU_DEP_2) | instskip(NEXT) | instid1(VALU_DEP_3)
	v_add_nc_u32_e32 v4, 1, v2
	v_cmp_le_u32_e32 vcc_lo, s16, v1
	s_delay_alu instid0(VALU_DEP_3) | instskip(SKIP_1) | instid1(VALU_DEP_3)
	v_xor_b32_e32 v3, s11, v3
	s_wait_alu 0xfffd
	v_cndmask_b32_e32 v1, v2, v4, vcc_lo
	s_delay_alu instid0(VALU_DEP_1) | instskip(NEXT) | instid1(VALU_DEP_1)
	v_xor_b32_e32 v1, v1, v3
	v_sub_nc_u32_e32 v1, v1, v3
	s_delay_alu instid0(VALU_DEP_1) | instskip(SKIP_1) | instid1(VALU_DEP_2)
	v_add_nc_u32_e32 v2, s21, v1
	v_cmp_lt_i32_e64 s0, s5, v1
	v_sub_nc_u32_e32 v3, 0, v2
	s_delay_alu instid0(VALU_DEP_1) | instskip(SKIP_1) | instid1(VALU_DEP_1)
	v_max_i32_e32 v3, v2, v3
	s_wait_alu 0xfffe
	v_mul_hi_u32 v4, v3, s12
	s_delay_alu instid0(VALU_DEP_1) | instskip(NEXT) | instid1(VALU_DEP_1)
	v_mul_lo_u32 v4, v4, s3
	v_sub_nc_u32_e32 v3, v3, v4
	s_delay_alu instid0(VALU_DEP_1) | instskip(SKIP_2) | instid1(VALU_DEP_2)
	v_subrev_nc_u32_e32 v4, s3, v3
	v_cmp_le_u32_e32 vcc_lo, s3, v3
	s_wait_alu 0xfffd
	v_cndmask_b32_e32 v3, v3, v4, vcc_lo
	v_ashrrev_i32_e32 v2, 31, v2
	s_delay_alu instid0(VALU_DEP_2) | instskip(SKIP_2) | instid1(VALU_DEP_2)
	v_subrev_nc_u32_e32 v4, s3, v3
	v_cmp_le_u32_e32 vcc_lo, s3, v3
	s_wait_alu 0xfffd
	v_cndmask_b32_e32 v3, v3, v4, vcc_lo
	s_delay_alu instid0(VALU_DEP_1) | instskip(NEXT) | instid1(VALU_DEP_1)
	v_xor_b32_e32 v3, v3, v2
	v_sub_nc_u32_e32 v2, v3, v2
	s_delay_alu instid0(VALU_DEP_1)
	v_cmp_eq_u32_e32 vcc_lo, 0, v2
	s_or_b32 s0, vcc_lo, s0
	s_wait_alu 0xfffe
	s_and_saveexec_b32 s13, s0
	s_cbranch_execz .LBB75_41
; %bb.43:                               ;   in Loop: Header=BB75_42 Depth=1
	global_load_b32 v7, v[5:6], off
	ds_load_2addr_b64 v[1:4], v17 offset1:1
	ds_load_2addr_b64 v[20:23], v17 offset0:2 offset1:3
	v_add_nc_u32_e32 v26, 1, v10
	v_add_nc_u32_e32 v25, 2, v10
	;; [unrolled: 1-line block ×3, first 2 shown]
	s_wait_dscnt 0x1
	;;#ASMSTART
	v_cvt_f16_f32 v28, v1;

	;;#ASMEND
	;;#ASMSTART
	v_cvt_f16_f32 v27, v2;

	;;#ASMEND
	;; [unrolled: 4-line block ×4, first 2 shown]
	s_wait_dscnt 0x0
	;;#ASMSTART
	v_cvt_f16_f32 v34, v20;

	;;#ASMEND
	;;#ASMSTART
	v_cvt_f16_f32 v30, v21;

	;;#ASMEND
	;; [unrolled: 4-line block ×4, first 2 shown]
	v_add_nc_u32_e32 v22, 3, v10
	v_add_nc_u32_e32 v21, 4, v10
	;; [unrolled: 1-line block ×4, first 2 shown]
	s_wait_loadcnt 0x0
	v_mad_co_i64_i32 v[7:8], null, v7, s9, 0
	s_delay_alu instid0(VALU_DEP_1) | instskip(NEXT) | instid1(VALU_DEP_1)
	v_lshlrev_b64_e32 v[7:8], 1, v[7:8]
	v_add_co_u32 v7, vcc_lo, v18, v7
	s_wait_alu 0xfffd
	s_delay_alu instid0(VALU_DEP_2)
	v_add_co_ci_u32_e64 v8, null, v19, v8, vcc_lo
	v_cmp_eq_u32_e32 vcc_lo, s36, v11
	global_load_b128 v[1:4], v[7:8], off
	s_wait_loadcnt 0x0
	v_lshrrev_b32_e32 v37, 16, v1
	v_lshrrev_b32_e32 v36, 16, v2
	;; [unrolled: 1-line block ×3, first 2 shown]
	s_and_saveexec_b32 s14, vcc_lo
	s_cbranch_execz .LBB75_45
; %bb.44:                               ;   in Loop: Header=BB75_42 Depth=1
	v_cmp_gt_i32_e64 s0, s31, v10
	v_and_b32_e32 v38, 0xffff, v4
	v_and_b32_e32 v4, 0xffff0000, v4
	s_wait_alu 0xf1ff
	s_delay_alu instid0(VALU_DEP_3) | instskip(SKIP_2) | instid1(VALU_DEP_1)
	v_cndmask_b32_e64 v1, 0, v1, s0
	v_cmp_gt_i32_e64 s0, s31, v26
	s_wait_alu 0xf1ff
	v_cndmask_b32_e64 v37, 0, v37, s0
	v_cmp_gt_i32_e64 s0, s31, v25
	s_wait_alu 0xf1ff
	s_delay_alu instid0(VALU_DEP_1) | instskip(SKIP_2) | instid1(VALU_DEP_1)
	v_cndmask_b32_e64 v2, 0, v2, s0
	v_cmp_gt_i32_e64 s0, s31, v22
	s_wait_alu 0xf1ff
	v_cndmask_b32_e64 v36, 0, v36, s0
	v_cmp_gt_i32_e64 s0, s31, v23
	s_wait_alu 0xf1ff
	s_delay_alu instid0(VALU_DEP_1) | instskip(SKIP_2) | instid1(VALU_DEP_1)
	v_cndmask_b32_e64 v38, 0, v38, s0
	v_cmp_gt_i32_e64 s0, s31, v24
	s_wait_alu 0xf1ff
	v_cndmask_b32_e64 v4, 0, v4, s0
	v_cmp_gt_i32_e64 s0, s31, v21
	s_delay_alu instid0(VALU_DEP_2) | instskip(SKIP_1) | instid1(VALU_DEP_2)
	v_or_b32_e32 v4, v38, v4
	s_wait_alu 0xf1ff
	v_cndmask_b32_e64 v3, 0, v3, s0
	v_cmp_gt_i32_e64 s0, s31, v20
	s_wait_alu 0xf1ff
	s_delay_alu instid0(VALU_DEP_1)
	v_cndmask_b32_e64 v35, 0, v35, s0
.LBB75_45:                              ;   in Loop: Header=BB75_42 Depth=1
	s_wait_alu 0xfffe
	s_or_b32 exec_lo, exec_lo, s14
	v_and_b32_e32 v28, 0xffff, v28
	v_and_b32_e32 v33, 0xffff, v33
	v_lshlrev_b32_e32 v37, 16, v37
	v_lshlrev_b32_e32 v35, 16, v35
	v_and_b32_e32 v34, 0xffff, v34
	v_lshl_or_b32 v28, v27, 16, v28
	v_lshl_or_b32 v27, v31, 16, v33
	v_lshlrev_b32_e32 v33, 16, v36
	v_and_b32_e32 v32, 0xffff, v32
	v_and_or_b32 v1, 0xffff, v1, v37
	v_and_or_b32 v3, 0xffff, v3, v35
	;;#ASMSTART
	v_pk_mul_f16 v1, v28, v1;

	;;#ASMEND
	v_and_or_b32 v2, 0xffff, v2, v33
	v_lshl_or_b32 v31, v30, 16, v34
	v_lshl_or_b32 v32, v29, 16, v32
	;;#ASMSTART
	v_pk_mul_f16 v2, v27, v2;

	;;#ASMEND
	;;#ASMSTART
	v_pk_mul_f16 v3, v31, v3;

	;;#ASMEND
	;; [unrolled: 4-line block ×3, first 2 shown]
	;;#ASMSTART
	v_pk_add_f16 v1, v1, v2;

	;;#ASMEND
	;;#ASMSTART
	v_pk_add_f16 v1, v1, v3;

	;;#ASMEND
	;; [unrolled: 4-line block ×3, first 2 shown]
	v_and_b32_e32 v2, 0xffff, v1
	v_lshrrev_b32_e32 v1, 16, v1
	;;#ASMSTART
	v_cvt_f32_f16 v29, v2;
	;;#ASMEND
	;;#ASMSTART
	v_cvt_f32_f16 v30, v1;
	;;#ASMEND
	global_load_b128 v[1:4], v[7:8], off offset:512
	s_wait_loadcnt 0x0
	v_lshrrev_b32_e32 v35, 16, v1
	v_lshrrev_b32_e32 v34, 16, v2
	;; [unrolled: 1-line block ×3, first 2 shown]
	s_and_saveexec_b32 s14, vcc_lo
	s_cbranch_execz .LBB75_47
; %bb.46:                               ;   in Loop: Header=BB75_42 Depth=1
	v_cmp_gt_i32_e64 s0, s31, v10
	v_and_b32_e32 v36, 0xffff, v4
	v_and_b32_e32 v4, 0xffff0000, v4
	s_wait_alu 0xf1ff
	s_delay_alu instid0(VALU_DEP_3) | instskip(SKIP_2) | instid1(VALU_DEP_1)
	v_cndmask_b32_e64 v1, 0, v1, s0
	v_cmp_gt_i32_e64 s0, s31, v26
	s_wait_alu 0xf1ff
	v_cndmask_b32_e64 v35, 0, v35, s0
	v_cmp_gt_i32_e64 s0, s31, v25
	s_wait_alu 0xf1ff
	s_delay_alu instid0(VALU_DEP_1) | instskip(SKIP_2) | instid1(VALU_DEP_1)
	v_cndmask_b32_e64 v2, 0, v2, s0
	v_cmp_gt_i32_e64 s0, s31, v22
	s_wait_alu 0xf1ff
	v_cndmask_b32_e64 v34, 0, v34, s0
	v_cmp_gt_i32_e64 s0, s31, v23
	s_wait_alu 0xf1ff
	s_delay_alu instid0(VALU_DEP_1) | instskip(SKIP_2) | instid1(VALU_DEP_1)
	v_cndmask_b32_e64 v36, 0, v36, s0
	v_cmp_gt_i32_e64 s0, s31, v24
	s_wait_alu 0xf1ff
	v_cndmask_b32_e64 v4, 0, v4, s0
	v_cmp_gt_i32_e64 s0, s31, v21
	s_delay_alu instid0(VALU_DEP_2) | instskip(SKIP_1) | instid1(VALU_DEP_2)
	v_or_b32_e32 v4, v36, v4
	s_wait_alu 0xf1ff
	v_cndmask_b32_e64 v3, 0, v3, s0
	v_cmp_gt_i32_e64 s0, s31, v20
	s_wait_alu 0xf1ff
	s_delay_alu instid0(VALU_DEP_1)
	v_cndmask_b32_e64 v33, 0, v33, s0
.LBB75_47:                              ;   in Loop: Header=BB75_42 Depth=1
	s_wait_alu 0xfffe
	s_or_b32 exec_lo, exec_lo, s14
	v_lshlrev_b32_e32 v35, 16, v35
	v_lshlrev_b32_e32 v34, 16, v34
	;; [unrolled: 1-line block ×3, first 2 shown]
	s_delay_alu instid0(VALU_DEP_3) | instskip(NEXT) | instid1(VALU_DEP_3)
	v_and_or_b32 v1, 0xffff, v1, v35
	v_and_or_b32 v2, 0xffff, v2, v34
	s_delay_alu instid0(VALU_DEP_3)
	v_and_or_b32 v3, 0xffff, v3, v33
	;;#ASMSTART
	v_pk_mul_f16 v1, v28, v1;

	;;#ASMEND
	;;#ASMSTART
	v_pk_mul_f16 v2, v27, v2;

	;;#ASMEND
	;; [unrolled: 4-line block ×4, first 2 shown]
	;;#ASMSTART
	v_pk_add_f16 v1, v1, v2;

	;;#ASMEND
	;;#ASMSTART
	v_pk_add_f16 v1, v1, v3;

	;;#ASMEND
	;;#ASMSTART
	v_pk_add_f16 v1, v1, v4;

	;;#ASMEND
	v_and_b32_e32 v2, 0xffff, v1
	v_lshrrev_b32_e32 v1, 16, v1
	;;#ASMSTART
	v_cvt_f32_f16 v33, v2;
	;;#ASMEND
	;;#ASMSTART
	v_cvt_f32_f16 v34, v1;
	;;#ASMEND
	global_load_b128 v[1:4], v[7:8], off offset:1024
	s_wait_loadcnt 0x0
	v_lshrrev_b32_e32 v37, 16, v1
	v_lshrrev_b32_e32 v36, 16, v2
	;; [unrolled: 1-line block ×3, first 2 shown]
	s_and_saveexec_b32 s14, vcc_lo
	s_cbranch_execz .LBB75_49
; %bb.48:                               ;   in Loop: Header=BB75_42 Depth=1
	v_cmp_gt_i32_e64 s0, s31, v10
	v_and_b32_e32 v38, 0xffff, v4
	v_and_b32_e32 v4, 0xffff0000, v4
	s_wait_alu 0xf1ff
	s_delay_alu instid0(VALU_DEP_3) | instskip(SKIP_2) | instid1(VALU_DEP_1)
	v_cndmask_b32_e64 v1, 0, v1, s0
	v_cmp_gt_i32_e64 s0, s31, v26
	s_wait_alu 0xf1ff
	v_cndmask_b32_e64 v37, 0, v37, s0
	v_cmp_gt_i32_e64 s0, s31, v25
	s_wait_alu 0xf1ff
	s_delay_alu instid0(VALU_DEP_1) | instskip(SKIP_2) | instid1(VALU_DEP_1)
	v_cndmask_b32_e64 v2, 0, v2, s0
	v_cmp_gt_i32_e64 s0, s31, v22
	s_wait_alu 0xf1ff
	v_cndmask_b32_e64 v36, 0, v36, s0
	v_cmp_gt_i32_e64 s0, s31, v23
	s_wait_alu 0xf1ff
	s_delay_alu instid0(VALU_DEP_1) | instskip(SKIP_2) | instid1(VALU_DEP_1)
	v_cndmask_b32_e64 v38, 0, v38, s0
	v_cmp_gt_i32_e64 s0, s31, v24
	s_wait_alu 0xf1ff
	v_cndmask_b32_e64 v4, 0, v4, s0
	v_cmp_gt_i32_e64 s0, s31, v21
	s_delay_alu instid0(VALU_DEP_2) | instskip(SKIP_1) | instid1(VALU_DEP_2)
	v_or_b32_e32 v4, v38, v4
	s_wait_alu 0xf1ff
	v_cndmask_b32_e64 v3, 0, v3, s0
	v_cmp_gt_i32_e64 s0, s31, v20
	s_wait_alu 0xf1ff
	s_delay_alu instid0(VALU_DEP_1)
	v_cndmask_b32_e64 v35, 0, v35, s0
.LBB75_49:                              ;   in Loop: Header=BB75_42 Depth=1
	s_wait_alu 0xfffe
	s_or_b32 exec_lo, exec_lo, s14
	v_lshlrev_b32_e32 v37, 16, v37
	v_lshlrev_b32_e32 v36, 16, v36
	;; [unrolled: 1-line block ×3, first 2 shown]
	s_delay_alu instid0(VALU_DEP_3) | instskip(NEXT) | instid1(VALU_DEP_3)
	v_and_or_b32 v1, 0xffff, v1, v37
	v_and_or_b32 v2, 0xffff, v2, v36
	s_delay_alu instid0(VALU_DEP_3)
	v_and_or_b32 v3, 0xffff, v3, v35
	;;#ASMSTART
	v_pk_mul_f16 v1, v28, v1;

	;;#ASMEND
	;;#ASMSTART
	v_pk_mul_f16 v2, v27, v2;

	;;#ASMEND
	;; [unrolled: 4-line block ×4, first 2 shown]
	;;#ASMSTART
	v_pk_add_f16 v1, v1, v2;

	;;#ASMEND
	;;#ASMSTART
	v_pk_add_f16 v1, v1, v3;

	;;#ASMEND
	;; [unrolled: 4-line block ×3, first 2 shown]
	v_and_b32_e32 v2, 0xffff, v1
	v_lshrrev_b32_e32 v1, 16, v1
	;;#ASMSTART
	v_cvt_f32_f16 v35, v2;
	;;#ASMEND
	;;#ASMSTART
	v_cvt_f32_f16 v36, v1;
	;;#ASMEND
	global_load_b128 v[1:4], v[7:8], off offset:1536
	s_wait_loadcnt 0x0
	v_lshrrev_b32_e32 v37, 16, v1
	v_lshrrev_b32_e32 v8, 16, v2
	;; [unrolled: 1-line block ×3, first 2 shown]
	s_and_saveexec_b32 s0, vcc_lo
	s_cbranch_execz .LBB75_40
; %bb.50:                               ;   in Loop: Header=BB75_42 Depth=1
	v_cmp_gt_i32_e32 vcc_lo, s31, v10
	s_wait_alu 0xfffd
	v_cndmask_b32_e32 v1, 0, v1, vcc_lo
	v_cmp_gt_i32_e32 vcc_lo, s31, v26
	s_wait_alu 0xfffd
	v_cndmask_b32_e32 v37, 0, v37, vcc_lo
	v_cmp_gt_i32_e32 vcc_lo, s31, v25
	v_and_b32_e32 v25, 0xffff, v4
	v_and_b32_e32 v4, 0xffff0000, v4
	s_wait_alu 0xfffd
	v_cndmask_b32_e32 v2, 0, v2, vcc_lo
	v_cmp_gt_i32_e32 vcc_lo, s31, v22
	s_wait_alu 0xfffd
	v_cndmask_b32_e32 v8, 0, v8, vcc_lo
	v_cmp_gt_i32_e32 vcc_lo, s31, v23
	;; [unrolled: 3-line block ×5, first 2 shown]
	s_wait_alu 0xfffd
	v_cndmask_b32_e32 v7, 0, v7, vcc_lo
	v_or_b32_e32 v4, v22, v4
	s_branch .LBB75_40
.LBB75_51:
	s_or_b32 exec_lo, exec_lo, s10
.LBB75_52:
	s_wait_alu 0xfffe
	s_or_b32 exec_lo, exec_lo, s1
	v_lshl_add_u32 v2, v12, 2, 0x120
	v_and_b32_e32 v3, 0x3c0, v0
	s_mov_b32 s0, exec_lo
	s_wait_loadcnt 0x0
	s_wait_storecnt 0x0
	s_barrier_signal -1
	v_lshl_add_u32 v1, v9, 9, v2
	s_barrier_wait -1
	global_inv scope:SCOPE_SE
	v_cmpx_eq_u32_e32 64, v3
	s_cbranch_execz .LBB75_54
; %bb.53:
	v_add_nc_u32_e32 v3, 0xfffffc00, v1
	v_add_nc_u32_e32 v4, 0xfffffc80, v1
	;; [unrolled: 1-line block ×4, first 2 shown]
	ds_store_b32 v3, v16
	ds_store_b32 v4, v15
	;; [unrolled: 1-line block ×4, first 2 shown]
.LBB75_54:
	s_wait_alu 0xfffe
	s_or_b32 exec_lo, exec_lo, s0
	s_wait_loadcnt_dscnt 0x0
	s_barrier_signal -1
	s_barrier_wait -1
	global_inv scope:SCOPE_SE
	s_and_saveexec_b32 s0, s2
	s_cbranch_execz .LBB75_56
; %bb.55:
	ds_load_2addr_b32 v[3:4], v1 offset1:32
	ds_load_2addr_b32 v[5:6], v1 offset0:64 offset1:96
	s_wait_dscnt 0x1
	v_dual_add_f32 v16, v16, v3 :: v_dual_add_f32 v15, v15, v4
	s_wait_dscnt 0x0
	v_dual_add_f32 v14, v14, v5 :: v_dual_add_f32 v13, v13, v6
.LBB75_56:
	s_wait_alu 0xfffe
	s_or_b32 exec_lo, exec_lo, s0
	v_and_b32_e32 v3, 0x3e0, v0
	s_mov_b32 s0, exec_lo
	s_wait_loadcnt 0x0
	s_barrier_signal -1
	s_barrier_wait -1
	global_inv scope:SCOPE_SE
	v_cmpx_eq_u32_e32 32, v3
	s_cbranch_execz .LBB75_58
; %bb.57:
	ds_store_2addr_b32 v2, v16, v15 offset1:32
	ds_store_2addr_b32 v2, v14, v13 offset0:64 offset1:96
.LBB75_58:
	s_wait_alu 0xfffe
	s_or_b32 exec_lo, exec_lo, s0
	v_cmp_gt_u32_e32 vcc_lo, 32, v0
	s_wait_loadcnt_dscnt 0x0
	s_barrier_signal -1
	s_barrier_wait -1
	global_inv scope:SCOPE_SE
	s_and_saveexec_b32 s0, vcc_lo
	s_cbranch_execz .LBB75_60
; %bb.59:
	ds_load_2addr_b32 v[2:3], v1 offset1:32
	ds_load_2addr_b32 v[4:5], v1 offset0:64 offset1:96
	s_wait_dscnt 0x1
	v_dual_add_f32 v16, v16, v2 :: v_dual_add_f32 v15, v15, v3
	s_wait_dscnt 0x0
	v_dual_add_f32 v14, v14, v4 :: v_dual_add_f32 v13, v13, v5
.LBB75_60:
	s_wait_alu 0xfffe
	s_or_b32 exec_lo, exec_lo, s0
	s_wait_loadcnt 0x0
	s_barrier_signal -1
	s_barrier_wait -1
	global_inv scope:SCOPE_SE
	s_and_saveexec_b32 s0, vcc_lo
	s_cbranch_execz .LBB75_62
; %bb.61:
	s_lshl_b32 s0, s4, 7
	s_mul_i32 s2, s8, s20
	s_wait_alu 0xfffe
	s_ashr_i32 s1, s0, 31
	s_ashr_i32 s3, s2, 31
	s_wait_alu 0xfffe
	s_lshl_b64 s[0:1], s[0:1], 1
	s_lshl_b64 s[2:3], s[2:3], 1
	s_wait_kmcnt 0x0
	s_wait_alu 0xfffe
	s_add_nc_u64 s[0:1], s[6:7], s[0:1]
	v_lshlrev_b32_e32 v0, 1, v0
	s_lshl_b32 s4, s30, 8
	s_wait_alu 0xfffe
	s_add_nc_u64 s[0:1], s[0:1], s[2:3]
	s_mov_b32 s5, 0
	;;#ASMSTART
	v_cvt_f16_f32 v1, v16;

	;;#ASMEND
	s_wait_alu 0xfffe
	s_add_nc_u64 s[0:1], s[0:1], s[4:5]
	global_store_b16 v0, v1, s[0:1]
	;;#ASMSTART
	v_cvt_f16_f32 v1, v15;

	;;#ASMEND
	global_store_b16 v0, v1, s[0:1] offset:64
	;;#ASMSTART
	v_cvt_f16_f32 v1, v14;

	;;#ASMEND
	global_store_b16 v0, v1, s[0:1] offset:128
	;; [unrolled: 5-line block ×3, first 2 shown]
.LBB75_62:
	s_endpgm
	.section	.rodata,"a",@progbits
	.p2align	6, 0x0
	.amdhsa_kernel _ZN4vllm25paged_attention_v2_kernelIttLi128ELi8ELi128ELNS_18Fp8KVCacheDataTypeE0ELb1ELi512EEEvPfS2_PT_PKS3_PKT0_S9_ifPKiSB_iPKfiiiSD_SD_iiiii
		.amdhsa_group_segment_fixed_size 288
		.amdhsa_private_segment_fixed_size 0
		.amdhsa_kernarg_size 400
		.amdhsa_user_sgpr_count 2
		.amdhsa_user_sgpr_dispatch_ptr 0
		.amdhsa_user_sgpr_queue_ptr 0
		.amdhsa_user_sgpr_kernarg_segment_ptr 1
		.amdhsa_user_sgpr_dispatch_id 0
		.amdhsa_user_sgpr_private_segment_size 0
		.amdhsa_wavefront_size32 1
		.amdhsa_uses_dynamic_stack 0
		.amdhsa_enable_private_segment 0
		.amdhsa_system_sgpr_workgroup_id_x 1
		.amdhsa_system_sgpr_workgroup_id_y 1
		.amdhsa_system_sgpr_workgroup_id_z 1
		.amdhsa_system_sgpr_workgroup_info 0
		.amdhsa_system_vgpr_workitem_id 0
		.amdhsa_next_free_vgpr 76
		.amdhsa_next_free_sgpr 44
		.amdhsa_reserve_vcc 1
		.amdhsa_float_round_mode_32 0
		.amdhsa_float_round_mode_16_64 0
		.amdhsa_float_denorm_mode_32 3
		.amdhsa_float_denorm_mode_16_64 3
		.amdhsa_fp16_overflow 0
		.amdhsa_workgroup_processor_mode 1
		.amdhsa_memory_ordered 1
		.amdhsa_forward_progress 1
		.amdhsa_inst_pref_size 51
		.amdhsa_round_robin_scheduling 0
		.amdhsa_exception_fp_ieee_invalid_op 0
		.amdhsa_exception_fp_denorm_src 0
		.amdhsa_exception_fp_ieee_div_zero 0
		.amdhsa_exception_fp_ieee_overflow 0
		.amdhsa_exception_fp_ieee_underflow 0
		.amdhsa_exception_fp_ieee_inexact 0
		.amdhsa_exception_int_div_zero 0
	.end_amdhsa_kernel
	.section	.text._ZN4vllm25paged_attention_v2_kernelIttLi128ELi8ELi128ELNS_18Fp8KVCacheDataTypeE0ELb1ELi512EEEvPfS2_PT_PKS3_PKT0_S9_ifPKiSB_iPKfiiiSD_SD_iiiii,"axG",@progbits,_ZN4vllm25paged_attention_v2_kernelIttLi128ELi8ELi128ELNS_18Fp8KVCacheDataTypeE0ELb1ELi512EEEvPfS2_PT_PKS3_PKT0_S9_ifPKiSB_iPKfiiiSD_SD_iiiii,comdat
.Lfunc_end75:
	.size	_ZN4vllm25paged_attention_v2_kernelIttLi128ELi8ELi128ELNS_18Fp8KVCacheDataTypeE0ELb1ELi512EEEvPfS2_PT_PKS3_PKT0_S9_ifPKiSB_iPKfiiiSD_SD_iiiii, .Lfunc_end75-_ZN4vllm25paged_attention_v2_kernelIttLi128ELi8ELi128ELNS_18Fp8KVCacheDataTypeE0ELb1ELi512EEEvPfS2_PT_PKS3_PKT0_S9_ifPKiSB_iPKfiiiSD_SD_iiiii
                                        ; -- End function
	.set _ZN4vllm25paged_attention_v2_kernelIttLi128ELi8ELi128ELNS_18Fp8KVCacheDataTypeE0ELb1ELi512EEEvPfS2_PT_PKS3_PKT0_S9_ifPKiSB_iPKfiiiSD_SD_iiiii.num_vgpr, 76
	.set _ZN4vllm25paged_attention_v2_kernelIttLi128ELi8ELi128ELNS_18Fp8KVCacheDataTypeE0ELb1ELi512EEEvPfS2_PT_PKS3_PKT0_S9_ifPKiSB_iPKfiiiSD_SD_iiiii.num_agpr, 0
	.set _ZN4vllm25paged_attention_v2_kernelIttLi128ELi8ELi128ELNS_18Fp8KVCacheDataTypeE0ELb1ELi512EEEvPfS2_PT_PKS3_PKT0_S9_ifPKiSB_iPKfiiiSD_SD_iiiii.numbered_sgpr, 44
	.set _ZN4vllm25paged_attention_v2_kernelIttLi128ELi8ELi128ELNS_18Fp8KVCacheDataTypeE0ELb1ELi512EEEvPfS2_PT_PKS3_PKT0_S9_ifPKiSB_iPKfiiiSD_SD_iiiii.num_named_barrier, 0
	.set _ZN4vllm25paged_attention_v2_kernelIttLi128ELi8ELi128ELNS_18Fp8KVCacheDataTypeE0ELb1ELi512EEEvPfS2_PT_PKS3_PKT0_S9_ifPKiSB_iPKfiiiSD_SD_iiiii.private_seg_size, 0
	.set _ZN4vllm25paged_attention_v2_kernelIttLi128ELi8ELi128ELNS_18Fp8KVCacheDataTypeE0ELb1ELi512EEEvPfS2_PT_PKS3_PKT0_S9_ifPKiSB_iPKfiiiSD_SD_iiiii.uses_vcc, 1
	.set _ZN4vllm25paged_attention_v2_kernelIttLi128ELi8ELi128ELNS_18Fp8KVCacheDataTypeE0ELb1ELi512EEEvPfS2_PT_PKS3_PKT0_S9_ifPKiSB_iPKfiiiSD_SD_iiiii.uses_flat_scratch, 0
	.set _ZN4vllm25paged_attention_v2_kernelIttLi128ELi8ELi128ELNS_18Fp8KVCacheDataTypeE0ELb1ELi512EEEvPfS2_PT_PKS3_PKT0_S9_ifPKiSB_iPKfiiiSD_SD_iiiii.has_dyn_sized_stack, 0
	.set _ZN4vllm25paged_attention_v2_kernelIttLi128ELi8ELi128ELNS_18Fp8KVCacheDataTypeE0ELb1ELi512EEEvPfS2_PT_PKS3_PKT0_S9_ifPKiSB_iPKfiiiSD_SD_iiiii.has_recursion, 0
	.set _ZN4vllm25paged_attention_v2_kernelIttLi128ELi8ELi128ELNS_18Fp8KVCacheDataTypeE0ELb1ELi512EEEvPfS2_PT_PKS3_PKT0_S9_ifPKiSB_iPKfiiiSD_SD_iiiii.has_indirect_call, 0
	.section	.AMDGPU.csdata,"",@progbits
; Kernel info:
; codeLenInByte = 6440
; TotalNumSgprs: 46
; NumVgprs: 76
; ScratchSize: 0
; MemoryBound: 0
; FloatMode: 240
; IeeeMode: 1
; LDSByteSize: 288 bytes/workgroup (compile time only)
; SGPRBlocks: 0
; VGPRBlocks: 9
; NumSGPRsForWavesPerEU: 46
; NumVGPRsForWavesPerEU: 76
; Occupancy: 16
; WaveLimiterHint : 1
; COMPUTE_PGM_RSRC2:SCRATCH_EN: 0
; COMPUTE_PGM_RSRC2:USER_SGPR: 2
; COMPUTE_PGM_RSRC2:TRAP_HANDLER: 0
; COMPUTE_PGM_RSRC2:TGID_X_EN: 1
; COMPUTE_PGM_RSRC2:TGID_Y_EN: 1
; COMPUTE_PGM_RSRC2:TGID_Z_EN: 1
; COMPUTE_PGM_RSRC2:TIDIG_COMP_CNT: 0
	.section	.text._ZN4vllm32paged_attention_v2_reduce_kernelItLi128ELi128ELi512EEEvPT_PKfS4_PKS1_PKii,"axG",@progbits,_ZN4vllm32paged_attention_v2_reduce_kernelItLi128ELi128ELi512EEEvPT_PKfS4_PKS1_PKii,comdat
	.protected	_ZN4vllm32paged_attention_v2_reduce_kernelItLi128ELi128ELi512EEEvPT_PKfS4_PKS1_PKii ; -- Begin function _ZN4vllm32paged_attention_v2_reduce_kernelItLi128ELi128ELi512EEEvPT_PKfS4_PKS1_PKii
	.globl	_ZN4vllm32paged_attention_v2_reduce_kernelItLi128ELi128ELi512EEEvPT_PKfS4_PKS1_PKii
	.p2align	8
	.type	_ZN4vllm32paged_attention_v2_reduce_kernelItLi128ELi128ELi512EEEvPT_PKfS4_PKS1_PKii,@function
_ZN4vllm32paged_attention_v2_reduce_kernelItLi128ELi128ELi512EEEvPT_PKfS4_PKS1_PKii: ; @_ZN4vllm32paged_attention_v2_reduce_kernelItLi128ELi128ELi512EEEvPT_PKfS4_PKS1_PKii
; %bb.0:
	s_load_b128 s[4:7], s[0:1], 0x18
	s_mov_b32 s2, ttmp7
	s_ashr_i32 s3, ttmp7, 31
	s_add_nc_u64 s[8:9], s[0:1], 48
	s_lshl_b64 s[2:3], s[2:3], 2
	s_wait_kmcnt 0x0
	s_add_nc_u64 s[2:3], s[6:7], s[2:3]
	s_load_b32 s18, s[2:3], 0x0
	s_clause 0x2
	s_load_b64 s[6:7], s[0:1], 0x0
	s_load_b32 s14, s[0:1], 0x28
	s_load_b32 s15, s[0:1], 0x30
	s_wait_kmcnt 0x0
	s_add_co_i32 s2, s18, -1
	s_delay_alu instid0(SALU_CYCLE_1)
	s_cmp_gt_u32 s2, 0x1ff
	s_mov_b32 s2, -1
	s_cbranch_scc0 .LBB76_25
; %bb.1:
	s_add_co_i32 s2, s18, 0x1ff
	s_mul_i32 s16, s15, ttmp7
	s_ashr_i32 s3, s2, 31
	v_dual_mov_b32 v4, 0xff7fffff :: v_dual_lshlrev_b32 v3, 2, v0
	s_lshr_b32 s3, s3, 23
	s_mul_i32 s12, s16, s14
	s_add_co_i32 s2, s2, s3
	s_mul_i32 s10, s14, ttmp9
	s_ashr_i32 s17, s2, 9
	s_ashr_i32 s13, s12, 31
	v_cmp_gt_i32_e32 vcc_lo, s17, v0
	s_ashr_i32 s11, s10, 31
	s_and_saveexec_b32 s3, vcc_lo
	s_cbranch_execz .LBB76_5
; %bb.2:
	s_load_b64 s[20:21], s[0:1], 0x10
	s_load_b32 s2, s[8:9], 0xc
	s_lshl_b64 s[22:23], s[12:13], 2
	s_lshl_b64 s[24:25], s[10:11], 2
	v_dual_mov_b32 v4, 0xff7fffff :: v_dual_add_nc_u32 v5, 32, v3
	s_add_nc_u64 s[22:23], s[22:23], s[24:25]
	v_mov_b32_e32 v6, v0
	s_wait_kmcnt 0x0
	s_add_nc_u64 s[20:21], s[20:21], s[22:23]
	s_delay_alu instid0(SALU_CYCLE_1) | instskip(NEXT) | instid1(VALU_DEP_1)
	v_add_co_u32 v1, s19, s20, v3
	v_add_co_ci_u32_e64 v2, null, s21, 0, s19
	s_and_b32 s20, s2, 0xffff
	s_mov_b32 s19, 0
	s_wait_alu 0xfffe
	s_lshl_b32 s21, s20, 2
.LBB76_3:                               ; =>This Inner Loop Header: Depth=1
	global_load_b32 v7, v[1:2], off
	v_add_nc_u32_e32 v6, s20, v6
	v_max_num_f32_e32 v4, v4, v4
	s_wait_alu 0xfffe
	v_add_co_u32 v1, s2, v1, s21
	s_wait_alu 0xf1ff
	v_add_co_ci_u32_e64 v2, null, 0, v2, s2
	v_cmp_le_i32_e64 s2, s17, v6
	s_or_b32 s19, s2, s19
	s_wait_loadcnt 0x0
	v_max_num_f32_e32 v8, v7, v7
	ds_store_b32 v5, v7
	v_dual_max_num_f32 v4, v4, v8 :: v_dual_add_nc_u32 v5, s21, v5
	s_wait_alu 0xfffe
	s_and_not1_b32 exec_lo, exec_lo, s19
	s_cbranch_execnz .LBB76_3
; %bb.4:
	s_or_b32 exec_lo, exec_lo, s19
.LBB76_5:
	s_delay_alu instid0(SALU_CYCLE_1)
	s_or_b32 exec_lo, exec_lo, s3
	v_mbcnt_lo_u32_b32 v1, -1, 0
	s_load_b64 s[2:3], s[0:1], 0x8
	s_wait_dscnt 0x0
	s_barrier_signal -1
	s_barrier_wait -1
	v_xor_b32_e32 v2, 16, v1
	v_xor_b32_e32 v5, 8, v1
	global_inv scope:SCOPE_SE
	v_cmp_gt_i32_e64 s0, 32, v2
	s_delay_alu instid0(VALU_DEP_1) | instskip(SKIP_1) | instid1(VALU_DEP_2)
	v_cndmask_b32_e64 v2, v1, v2, s0
	v_cmp_gt_i32_e64 s0, 32, v5
	v_lshlrev_b32_e32 v6, 2, v2
	s_wait_alu 0xf1ff
	s_delay_alu instid0(VALU_DEP_2) | instskip(SKIP_3) | instid1(VALU_DEP_1)
	v_cndmask_b32_e64 v5, v1, v5, s0
	ds_bpermute_b32 v2, v6, v4
	v_dual_max_num_f32 v4, v4, v4 :: v_dual_lshlrev_b32 v7, 2, v5
	v_xor_b32_e32 v5, 4, v1
	v_cmp_gt_i32_e64 s0, 32, v5
	s_wait_alu 0xf1ff
	s_delay_alu instid0(VALU_DEP_1) | instskip(NEXT) | instid1(VALU_DEP_1)
	v_cndmask_b32_e64 v5, v1, v5, s0
	v_lshlrev_b32_e32 v8, 2, v5
	v_xor_b32_e32 v5, 2, v1
	s_wait_dscnt 0x0
	v_max_num_f32_e32 v2, v2, v2
	s_delay_alu instid0(VALU_DEP_2) | instskip(NEXT) | instid1(VALU_DEP_2)
	v_cmp_gt_i32_e64 s0, 32, v5
	v_max_num_f32_e32 v2, v4, v2
	s_wait_alu 0xf1ff
	s_delay_alu instid0(VALU_DEP_2) | instskip(SKIP_3) | instid1(VALU_DEP_1)
	v_cndmask_b32_e64 v5, v1, v5, s0
	ds_bpermute_b32 v4, v7, v2
	s_wait_dscnt 0x0
	v_max_num_f32_e32 v4, v4, v4
	v_max_num_f32_e32 v2, v2, v4
	ds_bpermute_b32 v4, v8, v2
	s_wait_dscnt 0x0
	v_dual_max_num_f32 v9, v4, v4 :: v_dual_lshlrev_b32 v4, 2, v5
	s_delay_alu instid0(VALU_DEP_1) | instskip(SKIP_4) | instid1(VALU_DEP_1)
	v_max_num_f32_e32 v2, v2, v9
	v_xor_b32_e32 v9, 1, v1
	ds_bpermute_b32 v5, v4, v2
	v_cmp_gt_i32_e64 s0, 32, v9
	s_wait_alu 0xf1ff
	v_cndmask_b32_e64 v1, v1, v9, s0
	v_lshrrev_b32_e32 v9, 5, v0
	s_delay_alu instid0(VALU_DEP_1) | instskip(SKIP_2) | instid1(VALU_DEP_1)
	v_lshlrev_b32_e32 v9, 2, v9
	s_wait_dscnt 0x0
	v_max_num_f32_e32 v5, v5, v5
	v_max_num_f32_e32 v2, v2, v5
	v_lshlrev_b32_e32 v5, 2, v1
	v_and_b32_e32 v1, 31, v0
	ds_bpermute_b32 v10, v5, v2
	v_cmp_eq_u32_e64 s0, 0, v1
	s_and_saveexec_b32 s1, s0
	s_cbranch_execz .LBB76_7
; %bb.6:
	s_wait_dscnt 0x0
	v_max_num_f32_e32 v10, v10, v10
	v_max_num_f32_e32 v2, v2, v2
	s_delay_alu instid0(VALU_DEP_1)
	v_max_num_f32_e32 v2, v2, v10
	ds_store_b32 v9, v2
.LBB76_7:
	s_wait_alu 0xfffe
	s_or_b32 exec_lo, exec_lo, s1
	v_cmp_gt_u32_e64 s1, 4, v1
	v_mov_b32_e32 v2, 0xff7fffff
	s_wait_dscnt 0x0
	v_lshlrev_b32_e32 v10, 2, v1
	s_wait_loadcnt 0x0
	s_barrier_signal -1
	s_barrier_wait -1
	global_inv scope:SCOPE_SE
	s_and_saveexec_b32 s19, s1
; %bb.8:
	ds_load_b32 v2, v10
; %bb.9:
	s_wait_alu 0xfffe
	s_or_b32 exec_lo, exec_lo, s19
	s_wait_dscnt 0x0
	ds_bpermute_b32 v1, v4, v2
	v_max_num_f32_e32 v2, v2, v2
	s_lshl_b32 s19, s17, 2
	v_mov_b32_e32 v11, 0
	s_wait_dscnt 0x0
	v_max_num_f32_e32 v1, v1, v1
	s_delay_alu instid0(VALU_DEP_1) | instskip(SKIP_3) | instid1(VALU_DEP_1)
	v_max_num_f32_e32 v1, v2, v1
	ds_bpermute_b32 v2, v5, v1
	s_wait_dscnt 0x0
	v_max_num_f32_e32 v2, v2, v2
	v_max_num_f32_e32 v1, v1, v2
	ds_bpermute_b32 v12, v11, v1
	s_and_saveexec_b32 s20, vcc_lo
	s_cbranch_execz .LBB76_13
; %bb.10:
	s_load_b32 s21, s[8:9], 0xc
	s_lshl_b64 s[22:23], s[12:13], 2
	s_lshl_b64 s[24:25], s[10:11], 2
	v_mov_b32_e32 v11, 0
	s_add_nc_u64 s[22:23], s[22:23], s[24:25]
	v_mov_b32_e32 v13, v0
	s_wait_kmcnt 0x0
	s_add_nc_u64 s[2:3], s[2:3], s[22:23]
	s_wait_alu 0xfffe
	v_add_co_u32 v1, s2, s2, v3
	s_wait_alu 0xf1ff
	v_add_co_ci_u32_e64 v2, null, s3, 0, s2
	v_add_nc_u32_e32 v3, 32, v3
	s_mov_b32 s3, 0
	s_and_b32 s11, s21, 0xffff
	s_delay_alu instid0(SALU_CYCLE_1)
	s_lshl_b32 s13, s11, 2
.LBB76_11:                              ; =>This Inner Loop Header: Depth=1
	global_load_b32 v14, v[1:2], off
	ds_load_b32 v15, v3
	v_add_nc_u32_e32 v13, s11, v13
	s_wait_dscnt 0x0
	v_sub_f32_e32 v15, v15, v12
	s_delay_alu instid0(VALU_DEP_1) | instskip(NEXT) | instid1(VALU_DEP_1)
	v_mul_f32_e32 v16, 0x3fb8aa3b, v15
	v_fma_f32 v17, 0x3fb8aa3b, v15, -v16
	v_rndne_f32_e32 v18, v16
	s_delay_alu instid0(VALU_DEP_1) | instskip(SKIP_1) | instid1(VALU_DEP_4)
	v_sub_f32_e32 v16, v16, v18
	v_cmp_ngt_f32_e32 vcc_lo, 0xc2ce8ed0, v15
	v_fmac_f32_e32 v17, 0x32a5705f, v15
	v_cmp_nlt_f32_e64 s2, 0x42b17218, v15
	s_delay_alu instid0(VALU_DEP_2) | instskip(SKIP_1) | instid1(VALU_DEP_2)
	v_add_f32_e32 v16, v16, v17
	v_cvt_i32_f32_e32 v17, v18
	v_exp_f32_e32 v16, v16
	s_delay_alu instid0(TRANS32_DEP_1) | instskip(SKIP_2) | instid1(VALU_DEP_2)
	v_ldexp_f32 v16, v16, v17
	v_add_nc_u32_e32 v17, s19, v3
	s_wait_alu 0xfffd
	v_dual_cndmask_b32 v16, 0, v16 :: v_dual_add_nc_u32 v3, s13, v3
	v_add_co_u32 v1, vcc_lo, v1, s13
	s_wait_alu 0xfffd
	v_add_co_ci_u32_e64 v2, null, 0, v2, vcc_lo
	s_wait_alu 0xf1ff
	v_cndmask_b32_e64 v15, 0x7f800000, v16, s2
	v_cmp_le_i32_e32 vcc_lo, s17, v13
	s_wait_alu 0xfffe
	s_or_b32 s3, vcc_lo, s3
	s_wait_loadcnt 0x0
	v_mul_f32_e32 v16, v14, v15
	v_fmac_f32_e32 v11, v14, v15
	ds_store_b32 v17, v16
	s_wait_alu 0xfffe
	s_and_not1_b32 exec_lo, exec_lo, s3
	s_cbranch_execnz .LBB76_11
; %bb.12:
	s_or_b32 exec_lo, exec_lo, s3
.LBB76_13:
	s_wait_alu 0xfffe
	s_or_b32 exec_lo, exec_lo, s20
	ds_bpermute_b32 v1, v6, v11
	s_wait_loadcnt_dscnt 0x0
	s_barrier_signal -1
	s_barrier_wait -1
	global_inv scope:SCOPE_SE
	v_add_f32_e32 v1, v11, v1
	ds_bpermute_b32 v2, v7, v1
	s_wait_dscnt 0x0
	v_add_f32_e32 v1, v1, v2
	ds_bpermute_b32 v2, v8, v1
	s_wait_dscnt 0x0
	;; [unrolled: 3-line block ×4, first 2 shown]
	v_add_f32_e32 v1, v1, v2
	s_wait_kmcnt 0x0
	s_and_saveexec_b32 s2, s0
; %bb.14:
	ds_store_b32 v9, v1 offset:16
; %bb.15:
	s_wait_alu 0xfffe
	s_or_b32 exec_lo, exec_lo, s2
	s_wait_loadcnt_dscnt 0x0
	s_barrier_signal -1
	s_barrier_wait -1
	global_inv scope:SCOPE_SE
	s_and_saveexec_b32 s0, s1
; %bb.16:
	ds_load_b32 v1, v10 offset:16
; %bb.17:
	s_wait_alu 0xfffe
	s_or_b32 exec_lo, exec_lo, s0
	s_wait_dscnt 0x0
	ds_bpermute_b32 v2, v4, v1
	s_mov_b32 s0, exec_lo
	s_wait_dscnt 0x0
	v_add_f32_e32 v1, v1, v2
	ds_bpermute_b32 v2, v5, v1
	s_wait_dscnt 0x0
	v_dual_add_f32 v1, v1, v2 :: v_dual_mov_b32 v2, 0
	ds_bpermute_b32 v2, v2, v1
	v_cmpx_gt_u32_e32 0x80, v0
	s_cbranch_execz .LBB76_24
; %bb.18:
	s_cmp_gt_i32 s18, 0
	s_mov_b32 s1, 0
	s_cbranch_scc1 .LBB76_20
; %bb.19:
	v_dual_mov_b32 v1, 0 :: v_dual_mov_b32 v4, 0
	s_wait_alu 0xfffe
	s_and_not1_b32 vcc_lo, exec_lo, s1
	s_wait_alu 0xfffe
	s_cbranch_vccz .LBB76_21
	s_branch .LBB76_23
.LBB76_20:
	v_mov_b32_e32 v4, 0
.LBB76_21:
	s_wait_dscnt 0x0
	v_add_f32_e32 v4, 0x358637bd, v2
	s_lshl_b32 s2, s12, 7
	s_lshl_b32 s10, s10, 7
	s_wait_alu 0xfffe
	s_ashr_i32 s3, s2, 31
	s_ashr_i32 s11, s10, 31
	v_div_scale_f32 v2, null, v4, v4, 1.0
	s_wait_alu 0xfffe
	s_lshl_b64 s[2:3], s[2:3], 1
	s_lshl_b64 s[10:11], s[10:11], 1
	s_wait_alu 0xfffe
	s_add_nc_u64 s[2:3], s[2:3], s[10:11]
	v_rcp_f32_e32 v3, v2
	s_wait_alu 0xfffe
	s_add_nc_u64 s[2:3], s[4:5], s[2:3]
	s_delay_alu instid0(TRANS32_DEP_1) | instskip(NEXT) | instid1(VALU_DEP_1)
	v_fma_f32 v1, -v2, v3, 1.0
	v_fmac_f32_e32 v3, v1, v3
	v_div_scale_f32 v5, vcc_lo, 1.0, v4, 1.0
	s_delay_alu instid0(VALU_DEP_1) | instskip(NEXT) | instid1(VALU_DEP_1)
	v_mul_f32_e32 v6, v5, v3
	v_fma_f32 v1, -v2, v6, v5
	s_delay_alu instid0(VALU_DEP_1) | instskip(NEXT) | instid1(VALU_DEP_1)
	v_dual_fmac_f32 v6, v1, v3 :: v_dual_mov_b32 v1, 0
	v_fma_f32 v2, -v2, v6, v5
	v_lshlrev_b32_e32 v5, 1, v0
	s_wait_alu 0xfffd
	s_delay_alu instid0(VALU_DEP_2) | instskip(SKIP_1) | instid1(VALU_DEP_2)
	v_div_fmas_f32 v6, v2, v3, v6
	s_wait_alu 0xfffe
	v_add_co_u32 v2, s1, s2, v5
	s_wait_alu 0xf1ff
	v_add_co_ci_u32_e64 v3, null, s3, 0, s1
	v_div_fixup_f32 v5, v6, v4, 1.0
	v_mov_b32_e32 v4, v1
	s_max_i32 s1, s17, 1
	s_add_co_i32 s2, s19, 32
.LBB76_22:                              ; =>This Inner Loop Header: Depth=1
	s_wait_alu 0xfffe
	v_mov_b32_e32 v6, s2
	global_load_u16 v7, v[2:3], off
	s_wait_loadcnt 0x0
	;;#ASMSTART
	v_cvt_f32_f16 v7, v7;
	;;#ASMEND
	v_add_co_u32 v2, vcc_lo, 0x100, v2
	ds_load_b32 v6, v6
	s_wait_alu 0xfffd
	v_add_co_ci_u32_e64 v3, null, 0, v3, vcc_lo
	s_add_co_i32 s1, s1, -1
	s_add_co_i32 s2, s2, 4
	s_wait_alu 0xfffe
	s_cmp_eq_u32 s1, 0
	s_wait_dscnt 0x0
	v_mul_f32_e32 v6, v7, v6
	s_delay_alu instid0(VALU_DEP_1)
	v_fmac_f32_e32 v4, v5, v6
	s_cbranch_scc0 .LBB76_22
.LBB76_23:
	s_lshl_b32 s2, s16, 7
	s_lshl_b32 s10, ttmp9, 7
	s_wait_alu 0xfffe
	s_ashr_i32 s3, s2, 31
	s_ashr_i32 s11, s10, 31
	s_wait_alu 0xfffe
	s_lshl_b64 s[2:3], s[2:3], 1
	s_wait_dscnt 0x0
	v_lshlrev_b64_e32 v[1:2], 1, v[0:1]
	s_lshl_b64 s[10:11], s[10:11], 1
	s_wait_alu 0xfffe
	s_add_nc_u64 s[2:3], s[6:7], s[2:3]
	;;#ASMSTART
	v_cvt_f16_f32 v3, v4;

	;;#ASMEND
	s_wait_alu 0xfffe
	s_add_nc_u64 s[2:3], s[2:3], s[10:11]
	s_wait_alu 0xfffe
	v_add_co_u32 v1, vcc_lo, s2, v1
	s_wait_alu 0xfffd
	v_add_co_ci_u32_e64 v2, null, s3, v2, vcc_lo
	global_store_b16 v[1:2], v3, off
.LBB76_24:
	s_wait_alu 0xfffe
	s_or_b32 exec_lo, exec_lo, s0
	s_mov_b32 s2, 0
.LBB76_25:
	s_wait_alu 0xfffe
	s_and_b32 vcc_lo, exec_lo, s2
	s_wait_alu 0xfffe
	s_cbranch_vccz .LBB76_34
; %bb.26:
	s_mov_b32 s0, exec_lo
	v_cmpx_gt_u32_e32 0x80, v0
	s_cbranch_execz .LBB76_34
; %bb.27:
	s_load_b32 s0, s[8:9], 0xc
	s_mul_i32 s15, s15, ttmp7
	s_mul_i32 s1, s14, ttmp9
	s_mul_i32 s14, s14, s15
	s_lshl_b32 s2, ttmp9, 7
	s_lshl_b32 s10, s15, 7
	s_wait_alu 0xfffe
	s_lshl_b32 s8, s1, 7
	s_lshl_b32 s12, s14, 7
	v_cmp_gt_u32_e32 vcc_lo, 0x7d, v0
	s_ashr_i32 s3, s2, 31
	s_ashr_i32 s11, s10, 31
	;; [unrolled: 1-line block ×3, first 2 shown]
	s_wait_alu 0xfffe
	s_ashr_i32 s13, s12, 31
	s_wait_kmcnt 0x0
	s_and_b32 s1, s0, 0xffff
	s_wait_alu 0xfffe
	s_cmp_eq_u32 s1, 1
	s_cselect_b32 s0, -1, 0
	s_wait_alu 0xfffe
	s_and_b32 s15, vcc_lo, s0
	s_mov_b32 s0, -1
	s_and_saveexec_b32 s14, s15
	s_cbranch_execz .LBB76_31
; %bb.28:
	s_lshl_b64 s[16:17], s[12:13], 1
	s_lshl_b64 s[18:19], s[8:9], 1
	v_lshlrev_b32_e32 v1, 1, v0
	s_wait_alu 0xfffe
	s_add_nc_u64 s[16:17], s[16:17], s[18:19]
	s_lshl_b64 s[18:19], s[10:11], 1
	s_lshl_b64 s[20:21], s[2:3], 1
	s_wait_alu 0xfffe
	s_add_nc_u64 s[16:17], s[4:5], s[16:17]
	s_add_nc_u64 s[18:19], s[18:19], s[20:21]
	s_wait_dscnt 0x0
	s_wait_alu 0xfffe
	v_add_co_u32 v2, s0, s16, v1
	v_sub_nc_u32_e32 v5, 0x80, v0
	s_wait_alu 0xf1ff
	v_add_co_ci_u32_e64 v3, null, s17, 0, s0
	s_add_nc_u64 s[16:17], s[6:7], s[18:19]
	s_mov_b32 s15, 0
	s_wait_alu 0xfffe
	v_add_co_u32 v4, s0, s16, v1
	v_and_b32_e32 v6, 0xfc, v5
	s_wait_alu 0xf1ff
	v_add_co_ci_u32_e64 v7, null, s17, 0, s0
	v_add_co_u32 v1, vcc_lo, v2, 4
	s_wait_alu 0xfffd
	v_add_co_ci_u32_e64 v2, null, 0, v3, vcc_lo
	v_add_co_u32 v3, vcc_lo, v4, 4
	s_wait_alu 0xfffd
	v_add_co_ci_u32_e64 v4, null, 0, v7, vcc_lo
	v_mov_b32_e32 v7, v6
.LBB76_29:                              ; =>This Inner Loop Header: Depth=1
	global_load_b64 v[8:9], v[1:2], off offset:-4
	v_add_nc_u32_e32 v7, -4, v7
	v_add_co_u32 v1, vcc_lo, v1, 8
	s_wait_alu 0xfffd
	v_add_co_ci_u32_e64 v2, null, 0, v2, vcc_lo
	s_delay_alu instid0(VALU_DEP_3)
	v_cmp_eq_u32_e32 vcc_lo, 0, v7
	s_or_b32 s15, vcc_lo, s15
	s_wait_loadcnt 0x0
	global_store_b64 v[3:4], v[8:9], off offset:-4
	v_add_co_u32 v3, s0, v3, 8
	s_wait_alu 0xf1ff
	v_add_co_ci_u32_e64 v4, null, 0, v4, s0
	s_and_not1_b32 exec_lo, exec_lo, s15
	s_cbranch_execnz .LBB76_29
; %bb.30:
	s_or_b32 exec_lo, exec_lo, s15
	v_cmp_ne_u32_e32 vcc_lo, v5, v6
	v_add_nc_u32_e32 v0, v0, v6
	s_or_not1_b32 s0, vcc_lo, exec_lo
.LBB76_31:
	s_or_b32 exec_lo, exec_lo, s14
	s_wait_alu 0xfffe
	s_and_b32 exec_lo, exec_lo, s0
	s_cbranch_execz .LBB76_34
; %bb.32:
	s_lshl_b64 s[10:11], s[10:11], 1
	s_lshl_b64 s[2:3], s[2:3], 1
	s_wait_alu 0xfffe
	s_add_nc_u64 s[6:7], s[6:7], s[10:11]
	s_lshl_b64 s[10:11], s[12:13], 1
	s_wait_dscnt 0x0
	v_dual_mov_b32 v2, 0 :: v_dual_lshlrev_b32 v1, 1, v0
	s_add_nc_u64 s[2:3], s[6:7], s[2:3]
	s_wait_alu 0xfffe
	s_add_nc_u64 s[4:5], s[4:5], s[10:11]
	s_lshl_b64 s[6:7], s[8:9], 1
	s_delay_alu instid0(SALU_CYCLE_1)
	s_add_nc_u64 s[4:5], s[4:5], s[6:7]
	s_mov_b32 s6, 0
	s_lshl_b32 s7, s1, 1
.LBB76_33:                              ; =>This Inner Loop Header: Depth=1
	v_add_co_u32 v3, vcc_lo, s4, v1
	s_wait_alu 0xfffd
	v_add_co_ci_u32_e64 v4, null, s5, v2, vcc_lo
	v_add_nc_u32_e32 v0, s1, v0
	global_load_u16 v5, v[3:4], off
	v_add_co_u32 v3, vcc_lo, s2, v1
	s_wait_alu 0xfffd
	v_add_co_ci_u32_e64 v4, null, s3, v2, vcc_lo
	v_cmp_lt_u32_e32 vcc_lo, 0x7f, v0
	v_add_co_u32 v1, s0, v1, s7
	s_wait_alu 0xf1ff
	v_add_co_ci_u32_e64 v2, null, 0, v2, s0
	s_or_b32 s6, vcc_lo, s6
	s_wait_loadcnt 0x0
	global_store_b16 v[3:4], v5, off
	s_wait_alu 0xfffe
	s_and_not1_b32 exec_lo, exec_lo, s6
	s_cbranch_execnz .LBB76_33
.LBB76_34:
	s_endpgm
	.section	.rodata,"a",@progbits
	.p2align	6, 0x0
	.amdhsa_kernel _ZN4vllm32paged_attention_v2_reduce_kernelItLi128ELi128ELi512EEEvPT_PKfS4_PKS1_PKii
		.amdhsa_group_segment_fixed_size 32
		.amdhsa_private_segment_fixed_size 0
		.amdhsa_kernarg_size 304
		.amdhsa_user_sgpr_count 2
		.amdhsa_user_sgpr_dispatch_ptr 0
		.amdhsa_user_sgpr_queue_ptr 0
		.amdhsa_user_sgpr_kernarg_segment_ptr 1
		.amdhsa_user_sgpr_dispatch_id 0
		.amdhsa_user_sgpr_private_segment_size 0
		.amdhsa_wavefront_size32 1
		.amdhsa_uses_dynamic_stack 0
		.amdhsa_enable_private_segment 0
		.amdhsa_system_sgpr_workgroup_id_x 1
		.amdhsa_system_sgpr_workgroup_id_y 1
		.amdhsa_system_sgpr_workgroup_id_z 0
		.amdhsa_system_sgpr_workgroup_info 0
		.amdhsa_system_vgpr_workitem_id 0
		.amdhsa_next_free_vgpr 19
		.amdhsa_next_free_sgpr 26
		.amdhsa_reserve_vcc 1
		.amdhsa_float_round_mode_32 0
		.amdhsa_float_round_mode_16_64 0
		.amdhsa_float_denorm_mode_32 3
		.amdhsa_float_denorm_mode_16_64 3
		.amdhsa_fp16_overflow 0
		.amdhsa_workgroup_processor_mode 1
		.amdhsa_memory_ordered 1
		.amdhsa_forward_progress 1
		.amdhsa_inst_pref_size 20
		.amdhsa_round_robin_scheduling 0
		.amdhsa_exception_fp_ieee_invalid_op 0
		.amdhsa_exception_fp_denorm_src 0
		.amdhsa_exception_fp_ieee_div_zero 0
		.amdhsa_exception_fp_ieee_overflow 0
		.amdhsa_exception_fp_ieee_underflow 0
		.amdhsa_exception_fp_ieee_inexact 0
		.amdhsa_exception_int_div_zero 0
	.end_amdhsa_kernel
	.section	.text._ZN4vllm32paged_attention_v2_reduce_kernelItLi128ELi128ELi512EEEvPT_PKfS4_PKS1_PKii,"axG",@progbits,_ZN4vllm32paged_attention_v2_reduce_kernelItLi128ELi128ELi512EEEvPT_PKfS4_PKS1_PKii,comdat
.Lfunc_end76:
	.size	_ZN4vllm32paged_attention_v2_reduce_kernelItLi128ELi128ELi512EEEvPT_PKfS4_PKS1_PKii, .Lfunc_end76-_ZN4vllm32paged_attention_v2_reduce_kernelItLi128ELi128ELi512EEEvPT_PKfS4_PKS1_PKii
                                        ; -- End function
	.set _ZN4vllm32paged_attention_v2_reduce_kernelItLi128ELi128ELi512EEEvPT_PKfS4_PKS1_PKii.num_vgpr, 19
	.set _ZN4vllm32paged_attention_v2_reduce_kernelItLi128ELi128ELi512EEEvPT_PKfS4_PKS1_PKii.num_agpr, 0
	.set _ZN4vllm32paged_attention_v2_reduce_kernelItLi128ELi128ELi512EEEvPT_PKfS4_PKS1_PKii.numbered_sgpr, 26
	.set _ZN4vllm32paged_attention_v2_reduce_kernelItLi128ELi128ELi512EEEvPT_PKfS4_PKS1_PKii.num_named_barrier, 0
	.set _ZN4vllm32paged_attention_v2_reduce_kernelItLi128ELi128ELi512EEEvPT_PKfS4_PKS1_PKii.private_seg_size, 0
	.set _ZN4vllm32paged_attention_v2_reduce_kernelItLi128ELi128ELi512EEEvPT_PKfS4_PKS1_PKii.uses_vcc, 1
	.set _ZN4vllm32paged_attention_v2_reduce_kernelItLi128ELi128ELi512EEEvPT_PKfS4_PKS1_PKii.uses_flat_scratch, 0
	.set _ZN4vllm32paged_attention_v2_reduce_kernelItLi128ELi128ELi512EEEvPT_PKfS4_PKS1_PKii.has_dyn_sized_stack, 0
	.set _ZN4vllm32paged_attention_v2_reduce_kernelItLi128ELi128ELi512EEEvPT_PKfS4_PKS1_PKii.has_recursion, 0
	.set _ZN4vllm32paged_attention_v2_reduce_kernelItLi128ELi128ELi512EEEvPT_PKfS4_PKS1_PKii.has_indirect_call, 0
	.section	.AMDGPU.csdata,"",@progbits
; Kernel info:
; codeLenInByte = 2460
; TotalNumSgprs: 28
; NumVgprs: 19
; ScratchSize: 0
; MemoryBound: 0
; FloatMode: 240
; IeeeMode: 1
; LDSByteSize: 32 bytes/workgroup (compile time only)
; SGPRBlocks: 0
; VGPRBlocks: 2
; NumSGPRsForWavesPerEU: 28
; NumVGPRsForWavesPerEU: 19
; Occupancy: 16
; WaveLimiterHint : 0
; COMPUTE_PGM_RSRC2:SCRATCH_EN: 0
; COMPUTE_PGM_RSRC2:USER_SGPR: 2
; COMPUTE_PGM_RSRC2:TRAP_HANDLER: 0
; COMPUTE_PGM_RSRC2:TGID_X_EN: 1
; COMPUTE_PGM_RSRC2:TGID_Y_EN: 1
; COMPUTE_PGM_RSRC2:TGID_Z_EN: 0
; COMPUTE_PGM_RSRC2:TIDIG_COMP_CNT: 0
	.section	.text._ZN4vllm25paged_attention_v2_kernelIttLi192ELi8ELi128ELNS_18Fp8KVCacheDataTypeE0ELb1ELi512EEEvPfS2_PT_PKS3_PKT0_S9_ifPKiSB_iPKfiiiSD_SD_iiiii,"axG",@progbits,_ZN4vllm25paged_attention_v2_kernelIttLi192ELi8ELi128ELNS_18Fp8KVCacheDataTypeE0ELb1ELi512EEEvPfS2_PT_PKS3_PKT0_S9_ifPKiSB_iPKfiiiSD_SD_iiiii,comdat
	.protected	_ZN4vllm25paged_attention_v2_kernelIttLi192ELi8ELi128ELNS_18Fp8KVCacheDataTypeE0ELb1ELi512EEEvPfS2_PT_PKS3_PKT0_S9_ifPKiSB_iPKfiiiSD_SD_iiiii ; -- Begin function _ZN4vllm25paged_attention_v2_kernelIttLi192ELi8ELi128ELNS_18Fp8KVCacheDataTypeE0ELb1ELi512EEEvPfS2_PT_PKS3_PKT0_S9_ifPKiSB_iPKfiiiSD_SD_iiiii
	.globl	_ZN4vllm25paged_attention_v2_kernelIttLi192ELi8ELi128ELNS_18Fp8KVCacheDataTypeE0ELb1ELi512EEEvPfS2_PT_PKS3_PKT0_S9_ifPKiSB_iPKfiiiSD_SD_iiiii
	.p2align	8
	.type	_ZN4vllm25paged_attention_v2_kernelIttLi192ELi8ELi128ELNS_18Fp8KVCacheDataTypeE0ELb1ELi512EEEvPfS2_PT_PKS3_PKT0_S9_ifPKiSB_iPKfiiiSD_SD_iiiii,@function
_ZN4vllm25paged_attention_v2_kernelIttLi192ELi8ELi128ELNS_18Fp8KVCacheDataTypeE0ELb1ELi512EEEvPfS2_PT_PKS3_PKT0_S9_ifPKiSB_iPKfiiiSD_SD_iiiii: ; @_ZN4vllm25paged_attention_v2_kernelIttLi192ELi8ELi128ELNS_18Fp8KVCacheDataTypeE0ELb1ELi512EEEvPfS2_PT_PKS3_PKT0_S9_ifPKiSB_iPKfiiiSD_SD_iiiii
; %bb.0:
	s_load_b64 s[2:3], s[0:1], 0x40
	s_and_b32 s26, ttmp7, 0xffff
	s_lshr_b32 s30, ttmp7, 16
	s_lshl_b32 s4, s26, 2
	s_lshl_b32 s33, s30, 9
	s_wait_kmcnt 0x0
	s_load_b32 s31, s[2:3], s4 offset:0x0
	s_wait_kmcnt 0x0
	s_cmp_ge_i32 s33, s31
	s_cbranch_scc1 .LBB77_66
; %bb.1:
	s_clause 0x1
	s_load_b32 s27, s[0:1], 0x90
	s_load_b64 s[6:7], s[0:1], 0x30
	s_wait_kmcnt 0x0
	s_abs_i32 s5, s27
	s_abs_i32 s2, s6
	s_delay_alu instid0(SALU_CYCLE_1) | instskip(SKIP_1) | instid1(SALU_CYCLE_2)
	s_cvt_f32_u32 s3, s2
	s_sub_co_i32 s4, 0, s2
	v_rcp_iflag_f32_e32 v1, s3
	s_delay_alu instid0(TRANS32_DEP_1) | instskip(SKIP_2) | instid1(SALU_CYCLE_2)
	v_readfirstlane_b32 s3, v1
	s_mul_f32 s3, s3, 0x4f7ffffe
	s_wait_alu 0xfffe
	s_cvt_u32_f32 s3, s3
	s_wait_alu 0xfffe
	s_delay_alu instid0(SALU_CYCLE_2) | instskip(NEXT) | instid1(SALU_CYCLE_1)
	s_mul_i32 s4, s4, s3
	s_mul_hi_u32 s4, s3, s4
	s_delay_alu instid0(SALU_CYCLE_1)
	s_add_co_i32 s3, s3, s4
	s_xor_b32 s4, s27, s6
	s_wait_alu 0xfffe
	s_mul_hi_u32 s3, s5, s3
	s_ashr_i32 s4, s4, 31
	s_wait_alu 0xfffe
	s_mul_i32 s8, s3, s2
	s_delay_alu instid0(SALU_CYCLE_1)
	s_sub_co_i32 s5, s5, s8
	s_add_co_i32 s8, s3, 1
	s_sub_co_i32 s9, s5, s2
	s_cmp_ge_u32 s5, s2
	s_cselect_b32 s3, s8, s3
	s_cselect_b32 s5, s9, s5
	s_wait_alu 0xfffe
	s_add_co_i32 s8, s3, 1
	s_cmp_ge_u32 s5, s2
	s_cselect_b32 s2, s8, s3
	s_load_b64 s[8:9], s[0:1], 0x50
	s_xor_b32 s2, s2, s4
	s_mov_b32 s3, 0
	s_wait_alu 0xfffe
	s_sub_co_i32 s10, s2, s4
	s_mov_b32 s15, s3
	s_abs_i32 s18, s10
	s_delay_alu instid0(SALU_CYCLE_1) | instskip(SKIP_1) | instid1(SALU_CYCLE_2)
	s_cvt_f32_u32 s2, s18
	s_wait_alu 0xfffe
	v_rcp_iflag_f32_e32 v1, s2
	s_delay_alu instid0(TRANS32_DEP_1) | instskip(SKIP_2) | instid1(SALU_CYCLE_2)
	v_readfirstlane_b32 s2, v1
	s_mul_f32 s2, s2, 0x4f7ffffe
	s_wait_alu 0xfffe
	s_cvt_u32_f32 s4, s2
	s_sub_co_i32 s2, 0, s18
	s_wait_alu 0xfffe
	s_delay_alu instid0(SALU_CYCLE_1)
	s_mul_i32 s2, s2, s4
	s_wait_alu 0xfffe
	s_mul_hi_u32 s5, s4, s2
	s_abs_i32 s2, ttmp9
	s_add_co_i32 s4, s4, s5
	s_mov_b32 s5, s3
	s_wait_kmcnt 0x0
	s_cmp_eq_u64 s[8:9], 0
	s_cbranch_scc1 .LBB77_3
; %bb.2:
	s_mov_b32 s12, ttmp9
	s_ashr_i32 s13, ttmp9, 31
	s_delay_alu instid0(SALU_CYCLE_1) | instskip(NEXT) | instid1(SALU_CYCLE_1)
	s_lshl_b64 s[12:13], s[12:13], 2
	s_add_nc_u64 s[8:9], s[8:9], s[12:13]
	s_load_b32 s15, s[8:9], 0x0
.LBB77_3:
	s_load_b96 s[12:14], s[0:1], 0x58
	v_and_b32_e32 v1, 3, v0
	v_lshlrev_b32_e32 v2, 2, v0
	s_mul_u64 s[4:5], s[2:3], s[4:5]
	s_ashr_i32 s3, ttmp9, 31
	s_ashr_i32 s4, s10, 31
	s_mul_i32 s16, ttmp9, 0xc0
	s_mov_b32 s8, exec_lo
	v_cmpx_gt_u32_e32 0x60, v0
	s_cbranch_execz .LBB77_5
; %bb.4:
	s_load_b64 s[10:11], s[0:1], 0x18
	s_wait_kmcnt 0x0
	s_mul_i32 s20, s12, s26
	s_ashr_i32 s17, s16, 31
	s_ashr_i32 s21, s20, 31
	v_and_b32_e32 v4, 0x3fc, v0
	s_lshl_b64 s[20:21], s[20:21], 1
	s_delay_alu instid0(VALU_DEP_1) | instskip(SKIP_2) | instid1(SALU_CYCLE_1)
	v_mad_u32_u24 v4, 0x60, v1, v4
	s_add_nc_u64 s[10:11], s[10:11], s[20:21]
	s_lshl_b64 s[20:21], s[16:17], 1
	s_add_nc_u64 s[10:11], s[10:11], s[20:21]
	global_load_b32 v3, v2, s[10:11]
	s_wait_loadcnt 0x0
	ds_store_b32 v4, v3
.LBB77_5:
	s_or_b32 exec_lo, exec_lo, s8
	s_clause 0x1
	s_load_b128 s[8:11], s[0:1], 0x78
	s_load_b32 s20, s[0:1], 0x88
	s_wait_kmcnt 0x0
	s_mul_i32 s12, s5, s18
	s_xor_b32 s3, s3, s4
	s_sub_co_i32 s2, s2, s12
	s_add_co_i32 s4, s5, 1
	s_wait_alu 0xfffe
	s_sub_co_i32 s12, s2, s18
	s_cmp_ge_u32 s2, s18
	s_mov_b32 s22, -1
	s_cselect_b32 s4, s4, s5
	s_cselect_b32 s2, s12, s2
	s_add_co_i32 s5, s4, 1
	s_wait_alu 0xfffe
	s_cmp_ge_u32 s2, s18
	s_wait_dscnt 0x0
	s_cselect_b32 s2, s5, s4
	s_add_co_i32 s21, s31, -1
	s_wait_alu 0xfffe
	s_xor_b32 s2, s2, s3
	s_barrier_signal -1
	s_wait_alu 0xfffe
	s_sub_co_i32 s24, s2, s3
	s_barrier_wait -1
	s_abs_i32 s12, s11
	global_inv scope:SCOPE_SE
	s_cvt_f32_u32 s4, s12
                                        ; implicit-def: $sgpr17
	s_delay_alu instid0(SALU_CYCLE_3) | instskip(NEXT) | instid1(TRANS32_DEP_1)
	v_rcp_iflag_f32_e32 v3, s4
	v_readfirstlane_b32 s4, v3
	s_mul_f32 s2, s4, 0x4f7ffffe
	s_wait_alu 0xfffe
	s_delay_alu instid0(SALU_CYCLE_2) | instskip(SKIP_2) | instid1(SALU_CYCLE_1)
	s_cvt_u32_f32 s4, s2
	s_sub_co_i32 s2, 0, s12
	s_wait_alu 0xfffe
	s_mul_i32 s3, s2, s4
	s_abs_i32 s2, s21
	s_wait_alu 0xfffe
	s_mul_hi_u32 s5, s4, s3
	s_mov_b32 s3, 0
	s_wait_alu 0xfffe
	s_add_co_i32 s18, s4, s5
	s_cmp_lt_i32 s20, 0
	s_mov_b32 s19, s3
	s_cbranch_scc0 .LBB77_7
; %bb.6:
	s_mul_i32 s4, s8, s6
	s_mov_b32 s22, s3
	s_wait_alu 0xfffe
	s_add_co_i32 s4, s24, s4
	s_wait_alu 0xfffe
	s_mul_i32 s4, s4, s20
	s_wait_alu 0xfffe
	s_sub_co_i32 s17, 1, s4
.LBB77_7:
	s_mul_u64 s[4:5], s[2:3], s[18:19]
	s_ashr_i32 s3, s21, 31
	s_and_not1_b32 vcc_lo, exec_lo, s22
	s_ashr_i32 s11, s11, 31
	s_cbranch_vccnz .LBB77_9
; %bb.8:
	s_mul_i32 s4, s27, s8
	s_wait_alu 0xfffe
	s_add_co_i32 s4, s4, ttmp9
	s_wait_alu 0xfffe
	s_mul_i32 s4, s4, s20
	s_wait_alu 0xfffe
	s_add_co_i32 s17, s4, 1
.LBB77_9:
	s_clause 0x2
	s_load_b32 s4, s[0:1], 0x48
	s_load_b64 s[20:21], s[0:1], 0x38
	s_load_b32 s8, s[0:1], 0x98
	s_mul_i32 s6, s5, s12
	s_xor_b32 s3, s3, s11
	s_sub_co_i32 s2, s2, s6
	s_add_co_i32 s19, s5, 1
	v_lshrrev_b32_e32 v9, 5, v0
	v_mbcnt_lo_u32_b32 v4, -1, 0
	s_mul_i32 s24, s24, s14
	s_delay_alu instid0(VALU_DEP_2)
	v_lshl_add_u32 v10, v9, 3, s33
	s_wait_kmcnt 0x0
	s_mul_i32 s22, s4, s26
	s_wait_alu 0xfffe
	s_sub_co_i32 s4, s2, s12
	s_ashr_i32 s23, s22, 31
	s_cmp_ge_u32 s2, s12
	s_cselect_b32 s5, s19, s5
	s_wait_alu 0xfffe
	s_cselect_b32 s2, s4, s2
	s_add_co_i32 s4, s5, 1
	s_wait_alu 0xfffe
	s_cmp_ge_u32 s2, s12
	s_cselect_b32 s2, s4, s5
	s_add_co_i32 s4, s31, 7
	s_lshl_b32 s36, s30, 6
	s_wait_alu 0xfffe
	s_ashr_i32 s5, s4, 31
	v_or_b32_e32 v11, s36, v9
	s_wait_alu 0xfffe
	s_lshr_b32 s5, s5, 29
	v_mov_b32_e32 v6, 0xff7fffff
	s_wait_alu 0xfffe
	s_add_co_i32 s4, s4, s5
	s_add_co_i32 s5, s36, 64
	s_wait_alu 0xfffe
	s_ashr_i32 s34, s4, 3
	s_xor_b32 s4, s2, s3
	s_min_i32 s19, s5, s34
	v_lshlrev_b32_e32 v3, 2, v11
	v_cmp_gt_i32_e64 s2, s19, v11
	s_wait_alu 0xfffe
	s_sub_co_i32 s35, s4, s3
	s_and_saveexec_b32 s6, s2
	s_cbranch_execz .LBB77_21
; %bb.10:
	s_ashr_i32 s25, s24, 31
	s_sub_co_i32 s14, s35, s9
	s_lshl_b64 s[4:5], s[24:25], 1
	s_cmp_neq_f32 s15, 0
	s_load_b64 s[38:39], s[0:1], 0x20
	v_bfe_u32 v5, v0, 2, 3
	v_mul_u32_u24_e32 v7, 0x60, v1
	s_cselect_b32 vcc_lo, -1, 0
	s_abs_i32 s25, s10
	v_dual_mov_b32 v19, v11 :: v_dual_and_b32 v2, 12, v2
	s_cvt_f32_u32 s3, s25
	v_lshlrev_b32_e32 v8, 2, v5
	v_mov_b32_e32 v16, 0xff7fffff
	s_lshl_b64 s[40:41], s[22:23], 2
	s_wait_alu 0xfffe
	v_rcp_iflag_f32_e32 v6, s3
	v_cmp_eq_u32_e64 s3, 0, v1
	v_lshlrev_b32_e32 v1, 4, v5
	v_subrev_nc_u32_e32 v14, s31, v5
	s_add_nc_u64 s[40:41], s[20:21], s[40:41]
	s_sub_co_i32 s37, 0, s25
	v_lshl_add_u32 v13, v9, 3, s33
	v_xor_b32_e32 v17, 2, v4
	v_add_nc_u32_e32 v14, 1, v14
	s_wait_kmcnt 0x0
	s_add_nc_u64 s[4:5], s[38:39], s[4:5]
	v_readfirstlane_b32 s29, v6
	s_wait_alu 0xfffe
	v_add_co_u32 v1, s4, s4, v1
	s_wait_alu 0xf1ff
	v_add_co_ci_u32_e64 v12, null, s5, 0, s4
	s_mul_f32 s29, s29, 0x4f7ffffe
	v_lshl_or_b32 v6, v9, 5, v8
	v_add_co_u32 v8, s4, v1, v2
	s_delay_alu instid0(SALU_CYCLE_1)
	s_cvt_u32_f32 s5, s29
	s_wait_alu 0xf1ff
	v_add_co_ci_u32_e64 v12, null, 0, v12, s4
	v_add_co_u32 v1, s4, s40, v3
	s_wait_alu 0xfffe
	s_mul_i32 s37, s37, s5
	v_add_co_ci_u32_e64 v2, null, s41, 0, s4
	v_add_nc_u32_e32 v15, 0x1a0, v6
	v_xor_b32_e32 v18, 1, v4
	v_mov_b32_e32 v6, 0xff7fffff
	s_wait_alu 0xfffe
	s_mul_hi_u32 s4, s5, s37
	s_mov_b32 s28, 0
	s_mov_b32 s29, s13
	s_wait_alu 0xfffe
	s_add_co_i32 s37, s5, s4
	s_branch .LBB77_13
.LBB77_11:                              ;   in Loop: Header=BB77_13 Depth=1
	s_or_b32 exec_lo, exec_lo, s38
.LBB77_12:                              ;   in Loop: Header=BB77_13 Depth=1
	s_wait_alu 0xfffe
	s_or_b32 exec_lo, exec_lo, s5
	v_add_nc_u32_e32 v19, 4, v19
	v_add_co_u32 v1, s5, v1, 16
	s_wait_alu 0xf1ff
	v_add_co_ci_u32_e64 v2, null, 0, v2, s5
	s_delay_alu instid0(VALU_DEP_3)
	v_cmp_le_i32_e64 s4, s19, v19
	v_add_nc_u32_e32 v13, 32, v13
	v_add_nc_u32_e32 v15, 0x80, v15
	s_or_b32 s28, s4, s28
	s_wait_alu 0xfffe
	s_and_not1_b32 exec_lo, exec_lo, s28
	s_cbranch_execz .LBB77_20
.LBB77_13:                              ; =>This Inner Loop Header: Depth=1
	v_sub_nc_u32_e32 v20, 0, v13
	s_delay_alu instid0(VALU_DEP_1) | instskip(SKIP_1) | instid1(VALU_DEP_1)
	v_max_i32_e32 v20, v13, v20
	s_wait_dscnt 0x0
	v_mul_hi_u32 v21, v20, s18
	s_delay_alu instid0(VALU_DEP_1) | instskip(NEXT) | instid1(VALU_DEP_1)
	v_mul_lo_u32 v22, v21, s12
	v_sub_nc_u32_e32 v20, v20, v22
	v_add_nc_u32_e32 v22, 1, v21
	s_delay_alu instid0(VALU_DEP_2) | instskip(SKIP_2) | instid1(VALU_DEP_1)
	v_subrev_nc_u32_e32 v23, s12, v20
	v_cmp_le_u32_e64 s4, s12, v20
	s_wait_alu 0xf1ff
	v_cndmask_b32_e64 v21, v21, v22, s4
	s_delay_alu instid0(VALU_DEP_3) | instskip(SKIP_1) | instid1(VALU_DEP_3)
	v_cndmask_b32_e64 v20, v20, v23, s4
	v_ashrrev_i32_e32 v22, 31, v13
	v_add_nc_u32_e32 v23, 1, v21
	s_delay_alu instid0(VALU_DEP_3) | instskip(NEXT) | instid1(VALU_DEP_3)
	v_cmp_le_u32_e64 s4, s12, v20
	v_xor_b32_e32 v22, s11, v22
	s_wait_alu 0xf1ff
	s_delay_alu instid0(VALU_DEP_2) | instskip(NEXT) | instid1(VALU_DEP_1)
	v_cndmask_b32_e64 v20, v21, v23, s4
	v_xor_b32_e32 v20, v20, v22
	s_delay_alu instid0(VALU_DEP_1) | instskip(NEXT) | instid1(VALU_DEP_1)
	v_sub_nc_u32_e32 v20, v20, v22
	v_add_nc_u32_e32 v21, s17, v20
	v_cmp_ge_i32_e64 s5, s14, v20
	s_delay_alu instid0(VALU_DEP_2) | instskip(NEXT) | instid1(VALU_DEP_1)
	v_sub_nc_u32_e32 v22, 0, v21
	v_max_i32_e32 v22, v21, v22
	v_ashrrev_i32_e32 v21, 31, v21
	s_wait_alu 0xfffe
	s_delay_alu instid0(VALU_DEP_2) | instskip(NEXT) | instid1(VALU_DEP_1)
	v_mul_hi_u32 v23, v22, s37
	v_mul_lo_u32 v23, v23, s25
	s_delay_alu instid0(VALU_DEP_1) | instskip(NEXT) | instid1(VALU_DEP_1)
	v_sub_nc_u32_e32 v22, v22, v23
	v_subrev_nc_u32_e32 v23, s25, v22
	v_cmp_le_u32_e64 s4, s25, v22
	s_wait_alu 0xf1ff
	s_delay_alu instid0(VALU_DEP_1) | instskip(NEXT) | instid1(VALU_DEP_1)
	v_cndmask_b32_e64 v22, v22, v23, s4
	v_subrev_nc_u32_e32 v23, s25, v22
	v_cmp_le_u32_e64 s4, s25, v22
	s_wait_alu 0xf1ff
	s_delay_alu instid0(VALU_DEP_1) | instskip(NEXT) | instid1(VALU_DEP_1)
	v_cndmask_b32_e64 v22, v22, v23, s4
	v_xor_b32_e32 v22, v22, v21
	s_delay_alu instid0(VALU_DEP_1) | instskip(NEXT) | instid1(VALU_DEP_1)
	v_sub_nc_u32_e32 v21, v22, v21
	v_cmp_ne_u32_e64 s4, 0, v21
	s_and_b32 s4, s4, s5
	s_wait_alu 0xfffe
	s_and_saveexec_b32 s5, s4
	s_wait_alu 0xfffe
	s_xor_b32 s4, exec_lo, s5
	s_cbranch_execz .LBB77_17
; %bb.14:                               ;   in Loop: Header=BB77_13 Depth=1
	s_and_saveexec_b32 s5, s3
; %bb.15:                               ;   in Loop: Header=BB77_13 Depth=1
	ds_store_b32 v15, v16
; %bb.16:                               ;   in Loop: Header=BB77_13 Depth=1
	s_wait_alu 0xfffe
	s_or_b32 exec_lo, exec_lo, s5
.LBB77_17:                              ;   in Loop: Header=BB77_13 Depth=1
	s_wait_alu 0xfffe
	s_and_not1_saveexec_b32 s5, s4
	s_cbranch_execz .LBB77_12
; %bb.18:                               ;   in Loop: Header=BB77_13 Depth=1
	global_load_b32 v20, v[1:2], off
	s_wait_loadcnt 0x0
	v_mad_co_i64_i32 v[20:21], null, v20, s29, 0
	s_delay_alu instid0(VALU_DEP_1) | instskip(NEXT) | instid1(VALU_DEP_1)
	v_lshlrev_b64_e32 v[20:21], 1, v[20:21]
	v_add_co_u32 v25, s4, v8, v20
	s_wait_alu 0xf1ff
	s_delay_alu instid0(VALU_DEP_2)
	v_add_co_ci_u32_e64 v26, null, v12, v21, s4
	v_cmp_gt_i32_e64 s4, 32, v17
	s_clause 0xa
	global_load_b32 v20, v[25:26], off
	global_load_b32 v29, v[25:26], off offset:128
	global_load_b32 v30, v[25:26], off offset:256
	;; [unrolled: 1-line block ×10, first 2 shown]
	ds_load_b32 v21, v7
	s_clause 0x4
	global_load_b32 v39, v[25:26], off offset:1408
	global_load_b32 v40, v[25:26], off offset:1536
	;; [unrolled: 1-line block ×5, first 2 shown]
	s_wait_dscnt 0x0
	v_lshrrev_b32_e32 v27, 16, v21
	v_and_b32_e32 v28, 0xffff, v21
	s_wait_loadcnt 0xf
	v_lshrrev_b32_e32 v47, 16, v20
	v_and_b32_e32 v48, 0xffff, v20
	s_clause 0x7
	global_load_b32 v44, v[25:26], off offset:2048
	global_load_b32 v45, v[25:26], off offset:2176
	global_load_b32 v46, v[25:26], off offset:2304
	global_load_b32 v24, v[25:26], off offset:2432
	global_load_b32 v23, v[25:26], off offset:2560
	global_load_b32 v22, v[25:26], off offset:2688
	global_load_b32 v21, v[25:26], off offset:2816
	global_load_b32 v20, v[25:26], off offset:2944
	;;#ASMSTART
	v_cvt_f32_f16 v25, v28;
	;;#ASMEND
	;;#ASMSTART
	v_cvt_f32_f16 v26, v27;
	;;#ASMEND
	;; [unrolled: 3-line block ×4, first 2 shown]
	ds_load_b32 v47, v7 offset:4
	s_wait_loadcnt 0x16
	v_and_b32_e32 v49, 0xffff, v29
	v_lshrrev_b32_e32 v50, 16, v29
	s_wait_loadcnt 0x15
	v_lshrrev_b32_e32 v53, 16, v30
	s_wait_loadcnt 0x14
	v_and_b32_e32 v55, 0xffff, v31
	v_lshrrev_b32_e32 v56, 16, v31
	s_wait_loadcnt 0x13
	v_lshrrev_b32_e32 v59, 16, v32
	;; [unrolled: 5-line block ×6, first 2 shown]
	s_wait_loadcnt 0xa
	v_and_b32_e32 v85, 0xffff, v41
	s_wait_dscnt 0x0
	v_and_b32_e32 v48, 0xffff, v47
	v_lshrrev_b32_e32 v47, 16, v47
	;;#ASMSTART
	v_cvt_f32_f16 v29, v48;
	;;#ASMEND
	;;#ASMSTART
	v_cvt_f32_f16 v47, v47;
	;;#ASMEND
	;; [unrolled: 3-line block ×4, first 2 shown]
	ds_load_b32 v50, v7 offset:8
	v_dual_mul_f32 v29, v29, v48 :: v_dual_and_b32 v52, 0xffff, v30
	v_mul_f32_e32 v47, v47, v49
	v_lshrrev_b32_e32 v86, 16, v41
	s_wait_loadcnt 0x9
	v_lshrrev_b32_e32 v89, 16, v42
	v_fmac_f32_e32 v29, v25, v27
	s_wait_loadcnt 0x8
	v_and_b32_e32 v91, 0xffff, v43
	v_fmac_f32_e32 v47, v26, v28
	v_lshrrev_b32_e32 v92, 16, v43
	s_wait_dscnt 0x0
	v_and_b32_e32 v51, 0xffff, v50
	v_lshrrev_b32_e32 v50, 16, v50
	;;#ASMSTART
	v_cvt_f32_f16 v30, v51;
	;;#ASMEND
	;;#ASMSTART
	v_cvt_f32_f16 v50, v50;
	;;#ASMEND
	;; [unrolled: 3-line block ×4, first 2 shown]
	ds_load_b32 v53, v7 offset:12
	v_fmac_f32_e32 v29, v30, v51
	s_wait_dscnt 0x0
	v_dual_fmac_f32 v47, v50, v52 :: v_dual_and_b32 v54, 0xffff, v53
	v_lshrrev_b32_e32 v53, 16, v53
	;;#ASMSTART
	v_cvt_f32_f16 v31, v54;
	;;#ASMEND
	;;#ASMSTART
	v_cvt_f32_f16 v53, v53;
	;;#ASMEND
	;; [unrolled: 3-line block ×4, first 2 shown]
	ds_load_b32 v56, v7 offset:16
	v_dual_fmac_f32 v29, v31, v54 :: v_dual_and_b32 v58, 0xffff, v32
	v_dual_fmac_f32 v47, v53, v55 :: v_dual_and_b32 v64, 0xffff, v34
	s_wait_dscnt 0x0
	v_and_b32_e32 v57, 0xffff, v56
	v_lshrrev_b32_e32 v56, 16, v56
	;;#ASMSTART
	v_cvt_f32_f16 v32, v57;
	;;#ASMEND
	;;#ASMSTART
	v_cvt_f32_f16 v56, v56;
	;;#ASMEND
	;; [unrolled: 3-line block ×4, first 2 shown]
	ds_load_b32 v59, v7 offset:20
	v_dual_fmac_f32 v29, v32, v57 :: v_dual_and_b32 v70, 0xffff, v36
	s_wait_dscnt 0x0
	v_dual_fmac_f32 v47, v56, v58 :: v_dual_and_b32 v60, 0xffff, v59
	v_lshrrev_b32_e32 v59, 16, v59
	;;#ASMSTART
	v_cvt_f32_f16 v33, v60;
	;;#ASMEND
	;;#ASMSTART
	v_cvt_f32_f16 v59, v59;
	;;#ASMEND
	;; [unrolled: 3-line block ×4, first 2 shown]
	ds_load_b32 v62, v7 offset:24
	v_dual_fmac_f32 v47, v59, v61 :: v_dual_and_b32 v76, 0xffff, v38
	v_fmac_f32_e32 v29, v33, v60
	s_wait_dscnt 0x0
	v_and_b32_e32 v63, 0xffff, v62
	v_lshrrev_b32_e32 v62, 16, v62
	;;#ASMSTART
	v_cvt_f32_f16 v34, v63;
	;;#ASMEND
	;;#ASMSTART
	v_cvt_f32_f16 v62, v62;
	;;#ASMEND
	;; [unrolled: 3-line block ×4, first 2 shown]
	ds_load_b32 v65, v7 offset:28
	v_fmac_f32_e32 v29, v34, v63
	s_wait_dscnt 0x0
	v_dual_fmac_f32 v47, v62, v64 :: v_dual_and_b32 v66, 0xffff, v65
	v_lshrrev_b32_e32 v65, 16, v65
	;;#ASMSTART
	v_cvt_f32_f16 v35, v66;
	;;#ASMEND
	;;#ASMSTART
	v_cvt_f32_f16 v65, v65;
	;;#ASMEND
	;; [unrolled: 3-line block ×4, first 2 shown]
	ds_load_b32 v68, v7 offset:32
	v_dual_fmac_f32 v29, v35, v66 :: v_dual_and_b32 v82, 0xffff, v40
	v_dual_fmac_f32 v47, v65, v67 :: v_dual_and_b32 v88, 0xffff, v42
	s_wait_dscnt 0x0
	v_and_b32_e32 v69, 0xffff, v68
	v_lshrrev_b32_e32 v68, 16, v68
	;;#ASMSTART
	v_cvt_f32_f16 v36, v69;
	;;#ASMEND
	;;#ASMSTART
	v_cvt_f32_f16 v68, v68;
	;;#ASMEND
	;; [unrolled: 3-line block ×4, first 2 shown]
	ds_load_b32 v71, v7 offset:36
	v_fmac_f32_e32 v29, v36, v69
	s_wait_dscnt 0x0
	v_dual_fmac_f32 v47, v68, v70 :: v_dual_and_b32 v72, 0xffff, v71
	v_lshrrev_b32_e32 v71, 16, v71
	;;#ASMSTART
	v_cvt_f32_f16 v37, v72;
	;;#ASMEND
	;;#ASMSTART
	v_cvt_f32_f16 v71, v71;
	;;#ASMEND
	;; [unrolled: 3-line block ×4, first 2 shown]
	ds_load_b32 v74, v7 offset:40
	v_fmac_f32_e32 v47, v71, v73
	v_fmac_f32_e32 v29, v37, v72
	s_wait_dscnt 0x0
	v_and_b32_e32 v75, 0xffff, v74
	v_lshrrev_b32_e32 v74, 16, v74
	;;#ASMSTART
	v_cvt_f32_f16 v38, v75;
	;;#ASMEND
	;;#ASMSTART
	v_cvt_f32_f16 v74, v74;
	;;#ASMEND
	;; [unrolled: 3-line block ×4, first 2 shown]
	ds_load_b32 v77, v7 offset:44
	v_fmac_f32_e32 v47, v74, v76
	s_wait_dscnt 0x0
	v_dual_fmac_f32 v29, v38, v75 :: v_dual_and_b32 v78, 0xffff, v77
	v_lshrrev_b32_e32 v77, 16, v77
	;;#ASMSTART
	v_cvt_f32_f16 v39, v78;
	;;#ASMEND
	;;#ASMSTART
	v_cvt_f32_f16 v77, v77;
	;;#ASMEND
	;; [unrolled: 3-line block ×4, first 2 shown]
	ds_load_b32 v80, v7 offset:48
	v_fmac_f32_e32 v47, v77, v79
	s_wait_dscnt 0x0
	v_and_b32_e32 v81, 0xffff, v80
	v_lshrrev_b32_e32 v80, 16, v80
	;;#ASMSTART
	v_cvt_f32_f16 v40, v81;
	;;#ASMEND
	;;#ASMSTART
	v_cvt_f32_f16 v80, v80;
	;;#ASMEND
	;; [unrolled: 3-line block ×4, first 2 shown]
	ds_load_b32 v83, v7 offset:52
	s_wait_loadcnt 0x7
	v_and_b32_e32 v94, 0xffff, v44
	v_lshrrev_b32_e32 v95, 16, v44
	s_wait_loadcnt 0x6
	v_and_b32_e32 v97, 0xffff, v45
	v_lshrrev_b32_e32 v98, 16, v45
	;; [unrolled: 3-line block ×4, first 2 shown]
	s_wait_loadcnt 0x3
	v_lshrrev_b32_e32 v31, 16, v23
	v_and_b32_e32 v32, 0xffff, v23
	s_wait_loadcnt 0x2
	v_lshrrev_b32_e32 v34, 16, v22
	v_and_b32_e32 v35, 0xffff, v22
	s_wait_loadcnt 0x1
	v_lshrrev_b32_e32 v37, 16, v21
	v_dual_fmac_f32 v47, v80, v82 :: v_dual_and_b32 v38, 0xffff, v21
	s_wait_dscnt 0x0
	v_and_b32_e32 v84, 0xffff, v83
	v_lshrrev_b32_e32 v83, 16, v83
	;;#ASMSTART
	v_cvt_f32_f16 v41, v84;
	;;#ASMEND
	;;#ASMSTART
	v_cvt_f32_f16 v83, v83;
	;;#ASMEND
	;;#ASMSTART
	v_cvt_f32_f16 v84, v85;
	;;#ASMEND
	;;#ASMSTART
	v_cvt_f32_f16 v85, v86;
	;;#ASMEND
	ds_load_b32 v86, v7 offset:56
	s_wait_dscnt 0x0
	v_and_b32_e32 v87, 0xffff, v86
	v_lshrrev_b32_e32 v86, 16, v86
	;;#ASMSTART
	v_cvt_f32_f16 v42, v87;
	;;#ASMEND
	;;#ASMSTART
	v_cvt_f32_f16 v86, v86;
	;;#ASMEND
	;;#ASMSTART
	v_cvt_f32_f16 v87, v88;
	;;#ASMEND
	;;#ASMSTART
	v_cvt_f32_f16 v88, v89;
	;;#ASMEND
	ds_load_b32 v89, v7 offset:60
	;; [unrolled: 16-line block ×9, first 2 shown]
	s_wait_dscnt 0x0
	v_dual_fmac_f32 v29, v39, v78 :: v_dual_and_b32 v36, 0xffff, v35
	v_lshrrev_b32_e32 v35, 16, v35
	;;#ASMSTART
	v_cvt_f32_f16 v21, v36;
	;;#ASMEND
	;;#ASMSTART
	v_cvt_f32_f16 v35, v35;
	;;#ASMEND
	;; [unrolled: 3-line block ×4, first 2 shown]
	ds_load_b32 v38, v7 offset:92
	v_fmac_f32_e32 v29, v40, v81
	s_delay_alu instid0(VALU_DEP_1) | instskip(NEXT) | instid1(VALU_DEP_1)
	v_fmac_f32_e32 v29, v41, v84
	v_fmac_f32_e32 v29, v42, v87
	s_delay_alu instid0(VALU_DEP_1) | instskip(NEXT) | instid1(VALU_DEP_1)
	v_fmac_f32_e32 v29, v43, v90
	v_fmac_f32_e32 v29, v44, v93
	s_delay_alu instid0(VALU_DEP_1) | instskip(NEXT) | instid1(VALU_DEP_1)
	v_fmac_f32_e32 v29, v45, v96
	v_fmac_f32_e32 v29, v46, v99
	s_wait_loadcnt 0x0
	s_delay_alu instid0(VALU_DEP_1) | instskip(SKIP_2) | instid1(VALU_DEP_3)
	v_dual_fmac_f32 v29, v24, v26 :: v_dual_and_b32 v26, 0xffff, v20
	v_fmac_f32_e32 v47, v83, v85
	v_lshrrev_b32_e32 v24, 16, v20
	v_fmac_f32_e32 v29, v23, v30
	s_wait_alu 0xf1ff
	v_cndmask_b32_e64 v23, v4, v17, s4
	v_fmac_f32_e32 v47, v86, v88
	v_cmp_gt_i32_e64 s4, 32, v18
	s_wait_dscnt 0x0
	v_dual_fmac_f32 v29, v22, v33 :: v_dual_and_b32 v22, 0xffff, v38
	s_delay_alu instid0(VALU_DEP_3) | instskip(SKIP_1) | instid1(VALU_DEP_2)
	v_fmac_f32_e32 v47, v89, v91
	;;#ASMSTART
	v_cvt_f32_f16 v20, v22;
	;;#ASMEND
	v_fmac_f32_e32 v29, v21, v36
	s_delay_alu instid0(VALU_DEP_2) | instskip(NEXT) | instid1(VALU_DEP_1)
	v_fmac_f32_e32 v47, v92, v94
	v_fmac_f32_e32 v47, v95, v97
	s_delay_alu instid0(VALU_DEP_1) | instskip(NEXT) | instid1(VALU_DEP_1)
	v_fmac_f32_e32 v47, v98, v100
	v_fmac_f32_e32 v47, v25, v27
	v_lshrrev_b32_e32 v25, 16, v38
	;;#ASMSTART
	v_cvt_f32_f16 v21, v25;
	;;#ASMEND
	;;#ASMSTART
	v_cvt_f32_f16 v22, v26;
	;;#ASMEND
	;; [unrolled: 3-line block ×3, first 2 shown]
	v_fmac_f32_e32 v47, v28, v31
	v_dual_fmac_f32 v29, v20, v22 :: v_dual_lshlrev_b32 v20, 2, v23
	s_wait_alu 0xf1ff
	v_cndmask_b32_e64 v22, v4, v18, s4
	s_delay_alu instid0(VALU_DEP_3) | instskip(NEXT) | instid1(VALU_DEP_1)
	v_fmac_f32_e32 v47, v32, v34
	v_fmac_f32_e32 v47, v35, v37
	s_delay_alu instid0(VALU_DEP_1) | instskip(NEXT) | instid1(VALU_DEP_1)
	v_fmac_f32_e32 v47, v21, v24
	v_add_f32_e32 v21, v29, v47
	ds_bpermute_b32 v20, v20, v21
	s_wait_dscnt 0x0
	v_dual_add_f32 v20, v21, v20 :: v_dual_lshlrev_b32 v21, 2, v22
	ds_bpermute_b32 v21, v21, v20
	s_and_saveexec_b32 s38, s3
	s_cbranch_execz .LBB77_11
; %bb.19:                               ;   in Loop: Header=BB77_13 Depth=1
	s_wait_dscnt 0x0
	v_add_f32_e32 v20, v20, v21
	v_add_nc_u32_e32 v22, v14, v13
	s_delay_alu instid0(VALU_DEP_1) | instskip(NEXT) | instid1(VALU_DEP_1)
	v_cvt_f32_i32_e32 v22, v22
	v_mul_f32_e32 v22, s15, v22
	s_delay_alu instid0(VALU_DEP_1) | instskip(NEXT) | instid1(VALU_DEP_1)
	v_cndmask_b32_e32 v21, 0, v22, vcc_lo
	v_dual_max_num_f32 v22, v6, v6 :: v_dual_fmac_f32 v21, s7, v20
	v_add_nc_u32_e32 v20, v5, v13
	s_delay_alu instid0(VALU_DEP_2) | instskip(NEXT) | instid1(VALU_DEP_2)
	v_max_num_f32_e32 v22, v22, v21
	v_cmp_gt_i32_e64 s4, s31, v20
	s_wait_alu 0xf1ff
	s_delay_alu instid0(VALU_DEP_1) | instskip(NEXT) | instid1(VALU_DEP_3)
	v_cndmask_b32_e64 v20, 0, v21, s4
	v_cndmask_b32_e64 v6, v6, v22, s4
	ds_store_b32 v15, v20
	s_branch .LBB77_11
.LBB77_20:
	s_or_b32 exec_lo, exec_lo, s28
.LBB77_21:
	s_delay_alu instid0(SALU_CYCLE_1)
	s_or_b32 exec_lo, exec_lo, s6
	v_xor_b32_e32 v1, 16, v4
	v_xor_b32_e32 v5, 8, v4
	;; [unrolled: 1-line block ×3, first 2 shown]
	s_clause 0x2
	s_load_b128 s[4:7], s[0:1], 0x0
	s_load_b64 s[14:15], s[0:1], 0x10
	s_load_b64 s[28:29], s[0:1], 0x28
	v_and_b32_e32 v12, 31, v0
	v_cmp_gt_i32_e32 vcc_lo, 32, v1
	s_wait_alu 0xfffd
	v_cndmask_b32_e32 v1, v4, v1, vcc_lo
	v_cmp_gt_i32_e32 vcc_lo, 32, v5
	s_wait_alu 0xfffd
	v_cndmask_b32_e32 v5, v4, v5, vcc_lo
	v_cmp_gt_i32_e32 vcc_lo, 32, v7
	v_lshlrev_b32_e32 v2, 2, v1
	s_delay_alu instid0(VALU_DEP_3)
	v_lshlrev_b32_e32 v5, 2, v5
	s_wait_alu 0xfffd
	v_cndmask_b32_e32 v7, v4, v7, vcc_lo
	ds_bpermute_b32 v1, v2, v6
	v_max_num_f32_e32 v6, v6, v6
	v_cmp_eq_u32_e32 vcc_lo, 0, v12
	s_wait_dscnt 0x0
	v_dual_max_num_f32 v1, v1, v1 :: v_dual_lshlrev_b32 v8, 2, v7
	s_delay_alu instid0(VALU_DEP_1) | instskip(SKIP_3) | instid1(VALU_DEP_1)
	v_max_num_f32_e32 v1, v6, v1
	ds_bpermute_b32 v6, v5, v1
	s_wait_dscnt 0x0
	v_max_num_f32_e32 v6, v6, v6
	v_dual_max_num_f32 v1, v1, v6 :: v_dual_lshlrev_b32 v6, 2, v9
	ds_bpermute_b32 v7, v8, v1
	s_and_saveexec_b32 s0, vcc_lo
	s_cbranch_execz .LBB77_23
; %bb.22:
	s_wait_dscnt 0x0
	v_max_num_f32_e32 v7, v7, v7
	v_max_num_f32_e32 v1, v1, v1
	s_delay_alu instid0(VALU_DEP_1)
	v_max_num_f32_e32 v1, v1, v7
	ds_store_b32 v6, v1 offset:384
.LBB77_23:
	s_or_b32 exec_lo, exec_lo, s0
	v_cmp_gt_u32_e64 s0, 4, v12
	v_mov_b32_e32 v1, 0xff7fffff
	s_wait_dscnt 0x0
	v_lshlrev_b32_e32 v7, 2, v12
	s_wait_loadcnt 0x0
	s_barrier_signal -1
	s_barrier_wait -1
	global_inv scope:SCOPE_SE
	s_and_saveexec_b32 s1, s0
; %bb.24:
	ds_load_b32 v1, v7 offset:384
; %bb.25:
	s_or_b32 exec_lo, exec_lo, s1
	v_xor_b32_e32 v13, 2, v4
	v_xor_b32_e32 v15, 1, v4
	s_delay_alu instid0(VALU_DEP_2) | instskip(NEXT) | instid1(VALU_DEP_1)
	v_cmp_gt_i32_e64 s1, 32, v13
	v_cndmask_b32_e64 v13, v4, v13, s1
	s_delay_alu instid0(VALU_DEP_3) | instskip(NEXT) | instid1(VALU_DEP_2)
	v_cmp_gt_i32_e64 s1, 32, v15
	v_lshlrev_b32_e32 v13, 2, v13
	s_wait_alu 0xf1ff
	s_delay_alu instid0(VALU_DEP_2)
	v_cndmask_b32_e64 v4, v4, v15, s1
	s_sub_co_i32 s1, s19, s36
	s_wait_alu 0xfffe
	s_lshl_b32 s1, s1, 3
	s_wait_dscnt 0x0
	ds_bpermute_b32 v14, v13, v1
	v_max_num_f32_e32 v1, v1, v1
	s_wait_alu 0xfffe
	s_add_co_i32 s1, s1, s33
	s_wait_alu 0xfffe
	s_min_i32 s1, s1, s31
	s_wait_alu 0xfffe
	s_sub_co_i32 s25, s1, s33
	s_wait_alu 0xfffe
	v_cmp_gt_i32_e64 s1, s25, v0
	s_wait_dscnt 0x0
	v_dual_max_num_f32 v15, v14, v14 :: v_dual_lshlrev_b32 v14, 2, v4
	s_delay_alu instid0(VALU_DEP_1) | instskip(SKIP_4) | instid1(VALU_DEP_1)
	v_max_num_f32_e32 v1, v1, v15
	v_mov_b32_e32 v15, 0
	ds_bpermute_b32 v4, v14, v1
	s_wait_dscnt 0x0
	v_max_num_f32_e32 v4, v4, v4
	v_max_num_f32_e32 v1, v1, v4
	v_lshl_add_u32 v4, v0, 2, 0x1a0
	ds_bpermute_b32 v1, v15, v1
	s_and_saveexec_b32 s33, s1
	s_cbranch_execz .LBB77_29
; %bb.26:
	v_lshl_add_u32 v16, v0, 2, 0x1a0
	v_mov_b32_e32 v15, 0
	v_mov_b32_e32 v17, v0
	s_mov_b32 s36, 0
.LBB77_27:                              ; =>This Inner Loop Header: Depth=1
	ds_load_b32 v18, v16
	v_add_nc_u32_e32 v17, 0x80, v17
	s_delay_alu instid0(VALU_DEP_1) | instskip(SKIP_4) | instid1(VALU_DEP_1)
	v_cmp_le_i32_e64 s3, s25, v17
	s_wait_alu 0xfffe
	s_or_b32 s36, s3, s36
	s_wait_dscnt 0x0
	v_sub_f32_e32 v18, v18, v1
	v_mul_f32_e32 v18, 0x3fb8aa3b, v18
	s_delay_alu instid0(VALU_DEP_1)
	v_exp_f32_e32 v18, v18
	ds_store_b32 v16, v18
	v_dual_add_f32 v15, v15, v18 :: v_dual_add_nc_u32 v16, 0x200, v16
	s_wait_alu 0xfffe
	s_and_not1_b32 exec_lo, exec_lo, s36
	s_cbranch_execnz .LBB77_27
; %bb.28:
	s_or_b32 exec_lo, exec_lo, s36
.LBB77_29:
	s_wait_alu 0xfffe
	s_or_b32 exec_lo, exec_lo, s33
	ds_bpermute_b32 v2, v2, v15
	s_wait_dscnt 0x0
	v_add_f32_e32 v2, v15, v2
	ds_bpermute_b32 v5, v5, v2
	s_wait_dscnt 0x0
	v_add_f32_e32 v2, v2, v5
	;; [unrolled: 3-line block ×5, first 2 shown]
	s_and_saveexec_b32 s3, vcc_lo
; %bb.30:
	ds_store_b32 v6, v2 offset:400
; %bb.31:
	s_wait_alu 0xfffe
	s_or_b32 exec_lo, exec_lo, s3
	s_wait_loadcnt_dscnt 0x0
	s_barrier_signal -1
	s_barrier_wait -1
	global_inv scope:SCOPE_SE
	s_and_saveexec_b32 s3, s0
; %bb.32:
	ds_load_b32 v2, v7 offset:400
; %bb.33:
	s_wait_alu 0xfffe
	s_or_b32 exec_lo, exec_lo, s3
	s_wait_dscnt 0x0
	ds_bpermute_b32 v5, v13, v2
	s_wait_dscnt 0x0
	v_add_f32_e32 v2, v2, v5
	ds_bpermute_b32 v5, v14, v2
	s_wait_dscnt 0x0
	v_dual_add_f32 v2, v2, v5 :: v_dual_mov_b32 v5, 0
	ds_bpermute_b32 v2, v5, v2
	s_and_saveexec_b32 s0, s1
	s_cbranch_execz .LBB77_36
; %bb.34:
	s_wait_dscnt 0x0
	v_add_f32_e32 v5, 0x358637bd, v2
	s_mov_b32 s1, 0
	s_delay_alu instid0(VALU_DEP_1) | instskip(SKIP_1) | instid1(VALU_DEP_2)
	v_div_scale_f32 v6, null, v5, v5, 1.0
	v_div_scale_f32 v13, vcc_lo, 1.0, v5, 1.0
	v_rcp_f32_e32 v7, v6
	s_delay_alu instid0(TRANS32_DEP_1) | instskip(NEXT) | instid1(VALU_DEP_1)
	v_fma_f32 v8, -v6, v7, 1.0
	v_fmac_f32_e32 v7, v8, v7
	s_delay_alu instid0(VALU_DEP_1) | instskip(NEXT) | instid1(VALU_DEP_1)
	v_mul_f32_e32 v8, v13, v7
	v_fma_f32 v14, -v6, v8, v13
	s_delay_alu instid0(VALU_DEP_1) | instskip(NEXT) | instid1(VALU_DEP_1)
	v_fmac_f32_e32 v8, v14, v7
	v_fma_f32 v6, -v6, v8, v13
	s_wait_alu 0xfffd
	s_delay_alu instid0(VALU_DEP_1) | instskip(NEXT) | instid1(VALU_DEP_1)
	v_div_fmas_f32 v6, v6, v7, v8
	v_div_fixup_f32 v5, v6, v5, 1.0
	v_mov_b32_e32 v6, v0
.LBB77_35:                              ; =>This Inner Loop Header: Depth=1
	ds_load_b32 v7, v4
	s_wait_dscnt 0x0
	v_dual_mul_f32 v7, v5, v7 :: v_dual_add_nc_u32 v6, 0x80, v6
	s_delay_alu instid0(VALU_DEP_1)
	v_cmp_le_i32_e32 vcc_lo, s25, v6
	ds_store_b32 v4, v7
	v_add_nc_u32_e32 v4, 0x200, v4
	s_wait_alu 0xfffe
	s_or_b32 s1, vcc_lo, s1
	s_wait_alu 0xfffe
	s_and_not1_b32 exec_lo, exec_lo, s1
	s_cbranch_execnz .LBB77_35
.LBB77_36:
	s_wait_alu 0xfffe
	s_or_b32 exec_lo, exec_lo, s0
	s_mul_i32 s0, s8, s26
	s_wait_loadcnt_dscnt 0x0
	s_wait_alu 0xfffe
	s_mul_i32 s26, s0, s27
	s_mov_b32 s0, exec_lo
	s_barrier_signal -1
	s_barrier_wait -1
	global_inv scope:SCOPE_SE
	v_cmpx_eq_u32_e32 0, v0
	s_cbranch_execz .LBB77_38
; %bb.37:
	s_ashr_i32 s27, s26, 31
	s_wait_alu 0xfffe
	s_mul_i32 s36, s8, ttmp9
	s_lshl_b32 s1, s30, 2
	s_lshl_b64 s[38:39], s[26:27], 2
	s_wait_alu 0xfffe
	s_ashr_i32 s37, s36, 31
	v_mov_b32_e32 v4, s1
	s_wait_kmcnt 0x0
	s_add_nc_u64 s[6:7], s[6:7], s[38:39]
	s_wait_alu 0xfffe
	s_lshl_b64 s[36:37], s[36:37], 2
	s_add_nc_u64 s[4:5], s[4:5], s[38:39]
	s_wait_alu 0xfffe
	s_add_nc_u64 s[6:7], s[6:7], s[36:37]
	s_add_nc_u64 s[4:5], s[4:5], s[36:37]
	s_clause 0x1
	global_store_b32 v4, v1, s[6:7]
	global_store_b32 v4, v2, s[4:5]
.LBB77_38:
	s_wait_alu 0xfffe
	s_or_b32 exec_lo, exec_lo, s0
	v_dual_mov_b32 v18, 0 :: v_dual_mov_b32 v17, 0
	v_dual_mov_b32 v16, 0 :: v_dual_mov_b32 v15, 0
	;; [unrolled: 1-line block ×3, first 2 shown]
	s_and_saveexec_b32 s1, s2
	s_cbranch_execz .LBB77_56
; %bb.39:
	s_abs_i32 s2, s10
	s_ashr_i32 s25, s24, 31
	s_wait_alu 0xfffe
	s_cvt_f32_u32 s0, s2
	s_wait_kmcnt 0x0
	s_lshl_b64 s[6:7], s[22:23], 2
	v_dual_mov_b32 v13, 0 :: v_dual_lshlrev_b32 v2, 4, v12
	s_wait_alu 0xfffe
	v_rcp_iflag_f32_e32 v1, s0
	s_lshl_b64 s[22:23], s[24:25], 1
	s_add_nc_u64 s[6:7], s[20:21], s[6:7]
	s_add_nc_u64 s[20:21], s[28:29], s[22:23]
	s_wait_alu 0xfffe
	v_add_co_u32 v5, s6, s6, v3
	s_sub_co_i32 s5, 0, s2
	v_add_co_ci_u32_e64 v6, null, s7, 0, s6
	v_add_co_u32 v20, s6, s20, v2
	s_delay_alu instid0(TRANS32_DEP_1)
	v_readfirstlane_b32 s0, v1
	v_lshl_add_u32 v19, v9, 5, 0x1a0
	v_dual_mov_b32 v14, 0 :: v_dual_mov_b32 v15, 0
	v_dual_mov_b32 v16, 0 :: v_dual_mov_b32 v17, 0
	s_mul_f32 s0, s0, 0x4f7ffffe
	v_add_co_ci_u32_e64 v21, null, s21, 0, s6
	v_mov_b32_e32 v18, 0
	s_wait_alu 0xfffe
	s_cvt_u32_f32 s0, s0
	s_sub_co_i32 s3, s35, s9
	s_mov_b32 s4, s13
	s_add_co_i32 s34, s34, -1
	s_wait_alu 0xfffe
	s_mul_i32 s5, s5, s0
	s_wait_alu 0xfffe
	s_mul_hi_u32 s6, s0, s5
	s_mov_b32 s5, 0
	s_wait_alu 0xfffe
	s_add_co_i32 s6, s0, s6
	s_branch .LBB77_42
.LBB77_40:                              ;   in Loop: Header=BB77_42 Depth=1
	s_wait_alu 0xfffe
	s_or_b32 exec_lo, exec_lo, s0
	v_dual_add_f32 v23, v41, v42 :: v_dual_lshlrev_b32 v22, 16, v43
	v_lshlrev_b32_e32 v8, 16, v8
	v_lshlrev_b32_e32 v7, 16, v7
	s_delay_alu instid0(VALU_DEP_3) | instskip(SKIP_1) | instid1(VALU_DEP_3)
	v_and_or_b32 v1, 0xffff, v1, v22
	;;#ASMSTART
	v_pk_mul_f16 v1, v30, v1;

	;;#ASMEND
	v_and_or_b32 v2, 0xffff, v2, v8
	s_delay_alu instid0(VALU_DEP_3)
	v_and_or_b32 v3, 0xffff, v3, v7
	;;#ASMSTART
	v_pk_mul_f16 v2, v29, v2;

	;;#ASMEND
	;;#ASMSTART
	v_pk_mul_f16 v3, v33, v3;

	;;#ASMEND
	;; [unrolled: 4-line block ×3, first 2 shown]
	;;#ASMSTART
	v_pk_add_f16 v1, v1, v2;

	;;#ASMEND
	;;#ASMSTART
	v_pk_add_f16 v1, v1, v3;

	;;#ASMEND
	;; [unrolled: 4-line block ×3, first 2 shown]
	v_dual_add_f32 v3, v31, v32 :: v_dual_and_b32 v4, 0xffff, v1
	v_lshrrev_b32_e32 v8, 16, v1
	;;#ASMSTART
	v_cvt_f32_f16 v4, v4;
	;;#ASMEND
	v_dual_add_f32 v7, v39, v40 :: v_dual_add_f32 v14, v14, v23
	v_dual_add_f32 v1, v37, v38 :: v_dual_add_f32 v2, v35, v36
	;;#ASMSTART
	v_cvt_f32_f16 v8, v8;
	;;#ASMEND
	s_delay_alu instid0(VALU_DEP_2) | instskip(NEXT) | instid1(VALU_DEP_2)
	v_dual_add_f32 v4, v4, v8 :: v_dual_add_f32 v15, v15, v7
	v_dual_add_f32 v16, v16, v1 :: v_dual_add_f32 v17, v17, v2
	s_delay_alu instid0(VALU_DEP_2)
	v_dual_add_f32 v18, v18, v3 :: v_dual_add_f32 v13, v13, v4
.LBB77_41:                              ;   in Loop: Header=BB77_42 Depth=1
	s_wait_alu 0xfffe
	s_or_b32 exec_lo, exec_lo, s7
	v_add_nc_u32_e32 v11, 4, v11
	v_add_co_u32 v5, s0, v5, 16
	s_wait_alu 0xf1ff
	v_add_co_ci_u32_e64 v6, null, 0, v6, s0
	s_delay_alu instid0(VALU_DEP_3)
	v_cmp_le_i32_e32 vcc_lo, s19, v11
	v_add_nc_u32_e32 v10, 32, v10
	v_add_nc_u32_e32 v19, 0x80, v19
	s_or_b32 s5, vcc_lo, s5
	s_wait_alu 0xfffe
	s_and_not1_b32 exec_lo, exec_lo, s5
	s_cbranch_execz .LBB77_55
.LBB77_42:                              ; =>This Inner Loop Header: Depth=1
	v_sub_nc_u32_e32 v1, 0, v10
	s_delay_alu instid0(VALU_DEP_1) | instskip(NEXT) | instid1(VALU_DEP_1)
	v_max_i32_e32 v1, v10, v1
	v_mul_hi_u32 v2, v1, s18
	s_delay_alu instid0(VALU_DEP_1) | instskip(NEXT) | instid1(VALU_DEP_1)
	v_mul_lo_u32 v3, v2, s12
	v_sub_nc_u32_e32 v1, v1, v3
	v_add_nc_u32_e32 v3, 1, v2
	s_delay_alu instid0(VALU_DEP_2) | instskip(SKIP_2) | instid1(VALU_DEP_2)
	v_subrev_nc_u32_e32 v4, s12, v1
	v_cmp_le_u32_e32 vcc_lo, s12, v1
	s_wait_alu 0xfffd
	v_dual_cndmask_b32 v2, v2, v3 :: v_dual_cndmask_b32 v1, v1, v4
	v_ashrrev_i32_e32 v3, 31, v10
	s_delay_alu instid0(VALU_DEP_2) | instskip(NEXT) | instid1(VALU_DEP_3)
	v_add_nc_u32_e32 v4, 1, v2
	v_cmp_le_u32_e32 vcc_lo, s12, v1
	s_delay_alu instid0(VALU_DEP_3) | instskip(SKIP_1) | instid1(VALU_DEP_3)
	v_xor_b32_e32 v3, s11, v3
	s_wait_alu 0xfffd
	v_cndmask_b32_e32 v1, v2, v4, vcc_lo
	s_delay_alu instid0(VALU_DEP_1) | instskip(NEXT) | instid1(VALU_DEP_1)
	v_xor_b32_e32 v1, v1, v3
	v_sub_nc_u32_e32 v1, v1, v3
	s_delay_alu instid0(VALU_DEP_1) | instskip(SKIP_1) | instid1(VALU_DEP_2)
	v_add_nc_u32_e32 v2, s17, v1
	v_cmp_lt_i32_e64 s0, s3, v1
	v_sub_nc_u32_e32 v3, 0, v2
	s_delay_alu instid0(VALU_DEP_1) | instskip(SKIP_1) | instid1(VALU_DEP_1)
	v_max_i32_e32 v3, v2, v3
	s_wait_alu 0xfffe
	v_mul_hi_u32 v4, v3, s6
	s_delay_alu instid0(VALU_DEP_1) | instskip(NEXT) | instid1(VALU_DEP_1)
	v_mul_lo_u32 v4, v4, s2
	v_sub_nc_u32_e32 v3, v3, v4
	s_delay_alu instid0(VALU_DEP_1) | instskip(SKIP_2) | instid1(VALU_DEP_2)
	v_subrev_nc_u32_e32 v4, s2, v3
	v_cmp_le_u32_e32 vcc_lo, s2, v3
	s_wait_alu 0xfffd
	v_cndmask_b32_e32 v3, v3, v4, vcc_lo
	v_ashrrev_i32_e32 v2, 31, v2
	s_delay_alu instid0(VALU_DEP_2) | instskip(SKIP_2) | instid1(VALU_DEP_2)
	v_subrev_nc_u32_e32 v4, s2, v3
	v_cmp_le_u32_e32 vcc_lo, s2, v3
	s_wait_alu 0xfffd
	v_cndmask_b32_e32 v3, v3, v4, vcc_lo
	s_delay_alu instid0(VALU_DEP_1) | instskip(NEXT) | instid1(VALU_DEP_1)
	v_xor_b32_e32 v3, v3, v2
	v_sub_nc_u32_e32 v2, v3, v2
	s_delay_alu instid0(VALU_DEP_1)
	v_cmp_eq_u32_e32 vcc_lo, 0, v2
	s_or_b32 s0, vcc_lo, s0
	s_wait_alu 0xfffe
	s_and_saveexec_b32 s7, s0
	s_cbranch_execz .LBB77_41
; %bb.43:                               ;   in Loop: Header=BB77_42 Depth=1
	global_load_b32 v7, v[5:6], off
	ds_load_2addr_b64 v[1:4], v19 offset1:1
	ds_load_2addr_b64 v[22:25], v19 offset0:2 offset1:3
	v_add_nc_u32_e32 v28, 1, v10
	v_add_nc_u32_e32 v27, 2, v10
	v_add_nc_u32_e32 v26, 7, v10
	s_wait_dscnt 0x1
	;;#ASMSTART
	v_cvt_f16_f32 v30, v1;

	;;#ASMEND
	;;#ASMSTART
	v_cvt_f16_f32 v29, v2;

	;;#ASMEND
	;; [unrolled: 4-line block ×4, first 2 shown]
	s_wait_dscnt 0x0
	;;#ASMSTART
	v_cvt_f16_f32 v36, v22;

	;;#ASMEND
	;;#ASMSTART
	v_cvt_f16_f32 v32, v23;

	;;#ASMEND
	;; [unrolled: 4-line block ×4, first 2 shown]
	v_add_nc_u32_e32 v24, 3, v10
	v_add_nc_u32_e32 v23, 4, v10
	;; [unrolled: 1-line block ×4, first 2 shown]
	s_wait_loadcnt 0x0
	v_mad_co_i64_i32 v[7:8], null, v7, s4, 0
	s_delay_alu instid0(VALU_DEP_1) | instskip(NEXT) | instid1(VALU_DEP_1)
	v_lshlrev_b64_e32 v[7:8], 1, v[7:8]
	v_add_co_u32 v7, vcc_lo, v20, v7
	s_wait_alu 0xfffd
	s_delay_alu instid0(VALU_DEP_2)
	v_add_co_ci_u32_e64 v8, null, v21, v8, vcc_lo
	v_cmp_eq_u32_e32 vcc_lo, s34, v11
	global_load_b128 v[1:4], v[7:8], off
	s_wait_loadcnt 0x0
	v_lshrrev_b32_e32 v39, 16, v1
	v_lshrrev_b32_e32 v38, 16, v2
	;; [unrolled: 1-line block ×3, first 2 shown]
	s_and_saveexec_b32 s9, vcc_lo
	s_cbranch_execz .LBB77_45
; %bb.44:                               ;   in Loop: Header=BB77_42 Depth=1
	v_cmp_gt_i32_e64 s0, s31, v10
	v_and_b32_e32 v40, 0xffff, v4
	v_and_b32_e32 v4, 0xffff0000, v4
	s_wait_alu 0xf1ff
	s_delay_alu instid0(VALU_DEP_3) | instskip(SKIP_2) | instid1(VALU_DEP_1)
	v_cndmask_b32_e64 v1, 0, v1, s0
	v_cmp_gt_i32_e64 s0, s31, v28
	s_wait_alu 0xf1ff
	v_cndmask_b32_e64 v39, 0, v39, s0
	v_cmp_gt_i32_e64 s0, s31, v27
	s_wait_alu 0xf1ff
	s_delay_alu instid0(VALU_DEP_1) | instskip(SKIP_2) | instid1(VALU_DEP_1)
	v_cndmask_b32_e64 v2, 0, v2, s0
	v_cmp_gt_i32_e64 s0, s31, v24
	s_wait_alu 0xf1ff
	v_cndmask_b32_e64 v38, 0, v38, s0
	v_cmp_gt_i32_e64 s0, s31, v25
	s_wait_alu 0xf1ff
	s_delay_alu instid0(VALU_DEP_1) | instskip(SKIP_2) | instid1(VALU_DEP_1)
	v_cndmask_b32_e64 v40, 0, v40, s0
	v_cmp_gt_i32_e64 s0, s31, v26
	s_wait_alu 0xf1ff
	v_cndmask_b32_e64 v4, 0, v4, s0
	v_cmp_gt_i32_e64 s0, s31, v23
	s_delay_alu instid0(VALU_DEP_2) | instskip(SKIP_1) | instid1(VALU_DEP_2)
	v_or_b32_e32 v4, v40, v4
	s_wait_alu 0xf1ff
	v_cndmask_b32_e64 v3, 0, v3, s0
	v_cmp_gt_i32_e64 s0, s31, v22
	s_wait_alu 0xf1ff
	s_delay_alu instid0(VALU_DEP_1)
	v_cndmask_b32_e64 v37, 0, v37, s0
.LBB77_45:                              ;   in Loop: Header=BB77_42 Depth=1
	s_or_b32 exec_lo, exec_lo, s9
	v_and_b32_e32 v30, 0xffff, v30
	v_and_b32_e32 v35, 0xffff, v35
	v_lshlrev_b32_e32 v39, 16, v39
	v_lshlrev_b32_e32 v37, 16, v37
	v_and_b32_e32 v36, 0xffff, v36
	v_lshl_or_b32 v30, v29, 16, v30
	v_lshl_or_b32 v29, v33, 16, v35
	v_lshlrev_b32_e32 v35, 16, v38
	v_and_b32_e32 v34, 0xffff, v34
	v_and_or_b32 v1, 0xffff, v1, v39
	v_and_or_b32 v3, 0xffff, v3, v37
	;;#ASMSTART
	v_pk_mul_f16 v1, v30, v1;

	;;#ASMEND
	v_and_or_b32 v2, 0xffff, v2, v35
	v_lshl_or_b32 v33, v32, 16, v36
	v_lshl_or_b32 v34, v31, 16, v34
	;;#ASMSTART
	v_pk_mul_f16 v2, v29, v2;

	;;#ASMEND
	;;#ASMSTART
	v_pk_mul_f16 v3, v33, v3;

	;;#ASMEND
	;; [unrolled: 4-line block ×3, first 2 shown]
	;;#ASMSTART
	v_pk_add_f16 v1, v1, v2;

	;;#ASMEND
	;;#ASMSTART
	v_pk_add_f16 v1, v1, v3;

	;;#ASMEND
	;; [unrolled: 4-line block ×3, first 2 shown]
	v_and_b32_e32 v2, 0xffff, v1
	v_lshrrev_b32_e32 v1, 16, v1
	;;#ASMSTART
	v_cvt_f32_f16 v31, v2;
	;;#ASMEND
	;;#ASMSTART
	v_cvt_f32_f16 v32, v1;
	;;#ASMEND
	global_load_b128 v[1:4], v[7:8], off offset:512
	s_wait_loadcnt 0x0
	v_lshrrev_b32_e32 v37, 16, v1
	v_lshrrev_b32_e32 v36, 16, v2
	;; [unrolled: 1-line block ×3, first 2 shown]
	s_and_saveexec_b32 s9, vcc_lo
	s_cbranch_execz .LBB77_47
; %bb.46:                               ;   in Loop: Header=BB77_42 Depth=1
	v_cmp_gt_i32_e64 s0, s31, v10
	v_and_b32_e32 v38, 0xffff, v4
	v_and_b32_e32 v4, 0xffff0000, v4
	s_wait_alu 0xf1ff
	s_delay_alu instid0(VALU_DEP_3) | instskip(SKIP_2) | instid1(VALU_DEP_1)
	v_cndmask_b32_e64 v1, 0, v1, s0
	v_cmp_gt_i32_e64 s0, s31, v28
	s_wait_alu 0xf1ff
	v_cndmask_b32_e64 v37, 0, v37, s0
	v_cmp_gt_i32_e64 s0, s31, v27
	s_wait_alu 0xf1ff
	s_delay_alu instid0(VALU_DEP_1) | instskip(SKIP_2) | instid1(VALU_DEP_1)
	v_cndmask_b32_e64 v2, 0, v2, s0
	v_cmp_gt_i32_e64 s0, s31, v24
	s_wait_alu 0xf1ff
	v_cndmask_b32_e64 v36, 0, v36, s0
	v_cmp_gt_i32_e64 s0, s31, v25
	s_wait_alu 0xf1ff
	s_delay_alu instid0(VALU_DEP_1) | instskip(SKIP_2) | instid1(VALU_DEP_1)
	v_cndmask_b32_e64 v38, 0, v38, s0
	v_cmp_gt_i32_e64 s0, s31, v26
	s_wait_alu 0xf1ff
	v_cndmask_b32_e64 v4, 0, v4, s0
	v_cmp_gt_i32_e64 s0, s31, v23
	s_delay_alu instid0(VALU_DEP_2) | instskip(SKIP_1) | instid1(VALU_DEP_2)
	v_or_b32_e32 v4, v38, v4
	s_wait_alu 0xf1ff
	v_cndmask_b32_e64 v3, 0, v3, s0
	v_cmp_gt_i32_e64 s0, s31, v22
	s_wait_alu 0xf1ff
	s_delay_alu instid0(VALU_DEP_1)
	v_cndmask_b32_e64 v35, 0, v35, s0
.LBB77_47:                              ;   in Loop: Header=BB77_42 Depth=1
	s_or_b32 exec_lo, exec_lo, s9
	v_lshlrev_b32_e32 v37, 16, v37
	v_lshlrev_b32_e32 v36, 16, v36
	s_delay_alu instid0(VALU_DEP_3) | instskip(NEXT) | instid1(VALU_DEP_3)
	v_lshlrev_b32_e32 v35, 16, v35
	v_and_or_b32 v1, 0xffff, v1, v37
	s_delay_alu instid0(VALU_DEP_3) | instskip(NEXT) | instid1(VALU_DEP_3)
	v_and_or_b32 v2, 0xffff, v2, v36
	v_and_or_b32 v3, 0xffff, v3, v35
	;;#ASMSTART
	v_pk_mul_f16 v1, v30, v1;

	;;#ASMEND
	;;#ASMSTART
	v_pk_mul_f16 v2, v29, v2;

	;;#ASMEND
	;; [unrolled: 4-line block ×4, first 2 shown]
	;;#ASMSTART
	v_pk_add_f16 v1, v1, v2;

	;;#ASMEND
	;;#ASMSTART
	v_pk_add_f16 v1, v1, v3;

	;;#ASMEND
	;;#ASMSTART
	v_pk_add_f16 v1, v1, v4;

	;;#ASMEND
	v_and_b32_e32 v2, 0xffff, v1
	v_lshrrev_b32_e32 v1, 16, v1
	;;#ASMSTART
	v_cvt_f32_f16 v35, v2;
	;;#ASMEND
	;;#ASMSTART
	v_cvt_f32_f16 v36, v1;
	;;#ASMEND
	global_load_b128 v[1:4], v[7:8], off offset:1024
	s_wait_loadcnt 0x0
	v_lshrrev_b32_e32 v39, 16, v1
	v_lshrrev_b32_e32 v38, 16, v2
	;; [unrolled: 1-line block ×3, first 2 shown]
	s_and_saveexec_b32 s9, vcc_lo
	s_cbranch_execz .LBB77_49
; %bb.48:                               ;   in Loop: Header=BB77_42 Depth=1
	v_cmp_gt_i32_e64 s0, s31, v10
	v_and_b32_e32 v40, 0xffff, v4
	v_and_b32_e32 v4, 0xffff0000, v4
	s_wait_alu 0xf1ff
	s_delay_alu instid0(VALU_DEP_3) | instskip(SKIP_2) | instid1(VALU_DEP_1)
	v_cndmask_b32_e64 v1, 0, v1, s0
	v_cmp_gt_i32_e64 s0, s31, v28
	s_wait_alu 0xf1ff
	v_cndmask_b32_e64 v39, 0, v39, s0
	v_cmp_gt_i32_e64 s0, s31, v27
	s_wait_alu 0xf1ff
	s_delay_alu instid0(VALU_DEP_1) | instskip(SKIP_2) | instid1(VALU_DEP_1)
	v_cndmask_b32_e64 v2, 0, v2, s0
	v_cmp_gt_i32_e64 s0, s31, v24
	s_wait_alu 0xf1ff
	v_cndmask_b32_e64 v38, 0, v38, s0
	v_cmp_gt_i32_e64 s0, s31, v25
	s_wait_alu 0xf1ff
	s_delay_alu instid0(VALU_DEP_1) | instskip(SKIP_2) | instid1(VALU_DEP_1)
	v_cndmask_b32_e64 v40, 0, v40, s0
	v_cmp_gt_i32_e64 s0, s31, v26
	s_wait_alu 0xf1ff
	v_cndmask_b32_e64 v4, 0, v4, s0
	v_cmp_gt_i32_e64 s0, s31, v23
	s_delay_alu instid0(VALU_DEP_2) | instskip(SKIP_1) | instid1(VALU_DEP_2)
	v_or_b32_e32 v4, v40, v4
	s_wait_alu 0xf1ff
	v_cndmask_b32_e64 v3, 0, v3, s0
	v_cmp_gt_i32_e64 s0, s31, v22
	s_wait_alu 0xf1ff
	s_delay_alu instid0(VALU_DEP_1)
	v_cndmask_b32_e64 v37, 0, v37, s0
.LBB77_49:                              ;   in Loop: Header=BB77_42 Depth=1
	s_or_b32 exec_lo, exec_lo, s9
	v_lshlrev_b32_e32 v39, 16, v39
	v_lshlrev_b32_e32 v38, 16, v38
	s_delay_alu instid0(VALU_DEP_3) | instskip(NEXT) | instid1(VALU_DEP_3)
	v_lshlrev_b32_e32 v37, 16, v37
	v_and_or_b32 v1, 0xffff, v1, v39
	s_delay_alu instid0(VALU_DEP_3) | instskip(NEXT) | instid1(VALU_DEP_3)
	v_and_or_b32 v2, 0xffff, v2, v38
	v_and_or_b32 v3, 0xffff, v3, v37
	;;#ASMSTART
	v_pk_mul_f16 v1, v30, v1;

	;;#ASMEND
	;;#ASMSTART
	v_pk_mul_f16 v2, v29, v2;

	;;#ASMEND
	;; [unrolled: 4-line block ×4, first 2 shown]
	;;#ASMSTART
	v_pk_add_f16 v1, v1, v2;

	;;#ASMEND
	;;#ASMSTART
	v_pk_add_f16 v1, v1, v3;

	;;#ASMEND
	;; [unrolled: 4-line block ×3, first 2 shown]
	v_and_b32_e32 v2, 0xffff, v1
	v_lshrrev_b32_e32 v1, 16, v1
	;;#ASMSTART
	v_cvt_f32_f16 v37, v2;
	;;#ASMEND
	;;#ASMSTART
	v_cvt_f32_f16 v38, v1;
	;;#ASMEND
	global_load_b128 v[1:4], v[7:8], off offset:1536
	s_wait_loadcnt 0x0
	v_lshrrev_b32_e32 v41, 16, v1
	v_lshrrev_b32_e32 v40, 16, v2
	;; [unrolled: 1-line block ×3, first 2 shown]
	s_and_saveexec_b32 s9, vcc_lo
	s_cbranch_execz .LBB77_51
; %bb.50:                               ;   in Loop: Header=BB77_42 Depth=1
	v_cmp_gt_i32_e64 s0, s31, v10
	v_and_b32_e32 v42, 0xffff, v4
	v_and_b32_e32 v4, 0xffff0000, v4
	s_wait_alu 0xf1ff
	s_delay_alu instid0(VALU_DEP_3) | instskip(SKIP_2) | instid1(VALU_DEP_1)
	v_cndmask_b32_e64 v1, 0, v1, s0
	v_cmp_gt_i32_e64 s0, s31, v28
	s_wait_alu 0xf1ff
	v_cndmask_b32_e64 v41, 0, v41, s0
	v_cmp_gt_i32_e64 s0, s31, v27
	s_wait_alu 0xf1ff
	s_delay_alu instid0(VALU_DEP_1) | instskip(SKIP_2) | instid1(VALU_DEP_1)
	v_cndmask_b32_e64 v2, 0, v2, s0
	v_cmp_gt_i32_e64 s0, s31, v24
	s_wait_alu 0xf1ff
	v_cndmask_b32_e64 v40, 0, v40, s0
	v_cmp_gt_i32_e64 s0, s31, v25
	s_wait_alu 0xf1ff
	s_delay_alu instid0(VALU_DEP_1) | instskip(SKIP_2) | instid1(VALU_DEP_1)
	v_cndmask_b32_e64 v42, 0, v42, s0
	v_cmp_gt_i32_e64 s0, s31, v26
	s_wait_alu 0xf1ff
	v_cndmask_b32_e64 v4, 0, v4, s0
	v_cmp_gt_i32_e64 s0, s31, v23
	s_delay_alu instid0(VALU_DEP_2) | instskip(SKIP_1) | instid1(VALU_DEP_2)
	v_or_b32_e32 v4, v42, v4
	s_wait_alu 0xf1ff
	v_cndmask_b32_e64 v3, 0, v3, s0
	v_cmp_gt_i32_e64 s0, s31, v22
	s_wait_alu 0xf1ff
	s_delay_alu instid0(VALU_DEP_1)
	v_cndmask_b32_e64 v39, 0, v39, s0
.LBB77_51:                              ;   in Loop: Header=BB77_42 Depth=1
	s_or_b32 exec_lo, exec_lo, s9
	v_lshlrev_b32_e32 v41, 16, v41
	v_lshlrev_b32_e32 v40, 16, v40
	s_delay_alu instid0(VALU_DEP_3) | instskip(NEXT) | instid1(VALU_DEP_3)
	v_lshlrev_b32_e32 v39, 16, v39
	v_and_or_b32 v1, 0xffff, v1, v41
	s_delay_alu instid0(VALU_DEP_3) | instskip(NEXT) | instid1(VALU_DEP_3)
	v_and_or_b32 v2, 0xffff, v2, v40
	v_and_or_b32 v3, 0xffff, v3, v39
	;;#ASMSTART
	v_pk_mul_f16 v1, v30, v1;

	;;#ASMEND
	;;#ASMSTART
	v_pk_mul_f16 v2, v29, v2;

	;;#ASMEND
	;; [unrolled: 4-line block ×4, first 2 shown]
	;;#ASMSTART
	v_pk_add_f16 v1, v1, v2;

	;;#ASMEND
	;;#ASMSTART
	v_pk_add_f16 v1, v1, v3;

	;;#ASMEND
	;; [unrolled: 4-line block ×3, first 2 shown]
	v_and_b32_e32 v2, 0xffff, v1
	v_lshrrev_b32_e32 v1, 16, v1
	;;#ASMSTART
	v_cvt_f32_f16 v39, v2;
	;;#ASMEND
	;;#ASMSTART
	v_cvt_f32_f16 v40, v1;
	;;#ASMEND
	global_load_b128 v[1:4], v[7:8], off offset:2048
	s_wait_loadcnt 0x0
	v_lshrrev_b32_e32 v43, 16, v1
	v_lshrrev_b32_e32 v42, 16, v2
	;; [unrolled: 1-line block ×3, first 2 shown]
	s_and_saveexec_b32 s9, vcc_lo
	s_cbranch_execz .LBB77_53
; %bb.52:                               ;   in Loop: Header=BB77_42 Depth=1
	v_cmp_gt_i32_e64 s0, s31, v10
	v_and_b32_e32 v44, 0xffff, v4
	v_and_b32_e32 v4, 0xffff0000, v4
	s_wait_alu 0xf1ff
	s_delay_alu instid0(VALU_DEP_3) | instskip(SKIP_2) | instid1(VALU_DEP_1)
	v_cndmask_b32_e64 v1, 0, v1, s0
	v_cmp_gt_i32_e64 s0, s31, v28
	s_wait_alu 0xf1ff
	v_cndmask_b32_e64 v43, 0, v43, s0
	v_cmp_gt_i32_e64 s0, s31, v27
	s_wait_alu 0xf1ff
	s_delay_alu instid0(VALU_DEP_1) | instskip(SKIP_2) | instid1(VALU_DEP_1)
	v_cndmask_b32_e64 v2, 0, v2, s0
	v_cmp_gt_i32_e64 s0, s31, v24
	s_wait_alu 0xf1ff
	v_cndmask_b32_e64 v42, 0, v42, s0
	v_cmp_gt_i32_e64 s0, s31, v25
	s_wait_alu 0xf1ff
	s_delay_alu instid0(VALU_DEP_1) | instskip(SKIP_2) | instid1(VALU_DEP_1)
	v_cndmask_b32_e64 v44, 0, v44, s0
	v_cmp_gt_i32_e64 s0, s31, v26
	s_wait_alu 0xf1ff
	v_cndmask_b32_e64 v4, 0, v4, s0
	v_cmp_gt_i32_e64 s0, s31, v23
	s_delay_alu instid0(VALU_DEP_2) | instskip(SKIP_1) | instid1(VALU_DEP_2)
	v_or_b32_e32 v4, v44, v4
	s_wait_alu 0xf1ff
	v_cndmask_b32_e64 v3, 0, v3, s0
	v_cmp_gt_i32_e64 s0, s31, v22
	s_wait_alu 0xf1ff
	s_delay_alu instid0(VALU_DEP_1)
	v_cndmask_b32_e64 v41, 0, v41, s0
.LBB77_53:                              ;   in Loop: Header=BB77_42 Depth=1
	s_or_b32 exec_lo, exec_lo, s9
	v_lshlrev_b32_e32 v43, 16, v43
	v_lshlrev_b32_e32 v42, 16, v42
	s_delay_alu instid0(VALU_DEP_3) | instskip(NEXT) | instid1(VALU_DEP_3)
	v_lshlrev_b32_e32 v41, 16, v41
	v_and_or_b32 v1, 0xffff, v1, v43
	s_delay_alu instid0(VALU_DEP_3) | instskip(NEXT) | instid1(VALU_DEP_3)
	v_and_or_b32 v2, 0xffff, v2, v42
	v_and_or_b32 v3, 0xffff, v3, v41
	;;#ASMSTART
	v_pk_mul_f16 v1, v30, v1;

	;;#ASMEND
	;;#ASMSTART
	v_pk_mul_f16 v2, v29, v2;

	;;#ASMEND
	;; [unrolled: 4-line block ×4, first 2 shown]
	;;#ASMSTART
	v_pk_add_f16 v1, v1, v2;

	;;#ASMEND
	;;#ASMSTART
	v_pk_add_f16 v1, v1, v3;

	;;#ASMEND
	;; [unrolled: 4-line block ×3, first 2 shown]
	v_and_b32_e32 v2, 0xffff, v1
	v_lshrrev_b32_e32 v1, 16, v1
	;;#ASMSTART
	v_cvt_f32_f16 v41, v2;
	;;#ASMEND
	;;#ASMSTART
	v_cvt_f32_f16 v42, v1;
	;;#ASMEND
	global_load_b128 v[1:4], v[7:8], off offset:2560
	s_wait_loadcnt 0x0
	v_lshrrev_b32_e32 v43, 16, v1
	v_lshrrev_b32_e32 v8, 16, v2
	;; [unrolled: 1-line block ×3, first 2 shown]
	s_and_saveexec_b32 s0, vcc_lo
	s_cbranch_execz .LBB77_40
; %bb.54:                               ;   in Loop: Header=BB77_42 Depth=1
	v_cmp_gt_i32_e32 vcc_lo, s31, v10
	s_wait_alu 0xfffd
	v_cndmask_b32_e32 v1, 0, v1, vcc_lo
	v_cmp_gt_i32_e32 vcc_lo, s31, v28
	s_wait_alu 0xfffd
	v_cndmask_b32_e32 v43, 0, v43, vcc_lo
	v_cmp_gt_i32_e32 vcc_lo, s31, v27
	v_and_b32_e32 v27, 0xffff, v4
	v_and_b32_e32 v4, 0xffff0000, v4
	s_wait_alu 0xfffd
	v_cndmask_b32_e32 v2, 0, v2, vcc_lo
	v_cmp_gt_i32_e32 vcc_lo, s31, v24
	s_wait_alu 0xfffd
	v_cndmask_b32_e32 v8, 0, v8, vcc_lo
	v_cmp_gt_i32_e32 vcc_lo, s31, v25
	;; [unrolled: 3-line block ×5, first 2 shown]
	s_wait_alu 0xfffd
	v_cndmask_b32_e32 v7, 0, v7, vcc_lo
	v_or_b32_e32 v4, v24, v4
	s_branch .LBB77_40
.LBB77_55:
	s_or_b32 exec_lo, exec_lo, s5
.LBB77_56:
	s_wait_alu 0xfffe
	s_or_b32 exec_lo, exec_lo, s1
	v_lshl_add_u32 v2, v12, 2, 0x1a0
	v_and_b32_e32 v3, 0x3c0, v0
	s_mov_b32 s0, exec_lo
	s_wait_loadcnt 0x0
	s_wait_storecnt 0x0
	s_barrier_signal -1
	v_mad_u32_u24 v1, 0x300, v9, v2
	s_barrier_wait -1
	global_inv scope:SCOPE_SE
	v_cmpx_eq_u32_e32 64, v3
	s_cbranch_execz .LBB77_58
; %bb.57:
	v_add_nc_u32_e32 v3, 0xfffffa00, v1
	v_add_nc_u32_e32 v4, 0xfffffa80, v1
	;; [unrolled: 1-line block ×6, first 2 shown]
	ds_store_b32 v3, v18
	ds_store_b32 v4, v17
	;; [unrolled: 1-line block ×6, first 2 shown]
.LBB77_58:
	s_wait_alu 0xfffe
	s_or_b32 exec_lo, exec_lo, s0
	s_delay_alu instid0(SALU_CYCLE_1)
	s_mov_b32 s0, exec_lo
	s_wait_loadcnt_dscnt 0x0
	s_barrier_signal -1
	s_barrier_wait -1
	global_inv scope:SCOPE_SE
	v_cmpx_gt_u32_e32 64, v0
	s_cbranch_execz .LBB77_60
; %bb.59:
	ds_load_2addr_b32 v[3:4], v1 offset1:32
	ds_load_2addr_b32 v[5:6], v1 offset0:64 offset1:96
	ds_load_2addr_b32 v[7:8], v1 offset0:128 offset1:160
	s_wait_dscnt 0x2
	v_dual_add_f32 v18, v18, v3 :: v_dual_add_f32 v17, v17, v4
	s_wait_dscnt 0x1
	v_dual_add_f32 v16, v16, v5 :: v_dual_add_f32 v15, v15, v6
	;; [unrolled: 2-line block ×3, first 2 shown]
.LBB77_60:
	s_wait_alu 0xfffe
	s_or_b32 exec_lo, exec_lo, s0
	v_and_b32_e32 v3, 0x3e0, v0
	s_mov_b32 s0, exec_lo
	s_wait_loadcnt 0x0
	s_barrier_signal -1
	s_barrier_wait -1
	global_inv scope:SCOPE_SE
	v_cmpx_eq_u32_e32 32, v3
	s_cbranch_execz .LBB77_62
; %bb.61:
	ds_store_2addr_b32 v2, v18, v17 offset1:32
	ds_store_2addr_b32 v2, v16, v15 offset0:64 offset1:96
	ds_store_2addr_b32 v2, v14, v13 offset0:128 offset1:160
.LBB77_62:
	s_wait_alu 0xfffe
	s_or_b32 exec_lo, exec_lo, s0
	v_cmp_gt_u32_e32 vcc_lo, 32, v0
	s_wait_loadcnt_dscnt 0x0
	s_barrier_signal -1
	s_barrier_wait -1
	global_inv scope:SCOPE_SE
	s_and_saveexec_b32 s0, vcc_lo
	s_cbranch_execz .LBB77_64
; %bb.63:
	ds_load_2addr_b32 v[2:3], v1 offset1:32
	ds_load_2addr_b32 v[4:5], v1 offset0:64 offset1:96
	ds_load_2addr_b32 v[6:7], v1 offset0:128 offset1:160
	s_wait_dscnt 0x2
	v_dual_add_f32 v18, v18, v2 :: v_dual_add_f32 v17, v17, v3
	s_wait_dscnt 0x1
	v_dual_add_f32 v16, v16, v4 :: v_dual_add_f32 v15, v15, v5
	;; [unrolled: 2-line block ×3, first 2 shown]
.LBB77_64:
	s_wait_alu 0xfffe
	s_or_b32 exec_lo, exec_lo, s0
	s_wait_loadcnt 0x0
	s_barrier_signal -1
	s_barrier_wait -1
	global_inv scope:SCOPE_SE
	s_and_saveexec_b32 s0, vcc_lo
	s_cbranch_execz .LBB77_66
; %bb.65:
	s_mul_i32 s0, s26, 0xc0
	s_mul_i32 s2, s8, s16
	s_wait_alu 0xfffe
	s_ashr_i32 s1, s0, 31
	s_ashr_i32 s3, s2, 31
	s_wait_alu 0xfffe
	s_lshl_b64 s[0:1], s[0:1], 1
	s_lshl_b64 s[2:3], s[2:3], 1
	s_wait_kmcnt 0x0
	s_wait_alu 0xfffe
	s_add_nc_u64 s[0:1], s[14:15], s[0:1]
	v_lshlrev_b32_e32 v0, 1, v0
	s_mul_i32 s4, s30, 0x180
	s_wait_alu 0xfffe
	s_add_nc_u64 s[0:1], s[0:1], s[2:3]
	s_mov_b32 s5, 0
	;;#ASMSTART
	v_cvt_f16_f32 v1, v18;

	;;#ASMEND
	s_wait_alu 0xfffe
	s_add_nc_u64 s[0:1], s[0:1], s[4:5]
	global_store_b16 v0, v1, s[0:1]
	;;#ASMSTART
	v_cvt_f16_f32 v1, v17;

	;;#ASMEND
	global_store_b16 v0, v1, s[0:1] offset:64
	;;#ASMSTART
	v_cvt_f16_f32 v1, v16;

	;;#ASMEND
	global_store_b16 v0, v1, s[0:1] offset:128
	;; [unrolled: 5-line block ×5, first 2 shown]
.LBB77_66:
	s_nop 0
	s_sendmsg sendmsg(MSG_DEALLOC_VGPRS)
	s_endpgm
	.section	.rodata,"a",@progbits
	.p2align	6, 0x0
	.amdhsa_kernel _ZN4vllm25paged_attention_v2_kernelIttLi192ELi8ELi128ELNS_18Fp8KVCacheDataTypeE0ELb1ELi512EEEvPfS2_PT_PKS3_PKT0_S9_ifPKiSB_iPKfiiiSD_SD_iiiii
		.amdhsa_group_segment_fixed_size 416
		.amdhsa_private_segment_fixed_size 0
		.amdhsa_kernarg_size 400
		.amdhsa_user_sgpr_count 2
		.amdhsa_user_sgpr_dispatch_ptr 0
		.amdhsa_user_sgpr_queue_ptr 0
		.amdhsa_user_sgpr_kernarg_segment_ptr 1
		.amdhsa_user_sgpr_dispatch_id 0
		.amdhsa_user_sgpr_private_segment_size 0
		.amdhsa_wavefront_size32 1
		.amdhsa_uses_dynamic_stack 0
		.amdhsa_enable_private_segment 0
		.amdhsa_system_sgpr_workgroup_id_x 1
		.amdhsa_system_sgpr_workgroup_id_y 1
		.amdhsa_system_sgpr_workgroup_id_z 1
		.amdhsa_system_sgpr_workgroup_info 0
		.amdhsa_system_vgpr_workitem_id 0
		.amdhsa_next_free_vgpr 102
		.amdhsa_next_free_sgpr 42
		.amdhsa_reserve_vcc 1
		.amdhsa_float_round_mode_32 0
		.amdhsa_float_round_mode_16_64 0
		.amdhsa_float_denorm_mode_32 3
		.amdhsa_float_denorm_mode_16_64 3
		.amdhsa_fp16_overflow 0
		.amdhsa_workgroup_processor_mode 1
		.amdhsa_memory_ordered 1
		.amdhsa_forward_progress 1
		.amdhsa_inst_pref_size 61
		.amdhsa_round_robin_scheduling 0
		.amdhsa_exception_fp_ieee_invalid_op 0
		.amdhsa_exception_fp_denorm_src 0
		.amdhsa_exception_fp_ieee_div_zero 0
		.amdhsa_exception_fp_ieee_overflow 0
		.amdhsa_exception_fp_ieee_underflow 0
		.amdhsa_exception_fp_ieee_inexact 0
		.amdhsa_exception_int_div_zero 0
	.end_amdhsa_kernel
	.section	.text._ZN4vllm25paged_attention_v2_kernelIttLi192ELi8ELi128ELNS_18Fp8KVCacheDataTypeE0ELb1ELi512EEEvPfS2_PT_PKS3_PKT0_S9_ifPKiSB_iPKfiiiSD_SD_iiiii,"axG",@progbits,_ZN4vllm25paged_attention_v2_kernelIttLi192ELi8ELi128ELNS_18Fp8KVCacheDataTypeE0ELb1ELi512EEEvPfS2_PT_PKS3_PKT0_S9_ifPKiSB_iPKfiiiSD_SD_iiiii,comdat
.Lfunc_end77:
	.size	_ZN4vllm25paged_attention_v2_kernelIttLi192ELi8ELi128ELNS_18Fp8KVCacheDataTypeE0ELb1ELi512EEEvPfS2_PT_PKS3_PKT0_S9_ifPKiSB_iPKfiiiSD_SD_iiiii, .Lfunc_end77-_ZN4vllm25paged_attention_v2_kernelIttLi192ELi8ELi128ELNS_18Fp8KVCacheDataTypeE0ELb1ELi512EEEvPfS2_PT_PKS3_PKT0_S9_ifPKiSB_iPKfiiiSD_SD_iiiii
                                        ; -- End function
	.set _ZN4vllm25paged_attention_v2_kernelIttLi192ELi8ELi128ELNS_18Fp8KVCacheDataTypeE0ELb1ELi512EEEvPfS2_PT_PKS3_PKT0_S9_ifPKiSB_iPKfiiiSD_SD_iiiii.num_vgpr, 102
	.set _ZN4vllm25paged_attention_v2_kernelIttLi192ELi8ELi128ELNS_18Fp8KVCacheDataTypeE0ELb1ELi512EEEvPfS2_PT_PKS3_PKT0_S9_ifPKiSB_iPKfiiiSD_SD_iiiii.num_agpr, 0
	.set _ZN4vllm25paged_attention_v2_kernelIttLi192ELi8ELi128ELNS_18Fp8KVCacheDataTypeE0ELb1ELi512EEEvPfS2_PT_PKS3_PKT0_S9_ifPKiSB_iPKfiiiSD_SD_iiiii.numbered_sgpr, 42
	.set _ZN4vllm25paged_attention_v2_kernelIttLi192ELi8ELi128ELNS_18Fp8KVCacheDataTypeE0ELb1ELi512EEEvPfS2_PT_PKS3_PKT0_S9_ifPKiSB_iPKfiiiSD_SD_iiiii.num_named_barrier, 0
	.set _ZN4vllm25paged_attention_v2_kernelIttLi192ELi8ELi128ELNS_18Fp8KVCacheDataTypeE0ELb1ELi512EEEvPfS2_PT_PKS3_PKT0_S9_ifPKiSB_iPKfiiiSD_SD_iiiii.private_seg_size, 0
	.set _ZN4vllm25paged_attention_v2_kernelIttLi192ELi8ELi128ELNS_18Fp8KVCacheDataTypeE0ELb1ELi512EEEvPfS2_PT_PKS3_PKT0_S9_ifPKiSB_iPKfiiiSD_SD_iiiii.uses_vcc, 1
	.set _ZN4vllm25paged_attention_v2_kernelIttLi192ELi8ELi128ELNS_18Fp8KVCacheDataTypeE0ELb1ELi512EEEvPfS2_PT_PKS3_PKT0_S9_ifPKiSB_iPKfiiiSD_SD_iiiii.uses_flat_scratch, 0
	.set _ZN4vllm25paged_attention_v2_kernelIttLi192ELi8ELi128ELNS_18Fp8KVCacheDataTypeE0ELb1ELi512EEEvPfS2_PT_PKS3_PKT0_S9_ifPKiSB_iPKfiiiSD_SD_iiiii.has_dyn_sized_stack, 0
	.set _ZN4vllm25paged_attention_v2_kernelIttLi192ELi8ELi128ELNS_18Fp8KVCacheDataTypeE0ELb1ELi512EEEvPfS2_PT_PKS3_PKT0_S9_ifPKiSB_iPKfiiiSD_SD_iiiii.has_recursion, 0
	.set _ZN4vllm25paged_attention_v2_kernelIttLi192ELi8ELi128ELNS_18Fp8KVCacheDataTypeE0ELb1ELi512EEEvPfS2_PT_PKS3_PKT0_S9_ifPKiSB_iPKfiiiSD_SD_iiiii.has_indirect_call, 0
	.section	.AMDGPU.csdata,"",@progbits
; Kernel info:
; codeLenInByte = 7764
; TotalNumSgprs: 44
; NumVgprs: 102
; ScratchSize: 0
; MemoryBound: 0
; FloatMode: 240
; IeeeMode: 1
; LDSByteSize: 416 bytes/workgroup (compile time only)
; SGPRBlocks: 0
; VGPRBlocks: 12
; NumSGPRsForWavesPerEU: 44
; NumVGPRsForWavesPerEU: 102
; Occupancy: 12
; WaveLimiterHint : 1
; COMPUTE_PGM_RSRC2:SCRATCH_EN: 0
; COMPUTE_PGM_RSRC2:USER_SGPR: 2
; COMPUTE_PGM_RSRC2:TRAP_HANDLER: 0
; COMPUTE_PGM_RSRC2:TGID_X_EN: 1
; COMPUTE_PGM_RSRC2:TGID_Y_EN: 1
; COMPUTE_PGM_RSRC2:TGID_Z_EN: 1
; COMPUTE_PGM_RSRC2:TIDIG_COMP_CNT: 0
	.section	.text._ZN4vllm32paged_attention_v2_reduce_kernelItLi192ELi128ELi512EEEvPT_PKfS4_PKS1_PKii,"axG",@progbits,_ZN4vllm32paged_attention_v2_reduce_kernelItLi192ELi128ELi512EEEvPT_PKfS4_PKS1_PKii,comdat
	.protected	_ZN4vllm32paged_attention_v2_reduce_kernelItLi192ELi128ELi512EEEvPT_PKfS4_PKS1_PKii ; -- Begin function _ZN4vllm32paged_attention_v2_reduce_kernelItLi192ELi128ELi512EEEvPT_PKfS4_PKS1_PKii
	.globl	_ZN4vllm32paged_attention_v2_reduce_kernelItLi192ELi128ELi512EEEvPT_PKfS4_PKS1_PKii
	.p2align	8
	.type	_ZN4vllm32paged_attention_v2_reduce_kernelItLi192ELi128ELi512EEEvPT_PKfS4_PKS1_PKii,@function
_ZN4vllm32paged_attention_v2_reduce_kernelItLi192ELi128ELi512EEEvPT_PKfS4_PKS1_PKii: ; @_ZN4vllm32paged_attention_v2_reduce_kernelItLi192ELi128ELi512EEEvPT_PKfS4_PKS1_PKii
; %bb.0:
	s_load_b128 s[4:7], s[0:1], 0x18
	s_mov_b32 s2, ttmp7
	s_ashr_i32 s3, ttmp7, 31
	s_add_nc_u64 s[8:9], s[0:1], 48
	s_lshl_b64 s[2:3], s[2:3], 2
	s_wait_kmcnt 0x0
	s_add_nc_u64 s[2:3], s[6:7], s[2:3]
	s_load_b32 s18, s[2:3], 0x0
	s_clause 0x2
	s_load_b64 s[6:7], s[0:1], 0x0
	s_load_b32 s14, s[0:1], 0x28
	s_load_b32 s15, s[0:1], 0x30
	s_wait_kmcnt 0x0
	s_add_co_i32 s2, s18, -1
	s_delay_alu instid0(SALU_CYCLE_1)
	s_cmp_gt_u32 s2, 0x1ff
	s_mov_b32 s2, -1
	s_cbranch_scc0 .LBB78_31
; %bb.1:
	s_add_co_i32 s2, s18, 0x1ff
	s_mul_i32 s16, s15, ttmp7
	s_ashr_i32 s3, s2, 31
	v_dual_mov_b32 v4, 0xff7fffff :: v_dual_lshlrev_b32 v3, 2, v0
	s_lshr_b32 s3, s3, 23
	s_mul_i32 s10, s16, s14
	s_add_co_i32 s2, s2, s3
	s_mul_i32 s12, s14, ttmp9
	s_ashr_i32 s17, s2, 9
	s_ashr_i32 s11, s10, 31
	v_cmp_gt_i32_e32 vcc_lo, s17, v0
	s_ashr_i32 s13, s12, 31
	s_and_saveexec_b32 s3, vcc_lo
	s_cbranch_execz .LBB78_5
; %bb.2:
	s_load_b64 s[20:21], s[0:1], 0x10
	s_load_b32 s2, s[8:9], 0xc
	s_lshl_b64 s[22:23], s[10:11], 2
	s_lshl_b64 s[24:25], s[12:13], 2
	v_dual_mov_b32 v4, 0xff7fffff :: v_dual_add_nc_u32 v5, 32, v3
	s_add_nc_u64 s[22:23], s[22:23], s[24:25]
	v_mov_b32_e32 v6, v0
	s_wait_kmcnt 0x0
	s_add_nc_u64 s[20:21], s[20:21], s[22:23]
	s_delay_alu instid0(SALU_CYCLE_1) | instskip(NEXT) | instid1(VALU_DEP_1)
	v_add_co_u32 v1, s19, s20, v3
	v_add_co_ci_u32_e64 v2, null, s21, 0, s19
	s_and_b32 s20, s2, 0xffff
	s_mov_b32 s19, 0
	s_wait_alu 0xfffe
	s_lshl_b32 s21, s20, 2
.LBB78_3:                               ; =>This Inner Loop Header: Depth=1
	global_load_b32 v7, v[1:2], off
	v_add_nc_u32_e32 v6, s20, v6
	v_max_num_f32_e32 v4, v4, v4
	s_wait_alu 0xfffe
	v_add_co_u32 v1, s2, v1, s21
	s_wait_alu 0xf1ff
	v_add_co_ci_u32_e64 v2, null, 0, v2, s2
	v_cmp_le_i32_e64 s2, s17, v6
	s_or_b32 s19, s2, s19
	s_wait_loadcnt 0x0
	v_max_num_f32_e32 v8, v7, v7
	ds_store_b32 v5, v7
	v_dual_max_num_f32 v4, v4, v8 :: v_dual_add_nc_u32 v5, s21, v5
	s_wait_alu 0xfffe
	s_and_not1_b32 exec_lo, exec_lo, s19
	s_cbranch_execnz .LBB78_3
; %bb.4:
	s_or_b32 exec_lo, exec_lo, s19
.LBB78_5:
	s_delay_alu instid0(SALU_CYCLE_1)
	s_or_b32 exec_lo, exec_lo, s3
	v_mbcnt_lo_u32_b32 v1, -1, 0
	s_load_b64 s[2:3], s[0:1], 0x8
	s_wait_dscnt 0x0
	s_barrier_signal -1
	s_barrier_wait -1
	v_xor_b32_e32 v2, 16, v1
	v_xor_b32_e32 v5, 8, v1
	global_inv scope:SCOPE_SE
	v_cmp_gt_i32_e64 s0, 32, v2
	s_delay_alu instid0(VALU_DEP_1) | instskip(SKIP_1) | instid1(VALU_DEP_2)
	v_cndmask_b32_e64 v2, v1, v2, s0
	v_cmp_gt_i32_e64 s0, 32, v5
	v_lshlrev_b32_e32 v6, 2, v2
	s_wait_alu 0xf1ff
	s_delay_alu instid0(VALU_DEP_2) | instskip(SKIP_3) | instid1(VALU_DEP_1)
	v_cndmask_b32_e64 v5, v1, v5, s0
	ds_bpermute_b32 v2, v6, v4
	v_dual_max_num_f32 v4, v4, v4 :: v_dual_lshlrev_b32 v7, 2, v5
	v_xor_b32_e32 v5, 4, v1
	v_cmp_gt_i32_e64 s0, 32, v5
	s_wait_alu 0xf1ff
	s_delay_alu instid0(VALU_DEP_1) | instskip(NEXT) | instid1(VALU_DEP_1)
	v_cndmask_b32_e64 v5, v1, v5, s0
	v_lshlrev_b32_e32 v8, 2, v5
	v_xor_b32_e32 v5, 2, v1
	s_wait_dscnt 0x0
	v_max_num_f32_e32 v2, v2, v2
	s_delay_alu instid0(VALU_DEP_2) | instskip(NEXT) | instid1(VALU_DEP_2)
	v_cmp_gt_i32_e64 s0, 32, v5
	v_max_num_f32_e32 v2, v4, v2
	s_wait_alu 0xf1ff
	s_delay_alu instid0(VALU_DEP_2) | instskip(SKIP_3) | instid1(VALU_DEP_1)
	v_cndmask_b32_e64 v5, v1, v5, s0
	ds_bpermute_b32 v4, v7, v2
	s_wait_dscnt 0x0
	v_max_num_f32_e32 v4, v4, v4
	v_max_num_f32_e32 v2, v2, v4
	ds_bpermute_b32 v4, v8, v2
	s_wait_dscnt 0x0
	v_dual_max_num_f32 v9, v4, v4 :: v_dual_lshlrev_b32 v4, 2, v5
	s_delay_alu instid0(VALU_DEP_1) | instskip(SKIP_4) | instid1(VALU_DEP_1)
	v_max_num_f32_e32 v2, v2, v9
	v_xor_b32_e32 v9, 1, v1
	ds_bpermute_b32 v5, v4, v2
	v_cmp_gt_i32_e64 s0, 32, v9
	s_wait_alu 0xf1ff
	v_cndmask_b32_e64 v1, v1, v9, s0
	v_lshrrev_b32_e32 v9, 5, v0
	s_delay_alu instid0(VALU_DEP_1) | instskip(SKIP_2) | instid1(VALU_DEP_1)
	v_lshlrev_b32_e32 v9, 2, v9
	s_wait_dscnt 0x0
	v_max_num_f32_e32 v5, v5, v5
	v_max_num_f32_e32 v2, v2, v5
	v_lshlrev_b32_e32 v5, 2, v1
	v_and_b32_e32 v1, 31, v0
	ds_bpermute_b32 v10, v5, v2
	v_cmp_eq_u32_e64 s0, 0, v1
	s_and_saveexec_b32 s1, s0
	s_cbranch_execz .LBB78_7
; %bb.6:
	s_wait_dscnt 0x0
	v_max_num_f32_e32 v10, v10, v10
	v_max_num_f32_e32 v2, v2, v2
	s_delay_alu instid0(VALU_DEP_1)
	v_max_num_f32_e32 v2, v2, v10
	ds_store_b32 v9, v2
.LBB78_7:
	s_wait_alu 0xfffe
	s_or_b32 exec_lo, exec_lo, s1
	v_cmp_gt_u32_e64 s1, 4, v1
	v_mov_b32_e32 v2, 0xff7fffff
	s_wait_dscnt 0x0
	v_lshlrev_b32_e32 v10, 2, v1
	s_wait_loadcnt 0x0
	s_barrier_signal -1
	s_barrier_wait -1
	global_inv scope:SCOPE_SE
	s_and_saveexec_b32 s19, s1
; %bb.8:
	ds_load_b32 v2, v10
; %bb.9:
	s_wait_alu 0xfffe
	s_or_b32 exec_lo, exec_lo, s19
	s_wait_dscnt 0x0
	ds_bpermute_b32 v1, v4, v2
	v_max_num_f32_e32 v2, v2, v2
	s_lshl_b32 s19, s17, 2
	v_mov_b32_e32 v11, 0
	s_wait_dscnt 0x0
	v_max_num_f32_e32 v1, v1, v1
	s_delay_alu instid0(VALU_DEP_1) | instskip(SKIP_3) | instid1(VALU_DEP_1)
	v_max_num_f32_e32 v1, v2, v1
	ds_bpermute_b32 v2, v5, v1
	s_wait_dscnt 0x0
	v_max_num_f32_e32 v2, v2, v2
	v_max_num_f32_e32 v1, v1, v2
	ds_bpermute_b32 v12, v11, v1
	s_and_saveexec_b32 s20, vcc_lo
	s_cbranch_execz .LBB78_13
; %bb.10:
	s_load_b32 s21, s[8:9], 0xc
	s_lshl_b64 s[22:23], s[10:11], 2
	s_lshl_b64 s[24:25], s[12:13], 2
	v_mov_b32_e32 v11, 0
	s_add_nc_u64 s[22:23], s[22:23], s[24:25]
	v_mov_b32_e32 v13, v0
	s_wait_kmcnt 0x0
	s_add_nc_u64 s[2:3], s[2:3], s[22:23]
	s_wait_alu 0xfffe
	v_add_co_u32 v1, s2, s2, v3
	s_wait_alu 0xf1ff
	v_add_co_ci_u32_e64 v2, null, s3, 0, s2
	v_add_nc_u32_e32 v3, 32, v3
	s_mov_b32 s3, 0
	s_and_b32 s11, s21, 0xffff
	s_delay_alu instid0(SALU_CYCLE_1)
	s_lshl_b32 s13, s11, 2
.LBB78_11:                              ; =>This Inner Loop Header: Depth=1
	global_load_b32 v14, v[1:2], off
	ds_load_b32 v15, v3
	v_add_nc_u32_e32 v13, s11, v13
	s_wait_dscnt 0x0
	v_sub_f32_e32 v15, v15, v12
	s_delay_alu instid0(VALU_DEP_1) | instskip(NEXT) | instid1(VALU_DEP_1)
	v_mul_f32_e32 v16, 0x3fb8aa3b, v15
	v_fma_f32 v17, 0x3fb8aa3b, v15, -v16
	v_rndne_f32_e32 v18, v16
	s_delay_alu instid0(VALU_DEP_1) | instskip(SKIP_1) | instid1(VALU_DEP_4)
	v_sub_f32_e32 v16, v16, v18
	v_cmp_ngt_f32_e32 vcc_lo, 0xc2ce8ed0, v15
	v_fmac_f32_e32 v17, 0x32a5705f, v15
	v_cmp_nlt_f32_e64 s2, 0x42b17218, v15
	s_delay_alu instid0(VALU_DEP_2) | instskip(SKIP_1) | instid1(VALU_DEP_2)
	v_add_f32_e32 v16, v16, v17
	v_cvt_i32_f32_e32 v17, v18
	v_exp_f32_e32 v16, v16
	s_delay_alu instid0(TRANS32_DEP_1) | instskip(SKIP_2) | instid1(VALU_DEP_2)
	v_ldexp_f32 v16, v16, v17
	v_add_nc_u32_e32 v17, s19, v3
	s_wait_alu 0xfffd
	v_dual_cndmask_b32 v16, 0, v16 :: v_dual_add_nc_u32 v3, s13, v3
	v_add_co_u32 v1, vcc_lo, v1, s13
	s_wait_alu 0xfffd
	v_add_co_ci_u32_e64 v2, null, 0, v2, vcc_lo
	s_wait_alu 0xf1ff
	v_cndmask_b32_e64 v15, 0x7f800000, v16, s2
	v_cmp_le_i32_e32 vcc_lo, s17, v13
	s_wait_alu 0xfffe
	s_or_b32 s3, vcc_lo, s3
	s_wait_loadcnt 0x0
	v_mul_f32_e32 v16, v14, v15
	v_fmac_f32_e32 v11, v14, v15
	ds_store_b32 v17, v16
	s_wait_alu 0xfffe
	s_and_not1_b32 exec_lo, exec_lo, s3
	s_cbranch_execnz .LBB78_11
; %bb.12:
	s_or_b32 exec_lo, exec_lo, s3
.LBB78_13:
	s_wait_alu 0xfffe
	s_or_b32 exec_lo, exec_lo, s20
	ds_bpermute_b32 v1, v6, v11
	s_wait_loadcnt_dscnt 0x0
	s_barrier_signal -1
	s_barrier_wait -1
	global_inv scope:SCOPE_SE
	v_add_f32_e32 v1, v11, v1
	ds_bpermute_b32 v2, v7, v1
	s_wait_dscnt 0x0
	v_add_f32_e32 v1, v1, v2
	ds_bpermute_b32 v2, v8, v1
	s_wait_dscnt 0x0
	;; [unrolled: 3-line block ×4, first 2 shown]
	v_add_f32_e32 v1, v1, v2
	s_wait_kmcnt 0x0
	s_and_saveexec_b32 s2, s0
; %bb.14:
	ds_store_b32 v9, v1 offset:16
; %bb.15:
	s_wait_alu 0xfffe
	s_or_b32 exec_lo, exec_lo, s2
	s_wait_loadcnt_dscnt 0x0
	s_barrier_signal -1
	s_barrier_wait -1
	global_inv scope:SCOPE_SE
	s_and_saveexec_b32 s0, s1
; %bb.16:
	ds_load_b32 v1, v10 offset:16
; %bb.17:
	s_wait_alu 0xfffe
	s_or_b32 exec_lo, exec_lo, s0
	s_wait_dscnt 0x0
	ds_bpermute_b32 v2, v4, v1
	s_mov_b32 s11, exec_lo
	s_wait_dscnt 0x0
	v_add_f32_e32 v1, v1, v2
	ds_bpermute_b32 v2, v5, v1
	s_wait_dscnt 0x0
	v_dual_add_f32 v1, v1, v2 :: v_dual_mov_b32 v2, 0
	ds_bpermute_b32 v1, v2, v1
	v_cmpx_gt_u32_e32 0xc0, v0
	s_cbranch_execz .LBB78_30
; %bb.18:
	s_wait_dscnt 0x0
	v_add_f32_e32 v2, 0x358637bd, v1
	s_mul_i32 s0, s10, 0xc0
	s_mul_i32 s2, s12, 0xc0
	s_wait_alu 0xfffe
	s_ashr_i32 s1, s0, 31
	s_ashr_i32 s3, s2, 31
	v_div_scale_f32 v1, null, v2, v2, 1.0
	s_cmp_gt_i32 s18, 0
	s_mov_b32 s12, 0
	s_cselect_b32 s13, -1, 0
	v_rcp_f32_e32 v3, v1
	s_delay_alu instid0(TRANS32_DEP_1) | instskip(NEXT) | instid1(VALU_DEP_1)
	v_fma_f32 v4, -v1, v3, 1.0
	v_fmac_f32_e32 v3, v4, v3
	v_div_scale_f32 v5, vcc_lo, 1.0, v2, 1.0
	s_delay_alu instid0(VALU_DEP_1) | instskip(NEXT) | instid1(VALU_DEP_1)
	v_mul_f32_e32 v4, v5, v3
	v_fma_f32 v6, -v1, v4, v5
	s_delay_alu instid0(VALU_DEP_1) | instskip(NEXT) | instid1(VALU_DEP_1)
	v_fmac_f32_e32 v4, v6, v3
	v_fma_f32 v1, -v1, v4, v5
	s_wait_alu 0xfffd
	s_delay_alu instid0(VALU_DEP_1)
	v_div_fmas_f32 v3, v1, v3, v4
	s_wait_alu 0xfffe
	s_and_b32 vcc_lo, exec_lo, s13
	s_wait_alu 0xfffe
	s_cbranch_vccnz .LBB78_20
; %bb.19:
	v_mov_b32_e32 v1, 0
	s_branch .LBB78_21
.LBB78_20:
	s_mov_b32 s12, -1
.LBB78_21:
	v_div_fixup_f32 v5, v3, v2, 1.0
	v_mov_b32_e32 v6, 0
	s_add_co_i32 s10, s19, 32
	s_wait_alu 0xfffe
	s_and_not1_b32 vcc_lo, exec_lo, s12
	s_max_i32 s12, s17, 1
	s_wait_alu 0xfffe
	s_cbranch_vccnz .LBB78_24
; %bb.22:
	s_lshl_b64 s[18:19], s[0:1], 1
	s_lshl_b64 s[20:21], s[2:3], 1
	v_dual_mov_b32 v1, 0 :: v_dual_lshlrev_b32 v2, 1, v0
	s_wait_alu 0xfffe
	s_add_nc_u64 s[18:19], s[18:19], s[20:21]
	s_wait_alu 0xfffe
	s_add_nc_u64 s[18:19], s[4:5], s[18:19]
	s_wait_alu 0xfffe
	v_add_co_u32 v2, s17, s18, v2
	s_wait_alu 0xf1ff
	v_add_co_ci_u32_e64 v3, null, s19, 0, s17
	v_mov_b32_e32 v6, v1
	s_mov_b32 s17, s10
	s_mov_b32 s18, s12
.LBB78_23:                              ; =>This Inner Loop Header: Depth=1
	s_wait_alu 0xfffe
	v_mov_b32_e32 v4, s17
	global_load_u16 v7, v[2:3], off
	s_wait_loadcnt 0x0
	;;#ASMSTART
	v_cvt_f32_f16 v7, v7;
	;;#ASMEND
	v_add_co_u32 v2, vcc_lo, 0x180, v2
	ds_load_b32 v4, v4
	s_wait_alu 0xfffd
	v_add_co_ci_u32_e64 v3, null, 0, v3, vcc_lo
	s_add_co_i32 s18, s18, -1
	s_add_co_i32 s17, s17, 4
	s_wait_alu 0xfffe
	s_cmp_eq_u32 s18, 0
	s_wait_dscnt 0x0
	v_mul_f32_e32 v4, v7, v4
	s_delay_alu instid0(VALU_DEP_1)
	v_fmac_f32_e32 v6, v5, v4
	s_cbranch_scc0 .LBB78_23
.LBB78_24:
	s_mulk_i32 s16, 0xc0
	s_mul_i32 s18, ttmp9, 0xc0
	s_wait_alu 0xfffe
	s_ashr_i32 s17, s16, 31
	s_ashr_i32 s19, s18, 31
	s_wait_alu 0xfffe
	s_lshl_b64 s[16:17], s[16:17], 1
	v_lshlrev_b64_e32 v[3:4], 1, v[0:1]
	s_lshl_b64 s[18:19], s[18:19], 1
	s_wait_alu 0xfffe
	s_add_nc_u64 s[16:17], s[6:7], s[16:17]
	;;#ASMSTART
	v_cvt_f16_f32 v6, v6;

	;;#ASMEND
	s_wait_alu 0xfffe
	s_add_nc_u64 s[16:17], s[16:17], s[18:19]
	s_wait_alu 0xfffe
	v_add_co_u32 v1, vcc_lo, s16, v3
	s_wait_alu 0xfffd
	v_add_co_ci_u32_e64 v2, null, s17, v4, vcc_lo
	v_cmp_gt_u32_e32 vcc_lo, 64, v0
	global_store_b16 v[1:2], v6, off
	s_and_b32 exec_lo, exec_lo, vcc_lo
	s_cbranch_execz .LBB78_30
; %bb.25:
	s_and_not1_b32 vcc_lo, exec_lo, s13
	s_wait_alu 0xfffe
	s_cbranch_vccnz .LBB78_28
; %bb.26:
	s_lshl_b64 s[0:1], s[0:1], 1
	s_lshl_b64 s[2:3], s[2:3], 1
	v_mov_b32_e32 v6, 0
	s_wait_alu 0xfffe
	s_add_nc_u64 s[0:1], s[0:1], s[2:3]
	s_wait_alu 0xfffe
	s_add_nc_u64 s[0:1], s[4:5], s[0:1]
	s_wait_alu 0xfffe
	v_add_co_u32 v3, vcc_lo, s0, v3
	s_wait_alu 0xfffd
	v_add_co_ci_u32_e64 v4, null, s1, v4, vcc_lo
	s_delay_alu instid0(VALU_DEP_2) | instskip(SKIP_1) | instid1(VALU_DEP_2)
	v_add_co_u32 v3, vcc_lo, 0x100, v3
	s_wait_alu 0xfffd
	v_add_co_ci_u32_e64 v4, null, 0, v4, vcc_lo
.LBB78_27:                              ; =>This Inner Loop Header: Depth=1
	v_mov_b32_e32 v7, s10
	global_load_u16 v8, v[3:4], off
	s_wait_loadcnt 0x0
	;;#ASMSTART
	v_cvt_f32_f16 v8, v8;
	;;#ASMEND
	v_add_co_u32 v3, vcc_lo, 0x180, v3
	ds_load_b32 v7, v7
	s_wait_alu 0xfffd
	v_add_co_ci_u32_e64 v4, null, 0, v4, vcc_lo
	s_add_co_i32 s12, s12, -1
	s_add_co_i32 s10, s10, 4
	s_wait_alu 0xfffe
	s_cmp_lg_u32 s12, 0
	s_wait_dscnt 0x0
	v_mul_f32_e32 v7, v8, v7
	s_delay_alu instid0(VALU_DEP_1)
	v_fmac_f32_e32 v6, v5, v7
	s_cbranch_scc1 .LBB78_27
	s_branch .LBB78_29
.LBB78_28:
	v_mov_b32_e32 v6, 0
.LBB78_29:
	;;#ASMSTART
	v_cvt_f16_f32 v3, v6;

	;;#ASMEND
	global_store_b16 v[1:2], v3, off offset:256
.LBB78_30:
	s_wait_alu 0xfffe
	s_or_b32 exec_lo, exec_lo, s11
	s_mov_b32 s2, 0
.LBB78_31:
	s_wait_alu 0xfffe
	s_and_b32 vcc_lo, exec_lo, s2
	s_wait_alu 0xfffe
	s_cbranch_vccz .LBB78_40
; %bb.32:
	s_mov_b32 s0, exec_lo
	v_cmpx_gt_u32_e32 0xc0, v0
	s_cbranch_execz .LBB78_40
; %bb.33:
	s_load_b32 s0, s[8:9], 0xc
	s_mul_i32 s1, s15, ttmp7
	s_mul_i32 s8, ttmp9, 0xc0
	s_wait_alu 0xfffe
	s_mul_i32 s12, s1, 0xc0
	s_mul_i32 s2, s8, s14
	s_wait_alu 0xfffe
	s_mul_i32 s10, s12, s14
	v_cmp_gt_u32_e32 vcc_lo, 0xbd, v0
	s_ashr_i32 s9, s8, 31
	s_ashr_i32 s13, s12, 31
	s_ashr_i32 s3, s2, 31
	s_wait_alu 0xfffe
	s_ashr_i32 s11, s10, 31
	s_wait_kmcnt 0x0
	s_and_b32 s1, s0, 0xffff
	s_wait_alu 0xfffe
	s_cmp_eq_u32 s1, 1
	s_cselect_b32 s0, -1, 0
	s_wait_alu 0xfffe
	s_and_b32 s15, vcc_lo, s0
	s_mov_b32 s0, -1
	s_and_saveexec_b32 s14, s15
	s_cbranch_execz .LBB78_37
; %bb.34:
	s_lshl_b64 s[16:17], s[10:11], 1
	s_lshl_b64 s[18:19], s[2:3], 1
	s_wait_dscnt 0x0
	v_lshlrev_b32_e32 v1, 1, v0
	s_wait_alu 0xfffe
	s_add_nc_u64 s[16:17], s[16:17], s[18:19]
	s_lshl_b64 s[18:19], s[12:13], 1
	s_lshl_b64 s[20:21], s[8:9], 1
	s_wait_alu 0xfffe
	s_add_nc_u64 s[16:17], s[4:5], s[16:17]
	s_add_nc_u64 s[18:19], s[18:19], s[20:21]
	s_wait_alu 0xfffe
	v_add_co_u32 v2, s0, s16, v1
	v_sub_nc_u32_e32 v5, 0xc0, v0
	s_wait_alu 0xf1ff
	v_add_co_ci_u32_e64 v3, null, s17, 0, s0
	s_add_nc_u64 s[16:17], s[6:7], s[18:19]
	s_mov_b32 s15, 0
	s_wait_alu 0xfffe
	v_add_co_u32 v4, s0, s16, v1
	v_and_b32_e32 v6, 0xfc, v5
	s_wait_alu 0xf1ff
	v_add_co_ci_u32_e64 v7, null, s17, 0, s0
	v_add_co_u32 v1, vcc_lo, v2, 4
	s_wait_alu 0xfffd
	v_add_co_ci_u32_e64 v2, null, 0, v3, vcc_lo
	v_add_co_u32 v3, vcc_lo, v4, 4
	s_wait_alu 0xfffd
	v_add_co_ci_u32_e64 v4, null, 0, v7, vcc_lo
	v_mov_b32_e32 v7, v6
.LBB78_35:                              ; =>This Inner Loop Header: Depth=1
	global_load_b64 v[8:9], v[1:2], off offset:-4
	v_add_nc_u32_e32 v7, -4, v7
	v_add_co_u32 v1, vcc_lo, v1, 8
	s_wait_alu 0xfffd
	v_add_co_ci_u32_e64 v2, null, 0, v2, vcc_lo
	s_delay_alu instid0(VALU_DEP_3)
	v_cmp_eq_u32_e32 vcc_lo, 0, v7
	s_or_b32 s15, vcc_lo, s15
	s_wait_loadcnt 0x0
	global_store_b64 v[3:4], v[8:9], off offset:-4
	v_add_co_u32 v3, s0, v3, 8
	s_wait_alu 0xf1ff
	v_add_co_ci_u32_e64 v4, null, 0, v4, s0
	s_and_not1_b32 exec_lo, exec_lo, s15
	s_cbranch_execnz .LBB78_35
; %bb.36:
	s_or_b32 exec_lo, exec_lo, s15
	v_cmp_ne_u32_e32 vcc_lo, v5, v6
	v_add_nc_u32_e32 v0, v0, v6
	s_or_not1_b32 s0, vcc_lo, exec_lo
.LBB78_37:
	s_or_b32 exec_lo, exec_lo, s14
	s_wait_alu 0xfffe
	s_and_b32 exec_lo, exec_lo, s0
	s_cbranch_execz .LBB78_40
; %bb.38:
	s_lshl_b64 s[12:13], s[12:13], 1
	s_lshl_b64 s[10:11], s[10:11], 1
	s_wait_dscnt 0x0
	v_dual_mov_b32 v2, 0 :: v_dual_lshlrev_b32 v1, 1, v0
	s_lshl_b64 s[8:9], s[8:9], 1
	s_wait_alu 0xfffe
	s_add_nc_u64 s[6:7], s[6:7], s[12:13]
	s_add_nc_u64 s[4:5], s[4:5], s[10:11]
	s_lshl_b64 s[2:3], s[2:3], 1
	s_add_nc_u64 s[6:7], s[6:7], s[8:9]
	s_wait_alu 0xfffe
	s_add_nc_u64 s[2:3], s[4:5], s[2:3]
	s_mov_b32 s4, 0
	s_lshl_b32 s5, s1, 1
.LBB78_39:                              ; =>This Inner Loop Header: Depth=1
	s_wait_alu 0xfffe
	v_add_co_u32 v3, vcc_lo, s2, v1
	s_wait_alu 0xfffd
	v_add_co_ci_u32_e64 v4, null, s3, v2, vcc_lo
	v_add_nc_u32_e32 v0, s1, v0
	global_load_u16 v5, v[3:4], off
	v_add_co_u32 v3, vcc_lo, s6, v1
	s_wait_alu 0xfffd
	v_add_co_ci_u32_e64 v4, null, s7, v2, vcc_lo
	v_cmp_lt_u32_e32 vcc_lo, 0xbf, v0
	v_add_co_u32 v1, s0, v1, s5
	s_wait_alu 0xf1ff
	v_add_co_ci_u32_e64 v2, null, 0, v2, s0
	s_or_b32 s4, vcc_lo, s4
	s_wait_loadcnt 0x0
	global_store_b16 v[3:4], v5, off
	s_wait_alu 0xfffe
	s_and_not1_b32 exec_lo, exec_lo, s4
	s_cbranch_execnz .LBB78_39
.LBB78_40:
	s_endpgm
	.section	.rodata,"a",@progbits
	.p2align	6, 0x0
	.amdhsa_kernel _ZN4vllm32paged_attention_v2_reduce_kernelItLi192ELi128ELi512EEEvPT_PKfS4_PKS1_PKii
		.amdhsa_group_segment_fixed_size 32
		.amdhsa_private_segment_fixed_size 0
		.amdhsa_kernarg_size 304
		.amdhsa_user_sgpr_count 2
		.amdhsa_user_sgpr_dispatch_ptr 0
		.amdhsa_user_sgpr_queue_ptr 0
		.amdhsa_user_sgpr_kernarg_segment_ptr 1
		.amdhsa_user_sgpr_dispatch_id 0
		.amdhsa_user_sgpr_private_segment_size 0
		.amdhsa_wavefront_size32 1
		.amdhsa_uses_dynamic_stack 0
		.amdhsa_enable_private_segment 0
		.amdhsa_system_sgpr_workgroup_id_x 1
		.amdhsa_system_sgpr_workgroup_id_y 1
		.amdhsa_system_sgpr_workgroup_id_z 0
		.amdhsa_system_sgpr_workgroup_info 0
		.amdhsa_system_vgpr_workitem_id 0
		.amdhsa_next_free_vgpr 19
		.amdhsa_next_free_sgpr 26
		.amdhsa_reserve_vcc 1
		.amdhsa_float_round_mode_32 0
		.amdhsa_float_round_mode_16_64 0
		.amdhsa_float_denorm_mode_32 3
		.amdhsa_float_denorm_mode_16_64 3
		.amdhsa_fp16_overflow 0
		.amdhsa_workgroup_processor_mode 1
		.amdhsa_memory_ordered 1
		.amdhsa_forward_progress 1
		.amdhsa_inst_pref_size 22
		.amdhsa_round_robin_scheduling 0
		.amdhsa_exception_fp_ieee_invalid_op 0
		.amdhsa_exception_fp_denorm_src 0
		.amdhsa_exception_fp_ieee_div_zero 0
		.amdhsa_exception_fp_ieee_overflow 0
		.amdhsa_exception_fp_ieee_underflow 0
		.amdhsa_exception_fp_ieee_inexact 0
		.amdhsa_exception_int_div_zero 0
	.end_amdhsa_kernel
	.section	.text._ZN4vllm32paged_attention_v2_reduce_kernelItLi192ELi128ELi512EEEvPT_PKfS4_PKS1_PKii,"axG",@progbits,_ZN4vllm32paged_attention_v2_reduce_kernelItLi192ELi128ELi512EEEvPT_PKfS4_PKS1_PKii,comdat
.Lfunc_end78:
	.size	_ZN4vllm32paged_attention_v2_reduce_kernelItLi192ELi128ELi512EEEvPT_PKfS4_PKS1_PKii, .Lfunc_end78-_ZN4vllm32paged_attention_v2_reduce_kernelItLi192ELi128ELi512EEEvPT_PKfS4_PKS1_PKii
                                        ; -- End function
	.set _ZN4vllm32paged_attention_v2_reduce_kernelItLi192ELi128ELi512EEEvPT_PKfS4_PKS1_PKii.num_vgpr, 19
	.set _ZN4vllm32paged_attention_v2_reduce_kernelItLi192ELi128ELi512EEEvPT_PKfS4_PKS1_PKii.num_agpr, 0
	.set _ZN4vllm32paged_attention_v2_reduce_kernelItLi192ELi128ELi512EEEvPT_PKfS4_PKS1_PKii.numbered_sgpr, 26
	.set _ZN4vllm32paged_attention_v2_reduce_kernelItLi192ELi128ELi512EEEvPT_PKfS4_PKS1_PKii.num_named_barrier, 0
	.set _ZN4vllm32paged_attention_v2_reduce_kernelItLi192ELi128ELi512EEEvPT_PKfS4_PKS1_PKii.private_seg_size, 0
	.set _ZN4vllm32paged_attention_v2_reduce_kernelItLi192ELi128ELi512EEEvPT_PKfS4_PKS1_PKii.uses_vcc, 1
	.set _ZN4vllm32paged_attention_v2_reduce_kernelItLi192ELi128ELi512EEEvPT_PKfS4_PKS1_PKii.uses_flat_scratch, 0
	.set _ZN4vllm32paged_attention_v2_reduce_kernelItLi192ELi128ELi512EEEvPT_PKfS4_PKS1_PKii.has_dyn_sized_stack, 0
	.set _ZN4vllm32paged_attention_v2_reduce_kernelItLi192ELi128ELi512EEEvPT_PKfS4_PKS1_PKii.has_recursion, 0
	.set _ZN4vllm32paged_attention_v2_reduce_kernelItLi192ELi128ELi512EEEvPT_PKfS4_PKS1_PKii.has_indirect_call, 0
	.section	.AMDGPU.csdata,"",@progbits
; Kernel info:
; codeLenInByte = 2704
; TotalNumSgprs: 28
; NumVgprs: 19
; ScratchSize: 0
; MemoryBound: 0
; FloatMode: 240
; IeeeMode: 1
; LDSByteSize: 32 bytes/workgroup (compile time only)
; SGPRBlocks: 0
; VGPRBlocks: 2
; NumSGPRsForWavesPerEU: 28
; NumVGPRsForWavesPerEU: 19
; Occupancy: 16
; WaveLimiterHint : 0
; COMPUTE_PGM_RSRC2:SCRATCH_EN: 0
; COMPUTE_PGM_RSRC2:USER_SGPR: 2
; COMPUTE_PGM_RSRC2:TRAP_HANDLER: 0
; COMPUTE_PGM_RSRC2:TGID_X_EN: 1
; COMPUTE_PGM_RSRC2:TGID_Y_EN: 1
; COMPUTE_PGM_RSRC2:TGID_Z_EN: 0
; COMPUTE_PGM_RSRC2:TIDIG_COMP_CNT: 0
	.section	.text._ZN4vllm25paged_attention_v2_kernelIttLi256ELi8ELi128ELNS_18Fp8KVCacheDataTypeE0ELb1ELi512EEEvPfS2_PT_PKS3_PKT0_S9_ifPKiSB_iPKfiiiSD_SD_iiiii,"axG",@progbits,_ZN4vllm25paged_attention_v2_kernelIttLi256ELi8ELi128ELNS_18Fp8KVCacheDataTypeE0ELb1ELi512EEEvPfS2_PT_PKS3_PKT0_S9_ifPKiSB_iPKfiiiSD_SD_iiiii,comdat
	.protected	_ZN4vllm25paged_attention_v2_kernelIttLi256ELi8ELi128ELNS_18Fp8KVCacheDataTypeE0ELb1ELi512EEEvPfS2_PT_PKS3_PKT0_S9_ifPKiSB_iPKfiiiSD_SD_iiiii ; -- Begin function _ZN4vllm25paged_attention_v2_kernelIttLi256ELi8ELi128ELNS_18Fp8KVCacheDataTypeE0ELb1ELi512EEEvPfS2_PT_PKS3_PKT0_S9_ifPKiSB_iPKfiiiSD_SD_iiiii
	.globl	_ZN4vllm25paged_attention_v2_kernelIttLi256ELi8ELi128ELNS_18Fp8KVCacheDataTypeE0ELb1ELi512EEEvPfS2_PT_PKS3_PKT0_S9_ifPKiSB_iPKfiiiSD_SD_iiiii
	.p2align	8
	.type	_ZN4vllm25paged_attention_v2_kernelIttLi256ELi8ELi128ELNS_18Fp8KVCacheDataTypeE0ELb1ELi512EEEvPfS2_PT_PKS3_PKT0_S9_ifPKiSB_iPKfiiiSD_SD_iiiii,@function
_ZN4vllm25paged_attention_v2_kernelIttLi256ELi8ELi128ELNS_18Fp8KVCacheDataTypeE0ELb1ELi512EEEvPfS2_PT_PKS3_PKT0_S9_ifPKiSB_iPKfiiiSD_SD_iiiii: ; @_ZN4vllm25paged_attention_v2_kernelIttLi256ELi8ELi128ELNS_18Fp8KVCacheDataTypeE0ELb1ELi512EEEvPfS2_PT_PKS3_PKT0_S9_ifPKiSB_iPKfiiiSD_SD_iiiii
; %bb.0:
	s_load_b64 s[2:3], s[0:1], 0x40
	s_and_b32 s28, ttmp7, 0xffff
	s_lshr_b32 s33, ttmp7, 16
	s_lshl_b32 s4, s28, 2
	s_lshl_b32 s16, s33, 9
	s_wait_kmcnt 0x0
	s_load_b32 s17, s[2:3], s4 offset:0x0
	s_wait_kmcnt 0x0
	s_cmp_ge_i32 s16, s17
	s_cbranch_scc1 .LBB79_70
; %bb.1:
	s_clause 0x1
	s_load_b32 s29, s[0:1], 0x90
	s_load_b64 s[6:7], s[0:1], 0x30
	s_wait_kmcnt 0x0
	s_abs_i32 s5, s29
	s_abs_i32 s2, s6
	s_delay_alu instid0(SALU_CYCLE_1) | instskip(SKIP_1) | instid1(SALU_CYCLE_2)
	s_cvt_f32_u32 s3, s2
	s_sub_co_i32 s4, 0, s2
	v_rcp_iflag_f32_e32 v1, s3
	s_delay_alu instid0(TRANS32_DEP_1) | instskip(SKIP_2) | instid1(SALU_CYCLE_2)
	v_readfirstlane_b32 s3, v1
	s_mul_f32 s3, s3, 0x4f7ffffe
	s_wait_alu 0xfffe
	s_cvt_u32_f32 s3, s3
	s_wait_alu 0xfffe
	s_delay_alu instid0(SALU_CYCLE_2) | instskip(NEXT) | instid1(SALU_CYCLE_1)
	s_mul_i32 s4, s4, s3
	s_mul_hi_u32 s4, s3, s4
	s_delay_alu instid0(SALU_CYCLE_1)
	s_add_co_i32 s3, s3, s4
	s_xor_b32 s4, s29, s6
	s_wait_alu 0xfffe
	s_mul_hi_u32 s3, s5, s3
	s_ashr_i32 s4, s4, 31
	s_wait_alu 0xfffe
	s_mul_i32 s8, s3, s2
	s_delay_alu instid0(SALU_CYCLE_1)
	s_sub_co_i32 s5, s5, s8
	s_add_co_i32 s8, s3, 1
	s_sub_co_i32 s9, s5, s2
	s_cmp_ge_u32 s5, s2
	s_cselect_b32 s3, s8, s3
	s_cselect_b32 s5, s9, s5
	s_wait_alu 0xfffe
	s_add_co_i32 s8, s3, 1
	s_cmp_ge_u32 s5, s2
	s_cselect_b32 s2, s8, s3
	s_load_b64 s[8:9], s[0:1], 0x50
	s_xor_b32 s2, s2, s4
	s_mov_b32 s3, 0
	s_wait_alu 0xfffe
	s_sub_co_i32 s10, s2, s4
	s_mov_b32 s26, s3
	s_abs_i32 s15, s10
	s_delay_alu instid0(SALU_CYCLE_1) | instskip(SKIP_1) | instid1(SALU_CYCLE_2)
	s_cvt_f32_u32 s2, s15
	s_wait_alu 0xfffe
	v_rcp_iflag_f32_e32 v1, s2
	s_delay_alu instid0(TRANS32_DEP_1) | instskip(SKIP_2) | instid1(SALU_CYCLE_2)
	v_readfirstlane_b32 s2, v1
	s_mul_f32 s2, s2, 0x4f7ffffe
	s_wait_alu 0xfffe
	s_cvt_u32_f32 s4, s2
	s_sub_co_i32 s2, 0, s15
	s_wait_alu 0xfffe
	s_delay_alu instid0(SALU_CYCLE_1)
	s_mul_i32 s2, s2, s4
	s_wait_alu 0xfffe
	s_mul_hi_u32 s5, s4, s2
	s_abs_i32 s2, ttmp9
	s_add_co_i32 s4, s4, s5
	s_mov_b32 s5, s3
	s_wait_kmcnt 0x0
	s_cmp_eq_u64 s[8:9], 0
	s_cbranch_scc1 .LBB79_3
; %bb.2:
	s_mov_b32 s12, ttmp9
	s_ashr_i32 s13, ttmp9, 31
	s_delay_alu instid0(SALU_CYCLE_1) | instskip(NEXT) | instid1(SALU_CYCLE_1)
	s_lshl_b64 s[12:13], s[12:13], 2
	s_add_nc_u64 s[8:9], s[8:9], s[12:13]
	s_load_b32 s26, s[8:9], 0x0
.LBB79_3:
	s_load_b96 s[12:14], s[0:1], 0x58
	v_and_b32_e32 v1, 3, v0
	v_lshlrev_b32_e32 v2, 2, v0
	s_mul_u64 s[4:5], s[2:3], s[4:5]
	s_ashr_i32 s3, ttmp9, 31
	s_ashr_i32 s4, s10, 31
	s_lshl_b32 s18, ttmp9, 8
	s_mov_b32 s8, exec_lo
	v_cmpx_gt_u32_e32 0x80, v0
	s_cbranch_execz .LBB79_5
; %bb.4:
	s_load_b64 s[10:11], s[0:1], 0x18
	s_wait_kmcnt 0x0
	s_mul_i32 s20, s12, s28
	s_ashr_i32 s19, s18, 31
	s_ashr_i32 s21, s20, 31
	v_and_b32_e32 v4, 0x3fc, v0
	s_lshl_b64 s[20:21], s[20:21], 1
	s_delay_alu instid0(VALU_DEP_1) | instskip(SKIP_2) | instid1(SALU_CYCLE_1)
	v_lshl_add_u32 v4, v1, 7, v4
	s_add_nc_u64 s[10:11], s[10:11], s[20:21]
	s_lshl_b64 s[20:21], s[18:19], 1
	s_add_nc_u64 s[10:11], s[10:11], s[20:21]
	global_load_b32 v3, v2, s[10:11]
	s_wait_loadcnt 0x0
	ds_store_b32 v4, v3
.LBB79_5:
	s_or_b32 exec_lo, exec_lo, s8
	s_clause 0x1
	s_load_b128 s[8:11], s[0:1], 0x78
	s_load_b32 s22, s[0:1], 0x88
	s_wait_kmcnt 0x0
	s_mul_i32 s12, s5, s15
	s_xor_b32 s3, s3, s4
	s_sub_co_i32 s2, s2, s12
	s_add_co_i32 s4, s5, 1
	s_wait_alu 0xfffe
	s_sub_co_i32 s12, s2, s15
	s_cmp_ge_u32 s2, s15
	s_mov_b32 s24, -1
	s_cselect_b32 s4, s4, s5
	s_cselect_b32 s2, s12, s2
	s_add_co_i32 s5, s4, 1
	s_wait_alu 0xfffe
	s_cmp_ge_u32 s2, s15
	s_wait_dscnt 0x0
	s_cselect_b32 s2, s5, s4
	s_add_co_i32 s23, s17, -1
	s_wait_alu 0xfffe
	s_xor_b32 s2, s2, s3
	s_barrier_signal -1
	s_wait_alu 0xfffe
	s_sub_co_i32 s15, s2, s3
	s_barrier_wait -1
	s_abs_i32 s12, s11
	global_inv scope:SCOPE_SE
	s_cvt_f32_u32 s4, s12
                                        ; implicit-def: $sgpr19
	s_delay_alu instid0(SALU_CYCLE_3) | instskip(NEXT) | instid1(TRANS32_DEP_1)
	v_rcp_iflag_f32_e32 v3, s4
	v_readfirstlane_b32 s4, v3
	s_mul_f32 s2, s4, 0x4f7ffffe
	s_wait_alu 0xfffe
	s_delay_alu instid0(SALU_CYCLE_2) | instskip(SKIP_2) | instid1(SALU_CYCLE_1)
	s_cvt_u32_f32 s4, s2
	s_sub_co_i32 s2, 0, s12
	s_wait_alu 0xfffe
	s_mul_i32 s3, s2, s4
	s_abs_i32 s2, s23
	s_wait_alu 0xfffe
	s_mul_hi_u32 s5, s4, s3
	s_mov_b32 s3, 0
	s_wait_alu 0xfffe
	s_add_co_i32 s20, s4, s5
	s_cmp_lt_i32 s22, 0
	s_mov_b32 s21, s3
	s_cbranch_scc0 .LBB79_7
; %bb.6:
	s_mul_i32 s4, s8, s6
	s_mov_b32 s24, s3
	s_wait_alu 0xfffe
	s_add_co_i32 s4, s15, s4
	s_wait_alu 0xfffe
	s_mul_i32 s4, s4, s22
	s_wait_alu 0xfffe
	s_sub_co_i32 s19, 1, s4
.LBB79_7:
	s_mul_u64 s[4:5], s[2:3], s[20:21]
	s_ashr_i32 s3, s23, 31
	s_and_not1_b32 vcc_lo, exec_lo, s24
	s_ashr_i32 s11, s11, 31
	s_cbranch_vccnz .LBB79_9
; %bb.8:
	s_mul_i32 s4, s29, s8
	s_wait_alu 0xfffe
	s_add_co_i32 s4, s4, ttmp9
	s_wait_alu 0xfffe
	s_mul_i32 s4, s4, s22
	s_wait_alu 0xfffe
	s_add_co_i32 s19, s4, 1
.LBB79_9:
	s_clause 0x2
	s_load_b32 s4, s[0:1], 0x48
	s_load_b64 s[22:23], s[0:1], 0x38
	s_load_b32 s8, s[0:1], 0x98
	s_mul_i32 s6, s5, s12
	s_xor_b32 s3, s3, s11
	s_sub_co_i32 s2, s2, s6
	s_add_co_i32 s21, s5, 1
	v_lshrrev_b32_e32 v9, 5, v0
	v_mbcnt_lo_u32_b32 v4, -1, 0
	s_mul_i32 s14, s15, s14
	s_delay_alu instid0(VALU_DEP_2)
	v_lshl_add_u32 v10, v9, 3, s16
	s_wait_kmcnt 0x0
	s_mul_i32 s24, s4, s28
	s_wait_alu 0xfffe
	s_sub_co_i32 s4, s2, s12
	s_ashr_i32 s25, s24, 31
	s_cmp_ge_u32 s2, s12
	s_cselect_b32 s5, s21, s5
	s_wait_alu 0xfffe
	s_cselect_b32 s2, s4, s2
	s_add_co_i32 s4, s5, 1
	s_wait_alu 0xfffe
	s_cmp_ge_u32 s2, s12
	s_cselect_b32 s2, s4, s5
	s_add_co_i32 s4, s17, 7
	s_lshl_b32 s36, s33, 6
	s_wait_alu 0xfffe
	s_ashr_i32 s5, s4, 31
	v_or_b32_e32 v11, s36, v9
	s_wait_alu 0xfffe
	s_lshr_b32 s5, s5, 29
	v_mov_b32_e32 v6, 0xff7fffff
	s_wait_alu 0xfffe
	s_add_co_i32 s4, s4, s5
	s_add_co_i32 s5, s36, 64
	s_wait_alu 0xfffe
	s_ashr_i32 s34, s4, 3
	s_xor_b32 s4, s2, s3
	s_min_i32 s21, s5, s34
	v_lshlrev_b32_e32 v3, 2, v11
	v_cmp_gt_i32_e64 s2, s21, v11
	s_wait_alu 0xfffe
	s_sub_co_i32 s35, s4, s3
	s_and_saveexec_b32 s6, s2
	s_cbranch_execz .LBB79_21
; %bb.10:
	s_ashr_i32 s15, s14, 31
	s_sub_co_i32 s27, s35, s9
	s_lshl_b64 s[4:5], s[14:15], 1
	s_cmp_neq_f32 s26, 0
	s_load_b64 s[38:39], s[0:1], 0x20
	v_bfe_u32 v5, v0, 2, 3
	v_dual_mov_b32 v16, 0xff7fffff :: v_dual_lshlrev_b32 v7, 7, v1
	s_cselect_b32 vcc_lo, -1, 0
	s_abs_i32 s15, s10
	s_delay_alu instid0(VALU_DEP_2)
	v_lshlrev_b32_e32 v8, 2, v5
	s_cvt_f32_u32 s3, s15
	v_dual_mov_b32 v19, v11 :: v_dual_and_b32 v2, 12, v2
	s_lshl_b64 s[40:41], s[24:25], 2
	s_wait_alu 0xfffe
	v_rcp_iflag_f32_e32 v6, s3
	v_cmp_eq_u32_e64 s3, 0, v1
	v_lshlrev_b32_e32 v1, 4, v5
	v_subrev_nc_u32_e32 v14, s17, v5
	s_add_nc_u64 s[40:41], s[22:23], s[40:41]
	s_sub_co_i32 s37, 0, s15
	v_lshl_add_u32 v13, v9, 3, s16
	v_xor_b32_e32 v17, 2, v4
	v_add_nc_u32_e32 v14, 1, v14
	s_wait_kmcnt 0x0
	s_add_nc_u64 s[4:5], s[38:39], s[4:5]
	v_readfirstlane_b32 s31, v6
	v_lshl_or_b32 v6, v9, 5, v8
	v_xor_b32_e32 v18, 1, v4
	s_mov_b32 s30, 0
	s_mul_f32 s31, s31, 0x4f7ffffe
	s_delay_alu instid0(VALU_DEP_2)
	v_add_nc_u32_e32 v15, 0x220, v6
	v_mov_b32_e32 v6, 0xff7fffff
	s_wait_alu 0xfffe
	v_add_co_u32 v1, s4, s4, v1
	s_wait_alu 0xf1ff
	v_add_co_ci_u32_e64 v12, null, s5, 0, s4
	s_cvt_u32_f32 s5, s31
	v_add_co_u32 v8, s4, v1, v2
	s_wait_alu 0xf1ff
	v_add_co_ci_u32_e64 v12, null, 0, v12, s4
	v_add_co_u32 v1, s4, s40, v3
	s_wait_alu 0xfffe
	s_mul_i32 s37, s37, s5
	v_add_co_ci_u32_e64 v2, null, s41, 0, s4
	s_wait_alu 0xfffe
	s_mul_hi_u32 s4, s5, s37
	s_mov_b32 s31, s13
	s_wait_alu 0xfffe
	s_add_co_i32 s37, s5, s4
	s_branch .LBB79_13
.LBB79_11:                              ;   in Loop: Header=BB79_13 Depth=1
	s_or_b32 exec_lo, exec_lo, s38
.LBB79_12:                              ;   in Loop: Header=BB79_13 Depth=1
	s_wait_alu 0xfffe
	s_or_b32 exec_lo, exec_lo, s5
	v_add_nc_u32_e32 v19, 4, v19
	v_add_co_u32 v1, s5, v1, 16
	s_wait_alu 0xf1ff
	v_add_co_ci_u32_e64 v2, null, 0, v2, s5
	s_delay_alu instid0(VALU_DEP_3)
	v_cmp_le_i32_e64 s4, s21, v19
	v_add_nc_u32_e32 v13, 32, v13
	v_add_nc_u32_e32 v15, 0x80, v15
	s_or_b32 s30, s4, s30
	s_wait_alu 0xfffe
	s_and_not1_b32 exec_lo, exec_lo, s30
	s_cbranch_execz .LBB79_20
.LBB79_13:                              ; =>This Inner Loop Header: Depth=1
	v_sub_nc_u32_e32 v20, 0, v13
	s_delay_alu instid0(VALU_DEP_1) | instskip(SKIP_1) | instid1(VALU_DEP_1)
	v_max_i32_e32 v20, v13, v20
	s_wait_dscnt 0x0
	v_mul_hi_u32 v21, v20, s20
	s_delay_alu instid0(VALU_DEP_1) | instskip(NEXT) | instid1(VALU_DEP_1)
	v_mul_lo_u32 v22, v21, s12
	v_sub_nc_u32_e32 v20, v20, v22
	v_add_nc_u32_e32 v22, 1, v21
	s_delay_alu instid0(VALU_DEP_2) | instskip(SKIP_2) | instid1(VALU_DEP_1)
	v_subrev_nc_u32_e32 v23, s12, v20
	v_cmp_le_u32_e64 s4, s12, v20
	s_wait_alu 0xf1ff
	v_cndmask_b32_e64 v21, v21, v22, s4
	s_delay_alu instid0(VALU_DEP_3) | instskip(SKIP_1) | instid1(VALU_DEP_3)
	v_cndmask_b32_e64 v20, v20, v23, s4
	v_ashrrev_i32_e32 v22, 31, v13
	v_add_nc_u32_e32 v23, 1, v21
	s_delay_alu instid0(VALU_DEP_3) | instskip(NEXT) | instid1(VALU_DEP_3)
	v_cmp_le_u32_e64 s4, s12, v20
	v_xor_b32_e32 v22, s11, v22
	s_wait_alu 0xf1ff
	s_delay_alu instid0(VALU_DEP_2) | instskip(NEXT) | instid1(VALU_DEP_1)
	v_cndmask_b32_e64 v20, v21, v23, s4
	v_xor_b32_e32 v20, v20, v22
	s_delay_alu instid0(VALU_DEP_1) | instskip(NEXT) | instid1(VALU_DEP_1)
	v_sub_nc_u32_e32 v20, v20, v22
	v_add_nc_u32_e32 v21, s19, v20
	v_cmp_ge_i32_e64 s5, s27, v20
	s_delay_alu instid0(VALU_DEP_2) | instskip(NEXT) | instid1(VALU_DEP_1)
	v_sub_nc_u32_e32 v22, 0, v21
	v_max_i32_e32 v22, v21, v22
	v_ashrrev_i32_e32 v21, 31, v21
	s_wait_alu 0xfffe
	s_delay_alu instid0(VALU_DEP_2) | instskip(NEXT) | instid1(VALU_DEP_1)
	v_mul_hi_u32 v23, v22, s37
	v_mul_lo_u32 v23, v23, s15
	s_delay_alu instid0(VALU_DEP_1) | instskip(NEXT) | instid1(VALU_DEP_1)
	v_sub_nc_u32_e32 v22, v22, v23
	v_subrev_nc_u32_e32 v23, s15, v22
	v_cmp_le_u32_e64 s4, s15, v22
	s_wait_alu 0xf1ff
	s_delay_alu instid0(VALU_DEP_1) | instskip(NEXT) | instid1(VALU_DEP_1)
	v_cndmask_b32_e64 v22, v22, v23, s4
	v_subrev_nc_u32_e32 v23, s15, v22
	v_cmp_le_u32_e64 s4, s15, v22
	s_wait_alu 0xf1ff
	s_delay_alu instid0(VALU_DEP_1) | instskip(NEXT) | instid1(VALU_DEP_1)
	v_cndmask_b32_e64 v22, v22, v23, s4
	v_xor_b32_e32 v22, v22, v21
	s_delay_alu instid0(VALU_DEP_1) | instskip(NEXT) | instid1(VALU_DEP_1)
	v_sub_nc_u32_e32 v21, v22, v21
	v_cmp_ne_u32_e64 s4, 0, v21
	s_and_b32 s4, s4, s5
	s_wait_alu 0xfffe
	s_and_saveexec_b32 s5, s4
	s_wait_alu 0xfffe
	s_xor_b32 s4, exec_lo, s5
	s_cbranch_execz .LBB79_17
; %bb.14:                               ;   in Loop: Header=BB79_13 Depth=1
	s_and_saveexec_b32 s5, s3
; %bb.15:                               ;   in Loop: Header=BB79_13 Depth=1
	ds_store_b32 v15, v16
; %bb.16:                               ;   in Loop: Header=BB79_13 Depth=1
	s_wait_alu 0xfffe
	s_or_b32 exec_lo, exec_lo, s5
.LBB79_17:                              ;   in Loop: Header=BB79_13 Depth=1
	s_wait_alu 0xfffe
	s_and_not1_saveexec_b32 s5, s4
	s_cbranch_execz .LBB79_12
; %bb.18:                               ;   in Loop: Header=BB79_13 Depth=1
	global_load_b32 v20, v[1:2], off
	s_wait_loadcnt 0x0
	v_mad_co_i64_i32 v[20:21], null, v20, s31, 0
	s_delay_alu instid0(VALU_DEP_1) | instskip(NEXT) | instid1(VALU_DEP_1)
	v_lshlrev_b64_e32 v[20:21], 1, v[20:21]
	v_add_co_u32 v27, s4, v8, v20
	s_wait_alu 0xf1ff
	s_delay_alu instid0(VALU_DEP_2)
	v_add_co_ci_u32_e64 v28, null, v12, v21, s4
	v_cmp_gt_i32_e64 s4, 32, v17
	s_clause 0xa
	global_load_b32 v20, v[27:28], off
	global_load_b32 v31, v[27:28], off offset:128
	global_load_b32 v37, v[27:28], off offset:256
	;; [unrolled: 1-line block ×10, first 2 shown]
	ds_load_b32 v21, v7
	s_clause 0xc
	global_load_b32 v77, v[27:28], off offset:1408
	global_load_b32 v81, v[27:28], off offset:1536
	;; [unrolled: 1-line block ×13, first 2 shown]
	s_wait_dscnt 0x0
	v_lshrrev_b32_e32 v30, 16, v21
	v_and_b32_e32 v29, 0xffff, v21
	s_wait_loadcnt 0xc
	v_lshrrev_b32_e32 v82, 16, v77
	v_and_b32_e32 v32, 0xffff, v20
	v_lshrrev_b32_e32 v33, 16, v20
	s_clause 0x7
	global_load_b32 v34, v[27:28], off offset:3072
	global_load_b32 v26, v[27:28], off offset:3200
	;; [unrolled: 1-line block ×8, first 2 shown]
	;;#ASMSTART
	v_cvt_f32_f16 v29, v29;
	;;#ASMEND
	;;#ASMSTART
	v_cvt_f32_f16 v27, v30;
	;;#ASMEND
	;; [unrolled: 3-line block ×4, first 2 shown]
	ds_load_b32 v32, v7 offset:4
	v_and_b32_e32 v35, 0xffff, v31
	v_lshrrev_b32_e32 v38, 16, v31
	v_lshrrev_b32_e32 v42, 16, v37
	;; [unrolled: 1-line block ×4, first 2 shown]
	v_and_b32_e32 v53, 0xffff, v50
	v_lshrrev_b32_e32 v55, 16, v50
	v_and_b32_e32 v57, 0xffff, v54
	v_lshrrev_b32_e32 v60, 16, v54
	v_lshrrev_b32_e32 v64, 16, v59
	;; [unrolled: 1-line block ×3, first 2 shown]
	v_and_b32_e32 v71, 0xffff, v68
	v_lshrrev_b32_e32 v74, 16, v68
	v_lshrrev_b32_e32 v78, 16, v73
	s_wait_loadcnt 0x13
	v_lshrrev_b32_e32 v87, 16, v81
	s_wait_loadcnt 0x12
	v_and_b32_e32 v89, 0xffff, v86
	v_lshrrev_b32_e32 v93, 16, v86
	s_wait_loadcnt 0x11
	v_and_b32_e32 v95, 0xffff, v92
	v_lshrrev_b32_e32 v97, 16, v92
	s_wait_dscnt 0x0
	v_and_b32_e32 v33, 0xffff, v32
	v_lshrrev_b32_e32 v32, 16, v32
	;;#ASMSTART
	v_cvt_f32_f16 v31, v33;
	;;#ASMEND
	;;#ASMSTART
	v_cvt_f32_f16 v32, v32;
	;;#ASMEND
	;; [unrolled: 3-line block ×4, first 2 shown]
	ds_load_b32 v38, v7 offset:8
	v_dual_mul_f32 v32, v32, v35 :: v_dual_mul_f32 v31, v31, v33
	v_and_b32_e32 v40, 0xffff, v37
	s_wait_loadcnt 0x10
	v_and_b32_e32 v99, 0xffff, v96
	v_lshrrev_b32_e32 v100, 16, v96
	v_dual_fmac_f32 v32, v27, v28 :: v_dual_fmac_f32 v31, v29, v30
	s_wait_loadcnt 0xf
	v_lshrrev_b32_e32 v103, 16, v91
	s_wait_loadcnt 0xe
	v_and_b32_e32 v105, 0xffff, v90
	v_lshrrev_b32_e32 v106, 16, v90
	s_wait_loadcnt 0xd
	v_lshrrev_b32_e32 v109, 16, v85
	s_wait_loadcnt 0xc
	v_and_b32_e32 v111, 0xffff, v72
	v_lshrrev_b32_e32 v112, 16, v72
	s_wait_loadcnt 0xb
	v_lshrrev_b32_e32 v115, 16, v67
	s_wait_loadcnt 0xa
	v_and_b32_e32 v117, 0xffff, v58
	v_lshrrev_b32_e32 v118, 16, v58
	s_wait_loadcnt 0x9
	v_lshrrev_b32_e32 v121, 16, v49
	s_wait_loadcnt 0x8
	v_and_b32_e32 v123, 0xffff, v36
	v_lshrrev_b32_e32 v124, 16, v36
	s_wait_dscnt 0x0
	v_and_b32_e32 v39, 0xffff, v38
	v_lshrrev_b32_e32 v38, 16, v38
	;;#ASMSTART
	v_cvt_f32_f16 v37, v39;
	;;#ASMEND
	;;#ASMSTART
	v_cvt_f32_f16 v38, v38;
	;;#ASMEND
	;; [unrolled: 3-line block ×4, first 2 shown]
	ds_load_b32 v42, v7 offset:12
	v_dual_fmac_f32 v31, v37, v39 :: v_dual_and_b32 v44, 0xffff, v41
	s_wait_dscnt 0x0
	v_dual_fmac_f32 v32, v38, v40 :: v_dual_and_b32 v43, 0xffff, v42
	v_lshrrev_b32_e32 v42, 16, v42
	;;#ASMSTART
	v_cvt_f32_f16 v41, v43;
	;;#ASMEND
	;;#ASMSTART
	v_cvt_f32_f16 v42, v42;
	;;#ASMEND
	;; [unrolled: 3-line block ×4, first 2 shown]
	ds_load_b32 v46, v7 offset:16
	v_dual_fmac_f32 v31, v41, v43 :: v_dual_and_b32 v48, 0xffff, v45
	s_wait_dscnt 0x0
	v_dual_fmac_f32 v32, v42, v44 :: v_dual_and_b32 v47, 0xffff, v46
	v_lshrrev_b32_e32 v46, 16, v46
	;;#ASMSTART
	v_cvt_f32_f16 v45, v47;
	;;#ASMEND
	;;#ASMSTART
	v_cvt_f32_f16 v46, v46;
	;;#ASMEND
	;; [unrolled: 3-line block ×4, first 2 shown]
	ds_load_b32 v51, v7 offset:20
	v_dual_fmac_f32 v31, v45, v47 :: v_dual_and_b32 v76, 0xffff, v73
	v_fmac_f32_e32 v32, v46, v48
	s_wait_dscnt 0x0
	v_and_b32_e32 v52, 0xffff, v51
	v_lshrrev_b32_e32 v51, 16, v51
	;;#ASMSTART
	v_cvt_f32_f16 v50, v52;
	;;#ASMEND
	;;#ASMSTART
	v_cvt_f32_f16 v51, v51;
	;;#ASMEND
	;; [unrolled: 3-line block ×4, first 2 shown]
	ds_load_b32 v55, v7 offset:24
	v_dual_fmac_f32 v31, v50, v52 :: v_dual_fmac_f32 v32, v51, v53
	s_wait_dscnt 0x0
	v_and_b32_e32 v56, 0xffff, v55
	v_lshrrev_b32_e32 v55, 16, v55
	;;#ASMSTART
	v_cvt_f32_f16 v54, v56;
	;;#ASMEND
	;;#ASMSTART
	v_cvt_f32_f16 v55, v55;
	;;#ASMEND
	;; [unrolled: 3-line block ×4, first 2 shown]
	ds_load_b32 v60, v7 offset:28
	v_dual_fmac_f32 v31, v54, v56 :: v_dual_and_b32 v62, 0xffff, v59
	s_wait_dscnt 0x0
	v_dual_fmac_f32 v32, v55, v57 :: v_dual_and_b32 v61, 0xffff, v60
	v_lshrrev_b32_e32 v60, 16, v60
	;;#ASMSTART
	v_cvt_f32_f16 v59, v61;
	;;#ASMEND
	;;#ASMSTART
	v_cvt_f32_f16 v60, v60;
	;;#ASMEND
	;; [unrolled: 3-line block ×4, first 2 shown]
	ds_load_b32 v64, v7 offset:32
	v_dual_fmac_f32 v31, v59, v61 :: v_dual_and_b32 v66, 0xffff, v63
	s_wait_dscnt 0x0
	v_dual_fmac_f32 v32, v60, v62 :: v_dual_and_b32 v65, 0xffff, v64
	v_lshrrev_b32_e32 v64, 16, v64
	;;#ASMSTART
	v_cvt_f32_f16 v63, v65;
	;;#ASMEND
	;;#ASMSTART
	v_cvt_f32_f16 v64, v64;
	;;#ASMEND
	;; [unrolled: 3-line block ×4, first 2 shown]
	ds_load_b32 v69, v7 offset:36
	v_dual_fmac_f32 v32, v64, v66 :: v_dual_fmac_f32 v31, v63, v65
	s_wait_dscnt 0x0
	v_and_b32_e32 v70, 0xffff, v69
	v_lshrrev_b32_e32 v69, 16, v69
	;;#ASMSTART
	v_cvt_f32_f16 v68, v70;
	;;#ASMEND
	;;#ASMSTART
	v_cvt_f32_f16 v69, v69;
	;;#ASMEND
	;; [unrolled: 3-line block ×4, first 2 shown]
	ds_load_b32 v74, v7 offset:40
	v_fmac_f32_e32 v32, v69, v71
	v_dual_fmac_f32 v31, v68, v70 :: v_dual_and_b32 v80, 0xffff, v77
	s_wait_dscnt 0x0
	v_and_b32_e32 v75, 0xffff, v74
	v_lshrrev_b32_e32 v74, 16, v74
	;;#ASMSTART
	v_cvt_f32_f16 v73, v75;
	;;#ASMEND
	;;#ASMSTART
	v_cvt_f32_f16 v74, v74;
	;;#ASMEND
	;; [unrolled: 3-line block ×4, first 2 shown]
	ds_load_b32 v78, v7 offset:44
	v_dual_fmac_f32 v32, v74, v76 :: v_dual_fmac_f32 v31, v73, v75
	s_wait_dscnt 0x0
	v_and_b32_e32 v79, 0xffff, v78
	v_lshrrev_b32_e32 v78, 16, v78
	;;#ASMSTART
	v_cvt_f32_f16 v77, v79;
	;;#ASMEND
	;;#ASMSTART
	v_cvt_f32_f16 v78, v78;
	;;#ASMEND
	;; [unrolled: 3-line block ×4, first 2 shown]
	ds_load_b32 v82, v7 offset:48
	v_dual_fmac_f32 v31, v77, v79 :: v_dual_and_b32 v84, 0xffff, v81
	s_wait_dscnt 0x0
	v_dual_fmac_f32 v32, v78, v80 :: v_dual_and_b32 v83, 0xffff, v82
	v_lshrrev_b32_e32 v82, 16, v82
	;;#ASMSTART
	v_cvt_f32_f16 v81, v83;
	;;#ASMEND
	;;#ASMSTART
	v_cvt_f32_f16 v82, v82;
	;;#ASMEND
	;; [unrolled: 3-line block ×4, first 2 shown]
	ds_load_b32 v87, v7 offset:52
	v_fmac_f32_e32 v31, v81, v83
	s_wait_loadcnt 0x7
	v_lshrrev_b32_e32 v127, 16, v34
	v_fmac_f32_e32 v32, v82, v84
	s_wait_loadcnt 0x6
	v_lshrrev_b32_e32 v128, 16, v26
	s_wait_loadcnt 0x5
	v_lshrrev_b32_e32 v37, 16, v25
	;; [unrolled: 2-line block ×4, first 2 shown]
	v_and_b32_e32 v43, 0xffff, v23
	s_wait_loadcnt 0x2
	v_lshrrev_b32_e32 v45, 16, v22
	s_wait_loadcnt 0x1
	v_and_b32_e32 v47, 0xffff, v21
	s_wait_dscnt 0x0
	v_and_b32_e32 v88, 0xffff, v87
	v_lshrrev_b32_e32 v87, 16, v87
	;;#ASMSTART
	v_cvt_f32_f16 v86, v88;
	;;#ASMEND
	;;#ASMSTART
	v_cvt_f32_f16 v87, v87;
	;;#ASMEND
	;; [unrolled: 3-line block ×4, first 2 shown]
	ds_load_b32 v93, v7 offset:56
	v_dual_fmac_f32 v31, v86, v88 :: v_dual_fmac_f32 v32, v87, v89
	s_wait_dscnt 0x0
	v_and_b32_e32 v94, 0xffff, v93
	v_lshrrev_b32_e32 v93, 16, v93
	;;#ASMSTART
	v_cvt_f32_f16 v92, v94;
	;;#ASMEND
	;;#ASMSTART
	v_cvt_f32_f16 v93, v93;
	;;#ASMEND
	;;#ASMSTART
	v_cvt_f32_f16 v94, v95;
	;;#ASMEND
	;;#ASMSTART
	v_cvt_f32_f16 v95, v97;
	;;#ASMEND
	ds_load_b32 v97, v7 offset:60
	v_dual_fmac_f32 v31, v92, v94 :: v_dual_fmac_f32 v32, v93, v95
	s_wait_dscnt 0x0
	v_and_b32_e32 v98, 0xffff, v97
	v_lshrrev_b32_e32 v97, 16, v97
	;;#ASMSTART
	v_cvt_f32_f16 v96, v98;
	;;#ASMEND
	;;#ASMSTART
	v_cvt_f32_f16 v97, v97;
	;;#ASMEND
	;;#ASMSTART
	v_cvt_f32_f16 v98, v99;
	;;#ASMEND
	;;#ASMSTART
	v_cvt_f32_f16 v99, v100;
	;;#ASMEND
	ds_load_b32 v100, v7 offset:64
	v_dual_fmac_f32 v31, v96, v98 :: v_dual_and_b32 v102, 0xffff, v91
	s_wait_dscnt 0x0
	v_dual_fmac_f32 v32, v97, v99 :: v_dual_and_b32 v101, 0xffff, v100
	v_lshrrev_b32_e32 v100, 16, v100
	;;#ASMSTART
	v_cvt_f32_f16 v91, v101;
	;;#ASMEND
	;;#ASMSTART
	v_cvt_f32_f16 v100, v100;
	;;#ASMEND
	;;#ASMSTART
	v_cvt_f32_f16 v101, v102;
	;;#ASMEND
	;;#ASMSTART
	v_cvt_f32_f16 v102, v103;
	;;#ASMEND
	ds_load_b32 v103, v7 offset:68
	v_dual_fmac_f32 v31, v91, v101 :: v_dual_fmac_f32 v32, v100, v102
	s_wait_dscnt 0x0
	v_and_b32_e32 v104, 0xffff, v103
	v_lshrrev_b32_e32 v103, 16, v103
	;;#ASMSTART
	v_cvt_f32_f16 v90, v104;
	;;#ASMEND
	;;#ASMSTART
	v_cvt_f32_f16 v103, v103;
	;;#ASMEND
	;;#ASMSTART
	v_cvt_f32_f16 v104, v105;
	;;#ASMEND
	;;#ASMSTART
	v_cvt_f32_f16 v105, v106;
	;;#ASMEND
	ds_load_b32 v106, v7 offset:72
	v_dual_fmac_f32 v31, v90, v104 :: v_dual_and_b32 v108, 0xffff, v85
	s_wait_dscnt 0x0
	v_dual_fmac_f32 v32, v103, v105 :: v_dual_and_b32 v107, 0xffff, v106
	v_lshrrev_b32_e32 v106, 16, v106
	;;#ASMSTART
	v_cvt_f32_f16 v85, v107;
	;;#ASMEND
	;;#ASMSTART
	v_cvt_f32_f16 v106, v106;
	;;#ASMEND
	;;#ASMSTART
	v_cvt_f32_f16 v107, v108;
	;;#ASMEND
	;;#ASMSTART
	v_cvt_f32_f16 v108, v109;
	;;#ASMEND
	ds_load_b32 v109, v7 offset:76
	v_dual_fmac_f32 v31, v85, v107 :: v_dual_fmac_f32 v32, v106, v108
	s_wait_dscnt 0x0
	v_and_b32_e32 v110, 0xffff, v109
	v_lshrrev_b32_e32 v109, 16, v109
	;;#ASMSTART
	v_cvt_f32_f16 v72, v110;
	;;#ASMEND
	;;#ASMSTART
	v_cvt_f32_f16 v109, v109;
	;;#ASMEND
	;;#ASMSTART
	v_cvt_f32_f16 v110, v111;
	;;#ASMEND
	;;#ASMSTART
	v_cvt_f32_f16 v111, v112;
	;;#ASMEND
	ds_load_b32 v112, v7 offset:80
	v_dual_fmac_f32 v31, v72, v110 :: v_dual_and_b32 v114, 0xffff, v67
	s_wait_dscnt 0x0
	v_dual_fmac_f32 v32, v109, v111 :: v_dual_and_b32 v113, 0xffff, v112
	v_lshrrev_b32_e32 v112, 16, v112
	;;#ASMSTART
	v_cvt_f32_f16 v67, v113;
	;;#ASMEND
	;;#ASMSTART
	v_cvt_f32_f16 v112, v112;
	;;#ASMEND
	;;#ASMSTART
	v_cvt_f32_f16 v113, v114;
	;;#ASMEND
	;;#ASMSTART
	v_cvt_f32_f16 v114, v115;
	;;#ASMEND
	ds_load_b32 v115, v7 offset:84
	v_dual_fmac_f32 v31, v67, v113 :: v_dual_fmac_f32 v32, v112, v114
	s_wait_dscnt 0x0
	v_and_b32_e32 v116, 0xffff, v115
	v_lshrrev_b32_e32 v115, 16, v115
	;;#ASMSTART
	v_cvt_f32_f16 v58, v116;
	;;#ASMEND
	;;#ASMSTART
	v_cvt_f32_f16 v115, v115;
	;;#ASMEND
	;;#ASMSTART
	v_cvt_f32_f16 v116, v117;
	;;#ASMEND
	;;#ASMSTART
	v_cvt_f32_f16 v117, v118;
	;;#ASMEND
	ds_load_b32 v118, v7 offset:88
	v_dual_fmac_f32 v31, v58, v116 :: v_dual_and_b32 v120, 0xffff, v49
	s_wait_dscnt 0x0
	v_dual_fmac_f32 v32, v115, v117 :: v_dual_and_b32 v119, 0xffff, v118
	v_lshrrev_b32_e32 v118, 16, v118
	;;#ASMSTART
	v_cvt_f32_f16 v49, v119;
	;;#ASMEND
	;;#ASMSTART
	v_cvt_f32_f16 v118, v118;
	;;#ASMEND
	;; [unrolled: 3-line block ×4, first 2 shown]
	ds_load_b32 v121, v7 offset:92
	v_dual_fmac_f32 v31, v49, v119 :: v_dual_fmac_f32 v32, v118, v120
	s_wait_dscnt 0x0
	v_and_b32_e32 v122, 0xffff, v121
	v_lshrrev_b32_e32 v121, 16, v121
	;;#ASMSTART
	v_cvt_f32_f16 v36, v122;
	;;#ASMEND
	;;#ASMSTART
	v_cvt_f32_f16 v121, v121;
	;;#ASMEND
	;; [unrolled: 3-line block ×4, first 2 shown]
	ds_load_b32 v124, v7 offset:96
	v_dual_fmac_f32 v31, v36, v122 :: v_dual_and_b32 v28, 0xffff, v25
	v_and_b32_e32 v126, 0xffff, v34
	v_fmac_f32_e32 v32, v121, v123
	v_lshrrev_b32_e32 v36, 16, v21
	s_wait_dscnt 0x0
	v_and_b32_e32 v125, 0xffff, v124
	v_lshrrev_b32_e32 v124, 16, v124
	;;#ASMSTART
	v_cvt_f32_f16 v34, v125;
	;;#ASMEND
	;;#ASMSTART
	v_cvt_f32_f16 v124, v124;
	;;#ASMEND
	;; [unrolled: 3-line block ×4, first 2 shown]
	ds_load_b32 v127, v7 offset:100
	v_dual_fmac_f32 v31, v34, v125 :: v_dual_fmac_f32 v32, v124, v126
	s_wait_dscnt 0x0
	v_and_b32_e32 v33, 0xffff, v127
	v_lshrrev_b32_e32 v35, 16, v127
	v_and_b32_e32 v127, 0xffff, v26
	;;#ASMSTART
	v_cvt_f32_f16 v26, v33;
	;;#ASMEND
	;;#ASMSTART
	v_cvt_f32_f16 v29, v35;
	;;#ASMEND
	;; [unrolled: 3-line block ×4, first 2 shown]
	ds_load_b32 v35, v7 offset:104
	v_dual_fmac_f32 v31, v26, v30 :: v_dual_and_b32 v38, 0xffff, v24
	s_wait_dscnt 0x0
	v_dual_fmac_f32 v32, v29, v33 :: v_dual_and_b32 v27, 0xffff, v35
	v_lshrrev_b32_e32 v35, 16, v35
	;;#ASMSTART
	v_cvt_f32_f16 v25, v27;
	;;#ASMEND
	;;#ASMSTART
	v_cvt_f32_f16 v27, v35;
	;;#ASMEND
	;; [unrolled: 3-line block ×4, first 2 shown]
	ds_load_b32 v37, v7 offset:108
	v_dual_fmac_f32 v32, v27, v35 :: v_dual_fmac_f32 v31, v25, v28
	s_wait_loadcnt 0x0
	v_and_b32_e32 v27, 0xffff, v20
	s_wait_dscnt 0x0
	v_and_b32_e32 v39, 0xffff, v37
	v_lshrrev_b32_e32 v37, 16, v37
	;;#ASMSTART
	v_cvt_f32_f16 v24, v39;
	;;#ASMEND
	;;#ASMSTART
	v_cvt_f32_f16 v37, v37;
	;;#ASMEND
	;; [unrolled: 3-line block ×4, first 2 shown]
	ds_load_b32 v40, v7 offset:112
	v_dual_fmac_f32 v32, v37, v39 :: v_dual_fmac_f32 v31, v24, v38
	v_lshrrev_b32_e32 v24, 16, v20
	s_wait_dscnt 0x0
	v_and_b32_e32 v41, 0xffff, v40
	v_lshrrev_b32_e32 v40, 16, v40
	;;#ASMSTART
	v_cvt_f32_f16 v23, v41;
	;;#ASMEND
	;;#ASMSTART
	v_cvt_f32_f16 v40, v40;
	;;#ASMEND
	;; [unrolled: 3-line block ×4, first 2 shown]
	ds_load_b32 v43, v7 offset:116
	v_dual_fmac_f32 v31, v23, v41 :: v_dual_and_b32 v46, 0xffff, v22
	v_fmac_f32_e32 v32, v40, v42
	s_wait_alu 0xf1ff
	v_cndmask_b32_e64 v23, v4, v17, s4
	v_cmp_gt_i32_e64 s4, 32, v18
	s_wait_dscnt 0x0
	v_and_b32_e32 v44, 0xffff, v43
	v_lshrrev_b32_e32 v43, 16, v43
	;;#ASMSTART
	v_cvt_f32_f16 v22, v44;
	;;#ASMEND
	;;#ASMSTART
	v_cvt_f32_f16 v43, v43;
	;;#ASMEND
	;; [unrolled: 3-line block ×4, first 2 shown]
	ds_load_b32 v46, v7 offset:120
	v_dual_fmac_f32 v31, v22, v44 :: v_dual_fmac_f32 v32, v43, v45
	s_wait_dscnt 0x0
	v_and_b32_e32 v34, 0xffff, v46
	v_lshrrev_b32_e32 v46, 16, v46
	;;#ASMSTART
	v_cvt_f32_f16 v21, v34;
	;;#ASMEND
	;;#ASMSTART
	v_cvt_f32_f16 v26, v46;
	;;#ASMEND
	;; [unrolled: 3-line block ×4, first 2 shown]
	ds_load_b32 v33, v7 offset:124
	v_dual_fmac_f32 v31, v21, v29 :: v_dual_fmac_f32 v32, v26, v30
	s_wait_dscnt 0x0
	v_and_b32_e32 v22, 0xffff, v33
	v_lshrrev_b32_e32 v25, 16, v33
	;;#ASMSTART
	v_cvt_f32_f16 v20, v22;
	;;#ASMEND
	;;#ASMSTART
	v_cvt_f32_f16 v21, v25;
	;;#ASMEND
	;; [unrolled: 3-line block ×4, first 2 shown]
	v_dual_fmac_f32 v31, v20, v22 :: v_dual_fmac_f32 v32, v21, v24
	v_lshlrev_b32_e32 v20, 2, v23
	s_wait_alu 0xf1ff
	v_cndmask_b32_e64 v22, v4, v18, s4
	s_delay_alu instid0(VALU_DEP_3)
	v_add_f32_e32 v21, v31, v32
	ds_bpermute_b32 v20, v20, v21
	s_wait_dscnt 0x0
	v_dual_add_f32 v20, v21, v20 :: v_dual_lshlrev_b32 v21, 2, v22
	ds_bpermute_b32 v21, v21, v20
	s_and_saveexec_b32 s38, s3
	s_cbranch_execz .LBB79_11
; %bb.19:                               ;   in Loop: Header=BB79_13 Depth=1
	s_wait_dscnt 0x0
	v_add_f32_e32 v20, v20, v21
	v_add_nc_u32_e32 v22, v14, v13
	s_delay_alu instid0(VALU_DEP_1) | instskip(NEXT) | instid1(VALU_DEP_1)
	v_cvt_f32_i32_e32 v22, v22
	v_mul_f32_e32 v22, s26, v22
	s_delay_alu instid0(VALU_DEP_1) | instskip(NEXT) | instid1(VALU_DEP_1)
	v_cndmask_b32_e32 v21, 0, v22, vcc_lo
	v_dual_max_num_f32 v22, v6, v6 :: v_dual_fmac_f32 v21, s7, v20
	v_add_nc_u32_e32 v20, v5, v13
	s_delay_alu instid0(VALU_DEP_2) | instskip(NEXT) | instid1(VALU_DEP_2)
	v_max_num_f32_e32 v22, v22, v21
	v_cmp_gt_i32_e64 s4, s17, v20
	s_wait_alu 0xf1ff
	s_delay_alu instid0(VALU_DEP_1) | instskip(NEXT) | instid1(VALU_DEP_3)
	v_cndmask_b32_e64 v20, 0, v21, s4
	v_cndmask_b32_e64 v6, v6, v22, s4
	ds_store_b32 v15, v20
	s_branch .LBB79_11
.LBB79_20:
	s_or_b32 exec_lo, exec_lo, s30
.LBB79_21:
	s_delay_alu instid0(SALU_CYCLE_1)
	s_or_b32 exec_lo, exec_lo, s6
	v_xor_b32_e32 v1, 16, v4
	v_xor_b32_e32 v5, 8, v4
	;; [unrolled: 1-line block ×3, first 2 shown]
	s_clause 0x2
	s_load_b128 s[4:7], s[0:1], 0x0
	s_load_b64 s[26:27], s[0:1], 0x10
	s_load_b64 s[30:31], s[0:1], 0x28
	v_and_b32_e32 v12, 31, v0
	v_cmp_gt_i32_e32 vcc_lo, 32, v1
	s_wait_alu 0xfffd
	v_cndmask_b32_e32 v1, v4, v1, vcc_lo
	v_cmp_gt_i32_e32 vcc_lo, 32, v5
	s_wait_alu 0xfffd
	v_cndmask_b32_e32 v5, v4, v5, vcc_lo
	v_cmp_gt_i32_e32 vcc_lo, 32, v7
	v_lshlrev_b32_e32 v2, 2, v1
	s_delay_alu instid0(VALU_DEP_3)
	v_lshlrev_b32_e32 v5, 2, v5
	s_wait_alu 0xfffd
	v_cndmask_b32_e32 v7, v4, v7, vcc_lo
	ds_bpermute_b32 v1, v2, v6
	v_max_num_f32_e32 v6, v6, v6
	v_cmp_eq_u32_e32 vcc_lo, 0, v12
	s_wait_dscnt 0x0
	v_dual_max_num_f32 v1, v1, v1 :: v_dual_lshlrev_b32 v8, 2, v7
	s_delay_alu instid0(VALU_DEP_1) | instskip(SKIP_3) | instid1(VALU_DEP_1)
	v_max_num_f32_e32 v1, v6, v1
	ds_bpermute_b32 v6, v5, v1
	s_wait_dscnt 0x0
	v_max_num_f32_e32 v6, v6, v6
	v_dual_max_num_f32 v1, v1, v6 :: v_dual_lshlrev_b32 v6, 2, v9
	ds_bpermute_b32 v7, v8, v1
	s_and_saveexec_b32 s0, vcc_lo
	s_cbranch_execz .LBB79_23
; %bb.22:
	s_wait_dscnt 0x0
	v_max_num_f32_e32 v7, v7, v7
	v_max_num_f32_e32 v1, v1, v1
	s_delay_alu instid0(VALU_DEP_1)
	v_max_num_f32_e32 v1, v1, v7
	ds_store_b32 v6, v1 offset:512
.LBB79_23:
	s_or_b32 exec_lo, exec_lo, s0
	v_cmp_gt_u32_e64 s0, 4, v12
	v_mov_b32_e32 v1, 0xff7fffff
	s_wait_dscnt 0x0
	v_lshlrev_b32_e32 v7, 2, v12
	s_wait_loadcnt 0x0
	s_barrier_signal -1
	s_barrier_wait -1
	global_inv scope:SCOPE_SE
	s_and_saveexec_b32 s1, s0
; %bb.24:
	ds_load_b32 v1, v7 offset:512
; %bb.25:
	s_or_b32 exec_lo, exec_lo, s1
	v_xor_b32_e32 v13, 2, v4
	v_xor_b32_e32 v15, 1, v4
	s_delay_alu instid0(VALU_DEP_2) | instskip(NEXT) | instid1(VALU_DEP_1)
	v_cmp_gt_i32_e64 s1, 32, v13
	v_cndmask_b32_e64 v13, v4, v13, s1
	s_delay_alu instid0(VALU_DEP_3) | instskip(NEXT) | instid1(VALU_DEP_2)
	v_cmp_gt_i32_e64 s1, 32, v15
	v_lshlrev_b32_e32 v13, 2, v13
	s_wait_alu 0xf1ff
	s_delay_alu instid0(VALU_DEP_2)
	v_cndmask_b32_e64 v4, v4, v15, s1
	s_sub_co_i32 s1, s21, s36
	s_wait_alu 0xfffe
	s_lshl_b32 s1, s1, 3
	s_wait_dscnt 0x0
	ds_bpermute_b32 v14, v13, v1
	v_max_num_f32_e32 v1, v1, v1
	s_wait_alu 0xfffe
	s_add_co_i32 s1, s1, s16
	s_wait_alu 0xfffe
	s_min_i32 s1, s1, s17
	s_wait_alu 0xfffe
	s_sub_co_i32 s15, s1, s16
	s_wait_alu 0xfffe
	v_cmp_gt_i32_e64 s1, s15, v0
	s_wait_dscnt 0x0
	v_dual_max_num_f32 v15, v14, v14 :: v_dual_lshlrev_b32 v14, 2, v4
	s_delay_alu instid0(VALU_DEP_1) | instskip(SKIP_4) | instid1(VALU_DEP_1)
	v_max_num_f32_e32 v1, v1, v15
	v_mov_b32_e32 v15, 0
	ds_bpermute_b32 v4, v14, v1
	s_wait_dscnt 0x0
	v_max_num_f32_e32 v4, v4, v4
	v_max_num_f32_e32 v1, v1, v4
	v_lshl_add_u32 v4, v0, 2, 0x220
	ds_bpermute_b32 v1, v15, v1
	s_and_saveexec_b32 s36, s1
	s_cbranch_execz .LBB79_29
; %bb.26:
	v_lshl_add_u32 v16, v0, 2, 0x220
	v_mov_b32_e32 v15, 0
	v_mov_b32_e32 v17, v0
	s_mov_b32 s37, 0
.LBB79_27:                              ; =>This Inner Loop Header: Depth=1
	ds_load_b32 v18, v16
	v_add_nc_u32_e32 v17, 0x80, v17
	s_delay_alu instid0(VALU_DEP_1) | instskip(SKIP_4) | instid1(VALU_DEP_1)
	v_cmp_le_i32_e64 s3, s15, v17
	s_wait_alu 0xfffe
	s_or_b32 s37, s3, s37
	s_wait_dscnt 0x0
	v_sub_f32_e32 v18, v18, v1
	v_mul_f32_e32 v18, 0x3fb8aa3b, v18
	s_delay_alu instid0(VALU_DEP_1)
	v_exp_f32_e32 v18, v18
	ds_store_b32 v16, v18
	v_dual_add_f32 v15, v15, v18 :: v_dual_add_nc_u32 v16, 0x200, v16
	s_wait_alu 0xfffe
	s_and_not1_b32 exec_lo, exec_lo, s37
	s_cbranch_execnz .LBB79_27
; %bb.28:
	s_or_b32 exec_lo, exec_lo, s37
.LBB79_29:
	s_wait_alu 0xfffe
	s_or_b32 exec_lo, exec_lo, s36
	ds_bpermute_b32 v2, v2, v15
	s_wait_dscnt 0x0
	v_add_f32_e32 v2, v15, v2
	ds_bpermute_b32 v5, v5, v2
	s_wait_dscnt 0x0
	v_add_f32_e32 v2, v2, v5
	;; [unrolled: 3-line block ×5, first 2 shown]
	s_and_saveexec_b32 s3, vcc_lo
; %bb.30:
	ds_store_b32 v6, v2 offset:528
; %bb.31:
	s_wait_alu 0xfffe
	s_or_b32 exec_lo, exec_lo, s3
	s_wait_loadcnt_dscnt 0x0
	s_barrier_signal -1
	s_barrier_wait -1
	global_inv scope:SCOPE_SE
	s_and_saveexec_b32 s3, s0
; %bb.32:
	ds_load_b32 v2, v7 offset:528
; %bb.33:
	s_wait_alu 0xfffe
	s_or_b32 exec_lo, exec_lo, s3
	s_wait_dscnt 0x0
	ds_bpermute_b32 v5, v13, v2
	s_wait_dscnt 0x0
	v_add_f32_e32 v2, v2, v5
	ds_bpermute_b32 v5, v14, v2
	s_wait_dscnt 0x0
	v_dual_add_f32 v2, v2, v5 :: v_dual_mov_b32 v5, 0
	ds_bpermute_b32 v2, v5, v2
	s_and_saveexec_b32 s0, s1
	s_cbranch_execz .LBB79_36
; %bb.34:
	s_wait_dscnt 0x0
	v_add_f32_e32 v5, 0x358637bd, v2
	s_mov_b32 s1, 0
	s_delay_alu instid0(VALU_DEP_1) | instskip(SKIP_1) | instid1(VALU_DEP_2)
	v_div_scale_f32 v6, null, v5, v5, 1.0
	v_div_scale_f32 v13, vcc_lo, 1.0, v5, 1.0
	v_rcp_f32_e32 v7, v6
	s_delay_alu instid0(TRANS32_DEP_1) | instskip(NEXT) | instid1(VALU_DEP_1)
	v_fma_f32 v8, -v6, v7, 1.0
	v_fmac_f32_e32 v7, v8, v7
	s_delay_alu instid0(VALU_DEP_1) | instskip(NEXT) | instid1(VALU_DEP_1)
	v_mul_f32_e32 v8, v13, v7
	v_fma_f32 v14, -v6, v8, v13
	s_delay_alu instid0(VALU_DEP_1) | instskip(NEXT) | instid1(VALU_DEP_1)
	v_fmac_f32_e32 v8, v14, v7
	v_fma_f32 v6, -v6, v8, v13
	s_wait_alu 0xfffd
	s_delay_alu instid0(VALU_DEP_1) | instskip(NEXT) | instid1(VALU_DEP_1)
	v_div_fmas_f32 v6, v6, v7, v8
	v_div_fixup_f32 v5, v6, v5, 1.0
	v_mov_b32_e32 v6, v0
.LBB79_35:                              ; =>This Inner Loop Header: Depth=1
	ds_load_b32 v7, v4
	s_wait_dscnt 0x0
	v_dual_mul_f32 v7, v5, v7 :: v_dual_add_nc_u32 v6, 0x80, v6
	s_delay_alu instid0(VALU_DEP_1)
	v_cmp_le_i32_e32 vcc_lo, s15, v6
	ds_store_b32 v4, v7
	v_add_nc_u32_e32 v4, 0x200, v4
	s_wait_alu 0xfffe
	s_or_b32 s1, vcc_lo, s1
	s_wait_alu 0xfffe
	s_and_not1_b32 exec_lo, exec_lo, s1
	s_cbranch_execnz .LBB79_35
.LBB79_36:
	s_wait_alu 0xfffe
	s_or_b32 exec_lo, exec_lo, s0
	s_mul_i32 s0, s8, s28
	s_wait_loadcnt_dscnt 0x0
	s_wait_alu 0xfffe
	s_mul_i32 s28, s0, s29
	s_mov_b32 s0, exec_lo
	s_barrier_signal -1
	s_barrier_wait -1
	global_inv scope:SCOPE_SE
	v_cmpx_eq_u32_e32 0, v0
	s_cbranch_execz .LBB79_38
; %bb.37:
	s_ashr_i32 s29, s28, 31
	s_wait_alu 0xfffe
	s_mul_i32 s36, s8, ttmp9
	s_lshl_b32 s1, s33, 2
	s_lshl_b64 s[38:39], s[28:29], 2
	s_wait_alu 0xfffe
	s_ashr_i32 s37, s36, 31
	v_mov_b32_e32 v4, s1
	s_wait_kmcnt 0x0
	s_add_nc_u64 s[6:7], s[6:7], s[38:39]
	s_wait_alu 0xfffe
	s_lshl_b64 s[36:37], s[36:37], 2
	s_add_nc_u64 s[4:5], s[4:5], s[38:39]
	s_wait_alu 0xfffe
	s_add_nc_u64 s[6:7], s[6:7], s[36:37]
	s_add_nc_u64 s[4:5], s[4:5], s[36:37]
	s_clause 0x1
	global_store_b32 v4, v1, s[6:7]
	global_store_b32 v4, v2, s[4:5]
.LBB79_38:
	s_wait_alu 0xfffe
	s_or_b32 exec_lo, exec_lo, s0
	v_dual_mov_b32 v20, 0 :: v_dual_mov_b32 v19, 0
	v_dual_mov_b32 v18, 0 :: v_dual_mov_b32 v17, 0
	v_dual_mov_b32 v16, 0 :: v_dual_mov_b32 v15, 0
	v_dual_mov_b32 v14, 0 :: v_dual_mov_b32 v13, 0
	s_and_saveexec_b32 s1, s2
	s_cbranch_execz .LBB79_60
; %bb.39:
	s_abs_i32 s2, s10
	s_ashr_i32 s15, s14, 31
	s_wait_alu 0xfffe
	s_cvt_f32_u32 s0, s2
	s_wait_kmcnt 0x0
	s_lshl_b64 s[6:7], s[24:25], 2
	v_dual_mov_b32 v13, 0 :: v_dual_lshlrev_b32 v2, 4, v12
	s_wait_alu 0xfffe
	v_rcp_iflag_f32_e32 v1, s0
	s_lshl_b64 s[14:15], s[14:15], 1
	s_add_nc_u64 s[6:7], s[22:23], s[6:7]
	s_wait_alu 0xfffe
	s_add_nc_u64 s[14:15], s[30:31], s[14:15]
	v_add_co_u32 v5, s6, s6, v3
	s_sub_co_i32 s5, 0, s2
	v_add_co_ci_u32_e64 v6, null, s7, 0, s6
	s_wait_alu 0xfffe
	v_add_co_u32 v22, s6, s14, v2
	v_readfirstlane_b32 s0, v1
	v_lshl_add_u32 v21, v9, 5, 0x220
	v_dual_mov_b32 v14, 0 :: v_dual_mov_b32 v15, 0
	v_dual_mov_b32 v16, 0 :: v_dual_mov_b32 v17, 0
	s_mul_f32 s0, s0, 0x4f7ffffe
	v_add_co_ci_u32_e64 v23, null, s15, 0, s6
	v_dual_mov_b32 v18, 0 :: v_dual_mov_b32 v19, 0
	s_wait_alu 0xfffe
	s_cvt_u32_f32 s0, s0
	v_mov_b32_e32 v20, 0
	s_sub_co_i32 s3, s35, s9
	s_mov_b32 s4, s13
	s_wait_alu 0xfffe
	s_mul_i32 s5, s5, s0
	s_add_co_i32 s34, s34, -1
	s_wait_alu 0xfffe
	s_mul_hi_u32 s6, s0, s5
	s_mov_b32 s5, 0
	s_wait_alu 0xfffe
	s_add_co_i32 s6, s0, s6
	s_branch .LBB79_42
.LBB79_40:                              ;   in Loop: Header=BB79_42 Depth=1
	s_wait_alu 0xfffe
	s_or_b32 exec_lo, exec_lo, s0
	v_dual_add_f32 v24, v48, v49 :: v_dual_add_f32 v25, v45, v46
	v_lshlrev_b32_e32 v26, 16, v47
	v_lshlrev_b32_e32 v8, 16, v8
	s_delay_alu instid0(VALU_DEP_3) | instskip(NEXT) | instid1(VALU_DEP_4)
	v_dual_add_f32 v14, v14, v24 :: v_dual_lshlrev_b32 v7, 16, v7
	v_add_f32_e32 v15, v15, v25
	s_delay_alu instid0(VALU_DEP_4) | instskip(SKIP_1) | instid1(VALU_DEP_3)
	v_and_or_b32 v1, 0xffff, v1, v26
	;;#ASMSTART
	v_pk_mul_f16 v1, v32, v1;

	;;#ASMEND
	v_and_or_b32 v3, 0xffff, v3, v7
	v_add_f32_e32 v7, v41, v42
	v_and_or_b32 v2, 0xffff, v2, v8
	;;#ASMSTART
	v_pk_mul_f16 v2, v31, v2;

	;;#ASMEND
	;;#ASMSTART
	v_pk_mul_f16 v3, v35, v3;

	;;#ASMEND
	;; [unrolled: 4-line block ×3, first 2 shown]
	;;#ASMSTART
	v_pk_add_f16 v1, v1, v2;

	;;#ASMEND
	;;#ASMSTART
	v_pk_add_f16 v1, v1, v3;

	;;#ASMEND
	;; [unrolled: 4-line block ×3, first 2 shown]
	v_and_b32_e32 v4, 0xffff, v1
	v_lshrrev_b32_e32 v8, 16, v1
	v_add_f32_e32 v1, v39, v40
	;;#ASMSTART
	v_cvt_f32_f16 v4, v4;
	;;#ASMEND
	v_dual_add_f32 v24, v43, v44 :: v_dual_add_f32 v3, v33, v34
	v_add_f32_e32 v2, v37, v38
	;;#ASMSTART
	v_cvt_f32_f16 v8, v8;
	;;#ASMEND
	v_add_f32_e32 v4, v4, v8
	s_delay_alu instid0(VALU_DEP_3) | instskip(NEXT) | instid1(VALU_DEP_3)
	v_dual_add_f32 v16, v16, v24 :: v_dual_add_f32 v17, v17, v7
	v_dual_add_f32 v19, v19, v2 :: v_dual_add_f32 v18, v18, v1
	s_delay_alu instid0(VALU_DEP_3)
	v_dual_add_f32 v13, v13, v4 :: v_dual_add_f32 v20, v20, v3
.LBB79_41:                              ;   in Loop: Header=BB79_42 Depth=1
	s_wait_alu 0xfffe
	s_or_b32 exec_lo, exec_lo, s7
	v_add_nc_u32_e32 v11, 4, v11
	v_add_co_u32 v5, s0, v5, 16
	s_wait_alu 0xf1ff
	v_add_co_ci_u32_e64 v6, null, 0, v6, s0
	s_delay_alu instid0(VALU_DEP_3)
	v_cmp_le_i32_e32 vcc_lo, s21, v11
	v_add_nc_u32_e32 v10, 32, v10
	v_add_nc_u32_e32 v21, 0x80, v21
	s_or_b32 s5, vcc_lo, s5
	s_wait_alu 0xfffe
	s_and_not1_b32 exec_lo, exec_lo, s5
	s_cbranch_execz .LBB79_59
.LBB79_42:                              ; =>This Inner Loop Header: Depth=1
	v_sub_nc_u32_e32 v1, 0, v10
	s_delay_alu instid0(VALU_DEP_1) | instskip(NEXT) | instid1(VALU_DEP_1)
	v_max_i32_e32 v1, v10, v1
	v_mul_hi_u32 v2, v1, s20
	s_delay_alu instid0(VALU_DEP_1) | instskip(NEXT) | instid1(VALU_DEP_1)
	v_mul_lo_u32 v3, v2, s12
	v_sub_nc_u32_e32 v1, v1, v3
	v_add_nc_u32_e32 v3, 1, v2
	s_delay_alu instid0(VALU_DEP_2) | instskip(SKIP_2) | instid1(VALU_DEP_2)
	v_subrev_nc_u32_e32 v4, s12, v1
	v_cmp_le_u32_e32 vcc_lo, s12, v1
	s_wait_alu 0xfffd
	v_dual_cndmask_b32 v2, v2, v3 :: v_dual_cndmask_b32 v1, v1, v4
	v_ashrrev_i32_e32 v3, 31, v10
	s_delay_alu instid0(VALU_DEP_2) | instskip(NEXT) | instid1(VALU_DEP_3)
	v_add_nc_u32_e32 v4, 1, v2
	v_cmp_le_u32_e32 vcc_lo, s12, v1
	s_delay_alu instid0(VALU_DEP_3) | instskip(SKIP_1) | instid1(VALU_DEP_3)
	v_xor_b32_e32 v3, s11, v3
	s_wait_alu 0xfffd
	v_cndmask_b32_e32 v1, v2, v4, vcc_lo
	s_delay_alu instid0(VALU_DEP_1) | instskip(NEXT) | instid1(VALU_DEP_1)
	v_xor_b32_e32 v1, v1, v3
	v_sub_nc_u32_e32 v1, v1, v3
	s_delay_alu instid0(VALU_DEP_1) | instskip(SKIP_1) | instid1(VALU_DEP_2)
	v_add_nc_u32_e32 v2, s19, v1
	v_cmp_lt_i32_e64 s0, s3, v1
	v_sub_nc_u32_e32 v3, 0, v2
	s_delay_alu instid0(VALU_DEP_1) | instskip(SKIP_1) | instid1(VALU_DEP_1)
	v_max_i32_e32 v3, v2, v3
	s_wait_alu 0xfffe
	v_mul_hi_u32 v4, v3, s6
	s_delay_alu instid0(VALU_DEP_1) | instskip(NEXT) | instid1(VALU_DEP_1)
	v_mul_lo_u32 v4, v4, s2
	v_sub_nc_u32_e32 v3, v3, v4
	s_delay_alu instid0(VALU_DEP_1) | instskip(SKIP_2) | instid1(VALU_DEP_2)
	v_subrev_nc_u32_e32 v4, s2, v3
	v_cmp_le_u32_e32 vcc_lo, s2, v3
	s_wait_alu 0xfffd
	v_cndmask_b32_e32 v3, v3, v4, vcc_lo
	v_ashrrev_i32_e32 v2, 31, v2
	s_delay_alu instid0(VALU_DEP_2) | instskip(SKIP_2) | instid1(VALU_DEP_2)
	v_subrev_nc_u32_e32 v4, s2, v3
	v_cmp_le_u32_e32 vcc_lo, s2, v3
	s_wait_alu 0xfffd
	v_cndmask_b32_e32 v3, v3, v4, vcc_lo
	s_delay_alu instid0(VALU_DEP_1) | instskip(NEXT) | instid1(VALU_DEP_1)
	v_xor_b32_e32 v3, v3, v2
	v_sub_nc_u32_e32 v2, v3, v2
	s_delay_alu instid0(VALU_DEP_1)
	v_cmp_eq_u32_e32 vcc_lo, 0, v2
	s_or_b32 s0, vcc_lo, s0
	s_wait_alu 0xfffe
	s_and_saveexec_b32 s7, s0
	s_cbranch_execz .LBB79_41
; %bb.43:                               ;   in Loop: Header=BB79_42 Depth=1
	global_load_b32 v7, v[5:6], off
	ds_load_2addr_b64 v[1:4], v21 offset1:1
	ds_load_2addr_b64 v[24:27], v21 offset0:2 offset1:3
	v_add_nc_u32_e32 v30, 1, v10
	v_add_nc_u32_e32 v29, 2, v10
	;; [unrolled: 1-line block ×3, first 2 shown]
	s_wait_dscnt 0x1
	;;#ASMSTART
	v_cvt_f16_f32 v32, v1;

	;;#ASMEND
	;;#ASMSTART
	v_cvt_f16_f32 v31, v2;

	;;#ASMEND
	;; [unrolled: 4-line block ×4, first 2 shown]
	s_wait_dscnt 0x0
	;;#ASMSTART
	v_cvt_f16_f32 v38, v24;

	;;#ASMEND
	;;#ASMSTART
	v_cvt_f16_f32 v34, v25;

	;;#ASMEND
	;;#ASMSTART
	v_cvt_f16_f32 v36, v26;

	;;#ASMEND
	;;#ASMSTART
	v_cvt_f16_f32 v33, v27;

	;;#ASMEND
	v_add_nc_u32_e32 v26, 3, v10
	v_add_nc_u32_e32 v25, 4, v10
	;; [unrolled: 1-line block ×4, first 2 shown]
	s_wait_loadcnt 0x0
	v_mad_co_i64_i32 v[7:8], null, v7, s4, 0
	s_delay_alu instid0(VALU_DEP_1) | instskip(NEXT) | instid1(VALU_DEP_1)
	v_lshlrev_b64_e32 v[7:8], 1, v[7:8]
	v_add_co_u32 v7, vcc_lo, v22, v7
	s_wait_alu 0xfffd
	s_delay_alu instid0(VALU_DEP_2)
	v_add_co_ci_u32_e64 v8, null, v23, v8, vcc_lo
	v_cmp_eq_u32_e32 vcc_lo, s34, v11
	global_load_b128 v[1:4], v[7:8], off
	s_wait_loadcnt 0x0
	v_lshrrev_b32_e32 v41, 16, v1
	v_lshrrev_b32_e32 v40, 16, v2
	;; [unrolled: 1-line block ×3, first 2 shown]
	s_and_saveexec_b32 s9, vcc_lo
	s_cbranch_execz .LBB79_45
; %bb.44:                               ;   in Loop: Header=BB79_42 Depth=1
	v_cmp_gt_i32_e64 s0, s17, v10
	v_and_b32_e32 v42, 0xffff, v4
	v_and_b32_e32 v4, 0xffff0000, v4
	s_wait_alu 0xf1ff
	s_delay_alu instid0(VALU_DEP_3) | instskip(SKIP_2) | instid1(VALU_DEP_1)
	v_cndmask_b32_e64 v1, 0, v1, s0
	v_cmp_gt_i32_e64 s0, s17, v30
	s_wait_alu 0xf1ff
	v_cndmask_b32_e64 v41, 0, v41, s0
	v_cmp_gt_i32_e64 s0, s17, v29
	s_wait_alu 0xf1ff
	s_delay_alu instid0(VALU_DEP_1) | instskip(SKIP_2) | instid1(VALU_DEP_1)
	v_cndmask_b32_e64 v2, 0, v2, s0
	v_cmp_gt_i32_e64 s0, s17, v26
	s_wait_alu 0xf1ff
	v_cndmask_b32_e64 v40, 0, v40, s0
	v_cmp_gt_i32_e64 s0, s17, v27
	s_wait_alu 0xf1ff
	s_delay_alu instid0(VALU_DEP_1) | instskip(SKIP_2) | instid1(VALU_DEP_1)
	v_cndmask_b32_e64 v42, 0, v42, s0
	v_cmp_gt_i32_e64 s0, s17, v28
	s_wait_alu 0xf1ff
	v_cndmask_b32_e64 v4, 0, v4, s0
	v_cmp_gt_i32_e64 s0, s17, v25
	s_delay_alu instid0(VALU_DEP_2) | instskip(SKIP_1) | instid1(VALU_DEP_2)
	v_or_b32_e32 v4, v42, v4
	s_wait_alu 0xf1ff
	v_cndmask_b32_e64 v3, 0, v3, s0
	v_cmp_gt_i32_e64 s0, s17, v24
	s_wait_alu 0xf1ff
	s_delay_alu instid0(VALU_DEP_1)
	v_cndmask_b32_e64 v39, 0, v39, s0
.LBB79_45:                              ;   in Loop: Header=BB79_42 Depth=1
	s_or_b32 exec_lo, exec_lo, s9
	v_and_b32_e32 v32, 0xffff, v32
	v_and_b32_e32 v37, 0xffff, v37
	v_lshlrev_b32_e32 v41, 16, v41
	v_lshlrev_b32_e32 v39, 16, v39
	v_and_b32_e32 v38, 0xffff, v38
	v_lshl_or_b32 v32, v31, 16, v32
	v_lshl_or_b32 v31, v35, 16, v37
	v_lshlrev_b32_e32 v37, 16, v40
	v_and_b32_e32 v36, 0xffff, v36
	v_and_or_b32 v1, 0xffff, v1, v41
	v_and_or_b32 v3, 0xffff, v3, v39
	;;#ASMSTART
	v_pk_mul_f16 v1, v32, v1;

	;;#ASMEND
	v_and_or_b32 v2, 0xffff, v2, v37
	v_lshl_or_b32 v35, v34, 16, v38
	v_lshl_or_b32 v36, v33, 16, v36
	;;#ASMSTART
	v_pk_mul_f16 v2, v31, v2;

	;;#ASMEND
	;;#ASMSTART
	v_pk_mul_f16 v3, v35, v3;

	;;#ASMEND
	;; [unrolled: 4-line block ×3, first 2 shown]
	;;#ASMSTART
	v_pk_add_f16 v1, v1, v2;

	;;#ASMEND
	;;#ASMSTART
	v_pk_add_f16 v1, v1, v3;

	;;#ASMEND
	;; [unrolled: 4-line block ×3, first 2 shown]
	v_and_b32_e32 v2, 0xffff, v1
	v_lshrrev_b32_e32 v1, 16, v1
	;;#ASMSTART
	v_cvt_f32_f16 v33, v2;
	;;#ASMEND
	;;#ASMSTART
	v_cvt_f32_f16 v34, v1;
	;;#ASMEND
	global_load_b128 v[1:4], v[7:8], off offset:512
	s_wait_loadcnt 0x0
	v_lshrrev_b32_e32 v39, 16, v1
	v_lshrrev_b32_e32 v38, 16, v2
	;; [unrolled: 1-line block ×3, first 2 shown]
	s_and_saveexec_b32 s9, vcc_lo
	s_cbranch_execz .LBB79_47
; %bb.46:                               ;   in Loop: Header=BB79_42 Depth=1
	v_cmp_gt_i32_e64 s0, s17, v10
	v_and_b32_e32 v40, 0xffff, v4
	v_and_b32_e32 v4, 0xffff0000, v4
	s_wait_alu 0xf1ff
	s_delay_alu instid0(VALU_DEP_3) | instskip(SKIP_2) | instid1(VALU_DEP_1)
	v_cndmask_b32_e64 v1, 0, v1, s0
	v_cmp_gt_i32_e64 s0, s17, v30
	s_wait_alu 0xf1ff
	v_cndmask_b32_e64 v39, 0, v39, s0
	v_cmp_gt_i32_e64 s0, s17, v29
	s_wait_alu 0xf1ff
	s_delay_alu instid0(VALU_DEP_1) | instskip(SKIP_2) | instid1(VALU_DEP_1)
	v_cndmask_b32_e64 v2, 0, v2, s0
	v_cmp_gt_i32_e64 s0, s17, v26
	s_wait_alu 0xf1ff
	v_cndmask_b32_e64 v38, 0, v38, s0
	v_cmp_gt_i32_e64 s0, s17, v27
	s_wait_alu 0xf1ff
	s_delay_alu instid0(VALU_DEP_1) | instskip(SKIP_2) | instid1(VALU_DEP_1)
	v_cndmask_b32_e64 v40, 0, v40, s0
	v_cmp_gt_i32_e64 s0, s17, v28
	s_wait_alu 0xf1ff
	v_cndmask_b32_e64 v4, 0, v4, s0
	v_cmp_gt_i32_e64 s0, s17, v25
	s_delay_alu instid0(VALU_DEP_2) | instskip(SKIP_1) | instid1(VALU_DEP_2)
	v_or_b32_e32 v4, v40, v4
	s_wait_alu 0xf1ff
	v_cndmask_b32_e64 v3, 0, v3, s0
	v_cmp_gt_i32_e64 s0, s17, v24
	s_wait_alu 0xf1ff
	s_delay_alu instid0(VALU_DEP_1)
	v_cndmask_b32_e64 v37, 0, v37, s0
.LBB79_47:                              ;   in Loop: Header=BB79_42 Depth=1
	s_or_b32 exec_lo, exec_lo, s9
	v_lshlrev_b32_e32 v39, 16, v39
	v_lshlrev_b32_e32 v38, 16, v38
	s_delay_alu instid0(VALU_DEP_3) | instskip(NEXT) | instid1(VALU_DEP_3)
	v_lshlrev_b32_e32 v37, 16, v37
	v_and_or_b32 v1, 0xffff, v1, v39
	s_delay_alu instid0(VALU_DEP_3) | instskip(NEXT) | instid1(VALU_DEP_3)
	v_and_or_b32 v2, 0xffff, v2, v38
	v_and_or_b32 v3, 0xffff, v3, v37
	;;#ASMSTART
	v_pk_mul_f16 v1, v32, v1;

	;;#ASMEND
	;;#ASMSTART
	v_pk_mul_f16 v2, v31, v2;

	;;#ASMEND
	;; [unrolled: 4-line block ×4, first 2 shown]
	;;#ASMSTART
	v_pk_add_f16 v1, v1, v2;

	;;#ASMEND
	;;#ASMSTART
	v_pk_add_f16 v1, v1, v3;

	;;#ASMEND
	;; [unrolled: 4-line block ×3, first 2 shown]
	v_and_b32_e32 v2, 0xffff, v1
	v_lshrrev_b32_e32 v1, 16, v1
	;;#ASMSTART
	v_cvt_f32_f16 v37, v2;
	;;#ASMEND
	;;#ASMSTART
	v_cvt_f32_f16 v38, v1;
	;;#ASMEND
	global_load_b128 v[1:4], v[7:8], off offset:1024
	s_wait_loadcnt 0x0
	v_lshrrev_b32_e32 v41, 16, v1
	v_lshrrev_b32_e32 v40, 16, v2
	v_lshrrev_b32_e32 v39, 16, v3
	s_and_saveexec_b32 s9, vcc_lo
	s_cbranch_execz .LBB79_49
; %bb.48:                               ;   in Loop: Header=BB79_42 Depth=1
	v_cmp_gt_i32_e64 s0, s17, v10
	v_and_b32_e32 v42, 0xffff, v4
	v_and_b32_e32 v4, 0xffff0000, v4
	s_wait_alu 0xf1ff
	s_delay_alu instid0(VALU_DEP_3) | instskip(SKIP_2) | instid1(VALU_DEP_1)
	v_cndmask_b32_e64 v1, 0, v1, s0
	v_cmp_gt_i32_e64 s0, s17, v30
	s_wait_alu 0xf1ff
	v_cndmask_b32_e64 v41, 0, v41, s0
	v_cmp_gt_i32_e64 s0, s17, v29
	s_wait_alu 0xf1ff
	s_delay_alu instid0(VALU_DEP_1) | instskip(SKIP_2) | instid1(VALU_DEP_1)
	v_cndmask_b32_e64 v2, 0, v2, s0
	v_cmp_gt_i32_e64 s0, s17, v26
	s_wait_alu 0xf1ff
	v_cndmask_b32_e64 v40, 0, v40, s0
	v_cmp_gt_i32_e64 s0, s17, v27
	s_wait_alu 0xf1ff
	s_delay_alu instid0(VALU_DEP_1) | instskip(SKIP_2) | instid1(VALU_DEP_1)
	v_cndmask_b32_e64 v42, 0, v42, s0
	v_cmp_gt_i32_e64 s0, s17, v28
	s_wait_alu 0xf1ff
	v_cndmask_b32_e64 v4, 0, v4, s0
	v_cmp_gt_i32_e64 s0, s17, v25
	s_delay_alu instid0(VALU_DEP_2) | instskip(SKIP_1) | instid1(VALU_DEP_2)
	v_or_b32_e32 v4, v42, v4
	s_wait_alu 0xf1ff
	v_cndmask_b32_e64 v3, 0, v3, s0
	v_cmp_gt_i32_e64 s0, s17, v24
	s_wait_alu 0xf1ff
	s_delay_alu instid0(VALU_DEP_1)
	v_cndmask_b32_e64 v39, 0, v39, s0
.LBB79_49:                              ;   in Loop: Header=BB79_42 Depth=1
	s_or_b32 exec_lo, exec_lo, s9
	v_lshlrev_b32_e32 v41, 16, v41
	v_lshlrev_b32_e32 v40, 16, v40
	s_delay_alu instid0(VALU_DEP_3) | instskip(NEXT) | instid1(VALU_DEP_3)
	v_lshlrev_b32_e32 v39, 16, v39
	v_and_or_b32 v1, 0xffff, v1, v41
	s_delay_alu instid0(VALU_DEP_3) | instskip(NEXT) | instid1(VALU_DEP_3)
	v_and_or_b32 v2, 0xffff, v2, v40
	v_and_or_b32 v3, 0xffff, v3, v39
	;;#ASMSTART
	v_pk_mul_f16 v1, v32, v1;

	;;#ASMEND
	;;#ASMSTART
	v_pk_mul_f16 v2, v31, v2;

	;;#ASMEND
	;; [unrolled: 4-line block ×4, first 2 shown]
	;;#ASMSTART
	v_pk_add_f16 v1, v1, v2;

	;;#ASMEND
	;;#ASMSTART
	v_pk_add_f16 v1, v1, v3;

	;;#ASMEND
	;; [unrolled: 4-line block ×3, first 2 shown]
	v_and_b32_e32 v2, 0xffff, v1
	v_lshrrev_b32_e32 v1, 16, v1
	;;#ASMSTART
	v_cvt_f32_f16 v39, v2;
	;;#ASMEND
	;;#ASMSTART
	v_cvt_f32_f16 v40, v1;
	;;#ASMEND
	global_load_b128 v[1:4], v[7:8], off offset:1536
	s_wait_loadcnt 0x0
	v_lshrrev_b32_e32 v43, 16, v1
	v_lshrrev_b32_e32 v42, 16, v2
	;; [unrolled: 1-line block ×3, first 2 shown]
	s_and_saveexec_b32 s9, vcc_lo
	s_cbranch_execz .LBB79_51
; %bb.50:                               ;   in Loop: Header=BB79_42 Depth=1
	v_cmp_gt_i32_e64 s0, s17, v10
	v_and_b32_e32 v44, 0xffff, v4
	v_and_b32_e32 v4, 0xffff0000, v4
	s_wait_alu 0xf1ff
	s_delay_alu instid0(VALU_DEP_3) | instskip(SKIP_2) | instid1(VALU_DEP_1)
	v_cndmask_b32_e64 v1, 0, v1, s0
	v_cmp_gt_i32_e64 s0, s17, v30
	s_wait_alu 0xf1ff
	v_cndmask_b32_e64 v43, 0, v43, s0
	v_cmp_gt_i32_e64 s0, s17, v29
	s_wait_alu 0xf1ff
	s_delay_alu instid0(VALU_DEP_1) | instskip(SKIP_2) | instid1(VALU_DEP_1)
	v_cndmask_b32_e64 v2, 0, v2, s0
	v_cmp_gt_i32_e64 s0, s17, v26
	s_wait_alu 0xf1ff
	v_cndmask_b32_e64 v42, 0, v42, s0
	v_cmp_gt_i32_e64 s0, s17, v27
	s_wait_alu 0xf1ff
	s_delay_alu instid0(VALU_DEP_1) | instskip(SKIP_2) | instid1(VALU_DEP_1)
	v_cndmask_b32_e64 v44, 0, v44, s0
	v_cmp_gt_i32_e64 s0, s17, v28
	s_wait_alu 0xf1ff
	v_cndmask_b32_e64 v4, 0, v4, s0
	v_cmp_gt_i32_e64 s0, s17, v25
	s_delay_alu instid0(VALU_DEP_2) | instskip(SKIP_1) | instid1(VALU_DEP_2)
	v_or_b32_e32 v4, v44, v4
	s_wait_alu 0xf1ff
	v_cndmask_b32_e64 v3, 0, v3, s0
	v_cmp_gt_i32_e64 s0, s17, v24
	s_wait_alu 0xf1ff
	s_delay_alu instid0(VALU_DEP_1)
	v_cndmask_b32_e64 v41, 0, v41, s0
.LBB79_51:                              ;   in Loop: Header=BB79_42 Depth=1
	s_or_b32 exec_lo, exec_lo, s9
	v_lshlrev_b32_e32 v43, 16, v43
	v_lshlrev_b32_e32 v42, 16, v42
	s_delay_alu instid0(VALU_DEP_3) | instskip(NEXT) | instid1(VALU_DEP_3)
	v_lshlrev_b32_e32 v41, 16, v41
	v_and_or_b32 v1, 0xffff, v1, v43
	s_delay_alu instid0(VALU_DEP_3) | instskip(NEXT) | instid1(VALU_DEP_3)
	v_and_or_b32 v2, 0xffff, v2, v42
	v_and_or_b32 v3, 0xffff, v3, v41
	;;#ASMSTART
	v_pk_mul_f16 v1, v32, v1;

	;;#ASMEND
	;;#ASMSTART
	v_pk_mul_f16 v2, v31, v2;

	;;#ASMEND
	;; [unrolled: 4-line block ×4, first 2 shown]
	;;#ASMSTART
	v_pk_add_f16 v1, v1, v2;

	;;#ASMEND
	;;#ASMSTART
	v_pk_add_f16 v1, v1, v3;

	;;#ASMEND
	;; [unrolled: 4-line block ×3, first 2 shown]
	v_and_b32_e32 v2, 0xffff, v1
	v_lshrrev_b32_e32 v1, 16, v1
	;;#ASMSTART
	v_cvt_f32_f16 v41, v2;
	;;#ASMEND
	;;#ASMSTART
	v_cvt_f32_f16 v42, v1;
	;;#ASMEND
	global_load_b128 v[1:4], v[7:8], off offset:2048
	s_wait_loadcnt 0x0
	v_lshrrev_b32_e32 v45, 16, v1
	v_lshrrev_b32_e32 v44, 16, v2
	;; [unrolled: 1-line block ×3, first 2 shown]
	s_and_saveexec_b32 s9, vcc_lo
	s_cbranch_execz .LBB79_53
; %bb.52:                               ;   in Loop: Header=BB79_42 Depth=1
	v_cmp_gt_i32_e64 s0, s17, v10
	v_and_b32_e32 v46, 0xffff, v4
	v_and_b32_e32 v4, 0xffff0000, v4
	s_wait_alu 0xf1ff
	s_delay_alu instid0(VALU_DEP_3) | instskip(SKIP_2) | instid1(VALU_DEP_1)
	v_cndmask_b32_e64 v1, 0, v1, s0
	v_cmp_gt_i32_e64 s0, s17, v30
	s_wait_alu 0xf1ff
	v_cndmask_b32_e64 v45, 0, v45, s0
	v_cmp_gt_i32_e64 s0, s17, v29
	s_wait_alu 0xf1ff
	s_delay_alu instid0(VALU_DEP_1) | instskip(SKIP_2) | instid1(VALU_DEP_1)
	v_cndmask_b32_e64 v2, 0, v2, s0
	v_cmp_gt_i32_e64 s0, s17, v26
	s_wait_alu 0xf1ff
	v_cndmask_b32_e64 v44, 0, v44, s0
	v_cmp_gt_i32_e64 s0, s17, v27
	s_wait_alu 0xf1ff
	s_delay_alu instid0(VALU_DEP_1) | instskip(SKIP_2) | instid1(VALU_DEP_1)
	v_cndmask_b32_e64 v46, 0, v46, s0
	v_cmp_gt_i32_e64 s0, s17, v28
	s_wait_alu 0xf1ff
	v_cndmask_b32_e64 v4, 0, v4, s0
	v_cmp_gt_i32_e64 s0, s17, v25
	s_delay_alu instid0(VALU_DEP_2) | instskip(SKIP_1) | instid1(VALU_DEP_2)
	v_or_b32_e32 v4, v46, v4
	s_wait_alu 0xf1ff
	v_cndmask_b32_e64 v3, 0, v3, s0
	v_cmp_gt_i32_e64 s0, s17, v24
	s_wait_alu 0xf1ff
	s_delay_alu instid0(VALU_DEP_1)
	v_cndmask_b32_e64 v43, 0, v43, s0
.LBB79_53:                              ;   in Loop: Header=BB79_42 Depth=1
	s_or_b32 exec_lo, exec_lo, s9
	v_lshlrev_b32_e32 v45, 16, v45
	v_lshlrev_b32_e32 v44, 16, v44
	s_delay_alu instid0(VALU_DEP_3) | instskip(NEXT) | instid1(VALU_DEP_3)
	v_lshlrev_b32_e32 v43, 16, v43
	v_and_or_b32 v1, 0xffff, v1, v45
	s_delay_alu instid0(VALU_DEP_3) | instskip(NEXT) | instid1(VALU_DEP_3)
	v_and_or_b32 v2, 0xffff, v2, v44
	v_and_or_b32 v3, 0xffff, v3, v43
	;;#ASMSTART
	v_pk_mul_f16 v1, v32, v1;

	;;#ASMEND
	;;#ASMSTART
	v_pk_mul_f16 v2, v31, v2;

	;;#ASMEND
	;; [unrolled: 4-line block ×4, first 2 shown]
	;;#ASMSTART
	v_pk_add_f16 v1, v1, v2;

	;;#ASMEND
	;;#ASMSTART
	v_pk_add_f16 v1, v1, v3;

	;;#ASMEND
	;;#ASMSTART
	v_pk_add_f16 v1, v1, v4;

	;;#ASMEND
	v_and_b32_e32 v2, 0xffff, v1
	v_lshrrev_b32_e32 v1, 16, v1
	;;#ASMSTART
	v_cvt_f32_f16 v43, v2;
	;;#ASMEND
	;;#ASMSTART
	v_cvt_f32_f16 v44, v1;
	;;#ASMEND
	global_load_b128 v[1:4], v[7:8], off offset:2560
	s_wait_loadcnt 0x0
	v_lshrrev_b32_e32 v47, 16, v1
	v_lshrrev_b32_e32 v46, 16, v2
	;; [unrolled: 1-line block ×3, first 2 shown]
	s_and_saveexec_b32 s9, vcc_lo
	s_cbranch_execz .LBB79_55
; %bb.54:                               ;   in Loop: Header=BB79_42 Depth=1
	v_cmp_gt_i32_e64 s0, s17, v10
	v_and_b32_e32 v48, 0xffff, v4
	v_and_b32_e32 v4, 0xffff0000, v4
	s_wait_alu 0xf1ff
	s_delay_alu instid0(VALU_DEP_3) | instskip(SKIP_2) | instid1(VALU_DEP_1)
	v_cndmask_b32_e64 v1, 0, v1, s0
	v_cmp_gt_i32_e64 s0, s17, v30
	s_wait_alu 0xf1ff
	v_cndmask_b32_e64 v47, 0, v47, s0
	v_cmp_gt_i32_e64 s0, s17, v29
	s_wait_alu 0xf1ff
	s_delay_alu instid0(VALU_DEP_1) | instskip(SKIP_2) | instid1(VALU_DEP_1)
	v_cndmask_b32_e64 v2, 0, v2, s0
	v_cmp_gt_i32_e64 s0, s17, v26
	s_wait_alu 0xf1ff
	v_cndmask_b32_e64 v46, 0, v46, s0
	v_cmp_gt_i32_e64 s0, s17, v27
	s_wait_alu 0xf1ff
	s_delay_alu instid0(VALU_DEP_1) | instskip(SKIP_2) | instid1(VALU_DEP_1)
	v_cndmask_b32_e64 v48, 0, v48, s0
	v_cmp_gt_i32_e64 s0, s17, v28
	s_wait_alu 0xf1ff
	v_cndmask_b32_e64 v4, 0, v4, s0
	v_cmp_gt_i32_e64 s0, s17, v25
	s_delay_alu instid0(VALU_DEP_2) | instskip(SKIP_1) | instid1(VALU_DEP_2)
	v_or_b32_e32 v4, v48, v4
	s_wait_alu 0xf1ff
	v_cndmask_b32_e64 v3, 0, v3, s0
	v_cmp_gt_i32_e64 s0, s17, v24
	s_wait_alu 0xf1ff
	s_delay_alu instid0(VALU_DEP_1)
	v_cndmask_b32_e64 v45, 0, v45, s0
.LBB79_55:                              ;   in Loop: Header=BB79_42 Depth=1
	s_or_b32 exec_lo, exec_lo, s9
	v_lshlrev_b32_e32 v47, 16, v47
	v_lshlrev_b32_e32 v46, 16, v46
	s_delay_alu instid0(VALU_DEP_3) | instskip(NEXT) | instid1(VALU_DEP_3)
	v_lshlrev_b32_e32 v45, 16, v45
	v_and_or_b32 v1, 0xffff, v1, v47
	s_delay_alu instid0(VALU_DEP_3) | instskip(NEXT) | instid1(VALU_DEP_3)
	v_and_or_b32 v2, 0xffff, v2, v46
	v_and_or_b32 v3, 0xffff, v3, v45
	;;#ASMSTART
	v_pk_mul_f16 v1, v32, v1;

	;;#ASMEND
	;;#ASMSTART
	v_pk_mul_f16 v2, v31, v2;

	;;#ASMEND
	;; [unrolled: 4-line block ×4, first 2 shown]
	;;#ASMSTART
	v_pk_add_f16 v1, v1, v2;

	;;#ASMEND
	;;#ASMSTART
	v_pk_add_f16 v1, v1, v3;

	;;#ASMEND
	;; [unrolled: 4-line block ×3, first 2 shown]
	v_and_b32_e32 v2, 0xffff, v1
	v_lshrrev_b32_e32 v1, 16, v1
	;;#ASMSTART
	v_cvt_f32_f16 v45, v2;
	;;#ASMEND
	;;#ASMSTART
	v_cvt_f32_f16 v46, v1;
	;;#ASMEND
	global_load_b128 v[1:4], v[7:8], off offset:3072
	s_wait_loadcnt 0x0
	v_lshrrev_b32_e32 v49, 16, v1
	v_lshrrev_b32_e32 v48, 16, v2
	;; [unrolled: 1-line block ×3, first 2 shown]
	s_and_saveexec_b32 s9, vcc_lo
	s_cbranch_execz .LBB79_57
; %bb.56:                               ;   in Loop: Header=BB79_42 Depth=1
	v_cmp_gt_i32_e64 s0, s17, v10
	v_and_b32_e32 v50, 0xffff, v4
	v_and_b32_e32 v4, 0xffff0000, v4
	s_wait_alu 0xf1ff
	s_delay_alu instid0(VALU_DEP_3) | instskip(SKIP_2) | instid1(VALU_DEP_1)
	v_cndmask_b32_e64 v1, 0, v1, s0
	v_cmp_gt_i32_e64 s0, s17, v30
	s_wait_alu 0xf1ff
	v_cndmask_b32_e64 v49, 0, v49, s0
	v_cmp_gt_i32_e64 s0, s17, v29
	s_wait_alu 0xf1ff
	s_delay_alu instid0(VALU_DEP_1) | instskip(SKIP_2) | instid1(VALU_DEP_1)
	v_cndmask_b32_e64 v2, 0, v2, s0
	v_cmp_gt_i32_e64 s0, s17, v26
	s_wait_alu 0xf1ff
	v_cndmask_b32_e64 v48, 0, v48, s0
	v_cmp_gt_i32_e64 s0, s17, v27
	s_wait_alu 0xf1ff
	s_delay_alu instid0(VALU_DEP_1) | instskip(SKIP_2) | instid1(VALU_DEP_1)
	v_cndmask_b32_e64 v50, 0, v50, s0
	v_cmp_gt_i32_e64 s0, s17, v28
	s_wait_alu 0xf1ff
	v_cndmask_b32_e64 v4, 0, v4, s0
	v_cmp_gt_i32_e64 s0, s17, v25
	s_delay_alu instid0(VALU_DEP_2) | instskip(SKIP_1) | instid1(VALU_DEP_2)
	v_or_b32_e32 v4, v50, v4
	s_wait_alu 0xf1ff
	v_cndmask_b32_e64 v3, 0, v3, s0
	v_cmp_gt_i32_e64 s0, s17, v24
	s_wait_alu 0xf1ff
	s_delay_alu instid0(VALU_DEP_1)
	v_cndmask_b32_e64 v47, 0, v47, s0
.LBB79_57:                              ;   in Loop: Header=BB79_42 Depth=1
	s_or_b32 exec_lo, exec_lo, s9
	v_lshlrev_b32_e32 v49, 16, v49
	v_lshlrev_b32_e32 v48, 16, v48
	s_delay_alu instid0(VALU_DEP_3) | instskip(NEXT) | instid1(VALU_DEP_3)
	v_lshlrev_b32_e32 v47, 16, v47
	v_and_or_b32 v1, 0xffff, v1, v49
	s_delay_alu instid0(VALU_DEP_3) | instskip(NEXT) | instid1(VALU_DEP_3)
	v_and_or_b32 v2, 0xffff, v2, v48
	v_and_or_b32 v3, 0xffff, v3, v47
	;;#ASMSTART
	v_pk_mul_f16 v1, v32, v1;

	;;#ASMEND
	;;#ASMSTART
	v_pk_mul_f16 v2, v31, v2;

	;;#ASMEND
	;; [unrolled: 4-line block ×4, first 2 shown]
	;;#ASMSTART
	v_pk_add_f16 v1, v1, v2;

	;;#ASMEND
	;;#ASMSTART
	v_pk_add_f16 v1, v1, v3;

	;;#ASMEND
	;; [unrolled: 4-line block ×3, first 2 shown]
	v_and_b32_e32 v2, 0xffff, v1
	v_lshrrev_b32_e32 v1, 16, v1
	;;#ASMSTART
	v_cvt_f32_f16 v48, v2;
	;;#ASMEND
	;;#ASMSTART
	v_cvt_f32_f16 v49, v1;
	;;#ASMEND
	global_load_b128 v[1:4], v[7:8], off offset:3584
	s_wait_loadcnt 0x0
	v_lshrrev_b32_e32 v47, 16, v1
	v_lshrrev_b32_e32 v8, 16, v2
	;; [unrolled: 1-line block ×3, first 2 shown]
	s_and_saveexec_b32 s0, vcc_lo
	s_cbranch_execz .LBB79_40
; %bb.58:                               ;   in Loop: Header=BB79_42 Depth=1
	v_cmp_gt_i32_e32 vcc_lo, s17, v10
	s_wait_alu 0xfffd
	v_cndmask_b32_e32 v1, 0, v1, vcc_lo
	v_cmp_gt_i32_e32 vcc_lo, s17, v30
	s_wait_alu 0xfffd
	v_cndmask_b32_e32 v47, 0, v47, vcc_lo
	v_cmp_gt_i32_e32 vcc_lo, s17, v29
	v_and_b32_e32 v29, 0xffff, v4
	v_and_b32_e32 v4, 0xffff0000, v4
	s_wait_alu 0xfffd
	v_cndmask_b32_e32 v2, 0, v2, vcc_lo
	v_cmp_gt_i32_e32 vcc_lo, s17, v26
	s_wait_alu 0xfffd
	v_cndmask_b32_e32 v8, 0, v8, vcc_lo
	v_cmp_gt_i32_e32 vcc_lo, s17, v27
	;; [unrolled: 3-line block ×5, first 2 shown]
	s_wait_alu 0xfffd
	v_cndmask_b32_e32 v7, 0, v7, vcc_lo
	v_or_b32_e32 v4, v26, v4
	s_branch .LBB79_40
.LBB79_59:
	s_or_b32 exec_lo, exec_lo, s5
.LBB79_60:
	s_wait_alu 0xfffe
	s_or_b32 exec_lo, exec_lo, s1
	v_lshl_add_u32 v2, v12, 2, 0x220
	v_and_b32_e32 v3, 0x3c0, v0
	s_mov_b32 s0, exec_lo
	s_wait_loadcnt 0x0
	s_wait_storecnt 0x0
	s_barrier_signal -1
	v_lshl_add_u32 v1, v9, 10, v2
	s_barrier_wait -1
	global_inv scope:SCOPE_SE
	v_cmpx_eq_u32_e32 64, v3
	s_cbranch_execz .LBB79_62
; %bb.61:
	v_add_nc_u32_e32 v3, 0xfffff800, v1
	v_add_nc_u32_e32 v4, 0xfffff880, v1
	;; [unrolled: 1-line block ×8, first 2 shown]
	ds_store_b32 v3, v20
	ds_store_b32 v4, v19
	;; [unrolled: 1-line block ×8, first 2 shown]
.LBB79_62:
	s_wait_alu 0xfffe
	s_or_b32 exec_lo, exec_lo, s0
	s_delay_alu instid0(SALU_CYCLE_1)
	s_mov_b32 s0, exec_lo
	s_wait_loadcnt_dscnt 0x0
	s_barrier_signal -1
	s_barrier_wait -1
	global_inv scope:SCOPE_SE
	v_cmpx_gt_u32_e32 64, v0
	s_cbranch_execz .LBB79_64
; %bb.63:
	ds_load_2addr_b32 v[3:4], v1 offset1:32
	ds_load_2addr_b32 v[5:6], v1 offset0:64 offset1:96
	ds_load_2addr_b32 v[7:8], v1 offset0:128 offset1:160
	ds_load_2addr_b32 v[9:10], v1 offset0:192 offset1:224
	s_wait_dscnt 0x3
	v_dual_add_f32 v20, v20, v3 :: v_dual_add_f32 v19, v19, v4
	s_wait_dscnt 0x2
	v_dual_add_f32 v18, v18, v5 :: v_dual_add_f32 v17, v17, v6
	;; [unrolled: 2-line block ×4, first 2 shown]
.LBB79_64:
	s_wait_alu 0xfffe
	s_or_b32 exec_lo, exec_lo, s0
	v_and_b32_e32 v3, 0x3e0, v0
	s_mov_b32 s0, exec_lo
	s_wait_loadcnt 0x0
	s_barrier_signal -1
	s_barrier_wait -1
	global_inv scope:SCOPE_SE
	v_cmpx_eq_u32_e32 32, v3
	s_cbranch_execz .LBB79_66
; %bb.65:
	ds_store_2addr_b32 v2, v20, v19 offset1:32
	ds_store_2addr_b32 v2, v18, v17 offset0:64 offset1:96
	ds_store_2addr_b32 v2, v16, v15 offset0:128 offset1:160
	;; [unrolled: 1-line block ×3, first 2 shown]
.LBB79_66:
	s_wait_alu 0xfffe
	s_or_b32 exec_lo, exec_lo, s0
	v_cmp_gt_u32_e32 vcc_lo, 32, v0
	s_wait_loadcnt_dscnt 0x0
	s_barrier_signal -1
	s_barrier_wait -1
	global_inv scope:SCOPE_SE
	s_and_saveexec_b32 s0, vcc_lo
	s_cbranch_execz .LBB79_68
; %bb.67:
	ds_load_2addr_b32 v[2:3], v1 offset1:32
	ds_load_2addr_b32 v[4:5], v1 offset0:64 offset1:96
	ds_load_2addr_b32 v[6:7], v1 offset0:128 offset1:160
	;; [unrolled: 1-line block ×3, first 2 shown]
	s_wait_dscnt 0x3
	v_dual_add_f32 v20, v20, v2 :: v_dual_add_f32 v19, v19, v3
	s_wait_dscnt 0x2
	v_dual_add_f32 v18, v18, v4 :: v_dual_add_f32 v17, v17, v5
	;; [unrolled: 2-line block ×4, first 2 shown]
.LBB79_68:
	s_wait_alu 0xfffe
	s_or_b32 exec_lo, exec_lo, s0
	s_wait_loadcnt 0x0
	s_barrier_signal -1
	s_barrier_wait -1
	global_inv scope:SCOPE_SE
	s_and_saveexec_b32 s0, vcc_lo
	s_cbranch_execz .LBB79_70
; %bb.69:
	s_lshl_b32 s0, s28, 8
	s_mul_i32 s2, s8, s18
	s_wait_alu 0xfffe
	s_ashr_i32 s1, s0, 31
	s_ashr_i32 s3, s2, 31
	s_wait_alu 0xfffe
	s_lshl_b64 s[0:1], s[0:1], 1
	s_lshl_b64 s[2:3], s[2:3], 1
	s_wait_kmcnt 0x0
	s_wait_alu 0xfffe
	s_add_nc_u64 s[0:1], s[26:27], s[0:1]
	v_lshlrev_b32_e32 v0, 1, v0
	s_mov_b32 s17, 0
	s_wait_alu 0xfffe
	s_add_nc_u64 s[0:1], s[0:1], s[2:3]
	;;#ASMSTART
	v_cvt_f16_f32 v1, v20;

	;;#ASMEND
	s_wait_alu 0xfffe
	s_add_nc_u64 s[0:1], s[0:1], s[16:17]
	global_store_b16 v0, v1, s[0:1]
	;;#ASMSTART
	v_cvt_f16_f32 v1, v19;

	;;#ASMEND
	global_store_b16 v0, v1, s[0:1] offset:64
	;;#ASMSTART
	v_cvt_f16_f32 v1, v18;

	;;#ASMEND
	global_store_b16 v0, v1, s[0:1] offset:128
	;; [unrolled: 5-line block ×7, first 2 shown]
.LBB79_70:
	s_nop 0
	s_sendmsg sendmsg(MSG_DEALLOC_VGPRS)
	s_endpgm
	.section	.rodata,"a",@progbits
	.p2align	6, 0x0
	.amdhsa_kernel _ZN4vllm25paged_attention_v2_kernelIttLi256ELi8ELi128ELNS_18Fp8KVCacheDataTypeE0ELb1ELi512EEEvPfS2_PT_PKS3_PKT0_S9_ifPKiSB_iPKfiiiSD_SD_iiiii
		.amdhsa_group_segment_fixed_size 544
		.amdhsa_private_segment_fixed_size 0
		.amdhsa_kernarg_size 400
		.amdhsa_user_sgpr_count 2
		.amdhsa_user_sgpr_dispatch_ptr 0
		.amdhsa_user_sgpr_queue_ptr 0
		.amdhsa_user_sgpr_kernarg_segment_ptr 1
		.amdhsa_user_sgpr_dispatch_id 0
		.amdhsa_user_sgpr_private_segment_size 0
		.amdhsa_wavefront_size32 1
		.amdhsa_uses_dynamic_stack 0
		.amdhsa_enable_private_segment 0
		.amdhsa_system_sgpr_workgroup_id_x 1
		.amdhsa_system_sgpr_workgroup_id_y 1
		.amdhsa_system_sgpr_workgroup_id_z 1
		.amdhsa_system_sgpr_workgroup_info 0
		.amdhsa_system_vgpr_workitem_id 0
		.amdhsa_next_free_vgpr 129
		.amdhsa_next_free_sgpr 42
		.amdhsa_reserve_vcc 1
		.amdhsa_float_round_mode_32 0
		.amdhsa_float_round_mode_16_64 0
		.amdhsa_float_denorm_mode_32 3
		.amdhsa_float_denorm_mode_16_64 3
		.amdhsa_fp16_overflow 0
		.amdhsa_workgroup_processor_mode 1
		.amdhsa_memory_ordered 1
		.amdhsa_forward_progress 1
		.amdhsa_inst_pref_size 70
		.amdhsa_round_robin_scheduling 0
		.amdhsa_exception_fp_ieee_invalid_op 0
		.amdhsa_exception_fp_denorm_src 0
		.amdhsa_exception_fp_ieee_div_zero 0
		.amdhsa_exception_fp_ieee_overflow 0
		.amdhsa_exception_fp_ieee_underflow 0
		.amdhsa_exception_fp_ieee_inexact 0
		.amdhsa_exception_int_div_zero 0
	.end_amdhsa_kernel
	.section	.text._ZN4vllm25paged_attention_v2_kernelIttLi256ELi8ELi128ELNS_18Fp8KVCacheDataTypeE0ELb1ELi512EEEvPfS2_PT_PKS3_PKT0_S9_ifPKiSB_iPKfiiiSD_SD_iiiii,"axG",@progbits,_ZN4vllm25paged_attention_v2_kernelIttLi256ELi8ELi128ELNS_18Fp8KVCacheDataTypeE0ELb1ELi512EEEvPfS2_PT_PKS3_PKT0_S9_ifPKiSB_iPKfiiiSD_SD_iiiii,comdat
.Lfunc_end79:
	.size	_ZN4vllm25paged_attention_v2_kernelIttLi256ELi8ELi128ELNS_18Fp8KVCacheDataTypeE0ELb1ELi512EEEvPfS2_PT_PKS3_PKT0_S9_ifPKiSB_iPKfiiiSD_SD_iiiii, .Lfunc_end79-_ZN4vllm25paged_attention_v2_kernelIttLi256ELi8ELi128ELNS_18Fp8KVCacheDataTypeE0ELb1ELi512EEEvPfS2_PT_PKS3_PKT0_S9_ifPKiSB_iPKfiiiSD_SD_iiiii
                                        ; -- End function
	.set _ZN4vllm25paged_attention_v2_kernelIttLi256ELi8ELi128ELNS_18Fp8KVCacheDataTypeE0ELb1ELi512EEEvPfS2_PT_PKS3_PKT0_S9_ifPKiSB_iPKfiiiSD_SD_iiiii.num_vgpr, 129
	.set _ZN4vllm25paged_attention_v2_kernelIttLi256ELi8ELi128ELNS_18Fp8KVCacheDataTypeE0ELb1ELi512EEEvPfS2_PT_PKS3_PKT0_S9_ifPKiSB_iPKfiiiSD_SD_iiiii.num_agpr, 0
	.set _ZN4vllm25paged_attention_v2_kernelIttLi256ELi8ELi128ELNS_18Fp8KVCacheDataTypeE0ELb1ELi512EEEvPfS2_PT_PKS3_PKT0_S9_ifPKiSB_iPKfiiiSD_SD_iiiii.numbered_sgpr, 42
	.set _ZN4vllm25paged_attention_v2_kernelIttLi256ELi8ELi128ELNS_18Fp8KVCacheDataTypeE0ELb1ELi512EEEvPfS2_PT_PKS3_PKT0_S9_ifPKiSB_iPKfiiiSD_SD_iiiii.num_named_barrier, 0
	.set _ZN4vllm25paged_attention_v2_kernelIttLi256ELi8ELi128ELNS_18Fp8KVCacheDataTypeE0ELb1ELi512EEEvPfS2_PT_PKS3_PKT0_S9_ifPKiSB_iPKfiiiSD_SD_iiiii.private_seg_size, 0
	.set _ZN4vllm25paged_attention_v2_kernelIttLi256ELi8ELi128ELNS_18Fp8KVCacheDataTypeE0ELb1ELi512EEEvPfS2_PT_PKS3_PKT0_S9_ifPKiSB_iPKfiiiSD_SD_iiiii.uses_vcc, 1
	.set _ZN4vllm25paged_attention_v2_kernelIttLi256ELi8ELi128ELNS_18Fp8KVCacheDataTypeE0ELb1ELi512EEEvPfS2_PT_PKS3_PKT0_S9_ifPKiSB_iPKfiiiSD_SD_iiiii.uses_flat_scratch, 0
	.set _ZN4vllm25paged_attention_v2_kernelIttLi256ELi8ELi128ELNS_18Fp8KVCacheDataTypeE0ELb1ELi512EEEvPfS2_PT_PKS3_PKT0_S9_ifPKiSB_iPKfiiiSD_SD_iiiii.has_dyn_sized_stack, 0
	.set _ZN4vllm25paged_attention_v2_kernelIttLi256ELi8ELi128ELNS_18Fp8KVCacheDataTypeE0ELb1ELi512EEEvPfS2_PT_PKS3_PKT0_S9_ifPKiSB_iPKfiiiSD_SD_iiiii.has_recursion, 0
	.set _ZN4vllm25paged_attention_v2_kernelIttLi256ELi8ELi128ELNS_18Fp8KVCacheDataTypeE0ELb1ELi512EEEvPfS2_PT_PKS3_PKT0_S9_ifPKiSB_iPKfiiiSD_SD_iiiii.has_indirect_call, 0
	.section	.AMDGPU.csdata,"",@progbits
; Kernel info:
; codeLenInByte = 8896
; TotalNumSgprs: 44
; NumVgprs: 129
; ScratchSize: 0
; MemoryBound: 0
; FloatMode: 240
; IeeeMode: 1
; LDSByteSize: 544 bytes/workgroup (compile time only)
; SGPRBlocks: 0
; VGPRBlocks: 16
; NumSGPRsForWavesPerEU: 44
; NumVGPRsForWavesPerEU: 129
; Occupancy: 10
; WaveLimiterHint : 1
; COMPUTE_PGM_RSRC2:SCRATCH_EN: 0
; COMPUTE_PGM_RSRC2:USER_SGPR: 2
; COMPUTE_PGM_RSRC2:TRAP_HANDLER: 0
; COMPUTE_PGM_RSRC2:TGID_X_EN: 1
; COMPUTE_PGM_RSRC2:TGID_Y_EN: 1
; COMPUTE_PGM_RSRC2:TGID_Z_EN: 1
; COMPUTE_PGM_RSRC2:TIDIG_COMP_CNT: 0
	.section	.text._ZN4vllm32paged_attention_v2_reduce_kernelItLi256ELi128ELi512EEEvPT_PKfS4_PKS1_PKii,"axG",@progbits,_ZN4vllm32paged_attention_v2_reduce_kernelItLi256ELi128ELi512EEEvPT_PKfS4_PKS1_PKii,comdat
	.protected	_ZN4vllm32paged_attention_v2_reduce_kernelItLi256ELi128ELi512EEEvPT_PKfS4_PKS1_PKii ; -- Begin function _ZN4vllm32paged_attention_v2_reduce_kernelItLi256ELi128ELi512EEEvPT_PKfS4_PKS1_PKii
	.globl	_ZN4vllm32paged_attention_v2_reduce_kernelItLi256ELi128ELi512EEEvPT_PKfS4_PKS1_PKii
	.p2align	8
	.type	_ZN4vllm32paged_attention_v2_reduce_kernelItLi256ELi128ELi512EEEvPT_PKfS4_PKS1_PKii,@function
_ZN4vllm32paged_attention_v2_reduce_kernelItLi256ELi128ELi512EEEvPT_PKfS4_PKS1_PKii: ; @_ZN4vllm32paged_attention_v2_reduce_kernelItLi256ELi128ELi512EEEvPT_PKfS4_PKS1_PKii
; %bb.0:
	s_load_b128 s[4:7], s[0:1], 0x18
	s_mov_b32 s2, ttmp7
	s_ashr_i32 s3, ttmp7, 31
	s_add_nc_u64 s[8:9], s[0:1], 48
	s_lshl_b64 s[2:3], s[2:3], 2
	s_wait_kmcnt 0x0
	s_add_nc_u64 s[2:3], s[6:7], s[2:3]
	s_load_b32 s18, s[2:3], 0x0
	s_clause 0x2
	s_load_b64 s[6:7], s[0:1], 0x0
	s_load_b32 s14, s[0:1], 0x28
	s_load_b32 s15, s[0:1], 0x30
	s_wait_kmcnt 0x0
	s_add_co_i32 s2, s18, -1
	s_delay_alu instid0(SALU_CYCLE_1)
	s_cmp_gt_u32 s2, 0x1ff
	s_mov_b32 s2, -1
	s_cbranch_scc0 .LBB80_31
; %bb.1:
	s_add_co_i32 s2, s18, 0x1ff
	s_mul_i32 s16, s15, ttmp7
	s_ashr_i32 s3, s2, 31
	v_dual_mov_b32 v4, 0xff7fffff :: v_dual_lshlrev_b32 v3, 2, v0
	s_lshr_b32 s3, s3, 23
	s_mul_i32 s10, s16, s14
	s_add_co_i32 s2, s2, s3
	s_mul_i32 s12, s14, ttmp9
	s_ashr_i32 s17, s2, 9
	s_ashr_i32 s11, s10, 31
	v_cmp_gt_i32_e32 vcc_lo, s17, v0
	s_ashr_i32 s13, s12, 31
	s_and_saveexec_b32 s3, vcc_lo
	s_cbranch_execz .LBB80_5
; %bb.2:
	s_load_b64 s[20:21], s[0:1], 0x10
	s_load_b32 s2, s[8:9], 0xc
	s_lshl_b64 s[22:23], s[10:11], 2
	s_lshl_b64 s[24:25], s[12:13], 2
	v_dual_mov_b32 v4, 0xff7fffff :: v_dual_add_nc_u32 v5, 32, v3
	s_add_nc_u64 s[22:23], s[22:23], s[24:25]
	v_mov_b32_e32 v6, v0
	s_wait_kmcnt 0x0
	s_add_nc_u64 s[20:21], s[20:21], s[22:23]
	s_delay_alu instid0(SALU_CYCLE_1) | instskip(NEXT) | instid1(VALU_DEP_1)
	v_add_co_u32 v1, s19, s20, v3
	v_add_co_ci_u32_e64 v2, null, s21, 0, s19
	s_and_b32 s20, s2, 0xffff
	s_mov_b32 s19, 0
	s_wait_alu 0xfffe
	s_lshl_b32 s21, s20, 2
.LBB80_3:                               ; =>This Inner Loop Header: Depth=1
	global_load_b32 v7, v[1:2], off
	v_add_nc_u32_e32 v6, s20, v6
	v_max_num_f32_e32 v4, v4, v4
	s_wait_alu 0xfffe
	v_add_co_u32 v1, s2, v1, s21
	s_wait_alu 0xf1ff
	v_add_co_ci_u32_e64 v2, null, 0, v2, s2
	v_cmp_le_i32_e64 s2, s17, v6
	s_or_b32 s19, s2, s19
	s_wait_loadcnt 0x0
	v_max_num_f32_e32 v8, v7, v7
	ds_store_b32 v5, v7
	v_dual_max_num_f32 v4, v4, v8 :: v_dual_add_nc_u32 v5, s21, v5
	s_wait_alu 0xfffe
	s_and_not1_b32 exec_lo, exec_lo, s19
	s_cbranch_execnz .LBB80_3
; %bb.4:
	s_or_b32 exec_lo, exec_lo, s19
.LBB80_5:
	s_delay_alu instid0(SALU_CYCLE_1)
	s_or_b32 exec_lo, exec_lo, s3
	v_mbcnt_lo_u32_b32 v1, -1, 0
	s_load_b64 s[2:3], s[0:1], 0x8
	s_wait_dscnt 0x0
	s_barrier_signal -1
	s_barrier_wait -1
	v_xor_b32_e32 v2, 16, v1
	v_xor_b32_e32 v5, 8, v1
	global_inv scope:SCOPE_SE
	v_cmp_gt_i32_e64 s0, 32, v2
	s_delay_alu instid0(VALU_DEP_1) | instskip(SKIP_1) | instid1(VALU_DEP_2)
	v_cndmask_b32_e64 v2, v1, v2, s0
	v_cmp_gt_i32_e64 s0, 32, v5
	v_lshlrev_b32_e32 v6, 2, v2
	s_wait_alu 0xf1ff
	s_delay_alu instid0(VALU_DEP_2) | instskip(SKIP_3) | instid1(VALU_DEP_1)
	v_cndmask_b32_e64 v5, v1, v5, s0
	ds_bpermute_b32 v2, v6, v4
	v_dual_max_num_f32 v4, v4, v4 :: v_dual_lshlrev_b32 v7, 2, v5
	v_xor_b32_e32 v5, 4, v1
	v_cmp_gt_i32_e64 s0, 32, v5
	s_wait_alu 0xf1ff
	s_delay_alu instid0(VALU_DEP_1) | instskip(NEXT) | instid1(VALU_DEP_1)
	v_cndmask_b32_e64 v5, v1, v5, s0
	v_lshlrev_b32_e32 v8, 2, v5
	v_xor_b32_e32 v5, 2, v1
	s_wait_dscnt 0x0
	v_max_num_f32_e32 v2, v2, v2
	s_delay_alu instid0(VALU_DEP_2) | instskip(NEXT) | instid1(VALU_DEP_2)
	v_cmp_gt_i32_e64 s0, 32, v5
	v_max_num_f32_e32 v2, v4, v2
	s_wait_alu 0xf1ff
	s_delay_alu instid0(VALU_DEP_2) | instskip(SKIP_3) | instid1(VALU_DEP_1)
	v_cndmask_b32_e64 v5, v1, v5, s0
	ds_bpermute_b32 v4, v7, v2
	s_wait_dscnt 0x0
	v_max_num_f32_e32 v4, v4, v4
	v_max_num_f32_e32 v2, v2, v4
	ds_bpermute_b32 v4, v8, v2
	s_wait_dscnt 0x0
	v_dual_max_num_f32 v9, v4, v4 :: v_dual_lshlrev_b32 v4, 2, v5
	s_delay_alu instid0(VALU_DEP_1) | instskip(SKIP_4) | instid1(VALU_DEP_1)
	v_max_num_f32_e32 v2, v2, v9
	v_xor_b32_e32 v9, 1, v1
	ds_bpermute_b32 v5, v4, v2
	v_cmp_gt_i32_e64 s0, 32, v9
	s_wait_alu 0xf1ff
	v_cndmask_b32_e64 v1, v1, v9, s0
	v_lshrrev_b32_e32 v9, 5, v0
	s_delay_alu instid0(VALU_DEP_1) | instskip(SKIP_2) | instid1(VALU_DEP_1)
	v_lshlrev_b32_e32 v9, 2, v9
	s_wait_dscnt 0x0
	v_max_num_f32_e32 v5, v5, v5
	v_max_num_f32_e32 v2, v2, v5
	v_lshlrev_b32_e32 v5, 2, v1
	v_and_b32_e32 v1, 31, v0
	ds_bpermute_b32 v10, v5, v2
	v_cmp_eq_u32_e64 s0, 0, v1
	s_and_saveexec_b32 s1, s0
	s_cbranch_execz .LBB80_7
; %bb.6:
	s_wait_dscnt 0x0
	v_max_num_f32_e32 v10, v10, v10
	v_max_num_f32_e32 v2, v2, v2
	s_delay_alu instid0(VALU_DEP_1)
	v_max_num_f32_e32 v2, v2, v10
	ds_store_b32 v9, v2
.LBB80_7:
	s_wait_alu 0xfffe
	s_or_b32 exec_lo, exec_lo, s1
	v_cmp_gt_u32_e64 s1, 4, v1
	v_mov_b32_e32 v2, 0xff7fffff
	s_wait_dscnt 0x0
	v_lshlrev_b32_e32 v10, 2, v1
	s_wait_loadcnt 0x0
	s_barrier_signal -1
	s_barrier_wait -1
	global_inv scope:SCOPE_SE
	s_and_saveexec_b32 s19, s1
; %bb.8:
	ds_load_b32 v2, v10
; %bb.9:
	s_wait_alu 0xfffe
	s_or_b32 exec_lo, exec_lo, s19
	s_wait_dscnt 0x0
	ds_bpermute_b32 v1, v4, v2
	v_max_num_f32_e32 v2, v2, v2
	s_lshl_b32 s19, s17, 2
	v_mov_b32_e32 v11, 0
	s_wait_dscnt 0x0
	v_max_num_f32_e32 v1, v1, v1
	s_delay_alu instid0(VALU_DEP_1) | instskip(SKIP_3) | instid1(VALU_DEP_1)
	v_max_num_f32_e32 v1, v2, v1
	ds_bpermute_b32 v2, v5, v1
	s_wait_dscnt 0x0
	v_max_num_f32_e32 v2, v2, v2
	v_max_num_f32_e32 v1, v1, v2
	ds_bpermute_b32 v12, v11, v1
	s_and_saveexec_b32 s20, vcc_lo
	s_cbranch_execz .LBB80_13
; %bb.10:
	s_load_b32 s21, s[8:9], 0xc
	s_lshl_b64 s[22:23], s[10:11], 2
	s_lshl_b64 s[24:25], s[12:13], 2
	v_mov_b32_e32 v11, 0
	s_add_nc_u64 s[22:23], s[22:23], s[24:25]
	v_mov_b32_e32 v13, v0
	s_wait_kmcnt 0x0
	s_add_nc_u64 s[2:3], s[2:3], s[22:23]
	s_wait_alu 0xfffe
	v_add_co_u32 v1, s2, s2, v3
	s_wait_alu 0xf1ff
	v_add_co_ci_u32_e64 v2, null, s3, 0, s2
	v_add_nc_u32_e32 v3, 32, v3
	s_mov_b32 s3, 0
	s_and_b32 s11, s21, 0xffff
	s_delay_alu instid0(SALU_CYCLE_1)
	s_lshl_b32 s13, s11, 2
.LBB80_11:                              ; =>This Inner Loop Header: Depth=1
	global_load_b32 v14, v[1:2], off
	ds_load_b32 v15, v3
	v_add_nc_u32_e32 v13, s11, v13
	s_wait_dscnt 0x0
	v_sub_f32_e32 v15, v15, v12
	s_delay_alu instid0(VALU_DEP_1) | instskip(NEXT) | instid1(VALU_DEP_1)
	v_mul_f32_e32 v16, 0x3fb8aa3b, v15
	v_fma_f32 v17, 0x3fb8aa3b, v15, -v16
	v_rndne_f32_e32 v18, v16
	s_delay_alu instid0(VALU_DEP_1) | instskip(SKIP_1) | instid1(VALU_DEP_4)
	v_sub_f32_e32 v16, v16, v18
	v_cmp_ngt_f32_e32 vcc_lo, 0xc2ce8ed0, v15
	v_fmac_f32_e32 v17, 0x32a5705f, v15
	v_cmp_nlt_f32_e64 s2, 0x42b17218, v15
	s_delay_alu instid0(VALU_DEP_2) | instskip(SKIP_1) | instid1(VALU_DEP_2)
	v_add_f32_e32 v16, v16, v17
	v_cvt_i32_f32_e32 v17, v18
	v_exp_f32_e32 v16, v16
	s_delay_alu instid0(TRANS32_DEP_1) | instskip(SKIP_2) | instid1(VALU_DEP_2)
	v_ldexp_f32 v16, v16, v17
	v_add_nc_u32_e32 v17, s19, v3
	s_wait_alu 0xfffd
	v_dual_cndmask_b32 v16, 0, v16 :: v_dual_add_nc_u32 v3, s13, v3
	v_add_co_u32 v1, vcc_lo, v1, s13
	s_wait_alu 0xfffd
	v_add_co_ci_u32_e64 v2, null, 0, v2, vcc_lo
	s_wait_alu 0xf1ff
	v_cndmask_b32_e64 v15, 0x7f800000, v16, s2
	v_cmp_le_i32_e32 vcc_lo, s17, v13
	s_wait_alu 0xfffe
	s_or_b32 s3, vcc_lo, s3
	s_wait_loadcnt 0x0
	v_mul_f32_e32 v16, v14, v15
	v_fmac_f32_e32 v11, v14, v15
	ds_store_b32 v17, v16
	s_wait_alu 0xfffe
	s_and_not1_b32 exec_lo, exec_lo, s3
	s_cbranch_execnz .LBB80_11
; %bb.12:
	s_or_b32 exec_lo, exec_lo, s3
.LBB80_13:
	s_wait_alu 0xfffe
	s_or_b32 exec_lo, exec_lo, s20
	ds_bpermute_b32 v1, v6, v11
	s_wait_loadcnt_dscnt 0x0
	s_barrier_signal -1
	s_barrier_wait -1
	global_inv scope:SCOPE_SE
	v_add_f32_e32 v1, v11, v1
	ds_bpermute_b32 v2, v7, v1
	s_wait_dscnt 0x0
	v_add_f32_e32 v1, v1, v2
	ds_bpermute_b32 v2, v8, v1
	s_wait_dscnt 0x0
	;; [unrolled: 3-line block ×4, first 2 shown]
	v_add_f32_e32 v1, v1, v2
	s_wait_kmcnt 0x0
	s_and_saveexec_b32 s2, s0
; %bb.14:
	ds_store_b32 v9, v1 offset:16
; %bb.15:
	s_wait_alu 0xfffe
	s_or_b32 exec_lo, exec_lo, s2
	s_wait_loadcnt_dscnt 0x0
	s_barrier_signal -1
	s_barrier_wait -1
	global_inv scope:SCOPE_SE
	s_and_saveexec_b32 s0, s1
; %bb.16:
	ds_load_b32 v1, v10 offset:16
; %bb.17:
	s_wait_alu 0xfffe
	s_or_b32 exec_lo, exec_lo, s0
	s_wait_dscnt 0x0
	ds_bpermute_b32 v2, v4, v1
	s_mov_b32 s11, exec_lo
	s_wait_dscnt 0x0
	v_add_f32_e32 v1, v1, v2
	ds_bpermute_b32 v2, v5, v1
	s_wait_dscnt 0x0
	v_dual_add_f32 v1, v1, v2 :: v_dual_mov_b32 v2, 0
	ds_bpermute_b32 v1, v2, v1
	v_cmpx_gt_u32_e32 0x100, v0
	s_cbranch_execz .LBB80_30
; %bb.18:
	s_wait_dscnt 0x0
	v_add_f32_e32 v2, 0x358637bd, v1
	s_lshl_b32 s0, s10, 8
	s_lshl_b32 s2, s12, 8
	s_wait_alu 0xfffe
	s_ashr_i32 s1, s0, 31
	s_ashr_i32 s3, s2, 31
	v_div_scale_f32 v1, null, v2, v2, 1.0
	s_cmp_gt_i32 s18, 0
	s_mov_b32 s12, 0
	s_cselect_b32 s13, -1, 0
	v_rcp_f32_e32 v3, v1
	s_delay_alu instid0(TRANS32_DEP_1) | instskip(NEXT) | instid1(VALU_DEP_1)
	v_fma_f32 v4, -v1, v3, 1.0
	v_fmac_f32_e32 v3, v4, v3
	v_div_scale_f32 v5, vcc_lo, 1.0, v2, 1.0
	s_delay_alu instid0(VALU_DEP_1) | instskip(NEXT) | instid1(VALU_DEP_1)
	v_mul_f32_e32 v4, v5, v3
	v_fma_f32 v6, -v1, v4, v5
	s_delay_alu instid0(VALU_DEP_1) | instskip(NEXT) | instid1(VALU_DEP_1)
	v_fmac_f32_e32 v4, v6, v3
	v_fma_f32 v1, -v1, v4, v5
	s_wait_alu 0xfffd
	s_delay_alu instid0(VALU_DEP_1)
	v_div_fmas_f32 v3, v1, v3, v4
	s_wait_alu 0xfffe
	s_and_b32 vcc_lo, exec_lo, s13
	s_wait_alu 0xfffe
	s_cbranch_vccnz .LBB80_20
; %bb.19:
	v_mov_b32_e32 v1, 0
	s_branch .LBB80_21
.LBB80_20:
	s_mov_b32 s12, -1
.LBB80_21:
	v_div_fixup_f32 v5, v3, v2, 1.0
	v_mov_b32_e32 v6, 0
	s_add_co_i32 s10, s19, 32
	s_wait_alu 0xfffe
	s_and_not1_b32 vcc_lo, exec_lo, s12
	s_max_i32 s12, s17, 1
	s_wait_alu 0xfffe
	s_cbranch_vccnz .LBB80_24
; %bb.22:
	s_lshl_b64 s[18:19], s[0:1], 1
	s_lshl_b64 s[20:21], s[2:3], 1
	v_dual_mov_b32 v1, 0 :: v_dual_lshlrev_b32 v2, 1, v0
	s_wait_alu 0xfffe
	s_add_nc_u64 s[18:19], s[18:19], s[20:21]
	s_wait_alu 0xfffe
	s_add_nc_u64 s[18:19], s[4:5], s[18:19]
	s_wait_alu 0xfffe
	v_add_co_u32 v2, s17, s18, v2
	s_wait_alu 0xf1ff
	v_add_co_ci_u32_e64 v3, null, s19, 0, s17
	v_mov_b32_e32 v6, v1
	s_mov_b32 s17, s10
	s_mov_b32 s18, s12
.LBB80_23:                              ; =>This Inner Loop Header: Depth=1
	s_wait_alu 0xfffe
	v_mov_b32_e32 v4, s17
	global_load_u16 v7, v[2:3], off
	s_wait_loadcnt 0x0
	;;#ASMSTART
	v_cvt_f32_f16 v7, v7;
	;;#ASMEND
	v_add_co_u32 v2, vcc_lo, 0x200, v2
	ds_load_b32 v4, v4
	s_wait_alu 0xfffd
	v_add_co_ci_u32_e64 v3, null, 0, v3, vcc_lo
	s_add_co_i32 s18, s18, -1
	s_add_co_i32 s17, s17, 4
	s_wait_alu 0xfffe
	s_cmp_eq_u32 s18, 0
	s_wait_dscnt 0x0
	v_mul_f32_e32 v4, v7, v4
	s_delay_alu instid0(VALU_DEP_1)
	v_fmac_f32_e32 v6, v5, v4
	s_cbranch_scc0 .LBB80_23
.LBB80_24:
	s_lshl_b32 s16, s16, 8
	s_lshl_b32 s18, ttmp9, 8
	s_wait_alu 0xfffe
	s_ashr_i32 s17, s16, 31
	s_ashr_i32 s19, s18, 31
	s_wait_alu 0xfffe
	s_lshl_b64 s[16:17], s[16:17], 1
	v_lshlrev_b64_e32 v[3:4], 1, v[0:1]
	s_lshl_b64 s[18:19], s[18:19], 1
	s_wait_alu 0xfffe
	s_add_nc_u64 s[16:17], s[6:7], s[16:17]
	;;#ASMSTART
	v_cvt_f16_f32 v6, v6;

	;;#ASMEND
	s_wait_alu 0xfffe
	s_add_nc_u64 s[16:17], s[16:17], s[18:19]
	s_wait_alu 0xfffe
	v_add_co_u32 v1, vcc_lo, s16, v3
	s_wait_alu 0xfffd
	v_add_co_ci_u32_e64 v2, null, s17, v4, vcc_lo
	v_cmp_gt_u32_e32 vcc_lo, 0x80, v0
	global_store_b16 v[1:2], v6, off
	s_and_b32 exec_lo, exec_lo, vcc_lo
	s_cbranch_execz .LBB80_30
; %bb.25:
	s_and_not1_b32 vcc_lo, exec_lo, s13
	s_wait_alu 0xfffe
	s_cbranch_vccnz .LBB80_28
; %bb.26:
	s_lshl_b64 s[0:1], s[0:1], 1
	s_lshl_b64 s[2:3], s[2:3], 1
	v_mov_b32_e32 v6, 0
	s_wait_alu 0xfffe
	s_add_nc_u64 s[0:1], s[0:1], s[2:3]
	s_wait_alu 0xfffe
	s_add_nc_u64 s[0:1], s[4:5], s[0:1]
	s_wait_alu 0xfffe
	v_add_co_u32 v3, vcc_lo, s0, v3
	s_wait_alu 0xfffd
	v_add_co_ci_u32_e64 v4, null, s1, v4, vcc_lo
	s_delay_alu instid0(VALU_DEP_2) | instskip(SKIP_1) | instid1(VALU_DEP_2)
	v_add_co_u32 v3, vcc_lo, 0x100, v3
	s_wait_alu 0xfffd
	v_add_co_ci_u32_e64 v4, null, 0, v4, vcc_lo
.LBB80_27:                              ; =>This Inner Loop Header: Depth=1
	v_mov_b32_e32 v7, s10
	global_load_u16 v8, v[3:4], off
	s_wait_loadcnt 0x0
	;;#ASMSTART
	v_cvt_f32_f16 v8, v8;
	;;#ASMEND
	v_add_co_u32 v3, vcc_lo, 0x200, v3
	ds_load_b32 v7, v7
	s_wait_alu 0xfffd
	v_add_co_ci_u32_e64 v4, null, 0, v4, vcc_lo
	s_add_co_i32 s12, s12, -1
	s_add_co_i32 s10, s10, 4
	s_wait_alu 0xfffe
	s_cmp_lg_u32 s12, 0
	s_wait_dscnt 0x0
	v_mul_f32_e32 v7, v8, v7
	s_delay_alu instid0(VALU_DEP_1)
	v_fmac_f32_e32 v6, v5, v7
	s_cbranch_scc1 .LBB80_27
	s_branch .LBB80_29
.LBB80_28:
	v_mov_b32_e32 v6, 0
.LBB80_29:
	;;#ASMSTART
	v_cvt_f16_f32 v3, v6;

	;;#ASMEND
	global_store_b16 v[1:2], v3, off offset:256
.LBB80_30:
	s_wait_alu 0xfffe
	s_or_b32 exec_lo, exec_lo, s11
	s_mov_b32 s2, 0
.LBB80_31:
	s_wait_alu 0xfffe
	s_and_b32 vcc_lo, exec_lo, s2
	s_wait_alu 0xfffe
	s_cbranch_vccz .LBB80_40
; %bb.32:
	s_mov_b32 s0, exec_lo
	v_cmpx_gt_u32_e32 0x100, v0
	s_cbranch_execz .LBB80_40
; %bb.33:
	s_load_b32 s0, s[8:9], 0xc
	s_mul_i32 s15, s15, ttmp7
	s_mul_i32 s1, s14, ttmp9
	s_mul_i32 s14, s14, s15
	s_lshl_b32 s2, ttmp9, 8
	s_lshl_b32 s10, s15, 8
	s_wait_alu 0xfffe
	s_lshl_b32 s8, s1, 8
	s_lshl_b32 s12, s14, 8
	v_cmp_gt_u32_e32 vcc_lo, 0xfd, v0
	s_ashr_i32 s3, s2, 31
	s_ashr_i32 s11, s10, 31
	;; [unrolled: 1-line block ×3, first 2 shown]
	s_wait_alu 0xfffe
	s_ashr_i32 s13, s12, 31
	s_wait_kmcnt 0x0
	s_and_b32 s1, s0, 0xffff
	s_wait_alu 0xfffe
	s_cmp_eq_u32 s1, 1
	s_cselect_b32 s0, -1, 0
	s_wait_alu 0xfffe
	s_and_b32 s15, vcc_lo, s0
	s_mov_b32 s0, -1
	s_and_saveexec_b32 s14, s15
	s_cbranch_execz .LBB80_37
; %bb.34:
	s_lshl_b64 s[16:17], s[12:13], 1
	s_lshl_b64 s[18:19], s[8:9], 1
	s_wait_dscnt 0x0
	v_lshlrev_b32_e32 v1, 1, v0
	s_wait_alu 0xfffe
	s_add_nc_u64 s[16:17], s[16:17], s[18:19]
	s_lshl_b64 s[18:19], s[10:11], 1
	s_lshl_b64 s[20:21], s[2:3], 1
	s_wait_alu 0xfffe
	s_add_nc_u64 s[16:17], s[4:5], s[16:17]
	s_add_nc_u64 s[18:19], s[18:19], s[20:21]
	s_wait_alu 0xfffe
	v_add_co_u32 v2, s0, s16, v1
	v_sub_nc_u32_e32 v5, 0x100, v0
	s_wait_alu 0xf1ff
	v_add_co_ci_u32_e64 v3, null, s17, 0, s0
	s_add_nc_u64 s[16:17], s[6:7], s[18:19]
	s_mov_b32 s15, 0
	s_wait_alu 0xfffe
	v_add_co_u32 v4, s0, s16, v1
	v_and_b32_e32 v6, 0x1fc, v5
	s_wait_alu 0xf1ff
	v_add_co_ci_u32_e64 v7, null, s17, 0, s0
	v_add_co_u32 v1, vcc_lo, v2, 4
	s_wait_alu 0xfffd
	v_add_co_ci_u32_e64 v2, null, 0, v3, vcc_lo
	v_add_co_u32 v3, vcc_lo, v4, 4
	s_wait_alu 0xfffd
	v_add_co_ci_u32_e64 v4, null, 0, v7, vcc_lo
	v_mov_b32_e32 v7, v6
.LBB80_35:                              ; =>This Inner Loop Header: Depth=1
	global_load_b64 v[8:9], v[1:2], off offset:-4
	v_add_nc_u32_e32 v7, -4, v7
	v_add_co_u32 v1, vcc_lo, v1, 8
	s_wait_alu 0xfffd
	v_add_co_ci_u32_e64 v2, null, 0, v2, vcc_lo
	s_delay_alu instid0(VALU_DEP_3)
	v_cmp_eq_u32_e32 vcc_lo, 0, v7
	s_or_b32 s15, vcc_lo, s15
	s_wait_loadcnt 0x0
	global_store_b64 v[3:4], v[8:9], off offset:-4
	v_add_co_u32 v3, s0, v3, 8
	s_wait_alu 0xf1ff
	v_add_co_ci_u32_e64 v4, null, 0, v4, s0
	s_and_not1_b32 exec_lo, exec_lo, s15
	s_cbranch_execnz .LBB80_35
; %bb.36:
	s_or_b32 exec_lo, exec_lo, s15
	v_cmp_ne_u32_e32 vcc_lo, v5, v6
	v_add_nc_u32_e32 v0, v0, v6
	s_or_not1_b32 s0, vcc_lo, exec_lo
.LBB80_37:
	s_or_b32 exec_lo, exec_lo, s14
	s_wait_alu 0xfffe
	s_and_b32 exec_lo, exec_lo, s0
	s_cbranch_execz .LBB80_40
; %bb.38:
	s_lshl_b64 s[10:11], s[10:11], 1
	s_lshl_b64 s[2:3], s[2:3], 1
	s_wait_alu 0xfffe
	s_add_nc_u64 s[6:7], s[6:7], s[10:11]
	s_lshl_b64 s[10:11], s[12:13], 1
	s_wait_dscnt 0x0
	v_dual_mov_b32 v2, 0 :: v_dual_lshlrev_b32 v1, 1, v0
	s_add_nc_u64 s[2:3], s[6:7], s[2:3]
	s_wait_alu 0xfffe
	s_add_nc_u64 s[4:5], s[4:5], s[10:11]
	s_lshl_b64 s[6:7], s[8:9], 1
	s_delay_alu instid0(SALU_CYCLE_1)
	s_add_nc_u64 s[4:5], s[4:5], s[6:7]
	s_mov_b32 s6, 0
	s_lshl_b32 s7, s1, 1
.LBB80_39:                              ; =>This Inner Loop Header: Depth=1
	v_add_co_u32 v3, vcc_lo, s4, v1
	s_wait_alu 0xfffd
	v_add_co_ci_u32_e64 v4, null, s5, v2, vcc_lo
	v_add_nc_u32_e32 v0, s1, v0
	global_load_u16 v5, v[3:4], off
	v_add_co_u32 v3, vcc_lo, s2, v1
	s_wait_alu 0xfffd
	v_add_co_ci_u32_e64 v4, null, s3, v2, vcc_lo
	v_cmp_lt_u32_e32 vcc_lo, 0xff, v0
	v_add_co_u32 v1, s0, v1, s7
	s_wait_alu 0xf1ff
	v_add_co_ci_u32_e64 v2, null, 0, v2, s0
	s_or_b32 s6, vcc_lo, s6
	s_wait_loadcnt 0x0
	global_store_b16 v[3:4], v5, off
	s_wait_alu 0xfffe
	s_and_not1_b32 exec_lo, exec_lo, s6
	s_cbranch_execnz .LBB80_39
.LBB80_40:
	s_endpgm
	.section	.rodata,"a",@progbits
	.p2align	6, 0x0
	.amdhsa_kernel _ZN4vllm32paged_attention_v2_reduce_kernelItLi256ELi128ELi512EEEvPT_PKfS4_PKS1_PKii
		.amdhsa_group_segment_fixed_size 32
		.amdhsa_private_segment_fixed_size 0
		.amdhsa_kernarg_size 304
		.amdhsa_user_sgpr_count 2
		.amdhsa_user_sgpr_dispatch_ptr 0
		.amdhsa_user_sgpr_queue_ptr 0
		.amdhsa_user_sgpr_kernarg_segment_ptr 1
		.amdhsa_user_sgpr_dispatch_id 0
		.amdhsa_user_sgpr_private_segment_size 0
		.amdhsa_wavefront_size32 1
		.amdhsa_uses_dynamic_stack 0
		.amdhsa_enable_private_segment 0
		.amdhsa_system_sgpr_workgroup_id_x 1
		.amdhsa_system_sgpr_workgroup_id_y 1
		.amdhsa_system_sgpr_workgroup_id_z 0
		.amdhsa_system_sgpr_workgroup_info 0
		.amdhsa_system_vgpr_workitem_id 0
		.amdhsa_next_free_vgpr 19
		.amdhsa_next_free_sgpr 26
		.amdhsa_reserve_vcc 1
		.amdhsa_float_round_mode_32 0
		.amdhsa_float_round_mode_16_64 0
		.amdhsa_float_denorm_mode_32 3
		.amdhsa_float_denorm_mode_16_64 3
		.amdhsa_fp16_overflow 0
		.amdhsa_workgroup_processor_mode 1
		.amdhsa_memory_ordered 1
		.amdhsa_forward_progress 1
		.amdhsa_inst_pref_size 22
		.amdhsa_round_robin_scheduling 0
		.amdhsa_exception_fp_ieee_invalid_op 0
		.amdhsa_exception_fp_denorm_src 0
		.amdhsa_exception_fp_ieee_div_zero 0
		.amdhsa_exception_fp_ieee_overflow 0
		.amdhsa_exception_fp_ieee_underflow 0
		.amdhsa_exception_fp_ieee_inexact 0
		.amdhsa_exception_int_div_zero 0
	.end_amdhsa_kernel
	.section	.text._ZN4vllm32paged_attention_v2_reduce_kernelItLi256ELi128ELi512EEEvPT_PKfS4_PKS1_PKii,"axG",@progbits,_ZN4vllm32paged_attention_v2_reduce_kernelItLi256ELi128ELi512EEEvPT_PKfS4_PKS1_PKii,comdat
.Lfunc_end80:
	.size	_ZN4vllm32paged_attention_v2_reduce_kernelItLi256ELi128ELi512EEEvPT_PKfS4_PKS1_PKii, .Lfunc_end80-_ZN4vllm32paged_attention_v2_reduce_kernelItLi256ELi128ELi512EEEvPT_PKfS4_PKS1_PKii
                                        ; -- End function
	.set _ZN4vllm32paged_attention_v2_reduce_kernelItLi256ELi128ELi512EEEvPT_PKfS4_PKS1_PKii.num_vgpr, 19
	.set _ZN4vllm32paged_attention_v2_reduce_kernelItLi256ELi128ELi512EEEvPT_PKfS4_PKS1_PKii.num_agpr, 0
	.set _ZN4vllm32paged_attention_v2_reduce_kernelItLi256ELi128ELi512EEEvPT_PKfS4_PKS1_PKii.numbered_sgpr, 26
	.set _ZN4vllm32paged_attention_v2_reduce_kernelItLi256ELi128ELi512EEEvPT_PKfS4_PKS1_PKii.num_named_barrier, 0
	.set _ZN4vllm32paged_attention_v2_reduce_kernelItLi256ELi128ELi512EEEvPT_PKfS4_PKS1_PKii.private_seg_size, 0
	.set _ZN4vllm32paged_attention_v2_reduce_kernelItLi256ELi128ELi512EEEvPT_PKfS4_PKS1_PKii.uses_vcc, 1
	.set _ZN4vllm32paged_attention_v2_reduce_kernelItLi256ELi128ELi512EEEvPT_PKfS4_PKS1_PKii.uses_flat_scratch, 0
	.set _ZN4vllm32paged_attention_v2_reduce_kernelItLi256ELi128ELi512EEEvPT_PKfS4_PKS1_PKii.has_dyn_sized_stack, 0
	.set _ZN4vllm32paged_attention_v2_reduce_kernelItLi256ELi128ELi512EEEvPT_PKfS4_PKS1_PKii.has_recursion, 0
	.set _ZN4vllm32paged_attention_v2_reduce_kernelItLi256ELi128ELi512EEEvPT_PKfS4_PKS1_PKii.has_indirect_call, 0
	.section	.AMDGPU.csdata,"",@progbits
; Kernel info:
; codeLenInByte = 2692
; TotalNumSgprs: 28
; NumVgprs: 19
; ScratchSize: 0
; MemoryBound: 0
; FloatMode: 240
; IeeeMode: 1
; LDSByteSize: 32 bytes/workgroup (compile time only)
; SGPRBlocks: 0
; VGPRBlocks: 2
; NumSGPRsForWavesPerEU: 28
; NumVGPRsForWavesPerEU: 19
; Occupancy: 16
; WaveLimiterHint : 0
; COMPUTE_PGM_RSRC2:SCRATCH_EN: 0
; COMPUTE_PGM_RSRC2:USER_SGPR: 2
; COMPUTE_PGM_RSRC2:TRAP_HANDLER: 0
; COMPUTE_PGM_RSRC2:TGID_X_EN: 1
; COMPUTE_PGM_RSRC2:TGID_Y_EN: 1
; COMPUTE_PGM_RSRC2:TGID_Z_EN: 0
; COMPUTE_PGM_RSRC2:TIDIG_COMP_CNT: 0
	.section	.text._ZN4vllm25paged_attention_v2_kernelIttLi32ELi8ELi128ELNS_18Fp8KVCacheDataTypeE0ELb0ELi512EEEvPfS2_PT_PKS3_PKT0_S9_ifPKiSB_iPKfiiiSD_SD_iiiii,"axG",@progbits,_ZN4vllm25paged_attention_v2_kernelIttLi32ELi8ELi128ELNS_18Fp8KVCacheDataTypeE0ELb0ELi512EEEvPfS2_PT_PKS3_PKT0_S9_ifPKiSB_iPKfiiiSD_SD_iiiii,comdat
	.protected	_ZN4vllm25paged_attention_v2_kernelIttLi32ELi8ELi128ELNS_18Fp8KVCacheDataTypeE0ELb0ELi512EEEvPfS2_PT_PKS3_PKT0_S9_ifPKiSB_iPKfiiiSD_SD_iiiii ; -- Begin function _ZN4vllm25paged_attention_v2_kernelIttLi32ELi8ELi128ELNS_18Fp8KVCacheDataTypeE0ELb0ELi512EEEvPfS2_PT_PKS3_PKT0_S9_ifPKiSB_iPKfiiiSD_SD_iiiii
	.globl	_ZN4vllm25paged_attention_v2_kernelIttLi32ELi8ELi128ELNS_18Fp8KVCacheDataTypeE0ELb0ELi512EEEvPfS2_PT_PKS3_PKT0_S9_ifPKiSB_iPKfiiiSD_SD_iiiii
	.p2align	8
	.type	_ZN4vllm25paged_attention_v2_kernelIttLi32ELi8ELi128ELNS_18Fp8KVCacheDataTypeE0ELb0ELi512EEEvPfS2_PT_PKS3_PKT0_S9_ifPKiSB_iPKfiiiSD_SD_iiiii,@function
_ZN4vllm25paged_attention_v2_kernelIttLi32ELi8ELi128ELNS_18Fp8KVCacheDataTypeE0ELb0ELi512EEEvPfS2_PT_PKS3_PKT0_S9_ifPKiSB_iPKfiiiSD_SD_iiiii: ; @_ZN4vllm25paged_attention_v2_kernelIttLi32ELi8ELi128ELNS_18Fp8KVCacheDataTypeE0ELb0ELi512EEEvPfS2_PT_PKS3_PKT0_S9_ifPKiSB_iPKfiiiSD_SD_iiiii
; %bb.0:
	s_load_b64 s[2:3], s[0:1], 0x40
	s_and_b32 s20, ttmp7, 0xffff
	s_lshr_b32 s27, ttmp7, 16
	s_lshl_b32 s4, s20, 2
	s_lshl_b32 s26, s27, 9
	s_wait_kmcnt 0x0
	s_load_b32 s24, s[2:3], s4 offset:0x0
	s_wait_kmcnt 0x0
	s_cmp_ge_i32 s26, s24
	s_cbranch_scc1 .LBB81_46
; %bb.1:
	s_clause 0x1
	s_load_b32 s21, s[0:1], 0x90
	s_load_b64 s[6:7], s[0:1], 0x30
	s_wait_kmcnt 0x0
	s_abs_i32 s5, s21
	s_abs_i32 s2, s6
	s_delay_alu instid0(SALU_CYCLE_1) | instskip(SKIP_1) | instid1(SALU_CYCLE_2)
	s_cvt_f32_u32 s3, s2
	s_sub_co_i32 s4, 0, s2
	v_rcp_iflag_f32_e32 v1, s3
	s_delay_alu instid0(TRANS32_DEP_1) | instskip(SKIP_2) | instid1(SALU_CYCLE_2)
	v_readfirstlane_b32 s3, v1
	s_mul_f32 s3, s3, 0x4f7ffffe
	s_wait_alu 0xfffe
	s_cvt_u32_f32 s3, s3
	s_wait_alu 0xfffe
	s_delay_alu instid0(SALU_CYCLE_2) | instskip(NEXT) | instid1(SALU_CYCLE_1)
	s_mul_i32 s4, s4, s3
	s_mul_hi_u32 s4, s3, s4
	s_delay_alu instid0(SALU_CYCLE_1)
	s_add_co_i32 s3, s3, s4
	s_xor_b32 s4, s21, s6
	s_wait_alu 0xfffe
	s_mul_hi_u32 s3, s5, s3
	s_ashr_i32 s4, s4, 31
	s_wait_alu 0xfffe
	s_mul_i32 s6, s3, s2
	s_delay_alu instid0(SALU_CYCLE_1)
	s_sub_co_i32 s5, s5, s6
	s_add_co_i32 s6, s3, 1
	s_sub_co_i32 s8, s5, s2
	s_cmp_ge_u32 s5, s2
	s_cselect_b32 s3, s6, s3
	s_cselect_b32 s5, s8, s5
	s_wait_alu 0xfffe
	s_add_co_i32 s6, s3, 1
	s_cmp_ge_u32 s5, s2
	s_load_b64 s[8:9], s[0:1], 0x50
	s_cselect_b32 s2, s6, s3
	s_mov_b32 s3, 0
	s_wait_alu 0xfffe
	s_xor_b32 s2, s2, s4
	s_mov_b32 s6, s3
	s_wait_alu 0xfffe
	s_sub_co_i32 s12, s2, s4
	s_delay_alu instid0(SALU_CYCLE_1) | instskip(NEXT) | instid1(SALU_CYCLE_1)
	s_abs_i32 s11, s12
	s_cvt_f32_u32 s2, s11
	s_wait_alu 0xfffe
	s_delay_alu instid0(SALU_CYCLE_2) | instskip(NEXT) | instid1(TRANS32_DEP_1)
	v_rcp_iflag_f32_e32 v1, s2
	v_readfirstlane_b32 s2, v1
	s_mul_f32 s2, s2, 0x4f7ffffe
	s_wait_alu 0xfffe
	s_delay_alu instid0(SALU_CYCLE_2) | instskip(SKIP_2) | instid1(SALU_CYCLE_1)
	s_cvt_u32_f32 s4, s2
	s_sub_co_i32 s2, 0, s11
	s_wait_alu 0xfffe
	s_mul_i32 s2, s2, s4
	s_wait_alu 0xfffe
	s_mul_hi_u32 s5, s4, s2
	s_abs_i32 s2, ttmp9
	s_add_co_i32 s4, s4, s5
	s_mov_b32 s5, s3
	s_wait_kmcnt 0x0
	s_cmp_eq_u64 s[8:9], 0
	s_cbranch_scc1 .LBB81_3
; %bb.2:
	s_mov_b32 s14, ttmp9
	s_ashr_i32 s15, ttmp9, 31
	s_delay_alu instid0(SALU_CYCLE_1) | instskip(NEXT) | instid1(SALU_CYCLE_1)
	s_lshl_b64 s[14:15], s[14:15], 2
	s_add_nc_u64 s[8:9], s[8:9], s[14:15]
	s_load_b32 s6, s[8:9], 0x0
.LBB81_3:
	s_load_b96 s[8:10], s[0:1], 0x58
	v_and_b32_e32 v1, 3, v0
	v_lshlrev_b32_e32 v2, 2, v0
	s_mul_u64 s[4:5], s[2:3], s[4:5]
	s_ashr_i32 s3, ttmp9, 31
	s_ashr_i32 s4, s12, 31
	s_lshl_b32 s12, ttmp9, 5
	s_mov_b32 s14, exec_lo
	v_cmpx_gt_u32_e32 16, v0
	s_cbranch_execz .LBB81_5
; %bb.4:
	s_load_b64 s[16:17], s[0:1], 0x18
	s_wait_kmcnt 0x0
	s_mul_i32 s18, s8, s20
	s_ashr_i32 s13, s12, 31
	s_ashr_i32 s19, s18, 31
	v_and_b32_e32 v4, 0x3fc, v0
	s_lshl_b64 s[18:19], s[18:19], 1
	s_delay_alu instid0(VALU_DEP_1) | instskip(SKIP_2) | instid1(SALU_CYCLE_1)
	v_lshl_add_u32 v4, v1, 4, v4
	s_add_nc_u64 s[16:17], s[16:17], s[18:19]
	s_lshl_b64 s[18:19], s[12:13], 1
	s_add_nc_u64 s[16:17], s[16:17], s[18:19]
	global_load_b32 v3, v2, s[16:17]
	s_wait_loadcnt 0x0
	ds_store_b32 v4, v3
.LBB81_5:
	s_or_b32 exec_lo, exec_lo, s14
	s_add_co_i32 s13, s24, 7
	s_wait_alu 0xfffe
	s_xor_b32 s3, s3, s4
	s_ashr_i32 s14, s13, 31
	s_wait_kmcnt 0x0
	s_lshl_b32 s8, s27, 6
	s_lshr_b32 s4, s14, 29
	s_mul_i32 s14, s5, s11
	s_add_co_i32 s13, s13, s4
	s_add_co_i32 s4, s8, 64
	s_ashr_i32 s28, s13, 3
	s_load_b32 s13, s[0:1], 0x48
	s_sub_co_i32 s2, s2, s14
	s_min_i32 s25, s4, s28
	s_add_co_i32 s4, s5, 1
	s_wait_alu 0xfffe
	s_sub_co_i32 s14, s2, s11
	s_cmp_ge_u32 s2, s11
	v_lshrrev_b32_e32 v7, 5, v0
	s_cselect_b32 s4, s4, s5
	s_cselect_b32 s2, s14, s2
	s_add_co_i32 s5, s4, 1
	s_wait_alu 0xfffe
	s_cmp_ge_u32 s2, s11
	v_or_b32_e32 v8, s8, v7
	s_cselect_b32 s2, s5, s4
	v_mbcnt_lo_u32_b32 v5, -1, 0
	s_wait_alu 0xfffe
	s_xor_b32 s2, s2, s3
	s_mov_b32 s4, exec_lo
	s_wait_alu 0xfffe
	s_sub_co_i32 s3, s2, s3
	v_cmp_gt_i32_e64 s2, s25, v8
	s_wait_dscnt 0x0
	s_barrier_signal -1
	s_wait_kmcnt 0x0
	s_mul_i32 s14, s13, s20
	s_barrier_wait -1
	s_ashr_i32 s15, s14, 31
	global_inv scope:SCOPE_SE
                                        ; implicit-def: $vgpr6
                                        ; implicit-def: $vgpr10
	v_cmpx_le_i32_e64 s25, v8
	s_xor_b32 s4, exec_lo, s4
; %bb.6:
	v_mov_b32_e32 v6, 0
	v_mbcnt_lo_u32_b32 v5, -1, 0
	v_mov_b32_e32 v10, 32
                                        ; implicit-def: $vgpr2
                                        ; implicit-def: $vgpr1
; %bb.7:
	s_or_saveexec_b32 s11, s4
	s_clause 0x1
	s_load_b64 s[16:17], s[0:1], 0x38
	s_load_b32 s13, s[0:1], 0x98
	v_dual_mov_b32 v9, 0xff7fffff :: v_dual_lshlrev_b32 v4, 3, v7
	v_lshlrev_b32_e32 v3, 2, v8
	s_mul_i32 s18, s3, s10
	s_xor_b32 exec_lo, exec_lo, s11
	s_cbranch_execz .LBB81_13
; %bb.8:
	s_load_b64 s[4:5], s[0:1], 0x20
	v_bfe_u32 v9, v0, 2, 3
	s_ashr_i32 s19, s18, 31
	v_dual_mov_b32 v6, 0 :: v_dual_lshlrev_b32 v11, 4, v1
	v_cmp_eq_u32_e32 vcc_lo, 0, v1
	s_delay_alu instid0(VALU_DEP_3)
	v_lshlrev_b32_e32 v1, 4, v9
	v_lshlrev_b32_e32 v10, 2, v9
	s_lshl_b64 s[22:23], s[18:19], 1
	s_cmp_neq_f32 s6, 0
	v_and_b32_e32 v2, 12, v2
	v_add3_u32 v12, s26, v4, v9
	v_lshl_or_b32 v9, v7, 5, v10
	s_cselect_b32 s3, -1, 0
	s_lshl_b64 s[30:31], s[14:15], 2
	v_xor_b32_e32 v16, 2, v5
	s_wait_kmcnt 0x0
	s_add_nc_u64 s[30:31], s[16:17], s[30:31]
	v_dual_mov_b32 v18, v8 :: v_dual_add_nc_u32 v13, 0x60, v9
	v_mov_b32_e32 v9, 0xff7fffff
	s_add_nc_u64 s[4:5], s[4:5], s[22:23]
	v_xor_b32_e32 v17, 1, v5
	v_add_co_u32 v1, s4, s4, v1
	s_wait_alu 0xf1ff
	v_add_co_ci_u32_e64 v10, null, s5, 0, s4
	s_mov_b32 s19, s9
	v_add_co_u32 v14, s4, v1, v2
	s_wait_alu 0xf1ff
	v_add_co_ci_u32_e64 v15, null, 0, v10, s4
	v_add_co_u32 v1, s4, s30, v3
	s_wait_alu 0xf1ff
	v_add_co_ci_u32_e64 v2, null, s31, 0, s4
	v_mov_b32_e32 v10, 32
	s_mov_b32 s10, 0
	s_sub_co_i32 s22, 1, s24
	s_branch .LBB81_10
.LBB81_9:                               ;   in Loop: Header=BB81_10 Depth=1
	s_wait_alu 0xfffe
	s_or_b32 exec_lo, exec_lo, s5
	v_add_nc_u32_e32 v18, 4, v18
	v_add_co_u32 v1, s5, v1, 16
	v_add_nc_u32_e32 v12, 32, v12
	v_add_nc_u32_e32 v13, 0x80, v13
	s_delay_alu instid0(VALU_DEP_4) | instskip(SKIP_3) | instid1(SALU_CYCLE_1)
	v_cmp_le_i32_e64 s4, s25, v18
	s_wait_alu 0xf1ff
	v_add_co_ci_u32_e64 v2, null, 0, v2, s5
	s_or_b32 s10, s4, s10
	s_and_not1_b32 exec_lo, exec_lo, s10
	s_cbranch_execz .LBB81_12
.LBB81_10:                              ; =>This Inner Loop Header: Depth=1
	global_load_b32 v19, v[1:2], off
	s_wait_loadcnt_dscnt 0x0
	v_mad_co_i64_i32 v[19:20], null, v19, s19, 0
	s_delay_alu instid0(VALU_DEP_1) | instskip(NEXT) | instid1(VALU_DEP_1)
	v_lshlrev_b64_e32 v[19:20], 1, v[19:20]
	v_add_co_u32 v19, s4, v14, v19
	s_wait_alu 0xf1ff
	s_delay_alu instid0(VALU_DEP_2)
	v_add_co_ci_u32_e64 v20, null, v15, v20, s4
	v_cmp_gt_i32_e64 s4, 32, v16
	s_clause 0x3
	global_load_b32 v21, v[19:20], off
	global_load_b32 v22, v[19:20], off offset:128
	global_load_b32 v23, v[19:20], off offset:256
	;; [unrolled: 1-line block ×3, first 2 shown]
	ds_load_b32 v20, v11
	s_wait_dscnt 0x0
	v_and_b32_e32 v24, 0xffff, v20
	v_lshrrev_b32_e32 v25, 16, v20
	;;#ASMSTART
	v_cvt_f32_f16 v20, v24;
	;;#ASMEND
	s_wait_loadcnt 0x3
	v_and_b32_e32 v26, 0xffff, v21
	v_lshrrev_b32_e32 v27, 16, v21
	;;#ASMSTART
	v_cvt_f32_f16 v21, v25;
	;;#ASMEND
	;;#ASMSTART
	v_cvt_f32_f16 v24, v26;
	;;#ASMEND
	;; [unrolled: 3-line block ×3, first 2 shown]
	ds_load_b32 v26, v11 offset:4
	s_wait_loadcnt 0x2
	v_and_b32_e32 v28, 0xffff, v22
	v_lshrrev_b32_e32 v29, 16, v22
	s_wait_loadcnt 0x1
	v_lshrrev_b32_e32 v32, 16, v23
	s_wait_dscnt 0x0
	v_and_b32_e32 v27, 0xffff, v26
	v_lshrrev_b32_e32 v26, 16, v26
	;;#ASMSTART
	v_cvt_f32_f16 v22, v27;
	;;#ASMEND
	;;#ASMSTART
	v_cvt_f32_f16 v26, v26;
	;;#ASMEND
	;; [unrolled: 3-line block ×4, first 2 shown]
	ds_load_b32 v29, v11 offset:8
	v_mul_f32_e32 v22, v22, v27
	v_dual_mul_f32 v26, v26, v28 :: v_dual_and_b32 v31, 0xffff, v23
	s_wait_alu 0xf1ff
	v_cndmask_b32_e64 v27, v5, v16, s4
	s_wait_loadcnt 0x0
	v_lshrrev_b32_e32 v28, 16, v19
	v_fmac_f32_e32 v22, v20, v24
	v_and_b32_e32 v24, 0xffff, v19
	v_fmac_f32_e32 v26, v21, v25
	v_cmp_gt_i32_e64 s4, 32, v17
	s_wait_dscnt 0x0
	v_and_b32_e32 v30, 0xffff, v29
	v_lshrrev_b32_e32 v29, 16, v29
	;;#ASMSTART
	v_cvt_f32_f16 v23, v30;
	;;#ASMEND
	;;#ASMSTART
	v_cvt_f32_f16 v29, v29;
	;;#ASMEND
	;; [unrolled: 3-line block ×4, first 2 shown]
	ds_load_b32 v32, v11 offset:12
	v_fmac_f32_e32 v22, v23, v30
	s_wait_dscnt 0x0
	v_and_b32_e32 v20, 0xffff, v32
	v_lshrrev_b32_e32 v21, 16, v32
	;;#ASMSTART
	v_cvt_f32_f16 v19, v20;
	;;#ASMEND
	;;#ASMSTART
	v_cvt_f32_f16 v20, v21;
	;;#ASMEND
	;; [unrolled: 3-line block ×3, first 2 shown]
	s_delay_alu instid0(VALU_DEP_1) | instskip(SKIP_4) | instid1(VALU_DEP_2)
	v_dual_fmac_f32 v22, v19, v21 :: v_dual_lshlrev_b32 v19, 2, v27
	v_fmac_f32_e32 v26, v29, v31
	;;#ASMSTART
	v_cvt_f32_f16 v23, v28;
	;;#ASMEND
	s_wait_alu 0xf1ff
	v_cndmask_b32_e64 v21, v5, v17, s4
	v_fmac_f32_e32 v26, v20, v23
	s_delay_alu instid0(VALU_DEP_1)
	v_add_f32_e32 v20, v22, v26
	ds_bpermute_b32 v19, v19, v20
	s_wait_dscnt 0x0
	v_dual_add_f32 v19, v20, v19 :: v_dual_lshlrev_b32 v20, 2, v21
	ds_bpermute_b32 v20, v20, v19
	s_and_saveexec_b32 s5, vcc_lo
	s_cbranch_execz .LBB81_9
; %bb.11:                               ;   in Loop: Header=BB81_10 Depth=1
	s_wait_dscnt 0x0
	v_add_f32_e32 v19, v19, v20
	v_add_nc_u32_e32 v21, s22, v12
	v_cmp_gt_i32_e64 s4, s24, v12
	s_delay_alu instid0(VALU_DEP_2) | instskip(NEXT) | instid1(VALU_DEP_1)
	v_cvt_f32_i32_e32 v21, v21
	v_mul_f32_e32 v21, s6, v21
	s_wait_alu 0xfffe
	s_delay_alu instid0(VALU_DEP_1) | instskip(NEXT) | instid1(VALU_DEP_1)
	v_cndmask_b32_e64 v20, 0, v21, s3
	v_dual_max_num_f32 v21, v9, v9 :: v_dual_fmac_f32 v20, s7, v19
	s_delay_alu instid0(VALU_DEP_1) | instskip(SKIP_2) | instid1(VALU_DEP_2)
	v_max_num_f32_e32 v19, v21, v20
	s_wait_alu 0xf1ff
	v_cndmask_b32_e64 v20, 0, v20, s4
	v_cndmask_b32_e64 v9, v9, v19, s4
	ds_store_b32 v13, v20
	s_branch .LBB81_9
.LBB81_12:
	s_or_b32 exec_lo, exec_lo, s10
.LBB81_13:
	s_delay_alu instid0(SALU_CYCLE_1)
	s_or_b32 exec_lo, exec_lo, s11
	v_xor_b32_e32 v1, 16, v5
	v_xor_b32_e32 v11, 8, v5
	;; [unrolled: 1-line block ×3, first 2 shown]
	s_clause 0x2
	s_load_b128 s[4:7], s[0:1], 0x0
	s_load_b64 s[10:11], s[0:1], 0x10
	s_load_b64 s[22:23], s[0:1], 0x28
	v_cmp_lt_i32_e32 vcc_lo, v1, v10
	v_cndmask_b32_e32 v1, v5, v1, vcc_lo
	v_cmp_lt_i32_e32 vcc_lo, v11, v10
	s_wait_alu 0xfffd
	v_cndmask_b32_e32 v11, v5, v11, vcc_lo
	v_cmp_lt_i32_e32 vcc_lo, v12, v10
	s_wait_alu 0xfffd
	s_delay_alu instid0(VALU_DEP_2) | instskip(NEXT) | instid1(VALU_DEP_1)
	v_dual_cndmask_b32 v12, v5, v12 :: v_dual_lshlrev_b32 v11, 2, v11
	v_lshlrev_b32_e32 v14, 2, v12
	v_lshlrev_b32_e32 v2, 2, v1
	;; [unrolled: 1-line block ×3, first 2 shown]
	ds_bpermute_b32 v1, v2, v9
	v_max_num_f32_e32 v9, v9, v9
	s_wait_dscnt 0x0
	v_max_num_f32_e32 v1, v1, v1
	s_delay_alu instid0(VALU_DEP_1) | instskip(SKIP_3) | instid1(VALU_DEP_1)
	v_max_num_f32_e32 v1, v9, v1
	ds_bpermute_b32 v9, v11, v1
	s_wait_dscnt 0x0
	v_max_num_f32_e32 v9, v9, v9
	v_max_num_f32_e32 v1, v1, v9
	v_and_b32_e32 v9, 31, v0
	ds_bpermute_b32 v13, v14, v1
	v_cmp_eq_u32_e32 vcc_lo, 0, v9
	s_and_saveexec_b32 s0, vcc_lo
	s_cbranch_execz .LBB81_15
; %bb.14:
	s_wait_dscnt 0x0
	v_max_num_f32_e32 v13, v13, v13
	v_max_num_f32_e32 v1, v1, v1
	s_delay_alu instid0(VALU_DEP_1)
	v_max_num_f32_e32 v1, v1, v13
	ds_store_b32 v12, v1 offset:64
.LBB81_15:
	s_or_b32 exec_lo, exec_lo, s0
	v_cmp_gt_u32_e64 s0, 4, v9
	v_mov_b32_e32 v1, 0xff7fffff
	s_wait_dscnt 0x0
	v_lshlrev_b32_e32 v13, 2, v9
	s_wait_loadcnt 0x0
	s_barrier_signal -1
	s_barrier_wait -1
	global_inv scope:SCOPE_SE
	s_and_saveexec_b32 s1, s0
; %bb.16:
	ds_load_b32 v1, v13 offset:64
; %bb.17:
	s_or_b32 exec_lo, exec_lo, s1
	v_xor_b32_e32 v15, 2, v5
	v_xor_b32_e32 v17, 1, v5
	v_lshlrev_b32_e32 v6, 2, v6
	s_delay_alu instid0(VALU_DEP_3) | instskip(NEXT) | instid1(VALU_DEP_1)
	v_cmp_lt_i32_e64 s1, v15, v10
	v_cndmask_b32_e64 v15, v5, v15, s1
	s_delay_alu instid0(VALU_DEP_4) | instskip(NEXT) | instid1(VALU_DEP_2)
	v_cmp_lt_i32_e64 s1, v17, v10
	v_lshlrev_b32_e32 v15, 2, v15
	s_wait_alu 0xf1ff
	s_delay_alu instid0(VALU_DEP_2)
	v_cndmask_b32_e64 v10, v5, v17, s1
	s_sub_co_i32 s1, s25, s8
	s_wait_alu 0xfffe
	s_lshl_b32 s1, s1, 3
	s_wait_dscnt 0x0
	ds_bpermute_b32 v16, v15, v1
	v_dual_max_num_f32 v1, v1, v1 :: v_dual_lshlrev_b32 v10, 2, v10
	s_wait_alu 0xfffe
	s_add_co_i32 s1, s1, s26
	s_wait_alu 0xfffe
	s_min_i32 s1, s1, s24
	s_wait_alu 0xfffe
	s_sub_co_i32 s19, s1, s26
	s_wait_alu 0xfffe
	v_cmp_gt_i32_e64 s1, s19, v0
	s_wait_dscnt 0x0
	v_max_num_f32_e32 v16, v16, v16
	s_delay_alu instid0(VALU_DEP_1) | instskip(SKIP_3) | instid1(VALU_DEP_1)
	v_max_num_f32_e32 v1, v1, v16
	ds_bpermute_b32 v16, v10, v1
	s_wait_dscnt 0x0
	v_max_num_f32_e32 v16, v16, v16
	v_dual_max_num_f32 v1, v1, v16 :: v_dual_mov_b32 v16, 0
	ds_bpermute_b32 v1, v6, v1
	v_lshl_add_u32 v6, v0, 2, 0x60
	s_and_saveexec_b32 s29, s1
	s_cbranch_execz .LBB81_21
; %bb.18:
	v_lshl_add_u32 v17, v0, 2, 0x60
	v_mov_b32_e32 v16, 0
	v_mov_b32_e32 v18, v0
	s_mov_b32 s30, 0
.LBB81_19:                              ; =>This Inner Loop Header: Depth=1
	ds_load_b32 v19, v17
	v_add_nc_u32_e32 v18, 0x80, v18
	s_delay_alu instid0(VALU_DEP_1) | instskip(SKIP_4) | instid1(VALU_DEP_1)
	v_cmp_le_i32_e64 s3, s19, v18
	s_wait_alu 0xfffe
	s_or_b32 s30, s3, s30
	s_wait_dscnt 0x0
	v_sub_f32_e32 v19, v19, v1
	v_mul_f32_e32 v19, 0x3fb8aa3b, v19
	s_delay_alu instid0(VALU_DEP_1)
	v_exp_f32_e32 v19, v19
	ds_store_b32 v17, v19
	v_dual_add_f32 v16, v16, v19 :: v_dual_add_nc_u32 v17, 0x200, v17
	s_wait_alu 0xfffe
	s_and_not1_b32 exec_lo, exec_lo, s30
	s_cbranch_execnz .LBB81_19
; %bb.20:
	s_or_b32 exec_lo, exec_lo, s30
.LBB81_21:
	s_delay_alu instid0(SALU_CYCLE_1)
	s_or_b32 exec_lo, exec_lo, s29
	ds_bpermute_b32 v2, v2, v16
	s_wait_dscnt 0x0
	v_add_f32_e32 v2, v16, v2
	ds_bpermute_b32 v11, v11, v2
	s_wait_dscnt 0x0
	v_add_f32_e32 v2, v2, v11
	;; [unrolled: 3-line block ×5, first 2 shown]
	s_and_saveexec_b32 s3, vcc_lo
; %bb.22:
	ds_store_b32 v12, v2 offset:80
; %bb.23:
	s_wait_alu 0xfffe
	s_or_b32 exec_lo, exec_lo, s3
	s_wait_loadcnt_dscnt 0x0
	s_barrier_signal -1
	s_barrier_wait -1
	global_inv scope:SCOPE_SE
	s_and_saveexec_b32 s3, s0
; %bb.24:
	ds_load_b32 v2, v13 offset:80
; %bb.25:
	s_wait_alu 0xfffe
	s_or_b32 exec_lo, exec_lo, s3
	s_wait_dscnt 0x0
	ds_bpermute_b32 v11, v15, v2
	v_lshlrev_b32_e32 v5, 2, v5
	s_wait_dscnt 0x0
	s_delay_alu instid0(VALU_DEP_1)
	v_dual_add_f32 v2, v2, v11 :: v_dual_and_b32 v5, 0xffffff80, v5
	ds_bpermute_b32 v10, v10, v2
	s_wait_dscnt 0x0
	v_add_f32_e32 v2, v2, v10
	ds_bpermute_b32 v2, v5, v2
	s_and_saveexec_b32 s0, s1
	s_cbranch_execz .LBB81_28
; %bb.26:
	s_wait_dscnt 0x0
	v_add_f32_e32 v5, 0x358637bd, v2
	s_mov_b32 s1, 0
	s_delay_alu instid0(VALU_DEP_1) | instskip(SKIP_1) | instid1(VALU_DEP_2)
	v_div_scale_f32 v10, null, v5, v5, 1.0
	v_div_scale_f32 v13, vcc_lo, 1.0, v5, 1.0
	v_rcp_f32_e32 v11, v10
	s_delay_alu instid0(TRANS32_DEP_1) | instskip(NEXT) | instid1(VALU_DEP_1)
	v_fma_f32 v12, -v10, v11, 1.0
	v_fmac_f32_e32 v11, v12, v11
	s_delay_alu instid0(VALU_DEP_1) | instskip(NEXT) | instid1(VALU_DEP_1)
	v_mul_f32_e32 v12, v13, v11
	v_fma_f32 v14, -v10, v12, v13
	s_delay_alu instid0(VALU_DEP_1) | instskip(NEXT) | instid1(VALU_DEP_1)
	v_fmac_f32_e32 v12, v14, v11
	v_fma_f32 v10, -v10, v12, v13
	s_wait_alu 0xfffd
	s_delay_alu instid0(VALU_DEP_1) | instskip(NEXT) | instid1(VALU_DEP_1)
	v_div_fmas_f32 v10, v10, v11, v12
	v_div_fixup_f32 v5, v10, v5, 1.0
	v_mov_b32_e32 v10, v0
.LBB81_27:                              ; =>This Inner Loop Header: Depth=1
	ds_load_b32 v11, v6
	s_wait_dscnt 0x0
	v_dual_mul_f32 v11, v5, v11 :: v_dual_add_nc_u32 v10, 0x80, v10
	s_delay_alu instid0(VALU_DEP_1)
	v_cmp_le_i32_e32 vcc_lo, s19, v10
	ds_store_b32 v6, v11
	v_add_nc_u32_e32 v6, 0x200, v6
	s_wait_alu 0xfffe
	s_or_b32 s1, vcc_lo, s1
	s_wait_alu 0xfffe
	s_and_not1_b32 exec_lo, exec_lo, s1
	s_cbranch_execnz .LBB81_27
.LBB81_28:
	s_wait_alu 0xfffe
	s_or_b32 exec_lo, exec_lo, s0
	s_wait_kmcnt 0x0
	s_mul_i32 s0, s13, s20
	s_wait_loadcnt_dscnt 0x0
	s_wait_alu 0xfffe
	s_mul_i32 s20, s0, s21
	s_mov_b32 s0, exec_lo
	s_barrier_signal -1
	s_barrier_wait -1
	global_inv scope:SCOPE_SE
	v_cmpx_eq_u32_e32 0, v0
	s_cbranch_execz .LBB81_30
; %bb.29:
	s_ashr_i32 s21, s20, 31
	s_wait_alu 0xfffe
	s_mul_i32 s30, s13, ttmp9
	s_lshl_b32 s1, s27, 2
	s_lshl_b64 s[34:35], s[20:21], 2
	s_wait_alu 0xfffe
	s_ashr_i32 s31, s30, 31
	v_mov_b32_e32 v5, s1
	s_add_nc_u64 s[6:7], s[6:7], s[34:35]
	s_wait_alu 0xfffe
	s_lshl_b64 s[30:31], s[30:31], 2
	s_add_nc_u64 s[4:5], s[4:5], s[34:35]
	s_wait_alu 0xfffe
	s_add_nc_u64 s[6:7], s[6:7], s[30:31]
	s_add_nc_u64 s[4:5], s[4:5], s[30:31]
	s_clause 0x1
	global_store_b32 v5, v1, s[6:7]
	global_store_b32 v5, v2, s[4:5]
.LBB81_30:
	s_wait_alu 0xfffe
	s_or_b32 exec_lo, exec_lo, s0
	v_mov_b32_e32 v10, 0
	s_and_saveexec_b32 s1, s2
	s_cbranch_execz .LBB81_36
; %bb.31:
	s_ashr_i32 s19, s18, 31
	v_dual_mov_b32 v10, 0 :: v_dual_lshlrev_b32 v1, 4, v9
	s_wait_alu 0xfffe
	s_lshl_b64 s[2:3], s[18:19], 1
	v_add3_u32 v13, s26, v4, 7
	s_wait_alu 0xfffe
	s_add_nc_u64 s[2:3], s[22:23], s[2:3]
	v_lshl_add_u32 v14, v7, 5, 0x60
	s_wait_alu 0xfffe
	v_add_co_u32 v11, s0, s2, v1
	s_wait_alu 0xf1ff
	v_add_co_ci_u32_e64 v12, null, s3, 0, s0
	s_lshl_b64 s[2:3], s[14:15], 2
	s_add_co_i32 s28, s28, -1
	s_wait_alu 0xfffe
	s_add_nc_u64 s[2:3], s[16:17], s[2:3]
	s_wait_alu 0xfffe
	v_add_co_u32 v5, s0, s2, v3
	s_wait_alu 0xf1ff
	v_add_co_ci_u32_e64 v6, null, s3, 0, s0
	s_mov_b32 s2, s9
	s_mov_b32 s3, 0
	s_branch .LBB81_33
.LBB81_32:                              ;   in Loop: Header=BB81_33 Depth=1
	s_or_b32 exec_lo, exec_lo, s0
	v_and_b32_e32 v20, 0xffff, v20
	v_and_b32_e32 v21, 0xffff, v21
	v_lshlrev_b32_e32 v25, 16, v25
	v_and_b32_e32 v22, 0xffff, v22
	v_and_b32_e32 v19, 0xffff, v19
	v_lshl_or_b32 v17, v17, 16, v20
	v_lshl_or_b32 v18, v18, 16, v21
	v_lshlrev_b32_e32 v20, 16, v24
	v_lshlrev_b32_e32 v21, 16, v23
	v_and_or_b32 v1, 0xffff, v1, v25
	;;#ASMSTART
	v_pk_mul_f16 v1, v17, v1;

	;;#ASMEND
	v_lshl_or_b32 v16, v16, 16, v22
	v_and_or_b32 v2, 0xffff, v2, v20
	v_and_or_b32 v3, 0xffff, v3, v21
	v_lshl_or_b32 v15, v15, 16, v19
	;;#ASMSTART
	v_pk_mul_f16 v2, v18, v2;

	;;#ASMEND
	;;#ASMSTART
	v_pk_mul_f16 v3, v16, v3;

	;;#ASMEND
	;; [unrolled: 4-line block ×3, first 2 shown]
	;;#ASMSTART
	v_pk_add_f16 v1, v1, v2;

	;;#ASMEND
	;;#ASMSTART
	v_pk_add_f16 v1, v1, v3;

	;;#ASMEND
	;; [unrolled: 4-line block ×3, first 2 shown]
	v_add_nc_u32_e32 v8, 4, v8
	v_and_b32_e32 v2, 0xffff, v1
	v_lshrrev_b32_e32 v3, 16, v1
	;;#ASMSTART
	v_cvt_f32_f16 v1, v2;
	;;#ASMEND
	;;#ASMSTART
	v_cvt_f32_f16 v2, v3;
	;;#ASMEND
	s_delay_alu instid0(VALU_DEP_2) | instskip(SKIP_3) | instid1(VALU_DEP_4)
	v_add_f32_e32 v1, v1, v2
	v_cmp_le_i32_e32 vcc_lo, s25, v8
	v_add_co_u32 v5, s0, v5, 16
	v_add_nc_u32_e32 v13, 32, v13
	v_add_f32_e32 v10, v10, v1
	v_add_nc_u32_e32 v14, 0x80, v14
	s_wait_alu 0xf1ff
	v_add_co_ci_u32_e64 v6, null, 0, v6, s0
	s_or_b32 s3, vcc_lo, s3
	s_wait_alu 0xfffe
	s_and_not1_b32 exec_lo, exec_lo, s3
	s_cbranch_execz .LBB81_35
.LBB81_33:                              ; =>This Inner Loop Header: Depth=1
	global_load_b32 v15, v[5:6], off
	ds_load_2addr_b64 v[1:4], v14 offset1:1
	ds_load_2addr_b64 v[22:25], v14 offset0:2 offset1:3
	s_mov_b32 s0, exec_lo
	s_wait_dscnt 0x1
	;;#ASMSTART
	v_cvt_f16_f32 v20, v1;

	;;#ASMEND
	;;#ASMSTART
	v_cvt_f16_f32 v17, v2;

	;;#ASMEND
	;; [unrolled: 4-line block ×4, first 2 shown]
	s_wait_dscnt 0x0
	;;#ASMSTART
	v_cvt_f16_f32 v22, v22;

	;;#ASMEND
	s_wait_loadcnt 0x0
	s_wait_alu 0xfffe
	v_mad_co_i64_i32 v[15:16], null, v15, s2, 0
	s_delay_alu instid0(VALU_DEP_1) | instskip(NEXT) | instid1(VALU_DEP_1)
	v_lshlrev_b64_e32 v[15:16], 1, v[15:16]
	v_add_co_u32 v1, vcc_lo, v11, v15
	s_wait_alu 0xfffd
	s_delay_alu instid0(VALU_DEP_2)
	v_add_co_ci_u32_e64 v2, null, v12, v16, vcc_lo
	;;#ASMSTART
	v_cvt_f16_f32 v16, v23;

	;;#ASMEND
	;;#ASMSTART
	v_cvt_f16_f32 v19, v24;

	;;#ASMEND
	;;#ASMSTART
	v_cvt_f16_f32 v15, v25;

	;;#ASMEND
	global_load_b128 v[1:4], v[1:2], off
	s_wait_loadcnt 0x0
	v_lshrrev_b32_e32 v25, 16, v1
	v_lshrrev_b32_e32 v24, 16, v2
	;; [unrolled: 1-line block ×3, first 2 shown]
	v_cmpx_eq_u32_e64 s28, v8
	s_cbranch_execz .LBB81_32
; %bb.34:                               ;   in Loop: Header=BB81_33 Depth=1
	v_add_nc_u32_e32 v26, -7, v13
	v_add_nc_u32_e32 v27, -6, v13
	;; [unrolled: 1-line block ×4, first 2 shown]
	s_delay_alu instid0(VALU_DEP_4)
	v_cmp_gt_i32_e32 vcc_lo, s24, v26
	v_add_nc_u32_e32 v26, -1, v13
	s_wait_alu 0xfffd
	v_cndmask_b32_e32 v1, 0, v1, vcc_lo
	v_cmp_gt_i32_e32 vcc_lo, s24, v27
	v_and_b32_e32 v27, 0xffff, v4
	s_wait_alu 0xfffd
	v_dual_cndmask_b32 v25, 0, v25 :: v_dual_and_b32 v4, 0xffff0000, v4
	v_cmp_gt_i32_e32 vcc_lo, s24, v28
	v_add_nc_u32_e32 v28, -3, v13
	s_wait_alu 0xfffd
	v_cndmask_b32_e32 v2, 0, v2, vcc_lo
	v_cmp_gt_i32_e32 vcc_lo, s24, v29
	s_wait_alu 0xfffd
	v_cndmask_b32_e32 v24, 0, v24, vcc_lo
	v_cmp_gt_i32_e32 vcc_lo, s24, v26
	;; [unrolled: 3-line block ×3, first 2 shown]
	s_wait_alu 0xfffd
	v_dual_cndmask_b32 v4, 0, v4 :: v_dual_add_nc_u32 v29, -2, v13
	v_cmp_gt_i32_e32 vcc_lo, s24, v28
	s_delay_alu instid0(VALU_DEP_2)
	v_or_b32_e32 v4, v26, v4
	s_wait_alu 0xfffd
	v_cndmask_b32_e32 v3, 0, v3, vcc_lo
	v_cmp_gt_i32_e32 vcc_lo, s24, v29
	s_wait_alu 0xfffd
	v_cndmask_b32_e32 v23, 0, v23, vcc_lo
	s_branch .LBB81_32
.LBB81_35:
	s_or_b32 exec_lo, exec_lo, s3
.LBB81_36:
	s_wait_alu 0xfffe
	s_or_b32 exec_lo, exec_lo, s1
	v_and_b32_e32 v1, 0x3c0, v0
	v_lshl_add_u32 v2, v9, 2, 0x60
	s_mov_b32 s0, exec_lo
	s_wait_loadcnt 0x0
	s_wait_storecnt 0x0
	s_barrier_signal -1
	s_barrier_wait -1
	global_inv scope:SCOPE_SE
	v_cmpx_eq_u32_e32 64, v1
; %bb.37:
	v_lshlrev_b32_e32 v1, 7, v7
	s_delay_alu instid0(VALU_DEP_1)
	v_add3_u32 v1, v2, v1, 0xffffff00
	ds_store_b32 v1, v10
; %bb.38:
	s_wait_alu 0xfffe
	s_or_b32 exec_lo, exec_lo, s0
	v_and_b32_e32 v3, 0x3e0, v0
	s_mov_b32 s0, exec_lo
	s_wait_loadcnt_dscnt 0x0
	s_barrier_signal -1
	s_barrier_wait -1
	v_lshl_add_u32 v1, v3, 2, v2
	global_inv scope:SCOPE_SE
	v_cmpx_gt_u32_e32 64, v0
	s_cbranch_execz .LBB81_40
; %bb.39:
	ds_load_b32 v4, v1
	s_wait_dscnt 0x0
	v_add_f32_e32 v10, v10, v4
.LBB81_40:
	s_wait_alu 0xfffe
	s_or_b32 exec_lo, exec_lo, s0
	s_delay_alu instid0(SALU_CYCLE_1)
	s_mov_b32 s0, exec_lo
	s_wait_loadcnt 0x0
	s_barrier_signal -1
	s_barrier_wait -1
	global_inv scope:SCOPE_SE
	v_cmpx_eq_u32_e32 32, v3
; %bb.41:
	ds_store_b32 v2, v10
; %bb.42:
	s_wait_alu 0xfffe
	s_or_b32 exec_lo, exec_lo, s0
	v_cmp_gt_u32_e32 vcc_lo, 32, v0
	s_wait_loadcnt_dscnt 0x0
	s_barrier_signal -1
	s_barrier_wait -1
	global_inv scope:SCOPE_SE
	s_and_saveexec_b32 s0, vcc_lo
	s_cbranch_execz .LBB81_44
; %bb.43:
	ds_load_b32 v0, v1
	s_wait_dscnt 0x0
	v_add_f32_e32 v10, v10, v0
.LBB81_44:
	s_wait_alu 0xfffe
	s_or_b32 exec_lo, exec_lo, s0
	s_wait_loadcnt 0x0
	s_barrier_signal -1
	s_barrier_wait -1
	global_inv scope:SCOPE_SE
	s_and_saveexec_b32 s0, vcc_lo
	s_cbranch_execz .LBB81_46
; %bb.45:
	s_lshl_b32 s0, s20, 5
	s_mul_i32 s2, s13, s12
	s_wait_alu 0xfffe
	s_ashr_i32 s1, s0, 31
	s_ashr_i32 s3, s2, 31
	s_wait_alu 0xfffe
	s_lshl_b64 s[0:1], s[0:1], 1
	s_lshl_b64 s[2:3], s[2:3], 1
	s_wait_alu 0xfffe
	s_add_nc_u64 s[0:1], s[10:11], s[0:1]
	v_lshlrev_b32_e32 v0, 1, v9
	s_wait_alu 0xfffe
	s_add_nc_u64 s[0:1], s[0:1], s[2:3]
	s_mov_b32 s9, 0
	;;#ASMSTART
	v_cvt_f16_f32 v1, v10;

	;;#ASMEND
	s_wait_alu 0xfffe
	s_add_nc_u64 s[0:1], s[0:1], s[8:9]
	global_store_b16 v0, v1, s[0:1]
.LBB81_46:
	s_endpgm
	.section	.rodata,"a",@progbits
	.p2align	6, 0x0
	.amdhsa_kernel _ZN4vllm25paged_attention_v2_kernelIttLi32ELi8ELi128ELNS_18Fp8KVCacheDataTypeE0ELb0ELi512EEEvPfS2_PT_PKS3_PKT0_S9_ifPKiSB_iPKfiiiSD_SD_iiiii
		.amdhsa_group_segment_fixed_size 96
		.amdhsa_private_segment_fixed_size 0
		.amdhsa_kernarg_size 400
		.amdhsa_user_sgpr_count 2
		.amdhsa_user_sgpr_dispatch_ptr 0
		.amdhsa_user_sgpr_queue_ptr 0
		.amdhsa_user_sgpr_kernarg_segment_ptr 1
		.amdhsa_user_sgpr_dispatch_id 0
		.amdhsa_user_sgpr_private_segment_size 0
		.amdhsa_wavefront_size32 1
		.amdhsa_uses_dynamic_stack 0
		.amdhsa_enable_private_segment 0
		.amdhsa_system_sgpr_workgroup_id_x 1
		.amdhsa_system_sgpr_workgroup_id_y 1
		.amdhsa_system_sgpr_workgroup_id_z 1
		.amdhsa_system_sgpr_workgroup_info 0
		.amdhsa_system_vgpr_workitem_id 0
		.amdhsa_next_free_vgpr 33
		.amdhsa_next_free_sgpr 36
		.amdhsa_reserve_vcc 1
		.amdhsa_float_round_mode_32 0
		.amdhsa_float_round_mode_16_64 0
		.amdhsa_float_denorm_mode_32 3
		.amdhsa_float_denorm_mode_16_64 3
		.amdhsa_fp16_overflow 0
		.amdhsa_workgroup_processor_mode 1
		.amdhsa_memory_ordered 1
		.amdhsa_forward_progress 1
		.amdhsa_inst_pref_size 29
		.amdhsa_round_robin_scheduling 0
		.amdhsa_exception_fp_ieee_invalid_op 0
		.amdhsa_exception_fp_denorm_src 0
		.amdhsa_exception_fp_ieee_div_zero 0
		.amdhsa_exception_fp_ieee_overflow 0
		.amdhsa_exception_fp_ieee_underflow 0
		.amdhsa_exception_fp_ieee_inexact 0
		.amdhsa_exception_int_div_zero 0
	.end_amdhsa_kernel
	.section	.text._ZN4vllm25paged_attention_v2_kernelIttLi32ELi8ELi128ELNS_18Fp8KVCacheDataTypeE0ELb0ELi512EEEvPfS2_PT_PKS3_PKT0_S9_ifPKiSB_iPKfiiiSD_SD_iiiii,"axG",@progbits,_ZN4vllm25paged_attention_v2_kernelIttLi32ELi8ELi128ELNS_18Fp8KVCacheDataTypeE0ELb0ELi512EEEvPfS2_PT_PKS3_PKT0_S9_ifPKiSB_iPKfiiiSD_SD_iiiii,comdat
.Lfunc_end81:
	.size	_ZN4vllm25paged_attention_v2_kernelIttLi32ELi8ELi128ELNS_18Fp8KVCacheDataTypeE0ELb0ELi512EEEvPfS2_PT_PKS3_PKT0_S9_ifPKiSB_iPKfiiiSD_SD_iiiii, .Lfunc_end81-_ZN4vllm25paged_attention_v2_kernelIttLi32ELi8ELi128ELNS_18Fp8KVCacheDataTypeE0ELb0ELi512EEEvPfS2_PT_PKS3_PKT0_S9_ifPKiSB_iPKfiiiSD_SD_iiiii
                                        ; -- End function
	.set _ZN4vllm25paged_attention_v2_kernelIttLi32ELi8ELi128ELNS_18Fp8KVCacheDataTypeE0ELb0ELi512EEEvPfS2_PT_PKS3_PKT0_S9_ifPKiSB_iPKfiiiSD_SD_iiiii.num_vgpr, 33
	.set _ZN4vllm25paged_attention_v2_kernelIttLi32ELi8ELi128ELNS_18Fp8KVCacheDataTypeE0ELb0ELi512EEEvPfS2_PT_PKS3_PKT0_S9_ifPKiSB_iPKfiiiSD_SD_iiiii.num_agpr, 0
	.set _ZN4vllm25paged_attention_v2_kernelIttLi32ELi8ELi128ELNS_18Fp8KVCacheDataTypeE0ELb0ELi512EEEvPfS2_PT_PKS3_PKT0_S9_ifPKiSB_iPKfiiiSD_SD_iiiii.numbered_sgpr, 36
	.set _ZN4vllm25paged_attention_v2_kernelIttLi32ELi8ELi128ELNS_18Fp8KVCacheDataTypeE0ELb0ELi512EEEvPfS2_PT_PKS3_PKT0_S9_ifPKiSB_iPKfiiiSD_SD_iiiii.num_named_barrier, 0
	.set _ZN4vllm25paged_attention_v2_kernelIttLi32ELi8ELi128ELNS_18Fp8KVCacheDataTypeE0ELb0ELi512EEEvPfS2_PT_PKS3_PKT0_S9_ifPKiSB_iPKfiiiSD_SD_iiiii.private_seg_size, 0
	.set _ZN4vllm25paged_attention_v2_kernelIttLi32ELi8ELi128ELNS_18Fp8KVCacheDataTypeE0ELb0ELi512EEEvPfS2_PT_PKS3_PKT0_S9_ifPKiSB_iPKfiiiSD_SD_iiiii.uses_vcc, 1
	.set _ZN4vllm25paged_attention_v2_kernelIttLi32ELi8ELi128ELNS_18Fp8KVCacheDataTypeE0ELb0ELi512EEEvPfS2_PT_PKS3_PKT0_S9_ifPKiSB_iPKfiiiSD_SD_iiiii.uses_flat_scratch, 0
	.set _ZN4vllm25paged_attention_v2_kernelIttLi32ELi8ELi128ELNS_18Fp8KVCacheDataTypeE0ELb0ELi512EEEvPfS2_PT_PKS3_PKT0_S9_ifPKiSB_iPKfiiiSD_SD_iiiii.has_dyn_sized_stack, 0
	.set _ZN4vllm25paged_attention_v2_kernelIttLi32ELi8ELi128ELNS_18Fp8KVCacheDataTypeE0ELb0ELi512EEEvPfS2_PT_PKS3_PKT0_S9_ifPKiSB_iPKfiiiSD_SD_iiiii.has_recursion, 0
	.set _ZN4vllm25paged_attention_v2_kernelIttLi32ELi8ELi128ELNS_18Fp8KVCacheDataTypeE0ELb0ELi512EEEvPfS2_PT_PKS3_PKT0_S9_ifPKiSB_iPKfiiiSD_SD_iiiii.has_indirect_call, 0
	.section	.AMDGPU.csdata,"",@progbits
; Kernel info:
; codeLenInByte = 3688
; TotalNumSgprs: 38
; NumVgprs: 33
; ScratchSize: 0
; MemoryBound: 0
; FloatMode: 240
; IeeeMode: 1
; LDSByteSize: 96 bytes/workgroup (compile time only)
; SGPRBlocks: 0
; VGPRBlocks: 4
; NumSGPRsForWavesPerEU: 38
; NumVGPRsForWavesPerEU: 33
; Occupancy: 16
; WaveLimiterHint : 1
; COMPUTE_PGM_RSRC2:SCRATCH_EN: 0
; COMPUTE_PGM_RSRC2:USER_SGPR: 2
; COMPUTE_PGM_RSRC2:TRAP_HANDLER: 0
; COMPUTE_PGM_RSRC2:TGID_X_EN: 1
; COMPUTE_PGM_RSRC2:TGID_Y_EN: 1
; COMPUTE_PGM_RSRC2:TGID_Z_EN: 1
; COMPUTE_PGM_RSRC2:TIDIG_COMP_CNT: 0
	.section	.text._ZN4vllm25paged_attention_v2_kernelIttLi64ELi8ELi128ELNS_18Fp8KVCacheDataTypeE0ELb0ELi512EEEvPfS2_PT_PKS3_PKT0_S9_ifPKiSB_iPKfiiiSD_SD_iiiii,"axG",@progbits,_ZN4vllm25paged_attention_v2_kernelIttLi64ELi8ELi128ELNS_18Fp8KVCacheDataTypeE0ELb0ELi512EEEvPfS2_PT_PKS3_PKT0_S9_ifPKiSB_iPKfiiiSD_SD_iiiii,comdat
	.protected	_ZN4vllm25paged_attention_v2_kernelIttLi64ELi8ELi128ELNS_18Fp8KVCacheDataTypeE0ELb0ELi512EEEvPfS2_PT_PKS3_PKT0_S9_ifPKiSB_iPKfiiiSD_SD_iiiii ; -- Begin function _ZN4vllm25paged_attention_v2_kernelIttLi64ELi8ELi128ELNS_18Fp8KVCacheDataTypeE0ELb0ELi512EEEvPfS2_PT_PKS3_PKT0_S9_ifPKiSB_iPKfiiiSD_SD_iiiii
	.globl	_ZN4vllm25paged_attention_v2_kernelIttLi64ELi8ELi128ELNS_18Fp8KVCacheDataTypeE0ELb0ELi512EEEvPfS2_PT_PKS3_PKT0_S9_ifPKiSB_iPKfiiiSD_SD_iiiii
	.p2align	8
	.type	_ZN4vllm25paged_attention_v2_kernelIttLi64ELi8ELi128ELNS_18Fp8KVCacheDataTypeE0ELb0ELi512EEEvPfS2_PT_PKS3_PKT0_S9_ifPKiSB_iPKfiiiSD_SD_iiiii,@function
_ZN4vllm25paged_attention_v2_kernelIttLi64ELi8ELi128ELNS_18Fp8KVCacheDataTypeE0ELb0ELi512EEEvPfS2_PT_PKS3_PKT0_S9_ifPKiSB_iPKfiiiSD_SD_iiiii: ; @_ZN4vllm25paged_attention_v2_kernelIttLi64ELi8ELi128ELNS_18Fp8KVCacheDataTypeE0ELb0ELi512EEEvPfS2_PT_PKS3_PKT0_S9_ifPKiSB_iPKfiiiSD_SD_iiiii
; %bb.0:
	s_load_b64 s[2:3], s[0:1], 0x40
	s_and_b32 s28, ttmp7, 0xffff
	s_lshr_b32 s27, ttmp7, 16
	s_lshl_b32 s4, s28, 2
	s_lshl_b32 s26, s27, 9
	s_wait_kmcnt 0x0
	s_load_b32 s24, s[2:3], s4 offset:0x0
	s_wait_kmcnt 0x0
	s_cmp_ge_i32 s26, s24
	s_cbranch_scc1 .LBB82_48
; %bb.1:
	s_clause 0x1
	s_load_b32 s29, s[0:1], 0x90
	s_load_b64 s[6:7], s[0:1], 0x30
	s_wait_kmcnt 0x0
	s_abs_i32 s5, s29
	s_abs_i32 s2, s6
	s_delay_alu instid0(SALU_CYCLE_1) | instskip(SKIP_1) | instid1(SALU_CYCLE_2)
	s_cvt_f32_u32 s3, s2
	s_sub_co_i32 s4, 0, s2
	v_rcp_iflag_f32_e32 v1, s3
	s_delay_alu instid0(TRANS32_DEP_1) | instskip(SKIP_2) | instid1(SALU_CYCLE_2)
	v_readfirstlane_b32 s3, v1
	s_mul_f32 s3, s3, 0x4f7ffffe
	s_wait_alu 0xfffe
	s_cvt_u32_f32 s3, s3
	s_wait_alu 0xfffe
	s_delay_alu instid0(SALU_CYCLE_2) | instskip(NEXT) | instid1(SALU_CYCLE_1)
	s_mul_i32 s4, s4, s3
	s_mul_hi_u32 s4, s3, s4
	s_delay_alu instid0(SALU_CYCLE_1)
	s_add_co_i32 s3, s3, s4
	s_xor_b32 s4, s29, s6
	s_wait_alu 0xfffe
	s_mul_hi_u32 s3, s5, s3
	s_ashr_i32 s4, s4, 31
	s_wait_alu 0xfffe
	s_mul_i32 s6, s3, s2
	s_delay_alu instid0(SALU_CYCLE_1)
	s_sub_co_i32 s5, s5, s6
	s_add_co_i32 s6, s3, 1
	s_sub_co_i32 s8, s5, s2
	s_cmp_ge_u32 s5, s2
	s_cselect_b32 s3, s6, s3
	s_cselect_b32 s5, s8, s5
	s_wait_alu 0xfffe
	s_add_co_i32 s6, s3, 1
	s_cmp_ge_u32 s5, s2
	s_load_b64 s[8:9], s[0:1], 0x50
	s_cselect_b32 s2, s6, s3
	s_mov_b32 s5, 0
	s_wait_alu 0xfffe
	s_xor_b32 s2, s2, s4
	s_mov_b32 s10, s5
	s_wait_alu 0xfffe
	s_sub_co_i32 s11, s2, s4
	s_abs_i32 s4, ttmp9
	s_abs_i32 s6, s11
	s_delay_alu instid0(SALU_CYCLE_1) | instskip(SKIP_2) | instid1(SALU_CYCLE_1)
	s_cvt_f32_u32 s2, s6
	s_sub_co_i32 s3, 0, s6
	s_wait_alu 0xfffe
	v_rcp_iflag_f32_e32 v1, s2
	s_delay_alu instid0(TRANS32_DEP_1) | instskip(SKIP_2) | instid1(SALU_CYCLE_2)
	v_readfirstlane_b32 s2, v1
	s_mul_f32 s2, s2, 0x4f7ffffe
	s_wait_alu 0xfffe
	s_cvt_u32_f32 s2, s2
	s_wait_alu 0xfffe
	s_delay_alu instid0(SALU_CYCLE_2)
	s_mul_i32 s3, s3, s2
	s_wait_alu 0xfffe
	s_mul_hi_u32 s3, s2, s3
	s_wait_alu 0xfffe
	s_add_co_i32 s2, s2, s3
	s_mov_b32 s3, s5
	s_wait_kmcnt 0x0
	s_cmp_eq_u64 s[8:9], 0
	s_cbranch_scc1 .LBB82_3
; %bb.2:
	s_mov_b32 s12, ttmp9
	s_ashr_i32 s13, ttmp9, 31
	s_delay_alu instid0(SALU_CYCLE_1) | instskip(NEXT) | instid1(SALU_CYCLE_1)
	s_lshl_b64 s[12:13], s[12:13], 2
	s_add_nc_u64 s[8:9], s[8:9], s[12:13]
	s_load_b32 s10, s[8:9], 0x0
.LBB82_3:
	s_load_b96 s[12:14], s[0:1], 0x58
	s_mul_u64 s[2:3], s[4:5], s[2:3]
	v_and_b32_e32 v1, 3, v0
	v_cmp_gt_u32_e64 s2, 32, v0
	v_lshlrev_b32_e32 v2, 2, v0
	s_ashr_i32 s5, ttmp9, 31
	s_ashr_i32 s8, s11, 31
	s_lshl_b32 s16, ttmp9, 6
	s_wait_alu 0xfffe
	s_and_saveexec_b32 s9, s2
	s_cbranch_execz .LBB82_5
; %bb.4:
	s_load_b64 s[18:19], s[0:1], 0x18
	s_wait_kmcnt 0x0
	s_mul_i32 s20, s12, s28
	s_ashr_i32 s17, s16, 31
	s_ashr_i32 s21, s20, 31
	v_and_b32_e32 v4, 0x3fc, v0
	s_lshl_b64 s[20:21], s[20:21], 1
	s_delay_alu instid0(VALU_DEP_1) | instskip(SKIP_2) | instid1(SALU_CYCLE_1)
	v_lshl_add_u32 v4, v1, 5, v4
	s_add_nc_u64 s[18:19], s[18:19], s[20:21]
	s_lshl_b64 s[20:21], s[16:17], 1
	s_add_nc_u64 s[18:19], s[18:19], s[20:21]
	global_load_b32 v3, v2, s[18:19]
	s_wait_loadcnt 0x0
	ds_store_b32 v4, v3
.LBB82_5:
	s_or_b32 exec_lo, exec_lo, s9
	s_add_co_i32 s9, s24, 7
	s_xor_b32 s5, s5, s8
	s_ashr_i32 s11, s9, 31
	s_wait_kmcnt 0x0
	s_lshl_b32 s12, s27, 6
	s_lshr_b32 s8, s11, 29
	s_mul_i32 s11, s3, s6
	s_add_co_i32 s9, s9, s8
	s_add_co_i32 s8, s12, 64
	s_ashr_i32 s30, s9, 3
	s_load_b32 s9, s[0:1], 0x48
	s_sub_co_i32 s4, s4, s11
	s_min_i32 s25, s8, s30
	s_add_co_i32 s8, s3, 1
	s_sub_co_i32 s11, s4, s6
	s_cmp_ge_u32 s4, s6
	v_lshrrev_b32_e32 v9, 5, v0
	s_cselect_b32 s3, s8, s3
	s_cselect_b32 s4, s11, s4
	s_wait_alu 0xfffe
	s_add_co_i32 s8, s3, 1
	s_cmp_ge_u32 s4, s6
	v_or_b32_e32 v10, s12, v9
	s_cselect_b32 s3, s8, s3
	v_mbcnt_lo_u32_b32 v5, -1, 0
	s_wait_alu 0xfffe
	s_xor_b32 s3, s3, s5
	s_wait_dscnt 0x0
	s_wait_alu 0xfffe
	s_sub_co_i32 s4, s3, s5
	v_cmp_gt_i32_e64 s3, s25, v10
	s_mov_b32 s5, exec_lo
	s_barrier_signal -1
	s_wait_kmcnt 0x0
	s_mul_i32 s18, s9, s28
	s_barrier_wait -1
	s_ashr_i32 s19, s18, 31
	global_inv scope:SCOPE_SE
                                        ; implicit-def: $vgpr6
                                        ; implicit-def: $vgpr7
	v_cmpx_le_i32_e64 s25, v10
	s_xor_b32 s5, exec_lo, s5
; %bb.6:
	v_dual_mov_b32 v6, 0 :: v_dual_mov_b32 v7, 32
	v_mbcnt_lo_u32_b32 v5, -1, 0
                                        ; implicit-def: $vgpr2
                                        ; implicit-def: $vgpr1
; %bb.7:
	s_or_saveexec_b32 s8, s5
	s_clause 0x1
	s_load_b64 s[20:21], s[0:1], 0x38
	s_load_b32 s17, s[0:1], 0x98
	v_dual_mov_b32 v8, 0xff7fffff :: v_dual_lshlrev_b32 v3, 2, v10
	v_lshlrev_b32_e32 v4, 3, v9
	s_mul_i32 s14, s4, s14
	s_xor_b32 exec_lo, exec_lo, s8
	s_cbranch_execz .LBB82_13
; %bb.8:
	s_load_b64 s[22:23], s[0:1], 0x20
	v_bfe_u32 v7, v0, 2, 3
	s_ashr_i32 s15, s14, 31
	v_dual_mov_b32 v6, 0 :: v_dual_lshlrev_b32 v11, 5, v1
	v_cmp_eq_u32_e32 vcc_lo, 0, v1
	s_delay_alu instid0(VALU_DEP_3)
	v_lshlrev_b32_e32 v1, 4, v7
	v_lshlrev_b32_e32 v8, 2, v7
	s_lshl_b64 s[34:35], s[14:15], 1
	s_cmp_neq_f32 s10, 0
	v_and_b32_e32 v2, 12, v2
	v_add3_u32 v12, s26, v4, v7
	v_lshl_or_b32 v7, v9, 5, v8
	s_cselect_b32 s4, -1, 0
	s_lshl_b64 s[36:37], s[18:19], 2
	v_xor_b32_e32 v16, 2, v5
	s_wait_kmcnt 0x0
	s_add_nc_u64 s[36:37], s[20:21], s[36:37]
	v_dual_mov_b32 v18, v10 :: v_dual_add_nc_u32 v13, 0xa0, v7
	v_mov_b32_e32 v7, 32
	s_add_nc_u64 s[22:23], s[22:23], s[34:35]
	v_xor_b32_e32 v17, 1, v5
	v_add_co_u32 v1, s5, s22, v1
	s_delay_alu instid0(VALU_DEP_1)
	v_add_co_ci_u32_e64 v8, null, s23, 0, s5
	s_mov_b32 s11, s13
	v_add_co_u32 v14, s5, v1, v2
	s_wait_alu 0xf1ff
	v_add_co_ci_u32_e64 v15, null, 0, v8, s5
	v_add_co_u32 v1, s5, s36, v3
	s_wait_alu 0xf1ff
	v_add_co_ci_u32_e64 v2, null, s37, 0, s5
	v_mov_b32_e32 v8, 0xff7fffff
	s_mov_b32 s9, 0
	s_sub_co_i32 s15, 1, s24
	s_branch .LBB82_10
.LBB82_9:                               ;   in Loop: Header=BB82_10 Depth=1
	s_wait_alu 0xfffe
	s_or_b32 exec_lo, exec_lo, s6
	v_add_nc_u32_e32 v18, 4, v18
	v_add_co_u32 v1, s6, v1, 16
	v_add_nc_u32_e32 v12, 32, v12
	v_add_nc_u32_e32 v13, 0x80, v13
	s_delay_alu instid0(VALU_DEP_4) | instskip(SKIP_3) | instid1(SALU_CYCLE_1)
	v_cmp_le_i32_e64 s5, s25, v18
	s_wait_alu 0xf1ff
	v_add_co_ci_u32_e64 v2, null, 0, v2, s6
	s_or_b32 s9, s5, s9
	s_and_not1_b32 exec_lo, exec_lo, s9
	s_cbranch_execz .LBB82_12
.LBB82_10:                              ; =>This Inner Loop Header: Depth=1
	global_load_b32 v19, v[1:2], off
	s_wait_loadcnt_dscnt 0x0
	v_mad_co_i64_i32 v[19:20], null, v19, s11, 0
	s_delay_alu instid0(VALU_DEP_1) | instskip(NEXT) | instid1(VALU_DEP_1)
	v_lshlrev_b64_e32 v[19:20], 1, v[19:20]
	v_add_co_u32 v19, s5, v14, v19
	s_wait_alu 0xf1ff
	s_delay_alu instid0(VALU_DEP_2)
	v_add_co_ci_u32_e64 v20, null, v15, v20, s5
	v_cmp_gt_i32_e64 s5, 32, v16
	s_clause 0x7
	global_load_b32 v21, v[19:20], off
	global_load_b32 v22, v[19:20], off offset:128
	global_load_b32 v23, v[19:20], off offset:256
	global_load_b32 v24, v[19:20], off offset:384
	global_load_b32 v25, v[19:20], off offset:512
	global_load_b32 v26, v[19:20], off offset:640
	global_load_b32 v27, v[19:20], off offset:768
	global_load_b32 v19, v[19:20], off offset:896
	ds_load_b32 v20, v11
	s_wait_dscnt 0x0
	v_and_b32_e32 v28, 0xffff, v20
	v_lshrrev_b32_e32 v29, 16, v20
	;;#ASMSTART
	v_cvt_f32_f16 v20, v28;
	;;#ASMEND
	s_wait_loadcnt 0x7
	v_and_b32_e32 v30, 0xffff, v21
	v_lshrrev_b32_e32 v31, 16, v21
	;;#ASMSTART
	v_cvt_f32_f16 v21, v29;
	;;#ASMEND
	;;#ASMSTART
	v_cvt_f32_f16 v28, v30;
	;;#ASMEND
	;; [unrolled: 3-line block ×3, first 2 shown]
	ds_load_b32 v30, v11 offset:4
	s_wait_loadcnt 0x6
	v_and_b32_e32 v32, 0xffff, v22
	v_lshrrev_b32_e32 v33, 16, v22
	s_wait_loadcnt 0x5
	v_lshrrev_b32_e32 v36, 16, v23
	s_wait_loadcnt 0x4
	v_and_b32_e32 v38, 0xffff, v24
	v_lshrrev_b32_e32 v39, 16, v24
	s_wait_loadcnt 0x3
	v_lshrrev_b32_e32 v42, 16, v25
	;; [unrolled: 5-line block ×3, first 2 shown]
	s_wait_dscnt 0x0
	v_and_b32_e32 v31, 0xffff, v30
	v_lshrrev_b32_e32 v30, 16, v30
	;;#ASMSTART
	v_cvt_f32_f16 v22, v31;
	;;#ASMEND
	;;#ASMSTART
	v_cvt_f32_f16 v30, v30;
	;;#ASMEND
	;; [unrolled: 3-line block ×4, first 2 shown]
	ds_load_b32 v33, v11 offset:8
	v_dual_mul_f32 v22, v22, v31 :: v_dual_and_b32 v41, 0xffff, v25
	v_dual_mul_f32 v30, v30, v32 :: v_dual_and_b32 v35, 0xffff, v23
	s_delay_alu instid0(VALU_DEP_2) | instskip(NEXT) | instid1(VALU_DEP_2)
	v_fmac_f32_e32 v22, v20, v28
	v_fmac_f32_e32 v30, v21, v29
	s_wait_dscnt 0x0
	v_and_b32_e32 v34, 0xffff, v33
	v_lshrrev_b32_e32 v33, 16, v33
	;;#ASMSTART
	v_cvt_f32_f16 v23, v34;
	;;#ASMEND
	;;#ASMSTART
	v_cvt_f32_f16 v33, v33;
	;;#ASMEND
	;; [unrolled: 3-line block ×4, first 2 shown]
	ds_load_b32 v36, v11 offset:12
	v_fmac_f32_e32 v30, v33, v35
	v_fmac_f32_e32 v22, v23, v34
	s_wait_alu 0xf1ff
	v_cndmask_b32_e64 v23, v5, v16, s5
	v_cmp_gt_i32_e64 s5, 32, v17
	s_wait_dscnt 0x0
	v_and_b32_e32 v37, 0xffff, v36
	v_lshrrev_b32_e32 v36, 16, v36
	;;#ASMSTART
	v_cvt_f32_f16 v24, v37;
	;;#ASMEND
	;;#ASMSTART
	v_cvt_f32_f16 v36, v36;
	;;#ASMEND
	;;#ASMSTART
	v_cvt_f32_f16 v37, v38;
	;;#ASMEND
	;;#ASMSTART
	v_cvt_f32_f16 v38, v39;
	;;#ASMEND
	ds_load_b32 v39, v11 offset:16
	v_dual_fmac_f32 v22, v24, v37 :: v_dual_and_b32 v27, 0xffff, v27
	s_wait_loadcnt 0x0
	v_lshrrev_b32_e32 v24, 16, v19
	s_wait_dscnt 0x0
	v_and_b32_e32 v40, 0xffff, v39
	v_lshrrev_b32_e32 v39, 16, v39
	;;#ASMSTART
	v_cvt_f32_f16 v25, v40;
	;;#ASMEND
	;;#ASMSTART
	v_cvt_f32_f16 v39, v39;
	;;#ASMEND
	;; [unrolled: 3-line block ×4, first 2 shown]
	ds_load_b32 v42, v11 offset:20
	s_wait_dscnt 0x0
	v_dual_fmac_f32 v22, v25, v40 :: v_dual_and_b32 v43, 0xffff, v42
	v_lshrrev_b32_e32 v42, 16, v42
	;;#ASMSTART
	v_cvt_f32_f16 v26, v43;
	;;#ASMEND
	;;#ASMSTART
	v_cvt_f32_f16 v42, v42;
	;;#ASMEND
	;; [unrolled: 3-line block ×4, first 2 shown]
	ds_load_b32 v45, v11 offset:24
	s_wait_dscnt 0x0
	v_dual_fmac_f32 v22, v26, v43 :: v_dual_and_b32 v31, 0xffff, v45
	v_lshrrev_b32_e32 v32, 16, v45
	;;#ASMSTART
	v_cvt_f32_f16 v20, v31;
	;;#ASMEND
	;;#ASMSTART
	v_cvt_f32_f16 v21, v32;
	;;#ASMEND
	;; [unrolled: 3-line block ×4, first 2 shown]
	ds_load_b32 v29, v11 offset:28
	v_fmac_f32_e32 v30, v36, v38
	s_wait_dscnt 0x0
	v_dual_fmac_f32 v22, v20, v27 :: v_dual_and_b32 v25, 0xffff, v29
	s_delay_alu instid0(VALU_DEP_2)
	v_fmac_f32_e32 v30, v39, v41
	v_lshrrev_b32_e32 v26, 16, v29
	v_and_b32_e32 v29, 0xffff, v19
	;;#ASMSTART
	v_cvt_f32_f16 v19, v25;
	;;#ASMEND
	;;#ASMSTART
	v_cvt_f32_f16 v20, v26;
	;;#ASMEND
	v_fmac_f32_e32 v30, v42, v44
	s_delay_alu instid0(VALU_DEP_1) | instskip(SKIP_3) | instid1(VALU_DEP_2)
	v_fmac_f32_e32 v30, v21, v28
	;;#ASMSTART
	v_cvt_f32_f16 v21, v29;
	;;#ASMEND
	;;#ASMSTART
	v_cvt_f32_f16 v24, v24;
	;;#ASMEND
	v_dual_fmac_f32 v22, v19, v21 :: v_dual_lshlrev_b32 v19, 2, v23
	v_fmac_f32_e32 v30, v20, v24
	s_wait_alu 0xf1ff
	v_cndmask_b32_e64 v21, v5, v17, s5
	s_delay_alu instid0(VALU_DEP_2)
	v_add_f32_e32 v20, v22, v30
	ds_bpermute_b32 v19, v19, v20
	s_wait_dscnt 0x0
	v_dual_add_f32 v19, v20, v19 :: v_dual_lshlrev_b32 v20, 2, v21
	ds_bpermute_b32 v20, v20, v19
	s_and_saveexec_b32 s6, vcc_lo
	s_cbranch_execz .LBB82_9
; %bb.11:                               ;   in Loop: Header=BB82_10 Depth=1
	s_wait_dscnt 0x0
	v_add_f32_e32 v19, v19, v20
	v_add_nc_u32_e32 v21, s15, v12
	v_cmp_gt_i32_e64 s5, s24, v12
	s_delay_alu instid0(VALU_DEP_2) | instskip(NEXT) | instid1(VALU_DEP_1)
	v_cvt_f32_i32_e32 v21, v21
	v_mul_f32_e32 v21, s10, v21
	s_delay_alu instid0(VALU_DEP_1) | instskip(NEXT) | instid1(VALU_DEP_1)
	v_cndmask_b32_e64 v20, 0, v21, s4
	v_dual_max_num_f32 v21, v8, v8 :: v_dual_fmac_f32 v20, s7, v19
	s_delay_alu instid0(VALU_DEP_1) | instskip(SKIP_2) | instid1(VALU_DEP_2)
	v_max_num_f32_e32 v19, v21, v20
	s_wait_alu 0xf1ff
	v_cndmask_b32_e64 v20, 0, v20, s5
	v_cndmask_b32_e64 v8, v8, v19, s5
	ds_store_b32 v13, v20
	s_branch .LBB82_9
.LBB82_12:
	s_or_b32 exec_lo, exec_lo, s9
.LBB82_13:
	s_delay_alu instid0(SALU_CYCLE_1)
	s_or_b32 exec_lo, exec_lo, s8
	v_xor_b32_e32 v1, 16, v5
	v_xor_b32_e32 v11, 8, v5
	s_clause 0x2
	s_load_b128 s[8:11], s[0:1], 0x0
	s_load_b64 s[6:7], s[0:1], 0x10
	s_load_b64 s[22:23], s[0:1], 0x28
	v_max_num_f32_e32 v12, v8, v8
	v_cmp_lt_i32_e32 vcc_lo, v1, v7
	v_cndmask_b32_e32 v1, v5, v1, vcc_lo
	v_cmp_lt_i32_e32 vcc_lo, v11, v7
	s_delay_alu instid0(VALU_DEP_2) | instskip(SKIP_4) | instid1(VALU_DEP_1)
	v_lshlrev_b32_e32 v2, 2, v1
	ds_bpermute_b32 v1, v2, v8
	s_wait_dscnt 0x0
	v_max_num_f32_e32 v1, v1, v1
	s_wait_alu 0xfffd
	v_dual_cndmask_b32 v8, v5, v11 :: v_dual_max_num_f32 v1, v12, v1
	s_delay_alu instid0(VALU_DEP_1)
	v_lshlrev_b32_e32 v8, 2, v8
	v_xor_b32_e32 v12, 4, v5
	ds_bpermute_b32 v11, v8, v1
	v_cmp_lt_i32_e32 vcc_lo, v12, v7
	s_wait_alu 0xfffd
	v_cndmask_b32_e32 v12, v5, v12, vcc_lo
	s_delay_alu instid0(VALU_DEP_1) | instskip(SKIP_2) | instid1(VALU_DEP_1)
	v_lshlrev_b32_e32 v14, 2, v12
	s_wait_dscnt 0x0
	v_dual_max_num_f32 v11, v11, v11 :: v_dual_lshlrev_b32 v12, 2, v9
	v_max_num_f32_e32 v1, v1, v11
	v_and_b32_e32 v11, 31, v0
	ds_bpermute_b32 v13, v14, v1
	v_cmp_eq_u32_e32 vcc_lo, 0, v11
	s_and_saveexec_b32 s0, vcc_lo
	s_cbranch_execz .LBB82_15
; %bb.14:
	s_wait_dscnt 0x0
	v_max_num_f32_e32 v13, v13, v13
	v_max_num_f32_e32 v1, v1, v1
	s_delay_alu instid0(VALU_DEP_1)
	v_max_num_f32_e32 v1, v1, v13
	ds_store_b32 v12, v1 offset:128
.LBB82_15:
	s_or_b32 exec_lo, exec_lo, s0
	v_cmp_gt_u32_e64 s0, 4, v11
	v_mov_b32_e32 v1, 0xff7fffff
	s_wait_dscnt 0x0
	v_lshlrev_b32_e32 v13, 2, v11
	s_wait_loadcnt 0x0
	s_barrier_signal -1
	s_barrier_wait -1
	global_inv scope:SCOPE_SE
	s_and_saveexec_b32 s1, s0
; %bb.16:
	ds_load_b32 v1, v13 offset:128
; %bb.17:
	s_or_b32 exec_lo, exec_lo, s1
	v_xor_b32_e32 v15, 2, v5
	v_xor_b32_e32 v17, 1, v5
	v_lshlrev_b32_e32 v6, 2, v6
	s_delay_alu instid0(VALU_DEP_3) | instskip(NEXT) | instid1(VALU_DEP_1)
	v_cmp_lt_i32_e64 s1, v15, v7
	v_cndmask_b32_e64 v15, v5, v15, s1
	s_delay_alu instid0(VALU_DEP_4) | instskip(NEXT) | instid1(VALU_DEP_2)
	v_cmp_lt_i32_e64 s1, v17, v7
	v_lshlrev_b32_e32 v15, 2, v15
	s_wait_alu 0xf1ff
	s_delay_alu instid0(VALU_DEP_2)
	v_cndmask_b32_e64 v7, v5, v17, s1
	s_sub_co_i32 s1, s25, s12
	s_wait_alu 0xfffe
	s_lshl_b32 s1, s1, 3
	s_wait_dscnt 0x0
	ds_bpermute_b32 v16, v15, v1
	v_max_num_f32_e32 v1, v1, v1
	v_lshlrev_b32_e32 v7, 2, v7
	s_wait_alu 0xfffe
	s_add_co_i32 s1, s1, s26
	s_wait_alu 0xfffe
	s_min_i32 s1, s1, s24
	s_wait_alu 0xfffe
	s_sub_co_i32 s5, s1, s26
	s_wait_alu 0xfffe
	v_cmp_gt_i32_e64 s1, s5, v0
	s_wait_dscnt 0x0
	v_max_num_f32_e32 v16, v16, v16
	s_delay_alu instid0(VALU_DEP_1) | instskip(SKIP_3) | instid1(VALU_DEP_1)
	v_max_num_f32_e32 v1, v1, v16
	ds_bpermute_b32 v16, v7, v1
	s_wait_dscnt 0x0
	v_max_num_f32_e32 v16, v16, v16
	v_dual_max_num_f32 v1, v1, v16 :: v_dual_mov_b32 v16, 0
	ds_bpermute_b32 v1, v6, v1
	v_lshl_add_u32 v6, v0, 2, 0xa0
	s_and_saveexec_b32 s15, s1
	s_cbranch_execz .LBB82_21
; %bb.18:
	v_lshl_add_u32 v17, v0, 2, 0xa0
	v_mov_b32_e32 v16, 0
	v_mov_b32_e32 v18, v0
	s_mov_b32 s31, 0
.LBB82_19:                              ; =>This Inner Loop Header: Depth=1
	ds_load_b32 v19, v17
	v_add_nc_u32_e32 v18, 0x80, v18
	s_delay_alu instid0(VALU_DEP_1) | instskip(SKIP_3) | instid1(VALU_DEP_1)
	v_cmp_le_i32_e64 s4, s5, v18
	s_or_b32 s31, s4, s31
	s_wait_dscnt 0x0
	v_sub_f32_e32 v19, v19, v1
	v_mul_f32_e32 v19, 0x3fb8aa3b, v19
	s_delay_alu instid0(VALU_DEP_1)
	v_exp_f32_e32 v19, v19
	ds_store_b32 v17, v19
	v_dual_add_f32 v16, v16, v19 :: v_dual_add_nc_u32 v17, 0x200, v17
	s_and_not1_b32 exec_lo, exec_lo, s31
	s_cbranch_execnz .LBB82_19
; %bb.20:
	s_or_b32 exec_lo, exec_lo, s31
.LBB82_21:
	s_wait_alu 0xfffe
	s_or_b32 exec_lo, exec_lo, s15
	ds_bpermute_b32 v2, v2, v16
	s_wait_dscnt 0x0
	v_add_f32_e32 v2, v16, v2
	ds_bpermute_b32 v8, v8, v2
	s_wait_dscnt 0x0
	v_add_f32_e32 v2, v2, v8
	;; [unrolled: 3-line block ×5, first 2 shown]
	s_and_saveexec_b32 s4, vcc_lo
; %bb.22:
	ds_store_b32 v12, v2 offset:144
; %bb.23:
	s_wait_alu 0xfffe
	s_or_b32 exec_lo, exec_lo, s4
	s_wait_loadcnt_dscnt 0x0
	s_barrier_signal -1
	s_barrier_wait -1
	global_inv scope:SCOPE_SE
	s_and_saveexec_b32 s4, s0
; %bb.24:
	ds_load_b32 v2, v13 offset:144
; %bb.25:
	s_wait_alu 0xfffe
	s_or_b32 exec_lo, exec_lo, s4
	s_wait_dscnt 0x0
	ds_bpermute_b32 v8, v15, v2
	v_lshlrev_b32_e32 v5, 2, v5
	s_wait_dscnt 0x0
	s_delay_alu instid0(VALU_DEP_1)
	v_dual_add_f32 v2, v2, v8 :: v_dual_and_b32 v5, 0xffffff80, v5
	ds_bpermute_b32 v7, v7, v2
	s_wait_dscnt 0x0
	v_add_f32_e32 v2, v2, v7
	ds_bpermute_b32 v2, v5, v2
	s_and_saveexec_b32 s0, s1
	s_cbranch_execz .LBB82_28
; %bb.26:
	s_wait_dscnt 0x0
	v_add_f32_e32 v5, 0x358637bd, v2
	s_mov_b32 s1, 0
	s_delay_alu instid0(VALU_DEP_1) | instskip(NEXT) | instid1(VALU_DEP_1)
	v_div_scale_f32 v7, null, v5, v5, 1.0
	v_rcp_f32_e32 v8, v7
	s_delay_alu instid0(TRANS32_DEP_1) | instskip(NEXT) | instid1(VALU_DEP_1)
	v_fma_f32 v12, -v7, v8, 1.0
	v_fmac_f32_e32 v8, v12, v8
	v_div_scale_f32 v13, vcc_lo, 1.0, v5, 1.0
	s_delay_alu instid0(VALU_DEP_1) | instskip(NEXT) | instid1(VALU_DEP_1)
	v_mul_f32_e32 v12, v13, v8
	v_fma_f32 v14, -v7, v12, v13
	s_delay_alu instid0(VALU_DEP_1) | instskip(NEXT) | instid1(VALU_DEP_1)
	v_fmac_f32_e32 v12, v14, v8
	v_fma_f32 v7, -v7, v12, v13
	s_wait_alu 0xfffd
	s_delay_alu instid0(VALU_DEP_1) | instskip(NEXT) | instid1(VALU_DEP_1)
	v_div_fmas_f32 v7, v7, v8, v12
	v_div_fixup_f32 v5, v7, v5, 1.0
	v_mov_b32_e32 v7, v0
.LBB82_27:                              ; =>This Inner Loop Header: Depth=1
	ds_load_b32 v8, v6
	s_wait_dscnt 0x0
	v_dual_mul_f32 v8, v5, v8 :: v_dual_add_nc_u32 v7, 0x80, v7
	s_delay_alu instid0(VALU_DEP_1)
	v_cmp_le_i32_e32 vcc_lo, s5, v7
	ds_store_b32 v6, v8
	v_add_nc_u32_e32 v6, 0x200, v6
	s_wait_alu 0xfffe
	s_or_b32 s1, vcc_lo, s1
	s_wait_alu 0xfffe
	s_and_not1_b32 exec_lo, exec_lo, s1
	s_cbranch_execnz .LBB82_27
.LBB82_28:
	s_wait_alu 0xfffe
	s_or_b32 exec_lo, exec_lo, s0
	s_wait_kmcnt 0x0
	s_mul_i32 s0, s17, s28
	s_wait_loadcnt_dscnt 0x0
	s_wait_alu 0xfffe
	s_mul_i32 s4, s0, s29
	s_mov_b32 s0, exec_lo
	s_barrier_signal -1
	s_barrier_wait -1
	global_inv scope:SCOPE_SE
	v_cmpx_eq_u32_e32 0, v0
	s_cbranch_execz .LBB82_30
; %bb.29:
	s_wait_alu 0xfffe
	s_ashr_i32 s5, s4, 31
	s_mul_i32 s28, s17, ttmp9
	s_lshl_b32 s1, s27, 2
	s_wait_alu 0xfffe
	s_lshl_b64 s[34:35], s[4:5], 2
	s_ashr_i32 s29, s28, 31
	v_mov_b32_e32 v5, s1
	s_add_nc_u64 s[10:11], s[10:11], s[34:35]
	s_lshl_b64 s[28:29], s[28:29], 2
	s_add_nc_u64 s[8:9], s[8:9], s[34:35]
	s_wait_alu 0xfffe
	s_add_nc_u64 s[10:11], s[10:11], s[28:29]
	s_add_nc_u64 s[8:9], s[8:9], s[28:29]
	s_clause 0x1
	global_store_b32 v5, v1, s[10:11]
	global_store_b32 v5, v2, s[8:9]
.LBB82_30:
	s_wait_alu 0xfffe
	s_or_b32 exec_lo, exec_lo, s0
	v_dual_mov_b32 v13, 0 :: v_dual_mov_b32 v12, 0
	s_and_saveexec_b32 s1, s3
	s_cbranch_execz .LBB82_38
; %bb.31:
	s_ashr_i32 s15, s14, 31
	v_dual_mov_b32 v12, 0 :: v_dual_lshlrev_b32 v1, 4, v11
	s_wait_alu 0xfffe
	s_lshl_b64 s[8:9], s[14:15], 1
	v_add3_u32 v16, s26, v4, 7
	s_add_nc_u64 s[8:9], s[22:23], s[8:9]
	v_lshl_add_u32 v17, v9, 5, 0xa0
	v_add_co_u32 v14, s0, s8, v1
	s_wait_alu 0xf1ff
	v_add_co_ci_u32_e64 v15, null, s9, 0, s0
	s_lshl_b64 s[8:9], s[18:19], 2
	v_mov_b32_e32 v13, 0
	s_wait_alu 0xfffe
	s_add_nc_u64 s[8:9], s[20:21], s[8:9]
	s_mov_b32 s3, s13
	s_wait_alu 0xfffe
	v_add_co_u32 v5, s0, s8, v3
	s_wait_alu 0xf1ff
	v_add_co_ci_u32_e64 v6, null, s9, 0, s0
	s_add_co_i32 s30, s30, -1
	s_mov_b32 s5, 0
	s_branch .LBB82_33
.LBB82_32:                              ;   in Loop: Header=BB82_33 Depth=1
	s_wait_alu 0xfffe
	s_or_b32 exec_lo, exec_lo, s0
	v_lshlrev_b32_e32 v18, 16, v31
	v_lshlrev_b32_e32 v8, 16, v8
	;; [unrolled: 1-line block ×3, first 2 shown]
	v_add_nc_u32_e32 v10, 4, v10
	v_add_co_u32 v5, s0, v5, 16
	v_and_or_b32 v1, 0xffff, v1, v18
	v_and_or_b32 v2, 0xffff, v2, v8
	;; [unrolled: 1-line block ×3, first 2 shown]
	;;#ASMSTART
	v_pk_mul_f16 v1, v26, v1;

	;;#ASMEND
	;;#ASMSTART
	v_pk_mul_f16 v2, v25, v2;

	;;#ASMEND
	;; [unrolled: 4-line block ×4, first 2 shown]
	;;#ASMSTART
	v_pk_add_f16 v1, v1, v2;

	;;#ASMEND
	;;#ASMSTART
	v_pk_add_f16 v1, v1, v3;

	;;#ASMEND
	;; [unrolled: 4-line block ×3, first 2 shown]
	v_and_b32_e32 v2, 0xffff, v1
	v_lshrrev_b32_e32 v3, 16, v1
	;;#ASMSTART
	v_cvt_f32_f16 v2, v2;
	;;#ASMEND
	v_add_f32_e32 v1, v29, v30
	;;#ASMSTART
	v_cvt_f32_f16 v3, v3;
	;;#ASMEND
	s_delay_alu instid0(VALU_DEP_2) | instskip(SKIP_1) | instid1(VALU_DEP_3)
	v_dual_add_f32 v2, v2, v3 :: v_dual_add_nc_u32 v17, 0x80, v17
	v_cmp_le_i32_e32 vcc_lo, s25, v10
	v_dual_add_f32 v13, v13, v1 :: v_dual_add_nc_u32 v16, 32, v16
	s_delay_alu instid0(VALU_DEP_3)
	v_add_f32_e32 v12, v12, v2
	s_wait_alu 0xf1ff
	v_add_co_ci_u32_e64 v6, null, 0, v6, s0
	s_or_b32 s5, vcc_lo, s5
	s_wait_alu 0xfffe
	s_and_not1_b32 exec_lo, exec_lo, s5
	s_cbranch_execz .LBB82_37
.LBB82_33:                              ; =>This Inner Loop Header: Depth=1
	global_load_b32 v7, v[5:6], off
	ds_load_2addr_b64 v[1:4], v17 offset1:1
	ds_load_2addr_b64 v[18:21], v17 offset0:2 offset1:3
	v_add_nc_u32_e32 v22, -7, v16
	v_add_nc_u32_e32 v24, -6, v16
	;; [unrolled: 1-line block ×3, first 2 shown]
	s_wait_dscnt 0x1
	;;#ASMSTART
	v_cvt_f16_f32 v26, v1;

	;;#ASMEND
	;;#ASMSTART
	v_cvt_f16_f32 v25, v2;

	;;#ASMEND
	;;#ASMSTART
	v_cvt_f16_f32 v31, v3;

	;;#ASMEND
	;;#ASMSTART
	v_cvt_f16_f32 v29, v4;

	;;#ASMEND
	s_wait_dscnt 0x0
	;;#ASMSTART
	v_cvt_f16_f32 v32, v18;

	;;#ASMEND
	;;#ASMSTART
	v_cvt_f16_f32 v28, v19;

	;;#ASMEND
	;; [unrolled: 4-line block ×4, first 2 shown]
	v_add_nc_u32_e32 v20, -4, v16
	v_add_nc_u32_e32 v19, -3, v16
	v_add_nc_u32_e32 v18, -2, v16
	v_add_nc_u32_e32 v21, -1, v16
	s_wait_loadcnt 0x0
	v_mad_co_i64_i32 v[7:8], null, v7, s3, 0
	s_delay_alu instid0(VALU_DEP_1) | instskip(NEXT) | instid1(VALU_DEP_1)
	v_lshlrev_b64_e32 v[7:8], 1, v[7:8]
	v_add_co_u32 v7, vcc_lo, v14, v7
	s_wait_alu 0xfffd
	s_delay_alu instid0(VALU_DEP_2)
	v_add_co_ci_u32_e64 v8, null, v15, v8, vcc_lo
	v_cmp_eq_u32_e32 vcc_lo, s30, v10
	global_load_b128 v[1:4], v[7:8], off
	s_wait_loadcnt 0x0
	v_lshrrev_b32_e32 v35, 16, v1
	v_lshrrev_b32_e32 v34, 16, v2
	v_lshrrev_b32_e32 v33, 16, v3
	s_and_saveexec_b32 s8, vcc_lo
	s_cbranch_execz .LBB82_35
; %bb.34:                               ;   in Loop: Header=BB82_33 Depth=1
	v_cmp_gt_i32_e64 s0, s24, v22
	v_and_b32_e32 v36, 0xffff, v4
	v_and_b32_e32 v4, 0xffff0000, v4
	s_wait_alu 0xf1ff
	s_delay_alu instid0(VALU_DEP_3) | instskip(SKIP_2) | instid1(VALU_DEP_1)
	v_cndmask_b32_e64 v1, 0, v1, s0
	v_cmp_gt_i32_e64 s0, s24, v24
	s_wait_alu 0xf1ff
	v_cndmask_b32_e64 v35, 0, v35, s0
	v_cmp_gt_i32_e64 s0, s24, v23
	s_wait_alu 0xf1ff
	s_delay_alu instid0(VALU_DEP_1) | instskip(SKIP_2) | instid1(VALU_DEP_1)
	v_cndmask_b32_e64 v2, 0, v2, s0
	v_cmp_gt_i32_e64 s0, s24, v20
	s_wait_alu 0xf1ff
	v_cndmask_b32_e64 v34, 0, v34, s0
	v_cmp_gt_i32_e64 s0, s24, v21
	s_wait_alu 0xf1ff
	s_delay_alu instid0(VALU_DEP_1) | instskip(SKIP_2) | instid1(VALU_DEP_1)
	v_cndmask_b32_e64 v36, 0, v36, s0
	v_cmp_gt_i32_e64 s0, s24, v16
	s_wait_alu 0xf1ff
	v_cndmask_b32_e64 v4, 0, v4, s0
	v_cmp_gt_i32_e64 s0, s24, v19
	s_delay_alu instid0(VALU_DEP_2) | instskip(SKIP_1) | instid1(VALU_DEP_2)
	v_or_b32_e32 v4, v36, v4
	s_wait_alu 0xf1ff
	v_cndmask_b32_e64 v3, 0, v3, s0
	v_cmp_gt_i32_e64 s0, s24, v18
	s_wait_alu 0xf1ff
	s_delay_alu instid0(VALU_DEP_1)
	v_cndmask_b32_e64 v33, 0, v33, s0
.LBB82_35:                              ;   in Loop: Header=BB82_33 Depth=1
	s_wait_alu 0xfffe
	s_or_b32 exec_lo, exec_lo, s8
	v_and_b32_e32 v26, 0xffff, v26
	v_and_b32_e32 v31, 0xffff, v31
	v_lshlrev_b32_e32 v35, 16, v35
	v_and_b32_e32 v32, 0xffff, v32
	v_and_b32_e32 v30, 0xffff, v30
	v_lshl_or_b32 v26, v25, 16, v26
	v_lshl_or_b32 v25, v29, 16, v31
	v_lshlrev_b32_e32 v29, 16, v34
	v_lshlrev_b32_e32 v31, 16, v33
	v_and_or_b32 v1, 0xffff, v1, v35
	;;#ASMSTART
	v_pk_mul_f16 v1, v26, v1;

	;;#ASMEND
	v_lshl_or_b32 v28, v28, 16, v32
	v_and_or_b32 v2, 0xffff, v2, v29
	v_and_or_b32 v3, 0xffff, v3, v31
	v_lshl_or_b32 v27, v27, 16, v30
	;;#ASMSTART
	v_pk_mul_f16 v2, v25, v2;

	;;#ASMEND
	;;#ASMSTART
	v_pk_mul_f16 v3, v28, v3;

	;;#ASMEND
	;; [unrolled: 4-line block ×3, first 2 shown]
	;;#ASMSTART
	v_pk_add_f16 v1, v1, v2;

	;;#ASMEND
	;;#ASMSTART
	v_pk_add_f16 v1, v1, v3;

	;;#ASMEND
	;; [unrolled: 4-line block ×3, first 2 shown]
	v_and_b32_e32 v2, 0xffff, v1
	v_lshrrev_b32_e32 v1, 16, v1
	;;#ASMSTART
	v_cvt_f32_f16 v29, v2;
	;;#ASMEND
	;;#ASMSTART
	v_cvt_f32_f16 v30, v1;
	;;#ASMEND
	global_load_b128 v[1:4], v[7:8], off offset:512
	s_wait_loadcnt 0x0
	v_lshrrev_b32_e32 v31, 16, v1
	v_lshrrev_b32_e32 v8, 16, v2
	;; [unrolled: 1-line block ×3, first 2 shown]
	s_and_saveexec_b32 s0, vcc_lo
	s_cbranch_execz .LBB82_32
; %bb.36:                               ;   in Loop: Header=BB82_33 Depth=1
	v_cmp_gt_i32_e32 vcc_lo, s24, v22
	v_and_b32_e32 v22, 0xffff, v4
	s_wait_alu 0xfffd
	v_dual_cndmask_b32 v1, 0, v1 :: v_dual_and_b32 v4, 0xffff0000, v4
	v_cmp_gt_i32_e32 vcc_lo, s24, v24
	s_wait_alu 0xfffd
	v_cndmask_b32_e32 v31, 0, v31, vcc_lo
	v_cmp_gt_i32_e32 vcc_lo, s24, v23
	s_wait_alu 0xfffd
	v_cndmask_b32_e32 v2, 0, v2, vcc_lo
	;; [unrolled: 3-line block ×5, first 2 shown]
	v_cmp_gt_i32_e32 vcc_lo, s24, v19
	s_delay_alu instid0(VALU_DEP_2)
	v_or_b32_e32 v4, v20, v4
	s_wait_alu 0xfffd
	v_cndmask_b32_e32 v3, 0, v3, vcc_lo
	v_cmp_gt_i32_e32 vcc_lo, s24, v18
	s_wait_alu 0xfffd
	v_cndmask_b32_e32 v7, 0, v7, vcc_lo
	s_branch .LBB82_32
.LBB82_37:
	s_or_b32 exec_lo, exec_lo, s5
.LBB82_38:
	s_wait_alu 0xfffe
	s_or_b32 exec_lo, exec_lo, s1
	v_lshl_add_u32 v2, v11, 2, 0xa0
	v_and_b32_e32 v3, 0x3c0, v0
	s_mov_b32 s0, exec_lo
	s_wait_loadcnt 0x0
	s_wait_storecnt 0x0
	s_barrier_signal -1
	v_lshl_add_u32 v1, v9, 8, v2
	s_barrier_wait -1
	global_inv scope:SCOPE_SE
	v_cmpx_eq_u32_e32 64, v3
	s_cbranch_execz .LBB82_40
; %bb.39:
	v_add_nc_u32_e32 v3, 0xfffffe00, v1
	v_add_nc_u32_e32 v4, 0xfffffe80, v1
	ds_store_b32 v3, v13
	ds_store_b32 v4, v12
.LBB82_40:
	s_wait_alu 0xfffe
	s_or_b32 exec_lo, exec_lo, s0
	s_delay_alu instid0(SALU_CYCLE_1)
	s_mov_b32 s0, exec_lo
	s_wait_loadcnt_dscnt 0x0
	s_barrier_signal -1
	s_barrier_wait -1
	global_inv scope:SCOPE_SE
	v_cmpx_gt_u32_e32 64, v0
	s_cbranch_execz .LBB82_42
; %bb.41:
	ds_load_2addr_b32 v[3:4], v1 offset1:32
	s_wait_dscnt 0x0
	v_dual_add_f32 v13, v13, v3 :: v_dual_add_f32 v12, v12, v4
.LBB82_42:
	s_wait_alu 0xfffe
	s_or_b32 exec_lo, exec_lo, s0
	v_and_b32_e32 v3, 0x3e0, v0
	s_mov_b32 s0, exec_lo
	s_wait_loadcnt 0x0
	s_barrier_signal -1
	s_barrier_wait -1
	global_inv scope:SCOPE_SE
	v_cmpx_eq_u32_e32 32, v3
; %bb.43:
	ds_store_2addr_b32 v2, v13, v12 offset1:32
; %bb.44:
	s_wait_alu 0xfffe
	s_or_b32 exec_lo, exec_lo, s0
	s_wait_loadcnt_dscnt 0x0
	s_barrier_signal -1
	s_barrier_wait -1
	global_inv scope:SCOPE_SE
	s_and_saveexec_b32 s0, s2
	s_cbranch_execz .LBB82_46
; %bb.45:
	ds_load_2addr_b32 v[1:2], v1 offset1:32
	s_wait_dscnt 0x0
	v_dual_add_f32 v13, v13, v1 :: v_dual_add_f32 v12, v12, v2
.LBB82_46:
	s_wait_alu 0xfffe
	s_or_b32 exec_lo, exec_lo, s0
	s_wait_loadcnt 0x0
	s_barrier_signal -1
	s_barrier_wait -1
	global_inv scope:SCOPE_SE
	s_and_saveexec_b32 s0, s2
	s_cbranch_execz .LBB82_48
; %bb.47:
	s_lshl_b32 s0, s4, 6
	s_mul_i32 s2, s17, s16
	s_wait_alu 0xfffe
	s_ashr_i32 s1, s0, 31
	s_ashr_i32 s3, s2, 31
	s_wait_alu 0xfffe
	s_lshl_b64 s[0:1], s[0:1], 1
	s_lshl_b64 s[2:3], s[2:3], 1
	s_wait_alu 0xfffe
	s_add_nc_u64 s[0:1], s[6:7], s[0:1]
	v_lshlrev_b32_e32 v0, 1, v0
	s_lshl_b32 s4, s12, 1
	s_wait_alu 0xfffe
	s_add_nc_u64 s[0:1], s[0:1], s[2:3]
	s_mov_b32 s5, 0
	;;#ASMSTART
	v_cvt_f16_f32 v1, v13;

	;;#ASMEND
	s_wait_alu 0xfffe
	s_add_nc_u64 s[0:1], s[0:1], s[4:5]
	global_store_b16 v0, v1, s[0:1]
	;;#ASMSTART
	v_cvt_f16_f32 v1, v12;

	;;#ASMEND
	global_store_b16 v0, v1, s[0:1] offset:64
.LBB82_48:
	s_endpgm
	.section	.rodata,"a",@progbits
	.p2align	6, 0x0
	.amdhsa_kernel _ZN4vllm25paged_attention_v2_kernelIttLi64ELi8ELi128ELNS_18Fp8KVCacheDataTypeE0ELb0ELi512EEEvPfS2_PT_PKS3_PKT0_S9_ifPKiSB_iPKfiiiSD_SD_iiiii
		.amdhsa_group_segment_fixed_size 160
		.amdhsa_private_segment_fixed_size 0
		.amdhsa_kernarg_size 400
		.amdhsa_user_sgpr_count 2
		.amdhsa_user_sgpr_dispatch_ptr 0
		.amdhsa_user_sgpr_queue_ptr 0
		.amdhsa_user_sgpr_kernarg_segment_ptr 1
		.amdhsa_user_sgpr_dispatch_id 0
		.amdhsa_user_sgpr_private_segment_size 0
		.amdhsa_wavefront_size32 1
		.amdhsa_uses_dynamic_stack 0
		.amdhsa_enable_private_segment 0
		.amdhsa_system_sgpr_workgroup_id_x 1
		.amdhsa_system_sgpr_workgroup_id_y 1
		.amdhsa_system_sgpr_workgroup_id_z 1
		.amdhsa_system_sgpr_workgroup_info 0
		.amdhsa_system_vgpr_workitem_id 0
		.amdhsa_next_free_vgpr 47
		.amdhsa_next_free_sgpr 38
		.amdhsa_reserve_vcc 1
		.amdhsa_float_round_mode_32 0
		.amdhsa_float_round_mode_16_64 0
		.amdhsa_float_denorm_mode_32 3
		.amdhsa_float_denorm_mode_16_64 3
		.amdhsa_fp16_overflow 0
		.amdhsa_workgroup_processor_mode 1
		.amdhsa_memory_ordered 1
		.amdhsa_forward_progress 1
		.amdhsa_inst_pref_size 34
		.amdhsa_round_robin_scheduling 0
		.amdhsa_exception_fp_ieee_invalid_op 0
		.amdhsa_exception_fp_denorm_src 0
		.amdhsa_exception_fp_ieee_div_zero 0
		.amdhsa_exception_fp_ieee_overflow 0
		.amdhsa_exception_fp_ieee_underflow 0
		.amdhsa_exception_fp_ieee_inexact 0
		.amdhsa_exception_int_div_zero 0
	.end_amdhsa_kernel
	.section	.text._ZN4vllm25paged_attention_v2_kernelIttLi64ELi8ELi128ELNS_18Fp8KVCacheDataTypeE0ELb0ELi512EEEvPfS2_PT_PKS3_PKT0_S9_ifPKiSB_iPKfiiiSD_SD_iiiii,"axG",@progbits,_ZN4vllm25paged_attention_v2_kernelIttLi64ELi8ELi128ELNS_18Fp8KVCacheDataTypeE0ELb0ELi512EEEvPfS2_PT_PKS3_PKT0_S9_ifPKiSB_iPKfiiiSD_SD_iiiii,comdat
.Lfunc_end82:
	.size	_ZN4vllm25paged_attention_v2_kernelIttLi64ELi8ELi128ELNS_18Fp8KVCacheDataTypeE0ELb0ELi512EEEvPfS2_PT_PKS3_PKT0_S9_ifPKiSB_iPKfiiiSD_SD_iiiii, .Lfunc_end82-_ZN4vllm25paged_attention_v2_kernelIttLi64ELi8ELi128ELNS_18Fp8KVCacheDataTypeE0ELb0ELi512EEEvPfS2_PT_PKS3_PKT0_S9_ifPKiSB_iPKfiiiSD_SD_iiiii
                                        ; -- End function
	.set _ZN4vllm25paged_attention_v2_kernelIttLi64ELi8ELi128ELNS_18Fp8KVCacheDataTypeE0ELb0ELi512EEEvPfS2_PT_PKS3_PKT0_S9_ifPKiSB_iPKfiiiSD_SD_iiiii.num_vgpr, 47
	.set _ZN4vllm25paged_attention_v2_kernelIttLi64ELi8ELi128ELNS_18Fp8KVCacheDataTypeE0ELb0ELi512EEEvPfS2_PT_PKS3_PKT0_S9_ifPKiSB_iPKfiiiSD_SD_iiiii.num_agpr, 0
	.set _ZN4vllm25paged_attention_v2_kernelIttLi64ELi8ELi128ELNS_18Fp8KVCacheDataTypeE0ELb0ELi512EEEvPfS2_PT_PKS3_PKT0_S9_ifPKiSB_iPKfiiiSD_SD_iiiii.numbered_sgpr, 38
	.set _ZN4vllm25paged_attention_v2_kernelIttLi64ELi8ELi128ELNS_18Fp8KVCacheDataTypeE0ELb0ELi512EEEvPfS2_PT_PKS3_PKT0_S9_ifPKiSB_iPKfiiiSD_SD_iiiii.num_named_barrier, 0
	.set _ZN4vllm25paged_attention_v2_kernelIttLi64ELi8ELi128ELNS_18Fp8KVCacheDataTypeE0ELb0ELi512EEEvPfS2_PT_PKS3_PKT0_S9_ifPKiSB_iPKfiiiSD_SD_iiiii.private_seg_size, 0
	.set _ZN4vllm25paged_attention_v2_kernelIttLi64ELi8ELi128ELNS_18Fp8KVCacheDataTypeE0ELb0ELi512EEEvPfS2_PT_PKS3_PKT0_S9_ifPKiSB_iPKfiiiSD_SD_iiiii.uses_vcc, 1
	.set _ZN4vllm25paged_attention_v2_kernelIttLi64ELi8ELi128ELNS_18Fp8KVCacheDataTypeE0ELb0ELi512EEEvPfS2_PT_PKS3_PKT0_S9_ifPKiSB_iPKfiiiSD_SD_iiiii.uses_flat_scratch, 0
	.set _ZN4vllm25paged_attention_v2_kernelIttLi64ELi8ELi128ELNS_18Fp8KVCacheDataTypeE0ELb0ELi512EEEvPfS2_PT_PKS3_PKT0_S9_ifPKiSB_iPKfiiiSD_SD_iiiii.has_dyn_sized_stack, 0
	.set _ZN4vllm25paged_attention_v2_kernelIttLi64ELi8ELi128ELNS_18Fp8KVCacheDataTypeE0ELb0ELi512EEEvPfS2_PT_PKS3_PKT0_S9_ifPKiSB_iPKfiiiSD_SD_iiiii.has_recursion, 0
	.set _ZN4vllm25paged_attention_v2_kernelIttLi64ELi8ELi128ELNS_18Fp8KVCacheDataTypeE0ELb0ELi512EEEvPfS2_PT_PKS3_PKT0_S9_ifPKiSB_iPKfiiiSD_SD_iiiii.has_indirect_call, 0
	.section	.AMDGPU.csdata,"",@progbits
; Kernel info:
; codeLenInByte = 4264
; TotalNumSgprs: 40
; NumVgprs: 47
; ScratchSize: 0
; MemoryBound: 0
; FloatMode: 240
; IeeeMode: 1
; LDSByteSize: 160 bytes/workgroup (compile time only)
; SGPRBlocks: 0
; VGPRBlocks: 5
; NumSGPRsForWavesPerEU: 40
; NumVGPRsForWavesPerEU: 47
; Occupancy: 16
; WaveLimiterHint : 1
; COMPUTE_PGM_RSRC2:SCRATCH_EN: 0
; COMPUTE_PGM_RSRC2:USER_SGPR: 2
; COMPUTE_PGM_RSRC2:TRAP_HANDLER: 0
; COMPUTE_PGM_RSRC2:TGID_X_EN: 1
; COMPUTE_PGM_RSRC2:TGID_Y_EN: 1
; COMPUTE_PGM_RSRC2:TGID_Z_EN: 1
; COMPUTE_PGM_RSRC2:TIDIG_COMP_CNT: 0
	.section	.text._ZN4vllm25paged_attention_v2_kernelIttLi80ELi8ELi128ELNS_18Fp8KVCacheDataTypeE0ELb0ELi512EEEvPfS2_PT_PKS3_PKT0_S9_ifPKiSB_iPKfiiiSD_SD_iiiii,"axG",@progbits,_ZN4vllm25paged_attention_v2_kernelIttLi80ELi8ELi128ELNS_18Fp8KVCacheDataTypeE0ELb0ELi512EEEvPfS2_PT_PKS3_PKT0_S9_ifPKiSB_iPKfiiiSD_SD_iiiii,comdat
	.protected	_ZN4vllm25paged_attention_v2_kernelIttLi80ELi8ELi128ELNS_18Fp8KVCacheDataTypeE0ELb0ELi512EEEvPfS2_PT_PKS3_PKT0_S9_ifPKiSB_iPKfiiiSD_SD_iiiii ; -- Begin function _ZN4vllm25paged_attention_v2_kernelIttLi80ELi8ELi128ELNS_18Fp8KVCacheDataTypeE0ELb0ELi512EEEvPfS2_PT_PKS3_PKT0_S9_ifPKiSB_iPKfiiiSD_SD_iiiii
	.globl	_ZN4vllm25paged_attention_v2_kernelIttLi80ELi8ELi128ELNS_18Fp8KVCacheDataTypeE0ELb0ELi512EEEvPfS2_PT_PKS3_PKT0_S9_ifPKiSB_iPKfiiiSD_SD_iiiii
	.p2align	8
	.type	_ZN4vllm25paged_attention_v2_kernelIttLi80ELi8ELi128ELNS_18Fp8KVCacheDataTypeE0ELb0ELi512EEEvPfS2_PT_PKS3_PKT0_S9_ifPKiSB_iPKfiiiSD_SD_iiiii,@function
_ZN4vllm25paged_attention_v2_kernelIttLi80ELi8ELi128ELNS_18Fp8KVCacheDataTypeE0ELb0ELi512EEEvPfS2_PT_PKS3_PKT0_S9_ifPKiSB_iPKfiiiSD_SD_iiiii: ; @_ZN4vllm25paged_attention_v2_kernelIttLi80ELi8ELi128ELNS_18Fp8KVCacheDataTypeE0ELb0ELi512EEEvPfS2_PT_PKS3_PKT0_S9_ifPKiSB_iPKfiiiSD_SD_iiiii
; %bb.0:
	s_load_b64 s[2:3], s[0:1], 0x40
	s_and_b32 s20, ttmp7, 0xffff
	s_lshr_b32 s24, ttmp7, 16
	s_lshl_b32 s4, s20, 2
	s_lshl_b32 s26, s24, 9
	s_wait_kmcnt 0x0
	s_load_b32 s25, s[2:3], s4 offset:0x0
	s_wait_kmcnt 0x0
	s_cmp_ge_i32 s26, s25
	s_cbranch_scc1 .LBB83_59
; %bb.1:
	s_clause 0x1
	s_load_b32 s21, s[0:1], 0x90
	s_load_b64 s[6:7], s[0:1], 0x30
	s_wait_kmcnt 0x0
	s_abs_i32 s5, s21
	s_abs_i32 s2, s6
	s_delay_alu instid0(SALU_CYCLE_1) | instskip(SKIP_1) | instid1(SALU_CYCLE_2)
	s_cvt_f32_u32 s3, s2
	s_sub_co_i32 s4, 0, s2
	v_rcp_iflag_f32_e32 v1, s3
	s_delay_alu instid0(TRANS32_DEP_1) | instskip(SKIP_2) | instid1(SALU_CYCLE_2)
	v_readfirstlane_b32 s3, v1
	s_mul_f32 s3, s3, 0x4f7ffffe
	s_wait_alu 0xfffe
	s_cvt_u32_f32 s3, s3
	s_wait_alu 0xfffe
	s_delay_alu instid0(SALU_CYCLE_2) | instskip(NEXT) | instid1(SALU_CYCLE_1)
	s_mul_i32 s4, s4, s3
	s_mul_hi_u32 s4, s3, s4
	s_delay_alu instid0(SALU_CYCLE_1)
	s_add_co_i32 s3, s3, s4
	s_xor_b32 s4, s21, s6
	s_wait_alu 0xfffe
	s_mul_hi_u32 s3, s5, s3
	s_ashr_i32 s4, s4, 31
	s_wait_alu 0xfffe
	s_mul_i32 s6, s3, s2
	s_delay_alu instid0(SALU_CYCLE_1)
	s_sub_co_i32 s5, s5, s6
	s_add_co_i32 s6, s3, 1
	s_sub_co_i32 s8, s5, s2
	s_cmp_ge_u32 s5, s2
	s_cselect_b32 s3, s6, s3
	s_cselect_b32 s5, s8, s5
	s_wait_alu 0xfffe
	s_add_co_i32 s6, s3, 1
	s_cmp_ge_u32 s5, s2
	s_load_b64 s[8:9], s[0:1], 0x50
	s_cselect_b32 s2, s6, s3
	s_mov_b32 s3, 0
	s_wait_alu 0xfffe
	s_xor_b32 s2, s2, s4
	s_mov_b32 s6, s3
	s_wait_alu 0xfffe
	s_sub_co_i32 s12, s2, s4
	s_delay_alu instid0(SALU_CYCLE_1) | instskip(NEXT) | instid1(SALU_CYCLE_1)
	s_abs_i32 s11, s12
	s_cvt_f32_u32 s2, s11
	s_wait_alu 0xfffe
	s_delay_alu instid0(SALU_CYCLE_2) | instskip(NEXT) | instid1(TRANS32_DEP_1)
	v_rcp_iflag_f32_e32 v1, s2
	v_readfirstlane_b32 s2, v1
	s_mul_f32 s2, s2, 0x4f7ffffe
	s_wait_alu 0xfffe
	s_delay_alu instid0(SALU_CYCLE_2) | instskip(SKIP_2) | instid1(SALU_CYCLE_1)
	s_cvt_u32_f32 s4, s2
	s_sub_co_i32 s2, 0, s11
	s_wait_alu 0xfffe
	s_mul_i32 s2, s2, s4
	s_wait_alu 0xfffe
	s_mul_hi_u32 s5, s4, s2
	s_abs_i32 s2, ttmp9
	s_add_co_i32 s4, s4, s5
	s_mov_b32 s5, s3
	s_wait_kmcnt 0x0
	s_cmp_eq_u64 s[8:9], 0
	s_cbranch_scc1 .LBB83_3
; %bb.2:
	s_mov_b32 s14, ttmp9
	s_ashr_i32 s15, ttmp9, 31
	s_delay_alu instid0(SALU_CYCLE_1) | instskip(NEXT) | instid1(SALU_CYCLE_1)
	s_lshl_b64 s[14:15], s[14:15], 2
	s_add_nc_u64 s[8:9], s[8:9], s[14:15]
	s_load_b32 s6, s[8:9], 0x0
.LBB83_3:
	s_load_b96 s[8:10], s[0:1], 0x58
	v_and_b32_e32 v1, 3, v0
	v_lshlrev_b32_e32 v2, 2, v0
	s_mul_u64 s[4:5], s[2:3], s[4:5]
	s_ashr_i32 s3, ttmp9, 31
	s_ashr_i32 s4, s12, 31
	s_mul_i32 s12, ttmp9, 0x50
	s_mov_b32 s14, exec_lo
	v_cmpx_gt_u32_e32 40, v0
	s_cbranch_execz .LBB83_5
; %bb.4:
	s_load_b64 s[16:17], s[0:1], 0x18
	s_wait_kmcnt 0x0
	s_mul_i32 s18, s8, s20
	s_ashr_i32 s13, s12, 31
	s_ashr_i32 s19, s18, 31
	v_and_b32_e32 v4, 0x3fc, v0
	s_lshl_b64 s[18:19], s[18:19], 1
	s_delay_alu instid0(VALU_DEP_1) | instskip(SKIP_2) | instid1(SALU_CYCLE_1)
	v_mad_u32_u24 v4, v1, 40, v4
	s_add_nc_u64 s[16:17], s[16:17], s[18:19]
	s_lshl_b64 s[18:19], s[12:13], 1
	s_add_nc_u64 s[16:17], s[16:17], s[18:19]
	global_load_b32 v3, v2, s[16:17]
	s_wait_loadcnt 0x0
	ds_store_b32 v4, v3
.LBB83_5:
	s_or_b32 exec_lo, exec_lo, s14
	s_wait_kmcnt 0x0
	s_add_co_i32 s8, s25, 7
	s_wait_alu 0xfffe
	s_xor_b32 s3, s3, s4
	s_ashr_i32 s13, s8, 31
	s_lshl_b32 s28, s24, 6
	s_lshr_b32 s4, s13, 29
	s_mul_i32 s13, s5, s11
	s_add_co_i32 s8, s8, s4
	s_add_co_i32 s4, s28, 64
	s_ashr_i32 s27, s8, 3
	s_load_b32 s8, s[0:1], 0x48
	s_sub_co_i32 s2, s2, s13
	s_min_i32 s13, s4, s27
	s_add_co_i32 s4, s5, 1
	s_wait_alu 0xfffe
	s_sub_co_i32 s14, s2, s11
	s_cmp_ge_u32 s2, s11
	v_lshrrev_b32_e32 v9, 5, v0
	s_cselect_b32 s4, s4, s5
	s_cselect_b32 s2, s14, s2
	s_add_co_i32 s5, s4, 1
	s_wait_alu 0xfffe
	s_cmp_ge_u32 s2, s11
	v_or_b32_e32 v10, s28, v9
	s_cselect_b32 s2, s5, s4
	v_mbcnt_lo_u32_b32 v5, -1, 0
	s_wait_alu 0xfffe
	s_xor_b32 s2, s2, s3
	s_mov_b32 s4, exec_lo
	s_wait_alu 0xfffe
	s_sub_co_i32 s3, s2, s3
	v_cmp_gt_i32_e64 s2, s13, v10
	s_wait_dscnt 0x0
	s_barrier_signal -1
	s_wait_kmcnt 0x0
	s_mul_i32 s14, s8, s20
	s_barrier_wait -1
	s_ashr_i32 s15, s14, 31
	global_inv scope:SCOPE_SE
                                        ; implicit-def: $vgpr6
                                        ; implicit-def: $vgpr7
	v_cmpx_le_i32_e64 s13, v10
	s_xor_b32 s4, exec_lo, s4
; %bb.6:
	v_dual_mov_b32 v6, 0 :: v_dual_mov_b32 v7, 32
	v_mbcnt_lo_u32_b32 v5, -1, 0
                                        ; implicit-def: $vgpr2
                                        ; implicit-def: $vgpr1
; %bb.7:
	s_or_saveexec_b32 s11, s4
	s_clause 0x1
	s_load_b64 s[16:17], s[0:1], 0x38
	s_load_b32 s8, s[0:1], 0x98
	v_dual_mov_b32 v8, 0xff7fffff :: v_dual_lshlrev_b32 v3, 2, v10
	v_lshlrev_b32_e32 v4, 3, v9
	s_mul_i32 s18, s3, s10
	s_xor_b32 exec_lo, exec_lo, s11
	s_cbranch_execz .LBB83_13
; %bb.8:
	s_load_b64 s[4:5], s[0:1], 0x20
	v_bfe_u32 v7, v0, 2, 3
	s_ashr_i32 s19, s18, 31
	v_mov_b32_e32 v6, 0
	v_mul_u32_u24_e32 v11, 40, v1
	v_cmp_eq_u32_e32 vcc_lo, 0, v1
	v_lshlrev_b32_e32 v1, 4, v7
	v_lshlrev_b32_e32 v8, 2, v7
	s_lshl_b64 s[22:23], s[18:19], 1
	s_cmp_neq_f32 s6, 0
	v_and_b32_e32 v2, 12, v2
	v_add3_u32 v12, s26, v4, v7
	v_lshl_or_b32 v7, v9, 5, v8
	s_cselect_b32 s3, -1, 0
	s_lshl_b64 s[30:31], s[14:15], 2
	v_xor_b32_e32 v16, 2, v5
	s_wait_kmcnt 0x0
	s_add_nc_u64 s[30:31], s[16:17], s[30:31]
	v_dual_mov_b32 v18, v10 :: v_dual_add_nc_u32 v13, 0xc0, v7
	v_mov_b32_e32 v7, 32
	s_add_nc_u64 s[4:5], s[4:5], s[22:23]
	v_xor_b32_e32 v17, 1, v5
	v_add_co_u32 v1, s4, s4, v1
	s_wait_alu 0xf1ff
	v_add_co_ci_u32_e64 v8, null, s5, 0, s4
	s_mov_b32 s19, s9
	v_add_co_u32 v14, s4, v1, v2
	s_wait_alu 0xf1ff
	v_add_co_ci_u32_e64 v15, null, 0, v8, s4
	v_add_co_u32 v1, s4, s30, v3
	s_wait_alu 0xf1ff
	v_add_co_ci_u32_e64 v2, null, s31, 0, s4
	v_mov_b32_e32 v8, 0xff7fffff
	s_mov_b32 s10, 0
	s_sub_co_i32 s22, 1, s25
	s_branch .LBB83_10
.LBB83_9:                               ;   in Loop: Header=BB83_10 Depth=1
	s_wait_alu 0xfffe
	s_or_b32 exec_lo, exec_lo, s5
	v_add_nc_u32_e32 v18, 4, v18
	v_add_co_u32 v1, s5, v1, 16
	v_add_nc_u32_e32 v12, 32, v12
	v_add_nc_u32_e32 v13, 0x80, v13
	s_delay_alu instid0(VALU_DEP_4) | instskip(SKIP_3) | instid1(SALU_CYCLE_1)
	v_cmp_le_i32_e64 s4, s13, v18
	s_wait_alu 0xf1ff
	v_add_co_ci_u32_e64 v2, null, 0, v2, s5
	s_or_b32 s10, s4, s10
	s_and_not1_b32 exec_lo, exec_lo, s10
	s_cbranch_execz .LBB83_12
.LBB83_10:                              ; =>This Inner Loop Header: Depth=1
	global_load_b32 v19, v[1:2], off
	s_wait_loadcnt_dscnt 0x0
	v_mad_co_i64_i32 v[19:20], null, v19, s19, 0
	s_delay_alu instid0(VALU_DEP_1) | instskip(NEXT) | instid1(VALU_DEP_1)
	v_lshlrev_b64_e32 v[19:20], 1, v[19:20]
	v_add_co_u32 v19, s4, v14, v19
	s_wait_alu 0xf1ff
	s_delay_alu instid0(VALU_DEP_2)
	v_add_co_ci_u32_e64 v20, null, v15, v20, s4
	v_cmp_gt_i32_e64 s4, 32, v16
	s_clause 0x9
	global_load_b32 v21, v[19:20], off
	global_load_b32 v22, v[19:20], off offset:128
	global_load_b32 v23, v[19:20], off offset:256
	;; [unrolled: 1-line block ×9, first 2 shown]
	ds_load_b32 v20, v11
	s_wait_dscnt 0x0
	v_and_b32_e32 v30, 0xffff, v20
	v_lshrrev_b32_e32 v31, 16, v20
	;;#ASMSTART
	v_cvt_f32_f16 v20, v30;
	;;#ASMEND
	s_wait_loadcnt 0x9
	v_and_b32_e32 v32, 0xffff, v21
	v_lshrrev_b32_e32 v33, 16, v21
	;;#ASMSTART
	v_cvt_f32_f16 v21, v31;
	;;#ASMEND
	;;#ASMSTART
	v_cvt_f32_f16 v30, v32;
	;;#ASMEND
	;; [unrolled: 3-line block ×3, first 2 shown]
	ds_load_b32 v32, v11 offset:4
	s_wait_loadcnt 0x8
	v_and_b32_e32 v34, 0xffff, v22
	v_lshrrev_b32_e32 v35, 16, v22
	s_wait_loadcnt 0x7
	v_lshrrev_b32_e32 v38, 16, v23
	s_wait_loadcnt 0x6
	v_and_b32_e32 v40, 0xffff, v24
	v_lshrrev_b32_e32 v41, 16, v24
	s_wait_loadcnt 0x5
	v_lshrrev_b32_e32 v44, 16, v25
	;; [unrolled: 5-line block ×3, first 2 shown]
	s_wait_loadcnt 0x2
	v_and_b32_e32 v52, 0xffff, v28
	v_lshrrev_b32_e32 v53, 16, v28
	s_wait_dscnt 0x0
	v_and_b32_e32 v33, 0xffff, v32
	v_lshrrev_b32_e32 v32, 16, v32
	;;#ASMSTART
	v_cvt_f32_f16 v22, v33;
	;;#ASMEND
	;;#ASMSTART
	v_cvt_f32_f16 v32, v32;
	;;#ASMEND
	;; [unrolled: 3-line block ×4, first 2 shown]
	ds_load_b32 v35, v11 offset:8
	v_dual_mul_f32 v22, v22, v33 :: v_dual_and_b32 v37, 0xffff, v23
	v_dual_mul_f32 v32, v32, v34 :: v_dual_and_b32 v43, 0xffff, v25
	s_delay_alu instid0(VALU_DEP_2) | instskip(SKIP_2) | instid1(VALU_DEP_3)
	v_fmac_f32_e32 v22, v20, v30
	s_wait_loadcnt 0x1
	v_lshrrev_b32_e32 v30, 16, v29
	v_fmac_f32_e32 v32, v21, v31
	s_wait_dscnt 0x0
	v_and_b32_e32 v36, 0xffff, v35
	v_lshrrev_b32_e32 v35, 16, v35
	;;#ASMSTART
	v_cvt_f32_f16 v23, v36;
	;;#ASMEND
	;;#ASMSTART
	v_cvt_f32_f16 v35, v35;
	;;#ASMEND
	;; [unrolled: 3-line block ×4, first 2 shown]
	ds_load_b32 v38, v11 offset:12
	v_dual_fmac_f32 v22, v23, v36 :: v_dual_and_b32 v49, 0xffff, v27
	s_wait_dscnt 0x0
	v_dual_fmac_f32 v32, v35, v37 :: v_dual_and_b32 v39, 0xffff, v38
	v_lshrrev_b32_e32 v38, 16, v38
	;;#ASMSTART
	v_cvt_f32_f16 v24, v39;
	;;#ASMEND
	;;#ASMSTART
	v_cvt_f32_f16 v38, v38;
	;;#ASMEND
	;; [unrolled: 3-line block ×4, first 2 shown]
	ds_load_b32 v41, v11 offset:16
	v_dual_fmac_f32 v32, v38, v40 :: v_dual_and_b32 v23, 0xffff, v29
	v_fmac_f32_e32 v22, v24, v39
	s_wait_dscnt 0x0
	v_and_b32_e32 v42, 0xffff, v41
	v_lshrrev_b32_e32 v41, 16, v41
	;;#ASMSTART
	v_cvt_f32_f16 v25, v42;
	;;#ASMEND
	;;#ASMSTART
	v_cvt_f32_f16 v41, v41;
	;;#ASMEND
	;;#ASMSTART
	v_cvt_f32_f16 v42, v43;
	;;#ASMEND
	;;#ASMSTART
	v_cvt_f32_f16 v43, v44;
	;;#ASMEND
	ds_load_b32 v44, v11 offset:20
	s_wait_dscnt 0x0
	v_and_b32_e32 v45, 0xffff, v44
	v_lshrrev_b32_e32 v44, 16, v44
	;;#ASMSTART
	v_cvt_f32_f16 v26, v45;
	;;#ASMEND
	;;#ASMSTART
	v_cvt_f32_f16 v44, v44;
	;;#ASMEND
	;;#ASMSTART
	v_cvt_f32_f16 v45, v46;
	;;#ASMEND
	;;#ASMSTART
	v_cvt_f32_f16 v46, v47;
	;;#ASMEND
	ds_load_b32 v47, v11 offset:24
	;; [unrolled: 16-line block ×5, first 2 shown]
	v_fmac_f32_e32 v22, v25, v42
	s_wait_alu 0xf1ff
	v_cndmask_b32_e64 v25, v5, v16, s4
	v_fmac_f32_e32 v32, v41, v43
	v_cmp_gt_i32_e64 s4, 32, v17
	v_fmac_f32_e32 v22, v26, v45
	s_wait_loadcnt 0x0
	v_lshrrev_b32_e32 v26, 16, v19
	v_fmac_f32_e32 v32, v44, v46
	s_delay_alu instid0(VALU_DEP_3) | instskip(NEXT) | instid1(VALU_DEP_2)
	v_fmac_f32_e32 v22, v27, v48
	v_fmac_f32_e32 v32, v47, v49
	s_delay_alu instid0(VALU_DEP_2) | instskip(SKIP_1) | instid1(VALU_DEP_2)
	v_fmac_f32_e32 v22, v28, v51
	s_wait_dscnt 0x0
	v_dual_fmac_f32 v32, v50, v52 :: v_dual_and_b32 v27, 0xffff, v29
	s_delay_alu instid0(VALU_DEP_2) | instskip(SKIP_1) | instid1(VALU_DEP_3)
	v_fmac_f32_e32 v22, v20, v23
	v_lshrrev_b32_e32 v28, 16, v29
	v_dual_fmac_f32 v32, v21, v24 :: v_dual_and_b32 v29, 0xffff, v19
	;;#ASMSTART
	v_cvt_f32_f16 v19, v27;
	;;#ASMEND
	;;#ASMSTART
	v_cvt_f32_f16 v20, v28;
	;;#ASMEND
	;; [unrolled: 3-line block ×4, first 2 shown]
	v_fmac_f32_e32 v22, v19, v21
	v_dual_fmac_f32 v32, v20, v23 :: v_dual_lshlrev_b32 v19, 2, v25
	s_wait_alu 0xf1ff
	v_cndmask_b32_e64 v21, v5, v17, s4
	s_delay_alu instid0(VALU_DEP_2)
	v_add_f32_e32 v20, v22, v32
	ds_bpermute_b32 v19, v19, v20
	s_wait_dscnt 0x0
	v_dual_add_f32 v19, v20, v19 :: v_dual_lshlrev_b32 v20, 2, v21
	ds_bpermute_b32 v20, v20, v19
	s_and_saveexec_b32 s5, vcc_lo
	s_cbranch_execz .LBB83_9
; %bb.11:                               ;   in Loop: Header=BB83_10 Depth=1
	s_wait_dscnt 0x0
	v_add_f32_e32 v19, v19, v20
	v_add_nc_u32_e32 v21, s22, v12
	v_cmp_gt_i32_e64 s4, s25, v12
	s_delay_alu instid0(VALU_DEP_2) | instskip(NEXT) | instid1(VALU_DEP_1)
	v_cvt_f32_i32_e32 v21, v21
	v_mul_f32_e32 v21, s6, v21
	s_wait_alu 0xfffe
	s_delay_alu instid0(VALU_DEP_1) | instskip(NEXT) | instid1(VALU_DEP_1)
	v_cndmask_b32_e64 v20, 0, v21, s3
	v_dual_max_num_f32 v21, v8, v8 :: v_dual_fmac_f32 v20, s7, v19
	s_delay_alu instid0(VALU_DEP_1) | instskip(SKIP_2) | instid1(VALU_DEP_2)
	v_max_num_f32_e32 v19, v21, v20
	s_wait_alu 0xf1ff
	v_cndmask_b32_e64 v20, 0, v20, s4
	v_cndmask_b32_e64 v8, v8, v19, s4
	ds_store_b32 v13, v20
	s_branch .LBB83_9
.LBB83_12:
	s_or_b32 exec_lo, exec_lo, s10
.LBB83_13:
	s_delay_alu instid0(SALU_CYCLE_1)
	s_or_b32 exec_lo, exec_lo, s11
	v_xor_b32_e32 v1, 16, v5
	v_xor_b32_e32 v11, 8, v5
	s_clause 0x2
	s_load_b128 s[4:7], s[0:1], 0x0
	s_load_b64 s[10:11], s[0:1], 0x10
	s_load_b64 s[22:23], s[0:1], 0x28
	v_dual_max_num_f32 v12, v8, v8 :: v_dual_lshlrev_b32 v13, 2, v9
	v_cmp_lt_i32_e32 vcc_lo, v1, v7
	v_cndmask_b32_e32 v1, v5, v1, vcc_lo
	v_cmp_lt_i32_e32 vcc_lo, v11, v7
	s_delay_alu instid0(VALU_DEP_2) | instskip(SKIP_4) | instid1(VALU_DEP_1)
	v_lshlrev_b32_e32 v2, 2, v1
	ds_bpermute_b32 v1, v2, v8
	s_wait_dscnt 0x0
	v_max_num_f32_e32 v1, v1, v1
	s_wait_alu 0xfffd
	v_dual_cndmask_b32 v8, v5, v11 :: v_dual_max_num_f32 v1, v12, v1
	s_delay_alu instid0(VALU_DEP_1)
	v_lshlrev_b32_e32 v8, 2, v8
	v_xor_b32_e32 v12, 4, v5
	ds_bpermute_b32 v11, v8, v1
	v_cmp_lt_i32_e32 vcc_lo, v12, v7
	s_wait_alu 0xfffd
	v_cndmask_b32_e32 v12, v5, v12, vcc_lo
	s_delay_alu instid0(VALU_DEP_1) | instskip(SKIP_2) | instid1(VALU_DEP_1)
	v_lshlrev_b32_e32 v15, 2, v12
	s_wait_dscnt 0x0
	v_max_num_f32_e32 v11, v11, v11
	v_max_num_f32_e32 v1, v1, v11
	v_and_b32_e32 v11, 31, v0
	ds_bpermute_b32 v12, v15, v1
	v_cmp_eq_u32_e32 vcc_lo, 0, v11
	s_and_saveexec_b32 s0, vcc_lo
	s_cbranch_execz .LBB83_15
; %bb.14:
	s_wait_dscnt 0x0
	v_dual_max_num_f32 v12, v12, v12 :: v_dual_max_num_f32 v1, v1, v1
	s_delay_alu instid0(VALU_DEP_1)
	v_max_num_f32_e32 v1, v1, v12
	ds_store_b32 v13, v1 offset:160
.LBB83_15:
	s_or_b32 exec_lo, exec_lo, s0
	v_cmp_gt_u32_e64 s0, 4, v11
	v_dual_mov_b32 v1, 0xff7fffff :: v_dual_lshlrev_b32 v14, 2, v11
	s_wait_loadcnt_dscnt 0x0
	s_barrier_signal -1
	s_barrier_wait -1
	global_inv scope:SCOPE_SE
	s_and_saveexec_b32 s1, s0
; %bb.16:
	ds_load_b32 v1, v14 offset:160
; %bb.17:
	s_or_b32 exec_lo, exec_lo, s1
	v_xor_b32_e32 v12, 2, v5
	v_xor_b32_e32 v17, 1, v5
	v_lshlrev_b32_e32 v6, 2, v6
	s_delay_alu instid0(VALU_DEP_3) | instskip(NEXT) | instid1(VALU_DEP_1)
	v_cmp_lt_i32_e64 s1, v12, v7
	v_cndmask_b32_e64 v12, v5, v12, s1
	s_delay_alu instid0(VALU_DEP_4) | instskip(NEXT) | instid1(VALU_DEP_2)
	v_cmp_lt_i32_e64 s1, v17, v7
	v_lshlrev_b32_e32 v16, 2, v12
	s_wait_alu 0xf1ff
	s_delay_alu instid0(VALU_DEP_2)
	v_cndmask_b32_e64 v7, v5, v17, s1
	s_sub_co_i32 s1, s13, s28
	s_wait_alu 0xfffe
	s_lshl_b32 s1, s1, 3
	s_wait_dscnt 0x0
	ds_bpermute_b32 v12, v16, v1
	v_max_num_f32_e32 v1, v1, v1
	v_lshlrev_b32_e32 v7, 2, v7
	s_wait_alu 0xfffe
	s_add_co_i32 s1, s1, s26
	s_wait_alu 0xfffe
	s_min_i32 s1, s1, s25
	s_wait_alu 0xfffe
	s_sub_co_i32 s19, s1, s26
	s_wait_alu 0xfffe
	v_cmp_gt_i32_e64 s1, s19, v0
	s_wait_dscnt 0x0
	v_max_num_f32_e32 v12, v12, v12
	s_delay_alu instid0(VALU_DEP_1) | instskip(SKIP_3) | instid1(VALU_DEP_1)
	v_max_num_f32_e32 v1, v1, v12
	ds_bpermute_b32 v12, v7, v1
	s_wait_dscnt 0x0
	v_max_num_f32_e32 v12, v12, v12
	v_max_num_f32_e32 v1, v1, v12
	v_lshl_add_u32 v12, v0, 2, 0xc0
	ds_bpermute_b32 v1, v6, v1
	v_mov_b32_e32 v6, 0
	s_and_saveexec_b32 s28, s1
	s_cbranch_execz .LBB83_21
; %bb.18:
	v_lshl_add_u32 v17, v0, 2, 0xc0
	v_mov_b32_e32 v6, 0
	v_mov_b32_e32 v18, v0
	s_mov_b32 s29, 0
.LBB83_19:                              ; =>This Inner Loop Header: Depth=1
	ds_load_b32 v19, v17
	v_add_nc_u32_e32 v18, 0x80, v18
	s_delay_alu instid0(VALU_DEP_1) | instskip(SKIP_4) | instid1(VALU_DEP_1)
	v_cmp_le_i32_e64 s3, s19, v18
	s_wait_alu 0xfffe
	s_or_b32 s29, s3, s29
	s_wait_dscnt 0x0
	v_sub_f32_e32 v19, v19, v1
	v_mul_f32_e32 v19, 0x3fb8aa3b, v19
	s_delay_alu instid0(VALU_DEP_1)
	v_exp_f32_e32 v19, v19
	ds_store_b32 v17, v19
	v_dual_add_f32 v6, v6, v19 :: v_dual_add_nc_u32 v17, 0x200, v17
	s_wait_alu 0xfffe
	s_and_not1_b32 exec_lo, exec_lo, s29
	s_cbranch_execnz .LBB83_19
; %bb.20:
	s_or_b32 exec_lo, exec_lo, s29
.LBB83_21:
	s_wait_alu 0xfffe
	s_or_b32 exec_lo, exec_lo, s28
	ds_bpermute_b32 v2, v2, v6
	s_wait_dscnt 0x0
	v_add_f32_e32 v2, v6, v2
	ds_bpermute_b32 v6, v8, v2
	s_wait_dscnt 0x0
	v_add_f32_e32 v2, v2, v6
	;; [unrolled: 3-line block ×5, first 2 shown]
	s_and_saveexec_b32 s3, vcc_lo
; %bb.22:
	ds_store_b32 v13, v2 offset:176
; %bb.23:
	s_wait_alu 0xfffe
	s_or_b32 exec_lo, exec_lo, s3
	s_wait_loadcnt_dscnt 0x0
	s_barrier_signal -1
	s_barrier_wait -1
	global_inv scope:SCOPE_SE
	s_and_saveexec_b32 s3, s0
; %bb.24:
	ds_load_b32 v2, v14 offset:176
; %bb.25:
	s_wait_alu 0xfffe
	s_or_b32 exec_lo, exec_lo, s3
	s_wait_dscnt 0x0
	ds_bpermute_b32 v6, v16, v2
	v_lshlrev_b32_e32 v5, 2, v5
	s_wait_dscnt 0x0
	s_delay_alu instid0(VALU_DEP_1)
	v_dual_add_f32 v2, v2, v6 :: v_dual_and_b32 v5, 0xffffff80, v5
	ds_bpermute_b32 v6, v7, v2
	s_wait_dscnt 0x0
	v_add_f32_e32 v2, v2, v6
	ds_bpermute_b32 v2, v5, v2
	s_and_saveexec_b32 s0, s1
	s_cbranch_execz .LBB83_28
; %bb.26:
	s_wait_dscnt 0x0
	v_add_f32_e32 v6, 0x358637bd, v2
	s_mov_b32 s1, 0
	s_delay_alu instid0(VALU_DEP_1) | instskip(NEXT) | instid1(VALU_DEP_1)
	v_div_scale_f32 v5, null, v6, v6, 1.0
	v_rcp_f32_e32 v7, v5
	s_delay_alu instid0(TRANS32_DEP_1) | instskip(NEXT) | instid1(VALU_DEP_1)
	v_fma_f32 v8, -v5, v7, 1.0
	v_fmac_f32_e32 v7, v8, v7
	v_div_scale_f32 v13, vcc_lo, 1.0, v6, 1.0
	s_delay_alu instid0(VALU_DEP_1) | instskip(NEXT) | instid1(VALU_DEP_1)
	v_mul_f32_e32 v8, v13, v7
	v_fma_f32 v14, -v5, v8, v13
	s_delay_alu instid0(VALU_DEP_1) | instskip(NEXT) | instid1(VALU_DEP_1)
	v_fmac_f32_e32 v8, v14, v7
	v_fma_f32 v5, -v5, v8, v13
	s_wait_alu 0xfffd
	s_delay_alu instid0(VALU_DEP_1) | instskip(SKIP_1) | instid1(VALU_DEP_2)
	v_div_fmas_f32 v7, v5, v7, v8
	v_mov_b32_e32 v5, v12
	v_div_fixup_f32 v6, v7, v6, 1.0
	v_mov_b32_e32 v7, v0
.LBB83_27:                              ; =>This Inner Loop Header: Depth=1
	ds_load_b32 v8, v5
	s_wait_dscnt 0x0
	v_dual_mul_f32 v8, v6, v8 :: v_dual_add_nc_u32 v7, 0x80, v7
	s_delay_alu instid0(VALU_DEP_1)
	v_cmp_le_i32_e32 vcc_lo, s19, v7
	ds_store_b32 v5, v8
	v_add_nc_u32_e32 v5, 0x200, v5
	s_wait_alu 0xfffe
	s_or_b32 s1, vcc_lo, s1
	s_wait_alu 0xfffe
	s_and_not1_b32 exec_lo, exec_lo, s1
	s_cbranch_execnz .LBB83_27
.LBB83_28:
	s_wait_alu 0xfffe
	s_or_b32 exec_lo, exec_lo, s0
	s_wait_kmcnt 0x0
	s_mul_i32 s0, s8, s20
	s_wait_loadcnt_dscnt 0x0
	s_wait_alu 0xfffe
	s_mul_i32 s20, s0, s21
	s_mov_b32 s0, exec_lo
	s_barrier_signal -1
	s_barrier_wait -1
	global_inv scope:SCOPE_SE
	v_cmpx_eq_u32_e32 0, v0
	s_cbranch_execz .LBB83_30
; %bb.29:
	s_ashr_i32 s21, s20, 31
	s_wait_alu 0xfffe
	s_mul_i32 s28, s8, ttmp9
	s_lshl_b32 s1, s24, 2
	s_lshl_b64 s[30:31], s[20:21], 2
	s_wait_alu 0xfffe
	s_ashr_i32 s29, s28, 31
	v_mov_b32_e32 v5, s1
	s_add_nc_u64 s[6:7], s[6:7], s[30:31]
	s_wait_alu 0xfffe
	s_lshl_b64 s[28:29], s[28:29], 2
	s_add_nc_u64 s[4:5], s[4:5], s[30:31]
	s_wait_alu 0xfffe
	s_add_nc_u64 s[6:7], s[6:7], s[28:29]
	s_add_nc_u64 s[4:5], s[4:5], s[28:29]
	s_clause 0x1
	global_store_b32 v5, v1, s[6:7]
	global_store_b32 v5, v2, s[4:5]
.LBB83_30:
	s_wait_alu 0xfffe
	s_or_b32 exec_lo, exec_lo, s0
	v_dual_mov_b32 v15, 0 :: v_dual_mov_b32 v14, 0
	v_or_b32_e32 v16, 64, v11
	v_mov_b32_e32 v13, 0
	s_and_saveexec_b32 s4, s2
	s_cbranch_execz .LBB83_42
; %bb.31:
	s_lshl_b64 s[2:3], s[14:15], 2
	v_dual_mov_b32 v14, 0 :: v_dual_lshlrev_b32 v1, 3, v11
	v_dual_mov_b32 v13, 0 :: v_dual_lshlrev_b32 v2, 3, v16
	s_wait_alu 0xfffe
	s_add_nc_u64 s[2:3], s[16:17], s[2:3]
	s_ashr_i32 s19, s18, 31
	s_wait_alu 0xfffe
	v_add_co_u32 v5, s2, s2, v3
	v_add3_u32 v17, s26, v4, 7
	v_lshl_add_u32 v18, v9, 5, 0xc0
	s_wait_alu 0xf1ff
	v_add_co_ci_u32_e64 v6, null, s3, 0, s2
	v_lshlrev_b32_e32 v19, 1, v1
	v_dual_mov_b32 v15, 0 :: v_dual_lshlrev_b32 v20, 1, v2
	s_lshl_b64 s[0:1], s[18:19], 1
	s_mov_b32 s5, s9
	s_wait_alu 0xfffe
	s_add_nc_u64 s[2:3], s[22:23], s[0:1]
	s_add_co_i32 s27, s27, -1
	s_mov_b32 s6, 0
	v_cmp_gt_u32_e32 vcc_lo, 0x50, v16
	s_branch .LBB83_34
.LBB83_32:                              ;   in Loop: Header=BB83_34 Depth=1
	s_wait_alu 0xfffe
	s_or_b32 exec_lo, exec_lo, s1
	v_lshlrev_b32_e32 v21, 16, v30
	v_lshlrev_b32_e32 v25, 16, v25
	v_lshlrev_b32_e32 v24, 16, v24
	s_delay_alu instid0(VALU_DEP_3) | instskip(NEXT) | instid1(VALU_DEP_3)
	v_and_or_b32 v1, 0xffff, v1, v21
	v_and_or_b32 v2, 0xffff, v2, v25
	s_delay_alu instid0(VALU_DEP_3)
	v_and_or_b32 v3, 0xffff, v3, v24
	;;#ASMSTART
	v_pk_mul_f16 v1, v27, v1;

	;;#ASMEND
	;;#ASMSTART
	v_pk_mul_f16 v2, v26, v2;

	;;#ASMEND
	;; [unrolled: 4-line block ×4, first 2 shown]
	;;#ASMSTART
	v_pk_add_f16 v1, v1, v2;

	;;#ASMEND
	;;#ASMSTART
	v_pk_add_f16 v1, v1, v3;

	;;#ASMEND
	;; [unrolled: 4-line block ×3, first 2 shown]
	v_and_b32_e32 v2, 0xffff, v1
	v_lshrrev_b32_e32 v3, 16, v1
	;;#ASMSTART
	v_cvt_f32_f16 v1, v2;
	;;#ASMEND
	;;#ASMSTART
	v_cvt_f32_f16 v2, v3;
	;;#ASMEND
	s_delay_alu instid0(VALU_DEP_2) | instskip(NEXT) | instid1(VALU_DEP_1)
	v_add_f32_e32 v1, v1, v2
	v_add_f32_e32 v13, v13, v1
.LBB83_33:                              ;   in Loop: Header=BB83_34 Depth=1
	s_wait_alu 0xfffe
	s_or_b32 exec_lo, exec_lo, s7
	v_dual_add_f32 v1, v7, v8 :: v_dual_add_nc_u32 v10, 4, v10
	v_add_f32_e32 v2, v22, v23
	v_add_co_u32 v5, s1, v5, 16
	s_delay_alu instid0(VALU_DEP_3) | instskip(SKIP_1) | instid1(VALU_DEP_4)
	v_cmp_le_i32_e64 s0, s13, v10
	v_add_nc_u32_e32 v17, 32, v17
	v_dual_add_f32 v14, v14, v1 :: v_dual_add_f32 v15, v15, v2
	v_add_nc_u32_e32 v18, 0x80, v18
	s_wait_alu 0xf1ff
	v_add_co_ci_u32_e64 v6, null, 0, v6, s1
	s_or_b32 s6, s0, s6
	s_wait_alu 0xfffe
	s_and_not1_b32 exec_lo, exec_lo, s6
	s_cbranch_execz .LBB83_41
.LBB83_34:                              ; =>This Inner Loop Header: Depth=1
	global_load_b32 v7, v[5:6], off
	ds_load_2addr_b64 v[1:4], v18 offset1:1
	ds_load_2addr_b64 v[31:34], v18 offset0:2 offset1:3
	s_wait_dscnt 0x1
	;;#ASMSTART
	v_cvt_f16_f32 v27, v1;

	;;#ASMEND
	;;#ASMSTART
	v_cvt_f16_f32 v22, v2;

	;;#ASMEND
	;;#ASMSTART
	v_cvt_f16_f32 v30, v3;

	;;#ASMEND
	;;#ASMSTART
	v_cvt_f16_f32 v26, v4;

	;;#ASMEND
	s_wait_dscnt 0x0
	;;#ASMSTART
	v_cvt_f16_f32 v31, v31;

	;;#ASMEND
	;;#ASMSTART
	v_cvt_f16_f32 v28, v32;

	;;#ASMEND
	;; [unrolled: 4-line block ×4, first 2 shown]
	v_add_nc_u32_e32 v21, -7, v17
	s_wait_loadcnt 0x0
	v_mad_co_i64_i32 v[7:8], null, v7, s5, 0
	s_delay_alu instid0(VALU_DEP_1) | instskip(SKIP_1) | instid1(VALU_DEP_1)
	v_lshlrev_b64_e32 v[7:8], 1, v[7:8]
	s_wait_alu 0xfffe
	v_add_co_u32 v24, s0, s2, v7
	s_wait_alu 0xf1ff
	s_delay_alu instid0(VALU_DEP_2) | instskip(NEXT) | instid1(VALU_DEP_2)
	v_add_co_ci_u32_e64 v25, null, s3, v8, s0
	v_add_co_u32 v7, s0, v24, v19
	s_wait_alu 0xf1ff
	s_delay_alu instid0(VALU_DEP_2)
	v_add_co_ci_u32_e64 v8, null, 0, v25, s0
	v_cmp_eq_u32_e64 s0, s27, v10
	global_load_b128 v[1:4], v[7:8], off
	s_wait_loadcnt 0x0
	v_lshrrev_b32_e32 v34, 16, v1
	v_lshrrev_b32_e32 v33, 16, v2
	;; [unrolled: 1-line block ×3, first 2 shown]
	s_and_saveexec_b32 s7, s0
	s_cbranch_execz .LBB83_36
; %bb.35:                               ;   in Loop: Header=BB83_34 Depth=1
	v_add_nc_u32_e32 v35, -6, v17
	v_cmp_gt_i32_e64 s1, s25, v21
	v_add_nc_u32_e32 v36, -5, v17
	v_add_nc_u32_e32 v37, -4, v17
	v_add_nc_u32_e32 v38, -2, v17
	s_wait_alu 0xf1ff
	v_cndmask_b32_e64 v1, 0, v1, s1
	v_cmp_gt_i32_e64 s1, s25, v35
	v_add_nc_u32_e32 v35, -1, v17
	s_wait_alu 0xf1ff
	s_delay_alu instid0(VALU_DEP_2) | instskip(SKIP_4) | instid1(VALU_DEP_3)
	v_cndmask_b32_e64 v34, 0, v34, s1
	v_cmp_gt_i32_e64 s1, s25, v36
	v_and_b32_e32 v36, 0xffff, v4
	v_and_b32_e32 v4, 0xffff0000, v4
	s_wait_alu 0xf1ff
	v_cndmask_b32_e64 v2, 0, v2, s1
	v_cmp_gt_i32_e64 s1, s25, v37
	v_add_nc_u32_e32 v37, -3, v17
	s_wait_alu 0xf1ff
	s_delay_alu instid0(VALU_DEP_2) | instskip(SKIP_2) | instid1(VALU_DEP_1)
	v_cndmask_b32_e64 v33, 0, v33, s1
	v_cmp_gt_i32_e64 s1, s25, v35
	s_wait_alu 0xf1ff
	v_cndmask_b32_e64 v35, 0, v36, s1
	v_cmp_gt_i32_e64 s1, s25, v17
	s_wait_alu 0xf1ff
	s_delay_alu instid0(VALU_DEP_1) | instskip(SKIP_1) | instid1(VALU_DEP_2)
	v_cndmask_b32_e64 v4, 0, v4, s1
	v_cmp_gt_i32_e64 s1, s25, v37
	v_or_b32_e32 v4, v35, v4
	s_wait_alu 0xf1ff
	s_delay_alu instid0(VALU_DEP_2) | instskip(SKIP_2) | instid1(VALU_DEP_1)
	v_cndmask_b32_e64 v3, 0, v3, s1
	v_cmp_gt_i32_e64 s1, s25, v38
	s_wait_alu 0xf1ff
	v_cndmask_b32_e64 v32, 0, v32, s1
.LBB83_36:                              ;   in Loop: Header=BB83_34 Depth=1
	s_wait_alu 0xfffe
	s_or_b32 exec_lo, exec_lo, s7
	v_and_b32_e32 v27, 0xffff, v27
	v_and_b32_e32 v30, 0xffff, v30
	v_lshlrev_b32_e32 v34, 16, v34
	v_and_b32_e32 v31, 0xffff, v31
	v_and_b32_e32 v29, 0xffff, v29
	v_lshl_or_b32 v27, v22, 16, v27
	v_lshl_or_b32 v26, v26, 16, v30
	v_lshlrev_b32_e32 v22, 16, v33
	v_lshlrev_b32_e32 v30, 16, v32
	v_and_or_b32 v1, 0xffff, v1, v34
	;;#ASMSTART
	v_pk_mul_f16 v1, v27, v1;

	;;#ASMEND
	v_lshl_or_b32 v28, v28, 16, v31
	v_and_or_b32 v2, 0xffff, v2, v22
	v_and_or_b32 v3, 0xffff, v3, v30
	v_lshl_or_b32 v29, v23, 16, v29
	;;#ASMSTART
	v_pk_mul_f16 v2, v26, v2;

	;;#ASMEND
	;;#ASMSTART
	v_pk_mul_f16 v3, v28, v3;

	;;#ASMEND
	;; [unrolled: 4-line block ×3, first 2 shown]
	;;#ASMSTART
	v_pk_add_f16 v1, v1, v2;

	;;#ASMEND
	;;#ASMSTART
	v_pk_add_f16 v1, v1, v3;

	;;#ASMEND
	;; [unrolled: 4-line block ×3, first 2 shown]
	v_and_b32_e32 v2, 0xffff, v1
	v_lshrrev_b32_e32 v1, 16, v1
	;;#ASMSTART
	v_cvt_f32_f16 v22, v2;
	;;#ASMEND
	;;#ASMSTART
	v_cvt_f32_f16 v23, v1;
	;;#ASMEND
	global_load_b128 v[1:4], v[7:8], off offset:512
	s_wait_loadcnt 0x0
	v_lshrrev_b32_e32 v30, 16, v1
	v_lshrrev_b32_e32 v8, 16, v2
	;; [unrolled: 1-line block ×3, first 2 shown]
	s_and_saveexec_b32 s7, s0
	s_cbranch_execz .LBB83_38
; %bb.37:                               ;   in Loop: Header=BB83_34 Depth=1
	v_add_nc_u32_e32 v31, -6, v17
	v_cmp_gt_i32_e64 s1, s25, v21
	v_add_nc_u32_e32 v32, -5, v17
	v_add_nc_u32_e32 v33, -4, v17
	;; [unrolled: 1-line block ×3, first 2 shown]
	s_wait_alu 0xf1ff
	v_cndmask_b32_e64 v1, 0, v1, s1
	v_cmp_gt_i32_e64 s1, s25, v31
	v_add_nc_u32_e32 v31, -1, v17
	s_wait_alu 0xf1ff
	s_delay_alu instid0(VALU_DEP_2) | instskip(SKIP_4) | instid1(VALU_DEP_3)
	v_cndmask_b32_e64 v30, 0, v30, s1
	v_cmp_gt_i32_e64 s1, s25, v32
	v_and_b32_e32 v32, 0xffff, v4
	v_and_b32_e32 v4, 0xffff0000, v4
	s_wait_alu 0xf1ff
	v_cndmask_b32_e64 v2, 0, v2, s1
	v_cmp_gt_i32_e64 s1, s25, v33
	v_add_nc_u32_e32 v33, -3, v17
	s_wait_alu 0xf1ff
	s_delay_alu instid0(VALU_DEP_2) | instskip(SKIP_2) | instid1(VALU_DEP_1)
	v_cndmask_b32_e64 v8, 0, v8, s1
	v_cmp_gt_i32_e64 s1, s25, v31
	s_wait_alu 0xf1ff
	v_cndmask_b32_e64 v31, 0, v32, s1
	v_cmp_gt_i32_e64 s1, s25, v17
	s_wait_alu 0xf1ff
	s_delay_alu instid0(VALU_DEP_1) | instskip(SKIP_1) | instid1(VALU_DEP_2)
	v_cndmask_b32_e64 v4, 0, v4, s1
	v_cmp_gt_i32_e64 s1, s25, v33
	v_or_b32_e32 v4, v31, v4
	s_wait_alu 0xf1ff
	s_delay_alu instid0(VALU_DEP_2) | instskip(SKIP_2) | instid1(VALU_DEP_1)
	v_cndmask_b32_e64 v3, 0, v3, s1
	v_cmp_gt_i32_e64 s1, s25, v34
	s_wait_alu 0xf1ff
	v_cndmask_b32_e64 v7, 0, v7, s1
.LBB83_38:                              ;   in Loop: Header=BB83_34 Depth=1
	s_wait_alu 0xfffe
	s_or_b32 exec_lo, exec_lo, s7
	v_lshlrev_b32_e32 v30, 16, v30
	v_lshlrev_b32_e32 v8, 16, v8
	;; [unrolled: 1-line block ×3, first 2 shown]
	s_delay_alu instid0(VALU_DEP_3) | instskip(NEXT) | instid1(VALU_DEP_3)
	v_and_or_b32 v1, 0xffff, v1, v30
	v_and_or_b32 v2, 0xffff, v2, v8
	s_delay_alu instid0(VALU_DEP_3)
	v_and_or_b32 v3, 0xffff, v3, v7
	;;#ASMSTART
	v_pk_mul_f16 v1, v27, v1;

	;;#ASMEND
	;;#ASMSTART
	v_pk_mul_f16 v2, v26, v2;

	;;#ASMEND
	;; [unrolled: 4-line block ×4, first 2 shown]
	;;#ASMSTART
	v_pk_add_f16 v1, v1, v2;

	;;#ASMEND
	;;#ASMSTART
	v_pk_add_f16 v1, v1, v3;

	;;#ASMEND
	;; [unrolled: 4-line block ×3, first 2 shown]
	v_and_b32_e32 v2, 0xffff, v1
	v_lshrrev_b32_e32 v1, 16, v1
	;;#ASMSTART
	v_cvt_f32_f16 v7, v2;
	;;#ASMEND
	;;#ASMSTART
	v_cvt_f32_f16 v8, v1;
	;;#ASMEND
	s_and_saveexec_b32 s7, vcc_lo
	s_cbranch_execz .LBB83_33
; %bb.39:                               ;   in Loop: Header=BB83_34 Depth=1
	v_add_co_u32 v1, s1, v24, v20
	s_wait_alu 0xf1ff
	v_add_co_ci_u32_e64 v2, null, 0, v25, s1
	global_load_b128 v[1:4], v[1:2], off
	s_wait_loadcnt 0x0
	v_lshrrev_b32_e32 v30, 16, v1
	v_lshrrev_b32_e32 v25, 16, v2
	v_lshrrev_b32_e32 v24, 16, v3
	s_and_saveexec_b32 s1, s0
	s_cbranch_execz .LBB83_32
; %bb.40:                               ;   in Loop: Header=BB83_34 Depth=1
	v_add_nc_u32_e32 v31, -6, v17
	v_cmp_gt_i32_e64 s0, s25, v21
	v_add_nc_u32_e32 v32, -5, v17
	v_add_nc_u32_e32 v21, -4, v17
	;; [unrolled: 1-line block ×3, first 2 shown]
	s_wait_alu 0xf1ff
	v_cndmask_b32_e64 v1, 0, v1, s0
	v_cmp_gt_i32_e64 s0, s25, v31
	v_and_b32_e32 v31, 0xffff, v4
	v_and_b32_e32 v4, 0xffff0000, v4
	s_wait_alu 0xf1ff
	s_delay_alu instid0(VALU_DEP_3) | instskip(SKIP_3) | instid1(VALU_DEP_2)
	v_cndmask_b32_e64 v30, 0, v30, s0
	v_cmp_gt_i32_e64 s0, s25, v32
	v_add_nc_u32_e32 v32, -3, v17
	s_wait_alu 0xf1ff
	v_cndmask_b32_e64 v2, 0, v2, s0
	v_cmp_gt_i32_e64 s0, s25, v21
	v_add_nc_u32_e32 v21, -1, v17
	s_wait_alu 0xf1ff
	s_delay_alu instid0(VALU_DEP_2) | instskip(NEXT) | instid1(VALU_DEP_2)
	v_cndmask_b32_e64 v25, 0, v25, s0
	v_cmp_gt_i32_e64 s0, s25, v21
	s_wait_alu 0xf1ff
	s_delay_alu instid0(VALU_DEP_1) | instskip(SKIP_2) | instid1(VALU_DEP_1)
	v_cndmask_b32_e64 v21, 0, v31, s0
	v_cmp_gt_i32_e64 s0, s25, v17
	s_wait_alu 0xf1ff
	v_cndmask_b32_e64 v4, 0, v4, s0
	v_cmp_gt_i32_e64 s0, s25, v32
	s_delay_alu instid0(VALU_DEP_2) | instskip(SKIP_1) | instid1(VALU_DEP_2)
	v_or_b32_e32 v4, v21, v4
	s_wait_alu 0xf1ff
	v_cndmask_b32_e64 v3, 0, v3, s0
	v_cmp_gt_i32_e64 s0, s25, v33
	s_wait_alu 0xf1ff
	s_delay_alu instid0(VALU_DEP_1)
	v_cndmask_b32_e64 v24, 0, v24, s0
	s_branch .LBB83_32
.LBB83_41:
	s_or_b32 exec_lo, exec_lo, s6
.LBB83_42:
	s_wait_alu 0xfffe
	s_or_b32 exec_lo, exec_lo, s4
	s_movk_i32 s0, 0x140
	v_and_b32_e32 v2, 0x3c0, v0
	s_wait_alu 0xfffe
	v_mad_u32_u24 v1, v9, s0, 0xc0
	s_mov_b32 s0, exec_lo
	s_wait_loadcnt 0x0
	s_wait_storecnt 0x0
	s_barrier_signal -1
	s_barrier_wait -1
	global_inv scope:SCOPE_SE
	v_cmpx_eq_u32_e32 64, v2
	s_cbranch_execz .LBB83_45
; %bb.43:
	v_add_nc_u32_e32 v2, 0xfffffd80, v1
	v_cmp_gt_u32_e32 vcc_lo, 0x50, v16
	s_delay_alu instid0(VALU_DEP_2)
	v_lshl_add_u32 v3, v11, 2, v2
	ds_store_2addr_b32 v3, v15, v14 offset1:32
	s_and_b32 exec_lo, exec_lo, vcc_lo
; %bb.44:
	v_lshl_add_u32 v2, v16, 2, v2
	ds_store_b32 v2, v13
.LBB83_45:
	s_wait_alu 0xfffe
	s_or_b32 exec_lo, exec_lo, s0
	v_lshl_add_u32 v2, v11, 2, v1
	s_mov_b32 s0, exec_lo
	s_wait_loadcnt_dscnt 0x0
	s_barrier_signal -1
	s_barrier_wait -1
	global_inv scope:SCOPE_SE
	v_cmpx_gt_u32_e32 64, v0
	s_cbranch_execz .LBB83_49
; %bb.46:
	v_lshl_or_b32 v3, v0, 2, 0x80
	s_mov_b32 s1, exec_lo
	s_delay_alu instid0(VALU_DEP_1)
	v_add_nc_u32_e32 v4, v1, v3
	ds_load_b32 v3, v2
	ds_load_b32 v4, v4
	v_cmpx_gt_u32_e32 0x50, v16
	s_cbranch_execz .LBB83_48
; %bb.47:
	ds_load_b32 v5, v2 offset:256
	s_wait_dscnt 0x0
	v_add_f32_e32 v13, v13, v5
.LBB83_48:
	s_wait_alu 0xfffe
	s_or_b32 exec_lo, exec_lo, s1
	s_wait_dscnt 0x0
	v_dual_add_f32 v15, v15, v3 :: v_dual_add_f32 v14, v14, v4
.LBB83_49:
	s_wait_alu 0xfffe
	s_or_b32 exec_lo, exec_lo, s0
	v_and_b32_e32 v3, 0x3e0, v0
	s_mov_b32 s0, exec_lo
	s_wait_loadcnt 0x0
	s_barrier_signal -1
	s_barrier_wait -1
	global_inv scope:SCOPE_SE
	v_cmpx_eq_u32_e32 32, v3
	s_cbranch_execz .LBB83_52
; %bb.50:
	v_lshl_add_u32 v3, v11, 2, 0xc0
	v_cmp_gt_u32_e32 vcc_lo, 0x50, v16
	ds_store_b32 v3, v15
	ds_store_b32 v12, v14
	s_and_b32 exec_lo, exec_lo, vcc_lo
; %bb.51:
	ds_store_b32 v3, v13 offset:256
.LBB83_52:
	s_wait_alu 0xfffe
	s_or_b32 exec_lo, exec_lo, s0
	v_cmp_gt_u32_e32 vcc_lo, 32, v0
	v_or_b32_e32 v3, 64, v0
	s_wait_loadcnt_dscnt 0x0
	s_barrier_signal -1
	s_barrier_wait -1
	global_inv scope:SCOPE_SE
	s_and_saveexec_b32 s1, vcc_lo
	s_cbranch_execz .LBB83_56
; %bb.53:
	v_lshl_add_u32 v4, v0, 2, v1
	s_mov_b32 s2, exec_lo
	ds_load_b32 v1, v2
	ds_load_b32 v2, v4 offset:128
	v_cmpx_gt_u32_e32 0x50, v3
	s_cbranch_execz .LBB83_55
; %bb.54:
	ds_load_b32 v4, v4 offset:256
	s_wait_dscnt 0x0
	v_add_f32_e32 v13, v13, v4
.LBB83_55:
	s_wait_alu 0xfffe
	s_or_b32 exec_lo, exec_lo, s2
	s_wait_dscnt 0x0
	v_dual_add_f32 v15, v15, v1 :: v_dual_add_f32 v14, v14, v2
.LBB83_56:
	s_wait_alu 0xfffe
	s_or_b32 exec_lo, exec_lo, s1
	s_wait_loadcnt 0x0
	s_barrier_signal -1
	s_barrier_wait -1
	global_inv scope:SCOPE_SE
	s_and_saveexec_b32 s0, vcc_lo
	s_cbranch_execz .LBB83_59
; %bb.57:
	s_mul_i32 s0, s20, 0x50
	s_mul_i32 s2, s8, s12
	s_wait_alu 0xfffe
	s_ashr_i32 s1, s0, 31
	s_ashr_i32 s3, s2, 31
	s_wait_alu 0xfffe
	s_lshl_b64 s[0:1], s[0:1], 1
	s_lshl_b64 s[2:3], s[2:3], 1
	s_wait_alu 0xfffe
	s_add_nc_u64 s[0:1], s[10:11], s[0:1]
	v_lshlrev_b32_e32 v0, 1, v0
	v_cmp_gt_u32_e32 vcc_lo, 0x50, v3
	s_mul_i32 s4, s24, 0xa0
	s_wait_alu 0xfffe
	s_add_nc_u64 s[0:1], s[0:1], s[2:3]
	s_mov_b32 s5, 0
	;;#ASMSTART
	v_cvt_f16_f32 v1, v15;

	;;#ASMEND
	s_wait_alu 0xfffe
	s_add_nc_u64 s[0:1], s[0:1], s[4:5]
	global_store_b16 v0, v1, s[0:1]
	;;#ASMSTART
	v_cvt_f16_f32 v1, v14;

	;;#ASMEND
	global_store_b16 v0, v1, s[0:1] offset:64
	s_and_b32 exec_lo, exec_lo, vcc_lo
	s_cbranch_execz .LBB83_59
; %bb.58:
	s_wait_alu 0xfffe
	v_add_co_u32 v0, s0, s0, v0
	s_wait_alu 0xf1ff
	v_add_co_ci_u32_e64 v1, null, s1, 0, s0
	;;#ASMSTART
	v_cvt_f16_f32 v2, v13;

	;;#ASMEND
	global_store_b16 v[0:1], v2, off offset:128
.LBB83_59:
	s_endpgm
	.section	.rodata,"a",@progbits
	.p2align	6, 0x0
	.amdhsa_kernel _ZN4vllm25paged_attention_v2_kernelIttLi80ELi8ELi128ELNS_18Fp8KVCacheDataTypeE0ELb0ELi512EEEvPfS2_PT_PKS3_PKT0_S9_ifPKiSB_iPKfiiiSD_SD_iiiii
		.amdhsa_group_segment_fixed_size 192
		.amdhsa_private_segment_fixed_size 0
		.amdhsa_kernarg_size 400
		.amdhsa_user_sgpr_count 2
		.amdhsa_user_sgpr_dispatch_ptr 0
		.amdhsa_user_sgpr_queue_ptr 0
		.amdhsa_user_sgpr_kernarg_segment_ptr 1
		.amdhsa_user_sgpr_dispatch_id 0
		.amdhsa_user_sgpr_private_segment_size 0
		.amdhsa_wavefront_size32 1
		.amdhsa_uses_dynamic_stack 0
		.amdhsa_enable_private_segment 0
		.amdhsa_system_sgpr_workgroup_id_x 1
		.amdhsa_system_sgpr_workgroup_id_y 1
		.amdhsa_system_sgpr_workgroup_id_z 1
		.amdhsa_system_sgpr_workgroup_info 0
		.amdhsa_system_vgpr_workitem_id 0
		.amdhsa_next_free_vgpr 54
		.amdhsa_next_free_sgpr 32
		.amdhsa_reserve_vcc 1
		.amdhsa_float_round_mode_32 0
		.amdhsa_float_round_mode_16_64 0
		.amdhsa_float_denorm_mode_32 3
		.amdhsa_float_denorm_mode_16_64 3
		.amdhsa_fp16_overflow 0
		.amdhsa_workgroup_processor_mode 1
		.amdhsa_memory_ordered 1
		.amdhsa_forward_progress 1
		.amdhsa_inst_pref_size 41
		.amdhsa_round_robin_scheduling 0
		.amdhsa_exception_fp_ieee_invalid_op 0
		.amdhsa_exception_fp_denorm_src 0
		.amdhsa_exception_fp_ieee_div_zero 0
		.amdhsa_exception_fp_ieee_overflow 0
		.amdhsa_exception_fp_ieee_underflow 0
		.amdhsa_exception_fp_ieee_inexact 0
		.amdhsa_exception_int_div_zero 0
	.end_amdhsa_kernel
	.section	.text._ZN4vllm25paged_attention_v2_kernelIttLi80ELi8ELi128ELNS_18Fp8KVCacheDataTypeE0ELb0ELi512EEEvPfS2_PT_PKS3_PKT0_S9_ifPKiSB_iPKfiiiSD_SD_iiiii,"axG",@progbits,_ZN4vllm25paged_attention_v2_kernelIttLi80ELi8ELi128ELNS_18Fp8KVCacheDataTypeE0ELb0ELi512EEEvPfS2_PT_PKS3_PKT0_S9_ifPKiSB_iPKfiiiSD_SD_iiiii,comdat
.Lfunc_end83:
	.size	_ZN4vllm25paged_attention_v2_kernelIttLi80ELi8ELi128ELNS_18Fp8KVCacheDataTypeE0ELb0ELi512EEEvPfS2_PT_PKS3_PKT0_S9_ifPKiSB_iPKfiiiSD_SD_iiiii, .Lfunc_end83-_ZN4vllm25paged_attention_v2_kernelIttLi80ELi8ELi128ELNS_18Fp8KVCacheDataTypeE0ELb0ELi512EEEvPfS2_PT_PKS3_PKT0_S9_ifPKiSB_iPKfiiiSD_SD_iiiii
                                        ; -- End function
	.set _ZN4vllm25paged_attention_v2_kernelIttLi80ELi8ELi128ELNS_18Fp8KVCacheDataTypeE0ELb0ELi512EEEvPfS2_PT_PKS3_PKT0_S9_ifPKiSB_iPKfiiiSD_SD_iiiii.num_vgpr, 54
	.set _ZN4vllm25paged_attention_v2_kernelIttLi80ELi8ELi128ELNS_18Fp8KVCacheDataTypeE0ELb0ELi512EEEvPfS2_PT_PKS3_PKT0_S9_ifPKiSB_iPKfiiiSD_SD_iiiii.num_agpr, 0
	.set _ZN4vllm25paged_attention_v2_kernelIttLi80ELi8ELi128ELNS_18Fp8KVCacheDataTypeE0ELb0ELi512EEEvPfS2_PT_PKS3_PKT0_S9_ifPKiSB_iPKfiiiSD_SD_iiiii.numbered_sgpr, 32
	.set _ZN4vllm25paged_attention_v2_kernelIttLi80ELi8ELi128ELNS_18Fp8KVCacheDataTypeE0ELb0ELi512EEEvPfS2_PT_PKS3_PKT0_S9_ifPKiSB_iPKfiiiSD_SD_iiiii.num_named_barrier, 0
	.set _ZN4vllm25paged_attention_v2_kernelIttLi80ELi8ELi128ELNS_18Fp8KVCacheDataTypeE0ELb0ELi512EEEvPfS2_PT_PKS3_PKT0_S9_ifPKiSB_iPKfiiiSD_SD_iiiii.private_seg_size, 0
	.set _ZN4vllm25paged_attention_v2_kernelIttLi80ELi8ELi128ELNS_18Fp8KVCacheDataTypeE0ELb0ELi512EEEvPfS2_PT_PKS3_PKT0_S9_ifPKiSB_iPKfiiiSD_SD_iiiii.uses_vcc, 1
	.set _ZN4vllm25paged_attention_v2_kernelIttLi80ELi8ELi128ELNS_18Fp8KVCacheDataTypeE0ELb0ELi512EEEvPfS2_PT_PKS3_PKT0_S9_ifPKiSB_iPKfiiiSD_SD_iiiii.uses_flat_scratch, 0
	.set _ZN4vllm25paged_attention_v2_kernelIttLi80ELi8ELi128ELNS_18Fp8KVCacheDataTypeE0ELb0ELi512EEEvPfS2_PT_PKS3_PKT0_S9_ifPKiSB_iPKfiiiSD_SD_iiiii.has_dyn_sized_stack, 0
	.set _ZN4vllm25paged_attention_v2_kernelIttLi80ELi8ELi128ELNS_18Fp8KVCacheDataTypeE0ELb0ELi512EEEvPfS2_PT_PKS3_PKT0_S9_ifPKiSB_iPKfiiiSD_SD_iiiii.has_recursion, 0
	.set _ZN4vllm25paged_attention_v2_kernelIttLi80ELi8ELi128ELNS_18Fp8KVCacheDataTypeE0ELb0ELi512EEEvPfS2_PT_PKS3_PKT0_S9_ifPKiSB_iPKfiiiSD_SD_iiiii.has_indirect_call, 0
	.section	.AMDGPU.csdata,"",@progbits
; Kernel info:
; codeLenInByte = 5196
; TotalNumSgprs: 34
; NumVgprs: 54
; ScratchSize: 0
; MemoryBound: 0
; FloatMode: 240
; IeeeMode: 1
; LDSByteSize: 192 bytes/workgroup (compile time only)
; SGPRBlocks: 0
; VGPRBlocks: 6
; NumSGPRsForWavesPerEU: 34
; NumVGPRsForWavesPerEU: 54
; Occupancy: 16
; WaveLimiterHint : 1
; COMPUTE_PGM_RSRC2:SCRATCH_EN: 0
; COMPUTE_PGM_RSRC2:USER_SGPR: 2
; COMPUTE_PGM_RSRC2:TRAP_HANDLER: 0
; COMPUTE_PGM_RSRC2:TGID_X_EN: 1
; COMPUTE_PGM_RSRC2:TGID_Y_EN: 1
; COMPUTE_PGM_RSRC2:TGID_Z_EN: 1
; COMPUTE_PGM_RSRC2:TIDIG_COMP_CNT: 0
	.section	.text._ZN4vllm25paged_attention_v2_kernelIttLi96ELi8ELi128ELNS_18Fp8KVCacheDataTypeE0ELb0ELi512EEEvPfS2_PT_PKS3_PKT0_S9_ifPKiSB_iPKfiiiSD_SD_iiiii,"axG",@progbits,_ZN4vllm25paged_attention_v2_kernelIttLi96ELi8ELi128ELNS_18Fp8KVCacheDataTypeE0ELb0ELi512EEEvPfS2_PT_PKS3_PKT0_S9_ifPKiSB_iPKfiiiSD_SD_iiiii,comdat
	.protected	_ZN4vllm25paged_attention_v2_kernelIttLi96ELi8ELi128ELNS_18Fp8KVCacheDataTypeE0ELb0ELi512EEEvPfS2_PT_PKS3_PKT0_S9_ifPKiSB_iPKfiiiSD_SD_iiiii ; -- Begin function _ZN4vllm25paged_attention_v2_kernelIttLi96ELi8ELi128ELNS_18Fp8KVCacheDataTypeE0ELb0ELi512EEEvPfS2_PT_PKS3_PKT0_S9_ifPKiSB_iPKfiiiSD_SD_iiiii
	.globl	_ZN4vllm25paged_attention_v2_kernelIttLi96ELi8ELi128ELNS_18Fp8KVCacheDataTypeE0ELb0ELi512EEEvPfS2_PT_PKS3_PKT0_S9_ifPKiSB_iPKfiiiSD_SD_iiiii
	.p2align	8
	.type	_ZN4vllm25paged_attention_v2_kernelIttLi96ELi8ELi128ELNS_18Fp8KVCacheDataTypeE0ELb0ELi512EEEvPfS2_PT_PKS3_PKT0_S9_ifPKiSB_iPKfiiiSD_SD_iiiii,@function
_ZN4vllm25paged_attention_v2_kernelIttLi96ELi8ELi128ELNS_18Fp8KVCacheDataTypeE0ELb0ELi512EEEvPfS2_PT_PKS3_PKT0_S9_ifPKiSB_iPKfiiiSD_SD_iiiii: ; @_ZN4vllm25paged_attention_v2_kernelIttLi96ELi8ELi128ELNS_18Fp8KVCacheDataTypeE0ELb0ELi512EEEvPfS2_PT_PKS3_PKT0_S9_ifPKiSB_iPKfiiiSD_SD_iiiii
; %bb.0:
	s_load_b64 s[2:3], s[0:1], 0x40
	s_and_b32 s20, ttmp7, 0xffff
	s_lshr_b32 s24, ttmp7, 16
	s_lshl_b32 s4, s20, 2
	s_lshl_b32 s26, s24, 9
	s_wait_kmcnt 0x0
	s_load_b32 s25, s[2:3], s4 offset:0x0
	s_wait_kmcnt 0x0
	s_cmp_ge_i32 s26, s25
	s_cbranch_scc1 .LBB84_50
; %bb.1:
	s_clause 0x1
	s_load_b32 s21, s[0:1], 0x90
	s_load_b64 s[6:7], s[0:1], 0x30
	s_wait_kmcnt 0x0
	s_abs_i32 s5, s21
	s_abs_i32 s2, s6
	s_delay_alu instid0(SALU_CYCLE_1) | instskip(SKIP_1) | instid1(SALU_CYCLE_2)
	s_cvt_f32_u32 s3, s2
	s_sub_co_i32 s4, 0, s2
	v_rcp_iflag_f32_e32 v1, s3
	s_delay_alu instid0(TRANS32_DEP_1) | instskip(SKIP_2) | instid1(SALU_CYCLE_2)
	v_readfirstlane_b32 s3, v1
	s_mul_f32 s3, s3, 0x4f7ffffe
	s_wait_alu 0xfffe
	s_cvt_u32_f32 s3, s3
	s_wait_alu 0xfffe
	s_delay_alu instid0(SALU_CYCLE_2) | instskip(NEXT) | instid1(SALU_CYCLE_1)
	s_mul_i32 s4, s4, s3
	s_mul_hi_u32 s4, s3, s4
	s_delay_alu instid0(SALU_CYCLE_1)
	s_add_co_i32 s3, s3, s4
	s_xor_b32 s4, s21, s6
	s_wait_alu 0xfffe
	s_mul_hi_u32 s3, s5, s3
	s_ashr_i32 s4, s4, 31
	s_wait_alu 0xfffe
	s_mul_i32 s6, s3, s2
	s_delay_alu instid0(SALU_CYCLE_1)
	s_sub_co_i32 s5, s5, s6
	s_add_co_i32 s6, s3, 1
	s_sub_co_i32 s8, s5, s2
	s_cmp_ge_u32 s5, s2
	s_cselect_b32 s3, s6, s3
	s_cselect_b32 s5, s8, s5
	s_wait_alu 0xfffe
	s_add_co_i32 s6, s3, 1
	s_cmp_ge_u32 s5, s2
	s_load_b64 s[8:9], s[0:1], 0x50
	s_cselect_b32 s2, s6, s3
	s_mov_b32 s3, 0
	s_wait_alu 0xfffe
	s_xor_b32 s2, s2, s4
	s_mov_b32 s6, s3
	s_wait_alu 0xfffe
	s_sub_co_i32 s12, s2, s4
	s_delay_alu instid0(SALU_CYCLE_1) | instskip(NEXT) | instid1(SALU_CYCLE_1)
	s_abs_i32 s11, s12
	s_cvt_f32_u32 s2, s11
	s_wait_alu 0xfffe
	s_delay_alu instid0(SALU_CYCLE_2) | instskip(NEXT) | instid1(TRANS32_DEP_1)
	v_rcp_iflag_f32_e32 v1, s2
	v_readfirstlane_b32 s2, v1
	s_mul_f32 s2, s2, 0x4f7ffffe
	s_wait_alu 0xfffe
	s_delay_alu instid0(SALU_CYCLE_2) | instskip(SKIP_2) | instid1(SALU_CYCLE_1)
	s_cvt_u32_f32 s4, s2
	s_sub_co_i32 s2, 0, s11
	s_wait_alu 0xfffe
	s_mul_i32 s2, s2, s4
	s_wait_alu 0xfffe
	s_mul_hi_u32 s5, s4, s2
	s_abs_i32 s2, ttmp9
	s_add_co_i32 s4, s4, s5
	s_mov_b32 s5, s3
	s_wait_kmcnt 0x0
	s_cmp_eq_u64 s[8:9], 0
	s_cbranch_scc1 .LBB84_3
; %bb.2:
	s_mov_b32 s14, ttmp9
	s_ashr_i32 s15, ttmp9, 31
	s_delay_alu instid0(SALU_CYCLE_1) | instskip(NEXT) | instid1(SALU_CYCLE_1)
	s_lshl_b64 s[14:15], s[14:15], 2
	s_add_nc_u64 s[8:9], s[8:9], s[14:15]
	s_load_b32 s6, s[8:9], 0x0
.LBB84_3:
	s_load_b96 s[8:10], s[0:1], 0x58
	v_and_b32_e32 v1, 3, v0
	v_lshlrev_b32_e32 v2, 2, v0
	s_mul_u64 s[4:5], s[2:3], s[4:5]
	s_ashr_i32 s3, ttmp9, 31
	s_ashr_i32 s4, s12, 31
	s_mul_i32 s12, ttmp9, 0x60
	s_mov_b32 s14, exec_lo
	v_cmpx_gt_u32_e32 48, v0
	s_cbranch_execz .LBB84_5
; %bb.4:
	s_load_b64 s[16:17], s[0:1], 0x18
	s_wait_kmcnt 0x0
	s_mul_i32 s18, s8, s20
	s_ashr_i32 s13, s12, 31
	s_ashr_i32 s19, s18, 31
	v_and_b32_e32 v4, 0x3fc, v0
	s_lshl_b64 s[18:19], s[18:19], 1
	s_delay_alu instid0(VALU_DEP_1) | instskip(SKIP_2) | instid1(SALU_CYCLE_1)
	v_mad_u32_u24 v4, v1, 48, v4
	s_add_nc_u64 s[16:17], s[16:17], s[18:19]
	s_lshl_b64 s[18:19], s[12:13], 1
	s_add_nc_u64 s[16:17], s[16:17], s[18:19]
	global_load_b32 v3, v2, s[16:17]
	s_wait_loadcnt 0x0
	ds_store_b32 v4, v3
.LBB84_5:
	s_or_b32 exec_lo, exec_lo, s14
	s_wait_kmcnt 0x0
	s_add_co_i32 s8, s25, 7
	s_wait_alu 0xfffe
	s_xor_b32 s3, s3, s4
	s_ashr_i32 s13, s8, 31
	s_lshl_b32 s28, s24, 6
	s_lshr_b32 s4, s13, 29
	s_mul_i32 s13, s5, s11
	s_add_co_i32 s8, s8, s4
	s_add_co_i32 s4, s28, 64
	s_ashr_i32 s27, s8, 3
	s_load_b32 s8, s[0:1], 0x48
	s_sub_co_i32 s2, s2, s13
	s_min_i32 s13, s4, s27
	s_add_co_i32 s4, s5, 1
	s_wait_alu 0xfffe
	s_sub_co_i32 s14, s2, s11
	s_cmp_ge_u32 s2, s11
	v_lshrrev_b32_e32 v9, 5, v0
	s_cselect_b32 s4, s4, s5
	s_cselect_b32 s2, s14, s2
	s_add_co_i32 s5, s4, 1
	s_wait_alu 0xfffe
	s_cmp_ge_u32 s2, s11
	v_or_b32_e32 v10, s28, v9
	s_cselect_b32 s2, s5, s4
	v_mbcnt_lo_u32_b32 v5, -1, 0
	s_wait_alu 0xfffe
	s_xor_b32 s2, s2, s3
	s_mov_b32 s4, exec_lo
	s_wait_alu 0xfffe
	s_sub_co_i32 s3, s2, s3
	v_cmp_gt_i32_e64 s2, s13, v10
	s_wait_dscnt 0x0
	s_barrier_signal -1
	s_wait_kmcnt 0x0
	s_mul_i32 s14, s8, s20
	s_barrier_wait -1
	s_ashr_i32 s15, s14, 31
	global_inv scope:SCOPE_SE
                                        ; implicit-def: $vgpr6
                                        ; implicit-def: $vgpr7
	v_cmpx_le_i32_e64 s13, v10
	s_xor_b32 s4, exec_lo, s4
; %bb.6:
	v_dual_mov_b32 v6, 0 :: v_dual_mov_b32 v7, 32
	v_mbcnt_lo_u32_b32 v5, -1, 0
                                        ; implicit-def: $vgpr2
                                        ; implicit-def: $vgpr1
; %bb.7:
	s_or_saveexec_b32 s11, s4
	s_clause 0x1
	s_load_b64 s[16:17], s[0:1], 0x38
	s_load_b32 s8, s[0:1], 0x98
	v_dual_mov_b32 v8, 0xff7fffff :: v_dual_lshlrev_b32 v3, 2, v10
	v_lshlrev_b32_e32 v4, 3, v9
	s_mul_i32 s18, s3, s10
	s_xor_b32 exec_lo, exec_lo, s11
	s_cbranch_execz .LBB84_13
; %bb.8:
	s_load_b64 s[4:5], s[0:1], 0x20
	v_bfe_u32 v7, v0, 2, 3
	s_ashr_i32 s19, s18, 31
	v_mov_b32_e32 v6, 0
	v_mul_u32_u24_e32 v11, 48, v1
	v_cmp_eq_u32_e32 vcc_lo, 0, v1
	v_lshlrev_b32_e32 v1, 4, v7
	v_lshlrev_b32_e32 v8, 2, v7
	s_lshl_b64 s[22:23], s[18:19], 1
	s_cmp_neq_f32 s6, 0
	v_and_b32_e32 v2, 12, v2
	v_add3_u32 v12, s26, v4, v7
	v_lshl_or_b32 v7, v9, 5, v8
	s_cselect_b32 s3, -1, 0
	s_lshl_b64 s[30:31], s[14:15], 2
	v_xor_b32_e32 v16, 2, v5
	s_wait_kmcnt 0x0
	s_add_nc_u64 s[30:31], s[16:17], s[30:31]
	v_dual_mov_b32 v18, v10 :: v_dual_add_nc_u32 v13, 0xe0, v7
	v_mov_b32_e32 v7, 32
	s_add_nc_u64 s[4:5], s[4:5], s[22:23]
	v_xor_b32_e32 v17, 1, v5
	v_add_co_u32 v1, s4, s4, v1
	s_wait_alu 0xf1ff
	v_add_co_ci_u32_e64 v8, null, s5, 0, s4
	s_mov_b32 s19, s9
	v_add_co_u32 v14, s4, v1, v2
	s_wait_alu 0xf1ff
	v_add_co_ci_u32_e64 v15, null, 0, v8, s4
	v_add_co_u32 v1, s4, s30, v3
	s_wait_alu 0xf1ff
	v_add_co_ci_u32_e64 v2, null, s31, 0, s4
	v_mov_b32_e32 v8, 0xff7fffff
	s_mov_b32 s10, 0
	s_sub_co_i32 s22, 1, s25
	s_branch .LBB84_10
.LBB84_9:                               ;   in Loop: Header=BB84_10 Depth=1
	s_wait_alu 0xfffe
	s_or_b32 exec_lo, exec_lo, s5
	v_add_nc_u32_e32 v18, 4, v18
	v_add_co_u32 v1, s5, v1, 16
	v_add_nc_u32_e32 v12, 32, v12
	v_add_nc_u32_e32 v13, 0x80, v13
	s_delay_alu instid0(VALU_DEP_4) | instskip(SKIP_3) | instid1(SALU_CYCLE_1)
	v_cmp_le_i32_e64 s4, s13, v18
	s_wait_alu 0xf1ff
	v_add_co_ci_u32_e64 v2, null, 0, v2, s5
	s_or_b32 s10, s4, s10
	s_and_not1_b32 exec_lo, exec_lo, s10
	s_cbranch_execz .LBB84_12
.LBB84_10:                              ; =>This Inner Loop Header: Depth=1
	global_load_b32 v19, v[1:2], off
	s_wait_loadcnt_dscnt 0x0
	v_mad_co_i64_i32 v[19:20], null, v19, s19, 0
	s_delay_alu instid0(VALU_DEP_1) | instskip(NEXT) | instid1(VALU_DEP_1)
	v_lshlrev_b64_e32 v[19:20], 1, v[19:20]
	v_add_co_u32 v19, s4, v14, v19
	s_wait_alu 0xf1ff
	s_delay_alu instid0(VALU_DEP_2)
	v_add_co_ci_u32_e64 v20, null, v15, v20, s4
	v_cmp_gt_i32_e64 s4, 32, v16
	s_clause 0xb
	global_load_b32 v21, v[19:20], off
	global_load_b32 v22, v[19:20], off offset:128
	global_load_b32 v23, v[19:20], off offset:256
	;; [unrolled: 1-line block ×11, first 2 shown]
	ds_load_b32 v32, v11
	s_wait_dscnt 0x0
	v_and_b32_e32 v20, 0xffff, v32
	v_lshrrev_b32_e32 v32, 16, v32
	;;#ASMSTART
	v_cvt_f32_f16 v20, v20;
	;;#ASMEND
	s_wait_loadcnt 0xb
	v_and_b32_e32 v33, 0xffff, v21
	v_lshrrev_b32_e32 v34, 16, v21
	;;#ASMSTART
	v_cvt_f32_f16 v21, v32;
	;;#ASMEND
	;;#ASMSTART
	v_cvt_f32_f16 v32, v33;
	;;#ASMEND
	;; [unrolled: 3-line block ×3, first 2 shown]
	ds_load_b32 v34, v11 offset:4
	s_wait_loadcnt 0xa
	v_and_b32_e32 v36, 0xffff, v22
	v_lshrrev_b32_e32 v37, 16, v22
	s_wait_loadcnt 0x9
	v_lshrrev_b32_e32 v40, 16, v23
	s_wait_loadcnt 0x2
	v_lshrrev_b32_e32 v59, 16, v30
	v_and_b32_e32 v61, 0xffff, v30
	v_and_b32_e32 v42, 0xffff, v24
	v_lshrrev_b32_e32 v43, 16, v24
	v_lshrrev_b32_e32 v46, 16, v25
	v_and_b32_e32 v48, 0xffff, v26
	v_lshrrev_b32_e32 v49, 16, v26
	v_lshrrev_b32_e32 v52, 16, v27
	;; [unrolled: 3-line block ×3, first 2 shown]
	s_wait_dscnt 0x0
	v_and_b32_e32 v35, 0xffff, v34
	v_lshrrev_b32_e32 v34, 16, v34
	;;#ASMSTART
	v_cvt_f32_f16 v22, v35;
	;;#ASMEND
	;;#ASMSTART
	v_cvt_f32_f16 v34, v34;
	;;#ASMEND
	;; [unrolled: 3-line block ×4, first 2 shown]
	ds_load_b32 v37, v11 offset:8
	v_mul_f32_e32 v22, v22, v35
	v_dual_mul_f32 v30, v34, v36 :: v_dual_and_b32 v39, 0xffff, v23
	s_delay_alu instid0(VALU_DEP_2) | instskip(NEXT) | instid1(VALU_DEP_2)
	v_fmac_f32_e32 v22, v20, v32
	v_fmac_f32_e32 v30, v21, v33
	s_wait_dscnt 0x0
	v_and_b32_e32 v38, 0xffff, v37
	v_lshrrev_b32_e32 v37, 16, v37
	;;#ASMSTART
	v_cvt_f32_f16 v23, v38;
	;;#ASMEND
	;;#ASMSTART
	v_cvt_f32_f16 v37, v37;
	;;#ASMEND
	;; [unrolled: 3-line block ×4, first 2 shown]
	ds_load_b32 v40, v11 offset:12
	v_dual_fmac_f32 v22, v23, v38 :: v_dual_and_b32 v45, 0xffff, v25
	s_wait_dscnt 0x0
	v_dual_fmac_f32 v30, v37, v39 :: v_dual_and_b32 v41, 0xffff, v40
	v_lshrrev_b32_e32 v40, 16, v40
	;;#ASMSTART
	v_cvt_f32_f16 v24, v41;
	;;#ASMEND
	;;#ASMSTART
	v_cvt_f32_f16 v40, v40;
	;;#ASMEND
	;; [unrolled: 3-line block ×4, first 2 shown]
	ds_load_b32 v43, v11 offset:16
	v_dual_fmac_f32 v22, v24, v41 :: v_dual_and_b32 v51, 0xffff, v27
	s_wait_loadcnt 0x1
	v_lshrrev_b32_e32 v24, 16, v31
	v_fmac_f32_e32 v30, v40, v42
	s_wait_dscnt 0x0
	v_and_b32_e32 v44, 0xffff, v43
	v_lshrrev_b32_e32 v43, 16, v43
	;;#ASMSTART
	v_cvt_f32_f16 v25, v44;
	;;#ASMEND
	;;#ASMSTART
	v_cvt_f32_f16 v43, v43;
	;;#ASMEND
	;; [unrolled: 3-line block ×4, first 2 shown]
	ds_load_b32 v46, v11 offset:20
	v_dual_fmac_f32 v22, v25, v44 :: v_dual_and_b32 v57, 0xffff, v29
	s_wait_dscnt 0x0
	v_dual_fmac_f32 v30, v43, v45 :: v_dual_and_b32 v47, 0xffff, v46
	v_lshrrev_b32_e32 v46, 16, v46
	;;#ASMSTART
	v_cvt_f32_f16 v26, v47;
	;;#ASMEND
	;;#ASMSTART
	v_cvt_f32_f16 v46, v46;
	;;#ASMEND
	;; [unrolled: 3-line block ×4, first 2 shown]
	ds_load_b32 v49, v11 offset:24
	v_dual_fmac_f32 v30, v46, v48 :: v_dual_and_b32 v23, 0xffff, v31
	v_fmac_f32_e32 v22, v26, v47
	s_wait_alu 0xf1ff
	v_cndmask_b32_e64 v26, v5, v16, s4
	v_cmp_gt_i32_e64 s4, 32, v17
	s_wait_dscnt 0x0
	v_and_b32_e32 v50, 0xffff, v49
	v_lshrrev_b32_e32 v49, 16, v49
	;;#ASMSTART
	v_cvt_f32_f16 v27, v50;
	;;#ASMEND
	;;#ASMSTART
	v_cvt_f32_f16 v49, v49;
	;;#ASMEND
	;;#ASMSTART
	v_cvt_f32_f16 v50, v51;
	;;#ASMEND
	;;#ASMSTART
	v_cvt_f32_f16 v51, v52;
	;;#ASMEND
	ds_load_b32 v52, v11 offset:28
	v_fmac_f32_e32 v22, v27, v50
	v_fmac_f32_e32 v30, v49, v51
	s_wait_loadcnt 0x0
	v_lshrrev_b32_e32 v27, 16, v19
	s_wait_dscnt 0x0
	v_and_b32_e32 v53, 0xffff, v52
	v_lshrrev_b32_e32 v52, 16, v52
	;;#ASMSTART
	v_cvt_f32_f16 v28, v53;
	;;#ASMEND
	;;#ASMSTART
	v_cvt_f32_f16 v52, v52;
	;;#ASMEND
	;; [unrolled: 3-line block ×4, first 2 shown]
	ds_load_b32 v55, v11 offset:32
	v_fmac_f32_e32 v22, v28, v53
	v_fmac_f32_e32 v30, v52, v54
	s_wait_dscnt 0x0
	v_and_b32_e32 v56, 0xffff, v55
	v_lshrrev_b32_e32 v55, 16, v55
	;;#ASMSTART
	v_cvt_f32_f16 v29, v56;
	;;#ASMEND
	;;#ASMSTART
	v_cvt_f32_f16 v55, v55;
	;;#ASMEND
	;;#ASMSTART
	v_cvt_f32_f16 v56, v57;
	;;#ASMEND
	;;#ASMSTART
	v_cvt_f32_f16 v57, v58;
	;;#ASMEND
	ds_load_b32 v58, v11 offset:36
	v_fmac_f32_e32 v22, v29, v56
	v_dual_fmac_f32 v30, v55, v57 :: v_dual_and_b32 v29, 0xffff, v19
	s_wait_dscnt 0x0
	v_and_b32_e32 v60, 0xffff, v58
	v_lshrrev_b32_e32 v58, 16, v58
	;;#ASMSTART
	v_cvt_f32_f16 v34, v60;
	;;#ASMEND
	;;#ASMSTART
	v_cvt_f32_f16 v35, v58;
	;;#ASMEND
	;; [unrolled: 3-line block ×4, first 2 shown]
	ds_load_b32 v59, v11 offset:40
	v_fmac_f32_e32 v22, v34, v36
	v_fmac_f32_e32 v30, v35, v58
	s_wait_dscnt 0x0
	v_and_b32_e32 v20, 0xffff, v59
	v_lshrrev_b32_e32 v21, 16, v59
	;;#ASMSTART
	v_cvt_f32_f16 v20, v20;
	;;#ASMEND
	;;#ASMSTART
	v_cvt_f32_f16 v21, v21;
	;;#ASMEND
	;; [unrolled: 3-line block ×4, first 2 shown]
	ds_load_b32 v25, v11 offset:44
	v_fmac_f32_e32 v22, v20, v23
	v_fmac_f32_e32 v30, v21, v24
	s_wait_dscnt 0x0
	v_and_b32_e32 v28, 0xffff, v25
	v_lshrrev_b32_e32 v25, 16, v25
	;;#ASMSTART
	v_cvt_f32_f16 v19, v28;
	;;#ASMEND
	;;#ASMSTART
	v_cvt_f32_f16 v20, v25;
	;;#ASMEND
	;; [unrolled: 3-line block ×4, first 2 shown]
	v_fmac_f32_e32 v22, v19, v21
	v_dual_fmac_f32 v30, v20, v23 :: v_dual_lshlrev_b32 v19, 2, v26
	s_wait_alu 0xf1ff
	v_cndmask_b32_e64 v21, v5, v17, s4
	s_delay_alu instid0(VALU_DEP_2)
	v_add_f32_e32 v20, v22, v30
	ds_bpermute_b32 v19, v19, v20
	s_wait_dscnt 0x0
	v_dual_add_f32 v19, v20, v19 :: v_dual_lshlrev_b32 v20, 2, v21
	ds_bpermute_b32 v20, v20, v19
	s_and_saveexec_b32 s5, vcc_lo
	s_cbranch_execz .LBB84_9
; %bb.11:                               ;   in Loop: Header=BB84_10 Depth=1
	s_wait_dscnt 0x0
	v_add_f32_e32 v19, v19, v20
	v_add_nc_u32_e32 v21, s22, v12
	v_cmp_gt_i32_e64 s4, s25, v12
	s_delay_alu instid0(VALU_DEP_2) | instskip(NEXT) | instid1(VALU_DEP_1)
	v_cvt_f32_i32_e32 v21, v21
	v_mul_f32_e32 v21, s6, v21
	s_wait_alu 0xfffe
	s_delay_alu instid0(VALU_DEP_1) | instskip(NEXT) | instid1(VALU_DEP_1)
	v_cndmask_b32_e64 v20, 0, v21, s3
	v_dual_max_num_f32 v21, v8, v8 :: v_dual_fmac_f32 v20, s7, v19
	s_delay_alu instid0(VALU_DEP_1) | instskip(SKIP_2) | instid1(VALU_DEP_2)
	v_max_num_f32_e32 v19, v21, v20
	s_wait_alu 0xf1ff
	v_cndmask_b32_e64 v20, 0, v20, s4
	v_cndmask_b32_e64 v8, v8, v19, s4
	ds_store_b32 v13, v20
	s_branch .LBB84_9
.LBB84_12:
	s_or_b32 exec_lo, exec_lo, s10
.LBB84_13:
	s_delay_alu instid0(SALU_CYCLE_1)
	s_or_b32 exec_lo, exec_lo, s11
	v_xor_b32_e32 v1, 16, v5
	v_xor_b32_e32 v11, 8, v5
	s_clause 0x2
	s_load_b128 s[4:7], s[0:1], 0x0
	s_load_b64 s[10:11], s[0:1], 0x10
	s_load_b64 s[22:23], s[0:1], 0x28
	v_max_num_f32_e32 v12, v8, v8
	v_cmp_lt_i32_e32 vcc_lo, v1, v7
	v_cndmask_b32_e32 v1, v5, v1, vcc_lo
	v_cmp_lt_i32_e32 vcc_lo, v11, v7
	s_delay_alu instid0(VALU_DEP_2) | instskip(SKIP_4) | instid1(VALU_DEP_1)
	v_lshlrev_b32_e32 v2, 2, v1
	ds_bpermute_b32 v1, v2, v8
	s_wait_dscnt 0x0
	v_max_num_f32_e32 v1, v1, v1
	s_wait_alu 0xfffd
	v_dual_cndmask_b32 v8, v5, v11 :: v_dual_max_num_f32 v1, v12, v1
	s_delay_alu instid0(VALU_DEP_1)
	v_lshlrev_b32_e32 v8, 2, v8
	v_xor_b32_e32 v12, 4, v5
	ds_bpermute_b32 v11, v8, v1
	v_cmp_lt_i32_e32 vcc_lo, v12, v7
	s_wait_alu 0xfffd
	v_cndmask_b32_e32 v12, v5, v12, vcc_lo
	s_delay_alu instid0(VALU_DEP_1) | instskip(SKIP_2) | instid1(VALU_DEP_1)
	v_lshlrev_b32_e32 v14, 2, v12
	s_wait_dscnt 0x0
	v_dual_max_num_f32 v11, v11, v11 :: v_dual_lshlrev_b32 v12, 2, v9
	v_max_num_f32_e32 v1, v1, v11
	v_and_b32_e32 v11, 31, v0
	ds_bpermute_b32 v13, v14, v1
	v_cmp_eq_u32_e32 vcc_lo, 0, v11
	s_and_saveexec_b32 s0, vcc_lo
	s_cbranch_execz .LBB84_15
; %bb.14:
	s_wait_dscnt 0x0
	v_max_num_f32_e32 v13, v13, v13
	v_max_num_f32_e32 v1, v1, v1
	s_delay_alu instid0(VALU_DEP_1)
	v_max_num_f32_e32 v1, v1, v13
	ds_store_b32 v12, v1 offset:192
.LBB84_15:
	s_or_b32 exec_lo, exec_lo, s0
	v_cmp_gt_u32_e64 s0, 4, v11
	v_mov_b32_e32 v1, 0xff7fffff
	s_wait_dscnt 0x0
	v_lshlrev_b32_e32 v13, 2, v11
	s_wait_loadcnt 0x0
	s_barrier_signal -1
	s_barrier_wait -1
	global_inv scope:SCOPE_SE
	s_and_saveexec_b32 s1, s0
; %bb.16:
	ds_load_b32 v1, v13 offset:192
; %bb.17:
	s_or_b32 exec_lo, exec_lo, s1
	v_xor_b32_e32 v15, 2, v5
	v_xor_b32_e32 v17, 1, v5
	v_lshlrev_b32_e32 v6, 2, v6
	s_delay_alu instid0(VALU_DEP_3) | instskip(NEXT) | instid1(VALU_DEP_1)
	v_cmp_lt_i32_e64 s1, v15, v7
	v_cndmask_b32_e64 v15, v5, v15, s1
	s_delay_alu instid0(VALU_DEP_4) | instskip(NEXT) | instid1(VALU_DEP_2)
	v_cmp_lt_i32_e64 s1, v17, v7
	v_lshlrev_b32_e32 v15, 2, v15
	s_wait_alu 0xf1ff
	s_delay_alu instid0(VALU_DEP_2)
	v_cndmask_b32_e64 v7, v5, v17, s1
	s_sub_co_i32 s1, s13, s28
	s_wait_alu 0xfffe
	s_lshl_b32 s1, s1, 3
	s_wait_dscnt 0x0
	ds_bpermute_b32 v16, v15, v1
	v_max_num_f32_e32 v1, v1, v1
	v_lshlrev_b32_e32 v7, 2, v7
	s_wait_alu 0xfffe
	s_add_co_i32 s1, s1, s26
	s_wait_alu 0xfffe
	s_min_i32 s1, s1, s25
	s_wait_alu 0xfffe
	s_sub_co_i32 s19, s1, s26
	s_wait_alu 0xfffe
	v_cmp_gt_i32_e64 s1, s19, v0
	s_wait_dscnt 0x0
	v_max_num_f32_e32 v16, v16, v16
	s_delay_alu instid0(VALU_DEP_1) | instskip(SKIP_3) | instid1(VALU_DEP_1)
	v_max_num_f32_e32 v1, v1, v16
	ds_bpermute_b32 v16, v7, v1
	s_wait_dscnt 0x0
	v_max_num_f32_e32 v16, v16, v16
	v_dual_max_num_f32 v1, v1, v16 :: v_dual_mov_b32 v16, 0
	ds_bpermute_b32 v1, v6, v1
	v_lshl_add_u32 v6, v0, 2, 0xe0
	s_and_saveexec_b32 s28, s1
	s_cbranch_execz .LBB84_21
; %bb.18:
	v_lshl_add_u32 v17, v0, 2, 0xe0
	v_mov_b32_e32 v16, 0
	v_mov_b32_e32 v18, v0
	s_mov_b32 s29, 0
.LBB84_19:                              ; =>This Inner Loop Header: Depth=1
	ds_load_b32 v19, v17
	v_add_nc_u32_e32 v18, 0x80, v18
	s_delay_alu instid0(VALU_DEP_1) | instskip(SKIP_4) | instid1(VALU_DEP_1)
	v_cmp_le_i32_e64 s3, s19, v18
	s_wait_alu 0xfffe
	s_or_b32 s29, s3, s29
	s_wait_dscnt 0x0
	v_sub_f32_e32 v19, v19, v1
	v_mul_f32_e32 v19, 0x3fb8aa3b, v19
	s_delay_alu instid0(VALU_DEP_1)
	v_exp_f32_e32 v19, v19
	ds_store_b32 v17, v19
	v_dual_add_f32 v16, v16, v19 :: v_dual_add_nc_u32 v17, 0x200, v17
	s_wait_alu 0xfffe
	s_and_not1_b32 exec_lo, exec_lo, s29
	s_cbranch_execnz .LBB84_19
; %bb.20:
	s_or_b32 exec_lo, exec_lo, s29
.LBB84_21:
	s_wait_alu 0xfffe
	s_or_b32 exec_lo, exec_lo, s28
	ds_bpermute_b32 v2, v2, v16
	s_wait_dscnt 0x0
	v_add_f32_e32 v2, v16, v2
	ds_bpermute_b32 v8, v8, v2
	s_wait_dscnt 0x0
	v_add_f32_e32 v2, v2, v8
	;; [unrolled: 3-line block ×5, first 2 shown]
	s_and_saveexec_b32 s3, vcc_lo
; %bb.22:
	ds_store_b32 v12, v2 offset:208
; %bb.23:
	s_wait_alu 0xfffe
	s_or_b32 exec_lo, exec_lo, s3
	s_wait_loadcnt_dscnt 0x0
	s_barrier_signal -1
	s_barrier_wait -1
	global_inv scope:SCOPE_SE
	s_and_saveexec_b32 s3, s0
; %bb.24:
	ds_load_b32 v2, v13 offset:208
; %bb.25:
	s_wait_alu 0xfffe
	s_or_b32 exec_lo, exec_lo, s3
	s_wait_dscnt 0x0
	ds_bpermute_b32 v8, v15, v2
	v_lshlrev_b32_e32 v5, 2, v5
	s_wait_dscnt 0x0
	s_delay_alu instid0(VALU_DEP_1)
	v_dual_add_f32 v2, v2, v8 :: v_dual_and_b32 v5, 0xffffff80, v5
	ds_bpermute_b32 v7, v7, v2
	s_wait_dscnt 0x0
	v_add_f32_e32 v2, v2, v7
	ds_bpermute_b32 v2, v5, v2
	s_and_saveexec_b32 s0, s1
	s_cbranch_execz .LBB84_28
; %bb.26:
	s_wait_dscnt 0x0
	v_add_f32_e32 v5, 0x358637bd, v2
	s_mov_b32 s1, 0
	s_delay_alu instid0(VALU_DEP_1) | instskip(NEXT) | instid1(VALU_DEP_1)
	v_div_scale_f32 v7, null, v5, v5, 1.0
	v_rcp_f32_e32 v8, v7
	s_delay_alu instid0(TRANS32_DEP_1) | instskip(NEXT) | instid1(VALU_DEP_1)
	v_fma_f32 v12, -v7, v8, 1.0
	v_fmac_f32_e32 v8, v12, v8
	v_div_scale_f32 v13, vcc_lo, 1.0, v5, 1.0
	s_delay_alu instid0(VALU_DEP_1) | instskip(NEXT) | instid1(VALU_DEP_1)
	v_mul_f32_e32 v12, v13, v8
	v_fma_f32 v14, -v7, v12, v13
	s_delay_alu instid0(VALU_DEP_1) | instskip(NEXT) | instid1(VALU_DEP_1)
	v_fmac_f32_e32 v12, v14, v8
	v_fma_f32 v7, -v7, v12, v13
	s_wait_alu 0xfffd
	s_delay_alu instid0(VALU_DEP_1) | instskip(NEXT) | instid1(VALU_DEP_1)
	v_div_fmas_f32 v7, v7, v8, v12
	v_div_fixup_f32 v5, v7, v5, 1.0
	v_mov_b32_e32 v7, v0
.LBB84_27:                              ; =>This Inner Loop Header: Depth=1
	ds_load_b32 v8, v6
	s_wait_dscnt 0x0
	v_dual_mul_f32 v8, v5, v8 :: v_dual_add_nc_u32 v7, 0x80, v7
	s_delay_alu instid0(VALU_DEP_1)
	v_cmp_le_i32_e32 vcc_lo, s19, v7
	ds_store_b32 v6, v8
	v_add_nc_u32_e32 v6, 0x200, v6
	s_wait_alu 0xfffe
	s_or_b32 s1, vcc_lo, s1
	s_wait_alu 0xfffe
	s_and_not1_b32 exec_lo, exec_lo, s1
	s_cbranch_execnz .LBB84_27
.LBB84_28:
	s_wait_alu 0xfffe
	s_or_b32 exec_lo, exec_lo, s0
	s_wait_kmcnt 0x0
	s_mul_i32 s0, s8, s20
	s_wait_loadcnt_dscnt 0x0
	s_wait_alu 0xfffe
	s_mul_i32 s20, s0, s21
	s_mov_b32 s0, exec_lo
	s_barrier_signal -1
	s_barrier_wait -1
	global_inv scope:SCOPE_SE
	v_cmpx_eq_u32_e32 0, v0
	s_cbranch_execz .LBB84_30
; %bb.29:
	s_ashr_i32 s21, s20, 31
	s_wait_alu 0xfffe
	s_mul_i32 s28, s8, ttmp9
	s_lshl_b32 s1, s24, 2
	s_lshl_b64 s[30:31], s[20:21], 2
	s_wait_alu 0xfffe
	s_ashr_i32 s29, s28, 31
	v_mov_b32_e32 v5, s1
	s_add_nc_u64 s[6:7], s[6:7], s[30:31]
	s_wait_alu 0xfffe
	s_lshl_b64 s[28:29], s[28:29], 2
	s_add_nc_u64 s[4:5], s[4:5], s[30:31]
	s_wait_alu 0xfffe
	s_add_nc_u64 s[6:7], s[6:7], s[28:29]
	s_add_nc_u64 s[4:5], s[4:5], s[28:29]
	s_clause 0x1
	global_store_b32 v5, v1, s[6:7]
	global_store_b32 v5, v2, s[4:5]
.LBB84_30:
	s_wait_alu 0xfffe
	s_or_b32 exec_lo, exec_lo, s0
	v_dual_mov_b32 v14, 0 :: v_dual_mov_b32 v13, 0
	v_mov_b32_e32 v12, 0
	s_and_saveexec_b32 s1, s2
	s_cbranch_execz .LBB84_40
; %bb.31:
	s_ashr_i32 s19, s18, 31
	v_dual_mov_b32 v12, 0 :: v_dual_lshlrev_b32 v1, 4, v11
	s_wait_alu 0xfffe
	s_lshl_b64 s[2:3], s[18:19], 1
	v_add3_u32 v17, s26, v4, 7
	s_wait_alu 0xfffe
	s_add_nc_u64 s[2:3], s[22:23], s[2:3]
	v_lshl_add_u32 v18, v9, 5, 0xe0
	s_wait_alu 0xfffe
	v_add_co_u32 v15, s0, s2, v1
	s_wait_alu 0xf1ff
	v_add_co_ci_u32_e64 v16, null, s3, 0, s0
	s_lshl_b64 s[2:3], s[14:15], 2
	v_dual_mov_b32 v13, 0 :: v_dual_mov_b32 v14, 0
	s_wait_alu 0xfffe
	s_add_nc_u64 s[2:3], s[16:17], s[2:3]
	s_add_co_i32 s27, s27, -1
	s_wait_alu 0xfffe
	v_add_co_u32 v5, s0, s2, v3
	s_wait_alu 0xf1ff
	v_add_co_ci_u32_e64 v6, null, s3, 0, s0
	s_mov_b32 s2, s9
	s_mov_b32 s3, 0
	s_branch .LBB84_33
.LBB84_32:                              ;   in Loop: Header=BB84_33 Depth=1
	s_wait_alu 0xfffe
	s_or_b32 exec_lo, exec_lo, s0
	v_lshlrev_b32_e32 v19, 16, v34
	v_lshlrev_b32_e32 v8, 16, v8
	;; [unrolled: 1-line block ×3, first 2 shown]
	v_add_co_u32 v5, s0, v5, 16
	s_delay_alu instid0(VALU_DEP_4) | instskip(NEXT) | instid1(VALU_DEP_4)
	v_and_or_b32 v1, 0xffff, v1, v19
	v_and_or_b32 v2, 0xffff, v2, v8
	s_delay_alu instid0(VALU_DEP_4)
	v_and_or_b32 v3, 0xffff, v3, v7
	;;#ASMSTART
	v_pk_mul_f16 v1, v27, v1;

	;;#ASMEND
	;;#ASMSTART
	v_pk_mul_f16 v2, v26, v2;

	;;#ASMEND
	;; [unrolled: 4-line block ×4, first 2 shown]
	;;#ASMSTART
	v_pk_add_f16 v1, v1, v2;

	;;#ASMEND
	;;#ASMSTART
	v_pk_add_f16 v1, v1, v3;

	;;#ASMEND
	;;#ASMSTART
	v_pk_add_f16 v1, v1, v4;

	;;#ASMEND
	v_and_b32_e32 v3, 0xffff, v1
	v_lshrrev_b32_e32 v4, 16, v1
	;;#ASMSTART
	v_cvt_f32_f16 v3, v3;
	;;#ASMEND
	;;#ASMSTART
	v_cvt_f32_f16 v4, v4;
	;;#ASMEND
	s_delay_alu instid0(VALU_DEP_1) | instskip(SKIP_2) | instid1(VALU_DEP_3)
	v_dual_add_f32 v3, v3, v4 :: v_dual_add_nc_u32 v10, 4, v10
	v_dual_add_f32 v1, v32, v33 :: v_dual_add_f32 v2, v30, v31
	v_add_nc_u32_e32 v17, 32, v17
	v_cmp_le_i32_e32 vcc_lo, s13, v10
	s_delay_alu instid0(VALU_DEP_3) | instskip(NEXT) | instid1(VALU_DEP_4)
	v_dual_add_f32 v13, v13, v1 :: v_dual_add_nc_u32 v18, 0x80, v18
	v_add_f32_e32 v14, v14, v2
	v_add_f32_e32 v12, v12, v3
	s_wait_alu 0xf1ff
	v_add_co_ci_u32_e64 v6, null, 0, v6, s0
	s_or_b32 s3, vcc_lo, s3
	s_wait_alu 0xfffe
	s_and_not1_b32 exec_lo, exec_lo, s3
	s_cbranch_execz .LBB84_39
.LBB84_33:                              ; =>This Inner Loop Header: Depth=1
	global_load_b32 v7, v[5:6], off
	ds_load_2addr_b64 v[1:4], v18 offset1:1
	ds_load_2addr_b64 v[19:22], v18 offset0:2 offset1:3
	v_add_nc_u32_e32 v23, -7, v17
	v_add_nc_u32_e32 v25, -6, v17
	;; [unrolled: 1-line block ×3, first 2 shown]
	s_wait_dscnt 0x1
	;;#ASMSTART
	v_cvt_f16_f32 v27, v1;

	;;#ASMEND
	;;#ASMSTART
	v_cvt_f16_f32 v26, v2;

	;;#ASMEND
	;; [unrolled: 4-line block ×4, first 2 shown]
	s_wait_dscnt 0x0
	;;#ASMSTART
	v_cvt_f16_f32 v33, v19;

	;;#ASMEND
	;;#ASMSTART
	v_cvt_f16_f32 v28, v20;

	;;#ASMEND
	;; [unrolled: 4-line block ×4, first 2 shown]
	v_add_nc_u32_e32 v21, -4, v17
	v_add_nc_u32_e32 v20, -3, v17
	;; [unrolled: 1-line block ×4, first 2 shown]
	s_wait_loadcnt 0x0
	s_wait_alu 0xfffe
	v_mad_co_i64_i32 v[7:8], null, v7, s2, 0
	s_delay_alu instid0(VALU_DEP_1) | instskip(NEXT) | instid1(VALU_DEP_1)
	v_lshlrev_b64_e32 v[7:8], 1, v[7:8]
	v_add_co_u32 v7, vcc_lo, v15, v7
	s_wait_alu 0xfffd
	s_delay_alu instid0(VALU_DEP_2)
	v_add_co_ci_u32_e64 v8, null, v16, v8, vcc_lo
	v_cmp_eq_u32_e32 vcc_lo, s27, v10
	global_load_b128 v[1:4], v[7:8], off
	s_wait_loadcnt 0x0
	v_lshrrev_b32_e32 v36, 16, v1
	v_lshrrev_b32_e32 v35, 16, v2
	;; [unrolled: 1-line block ×3, first 2 shown]
	s_and_saveexec_b32 s4, vcc_lo
	s_cbranch_execz .LBB84_35
; %bb.34:                               ;   in Loop: Header=BB84_33 Depth=1
	v_cmp_gt_i32_e64 s0, s25, v23
	v_and_b32_e32 v37, 0xffff, v4
	v_and_b32_e32 v4, 0xffff0000, v4
	s_wait_alu 0xf1ff
	s_delay_alu instid0(VALU_DEP_3) | instskip(SKIP_2) | instid1(VALU_DEP_1)
	v_cndmask_b32_e64 v1, 0, v1, s0
	v_cmp_gt_i32_e64 s0, s25, v25
	s_wait_alu 0xf1ff
	v_cndmask_b32_e64 v36, 0, v36, s0
	v_cmp_gt_i32_e64 s0, s25, v24
	s_wait_alu 0xf1ff
	s_delay_alu instid0(VALU_DEP_1) | instskip(SKIP_2) | instid1(VALU_DEP_1)
	v_cndmask_b32_e64 v2, 0, v2, s0
	v_cmp_gt_i32_e64 s0, s25, v21
	s_wait_alu 0xf1ff
	v_cndmask_b32_e64 v35, 0, v35, s0
	v_cmp_gt_i32_e64 s0, s25, v22
	s_wait_alu 0xf1ff
	s_delay_alu instid0(VALU_DEP_1) | instskip(SKIP_2) | instid1(VALU_DEP_1)
	v_cndmask_b32_e64 v37, 0, v37, s0
	v_cmp_gt_i32_e64 s0, s25, v17
	s_wait_alu 0xf1ff
	v_cndmask_b32_e64 v4, 0, v4, s0
	v_cmp_gt_i32_e64 s0, s25, v20
	s_delay_alu instid0(VALU_DEP_2) | instskip(SKIP_1) | instid1(VALU_DEP_2)
	v_or_b32_e32 v4, v37, v4
	s_wait_alu 0xf1ff
	v_cndmask_b32_e64 v3, 0, v3, s0
	v_cmp_gt_i32_e64 s0, s25, v19
	s_wait_alu 0xf1ff
	s_delay_alu instid0(VALU_DEP_1)
	v_cndmask_b32_e64 v34, 0, v34, s0
.LBB84_35:                              ;   in Loop: Header=BB84_33 Depth=1
	s_wait_alu 0xfffe
	s_or_b32 exec_lo, exec_lo, s4
	v_and_b32_e32 v27, 0xffff, v27
	v_and_b32_e32 v32, 0xffff, v32
	v_lshlrev_b32_e32 v36, 16, v36
	v_and_b32_e32 v33, 0xffff, v33
	v_and_b32_e32 v31, 0xffff, v31
	v_lshl_or_b32 v27, v26, 16, v27
	v_lshl_or_b32 v26, v30, 16, v32
	v_lshlrev_b32_e32 v30, 16, v35
	v_lshlrev_b32_e32 v32, 16, v34
	v_and_or_b32 v1, 0xffff, v1, v36
	;;#ASMSTART
	v_pk_mul_f16 v1, v27, v1;

	;;#ASMEND
	v_lshl_or_b32 v28, v28, 16, v33
	v_and_or_b32 v2, 0xffff, v2, v30
	v_and_or_b32 v3, 0xffff, v3, v32
	v_lshl_or_b32 v29, v29, 16, v31
	;;#ASMSTART
	v_pk_mul_f16 v2, v26, v2;

	;;#ASMEND
	;;#ASMSTART
	v_pk_mul_f16 v3, v28, v3;

	;;#ASMEND
	;; [unrolled: 4-line block ×3, first 2 shown]
	;;#ASMSTART
	v_pk_add_f16 v1, v1, v2;

	;;#ASMEND
	;;#ASMSTART
	v_pk_add_f16 v1, v1, v3;

	;;#ASMEND
	;; [unrolled: 4-line block ×3, first 2 shown]
	v_and_b32_e32 v2, 0xffff, v1
	v_lshrrev_b32_e32 v1, 16, v1
	;;#ASMSTART
	v_cvt_f32_f16 v30, v2;
	;;#ASMEND
	;;#ASMSTART
	v_cvt_f32_f16 v31, v1;
	;;#ASMEND
	global_load_b128 v[1:4], v[7:8], off offset:512
	s_wait_loadcnt 0x0
	v_lshrrev_b32_e32 v34, 16, v1
	v_lshrrev_b32_e32 v33, 16, v2
	;; [unrolled: 1-line block ×3, first 2 shown]
	s_and_saveexec_b32 s4, vcc_lo
	s_cbranch_execz .LBB84_37
; %bb.36:                               ;   in Loop: Header=BB84_33 Depth=1
	v_cmp_gt_i32_e64 s0, s25, v23
	v_and_b32_e32 v35, 0xffff, v4
	v_and_b32_e32 v4, 0xffff0000, v4
	s_wait_alu 0xf1ff
	s_delay_alu instid0(VALU_DEP_3) | instskip(SKIP_2) | instid1(VALU_DEP_1)
	v_cndmask_b32_e64 v1, 0, v1, s0
	v_cmp_gt_i32_e64 s0, s25, v25
	s_wait_alu 0xf1ff
	v_cndmask_b32_e64 v34, 0, v34, s0
	v_cmp_gt_i32_e64 s0, s25, v24
	s_wait_alu 0xf1ff
	s_delay_alu instid0(VALU_DEP_1) | instskip(SKIP_2) | instid1(VALU_DEP_1)
	v_cndmask_b32_e64 v2, 0, v2, s0
	v_cmp_gt_i32_e64 s0, s25, v21
	s_wait_alu 0xf1ff
	v_cndmask_b32_e64 v33, 0, v33, s0
	v_cmp_gt_i32_e64 s0, s25, v22
	s_wait_alu 0xf1ff
	s_delay_alu instid0(VALU_DEP_1) | instskip(SKIP_2) | instid1(VALU_DEP_1)
	v_cndmask_b32_e64 v35, 0, v35, s0
	v_cmp_gt_i32_e64 s0, s25, v17
	s_wait_alu 0xf1ff
	v_cndmask_b32_e64 v4, 0, v4, s0
	v_cmp_gt_i32_e64 s0, s25, v20
	s_delay_alu instid0(VALU_DEP_2) | instskip(SKIP_1) | instid1(VALU_DEP_2)
	v_or_b32_e32 v4, v35, v4
	s_wait_alu 0xf1ff
	v_cndmask_b32_e64 v3, 0, v3, s0
	v_cmp_gt_i32_e64 s0, s25, v19
	s_wait_alu 0xf1ff
	s_delay_alu instid0(VALU_DEP_1)
	v_cndmask_b32_e64 v32, 0, v32, s0
.LBB84_37:                              ;   in Loop: Header=BB84_33 Depth=1
	s_wait_alu 0xfffe
	s_or_b32 exec_lo, exec_lo, s4
	v_lshlrev_b32_e32 v34, 16, v34
	v_lshlrev_b32_e32 v33, 16, v33
	;; [unrolled: 1-line block ×3, first 2 shown]
	s_delay_alu instid0(VALU_DEP_3) | instskip(NEXT) | instid1(VALU_DEP_3)
	v_and_or_b32 v1, 0xffff, v1, v34
	v_and_or_b32 v2, 0xffff, v2, v33
	s_delay_alu instid0(VALU_DEP_3)
	v_and_or_b32 v3, 0xffff, v3, v32
	;;#ASMSTART
	v_pk_mul_f16 v1, v27, v1;

	;;#ASMEND
	;;#ASMSTART
	v_pk_mul_f16 v2, v26, v2;

	;;#ASMEND
	;; [unrolled: 4-line block ×4, first 2 shown]
	;;#ASMSTART
	v_pk_add_f16 v1, v1, v2;

	;;#ASMEND
	;;#ASMSTART
	v_pk_add_f16 v1, v1, v3;

	;;#ASMEND
	;; [unrolled: 4-line block ×3, first 2 shown]
	v_and_b32_e32 v2, 0xffff, v1
	v_lshrrev_b32_e32 v1, 16, v1
	;;#ASMSTART
	v_cvt_f32_f16 v32, v2;
	;;#ASMEND
	;;#ASMSTART
	v_cvt_f32_f16 v33, v1;
	;;#ASMEND
	global_load_b128 v[1:4], v[7:8], off offset:1024
	s_wait_loadcnt 0x0
	v_lshrrev_b32_e32 v34, 16, v1
	v_lshrrev_b32_e32 v8, 16, v2
	v_lshrrev_b32_e32 v7, 16, v3
	s_and_saveexec_b32 s0, vcc_lo
	s_cbranch_execz .LBB84_32
; %bb.38:                               ;   in Loop: Header=BB84_33 Depth=1
	v_cmp_gt_i32_e32 vcc_lo, s25, v23
	v_and_b32_e32 v23, 0xffff, v4
	s_wait_alu 0xfffd
	v_cndmask_b32_e32 v1, 0, v1, vcc_lo
	v_cmp_gt_i32_e32 vcc_lo, s25, v25
	s_wait_alu 0xfffd
	v_cndmask_b32_e32 v34, 0, v34, vcc_lo
	v_cmp_gt_i32_e32 vcc_lo, s25, v24
	;; [unrolled: 3-line block ×4, first 2 shown]
	s_wait_alu 0xfffd
	v_dual_cndmask_b32 v21, 0, v23 :: v_dual_and_b32 v4, 0xffff0000, v4
	v_cmp_gt_i32_e32 vcc_lo, s25, v17
	s_wait_alu 0xfffd
	s_delay_alu instid0(VALU_DEP_2)
	v_cndmask_b32_e32 v4, 0, v4, vcc_lo
	v_cmp_gt_i32_e32 vcc_lo, s25, v20
	s_wait_alu 0xfffd
	v_cndmask_b32_e32 v3, 0, v3, vcc_lo
	v_cmp_gt_i32_e32 vcc_lo, s25, v19
	s_wait_alu 0xfffd
	v_cndmask_b32_e32 v7, 0, v7, vcc_lo
	v_or_b32_e32 v4, v21, v4
	s_branch .LBB84_32
.LBB84_39:
	s_or_b32 exec_lo, exec_lo, s3
.LBB84_40:
	s_wait_alu 0xfffe
	s_or_b32 exec_lo, exec_lo, s1
	v_lshl_add_u32 v2, v11, 2, 0xe0
	v_and_b32_e32 v3, 0x3c0, v0
	s_mov_b32 s0, exec_lo
	s_wait_loadcnt 0x0
	s_wait_storecnt 0x0
	s_barrier_signal -1
	v_mad_u32_u24 v1, 0x180, v9, v2
	s_barrier_wait -1
	global_inv scope:SCOPE_SE
	v_cmpx_eq_u32_e32 64, v3
	s_cbranch_execz .LBB84_42
; %bb.41:
	v_add_nc_u32_e32 v3, 0xfffffd00, v1
	v_add_nc_u32_e32 v4, 0xfffffd80, v1
	;; [unrolled: 1-line block ×3, first 2 shown]
	ds_store_b32 v3, v14
	ds_store_b32 v4, v13
	ds_store_b32 v5, v12
.LBB84_42:
	s_wait_alu 0xfffe
	s_or_b32 exec_lo, exec_lo, s0
	s_delay_alu instid0(SALU_CYCLE_1)
	s_mov_b32 s0, exec_lo
	s_wait_loadcnt_dscnt 0x0
	s_barrier_signal -1
	s_barrier_wait -1
	global_inv scope:SCOPE_SE
	v_cmpx_gt_u32_e32 64, v0
	s_cbranch_execz .LBB84_44
; %bb.43:
	ds_load_2addr_b32 v[3:4], v1 offset1:32
	ds_load_b32 v5, v1 offset:256
	s_wait_dscnt 0x1
	v_dual_add_f32 v14, v14, v3 :: v_dual_add_f32 v13, v13, v4
	s_wait_dscnt 0x0
	v_add_f32_e32 v12, v12, v5
.LBB84_44:
	s_wait_alu 0xfffe
	s_or_b32 exec_lo, exec_lo, s0
	v_and_b32_e32 v3, 0x3e0, v0
	s_mov_b32 s0, exec_lo
	s_wait_loadcnt 0x0
	s_barrier_signal -1
	s_barrier_wait -1
	global_inv scope:SCOPE_SE
	v_cmpx_eq_u32_e32 32, v3
	s_cbranch_execz .LBB84_46
; %bb.45:
	ds_store_2addr_b32 v2, v14, v13 offset1:32
	ds_store_b32 v2, v12 offset:256
.LBB84_46:
	s_wait_alu 0xfffe
	s_or_b32 exec_lo, exec_lo, s0
	v_cmp_gt_u32_e32 vcc_lo, 32, v0
	s_wait_loadcnt_dscnt 0x0
	s_barrier_signal -1
	s_barrier_wait -1
	global_inv scope:SCOPE_SE
	s_and_saveexec_b32 s0, vcc_lo
	s_cbranch_execz .LBB84_48
; %bb.47:
	ds_load_2addr_b32 v[2:3], v1 offset1:32
	ds_load_b32 v1, v1 offset:256
	s_wait_dscnt 0x1
	v_dual_add_f32 v14, v14, v2 :: v_dual_add_f32 v13, v13, v3
	s_wait_dscnt 0x0
	v_add_f32_e32 v12, v12, v1
.LBB84_48:
	s_wait_alu 0xfffe
	s_or_b32 exec_lo, exec_lo, s0
	s_wait_loadcnt 0x0
	s_barrier_signal -1
	s_barrier_wait -1
	global_inv scope:SCOPE_SE
	s_and_saveexec_b32 s0, vcc_lo
	s_cbranch_execz .LBB84_50
; %bb.49:
	s_mul_i32 s0, s20, 0x60
	s_mul_i32 s2, s8, s12
	s_wait_alu 0xfffe
	s_ashr_i32 s1, s0, 31
	s_ashr_i32 s3, s2, 31
	s_wait_alu 0xfffe
	s_lshl_b64 s[0:1], s[0:1], 1
	s_lshl_b64 s[2:3], s[2:3], 1
	s_wait_alu 0xfffe
	s_add_nc_u64 s[0:1], s[10:11], s[0:1]
	v_lshlrev_b32_e32 v0, 1, v0
	s_mul_i32 s4, s24, 0xc0
	s_wait_alu 0xfffe
	s_add_nc_u64 s[0:1], s[0:1], s[2:3]
	s_mov_b32 s5, 0
	;;#ASMSTART
	v_cvt_f16_f32 v1, v14;

	;;#ASMEND
	s_wait_alu 0xfffe
	s_add_nc_u64 s[0:1], s[0:1], s[4:5]
	global_store_b16 v0, v1, s[0:1]
	;;#ASMSTART
	v_cvt_f16_f32 v1, v13;

	;;#ASMEND
	global_store_b16 v0, v1, s[0:1] offset:64
	;;#ASMSTART
	v_cvt_f16_f32 v1, v12;

	;;#ASMEND
	global_store_b16 v0, v1, s[0:1] offset:128
.LBB84_50:
	s_endpgm
	.section	.rodata,"a",@progbits
	.p2align	6, 0x0
	.amdhsa_kernel _ZN4vllm25paged_attention_v2_kernelIttLi96ELi8ELi128ELNS_18Fp8KVCacheDataTypeE0ELb0ELi512EEEvPfS2_PT_PKS3_PKT0_S9_ifPKiSB_iPKfiiiSD_SD_iiiii
		.amdhsa_group_segment_fixed_size 224
		.amdhsa_private_segment_fixed_size 0
		.amdhsa_kernarg_size 400
		.amdhsa_user_sgpr_count 2
		.amdhsa_user_sgpr_dispatch_ptr 0
		.amdhsa_user_sgpr_queue_ptr 0
		.amdhsa_user_sgpr_kernarg_segment_ptr 1
		.amdhsa_user_sgpr_dispatch_id 0
		.amdhsa_user_sgpr_private_segment_size 0
		.amdhsa_wavefront_size32 1
		.amdhsa_uses_dynamic_stack 0
		.amdhsa_enable_private_segment 0
		.amdhsa_system_sgpr_workgroup_id_x 1
		.amdhsa_system_sgpr_workgroup_id_y 1
		.amdhsa_system_sgpr_workgroup_id_z 1
		.amdhsa_system_sgpr_workgroup_info 0
		.amdhsa_system_vgpr_workitem_id 0
		.amdhsa_next_free_vgpr 62
		.amdhsa_next_free_sgpr 32
		.amdhsa_reserve_vcc 1
		.amdhsa_float_round_mode_32 0
		.amdhsa_float_round_mode_16_64 0
		.amdhsa_float_denorm_mode_32 3
		.amdhsa_float_denorm_mode_16_64 3
		.amdhsa_fp16_overflow 0
		.amdhsa_workgroup_processor_mode 1
		.amdhsa_memory_ordered 1
		.amdhsa_forward_progress 1
		.amdhsa_inst_pref_size 39
		.amdhsa_round_robin_scheduling 0
		.amdhsa_exception_fp_ieee_invalid_op 0
		.amdhsa_exception_fp_denorm_src 0
		.amdhsa_exception_fp_ieee_div_zero 0
		.amdhsa_exception_fp_ieee_overflow 0
		.amdhsa_exception_fp_ieee_underflow 0
		.amdhsa_exception_fp_ieee_inexact 0
		.amdhsa_exception_int_div_zero 0
	.end_amdhsa_kernel
	.section	.text._ZN4vllm25paged_attention_v2_kernelIttLi96ELi8ELi128ELNS_18Fp8KVCacheDataTypeE0ELb0ELi512EEEvPfS2_PT_PKS3_PKT0_S9_ifPKiSB_iPKfiiiSD_SD_iiiii,"axG",@progbits,_ZN4vllm25paged_attention_v2_kernelIttLi96ELi8ELi128ELNS_18Fp8KVCacheDataTypeE0ELb0ELi512EEEvPfS2_PT_PKS3_PKT0_S9_ifPKiSB_iPKfiiiSD_SD_iiiii,comdat
.Lfunc_end84:
	.size	_ZN4vllm25paged_attention_v2_kernelIttLi96ELi8ELi128ELNS_18Fp8KVCacheDataTypeE0ELb0ELi512EEEvPfS2_PT_PKS3_PKT0_S9_ifPKiSB_iPKfiiiSD_SD_iiiii, .Lfunc_end84-_ZN4vllm25paged_attention_v2_kernelIttLi96ELi8ELi128ELNS_18Fp8KVCacheDataTypeE0ELb0ELi512EEEvPfS2_PT_PKS3_PKT0_S9_ifPKiSB_iPKfiiiSD_SD_iiiii
                                        ; -- End function
	.set _ZN4vllm25paged_attention_v2_kernelIttLi96ELi8ELi128ELNS_18Fp8KVCacheDataTypeE0ELb0ELi512EEEvPfS2_PT_PKS3_PKT0_S9_ifPKiSB_iPKfiiiSD_SD_iiiii.num_vgpr, 62
	.set _ZN4vllm25paged_attention_v2_kernelIttLi96ELi8ELi128ELNS_18Fp8KVCacheDataTypeE0ELb0ELi512EEEvPfS2_PT_PKS3_PKT0_S9_ifPKiSB_iPKfiiiSD_SD_iiiii.num_agpr, 0
	.set _ZN4vllm25paged_attention_v2_kernelIttLi96ELi8ELi128ELNS_18Fp8KVCacheDataTypeE0ELb0ELi512EEEvPfS2_PT_PKS3_PKT0_S9_ifPKiSB_iPKfiiiSD_SD_iiiii.numbered_sgpr, 32
	.set _ZN4vllm25paged_attention_v2_kernelIttLi96ELi8ELi128ELNS_18Fp8KVCacheDataTypeE0ELb0ELi512EEEvPfS2_PT_PKS3_PKT0_S9_ifPKiSB_iPKfiiiSD_SD_iiiii.num_named_barrier, 0
	.set _ZN4vllm25paged_attention_v2_kernelIttLi96ELi8ELi128ELNS_18Fp8KVCacheDataTypeE0ELb0ELi512EEEvPfS2_PT_PKS3_PKT0_S9_ifPKiSB_iPKfiiiSD_SD_iiiii.private_seg_size, 0
	.set _ZN4vllm25paged_attention_v2_kernelIttLi96ELi8ELi128ELNS_18Fp8KVCacheDataTypeE0ELb0ELi512EEEvPfS2_PT_PKS3_PKT0_S9_ifPKiSB_iPKfiiiSD_SD_iiiii.uses_vcc, 1
	.set _ZN4vllm25paged_attention_v2_kernelIttLi96ELi8ELi128ELNS_18Fp8KVCacheDataTypeE0ELb0ELi512EEEvPfS2_PT_PKS3_PKT0_S9_ifPKiSB_iPKfiiiSD_SD_iiiii.uses_flat_scratch, 0
	.set _ZN4vllm25paged_attention_v2_kernelIttLi96ELi8ELi128ELNS_18Fp8KVCacheDataTypeE0ELb0ELi512EEEvPfS2_PT_PKS3_PKT0_S9_ifPKiSB_iPKfiiiSD_SD_iiiii.has_dyn_sized_stack, 0
	.set _ZN4vllm25paged_attention_v2_kernelIttLi96ELi8ELi128ELNS_18Fp8KVCacheDataTypeE0ELb0ELi512EEEvPfS2_PT_PKS3_PKT0_S9_ifPKiSB_iPKfiiiSD_SD_iiiii.has_recursion, 0
	.set _ZN4vllm25paged_attention_v2_kernelIttLi96ELi8ELi128ELNS_18Fp8KVCacheDataTypeE0ELb0ELi512EEEvPfS2_PT_PKS3_PKT0_S9_ifPKiSB_iPKfiiiSD_SD_iiiii.has_indirect_call, 0
	.section	.AMDGPU.csdata,"",@progbits
; Kernel info:
; codeLenInByte = 4920
; TotalNumSgprs: 34
; NumVgprs: 62
; ScratchSize: 0
; MemoryBound: 0
; FloatMode: 240
; IeeeMode: 1
; LDSByteSize: 224 bytes/workgroup (compile time only)
; SGPRBlocks: 0
; VGPRBlocks: 7
; NumSGPRsForWavesPerEU: 34
; NumVGPRsForWavesPerEU: 62
; Occupancy: 16
; WaveLimiterHint : 1
; COMPUTE_PGM_RSRC2:SCRATCH_EN: 0
; COMPUTE_PGM_RSRC2:USER_SGPR: 2
; COMPUTE_PGM_RSRC2:TRAP_HANDLER: 0
; COMPUTE_PGM_RSRC2:TGID_X_EN: 1
; COMPUTE_PGM_RSRC2:TGID_Y_EN: 1
; COMPUTE_PGM_RSRC2:TGID_Z_EN: 1
; COMPUTE_PGM_RSRC2:TIDIG_COMP_CNT: 0
	.section	.text._ZN4vllm25paged_attention_v2_kernelIttLi112ELi8ELi128ELNS_18Fp8KVCacheDataTypeE0ELb0ELi512EEEvPfS2_PT_PKS3_PKT0_S9_ifPKiSB_iPKfiiiSD_SD_iiiii,"axG",@progbits,_ZN4vllm25paged_attention_v2_kernelIttLi112ELi8ELi128ELNS_18Fp8KVCacheDataTypeE0ELb0ELi512EEEvPfS2_PT_PKS3_PKT0_S9_ifPKiSB_iPKfiiiSD_SD_iiiii,comdat
	.protected	_ZN4vllm25paged_attention_v2_kernelIttLi112ELi8ELi128ELNS_18Fp8KVCacheDataTypeE0ELb0ELi512EEEvPfS2_PT_PKS3_PKT0_S9_ifPKiSB_iPKfiiiSD_SD_iiiii ; -- Begin function _ZN4vllm25paged_attention_v2_kernelIttLi112ELi8ELi128ELNS_18Fp8KVCacheDataTypeE0ELb0ELi512EEEvPfS2_PT_PKS3_PKT0_S9_ifPKiSB_iPKfiiiSD_SD_iiiii
	.globl	_ZN4vllm25paged_attention_v2_kernelIttLi112ELi8ELi128ELNS_18Fp8KVCacheDataTypeE0ELb0ELi512EEEvPfS2_PT_PKS3_PKT0_S9_ifPKiSB_iPKfiiiSD_SD_iiiii
	.p2align	8
	.type	_ZN4vllm25paged_attention_v2_kernelIttLi112ELi8ELi128ELNS_18Fp8KVCacheDataTypeE0ELb0ELi512EEEvPfS2_PT_PKS3_PKT0_S9_ifPKiSB_iPKfiiiSD_SD_iiiii,@function
_ZN4vllm25paged_attention_v2_kernelIttLi112ELi8ELi128ELNS_18Fp8KVCacheDataTypeE0ELb0ELi512EEEvPfS2_PT_PKS3_PKT0_S9_ifPKiSB_iPKfiiiSD_SD_iiiii: ; @_ZN4vllm25paged_attention_v2_kernelIttLi112ELi8ELi128ELNS_18Fp8KVCacheDataTypeE0ELb0ELi512EEEvPfS2_PT_PKS3_PKT0_S9_ifPKiSB_iPKfiiiSD_SD_iiiii
; %bb.0:
	s_load_b64 s[2:3], s[0:1], 0x40
	s_and_b32 s18, ttmp7, 0xffff
	s_lshr_b32 s24, ttmp7, 16
	s_lshl_b32 s4, s18, 2
	s_lshl_b32 s26, s24, 9
	s_wait_kmcnt 0x0
	s_load_b32 s25, s[2:3], s4 offset:0x0
	s_wait_kmcnt 0x0
	s_cmp_ge_i32 s26, s25
	s_cbranch_scc1 .LBB85_61
; %bb.1:
	s_clause 0x1
	s_load_b32 s19, s[0:1], 0x90
	s_load_b64 s[6:7], s[0:1], 0x30
	s_wait_kmcnt 0x0
	s_abs_i32 s5, s19
	s_abs_i32 s2, s6
	s_delay_alu instid0(SALU_CYCLE_1) | instskip(SKIP_1) | instid1(SALU_CYCLE_2)
	s_cvt_f32_u32 s3, s2
	s_sub_co_i32 s4, 0, s2
	v_rcp_iflag_f32_e32 v1, s3
	s_delay_alu instid0(TRANS32_DEP_1) | instskip(SKIP_2) | instid1(SALU_CYCLE_2)
	v_readfirstlane_b32 s3, v1
	s_mul_f32 s3, s3, 0x4f7ffffe
	s_wait_alu 0xfffe
	s_cvt_u32_f32 s3, s3
	s_wait_alu 0xfffe
	s_delay_alu instid0(SALU_CYCLE_2) | instskip(NEXT) | instid1(SALU_CYCLE_1)
	s_mul_i32 s4, s4, s3
	s_mul_hi_u32 s4, s3, s4
	s_delay_alu instid0(SALU_CYCLE_1)
	s_add_co_i32 s3, s3, s4
	s_xor_b32 s4, s19, s6
	s_wait_alu 0xfffe
	s_mul_hi_u32 s3, s5, s3
	s_ashr_i32 s4, s4, 31
	s_wait_alu 0xfffe
	s_mul_i32 s6, s3, s2
	s_delay_alu instid0(SALU_CYCLE_1)
	s_sub_co_i32 s5, s5, s6
	s_add_co_i32 s6, s3, 1
	s_sub_co_i32 s8, s5, s2
	s_cmp_ge_u32 s5, s2
	s_cselect_b32 s3, s6, s3
	s_cselect_b32 s5, s8, s5
	s_wait_alu 0xfffe
	s_add_co_i32 s6, s3, 1
	s_cmp_ge_u32 s5, s2
	s_load_b64 s[8:9], s[0:1], 0x50
	s_cselect_b32 s2, s6, s3
	s_mov_b32 s3, 0
	s_wait_alu 0xfffe
	s_xor_b32 s2, s2, s4
	s_mov_b32 s6, s3
	s_wait_alu 0xfffe
	s_sub_co_i32 s12, s2, s4
	s_delay_alu instid0(SALU_CYCLE_1) | instskip(NEXT) | instid1(SALU_CYCLE_1)
	s_abs_i32 s11, s12
	s_cvt_f32_u32 s2, s11
	s_wait_alu 0xfffe
	s_delay_alu instid0(SALU_CYCLE_2) | instskip(NEXT) | instid1(TRANS32_DEP_1)
	v_rcp_iflag_f32_e32 v1, s2
	v_readfirstlane_b32 s2, v1
	s_mul_f32 s2, s2, 0x4f7ffffe
	s_wait_alu 0xfffe
	s_delay_alu instid0(SALU_CYCLE_2) | instskip(SKIP_2) | instid1(SALU_CYCLE_1)
	s_cvt_u32_f32 s4, s2
	s_sub_co_i32 s2, 0, s11
	s_wait_alu 0xfffe
	s_mul_i32 s2, s2, s4
	s_wait_alu 0xfffe
	s_mul_hi_u32 s5, s4, s2
	s_abs_i32 s2, ttmp9
	s_add_co_i32 s4, s4, s5
	s_mov_b32 s5, s3
	s_wait_kmcnt 0x0
	s_cmp_eq_u64 s[8:9], 0
	s_cbranch_scc1 .LBB85_3
; %bb.2:
	s_mov_b32 s14, ttmp9
	s_ashr_i32 s15, ttmp9, 31
	s_delay_alu instid0(SALU_CYCLE_1) | instskip(NEXT) | instid1(SALU_CYCLE_1)
	s_lshl_b64 s[14:15], s[14:15], 2
	s_add_nc_u64 s[8:9], s[8:9], s[14:15]
	s_load_b32 s6, s[8:9], 0x0
.LBB85_3:
	s_load_b96 s[8:10], s[0:1], 0x58
	v_and_b32_e32 v1, 3, v0
	v_lshlrev_b32_e32 v2, 2, v0
	s_mul_u64 s[4:5], s[2:3], s[4:5]
	s_ashr_i32 s3, ttmp9, 31
	s_ashr_i32 s4, s12, 31
	s_mul_i32 s12, ttmp9, 0x70
	s_mov_b32 s14, exec_lo
	v_cmpx_gt_u32_e32 56, v0
	s_cbranch_execz .LBB85_5
; %bb.4:
	s_load_b64 s[16:17], s[0:1], 0x18
	s_wait_kmcnt 0x0
	s_mul_i32 s20, s8, s18
	s_ashr_i32 s13, s12, 31
	s_ashr_i32 s21, s20, 31
	v_and_b32_e32 v4, 0x3fc, v0
	s_lshl_b64 s[20:21], s[20:21], 1
	s_delay_alu instid0(VALU_DEP_1) | instskip(SKIP_2) | instid1(SALU_CYCLE_1)
	v_mad_u32_u24 v4, v1, 56, v4
	s_add_nc_u64 s[16:17], s[16:17], s[20:21]
	s_lshl_b64 s[20:21], s[12:13], 1
	s_add_nc_u64 s[16:17], s[16:17], s[20:21]
	global_load_b32 v3, v2, s[16:17]
	s_wait_loadcnt 0x0
	ds_store_b32 v4, v3
.LBB85_5:
	s_or_b32 exec_lo, exec_lo, s14
	s_wait_kmcnt 0x0
	s_add_co_i32 s8, s25, 7
	s_wait_alu 0xfffe
	s_xor_b32 s3, s3, s4
	s_ashr_i32 s13, s8, 31
	s_lshl_b32 s28, s24, 6
	s_lshr_b32 s4, s13, 29
	s_mul_i32 s13, s5, s11
	s_add_co_i32 s8, s8, s4
	s_add_co_i32 s4, s28, 64
	s_ashr_i32 s27, s8, 3
	s_load_b32 s8, s[0:1], 0x48
	s_sub_co_i32 s2, s2, s13
	s_min_i32 s13, s4, s27
	s_add_co_i32 s4, s5, 1
	s_wait_alu 0xfffe
	s_sub_co_i32 s14, s2, s11
	s_cmp_ge_u32 s2, s11
	v_lshrrev_b32_e32 v9, 5, v0
	s_cselect_b32 s4, s4, s5
	s_cselect_b32 s2, s14, s2
	s_add_co_i32 s5, s4, 1
	s_wait_alu 0xfffe
	s_cmp_ge_u32 s2, s11
	v_or_b32_e32 v10, s28, v9
	s_cselect_b32 s2, s5, s4
	v_mbcnt_lo_u32_b32 v5, -1, 0
	s_wait_alu 0xfffe
	s_xor_b32 s2, s2, s3
	s_mov_b32 s4, exec_lo
	s_wait_alu 0xfffe
	s_sub_co_i32 s3, s2, s3
	v_cmp_gt_i32_e64 s2, s13, v10
	s_wait_dscnt 0x0
	s_barrier_signal -1
	s_wait_kmcnt 0x0
	s_mul_i32 s14, s8, s18
	s_barrier_wait -1
	s_ashr_i32 s15, s14, 31
	global_inv scope:SCOPE_SE
                                        ; implicit-def: $vgpr6
                                        ; implicit-def: $vgpr7
	v_cmpx_le_i32_e64 s13, v10
	s_xor_b32 s4, exec_lo, s4
; %bb.6:
	v_dual_mov_b32 v6, 0 :: v_dual_mov_b32 v7, 32
	v_mbcnt_lo_u32_b32 v5, -1, 0
                                        ; implicit-def: $vgpr2
                                        ; implicit-def: $vgpr1
; %bb.7:
	s_or_saveexec_b32 s11, s4
	s_clause 0x1
	s_load_b64 s[16:17], s[0:1], 0x38
	s_load_b32 s8, s[0:1], 0x98
	v_dual_mov_b32 v8, 0xff7fffff :: v_dual_lshlrev_b32 v3, 2, v10
	v_lshlrev_b32_e32 v4, 3, v9
	s_mul_i32 s20, s3, s10
	s_xor_b32 exec_lo, exec_lo, s11
	s_cbranch_execz .LBB85_13
; %bb.8:
	s_load_b64 s[4:5], s[0:1], 0x20
	v_bfe_u32 v7, v0, 2, 3
	s_ashr_i32 s21, s20, 31
	v_mov_b32_e32 v6, 0
	v_mul_u32_u24_e32 v11, 56, v1
	v_cmp_eq_u32_e32 vcc_lo, 0, v1
	v_lshlrev_b32_e32 v1, 4, v7
	v_lshlrev_b32_e32 v8, 2, v7
	s_lshl_b64 s[22:23], s[20:21], 1
	s_cmp_neq_f32 s6, 0
	v_and_b32_e32 v2, 12, v2
	v_add3_u32 v12, s26, v4, v7
	v_lshl_or_b32 v7, v9, 5, v8
	s_cselect_b32 s3, -1, 0
	s_lshl_b64 s[30:31], s[14:15], 2
	v_xor_b32_e32 v16, 2, v5
	s_wait_kmcnt 0x0
	s_add_nc_u64 s[30:31], s[16:17], s[30:31]
	v_dual_mov_b32 v18, v10 :: v_dual_add_nc_u32 v13, 0x100, v7
	v_mov_b32_e32 v7, 32
	s_add_nc_u64 s[4:5], s[4:5], s[22:23]
	v_xor_b32_e32 v17, 1, v5
	v_add_co_u32 v1, s4, s4, v1
	s_wait_alu 0xf1ff
	v_add_co_ci_u32_e64 v8, null, s5, 0, s4
	s_mov_b32 s21, s9
	v_add_co_u32 v14, s4, v1, v2
	s_wait_alu 0xf1ff
	v_add_co_ci_u32_e64 v15, null, 0, v8, s4
	v_add_co_u32 v1, s4, s30, v3
	s_wait_alu 0xf1ff
	v_add_co_ci_u32_e64 v2, null, s31, 0, s4
	v_mov_b32_e32 v8, 0xff7fffff
	s_mov_b32 s10, 0
	s_sub_co_i32 s22, 1, s25
	s_branch .LBB85_10
.LBB85_9:                               ;   in Loop: Header=BB85_10 Depth=1
	s_wait_alu 0xfffe
	s_or_b32 exec_lo, exec_lo, s5
	v_add_nc_u32_e32 v18, 4, v18
	v_add_co_u32 v1, s5, v1, 16
	v_add_nc_u32_e32 v12, 32, v12
	v_add_nc_u32_e32 v13, 0x80, v13
	s_delay_alu instid0(VALU_DEP_4) | instskip(SKIP_3) | instid1(SALU_CYCLE_1)
	v_cmp_le_i32_e64 s4, s13, v18
	s_wait_alu 0xf1ff
	v_add_co_ci_u32_e64 v2, null, 0, v2, s5
	s_or_b32 s10, s4, s10
	s_and_not1_b32 exec_lo, exec_lo, s10
	s_cbranch_execz .LBB85_12
.LBB85_10:                              ; =>This Inner Loop Header: Depth=1
	global_load_b32 v19, v[1:2], off
	s_wait_loadcnt_dscnt 0x0
	v_mad_co_i64_i32 v[19:20], null, v19, s21, 0
	s_delay_alu instid0(VALU_DEP_1) | instskip(NEXT) | instid1(VALU_DEP_1)
	v_lshlrev_b64_e32 v[19:20], 1, v[19:20]
	v_add_co_u32 v19, s4, v14, v19
	s_wait_alu 0xf1ff
	s_delay_alu instid0(VALU_DEP_2)
	v_add_co_ci_u32_e64 v20, null, v15, v20, s4
	v_cmp_gt_i32_e64 s4, 32, v16
	s_clause 0xb
	global_load_b32 v21, v[19:20], off
	global_load_b32 v22, v[19:20], off offset:128
	global_load_b32 v23, v[19:20], off offset:256
	;; [unrolled: 1-line block ×11, first 2 shown]
	ds_load_b32 v32, v11
	s_wait_dscnt 0x0
	v_lshrrev_b32_e32 v34, 16, v32
	v_and_b32_e32 v32, 0xffff, v32
	s_wait_loadcnt 0xb
	v_lshrrev_b32_e32 v35, 16, v21
	v_and_b32_e32 v36, 0xffff, v21
	s_clause 0x1
	global_load_b32 v21, v[19:20], off offset:1536
	global_load_b32 v19, v[19:20], off offset:1664
	;;#ASMSTART
	v_cvt_f32_f16 v20, v32;
	;;#ASMEND
	;;#ASMSTART
	v_cvt_f32_f16 v32, v34;
	;;#ASMEND
	;; [unrolled: 3-line block ×4, first 2 shown]
	ds_load_b32 v36, v11 offset:4
	s_wait_loadcnt 0xc
	v_and_b32_e32 v38, 0xffff, v22
	v_lshrrev_b32_e32 v39, 16, v22
	s_wait_loadcnt 0xb
	v_lshrrev_b32_e32 v42, 16, v23
	s_wait_loadcnt 0xa
	v_and_b32_e32 v44, 0xffff, v24
	v_lshrrev_b32_e32 v45, 16, v24
	s_wait_loadcnt 0x9
	v_lshrrev_b32_e32 v48, 16, v25
	s_wait_loadcnt 0x8
	v_and_b32_e32 v50, 0xffff, v26
	v_lshrrev_b32_e32 v51, 16, v26
	s_wait_loadcnt 0x7
	v_lshrrev_b32_e32 v54, 16, v27
	s_wait_loadcnt 0x6
	v_and_b32_e32 v56, 0xffff, v28
	v_lshrrev_b32_e32 v57, 16, v28
	s_wait_loadcnt 0x5
	v_lshrrev_b32_e32 v60, 16, v29
	s_wait_loadcnt 0x4
	v_and_b32_e32 v62, 0xffff, v30
	v_lshrrev_b32_e32 v63, 16, v30
	s_wait_loadcnt 0x3
	v_lshrrev_b32_e32 v66, 16, v31
	s_wait_dscnt 0x0
	v_and_b32_e32 v37, 0xffff, v36
	v_lshrrev_b32_e32 v36, 16, v36
	;;#ASMSTART
	v_cvt_f32_f16 v22, v37;
	;;#ASMEND
	;;#ASMSTART
	v_cvt_f32_f16 v36, v36;
	;;#ASMEND
	;; [unrolled: 3-line block ×4, first 2 shown]
	ds_load_b32 v39, v11 offset:8
	v_dual_mul_f32 v22, v22, v37 :: v_dual_and_b32 v41, 0xffff, v23
	v_dual_mul_f32 v36, v36, v38 :: v_dual_and_b32 v47, 0xffff, v25
	s_wait_loadcnt 0x2
	v_lshrrev_b32_e32 v37, 16, v33
	s_delay_alu instid0(VALU_DEP_3) | instskip(NEXT) | instid1(VALU_DEP_3)
	v_fmac_f32_e32 v22, v20, v34
	v_fmac_f32_e32 v36, v32, v35
	s_wait_dscnt 0x0
	v_and_b32_e32 v40, 0xffff, v39
	v_lshrrev_b32_e32 v39, 16, v39
	;;#ASMSTART
	v_cvt_f32_f16 v23, v40;
	;;#ASMEND
	;;#ASMSTART
	v_cvt_f32_f16 v39, v39;
	;;#ASMEND
	;; [unrolled: 3-line block ×4, first 2 shown]
	ds_load_b32 v42, v11 offset:12
	v_dual_fmac_f32 v22, v23, v40 :: v_dual_and_b32 v53, 0xffff, v27
	s_wait_dscnt 0x0
	v_dual_fmac_f32 v36, v39, v41 :: v_dual_and_b32 v43, 0xffff, v42
	v_lshrrev_b32_e32 v42, 16, v42
	;;#ASMSTART
	v_cvt_f32_f16 v24, v43;
	;;#ASMEND
	;;#ASMSTART
	v_cvt_f32_f16 v42, v42;
	;;#ASMEND
	;; [unrolled: 3-line block ×4, first 2 shown]
	ds_load_b32 v45, v11 offset:16
	v_dual_fmac_f32 v36, v42, v44 :: v_dual_and_b32 v59, 0xffff, v29
	v_fmac_f32_e32 v22, v24, v43
	s_wait_dscnt 0x0
	v_and_b32_e32 v46, 0xffff, v45
	v_lshrrev_b32_e32 v45, 16, v45
	;;#ASMSTART
	v_cvt_f32_f16 v25, v46;
	;;#ASMEND
	;;#ASMSTART
	v_cvt_f32_f16 v45, v45;
	;;#ASMEND
	;; [unrolled: 3-line block ×4, first 2 shown]
	ds_load_b32 v48, v11 offset:20
	v_dual_fmac_f32 v36, v45, v47 :: v_dual_and_b32 v33, 0xffff, v33
	s_wait_dscnt 0x0
	v_dual_fmac_f32 v22, v25, v46 :: v_dual_and_b32 v49, 0xffff, v48
	v_lshrrev_b32_e32 v48, 16, v48
	;;#ASMSTART
	v_cvt_f32_f16 v26, v49;
	;;#ASMEND
	;;#ASMSTART
	v_cvt_f32_f16 v48, v48;
	;;#ASMEND
	;; [unrolled: 3-line block ×4, first 2 shown]
	ds_load_b32 v51, v11 offset:24
	v_dual_fmac_f32 v22, v26, v49 :: v_dual_and_b32 v65, 0xffff, v31
	v_fmac_f32_e32 v36, v48, v50
	s_wait_dscnt 0x0
	v_and_b32_e32 v52, 0xffff, v51
	v_lshrrev_b32_e32 v51, 16, v51
	;;#ASMSTART
	v_cvt_f32_f16 v27, v52;
	;;#ASMEND
	;;#ASMSTART
	v_cvt_f32_f16 v51, v51;
	;;#ASMEND
	;; [unrolled: 3-line block ×4, first 2 shown]
	ds_load_b32 v54, v11 offset:28
	s_wait_dscnt 0x0
	v_dual_fmac_f32 v22, v27, v52 :: v_dual_and_b32 v55, 0xffff, v54
	v_lshrrev_b32_e32 v54, 16, v54
	;;#ASMSTART
	v_cvt_f32_f16 v28, v55;
	;;#ASMEND
	;;#ASMSTART
	v_cvt_f32_f16 v54, v54;
	;;#ASMEND
	;; [unrolled: 3-line block ×4, first 2 shown]
	ds_load_b32 v57, v11 offset:32
	v_fmac_f32_e32 v22, v28, v55
	s_wait_alu 0xf1ff
	v_cndmask_b32_e64 v28, v5, v16, s4
	v_cmp_gt_i32_e64 s4, 32, v17
	s_wait_dscnt 0x0
	v_and_b32_e32 v58, 0xffff, v57
	v_lshrrev_b32_e32 v57, 16, v57
	;;#ASMSTART
	v_cvt_f32_f16 v29, v58;
	;;#ASMEND
	;;#ASMSTART
	v_cvt_f32_f16 v57, v57;
	;;#ASMEND
	;;#ASMSTART
	v_cvt_f32_f16 v58, v59;
	;;#ASMEND
	;;#ASMSTART
	v_cvt_f32_f16 v59, v60;
	;;#ASMEND
	ds_load_b32 v60, v11 offset:36
	s_wait_dscnt 0x0
	v_dual_fmac_f32 v22, v29, v58 :: v_dual_and_b32 v61, 0xffff, v60
	v_lshrrev_b32_e32 v60, 16, v60
	;;#ASMSTART
	v_cvt_f32_f16 v30, v61;
	;;#ASMEND
	;;#ASMSTART
	v_cvt_f32_f16 v60, v60;
	;;#ASMEND
	;;#ASMSTART
	v_cvt_f32_f16 v61, v62;
	;;#ASMEND
	;;#ASMSTART
	v_cvt_f32_f16 v62, v63;
	;;#ASMEND
	ds_load_b32 v63, v11 offset:40
	v_fmac_f32_e32 v22, v30, v61
	s_wait_dscnt 0x0
	v_and_b32_e32 v64, 0xffff, v63
	v_lshrrev_b32_e32 v63, 16, v63
	;;#ASMSTART
	v_cvt_f32_f16 v31, v64;
	;;#ASMEND
	;;#ASMSTART
	v_cvt_f32_f16 v63, v63;
	;;#ASMEND
	;;#ASMSTART
	v_cvt_f32_f16 v64, v65;
	;;#ASMEND
	;;#ASMSTART
	v_cvt_f32_f16 v65, v66;
	;;#ASMEND
	ds_load_b32 v66, v11 offset:44
	v_fmac_f32_e32 v22, v31, v64
	s_wait_dscnt 0x0
	v_and_b32_e32 v20, 0xffff, v66
	;; [unrolled: 17-line block ×3, first 2 shown]
	v_lshrrev_b32_e32 v25, 16, v34
	s_wait_loadcnt 0x1
	v_and_b32_e32 v27, 0xffff, v21
	v_fmac_f32_e32 v36, v51, v53
	v_lshrrev_b32_e32 v26, 16, v21
	;;#ASMSTART
	v_cvt_f32_f16 v21, v24;
	;;#ASMEND
	;;#ASMSTART
	v_cvt_f32_f16 v24, v25;
	;;#ASMEND
	;; [unrolled: 3-line block ×3, first 2 shown]
	v_fmac_f32_e32 v36, v54, v56
	;;#ASMSTART
	v_cvt_f32_f16 v26, v26;
	;;#ASMEND
	ds_load_b32 v27, v11 offset:52
	v_fmac_f32_e32 v22, v21, v25
	s_wait_loadcnt 0x0
	v_lshrrev_b32_e32 v29, 16, v19
	v_fmac_f32_e32 v36, v57, v59
	s_delay_alu instid0(VALU_DEP_1) | instskip(NEXT) | instid1(VALU_DEP_1)
	v_fmac_f32_e32 v36, v60, v62
	v_fmac_f32_e32 v36, v63, v65
	s_delay_alu instid0(VALU_DEP_1) | instskip(SKIP_3) | instid1(VALU_DEP_3)
	v_fmac_f32_e32 v36, v23, v33
	s_wait_dscnt 0x0
	v_and_b32_e32 v20, 0xffff, v27
	v_lshrrev_b32_e32 v23, 16, v27
	v_dual_fmac_f32 v36, v24, v26 :: v_dual_and_b32 v27, 0xffff, v19
	;;#ASMSTART
	v_cvt_f32_f16 v19, v20;
	;;#ASMEND
	;;#ASMSTART
	v_cvt_f32_f16 v20, v23;
	;;#ASMEND
	;; [unrolled: 3-line block ×4, first 2 shown]
	v_fmac_f32_e32 v22, v19, v21
	v_dual_fmac_f32 v36, v20, v23 :: v_dual_lshlrev_b32 v19, 2, v28
	s_wait_alu 0xf1ff
	v_cndmask_b32_e64 v21, v5, v17, s4
	s_delay_alu instid0(VALU_DEP_2)
	v_add_f32_e32 v20, v22, v36
	ds_bpermute_b32 v19, v19, v20
	s_wait_dscnt 0x0
	v_dual_add_f32 v19, v20, v19 :: v_dual_lshlrev_b32 v20, 2, v21
	ds_bpermute_b32 v20, v20, v19
	s_and_saveexec_b32 s5, vcc_lo
	s_cbranch_execz .LBB85_9
; %bb.11:                               ;   in Loop: Header=BB85_10 Depth=1
	s_wait_dscnt 0x0
	v_add_f32_e32 v19, v19, v20
	v_add_nc_u32_e32 v21, s22, v12
	v_cmp_gt_i32_e64 s4, s25, v12
	s_delay_alu instid0(VALU_DEP_2) | instskip(NEXT) | instid1(VALU_DEP_1)
	v_cvt_f32_i32_e32 v21, v21
	v_mul_f32_e32 v21, s6, v21
	s_wait_alu 0xfffe
	s_delay_alu instid0(VALU_DEP_1) | instskip(NEXT) | instid1(VALU_DEP_1)
	v_cndmask_b32_e64 v20, 0, v21, s3
	v_dual_max_num_f32 v21, v8, v8 :: v_dual_fmac_f32 v20, s7, v19
	s_delay_alu instid0(VALU_DEP_1) | instskip(SKIP_2) | instid1(VALU_DEP_2)
	v_max_num_f32_e32 v19, v21, v20
	s_wait_alu 0xf1ff
	v_cndmask_b32_e64 v20, 0, v20, s4
	v_cndmask_b32_e64 v8, v8, v19, s4
	ds_store_b32 v13, v20
	s_branch .LBB85_9
.LBB85_12:
	s_or_b32 exec_lo, exec_lo, s10
.LBB85_13:
	s_delay_alu instid0(SALU_CYCLE_1)
	s_or_b32 exec_lo, exec_lo, s11
	v_xor_b32_e32 v1, 16, v5
	v_xor_b32_e32 v11, 8, v5
	s_clause 0x2
	s_load_b128 s[4:7], s[0:1], 0x0
	s_load_b64 s[10:11], s[0:1], 0x10
	s_load_b64 s[22:23], s[0:1], 0x28
	v_dual_max_num_f32 v12, v8, v8 :: v_dual_lshlrev_b32 v13, 2, v9
	v_cmp_lt_i32_e32 vcc_lo, v1, v7
	v_cndmask_b32_e32 v1, v5, v1, vcc_lo
	v_cmp_lt_i32_e32 vcc_lo, v11, v7
	s_delay_alu instid0(VALU_DEP_2) | instskip(SKIP_4) | instid1(VALU_DEP_1)
	v_lshlrev_b32_e32 v2, 2, v1
	ds_bpermute_b32 v1, v2, v8
	s_wait_dscnt 0x0
	v_max_num_f32_e32 v1, v1, v1
	s_wait_alu 0xfffd
	v_dual_cndmask_b32 v8, v5, v11 :: v_dual_max_num_f32 v1, v12, v1
	s_delay_alu instid0(VALU_DEP_1)
	v_lshlrev_b32_e32 v8, 2, v8
	v_xor_b32_e32 v12, 4, v5
	ds_bpermute_b32 v11, v8, v1
	v_cmp_lt_i32_e32 vcc_lo, v12, v7
	s_wait_alu 0xfffd
	v_cndmask_b32_e32 v12, v5, v12, vcc_lo
	s_delay_alu instid0(VALU_DEP_1) | instskip(SKIP_2) | instid1(VALU_DEP_1)
	v_lshlrev_b32_e32 v15, 2, v12
	s_wait_dscnt 0x0
	v_max_num_f32_e32 v11, v11, v11
	v_max_num_f32_e32 v1, v1, v11
	v_and_b32_e32 v11, 31, v0
	ds_bpermute_b32 v12, v15, v1
	v_cmp_eq_u32_e32 vcc_lo, 0, v11
	s_and_saveexec_b32 s0, vcc_lo
	s_cbranch_execz .LBB85_15
; %bb.14:
	s_wait_dscnt 0x0
	v_dual_max_num_f32 v12, v12, v12 :: v_dual_max_num_f32 v1, v1, v1
	s_delay_alu instid0(VALU_DEP_1)
	v_max_num_f32_e32 v1, v1, v12
	ds_store_b32 v13, v1 offset:224
.LBB85_15:
	s_or_b32 exec_lo, exec_lo, s0
	v_cmp_gt_u32_e64 s0, 4, v11
	v_dual_mov_b32 v1, 0xff7fffff :: v_dual_lshlrev_b32 v14, 2, v11
	s_wait_loadcnt_dscnt 0x0
	s_barrier_signal -1
	s_barrier_wait -1
	global_inv scope:SCOPE_SE
	s_and_saveexec_b32 s1, s0
; %bb.16:
	ds_load_b32 v1, v14 offset:224
; %bb.17:
	s_or_b32 exec_lo, exec_lo, s1
	v_xor_b32_e32 v12, 2, v5
	v_xor_b32_e32 v17, 1, v5
	v_lshlrev_b32_e32 v6, 2, v6
	s_delay_alu instid0(VALU_DEP_3) | instskip(NEXT) | instid1(VALU_DEP_1)
	v_cmp_lt_i32_e64 s1, v12, v7
	v_cndmask_b32_e64 v12, v5, v12, s1
	s_delay_alu instid0(VALU_DEP_4) | instskip(NEXT) | instid1(VALU_DEP_2)
	v_cmp_lt_i32_e64 s1, v17, v7
	v_lshlrev_b32_e32 v16, 2, v12
	s_wait_alu 0xf1ff
	s_delay_alu instid0(VALU_DEP_2)
	v_cndmask_b32_e64 v7, v5, v17, s1
	s_sub_co_i32 s1, s13, s28
	s_wait_alu 0xfffe
	s_lshl_b32 s1, s1, 3
	s_wait_dscnt 0x0
	ds_bpermute_b32 v12, v16, v1
	v_max_num_f32_e32 v1, v1, v1
	v_lshlrev_b32_e32 v7, 2, v7
	s_wait_alu 0xfffe
	s_add_co_i32 s1, s1, s26
	s_wait_alu 0xfffe
	s_min_i32 s1, s1, s25
	s_wait_alu 0xfffe
	s_sub_co_i32 s21, s1, s26
	s_wait_alu 0xfffe
	v_cmp_gt_i32_e64 s1, s21, v0
	s_wait_dscnt 0x0
	v_max_num_f32_e32 v12, v12, v12
	s_delay_alu instid0(VALU_DEP_1) | instskip(SKIP_3) | instid1(VALU_DEP_1)
	v_max_num_f32_e32 v1, v1, v12
	ds_bpermute_b32 v12, v7, v1
	s_wait_dscnt 0x0
	v_max_num_f32_e32 v12, v12, v12
	v_max_num_f32_e32 v1, v1, v12
	v_lshl_add_u32 v12, v0, 2, 0x100
	ds_bpermute_b32 v1, v6, v1
	v_mov_b32_e32 v6, 0
	s_and_saveexec_b32 s28, s1
	s_cbranch_execz .LBB85_21
; %bb.18:
	v_lshl_add_u32 v17, v0, 2, 0x100
	v_mov_b32_e32 v6, 0
	v_mov_b32_e32 v18, v0
	s_mov_b32 s29, 0
.LBB85_19:                              ; =>This Inner Loop Header: Depth=1
	ds_load_b32 v19, v17
	v_add_nc_u32_e32 v18, 0x80, v18
	s_delay_alu instid0(VALU_DEP_1) | instskip(SKIP_4) | instid1(VALU_DEP_1)
	v_cmp_le_i32_e64 s3, s21, v18
	s_wait_alu 0xfffe
	s_or_b32 s29, s3, s29
	s_wait_dscnt 0x0
	v_sub_f32_e32 v19, v19, v1
	v_mul_f32_e32 v19, 0x3fb8aa3b, v19
	s_delay_alu instid0(VALU_DEP_1)
	v_exp_f32_e32 v19, v19
	ds_store_b32 v17, v19
	v_dual_add_f32 v6, v6, v19 :: v_dual_add_nc_u32 v17, 0x200, v17
	s_wait_alu 0xfffe
	s_and_not1_b32 exec_lo, exec_lo, s29
	s_cbranch_execnz .LBB85_19
; %bb.20:
	s_or_b32 exec_lo, exec_lo, s29
.LBB85_21:
	s_wait_alu 0xfffe
	s_or_b32 exec_lo, exec_lo, s28
	ds_bpermute_b32 v2, v2, v6
	s_wait_dscnt 0x0
	v_add_f32_e32 v2, v6, v2
	ds_bpermute_b32 v6, v8, v2
	s_wait_dscnt 0x0
	v_add_f32_e32 v2, v2, v6
	;; [unrolled: 3-line block ×5, first 2 shown]
	s_and_saveexec_b32 s3, vcc_lo
; %bb.22:
	ds_store_b32 v13, v2 offset:240
; %bb.23:
	s_wait_alu 0xfffe
	s_or_b32 exec_lo, exec_lo, s3
	s_wait_loadcnt_dscnt 0x0
	s_barrier_signal -1
	s_barrier_wait -1
	global_inv scope:SCOPE_SE
	s_and_saveexec_b32 s3, s0
; %bb.24:
	ds_load_b32 v2, v14 offset:240
; %bb.25:
	s_wait_alu 0xfffe
	s_or_b32 exec_lo, exec_lo, s3
	s_wait_dscnt 0x0
	ds_bpermute_b32 v6, v16, v2
	v_lshlrev_b32_e32 v5, 2, v5
	s_wait_dscnt 0x0
	s_delay_alu instid0(VALU_DEP_1)
	v_dual_add_f32 v2, v2, v6 :: v_dual_and_b32 v5, 0xffffff80, v5
	ds_bpermute_b32 v6, v7, v2
	s_wait_dscnt 0x0
	v_add_f32_e32 v2, v2, v6
	ds_bpermute_b32 v2, v5, v2
	s_and_saveexec_b32 s0, s1
	s_cbranch_execz .LBB85_28
; %bb.26:
	s_wait_dscnt 0x0
	v_add_f32_e32 v6, 0x358637bd, v2
	s_mov_b32 s1, 0
	s_delay_alu instid0(VALU_DEP_1) | instskip(NEXT) | instid1(VALU_DEP_1)
	v_div_scale_f32 v5, null, v6, v6, 1.0
	v_rcp_f32_e32 v7, v5
	s_delay_alu instid0(TRANS32_DEP_1) | instskip(NEXT) | instid1(VALU_DEP_1)
	v_fma_f32 v8, -v5, v7, 1.0
	v_fmac_f32_e32 v7, v8, v7
	v_div_scale_f32 v13, vcc_lo, 1.0, v6, 1.0
	s_delay_alu instid0(VALU_DEP_1) | instskip(NEXT) | instid1(VALU_DEP_1)
	v_mul_f32_e32 v8, v13, v7
	v_fma_f32 v14, -v5, v8, v13
	s_delay_alu instid0(VALU_DEP_1) | instskip(NEXT) | instid1(VALU_DEP_1)
	v_fmac_f32_e32 v8, v14, v7
	v_fma_f32 v5, -v5, v8, v13
	s_wait_alu 0xfffd
	s_delay_alu instid0(VALU_DEP_1) | instskip(SKIP_1) | instid1(VALU_DEP_2)
	v_div_fmas_f32 v7, v5, v7, v8
	v_mov_b32_e32 v5, v12
	v_div_fixup_f32 v6, v7, v6, 1.0
	v_mov_b32_e32 v7, v0
.LBB85_27:                              ; =>This Inner Loop Header: Depth=1
	ds_load_b32 v8, v5
	s_wait_dscnt 0x0
	v_dual_mul_f32 v8, v6, v8 :: v_dual_add_nc_u32 v7, 0x80, v7
	s_delay_alu instid0(VALU_DEP_1)
	v_cmp_le_i32_e32 vcc_lo, s21, v7
	ds_store_b32 v5, v8
	v_add_nc_u32_e32 v5, 0x200, v5
	s_wait_alu 0xfffe
	s_or_b32 s1, vcc_lo, s1
	s_wait_alu 0xfffe
	s_and_not1_b32 exec_lo, exec_lo, s1
	s_cbranch_execnz .LBB85_27
.LBB85_28:
	s_wait_alu 0xfffe
	s_or_b32 exec_lo, exec_lo, s0
	s_wait_kmcnt 0x0
	s_mul_i32 s0, s8, s18
	s_wait_loadcnt_dscnt 0x0
	s_wait_alu 0xfffe
	s_mul_i32 s18, s0, s19
	s_mov_b32 s0, exec_lo
	s_barrier_signal -1
	s_barrier_wait -1
	global_inv scope:SCOPE_SE
	v_cmpx_eq_u32_e32 0, v0
	s_cbranch_execz .LBB85_30
; %bb.29:
	s_ashr_i32 s19, s18, 31
	s_wait_alu 0xfffe
	s_mul_i32 s28, s8, ttmp9
	s_lshl_b32 s1, s24, 2
	s_lshl_b64 s[30:31], s[18:19], 2
	s_wait_alu 0xfffe
	s_ashr_i32 s29, s28, 31
	v_mov_b32_e32 v5, s1
	s_add_nc_u64 s[6:7], s[6:7], s[30:31]
	s_wait_alu 0xfffe
	s_lshl_b64 s[28:29], s[28:29], 2
	s_add_nc_u64 s[4:5], s[4:5], s[30:31]
	s_wait_alu 0xfffe
	s_add_nc_u64 s[6:7], s[6:7], s[28:29]
	s_add_nc_u64 s[4:5], s[4:5], s[28:29]
	s_clause 0x1
	global_store_b32 v5, v1, s[6:7]
	global_store_b32 v5, v2, s[4:5]
.LBB85_30:
	s_wait_alu 0xfffe
	s_or_b32 exec_lo, exec_lo, s0
	v_dual_mov_b32 v16, 0 :: v_dual_mov_b32 v15, 0
	v_dual_mov_b32 v14, 0 :: v_dual_mov_b32 v13, 0
	s_and_saveexec_b32 s4, s2
	s_cbranch_execz .LBB85_44
; %bb.31:
	v_or_b32_e32 v1, 0x60, v11
	s_lshl_b64 s[2:3], s[14:15], 2
	v_dual_mov_b32 v13, 0 :: v_dual_lshlrev_b32 v2, 3, v11
	s_wait_alu 0xfffe
	s_add_nc_u64 s[2:3], s[16:17], s[2:3]
	v_cmp_gt_u32_e32 vcc_lo, 0x70, v1
	v_dual_mov_b32 v14, 0 :: v_dual_lshlrev_b32 v1, 3, v1
	s_wait_alu 0xfffe
	v_add_co_u32 v5, s2, s2, v3
	s_ashr_i32 s21, s20, 31
	v_add3_u32 v17, s26, v4, 7
	v_lshl_add_u32 v18, v9, 5, 0x100
	v_add_co_ci_u32_e64 v6, null, s3, 0, s2
	v_dual_mov_b32 v16, 0 :: v_dual_lshlrev_b32 v19, 1, v2
	v_dual_mov_b32 v15, 0 :: v_dual_lshlrev_b32 v20, 1, v1
	s_wait_alu 0xfffe
	s_lshl_b64 s[0:1], s[20:21], 1
	s_mov_b32 s5, s9
	s_wait_alu 0xfffe
	s_add_nc_u64 s[2:3], s[22:23], s[0:1]
	s_add_co_i32 s27, s27, -1
	s_mov_b32 s6, 0
	s_branch .LBB85_34
.LBB85_32:                              ;   in Loop: Header=BB85_34 Depth=1
	s_wait_alu 0xfffe
	s_or_b32 exec_lo, exec_lo, s1
	v_lshlrev_b32_e32 v21, 16, v32
	v_lshlrev_b32_e32 v25, 16, v25
	;; [unrolled: 1-line block ×3, first 2 shown]
	s_delay_alu instid0(VALU_DEP_3) | instskip(NEXT) | instid1(VALU_DEP_3)
	v_and_or_b32 v1, 0xffff, v1, v21
	v_and_or_b32 v2, 0xffff, v2, v25
	s_delay_alu instid0(VALU_DEP_3)
	v_and_or_b32 v3, 0xffff, v3, v24
	;;#ASMSTART
	v_pk_mul_f16 v1, v27, v1;

	;;#ASMEND
	;;#ASMSTART
	v_pk_mul_f16 v2, v26, v2;

	;;#ASMEND
	;; [unrolled: 4-line block ×4, first 2 shown]
	;;#ASMSTART
	v_pk_add_f16 v1, v1, v2;

	;;#ASMEND
	;;#ASMSTART
	v_pk_add_f16 v1, v1, v3;

	;;#ASMEND
	;;#ASMSTART
	v_pk_add_f16 v1, v1, v4;

	;;#ASMEND
	v_and_b32_e32 v2, 0xffff, v1
	v_lshrrev_b32_e32 v3, 16, v1
	;;#ASMSTART
	v_cvt_f32_f16 v1, v2;
	;;#ASMEND
	;;#ASMSTART
	v_cvt_f32_f16 v2, v3;
	;;#ASMEND
	s_delay_alu instid0(VALU_DEP_2) | instskip(NEXT) | instid1(VALU_DEP_1)
	v_add_f32_e32 v1, v1, v2
	v_add_f32_e32 v13, v13, v1
.LBB85_33:                              ;   in Loop: Header=BB85_34 Depth=1
	s_wait_alu 0xfffe
	s_or_b32 exec_lo, exec_lo, s7
	v_dual_add_f32 v3, v22, v23 :: v_dual_add_nc_u32 v10, 4, v10
	v_dual_add_f32 v1, v7, v8 :: v_dual_add_f32 v2, v30, v31
	v_add_co_u32 v5, s1, v5, 16
	s_delay_alu instid0(VALU_DEP_3) | instskip(NEXT) | instid1(VALU_DEP_3)
	v_cmp_le_i32_e64 s0, s13, v10
	v_dual_add_f32 v14, v14, v1 :: v_dual_add_f32 v15, v15, v2
	v_dual_add_f32 v16, v16, v3 :: v_dual_add_nc_u32 v17, 32, v17
	v_add_nc_u32_e32 v18, 0x80, v18
	s_wait_alu 0xf1ff
	v_add_co_ci_u32_e64 v6, null, 0, v6, s1
	s_or_b32 s6, s0, s6
	s_wait_alu 0xfffe
	s_and_not1_b32 exec_lo, exec_lo, s6
	s_cbranch_execz .LBB85_43
.LBB85_34:                              ; =>This Inner Loop Header: Depth=1
	global_load_b32 v7, v[5:6], off
	ds_load_2addr_b64 v[1:4], v18 offset1:1
	ds_load_2addr_b64 v[31:34], v18 offset0:2 offset1:3
	s_wait_dscnt 0x1
	;;#ASMSTART
	v_cvt_f16_f32 v27, v1;

	;;#ASMEND
	;;#ASMSTART
	v_cvt_f16_f32 v22, v2;

	;;#ASMEND
	;; [unrolled: 4-line block ×4, first 2 shown]
	s_wait_dscnt 0x0
	;;#ASMSTART
	v_cvt_f16_f32 v31, v31;

	;;#ASMEND
	;;#ASMSTART
	v_cvt_f16_f32 v28, v32;

	;;#ASMEND
	;; [unrolled: 4-line block ×4, first 2 shown]
	v_add_nc_u32_e32 v21, -7, v17
	s_wait_loadcnt 0x0
	v_mad_co_i64_i32 v[7:8], null, v7, s5, 0
	s_delay_alu instid0(VALU_DEP_1) | instskip(SKIP_1) | instid1(VALU_DEP_1)
	v_lshlrev_b64_e32 v[7:8], 1, v[7:8]
	s_wait_alu 0xfffe
	v_add_co_u32 v24, s0, s2, v7
	s_wait_alu 0xf1ff
	s_delay_alu instid0(VALU_DEP_2) | instskip(NEXT) | instid1(VALU_DEP_2)
	v_add_co_ci_u32_e64 v25, null, s3, v8, s0
	v_add_co_u32 v7, s0, v24, v19
	s_wait_alu 0xf1ff
	s_delay_alu instid0(VALU_DEP_2)
	v_add_co_ci_u32_e64 v8, null, 0, v25, s0
	v_cmp_eq_u32_e64 s0, s27, v10
	global_load_b128 v[1:4], v[7:8], off
	s_wait_loadcnt 0x0
	v_lshrrev_b32_e32 v34, 16, v1
	v_lshrrev_b32_e32 v33, 16, v2
	;; [unrolled: 1-line block ×3, first 2 shown]
	s_and_saveexec_b32 s7, s0
	s_cbranch_execz .LBB85_36
; %bb.35:                               ;   in Loop: Header=BB85_34 Depth=1
	v_add_nc_u32_e32 v35, -6, v17
	v_cmp_gt_i32_e64 s1, s25, v21
	v_add_nc_u32_e32 v36, -5, v17
	v_add_nc_u32_e32 v37, -4, v17
	;; [unrolled: 1-line block ×3, first 2 shown]
	s_wait_alu 0xf1ff
	v_cndmask_b32_e64 v1, 0, v1, s1
	v_cmp_gt_i32_e64 s1, s25, v35
	v_add_nc_u32_e32 v35, -1, v17
	s_wait_alu 0xf1ff
	s_delay_alu instid0(VALU_DEP_2) | instskip(SKIP_4) | instid1(VALU_DEP_3)
	v_cndmask_b32_e64 v34, 0, v34, s1
	v_cmp_gt_i32_e64 s1, s25, v36
	v_and_b32_e32 v36, 0xffff, v4
	v_and_b32_e32 v4, 0xffff0000, v4
	s_wait_alu 0xf1ff
	v_cndmask_b32_e64 v2, 0, v2, s1
	v_cmp_gt_i32_e64 s1, s25, v37
	v_add_nc_u32_e32 v37, -3, v17
	s_wait_alu 0xf1ff
	s_delay_alu instid0(VALU_DEP_2) | instskip(SKIP_2) | instid1(VALU_DEP_1)
	v_cndmask_b32_e64 v33, 0, v33, s1
	v_cmp_gt_i32_e64 s1, s25, v35
	s_wait_alu 0xf1ff
	v_cndmask_b32_e64 v35, 0, v36, s1
	v_cmp_gt_i32_e64 s1, s25, v17
	s_wait_alu 0xf1ff
	s_delay_alu instid0(VALU_DEP_1) | instskip(SKIP_1) | instid1(VALU_DEP_2)
	v_cndmask_b32_e64 v4, 0, v4, s1
	v_cmp_gt_i32_e64 s1, s25, v37
	v_or_b32_e32 v4, v35, v4
	s_wait_alu 0xf1ff
	s_delay_alu instid0(VALU_DEP_2) | instskip(SKIP_2) | instid1(VALU_DEP_1)
	v_cndmask_b32_e64 v3, 0, v3, s1
	v_cmp_gt_i32_e64 s1, s25, v38
	s_wait_alu 0xf1ff
	v_cndmask_b32_e64 v32, 0, v32, s1
.LBB85_36:                              ;   in Loop: Header=BB85_34 Depth=1
	s_wait_alu 0xfffe
	s_or_b32 exec_lo, exec_lo, s7
	v_and_b32_e32 v27, 0xffff, v27
	v_and_b32_e32 v30, 0xffff, v30
	v_lshlrev_b32_e32 v34, 16, v34
	v_and_b32_e32 v31, 0xffff, v31
	v_and_b32_e32 v29, 0xffff, v29
	v_lshl_or_b32 v27, v22, 16, v27
	v_lshl_or_b32 v26, v26, 16, v30
	v_lshlrev_b32_e32 v22, 16, v33
	v_lshlrev_b32_e32 v30, 16, v32
	v_and_or_b32 v1, 0xffff, v1, v34
	;;#ASMSTART
	v_pk_mul_f16 v1, v27, v1;

	;;#ASMEND
	v_lshl_or_b32 v28, v28, 16, v31
	v_and_or_b32 v2, 0xffff, v2, v22
	v_and_or_b32 v3, 0xffff, v3, v30
	v_lshl_or_b32 v29, v23, 16, v29
	;;#ASMSTART
	v_pk_mul_f16 v2, v26, v2;

	;;#ASMEND
	;;#ASMSTART
	v_pk_mul_f16 v3, v28, v3;

	;;#ASMEND
	;; [unrolled: 4-line block ×3, first 2 shown]
	;;#ASMSTART
	v_pk_add_f16 v1, v1, v2;

	;;#ASMEND
	;;#ASMSTART
	v_pk_add_f16 v1, v1, v3;

	;;#ASMEND
	;; [unrolled: 4-line block ×3, first 2 shown]
	v_and_b32_e32 v2, 0xffff, v1
	v_lshrrev_b32_e32 v1, 16, v1
	;;#ASMSTART
	v_cvt_f32_f16 v22, v2;
	;;#ASMEND
	;;#ASMSTART
	v_cvt_f32_f16 v23, v1;
	;;#ASMEND
	global_load_b128 v[1:4], v[7:8], off offset:512
	s_wait_loadcnt 0x0
	v_lshrrev_b32_e32 v32, 16, v1
	v_lshrrev_b32_e32 v31, 16, v2
	;; [unrolled: 1-line block ×3, first 2 shown]
	s_and_saveexec_b32 s7, s0
	s_cbranch_execz .LBB85_38
; %bb.37:                               ;   in Loop: Header=BB85_34 Depth=1
	v_add_nc_u32_e32 v33, -6, v17
	v_cmp_gt_i32_e64 s1, s25, v21
	v_add_nc_u32_e32 v34, -5, v17
	v_add_nc_u32_e32 v35, -4, v17
	;; [unrolled: 1-line block ×3, first 2 shown]
	s_wait_alu 0xf1ff
	v_cndmask_b32_e64 v1, 0, v1, s1
	v_cmp_gt_i32_e64 s1, s25, v33
	v_add_nc_u32_e32 v33, -1, v17
	s_wait_alu 0xf1ff
	s_delay_alu instid0(VALU_DEP_2) | instskip(SKIP_4) | instid1(VALU_DEP_3)
	v_cndmask_b32_e64 v32, 0, v32, s1
	v_cmp_gt_i32_e64 s1, s25, v34
	v_and_b32_e32 v34, 0xffff, v4
	v_and_b32_e32 v4, 0xffff0000, v4
	s_wait_alu 0xf1ff
	v_cndmask_b32_e64 v2, 0, v2, s1
	v_cmp_gt_i32_e64 s1, s25, v35
	v_add_nc_u32_e32 v35, -3, v17
	s_wait_alu 0xf1ff
	s_delay_alu instid0(VALU_DEP_2) | instskip(SKIP_2) | instid1(VALU_DEP_1)
	v_cndmask_b32_e64 v31, 0, v31, s1
	v_cmp_gt_i32_e64 s1, s25, v33
	s_wait_alu 0xf1ff
	v_cndmask_b32_e64 v33, 0, v34, s1
	v_cmp_gt_i32_e64 s1, s25, v17
	s_wait_alu 0xf1ff
	s_delay_alu instid0(VALU_DEP_1) | instskip(SKIP_1) | instid1(VALU_DEP_2)
	v_cndmask_b32_e64 v4, 0, v4, s1
	v_cmp_gt_i32_e64 s1, s25, v35
	v_or_b32_e32 v4, v33, v4
	s_wait_alu 0xf1ff
	s_delay_alu instid0(VALU_DEP_2) | instskip(SKIP_2) | instid1(VALU_DEP_1)
	v_cndmask_b32_e64 v3, 0, v3, s1
	v_cmp_gt_i32_e64 s1, s25, v36
	s_wait_alu 0xf1ff
	v_cndmask_b32_e64 v30, 0, v30, s1
.LBB85_38:                              ;   in Loop: Header=BB85_34 Depth=1
	s_wait_alu 0xfffe
	s_or_b32 exec_lo, exec_lo, s7
	v_lshlrev_b32_e32 v32, 16, v32
	v_lshlrev_b32_e32 v31, 16, v31
	;; [unrolled: 1-line block ×3, first 2 shown]
	s_delay_alu instid0(VALU_DEP_3) | instskip(NEXT) | instid1(VALU_DEP_3)
	v_and_or_b32 v1, 0xffff, v1, v32
	v_and_or_b32 v2, 0xffff, v2, v31
	s_delay_alu instid0(VALU_DEP_3)
	v_and_or_b32 v3, 0xffff, v3, v30
	;;#ASMSTART
	v_pk_mul_f16 v1, v27, v1;

	;;#ASMEND
	;;#ASMSTART
	v_pk_mul_f16 v2, v26, v2;

	;;#ASMEND
	;; [unrolled: 4-line block ×4, first 2 shown]
	;;#ASMSTART
	v_pk_add_f16 v1, v1, v2;

	;;#ASMEND
	;;#ASMSTART
	v_pk_add_f16 v1, v1, v3;

	;;#ASMEND
	;; [unrolled: 4-line block ×3, first 2 shown]
	v_and_b32_e32 v2, 0xffff, v1
	v_lshrrev_b32_e32 v1, 16, v1
	;;#ASMSTART
	v_cvt_f32_f16 v30, v2;
	;;#ASMEND
	;;#ASMSTART
	v_cvt_f32_f16 v31, v1;
	;;#ASMEND
	global_load_b128 v[1:4], v[7:8], off offset:1024
	s_wait_loadcnt 0x0
	v_lshrrev_b32_e32 v32, 16, v1
	v_lshrrev_b32_e32 v8, 16, v2
	;; [unrolled: 1-line block ×3, first 2 shown]
	s_and_saveexec_b32 s7, s0
	s_cbranch_execz .LBB85_40
; %bb.39:                               ;   in Loop: Header=BB85_34 Depth=1
	v_add_nc_u32_e32 v33, -6, v17
	v_cmp_gt_i32_e64 s1, s25, v21
	v_add_nc_u32_e32 v34, -5, v17
	v_add_nc_u32_e32 v35, -4, v17
	;; [unrolled: 1-line block ×3, first 2 shown]
	s_wait_alu 0xf1ff
	v_cndmask_b32_e64 v1, 0, v1, s1
	v_cmp_gt_i32_e64 s1, s25, v33
	v_add_nc_u32_e32 v33, -1, v17
	s_wait_alu 0xf1ff
	s_delay_alu instid0(VALU_DEP_2) | instskip(SKIP_4) | instid1(VALU_DEP_3)
	v_cndmask_b32_e64 v32, 0, v32, s1
	v_cmp_gt_i32_e64 s1, s25, v34
	v_and_b32_e32 v34, 0xffff, v4
	v_and_b32_e32 v4, 0xffff0000, v4
	s_wait_alu 0xf1ff
	v_cndmask_b32_e64 v2, 0, v2, s1
	v_cmp_gt_i32_e64 s1, s25, v35
	v_add_nc_u32_e32 v35, -3, v17
	s_wait_alu 0xf1ff
	s_delay_alu instid0(VALU_DEP_2) | instskip(SKIP_2) | instid1(VALU_DEP_1)
	v_cndmask_b32_e64 v8, 0, v8, s1
	v_cmp_gt_i32_e64 s1, s25, v33
	s_wait_alu 0xf1ff
	v_cndmask_b32_e64 v33, 0, v34, s1
	v_cmp_gt_i32_e64 s1, s25, v17
	s_wait_alu 0xf1ff
	s_delay_alu instid0(VALU_DEP_1) | instskip(SKIP_1) | instid1(VALU_DEP_2)
	v_cndmask_b32_e64 v4, 0, v4, s1
	v_cmp_gt_i32_e64 s1, s25, v35
	v_or_b32_e32 v4, v33, v4
	s_wait_alu 0xf1ff
	s_delay_alu instid0(VALU_DEP_2) | instskip(SKIP_2) | instid1(VALU_DEP_1)
	v_cndmask_b32_e64 v3, 0, v3, s1
	v_cmp_gt_i32_e64 s1, s25, v36
	s_wait_alu 0xf1ff
	v_cndmask_b32_e64 v7, 0, v7, s1
.LBB85_40:                              ;   in Loop: Header=BB85_34 Depth=1
	s_wait_alu 0xfffe
	s_or_b32 exec_lo, exec_lo, s7
	v_lshlrev_b32_e32 v32, 16, v32
	v_lshlrev_b32_e32 v8, 16, v8
	;; [unrolled: 1-line block ×3, first 2 shown]
	s_delay_alu instid0(VALU_DEP_3) | instskip(NEXT) | instid1(VALU_DEP_3)
	v_and_or_b32 v1, 0xffff, v1, v32
	v_and_or_b32 v2, 0xffff, v2, v8
	s_delay_alu instid0(VALU_DEP_3)
	v_and_or_b32 v3, 0xffff, v3, v7
	;;#ASMSTART
	v_pk_mul_f16 v1, v27, v1;

	;;#ASMEND
	;;#ASMSTART
	v_pk_mul_f16 v2, v26, v2;

	;;#ASMEND
	;; [unrolled: 4-line block ×4, first 2 shown]
	;;#ASMSTART
	v_pk_add_f16 v1, v1, v2;

	;;#ASMEND
	;;#ASMSTART
	v_pk_add_f16 v1, v1, v3;

	;;#ASMEND
	;; [unrolled: 4-line block ×3, first 2 shown]
	v_and_b32_e32 v2, 0xffff, v1
	v_lshrrev_b32_e32 v1, 16, v1
	;;#ASMSTART
	v_cvt_f32_f16 v7, v2;
	;;#ASMEND
	;;#ASMSTART
	v_cvt_f32_f16 v8, v1;
	;;#ASMEND
	s_and_saveexec_b32 s7, vcc_lo
	s_cbranch_execz .LBB85_33
; %bb.41:                               ;   in Loop: Header=BB85_34 Depth=1
	v_add_co_u32 v1, s1, v24, v20
	s_wait_alu 0xf1ff
	v_add_co_ci_u32_e64 v2, null, 0, v25, s1
	global_load_b128 v[1:4], v[1:2], off
	s_wait_loadcnt 0x0
	v_lshrrev_b32_e32 v32, 16, v1
	v_lshrrev_b32_e32 v25, 16, v2
	;; [unrolled: 1-line block ×3, first 2 shown]
	s_and_saveexec_b32 s1, s0
	s_cbranch_execz .LBB85_32
; %bb.42:                               ;   in Loop: Header=BB85_34 Depth=1
	v_add_nc_u32_e32 v33, -6, v17
	v_cmp_gt_i32_e64 s0, s25, v21
	v_add_nc_u32_e32 v34, -5, v17
	v_add_nc_u32_e32 v21, -4, v17
	v_add_nc_u32_e32 v35, -2, v17
	s_wait_alu 0xf1ff
	v_cndmask_b32_e64 v1, 0, v1, s0
	v_cmp_gt_i32_e64 s0, s25, v33
	v_and_b32_e32 v33, 0xffff, v4
	v_and_b32_e32 v4, 0xffff0000, v4
	s_wait_alu 0xf1ff
	s_delay_alu instid0(VALU_DEP_3) | instskip(SKIP_3) | instid1(VALU_DEP_2)
	v_cndmask_b32_e64 v32, 0, v32, s0
	v_cmp_gt_i32_e64 s0, s25, v34
	v_add_nc_u32_e32 v34, -3, v17
	s_wait_alu 0xf1ff
	v_cndmask_b32_e64 v2, 0, v2, s0
	v_cmp_gt_i32_e64 s0, s25, v21
	v_add_nc_u32_e32 v21, -1, v17
	s_wait_alu 0xf1ff
	s_delay_alu instid0(VALU_DEP_2) | instskip(NEXT) | instid1(VALU_DEP_2)
	v_cndmask_b32_e64 v25, 0, v25, s0
	v_cmp_gt_i32_e64 s0, s25, v21
	s_wait_alu 0xf1ff
	s_delay_alu instid0(VALU_DEP_1) | instskip(SKIP_2) | instid1(VALU_DEP_1)
	v_cndmask_b32_e64 v21, 0, v33, s0
	v_cmp_gt_i32_e64 s0, s25, v17
	s_wait_alu 0xf1ff
	v_cndmask_b32_e64 v4, 0, v4, s0
	v_cmp_gt_i32_e64 s0, s25, v34
	s_delay_alu instid0(VALU_DEP_2) | instskip(SKIP_1) | instid1(VALU_DEP_2)
	v_or_b32_e32 v4, v21, v4
	s_wait_alu 0xf1ff
	v_cndmask_b32_e64 v3, 0, v3, s0
	v_cmp_gt_i32_e64 s0, s25, v35
	s_wait_alu 0xf1ff
	s_delay_alu instid0(VALU_DEP_1)
	v_cndmask_b32_e64 v24, 0, v24, s0
	s_branch .LBB85_32
.LBB85_43:
	s_or_b32 exec_lo, exec_lo, s6
.LBB85_44:
	s_wait_alu 0xfffe
	s_or_b32 exec_lo, exec_lo, s4
	s_movk_i32 s0, 0x1c0
	v_and_b32_e32 v1, 0x3c0, v0
	s_wait_alu 0xfffe
	v_mad_u32_u24 v4, v9, s0, 0x100
	v_or_b32_e32 v3, 0x60, v0
	s_mov_b32 s0, exec_lo
	s_wait_loadcnt 0x0
	s_wait_storecnt 0x0
	s_barrier_signal -1
	s_barrier_wait -1
	global_inv scope:SCOPE_SE
	v_cmpx_eq_u32_e32 64, v1
	s_cbranch_execz .LBB85_47
; %bb.45:
	v_add_nc_u32_e32 v1, 0xfffffc80, v4
	v_cmp_gt_u32_e32 vcc_lo, 0x70, v3
	s_delay_alu instid0(VALU_DEP_2)
	v_lshl_add_u32 v2, v11, 2, v1
	ds_store_2addr_b32 v2, v16, v15 offset1:32
	ds_store_b32 v2, v14 offset:256
	s_and_b32 exec_lo, exec_lo, vcc_lo
; %bb.46:
	v_lshl_add_u32 v1, v3, 2, v1
	ds_store_b32 v1, v13
.LBB85_47:
	s_wait_alu 0xfffe
	s_or_b32 exec_lo, exec_lo, s0
	v_lshl_add_u32 v5, v11, 2, v4
	s_mov_b32 s0, exec_lo
	s_wait_loadcnt_dscnt 0x0
	s_barrier_signal -1
	s_barrier_wait -1
	global_inv scope:SCOPE_SE
	v_cmpx_gt_u32_e32 64, v0
	s_cbranch_execz .LBB85_51
; %bb.48:
	v_lshl_or_b32 v1, v0, 2, 0x80
	s_mov_b32 s1, exec_lo
	s_delay_alu instid0(VALU_DEP_1)
	v_add_nc_u32_e32 v6, v4, v1
	ds_load_2addr_stride64_b32 v[1:2], v5 offset1:1
	ds_load_b32 v6, v6
	v_cmpx_gt_u32_e32 0x70, v3
	s_cbranch_execz .LBB85_50
; %bb.49:
	v_lshl_add_u32 v7, v3, 2, v4
	ds_load_b32 v7, v7
	s_wait_dscnt 0x0
	v_add_f32_e32 v13, v13, v7
.LBB85_50:
	s_wait_alu 0xfffe
	s_or_b32 exec_lo, exec_lo, s1
	s_wait_dscnt 0x0
	v_dual_add_f32 v16, v16, v1 :: v_dual_add_f32 v15, v15, v6
	v_add_f32_e32 v14, v14, v2
.LBB85_51:
	s_wait_alu 0xfffe
	s_or_b32 exec_lo, exec_lo, s0
	v_and_b32_e32 v1, 0x3e0, v0
	s_mov_b32 s0, exec_lo
	s_wait_loadcnt 0x0
	s_barrier_signal -1
	s_barrier_wait -1
	global_inv scope:SCOPE_SE
	v_cmpx_eq_u32_e32 32, v1
	s_cbranch_execz .LBB85_54
; %bb.52:
	v_lshl_add_u32 v1, v11, 2, 0x100
	v_cmp_gt_u32_e32 vcc_lo, 0x70, v3
	ds_store_b32 v1, v16
	ds_store_b32 v12, v15
	ds_store_b32 v1, v14 offset:256
	s_and_b32 exec_lo, exec_lo, vcc_lo
; %bb.53:
	v_lshl_add_u32 v1, v3, 2, 0x100
	ds_store_b32 v1, v13
.LBB85_54:
	s_wait_alu 0xfffe
	s_or_b32 exec_lo, exec_lo, s0
	v_cmp_gt_u32_e32 vcc_lo, 32, v0
	s_wait_loadcnt_dscnt 0x0
	s_barrier_signal -1
	s_barrier_wait -1
	global_inv scope:SCOPE_SE
	s_and_saveexec_b32 s1, vcc_lo
	s_cbranch_execz .LBB85_58
; %bb.55:
	v_lshl_add_u32 v6, v0, 2, v4
	s_mov_b32 s2, exec_lo
	ds_load_b32 v4, v5
	ds_load_2addr_b32 v[1:2], v6 offset0:32 offset1:64
	v_cmpx_gt_u32_e32 0x70, v3
	s_cbranch_execz .LBB85_57
; %bb.56:
	ds_load_b32 v5, v6 offset:384
	s_wait_dscnt 0x0
	v_add_f32_e32 v13, v13, v5
.LBB85_57:
	s_wait_alu 0xfffe
	s_or_b32 exec_lo, exec_lo, s2
	s_wait_dscnt 0x0
	v_dual_add_f32 v16, v16, v4 :: v_dual_add_f32 v15, v15, v1
	v_add_f32_e32 v14, v14, v2
.LBB85_58:
	s_wait_alu 0xfffe
	s_or_b32 exec_lo, exec_lo, s1
	s_wait_loadcnt 0x0
	s_barrier_signal -1
	s_barrier_wait -1
	global_inv scope:SCOPE_SE
	s_and_saveexec_b32 s0, vcc_lo
	s_cbranch_execz .LBB85_61
; %bb.59:
	s_mul_i32 s0, s18, 0x70
	s_mul_i32 s2, s8, s12
	s_wait_alu 0xfffe
	s_ashr_i32 s1, s0, 31
	s_ashr_i32 s3, s2, 31
	s_wait_alu 0xfffe
	s_lshl_b64 s[0:1], s[0:1], 1
	s_lshl_b64 s[2:3], s[2:3], 1
	s_wait_alu 0xfffe
	s_add_nc_u64 s[0:1], s[10:11], s[0:1]
	v_lshlrev_b32_e32 v0, 1, v0
	s_mul_i32 s4, s24, 0xe0
	s_wait_alu 0xfffe
	s_add_nc_u64 s[0:1], s[0:1], s[2:3]
	s_mov_b32 s5, 0
	v_cmp_gt_u32_e32 vcc_lo, 0x70, v3
	s_wait_alu 0xfffe
	s_add_nc_u64 s[0:1], s[0:1], s[4:5]
	;;#ASMSTART
	v_cvt_f16_f32 v1, v16;

	;;#ASMEND
	global_store_b16 v0, v1, s[0:1]
	;;#ASMSTART
	v_cvt_f16_f32 v1, v15;

	;;#ASMEND
	global_store_b16 v0, v1, s[0:1] offset:64
	;;#ASMSTART
	v_cvt_f16_f32 v1, v14;

	;;#ASMEND
	global_store_b16 v0, v1, s[0:1] offset:128
	s_and_b32 exec_lo, exec_lo, vcc_lo
	s_cbranch_execz .LBB85_61
; %bb.60:
	s_wait_alu 0xfffe
	v_add_co_u32 v0, s0, s0, v0
	s_wait_alu 0xf1ff
	v_add_co_ci_u32_e64 v1, null, s1, 0, s0
	;;#ASMSTART
	v_cvt_f16_f32 v2, v13;

	;;#ASMEND
	global_store_b16 v[0:1], v2, off offset:192
.LBB85_61:
	s_endpgm
	.section	.rodata,"a",@progbits
	.p2align	6, 0x0
	.amdhsa_kernel _ZN4vllm25paged_attention_v2_kernelIttLi112ELi8ELi128ELNS_18Fp8KVCacheDataTypeE0ELb0ELi512EEEvPfS2_PT_PKS3_PKT0_S9_ifPKiSB_iPKfiiiSD_SD_iiiii
		.amdhsa_group_segment_fixed_size 256
		.amdhsa_private_segment_fixed_size 0
		.amdhsa_kernarg_size 400
		.amdhsa_user_sgpr_count 2
		.amdhsa_user_sgpr_dispatch_ptr 0
		.amdhsa_user_sgpr_queue_ptr 0
		.amdhsa_user_sgpr_kernarg_segment_ptr 1
		.amdhsa_user_sgpr_dispatch_id 0
		.amdhsa_user_sgpr_private_segment_size 0
		.amdhsa_wavefront_size32 1
		.amdhsa_uses_dynamic_stack 0
		.amdhsa_enable_private_segment 0
		.amdhsa_system_sgpr_workgroup_id_x 1
		.amdhsa_system_sgpr_workgroup_id_y 1
		.amdhsa_system_sgpr_workgroup_id_z 1
		.amdhsa_system_sgpr_workgroup_info 0
		.amdhsa_system_vgpr_workitem_id 0
		.amdhsa_next_free_vgpr 67
		.amdhsa_next_free_sgpr 32
		.amdhsa_reserve_vcc 1
		.amdhsa_float_round_mode_32 0
		.amdhsa_float_round_mode_16_64 0
		.amdhsa_float_denorm_mode_32 3
		.amdhsa_float_denorm_mode_16_64 3
		.amdhsa_fp16_overflow 0
		.amdhsa_workgroup_processor_mode 1
		.amdhsa_memory_ordered 1
		.amdhsa_forward_progress 1
		.amdhsa_inst_pref_size 46
		.amdhsa_round_robin_scheduling 0
		.amdhsa_exception_fp_ieee_invalid_op 0
		.amdhsa_exception_fp_denorm_src 0
		.amdhsa_exception_fp_ieee_div_zero 0
		.amdhsa_exception_fp_ieee_overflow 0
		.amdhsa_exception_fp_ieee_underflow 0
		.amdhsa_exception_fp_ieee_inexact 0
		.amdhsa_exception_int_div_zero 0
	.end_amdhsa_kernel
	.section	.text._ZN4vllm25paged_attention_v2_kernelIttLi112ELi8ELi128ELNS_18Fp8KVCacheDataTypeE0ELb0ELi512EEEvPfS2_PT_PKS3_PKT0_S9_ifPKiSB_iPKfiiiSD_SD_iiiii,"axG",@progbits,_ZN4vllm25paged_attention_v2_kernelIttLi112ELi8ELi128ELNS_18Fp8KVCacheDataTypeE0ELb0ELi512EEEvPfS2_PT_PKS3_PKT0_S9_ifPKiSB_iPKfiiiSD_SD_iiiii,comdat
.Lfunc_end85:
	.size	_ZN4vllm25paged_attention_v2_kernelIttLi112ELi8ELi128ELNS_18Fp8KVCacheDataTypeE0ELb0ELi512EEEvPfS2_PT_PKS3_PKT0_S9_ifPKiSB_iPKfiiiSD_SD_iiiii, .Lfunc_end85-_ZN4vllm25paged_attention_v2_kernelIttLi112ELi8ELi128ELNS_18Fp8KVCacheDataTypeE0ELb0ELi512EEEvPfS2_PT_PKS3_PKT0_S9_ifPKiSB_iPKfiiiSD_SD_iiiii
                                        ; -- End function
	.set _ZN4vllm25paged_attention_v2_kernelIttLi112ELi8ELi128ELNS_18Fp8KVCacheDataTypeE0ELb0ELi512EEEvPfS2_PT_PKS3_PKT0_S9_ifPKiSB_iPKfiiiSD_SD_iiiii.num_vgpr, 67
	.set _ZN4vllm25paged_attention_v2_kernelIttLi112ELi8ELi128ELNS_18Fp8KVCacheDataTypeE0ELb0ELi512EEEvPfS2_PT_PKS3_PKT0_S9_ifPKiSB_iPKfiiiSD_SD_iiiii.num_agpr, 0
	.set _ZN4vllm25paged_attention_v2_kernelIttLi112ELi8ELi128ELNS_18Fp8KVCacheDataTypeE0ELb0ELi512EEEvPfS2_PT_PKS3_PKT0_S9_ifPKiSB_iPKfiiiSD_SD_iiiii.numbered_sgpr, 32
	.set _ZN4vllm25paged_attention_v2_kernelIttLi112ELi8ELi128ELNS_18Fp8KVCacheDataTypeE0ELb0ELi512EEEvPfS2_PT_PKS3_PKT0_S9_ifPKiSB_iPKfiiiSD_SD_iiiii.num_named_barrier, 0
	.set _ZN4vllm25paged_attention_v2_kernelIttLi112ELi8ELi128ELNS_18Fp8KVCacheDataTypeE0ELb0ELi512EEEvPfS2_PT_PKS3_PKT0_S9_ifPKiSB_iPKfiiiSD_SD_iiiii.private_seg_size, 0
	.set _ZN4vllm25paged_attention_v2_kernelIttLi112ELi8ELi128ELNS_18Fp8KVCacheDataTypeE0ELb0ELi512EEEvPfS2_PT_PKS3_PKT0_S9_ifPKiSB_iPKfiiiSD_SD_iiiii.uses_vcc, 1
	.set _ZN4vllm25paged_attention_v2_kernelIttLi112ELi8ELi128ELNS_18Fp8KVCacheDataTypeE0ELb0ELi512EEEvPfS2_PT_PKS3_PKT0_S9_ifPKiSB_iPKfiiiSD_SD_iiiii.uses_flat_scratch, 0
	.set _ZN4vllm25paged_attention_v2_kernelIttLi112ELi8ELi128ELNS_18Fp8KVCacheDataTypeE0ELb0ELi512EEEvPfS2_PT_PKS3_PKT0_S9_ifPKiSB_iPKfiiiSD_SD_iiiii.has_dyn_sized_stack, 0
	.set _ZN4vllm25paged_attention_v2_kernelIttLi112ELi8ELi128ELNS_18Fp8KVCacheDataTypeE0ELb0ELi512EEEvPfS2_PT_PKS3_PKT0_S9_ifPKiSB_iPKfiiiSD_SD_iiiii.has_recursion, 0
	.set _ZN4vllm25paged_attention_v2_kernelIttLi112ELi8ELi128ELNS_18Fp8KVCacheDataTypeE0ELb0ELi512EEEvPfS2_PT_PKS3_PKT0_S9_ifPKiSB_iPKfiiiSD_SD_iiiii.has_indirect_call, 0
	.section	.AMDGPU.csdata,"",@progbits
; Kernel info:
; codeLenInByte = 5848
; TotalNumSgprs: 34
; NumVgprs: 67
; ScratchSize: 0
; MemoryBound: 0
; FloatMode: 240
; IeeeMode: 1
; LDSByteSize: 256 bytes/workgroup (compile time only)
; SGPRBlocks: 0
; VGPRBlocks: 8
; NumSGPRsForWavesPerEU: 34
; NumVGPRsForWavesPerEU: 67
; Occupancy: 16
; WaveLimiterHint : 1
; COMPUTE_PGM_RSRC2:SCRATCH_EN: 0
; COMPUTE_PGM_RSRC2:USER_SGPR: 2
; COMPUTE_PGM_RSRC2:TRAP_HANDLER: 0
; COMPUTE_PGM_RSRC2:TGID_X_EN: 1
; COMPUTE_PGM_RSRC2:TGID_Y_EN: 1
; COMPUTE_PGM_RSRC2:TGID_Z_EN: 1
; COMPUTE_PGM_RSRC2:TIDIG_COMP_CNT: 0
	.section	.text._ZN4vllm25paged_attention_v2_kernelIttLi120ELi8ELi128ELNS_18Fp8KVCacheDataTypeE0ELb0ELi512EEEvPfS2_PT_PKS3_PKT0_S9_ifPKiSB_iPKfiiiSD_SD_iiiii,"axG",@progbits,_ZN4vllm25paged_attention_v2_kernelIttLi120ELi8ELi128ELNS_18Fp8KVCacheDataTypeE0ELb0ELi512EEEvPfS2_PT_PKS3_PKT0_S9_ifPKiSB_iPKfiiiSD_SD_iiiii,comdat
	.protected	_ZN4vllm25paged_attention_v2_kernelIttLi120ELi8ELi128ELNS_18Fp8KVCacheDataTypeE0ELb0ELi512EEEvPfS2_PT_PKS3_PKT0_S9_ifPKiSB_iPKfiiiSD_SD_iiiii ; -- Begin function _ZN4vllm25paged_attention_v2_kernelIttLi120ELi8ELi128ELNS_18Fp8KVCacheDataTypeE0ELb0ELi512EEEvPfS2_PT_PKS3_PKT0_S9_ifPKiSB_iPKfiiiSD_SD_iiiii
	.globl	_ZN4vllm25paged_attention_v2_kernelIttLi120ELi8ELi128ELNS_18Fp8KVCacheDataTypeE0ELb0ELi512EEEvPfS2_PT_PKS3_PKT0_S9_ifPKiSB_iPKfiiiSD_SD_iiiii
	.p2align	8
	.type	_ZN4vllm25paged_attention_v2_kernelIttLi120ELi8ELi128ELNS_18Fp8KVCacheDataTypeE0ELb0ELi512EEEvPfS2_PT_PKS3_PKT0_S9_ifPKiSB_iPKfiiiSD_SD_iiiii,@function
_ZN4vllm25paged_attention_v2_kernelIttLi120ELi8ELi128ELNS_18Fp8KVCacheDataTypeE0ELb0ELi512EEEvPfS2_PT_PKS3_PKT0_S9_ifPKiSB_iPKfiiiSD_SD_iiiii: ; @_ZN4vllm25paged_attention_v2_kernelIttLi120ELi8ELi128ELNS_18Fp8KVCacheDataTypeE0ELb0ELi512EEEvPfS2_PT_PKS3_PKT0_S9_ifPKiSB_iPKfiiiSD_SD_iiiii
; %bb.0:
	s_load_b64 s[2:3], s[0:1], 0x40
	s_and_b32 s20, ttmp7, 0xffff
	s_lshr_b32 s24, ttmp7, 16
	s_lshl_b32 s4, s20, 2
	s_lshl_b32 s26, s24, 9
	s_wait_kmcnt 0x0
	s_load_b32 s25, s[2:3], s4 offset:0x0
	s_wait_kmcnt 0x0
	s_cmp_ge_i32 s26, s25
	s_cbranch_scc1 .LBB86_61
; %bb.1:
	s_clause 0x1
	s_load_b32 s21, s[0:1], 0x90
	s_load_b64 s[6:7], s[0:1], 0x30
	s_wait_kmcnt 0x0
	s_abs_i32 s5, s21
	s_abs_i32 s2, s6
	s_delay_alu instid0(SALU_CYCLE_1) | instskip(SKIP_1) | instid1(SALU_CYCLE_2)
	s_cvt_f32_u32 s3, s2
	s_sub_co_i32 s4, 0, s2
	v_rcp_iflag_f32_e32 v1, s3
	s_delay_alu instid0(TRANS32_DEP_1) | instskip(SKIP_2) | instid1(SALU_CYCLE_2)
	v_readfirstlane_b32 s3, v1
	s_mul_f32 s3, s3, 0x4f7ffffe
	s_wait_alu 0xfffe
	s_cvt_u32_f32 s3, s3
	s_wait_alu 0xfffe
	s_delay_alu instid0(SALU_CYCLE_2) | instskip(NEXT) | instid1(SALU_CYCLE_1)
	s_mul_i32 s4, s4, s3
	s_mul_hi_u32 s4, s3, s4
	s_delay_alu instid0(SALU_CYCLE_1)
	s_add_co_i32 s3, s3, s4
	s_xor_b32 s4, s21, s6
	s_wait_alu 0xfffe
	s_mul_hi_u32 s3, s5, s3
	s_ashr_i32 s4, s4, 31
	s_wait_alu 0xfffe
	s_mul_i32 s6, s3, s2
	s_delay_alu instid0(SALU_CYCLE_1)
	s_sub_co_i32 s5, s5, s6
	s_add_co_i32 s6, s3, 1
	s_sub_co_i32 s8, s5, s2
	s_cmp_ge_u32 s5, s2
	s_cselect_b32 s3, s6, s3
	s_cselect_b32 s5, s8, s5
	s_wait_alu 0xfffe
	s_add_co_i32 s6, s3, 1
	s_cmp_ge_u32 s5, s2
	s_load_b64 s[8:9], s[0:1], 0x50
	s_cselect_b32 s2, s6, s3
	s_mov_b32 s3, 0
	s_wait_alu 0xfffe
	s_xor_b32 s2, s2, s4
	s_mov_b32 s6, s3
	s_wait_alu 0xfffe
	s_sub_co_i32 s12, s2, s4
	s_delay_alu instid0(SALU_CYCLE_1) | instskip(NEXT) | instid1(SALU_CYCLE_1)
	s_abs_i32 s11, s12
	s_cvt_f32_u32 s2, s11
	s_wait_alu 0xfffe
	s_delay_alu instid0(SALU_CYCLE_2) | instskip(NEXT) | instid1(TRANS32_DEP_1)
	v_rcp_iflag_f32_e32 v1, s2
	v_readfirstlane_b32 s2, v1
	s_mul_f32 s2, s2, 0x4f7ffffe
	s_wait_alu 0xfffe
	s_delay_alu instid0(SALU_CYCLE_2) | instskip(SKIP_2) | instid1(SALU_CYCLE_1)
	s_cvt_u32_f32 s4, s2
	s_sub_co_i32 s2, 0, s11
	s_wait_alu 0xfffe
	s_mul_i32 s2, s2, s4
	s_wait_alu 0xfffe
	s_mul_hi_u32 s5, s4, s2
	s_abs_i32 s2, ttmp9
	s_add_co_i32 s4, s4, s5
	s_mov_b32 s5, s3
	s_wait_kmcnt 0x0
	s_cmp_eq_u64 s[8:9], 0
	s_cbranch_scc1 .LBB86_3
; %bb.2:
	s_mov_b32 s14, ttmp9
	s_ashr_i32 s15, ttmp9, 31
	s_delay_alu instid0(SALU_CYCLE_1) | instskip(NEXT) | instid1(SALU_CYCLE_1)
	s_lshl_b64 s[14:15], s[14:15], 2
	s_add_nc_u64 s[8:9], s[8:9], s[14:15]
	s_load_b32 s6, s[8:9], 0x0
.LBB86_3:
	s_load_b96 s[8:10], s[0:1], 0x58
	v_and_b32_e32 v1, 3, v0
	v_lshlrev_b32_e32 v2, 2, v0
	s_mul_u64 s[4:5], s[2:3], s[4:5]
	s_ashr_i32 s3, ttmp9, 31
	s_ashr_i32 s4, s12, 31
	s_mul_i32 s12, ttmp9, 0x78
	s_mov_b32 s14, exec_lo
	v_cmpx_gt_u32_e32 60, v0
	s_cbranch_execz .LBB86_5
; %bb.4:
	s_load_b64 s[16:17], s[0:1], 0x18
	s_wait_kmcnt 0x0
	s_mul_i32 s18, s8, s20
	s_ashr_i32 s13, s12, 31
	s_ashr_i32 s19, s18, 31
	v_and_b32_e32 v4, 0x3fc, v0
	s_lshl_b64 s[18:19], s[18:19], 1
	s_delay_alu instid0(VALU_DEP_1) | instskip(SKIP_2) | instid1(SALU_CYCLE_1)
	v_mad_u32_u24 v4, v1, 60, v4
	s_add_nc_u64 s[16:17], s[16:17], s[18:19]
	s_lshl_b64 s[18:19], s[12:13], 1
	s_add_nc_u64 s[16:17], s[16:17], s[18:19]
	global_load_b32 v3, v2, s[16:17]
	s_wait_loadcnt 0x0
	ds_store_b32 v4, v3
.LBB86_5:
	s_or_b32 exec_lo, exec_lo, s14
	s_wait_kmcnt 0x0
	s_add_co_i32 s8, s25, 7
	s_wait_alu 0xfffe
	s_xor_b32 s3, s3, s4
	s_ashr_i32 s13, s8, 31
	s_lshl_b32 s28, s24, 6
	s_lshr_b32 s4, s13, 29
	s_mul_i32 s13, s5, s11
	s_add_co_i32 s8, s8, s4
	s_add_co_i32 s4, s28, 64
	s_ashr_i32 s27, s8, 3
	s_load_b32 s8, s[0:1], 0x48
	s_sub_co_i32 s2, s2, s13
	s_min_i32 s13, s4, s27
	s_add_co_i32 s4, s5, 1
	s_wait_alu 0xfffe
	s_sub_co_i32 s14, s2, s11
	s_cmp_ge_u32 s2, s11
	v_lshrrev_b32_e32 v9, 5, v0
	s_cselect_b32 s4, s4, s5
	s_cselect_b32 s2, s14, s2
	s_add_co_i32 s5, s4, 1
	s_wait_alu 0xfffe
	s_cmp_ge_u32 s2, s11
	v_or_b32_e32 v10, s28, v9
	s_cselect_b32 s2, s5, s4
	v_mbcnt_lo_u32_b32 v5, -1, 0
	s_wait_alu 0xfffe
	s_xor_b32 s2, s2, s3
	s_mov_b32 s4, exec_lo
	s_wait_alu 0xfffe
	s_sub_co_i32 s3, s2, s3
	v_cmp_gt_i32_e64 s2, s13, v10
	s_wait_dscnt 0x0
	s_barrier_signal -1
	s_wait_kmcnt 0x0
	s_mul_i32 s14, s8, s20
	s_barrier_wait -1
	s_ashr_i32 s15, s14, 31
	global_inv scope:SCOPE_SE
                                        ; implicit-def: $vgpr6
                                        ; implicit-def: $vgpr7
	v_cmpx_le_i32_e64 s13, v10
	s_xor_b32 s4, exec_lo, s4
; %bb.6:
	v_dual_mov_b32 v6, 0 :: v_dual_mov_b32 v7, 32
	v_mbcnt_lo_u32_b32 v5, -1, 0
                                        ; implicit-def: $vgpr2
                                        ; implicit-def: $vgpr1
; %bb.7:
	s_or_saveexec_b32 s11, s4
	s_clause 0x1
	s_load_b64 s[16:17], s[0:1], 0x38
	s_load_b32 s8, s[0:1], 0x98
	v_dual_mov_b32 v8, 0xff7fffff :: v_dual_lshlrev_b32 v3, 2, v10
	v_lshlrev_b32_e32 v4, 3, v9
	s_mul_i32 s18, s3, s10
	s_xor_b32 exec_lo, exec_lo, s11
	s_cbranch_execz .LBB86_13
; %bb.8:
	s_load_b64 s[4:5], s[0:1], 0x20
	v_bfe_u32 v7, v0, 2, 3
	s_ashr_i32 s19, s18, 31
	v_mov_b32_e32 v6, 0
	v_mul_u32_u24_e32 v11, 60, v1
	v_cmp_eq_u32_e32 vcc_lo, 0, v1
	v_lshlrev_b32_e32 v1, 4, v7
	v_lshlrev_b32_e32 v8, 2, v7
	s_lshl_b64 s[22:23], s[18:19], 1
	s_cmp_neq_f32 s6, 0
	v_and_b32_e32 v2, 12, v2
	v_add3_u32 v12, s26, v4, v7
	v_lshl_or_b32 v7, v9, 5, v8
	s_cselect_b32 s3, -1, 0
	s_lshl_b64 s[30:31], s[14:15], 2
	v_xor_b32_e32 v16, 2, v5
	s_wait_kmcnt 0x0
	s_add_nc_u64 s[30:31], s[16:17], s[30:31]
	v_dual_mov_b32 v18, v10 :: v_dual_add_nc_u32 v13, 0x110, v7
	v_mov_b32_e32 v7, 32
	s_add_nc_u64 s[4:5], s[4:5], s[22:23]
	v_xor_b32_e32 v17, 1, v5
	v_add_co_u32 v1, s4, s4, v1
	s_wait_alu 0xf1ff
	v_add_co_ci_u32_e64 v8, null, s5, 0, s4
	s_mov_b32 s19, s9
	v_add_co_u32 v14, s4, v1, v2
	s_wait_alu 0xf1ff
	v_add_co_ci_u32_e64 v15, null, 0, v8, s4
	v_add_co_u32 v1, s4, s30, v3
	s_wait_alu 0xf1ff
	v_add_co_ci_u32_e64 v2, null, s31, 0, s4
	v_mov_b32_e32 v8, 0xff7fffff
	s_mov_b32 s10, 0
	s_sub_co_i32 s22, 1, s25
	s_branch .LBB86_10
.LBB86_9:                               ;   in Loop: Header=BB86_10 Depth=1
	s_wait_alu 0xfffe
	s_or_b32 exec_lo, exec_lo, s5
	v_add_nc_u32_e32 v18, 4, v18
	v_add_co_u32 v1, s5, v1, 16
	v_add_nc_u32_e32 v12, 32, v12
	v_add_nc_u32_e32 v13, 0x80, v13
	s_delay_alu instid0(VALU_DEP_4) | instskip(SKIP_3) | instid1(SALU_CYCLE_1)
	v_cmp_le_i32_e64 s4, s13, v18
	s_wait_alu 0xf1ff
	v_add_co_ci_u32_e64 v2, null, 0, v2, s5
	s_or_b32 s10, s4, s10
	s_and_not1_b32 exec_lo, exec_lo, s10
	s_cbranch_execz .LBB86_12
.LBB86_10:                              ; =>This Inner Loop Header: Depth=1
	global_load_b32 v19, v[1:2], off
	s_wait_loadcnt_dscnt 0x0
	v_mad_co_i64_i32 v[19:20], null, v19, s19, 0
	s_delay_alu instid0(VALU_DEP_1) | instskip(NEXT) | instid1(VALU_DEP_1)
	v_lshlrev_b64_e32 v[19:20], 1, v[19:20]
	v_add_co_u32 v19, s4, v14, v19
	s_wait_alu 0xf1ff
	s_delay_alu instid0(VALU_DEP_2)
	v_add_co_ci_u32_e64 v20, null, v15, v20, s4
	v_cmp_gt_i32_e64 s4, 32, v16
	s_clause 0xa
	global_load_b32 v21, v[19:20], off
	global_load_b32 v22, v[19:20], off offset:128
	global_load_b32 v23, v[19:20], off offset:256
	;; [unrolled: 1-line block ×10, first 2 shown]
	ds_load_b32 v32, v11
	s_wait_dscnt 0x0
	v_lshrrev_b32_e32 v34, 16, v32
	v_and_b32_e32 v35, 0xffff, v32
	s_wait_loadcnt 0xa
	v_lshrrev_b32_e32 v36, 16, v21
	v_and_b32_e32 v37, 0xffff, v21
	s_clause 0x3
	global_load_b32 v21, v[19:20], off offset:1408
	global_load_b32 v32, v[19:20], off offset:1536
	;; [unrolled: 1-line block ×4, first 2 shown]
	;;#ASMSTART
	v_cvt_f32_f16 v20, v35;
	;;#ASMEND
	;;#ASMSTART
	v_cvt_f32_f16 v34, v34;
	;;#ASMEND
	;; [unrolled: 3-line block ×4, first 2 shown]
	ds_load_b32 v37, v11 offset:4
	s_wait_loadcnt 0xd
	v_and_b32_e32 v39, 0xffff, v22
	v_lshrrev_b32_e32 v40, 16, v22
	s_wait_loadcnt 0xc
	v_lshrrev_b32_e32 v43, 16, v23
	s_wait_loadcnt 0xb
	v_and_b32_e32 v45, 0xffff, v24
	v_lshrrev_b32_e32 v46, 16, v24
	s_wait_loadcnt 0xa
	v_and_b32_e32 v48, 0xffff, v25
	;; [unrolled: 3-line block ×3, first 2 shown]
	v_lshrrev_b32_e32 v52, 16, v26
	s_wait_loadcnt 0x8
	v_lshrrev_b32_e32 v55, 16, v27
	s_wait_loadcnt 0x7
	v_and_b32_e32 v57, 0xffff, v28
	v_lshrrev_b32_e32 v58, 16, v28
	s_wait_loadcnt 0x6
	v_and_b32_e32 v60, 0xffff, v29
	;; [unrolled: 3-line block ×3, first 2 shown]
	v_lshrrev_b32_e32 v64, 16, v30
	s_wait_loadcnt 0x4
	v_lshrrev_b32_e32 v67, 16, v31
	s_wait_dscnt 0x0
	v_and_b32_e32 v38, 0xffff, v37
	v_lshrrev_b32_e32 v37, 16, v37
	;;#ASMSTART
	v_cvt_f32_f16 v22, v38;
	;;#ASMEND
	;;#ASMSTART
	v_cvt_f32_f16 v37, v37;
	;;#ASMEND
	;; [unrolled: 3-line block ×4, first 2 shown]
	ds_load_b32 v40, v11 offset:8
	v_mul_f32_e32 v37, v37, v39
	v_and_b32_e32 v42, 0xffff, v23
	v_mul_f32_e32 v22, v22, v38
	s_delay_alu instid0(VALU_DEP_1)
	v_dual_fmac_f32 v37, v34, v36 :: v_dual_fmac_f32 v22, v20, v35
	s_wait_dscnt 0x0
	v_and_b32_e32 v41, 0xffff, v40
	v_lshrrev_b32_e32 v40, 16, v40
	;;#ASMSTART
	v_cvt_f32_f16 v23, v41;
	;;#ASMEND
	;;#ASMSTART
	v_cvt_f32_f16 v40, v40;
	;;#ASMEND
	;; [unrolled: 3-line block ×4, first 2 shown]
	ds_load_b32 v43, v11 offset:12
	v_dual_fmac_f32 v22, v23, v41 :: v_dual_fmac_f32 v37, v40, v42
	s_wait_dscnt 0x0
	v_and_b32_e32 v44, 0xffff, v43
	v_lshrrev_b32_e32 v43, 16, v43
	;;#ASMSTART
	v_cvt_f32_f16 v24, v44;
	;;#ASMEND
	;;#ASMSTART
	v_cvt_f32_f16 v43, v43;
	;;#ASMEND
	;; [unrolled: 3-line block ×4, first 2 shown]
	ds_load_b32 v46, v11 offset:16
	v_fmac_f32_e32 v22, v24, v44
	v_dual_fmac_f32 v37, v43, v45 :: v_dual_and_b32 v54, 0xffff, v27
	s_wait_dscnt 0x0
	v_and_b32_e32 v47, 0xffff, v46
	v_lshrrev_b32_e32 v46, 16, v46
	;;#ASMSTART
	v_cvt_f32_f16 v25, v47;
	;;#ASMEND
	;;#ASMSTART
	v_cvt_f32_f16 v46, v46;
	;;#ASMEND
	;;#ASMSTART
	v_cvt_f32_f16 v47, v48;
	;;#ASMEND
	;;#ASMSTART
	v_cvt_f32_f16 v48, v49;
	;;#ASMEND
	ds_load_b32 v49, v11 offset:20
	v_dual_fmac_f32 v37, v46, v48 :: v_dual_fmac_f32 v22, v25, v47
	s_wait_dscnt 0x0
	v_and_b32_e32 v50, 0xffff, v49
	v_lshrrev_b32_e32 v49, 16, v49
	;;#ASMSTART
	v_cvt_f32_f16 v26, v50;
	;;#ASMEND
	;;#ASMSTART
	v_cvt_f32_f16 v49, v49;
	;;#ASMEND
	;;#ASMSTART
	v_cvt_f32_f16 v50, v51;
	;;#ASMEND
	;;#ASMSTART
	v_cvt_f32_f16 v51, v52;
	;;#ASMEND
	ds_load_b32 v52, v11 offset:24
	v_dual_fmac_f32 v37, v49, v51 :: v_dual_fmac_f32 v22, v26, v50
	;; [unrolled: 17-line block ×3, first 2 shown]
	s_wait_dscnt 0x0
	v_and_b32_e32 v56, 0xffff, v55
	v_lshrrev_b32_e32 v55, 16, v55
	;;#ASMSTART
	v_cvt_f32_f16 v28, v56;
	;;#ASMEND
	;;#ASMSTART
	v_cvt_f32_f16 v55, v55;
	;;#ASMEND
	;; [unrolled: 3-line block ×4, first 2 shown]
	ds_load_b32 v58, v11 offset:32
	v_fmac_f32_e32 v22, v28, v56
	v_dual_fmac_f32 v37, v55, v57 :: v_dual_and_b32 v66, 0xffff, v31
	s_wait_dscnt 0x0
	v_and_b32_e32 v59, 0xffff, v58
	v_lshrrev_b32_e32 v58, 16, v58
	;;#ASMSTART
	v_cvt_f32_f16 v29, v59;
	;;#ASMEND
	;;#ASMSTART
	v_cvt_f32_f16 v58, v58;
	;;#ASMEND
	;;#ASMSTART
	v_cvt_f32_f16 v59, v60;
	;;#ASMEND
	;;#ASMSTART
	v_cvt_f32_f16 v60, v61;
	;;#ASMEND
	ds_load_b32 v61, v11 offset:36
	v_dual_fmac_f32 v37, v58, v60 :: v_dual_fmac_f32 v22, v29, v59
	s_wait_dscnt 0x0
	v_and_b32_e32 v62, 0xffff, v61
	v_lshrrev_b32_e32 v61, 16, v61
	;;#ASMSTART
	v_cvt_f32_f16 v30, v62;
	;;#ASMEND
	;;#ASMSTART
	v_cvt_f32_f16 v61, v61;
	;;#ASMEND
	;;#ASMSTART
	v_cvt_f32_f16 v62, v63;
	;;#ASMEND
	;;#ASMSTART
	v_cvt_f32_f16 v63, v64;
	;;#ASMEND
	ds_load_b32 v64, v11 offset:40
	v_dual_fmac_f32 v22, v30, v62 :: v_dual_fmac_f32 v37, v61, v63
	;; [unrolled: 17-line block ×3, first 2 shown]
	s_wait_dscnt 0x0
	v_and_b32_e32 v68, 0xffff, v67
	v_lshrrev_b32_e32 v67, 16, v67
	s_wait_loadcnt 0x3
	v_and_b32_e32 v69, 0xffff, v21
	v_lshrrev_b32_e32 v70, 16, v21
	;;#ASMSTART
	v_cvt_f32_f16 v21, v68;
	;;#ASMEND
	;;#ASMSTART
	v_cvt_f32_f16 v67, v67;
	;;#ASMEND
	;; [unrolled: 3-line block ×4, first 2 shown]
	ds_load_b32 v70, v11 offset:48
	s_wait_loadcnt 0x2
	v_lshrrev_b32_e32 v34, 16, v32
	v_and_b32_e32 v32, 0xffff, v32
	s_wait_loadcnt 0x1
	v_dual_fmac_f32 v22, v21, v68 :: v_dual_and_b32 v27, 0xffff, v33
	v_lshrrev_b32_e32 v35, 16, v33
	s_wait_alu 0xf1ff
	v_cndmask_b32_e64 v21, v5, v16, s4
	v_cmp_gt_i32_e64 s4, 32, v17
	s_wait_loadcnt 0x0
	v_lshrrev_b32_e32 v30, 16, v19
	s_wait_dscnt 0x0
	v_dual_fmac_f32 v37, v67, v69 :: v_dual_and_b32 v20, 0xffff, v70
	v_lshrrev_b32_e32 v23, 16, v70
	;;#ASMSTART
	v_cvt_f32_f16 v20, v20;
	;;#ASMEND
	;;#ASMSTART
	v_cvt_f32_f16 v23, v23;
	;;#ASMEND
	;; [unrolled: 3-line block ×4, first 2 shown]
	ds_load_b32 v34, v11 offset:52
	s_wait_dscnt 0x0
	v_dual_fmac_f32 v22, v20, v24 :: v_dual_and_b32 v25, 0xffff, v34
	v_lshrrev_b32_e32 v26, 16, v34
	;;#ASMSTART
	v_cvt_f32_f16 v25, v25;
	;;#ASMEND
	;;#ASMSTART
	v_cvt_f32_f16 v26, v26;
	;;#ASMEND
	;; [unrolled: 3-line block ×4, first 2 shown]
	ds_load_b32 v29, v11 offset:56
	v_dual_fmac_f32 v37, v23, v32 :: v_dual_fmac_f32 v22, v25, v27
	s_wait_dscnt 0x0
	v_and_b32_e32 v20, 0xffff, v29
	s_delay_alu instid0(VALU_DEP_2)
	v_dual_fmac_f32 v37, v26, v28 :: v_dual_and_b32 v24, 0xffff, v19
	v_lshrrev_b32_e32 v23, 16, v29
	;;#ASMSTART
	v_cvt_f32_f16 v19, v20;
	;;#ASMEND
	;;#ASMSTART
	v_cvt_f32_f16 v20, v23;
	;;#ASMEND
	;; [unrolled: 3-line block ×4, first 2 shown]
	v_dual_fmac_f32 v22, v19, v23 :: v_dual_lshlrev_b32 v19, 2, v21
	s_wait_alu 0xf1ff
	v_cndmask_b32_e64 v21, v5, v17, s4
	v_fmac_f32_e32 v37, v20, v24
	s_delay_alu instid0(VALU_DEP_1)
	v_add_f32_e32 v20, v22, v37
	ds_bpermute_b32 v19, v19, v20
	s_wait_dscnt 0x0
	v_dual_add_f32 v19, v20, v19 :: v_dual_lshlrev_b32 v20, 2, v21
	ds_bpermute_b32 v20, v20, v19
	s_and_saveexec_b32 s5, vcc_lo
	s_cbranch_execz .LBB86_9
; %bb.11:                               ;   in Loop: Header=BB86_10 Depth=1
	s_wait_dscnt 0x0
	v_add_f32_e32 v19, v19, v20
	v_add_nc_u32_e32 v21, s22, v12
	v_cmp_gt_i32_e64 s4, s25, v12
	s_delay_alu instid0(VALU_DEP_2) | instskip(NEXT) | instid1(VALU_DEP_1)
	v_cvt_f32_i32_e32 v21, v21
	v_mul_f32_e32 v21, s6, v21
	s_wait_alu 0xfffe
	s_delay_alu instid0(VALU_DEP_1) | instskip(NEXT) | instid1(VALU_DEP_1)
	v_cndmask_b32_e64 v20, 0, v21, s3
	v_dual_max_num_f32 v21, v8, v8 :: v_dual_fmac_f32 v20, s7, v19
	s_delay_alu instid0(VALU_DEP_1) | instskip(SKIP_2) | instid1(VALU_DEP_2)
	v_max_num_f32_e32 v19, v21, v20
	s_wait_alu 0xf1ff
	v_cndmask_b32_e64 v20, 0, v20, s4
	v_cndmask_b32_e64 v8, v8, v19, s4
	ds_store_b32 v13, v20
	s_branch .LBB86_9
.LBB86_12:
	s_or_b32 exec_lo, exec_lo, s10
.LBB86_13:
	s_delay_alu instid0(SALU_CYCLE_1)
	s_or_b32 exec_lo, exec_lo, s11
	v_xor_b32_e32 v1, 16, v5
	v_xor_b32_e32 v11, 8, v5
	s_clause 0x2
	s_load_b128 s[4:7], s[0:1], 0x0
	s_load_b64 s[10:11], s[0:1], 0x10
	s_load_b64 s[22:23], s[0:1], 0x28
	v_dual_max_num_f32 v12, v8, v8 :: v_dual_lshlrev_b32 v13, 2, v9
	v_cmp_lt_i32_e32 vcc_lo, v1, v7
	v_cndmask_b32_e32 v1, v5, v1, vcc_lo
	v_cmp_lt_i32_e32 vcc_lo, v11, v7
	s_delay_alu instid0(VALU_DEP_2) | instskip(SKIP_4) | instid1(VALU_DEP_1)
	v_lshlrev_b32_e32 v2, 2, v1
	ds_bpermute_b32 v1, v2, v8
	s_wait_dscnt 0x0
	v_max_num_f32_e32 v1, v1, v1
	s_wait_alu 0xfffd
	v_dual_cndmask_b32 v8, v5, v11 :: v_dual_max_num_f32 v1, v12, v1
	s_delay_alu instid0(VALU_DEP_1)
	v_lshlrev_b32_e32 v8, 2, v8
	v_xor_b32_e32 v12, 4, v5
	ds_bpermute_b32 v11, v8, v1
	v_cmp_lt_i32_e32 vcc_lo, v12, v7
	s_wait_alu 0xfffd
	v_cndmask_b32_e32 v12, v5, v12, vcc_lo
	s_delay_alu instid0(VALU_DEP_1) | instskip(SKIP_2) | instid1(VALU_DEP_1)
	v_lshlrev_b32_e32 v15, 2, v12
	s_wait_dscnt 0x0
	v_max_num_f32_e32 v11, v11, v11
	v_max_num_f32_e32 v1, v1, v11
	v_and_b32_e32 v11, 31, v0
	ds_bpermute_b32 v12, v15, v1
	v_cmp_eq_u32_e32 vcc_lo, 0, v11
	s_and_saveexec_b32 s0, vcc_lo
	s_cbranch_execz .LBB86_15
; %bb.14:
	s_wait_dscnt 0x0
	v_dual_max_num_f32 v12, v12, v12 :: v_dual_max_num_f32 v1, v1, v1
	s_delay_alu instid0(VALU_DEP_1)
	v_max_num_f32_e32 v1, v1, v12
	ds_store_b32 v13, v1 offset:240
.LBB86_15:
	s_or_b32 exec_lo, exec_lo, s0
	v_cmp_gt_u32_e64 s0, 4, v11
	v_dual_mov_b32 v1, 0xff7fffff :: v_dual_lshlrev_b32 v14, 2, v11
	s_wait_loadcnt_dscnt 0x0
	s_barrier_signal -1
	s_barrier_wait -1
	global_inv scope:SCOPE_SE
	s_and_saveexec_b32 s1, s0
; %bb.16:
	ds_load_b32 v1, v14 offset:240
; %bb.17:
	s_or_b32 exec_lo, exec_lo, s1
	v_xor_b32_e32 v12, 2, v5
	v_xor_b32_e32 v17, 1, v5
	v_lshlrev_b32_e32 v6, 2, v6
	s_delay_alu instid0(VALU_DEP_3) | instskip(NEXT) | instid1(VALU_DEP_1)
	v_cmp_lt_i32_e64 s1, v12, v7
	v_cndmask_b32_e64 v12, v5, v12, s1
	s_delay_alu instid0(VALU_DEP_4) | instskip(NEXT) | instid1(VALU_DEP_2)
	v_cmp_lt_i32_e64 s1, v17, v7
	v_lshlrev_b32_e32 v16, 2, v12
	s_wait_alu 0xf1ff
	s_delay_alu instid0(VALU_DEP_2)
	v_cndmask_b32_e64 v7, v5, v17, s1
	s_sub_co_i32 s1, s13, s28
	s_wait_alu 0xfffe
	s_lshl_b32 s1, s1, 3
	s_wait_dscnt 0x0
	ds_bpermute_b32 v12, v16, v1
	v_max_num_f32_e32 v1, v1, v1
	v_lshlrev_b32_e32 v7, 2, v7
	s_wait_alu 0xfffe
	s_add_co_i32 s1, s1, s26
	s_wait_alu 0xfffe
	s_min_i32 s1, s1, s25
	s_wait_alu 0xfffe
	s_sub_co_i32 s19, s1, s26
	s_wait_alu 0xfffe
	v_cmp_gt_i32_e64 s1, s19, v0
	s_wait_dscnt 0x0
	v_max_num_f32_e32 v12, v12, v12
	s_delay_alu instid0(VALU_DEP_1) | instskip(SKIP_3) | instid1(VALU_DEP_1)
	v_max_num_f32_e32 v1, v1, v12
	ds_bpermute_b32 v12, v7, v1
	s_wait_dscnt 0x0
	v_max_num_f32_e32 v12, v12, v12
	v_max_num_f32_e32 v1, v1, v12
	v_lshl_add_u32 v12, v0, 2, 0x110
	ds_bpermute_b32 v1, v6, v1
	v_mov_b32_e32 v6, 0
	s_and_saveexec_b32 s28, s1
	s_cbranch_execz .LBB86_21
; %bb.18:
	v_lshl_add_u32 v17, v0, 2, 0x110
	v_mov_b32_e32 v6, 0
	v_mov_b32_e32 v18, v0
	s_mov_b32 s29, 0
.LBB86_19:                              ; =>This Inner Loop Header: Depth=1
	ds_load_b32 v19, v17
	v_add_nc_u32_e32 v18, 0x80, v18
	s_delay_alu instid0(VALU_DEP_1) | instskip(SKIP_4) | instid1(VALU_DEP_1)
	v_cmp_le_i32_e64 s3, s19, v18
	s_wait_alu 0xfffe
	s_or_b32 s29, s3, s29
	s_wait_dscnt 0x0
	v_sub_f32_e32 v19, v19, v1
	v_mul_f32_e32 v19, 0x3fb8aa3b, v19
	s_delay_alu instid0(VALU_DEP_1)
	v_exp_f32_e32 v19, v19
	ds_store_b32 v17, v19
	v_dual_add_f32 v6, v6, v19 :: v_dual_add_nc_u32 v17, 0x200, v17
	s_wait_alu 0xfffe
	s_and_not1_b32 exec_lo, exec_lo, s29
	s_cbranch_execnz .LBB86_19
; %bb.20:
	s_or_b32 exec_lo, exec_lo, s29
.LBB86_21:
	s_wait_alu 0xfffe
	s_or_b32 exec_lo, exec_lo, s28
	ds_bpermute_b32 v2, v2, v6
	s_wait_dscnt 0x0
	v_add_f32_e32 v2, v6, v2
	ds_bpermute_b32 v6, v8, v2
	s_wait_dscnt 0x0
	v_add_f32_e32 v2, v2, v6
	;; [unrolled: 3-line block ×5, first 2 shown]
	s_and_saveexec_b32 s3, vcc_lo
; %bb.22:
	ds_store_b32 v13, v2 offset:256
; %bb.23:
	s_wait_alu 0xfffe
	s_or_b32 exec_lo, exec_lo, s3
	s_wait_loadcnt_dscnt 0x0
	s_barrier_signal -1
	s_barrier_wait -1
	global_inv scope:SCOPE_SE
	s_and_saveexec_b32 s3, s0
; %bb.24:
	ds_load_b32 v2, v14 offset:256
; %bb.25:
	s_wait_alu 0xfffe
	s_or_b32 exec_lo, exec_lo, s3
	s_wait_dscnt 0x0
	ds_bpermute_b32 v6, v16, v2
	v_lshlrev_b32_e32 v5, 2, v5
	s_wait_dscnt 0x0
	s_delay_alu instid0(VALU_DEP_1)
	v_dual_add_f32 v2, v2, v6 :: v_dual_and_b32 v5, 0xffffff80, v5
	ds_bpermute_b32 v6, v7, v2
	s_wait_dscnt 0x0
	v_add_f32_e32 v2, v2, v6
	ds_bpermute_b32 v2, v5, v2
	s_and_saveexec_b32 s0, s1
	s_cbranch_execz .LBB86_28
; %bb.26:
	s_wait_dscnt 0x0
	v_add_f32_e32 v6, 0x358637bd, v2
	s_mov_b32 s1, 0
	s_delay_alu instid0(VALU_DEP_1) | instskip(NEXT) | instid1(VALU_DEP_1)
	v_div_scale_f32 v5, null, v6, v6, 1.0
	v_rcp_f32_e32 v7, v5
	s_delay_alu instid0(TRANS32_DEP_1) | instskip(NEXT) | instid1(VALU_DEP_1)
	v_fma_f32 v8, -v5, v7, 1.0
	v_fmac_f32_e32 v7, v8, v7
	v_div_scale_f32 v13, vcc_lo, 1.0, v6, 1.0
	s_delay_alu instid0(VALU_DEP_1) | instskip(NEXT) | instid1(VALU_DEP_1)
	v_mul_f32_e32 v8, v13, v7
	v_fma_f32 v14, -v5, v8, v13
	s_delay_alu instid0(VALU_DEP_1) | instskip(NEXT) | instid1(VALU_DEP_1)
	v_fmac_f32_e32 v8, v14, v7
	v_fma_f32 v5, -v5, v8, v13
	s_wait_alu 0xfffd
	s_delay_alu instid0(VALU_DEP_1) | instskip(SKIP_1) | instid1(VALU_DEP_2)
	v_div_fmas_f32 v7, v5, v7, v8
	v_mov_b32_e32 v5, v12
	v_div_fixup_f32 v6, v7, v6, 1.0
	v_mov_b32_e32 v7, v0
.LBB86_27:                              ; =>This Inner Loop Header: Depth=1
	ds_load_b32 v8, v5
	s_wait_dscnt 0x0
	v_dual_mul_f32 v8, v6, v8 :: v_dual_add_nc_u32 v7, 0x80, v7
	s_delay_alu instid0(VALU_DEP_1)
	v_cmp_le_i32_e32 vcc_lo, s19, v7
	ds_store_b32 v5, v8
	v_add_nc_u32_e32 v5, 0x200, v5
	s_wait_alu 0xfffe
	s_or_b32 s1, vcc_lo, s1
	s_wait_alu 0xfffe
	s_and_not1_b32 exec_lo, exec_lo, s1
	s_cbranch_execnz .LBB86_27
.LBB86_28:
	s_wait_alu 0xfffe
	s_or_b32 exec_lo, exec_lo, s0
	s_wait_kmcnt 0x0
	s_mul_i32 s0, s8, s20
	s_wait_loadcnt_dscnt 0x0
	s_wait_alu 0xfffe
	s_mul_i32 s20, s0, s21
	s_mov_b32 s0, exec_lo
	s_barrier_signal -1
	s_barrier_wait -1
	global_inv scope:SCOPE_SE
	v_cmpx_eq_u32_e32 0, v0
	s_cbranch_execz .LBB86_30
; %bb.29:
	s_ashr_i32 s21, s20, 31
	s_wait_alu 0xfffe
	s_mul_i32 s28, s8, ttmp9
	s_lshl_b32 s1, s24, 2
	s_lshl_b64 s[30:31], s[20:21], 2
	s_wait_alu 0xfffe
	s_ashr_i32 s29, s28, 31
	v_mov_b32_e32 v5, s1
	s_add_nc_u64 s[6:7], s[6:7], s[30:31]
	s_wait_alu 0xfffe
	s_lshl_b64 s[28:29], s[28:29], 2
	s_add_nc_u64 s[4:5], s[4:5], s[30:31]
	s_wait_alu 0xfffe
	s_add_nc_u64 s[6:7], s[6:7], s[28:29]
	s_add_nc_u64 s[4:5], s[4:5], s[28:29]
	s_clause 0x1
	global_store_b32 v5, v1, s[6:7]
	global_store_b32 v5, v2, s[4:5]
.LBB86_30:
	s_wait_alu 0xfffe
	s_or_b32 exec_lo, exec_lo, s0
	v_dual_mov_b32 v16, 0 :: v_dual_mov_b32 v15, 0
	v_dual_mov_b32 v14, 0 :: v_dual_mov_b32 v13, 0
	s_and_saveexec_b32 s4, s2
	s_cbranch_execz .LBB86_44
; %bb.31:
	v_or_b32_e32 v1, 0x60, v11
	s_lshl_b64 s[2:3], s[14:15], 2
	v_dual_mov_b32 v13, 0 :: v_dual_lshlrev_b32 v2, 3, v11
	s_wait_alu 0xfffe
	s_add_nc_u64 s[2:3], s[16:17], s[2:3]
	v_cmp_gt_u32_e32 vcc_lo, 0x78, v1
	v_dual_mov_b32 v14, 0 :: v_dual_lshlrev_b32 v1, 3, v1
	s_wait_alu 0xfffe
	v_add_co_u32 v5, s2, s2, v3
	s_ashr_i32 s19, s18, 31
	v_add3_u32 v17, s26, v4, 7
	v_lshl_add_u32 v18, v9, 5, 0x110
	v_add_co_ci_u32_e64 v6, null, s3, 0, s2
	v_dual_mov_b32 v16, 0 :: v_dual_lshlrev_b32 v19, 1, v2
	v_dual_mov_b32 v15, 0 :: v_dual_lshlrev_b32 v20, 1, v1
	s_wait_alu 0xfffe
	s_lshl_b64 s[0:1], s[18:19], 1
	s_mov_b32 s5, s9
	s_wait_alu 0xfffe
	s_add_nc_u64 s[2:3], s[22:23], s[0:1]
	s_add_co_i32 s27, s27, -1
	s_mov_b32 s6, 0
	s_branch .LBB86_34
.LBB86_32:                              ;   in Loop: Header=BB86_34 Depth=1
	s_wait_alu 0xfffe
	s_or_b32 exec_lo, exec_lo, s1
	v_lshlrev_b32_e32 v21, 16, v32
	v_lshlrev_b32_e32 v25, 16, v25
	;; [unrolled: 1-line block ×3, first 2 shown]
	s_delay_alu instid0(VALU_DEP_3) | instskip(NEXT) | instid1(VALU_DEP_3)
	v_and_or_b32 v1, 0xffff, v1, v21
	v_and_or_b32 v2, 0xffff, v2, v25
	s_delay_alu instid0(VALU_DEP_3)
	v_and_or_b32 v3, 0xffff, v3, v24
	;;#ASMSTART
	v_pk_mul_f16 v1, v27, v1;

	;;#ASMEND
	;;#ASMSTART
	v_pk_mul_f16 v2, v26, v2;

	;;#ASMEND
	;; [unrolled: 4-line block ×4, first 2 shown]
	;;#ASMSTART
	v_pk_add_f16 v1, v1, v2;

	;;#ASMEND
	;;#ASMSTART
	v_pk_add_f16 v1, v1, v3;

	;;#ASMEND
	;; [unrolled: 4-line block ×3, first 2 shown]
	v_and_b32_e32 v2, 0xffff, v1
	v_lshrrev_b32_e32 v3, 16, v1
	;;#ASMSTART
	v_cvt_f32_f16 v1, v2;
	;;#ASMEND
	;;#ASMSTART
	v_cvt_f32_f16 v2, v3;
	;;#ASMEND
	s_delay_alu instid0(VALU_DEP_2) | instskip(NEXT) | instid1(VALU_DEP_1)
	v_add_f32_e32 v1, v1, v2
	v_add_f32_e32 v13, v13, v1
.LBB86_33:                              ;   in Loop: Header=BB86_34 Depth=1
	s_wait_alu 0xfffe
	s_or_b32 exec_lo, exec_lo, s7
	v_dual_add_f32 v3, v22, v23 :: v_dual_add_nc_u32 v10, 4, v10
	v_dual_add_f32 v1, v7, v8 :: v_dual_add_f32 v2, v30, v31
	v_add_co_u32 v5, s1, v5, 16
	s_delay_alu instid0(VALU_DEP_3) | instskip(NEXT) | instid1(VALU_DEP_3)
	v_cmp_le_i32_e64 s0, s13, v10
	v_dual_add_f32 v14, v14, v1 :: v_dual_add_f32 v15, v15, v2
	v_dual_add_f32 v16, v16, v3 :: v_dual_add_nc_u32 v17, 32, v17
	v_add_nc_u32_e32 v18, 0x80, v18
	s_wait_alu 0xf1ff
	v_add_co_ci_u32_e64 v6, null, 0, v6, s1
	s_or_b32 s6, s0, s6
	s_wait_alu 0xfffe
	s_and_not1_b32 exec_lo, exec_lo, s6
	s_cbranch_execz .LBB86_43
.LBB86_34:                              ; =>This Inner Loop Header: Depth=1
	global_load_b32 v7, v[5:6], off
	ds_load_2addr_b64 v[1:4], v18 offset1:1
	ds_load_2addr_b64 v[31:34], v18 offset0:2 offset1:3
	s_wait_dscnt 0x1
	;;#ASMSTART
	v_cvt_f16_f32 v27, v1;

	;;#ASMEND
	;;#ASMSTART
	v_cvt_f16_f32 v22, v2;

	;;#ASMEND
	;; [unrolled: 4-line block ×4, first 2 shown]
	s_wait_dscnt 0x0
	;;#ASMSTART
	v_cvt_f16_f32 v31, v31;

	;;#ASMEND
	;;#ASMSTART
	v_cvt_f16_f32 v28, v32;

	;;#ASMEND
	;; [unrolled: 4-line block ×4, first 2 shown]
	v_add_nc_u32_e32 v21, -7, v17
	s_wait_loadcnt 0x0
	v_mad_co_i64_i32 v[7:8], null, v7, s5, 0
	s_delay_alu instid0(VALU_DEP_1) | instskip(SKIP_1) | instid1(VALU_DEP_1)
	v_lshlrev_b64_e32 v[7:8], 1, v[7:8]
	s_wait_alu 0xfffe
	v_add_co_u32 v24, s0, s2, v7
	s_wait_alu 0xf1ff
	s_delay_alu instid0(VALU_DEP_2) | instskip(NEXT) | instid1(VALU_DEP_2)
	v_add_co_ci_u32_e64 v25, null, s3, v8, s0
	v_add_co_u32 v7, s0, v24, v19
	s_wait_alu 0xf1ff
	s_delay_alu instid0(VALU_DEP_2)
	v_add_co_ci_u32_e64 v8, null, 0, v25, s0
	v_cmp_eq_u32_e64 s0, s27, v10
	global_load_b128 v[1:4], v[7:8], off
	s_wait_loadcnt 0x0
	v_lshrrev_b32_e32 v34, 16, v1
	v_lshrrev_b32_e32 v33, 16, v2
	;; [unrolled: 1-line block ×3, first 2 shown]
	s_and_saveexec_b32 s7, s0
	s_cbranch_execz .LBB86_36
; %bb.35:                               ;   in Loop: Header=BB86_34 Depth=1
	v_add_nc_u32_e32 v35, -6, v17
	v_cmp_gt_i32_e64 s1, s25, v21
	v_add_nc_u32_e32 v36, -5, v17
	v_add_nc_u32_e32 v37, -4, v17
	;; [unrolled: 1-line block ×3, first 2 shown]
	s_wait_alu 0xf1ff
	v_cndmask_b32_e64 v1, 0, v1, s1
	v_cmp_gt_i32_e64 s1, s25, v35
	v_add_nc_u32_e32 v35, -1, v17
	s_wait_alu 0xf1ff
	s_delay_alu instid0(VALU_DEP_2) | instskip(SKIP_4) | instid1(VALU_DEP_3)
	v_cndmask_b32_e64 v34, 0, v34, s1
	v_cmp_gt_i32_e64 s1, s25, v36
	v_and_b32_e32 v36, 0xffff, v4
	v_and_b32_e32 v4, 0xffff0000, v4
	s_wait_alu 0xf1ff
	v_cndmask_b32_e64 v2, 0, v2, s1
	v_cmp_gt_i32_e64 s1, s25, v37
	v_add_nc_u32_e32 v37, -3, v17
	s_wait_alu 0xf1ff
	s_delay_alu instid0(VALU_DEP_2) | instskip(SKIP_2) | instid1(VALU_DEP_1)
	v_cndmask_b32_e64 v33, 0, v33, s1
	v_cmp_gt_i32_e64 s1, s25, v35
	s_wait_alu 0xf1ff
	v_cndmask_b32_e64 v35, 0, v36, s1
	v_cmp_gt_i32_e64 s1, s25, v17
	s_wait_alu 0xf1ff
	s_delay_alu instid0(VALU_DEP_1) | instskip(SKIP_1) | instid1(VALU_DEP_2)
	v_cndmask_b32_e64 v4, 0, v4, s1
	v_cmp_gt_i32_e64 s1, s25, v37
	v_or_b32_e32 v4, v35, v4
	s_wait_alu 0xf1ff
	s_delay_alu instid0(VALU_DEP_2) | instskip(SKIP_2) | instid1(VALU_DEP_1)
	v_cndmask_b32_e64 v3, 0, v3, s1
	v_cmp_gt_i32_e64 s1, s25, v38
	s_wait_alu 0xf1ff
	v_cndmask_b32_e64 v32, 0, v32, s1
.LBB86_36:                              ;   in Loop: Header=BB86_34 Depth=1
	s_wait_alu 0xfffe
	s_or_b32 exec_lo, exec_lo, s7
	v_and_b32_e32 v27, 0xffff, v27
	v_and_b32_e32 v30, 0xffff, v30
	v_lshlrev_b32_e32 v34, 16, v34
	v_and_b32_e32 v31, 0xffff, v31
	v_and_b32_e32 v29, 0xffff, v29
	v_lshl_or_b32 v27, v22, 16, v27
	v_lshl_or_b32 v26, v26, 16, v30
	v_lshlrev_b32_e32 v22, 16, v33
	v_lshlrev_b32_e32 v30, 16, v32
	v_and_or_b32 v1, 0xffff, v1, v34
	;;#ASMSTART
	v_pk_mul_f16 v1, v27, v1;

	;;#ASMEND
	v_lshl_or_b32 v28, v28, 16, v31
	v_and_or_b32 v2, 0xffff, v2, v22
	v_and_or_b32 v3, 0xffff, v3, v30
	v_lshl_or_b32 v29, v23, 16, v29
	;;#ASMSTART
	v_pk_mul_f16 v2, v26, v2;

	;;#ASMEND
	;;#ASMSTART
	v_pk_mul_f16 v3, v28, v3;

	;;#ASMEND
	;; [unrolled: 4-line block ×3, first 2 shown]
	;;#ASMSTART
	v_pk_add_f16 v1, v1, v2;

	;;#ASMEND
	;;#ASMSTART
	v_pk_add_f16 v1, v1, v3;

	;;#ASMEND
	;; [unrolled: 4-line block ×3, first 2 shown]
	v_and_b32_e32 v2, 0xffff, v1
	v_lshrrev_b32_e32 v1, 16, v1
	;;#ASMSTART
	v_cvt_f32_f16 v22, v2;
	;;#ASMEND
	;;#ASMSTART
	v_cvt_f32_f16 v23, v1;
	;;#ASMEND
	global_load_b128 v[1:4], v[7:8], off offset:512
	s_wait_loadcnt 0x0
	v_lshrrev_b32_e32 v32, 16, v1
	v_lshrrev_b32_e32 v31, 16, v2
	;; [unrolled: 1-line block ×3, first 2 shown]
	s_and_saveexec_b32 s7, s0
	s_cbranch_execz .LBB86_38
; %bb.37:                               ;   in Loop: Header=BB86_34 Depth=1
	v_add_nc_u32_e32 v33, -6, v17
	v_cmp_gt_i32_e64 s1, s25, v21
	v_add_nc_u32_e32 v34, -5, v17
	v_add_nc_u32_e32 v35, -4, v17
	;; [unrolled: 1-line block ×3, first 2 shown]
	s_wait_alu 0xf1ff
	v_cndmask_b32_e64 v1, 0, v1, s1
	v_cmp_gt_i32_e64 s1, s25, v33
	v_add_nc_u32_e32 v33, -1, v17
	s_wait_alu 0xf1ff
	s_delay_alu instid0(VALU_DEP_2) | instskip(SKIP_4) | instid1(VALU_DEP_3)
	v_cndmask_b32_e64 v32, 0, v32, s1
	v_cmp_gt_i32_e64 s1, s25, v34
	v_and_b32_e32 v34, 0xffff, v4
	v_and_b32_e32 v4, 0xffff0000, v4
	s_wait_alu 0xf1ff
	v_cndmask_b32_e64 v2, 0, v2, s1
	v_cmp_gt_i32_e64 s1, s25, v35
	v_add_nc_u32_e32 v35, -3, v17
	s_wait_alu 0xf1ff
	s_delay_alu instid0(VALU_DEP_2) | instskip(SKIP_2) | instid1(VALU_DEP_1)
	v_cndmask_b32_e64 v31, 0, v31, s1
	v_cmp_gt_i32_e64 s1, s25, v33
	s_wait_alu 0xf1ff
	v_cndmask_b32_e64 v33, 0, v34, s1
	v_cmp_gt_i32_e64 s1, s25, v17
	s_wait_alu 0xf1ff
	s_delay_alu instid0(VALU_DEP_1) | instskip(SKIP_1) | instid1(VALU_DEP_2)
	v_cndmask_b32_e64 v4, 0, v4, s1
	v_cmp_gt_i32_e64 s1, s25, v35
	v_or_b32_e32 v4, v33, v4
	s_wait_alu 0xf1ff
	s_delay_alu instid0(VALU_DEP_2) | instskip(SKIP_2) | instid1(VALU_DEP_1)
	v_cndmask_b32_e64 v3, 0, v3, s1
	v_cmp_gt_i32_e64 s1, s25, v36
	s_wait_alu 0xf1ff
	v_cndmask_b32_e64 v30, 0, v30, s1
.LBB86_38:                              ;   in Loop: Header=BB86_34 Depth=1
	s_wait_alu 0xfffe
	s_or_b32 exec_lo, exec_lo, s7
	v_lshlrev_b32_e32 v32, 16, v32
	v_lshlrev_b32_e32 v31, 16, v31
	;; [unrolled: 1-line block ×3, first 2 shown]
	s_delay_alu instid0(VALU_DEP_3) | instskip(NEXT) | instid1(VALU_DEP_3)
	v_and_or_b32 v1, 0xffff, v1, v32
	v_and_or_b32 v2, 0xffff, v2, v31
	s_delay_alu instid0(VALU_DEP_3)
	v_and_or_b32 v3, 0xffff, v3, v30
	;;#ASMSTART
	v_pk_mul_f16 v1, v27, v1;

	;;#ASMEND
	;;#ASMSTART
	v_pk_mul_f16 v2, v26, v2;

	;;#ASMEND
	;; [unrolled: 4-line block ×4, first 2 shown]
	;;#ASMSTART
	v_pk_add_f16 v1, v1, v2;

	;;#ASMEND
	;;#ASMSTART
	v_pk_add_f16 v1, v1, v3;

	;;#ASMEND
	;; [unrolled: 4-line block ×3, first 2 shown]
	v_and_b32_e32 v2, 0xffff, v1
	v_lshrrev_b32_e32 v1, 16, v1
	;;#ASMSTART
	v_cvt_f32_f16 v30, v2;
	;;#ASMEND
	;;#ASMSTART
	v_cvt_f32_f16 v31, v1;
	;;#ASMEND
	global_load_b128 v[1:4], v[7:8], off offset:1024
	s_wait_loadcnt 0x0
	v_lshrrev_b32_e32 v32, 16, v1
	v_lshrrev_b32_e32 v8, 16, v2
	;; [unrolled: 1-line block ×3, first 2 shown]
	s_and_saveexec_b32 s7, s0
	s_cbranch_execz .LBB86_40
; %bb.39:                               ;   in Loop: Header=BB86_34 Depth=1
	v_add_nc_u32_e32 v33, -6, v17
	v_cmp_gt_i32_e64 s1, s25, v21
	v_add_nc_u32_e32 v34, -5, v17
	v_add_nc_u32_e32 v35, -4, v17
	;; [unrolled: 1-line block ×3, first 2 shown]
	s_wait_alu 0xf1ff
	v_cndmask_b32_e64 v1, 0, v1, s1
	v_cmp_gt_i32_e64 s1, s25, v33
	v_add_nc_u32_e32 v33, -1, v17
	s_wait_alu 0xf1ff
	s_delay_alu instid0(VALU_DEP_2) | instskip(SKIP_4) | instid1(VALU_DEP_3)
	v_cndmask_b32_e64 v32, 0, v32, s1
	v_cmp_gt_i32_e64 s1, s25, v34
	v_and_b32_e32 v34, 0xffff, v4
	v_and_b32_e32 v4, 0xffff0000, v4
	s_wait_alu 0xf1ff
	v_cndmask_b32_e64 v2, 0, v2, s1
	v_cmp_gt_i32_e64 s1, s25, v35
	v_add_nc_u32_e32 v35, -3, v17
	s_wait_alu 0xf1ff
	s_delay_alu instid0(VALU_DEP_2) | instskip(SKIP_2) | instid1(VALU_DEP_1)
	v_cndmask_b32_e64 v8, 0, v8, s1
	v_cmp_gt_i32_e64 s1, s25, v33
	s_wait_alu 0xf1ff
	v_cndmask_b32_e64 v33, 0, v34, s1
	v_cmp_gt_i32_e64 s1, s25, v17
	s_wait_alu 0xf1ff
	s_delay_alu instid0(VALU_DEP_1) | instskip(SKIP_1) | instid1(VALU_DEP_2)
	v_cndmask_b32_e64 v4, 0, v4, s1
	v_cmp_gt_i32_e64 s1, s25, v35
	v_or_b32_e32 v4, v33, v4
	s_wait_alu 0xf1ff
	s_delay_alu instid0(VALU_DEP_2) | instskip(SKIP_2) | instid1(VALU_DEP_1)
	v_cndmask_b32_e64 v3, 0, v3, s1
	v_cmp_gt_i32_e64 s1, s25, v36
	s_wait_alu 0xf1ff
	v_cndmask_b32_e64 v7, 0, v7, s1
.LBB86_40:                              ;   in Loop: Header=BB86_34 Depth=1
	s_wait_alu 0xfffe
	s_or_b32 exec_lo, exec_lo, s7
	v_lshlrev_b32_e32 v32, 16, v32
	v_lshlrev_b32_e32 v8, 16, v8
	;; [unrolled: 1-line block ×3, first 2 shown]
	s_delay_alu instid0(VALU_DEP_3) | instskip(NEXT) | instid1(VALU_DEP_3)
	v_and_or_b32 v1, 0xffff, v1, v32
	v_and_or_b32 v2, 0xffff, v2, v8
	s_delay_alu instid0(VALU_DEP_3)
	v_and_or_b32 v3, 0xffff, v3, v7
	;;#ASMSTART
	v_pk_mul_f16 v1, v27, v1;

	;;#ASMEND
	;;#ASMSTART
	v_pk_mul_f16 v2, v26, v2;

	;;#ASMEND
	;; [unrolled: 4-line block ×4, first 2 shown]
	;;#ASMSTART
	v_pk_add_f16 v1, v1, v2;

	;;#ASMEND
	;;#ASMSTART
	v_pk_add_f16 v1, v1, v3;

	;;#ASMEND
	;; [unrolled: 4-line block ×3, first 2 shown]
	v_and_b32_e32 v2, 0xffff, v1
	v_lshrrev_b32_e32 v1, 16, v1
	;;#ASMSTART
	v_cvt_f32_f16 v7, v2;
	;;#ASMEND
	;;#ASMSTART
	v_cvt_f32_f16 v8, v1;
	;;#ASMEND
	s_and_saveexec_b32 s7, vcc_lo
	s_cbranch_execz .LBB86_33
; %bb.41:                               ;   in Loop: Header=BB86_34 Depth=1
	v_add_co_u32 v1, s1, v24, v20
	s_wait_alu 0xf1ff
	v_add_co_ci_u32_e64 v2, null, 0, v25, s1
	global_load_b128 v[1:4], v[1:2], off
	s_wait_loadcnt 0x0
	v_lshrrev_b32_e32 v32, 16, v1
	v_lshrrev_b32_e32 v25, 16, v2
	;; [unrolled: 1-line block ×3, first 2 shown]
	s_and_saveexec_b32 s1, s0
	s_cbranch_execz .LBB86_32
; %bb.42:                               ;   in Loop: Header=BB86_34 Depth=1
	v_add_nc_u32_e32 v33, -6, v17
	v_cmp_gt_i32_e64 s0, s25, v21
	v_add_nc_u32_e32 v34, -5, v17
	v_add_nc_u32_e32 v21, -4, v17
	;; [unrolled: 1-line block ×3, first 2 shown]
	s_wait_alu 0xf1ff
	v_cndmask_b32_e64 v1, 0, v1, s0
	v_cmp_gt_i32_e64 s0, s25, v33
	v_and_b32_e32 v33, 0xffff, v4
	v_and_b32_e32 v4, 0xffff0000, v4
	s_wait_alu 0xf1ff
	s_delay_alu instid0(VALU_DEP_3) | instskip(SKIP_3) | instid1(VALU_DEP_2)
	v_cndmask_b32_e64 v32, 0, v32, s0
	v_cmp_gt_i32_e64 s0, s25, v34
	v_add_nc_u32_e32 v34, -3, v17
	s_wait_alu 0xf1ff
	v_cndmask_b32_e64 v2, 0, v2, s0
	v_cmp_gt_i32_e64 s0, s25, v21
	v_add_nc_u32_e32 v21, -1, v17
	s_wait_alu 0xf1ff
	s_delay_alu instid0(VALU_DEP_2) | instskip(NEXT) | instid1(VALU_DEP_2)
	v_cndmask_b32_e64 v25, 0, v25, s0
	v_cmp_gt_i32_e64 s0, s25, v21
	s_wait_alu 0xf1ff
	s_delay_alu instid0(VALU_DEP_1) | instskip(SKIP_2) | instid1(VALU_DEP_1)
	v_cndmask_b32_e64 v21, 0, v33, s0
	v_cmp_gt_i32_e64 s0, s25, v17
	s_wait_alu 0xf1ff
	v_cndmask_b32_e64 v4, 0, v4, s0
	v_cmp_gt_i32_e64 s0, s25, v34
	s_delay_alu instid0(VALU_DEP_2) | instskip(SKIP_1) | instid1(VALU_DEP_2)
	v_or_b32_e32 v4, v21, v4
	s_wait_alu 0xf1ff
	v_cndmask_b32_e64 v3, 0, v3, s0
	v_cmp_gt_i32_e64 s0, s25, v35
	s_wait_alu 0xf1ff
	s_delay_alu instid0(VALU_DEP_1)
	v_cndmask_b32_e64 v24, 0, v24, s0
	s_branch .LBB86_32
.LBB86_43:
	s_or_b32 exec_lo, exec_lo, s6
.LBB86_44:
	s_wait_alu 0xfffe
	s_or_b32 exec_lo, exec_lo, s4
	s_movk_i32 s0, 0x1e0
	v_and_b32_e32 v1, 0x3c0, v0
	s_wait_alu 0xfffe
	v_mad_u32_u24 v4, v9, s0, 0x110
	v_or_b32_e32 v3, 0x60, v0
	s_mov_b32 s0, exec_lo
	s_wait_loadcnt 0x0
	s_wait_storecnt 0x0
	s_barrier_signal -1
	s_barrier_wait -1
	global_inv scope:SCOPE_SE
	v_cmpx_eq_u32_e32 64, v1
	s_cbranch_execz .LBB86_47
; %bb.45:
	v_add_nc_u32_e32 v1, 0xfffffc40, v4
	v_cmp_gt_u32_e32 vcc_lo, 0x78, v3
	s_delay_alu instid0(VALU_DEP_2)
	v_lshl_add_u32 v2, v11, 2, v1
	ds_store_2addr_b32 v2, v16, v15 offset1:32
	ds_store_b32 v2, v14 offset:256
	s_and_b32 exec_lo, exec_lo, vcc_lo
; %bb.46:
	v_lshl_add_u32 v1, v3, 2, v1
	ds_store_b32 v1, v13
.LBB86_47:
	s_wait_alu 0xfffe
	s_or_b32 exec_lo, exec_lo, s0
	v_lshl_add_u32 v5, v11, 2, v4
	s_mov_b32 s0, exec_lo
	s_wait_loadcnt_dscnt 0x0
	s_barrier_signal -1
	s_barrier_wait -1
	global_inv scope:SCOPE_SE
	v_cmpx_gt_u32_e32 64, v0
	s_cbranch_execz .LBB86_51
; %bb.48:
	v_lshl_or_b32 v1, v0, 2, 0x80
	s_mov_b32 s1, exec_lo
	s_delay_alu instid0(VALU_DEP_1)
	v_add_nc_u32_e32 v6, v4, v1
	ds_load_2addr_stride64_b32 v[1:2], v5 offset1:1
	ds_load_b32 v6, v6
	v_cmpx_gt_u32_e32 0x78, v3
	s_cbranch_execz .LBB86_50
; %bb.49:
	v_lshl_add_u32 v7, v3, 2, v4
	ds_load_b32 v7, v7
	s_wait_dscnt 0x0
	v_add_f32_e32 v13, v13, v7
.LBB86_50:
	s_wait_alu 0xfffe
	s_or_b32 exec_lo, exec_lo, s1
	s_wait_dscnt 0x0
	v_dual_add_f32 v16, v16, v1 :: v_dual_add_f32 v15, v15, v6
	v_add_f32_e32 v14, v14, v2
.LBB86_51:
	s_wait_alu 0xfffe
	s_or_b32 exec_lo, exec_lo, s0
	v_and_b32_e32 v1, 0x3e0, v0
	s_mov_b32 s0, exec_lo
	s_wait_loadcnt 0x0
	s_barrier_signal -1
	s_barrier_wait -1
	global_inv scope:SCOPE_SE
	v_cmpx_eq_u32_e32 32, v1
	s_cbranch_execz .LBB86_54
; %bb.52:
	v_lshl_add_u32 v1, v11, 2, 0x110
	v_cmp_gt_u32_e32 vcc_lo, 0x78, v3
	ds_store_b32 v1, v16
	ds_store_b32 v12, v15
	ds_store_b32 v1, v14 offset:256
	s_and_b32 exec_lo, exec_lo, vcc_lo
; %bb.53:
	v_lshl_add_u32 v1, v3, 2, 0x110
	ds_store_b32 v1, v13
.LBB86_54:
	s_wait_alu 0xfffe
	s_or_b32 exec_lo, exec_lo, s0
	v_cmp_gt_u32_e32 vcc_lo, 32, v0
	s_wait_loadcnt_dscnt 0x0
	s_barrier_signal -1
	s_barrier_wait -1
	global_inv scope:SCOPE_SE
	s_and_saveexec_b32 s1, vcc_lo
	s_cbranch_execz .LBB86_58
; %bb.55:
	v_lshl_add_u32 v6, v0, 2, v4
	s_mov_b32 s2, exec_lo
	ds_load_b32 v4, v5
	ds_load_2addr_b32 v[1:2], v6 offset0:32 offset1:64
	v_cmpx_gt_u32_e32 0x78, v3
	s_cbranch_execz .LBB86_57
; %bb.56:
	ds_load_b32 v5, v6 offset:384
	s_wait_dscnt 0x0
	v_add_f32_e32 v13, v13, v5
.LBB86_57:
	s_wait_alu 0xfffe
	s_or_b32 exec_lo, exec_lo, s2
	s_wait_dscnt 0x0
	v_dual_add_f32 v16, v16, v4 :: v_dual_add_f32 v15, v15, v1
	v_add_f32_e32 v14, v14, v2
.LBB86_58:
	s_wait_alu 0xfffe
	s_or_b32 exec_lo, exec_lo, s1
	s_wait_loadcnt 0x0
	s_barrier_signal -1
	s_barrier_wait -1
	global_inv scope:SCOPE_SE
	s_and_saveexec_b32 s0, vcc_lo
	s_cbranch_execz .LBB86_61
; %bb.59:
	s_mul_i32 s0, s20, 0x78
	s_mul_i32 s2, s8, s12
	s_wait_alu 0xfffe
	s_ashr_i32 s1, s0, 31
	s_ashr_i32 s3, s2, 31
	s_wait_alu 0xfffe
	s_lshl_b64 s[0:1], s[0:1], 1
	s_lshl_b64 s[2:3], s[2:3], 1
	s_wait_alu 0xfffe
	s_add_nc_u64 s[0:1], s[10:11], s[0:1]
	v_lshlrev_b32_e32 v0, 1, v0
	s_mul_i32 s4, s24, 0xf0
	s_wait_alu 0xfffe
	s_add_nc_u64 s[0:1], s[0:1], s[2:3]
	s_mov_b32 s5, 0
	v_cmp_gt_u32_e32 vcc_lo, 0x78, v3
	s_wait_alu 0xfffe
	s_add_nc_u64 s[0:1], s[0:1], s[4:5]
	;;#ASMSTART
	v_cvt_f16_f32 v1, v16;

	;;#ASMEND
	global_store_b16 v0, v1, s[0:1]
	;;#ASMSTART
	v_cvt_f16_f32 v1, v15;

	;;#ASMEND
	global_store_b16 v0, v1, s[0:1] offset:64
	;;#ASMSTART
	v_cvt_f16_f32 v1, v14;

	;;#ASMEND
	global_store_b16 v0, v1, s[0:1] offset:128
	s_and_b32 exec_lo, exec_lo, vcc_lo
	s_cbranch_execz .LBB86_61
; %bb.60:
	s_wait_alu 0xfffe
	v_add_co_u32 v0, s0, s0, v0
	s_wait_alu 0xf1ff
	v_add_co_ci_u32_e64 v1, null, s1, 0, s0
	;;#ASMSTART
	v_cvt_f16_f32 v2, v13;

	;;#ASMEND
	global_store_b16 v[0:1], v2, off offset:192
.LBB86_61:
	s_endpgm
	.section	.rodata,"a",@progbits
	.p2align	6, 0x0
	.amdhsa_kernel _ZN4vllm25paged_attention_v2_kernelIttLi120ELi8ELi128ELNS_18Fp8KVCacheDataTypeE0ELb0ELi512EEEvPfS2_PT_PKS3_PKT0_S9_ifPKiSB_iPKfiiiSD_SD_iiiii
		.amdhsa_group_segment_fixed_size 272
		.amdhsa_private_segment_fixed_size 0
		.amdhsa_kernarg_size 400
		.amdhsa_user_sgpr_count 2
		.amdhsa_user_sgpr_dispatch_ptr 0
		.amdhsa_user_sgpr_queue_ptr 0
		.amdhsa_user_sgpr_kernarg_segment_ptr 1
		.amdhsa_user_sgpr_dispatch_id 0
		.amdhsa_user_sgpr_private_segment_size 0
		.amdhsa_wavefront_size32 1
		.amdhsa_uses_dynamic_stack 0
		.amdhsa_enable_private_segment 0
		.amdhsa_system_sgpr_workgroup_id_x 1
		.amdhsa_system_sgpr_workgroup_id_y 1
		.amdhsa_system_sgpr_workgroup_id_z 1
		.amdhsa_system_sgpr_workgroup_info 0
		.amdhsa_system_vgpr_workitem_id 0
		.amdhsa_next_free_vgpr 71
		.amdhsa_next_free_sgpr 32
		.amdhsa_reserve_vcc 1
		.amdhsa_float_round_mode_32 0
		.amdhsa_float_round_mode_16_64 0
		.amdhsa_float_denorm_mode_32 3
		.amdhsa_float_denorm_mode_16_64 3
		.amdhsa_fp16_overflow 0
		.amdhsa_workgroup_processor_mode 1
		.amdhsa_memory_ordered 1
		.amdhsa_forward_progress 1
		.amdhsa_inst_pref_size 47
		.amdhsa_round_robin_scheduling 0
		.amdhsa_exception_fp_ieee_invalid_op 0
		.amdhsa_exception_fp_denorm_src 0
		.amdhsa_exception_fp_ieee_div_zero 0
		.amdhsa_exception_fp_ieee_overflow 0
		.amdhsa_exception_fp_ieee_underflow 0
		.amdhsa_exception_fp_ieee_inexact 0
		.amdhsa_exception_int_div_zero 0
	.end_amdhsa_kernel
	.section	.text._ZN4vllm25paged_attention_v2_kernelIttLi120ELi8ELi128ELNS_18Fp8KVCacheDataTypeE0ELb0ELi512EEEvPfS2_PT_PKS3_PKT0_S9_ifPKiSB_iPKfiiiSD_SD_iiiii,"axG",@progbits,_ZN4vllm25paged_attention_v2_kernelIttLi120ELi8ELi128ELNS_18Fp8KVCacheDataTypeE0ELb0ELi512EEEvPfS2_PT_PKS3_PKT0_S9_ifPKiSB_iPKfiiiSD_SD_iiiii,comdat
.Lfunc_end86:
	.size	_ZN4vllm25paged_attention_v2_kernelIttLi120ELi8ELi128ELNS_18Fp8KVCacheDataTypeE0ELb0ELi512EEEvPfS2_PT_PKS3_PKT0_S9_ifPKiSB_iPKfiiiSD_SD_iiiii, .Lfunc_end86-_ZN4vllm25paged_attention_v2_kernelIttLi120ELi8ELi128ELNS_18Fp8KVCacheDataTypeE0ELb0ELi512EEEvPfS2_PT_PKS3_PKT0_S9_ifPKiSB_iPKfiiiSD_SD_iiiii
                                        ; -- End function
	.set _ZN4vllm25paged_attention_v2_kernelIttLi120ELi8ELi128ELNS_18Fp8KVCacheDataTypeE0ELb0ELi512EEEvPfS2_PT_PKS3_PKT0_S9_ifPKiSB_iPKfiiiSD_SD_iiiii.num_vgpr, 71
	.set _ZN4vllm25paged_attention_v2_kernelIttLi120ELi8ELi128ELNS_18Fp8KVCacheDataTypeE0ELb0ELi512EEEvPfS2_PT_PKS3_PKT0_S9_ifPKiSB_iPKfiiiSD_SD_iiiii.num_agpr, 0
	.set _ZN4vllm25paged_attention_v2_kernelIttLi120ELi8ELi128ELNS_18Fp8KVCacheDataTypeE0ELb0ELi512EEEvPfS2_PT_PKS3_PKT0_S9_ifPKiSB_iPKfiiiSD_SD_iiiii.numbered_sgpr, 32
	.set _ZN4vllm25paged_attention_v2_kernelIttLi120ELi8ELi128ELNS_18Fp8KVCacheDataTypeE0ELb0ELi512EEEvPfS2_PT_PKS3_PKT0_S9_ifPKiSB_iPKfiiiSD_SD_iiiii.num_named_barrier, 0
	.set _ZN4vllm25paged_attention_v2_kernelIttLi120ELi8ELi128ELNS_18Fp8KVCacheDataTypeE0ELb0ELi512EEEvPfS2_PT_PKS3_PKT0_S9_ifPKiSB_iPKfiiiSD_SD_iiiii.private_seg_size, 0
	.set _ZN4vllm25paged_attention_v2_kernelIttLi120ELi8ELi128ELNS_18Fp8KVCacheDataTypeE0ELb0ELi512EEEvPfS2_PT_PKS3_PKT0_S9_ifPKiSB_iPKfiiiSD_SD_iiiii.uses_vcc, 1
	.set _ZN4vllm25paged_attention_v2_kernelIttLi120ELi8ELi128ELNS_18Fp8KVCacheDataTypeE0ELb0ELi512EEEvPfS2_PT_PKS3_PKT0_S9_ifPKiSB_iPKfiiiSD_SD_iiiii.uses_flat_scratch, 0
	.set _ZN4vllm25paged_attention_v2_kernelIttLi120ELi8ELi128ELNS_18Fp8KVCacheDataTypeE0ELb0ELi512EEEvPfS2_PT_PKS3_PKT0_S9_ifPKiSB_iPKfiiiSD_SD_iiiii.has_dyn_sized_stack, 0
	.set _ZN4vllm25paged_attention_v2_kernelIttLi120ELi8ELi128ELNS_18Fp8KVCacheDataTypeE0ELb0ELi512EEEvPfS2_PT_PKS3_PKT0_S9_ifPKiSB_iPKfiiiSD_SD_iiiii.has_recursion, 0
	.set _ZN4vllm25paged_attention_v2_kernelIttLi120ELi8ELi128ELNS_18Fp8KVCacheDataTypeE0ELb0ELi512EEEvPfS2_PT_PKS3_PKT0_S9_ifPKiSB_iPKfiiiSD_SD_iiiii.has_indirect_call, 0
	.section	.AMDGPU.csdata,"",@progbits
; Kernel info:
; codeLenInByte = 5904
; TotalNumSgprs: 34
; NumVgprs: 71
; ScratchSize: 0
; MemoryBound: 0
; FloatMode: 240
; IeeeMode: 1
; LDSByteSize: 272 bytes/workgroup (compile time only)
; SGPRBlocks: 0
; VGPRBlocks: 8
; NumSGPRsForWavesPerEU: 34
; NumVGPRsForWavesPerEU: 71
; Occupancy: 16
; WaveLimiterHint : 1
; COMPUTE_PGM_RSRC2:SCRATCH_EN: 0
; COMPUTE_PGM_RSRC2:USER_SGPR: 2
; COMPUTE_PGM_RSRC2:TRAP_HANDLER: 0
; COMPUTE_PGM_RSRC2:TGID_X_EN: 1
; COMPUTE_PGM_RSRC2:TGID_Y_EN: 1
; COMPUTE_PGM_RSRC2:TGID_Z_EN: 1
; COMPUTE_PGM_RSRC2:TIDIG_COMP_CNT: 0
	.section	.text._ZN4vllm25paged_attention_v2_kernelIttLi128ELi8ELi128ELNS_18Fp8KVCacheDataTypeE0ELb0ELi512EEEvPfS2_PT_PKS3_PKT0_S9_ifPKiSB_iPKfiiiSD_SD_iiiii,"axG",@progbits,_ZN4vllm25paged_attention_v2_kernelIttLi128ELi8ELi128ELNS_18Fp8KVCacheDataTypeE0ELb0ELi512EEEvPfS2_PT_PKS3_PKT0_S9_ifPKiSB_iPKfiiiSD_SD_iiiii,comdat
	.protected	_ZN4vllm25paged_attention_v2_kernelIttLi128ELi8ELi128ELNS_18Fp8KVCacheDataTypeE0ELb0ELi512EEEvPfS2_PT_PKS3_PKT0_S9_ifPKiSB_iPKfiiiSD_SD_iiiii ; -- Begin function _ZN4vllm25paged_attention_v2_kernelIttLi128ELi8ELi128ELNS_18Fp8KVCacheDataTypeE0ELb0ELi512EEEvPfS2_PT_PKS3_PKT0_S9_ifPKiSB_iPKfiiiSD_SD_iiiii
	.globl	_ZN4vllm25paged_attention_v2_kernelIttLi128ELi8ELi128ELNS_18Fp8KVCacheDataTypeE0ELb0ELi512EEEvPfS2_PT_PKS3_PKT0_S9_ifPKiSB_iPKfiiiSD_SD_iiiii
	.p2align	8
	.type	_ZN4vllm25paged_attention_v2_kernelIttLi128ELi8ELi128ELNS_18Fp8KVCacheDataTypeE0ELb0ELi512EEEvPfS2_PT_PKS3_PKT0_S9_ifPKiSB_iPKfiiiSD_SD_iiiii,@function
_ZN4vllm25paged_attention_v2_kernelIttLi128ELi8ELi128ELNS_18Fp8KVCacheDataTypeE0ELb0ELi512EEEvPfS2_PT_PKS3_PKT0_S9_ifPKiSB_iPKfiiiSD_SD_iiiii: ; @_ZN4vllm25paged_attention_v2_kernelIttLi128ELi8ELi128ELNS_18Fp8KVCacheDataTypeE0ELb0ELi512EEEvPfS2_PT_PKS3_PKT0_S9_ifPKiSB_iPKfiiiSD_SD_iiiii
; %bb.0:
	s_load_b64 s[2:3], s[0:1], 0x40
	s_and_b32 s27, ttmp7, 0xffff
	s_lshr_b32 s24, ttmp7, 16
	s_lshl_b32 s4, s27, 2
	s_lshl_b32 s26, s24, 9
	s_wait_kmcnt 0x0
	s_load_b32 s25, s[2:3], s4 offset:0x0
	s_wait_kmcnt 0x0
	s_cmp_ge_i32 s26, s25
	s_cbranch_scc1 .LBB87_52
; %bb.1:
	s_clause 0x1
	s_load_b32 s28, s[0:1], 0x90
	s_load_b64 s[6:7], s[0:1], 0x30
	s_wait_kmcnt 0x0
	s_abs_i32 s5, s28
	s_abs_i32 s2, s6
	s_delay_alu instid0(SALU_CYCLE_1) | instskip(SKIP_1) | instid1(SALU_CYCLE_2)
	s_cvt_f32_u32 s3, s2
	s_sub_co_i32 s4, 0, s2
	v_rcp_iflag_f32_e32 v1, s3
	s_delay_alu instid0(TRANS32_DEP_1) | instskip(SKIP_2) | instid1(SALU_CYCLE_2)
	v_readfirstlane_b32 s3, v1
	s_mul_f32 s3, s3, 0x4f7ffffe
	s_wait_alu 0xfffe
	s_cvt_u32_f32 s3, s3
	s_wait_alu 0xfffe
	s_delay_alu instid0(SALU_CYCLE_2) | instskip(NEXT) | instid1(SALU_CYCLE_1)
	s_mul_i32 s4, s4, s3
	s_mul_hi_u32 s4, s3, s4
	s_delay_alu instid0(SALU_CYCLE_1)
	s_add_co_i32 s3, s3, s4
	s_xor_b32 s4, s28, s6
	s_wait_alu 0xfffe
	s_mul_hi_u32 s3, s5, s3
	s_ashr_i32 s4, s4, 31
	s_wait_alu 0xfffe
	s_mul_i32 s6, s3, s2
	s_delay_alu instid0(SALU_CYCLE_1)
	s_sub_co_i32 s5, s5, s6
	s_add_co_i32 s6, s3, 1
	s_sub_co_i32 s8, s5, s2
	s_cmp_ge_u32 s5, s2
	s_cselect_b32 s3, s6, s3
	s_cselect_b32 s5, s8, s5
	s_wait_alu 0xfffe
	s_add_co_i32 s6, s3, 1
	s_cmp_ge_u32 s5, s2
	s_load_b64 s[8:9], s[0:1], 0x50
	s_cselect_b32 s2, s6, s3
	s_mov_b32 s5, 0
	s_wait_alu 0xfffe
	s_xor_b32 s2, s2, s4
	s_mov_b32 s10, s5
	s_wait_alu 0xfffe
	s_sub_co_i32 s11, s2, s4
	s_abs_i32 s4, ttmp9
	s_abs_i32 s6, s11
	s_delay_alu instid0(SALU_CYCLE_1) | instskip(SKIP_2) | instid1(SALU_CYCLE_1)
	s_cvt_f32_u32 s2, s6
	s_sub_co_i32 s3, 0, s6
	s_wait_alu 0xfffe
	v_rcp_iflag_f32_e32 v1, s2
	s_delay_alu instid0(TRANS32_DEP_1) | instskip(SKIP_2) | instid1(SALU_CYCLE_2)
	v_readfirstlane_b32 s2, v1
	s_mul_f32 s2, s2, 0x4f7ffffe
	s_wait_alu 0xfffe
	s_cvt_u32_f32 s2, s2
	s_wait_alu 0xfffe
	s_delay_alu instid0(SALU_CYCLE_2)
	s_mul_i32 s3, s3, s2
	s_wait_alu 0xfffe
	s_mul_hi_u32 s3, s2, s3
	s_wait_alu 0xfffe
	s_add_co_i32 s2, s2, s3
	s_mov_b32 s3, s5
	s_wait_kmcnt 0x0
	s_cmp_eq_u64 s[8:9], 0
	s_cbranch_scc1 .LBB87_3
; %bb.2:
	s_mov_b32 s12, ttmp9
	s_ashr_i32 s13, ttmp9, 31
	s_delay_alu instid0(SALU_CYCLE_1) | instskip(NEXT) | instid1(SALU_CYCLE_1)
	s_lshl_b64 s[12:13], s[12:13], 2
	s_add_nc_u64 s[8:9], s[8:9], s[12:13]
	s_load_b32 s10, s[8:9], 0x0
.LBB87_3:
	s_load_b96 s[12:14], s[0:1], 0x58
	s_mul_u64 s[2:3], s[4:5], s[2:3]
	v_and_b32_e32 v1, 3, v0
	v_cmp_gt_u32_e64 s2, 64, v0
	v_lshlrev_b32_e32 v2, 2, v0
	s_ashr_i32 s5, ttmp9, 31
	s_ashr_i32 s8, s11, 31
	s_lshl_b32 s16, ttmp9, 7
	s_wait_alu 0xfffe
	s_and_saveexec_b32 s9, s2
	s_cbranch_execz .LBB87_5
; %bb.4:
	s_load_b64 s[18:19], s[0:1], 0x18
	s_wait_kmcnt 0x0
	s_mul_i32 s20, s12, s27
	s_ashr_i32 s17, s16, 31
	s_ashr_i32 s21, s20, 31
	v_and_b32_e32 v4, 0x3fc, v0
	s_lshl_b64 s[20:21], s[20:21], 1
	s_delay_alu instid0(VALU_DEP_1) | instskip(SKIP_2) | instid1(SALU_CYCLE_1)
	v_lshl_add_u32 v4, v1, 6, v4
	s_add_nc_u64 s[18:19], s[18:19], s[20:21]
	s_lshl_b64 s[20:21], s[16:17], 1
	s_add_nc_u64 s[18:19], s[18:19], s[20:21]
	global_load_b32 v3, v2, s[18:19]
	s_wait_loadcnt 0x0
	ds_store_b32 v4, v3
.LBB87_5:
	s_or_b32 exec_lo, exec_lo, s9
	s_add_co_i32 s9, s25, 7
	s_xor_b32 s5, s5, s8
	s_ashr_i32 s11, s9, 31
	s_lshl_b32 s30, s24, 6
	s_lshr_b32 s8, s11, 29
	s_mul_i32 s11, s3, s6
	s_add_co_i32 s9, s9, s8
	s_add_co_i32 s8, s30, 64
	s_ashr_i32 s29, s9, 3
	s_load_b32 s9, s[0:1], 0x48
	s_sub_co_i32 s4, s4, s11
	s_min_i32 s17, s8, s29
	s_add_co_i32 s8, s3, 1
	s_sub_co_i32 s11, s4, s6
	s_cmp_ge_u32 s4, s6
	v_lshrrev_b32_e32 v9, 5, v0
	s_cselect_b32 s3, s8, s3
	s_cselect_b32 s4, s11, s4
	s_wait_alu 0xfffe
	s_add_co_i32 s8, s3, 1
	s_cmp_ge_u32 s4, s6
	v_or_b32_e32 v10, s30, v9
	s_cselect_b32 s3, s8, s3
	v_mbcnt_lo_u32_b32 v5, -1, 0
	s_wait_alu 0xfffe
	s_xor_b32 s3, s3, s5
	s_wait_dscnt 0x0
	s_wait_alu 0xfffe
	s_sub_co_i32 s4, s3, s5
	v_cmp_gt_i32_e64 s3, s17, v10
	s_mov_b32 s5, exec_lo
	s_barrier_signal -1
	s_wait_kmcnt 0x0
	s_mul_i32 s18, s9, s27
	s_barrier_wait -1
	s_ashr_i32 s19, s18, 31
	global_inv scope:SCOPE_SE
                                        ; implicit-def: $vgpr6
                                        ; implicit-def: $vgpr7
	v_cmpx_le_i32_e64 s17, v10
	s_xor_b32 s5, exec_lo, s5
; %bb.6:
	v_dual_mov_b32 v6, 0 :: v_dual_mov_b32 v7, 32
	v_mbcnt_lo_u32_b32 v5, -1, 0
                                        ; implicit-def: $vgpr2
                                        ; implicit-def: $vgpr1
; %bb.7:
	s_or_saveexec_b32 s8, s5
	s_clause 0x1
	s_load_b64 s[20:21], s[0:1], 0x38
	s_load_b32 s12, s[0:1], 0x98
	v_dual_mov_b32 v8, 0xff7fffff :: v_dual_lshlrev_b32 v3, 2, v10
	v_lshlrev_b32_e32 v4, 3, v9
	s_mul_i32 s14, s4, s14
	s_xor_b32 exec_lo, exec_lo, s8
	s_cbranch_execz .LBB87_13
; %bb.8:
	s_load_b64 s[22:23], s[0:1], 0x20
	v_bfe_u32 v7, v0, 2, 3
	s_ashr_i32 s15, s14, 31
	v_dual_mov_b32 v6, 0 :: v_dual_lshlrev_b32 v11, 6, v1
	v_cmp_eq_u32_e32 vcc_lo, 0, v1
	s_delay_alu instid0(VALU_DEP_3)
	v_lshlrev_b32_e32 v1, 4, v7
	v_lshlrev_b32_e32 v8, 2, v7
	s_lshl_b64 s[34:35], s[14:15], 1
	s_cmp_neq_f32 s10, 0
	v_and_b32_e32 v2, 12, v2
	v_add3_u32 v12, s26, v4, v7
	v_lshl_or_b32 v7, v9, 5, v8
	s_cselect_b32 s4, -1, 0
	s_lshl_b64 s[36:37], s[18:19], 2
	v_xor_b32_e32 v16, 2, v5
	s_wait_kmcnt 0x0
	s_add_nc_u64 s[36:37], s[20:21], s[36:37]
	v_dual_mov_b32 v18, v10 :: v_dual_add_nc_u32 v13, 0x120, v7
	v_mov_b32_e32 v7, 32
	s_add_nc_u64 s[22:23], s[22:23], s[34:35]
	v_xor_b32_e32 v17, 1, v5
	v_add_co_u32 v1, s5, s22, v1
	s_delay_alu instid0(VALU_DEP_1)
	v_add_co_ci_u32_e64 v8, null, s23, 0, s5
	s_mov_b32 s11, s13
	v_add_co_u32 v14, s5, v1, v2
	s_wait_alu 0xf1ff
	v_add_co_ci_u32_e64 v15, null, 0, v8, s5
	v_add_co_u32 v1, s5, s36, v3
	s_wait_alu 0xf1ff
	v_add_co_ci_u32_e64 v2, null, s37, 0, s5
	v_mov_b32_e32 v8, 0xff7fffff
	s_mov_b32 s9, 0
	s_sub_co_i32 s15, 1, s25
	s_branch .LBB87_10
.LBB87_9:                               ;   in Loop: Header=BB87_10 Depth=1
	s_wait_alu 0xfffe
	s_or_b32 exec_lo, exec_lo, s6
	v_add_nc_u32_e32 v18, 4, v18
	v_add_co_u32 v1, s6, v1, 16
	v_add_nc_u32_e32 v12, 32, v12
	v_add_nc_u32_e32 v13, 0x80, v13
	s_delay_alu instid0(VALU_DEP_4) | instskip(SKIP_3) | instid1(SALU_CYCLE_1)
	v_cmp_le_i32_e64 s5, s17, v18
	s_wait_alu 0xf1ff
	v_add_co_ci_u32_e64 v2, null, 0, v2, s6
	s_or_b32 s9, s5, s9
	s_and_not1_b32 exec_lo, exec_lo, s9
	s_cbranch_execz .LBB87_12
.LBB87_10:                              ; =>This Inner Loop Header: Depth=1
	global_load_b32 v19, v[1:2], off
	s_wait_loadcnt_dscnt 0x0
	v_mad_co_i64_i32 v[19:20], null, v19, s11, 0
	s_delay_alu instid0(VALU_DEP_1) | instskip(NEXT) | instid1(VALU_DEP_1)
	v_lshlrev_b64_e32 v[19:20], 1, v[19:20]
	v_add_co_u32 v19, s5, v14, v19
	s_wait_alu 0xf1ff
	s_delay_alu instid0(VALU_DEP_2)
	v_add_co_ci_u32_e64 v20, null, v15, v20, s5
	v_cmp_gt_i32_e64 s5, 32, v16
	s_clause 0xa
	global_load_b32 v21, v[19:20], off
	global_load_b32 v22, v[19:20], off offset:128
	global_load_b32 v23, v[19:20], off offset:256
	;; [unrolled: 1-line block ×10, first 2 shown]
	ds_load_b32 v32, v11
	s_wait_dscnt 0x0
	v_lshrrev_b32_e32 v35, 16, v32
	v_and_b32_e32 v36, 0xffff, v32
	s_wait_loadcnt 0xa
	v_lshrrev_b32_e32 v37, 16, v21
	v_and_b32_e32 v38, 0xffff, v21
	s_clause 0x4
	global_load_b32 v21, v[19:20], off offset:1408
	global_load_b32 v32, v[19:20], off offset:1536
	;; [unrolled: 1-line block ×5, first 2 shown]
	;;#ASMSTART
	v_cvt_f32_f16 v20, v36;
	;;#ASMEND
	;;#ASMSTART
	v_cvt_f32_f16 v35, v35;
	;;#ASMEND
	;; [unrolled: 3-line block ×4, first 2 shown]
	ds_load_b32 v38, v11 offset:4
	s_wait_loadcnt 0xe
	v_and_b32_e32 v40, 0xffff, v22
	v_lshrrev_b32_e32 v41, 16, v22
	s_wait_loadcnt 0xd
	v_lshrrev_b32_e32 v44, 16, v23
	s_wait_loadcnt 0xc
	v_and_b32_e32 v46, 0xffff, v24
	v_lshrrev_b32_e32 v47, 16, v24
	s_wait_loadcnt 0xb
	v_lshrrev_b32_e32 v50, 16, v25
	;; [unrolled: 5-line block ×5, first 2 shown]
	s_wait_dscnt 0x0
	v_and_b32_e32 v39, 0xffff, v38
	v_lshrrev_b32_e32 v38, 16, v38
	;;#ASMSTART
	v_cvt_f32_f16 v22, v39;
	;;#ASMEND
	;;#ASMSTART
	v_cvt_f32_f16 v38, v38;
	;;#ASMEND
	;; [unrolled: 3-line block ×4, first 2 shown]
	ds_load_b32 v41, v11 offset:8
	v_dual_mul_f32 v22, v22, v39 :: v_dual_and_b32 v49, 0xffff, v25
	v_dual_mul_f32 v38, v38, v40 :: v_dual_and_b32 v43, 0xffff, v23
	s_delay_alu instid0(VALU_DEP_2) | instskip(NEXT) | instid1(VALU_DEP_2)
	v_fmac_f32_e32 v22, v20, v36
	v_fmac_f32_e32 v38, v35, v37
	s_wait_dscnt 0x0
	v_and_b32_e32 v42, 0xffff, v41
	v_lshrrev_b32_e32 v41, 16, v41
	;;#ASMSTART
	v_cvt_f32_f16 v23, v42;
	;;#ASMEND
	;;#ASMSTART
	v_cvt_f32_f16 v41, v41;
	;;#ASMEND
	;; [unrolled: 3-line block ×4, first 2 shown]
	ds_load_b32 v44, v11 offset:12
	v_dual_fmac_f32 v22, v23, v42 :: v_dual_and_b32 v55, 0xffff, v27
	s_wait_dscnt 0x0
	v_dual_fmac_f32 v38, v41, v43 :: v_dual_and_b32 v45, 0xffff, v44
	v_lshrrev_b32_e32 v44, 16, v44
	;;#ASMSTART
	v_cvt_f32_f16 v24, v45;
	;;#ASMEND
	;;#ASMSTART
	v_cvt_f32_f16 v44, v44;
	;;#ASMEND
	;; [unrolled: 3-line block ×4, first 2 shown]
	ds_load_b32 v47, v11 offset:16
	v_dual_fmac_f32 v38, v44, v46 :: v_dual_and_b32 v61, 0xffff, v29
	v_fmac_f32_e32 v22, v24, v45
	s_wait_dscnt 0x0
	v_and_b32_e32 v48, 0xffff, v47
	v_lshrrev_b32_e32 v47, 16, v47
	;;#ASMSTART
	v_cvt_f32_f16 v25, v48;
	;;#ASMEND
	;;#ASMSTART
	v_cvt_f32_f16 v47, v47;
	;;#ASMEND
	;; [unrolled: 3-line block ×4, first 2 shown]
	ds_load_b32 v50, v11 offset:20
	v_dual_fmac_f32 v38, v47, v49 :: v_dual_and_b32 v67, 0xffff, v31
	s_wait_dscnt 0x0
	v_dual_fmac_f32 v22, v25, v48 :: v_dual_and_b32 v51, 0xffff, v50
	v_lshrrev_b32_e32 v50, 16, v50
	;;#ASMSTART
	v_cvt_f32_f16 v26, v51;
	;;#ASMEND
	;;#ASMSTART
	v_cvt_f32_f16 v50, v50;
	;;#ASMEND
	;;#ASMSTART
	v_cvt_f32_f16 v51, v52;
	;;#ASMEND
	;;#ASMSTART
	v_cvt_f32_f16 v52, v53;
	;;#ASMEND
	ds_load_b32 v53, v11 offset:24
	v_fmac_f32_e32 v22, v26, v51
	s_wait_dscnt 0x0
	v_and_b32_e32 v54, 0xffff, v53
	v_lshrrev_b32_e32 v53, 16, v53
	;;#ASMSTART
	v_cvt_f32_f16 v27, v54;
	;;#ASMEND
	;;#ASMSTART
	v_cvt_f32_f16 v53, v53;
	;;#ASMEND
	;;#ASMSTART
	v_cvt_f32_f16 v54, v55;
	;;#ASMEND
	;;#ASMSTART
	v_cvt_f32_f16 v55, v56;
	;;#ASMEND
	ds_load_b32 v56, v11 offset:28
	s_wait_dscnt 0x0
	v_dual_fmac_f32 v22, v27, v54 :: v_dual_and_b32 v57, 0xffff, v56
	v_lshrrev_b32_e32 v56, 16, v56
	;;#ASMSTART
	v_cvt_f32_f16 v28, v57;
	;;#ASMEND
	;;#ASMSTART
	v_cvt_f32_f16 v56, v56;
	;;#ASMEND
	;;#ASMSTART
	v_cvt_f32_f16 v57, v58;
	;;#ASMEND
	;;#ASMSTART
	v_cvt_f32_f16 v58, v59;
	;;#ASMEND
	ds_load_b32 v59, v11 offset:32
	v_fmac_f32_e32 v22, v28, v57
	s_wait_dscnt 0x0
	v_and_b32_e32 v60, 0xffff, v59
	v_lshrrev_b32_e32 v59, 16, v59
	;;#ASMSTART
	v_cvt_f32_f16 v29, v60;
	;;#ASMEND
	;;#ASMSTART
	v_cvt_f32_f16 v59, v59;
	;;#ASMEND
	;;#ASMSTART
	v_cvt_f32_f16 v60, v61;
	;;#ASMEND
	;;#ASMSTART
	v_cvt_f32_f16 v61, v62;
	;;#ASMEND
	ds_load_b32 v62, v11 offset:36
	;; [unrolled: 33-line block ×3, first 2 shown]
	s_wait_dscnt 0x0
	v_dual_fmac_f32 v22, v31, v66 :: v_dual_and_b32 v69, 0xffff, v68
	v_lshrrev_b32_e32 v68, 16, v68
	s_wait_loadcnt 0x4
	v_and_b32_e32 v70, 0xffff, v21
	v_lshrrev_b32_e32 v71, 16, v21
	;;#ASMSTART
	v_cvt_f32_f16 v21, v69;
	;;#ASMEND
	;;#ASMSTART
	v_cvt_f32_f16 v68, v68;
	;;#ASMEND
	;; [unrolled: 3-line block ×4, first 2 shown]
	ds_load_b32 v71, v11 offset:48
	s_wait_loadcnt 0x3
	v_and_b32_e32 v73, 0xffff, v32
	v_lshrrev_b32_e32 v74, 16, v32
	s_wait_loadcnt 0x2
	v_and_b32_e32 v24, 0xffff, v33
	v_lshrrev_b32_e32 v35, 16, v33
	s_wait_loadcnt 0x1
	v_and_b32_e32 v28, 0xffff, v34
	s_wait_loadcnt 0x0
	v_lshrrev_b32_e32 v31, 16, v19
	v_fmac_f32_e32 v22, v21, v69
	s_wait_alu 0xf1ff
	v_cndmask_b32_e64 v21, v5, v16, s5
	v_fmac_f32_e32 v38, v50, v52
	v_cmp_gt_i32_e64 s5, 32, v17
	s_delay_alu instid0(VALU_DEP_2) | instskip(NEXT) | instid1(VALU_DEP_1)
	v_fmac_f32_e32 v38, v53, v55
	v_fmac_f32_e32 v38, v56, v58
	s_wait_dscnt 0x0
	v_and_b32_e32 v72, 0xffff, v71
	v_lshrrev_b32_e32 v71, 16, v71
	;;#ASMSTART
	v_cvt_f32_f16 v32, v72;
	;;#ASMEND
	;;#ASMSTART
	v_cvt_f32_f16 v71, v71;
	;;#ASMEND
	;; [unrolled: 3-line block ×4, first 2 shown]
	ds_load_b32 v74, v11 offset:52
	v_fmac_f32_e32 v22, v32, v72
	v_fmac_f32_e32 v38, v59, v61
	s_delay_alu instid0(VALU_DEP_1) | instskip(NEXT) | instid1(VALU_DEP_1)
	v_fmac_f32_e32 v38, v62, v64
	v_fmac_f32_e32 v38, v65, v67
	s_delay_alu instid0(VALU_DEP_1)
	v_fmac_f32_e32 v38, v68, v70
	s_wait_dscnt 0x0
	v_and_b32_e32 v20, 0xffff, v74
	v_lshrrev_b32_e32 v23, 16, v74
	;;#ASMSTART
	v_cvt_f32_f16 v20, v20;
	;;#ASMEND
	;;#ASMSTART
	v_cvt_f32_f16 v23, v23;
	;;#ASMEND
	;; [unrolled: 3-line block ×4, first 2 shown]
	ds_load_b32 v33, v11 offset:56
	v_lshrrev_b32_e32 v35, 16, v34
	v_fmac_f32_e32 v38, v71, v73
	v_fmac_f32_e32 v22, v20, v24
	v_and_b32_e32 v24, 0xffff, v19
	s_delay_alu instid0(VALU_DEP_3)
	v_fmac_f32_e32 v38, v23, v25
	s_wait_dscnt 0x0
	v_and_b32_e32 v26, 0xffff, v33
	v_lshrrev_b32_e32 v27, 16, v33
	;;#ASMSTART
	v_cvt_f32_f16 v26, v26;
	;;#ASMEND
	;;#ASMSTART
	v_cvt_f32_f16 v27, v27;
	;;#ASMEND
	;; [unrolled: 3-line block ×4, first 2 shown]
	ds_load_b32 v30, v11 offset:60
	v_fmac_f32_e32 v22, v26, v28
	v_fmac_f32_e32 v38, v27, v29
	s_wait_dscnt 0x0
	v_and_b32_e32 v20, 0xffff, v30
	v_lshrrev_b32_e32 v23, 16, v30
	;;#ASMSTART
	v_cvt_f32_f16 v19, v20;
	;;#ASMEND
	;;#ASMSTART
	v_cvt_f32_f16 v20, v23;
	;;#ASMEND
	;; [unrolled: 3-line block ×4, first 2 shown]
	v_fmac_f32_e32 v22, v19, v23
	v_dual_fmac_f32 v38, v20, v24 :: v_dual_lshlrev_b32 v19, 2, v21
	s_wait_alu 0xf1ff
	v_cndmask_b32_e64 v21, v5, v17, s5
	s_delay_alu instid0(VALU_DEP_2)
	v_add_f32_e32 v20, v22, v38
	ds_bpermute_b32 v19, v19, v20
	s_wait_dscnt 0x0
	v_dual_add_f32 v19, v20, v19 :: v_dual_lshlrev_b32 v20, 2, v21
	ds_bpermute_b32 v20, v20, v19
	s_and_saveexec_b32 s6, vcc_lo
	s_cbranch_execz .LBB87_9
; %bb.11:                               ;   in Loop: Header=BB87_10 Depth=1
	s_wait_dscnt 0x0
	v_add_f32_e32 v19, v19, v20
	v_add_nc_u32_e32 v21, s15, v12
	v_cmp_gt_i32_e64 s5, s25, v12
	s_delay_alu instid0(VALU_DEP_2) | instskip(NEXT) | instid1(VALU_DEP_1)
	v_cvt_f32_i32_e32 v21, v21
	v_mul_f32_e32 v21, s10, v21
	s_delay_alu instid0(VALU_DEP_1) | instskip(NEXT) | instid1(VALU_DEP_1)
	v_cndmask_b32_e64 v20, 0, v21, s4
	v_dual_max_num_f32 v21, v8, v8 :: v_dual_fmac_f32 v20, s7, v19
	s_delay_alu instid0(VALU_DEP_1) | instskip(SKIP_2) | instid1(VALU_DEP_2)
	v_max_num_f32_e32 v19, v21, v20
	s_wait_alu 0xf1ff
	v_cndmask_b32_e64 v20, 0, v20, s5
	v_cndmask_b32_e64 v8, v8, v19, s5
	ds_store_b32 v13, v20
	s_branch .LBB87_9
.LBB87_12:
	s_or_b32 exec_lo, exec_lo, s9
.LBB87_13:
	s_delay_alu instid0(SALU_CYCLE_1)
	s_or_b32 exec_lo, exec_lo, s8
	v_xor_b32_e32 v1, 16, v5
	v_xor_b32_e32 v11, 8, v5
	s_clause 0x2
	s_load_b128 s[8:11], s[0:1], 0x0
	s_load_b64 s[6:7], s[0:1], 0x10
	s_load_b64 s[22:23], s[0:1], 0x28
	v_max_num_f32_e32 v12, v8, v8
	v_cmp_lt_i32_e32 vcc_lo, v1, v7
	v_cndmask_b32_e32 v1, v5, v1, vcc_lo
	v_cmp_lt_i32_e32 vcc_lo, v11, v7
	s_delay_alu instid0(VALU_DEP_2) | instskip(SKIP_4) | instid1(VALU_DEP_1)
	v_lshlrev_b32_e32 v2, 2, v1
	ds_bpermute_b32 v1, v2, v8
	s_wait_dscnt 0x0
	v_max_num_f32_e32 v1, v1, v1
	s_wait_alu 0xfffd
	v_dual_cndmask_b32 v8, v5, v11 :: v_dual_max_num_f32 v1, v12, v1
	s_delay_alu instid0(VALU_DEP_1)
	v_lshlrev_b32_e32 v8, 2, v8
	v_xor_b32_e32 v12, 4, v5
	ds_bpermute_b32 v11, v8, v1
	v_cmp_lt_i32_e32 vcc_lo, v12, v7
	s_wait_alu 0xfffd
	v_cndmask_b32_e32 v12, v5, v12, vcc_lo
	s_delay_alu instid0(VALU_DEP_1) | instskip(SKIP_2) | instid1(VALU_DEP_1)
	v_lshlrev_b32_e32 v14, 2, v12
	s_wait_dscnt 0x0
	v_dual_max_num_f32 v11, v11, v11 :: v_dual_lshlrev_b32 v12, 2, v9
	v_max_num_f32_e32 v1, v1, v11
	v_and_b32_e32 v11, 31, v0
	ds_bpermute_b32 v13, v14, v1
	v_cmp_eq_u32_e32 vcc_lo, 0, v11
	s_and_saveexec_b32 s0, vcc_lo
	s_cbranch_execz .LBB87_15
; %bb.14:
	s_wait_dscnt 0x0
	v_max_num_f32_e32 v13, v13, v13
	v_max_num_f32_e32 v1, v1, v1
	s_delay_alu instid0(VALU_DEP_1)
	v_max_num_f32_e32 v1, v1, v13
	ds_store_b32 v12, v1 offset:256
.LBB87_15:
	s_or_b32 exec_lo, exec_lo, s0
	v_cmp_gt_u32_e64 s0, 4, v11
	v_mov_b32_e32 v1, 0xff7fffff
	s_wait_dscnt 0x0
	v_lshlrev_b32_e32 v13, 2, v11
	s_wait_loadcnt 0x0
	s_barrier_signal -1
	s_barrier_wait -1
	global_inv scope:SCOPE_SE
	s_and_saveexec_b32 s1, s0
; %bb.16:
	ds_load_b32 v1, v13 offset:256
; %bb.17:
	s_or_b32 exec_lo, exec_lo, s1
	v_xor_b32_e32 v15, 2, v5
	v_xor_b32_e32 v17, 1, v5
	v_lshlrev_b32_e32 v6, 2, v6
	s_delay_alu instid0(VALU_DEP_3) | instskip(NEXT) | instid1(VALU_DEP_1)
	v_cmp_lt_i32_e64 s1, v15, v7
	v_cndmask_b32_e64 v15, v5, v15, s1
	s_delay_alu instid0(VALU_DEP_4) | instskip(NEXT) | instid1(VALU_DEP_2)
	v_cmp_lt_i32_e64 s1, v17, v7
	v_lshlrev_b32_e32 v15, 2, v15
	s_wait_alu 0xf1ff
	s_delay_alu instid0(VALU_DEP_2)
	v_cndmask_b32_e64 v7, v5, v17, s1
	s_sub_co_i32 s1, s17, s30
	s_wait_alu 0xfffe
	s_lshl_b32 s1, s1, 3
	s_wait_dscnt 0x0
	ds_bpermute_b32 v16, v15, v1
	v_max_num_f32_e32 v1, v1, v1
	v_lshlrev_b32_e32 v7, 2, v7
	s_wait_alu 0xfffe
	s_add_co_i32 s1, s1, s26
	s_wait_alu 0xfffe
	s_min_i32 s1, s1, s25
	s_wait_alu 0xfffe
	s_sub_co_i32 s5, s1, s26
	s_wait_alu 0xfffe
	v_cmp_gt_i32_e64 s1, s5, v0
	s_wait_dscnt 0x0
	v_max_num_f32_e32 v16, v16, v16
	s_delay_alu instid0(VALU_DEP_1) | instskip(SKIP_3) | instid1(VALU_DEP_1)
	v_max_num_f32_e32 v1, v1, v16
	ds_bpermute_b32 v16, v7, v1
	s_wait_dscnt 0x0
	v_max_num_f32_e32 v16, v16, v16
	v_dual_max_num_f32 v1, v1, v16 :: v_dual_mov_b32 v16, 0
	ds_bpermute_b32 v1, v6, v1
	v_lshl_add_u32 v6, v0, 2, 0x120
	s_and_saveexec_b32 s15, s1
	s_cbranch_execz .LBB87_21
; %bb.18:
	v_lshl_add_u32 v17, v0, 2, 0x120
	v_mov_b32_e32 v16, 0
	v_mov_b32_e32 v18, v0
	s_mov_b32 s30, 0
.LBB87_19:                              ; =>This Inner Loop Header: Depth=1
	ds_load_b32 v19, v17
	v_add_nc_u32_e32 v18, 0x80, v18
	s_delay_alu instid0(VALU_DEP_1) | instskip(SKIP_4) | instid1(VALU_DEP_1)
	v_cmp_le_i32_e64 s4, s5, v18
	s_wait_alu 0xfffe
	s_or_b32 s30, s4, s30
	s_wait_dscnt 0x0
	v_sub_f32_e32 v19, v19, v1
	v_mul_f32_e32 v19, 0x3fb8aa3b, v19
	s_delay_alu instid0(VALU_DEP_1)
	v_exp_f32_e32 v19, v19
	ds_store_b32 v17, v19
	v_dual_add_f32 v16, v16, v19 :: v_dual_add_nc_u32 v17, 0x200, v17
	s_wait_alu 0xfffe
	s_and_not1_b32 exec_lo, exec_lo, s30
	s_cbranch_execnz .LBB87_19
; %bb.20:
	s_or_b32 exec_lo, exec_lo, s30
.LBB87_21:
	s_wait_alu 0xfffe
	s_or_b32 exec_lo, exec_lo, s15
	ds_bpermute_b32 v2, v2, v16
	s_wait_dscnt 0x0
	v_add_f32_e32 v2, v16, v2
	ds_bpermute_b32 v8, v8, v2
	s_wait_dscnt 0x0
	v_add_f32_e32 v2, v2, v8
	;; [unrolled: 3-line block ×5, first 2 shown]
	s_and_saveexec_b32 s4, vcc_lo
; %bb.22:
	ds_store_b32 v12, v2 offset:272
; %bb.23:
	s_wait_alu 0xfffe
	s_or_b32 exec_lo, exec_lo, s4
	s_wait_loadcnt_dscnt 0x0
	s_barrier_signal -1
	s_barrier_wait -1
	global_inv scope:SCOPE_SE
	s_and_saveexec_b32 s4, s0
; %bb.24:
	ds_load_b32 v2, v13 offset:272
; %bb.25:
	s_wait_alu 0xfffe
	s_or_b32 exec_lo, exec_lo, s4
	s_wait_dscnt 0x0
	ds_bpermute_b32 v8, v15, v2
	v_lshlrev_b32_e32 v5, 2, v5
	s_wait_dscnt 0x0
	s_delay_alu instid0(VALU_DEP_1)
	v_dual_add_f32 v2, v2, v8 :: v_dual_and_b32 v5, 0xffffff80, v5
	ds_bpermute_b32 v7, v7, v2
	s_wait_dscnt 0x0
	v_add_f32_e32 v2, v2, v7
	ds_bpermute_b32 v2, v5, v2
	s_and_saveexec_b32 s0, s1
	s_cbranch_execz .LBB87_28
; %bb.26:
	s_wait_dscnt 0x0
	v_add_f32_e32 v5, 0x358637bd, v2
	s_mov_b32 s1, 0
	s_delay_alu instid0(VALU_DEP_1) | instskip(NEXT) | instid1(VALU_DEP_1)
	v_div_scale_f32 v7, null, v5, v5, 1.0
	v_rcp_f32_e32 v8, v7
	s_delay_alu instid0(TRANS32_DEP_1) | instskip(NEXT) | instid1(VALU_DEP_1)
	v_fma_f32 v12, -v7, v8, 1.0
	v_fmac_f32_e32 v8, v12, v8
	v_div_scale_f32 v13, vcc_lo, 1.0, v5, 1.0
	s_delay_alu instid0(VALU_DEP_1) | instskip(NEXT) | instid1(VALU_DEP_1)
	v_mul_f32_e32 v12, v13, v8
	v_fma_f32 v14, -v7, v12, v13
	s_delay_alu instid0(VALU_DEP_1) | instskip(NEXT) | instid1(VALU_DEP_1)
	v_fmac_f32_e32 v12, v14, v8
	v_fma_f32 v7, -v7, v12, v13
	s_wait_alu 0xfffd
	s_delay_alu instid0(VALU_DEP_1) | instskip(NEXT) | instid1(VALU_DEP_1)
	v_div_fmas_f32 v7, v7, v8, v12
	v_div_fixup_f32 v5, v7, v5, 1.0
	v_mov_b32_e32 v7, v0
.LBB87_27:                              ; =>This Inner Loop Header: Depth=1
	ds_load_b32 v8, v6
	s_wait_dscnt 0x0
	v_dual_mul_f32 v8, v5, v8 :: v_dual_add_nc_u32 v7, 0x80, v7
	s_delay_alu instid0(VALU_DEP_1)
	v_cmp_le_i32_e32 vcc_lo, s5, v7
	ds_store_b32 v6, v8
	v_add_nc_u32_e32 v6, 0x200, v6
	s_wait_alu 0xfffe
	s_or_b32 s1, vcc_lo, s1
	s_wait_alu 0xfffe
	s_and_not1_b32 exec_lo, exec_lo, s1
	s_cbranch_execnz .LBB87_27
.LBB87_28:
	s_wait_alu 0xfffe
	s_or_b32 exec_lo, exec_lo, s0
	s_wait_kmcnt 0x0
	s_mul_i32 s0, s12, s27
	s_wait_loadcnt_dscnt 0x0
	s_wait_alu 0xfffe
	s_mul_i32 s4, s0, s28
	s_mov_b32 s0, exec_lo
	s_barrier_signal -1
	s_barrier_wait -1
	global_inv scope:SCOPE_SE
	v_cmpx_eq_u32_e32 0, v0
	s_cbranch_execz .LBB87_30
; %bb.29:
	s_wait_alu 0xfffe
	s_ashr_i32 s5, s4, 31
	s_mul_i32 s30, s12, ttmp9
	s_lshl_b32 s1, s24, 2
	s_wait_alu 0xfffe
	s_lshl_b64 s[34:35], s[4:5], 2
	s_ashr_i32 s31, s30, 31
	v_mov_b32_e32 v5, s1
	s_add_nc_u64 s[10:11], s[10:11], s[34:35]
	s_wait_alu 0xfffe
	s_lshl_b64 s[30:31], s[30:31], 2
	s_add_nc_u64 s[8:9], s[8:9], s[34:35]
	s_wait_alu 0xfffe
	s_add_nc_u64 s[10:11], s[10:11], s[30:31]
	s_add_nc_u64 s[8:9], s[8:9], s[30:31]
	s_clause 0x1
	global_store_b32 v5, v1, s[10:11]
	global_store_b32 v5, v2, s[8:9]
.LBB87_30:
	s_wait_alu 0xfffe
	s_or_b32 exec_lo, exec_lo, s0
	v_dual_mov_b32 v15, 0 :: v_dual_mov_b32 v14, 0
	v_dual_mov_b32 v13, 0 :: v_dual_mov_b32 v12, 0
	s_and_saveexec_b32 s1, s3
	s_cbranch_execz .LBB87_42
; %bb.31:
	s_ashr_i32 s15, s14, 31
	v_dual_mov_b32 v12, 0 :: v_dual_lshlrev_b32 v1, 4, v11
	s_wait_alu 0xfffe
	s_lshl_b64 s[8:9], s[14:15], 1
	v_add3_u32 v18, s26, v4, 7
	s_add_nc_u64 s[8:9], s[22:23], s[8:9]
	v_lshl_add_u32 v19, v9, 5, 0x120
	v_add_co_u32 v16, s0, s8, v1
	s_wait_alu 0xf1ff
	v_add_co_ci_u32_e64 v17, null, s9, 0, s0
	s_lshl_b64 s[8:9], s[18:19], 2
	v_dual_mov_b32 v13, 0 :: v_dual_mov_b32 v14, 0
	s_wait_alu 0xfffe
	s_add_nc_u64 s[8:9], s[20:21], s[8:9]
	v_mov_b32_e32 v15, 0
	s_wait_alu 0xfffe
	v_add_co_u32 v5, s0, s8, v3
	s_wait_alu 0xf1ff
	v_add_co_ci_u32_e64 v6, null, s9, 0, s0
	s_mov_b32 s3, s13
	s_add_co_i32 s29, s29, -1
	s_mov_b32 s5, 0
	s_branch .LBB87_33
.LBB87_32:                              ;   in Loop: Header=BB87_33 Depth=1
	s_wait_alu 0xfffe
	s_or_b32 exec_lo, exec_lo, s0
	v_lshlrev_b32_e32 v20, 16, v37
	v_lshlrev_b32_e32 v8, 16, v8
	v_lshlrev_b32_e32 v7, 16, v7
	v_add_co_u32 v5, s0, v5, 16
	s_delay_alu instid0(VALU_DEP_4) | instskip(NEXT) | instid1(VALU_DEP_4)
	v_and_or_b32 v1, 0xffff, v1, v20
	v_and_or_b32 v2, 0xffff, v2, v8
	s_delay_alu instid0(VALU_DEP_4)
	v_and_or_b32 v3, 0xffff, v3, v7
	;;#ASMSTART
	v_pk_mul_f16 v1, v28, v1;

	;;#ASMEND
	;;#ASMSTART
	v_pk_mul_f16 v2, v27, v2;

	;;#ASMEND
	;;#ASMSTART
	v_pk_mul_f16 v3, v29, v3;

	;;#ASMEND
	;;#ASMSTART
	v_pk_mul_f16 v4, v30, v4;

	;;#ASMEND
	;;#ASMSTART
	v_pk_add_f16 v1, v1, v2;

	;;#ASMEND
	;;#ASMSTART
	v_pk_add_f16 v1, v1, v3;

	;;#ASMEND
	;; [unrolled: 4-line block ×3, first 2 shown]
	v_dual_add_f32 v3, v31, v32 :: v_dual_and_b32 v4, 0xffff, v1
	v_add_nc_u32_e32 v10, 4, v10
	v_lshrrev_b32_e32 v7, 16, v1
	;;#ASMSTART
	v_cvt_f32_f16 v4, v4;
	;;#ASMEND
	v_dual_add_f32 v1, v35, v36 :: v_dual_add_f32 v2, v33, v34
	;;#ASMSTART
	v_cvt_f32_f16 v7, v7;
	;;#ASMEND
	s_delay_alu instid0(VALU_DEP_2) | instskip(SKIP_3) | instid1(VALU_DEP_4)
	v_add_f32_e32 v4, v4, v7
	v_add_f32_e32 v15, v15, v3
	v_cmp_le_i32_e32 vcc_lo, s17, v10
	v_dual_add_f32 v13, v13, v1 :: v_dual_add_f32 v14, v14, v2
	v_dual_add_f32 v12, v12, v4 :: v_dual_add_nc_u32 v19, 0x80, v19
	v_add_nc_u32_e32 v18, 32, v18
	s_wait_alu 0xf1ff
	v_add_co_ci_u32_e64 v6, null, 0, v6, s0
	s_or_b32 s5, vcc_lo, s5
	s_wait_alu 0xfffe
	s_and_not1_b32 exec_lo, exec_lo, s5
	s_cbranch_execz .LBB87_41
.LBB87_33:                              ; =>This Inner Loop Header: Depth=1
	global_load_b32 v7, v[5:6], off
	ds_load_2addr_b64 v[1:4], v19 offset1:1
	ds_load_2addr_b64 v[20:23], v19 offset0:2 offset1:3
	v_add_nc_u32_e32 v24, -7, v18
	v_add_nc_u32_e32 v26, -6, v18
	;; [unrolled: 1-line block ×3, first 2 shown]
	s_wait_dscnt 0x1
	;;#ASMSTART
	v_cvt_f16_f32 v28, v1;

	;;#ASMEND
	;;#ASMSTART
	v_cvt_f16_f32 v27, v2;

	;;#ASMEND
	;; [unrolled: 4-line block ×4, first 2 shown]
	s_wait_dscnt 0x0
	;;#ASMSTART
	v_cvt_f16_f32 v34, v20;

	;;#ASMEND
	;;#ASMSTART
	v_cvt_f16_f32 v29, v21;

	;;#ASMEND
	;;#ASMSTART
	v_cvt_f16_f32 v32, v22;

	;;#ASMEND
	;;#ASMSTART
	v_cvt_f16_f32 v30, v23;

	;;#ASMEND
	v_add_nc_u32_e32 v22, -4, v18
	v_add_nc_u32_e32 v21, -3, v18
	;; [unrolled: 1-line block ×4, first 2 shown]
	s_wait_loadcnt 0x0
	s_wait_alu 0xfffe
	v_mad_co_i64_i32 v[7:8], null, v7, s3, 0
	s_delay_alu instid0(VALU_DEP_1) | instskip(NEXT) | instid1(VALU_DEP_1)
	v_lshlrev_b64_e32 v[7:8], 1, v[7:8]
	v_add_co_u32 v7, vcc_lo, v16, v7
	s_wait_alu 0xfffd
	s_delay_alu instid0(VALU_DEP_2)
	v_add_co_ci_u32_e64 v8, null, v17, v8, vcc_lo
	v_cmp_eq_u32_e32 vcc_lo, s29, v10
	global_load_b128 v[1:4], v[7:8], off
	s_wait_loadcnt 0x0
	v_lshrrev_b32_e32 v37, 16, v1
	v_lshrrev_b32_e32 v36, 16, v2
	;; [unrolled: 1-line block ×3, first 2 shown]
	s_and_saveexec_b32 s8, vcc_lo
	s_cbranch_execz .LBB87_35
; %bb.34:                               ;   in Loop: Header=BB87_33 Depth=1
	v_cmp_gt_i32_e64 s0, s25, v24
	v_and_b32_e32 v38, 0xffff, v4
	v_and_b32_e32 v4, 0xffff0000, v4
	s_wait_alu 0xf1ff
	s_delay_alu instid0(VALU_DEP_3) | instskip(SKIP_2) | instid1(VALU_DEP_1)
	v_cndmask_b32_e64 v1, 0, v1, s0
	v_cmp_gt_i32_e64 s0, s25, v26
	s_wait_alu 0xf1ff
	v_cndmask_b32_e64 v37, 0, v37, s0
	v_cmp_gt_i32_e64 s0, s25, v25
	s_wait_alu 0xf1ff
	s_delay_alu instid0(VALU_DEP_1) | instskip(SKIP_2) | instid1(VALU_DEP_1)
	v_cndmask_b32_e64 v2, 0, v2, s0
	v_cmp_gt_i32_e64 s0, s25, v22
	s_wait_alu 0xf1ff
	v_cndmask_b32_e64 v36, 0, v36, s0
	v_cmp_gt_i32_e64 s0, s25, v23
	s_wait_alu 0xf1ff
	s_delay_alu instid0(VALU_DEP_1) | instskip(SKIP_2) | instid1(VALU_DEP_1)
	v_cndmask_b32_e64 v38, 0, v38, s0
	v_cmp_gt_i32_e64 s0, s25, v18
	s_wait_alu 0xf1ff
	v_cndmask_b32_e64 v4, 0, v4, s0
	v_cmp_gt_i32_e64 s0, s25, v21
	s_delay_alu instid0(VALU_DEP_2) | instskip(SKIP_1) | instid1(VALU_DEP_2)
	v_or_b32_e32 v4, v38, v4
	s_wait_alu 0xf1ff
	v_cndmask_b32_e64 v3, 0, v3, s0
	v_cmp_gt_i32_e64 s0, s25, v20
	s_wait_alu 0xf1ff
	s_delay_alu instid0(VALU_DEP_1)
	v_cndmask_b32_e64 v35, 0, v35, s0
.LBB87_35:                              ;   in Loop: Header=BB87_33 Depth=1
	s_wait_alu 0xfffe
	s_or_b32 exec_lo, exec_lo, s8
	v_and_b32_e32 v28, 0xffff, v28
	v_and_b32_e32 v33, 0xffff, v33
	v_lshlrev_b32_e32 v37, 16, v37
	v_and_b32_e32 v34, 0xffff, v34
	v_and_b32_e32 v32, 0xffff, v32
	v_lshl_or_b32 v28, v27, 16, v28
	v_lshl_or_b32 v27, v31, 16, v33
	v_lshlrev_b32_e32 v31, 16, v36
	v_lshlrev_b32_e32 v33, 16, v35
	v_and_or_b32 v1, 0xffff, v1, v37
	;;#ASMSTART
	v_pk_mul_f16 v1, v28, v1;

	;;#ASMEND
	v_lshl_or_b32 v29, v29, 16, v34
	v_and_or_b32 v2, 0xffff, v2, v31
	v_and_or_b32 v3, 0xffff, v3, v33
	v_lshl_or_b32 v30, v30, 16, v32
	;;#ASMSTART
	v_pk_mul_f16 v2, v27, v2;

	;;#ASMEND
	;;#ASMSTART
	v_pk_mul_f16 v3, v29, v3;

	;;#ASMEND
	;; [unrolled: 4-line block ×3, first 2 shown]
	;;#ASMSTART
	v_pk_add_f16 v1, v1, v2;

	;;#ASMEND
	;;#ASMSTART
	v_pk_add_f16 v1, v1, v3;

	;;#ASMEND
	;; [unrolled: 4-line block ×3, first 2 shown]
	v_and_b32_e32 v2, 0xffff, v1
	v_lshrrev_b32_e32 v1, 16, v1
	;;#ASMSTART
	v_cvt_f32_f16 v31, v2;
	;;#ASMEND
	;;#ASMSTART
	v_cvt_f32_f16 v32, v1;
	;;#ASMEND
	global_load_b128 v[1:4], v[7:8], off offset:512
	s_wait_loadcnt 0x0
	v_lshrrev_b32_e32 v35, 16, v1
	v_lshrrev_b32_e32 v34, 16, v2
	;; [unrolled: 1-line block ×3, first 2 shown]
	s_and_saveexec_b32 s8, vcc_lo
	s_cbranch_execz .LBB87_37
; %bb.36:                               ;   in Loop: Header=BB87_33 Depth=1
	v_cmp_gt_i32_e64 s0, s25, v24
	v_and_b32_e32 v36, 0xffff, v4
	v_and_b32_e32 v4, 0xffff0000, v4
	s_wait_alu 0xf1ff
	s_delay_alu instid0(VALU_DEP_3) | instskip(SKIP_2) | instid1(VALU_DEP_1)
	v_cndmask_b32_e64 v1, 0, v1, s0
	v_cmp_gt_i32_e64 s0, s25, v26
	s_wait_alu 0xf1ff
	v_cndmask_b32_e64 v35, 0, v35, s0
	v_cmp_gt_i32_e64 s0, s25, v25
	s_wait_alu 0xf1ff
	s_delay_alu instid0(VALU_DEP_1) | instskip(SKIP_2) | instid1(VALU_DEP_1)
	v_cndmask_b32_e64 v2, 0, v2, s0
	v_cmp_gt_i32_e64 s0, s25, v22
	s_wait_alu 0xf1ff
	v_cndmask_b32_e64 v34, 0, v34, s0
	v_cmp_gt_i32_e64 s0, s25, v23
	s_wait_alu 0xf1ff
	s_delay_alu instid0(VALU_DEP_1) | instskip(SKIP_2) | instid1(VALU_DEP_1)
	v_cndmask_b32_e64 v36, 0, v36, s0
	v_cmp_gt_i32_e64 s0, s25, v18
	s_wait_alu 0xf1ff
	v_cndmask_b32_e64 v4, 0, v4, s0
	v_cmp_gt_i32_e64 s0, s25, v21
	s_delay_alu instid0(VALU_DEP_2) | instskip(SKIP_1) | instid1(VALU_DEP_2)
	v_or_b32_e32 v4, v36, v4
	s_wait_alu 0xf1ff
	v_cndmask_b32_e64 v3, 0, v3, s0
	v_cmp_gt_i32_e64 s0, s25, v20
	s_wait_alu 0xf1ff
	s_delay_alu instid0(VALU_DEP_1)
	v_cndmask_b32_e64 v33, 0, v33, s0
.LBB87_37:                              ;   in Loop: Header=BB87_33 Depth=1
	s_wait_alu 0xfffe
	s_or_b32 exec_lo, exec_lo, s8
	v_lshlrev_b32_e32 v35, 16, v35
	v_lshlrev_b32_e32 v34, 16, v34
	;; [unrolled: 1-line block ×3, first 2 shown]
	s_delay_alu instid0(VALU_DEP_3) | instskip(NEXT) | instid1(VALU_DEP_3)
	v_and_or_b32 v1, 0xffff, v1, v35
	v_and_or_b32 v2, 0xffff, v2, v34
	s_delay_alu instid0(VALU_DEP_3)
	v_and_or_b32 v3, 0xffff, v3, v33
	;;#ASMSTART
	v_pk_mul_f16 v1, v28, v1;

	;;#ASMEND
	;;#ASMSTART
	v_pk_mul_f16 v2, v27, v2;

	;;#ASMEND
	;; [unrolled: 4-line block ×4, first 2 shown]
	;;#ASMSTART
	v_pk_add_f16 v1, v1, v2;

	;;#ASMEND
	;;#ASMSTART
	v_pk_add_f16 v1, v1, v3;

	;;#ASMEND
	;;#ASMSTART
	v_pk_add_f16 v1, v1, v4;

	;;#ASMEND
	v_and_b32_e32 v2, 0xffff, v1
	v_lshrrev_b32_e32 v1, 16, v1
	;;#ASMSTART
	v_cvt_f32_f16 v33, v2;
	;;#ASMEND
	;;#ASMSTART
	v_cvt_f32_f16 v34, v1;
	;;#ASMEND
	global_load_b128 v[1:4], v[7:8], off offset:1024
	s_wait_loadcnt 0x0
	v_lshrrev_b32_e32 v37, 16, v1
	v_lshrrev_b32_e32 v36, 16, v2
	;; [unrolled: 1-line block ×3, first 2 shown]
	s_and_saveexec_b32 s8, vcc_lo
	s_cbranch_execz .LBB87_39
; %bb.38:                               ;   in Loop: Header=BB87_33 Depth=1
	v_cmp_gt_i32_e64 s0, s25, v24
	v_and_b32_e32 v38, 0xffff, v4
	v_and_b32_e32 v4, 0xffff0000, v4
	s_wait_alu 0xf1ff
	s_delay_alu instid0(VALU_DEP_3) | instskip(SKIP_2) | instid1(VALU_DEP_1)
	v_cndmask_b32_e64 v1, 0, v1, s0
	v_cmp_gt_i32_e64 s0, s25, v26
	s_wait_alu 0xf1ff
	v_cndmask_b32_e64 v37, 0, v37, s0
	v_cmp_gt_i32_e64 s0, s25, v25
	s_wait_alu 0xf1ff
	s_delay_alu instid0(VALU_DEP_1) | instskip(SKIP_2) | instid1(VALU_DEP_1)
	v_cndmask_b32_e64 v2, 0, v2, s0
	v_cmp_gt_i32_e64 s0, s25, v22
	s_wait_alu 0xf1ff
	v_cndmask_b32_e64 v36, 0, v36, s0
	v_cmp_gt_i32_e64 s0, s25, v23
	s_wait_alu 0xf1ff
	s_delay_alu instid0(VALU_DEP_1) | instskip(SKIP_2) | instid1(VALU_DEP_1)
	v_cndmask_b32_e64 v38, 0, v38, s0
	v_cmp_gt_i32_e64 s0, s25, v18
	s_wait_alu 0xf1ff
	v_cndmask_b32_e64 v4, 0, v4, s0
	v_cmp_gt_i32_e64 s0, s25, v21
	s_delay_alu instid0(VALU_DEP_2) | instskip(SKIP_1) | instid1(VALU_DEP_2)
	v_or_b32_e32 v4, v38, v4
	s_wait_alu 0xf1ff
	v_cndmask_b32_e64 v3, 0, v3, s0
	v_cmp_gt_i32_e64 s0, s25, v20
	s_wait_alu 0xf1ff
	s_delay_alu instid0(VALU_DEP_1)
	v_cndmask_b32_e64 v35, 0, v35, s0
.LBB87_39:                              ;   in Loop: Header=BB87_33 Depth=1
	s_wait_alu 0xfffe
	s_or_b32 exec_lo, exec_lo, s8
	v_lshlrev_b32_e32 v37, 16, v37
	v_lshlrev_b32_e32 v36, 16, v36
	;; [unrolled: 1-line block ×3, first 2 shown]
	s_delay_alu instid0(VALU_DEP_3) | instskip(NEXT) | instid1(VALU_DEP_3)
	v_and_or_b32 v1, 0xffff, v1, v37
	v_and_or_b32 v2, 0xffff, v2, v36
	s_delay_alu instid0(VALU_DEP_3)
	v_and_or_b32 v3, 0xffff, v3, v35
	;;#ASMSTART
	v_pk_mul_f16 v1, v28, v1;

	;;#ASMEND
	;;#ASMSTART
	v_pk_mul_f16 v2, v27, v2;

	;;#ASMEND
	;; [unrolled: 4-line block ×4, first 2 shown]
	;;#ASMSTART
	v_pk_add_f16 v1, v1, v2;

	;;#ASMEND
	;;#ASMSTART
	v_pk_add_f16 v1, v1, v3;

	;;#ASMEND
	;; [unrolled: 4-line block ×3, first 2 shown]
	v_and_b32_e32 v2, 0xffff, v1
	v_lshrrev_b32_e32 v1, 16, v1
	;;#ASMSTART
	v_cvt_f32_f16 v35, v2;
	;;#ASMEND
	;;#ASMSTART
	v_cvt_f32_f16 v36, v1;
	;;#ASMEND
	global_load_b128 v[1:4], v[7:8], off offset:1536
	s_wait_loadcnt 0x0
	v_lshrrev_b32_e32 v37, 16, v1
	v_lshrrev_b32_e32 v8, 16, v2
	;; [unrolled: 1-line block ×3, first 2 shown]
	s_and_saveexec_b32 s0, vcc_lo
	s_cbranch_execz .LBB87_32
; %bb.40:                               ;   in Loop: Header=BB87_33 Depth=1
	v_cmp_gt_i32_e32 vcc_lo, s25, v24
	v_and_b32_e32 v24, 0xffff, v4
	s_wait_alu 0xfffd
	v_dual_cndmask_b32 v1, 0, v1 :: v_dual_and_b32 v4, 0xffff0000, v4
	v_cmp_gt_i32_e32 vcc_lo, s25, v26
	s_wait_alu 0xfffd
	v_cndmask_b32_e32 v37, 0, v37, vcc_lo
	v_cmp_gt_i32_e32 vcc_lo, s25, v25
	s_wait_alu 0xfffd
	v_cndmask_b32_e32 v2, 0, v2, vcc_lo
	;; [unrolled: 3-line block ×5, first 2 shown]
	v_cmp_gt_i32_e32 vcc_lo, s25, v21
	s_delay_alu instid0(VALU_DEP_2)
	v_or_b32_e32 v4, v22, v4
	s_wait_alu 0xfffd
	v_cndmask_b32_e32 v3, 0, v3, vcc_lo
	v_cmp_gt_i32_e32 vcc_lo, s25, v20
	s_wait_alu 0xfffd
	v_cndmask_b32_e32 v7, 0, v7, vcc_lo
	s_branch .LBB87_32
.LBB87_41:
	s_or_b32 exec_lo, exec_lo, s5
.LBB87_42:
	s_wait_alu 0xfffe
	s_or_b32 exec_lo, exec_lo, s1
	v_lshl_add_u32 v2, v11, 2, 0x120
	v_and_b32_e32 v3, 0x3c0, v0
	s_mov_b32 s0, exec_lo
	s_wait_loadcnt 0x0
	s_wait_storecnt 0x0
	s_barrier_signal -1
	v_lshl_add_u32 v1, v9, 9, v2
	s_barrier_wait -1
	global_inv scope:SCOPE_SE
	v_cmpx_eq_u32_e32 64, v3
	s_cbranch_execz .LBB87_44
; %bb.43:
	v_add_nc_u32_e32 v3, 0xfffffc00, v1
	v_add_nc_u32_e32 v4, 0xfffffc80, v1
	;; [unrolled: 1-line block ×4, first 2 shown]
	ds_store_b32 v3, v15
	ds_store_b32 v4, v14
	;; [unrolled: 1-line block ×4, first 2 shown]
.LBB87_44:
	s_wait_alu 0xfffe
	s_or_b32 exec_lo, exec_lo, s0
	s_wait_loadcnt_dscnt 0x0
	s_barrier_signal -1
	s_barrier_wait -1
	global_inv scope:SCOPE_SE
	s_and_saveexec_b32 s0, s2
	s_cbranch_execz .LBB87_46
; %bb.45:
	ds_load_2addr_b32 v[3:4], v1 offset1:32
	ds_load_2addr_b32 v[5:6], v1 offset0:64 offset1:96
	s_wait_dscnt 0x1
	v_dual_add_f32 v15, v15, v3 :: v_dual_add_f32 v14, v14, v4
	s_wait_dscnt 0x0
	v_dual_add_f32 v13, v13, v5 :: v_dual_add_f32 v12, v12, v6
.LBB87_46:
	s_wait_alu 0xfffe
	s_or_b32 exec_lo, exec_lo, s0
	v_and_b32_e32 v3, 0x3e0, v0
	s_mov_b32 s0, exec_lo
	s_wait_loadcnt 0x0
	s_barrier_signal -1
	s_barrier_wait -1
	global_inv scope:SCOPE_SE
	v_cmpx_eq_u32_e32 32, v3
	s_cbranch_execz .LBB87_48
; %bb.47:
	ds_store_2addr_b32 v2, v15, v14 offset1:32
	ds_store_2addr_b32 v2, v13, v12 offset0:64 offset1:96
.LBB87_48:
	s_wait_alu 0xfffe
	s_or_b32 exec_lo, exec_lo, s0
	v_cmp_gt_u32_e32 vcc_lo, 32, v0
	s_wait_loadcnt_dscnt 0x0
	s_barrier_signal -1
	s_barrier_wait -1
	global_inv scope:SCOPE_SE
	s_and_saveexec_b32 s0, vcc_lo
	s_cbranch_execz .LBB87_50
; %bb.49:
	ds_load_2addr_b32 v[2:3], v1 offset1:32
	ds_load_2addr_b32 v[4:5], v1 offset0:64 offset1:96
	s_wait_dscnt 0x1
	v_dual_add_f32 v15, v15, v2 :: v_dual_add_f32 v14, v14, v3
	s_wait_dscnt 0x0
	v_dual_add_f32 v13, v13, v4 :: v_dual_add_f32 v12, v12, v5
.LBB87_50:
	s_wait_alu 0xfffe
	s_or_b32 exec_lo, exec_lo, s0
	s_wait_loadcnt 0x0
	s_barrier_signal -1
	s_barrier_wait -1
	global_inv scope:SCOPE_SE
	s_and_saveexec_b32 s0, vcc_lo
	s_cbranch_execz .LBB87_52
; %bb.51:
	s_lshl_b32 s0, s4, 7
	s_mul_i32 s2, s12, s16
	s_wait_alu 0xfffe
	s_ashr_i32 s1, s0, 31
	s_ashr_i32 s3, s2, 31
	s_wait_alu 0xfffe
	s_lshl_b64 s[0:1], s[0:1], 1
	s_lshl_b64 s[2:3], s[2:3], 1
	s_wait_alu 0xfffe
	s_add_nc_u64 s[0:1], s[6:7], s[0:1]
	v_lshlrev_b32_e32 v0, 1, v0
	s_lshl_b32 s4, s24, 8
	s_wait_alu 0xfffe
	s_add_nc_u64 s[0:1], s[0:1], s[2:3]
	s_mov_b32 s5, 0
	;;#ASMSTART
	v_cvt_f16_f32 v1, v15;

	;;#ASMEND
	s_wait_alu 0xfffe
	s_add_nc_u64 s[0:1], s[0:1], s[4:5]
	global_store_b16 v0, v1, s[0:1]
	;;#ASMSTART
	v_cvt_f16_f32 v1, v14;

	;;#ASMEND
	global_store_b16 v0, v1, s[0:1] offset:64
	;;#ASMSTART
	v_cvt_f16_f32 v1, v13;

	;;#ASMEND
	global_store_b16 v0, v1, s[0:1] offset:128
	;; [unrolled: 5-line block ×3, first 2 shown]
.LBB87_52:
	s_endpgm
	.section	.rodata,"a",@progbits
	.p2align	6, 0x0
	.amdhsa_kernel _ZN4vllm25paged_attention_v2_kernelIttLi128ELi8ELi128ELNS_18Fp8KVCacheDataTypeE0ELb0ELi512EEEvPfS2_PT_PKS3_PKT0_S9_ifPKiSB_iPKfiiiSD_SD_iiiii
		.amdhsa_group_segment_fixed_size 288
		.amdhsa_private_segment_fixed_size 0
		.amdhsa_kernarg_size 400
		.amdhsa_user_sgpr_count 2
		.amdhsa_user_sgpr_dispatch_ptr 0
		.amdhsa_user_sgpr_queue_ptr 0
		.amdhsa_user_sgpr_kernarg_segment_ptr 1
		.amdhsa_user_sgpr_dispatch_id 0
		.amdhsa_user_sgpr_private_segment_size 0
		.amdhsa_wavefront_size32 1
		.amdhsa_uses_dynamic_stack 0
		.amdhsa_enable_private_segment 0
		.amdhsa_system_sgpr_workgroup_id_x 1
		.amdhsa_system_sgpr_workgroup_id_y 1
		.amdhsa_system_sgpr_workgroup_id_z 1
		.amdhsa_system_sgpr_workgroup_info 0
		.amdhsa_system_vgpr_workitem_id 0
		.amdhsa_next_free_vgpr 75
		.amdhsa_next_free_sgpr 38
		.amdhsa_reserve_vcc 1
		.amdhsa_float_round_mode_32 0
		.amdhsa_float_round_mode_16_64 0
		.amdhsa_float_denorm_mode_32 3
		.amdhsa_float_denorm_mode_16_64 3
		.amdhsa_fp16_overflow 0
		.amdhsa_workgroup_processor_mode 1
		.amdhsa_memory_ordered 1
		.amdhsa_forward_progress 1
		.amdhsa_inst_pref_size 44
		.amdhsa_round_robin_scheduling 0
		.amdhsa_exception_fp_ieee_invalid_op 0
		.amdhsa_exception_fp_denorm_src 0
		.amdhsa_exception_fp_ieee_div_zero 0
		.amdhsa_exception_fp_ieee_overflow 0
		.amdhsa_exception_fp_ieee_underflow 0
		.amdhsa_exception_fp_ieee_inexact 0
		.amdhsa_exception_int_div_zero 0
	.end_amdhsa_kernel
	.section	.text._ZN4vllm25paged_attention_v2_kernelIttLi128ELi8ELi128ELNS_18Fp8KVCacheDataTypeE0ELb0ELi512EEEvPfS2_PT_PKS3_PKT0_S9_ifPKiSB_iPKfiiiSD_SD_iiiii,"axG",@progbits,_ZN4vllm25paged_attention_v2_kernelIttLi128ELi8ELi128ELNS_18Fp8KVCacheDataTypeE0ELb0ELi512EEEvPfS2_PT_PKS3_PKT0_S9_ifPKiSB_iPKfiiiSD_SD_iiiii,comdat
.Lfunc_end87:
	.size	_ZN4vllm25paged_attention_v2_kernelIttLi128ELi8ELi128ELNS_18Fp8KVCacheDataTypeE0ELb0ELi512EEEvPfS2_PT_PKS3_PKT0_S9_ifPKiSB_iPKfiiiSD_SD_iiiii, .Lfunc_end87-_ZN4vllm25paged_attention_v2_kernelIttLi128ELi8ELi128ELNS_18Fp8KVCacheDataTypeE0ELb0ELi512EEEvPfS2_PT_PKS3_PKT0_S9_ifPKiSB_iPKfiiiSD_SD_iiiii
                                        ; -- End function
	.set _ZN4vllm25paged_attention_v2_kernelIttLi128ELi8ELi128ELNS_18Fp8KVCacheDataTypeE0ELb0ELi512EEEvPfS2_PT_PKS3_PKT0_S9_ifPKiSB_iPKfiiiSD_SD_iiiii.num_vgpr, 75
	.set _ZN4vllm25paged_attention_v2_kernelIttLi128ELi8ELi128ELNS_18Fp8KVCacheDataTypeE0ELb0ELi512EEEvPfS2_PT_PKS3_PKT0_S9_ifPKiSB_iPKfiiiSD_SD_iiiii.num_agpr, 0
	.set _ZN4vllm25paged_attention_v2_kernelIttLi128ELi8ELi128ELNS_18Fp8KVCacheDataTypeE0ELb0ELi512EEEvPfS2_PT_PKS3_PKT0_S9_ifPKiSB_iPKfiiiSD_SD_iiiii.numbered_sgpr, 38
	.set _ZN4vllm25paged_attention_v2_kernelIttLi128ELi8ELi128ELNS_18Fp8KVCacheDataTypeE0ELb0ELi512EEEvPfS2_PT_PKS3_PKT0_S9_ifPKiSB_iPKfiiiSD_SD_iiiii.num_named_barrier, 0
	.set _ZN4vllm25paged_attention_v2_kernelIttLi128ELi8ELi128ELNS_18Fp8KVCacheDataTypeE0ELb0ELi512EEEvPfS2_PT_PKS3_PKT0_S9_ifPKiSB_iPKfiiiSD_SD_iiiii.private_seg_size, 0
	.set _ZN4vllm25paged_attention_v2_kernelIttLi128ELi8ELi128ELNS_18Fp8KVCacheDataTypeE0ELb0ELi512EEEvPfS2_PT_PKS3_PKT0_S9_ifPKiSB_iPKfiiiSD_SD_iiiii.uses_vcc, 1
	.set _ZN4vllm25paged_attention_v2_kernelIttLi128ELi8ELi128ELNS_18Fp8KVCacheDataTypeE0ELb0ELi512EEEvPfS2_PT_PKS3_PKT0_S9_ifPKiSB_iPKfiiiSD_SD_iiiii.uses_flat_scratch, 0
	.set _ZN4vllm25paged_attention_v2_kernelIttLi128ELi8ELi128ELNS_18Fp8KVCacheDataTypeE0ELb0ELi512EEEvPfS2_PT_PKS3_PKT0_S9_ifPKiSB_iPKfiiiSD_SD_iiiii.has_dyn_sized_stack, 0
	.set _ZN4vllm25paged_attention_v2_kernelIttLi128ELi8ELi128ELNS_18Fp8KVCacheDataTypeE0ELb0ELi512EEEvPfS2_PT_PKS3_PKT0_S9_ifPKiSB_iPKfiiiSD_SD_iiiii.has_recursion, 0
	.set _ZN4vllm25paged_attention_v2_kernelIttLi128ELi8ELi128ELNS_18Fp8KVCacheDataTypeE0ELb0ELi512EEEvPfS2_PT_PKS3_PKT0_S9_ifPKiSB_iPKfiiiSD_SD_iiiii.has_indirect_call, 0
	.section	.AMDGPU.csdata,"",@progbits
; Kernel info:
; codeLenInByte = 5532
; TotalNumSgprs: 40
; NumVgprs: 75
; ScratchSize: 0
; MemoryBound: 0
; FloatMode: 240
; IeeeMode: 1
; LDSByteSize: 288 bytes/workgroup (compile time only)
; SGPRBlocks: 0
; VGPRBlocks: 9
; NumSGPRsForWavesPerEU: 40
; NumVGPRsForWavesPerEU: 75
; Occupancy: 16
; WaveLimiterHint : 1
; COMPUTE_PGM_RSRC2:SCRATCH_EN: 0
; COMPUTE_PGM_RSRC2:USER_SGPR: 2
; COMPUTE_PGM_RSRC2:TRAP_HANDLER: 0
; COMPUTE_PGM_RSRC2:TGID_X_EN: 1
; COMPUTE_PGM_RSRC2:TGID_Y_EN: 1
; COMPUTE_PGM_RSRC2:TGID_Z_EN: 1
; COMPUTE_PGM_RSRC2:TIDIG_COMP_CNT: 0
	.section	.text._ZN4vllm25paged_attention_v2_kernelIttLi192ELi8ELi128ELNS_18Fp8KVCacheDataTypeE0ELb0ELi512EEEvPfS2_PT_PKS3_PKT0_S9_ifPKiSB_iPKfiiiSD_SD_iiiii,"axG",@progbits,_ZN4vllm25paged_attention_v2_kernelIttLi192ELi8ELi128ELNS_18Fp8KVCacheDataTypeE0ELb0ELi512EEEvPfS2_PT_PKS3_PKT0_S9_ifPKiSB_iPKfiiiSD_SD_iiiii,comdat
	.protected	_ZN4vllm25paged_attention_v2_kernelIttLi192ELi8ELi128ELNS_18Fp8KVCacheDataTypeE0ELb0ELi512EEEvPfS2_PT_PKS3_PKT0_S9_ifPKiSB_iPKfiiiSD_SD_iiiii ; -- Begin function _ZN4vllm25paged_attention_v2_kernelIttLi192ELi8ELi128ELNS_18Fp8KVCacheDataTypeE0ELb0ELi512EEEvPfS2_PT_PKS3_PKT0_S9_ifPKiSB_iPKfiiiSD_SD_iiiii
	.globl	_ZN4vllm25paged_attention_v2_kernelIttLi192ELi8ELi128ELNS_18Fp8KVCacheDataTypeE0ELb0ELi512EEEvPfS2_PT_PKS3_PKT0_S9_ifPKiSB_iPKfiiiSD_SD_iiiii
	.p2align	8
	.type	_ZN4vllm25paged_attention_v2_kernelIttLi192ELi8ELi128ELNS_18Fp8KVCacheDataTypeE0ELb0ELi512EEEvPfS2_PT_PKS3_PKT0_S9_ifPKiSB_iPKfiiiSD_SD_iiiii,@function
_ZN4vllm25paged_attention_v2_kernelIttLi192ELi8ELi128ELNS_18Fp8KVCacheDataTypeE0ELb0ELi512EEEvPfS2_PT_PKS3_PKT0_S9_ifPKiSB_iPKfiiiSD_SD_iiiii: ; @_ZN4vllm25paged_attention_v2_kernelIttLi192ELi8ELi128ELNS_18Fp8KVCacheDataTypeE0ELb0ELi512EEEvPfS2_PT_PKS3_PKT0_S9_ifPKiSB_iPKfiiiSD_SD_iiiii
; %bb.0:
	s_load_b64 s[2:3], s[0:1], 0x40
	s_and_b32 s20, ttmp7, 0xffff
	s_lshr_b32 s24, ttmp7, 16
	s_lshl_b32 s4, s20, 2
	s_lshl_b32 s26, s24, 9
	s_wait_kmcnt 0x0
	s_load_b32 s25, s[2:3], s4 offset:0x0
	s_wait_kmcnt 0x0
	s_cmp_ge_i32 s26, s25
	s_cbranch_scc1 .LBB88_56
; %bb.1:
	s_clause 0x1
	s_load_b32 s21, s[0:1], 0x90
	s_load_b64 s[6:7], s[0:1], 0x30
	s_wait_kmcnt 0x0
	s_abs_i32 s5, s21
	s_abs_i32 s2, s6
	s_delay_alu instid0(SALU_CYCLE_1) | instskip(SKIP_1) | instid1(SALU_CYCLE_2)
	s_cvt_f32_u32 s3, s2
	s_sub_co_i32 s4, 0, s2
	v_rcp_iflag_f32_e32 v1, s3
	s_delay_alu instid0(TRANS32_DEP_1) | instskip(SKIP_2) | instid1(SALU_CYCLE_2)
	v_readfirstlane_b32 s3, v1
	s_mul_f32 s3, s3, 0x4f7ffffe
	s_wait_alu 0xfffe
	s_cvt_u32_f32 s3, s3
	s_wait_alu 0xfffe
	s_delay_alu instid0(SALU_CYCLE_2) | instskip(NEXT) | instid1(SALU_CYCLE_1)
	s_mul_i32 s4, s4, s3
	s_mul_hi_u32 s4, s3, s4
	s_delay_alu instid0(SALU_CYCLE_1)
	s_add_co_i32 s3, s3, s4
	s_xor_b32 s4, s21, s6
	s_wait_alu 0xfffe
	s_mul_hi_u32 s3, s5, s3
	s_ashr_i32 s4, s4, 31
	s_wait_alu 0xfffe
	s_mul_i32 s6, s3, s2
	s_delay_alu instid0(SALU_CYCLE_1)
	s_sub_co_i32 s5, s5, s6
	s_add_co_i32 s6, s3, 1
	s_sub_co_i32 s8, s5, s2
	s_cmp_ge_u32 s5, s2
	s_cselect_b32 s3, s6, s3
	s_cselect_b32 s5, s8, s5
	s_wait_alu 0xfffe
	s_add_co_i32 s6, s3, 1
	s_cmp_ge_u32 s5, s2
	s_load_b64 s[8:9], s[0:1], 0x50
	s_cselect_b32 s2, s6, s3
	s_mov_b32 s3, 0
	s_wait_alu 0xfffe
	s_xor_b32 s2, s2, s4
	s_mov_b32 s6, s3
	s_wait_alu 0xfffe
	s_sub_co_i32 s12, s2, s4
	s_delay_alu instid0(SALU_CYCLE_1) | instskip(NEXT) | instid1(SALU_CYCLE_1)
	s_abs_i32 s11, s12
	s_cvt_f32_u32 s2, s11
	s_wait_alu 0xfffe
	s_delay_alu instid0(SALU_CYCLE_2) | instskip(NEXT) | instid1(TRANS32_DEP_1)
	v_rcp_iflag_f32_e32 v1, s2
	v_readfirstlane_b32 s2, v1
	s_mul_f32 s2, s2, 0x4f7ffffe
	s_wait_alu 0xfffe
	s_delay_alu instid0(SALU_CYCLE_2) | instskip(SKIP_2) | instid1(SALU_CYCLE_1)
	s_cvt_u32_f32 s4, s2
	s_sub_co_i32 s2, 0, s11
	s_wait_alu 0xfffe
	s_mul_i32 s2, s2, s4
	s_wait_alu 0xfffe
	s_mul_hi_u32 s5, s4, s2
	s_abs_i32 s2, ttmp9
	s_add_co_i32 s4, s4, s5
	s_mov_b32 s5, s3
	s_wait_kmcnt 0x0
	s_cmp_eq_u64 s[8:9], 0
	s_cbranch_scc1 .LBB88_3
; %bb.2:
	s_mov_b32 s14, ttmp9
	s_ashr_i32 s15, ttmp9, 31
	s_delay_alu instid0(SALU_CYCLE_1) | instskip(NEXT) | instid1(SALU_CYCLE_1)
	s_lshl_b64 s[14:15], s[14:15], 2
	s_add_nc_u64 s[8:9], s[8:9], s[14:15]
	s_load_b32 s6, s[8:9], 0x0
.LBB88_3:
	s_load_b96 s[8:10], s[0:1], 0x58
	v_and_b32_e32 v1, 3, v0
	v_lshlrev_b32_e32 v2, 2, v0
	s_mul_u64 s[4:5], s[2:3], s[4:5]
	s_ashr_i32 s3, ttmp9, 31
	s_ashr_i32 s4, s12, 31
	s_mul_i32 s12, ttmp9, 0xc0
	s_mov_b32 s14, exec_lo
	v_cmpx_gt_u32_e32 0x60, v0
	s_cbranch_execz .LBB88_5
; %bb.4:
	s_load_b64 s[16:17], s[0:1], 0x18
	s_wait_kmcnt 0x0
	s_mul_i32 s18, s8, s20
	s_ashr_i32 s13, s12, 31
	s_ashr_i32 s19, s18, 31
	v_and_b32_e32 v4, 0x3fc, v0
	s_lshl_b64 s[18:19], s[18:19], 1
	s_delay_alu instid0(VALU_DEP_1) | instskip(SKIP_2) | instid1(SALU_CYCLE_1)
	v_mad_u32_u24 v4, 0x60, v1, v4
	s_add_nc_u64 s[16:17], s[16:17], s[18:19]
	s_lshl_b64 s[18:19], s[12:13], 1
	s_add_nc_u64 s[16:17], s[16:17], s[18:19]
	global_load_b32 v3, v2, s[16:17]
	s_wait_loadcnt 0x0
	ds_store_b32 v4, v3
.LBB88_5:
	s_or_b32 exec_lo, exec_lo, s14
	s_wait_kmcnt 0x0
	s_add_co_i32 s8, s25, 7
	s_wait_alu 0xfffe
	s_xor_b32 s3, s3, s4
	s_ashr_i32 s13, s8, 31
	s_lshl_b32 s28, s24, 6
	s_lshr_b32 s4, s13, 29
	s_mul_i32 s13, s5, s11
	s_add_co_i32 s8, s8, s4
	s_add_co_i32 s4, s28, 64
	s_ashr_i32 s27, s8, 3
	s_load_b32 s8, s[0:1], 0x48
	s_sub_co_i32 s2, s2, s13
	s_min_i32 s13, s4, s27
	s_add_co_i32 s4, s5, 1
	s_wait_alu 0xfffe
	s_sub_co_i32 s14, s2, s11
	s_cmp_ge_u32 s2, s11
	v_lshrrev_b32_e32 v9, 5, v0
	s_cselect_b32 s4, s4, s5
	s_cselect_b32 s2, s14, s2
	s_add_co_i32 s5, s4, 1
	s_wait_alu 0xfffe
	s_cmp_ge_u32 s2, s11
	v_or_b32_e32 v10, s28, v9
	s_cselect_b32 s2, s5, s4
	v_mbcnt_lo_u32_b32 v5, -1, 0
	s_wait_alu 0xfffe
	s_xor_b32 s2, s2, s3
	s_mov_b32 s4, exec_lo
	s_wait_alu 0xfffe
	s_sub_co_i32 s3, s2, s3
	v_cmp_gt_i32_e64 s2, s13, v10
	s_wait_dscnt 0x0
	s_barrier_signal -1
	s_wait_kmcnt 0x0
	s_mul_i32 s14, s8, s20
	s_barrier_wait -1
	s_ashr_i32 s15, s14, 31
	global_inv scope:SCOPE_SE
                                        ; implicit-def: $vgpr6
                                        ; implicit-def: $vgpr7
	v_cmpx_le_i32_e64 s13, v10
	s_xor_b32 s4, exec_lo, s4
; %bb.6:
	v_dual_mov_b32 v6, 0 :: v_dual_mov_b32 v7, 32
	v_mbcnt_lo_u32_b32 v5, -1, 0
                                        ; implicit-def: $vgpr2
                                        ; implicit-def: $vgpr1
; %bb.7:
	s_or_saveexec_b32 s11, s4
	s_clause 0x1
	s_load_b64 s[16:17], s[0:1], 0x38
	s_load_b32 s8, s[0:1], 0x98
	v_dual_mov_b32 v8, 0xff7fffff :: v_dual_lshlrev_b32 v3, 2, v10
	v_lshlrev_b32_e32 v4, 3, v9
	s_mul_i32 s18, s3, s10
	s_xor_b32 exec_lo, exec_lo, s11
	s_cbranch_execz .LBB88_13
; %bb.8:
	s_load_b64 s[4:5], s[0:1], 0x20
	v_bfe_u32 v7, v0, 2, 3
	s_ashr_i32 s19, s18, 31
	v_mov_b32_e32 v6, 0
	v_mul_u32_u24_e32 v11, 0x60, v1
	v_cmp_eq_u32_e32 vcc_lo, 0, v1
	v_lshlrev_b32_e32 v1, 4, v7
	v_lshlrev_b32_e32 v8, 2, v7
	s_lshl_b64 s[22:23], s[18:19], 1
	s_cmp_neq_f32 s6, 0
	v_and_b32_e32 v2, 12, v2
	v_add3_u32 v12, s26, v4, v7
	v_lshl_or_b32 v7, v9, 5, v8
	s_cselect_b32 s3, -1, 0
	s_lshl_b64 s[30:31], s[14:15], 2
	v_xor_b32_e32 v16, 2, v5
	s_wait_kmcnt 0x0
	s_add_nc_u64 s[30:31], s[16:17], s[30:31]
	v_dual_mov_b32 v18, v10 :: v_dual_add_nc_u32 v13, 0x1a0, v7
	v_mov_b32_e32 v7, 32
	s_add_nc_u64 s[4:5], s[4:5], s[22:23]
	v_xor_b32_e32 v17, 1, v5
	v_add_co_u32 v1, s4, s4, v1
	s_wait_alu 0xf1ff
	v_add_co_ci_u32_e64 v8, null, s5, 0, s4
	s_mov_b32 s19, s9
	v_add_co_u32 v14, s4, v1, v2
	s_wait_alu 0xf1ff
	v_add_co_ci_u32_e64 v15, null, 0, v8, s4
	v_add_co_u32 v1, s4, s30, v3
	s_wait_alu 0xf1ff
	v_add_co_ci_u32_e64 v2, null, s31, 0, s4
	v_mov_b32_e32 v8, 0xff7fffff
	s_mov_b32 s10, 0
	s_sub_co_i32 s22, 1, s25
	s_branch .LBB88_10
.LBB88_9:                               ;   in Loop: Header=BB88_10 Depth=1
	s_wait_alu 0xfffe
	s_or_b32 exec_lo, exec_lo, s5
	v_add_nc_u32_e32 v18, 4, v18
	v_add_co_u32 v1, s5, v1, 16
	v_add_nc_u32_e32 v12, 32, v12
	v_add_nc_u32_e32 v13, 0x80, v13
	s_delay_alu instid0(VALU_DEP_4) | instskip(SKIP_3) | instid1(SALU_CYCLE_1)
	v_cmp_le_i32_e64 s4, s13, v18
	s_wait_alu 0xf1ff
	v_add_co_ci_u32_e64 v2, null, 0, v2, s5
	s_or_b32 s10, s4, s10
	s_and_not1_b32 exec_lo, exec_lo, s10
	s_cbranch_execz .LBB88_12
.LBB88_10:                              ; =>This Inner Loop Header: Depth=1
	global_load_b32 v19, v[1:2], off
	s_wait_loadcnt_dscnt 0x0
	v_mad_co_i64_i32 v[19:20], null, v19, s19, 0
	s_delay_alu instid0(VALU_DEP_1) | instskip(NEXT) | instid1(VALU_DEP_1)
	v_lshlrev_b64_e32 v[19:20], 1, v[19:20]
	v_add_co_u32 v24, s4, v14, v19
	s_wait_alu 0xf1ff
	s_delay_alu instid0(VALU_DEP_2)
	v_add_co_ci_u32_e64 v25, null, v15, v20, s4
	v_cmp_gt_i32_e64 s4, 32, v16
	s_clause 0xa
	global_load_b32 v19, v[24:25], off
	global_load_b32 v28, v[24:25], off offset:128
	global_load_b32 v29, v[24:25], off offset:256
	;; [unrolled: 1-line block ×10, first 2 shown]
	ds_load_b32 v20, v11
	s_clause 0x4
	global_load_b32 v38, v[24:25], off offset:1408
	global_load_b32 v39, v[24:25], off offset:1536
	;; [unrolled: 1-line block ×5, first 2 shown]
	s_wait_dscnt 0x0
	v_lshrrev_b32_e32 v26, 16, v20
	v_and_b32_e32 v27, 0xffff, v20
	s_wait_loadcnt 0xf
	v_lshrrev_b32_e32 v46, 16, v19
	v_and_b32_e32 v47, 0xffff, v19
	s_clause 0x7
	global_load_b32 v43, v[24:25], off offset:2048
	global_load_b32 v44, v[24:25], off offset:2176
	;; [unrolled: 1-line block ×8, first 2 shown]
	;;#ASMSTART
	v_cvt_f32_f16 v24, v27;
	;;#ASMEND
	;;#ASMSTART
	v_cvt_f32_f16 v25, v26;
	;;#ASMEND
	;; [unrolled: 3-line block ×4, first 2 shown]
	ds_load_b32 v46, v11 offset:4
	s_wait_loadcnt 0x16
	v_and_b32_e32 v48, 0xffff, v28
	v_lshrrev_b32_e32 v49, 16, v28
	s_wait_loadcnt 0x15
	v_lshrrev_b32_e32 v52, 16, v29
	s_wait_loadcnt 0x14
	v_and_b32_e32 v54, 0xffff, v30
	v_lshrrev_b32_e32 v55, 16, v30
	s_wait_loadcnt 0x13
	v_lshrrev_b32_e32 v58, 16, v31
	;; [unrolled: 5-line block ×6, first 2 shown]
	s_wait_loadcnt 0xa
	v_and_b32_e32 v84, 0xffff, v40
	s_wait_dscnt 0x0
	v_and_b32_e32 v47, 0xffff, v46
	v_lshrrev_b32_e32 v46, 16, v46
	;;#ASMSTART
	v_cvt_f32_f16 v28, v47;
	;;#ASMEND
	;;#ASMSTART
	v_cvt_f32_f16 v46, v46;
	;;#ASMEND
	;; [unrolled: 3-line block ×4, first 2 shown]
	ds_load_b32 v49, v11 offset:8
	v_dual_mul_f32 v28, v28, v47 :: v_dual_and_b32 v51, 0xffff, v29
	v_mul_f32_e32 v46, v46, v48
	v_lshrrev_b32_e32 v85, 16, v40
	s_wait_loadcnt 0x9
	v_lshrrev_b32_e32 v88, 16, v41
	v_fmac_f32_e32 v28, v24, v26
	s_wait_loadcnt 0x8
	v_and_b32_e32 v90, 0xffff, v42
	v_fmac_f32_e32 v46, v25, v27
	v_lshrrev_b32_e32 v91, 16, v42
	s_wait_dscnt 0x0
	v_and_b32_e32 v50, 0xffff, v49
	v_lshrrev_b32_e32 v49, 16, v49
	;;#ASMSTART
	v_cvt_f32_f16 v29, v50;
	;;#ASMEND
	;;#ASMSTART
	v_cvt_f32_f16 v49, v49;
	;;#ASMEND
	;; [unrolled: 3-line block ×4, first 2 shown]
	ds_load_b32 v52, v11 offset:12
	v_fmac_f32_e32 v28, v29, v50
	s_wait_dscnt 0x0
	v_dual_fmac_f32 v46, v49, v51 :: v_dual_and_b32 v53, 0xffff, v52
	v_lshrrev_b32_e32 v52, 16, v52
	;;#ASMSTART
	v_cvt_f32_f16 v30, v53;
	;;#ASMEND
	;;#ASMSTART
	v_cvt_f32_f16 v52, v52;
	;;#ASMEND
	;; [unrolled: 3-line block ×4, first 2 shown]
	ds_load_b32 v55, v11 offset:16
	v_dual_fmac_f32 v28, v30, v53 :: v_dual_and_b32 v57, 0xffff, v31
	v_dual_fmac_f32 v46, v52, v54 :: v_dual_and_b32 v63, 0xffff, v33
	s_wait_dscnt 0x0
	v_and_b32_e32 v56, 0xffff, v55
	v_lshrrev_b32_e32 v55, 16, v55
	;;#ASMSTART
	v_cvt_f32_f16 v31, v56;
	;;#ASMEND
	;;#ASMSTART
	v_cvt_f32_f16 v55, v55;
	;;#ASMEND
	;; [unrolled: 3-line block ×4, first 2 shown]
	ds_load_b32 v58, v11 offset:20
	v_dual_fmac_f32 v28, v31, v56 :: v_dual_and_b32 v69, 0xffff, v35
	s_wait_dscnt 0x0
	v_dual_fmac_f32 v46, v55, v57 :: v_dual_and_b32 v59, 0xffff, v58
	v_lshrrev_b32_e32 v58, 16, v58
	;;#ASMSTART
	v_cvt_f32_f16 v32, v59;
	;;#ASMEND
	;;#ASMSTART
	v_cvt_f32_f16 v58, v58;
	;;#ASMEND
	;; [unrolled: 3-line block ×4, first 2 shown]
	ds_load_b32 v61, v11 offset:24
	v_dual_fmac_f32 v46, v58, v60 :: v_dual_and_b32 v75, 0xffff, v37
	v_fmac_f32_e32 v28, v32, v59
	s_wait_dscnt 0x0
	v_and_b32_e32 v62, 0xffff, v61
	v_lshrrev_b32_e32 v61, 16, v61
	;;#ASMSTART
	v_cvt_f32_f16 v33, v62;
	;;#ASMEND
	;;#ASMSTART
	v_cvt_f32_f16 v61, v61;
	;;#ASMEND
	;; [unrolled: 3-line block ×4, first 2 shown]
	ds_load_b32 v64, v11 offset:28
	v_fmac_f32_e32 v28, v33, v62
	s_wait_dscnt 0x0
	v_dual_fmac_f32 v46, v61, v63 :: v_dual_and_b32 v65, 0xffff, v64
	v_lshrrev_b32_e32 v64, 16, v64
	;;#ASMSTART
	v_cvt_f32_f16 v34, v65;
	;;#ASMEND
	;;#ASMSTART
	v_cvt_f32_f16 v64, v64;
	;;#ASMEND
	;; [unrolled: 3-line block ×4, first 2 shown]
	ds_load_b32 v67, v11 offset:32
	v_dual_fmac_f32 v28, v34, v65 :: v_dual_and_b32 v81, 0xffff, v39
	v_dual_fmac_f32 v46, v64, v66 :: v_dual_and_b32 v87, 0xffff, v41
	s_wait_dscnt 0x0
	v_and_b32_e32 v68, 0xffff, v67
	v_lshrrev_b32_e32 v67, 16, v67
	;;#ASMSTART
	v_cvt_f32_f16 v35, v68;
	;;#ASMEND
	;;#ASMSTART
	v_cvt_f32_f16 v67, v67;
	;;#ASMEND
	;; [unrolled: 3-line block ×4, first 2 shown]
	ds_load_b32 v70, v11 offset:36
	v_fmac_f32_e32 v28, v35, v68
	s_wait_dscnt 0x0
	v_dual_fmac_f32 v46, v67, v69 :: v_dual_and_b32 v71, 0xffff, v70
	v_lshrrev_b32_e32 v70, 16, v70
	;;#ASMSTART
	v_cvt_f32_f16 v36, v71;
	;;#ASMEND
	;;#ASMSTART
	v_cvt_f32_f16 v70, v70;
	;;#ASMEND
	;;#ASMSTART
	v_cvt_f32_f16 v71, v72;
	;;#ASMEND
	;;#ASMSTART
	v_cvt_f32_f16 v72, v73;
	;;#ASMEND
	ds_load_b32 v73, v11 offset:40
	v_fmac_f32_e32 v46, v70, v72
	v_fmac_f32_e32 v28, v36, v71
	s_wait_dscnt 0x0
	v_and_b32_e32 v74, 0xffff, v73
	v_lshrrev_b32_e32 v73, 16, v73
	;;#ASMSTART
	v_cvt_f32_f16 v37, v74;
	;;#ASMEND
	;;#ASMSTART
	v_cvt_f32_f16 v73, v73;
	;;#ASMEND
	;; [unrolled: 3-line block ×4, first 2 shown]
	ds_load_b32 v76, v11 offset:44
	v_fmac_f32_e32 v46, v73, v75
	s_wait_dscnt 0x0
	v_dual_fmac_f32 v28, v37, v74 :: v_dual_and_b32 v77, 0xffff, v76
	v_lshrrev_b32_e32 v76, 16, v76
	;;#ASMSTART
	v_cvt_f32_f16 v38, v77;
	;;#ASMEND
	;;#ASMSTART
	v_cvt_f32_f16 v76, v76;
	;;#ASMEND
	;; [unrolled: 3-line block ×4, first 2 shown]
	ds_load_b32 v79, v11 offset:48
	v_fmac_f32_e32 v46, v76, v78
	s_wait_dscnt 0x0
	v_and_b32_e32 v80, 0xffff, v79
	v_lshrrev_b32_e32 v79, 16, v79
	;;#ASMSTART
	v_cvt_f32_f16 v39, v80;
	;;#ASMEND
	;;#ASMSTART
	v_cvt_f32_f16 v79, v79;
	;;#ASMEND
	;; [unrolled: 3-line block ×4, first 2 shown]
	ds_load_b32 v82, v11 offset:52
	s_wait_loadcnt 0x7
	v_and_b32_e32 v93, 0xffff, v43
	v_lshrrev_b32_e32 v94, 16, v43
	s_wait_loadcnt 0x6
	v_and_b32_e32 v96, 0xffff, v44
	v_lshrrev_b32_e32 v97, 16, v44
	;; [unrolled: 3-line block ×4, first 2 shown]
	s_wait_loadcnt 0x3
	v_lshrrev_b32_e32 v30, 16, v22
	v_and_b32_e32 v31, 0xffff, v22
	s_wait_loadcnt 0x2
	v_lshrrev_b32_e32 v33, 16, v21
	v_and_b32_e32 v34, 0xffff, v21
	s_wait_loadcnt 0x1
	v_lshrrev_b32_e32 v36, 16, v20
	v_dual_fmac_f32 v46, v79, v81 :: v_dual_and_b32 v37, 0xffff, v20
	s_wait_dscnt 0x0
	v_and_b32_e32 v83, 0xffff, v82
	v_lshrrev_b32_e32 v82, 16, v82
	;;#ASMSTART
	v_cvt_f32_f16 v40, v83;
	;;#ASMEND
	;;#ASMSTART
	v_cvt_f32_f16 v82, v82;
	;;#ASMEND
	;;#ASMSTART
	v_cvt_f32_f16 v83, v84;
	;;#ASMEND
	;;#ASMSTART
	v_cvt_f32_f16 v84, v85;
	;;#ASMEND
	ds_load_b32 v85, v11 offset:56
	s_wait_dscnt 0x0
	v_and_b32_e32 v86, 0xffff, v85
	v_lshrrev_b32_e32 v85, 16, v85
	;;#ASMSTART
	v_cvt_f32_f16 v41, v86;
	;;#ASMEND
	;;#ASMSTART
	v_cvt_f32_f16 v85, v85;
	;;#ASMEND
	;;#ASMSTART
	v_cvt_f32_f16 v86, v87;
	;;#ASMEND
	;;#ASMSTART
	v_cvt_f32_f16 v87, v88;
	;;#ASMEND
	ds_load_b32 v88, v11 offset:60
	;; [unrolled: 16-line block ×9, first 2 shown]
	s_wait_dscnt 0x0
	v_dual_fmac_f32 v28, v38, v77 :: v_dual_and_b32 v35, 0xffff, v34
	v_lshrrev_b32_e32 v34, 16, v34
	;;#ASMSTART
	v_cvt_f32_f16 v20, v35;
	;;#ASMEND
	;;#ASMSTART
	v_cvt_f32_f16 v34, v34;
	;;#ASMEND
	;; [unrolled: 3-line block ×4, first 2 shown]
	ds_load_b32 v37, v11 offset:92
	v_fmac_f32_e32 v28, v39, v80
	s_delay_alu instid0(VALU_DEP_1) | instskip(NEXT) | instid1(VALU_DEP_1)
	v_fmac_f32_e32 v28, v40, v83
	v_fmac_f32_e32 v28, v41, v86
	s_delay_alu instid0(VALU_DEP_1) | instskip(NEXT) | instid1(VALU_DEP_1)
	v_fmac_f32_e32 v28, v42, v89
	;; [unrolled: 3-line block ×3, first 2 shown]
	v_fmac_f32_e32 v28, v45, v98
	s_wait_loadcnt 0x0
	s_delay_alu instid0(VALU_DEP_1) | instskip(SKIP_2) | instid1(VALU_DEP_3)
	v_dual_fmac_f32 v28, v23, v25 :: v_dual_and_b32 v25, 0xffff, v19
	v_fmac_f32_e32 v46, v82, v84
	v_lshrrev_b32_e32 v23, 16, v19
	v_fmac_f32_e32 v28, v22, v29
	s_wait_alu 0xf1ff
	v_cndmask_b32_e64 v22, v5, v16, s4
	v_fmac_f32_e32 v46, v85, v87
	v_cmp_gt_i32_e64 s4, 32, v17
	s_wait_dscnt 0x0
	v_dual_fmac_f32 v28, v21, v32 :: v_dual_and_b32 v21, 0xffff, v37
	s_delay_alu instid0(VALU_DEP_3) | instskip(SKIP_1) | instid1(VALU_DEP_2)
	v_fmac_f32_e32 v46, v88, v90
	;;#ASMSTART
	v_cvt_f32_f16 v19, v21;
	;;#ASMEND
	v_fmac_f32_e32 v28, v20, v35
	s_delay_alu instid0(VALU_DEP_2) | instskip(NEXT) | instid1(VALU_DEP_1)
	v_fmac_f32_e32 v46, v91, v93
	v_fmac_f32_e32 v46, v94, v96
	s_delay_alu instid0(VALU_DEP_1) | instskip(NEXT) | instid1(VALU_DEP_1)
	v_fmac_f32_e32 v46, v97, v99
	v_fmac_f32_e32 v46, v24, v26
	v_lshrrev_b32_e32 v24, 16, v37
	;;#ASMSTART
	v_cvt_f32_f16 v20, v24;
	;;#ASMEND
	;;#ASMSTART
	v_cvt_f32_f16 v21, v25;
	;;#ASMEND
	;; [unrolled: 3-line block ×3, first 2 shown]
	v_fmac_f32_e32 v46, v27, v30
	v_dual_fmac_f32 v28, v19, v21 :: v_dual_lshlrev_b32 v19, 2, v22
	s_wait_alu 0xf1ff
	v_cndmask_b32_e64 v21, v5, v17, s4
	s_delay_alu instid0(VALU_DEP_3) | instskip(NEXT) | instid1(VALU_DEP_1)
	v_fmac_f32_e32 v46, v31, v33
	v_fmac_f32_e32 v46, v34, v36
	s_delay_alu instid0(VALU_DEP_1) | instskip(NEXT) | instid1(VALU_DEP_1)
	v_fmac_f32_e32 v46, v20, v23
	v_add_f32_e32 v20, v28, v46
	ds_bpermute_b32 v19, v19, v20
	s_wait_dscnt 0x0
	v_dual_add_f32 v19, v20, v19 :: v_dual_lshlrev_b32 v20, 2, v21
	ds_bpermute_b32 v20, v20, v19
	s_and_saveexec_b32 s5, vcc_lo
	s_cbranch_execz .LBB88_9
; %bb.11:                               ;   in Loop: Header=BB88_10 Depth=1
	s_wait_dscnt 0x0
	v_add_f32_e32 v19, v19, v20
	v_add_nc_u32_e32 v21, s22, v12
	v_cmp_gt_i32_e64 s4, s25, v12
	s_delay_alu instid0(VALU_DEP_2) | instskip(NEXT) | instid1(VALU_DEP_1)
	v_cvt_f32_i32_e32 v21, v21
	v_mul_f32_e32 v21, s6, v21
	s_wait_alu 0xfffe
	s_delay_alu instid0(VALU_DEP_1) | instskip(NEXT) | instid1(VALU_DEP_1)
	v_cndmask_b32_e64 v20, 0, v21, s3
	v_dual_max_num_f32 v21, v8, v8 :: v_dual_fmac_f32 v20, s7, v19
	s_delay_alu instid0(VALU_DEP_1) | instskip(SKIP_2) | instid1(VALU_DEP_2)
	v_max_num_f32_e32 v19, v21, v20
	s_wait_alu 0xf1ff
	v_cndmask_b32_e64 v20, 0, v20, s4
	v_cndmask_b32_e64 v8, v8, v19, s4
	ds_store_b32 v13, v20
	s_branch .LBB88_9
.LBB88_12:
	s_or_b32 exec_lo, exec_lo, s10
.LBB88_13:
	s_delay_alu instid0(SALU_CYCLE_1)
	s_or_b32 exec_lo, exec_lo, s11
	v_xor_b32_e32 v1, 16, v5
	v_xor_b32_e32 v11, 8, v5
	s_clause 0x2
	s_load_b128 s[4:7], s[0:1], 0x0
	s_load_b64 s[10:11], s[0:1], 0x10
	s_load_b64 s[22:23], s[0:1], 0x28
	v_max_num_f32_e32 v12, v8, v8
	v_cmp_lt_i32_e32 vcc_lo, v1, v7
	v_cndmask_b32_e32 v1, v5, v1, vcc_lo
	v_cmp_lt_i32_e32 vcc_lo, v11, v7
	s_delay_alu instid0(VALU_DEP_2) | instskip(SKIP_4) | instid1(VALU_DEP_1)
	v_lshlrev_b32_e32 v2, 2, v1
	ds_bpermute_b32 v1, v2, v8
	s_wait_dscnt 0x0
	v_max_num_f32_e32 v1, v1, v1
	s_wait_alu 0xfffd
	v_dual_cndmask_b32 v8, v5, v11 :: v_dual_max_num_f32 v1, v12, v1
	s_delay_alu instid0(VALU_DEP_1)
	v_lshlrev_b32_e32 v8, 2, v8
	v_xor_b32_e32 v12, 4, v5
	ds_bpermute_b32 v11, v8, v1
	v_cmp_lt_i32_e32 vcc_lo, v12, v7
	s_wait_alu 0xfffd
	v_cndmask_b32_e32 v12, v5, v12, vcc_lo
	s_delay_alu instid0(VALU_DEP_1) | instskip(SKIP_2) | instid1(VALU_DEP_1)
	v_lshlrev_b32_e32 v14, 2, v12
	s_wait_dscnt 0x0
	v_dual_max_num_f32 v11, v11, v11 :: v_dual_lshlrev_b32 v12, 2, v9
	v_max_num_f32_e32 v1, v1, v11
	v_and_b32_e32 v11, 31, v0
	ds_bpermute_b32 v13, v14, v1
	v_cmp_eq_u32_e32 vcc_lo, 0, v11
	s_and_saveexec_b32 s0, vcc_lo
	s_cbranch_execz .LBB88_15
; %bb.14:
	s_wait_dscnt 0x0
	v_max_num_f32_e32 v13, v13, v13
	v_max_num_f32_e32 v1, v1, v1
	s_delay_alu instid0(VALU_DEP_1)
	v_max_num_f32_e32 v1, v1, v13
	ds_store_b32 v12, v1 offset:384
.LBB88_15:
	s_or_b32 exec_lo, exec_lo, s0
	v_cmp_gt_u32_e64 s0, 4, v11
	v_mov_b32_e32 v1, 0xff7fffff
	s_wait_dscnt 0x0
	v_lshlrev_b32_e32 v13, 2, v11
	s_wait_loadcnt 0x0
	s_barrier_signal -1
	s_barrier_wait -1
	global_inv scope:SCOPE_SE
	s_and_saveexec_b32 s1, s0
; %bb.16:
	ds_load_b32 v1, v13 offset:384
; %bb.17:
	s_or_b32 exec_lo, exec_lo, s1
	v_xor_b32_e32 v15, 2, v5
	v_xor_b32_e32 v17, 1, v5
	v_lshlrev_b32_e32 v6, 2, v6
	s_delay_alu instid0(VALU_DEP_3) | instskip(NEXT) | instid1(VALU_DEP_1)
	v_cmp_lt_i32_e64 s1, v15, v7
	v_cndmask_b32_e64 v15, v5, v15, s1
	s_delay_alu instid0(VALU_DEP_4) | instskip(NEXT) | instid1(VALU_DEP_2)
	v_cmp_lt_i32_e64 s1, v17, v7
	v_lshlrev_b32_e32 v15, 2, v15
	s_wait_alu 0xf1ff
	s_delay_alu instid0(VALU_DEP_2)
	v_cndmask_b32_e64 v7, v5, v17, s1
	s_sub_co_i32 s1, s13, s28
	s_wait_alu 0xfffe
	s_lshl_b32 s1, s1, 3
	s_wait_dscnt 0x0
	ds_bpermute_b32 v16, v15, v1
	v_max_num_f32_e32 v1, v1, v1
	v_lshlrev_b32_e32 v7, 2, v7
	s_wait_alu 0xfffe
	s_add_co_i32 s1, s1, s26
	s_wait_alu 0xfffe
	s_min_i32 s1, s1, s25
	s_wait_alu 0xfffe
	s_sub_co_i32 s19, s1, s26
	s_wait_alu 0xfffe
	v_cmp_gt_i32_e64 s1, s19, v0
	s_wait_dscnt 0x0
	v_max_num_f32_e32 v16, v16, v16
	s_delay_alu instid0(VALU_DEP_1) | instskip(SKIP_3) | instid1(VALU_DEP_1)
	v_max_num_f32_e32 v1, v1, v16
	ds_bpermute_b32 v16, v7, v1
	s_wait_dscnt 0x0
	v_max_num_f32_e32 v16, v16, v16
	v_dual_max_num_f32 v1, v1, v16 :: v_dual_mov_b32 v16, 0
	ds_bpermute_b32 v1, v6, v1
	v_lshl_add_u32 v6, v0, 2, 0x1a0
	s_and_saveexec_b32 s28, s1
	s_cbranch_execz .LBB88_21
; %bb.18:
	v_lshl_add_u32 v17, v0, 2, 0x1a0
	v_mov_b32_e32 v16, 0
	v_mov_b32_e32 v18, v0
	s_mov_b32 s29, 0
.LBB88_19:                              ; =>This Inner Loop Header: Depth=1
	ds_load_b32 v19, v17
	v_add_nc_u32_e32 v18, 0x80, v18
	s_delay_alu instid0(VALU_DEP_1) | instskip(SKIP_4) | instid1(VALU_DEP_1)
	v_cmp_le_i32_e64 s3, s19, v18
	s_wait_alu 0xfffe
	s_or_b32 s29, s3, s29
	s_wait_dscnt 0x0
	v_sub_f32_e32 v19, v19, v1
	v_mul_f32_e32 v19, 0x3fb8aa3b, v19
	s_delay_alu instid0(VALU_DEP_1)
	v_exp_f32_e32 v19, v19
	ds_store_b32 v17, v19
	v_dual_add_f32 v16, v16, v19 :: v_dual_add_nc_u32 v17, 0x200, v17
	s_wait_alu 0xfffe
	s_and_not1_b32 exec_lo, exec_lo, s29
	s_cbranch_execnz .LBB88_19
; %bb.20:
	s_or_b32 exec_lo, exec_lo, s29
.LBB88_21:
	s_wait_alu 0xfffe
	s_or_b32 exec_lo, exec_lo, s28
	ds_bpermute_b32 v2, v2, v16
	s_wait_dscnt 0x0
	v_add_f32_e32 v2, v16, v2
	ds_bpermute_b32 v8, v8, v2
	s_wait_dscnt 0x0
	v_add_f32_e32 v2, v2, v8
	ds_bpermute_b32 v8, v14, v2
	s_wait_dscnt 0x0
	v_add_f32_e32 v2, v2, v8
	ds_bpermute_b32 v8, v15, v2
	s_wait_dscnt 0x0
	v_add_f32_e32 v2, v2, v8
	ds_bpermute_b32 v8, v7, v2
	s_wait_dscnt 0x0
	v_add_f32_e32 v2, v2, v8
	s_and_saveexec_b32 s3, vcc_lo
; %bb.22:
	ds_store_b32 v12, v2 offset:400
; %bb.23:
	s_wait_alu 0xfffe
	s_or_b32 exec_lo, exec_lo, s3
	s_wait_loadcnt_dscnt 0x0
	s_barrier_signal -1
	s_barrier_wait -1
	global_inv scope:SCOPE_SE
	s_and_saveexec_b32 s3, s0
; %bb.24:
	ds_load_b32 v2, v13 offset:400
; %bb.25:
	s_wait_alu 0xfffe
	s_or_b32 exec_lo, exec_lo, s3
	s_wait_dscnt 0x0
	ds_bpermute_b32 v8, v15, v2
	v_lshlrev_b32_e32 v5, 2, v5
	s_wait_dscnt 0x0
	s_delay_alu instid0(VALU_DEP_1)
	v_dual_add_f32 v2, v2, v8 :: v_dual_and_b32 v5, 0xffffff80, v5
	ds_bpermute_b32 v7, v7, v2
	s_wait_dscnt 0x0
	v_add_f32_e32 v2, v2, v7
	ds_bpermute_b32 v2, v5, v2
	s_and_saveexec_b32 s0, s1
	s_cbranch_execz .LBB88_28
; %bb.26:
	s_wait_dscnt 0x0
	v_add_f32_e32 v5, 0x358637bd, v2
	s_mov_b32 s1, 0
	s_delay_alu instid0(VALU_DEP_1) | instskip(NEXT) | instid1(VALU_DEP_1)
	v_div_scale_f32 v7, null, v5, v5, 1.0
	v_rcp_f32_e32 v8, v7
	s_delay_alu instid0(TRANS32_DEP_1) | instskip(NEXT) | instid1(VALU_DEP_1)
	v_fma_f32 v12, -v7, v8, 1.0
	v_fmac_f32_e32 v8, v12, v8
	v_div_scale_f32 v13, vcc_lo, 1.0, v5, 1.0
	s_delay_alu instid0(VALU_DEP_1) | instskip(NEXT) | instid1(VALU_DEP_1)
	v_mul_f32_e32 v12, v13, v8
	v_fma_f32 v14, -v7, v12, v13
	s_delay_alu instid0(VALU_DEP_1) | instskip(NEXT) | instid1(VALU_DEP_1)
	v_fmac_f32_e32 v12, v14, v8
	v_fma_f32 v7, -v7, v12, v13
	s_wait_alu 0xfffd
	s_delay_alu instid0(VALU_DEP_1) | instskip(NEXT) | instid1(VALU_DEP_1)
	v_div_fmas_f32 v7, v7, v8, v12
	v_div_fixup_f32 v5, v7, v5, 1.0
	v_mov_b32_e32 v7, v0
.LBB88_27:                              ; =>This Inner Loop Header: Depth=1
	ds_load_b32 v8, v6
	s_wait_dscnt 0x0
	v_dual_mul_f32 v8, v5, v8 :: v_dual_add_nc_u32 v7, 0x80, v7
	s_delay_alu instid0(VALU_DEP_1)
	v_cmp_le_i32_e32 vcc_lo, s19, v7
	ds_store_b32 v6, v8
	v_add_nc_u32_e32 v6, 0x200, v6
	s_wait_alu 0xfffe
	s_or_b32 s1, vcc_lo, s1
	s_wait_alu 0xfffe
	s_and_not1_b32 exec_lo, exec_lo, s1
	s_cbranch_execnz .LBB88_27
.LBB88_28:
	s_wait_alu 0xfffe
	s_or_b32 exec_lo, exec_lo, s0
	s_wait_kmcnt 0x0
	s_mul_i32 s0, s8, s20
	s_wait_loadcnt_dscnt 0x0
	s_wait_alu 0xfffe
	s_mul_i32 s20, s0, s21
	s_mov_b32 s0, exec_lo
	s_barrier_signal -1
	s_barrier_wait -1
	global_inv scope:SCOPE_SE
	v_cmpx_eq_u32_e32 0, v0
	s_cbranch_execz .LBB88_30
; %bb.29:
	s_ashr_i32 s21, s20, 31
	s_wait_alu 0xfffe
	s_mul_i32 s28, s8, ttmp9
	s_lshl_b32 s1, s24, 2
	s_lshl_b64 s[30:31], s[20:21], 2
	s_wait_alu 0xfffe
	s_ashr_i32 s29, s28, 31
	v_mov_b32_e32 v5, s1
	s_add_nc_u64 s[6:7], s[6:7], s[30:31]
	s_wait_alu 0xfffe
	s_lshl_b64 s[28:29], s[28:29], 2
	s_add_nc_u64 s[4:5], s[4:5], s[30:31]
	s_wait_alu 0xfffe
	s_add_nc_u64 s[6:7], s[6:7], s[28:29]
	s_add_nc_u64 s[4:5], s[4:5], s[28:29]
	s_clause 0x1
	global_store_b32 v5, v1, s[6:7]
	global_store_b32 v5, v2, s[4:5]
.LBB88_30:
	s_wait_alu 0xfffe
	s_or_b32 exec_lo, exec_lo, s0
	v_dual_mov_b32 v17, 0 :: v_dual_mov_b32 v16, 0
	v_dual_mov_b32 v15, 0 :: v_dual_mov_b32 v14, 0
	;; [unrolled: 1-line block ×3, first 2 shown]
	s_and_saveexec_b32 s1, s2
	s_cbranch_execz .LBB88_46
; %bb.31:
	s_ashr_i32 s19, s18, 31
	v_dual_mov_b32 v12, 0 :: v_dual_lshlrev_b32 v1, 4, v11
	s_wait_alu 0xfffe
	s_lshl_b64 s[2:3], s[18:19], 1
	v_add3_u32 v20, s26, v4, 7
	s_wait_alu 0xfffe
	s_add_nc_u64 s[2:3], s[22:23], s[2:3]
	v_lshl_add_u32 v21, v9, 5, 0x1a0
	s_wait_alu 0xfffe
	v_add_co_u32 v18, s0, s2, v1
	s_wait_alu 0xf1ff
	v_add_co_ci_u32_e64 v19, null, s3, 0, s0
	s_lshl_b64 s[2:3], s[14:15], 2
	v_dual_mov_b32 v13, 0 :: v_dual_mov_b32 v14, 0
	s_wait_alu 0xfffe
	s_add_nc_u64 s[2:3], s[16:17], s[2:3]
	v_dual_mov_b32 v15, 0 :: v_dual_mov_b32 v16, 0
	s_wait_alu 0xfffe
	v_add_co_u32 v5, s0, s2, v3
	s_wait_alu 0xf1ff
	v_add_co_ci_u32_e64 v6, null, s3, 0, s0
	v_mov_b32_e32 v17, 0
	s_mov_b32 s2, s9
	s_add_co_i32 s27, s27, -1
	s_mov_b32 s3, 0
	s_branch .LBB88_33
.LBB88_32:                              ;   in Loop: Header=BB88_33 Depth=1
	s_wait_alu 0xfffe
	s_or_b32 exec_lo, exec_lo, s0
	v_dual_add_f32 v23, v41, v42 :: v_dual_lshlrev_b32 v22, 16, v43
	v_lshlrev_b32_e32 v8, 16, v8
	v_dual_add_f32 v24, v39, v40 :: v_dual_lshlrev_b32 v7, 16, v7
	s_delay_alu instid0(VALU_DEP_3) | instskip(NEXT) | instid1(VALU_DEP_4)
	v_and_or_b32 v1, 0xffff, v1, v22
	v_add_f32_e32 v13, v13, v23
	s_delay_alu instid0(VALU_DEP_4) | instskip(NEXT) | instid1(VALU_DEP_4)
	v_and_or_b32 v2, 0xffff, v2, v8
	v_and_or_b32 v3, 0xffff, v3, v7
	;;#ASMSTART
	v_pk_mul_f16 v1, v30, v1;

	;;#ASMEND
	;;#ASMSTART
	v_pk_mul_f16 v2, v29, v2;

	;;#ASMEND
	;; [unrolled: 4-line block ×4, first 2 shown]
	;;#ASMSTART
	v_pk_add_f16 v1, v1, v2;

	;;#ASMEND
	;;#ASMSTART
	v_pk_add_f16 v1, v1, v3;

	;;#ASMEND
	;; [unrolled: 4-line block ×3, first 2 shown]
	v_dual_add_f32 v3, v33, v34 :: v_dual_and_b32 v4, 0xffff, v1
	v_add_nc_u32_e32 v10, 4, v10
	v_lshrrev_b32_e32 v7, 16, v1
	;;#ASMSTART
	v_cvt_f32_f16 v4, v4;
	;;#ASMEND
	v_dual_add_f32 v14, v14, v24 :: v_dual_add_f32 v1, v37, v38
	v_dual_add_f32 v2, v35, v36 :: v_dual_add_f32 v17, v17, v3
	;;#ASMSTART
	v_cvt_f32_f16 v7, v7;
	;;#ASMEND
	s_delay_alu instid0(VALU_DEP_2) | instskip(SKIP_3) | instid1(VALU_DEP_4)
	v_dual_add_f32 v4, v4, v7 :: v_dual_add_f32 v15, v15, v1
	v_cmp_le_i32_e32 vcc_lo, s13, v10
	v_add_co_u32 v5, s0, v5, 16
	v_dual_add_f32 v16, v16, v2 :: v_dual_add_nc_u32 v21, 0x80, v21
	v_add_f32_e32 v12, v12, v4
	v_add_nc_u32_e32 v20, 32, v20
	s_wait_alu 0xf1ff
	v_add_co_ci_u32_e64 v6, null, 0, v6, s0
	s_or_b32 s3, vcc_lo, s3
	s_wait_alu 0xfffe
	s_and_not1_b32 exec_lo, exec_lo, s3
	s_cbranch_execz .LBB88_45
.LBB88_33:                              ; =>This Inner Loop Header: Depth=1
	global_load_b32 v7, v[5:6], off
	ds_load_2addr_b64 v[1:4], v21 offset1:1
	ds_load_2addr_b64 v[22:25], v21 offset0:2 offset1:3
	v_add_nc_u32_e32 v26, -7, v20
	v_add_nc_u32_e32 v28, -6, v20
	;; [unrolled: 1-line block ×3, first 2 shown]
	s_wait_dscnt 0x1
	;;#ASMSTART
	v_cvt_f16_f32 v30, v1;

	;;#ASMEND
	;;#ASMSTART
	v_cvt_f16_f32 v29, v2;

	;;#ASMEND
	;; [unrolled: 4-line block ×4, first 2 shown]
	s_wait_dscnt 0x0
	;;#ASMSTART
	v_cvt_f16_f32 v36, v22;

	;;#ASMEND
	;;#ASMSTART
	v_cvt_f16_f32 v31, v23;

	;;#ASMEND
	;; [unrolled: 4-line block ×4, first 2 shown]
	v_add_nc_u32_e32 v24, -4, v20
	v_add_nc_u32_e32 v23, -3, v20
	;; [unrolled: 1-line block ×4, first 2 shown]
	s_wait_loadcnt 0x0
	s_wait_alu 0xfffe
	v_mad_co_i64_i32 v[7:8], null, v7, s2, 0
	s_delay_alu instid0(VALU_DEP_1) | instskip(NEXT) | instid1(VALU_DEP_1)
	v_lshlrev_b64_e32 v[7:8], 1, v[7:8]
	v_add_co_u32 v7, vcc_lo, v18, v7
	s_wait_alu 0xfffd
	s_delay_alu instid0(VALU_DEP_2)
	v_add_co_ci_u32_e64 v8, null, v19, v8, vcc_lo
	v_cmp_eq_u32_e32 vcc_lo, s27, v10
	global_load_b128 v[1:4], v[7:8], off
	s_wait_loadcnt 0x0
	v_lshrrev_b32_e32 v39, 16, v1
	v_lshrrev_b32_e32 v38, 16, v2
	;; [unrolled: 1-line block ×3, first 2 shown]
	s_and_saveexec_b32 s4, vcc_lo
	s_cbranch_execz .LBB88_35
; %bb.34:                               ;   in Loop: Header=BB88_33 Depth=1
	v_cmp_gt_i32_e64 s0, s25, v26
	v_and_b32_e32 v40, 0xffff, v4
	v_and_b32_e32 v4, 0xffff0000, v4
	s_wait_alu 0xf1ff
	s_delay_alu instid0(VALU_DEP_3) | instskip(SKIP_2) | instid1(VALU_DEP_1)
	v_cndmask_b32_e64 v1, 0, v1, s0
	v_cmp_gt_i32_e64 s0, s25, v28
	s_wait_alu 0xf1ff
	v_cndmask_b32_e64 v39, 0, v39, s0
	v_cmp_gt_i32_e64 s0, s25, v27
	s_wait_alu 0xf1ff
	s_delay_alu instid0(VALU_DEP_1) | instskip(SKIP_2) | instid1(VALU_DEP_1)
	v_cndmask_b32_e64 v2, 0, v2, s0
	v_cmp_gt_i32_e64 s0, s25, v24
	s_wait_alu 0xf1ff
	v_cndmask_b32_e64 v38, 0, v38, s0
	v_cmp_gt_i32_e64 s0, s25, v25
	s_wait_alu 0xf1ff
	s_delay_alu instid0(VALU_DEP_1) | instskip(SKIP_2) | instid1(VALU_DEP_1)
	v_cndmask_b32_e64 v40, 0, v40, s0
	v_cmp_gt_i32_e64 s0, s25, v20
	s_wait_alu 0xf1ff
	v_cndmask_b32_e64 v4, 0, v4, s0
	v_cmp_gt_i32_e64 s0, s25, v23
	s_delay_alu instid0(VALU_DEP_2) | instskip(SKIP_1) | instid1(VALU_DEP_2)
	v_or_b32_e32 v4, v40, v4
	s_wait_alu 0xf1ff
	v_cndmask_b32_e64 v3, 0, v3, s0
	v_cmp_gt_i32_e64 s0, s25, v22
	s_wait_alu 0xf1ff
	s_delay_alu instid0(VALU_DEP_1)
	v_cndmask_b32_e64 v37, 0, v37, s0
.LBB88_35:                              ;   in Loop: Header=BB88_33 Depth=1
	s_wait_alu 0xfffe
	s_or_b32 exec_lo, exec_lo, s4
	v_and_b32_e32 v30, 0xffff, v30
	v_and_b32_e32 v35, 0xffff, v35
	v_lshlrev_b32_e32 v39, 16, v39
	v_and_b32_e32 v36, 0xffff, v36
	v_and_b32_e32 v34, 0xffff, v34
	v_lshl_or_b32 v30, v29, 16, v30
	v_lshl_or_b32 v29, v33, 16, v35
	v_lshlrev_b32_e32 v33, 16, v38
	v_lshlrev_b32_e32 v35, 16, v37
	v_and_or_b32 v1, 0xffff, v1, v39
	;;#ASMSTART
	v_pk_mul_f16 v1, v30, v1;

	;;#ASMEND
	v_lshl_or_b32 v31, v31, 16, v36
	v_and_or_b32 v2, 0xffff, v2, v33
	v_and_or_b32 v3, 0xffff, v3, v35
	v_lshl_or_b32 v32, v32, 16, v34
	;;#ASMSTART
	v_pk_mul_f16 v2, v29, v2;

	;;#ASMEND
	;;#ASMSTART
	v_pk_mul_f16 v3, v31, v3;

	;;#ASMEND
	;; [unrolled: 4-line block ×3, first 2 shown]
	;;#ASMSTART
	v_pk_add_f16 v1, v1, v2;

	;;#ASMEND
	;;#ASMSTART
	v_pk_add_f16 v1, v1, v3;

	;;#ASMEND
	;; [unrolled: 4-line block ×3, first 2 shown]
	v_and_b32_e32 v2, 0xffff, v1
	v_lshrrev_b32_e32 v1, 16, v1
	;;#ASMSTART
	v_cvt_f32_f16 v33, v2;
	;;#ASMEND
	;;#ASMSTART
	v_cvt_f32_f16 v34, v1;
	;;#ASMEND
	global_load_b128 v[1:4], v[7:8], off offset:512
	s_wait_loadcnt 0x0
	v_lshrrev_b32_e32 v37, 16, v1
	v_lshrrev_b32_e32 v36, 16, v2
	;; [unrolled: 1-line block ×3, first 2 shown]
	s_and_saveexec_b32 s4, vcc_lo
	s_cbranch_execz .LBB88_37
; %bb.36:                               ;   in Loop: Header=BB88_33 Depth=1
	v_cmp_gt_i32_e64 s0, s25, v26
	v_and_b32_e32 v38, 0xffff, v4
	v_and_b32_e32 v4, 0xffff0000, v4
	s_wait_alu 0xf1ff
	s_delay_alu instid0(VALU_DEP_3) | instskip(SKIP_2) | instid1(VALU_DEP_1)
	v_cndmask_b32_e64 v1, 0, v1, s0
	v_cmp_gt_i32_e64 s0, s25, v28
	s_wait_alu 0xf1ff
	v_cndmask_b32_e64 v37, 0, v37, s0
	v_cmp_gt_i32_e64 s0, s25, v27
	s_wait_alu 0xf1ff
	s_delay_alu instid0(VALU_DEP_1) | instskip(SKIP_2) | instid1(VALU_DEP_1)
	v_cndmask_b32_e64 v2, 0, v2, s0
	v_cmp_gt_i32_e64 s0, s25, v24
	s_wait_alu 0xf1ff
	v_cndmask_b32_e64 v36, 0, v36, s0
	v_cmp_gt_i32_e64 s0, s25, v25
	s_wait_alu 0xf1ff
	s_delay_alu instid0(VALU_DEP_1) | instskip(SKIP_2) | instid1(VALU_DEP_1)
	v_cndmask_b32_e64 v38, 0, v38, s0
	v_cmp_gt_i32_e64 s0, s25, v20
	s_wait_alu 0xf1ff
	v_cndmask_b32_e64 v4, 0, v4, s0
	v_cmp_gt_i32_e64 s0, s25, v23
	s_delay_alu instid0(VALU_DEP_2) | instskip(SKIP_1) | instid1(VALU_DEP_2)
	v_or_b32_e32 v4, v38, v4
	s_wait_alu 0xf1ff
	v_cndmask_b32_e64 v3, 0, v3, s0
	v_cmp_gt_i32_e64 s0, s25, v22
	s_wait_alu 0xf1ff
	s_delay_alu instid0(VALU_DEP_1)
	v_cndmask_b32_e64 v35, 0, v35, s0
.LBB88_37:                              ;   in Loop: Header=BB88_33 Depth=1
	s_wait_alu 0xfffe
	s_or_b32 exec_lo, exec_lo, s4
	v_lshlrev_b32_e32 v37, 16, v37
	v_lshlrev_b32_e32 v36, 16, v36
	;; [unrolled: 1-line block ×3, first 2 shown]
	s_delay_alu instid0(VALU_DEP_3) | instskip(NEXT) | instid1(VALU_DEP_3)
	v_and_or_b32 v1, 0xffff, v1, v37
	v_and_or_b32 v2, 0xffff, v2, v36
	s_delay_alu instid0(VALU_DEP_3)
	v_and_or_b32 v3, 0xffff, v3, v35
	;;#ASMSTART
	v_pk_mul_f16 v1, v30, v1;

	;;#ASMEND
	;;#ASMSTART
	v_pk_mul_f16 v2, v29, v2;

	;;#ASMEND
	;; [unrolled: 4-line block ×4, first 2 shown]
	;;#ASMSTART
	v_pk_add_f16 v1, v1, v2;

	;;#ASMEND
	;;#ASMSTART
	v_pk_add_f16 v1, v1, v3;

	;;#ASMEND
	;; [unrolled: 4-line block ×3, first 2 shown]
	v_and_b32_e32 v2, 0xffff, v1
	v_lshrrev_b32_e32 v1, 16, v1
	;;#ASMSTART
	v_cvt_f32_f16 v35, v2;
	;;#ASMEND
	;;#ASMSTART
	v_cvt_f32_f16 v36, v1;
	;;#ASMEND
	global_load_b128 v[1:4], v[7:8], off offset:1024
	s_wait_loadcnt 0x0
	v_lshrrev_b32_e32 v39, 16, v1
	v_lshrrev_b32_e32 v38, 16, v2
	;; [unrolled: 1-line block ×3, first 2 shown]
	s_and_saveexec_b32 s4, vcc_lo
	s_cbranch_execz .LBB88_39
; %bb.38:                               ;   in Loop: Header=BB88_33 Depth=1
	v_cmp_gt_i32_e64 s0, s25, v26
	v_and_b32_e32 v40, 0xffff, v4
	v_and_b32_e32 v4, 0xffff0000, v4
	s_wait_alu 0xf1ff
	s_delay_alu instid0(VALU_DEP_3) | instskip(SKIP_2) | instid1(VALU_DEP_1)
	v_cndmask_b32_e64 v1, 0, v1, s0
	v_cmp_gt_i32_e64 s0, s25, v28
	s_wait_alu 0xf1ff
	v_cndmask_b32_e64 v39, 0, v39, s0
	v_cmp_gt_i32_e64 s0, s25, v27
	s_wait_alu 0xf1ff
	s_delay_alu instid0(VALU_DEP_1) | instskip(SKIP_2) | instid1(VALU_DEP_1)
	v_cndmask_b32_e64 v2, 0, v2, s0
	v_cmp_gt_i32_e64 s0, s25, v24
	s_wait_alu 0xf1ff
	v_cndmask_b32_e64 v38, 0, v38, s0
	v_cmp_gt_i32_e64 s0, s25, v25
	s_wait_alu 0xf1ff
	s_delay_alu instid0(VALU_DEP_1) | instskip(SKIP_2) | instid1(VALU_DEP_1)
	v_cndmask_b32_e64 v40, 0, v40, s0
	v_cmp_gt_i32_e64 s0, s25, v20
	s_wait_alu 0xf1ff
	v_cndmask_b32_e64 v4, 0, v4, s0
	v_cmp_gt_i32_e64 s0, s25, v23
	s_delay_alu instid0(VALU_DEP_2) | instskip(SKIP_1) | instid1(VALU_DEP_2)
	v_or_b32_e32 v4, v40, v4
	s_wait_alu 0xf1ff
	v_cndmask_b32_e64 v3, 0, v3, s0
	v_cmp_gt_i32_e64 s0, s25, v22
	s_wait_alu 0xf1ff
	s_delay_alu instid0(VALU_DEP_1)
	v_cndmask_b32_e64 v37, 0, v37, s0
.LBB88_39:                              ;   in Loop: Header=BB88_33 Depth=1
	s_wait_alu 0xfffe
	s_or_b32 exec_lo, exec_lo, s4
	v_lshlrev_b32_e32 v39, 16, v39
	v_lshlrev_b32_e32 v38, 16, v38
	;; [unrolled: 1-line block ×3, first 2 shown]
	s_delay_alu instid0(VALU_DEP_3) | instskip(NEXT) | instid1(VALU_DEP_3)
	v_and_or_b32 v1, 0xffff, v1, v39
	v_and_or_b32 v2, 0xffff, v2, v38
	s_delay_alu instid0(VALU_DEP_3)
	v_and_or_b32 v3, 0xffff, v3, v37
	;;#ASMSTART
	v_pk_mul_f16 v1, v30, v1;

	;;#ASMEND
	;;#ASMSTART
	v_pk_mul_f16 v2, v29, v2;

	;;#ASMEND
	;; [unrolled: 4-line block ×4, first 2 shown]
	;;#ASMSTART
	v_pk_add_f16 v1, v1, v2;

	;;#ASMEND
	;;#ASMSTART
	v_pk_add_f16 v1, v1, v3;

	;;#ASMEND
	;; [unrolled: 4-line block ×3, first 2 shown]
	v_and_b32_e32 v2, 0xffff, v1
	v_lshrrev_b32_e32 v1, 16, v1
	;;#ASMSTART
	v_cvt_f32_f16 v37, v2;
	;;#ASMEND
	;;#ASMSTART
	v_cvt_f32_f16 v38, v1;
	;;#ASMEND
	global_load_b128 v[1:4], v[7:8], off offset:1536
	s_wait_loadcnt 0x0
	v_lshrrev_b32_e32 v41, 16, v1
	v_lshrrev_b32_e32 v40, 16, v2
	;; [unrolled: 1-line block ×3, first 2 shown]
	s_and_saveexec_b32 s4, vcc_lo
	s_cbranch_execz .LBB88_41
; %bb.40:                               ;   in Loop: Header=BB88_33 Depth=1
	v_cmp_gt_i32_e64 s0, s25, v26
	v_and_b32_e32 v42, 0xffff, v4
	v_and_b32_e32 v4, 0xffff0000, v4
	s_wait_alu 0xf1ff
	s_delay_alu instid0(VALU_DEP_3) | instskip(SKIP_2) | instid1(VALU_DEP_1)
	v_cndmask_b32_e64 v1, 0, v1, s0
	v_cmp_gt_i32_e64 s0, s25, v28
	s_wait_alu 0xf1ff
	v_cndmask_b32_e64 v41, 0, v41, s0
	v_cmp_gt_i32_e64 s0, s25, v27
	s_wait_alu 0xf1ff
	s_delay_alu instid0(VALU_DEP_1) | instskip(SKIP_2) | instid1(VALU_DEP_1)
	v_cndmask_b32_e64 v2, 0, v2, s0
	v_cmp_gt_i32_e64 s0, s25, v24
	s_wait_alu 0xf1ff
	v_cndmask_b32_e64 v40, 0, v40, s0
	v_cmp_gt_i32_e64 s0, s25, v25
	s_wait_alu 0xf1ff
	s_delay_alu instid0(VALU_DEP_1) | instskip(SKIP_2) | instid1(VALU_DEP_1)
	v_cndmask_b32_e64 v42, 0, v42, s0
	v_cmp_gt_i32_e64 s0, s25, v20
	s_wait_alu 0xf1ff
	v_cndmask_b32_e64 v4, 0, v4, s0
	v_cmp_gt_i32_e64 s0, s25, v23
	s_delay_alu instid0(VALU_DEP_2) | instskip(SKIP_1) | instid1(VALU_DEP_2)
	v_or_b32_e32 v4, v42, v4
	s_wait_alu 0xf1ff
	v_cndmask_b32_e64 v3, 0, v3, s0
	v_cmp_gt_i32_e64 s0, s25, v22
	s_wait_alu 0xf1ff
	s_delay_alu instid0(VALU_DEP_1)
	v_cndmask_b32_e64 v39, 0, v39, s0
.LBB88_41:                              ;   in Loop: Header=BB88_33 Depth=1
	s_wait_alu 0xfffe
	s_or_b32 exec_lo, exec_lo, s4
	v_lshlrev_b32_e32 v41, 16, v41
	v_lshlrev_b32_e32 v40, 16, v40
	;; [unrolled: 1-line block ×3, first 2 shown]
	s_delay_alu instid0(VALU_DEP_3) | instskip(NEXT) | instid1(VALU_DEP_3)
	v_and_or_b32 v1, 0xffff, v1, v41
	v_and_or_b32 v2, 0xffff, v2, v40
	s_delay_alu instid0(VALU_DEP_3)
	v_and_or_b32 v3, 0xffff, v3, v39
	;;#ASMSTART
	v_pk_mul_f16 v1, v30, v1;

	;;#ASMEND
	;;#ASMSTART
	v_pk_mul_f16 v2, v29, v2;

	;;#ASMEND
	;;#ASMSTART
	v_pk_mul_f16 v3, v31, v3;

	;;#ASMEND
	;;#ASMSTART
	v_pk_mul_f16 v4, v32, v4;

	;;#ASMEND
	;;#ASMSTART
	v_pk_add_f16 v1, v1, v2;

	;;#ASMEND
	;;#ASMSTART
	v_pk_add_f16 v1, v1, v3;

	;;#ASMEND
	;; [unrolled: 4-line block ×3, first 2 shown]
	v_and_b32_e32 v2, 0xffff, v1
	v_lshrrev_b32_e32 v1, 16, v1
	;;#ASMSTART
	v_cvt_f32_f16 v39, v2;
	;;#ASMEND
	;;#ASMSTART
	v_cvt_f32_f16 v40, v1;
	;;#ASMEND
	global_load_b128 v[1:4], v[7:8], off offset:2048
	s_wait_loadcnt 0x0
	v_lshrrev_b32_e32 v43, 16, v1
	v_lshrrev_b32_e32 v42, 16, v2
	;; [unrolled: 1-line block ×3, first 2 shown]
	s_and_saveexec_b32 s4, vcc_lo
	s_cbranch_execz .LBB88_43
; %bb.42:                               ;   in Loop: Header=BB88_33 Depth=1
	v_cmp_gt_i32_e64 s0, s25, v26
	v_and_b32_e32 v44, 0xffff, v4
	v_and_b32_e32 v4, 0xffff0000, v4
	s_wait_alu 0xf1ff
	s_delay_alu instid0(VALU_DEP_3) | instskip(SKIP_2) | instid1(VALU_DEP_1)
	v_cndmask_b32_e64 v1, 0, v1, s0
	v_cmp_gt_i32_e64 s0, s25, v28
	s_wait_alu 0xf1ff
	v_cndmask_b32_e64 v43, 0, v43, s0
	v_cmp_gt_i32_e64 s0, s25, v27
	s_wait_alu 0xf1ff
	s_delay_alu instid0(VALU_DEP_1) | instskip(SKIP_2) | instid1(VALU_DEP_1)
	v_cndmask_b32_e64 v2, 0, v2, s0
	v_cmp_gt_i32_e64 s0, s25, v24
	s_wait_alu 0xf1ff
	v_cndmask_b32_e64 v42, 0, v42, s0
	v_cmp_gt_i32_e64 s0, s25, v25
	s_wait_alu 0xf1ff
	s_delay_alu instid0(VALU_DEP_1) | instskip(SKIP_2) | instid1(VALU_DEP_1)
	v_cndmask_b32_e64 v44, 0, v44, s0
	v_cmp_gt_i32_e64 s0, s25, v20
	s_wait_alu 0xf1ff
	v_cndmask_b32_e64 v4, 0, v4, s0
	v_cmp_gt_i32_e64 s0, s25, v23
	s_delay_alu instid0(VALU_DEP_2) | instskip(SKIP_1) | instid1(VALU_DEP_2)
	v_or_b32_e32 v4, v44, v4
	s_wait_alu 0xf1ff
	v_cndmask_b32_e64 v3, 0, v3, s0
	v_cmp_gt_i32_e64 s0, s25, v22
	s_wait_alu 0xf1ff
	s_delay_alu instid0(VALU_DEP_1)
	v_cndmask_b32_e64 v41, 0, v41, s0
.LBB88_43:                              ;   in Loop: Header=BB88_33 Depth=1
	s_wait_alu 0xfffe
	s_or_b32 exec_lo, exec_lo, s4
	v_lshlrev_b32_e32 v43, 16, v43
	v_lshlrev_b32_e32 v42, 16, v42
	;; [unrolled: 1-line block ×3, first 2 shown]
	s_delay_alu instid0(VALU_DEP_3) | instskip(NEXT) | instid1(VALU_DEP_3)
	v_and_or_b32 v1, 0xffff, v1, v43
	v_and_or_b32 v2, 0xffff, v2, v42
	s_delay_alu instid0(VALU_DEP_3)
	v_and_or_b32 v3, 0xffff, v3, v41
	;;#ASMSTART
	v_pk_mul_f16 v1, v30, v1;

	;;#ASMEND
	;;#ASMSTART
	v_pk_mul_f16 v2, v29, v2;

	;;#ASMEND
	;; [unrolled: 4-line block ×4, first 2 shown]
	;;#ASMSTART
	v_pk_add_f16 v1, v1, v2;

	;;#ASMEND
	;;#ASMSTART
	v_pk_add_f16 v1, v1, v3;

	;;#ASMEND
	;; [unrolled: 4-line block ×3, first 2 shown]
	v_and_b32_e32 v2, 0xffff, v1
	v_lshrrev_b32_e32 v1, 16, v1
	;;#ASMSTART
	v_cvt_f32_f16 v41, v2;
	;;#ASMEND
	;;#ASMSTART
	v_cvt_f32_f16 v42, v1;
	;;#ASMEND
	global_load_b128 v[1:4], v[7:8], off offset:2560
	s_wait_loadcnt 0x0
	v_lshrrev_b32_e32 v43, 16, v1
	v_lshrrev_b32_e32 v8, 16, v2
	;; [unrolled: 1-line block ×3, first 2 shown]
	s_and_saveexec_b32 s0, vcc_lo
	s_cbranch_execz .LBB88_32
; %bb.44:                               ;   in Loop: Header=BB88_33 Depth=1
	v_cmp_gt_i32_e32 vcc_lo, s25, v26
	v_and_b32_e32 v26, 0xffff, v4
	s_wait_alu 0xfffd
	v_dual_cndmask_b32 v1, 0, v1 :: v_dual_and_b32 v4, 0xffff0000, v4
	v_cmp_gt_i32_e32 vcc_lo, s25, v28
	s_wait_alu 0xfffd
	v_cndmask_b32_e32 v43, 0, v43, vcc_lo
	v_cmp_gt_i32_e32 vcc_lo, s25, v27
	s_wait_alu 0xfffd
	v_cndmask_b32_e32 v2, 0, v2, vcc_lo
	;; [unrolled: 3-line block ×5, first 2 shown]
	v_cmp_gt_i32_e32 vcc_lo, s25, v23
	s_delay_alu instid0(VALU_DEP_2)
	v_or_b32_e32 v4, v24, v4
	s_wait_alu 0xfffd
	v_cndmask_b32_e32 v3, 0, v3, vcc_lo
	v_cmp_gt_i32_e32 vcc_lo, s25, v22
	s_wait_alu 0xfffd
	v_cndmask_b32_e32 v7, 0, v7, vcc_lo
	s_branch .LBB88_32
.LBB88_45:
	s_or_b32 exec_lo, exec_lo, s3
.LBB88_46:
	s_wait_alu 0xfffe
	s_or_b32 exec_lo, exec_lo, s1
	v_lshl_add_u32 v2, v11, 2, 0x1a0
	v_and_b32_e32 v3, 0x3c0, v0
	s_mov_b32 s0, exec_lo
	s_wait_loadcnt 0x0
	s_wait_storecnt 0x0
	s_barrier_signal -1
	v_mad_u32_u24 v1, 0x300, v9, v2
	s_barrier_wait -1
	global_inv scope:SCOPE_SE
	v_cmpx_eq_u32_e32 64, v3
	s_cbranch_execz .LBB88_48
; %bb.47:
	v_add_nc_u32_e32 v3, 0xfffffa00, v1
	v_add_nc_u32_e32 v4, 0xfffffa80, v1
	v_add_nc_u32_e32 v5, 0xfffffb00, v1
	v_add_nc_u32_e32 v6, 0xfffffb80, v1
	v_add_nc_u32_e32 v7, 0xfffffc00, v1
	v_add_nc_u32_e32 v8, 0xfffffc80, v1
	ds_store_b32 v3, v17
	ds_store_b32 v4, v16
	;; [unrolled: 1-line block ×6, first 2 shown]
.LBB88_48:
	s_wait_alu 0xfffe
	s_or_b32 exec_lo, exec_lo, s0
	s_delay_alu instid0(SALU_CYCLE_1)
	s_mov_b32 s0, exec_lo
	s_wait_loadcnt_dscnt 0x0
	s_barrier_signal -1
	s_barrier_wait -1
	global_inv scope:SCOPE_SE
	v_cmpx_gt_u32_e32 64, v0
	s_cbranch_execz .LBB88_50
; %bb.49:
	ds_load_2addr_b32 v[3:4], v1 offset1:32
	ds_load_2addr_b32 v[5:6], v1 offset0:64 offset1:96
	ds_load_2addr_b32 v[7:8], v1 offset0:128 offset1:160
	s_wait_dscnt 0x2
	v_dual_add_f32 v17, v17, v3 :: v_dual_add_f32 v16, v16, v4
	s_wait_dscnt 0x1
	v_dual_add_f32 v15, v15, v5 :: v_dual_add_f32 v14, v14, v6
	;; [unrolled: 2-line block ×3, first 2 shown]
.LBB88_50:
	s_wait_alu 0xfffe
	s_or_b32 exec_lo, exec_lo, s0
	v_and_b32_e32 v3, 0x3e0, v0
	s_mov_b32 s0, exec_lo
	s_wait_loadcnt 0x0
	s_barrier_signal -1
	s_barrier_wait -1
	global_inv scope:SCOPE_SE
	v_cmpx_eq_u32_e32 32, v3
	s_cbranch_execz .LBB88_52
; %bb.51:
	ds_store_2addr_b32 v2, v17, v16 offset1:32
	ds_store_2addr_b32 v2, v15, v14 offset0:64 offset1:96
	ds_store_2addr_b32 v2, v13, v12 offset0:128 offset1:160
.LBB88_52:
	s_wait_alu 0xfffe
	s_or_b32 exec_lo, exec_lo, s0
	v_cmp_gt_u32_e32 vcc_lo, 32, v0
	s_wait_loadcnt_dscnt 0x0
	s_barrier_signal -1
	s_barrier_wait -1
	global_inv scope:SCOPE_SE
	s_and_saveexec_b32 s0, vcc_lo
	s_cbranch_execz .LBB88_54
; %bb.53:
	ds_load_2addr_b32 v[2:3], v1 offset1:32
	ds_load_2addr_b32 v[4:5], v1 offset0:64 offset1:96
	ds_load_2addr_b32 v[6:7], v1 offset0:128 offset1:160
	s_wait_dscnt 0x2
	v_dual_add_f32 v17, v17, v2 :: v_dual_add_f32 v16, v16, v3
	s_wait_dscnt 0x1
	v_dual_add_f32 v15, v15, v4 :: v_dual_add_f32 v14, v14, v5
	;; [unrolled: 2-line block ×3, first 2 shown]
.LBB88_54:
	s_wait_alu 0xfffe
	s_or_b32 exec_lo, exec_lo, s0
	s_wait_loadcnt 0x0
	s_barrier_signal -1
	s_barrier_wait -1
	global_inv scope:SCOPE_SE
	s_and_saveexec_b32 s0, vcc_lo
	s_cbranch_execz .LBB88_56
; %bb.55:
	s_mul_i32 s0, s20, 0xc0
	s_mul_i32 s2, s8, s12
	s_wait_alu 0xfffe
	s_ashr_i32 s1, s0, 31
	s_ashr_i32 s3, s2, 31
	s_wait_alu 0xfffe
	s_lshl_b64 s[0:1], s[0:1], 1
	s_lshl_b64 s[2:3], s[2:3], 1
	s_wait_alu 0xfffe
	s_add_nc_u64 s[0:1], s[10:11], s[0:1]
	v_lshlrev_b32_e32 v0, 1, v0
	s_mul_i32 s4, s24, 0x180
	s_wait_alu 0xfffe
	s_add_nc_u64 s[0:1], s[0:1], s[2:3]
	s_mov_b32 s5, 0
	;;#ASMSTART
	v_cvt_f16_f32 v1, v17;

	;;#ASMEND
	s_wait_alu 0xfffe
	s_add_nc_u64 s[0:1], s[0:1], s[4:5]
	global_store_b16 v0, v1, s[0:1]
	;;#ASMSTART
	v_cvt_f16_f32 v1, v16;

	;;#ASMEND
	global_store_b16 v0, v1, s[0:1] offset:64
	;;#ASMSTART
	v_cvt_f16_f32 v1, v15;

	;;#ASMEND
	global_store_b16 v0, v1, s[0:1] offset:128
	;; [unrolled: 5-line block ×5, first 2 shown]
.LBB88_56:
	s_nop 0
	s_sendmsg sendmsg(MSG_DEALLOC_VGPRS)
	s_endpgm
	.section	.rodata,"a",@progbits
	.p2align	6, 0x0
	.amdhsa_kernel _ZN4vllm25paged_attention_v2_kernelIttLi192ELi8ELi128ELNS_18Fp8KVCacheDataTypeE0ELb0ELi512EEEvPfS2_PT_PKS3_PKT0_S9_ifPKiSB_iPKfiiiSD_SD_iiiii
		.amdhsa_group_segment_fixed_size 416
		.amdhsa_private_segment_fixed_size 0
		.amdhsa_kernarg_size 400
		.amdhsa_user_sgpr_count 2
		.amdhsa_user_sgpr_dispatch_ptr 0
		.amdhsa_user_sgpr_queue_ptr 0
		.amdhsa_user_sgpr_kernarg_segment_ptr 1
		.amdhsa_user_sgpr_dispatch_id 0
		.amdhsa_user_sgpr_private_segment_size 0
		.amdhsa_wavefront_size32 1
		.amdhsa_uses_dynamic_stack 0
		.amdhsa_enable_private_segment 0
		.amdhsa_system_sgpr_workgroup_id_x 1
		.amdhsa_system_sgpr_workgroup_id_y 1
		.amdhsa_system_sgpr_workgroup_id_z 1
		.amdhsa_system_sgpr_workgroup_info 0
		.amdhsa_system_vgpr_workitem_id 0
		.amdhsa_next_free_vgpr 101
		.amdhsa_next_free_sgpr 32
		.amdhsa_reserve_vcc 1
		.amdhsa_float_round_mode_32 0
		.amdhsa_float_round_mode_16_64 0
		.amdhsa_float_denorm_mode_32 3
		.amdhsa_float_denorm_mode_16_64 3
		.amdhsa_fp16_overflow 0
		.amdhsa_workgroup_processor_mode 1
		.amdhsa_memory_ordered 1
		.amdhsa_forward_progress 1
		.amdhsa_inst_pref_size 54
		.amdhsa_round_robin_scheduling 0
		.amdhsa_exception_fp_ieee_invalid_op 0
		.amdhsa_exception_fp_denorm_src 0
		.amdhsa_exception_fp_ieee_div_zero 0
		.amdhsa_exception_fp_ieee_overflow 0
		.amdhsa_exception_fp_ieee_underflow 0
		.amdhsa_exception_fp_ieee_inexact 0
		.amdhsa_exception_int_div_zero 0
	.end_amdhsa_kernel
	.section	.text._ZN4vllm25paged_attention_v2_kernelIttLi192ELi8ELi128ELNS_18Fp8KVCacheDataTypeE0ELb0ELi512EEEvPfS2_PT_PKS3_PKT0_S9_ifPKiSB_iPKfiiiSD_SD_iiiii,"axG",@progbits,_ZN4vllm25paged_attention_v2_kernelIttLi192ELi8ELi128ELNS_18Fp8KVCacheDataTypeE0ELb0ELi512EEEvPfS2_PT_PKS3_PKT0_S9_ifPKiSB_iPKfiiiSD_SD_iiiii,comdat
.Lfunc_end88:
	.size	_ZN4vllm25paged_attention_v2_kernelIttLi192ELi8ELi128ELNS_18Fp8KVCacheDataTypeE0ELb0ELi512EEEvPfS2_PT_PKS3_PKT0_S9_ifPKiSB_iPKfiiiSD_SD_iiiii, .Lfunc_end88-_ZN4vllm25paged_attention_v2_kernelIttLi192ELi8ELi128ELNS_18Fp8KVCacheDataTypeE0ELb0ELi512EEEvPfS2_PT_PKS3_PKT0_S9_ifPKiSB_iPKfiiiSD_SD_iiiii
                                        ; -- End function
	.set _ZN4vllm25paged_attention_v2_kernelIttLi192ELi8ELi128ELNS_18Fp8KVCacheDataTypeE0ELb0ELi512EEEvPfS2_PT_PKS3_PKT0_S9_ifPKiSB_iPKfiiiSD_SD_iiiii.num_vgpr, 101
	.set _ZN4vllm25paged_attention_v2_kernelIttLi192ELi8ELi128ELNS_18Fp8KVCacheDataTypeE0ELb0ELi512EEEvPfS2_PT_PKS3_PKT0_S9_ifPKiSB_iPKfiiiSD_SD_iiiii.num_agpr, 0
	.set _ZN4vllm25paged_attention_v2_kernelIttLi192ELi8ELi128ELNS_18Fp8KVCacheDataTypeE0ELb0ELi512EEEvPfS2_PT_PKS3_PKT0_S9_ifPKiSB_iPKfiiiSD_SD_iiiii.numbered_sgpr, 32
	.set _ZN4vllm25paged_attention_v2_kernelIttLi192ELi8ELi128ELNS_18Fp8KVCacheDataTypeE0ELb0ELi512EEEvPfS2_PT_PKS3_PKT0_S9_ifPKiSB_iPKfiiiSD_SD_iiiii.num_named_barrier, 0
	.set _ZN4vllm25paged_attention_v2_kernelIttLi192ELi8ELi128ELNS_18Fp8KVCacheDataTypeE0ELb0ELi512EEEvPfS2_PT_PKS3_PKT0_S9_ifPKiSB_iPKfiiiSD_SD_iiiii.private_seg_size, 0
	.set _ZN4vllm25paged_attention_v2_kernelIttLi192ELi8ELi128ELNS_18Fp8KVCacheDataTypeE0ELb0ELi512EEEvPfS2_PT_PKS3_PKT0_S9_ifPKiSB_iPKfiiiSD_SD_iiiii.uses_vcc, 1
	.set _ZN4vllm25paged_attention_v2_kernelIttLi192ELi8ELi128ELNS_18Fp8KVCacheDataTypeE0ELb0ELi512EEEvPfS2_PT_PKS3_PKT0_S9_ifPKiSB_iPKfiiiSD_SD_iiiii.uses_flat_scratch, 0
	.set _ZN4vllm25paged_attention_v2_kernelIttLi192ELi8ELi128ELNS_18Fp8KVCacheDataTypeE0ELb0ELi512EEEvPfS2_PT_PKS3_PKT0_S9_ifPKiSB_iPKfiiiSD_SD_iiiii.has_dyn_sized_stack, 0
	.set _ZN4vllm25paged_attention_v2_kernelIttLi192ELi8ELi128ELNS_18Fp8KVCacheDataTypeE0ELb0ELi512EEEvPfS2_PT_PKS3_PKT0_S9_ifPKiSB_iPKfiiiSD_SD_iiiii.has_recursion, 0
	.set _ZN4vllm25paged_attention_v2_kernelIttLi192ELi8ELi128ELNS_18Fp8KVCacheDataTypeE0ELb0ELi512EEEvPfS2_PT_PKS3_PKT0_S9_ifPKiSB_iPKfiiiSD_SD_iiiii.has_indirect_call, 0
	.section	.AMDGPU.csdata,"",@progbits
; Kernel info:
; codeLenInByte = 6840
; TotalNumSgprs: 34
; NumVgprs: 101
; ScratchSize: 0
; MemoryBound: 0
; FloatMode: 240
; IeeeMode: 1
; LDSByteSize: 416 bytes/workgroup (compile time only)
; SGPRBlocks: 0
; VGPRBlocks: 12
; NumSGPRsForWavesPerEU: 34
; NumVGPRsForWavesPerEU: 101
; Occupancy: 12
; WaveLimiterHint : 1
; COMPUTE_PGM_RSRC2:SCRATCH_EN: 0
; COMPUTE_PGM_RSRC2:USER_SGPR: 2
; COMPUTE_PGM_RSRC2:TRAP_HANDLER: 0
; COMPUTE_PGM_RSRC2:TGID_X_EN: 1
; COMPUTE_PGM_RSRC2:TGID_Y_EN: 1
; COMPUTE_PGM_RSRC2:TGID_Z_EN: 1
; COMPUTE_PGM_RSRC2:TIDIG_COMP_CNT: 0
	.section	.text._ZN4vllm25paged_attention_v2_kernelIttLi256ELi8ELi128ELNS_18Fp8KVCacheDataTypeE0ELb0ELi512EEEvPfS2_PT_PKS3_PKT0_S9_ifPKiSB_iPKfiiiSD_SD_iiiii,"axG",@progbits,_ZN4vllm25paged_attention_v2_kernelIttLi256ELi8ELi128ELNS_18Fp8KVCacheDataTypeE0ELb0ELi512EEEvPfS2_PT_PKS3_PKT0_S9_ifPKiSB_iPKfiiiSD_SD_iiiii,comdat
	.protected	_ZN4vllm25paged_attention_v2_kernelIttLi256ELi8ELi128ELNS_18Fp8KVCacheDataTypeE0ELb0ELi512EEEvPfS2_PT_PKS3_PKT0_S9_ifPKiSB_iPKfiiiSD_SD_iiiii ; -- Begin function _ZN4vllm25paged_attention_v2_kernelIttLi256ELi8ELi128ELNS_18Fp8KVCacheDataTypeE0ELb0ELi512EEEvPfS2_PT_PKS3_PKT0_S9_ifPKiSB_iPKfiiiSD_SD_iiiii
	.globl	_ZN4vllm25paged_attention_v2_kernelIttLi256ELi8ELi128ELNS_18Fp8KVCacheDataTypeE0ELb0ELi512EEEvPfS2_PT_PKS3_PKT0_S9_ifPKiSB_iPKfiiiSD_SD_iiiii
	.p2align	8
	.type	_ZN4vllm25paged_attention_v2_kernelIttLi256ELi8ELi128ELNS_18Fp8KVCacheDataTypeE0ELb0ELi512EEEvPfS2_PT_PKS3_PKT0_S9_ifPKiSB_iPKfiiiSD_SD_iiiii,@function
_ZN4vllm25paged_attention_v2_kernelIttLi256ELi8ELi128ELNS_18Fp8KVCacheDataTypeE0ELb0ELi512EEEvPfS2_PT_PKS3_PKT0_S9_ifPKiSB_iPKfiiiSD_SD_iiiii: ; @_ZN4vllm25paged_attention_v2_kernelIttLi256ELi8ELi128ELNS_18Fp8KVCacheDataTypeE0ELb0ELi512EEEvPfS2_PT_PKS3_PKT0_S9_ifPKiSB_iPKfiiiSD_SD_iiiii
; %bb.0:
	s_load_b64 s[2:3], s[0:1], 0x40
	s_and_b32 s22, ttmp7, 0xffff
	s_lshr_b32 s26, ttmp7, 16
	s_lshl_b32 s4, s22, 2
	s_lshl_b32 s12, s26, 9
	s_wait_kmcnt 0x0
	s_load_b32 s13, s[2:3], s4 offset:0x0
	s_wait_kmcnt 0x0
	s_cmp_ge_i32 s12, s13
	s_cbranch_scc1 .LBB89_60
; %bb.1:
	s_clause 0x1
	s_load_b32 s23, s[0:1], 0x90
	s_load_b64 s[6:7], s[0:1], 0x30
	s_wait_kmcnt 0x0
	s_abs_i32 s5, s23
	s_abs_i32 s2, s6
	s_delay_alu instid0(SALU_CYCLE_1) | instskip(SKIP_1) | instid1(SALU_CYCLE_2)
	s_cvt_f32_u32 s3, s2
	s_sub_co_i32 s4, 0, s2
	v_rcp_iflag_f32_e32 v1, s3
	s_delay_alu instid0(TRANS32_DEP_1) | instskip(SKIP_2) | instid1(SALU_CYCLE_2)
	v_readfirstlane_b32 s3, v1
	s_mul_f32 s3, s3, 0x4f7ffffe
	s_wait_alu 0xfffe
	s_cvt_u32_f32 s3, s3
	s_wait_alu 0xfffe
	s_delay_alu instid0(SALU_CYCLE_2) | instskip(NEXT) | instid1(SALU_CYCLE_1)
	s_mul_i32 s4, s4, s3
	s_mul_hi_u32 s4, s3, s4
	s_delay_alu instid0(SALU_CYCLE_1)
	s_add_co_i32 s3, s3, s4
	s_xor_b32 s4, s23, s6
	s_wait_alu 0xfffe
	s_mul_hi_u32 s3, s5, s3
	s_ashr_i32 s4, s4, 31
	s_wait_alu 0xfffe
	s_mul_i32 s6, s3, s2
	s_delay_alu instid0(SALU_CYCLE_1)
	s_sub_co_i32 s5, s5, s6
	s_add_co_i32 s6, s3, 1
	s_sub_co_i32 s8, s5, s2
	s_cmp_ge_u32 s5, s2
	s_cselect_b32 s3, s6, s3
	s_cselect_b32 s5, s8, s5
	s_wait_alu 0xfffe
	s_add_co_i32 s6, s3, 1
	s_cmp_ge_u32 s5, s2
	s_load_b64 s[8:9], s[0:1], 0x50
	s_cselect_b32 s2, s6, s3
	s_mov_b32 s3, 0
	s_wait_alu 0xfffe
	s_xor_b32 s2, s2, s4
	s_mov_b32 s6, s3
	s_wait_alu 0xfffe
	s_sub_co_i32 s14, s2, s4
	s_delay_alu instid0(SALU_CYCLE_1) | instskip(NEXT) | instid1(SALU_CYCLE_1)
	s_abs_i32 s11, s14
	s_cvt_f32_u32 s2, s11
	s_wait_alu 0xfffe
	s_delay_alu instid0(SALU_CYCLE_2) | instskip(NEXT) | instid1(TRANS32_DEP_1)
	v_rcp_iflag_f32_e32 v1, s2
	v_readfirstlane_b32 s2, v1
	s_mul_f32 s2, s2, 0x4f7ffffe
	s_wait_alu 0xfffe
	s_delay_alu instid0(SALU_CYCLE_2) | instskip(SKIP_2) | instid1(SALU_CYCLE_1)
	s_cvt_u32_f32 s4, s2
	s_sub_co_i32 s2, 0, s11
	s_wait_alu 0xfffe
	s_mul_i32 s2, s2, s4
	s_wait_alu 0xfffe
	s_mul_hi_u32 s5, s4, s2
	s_abs_i32 s2, ttmp9
	s_add_co_i32 s4, s4, s5
	s_mov_b32 s5, s3
	s_wait_kmcnt 0x0
	s_cmp_eq_u64 s[8:9], 0
	s_cbranch_scc1 .LBB89_3
; %bb.2:
	s_mov_b32 s16, ttmp9
	s_ashr_i32 s17, ttmp9, 31
	s_delay_alu instid0(SALU_CYCLE_1) | instskip(NEXT) | instid1(SALU_CYCLE_1)
	s_lshl_b64 s[16:17], s[16:17], 2
	s_add_nc_u64 s[8:9], s[8:9], s[16:17]
	s_load_b32 s6, s[8:9], 0x0
.LBB89_3:
	s_load_b96 s[8:10], s[0:1], 0x58
	v_and_b32_e32 v1, 3, v0
	v_lshlrev_b32_e32 v2, 2, v0
	s_mul_u64 s[4:5], s[2:3], s[4:5]
	s_ashr_i32 s3, ttmp9, 31
	s_ashr_i32 s4, s14, 31
	s_lshl_b32 s14, ttmp9, 8
	s_mov_b32 s16, exec_lo
	v_cmpx_gt_u32_e32 0x80, v0
	s_cbranch_execz .LBB89_5
; %bb.4:
	s_load_b64 s[18:19], s[0:1], 0x18
	s_wait_kmcnt 0x0
	s_mul_i32 s20, s8, s22
	s_ashr_i32 s15, s14, 31
	s_ashr_i32 s21, s20, 31
	v_and_b32_e32 v4, 0x3fc, v0
	s_lshl_b64 s[20:21], s[20:21], 1
	s_delay_alu instid0(VALU_DEP_1) | instskip(SKIP_2) | instid1(SALU_CYCLE_1)
	v_lshl_add_u32 v4, v1, 7, v4
	s_add_nc_u64 s[18:19], s[18:19], s[20:21]
	s_lshl_b64 s[20:21], s[14:15], 1
	s_add_nc_u64 s[18:19], s[18:19], s[20:21]
	global_load_b32 v3, v2, s[18:19]
	s_wait_loadcnt 0x0
	ds_store_b32 v4, v3
.LBB89_5:
	s_or_b32 exec_lo, exec_lo, s16
	s_wait_kmcnt 0x0
	s_add_co_i32 s8, s13, 7
	s_wait_alu 0xfffe
	s_xor_b32 s3, s3, s4
	s_ashr_i32 s15, s8, 31
	s_lshl_b32 s28, s26, 6
	s_lshr_b32 s4, s15, 29
	s_mul_i32 s15, s5, s11
	s_add_co_i32 s8, s8, s4
	s_add_co_i32 s4, s28, 64
	s_ashr_i32 s27, s8, 3
	s_load_b32 s8, s[0:1], 0x48
	s_sub_co_i32 s2, s2, s15
	s_min_i32 s15, s4, s27
	s_add_co_i32 s4, s5, 1
	s_wait_alu 0xfffe
	s_sub_co_i32 s16, s2, s11
	s_cmp_ge_u32 s2, s11
	v_lshrrev_b32_e32 v9, 5, v0
	s_cselect_b32 s4, s4, s5
	s_cselect_b32 s2, s16, s2
	s_add_co_i32 s5, s4, 1
	s_wait_alu 0xfffe
	s_cmp_ge_u32 s2, s11
	v_or_b32_e32 v10, s28, v9
	s_cselect_b32 s2, s5, s4
	v_mbcnt_lo_u32_b32 v5, -1, 0
	s_wait_alu 0xfffe
	s_xor_b32 s2, s2, s3
	s_mov_b32 s4, exec_lo
	s_wait_alu 0xfffe
	s_sub_co_i32 s3, s2, s3
	v_cmp_gt_i32_e64 s2, s15, v10
	s_wait_dscnt 0x0
	s_barrier_signal -1
	s_wait_kmcnt 0x0
	s_mul_i32 s16, s8, s22
	s_barrier_wait -1
	s_ashr_i32 s17, s16, 31
	global_inv scope:SCOPE_SE
                                        ; implicit-def: $vgpr6
                                        ; implicit-def: $vgpr7
	v_cmpx_le_i32_e64 s15, v10
	s_xor_b32 s4, exec_lo, s4
; %bb.6:
	v_dual_mov_b32 v6, 0 :: v_dual_mov_b32 v7, 32
	v_mbcnt_lo_u32_b32 v5, -1, 0
                                        ; implicit-def: $vgpr2
                                        ; implicit-def: $vgpr1
; %bb.7:
	s_or_saveexec_b32 s11, s4
	s_clause 0x1
	s_load_b64 s[18:19], s[0:1], 0x38
	s_load_b32 s8, s[0:1], 0x98
	v_dual_mov_b32 v8, 0xff7fffff :: v_dual_lshlrev_b32 v3, 2, v10
	v_lshlrev_b32_e32 v4, 3, v9
	s_mul_i32 s20, s3, s10
	s_xor_b32 exec_lo, exec_lo, s11
	s_cbranch_execz .LBB89_13
; %bb.8:
	s_load_b64 s[4:5], s[0:1], 0x20
	v_bfe_u32 v7, v0, 2, 3
	s_ashr_i32 s21, s20, 31
	v_dual_mov_b32 v6, 0 :: v_dual_lshlrev_b32 v11, 7, v1
	v_cmp_eq_u32_e32 vcc_lo, 0, v1
	s_delay_alu instid0(VALU_DEP_3)
	v_lshlrev_b32_e32 v1, 4, v7
	v_lshlrev_b32_e32 v8, 2, v7
	s_lshl_b64 s[24:25], s[20:21], 1
	s_cmp_neq_f32 s6, 0
	v_and_b32_e32 v2, 12, v2
	v_add3_u32 v12, s12, v4, v7
	v_lshl_or_b32 v7, v9, 5, v8
	s_cselect_b32 s3, -1, 0
	s_lshl_b64 s[30:31], s[16:17], 2
	v_xor_b32_e32 v16, 2, v5
	s_wait_kmcnt 0x0
	s_add_nc_u64 s[30:31], s[18:19], s[30:31]
	v_dual_mov_b32 v18, v10 :: v_dual_add_nc_u32 v13, 0x220, v7
	v_mov_b32_e32 v7, 32
	s_add_nc_u64 s[4:5], s[4:5], s[24:25]
	v_xor_b32_e32 v17, 1, v5
	v_add_co_u32 v1, s4, s4, v1
	s_wait_alu 0xf1ff
	v_add_co_ci_u32_e64 v8, null, s5, 0, s4
	s_mov_b32 s21, s9
	v_add_co_u32 v14, s4, v1, v2
	s_wait_alu 0xf1ff
	v_add_co_ci_u32_e64 v15, null, 0, v8, s4
	v_add_co_u32 v1, s4, s30, v3
	s_wait_alu 0xf1ff
	v_add_co_ci_u32_e64 v2, null, s31, 0, s4
	v_mov_b32_e32 v8, 0xff7fffff
	s_mov_b32 s10, 0
	s_sub_co_i32 s24, 1, s13
	s_branch .LBB89_10
.LBB89_9:                               ;   in Loop: Header=BB89_10 Depth=1
	s_wait_alu 0xfffe
	s_or_b32 exec_lo, exec_lo, s5
	v_add_nc_u32_e32 v18, 4, v18
	v_add_co_u32 v1, s5, v1, 16
	v_add_nc_u32_e32 v12, 32, v12
	v_add_nc_u32_e32 v13, 0x80, v13
	s_delay_alu instid0(VALU_DEP_4) | instskip(SKIP_3) | instid1(SALU_CYCLE_1)
	v_cmp_le_i32_e64 s4, s15, v18
	s_wait_alu 0xf1ff
	v_add_co_ci_u32_e64 v2, null, 0, v2, s5
	s_or_b32 s10, s4, s10
	s_and_not1_b32 exec_lo, exec_lo, s10
	s_cbranch_execz .LBB89_12
.LBB89_10:                              ; =>This Inner Loop Header: Depth=1
	global_load_b32 v19, v[1:2], off
	s_wait_loadcnt_dscnt 0x0
	v_mad_co_i64_i32 v[19:20], null, v19, s21, 0
	s_delay_alu instid0(VALU_DEP_1) | instskip(NEXT) | instid1(VALU_DEP_1)
	v_lshlrev_b64_e32 v[19:20], 1, v[19:20]
	v_add_co_u32 v26, s4, v14, v19
	s_wait_alu 0xf1ff
	s_delay_alu instid0(VALU_DEP_2)
	v_add_co_ci_u32_e64 v27, null, v15, v20, s4
	v_cmp_gt_i32_e64 s4, 32, v16
	s_clause 0xa
	global_load_b32 v19, v[26:27], off
	global_load_b32 v30, v[26:27], off offset:128
	global_load_b32 v36, v[26:27], off offset:256
	;; [unrolled: 1-line block ×10, first 2 shown]
	ds_load_b32 v20, v11
	s_clause 0xc
	global_load_b32 v76, v[26:27], off offset:1408
	global_load_b32 v80, v[26:27], off offset:1536
	;; [unrolled: 1-line block ×13, first 2 shown]
	s_wait_dscnt 0x0
	v_lshrrev_b32_e32 v29, 16, v20
	v_and_b32_e32 v28, 0xffff, v20
	s_wait_loadcnt 0xc
	v_lshrrev_b32_e32 v81, 16, v76
	v_and_b32_e32 v31, 0xffff, v19
	v_lshrrev_b32_e32 v32, 16, v19
	s_clause 0x7
	global_load_b32 v33, v[26:27], off offset:3072
	global_load_b32 v25, v[26:27], off offset:3200
	;; [unrolled: 1-line block ×8, first 2 shown]
	;;#ASMSTART
	v_cvt_f32_f16 v28, v28;
	;;#ASMEND
	;;#ASMSTART
	v_cvt_f32_f16 v26, v29;
	;;#ASMEND
	;;#ASMSTART
	v_cvt_f32_f16 v29, v31;
	;;#ASMEND
	;;#ASMSTART
	v_cvt_f32_f16 v27, v32;
	;;#ASMEND
	ds_load_b32 v31, v11 offset:4
	v_and_b32_e32 v34, 0xffff, v30
	v_lshrrev_b32_e32 v37, 16, v30
	v_lshrrev_b32_e32 v41, 16, v36
	;; [unrolled: 1-line block ×4, first 2 shown]
	v_and_b32_e32 v52, 0xffff, v49
	v_lshrrev_b32_e32 v54, 16, v49
	v_and_b32_e32 v56, 0xffff, v53
	v_lshrrev_b32_e32 v59, 16, v53
	v_lshrrev_b32_e32 v63, 16, v58
	;; [unrolled: 1-line block ×3, first 2 shown]
	v_and_b32_e32 v70, 0xffff, v67
	v_lshrrev_b32_e32 v73, 16, v67
	v_lshrrev_b32_e32 v77, 16, v72
	s_wait_loadcnt 0x13
	v_lshrrev_b32_e32 v86, 16, v80
	s_wait_loadcnt 0x12
	v_and_b32_e32 v88, 0xffff, v85
	v_lshrrev_b32_e32 v92, 16, v85
	s_wait_loadcnt 0x11
	v_and_b32_e32 v94, 0xffff, v91
	v_lshrrev_b32_e32 v96, 16, v91
	s_wait_dscnt 0x0
	v_and_b32_e32 v32, 0xffff, v31
	v_lshrrev_b32_e32 v31, 16, v31
	;;#ASMSTART
	v_cvt_f32_f16 v30, v32;
	;;#ASMEND
	;;#ASMSTART
	v_cvt_f32_f16 v31, v31;
	;;#ASMEND
	;; [unrolled: 3-line block ×4, first 2 shown]
	ds_load_b32 v37, v11 offset:8
	v_dual_mul_f32 v31, v31, v34 :: v_dual_mul_f32 v30, v30, v32
	v_and_b32_e32 v39, 0xffff, v36
	s_wait_loadcnt 0x10
	v_and_b32_e32 v98, 0xffff, v95
	v_lshrrev_b32_e32 v99, 16, v95
	v_dual_fmac_f32 v31, v26, v27 :: v_dual_fmac_f32 v30, v28, v29
	s_wait_loadcnt 0xf
	v_lshrrev_b32_e32 v102, 16, v90
	s_wait_loadcnt 0xe
	v_and_b32_e32 v104, 0xffff, v89
	v_lshrrev_b32_e32 v105, 16, v89
	s_wait_loadcnt 0xd
	v_lshrrev_b32_e32 v108, 16, v84
	s_wait_loadcnt 0xc
	v_and_b32_e32 v110, 0xffff, v71
	v_lshrrev_b32_e32 v111, 16, v71
	;; [unrolled: 5-line block ×4, first 2 shown]
	s_wait_dscnt 0x0
	v_and_b32_e32 v38, 0xffff, v37
	v_lshrrev_b32_e32 v37, 16, v37
	;;#ASMSTART
	v_cvt_f32_f16 v36, v38;
	;;#ASMEND
	;;#ASMSTART
	v_cvt_f32_f16 v37, v37;
	;;#ASMEND
	;; [unrolled: 3-line block ×4, first 2 shown]
	ds_load_b32 v41, v11 offset:12
	v_dual_fmac_f32 v30, v36, v38 :: v_dual_and_b32 v43, 0xffff, v40
	s_wait_dscnt 0x0
	v_dual_fmac_f32 v31, v37, v39 :: v_dual_and_b32 v42, 0xffff, v41
	v_lshrrev_b32_e32 v41, 16, v41
	;;#ASMSTART
	v_cvt_f32_f16 v40, v42;
	;;#ASMEND
	;;#ASMSTART
	v_cvt_f32_f16 v41, v41;
	;;#ASMEND
	;; [unrolled: 3-line block ×4, first 2 shown]
	ds_load_b32 v45, v11 offset:16
	v_dual_fmac_f32 v30, v40, v42 :: v_dual_and_b32 v47, 0xffff, v44
	s_wait_dscnt 0x0
	v_dual_fmac_f32 v31, v41, v43 :: v_dual_and_b32 v46, 0xffff, v45
	v_lshrrev_b32_e32 v45, 16, v45
	;;#ASMSTART
	v_cvt_f32_f16 v44, v46;
	;;#ASMEND
	;;#ASMSTART
	v_cvt_f32_f16 v45, v45;
	;;#ASMEND
	;; [unrolled: 3-line block ×4, first 2 shown]
	ds_load_b32 v50, v11 offset:20
	v_dual_fmac_f32 v30, v44, v46 :: v_dual_and_b32 v75, 0xffff, v72
	v_fmac_f32_e32 v31, v45, v47
	s_wait_dscnt 0x0
	v_and_b32_e32 v51, 0xffff, v50
	v_lshrrev_b32_e32 v50, 16, v50
	;;#ASMSTART
	v_cvt_f32_f16 v49, v51;
	;;#ASMEND
	;;#ASMSTART
	v_cvt_f32_f16 v50, v50;
	;;#ASMEND
	;; [unrolled: 3-line block ×4, first 2 shown]
	ds_load_b32 v54, v11 offset:24
	v_dual_fmac_f32 v30, v49, v51 :: v_dual_fmac_f32 v31, v50, v52
	s_wait_dscnt 0x0
	v_and_b32_e32 v55, 0xffff, v54
	v_lshrrev_b32_e32 v54, 16, v54
	;;#ASMSTART
	v_cvt_f32_f16 v53, v55;
	;;#ASMEND
	;;#ASMSTART
	v_cvt_f32_f16 v54, v54;
	;;#ASMEND
	;;#ASMSTART
	v_cvt_f32_f16 v55, v56;
	;;#ASMEND
	;;#ASMSTART
	v_cvt_f32_f16 v56, v59;
	;;#ASMEND
	ds_load_b32 v59, v11 offset:28
	v_dual_fmac_f32 v30, v53, v55 :: v_dual_and_b32 v61, 0xffff, v58
	s_wait_dscnt 0x0
	v_dual_fmac_f32 v31, v54, v56 :: v_dual_and_b32 v60, 0xffff, v59
	v_lshrrev_b32_e32 v59, 16, v59
	;;#ASMSTART
	v_cvt_f32_f16 v58, v60;
	;;#ASMEND
	;;#ASMSTART
	v_cvt_f32_f16 v59, v59;
	;;#ASMEND
	;; [unrolled: 3-line block ×4, first 2 shown]
	ds_load_b32 v63, v11 offset:32
	v_dual_fmac_f32 v30, v58, v60 :: v_dual_and_b32 v65, 0xffff, v62
	s_wait_dscnt 0x0
	v_dual_fmac_f32 v31, v59, v61 :: v_dual_and_b32 v64, 0xffff, v63
	v_lshrrev_b32_e32 v63, 16, v63
	;;#ASMSTART
	v_cvt_f32_f16 v62, v64;
	;;#ASMEND
	;;#ASMSTART
	v_cvt_f32_f16 v63, v63;
	;;#ASMEND
	;; [unrolled: 3-line block ×4, first 2 shown]
	ds_load_b32 v68, v11 offset:36
	v_dual_fmac_f32 v31, v63, v65 :: v_dual_fmac_f32 v30, v62, v64
	s_wait_dscnt 0x0
	v_and_b32_e32 v69, 0xffff, v68
	v_lshrrev_b32_e32 v68, 16, v68
	;;#ASMSTART
	v_cvt_f32_f16 v67, v69;
	;;#ASMEND
	;;#ASMSTART
	v_cvt_f32_f16 v68, v68;
	;;#ASMEND
	;; [unrolled: 3-line block ×4, first 2 shown]
	ds_load_b32 v73, v11 offset:40
	v_fmac_f32_e32 v31, v68, v70
	v_dual_fmac_f32 v30, v67, v69 :: v_dual_and_b32 v79, 0xffff, v76
	s_wait_dscnt 0x0
	v_and_b32_e32 v74, 0xffff, v73
	v_lshrrev_b32_e32 v73, 16, v73
	;;#ASMSTART
	v_cvt_f32_f16 v72, v74;
	;;#ASMEND
	;;#ASMSTART
	v_cvt_f32_f16 v73, v73;
	;;#ASMEND
	;; [unrolled: 3-line block ×4, first 2 shown]
	ds_load_b32 v77, v11 offset:44
	v_dual_fmac_f32 v31, v73, v75 :: v_dual_fmac_f32 v30, v72, v74
	s_wait_dscnt 0x0
	v_and_b32_e32 v78, 0xffff, v77
	v_lshrrev_b32_e32 v77, 16, v77
	;;#ASMSTART
	v_cvt_f32_f16 v76, v78;
	;;#ASMEND
	;;#ASMSTART
	v_cvt_f32_f16 v77, v77;
	;;#ASMEND
	;; [unrolled: 3-line block ×4, first 2 shown]
	ds_load_b32 v81, v11 offset:48
	v_dual_fmac_f32 v30, v76, v78 :: v_dual_and_b32 v83, 0xffff, v80
	s_wait_dscnt 0x0
	v_dual_fmac_f32 v31, v77, v79 :: v_dual_and_b32 v82, 0xffff, v81
	v_lshrrev_b32_e32 v81, 16, v81
	;;#ASMSTART
	v_cvt_f32_f16 v80, v82;
	;;#ASMEND
	;;#ASMSTART
	v_cvt_f32_f16 v81, v81;
	;;#ASMEND
	;; [unrolled: 3-line block ×4, first 2 shown]
	ds_load_b32 v86, v11 offset:52
	v_fmac_f32_e32 v30, v80, v82
	s_wait_loadcnt 0x7
	v_lshrrev_b32_e32 v126, 16, v33
	v_fmac_f32_e32 v31, v81, v83
	s_wait_loadcnt 0x6
	v_lshrrev_b32_e32 v127, 16, v25
	s_wait_loadcnt 0x5
	v_lshrrev_b32_e32 v36, 16, v24
	;; [unrolled: 2-line block ×4, first 2 shown]
	v_and_b32_e32 v42, 0xffff, v22
	s_wait_loadcnt 0x2
	v_lshrrev_b32_e32 v44, 16, v21
	s_wait_loadcnt 0x1
	v_and_b32_e32 v46, 0xffff, v20
	s_wait_dscnt 0x0
	v_and_b32_e32 v87, 0xffff, v86
	v_lshrrev_b32_e32 v86, 16, v86
	;;#ASMSTART
	v_cvt_f32_f16 v85, v87;
	;;#ASMEND
	;;#ASMSTART
	v_cvt_f32_f16 v86, v86;
	;;#ASMEND
	;; [unrolled: 3-line block ×4, first 2 shown]
	ds_load_b32 v92, v11 offset:56
	v_dual_fmac_f32 v30, v85, v87 :: v_dual_fmac_f32 v31, v86, v88
	s_wait_dscnt 0x0
	v_and_b32_e32 v93, 0xffff, v92
	v_lshrrev_b32_e32 v92, 16, v92
	;;#ASMSTART
	v_cvt_f32_f16 v91, v93;
	;;#ASMEND
	;;#ASMSTART
	v_cvt_f32_f16 v92, v92;
	;;#ASMEND
	;;#ASMSTART
	v_cvt_f32_f16 v93, v94;
	;;#ASMEND
	;;#ASMSTART
	v_cvt_f32_f16 v94, v96;
	;;#ASMEND
	ds_load_b32 v96, v11 offset:60
	v_dual_fmac_f32 v30, v91, v93 :: v_dual_fmac_f32 v31, v92, v94
	s_wait_dscnt 0x0
	v_and_b32_e32 v97, 0xffff, v96
	v_lshrrev_b32_e32 v96, 16, v96
	;;#ASMSTART
	v_cvt_f32_f16 v95, v97;
	;;#ASMEND
	;;#ASMSTART
	v_cvt_f32_f16 v96, v96;
	;;#ASMEND
	;;#ASMSTART
	v_cvt_f32_f16 v97, v98;
	;;#ASMEND
	;;#ASMSTART
	v_cvt_f32_f16 v98, v99;
	;;#ASMEND
	ds_load_b32 v99, v11 offset:64
	v_dual_fmac_f32 v30, v95, v97 :: v_dual_and_b32 v101, 0xffff, v90
	s_wait_dscnt 0x0
	v_dual_fmac_f32 v31, v96, v98 :: v_dual_and_b32 v100, 0xffff, v99
	v_lshrrev_b32_e32 v99, 16, v99
	;;#ASMSTART
	v_cvt_f32_f16 v90, v100;
	;;#ASMEND
	;;#ASMSTART
	v_cvt_f32_f16 v99, v99;
	;;#ASMEND
	;;#ASMSTART
	v_cvt_f32_f16 v100, v101;
	;;#ASMEND
	;;#ASMSTART
	v_cvt_f32_f16 v101, v102;
	;;#ASMEND
	ds_load_b32 v102, v11 offset:68
	v_dual_fmac_f32 v30, v90, v100 :: v_dual_fmac_f32 v31, v99, v101
	s_wait_dscnt 0x0
	v_and_b32_e32 v103, 0xffff, v102
	v_lshrrev_b32_e32 v102, 16, v102
	;;#ASMSTART
	v_cvt_f32_f16 v89, v103;
	;;#ASMEND
	;;#ASMSTART
	v_cvt_f32_f16 v102, v102;
	;;#ASMEND
	;;#ASMSTART
	v_cvt_f32_f16 v103, v104;
	;;#ASMEND
	;;#ASMSTART
	v_cvt_f32_f16 v104, v105;
	;;#ASMEND
	ds_load_b32 v105, v11 offset:72
	v_dual_fmac_f32 v30, v89, v103 :: v_dual_and_b32 v107, 0xffff, v84
	s_wait_dscnt 0x0
	v_dual_fmac_f32 v31, v102, v104 :: v_dual_and_b32 v106, 0xffff, v105
	v_lshrrev_b32_e32 v105, 16, v105
	;;#ASMSTART
	v_cvt_f32_f16 v84, v106;
	;;#ASMEND
	;;#ASMSTART
	v_cvt_f32_f16 v105, v105;
	;;#ASMEND
	;;#ASMSTART
	v_cvt_f32_f16 v106, v107;
	;;#ASMEND
	;;#ASMSTART
	v_cvt_f32_f16 v107, v108;
	;;#ASMEND
	ds_load_b32 v108, v11 offset:76
	v_dual_fmac_f32 v30, v84, v106 :: v_dual_fmac_f32 v31, v105, v107
	s_wait_dscnt 0x0
	v_and_b32_e32 v109, 0xffff, v108
	v_lshrrev_b32_e32 v108, 16, v108
	;;#ASMSTART
	v_cvt_f32_f16 v71, v109;
	;;#ASMEND
	;;#ASMSTART
	v_cvt_f32_f16 v108, v108;
	;;#ASMEND
	;;#ASMSTART
	v_cvt_f32_f16 v109, v110;
	;;#ASMEND
	;;#ASMSTART
	v_cvt_f32_f16 v110, v111;
	;;#ASMEND
	ds_load_b32 v111, v11 offset:80
	v_dual_fmac_f32 v30, v71, v109 :: v_dual_and_b32 v113, 0xffff, v66
	s_wait_dscnt 0x0
	v_dual_fmac_f32 v31, v108, v110 :: v_dual_and_b32 v112, 0xffff, v111
	v_lshrrev_b32_e32 v111, 16, v111
	;;#ASMSTART
	v_cvt_f32_f16 v66, v112;
	;;#ASMEND
	;;#ASMSTART
	v_cvt_f32_f16 v111, v111;
	;;#ASMEND
	;;#ASMSTART
	v_cvt_f32_f16 v112, v113;
	;;#ASMEND
	;;#ASMSTART
	v_cvt_f32_f16 v113, v114;
	;;#ASMEND
	ds_load_b32 v114, v11 offset:84
	v_dual_fmac_f32 v30, v66, v112 :: v_dual_fmac_f32 v31, v111, v113
	s_wait_dscnt 0x0
	v_and_b32_e32 v115, 0xffff, v114
	v_lshrrev_b32_e32 v114, 16, v114
	;;#ASMSTART
	v_cvt_f32_f16 v57, v115;
	;;#ASMEND
	;;#ASMSTART
	v_cvt_f32_f16 v114, v114;
	;;#ASMEND
	;;#ASMSTART
	v_cvt_f32_f16 v115, v116;
	;;#ASMEND
	;;#ASMSTART
	v_cvt_f32_f16 v116, v117;
	;;#ASMEND
	ds_load_b32 v117, v11 offset:88
	v_dual_fmac_f32 v30, v57, v115 :: v_dual_and_b32 v119, 0xffff, v48
	s_wait_dscnt 0x0
	v_dual_fmac_f32 v31, v114, v116 :: v_dual_and_b32 v118, 0xffff, v117
	v_lshrrev_b32_e32 v117, 16, v117
	;;#ASMSTART
	v_cvt_f32_f16 v48, v118;
	;;#ASMEND
	;;#ASMSTART
	v_cvt_f32_f16 v117, v117;
	;;#ASMEND
	;; [unrolled: 3-line block ×4, first 2 shown]
	ds_load_b32 v120, v11 offset:92
	v_dual_fmac_f32 v30, v48, v118 :: v_dual_fmac_f32 v31, v117, v119
	s_wait_dscnt 0x0
	v_and_b32_e32 v121, 0xffff, v120
	v_lshrrev_b32_e32 v120, 16, v120
	;;#ASMSTART
	v_cvt_f32_f16 v35, v121;
	;;#ASMEND
	;;#ASMSTART
	v_cvt_f32_f16 v120, v120;
	;;#ASMEND
	;; [unrolled: 3-line block ×4, first 2 shown]
	ds_load_b32 v123, v11 offset:96
	v_dual_fmac_f32 v30, v35, v121 :: v_dual_and_b32 v27, 0xffff, v24
	v_and_b32_e32 v125, 0xffff, v33
	v_fmac_f32_e32 v31, v120, v122
	v_lshrrev_b32_e32 v35, 16, v20
	s_wait_dscnt 0x0
	v_and_b32_e32 v124, 0xffff, v123
	v_lshrrev_b32_e32 v123, 16, v123
	;;#ASMSTART
	v_cvt_f32_f16 v33, v124;
	;;#ASMEND
	;;#ASMSTART
	v_cvt_f32_f16 v123, v123;
	;;#ASMEND
	;; [unrolled: 3-line block ×4, first 2 shown]
	ds_load_b32 v126, v11 offset:100
	v_dual_fmac_f32 v30, v33, v124 :: v_dual_fmac_f32 v31, v123, v125
	s_wait_dscnt 0x0
	v_and_b32_e32 v32, 0xffff, v126
	v_lshrrev_b32_e32 v34, 16, v126
	v_and_b32_e32 v126, 0xffff, v25
	;;#ASMSTART
	v_cvt_f32_f16 v25, v32;
	;;#ASMEND
	;;#ASMSTART
	v_cvt_f32_f16 v28, v34;
	;;#ASMEND
	;; [unrolled: 3-line block ×4, first 2 shown]
	ds_load_b32 v34, v11 offset:104
	v_dual_fmac_f32 v30, v25, v29 :: v_dual_and_b32 v37, 0xffff, v23
	s_wait_dscnt 0x0
	v_dual_fmac_f32 v31, v28, v32 :: v_dual_and_b32 v26, 0xffff, v34
	v_lshrrev_b32_e32 v34, 16, v34
	;;#ASMSTART
	v_cvt_f32_f16 v24, v26;
	;;#ASMEND
	;;#ASMSTART
	v_cvt_f32_f16 v26, v34;
	;;#ASMEND
	;; [unrolled: 3-line block ×4, first 2 shown]
	ds_load_b32 v36, v11 offset:108
	v_dual_fmac_f32 v31, v26, v34 :: v_dual_fmac_f32 v30, v24, v27
	s_wait_loadcnt 0x0
	v_and_b32_e32 v26, 0xffff, v19
	s_wait_dscnt 0x0
	v_and_b32_e32 v38, 0xffff, v36
	v_lshrrev_b32_e32 v36, 16, v36
	;;#ASMSTART
	v_cvt_f32_f16 v23, v38;
	;;#ASMEND
	;;#ASMSTART
	v_cvt_f32_f16 v36, v36;
	;;#ASMEND
	;; [unrolled: 3-line block ×4, first 2 shown]
	ds_load_b32 v39, v11 offset:112
	v_dual_fmac_f32 v31, v36, v38 :: v_dual_fmac_f32 v30, v23, v37
	v_lshrrev_b32_e32 v23, 16, v19
	s_wait_dscnt 0x0
	v_and_b32_e32 v40, 0xffff, v39
	v_lshrrev_b32_e32 v39, 16, v39
	;;#ASMSTART
	v_cvt_f32_f16 v22, v40;
	;;#ASMEND
	;;#ASMSTART
	v_cvt_f32_f16 v39, v39;
	;;#ASMEND
	;; [unrolled: 3-line block ×4, first 2 shown]
	ds_load_b32 v42, v11 offset:116
	v_dual_fmac_f32 v30, v22, v40 :: v_dual_and_b32 v45, 0xffff, v21
	v_fmac_f32_e32 v31, v39, v41
	s_wait_alu 0xf1ff
	v_cndmask_b32_e64 v22, v5, v16, s4
	v_cmp_gt_i32_e64 s4, 32, v17
	s_wait_dscnt 0x0
	v_and_b32_e32 v43, 0xffff, v42
	v_lshrrev_b32_e32 v42, 16, v42
	;;#ASMSTART
	v_cvt_f32_f16 v21, v43;
	;;#ASMEND
	;;#ASMSTART
	v_cvt_f32_f16 v42, v42;
	;;#ASMEND
	;;#ASMSTART
	v_cvt_f32_f16 v43, v45;
	;;#ASMEND
	;;#ASMSTART
	v_cvt_f32_f16 v44, v44;
	;;#ASMEND
	ds_load_b32 v45, v11 offset:120
	v_dual_fmac_f32 v30, v21, v43 :: v_dual_fmac_f32 v31, v42, v44
	s_wait_dscnt 0x0
	v_and_b32_e32 v33, 0xffff, v45
	v_lshrrev_b32_e32 v45, 16, v45
	;;#ASMSTART
	v_cvt_f32_f16 v20, v33;
	;;#ASMEND
	;;#ASMSTART
	v_cvt_f32_f16 v25, v45;
	;;#ASMEND
	;; [unrolled: 3-line block ×4, first 2 shown]
	ds_load_b32 v32, v11 offset:124
	v_dual_fmac_f32 v30, v20, v28 :: v_dual_fmac_f32 v31, v25, v29
	s_wait_dscnt 0x0
	v_and_b32_e32 v21, 0xffff, v32
	v_lshrrev_b32_e32 v24, 16, v32
	;;#ASMSTART
	v_cvt_f32_f16 v19, v21;
	;;#ASMEND
	;;#ASMSTART
	v_cvt_f32_f16 v20, v24;
	;;#ASMEND
	;; [unrolled: 3-line block ×4, first 2 shown]
	v_dual_fmac_f32 v30, v19, v21 :: v_dual_fmac_f32 v31, v20, v23
	v_lshlrev_b32_e32 v19, 2, v22
	s_wait_alu 0xf1ff
	v_cndmask_b32_e64 v21, v5, v17, s4
	s_delay_alu instid0(VALU_DEP_3)
	v_add_f32_e32 v20, v30, v31
	ds_bpermute_b32 v19, v19, v20
	s_wait_dscnt 0x0
	v_dual_add_f32 v19, v20, v19 :: v_dual_lshlrev_b32 v20, 2, v21
	ds_bpermute_b32 v20, v20, v19
	s_and_saveexec_b32 s5, vcc_lo
	s_cbranch_execz .LBB89_9
; %bb.11:                               ;   in Loop: Header=BB89_10 Depth=1
	s_wait_dscnt 0x0
	v_add_f32_e32 v19, v19, v20
	v_add_nc_u32_e32 v21, s24, v12
	v_cmp_gt_i32_e64 s4, s13, v12
	s_delay_alu instid0(VALU_DEP_2) | instskip(NEXT) | instid1(VALU_DEP_1)
	v_cvt_f32_i32_e32 v21, v21
	v_mul_f32_e32 v21, s6, v21
	s_wait_alu 0xfffe
	s_delay_alu instid0(VALU_DEP_1) | instskip(NEXT) | instid1(VALU_DEP_1)
	v_cndmask_b32_e64 v20, 0, v21, s3
	v_dual_max_num_f32 v21, v8, v8 :: v_dual_fmac_f32 v20, s7, v19
	s_delay_alu instid0(VALU_DEP_1) | instskip(SKIP_2) | instid1(VALU_DEP_2)
	v_max_num_f32_e32 v19, v21, v20
	s_wait_alu 0xf1ff
	v_cndmask_b32_e64 v20, 0, v20, s4
	v_cndmask_b32_e64 v8, v8, v19, s4
	ds_store_b32 v13, v20
	s_branch .LBB89_9
.LBB89_12:
	s_or_b32 exec_lo, exec_lo, s10
.LBB89_13:
	s_delay_alu instid0(SALU_CYCLE_1)
	s_or_b32 exec_lo, exec_lo, s11
	v_xor_b32_e32 v1, 16, v5
	v_xor_b32_e32 v11, 8, v5
	s_clause 0x2
	s_load_b128 s[4:7], s[0:1], 0x0
	s_load_b64 s[10:11], s[0:1], 0x10
	s_load_b64 s[24:25], s[0:1], 0x28
	v_max_num_f32_e32 v12, v8, v8
	v_cmp_lt_i32_e32 vcc_lo, v1, v7
	v_cndmask_b32_e32 v1, v5, v1, vcc_lo
	v_cmp_lt_i32_e32 vcc_lo, v11, v7
	s_delay_alu instid0(VALU_DEP_2) | instskip(SKIP_4) | instid1(VALU_DEP_1)
	v_lshlrev_b32_e32 v2, 2, v1
	ds_bpermute_b32 v1, v2, v8
	s_wait_dscnt 0x0
	v_max_num_f32_e32 v1, v1, v1
	s_wait_alu 0xfffd
	v_dual_cndmask_b32 v8, v5, v11 :: v_dual_max_num_f32 v1, v12, v1
	s_delay_alu instid0(VALU_DEP_1)
	v_lshlrev_b32_e32 v8, 2, v8
	v_xor_b32_e32 v12, 4, v5
	ds_bpermute_b32 v11, v8, v1
	v_cmp_lt_i32_e32 vcc_lo, v12, v7
	s_wait_alu 0xfffd
	v_cndmask_b32_e32 v12, v5, v12, vcc_lo
	s_delay_alu instid0(VALU_DEP_1) | instskip(SKIP_2) | instid1(VALU_DEP_1)
	v_lshlrev_b32_e32 v14, 2, v12
	s_wait_dscnt 0x0
	v_dual_max_num_f32 v11, v11, v11 :: v_dual_lshlrev_b32 v12, 2, v9
	v_max_num_f32_e32 v1, v1, v11
	v_and_b32_e32 v11, 31, v0
	ds_bpermute_b32 v13, v14, v1
	v_cmp_eq_u32_e32 vcc_lo, 0, v11
	s_and_saveexec_b32 s0, vcc_lo
	s_cbranch_execz .LBB89_15
; %bb.14:
	s_wait_dscnt 0x0
	v_max_num_f32_e32 v13, v13, v13
	v_max_num_f32_e32 v1, v1, v1
	s_delay_alu instid0(VALU_DEP_1)
	v_max_num_f32_e32 v1, v1, v13
	ds_store_b32 v12, v1 offset:512
.LBB89_15:
	s_or_b32 exec_lo, exec_lo, s0
	v_cmp_gt_u32_e64 s0, 4, v11
	v_mov_b32_e32 v1, 0xff7fffff
	s_wait_dscnt 0x0
	v_lshlrev_b32_e32 v13, 2, v11
	s_wait_loadcnt 0x0
	s_barrier_signal -1
	s_barrier_wait -1
	global_inv scope:SCOPE_SE
	s_and_saveexec_b32 s1, s0
; %bb.16:
	ds_load_b32 v1, v13 offset:512
; %bb.17:
	s_or_b32 exec_lo, exec_lo, s1
	v_xor_b32_e32 v15, 2, v5
	v_xor_b32_e32 v17, 1, v5
	v_lshlrev_b32_e32 v6, 2, v6
	s_delay_alu instid0(VALU_DEP_3) | instskip(NEXT) | instid1(VALU_DEP_1)
	v_cmp_lt_i32_e64 s1, v15, v7
	v_cndmask_b32_e64 v15, v5, v15, s1
	s_delay_alu instid0(VALU_DEP_4) | instskip(NEXT) | instid1(VALU_DEP_2)
	v_cmp_lt_i32_e64 s1, v17, v7
	v_lshlrev_b32_e32 v15, 2, v15
	s_wait_alu 0xf1ff
	s_delay_alu instid0(VALU_DEP_2)
	v_cndmask_b32_e64 v7, v5, v17, s1
	s_sub_co_i32 s1, s15, s28
	s_wait_alu 0xfffe
	s_lshl_b32 s1, s1, 3
	s_wait_dscnt 0x0
	ds_bpermute_b32 v16, v15, v1
	v_max_num_f32_e32 v1, v1, v1
	v_lshlrev_b32_e32 v7, 2, v7
	s_wait_alu 0xfffe
	s_add_co_i32 s1, s1, s12
	s_wait_alu 0xfffe
	s_min_i32 s1, s1, s13
	s_wait_alu 0xfffe
	s_sub_co_i32 s21, s1, s12
	s_wait_alu 0xfffe
	v_cmp_gt_i32_e64 s1, s21, v0
	s_wait_dscnt 0x0
	v_max_num_f32_e32 v16, v16, v16
	s_delay_alu instid0(VALU_DEP_1) | instskip(SKIP_3) | instid1(VALU_DEP_1)
	v_max_num_f32_e32 v1, v1, v16
	ds_bpermute_b32 v16, v7, v1
	s_wait_dscnt 0x0
	v_max_num_f32_e32 v16, v16, v16
	v_dual_max_num_f32 v1, v1, v16 :: v_dual_mov_b32 v16, 0
	ds_bpermute_b32 v1, v6, v1
	v_lshl_add_u32 v6, v0, 2, 0x220
	s_and_saveexec_b32 s28, s1
	s_cbranch_execz .LBB89_21
; %bb.18:
	v_lshl_add_u32 v17, v0, 2, 0x220
	v_mov_b32_e32 v16, 0
	v_mov_b32_e32 v18, v0
	s_mov_b32 s29, 0
.LBB89_19:                              ; =>This Inner Loop Header: Depth=1
	ds_load_b32 v19, v17
	v_add_nc_u32_e32 v18, 0x80, v18
	s_delay_alu instid0(VALU_DEP_1) | instskip(SKIP_4) | instid1(VALU_DEP_1)
	v_cmp_le_i32_e64 s3, s21, v18
	s_wait_alu 0xfffe
	s_or_b32 s29, s3, s29
	s_wait_dscnt 0x0
	v_sub_f32_e32 v19, v19, v1
	v_mul_f32_e32 v19, 0x3fb8aa3b, v19
	s_delay_alu instid0(VALU_DEP_1)
	v_exp_f32_e32 v19, v19
	ds_store_b32 v17, v19
	v_dual_add_f32 v16, v16, v19 :: v_dual_add_nc_u32 v17, 0x200, v17
	s_wait_alu 0xfffe
	s_and_not1_b32 exec_lo, exec_lo, s29
	s_cbranch_execnz .LBB89_19
; %bb.20:
	s_or_b32 exec_lo, exec_lo, s29
.LBB89_21:
	s_wait_alu 0xfffe
	s_or_b32 exec_lo, exec_lo, s28
	ds_bpermute_b32 v2, v2, v16
	s_wait_dscnt 0x0
	v_add_f32_e32 v2, v16, v2
	ds_bpermute_b32 v8, v8, v2
	s_wait_dscnt 0x0
	v_add_f32_e32 v2, v2, v8
	;; [unrolled: 3-line block ×5, first 2 shown]
	s_and_saveexec_b32 s3, vcc_lo
; %bb.22:
	ds_store_b32 v12, v2 offset:528
; %bb.23:
	s_wait_alu 0xfffe
	s_or_b32 exec_lo, exec_lo, s3
	s_wait_loadcnt_dscnt 0x0
	s_barrier_signal -1
	s_barrier_wait -1
	global_inv scope:SCOPE_SE
	s_and_saveexec_b32 s3, s0
; %bb.24:
	ds_load_b32 v2, v13 offset:528
; %bb.25:
	s_wait_alu 0xfffe
	s_or_b32 exec_lo, exec_lo, s3
	s_wait_dscnt 0x0
	ds_bpermute_b32 v8, v15, v2
	v_lshlrev_b32_e32 v5, 2, v5
	s_wait_dscnt 0x0
	s_delay_alu instid0(VALU_DEP_1)
	v_dual_add_f32 v2, v2, v8 :: v_dual_and_b32 v5, 0xffffff80, v5
	ds_bpermute_b32 v7, v7, v2
	s_wait_dscnt 0x0
	v_add_f32_e32 v2, v2, v7
	ds_bpermute_b32 v2, v5, v2
	s_and_saveexec_b32 s0, s1
	s_cbranch_execz .LBB89_28
; %bb.26:
	s_wait_dscnt 0x0
	v_add_f32_e32 v5, 0x358637bd, v2
	s_mov_b32 s1, 0
	s_delay_alu instid0(VALU_DEP_1) | instskip(NEXT) | instid1(VALU_DEP_1)
	v_div_scale_f32 v7, null, v5, v5, 1.0
	v_rcp_f32_e32 v8, v7
	s_delay_alu instid0(TRANS32_DEP_1) | instskip(NEXT) | instid1(VALU_DEP_1)
	v_fma_f32 v12, -v7, v8, 1.0
	v_fmac_f32_e32 v8, v12, v8
	v_div_scale_f32 v13, vcc_lo, 1.0, v5, 1.0
	s_delay_alu instid0(VALU_DEP_1) | instskip(NEXT) | instid1(VALU_DEP_1)
	v_mul_f32_e32 v12, v13, v8
	v_fma_f32 v14, -v7, v12, v13
	s_delay_alu instid0(VALU_DEP_1) | instskip(NEXT) | instid1(VALU_DEP_1)
	v_fmac_f32_e32 v12, v14, v8
	v_fma_f32 v7, -v7, v12, v13
	s_wait_alu 0xfffd
	s_delay_alu instid0(VALU_DEP_1) | instskip(NEXT) | instid1(VALU_DEP_1)
	v_div_fmas_f32 v7, v7, v8, v12
	v_div_fixup_f32 v5, v7, v5, 1.0
	v_mov_b32_e32 v7, v0
.LBB89_27:                              ; =>This Inner Loop Header: Depth=1
	ds_load_b32 v8, v6
	s_wait_dscnt 0x0
	v_dual_mul_f32 v8, v5, v8 :: v_dual_add_nc_u32 v7, 0x80, v7
	s_delay_alu instid0(VALU_DEP_1)
	v_cmp_le_i32_e32 vcc_lo, s21, v7
	ds_store_b32 v6, v8
	v_add_nc_u32_e32 v6, 0x200, v6
	s_wait_alu 0xfffe
	s_or_b32 s1, vcc_lo, s1
	s_wait_alu 0xfffe
	s_and_not1_b32 exec_lo, exec_lo, s1
	s_cbranch_execnz .LBB89_27
.LBB89_28:
	s_wait_alu 0xfffe
	s_or_b32 exec_lo, exec_lo, s0
	s_wait_kmcnt 0x0
	s_mul_i32 s0, s8, s22
	s_wait_loadcnt_dscnt 0x0
	s_wait_alu 0xfffe
	s_mul_i32 s22, s0, s23
	s_mov_b32 s0, exec_lo
	s_barrier_signal -1
	s_barrier_wait -1
	global_inv scope:SCOPE_SE
	v_cmpx_eq_u32_e32 0, v0
	s_cbranch_execz .LBB89_30
; %bb.29:
	s_ashr_i32 s23, s22, 31
	s_wait_alu 0xfffe
	s_mul_i32 s28, s8, ttmp9
	s_lshl_b32 s1, s26, 2
	s_lshl_b64 s[30:31], s[22:23], 2
	s_wait_alu 0xfffe
	s_ashr_i32 s29, s28, 31
	v_mov_b32_e32 v5, s1
	s_add_nc_u64 s[6:7], s[6:7], s[30:31]
	s_wait_alu 0xfffe
	s_lshl_b64 s[28:29], s[28:29], 2
	s_add_nc_u64 s[4:5], s[4:5], s[30:31]
	s_wait_alu 0xfffe
	s_add_nc_u64 s[6:7], s[6:7], s[28:29]
	s_add_nc_u64 s[4:5], s[4:5], s[28:29]
	s_clause 0x1
	global_store_b32 v5, v1, s[6:7]
	global_store_b32 v5, v2, s[4:5]
.LBB89_30:
	s_wait_alu 0xfffe
	s_or_b32 exec_lo, exec_lo, s0
	v_dual_mov_b32 v19, 0 :: v_dual_mov_b32 v18, 0
	v_dual_mov_b32 v17, 0 :: v_dual_mov_b32 v16, 0
	;; [unrolled: 1-line block ×4, first 2 shown]
	s_and_saveexec_b32 s1, s2
	s_cbranch_execz .LBB89_50
; %bb.31:
	s_ashr_i32 s21, s20, 31
	v_dual_mov_b32 v12, 0 :: v_dual_lshlrev_b32 v1, 4, v11
	s_wait_alu 0xfffe
	s_lshl_b64 s[2:3], s[20:21], 1
	v_add3_u32 v22, s12, v4, 7
	s_wait_alu 0xfffe
	s_add_nc_u64 s[2:3], s[24:25], s[2:3]
	v_lshl_add_u32 v23, v9, 5, 0x220
	s_wait_alu 0xfffe
	v_add_co_u32 v20, s0, s2, v1
	s_wait_alu 0xf1ff
	v_add_co_ci_u32_e64 v21, null, s3, 0, s0
	s_lshl_b64 s[2:3], s[16:17], 2
	v_dual_mov_b32 v13, 0 :: v_dual_mov_b32 v14, 0
	s_wait_alu 0xfffe
	s_add_nc_u64 s[2:3], s[18:19], s[2:3]
	v_dual_mov_b32 v15, 0 :: v_dual_mov_b32 v16, 0
	s_wait_alu 0xfffe
	v_add_co_u32 v5, s0, s2, v3
	s_wait_alu 0xf1ff
	v_add_co_ci_u32_e64 v6, null, s3, 0, s0
	v_dual_mov_b32 v17, 0 :: v_dual_mov_b32 v18, 0
	v_mov_b32_e32 v19, 0
	s_mov_b32 s2, s9
	s_add_co_i32 s27, s27, -1
	s_mov_b32 s3, 0
	s_branch .LBB89_33
.LBB89_32:                              ;   in Loop: Header=BB89_33 Depth=1
	s_wait_alu 0xfffe
	s_or_b32 exec_lo, exec_lo, s0
	v_dual_add_f32 v24, v48, v49 :: v_dual_add_f32 v25, v45, v46
	v_lshlrev_b32_e32 v26, 16, v47
	v_lshlrev_b32_e32 v8, 16, v8
	v_add_nc_u32_e32 v10, 4, v10
	s_delay_alu instid0(VALU_DEP_4)
	v_dual_add_f32 v14, v14, v25 :: v_dual_lshlrev_b32 v7, 16, v7
	v_add_f32_e32 v13, v13, v24
	v_and_or_b32 v1, 0xffff, v1, v26
	v_add_f32_e32 v25, v41, v42
	v_and_or_b32 v2, 0xffff, v2, v8
	v_and_or_b32 v3, 0xffff, v3, v7
	;;#ASMSTART
	v_pk_mul_f16 v1, v32, v1;

	;;#ASMEND
	;;#ASMSTART
	v_pk_mul_f16 v2, v31, v2;

	;;#ASMEND
	;; [unrolled: 4-line block ×4, first 2 shown]
	;;#ASMSTART
	v_pk_add_f16 v1, v1, v2;

	;;#ASMEND
	;;#ASMSTART
	v_pk_add_f16 v1, v1, v3;

	;;#ASMEND
	;; [unrolled: 4-line block ×3, first 2 shown]
	v_and_b32_e32 v4, 0xffff, v1
	v_lshrrev_b32_e32 v7, 16, v1
	v_add_f32_e32 v1, v39, v40
	;;#ASMSTART
	v_cvt_f32_f16 v4, v4;
	;;#ASMEND
	v_add_f32_e32 v24, v43, v44
	v_dual_add_f32 v2, v37, v38 :: v_dual_add_f32 v3, v35, v36
	;;#ASMSTART
	v_cvt_f32_f16 v7, v7;
	;;#ASMEND
	v_add_f32_e32 v4, v4, v7
	v_cmp_le_i32_e32 vcc_lo, s15, v10
	v_add_co_u32 v5, s0, v5, 16
	v_add_f32_e32 v16, v16, v25
	v_add_f32_e32 v17, v17, v1
	v_dual_add_f32 v15, v15, v24 :: v_dual_add_f32 v18, v18, v2
	v_dual_add_f32 v19, v19, v3 :: v_dual_add_f32 v12, v12, v4
	v_add_nc_u32_e32 v23, 0x80, v23
	v_add_nc_u32_e32 v22, 32, v22
	s_wait_alu 0xf1ff
	v_add_co_ci_u32_e64 v6, null, 0, v6, s0
	s_or_b32 s3, vcc_lo, s3
	s_wait_alu 0xfffe
	s_and_not1_b32 exec_lo, exec_lo, s3
	s_cbranch_execz .LBB89_49
.LBB89_33:                              ; =>This Inner Loop Header: Depth=1
	global_load_b32 v7, v[5:6], off
	ds_load_2addr_b64 v[1:4], v23 offset1:1
	ds_load_2addr_b64 v[24:27], v23 offset0:2 offset1:3
	v_add_nc_u32_e32 v28, -7, v22
	v_add_nc_u32_e32 v30, -6, v22
	;; [unrolled: 1-line block ×3, first 2 shown]
	s_wait_dscnt 0x1
	;;#ASMSTART
	v_cvt_f16_f32 v32, v1;

	;;#ASMEND
	;;#ASMSTART
	v_cvt_f16_f32 v31, v2;

	;;#ASMEND
	;; [unrolled: 4-line block ×4, first 2 shown]
	s_wait_dscnt 0x0
	;;#ASMSTART
	v_cvt_f16_f32 v38, v24;

	;;#ASMEND
	;;#ASMSTART
	v_cvt_f16_f32 v33, v25;

	;;#ASMEND
	;; [unrolled: 4-line block ×4, first 2 shown]
	v_add_nc_u32_e32 v26, -4, v22
	v_add_nc_u32_e32 v25, -3, v22
	;; [unrolled: 1-line block ×4, first 2 shown]
	s_wait_loadcnt 0x0
	s_wait_alu 0xfffe
	v_mad_co_i64_i32 v[7:8], null, v7, s2, 0
	s_delay_alu instid0(VALU_DEP_1) | instskip(NEXT) | instid1(VALU_DEP_1)
	v_lshlrev_b64_e32 v[7:8], 1, v[7:8]
	v_add_co_u32 v7, vcc_lo, v20, v7
	s_wait_alu 0xfffd
	s_delay_alu instid0(VALU_DEP_2)
	v_add_co_ci_u32_e64 v8, null, v21, v8, vcc_lo
	v_cmp_eq_u32_e32 vcc_lo, s27, v10
	global_load_b128 v[1:4], v[7:8], off
	s_wait_loadcnt 0x0
	v_lshrrev_b32_e32 v41, 16, v1
	v_lshrrev_b32_e32 v40, 16, v2
	;; [unrolled: 1-line block ×3, first 2 shown]
	s_and_saveexec_b32 s4, vcc_lo
	s_cbranch_execz .LBB89_35
; %bb.34:                               ;   in Loop: Header=BB89_33 Depth=1
	v_cmp_gt_i32_e64 s0, s13, v28
	v_and_b32_e32 v42, 0xffff, v4
	v_and_b32_e32 v4, 0xffff0000, v4
	s_wait_alu 0xf1ff
	s_delay_alu instid0(VALU_DEP_3) | instskip(SKIP_2) | instid1(VALU_DEP_1)
	v_cndmask_b32_e64 v1, 0, v1, s0
	v_cmp_gt_i32_e64 s0, s13, v30
	s_wait_alu 0xf1ff
	v_cndmask_b32_e64 v41, 0, v41, s0
	v_cmp_gt_i32_e64 s0, s13, v29
	s_wait_alu 0xf1ff
	s_delay_alu instid0(VALU_DEP_1) | instskip(SKIP_2) | instid1(VALU_DEP_1)
	v_cndmask_b32_e64 v2, 0, v2, s0
	v_cmp_gt_i32_e64 s0, s13, v26
	s_wait_alu 0xf1ff
	v_cndmask_b32_e64 v40, 0, v40, s0
	v_cmp_gt_i32_e64 s0, s13, v27
	s_wait_alu 0xf1ff
	s_delay_alu instid0(VALU_DEP_1) | instskip(SKIP_2) | instid1(VALU_DEP_1)
	v_cndmask_b32_e64 v42, 0, v42, s0
	v_cmp_gt_i32_e64 s0, s13, v22
	s_wait_alu 0xf1ff
	v_cndmask_b32_e64 v4, 0, v4, s0
	v_cmp_gt_i32_e64 s0, s13, v25
	s_delay_alu instid0(VALU_DEP_2) | instskip(SKIP_1) | instid1(VALU_DEP_2)
	v_or_b32_e32 v4, v42, v4
	s_wait_alu 0xf1ff
	v_cndmask_b32_e64 v3, 0, v3, s0
	v_cmp_gt_i32_e64 s0, s13, v24
	s_wait_alu 0xf1ff
	s_delay_alu instid0(VALU_DEP_1)
	v_cndmask_b32_e64 v39, 0, v39, s0
.LBB89_35:                              ;   in Loop: Header=BB89_33 Depth=1
	s_wait_alu 0xfffe
	s_or_b32 exec_lo, exec_lo, s4
	v_and_b32_e32 v32, 0xffff, v32
	v_and_b32_e32 v37, 0xffff, v37
	v_lshlrev_b32_e32 v41, 16, v41
	v_and_b32_e32 v38, 0xffff, v38
	v_and_b32_e32 v36, 0xffff, v36
	v_lshl_or_b32 v32, v31, 16, v32
	v_lshl_or_b32 v31, v35, 16, v37
	v_lshlrev_b32_e32 v35, 16, v40
	v_lshlrev_b32_e32 v37, 16, v39
	v_and_or_b32 v1, 0xffff, v1, v41
	;;#ASMSTART
	v_pk_mul_f16 v1, v32, v1;

	;;#ASMEND
	v_lshl_or_b32 v33, v33, 16, v38
	v_and_or_b32 v2, 0xffff, v2, v35
	v_and_or_b32 v3, 0xffff, v3, v37
	v_lshl_or_b32 v34, v34, 16, v36
	;;#ASMSTART
	v_pk_mul_f16 v2, v31, v2;

	;;#ASMEND
	;;#ASMSTART
	v_pk_mul_f16 v3, v33, v3;

	;;#ASMEND
	;; [unrolled: 4-line block ×3, first 2 shown]
	;;#ASMSTART
	v_pk_add_f16 v1, v1, v2;

	;;#ASMEND
	;;#ASMSTART
	v_pk_add_f16 v1, v1, v3;

	;;#ASMEND
	;; [unrolled: 4-line block ×3, first 2 shown]
	v_and_b32_e32 v2, 0xffff, v1
	v_lshrrev_b32_e32 v1, 16, v1
	;;#ASMSTART
	v_cvt_f32_f16 v35, v2;
	;;#ASMEND
	;;#ASMSTART
	v_cvt_f32_f16 v36, v1;
	;;#ASMEND
	global_load_b128 v[1:4], v[7:8], off offset:512
	s_wait_loadcnt 0x0
	v_lshrrev_b32_e32 v39, 16, v1
	v_lshrrev_b32_e32 v38, 16, v2
	;; [unrolled: 1-line block ×3, first 2 shown]
	s_and_saveexec_b32 s4, vcc_lo
	s_cbranch_execz .LBB89_37
; %bb.36:                               ;   in Loop: Header=BB89_33 Depth=1
	v_cmp_gt_i32_e64 s0, s13, v28
	v_and_b32_e32 v40, 0xffff, v4
	v_and_b32_e32 v4, 0xffff0000, v4
	s_wait_alu 0xf1ff
	s_delay_alu instid0(VALU_DEP_3) | instskip(SKIP_2) | instid1(VALU_DEP_1)
	v_cndmask_b32_e64 v1, 0, v1, s0
	v_cmp_gt_i32_e64 s0, s13, v30
	s_wait_alu 0xf1ff
	v_cndmask_b32_e64 v39, 0, v39, s0
	v_cmp_gt_i32_e64 s0, s13, v29
	s_wait_alu 0xf1ff
	s_delay_alu instid0(VALU_DEP_1) | instskip(SKIP_2) | instid1(VALU_DEP_1)
	v_cndmask_b32_e64 v2, 0, v2, s0
	v_cmp_gt_i32_e64 s0, s13, v26
	s_wait_alu 0xf1ff
	v_cndmask_b32_e64 v38, 0, v38, s0
	v_cmp_gt_i32_e64 s0, s13, v27
	s_wait_alu 0xf1ff
	s_delay_alu instid0(VALU_DEP_1) | instskip(SKIP_2) | instid1(VALU_DEP_1)
	v_cndmask_b32_e64 v40, 0, v40, s0
	v_cmp_gt_i32_e64 s0, s13, v22
	s_wait_alu 0xf1ff
	v_cndmask_b32_e64 v4, 0, v4, s0
	v_cmp_gt_i32_e64 s0, s13, v25
	s_delay_alu instid0(VALU_DEP_2) | instskip(SKIP_1) | instid1(VALU_DEP_2)
	v_or_b32_e32 v4, v40, v4
	s_wait_alu 0xf1ff
	v_cndmask_b32_e64 v3, 0, v3, s0
	v_cmp_gt_i32_e64 s0, s13, v24
	s_wait_alu 0xf1ff
	s_delay_alu instid0(VALU_DEP_1)
	v_cndmask_b32_e64 v37, 0, v37, s0
.LBB89_37:                              ;   in Loop: Header=BB89_33 Depth=1
	s_wait_alu 0xfffe
	s_or_b32 exec_lo, exec_lo, s4
	v_lshlrev_b32_e32 v39, 16, v39
	v_lshlrev_b32_e32 v38, 16, v38
	;; [unrolled: 1-line block ×3, first 2 shown]
	s_delay_alu instid0(VALU_DEP_3) | instskip(NEXT) | instid1(VALU_DEP_3)
	v_and_or_b32 v1, 0xffff, v1, v39
	v_and_or_b32 v2, 0xffff, v2, v38
	s_delay_alu instid0(VALU_DEP_3)
	v_and_or_b32 v3, 0xffff, v3, v37
	;;#ASMSTART
	v_pk_mul_f16 v1, v32, v1;

	;;#ASMEND
	;;#ASMSTART
	v_pk_mul_f16 v2, v31, v2;

	;;#ASMEND
	;; [unrolled: 4-line block ×4, first 2 shown]
	;;#ASMSTART
	v_pk_add_f16 v1, v1, v2;

	;;#ASMEND
	;;#ASMSTART
	v_pk_add_f16 v1, v1, v3;

	;;#ASMEND
	;;#ASMSTART
	v_pk_add_f16 v1, v1, v4;

	;;#ASMEND
	v_and_b32_e32 v2, 0xffff, v1
	v_lshrrev_b32_e32 v1, 16, v1
	;;#ASMSTART
	v_cvt_f32_f16 v37, v2;
	;;#ASMEND
	;;#ASMSTART
	v_cvt_f32_f16 v38, v1;
	;;#ASMEND
	global_load_b128 v[1:4], v[7:8], off offset:1024
	s_wait_loadcnt 0x0
	v_lshrrev_b32_e32 v41, 16, v1
	v_lshrrev_b32_e32 v40, 16, v2
	;; [unrolled: 1-line block ×3, first 2 shown]
	s_and_saveexec_b32 s4, vcc_lo
	s_cbranch_execz .LBB89_39
; %bb.38:                               ;   in Loop: Header=BB89_33 Depth=1
	v_cmp_gt_i32_e64 s0, s13, v28
	v_and_b32_e32 v42, 0xffff, v4
	v_and_b32_e32 v4, 0xffff0000, v4
	s_wait_alu 0xf1ff
	s_delay_alu instid0(VALU_DEP_3) | instskip(SKIP_2) | instid1(VALU_DEP_1)
	v_cndmask_b32_e64 v1, 0, v1, s0
	v_cmp_gt_i32_e64 s0, s13, v30
	s_wait_alu 0xf1ff
	v_cndmask_b32_e64 v41, 0, v41, s0
	v_cmp_gt_i32_e64 s0, s13, v29
	s_wait_alu 0xf1ff
	s_delay_alu instid0(VALU_DEP_1) | instskip(SKIP_2) | instid1(VALU_DEP_1)
	v_cndmask_b32_e64 v2, 0, v2, s0
	v_cmp_gt_i32_e64 s0, s13, v26
	s_wait_alu 0xf1ff
	v_cndmask_b32_e64 v40, 0, v40, s0
	v_cmp_gt_i32_e64 s0, s13, v27
	s_wait_alu 0xf1ff
	s_delay_alu instid0(VALU_DEP_1) | instskip(SKIP_2) | instid1(VALU_DEP_1)
	v_cndmask_b32_e64 v42, 0, v42, s0
	v_cmp_gt_i32_e64 s0, s13, v22
	s_wait_alu 0xf1ff
	v_cndmask_b32_e64 v4, 0, v4, s0
	v_cmp_gt_i32_e64 s0, s13, v25
	s_delay_alu instid0(VALU_DEP_2) | instskip(SKIP_1) | instid1(VALU_DEP_2)
	v_or_b32_e32 v4, v42, v4
	s_wait_alu 0xf1ff
	v_cndmask_b32_e64 v3, 0, v3, s0
	v_cmp_gt_i32_e64 s0, s13, v24
	s_wait_alu 0xf1ff
	s_delay_alu instid0(VALU_DEP_1)
	v_cndmask_b32_e64 v39, 0, v39, s0
.LBB89_39:                              ;   in Loop: Header=BB89_33 Depth=1
	s_wait_alu 0xfffe
	s_or_b32 exec_lo, exec_lo, s4
	v_lshlrev_b32_e32 v41, 16, v41
	v_lshlrev_b32_e32 v40, 16, v40
	;; [unrolled: 1-line block ×3, first 2 shown]
	s_delay_alu instid0(VALU_DEP_3) | instskip(NEXT) | instid1(VALU_DEP_3)
	v_and_or_b32 v1, 0xffff, v1, v41
	v_and_or_b32 v2, 0xffff, v2, v40
	s_delay_alu instid0(VALU_DEP_3)
	v_and_or_b32 v3, 0xffff, v3, v39
	;;#ASMSTART
	v_pk_mul_f16 v1, v32, v1;

	;;#ASMEND
	;;#ASMSTART
	v_pk_mul_f16 v2, v31, v2;

	;;#ASMEND
	;; [unrolled: 4-line block ×4, first 2 shown]
	;;#ASMSTART
	v_pk_add_f16 v1, v1, v2;

	;;#ASMEND
	;;#ASMSTART
	v_pk_add_f16 v1, v1, v3;

	;;#ASMEND
	;; [unrolled: 4-line block ×3, first 2 shown]
	v_and_b32_e32 v2, 0xffff, v1
	v_lshrrev_b32_e32 v1, 16, v1
	;;#ASMSTART
	v_cvt_f32_f16 v39, v2;
	;;#ASMEND
	;;#ASMSTART
	v_cvt_f32_f16 v40, v1;
	;;#ASMEND
	global_load_b128 v[1:4], v[7:8], off offset:1536
	s_wait_loadcnt 0x0
	v_lshrrev_b32_e32 v43, 16, v1
	v_lshrrev_b32_e32 v42, 16, v2
	;; [unrolled: 1-line block ×3, first 2 shown]
	s_and_saveexec_b32 s4, vcc_lo
	s_cbranch_execz .LBB89_41
; %bb.40:                               ;   in Loop: Header=BB89_33 Depth=1
	v_cmp_gt_i32_e64 s0, s13, v28
	v_and_b32_e32 v44, 0xffff, v4
	v_and_b32_e32 v4, 0xffff0000, v4
	s_wait_alu 0xf1ff
	s_delay_alu instid0(VALU_DEP_3) | instskip(SKIP_2) | instid1(VALU_DEP_1)
	v_cndmask_b32_e64 v1, 0, v1, s0
	v_cmp_gt_i32_e64 s0, s13, v30
	s_wait_alu 0xf1ff
	v_cndmask_b32_e64 v43, 0, v43, s0
	v_cmp_gt_i32_e64 s0, s13, v29
	s_wait_alu 0xf1ff
	s_delay_alu instid0(VALU_DEP_1) | instskip(SKIP_2) | instid1(VALU_DEP_1)
	v_cndmask_b32_e64 v2, 0, v2, s0
	v_cmp_gt_i32_e64 s0, s13, v26
	s_wait_alu 0xf1ff
	v_cndmask_b32_e64 v42, 0, v42, s0
	v_cmp_gt_i32_e64 s0, s13, v27
	s_wait_alu 0xf1ff
	s_delay_alu instid0(VALU_DEP_1) | instskip(SKIP_2) | instid1(VALU_DEP_1)
	v_cndmask_b32_e64 v44, 0, v44, s0
	v_cmp_gt_i32_e64 s0, s13, v22
	s_wait_alu 0xf1ff
	v_cndmask_b32_e64 v4, 0, v4, s0
	v_cmp_gt_i32_e64 s0, s13, v25
	s_delay_alu instid0(VALU_DEP_2) | instskip(SKIP_1) | instid1(VALU_DEP_2)
	v_or_b32_e32 v4, v44, v4
	s_wait_alu 0xf1ff
	v_cndmask_b32_e64 v3, 0, v3, s0
	v_cmp_gt_i32_e64 s0, s13, v24
	s_wait_alu 0xf1ff
	s_delay_alu instid0(VALU_DEP_1)
	v_cndmask_b32_e64 v41, 0, v41, s0
.LBB89_41:                              ;   in Loop: Header=BB89_33 Depth=1
	s_wait_alu 0xfffe
	s_or_b32 exec_lo, exec_lo, s4
	v_lshlrev_b32_e32 v43, 16, v43
	v_lshlrev_b32_e32 v42, 16, v42
	v_lshlrev_b32_e32 v41, 16, v41
	s_delay_alu instid0(VALU_DEP_3) | instskip(NEXT) | instid1(VALU_DEP_3)
	v_and_or_b32 v1, 0xffff, v1, v43
	v_and_or_b32 v2, 0xffff, v2, v42
	s_delay_alu instid0(VALU_DEP_3)
	v_and_or_b32 v3, 0xffff, v3, v41
	;;#ASMSTART
	v_pk_mul_f16 v1, v32, v1;

	;;#ASMEND
	;;#ASMSTART
	v_pk_mul_f16 v2, v31, v2;

	;;#ASMEND
	;; [unrolled: 4-line block ×4, first 2 shown]
	;;#ASMSTART
	v_pk_add_f16 v1, v1, v2;

	;;#ASMEND
	;;#ASMSTART
	v_pk_add_f16 v1, v1, v3;

	;;#ASMEND
	;;#ASMSTART
	v_pk_add_f16 v1, v1, v4;

	;;#ASMEND
	v_and_b32_e32 v2, 0xffff, v1
	v_lshrrev_b32_e32 v1, 16, v1
	;;#ASMSTART
	v_cvt_f32_f16 v41, v2;
	;;#ASMEND
	;;#ASMSTART
	v_cvt_f32_f16 v42, v1;
	;;#ASMEND
	global_load_b128 v[1:4], v[7:8], off offset:2048
	s_wait_loadcnt 0x0
	v_lshrrev_b32_e32 v45, 16, v1
	v_lshrrev_b32_e32 v44, 16, v2
	;; [unrolled: 1-line block ×3, first 2 shown]
	s_and_saveexec_b32 s4, vcc_lo
	s_cbranch_execz .LBB89_43
; %bb.42:                               ;   in Loop: Header=BB89_33 Depth=1
	v_cmp_gt_i32_e64 s0, s13, v28
	v_and_b32_e32 v46, 0xffff, v4
	v_and_b32_e32 v4, 0xffff0000, v4
	s_wait_alu 0xf1ff
	s_delay_alu instid0(VALU_DEP_3) | instskip(SKIP_2) | instid1(VALU_DEP_1)
	v_cndmask_b32_e64 v1, 0, v1, s0
	v_cmp_gt_i32_e64 s0, s13, v30
	s_wait_alu 0xf1ff
	v_cndmask_b32_e64 v45, 0, v45, s0
	v_cmp_gt_i32_e64 s0, s13, v29
	s_wait_alu 0xf1ff
	s_delay_alu instid0(VALU_DEP_1) | instskip(SKIP_2) | instid1(VALU_DEP_1)
	v_cndmask_b32_e64 v2, 0, v2, s0
	v_cmp_gt_i32_e64 s0, s13, v26
	s_wait_alu 0xf1ff
	v_cndmask_b32_e64 v44, 0, v44, s0
	v_cmp_gt_i32_e64 s0, s13, v27
	s_wait_alu 0xf1ff
	s_delay_alu instid0(VALU_DEP_1) | instskip(SKIP_2) | instid1(VALU_DEP_1)
	v_cndmask_b32_e64 v46, 0, v46, s0
	v_cmp_gt_i32_e64 s0, s13, v22
	s_wait_alu 0xf1ff
	v_cndmask_b32_e64 v4, 0, v4, s0
	v_cmp_gt_i32_e64 s0, s13, v25
	s_delay_alu instid0(VALU_DEP_2) | instskip(SKIP_1) | instid1(VALU_DEP_2)
	v_or_b32_e32 v4, v46, v4
	s_wait_alu 0xf1ff
	v_cndmask_b32_e64 v3, 0, v3, s0
	v_cmp_gt_i32_e64 s0, s13, v24
	s_wait_alu 0xf1ff
	s_delay_alu instid0(VALU_DEP_1)
	v_cndmask_b32_e64 v43, 0, v43, s0
.LBB89_43:                              ;   in Loop: Header=BB89_33 Depth=1
	s_wait_alu 0xfffe
	s_or_b32 exec_lo, exec_lo, s4
	v_lshlrev_b32_e32 v45, 16, v45
	v_lshlrev_b32_e32 v44, 16, v44
	;; [unrolled: 1-line block ×3, first 2 shown]
	s_delay_alu instid0(VALU_DEP_3) | instskip(NEXT) | instid1(VALU_DEP_3)
	v_and_or_b32 v1, 0xffff, v1, v45
	v_and_or_b32 v2, 0xffff, v2, v44
	s_delay_alu instid0(VALU_DEP_3)
	v_and_or_b32 v3, 0xffff, v3, v43
	;;#ASMSTART
	v_pk_mul_f16 v1, v32, v1;

	;;#ASMEND
	;;#ASMSTART
	v_pk_mul_f16 v2, v31, v2;

	;;#ASMEND
	;; [unrolled: 4-line block ×4, first 2 shown]
	;;#ASMSTART
	v_pk_add_f16 v1, v1, v2;

	;;#ASMEND
	;;#ASMSTART
	v_pk_add_f16 v1, v1, v3;

	;;#ASMEND
	;; [unrolled: 4-line block ×3, first 2 shown]
	v_and_b32_e32 v2, 0xffff, v1
	v_lshrrev_b32_e32 v1, 16, v1
	;;#ASMSTART
	v_cvt_f32_f16 v43, v2;
	;;#ASMEND
	;;#ASMSTART
	v_cvt_f32_f16 v44, v1;
	;;#ASMEND
	global_load_b128 v[1:4], v[7:8], off offset:2560
	s_wait_loadcnt 0x0
	v_lshrrev_b32_e32 v47, 16, v1
	v_lshrrev_b32_e32 v46, 16, v2
	;; [unrolled: 1-line block ×3, first 2 shown]
	s_and_saveexec_b32 s4, vcc_lo
	s_cbranch_execz .LBB89_45
; %bb.44:                               ;   in Loop: Header=BB89_33 Depth=1
	v_cmp_gt_i32_e64 s0, s13, v28
	v_and_b32_e32 v48, 0xffff, v4
	v_and_b32_e32 v4, 0xffff0000, v4
	s_wait_alu 0xf1ff
	s_delay_alu instid0(VALU_DEP_3) | instskip(SKIP_2) | instid1(VALU_DEP_1)
	v_cndmask_b32_e64 v1, 0, v1, s0
	v_cmp_gt_i32_e64 s0, s13, v30
	s_wait_alu 0xf1ff
	v_cndmask_b32_e64 v47, 0, v47, s0
	v_cmp_gt_i32_e64 s0, s13, v29
	s_wait_alu 0xf1ff
	s_delay_alu instid0(VALU_DEP_1) | instskip(SKIP_2) | instid1(VALU_DEP_1)
	v_cndmask_b32_e64 v2, 0, v2, s0
	v_cmp_gt_i32_e64 s0, s13, v26
	s_wait_alu 0xf1ff
	v_cndmask_b32_e64 v46, 0, v46, s0
	v_cmp_gt_i32_e64 s0, s13, v27
	s_wait_alu 0xf1ff
	s_delay_alu instid0(VALU_DEP_1) | instskip(SKIP_2) | instid1(VALU_DEP_1)
	v_cndmask_b32_e64 v48, 0, v48, s0
	v_cmp_gt_i32_e64 s0, s13, v22
	s_wait_alu 0xf1ff
	v_cndmask_b32_e64 v4, 0, v4, s0
	v_cmp_gt_i32_e64 s0, s13, v25
	s_delay_alu instid0(VALU_DEP_2) | instskip(SKIP_1) | instid1(VALU_DEP_2)
	v_or_b32_e32 v4, v48, v4
	s_wait_alu 0xf1ff
	v_cndmask_b32_e64 v3, 0, v3, s0
	v_cmp_gt_i32_e64 s0, s13, v24
	s_wait_alu 0xf1ff
	s_delay_alu instid0(VALU_DEP_1)
	v_cndmask_b32_e64 v45, 0, v45, s0
.LBB89_45:                              ;   in Loop: Header=BB89_33 Depth=1
	s_wait_alu 0xfffe
	s_or_b32 exec_lo, exec_lo, s4
	v_lshlrev_b32_e32 v47, 16, v47
	v_lshlrev_b32_e32 v46, 16, v46
	;; [unrolled: 1-line block ×3, first 2 shown]
	s_delay_alu instid0(VALU_DEP_3) | instskip(NEXT) | instid1(VALU_DEP_3)
	v_and_or_b32 v1, 0xffff, v1, v47
	v_and_or_b32 v2, 0xffff, v2, v46
	s_delay_alu instid0(VALU_DEP_3)
	v_and_or_b32 v3, 0xffff, v3, v45
	;;#ASMSTART
	v_pk_mul_f16 v1, v32, v1;

	;;#ASMEND
	;;#ASMSTART
	v_pk_mul_f16 v2, v31, v2;

	;;#ASMEND
	;; [unrolled: 4-line block ×4, first 2 shown]
	;;#ASMSTART
	v_pk_add_f16 v1, v1, v2;

	;;#ASMEND
	;;#ASMSTART
	v_pk_add_f16 v1, v1, v3;

	;;#ASMEND
	;; [unrolled: 4-line block ×3, first 2 shown]
	v_and_b32_e32 v2, 0xffff, v1
	v_lshrrev_b32_e32 v1, 16, v1
	;;#ASMSTART
	v_cvt_f32_f16 v45, v2;
	;;#ASMEND
	;;#ASMSTART
	v_cvt_f32_f16 v46, v1;
	;;#ASMEND
	global_load_b128 v[1:4], v[7:8], off offset:3072
	s_wait_loadcnt 0x0
	v_lshrrev_b32_e32 v49, 16, v1
	v_lshrrev_b32_e32 v48, 16, v2
	;; [unrolled: 1-line block ×3, first 2 shown]
	s_and_saveexec_b32 s4, vcc_lo
	s_cbranch_execz .LBB89_47
; %bb.46:                               ;   in Loop: Header=BB89_33 Depth=1
	v_cmp_gt_i32_e64 s0, s13, v28
	v_and_b32_e32 v50, 0xffff, v4
	v_and_b32_e32 v4, 0xffff0000, v4
	s_wait_alu 0xf1ff
	s_delay_alu instid0(VALU_DEP_3) | instskip(SKIP_2) | instid1(VALU_DEP_1)
	v_cndmask_b32_e64 v1, 0, v1, s0
	v_cmp_gt_i32_e64 s0, s13, v30
	s_wait_alu 0xf1ff
	v_cndmask_b32_e64 v49, 0, v49, s0
	v_cmp_gt_i32_e64 s0, s13, v29
	s_wait_alu 0xf1ff
	s_delay_alu instid0(VALU_DEP_1) | instskip(SKIP_2) | instid1(VALU_DEP_1)
	v_cndmask_b32_e64 v2, 0, v2, s0
	v_cmp_gt_i32_e64 s0, s13, v26
	s_wait_alu 0xf1ff
	v_cndmask_b32_e64 v48, 0, v48, s0
	v_cmp_gt_i32_e64 s0, s13, v27
	s_wait_alu 0xf1ff
	s_delay_alu instid0(VALU_DEP_1) | instskip(SKIP_2) | instid1(VALU_DEP_1)
	v_cndmask_b32_e64 v50, 0, v50, s0
	v_cmp_gt_i32_e64 s0, s13, v22
	s_wait_alu 0xf1ff
	v_cndmask_b32_e64 v4, 0, v4, s0
	v_cmp_gt_i32_e64 s0, s13, v25
	s_delay_alu instid0(VALU_DEP_2) | instskip(SKIP_1) | instid1(VALU_DEP_2)
	v_or_b32_e32 v4, v50, v4
	s_wait_alu 0xf1ff
	v_cndmask_b32_e64 v3, 0, v3, s0
	v_cmp_gt_i32_e64 s0, s13, v24
	s_wait_alu 0xf1ff
	s_delay_alu instid0(VALU_DEP_1)
	v_cndmask_b32_e64 v47, 0, v47, s0
.LBB89_47:                              ;   in Loop: Header=BB89_33 Depth=1
	s_wait_alu 0xfffe
	s_or_b32 exec_lo, exec_lo, s4
	v_lshlrev_b32_e32 v49, 16, v49
	v_lshlrev_b32_e32 v48, 16, v48
	;; [unrolled: 1-line block ×3, first 2 shown]
	s_delay_alu instid0(VALU_DEP_3) | instskip(NEXT) | instid1(VALU_DEP_3)
	v_and_or_b32 v1, 0xffff, v1, v49
	v_and_or_b32 v2, 0xffff, v2, v48
	s_delay_alu instid0(VALU_DEP_3)
	v_and_or_b32 v3, 0xffff, v3, v47
	;;#ASMSTART
	v_pk_mul_f16 v1, v32, v1;

	;;#ASMEND
	;;#ASMSTART
	v_pk_mul_f16 v2, v31, v2;

	;;#ASMEND
	;; [unrolled: 4-line block ×4, first 2 shown]
	;;#ASMSTART
	v_pk_add_f16 v1, v1, v2;

	;;#ASMEND
	;;#ASMSTART
	v_pk_add_f16 v1, v1, v3;

	;;#ASMEND
	;; [unrolled: 4-line block ×3, first 2 shown]
	v_and_b32_e32 v2, 0xffff, v1
	v_lshrrev_b32_e32 v1, 16, v1
	;;#ASMSTART
	v_cvt_f32_f16 v48, v2;
	;;#ASMEND
	;;#ASMSTART
	v_cvt_f32_f16 v49, v1;
	;;#ASMEND
	global_load_b128 v[1:4], v[7:8], off offset:3584
	s_wait_loadcnt 0x0
	v_lshrrev_b32_e32 v47, 16, v1
	v_lshrrev_b32_e32 v8, 16, v2
	;; [unrolled: 1-line block ×3, first 2 shown]
	s_and_saveexec_b32 s0, vcc_lo
	s_cbranch_execz .LBB89_32
; %bb.48:                               ;   in Loop: Header=BB89_33 Depth=1
	v_cmp_gt_i32_e32 vcc_lo, s13, v28
	v_and_b32_e32 v28, 0xffff, v4
	s_wait_alu 0xfffd
	v_dual_cndmask_b32 v1, 0, v1 :: v_dual_and_b32 v4, 0xffff0000, v4
	v_cmp_gt_i32_e32 vcc_lo, s13, v30
	s_wait_alu 0xfffd
	v_cndmask_b32_e32 v47, 0, v47, vcc_lo
	v_cmp_gt_i32_e32 vcc_lo, s13, v29
	s_wait_alu 0xfffd
	v_cndmask_b32_e32 v2, 0, v2, vcc_lo
	;; [unrolled: 3-line block ×5, first 2 shown]
	v_cmp_gt_i32_e32 vcc_lo, s13, v25
	s_delay_alu instid0(VALU_DEP_2)
	v_or_b32_e32 v4, v26, v4
	s_wait_alu 0xfffd
	v_cndmask_b32_e32 v3, 0, v3, vcc_lo
	v_cmp_gt_i32_e32 vcc_lo, s13, v24
	s_wait_alu 0xfffd
	v_cndmask_b32_e32 v7, 0, v7, vcc_lo
	s_branch .LBB89_32
.LBB89_49:
	s_or_b32 exec_lo, exec_lo, s3
.LBB89_50:
	s_wait_alu 0xfffe
	s_or_b32 exec_lo, exec_lo, s1
	v_lshl_add_u32 v2, v11, 2, 0x220
	v_and_b32_e32 v3, 0x3c0, v0
	s_mov_b32 s0, exec_lo
	s_wait_loadcnt 0x0
	s_wait_storecnt 0x0
	s_barrier_signal -1
	v_lshl_add_u32 v1, v9, 10, v2
	s_barrier_wait -1
	global_inv scope:SCOPE_SE
	v_cmpx_eq_u32_e32 64, v3
	s_cbranch_execz .LBB89_52
; %bb.51:
	v_add_nc_u32_e32 v3, 0xfffff800, v1
	v_add_nc_u32_e32 v4, 0xfffff880, v1
	v_add_nc_u32_e32 v5, 0xfffff900, v1
	v_add_nc_u32_e32 v6, 0xfffff980, v1
	v_add_nc_u32_e32 v7, 0xfffffa00, v1
	v_add_nc_u32_e32 v8, 0xfffffa80, v1
	v_add_nc_u32_e32 v9, 0xfffffb00, v1
	v_add_nc_u32_e32 v10, 0xfffffb80, v1
	ds_store_b32 v3, v19
	ds_store_b32 v4, v18
	ds_store_b32 v5, v17
	ds_store_b32 v6, v16
	ds_store_b32 v7, v15
	ds_store_b32 v8, v14
	ds_store_b32 v9, v13
	ds_store_b32 v10, v12
.LBB89_52:
	s_wait_alu 0xfffe
	s_or_b32 exec_lo, exec_lo, s0
	s_delay_alu instid0(SALU_CYCLE_1)
	s_mov_b32 s0, exec_lo
	s_wait_loadcnt_dscnt 0x0
	s_barrier_signal -1
	s_barrier_wait -1
	global_inv scope:SCOPE_SE
	v_cmpx_gt_u32_e32 64, v0
	s_cbranch_execz .LBB89_54
; %bb.53:
	ds_load_2addr_b32 v[3:4], v1 offset1:32
	ds_load_2addr_b32 v[5:6], v1 offset0:64 offset1:96
	ds_load_2addr_b32 v[7:8], v1 offset0:128 offset1:160
	;; [unrolled: 1-line block ×3, first 2 shown]
	s_wait_dscnt 0x3
	v_dual_add_f32 v19, v19, v3 :: v_dual_add_f32 v18, v18, v4
	s_wait_dscnt 0x2
	v_dual_add_f32 v17, v17, v5 :: v_dual_add_f32 v16, v16, v6
	;; [unrolled: 2-line block ×4, first 2 shown]
.LBB89_54:
	s_wait_alu 0xfffe
	s_or_b32 exec_lo, exec_lo, s0
	v_and_b32_e32 v3, 0x3e0, v0
	s_mov_b32 s0, exec_lo
	s_wait_loadcnt 0x0
	s_barrier_signal -1
	s_barrier_wait -1
	global_inv scope:SCOPE_SE
	v_cmpx_eq_u32_e32 32, v3
	s_cbranch_execz .LBB89_56
; %bb.55:
	ds_store_2addr_b32 v2, v19, v18 offset1:32
	ds_store_2addr_b32 v2, v17, v16 offset0:64 offset1:96
	ds_store_2addr_b32 v2, v15, v14 offset0:128 offset1:160
	;; [unrolled: 1-line block ×3, first 2 shown]
.LBB89_56:
	s_wait_alu 0xfffe
	s_or_b32 exec_lo, exec_lo, s0
	v_cmp_gt_u32_e32 vcc_lo, 32, v0
	s_wait_loadcnt_dscnt 0x0
	s_barrier_signal -1
	s_barrier_wait -1
	global_inv scope:SCOPE_SE
	s_and_saveexec_b32 s0, vcc_lo
	s_cbranch_execz .LBB89_58
; %bb.57:
	ds_load_2addr_b32 v[2:3], v1 offset1:32
	ds_load_2addr_b32 v[4:5], v1 offset0:64 offset1:96
	ds_load_2addr_b32 v[6:7], v1 offset0:128 offset1:160
	ds_load_2addr_b32 v[8:9], v1 offset0:192 offset1:224
	s_wait_dscnt 0x3
	v_dual_add_f32 v19, v19, v2 :: v_dual_add_f32 v18, v18, v3
	s_wait_dscnt 0x2
	v_dual_add_f32 v17, v17, v4 :: v_dual_add_f32 v16, v16, v5
	s_wait_dscnt 0x1
	v_dual_add_f32 v15, v15, v6 :: v_dual_add_f32 v14, v14, v7
	s_wait_dscnt 0x0
	v_dual_add_f32 v13, v13, v8 :: v_dual_add_f32 v12, v12, v9
.LBB89_58:
	s_wait_alu 0xfffe
	s_or_b32 exec_lo, exec_lo, s0
	s_wait_loadcnt 0x0
	s_barrier_signal -1
	s_barrier_wait -1
	global_inv scope:SCOPE_SE
	s_and_saveexec_b32 s0, vcc_lo
	s_cbranch_execz .LBB89_60
; %bb.59:
	s_lshl_b32 s0, s22, 8
	s_mul_i32 s2, s8, s14
	s_wait_alu 0xfffe
	s_ashr_i32 s1, s0, 31
	s_ashr_i32 s3, s2, 31
	s_wait_alu 0xfffe
	s_lshl_b64 s[0:1], s[0:1], 1
	s_lshl_b64 s[2:3], s[2:3], 1
	s_wait_alu 0xfffe
	s_add_nc_u64 s[0:1], s[10:11], s[0:1]
	v_lshlrev_b32_e32 v0, 1, v0
	s_mov_b32 s13, 0
	s_wait_alu 0xfffe
	s_add_nc_u64 s[0:1], s[0:1], s[2:3]
	;;#ASMSTART
	v_cvt_f16_f32 v1, v19;

	;;#ASMEND
	s_wait_alu 0xfffe
	s_add_nc_u64 s[0:1], s[0:1], s[12:13]
	global_store_b16 v0, v1, s[0:1]
	;;#ASMSTART
	v_cvt_f16_f32 v1, v18;

	;;#ASMEND
	global_store_b16 v0, v1, s[0:1] offset:64
	;;#ASMSTART
	v_cvt_f16_f32 v1, v17;

	;;#ASMEND
	global_store_b16 v0, v1, s[0:1] offset:128
	;; [unrolled: 5-line block ×7, first 2 shown]
.LBB89_60:
	s_nop 0
	s_sendmsg sendmsg(MSG_DEALLOC_VGPRS)
	s_endpgm
	.section	.rodata,"a",@progbits
	.p2align	6, 0x0
	.amdhsa_kernel _ZN4vllm25paged_attention_v2_kernelIttLi256ELi8ELi128ELNS_18Fp8KVCacheDataTypeE0ELb0ELi512EEEvPfS2_PT_PKS3_PKT0_S9_ifPKiSB_iPKfiiiSD_SD_iiiii
		.amdhsa_group_segment_fixed_size 544
		.amdhsa_private_segment_fixed_size 0
		.amdhsa_kernarg_size 400
		.amdhsa_user_sgpr_count 2
		.amdhsa_user_sgpr_dispatch_ptr 0
		.amdhsa_user_sgpr_queue_ptr 0
		.amdhsa_user_sgpr_kernarg_segment_ptr 1
		.amdhsa_user_sgpr_dispatch_id 0
		.amdhsa_user_sgpr_private_segment_size 0
		.amdhsa_wavefront_size32 1
		.amdhsa_uses_dynamic_stack 0
		.amdhsa_enable_private_segment 0
		.amdhsa_system_sgpr_workgroup_id_x 1
		.amdhsa_system_sgpr_workgroup_id_y 1
		.amdhsa_system_sgpr_workgroup_id_z 1
		.amdhsa_system_sgpr_workgroup_info 0
		.amdhsa_system_vgpr_workitem_id 0
		.amdhsa_next_free_vgpr 128
		.amdhsa_next_free_sgpr 32
		.amdhsa_reserve_vcc 1
		.amdhsa_float_round_mode_32 0
		.amdhsa_float_round_mode_16_64 0
		.amdhsa_float_denorm_mode_32 3
		.amdhsa_float_denorm_mode_16_64 3
		.amdhsa_fp16_overflow 0
		.amdhsa_workgroup_processor_mode 1
		.amdhsa_memory_ordered 1
		.amdhsa_forward_progress 1
		.amdhsa_inst_pref_size 63
		.amdhsa_round_robin_scheduling 0
		.amdhsa_exception_fp_ieee_invalid_op 0
		.amdhsa_exception_fp_denorm_src 0
		.amdhsa_exception_fp_ieee_div_zero 0
		.amdhsa_exception_fp_ieee_overflow 0
		.amdhsa_exception_fp_ieee_underflow 0
		.amdhsa_exception_fp_ieee_inexact 0
		.amdhsa_exception_int_div_zero 0
	.end_amdhsa_kernel
	.section	.text._ZN4vllm25paged_attention_v2_kernelIttLi256ELi8ELi128ELNS_18Fp8KVCacheDataTypeE0ELb0ELi512EEEvPfS2_PT_PKS3_PKT0_S9_ifPKiSB_iPKfiiiSD_SD_iiiii,"axG",@progbits,_ZN4vllm25paged_attention_v2_kernelIttLi256ELi8ELi128ELNS_18Fp8KVCacheDataTypeE0ELb0ELi512EEEvPfS2_PT_PKS3_PKT0_S9_ifPKiSB_iPKfiiiSD_SD_iiiii,comdat
.Lfunc_end89:
	.size	_ZN4vllm25paged_attention_v2_kernelIttLi256ELi8ELi128ELNS_18Fp8KVCacheDataTypeE0ELb0ELi512EEEvPfS2_PT_PKS3_PKT0_S9_ifPKiSB_iPKfiiiSD_SD_iiiii, .Lfunc_end89-_ZN4vllm25paged_attention_v2_kernelIttLi256ELi8ELi128ELNS_18Fp8KVCacheDataTypeE0ELb0ELi512EEEvPfS2_PT_PKS3_PKT0_S9_ifPKiSB_iPKfiiiSD_SD_iiiii
                                        ; -- End function
	.set _ZN4vllm25paged_attention_v2_kernelIttLi256ELi8ELi128ELNS_18Fp8KVCacheDataTypeE0ELb0ELi512EEEvPfS2_PT_PKS3_PKT0_S9_ifPKiSB_iPKfiiiSD_SD_iiiii.num_vgpr, 128
	.set _ZN4vllm25paged_attention_v2_kernelIttLi256ELi8ELi128ELNS_18Fp8KVCacheDataTypeE0ELb0ELi512EEEvPfS2_PT_PKS3_PKT0_S9_ifPKiSB_iPKfiiiSD_SD_iiiii.num_agpr, 0
	.set _ZN4vllm25paged_attention_v2_kernelIttLi256ELi8ELi128ELNS_18Fp8KVCacheDataTypeE0ELb0ELi512EEEvPfS2_PT_PKS3_PKT0_S9_ifPKiSB_iPKfiiiSD_SD_iiiii.numbered_sgpr, 32
	.set _ZN4vllm25paged_attention_v2_kernelIttLi256ELi8ELi128ELNS_18Fp8KVCacheDataTypeE0ELb0ELi512EEEvPfS2_PT_PKS3_PKT0_S9_ifPKiSB_iPKfiiiSD_SD_iiiii.num_named_barrier, 0
	.set _ZN4vllm25paged_attention_v2_kernelIttLi256ELi8ELi128ELNS_18Fp8KVCacheDataTypeE0ELb0ELi512EEEvPfS2_PT_PKS3_PKT0_S9_ifPKiSB_iPKfiiiSD_SD_iiiii.private_seg_size, 0
	.set _ZN4vllm25paged_attention_v2_kernelIttLi256ELi8ELi128ELNS_18Fp8KVCacheDataTypeE0ELb0ELi512EEEvPfS2_PT_PKS3_PKT0_S9_ifPKiSB_iPKfiiiSD_SD_iiiii.uses_vcc, 1
	.set _ZN4vllm25paged_attention_v2_kernelIttLi256ELi8ELi128ELNS_18Fp8KVCacheDataTypeE0ELb0ELi512EEEvPfS2_PT_PKS3_PKT0_S9_ifPKiSB_iPKfiiiSD_SD_iiiii.uses_flat_scratch, 0
	.set _ZN4vllm25paged_attention_v2_kernelIttLi256ELi8ELi128ELNS_18Fp8KVCacheDataTypeE0ELb0ELi512EEEvPfS2_PT_PKS3_PKT0_S9_ifPKiSB_iPKfiiiSD_SD_iiiii.has_dyn_sized_stack, 0
	.set _ZN4vllm25paged_attention_v2_kernelIttLi256ELi8ELi128ELNS_18Fp8KVCacheDataTypeE0ELb0ELi512EEEvPfS2_PT_PKS3_PKT0_S9_ifPKiSB_iPKfiiiSD_SD_iiiii.has_recursion, 0
	.set _ZN4vllm25paged_attention_v2_kernelIttLi256ELi8ELi128ELNS_18Fp8KVCacheDataTypeE0ELb0ELi512EEEvPfS2_PT_PKS3_PKT0_S9_ifPKiSB_iPKfiiiSD_SD_iiiii.has_indirect_call, 0
	.section	.AMDGPU.csdata,"",@progbits
; Kernel info:
; codeLenInByte = 7972
; TotalNumSgprs: 34
; NumVgprs: 128
; ScratchSize: 0
; MemoryBound: 0
; FloatMode: 240
; IeeeMode: 1
; LDSByteSize: 544 bytes/workgroup (compile time only)
; SGPRBlocks: 0
; VGPRBlocks: 15
; NumSGPRsForWavesPerEU: 34
; NumVGPRsForWavesPerEU: 128
; Occupancy: 10
; WaveLimiterHint : 1
; COMPUTE_PGM_RSRC2:SCRATCH_EN: 0
; COMPUTE_PGM_RSRC2:USER_SGPR: 2
; COMPUTE_PGM_RSRC2:TRAP_HANDLER: 0
; COMPUTE_PGM_RSRC2:TGID_X_EN: 1
; COMPUTE_PGM_RSRC2:TGID_Y_EN: 1
; COMPUTE_PGM_RSRC2:TGID_Z_EN: 1
; COMPUTE_PGM_RSRC2:TIDIG_COMP_CNT: 0
	.section	.text._ZN4vllm25paged_attention_v2_kernelIttLi32ELi16ELi128ELNS_18Fp8KVCacheDataTypeE0ELb1ELi512EEEvPfS2_PT_PKS3_PKT0_S9_ifPKiSB_iPKfiiiSD_SD_iiiii,"axG",@progbits,_ZN4vllm25paged_attention_v2_kernelIttLi32ELi16ELi128ELNS_18Fp8KVCacheDataTypeE0ELb1ELi512EEEvPfS2_PT_PKS3_PKT0_S9_ifPKiSB_iPKfiiiSD_SD_iiiii,comdat
	.protected	_ZN4vllm25paged_attention_v2_kernelIttLi32ELi16ELi128ELNS_18Fp8KVCacheDataTypeE0ELb1ELi512EEEvPfS2_PT_PKS3_PKT0_S9_ifPKiSB_iPKfiiiSD_SD_iiiii ; -- Begin function _ZN4vllm25paged_attention_v2_kernelIttLi32ELi16ELi128ELNS_18Fp8KVCacheDataTypeE0ELb1ELi512EEEvPfS2_PT_PKS3_PKT0_S9_ifPKiSB_iPKfiiiSD_SD_iiiii
	.globl	_ZN4vllm25paged_attention_v2_kernelIttLi32ELi16ELi128ELNS_18Fp8KVCacheDataTypeE0ELb1ELi512EEEvPfS2_PT_PKS3_PKT0_S9_ifPKiSB_iPKfiiiSD_SD_iiiii
	.p2align	8
	.type	_ZN4vllm25paged_attention_v2_kernelIttLi32ELi16ELi128ELNS_18Fp8KVCacheDataTypeE0ELb1ELi512EEEvPfS2_PT_PKS3_PKT0_S9_ifPKiSB_iPKfiiiSD_SD_iiiii,@function
_ZN4vllm25paged_attention_v2_kernelIttLi32ELi16ELi128ELNS_18Fp8KVCacheDataTypeE0ELb1ELi512EEEvPfS2_PT_PKS3_PKT0_S9_ifPKiSB_iPKfiiiSD_SD_iiiii: ; @_ZN4vllm25paged_attention_v2_kernelIttLi32ELi16ELi128ELNS_18Fp8KVCacheDataTypeE0ELb1ELi512EEEvPfS2_PT_PKS3_PKT0_S9_ifPKiSB_iPKfiiiSD_SD_iiiii
; %bb.0:
	s_load_b64 s[2:3], s[0:1], 0x40
	s_and_b32 s26, ttmp7, 0xffff
	s_lshr_b32 s33, ttmp7, 16
	s_lshl_b32 s4, s26, 2
	s_lshl_b32 s34, s33, 9
	s_wait_kmcnt 0x0
	s_load_b32 s30, s[2:3], s4 offset:0x0
	s_wait_kmcnt 0x0
	s_cmp_ge_i32 s34, s30
	s_cbranch_scc1 .LBB90_66
; %bb.1:
	s_clause 0x1
	s_load_b32 s27, s[0:1], 0x90
	s_load_b64 s[6:7], s[0:1], 0x30
	s_wait_kmcnt 0x0
	s_abs_i32 s5, s27
	s_abs_i32 s2, s6
	s_delay_alu instid0(SALU_CYCLE_1) | instskip(SKIP_1) | instid1(SALU_CYCLE_2)
	s_cvt_f32_u32 s3, s2
	s_sub_co_i32 s4, 0, s2
	v_rcp_iflag_f32_e32 v1, s3
	s_delay_alu instid0(TRANS32_DEP_1) | instskip(SKIP_2) | instid1(SALU_CYCLE_2)
	v_readfirstlane_b32 s3, v1
	s_mul_f32 s3, s3, 0x4f7ffffe
	s_wait_alu 0xfffe
	s_cvt_u32_f32 s3, s3
	s_wait_alu 0xfffe
	s_delay_alu instid0(SALU_CYCLE_2) | instskip(NEXT) | instid1(SALU_CYCLE_1)
	s_mul_i32 s4, s4, s3
	s_mul_hi_u32 s4, s3, s4
	s_delay_alu instid0(SALU_CYCLE_1)
	s_add_co_i32 s3, s3, s4
	s_xor_b32 s4, s27, s6
	s_wait_alu 0xfffe
	s_mul_hi_u32 s3, s5, s3
	s_ashr_i32 s4, s4, 31
	s_wait_alu 0xfffe
	s_mul_i32 s8, s3, s2
	s_delay_alu instid0(SALU_CYCLE_1)
	s_sub_co_i32 s5, s5, s8
	s_add_co_i32 s8, s3, 1
	s_sub_co_i32 s9, s5, s2
	s_cmp_ge_u32 s5, s2
	s_cselect_b32 s3, s8, s3
	s_cselect_b32 s5, s9, s5
	s_wait_alu 0xfffe
	s_add_co_i32 s8, s3, 1
	s_cmp_ge_u32 s5, s2
	s_cselect_b32 s2, s8, s3
	s_load_b64 s[8:9], s[0:1], 0x50
	s_xor_b32 s2, s2, s4
	s_mov_b32 s3, 0
	s_wait_alu 0xfffe
	s_sub_co_i32 s10, s2, s4
	s_mov_b32 s15, s3
	s_abs_i32 s18, s10
	s_delay_alu instid0(SALU_CYCLE_1) | instskip(SKIP_1) | instid1(SALU_CYCLE_2)
	s_cvt_f32_u32 s2, s18
	s_wait_alu 0xfffe
	v_rcp_iflag_f32_e32 v1, s2
	s_delay_alu instid0(TRANS32_DEP_1) | instskip(SKIP_2) | instid1(SALU_CYCLE_2)
	v_readfirstlane_b32 s2, v1
	s_mul_f32 s2, s2, 0x4f7ffffe
	s_wait_alu 0xfffe
	s_cvt_u32_f32 s4, s2
	s_sub_co_i32 s2, 0, s18
	s_wait_alu 0xfffe
	s_delay_alu instid0(SALU_CYCLE_1)
	s_mul_i32 s2, s2, s4
	s_wait_alu 0xfffe
	s_mul_hi_u32 s5, s4, s2
	s_abs_i32 s2, ttmp9
	s_add_co_i32 s4, s4, s5
	s_mov_b32 s5, s3
	s_wait_kmcnt 0x0
	s_cmp_eq_u64 s[8:9], 0
	s_cbranch_scc1 .LBB90_3
; %bb.2:
	s_mov_b32 s12, ttmp9
	s_ashr_i32 s13, ttmp9, 31
	s_delay_alu instid0(SALU_CYCLE_1) | instskip(NEXT) | instid1(SALU_CYCLE_1)
	s_lshl_b64 s[12:13], s[12:13], 2
	s_add_nc_u64 s[8:9], s[8:9], s[12:13]
	s_load_b32 s15, s[8:9], 0x0
.LBB90_3:
	s_load_b96 s[12:14], s[0:1], 0x58
	v_lshrrev_b32_e32 v9, 1, v0
	v_and_b32_e32 v10, 1, v0
	v_lshlrev_b32_e32 v3, 3, v0
	s_mul_u64 s[4:5], s[2:3], s[4:5]
	s_ashr_i32 s3, ttmp9, 31
	s_ashr_i32 s4, s10, 31
	s_lshl_b32 s16, ttmp9, 5
	s_mov_b32 s8, exec_lo
	v_cmpx_gt_u32_e32 8, v0
	s_cbranch_execz .LBB90_5
; %bb.4:
	s_load_b64 s[10:11], s[0:1], 0x18
	s_wait_kmcnt 0x0
	s_mul_i32 s20, s12, s26
	s_ashr_i32 s17, s16, 31
	s_ashr_i32 s21, s20, 31
	v_lshlrev_b32_e32 v4, 3, v9
	s_lshl_b64 s[20:21], s[20:21], 1
	s_delay_alu instid0(VALU_DEP_1) | instskip(SKIP_2) | instid1(SALU_CYCLE_1)
	v_lshl_add_u32 v4, v10, 5, v4
	s_add_nc_u64 s[10:11], s[10:11], s[20:21]
	s_lshl_b64 s[20:21], s[16:17], 1
	s_add_nc_u64 s[10:11], s[10:11], s[20:21]
	global_load_b64 v[1:2], v3, s[10:11]
	s_wait_loadcnt 0x0
	ds_store_b64 v4, v[1:2]
.LBB90_5:
	s_or_b32 exec_lo, exec_lo, s8
	s_clause 0x1
	s_load_b128 s[8:11], s[0:1], 0x78
	s_load_b32 s20, s[0:1], 0x88
	s_wait_kmcnt 0x0
	s_mul_i32 s12, s5, s18
	s_xor_b32 s3, s3, s4
	s_sub_co_i32 s2, s2, s12
	s_add_co_i32 s4, s5, 1
	s_wait_alu 0xfffe
	s_sub_co_i32 s12, s2, s18
	s_cmp_ge_u32 s2, s18
	s_mov_b32 s22, -1
	s_cselect_b32 s4, s4, s5
	s_cselect_b32 s2, s12, s2
	s_add_co_i32 s5, s4, 1
	s_wait_alu 0xfffe
	s_cmp_ge_u32 s2, s18
	s_wait_dscnt 0x0
	s_cselect_b32 s2, s5, s4
	s_add_co_i32 s21, s30, -1
	s_wait_alu 0xfffe
	s_xor_b32 s2, s2, s3
	s_barrier_signal -1
	s_wait_alu 0xfffe
	s_sub_co_i32 s24, s2, s3
	s_barrier_wait -1
	s_abs_i32 s12, s11
	global_inv scope:SCOPE_SE
	s_cvt_f32_u32 s4, s12
                                        ; implicit-def: $sgpr17
	s_delay_alu instid0(SALU_CYCLE_3) | instskip(NEXT) | instid1(TRANS32_DEP_1)
	v_rcp_iflag_f32_e32 v1, s4
	v_readfirstlane_b32 s4, v1
	s_mul_f32 s2, s4, 0x4f7ffffe
	s_wait_alu 0xfffe
	s_delay_alu instid0(SALU_CYCLE_2) | instskip(SKIP_2) | instid1(SALU_CYCLE_1)
	s_cvt_u32_f32 s4, s2
	s_sub_co_i32 s2, 0, s12
	s_wait_alu 0xfffe
	s_mul_i32 s3, s2, s4
	s_abs_i32 s2, s21
	s_wait_alu 0xfffe
	s_mul_hi_u32 s5, s4, s3
	s_mov_b32 s3, 0
	s_wait_alu 0xfffe
	s_add_co_i32 s18, s4, s5
	s_cmp_lt_i32 s20, 0
	s_mov_b32 s19, s3
	s_cbranch_scc0 .LBB90_7
; %bb.6:
	s_mul_i32 s4, s8, s6
	s_mov_b32 s22, s3
	s_wait_alu 0xfffe
	s_add_co_i32 s4, s24, s4
	s_wait_alu 0xfffe
	s_mul_i32 s4, s4, s20
	s_wait_alu 0xfffe
	s_sub_co_i32 s17, 1, s4
.LBB90_7:
	s_mul_u64 s[4:5], s[2:3], s[18:19]
	s_ashr_i32 s3, s21, 31
	s_and_not1_b32 vcc_lo, exec_lo, s22
	s_ashr_i32 s19, s11, 31
	s_cbranch_vccnz .LBB90_9
; %bb.8:
	s_mul_i32 s4, s27, s8
	s_wait_alu 0xfffe
	s_add_co_i32 s4, s4, ttmp9
	s_wait_alu 0xfffe
	s_mul_i32 s4, s4, s20
	s_wait_alu 0xfffe
	s_add_co_i32 s17, s4, 1
.LBB90_9:
	s_clause 0x2
	s_load_b32 s4, s[0:1], 0x48
	s_load_b64 s[20:21], s[0:1], 0x38
	s_load_b32 s8, s[0:1], 0x98
	s_mul_i32 s6, s5, s12
	s_xor_b32 s3, s3, s19
	s_sub_co_i32 s2, s2, s6
	s_add_co_i32 s11, s5, 1
	v_lshrrev_b32_e32 v11, 5, v0
	v_mov_b32_e32 v6, 0xff7fffff
	v_mbcnt_lo_u32_b32 v5, -1, 0
	s_mul_i32 s24, s24, s14
	s_delay_alu instid0(VALU_DEP_3)
	v_lshl_add_u32 v12, v11, 4, s34
	s_wait_kmcnt 0x0
	s_mul_i32 s22, s4, s26
	s_wait_alu 0xfffe
	s_sub_co_i32 s4, s2, s12
	s_ashr_i32 s23, s22, 31
	s_cmp_ge_u32 s2, s12
	s_cselect_b32 s5, s11, s5
	s_wait_alu 0xfffe
	s_cselect_b32 s2, s4, s2
	s_add_co_i32 s4, s5, 1
	s_wait_alu 0xfffe
	s_cmp_ge_u32 s2, s12
	s_cselect_b32 s2, s4, s5
	s_add_co_i32 s4, s30, 15
	s_lshl_b32 s11, s33, 5
	s_wait_alu 0xfffe
	s_ashr_i32 s5, s4, 31
	v_or_b32_e32 v13, s11, v11
	s_wait_alu 0xfffe
	s_lshr_b32 s5, s5, 28
	s_wait_alu 0xfffe
	s_add_co_i32 s4, s4, s5
	s_add_co_i32 s5, s11, 32
	s_wait_alu 0xfffe
	s_ashr_i32 s35, s4, 4
	s_xor_b32 s4, s2, s3
	s_wait_alu 0xfffe
	s_min_i32 s31, s5, s35
	v_lshlrev_b32_e32 v4, 2, v13
	v_cmp_gt_i32_e64 s2, s31, v13
	s_sub_co_i32 s36, s4, s3
	s_and_saveexec_b32 s6, s2
	s_cbranch_execz .LBB90_21
; %bb.10:
	s_ashr_i32 s25, s24, 31
	s_sub_co_i32 s14, s36, s9
	s_lshl_b64 s[4:5], s[24:25], 1
	s_cmp_neq_f32 s15, 0
	s_load_b64 s[38:39], s[0:1], 0x20
	v_bfe_u32 v7, v0, 1, 4
	v_dual_mov_b32 v19, 0xff7fffff :: v_dual_and_b32 v2, 8, v3
	s_cselect_b32 vcc_lo, -1, 0
	s_abs_i32 s25, s10
	s_delay_alu instid0(VALU_DEP_2)
	v_lshlrev_b32_e32 v6, 4, v7
	s_cvt_f32_u32 s3, s25
	v_lshlrev_b32_e32 v14, 2, v7
	s_lshl_b64 s[40:41], s[22:23], 2
	v_subrev_nc_u32_e32 v17, s30, v7
	s_wait_alu 0xfffe
	v_rcp_iflag_f32_e32 v1, s3
	s_add_nc_u64 s[40:41], s[20:21], s[40:41]
	v_lshl_or_b32 v18, v11, 6, v14
	s_sub_co_i32 s37, 0, s25
	v_cmp_eq_u32_e64 s3, 0, v10
	v_dual_mov_b32 v21, v13 :: v_dual_lshlrev_b32 v8, 5, v10
	v_lshl_add_u32 v16, v11, 4, s34
	v_add_nc_u32_e32 v17, 1, v17
	s_wait_kmcnt 0x0
	s_add_nc_u64 s[4:5], s[38:39], s[4:5]
	v_readfirstlane_b32 s29, v1
	s_wait_alu 0xfffe
	v_add_co_u32 v1, s4, s4, v6
	s_wait_alu 0xf1ff
	v_add_co_ci_u32_e64 v6, null, s5, 0, s4
	s_mul_f32 s29, s29, 0x4f7ffffe
	v_add_co_u32 v14, s4, v1, v2
	s_wait_alu 0xf1ff
	v_add_co_ci_u32_e64 v15, null, 0, v6, s4
	s_cvt_u32_f32 s5, s29
	v_add_co_u32 v1, s4, s40, v4
	s_wait_alu 0xf1ff
	v_add_co_ci_u32_e64 v2, null, s41, 0, s4
	s_wait_alu 0xfffe
	s_mul_i32 s37, s37, s5
	v_add_nc_u32_e32 v18, 0x60, v18
	v_xor_b32_e32 v20, 1, v5
	v_mov_b32_e32 v6, 0xff7fffff
	s_mul_hi_u32 s4, s5, s37
	s_mov_b32 s28, 0
	s_mov_b32 s29, s13
	s_wait_alu 0xfffe
	s_add_co_i32 s37, s5, s4
	s_branch .LBB90_13
.LBB90_11:                              ;   in Loop: Header=BB90_13 Depth=1
	s_or_b32 exec_lo, exec_lo, s38
.LBB90_12:                              ;   in Loop: Header=BB90_13 Depth=1
	s_wait_alu 0xfffe
	s_or_b32 exec_lo, exec_lo, s5
	v_add_nc_u32_e32 v21, 4, v21
	v_add_co_u32 v1, s5, v1, 16
	s_wait_alu 0xf1ff
	v_add_co_ci_u32_e64 v2, null, 0, v2, s5
	s_delay_alu instid0(VALU_DEP_3)
	v_cmp_le_i32_e64 s4, s31, v21
	v_add_nc_u32_e32 v16, 64, v16
	v_add_nc_u32_e32 v18, 0x100, v18
	s_or_b32 s28, s4, s28
	s_wait_alu 0xfffe
	s_and_not1_b32 exec_lo, exec_lo, s28
	s_cbranch_execz .LBB90_20
.LBB90_13:                              ; =>This Inner Loop Header: Depth=1
	v_sub_nc_u32_e32 v22, 0, v16
	s_delay_alu instid0(VALU_DEP_1) | instskip(SKIP_1) | instid1(VALU_DEP_1)
	v_max_i32_e32 v22, v16, v22
	s_wait_dscnt 0x0
	v_mul_hi_u32 v23, v22, s18
	s_delay_alu instid0(VALU_DEP_1) | instskip(NEXT) | instid1(VALU_DEP_1)
	v_mul_lo_u32 v24, v23, s12
	v_sub_nc_u32_e32 v22, v22, v24
	v_add_nc_u32_e32 v24, 1, v23
	s_delay_alu instid0(VALU_DEP_2) | instskip(SKIP_2) | instid1(VALU_DEP_1)
	v_subrev_nc_u32_e32 v25, s12, v22
	v_cmp_le_u32_e64 s4, s12, v22
	s_wait_alu 0xf1ff
	v_cndmask_b32_e64 v23, v23, v24, s4
	s_delay_alu instid0(VALU_DEP_3) | instskip(SKIP_1) | instid1(VALU_DEP_3)
	v_cndmask_b32_e64 v22, v22, v25, s4
	v_ashrrev_i32_e32 v24, 31, v16
	v_add_nc_u32_e32 v25, 1, v23
	s_delay_alu instid0(VALU_DEP_3) | instskip(NEXT) | instid1(VALU_DEP_3)
	v_cmp_le_u32_e64 s4, s12, v22
	v_xor_b32_e32 v24, s19, v24
	s_wait_alu 0xf1ff
	s_delay_alu instid0(VALU_DEP_2) | instskip(NEXT) | instid1(VALU_DEP_1)
	v_cndmask_b32_e64 v22, v23, v25, s4
	v_xor_b32_e32 v22, v22, v24
	s_delay_alu instid0(VALU_DEP_1) | instskip(NEXT) | instid1(VALU_DEP_1)
	v_sub_nc_u32_e32 v22, v22, v24
	v_add_nc_u32_e32 v23, s17, v22
	v_cmp_ge_i32_e64 s5, s14, v22
	s_delay_alu instid0(VALU_DEP_2) | instskip(NEXT) | instid1(VALU_DEP_1)
	v_sub_nc_u32_e32 v24, 0, v23
	v_max_i32_e32 v24, v23, v24
	v_ashrrev_i32_e32 v23, 31, v23
	s_delay_alu instid0(VALU_DEP_2) | instskip(NEXT) | instid1(VALU_DEP_1)
	v_mul_hi_u32 v25, v24, s37
	v_mul_lo_u32 v25, v25, s25
	s_delay_alu instid0(VALU_DEP_1) | instskip(NEXT) | instid1(VALU_DEP_1)
	v_sub_nc_u32_e32 v24, v24, v25
	v_subrev_nc_u32_e32 v25, s25, v24
	v_cmp_le_u32_e64 s4, s25, v24
	s_wait_alu 0xf1ff
	s_delay_alu instid0(VALU_DEP_1) | instskip(NEXT) | instid1(VALU_DEP_1)
	v_cndmask_b32_e64 v24, v24, v25, s4
	v_subrev_nc_u32_e32 v25, s25, v24
	v_cmp_le_u32_e64 s4, s25, v24
	s_wait_alu 0xf1ff
	s_delay_alu instid0(VALU_DEP_1) | instskip(NEXT) | instid1(VALU_DEP_1)
	v_cndmask_b32_e64 v24, v24, v25, s4
	v_xor_b32_e32 v24, v24, v23
	s_delay_alu instid0(VALU_DEP_1) | instskip(NEXT) | instid1(VALU_DEP_1)
	v_sub_nc_u32_e32 v23, v24, v23
	v_cmp_ne_u32_e64 s4, 0, v23
	s_and_b32 s4, s4, s5
	s_wait_alu 0xfffe
	s_and_saveexec_b32 s5, s4
	s_wait_alu 0xfffe
	s_xor_b32 s4, exec_lo, s5
	s_cbranch_execz .LBB90_17
; %bb.14:                               ;   in Loop: Header=BB90_13 Depth=1
	s_and_saveexec_b32 s5, s3
; %bb.15:                               ;   in Loop: Header=BB90_13 Depth=1
	ds_store_b32 v18, v19
; %bb.16:                               ;   in Loop: Header=BB90_13 Depth=1
	s_wait_alu 0xfffe
	s_or_b32 exec_lo, exec_lo, s5
.LBB90_17:                              ;   in Loop: Header=BB90_13 Depth=1
	s_wait_alu 0xfffe
	s_and_not1_saveexec_b32 s5, s4
	s_cbranch_execz .LBB90_12
; %bb.18:                               ;   in Loop: Header=BB90_13 Depth=1
	global_load_b32 v22, v[1:2], off
	s_wait_loadcnt 0x0
	v_mad_co_i64_i32 v[22:23], null, v22, s29, 0
	s_delay_alu instid0(VALU_DEP_1) | instskip(NEXT) | instid1(VALU_DEP_1)
	v_lshlrev_b64_e32 v[22:23], 1, v[22:23]
	v_add_co_u32 v22, s4, v14, v22
	s_wait_alu 0xf1ff
	s_delay_alu instid0(VALU_DEP_2)
	v_add_co_ci_u32_e64 v23, null, v15, v23, s4
	v_cmp_gt_i32_e64 s4, 32, v20
	s_clause 0x3
	global_load_b64 v[24:25], v[22:23], off
	global_load_b64 v[26:27], v[22:23], off offset:256
	global_load_b64 v[28:29], v[22:23], off offset:512
	;; [unrolled: 1-line block ×3, first 2 shown]
	ds_load_b64 v[30:31], v8
	s_wait_dscnt 0x0
	v_and_b32_e32 v32, 0xffff, v30
	v_lshrrev_b32_e32 v33, 16, v30
	v_lshrrev_b32_e32 v35, 16, v31
	v_and_b32_e32 v34, 0xffff, v31
	;;#ASMSTART
	v_cvt_f32_f16 v30, v32;
	;;#ASMEND
	;;#ASMSTART
	v_cvt_f32_f16 v31, v33;
	;;#ASMEND
	s_wait_loadcnt 0x3
	v_and_b32_e32 v32, 0xffff, v24
	v_lshrrev_b32_e32 v24, 16, v24
	v_lshrrev_b32_e32 v37, 16, v25
	v_and_b32_e32 v25, 0xffff, v25
	;;#ASMSTART
	v_cvt_f32_f16 v32, v32;
	;;#ASMEND
	;;#ASMSTART
	v_cvt_f32_f16 v33, v24;
	;;#ASMEND
	;; [unrolled: 3-line block ×6, first 2 shown]
	ds_load_b64 v[24:25], v8 offset:8
	s_wait_loadcnt 0x2
	v_lshrrev_b32_e32 v39, 16, v26
	v_and_b32_e32 v38, 0xffff, v26
	v_lshrrev_b32_e32 v43, 16, v27
	v_and_b32_e32 v42, 0xffff, v27
	s_wait_loadcnt 0x0
	v_lshrrev_b32_e32 v50, 16, v22
	v_and_b32_e32 v51, 0xffff, v22
	v_lshrrev_b32_e32 v45, 16, v28
	v_and_b32_e32 v44, 0xffff, v28
	;; [unrolled: 2-line block ×3, first 2 shown]
	s_wait_dscnt 0x0
	v_and_b32_e32 v26, 0xffff, v24
	v_lshrrev_b32_e32 v24, 16, v24
	v_lshrrev_b32_e32 v41, 16, v25
	;;#ASMSTART
	v_cvt_f32_f16 v26, v26;
	;;#ASMEND
	;;#ASMSTART
	v_cvt_f32_f16 v27, v24;
	;;#ASMEND
	;; [unrolled: 3-line block ×4, first 2 shown]
	v_dual_mul_f32 v22, v26, v38 :: v_dual_and_b32 v25, 0xffff, v25
	v_mul_f32_e32 v26, v27, v39
	;;#ASMSTART
	v_cvt_f32_f16 v40, v25;
	;;#ASMEND
	;;#ASMSTART
	v_cvt_f32_f16 v41, v41;
	;;#ASMEND
	;; [unrolled: 3-line block ×4, first 2 shown]
	ds_load_b64 v[24:25], v8 offset:16
	v_dual_mul_f32 v38, v41, v43 :: v_dual_mul_f32 v27, v40, v42
	v_fmac_f32_e32 v22, v30, v32
	v_lshrrev_b32_e32 v39, 16, v23
	v_and_b32_e32 v30, 0xffff, v23
	s_delay_alu instid0(VALU_DEP_4)
	v_dual_fmac_f32 v38, v35, v37 :: v_dual_fmac_f32 v27, v34, v36
	s_wait_dscnt 0x0
	v_and_b32_e32 v28, 0xffff, v24
	v_lshrrev_b32_e32 v24, 16, v24
	v_lshrrev_b32_e32 v47, 16, v25
	v_and_b32_e32 v25, 0xffff, v25
	;;#ASMSTART
	v_cvt_f32_f16 v28, v28;
	;;#ASMEND
	;;#ASMSTART
	v_cvt_f32_f16 v29, v24;
	;;#ASMEND
	;; [unrolled: 3-line block ×8, first 2 shown]
	ds_load_b64 v[24:25], v8 offset:24
	v_fmac_f32_e32 v26, v31, v33
	v_fmac_f32_e32 v22, v28, v44
	v_dual_fmac_f32 v27, v46, v48 :: v_dual_fmac_f32 v38, v47, v49
	s_wait_dscnt 0x0
	s_delay_alu instid0(VALU_DEP_3)
	v_dual_fmac_f32 v26, v29, v45 :: v_dual_and_b32 v23, 0xffff, v24
	v_lshrrev_b32_e32 v24, 16, v24
	v_lshrrev_b32_e32 v29, 16, v25
	v_and_b32_e32 v31, 0xffff, v25
	;;#ASMSTART
	v_cvt_f32_f16 v23, v23;
	;;#ASMEND
	;;#ASMSTART
	v_cvt_f32_f16 v24, v24;
	;;#ASMEND
	;; [unrolled: 3-line block ×4, first 2 shown]
	v_fmac_f32_e32 v22, v23, v25
	v_fmac_f32_e32 v26, v24, v28
	;;#ASMSTART
	v_cvt_f32_f16 v23, v31;
	;;#ASMEND
	;;#ASMSTART
	v_cvt_f32_f16 v24, v29;
	;;#ASMEND
	;; [unrolled: 3-line block ×3, first 2 shown]
	s_delay_alu instid0(VALU_DEP_1)
	v_dual_fmac_f32 v27, v23, v25 :: v_dual_add_f32 v22, v22, v26
	;;#ASMSTART
	v_cvt_f32_f16 v23, v39;
	;;#ASMEND
	v_fmac_f32_e32 v38, v24, v23
	s_wait_alu 0xf1ff
	v_cndmask_b32_e64 v23, v5, v20, s4
	v_add_f32_e32 v22, v22, v27
	s_delay_alu instid0(VALU_DEP_1)
	v_dual_add_f32 v22, v38, v22 :: v_dual_lshlrev_b32 v23, 2, v23
	ds_bpermute_b32 v23, v23, v22
	s_and_saveexec_b32 s38, s3
	s_cbranch_execz .LBB90_11
; %bb.19:                               ;   in Loop: Header=BB90_13 Depth=1
	s_wait_dscnt 0x0
	v_add_f32_e32 v22, v22, v23
	v_add_nc_u32_e32 v24, v17, v16
	s_delay_alu instid0(VALU_DEP_1) | instskip(NEXT) | instid1(VALU_DEP_1)
	v_cvt_f32_i32_e32 v24, v24
	v_mul_f32_e32 v24, s15, v24
	s_delay_alu instid0(VALU_DEP_1) | instskip(NEXT) | instid1(VALU_DEP_1)
	v_dual_cndmask_b32 v23, 0, v24 :: v_dual_max_num_f32 v24, v6, v6
	v_dual_fmac_f32 v23, s7, v22 :: v_dual_add_nc_u32 v22, v7, v16
	s_delay_alu instid0(VALU_DEP_1) | instskip(NEXT) | instid1(VALU_DEP_2)
	v_max_num_f32_e32 v24, v24, v23
	v_cmp_gt_i32_e64 s4, s30, v22
	s_wait_alu 0xf1ff
	s_delay_alu instid0(VALU_DEP_1) | instskip(NEXT) | instid1(VALU_DEP_3)
	v_cndmask_b32_e64 v22, 0, v23, s4
	v_cndmask_b32_e64 v6, v6, v24, s4
	ds_store_b32 v18, v22
	s_branch .LBB90_11
.LBB90_20:
	s_or_b32 exec_lo, exec_lo, s28
.LBB90_21:
	s_delay_alu instid0(SALU_CYCLE_1)
	s_or_b32 exec_lo, exec_lo, s6
	v_xor_b32_e32 v1, 16, v5
	v_xor_b32_e32 v2, 8, v5
	;; [unrolled: 1-line block ×3, first 2 shown]
	s_clause 0x2
	s_load_b128 s[4:7], s[0:1], 0x0
	s_load_b64 s[14:15], s[0:1], 0x10
	s_load_b64 s[28:29], s[0:1], 0x28
	v_lshlrev_b32_e32 v16, 2, v11
	v_cmp_gt_i32_e32 vcc_lo, 32, v1
	s_wait_alu 0xfffd
	v_dual_max_num_f32 v8, v6, v6 :: v_dual_cndmask_b32 v1, v5, v1
	v_cmp_gt_i32_e32 vcc_lo, 32, v2
	s_wait_alu 0xfffd
	s_delay_alu instid0(VALU_DEP_2) | instskip(SKIP_3) | instid1(VALU_DEP_1)
	v_dual_cndmask_b32 v2, v5, v2 :: v_dual_lshlrev_b32 v7, 2, v1
	ds_bpermute_b32 v1, v7, v6
	s_wait_dscnt 0x0
	v_dual_max_num_f32 v1, v1, v1 :: v_dual_lshlrev_b32 v6, 2, v2
	v_max_num_f32_e32 v1, v8, v1
	v_xor_b32_e32 v8, 4, v5
	s_delay_alu instid0(VALU_DEP_1)
	v_cmp_gt_i32_e32 vcc_lo, 32, v8
	s_wait_alu 0xfffd
	v_cndmask_b32_e32 v8, v5, v8, vcc_lo
	ds_bpermute_b32 v2, v6, v1
	v_cmp_gt_i32_e32 vcc_lo, 32, v14
	s_wait_alu 0xfffd
	v_cndmask_b32_e32 v14, v5, v14, vcc_lo
	s_wait_dscnt 0x0
	v_max_num_f32_e32 v2, v2, v2
	s_delay_alu instid0(VALU_DEP_1) | instskip(SKIP_3) | instid1(VALU_DEP_1)
	v_dual_max_num_f32 v1, v1, v2 :: v_dual_lshlrev_b32 v8, 2, v8
	ds_bpermute_b32 v2, v8, v1
	s_wait_dscnt 0x0
	v_max_num_f32_e32 v2, v2, v2
	v_max_num_f32_e32 v1, v1, v2
	v_lshlrev_b32_e32 v2, 2, v14
	v_and_b32_e32 v14, 31, v0
	ds_bpermute_b32 v15, v2, v1
	v_cmp_eq_u32_e32 vcc_lo, 0, v14
	s_and_saveexec_b32 s0, vcc_lo
	s_cbranch_execz .LBB90_23
; %bb.22:
	s_wait_dscnt 0x0
	v_max_num_f32_e32 v15, v15, v15
	v_max_num_f32_e32 v1, v1, v1
	s_delay_alu instid0(VALU_DEP_1)
	v_max_num_f32_e32 v1, v1, v15
	ds_store_b32 v16, v1 offset:64
.LBB90_23:
	s_or_b32 exec_lo, exec_lo, s0
	v_cmp_gt_u32_e64 s0, 4, v14
	v_mov_b32_e32 v1, 0xff7fffff
	v_lshlrev_b32_e32 v17, 2, v14
	s_wait_loadcnt_dscnt 0x0
	s_barrier_signal -1
	s_barrier_wait -1
	global_inv scope:SCOPE_SE
	s_and_saveexec_b32 s1, s0
; %bb.24:
	ds_load_b32 v1, v17 offset:64
; %bb.25:
	s_or_b32 exec_lo, exec_lo, s1
	s_wait_dscnt 0x0
	ds_bpermute_b32 v15, v2, v1
	v_xor_b32_e32 v18, 1, v5
	v_max_num_f32_e32 v1, v1, v1
	s_delay_alu instid0(VALU_DEP_2) | instskip(NEXT) | instid1(VALU_DEP_1)
	v_cmp_gt_i32_e64 s1, 32, v18
	v_cndmask_b32_e64 v5, v5, v18, s1
	s_sub_co_i32 s1, s31, s11
	s_wait_alu 0xfffe
	s_lshl_b32 s1, s1, 4
	s_wait_alu 0xfffe
	s_add_co_i32 s1, s1, s34
	s_wait_alu 0xfffe
	s_min_i32 s1, s1, s30
	s_wait_alu 0xfffe
	s_sub_co_i32 s25, s1, s34
	s_wait_dscnt 0x0
	v_dual_max_num_f32 v18, v15, v15 :: v_dual_lshlrev_b32 v15, 2, v5
	s_wait_alu 0xfffe
	v_cmp_gt_i32_e64 s1, s25, v0
	s_delay_alu instid0(VALU_DEP_2) | instskip(SKIP_3) | instid1(VALU_DEP_1)
	v_dual_max_num_f32 v1, v1, v18 :: v_dual_mov_b32 v18, 0
	ds_bpermute_b32 v5, v15, v1
	s_wait_dscnt 0x0
	v_max_num_f32_e32 v5, v5, v5
	v_max_num_f32_e32 v1, v1, v5
	v_lshl_add_u32 v5, v0, 2, 0x60
	ds_bpermute_b32 v1, v18, v1
	s_and_saveexec_b32 s34, s1
	s_cbranch_execz .LBB90_29
; %bb.26:
	v_lshl_add_u32 v19, v0, 2, 0x60
	v_mov_b32_e32 v18, 0
	v_mov_b32_e32 v20, v0
	s_mov_b32 s37, 0
.LBB90_27:                              ; =>This Inner Loop Header: Depth=1
	ds_load_b32 v21, v19
	v_add_nc_u32_e32 v20, 0x80, v20
	s_delay_alu instid0(VALU_DEP_1) | instskip(SKIP_4) | instid1(VALU_DEP_1)
	v_cmp_le_i32_e64 s3, s25, v20
	s_wait_alu 0xfffe
	s_or_b32 s37, s3, s37
	s_wait_dscnt 0x0
	v_sub_f32_e32 v21, v21, v1
	v_mul_f32_e32 v21, 0x3fb8aa3b, v21
	s_delay_alu instid0(VALU_DEP_1)
	v_exp_f32_e32 v21, v21
	ds_store_b32 v19, v21
	v_dual_add_f32 v18, v18, v21 :: v_dual_add_nc_u32 v19, 0x200, v19
	s_wait_alu 0xfffe
	s_and_not1_b32 exec_lo, exec_lo, s37
	s_cbranch_execnz .LBB90_27
; %bb.28:
	s_or_b32 exec_lo, exec_lo, s37
.LBB90_29:
	s_wait_alu 0xfffe
	s_or_b32 exec_lo, exec_lo, s34
	ds_bpermute_b32 v7, v7, v18
	s_wait_dscnt 0x0
	v_add_f32_e32 v7, v18, v7
	ds_bpermute_b32 v6, v6, v7
	s_wait_dscnt 0x0
	v_add_f32_e32 v6, v7, v6
	;; [unrolled: 3-line block ×5, first 2 shown]
	s_and_saveexec_b32 s3, vcc_lo
; %bb.30:
	ds_store_b32 v16, v6 offset:80
; %bb.31:
	s_wait_alu 0xfffe
	s_or_b32 exec_lo, exec_lo, s3
	s_wait_loadcnt_dscnt 0x0
	s_barrier_signal -1
	s_barrier_wait -1
	global_inv scope:SCOPE_SE
	s_and_saveexec_b32 s3, s0
; %bb.32:
	ds_load_b32 v6, v17 offset:80
; %bb.33:
	s_wait_alu 0xfffe
	s_or_b32 exec_lo, exec_lo, s3
	s_wait_dscnt 0x0
	ds_bpermute_b32 v2, v2, v6
	s_wait_dscnt 0x0
	v_add_f32_e32 v2, v6, v2
	ds_bpermute_b32 v6, v15, v2
	s_wait_dscnt 0x0
	v_add_f32_e32 v2, v2, v6
	v_mov_b32_e32 v6, 0
	ds_bpermute_b32 v2, v6, v2
	s_and_saveexec_b32 s0, s1
	s_cbranch_execz .LBB90_36
; %bb.34:
	s_wait_dscnt 0x0
	v_add_f32_e32 v6, 0x358637bd, v2
	s_mov_b32 s1, 0
	s_delay_alu instid0(VALU_DEP_1) | instskip(SKIP_1) | instid1(VALU_DEP_2)
	v_div_scale_f32 v7, null, v6, v6, 1.0
	v_div_scale_f32 v17, vcc_lo, 1.0, v6, 1.0
	v_rcp_f32_e32 v8, v7
	s_delay_alu instid0(TRANS32_DEP_1) | instskip(NEXT) | instid1(VALU_DEP_1)
	v_fma_f32 v16, -v7, v8, 1.0
	v_fmac_f32_e32 v8, v16, v8
	s_delay_alu instid0(VALU_DEP_1) | instskip(NEXT) | instid1(VALU_DEP_1)
	v_mul_f32_e32 v16, v17, v8
	v_fma_f32 v18, -v7, v16, v17
	s_delay_alu instid0(VALU_DEP_1) | instskip(NEXT) | instid1(VALU_DEP_1)
	v_fmac_f32_e32 v16, v18, v8
	v_fma_f32 v7, -v7, v16, v17
	s_wait_alu 0xfffd
	s_delay_alu instid0(VALU_DEP_1) | instskip(NEXT) | instid1(VALU_DEP_1)
	v_div_fmas_f32 v7, v7, v8, v16
	v_div_fixup_f32 v6, v7, v6, 1.0
	v_mov_b32_e32 v7, v0
.LBB90_35:                              ; =>This Inner Loop Header: Depth=1
	ds_load_b32 v8, v5
	s_wait_dscnt 0x0
	v_dual_mul_f32 v8, v6, v8 :: v_dual_add_nc_u32 v7, 0x80, v7
	s_delay_alu instid0(VALU_DEP_1)
	v_cmp_le_i32_e32 vcc_lo, s25, v7
	ds_store_b32 v5, v8
	v_add_nc_u32_e32 v5, 0x200, v5
	s_wait_alu 0xfffe
	s_or_b32 s1, vcc_lo, s1
	s_wait_alu 0xfffe
	s_and_not1_b32 exec_lo, exec_lo, s1
	s_cbranch_execnz .LBB90_35
.LBB90_36:
	s_wait_alu 0xfffe
	s_or_b32 exec_lo, exec_lo, s0
	s_mul_i32 s0, s8, s26
	s_wait_loadcnt_dscnt 0x0
	s_wait_alu 0xfffe
	s_mul_i32 s26, s0, s27
	s_mov_b32 s0, exec_lo
	s_barrier_signal -1
	s_barrier_wait -1
	global_inv scope:SCOPE_SE
	v_cmpx_eq_u32_e32 0, v0
	s_cbranch_execz .LBB90_38
; %bb.37:
	s_ashr_i32 s27, s26, 31
	s_wait_alu 0xfffe
	s_mul_i32 s38, s8, ttmp9
	s_lshl_b32 s1, s33, 2
	s_lshl_b64 s[40:41], s[26:27], 2
	s_ashr_i32 s39, s38, 31
	s_wait_alu 0xfffe
	v_mov_b32_e32 v5, s1
	s_wait_kmcnt 0x0
	s_add_nc_u64 s[6:7], s[6:7], s[40:41]
	s_lshl_b64 s[38:39], s[38:39], 2
	s_add_nc_u64 s[4:5], s[4:5], s[40:41]
	s_wait_alu 0xfffe
	s_add_nc_u64 s[6:7], s[6:7], s[38:39]
	s_add_nc_u64 s[4:5], s[4:5], s[38:39]
	s_clause 0x1
	global_store_b32 v5, v1, s[6:7]
	global_store_b32 v5, v2, s[4:5]
.LBB90_38:
	s_wait_alu 0xfffe
	s_or_b32 exec_lo, exec_lo, s0
	v_mov_b32_e32 v18, 0
	v_mov_b32_e32 v16, 0
	s_and_saveexec_b32 s1, s2
	s_cbranch_execz .LBB90_48
; %bb.39:
	s_abs_i32 s2, s10
	v_lshlrev_b32_e32 v2, 4, v0
	s_wait_alu 0xfffe
	s_cvt_f32_u32 s0, s2
	v_dual_mov_b32 v16, 0 :: v_dual_and_b32 v17, 8, v3
	v_dual_mov_b32 v18, 0 :: v_dual_lshlrev_b32 v3, 5, v10
	s_wait_alu 0xfffe
	v_rcp_iflag_f32_e32 v1, s0
	s_ashr_i32 s25, s24, 31
	s_wait_kmcnt 0x0
	s_lshl_b64 s[6:7], s[22:23], 2
	s_wait_alu 0xfffe
	s_lshl_b64 s[22:23], s[24:25], 1
	s_add_nc_u64 s[6:7], s[20:21], s[6:7]
	s_add_nc_u64 s[20:21], s[28:29], s[22:23]
	s_wait_alu 0xfffe
	v_add_co_u32 v5, s6, s6, v4
	s_sub_co_i32 s5, 0, s2
	v_add_co_ci_u32_e64 v6, null, s7, 0, s6
	v_readfirstlane_b32 s0, v1
	v_and_b32_e32 v1, 0x1f0, v2
	v_lshl_or_b32 v2, v11, 6, v3
	s_sub_co_i32 s3, s36, s9
	s_mov_b32 s4, s13
	s_mul_f32 s0, s0, 0x4f7ffffe
	v_add_co_u32 v19, s6, s20, v1
	s_wait_alu 0xf1ff
	v_add_co_ci_u32_e64 v20, null, s21, 0, s6
	s_wait_alu 0xfffe
	s_cvt_u32_f32 s0, s0
	v_add_nc_u32_e32 v21, 0x60, v2
	s_add_co_i32 s35, s35, -1
	s_wait_alu 0xfffe
	s_mul_i32 s5, s5, s0
	s_wait_alu 0xfffe
	s_mul_hi_u32 s6, s0, s5
	s_mov_b32 s5, 0
	s_wait_alu 0xfffe
	s_add_co_i32 s6, s0, s6
	s_branch .LBB90_42
.LBB90_40:                              ;   in Loop: Header=BB90_42 Depth=1
	s_wait_alu 0xfffe
	s_or_b32 exec_lo, exec_lo, s0
	v_lshlrev_b32_e32 v22, 16, v36
	v_lshlrev_b32_e32 v8, 16, v8
	;; [unrolled: 1-line block ×3, first 2 shown]
	s_delay_alu instid0(VALU_DEP_3) | instskip(NEXT) | instid1(VALU_DEP_3)
	v_and_or_b32 v1, 0xffff, v1, v22
	v_and_or_b32 v2, 0xffff, v2, v8
	s_delay_alu instid0(VALU_DEP_3)
	v_and_or_b32 v3, 0xffff, v3, v7
	;;#ASMSTART
	v_pk_mul_f16 v1, v31, v1;

	;;#ASMEND
	;;#ASMSTART
	v_pk_mul_f16 v2, v30, v2;

	;;#ASMEND
	;; [unrolled: 4-line block ×4, first 2 shown]
	;;#ASMSTART
	v_pk_add_f16 v1, v1, v2;

	;;#ASMEND
	;;#ASMSTART
	v_pk_add_f16 v1, v1, v3;

	;;#ASMEND
	;;#ASMSTART
	v_pk_add_f16 v1, v1, v4;

	;;#ASMEND
	v_and_b32_e32 v2, 0xffff, v1
	v_lshrrev_b32_e32 v3, 16, v1
	;;#ASMSTART
	v_cvt_f32_f16 v2, v2;
	;;#ASMEND
	v_add_f32_e32 v1, v32, v35
	;;#ASMSTART
	v_cvt_f32_f16 v3, v3;
	;;#ASMEND
	s_delay_alu instid0(VALU_DEP_2) | instskip(NEXT) | instid1(VALU_DEP_2)
	v_add_f32_e32 v2, v2, v3
	v_add_f32_e32 v16, v16, v1
	s_delay_alu instid0(VALU_DEP_2)
	v_add_f32_e32 v18, v18, v2
.LBB90_41:                              ;   in Loop: Header=BB90_42 Depth=1
	s_wait_alu 0xfffe
	s_or_b32 exec_lo, exec_lo, s7
	v_add_nc_u32_e32 v13, 4, v13
	v_add_co_u32 v5, s0, v5, 16
	s_wait_alu 0xf1ff
	v_add_co_ci_u32_e64 v6, null, 0, v6, s0
	s_delay_alu instid0(VALU_DEP_3)
	v_cmp_le_i32_e32 vcc_lo, s31, v13
	v_add_nc_u32_e32 v12, 64, v12
	v_add_nc_u32_e32 v21, 0x100, v21
	s_or_b32 s5, vcc_lo, s5
	s_wait_alu 0xfffe
	s_and_not1_b32 exec_lo, exec_lo, s5
	s_cbranch_execz .LBB90_47
.LBB90_42:                              ; =>This Inner Loop Header: Depth=1
	v_sub_nc_u32_e32 v1, 0, v12
	s_delay_alu instid0(VALU_DEP_1) | instskip(NEXT) | instid1(VALU_DEP_1)
	v_max_i32_e32 v1, v12, v1
	v_mul_hi_u32 v2, v1, s18
	s_delay_alu instid0(VALU_DEP_1) | instskip(NEXT) | instid1(VALU_DEP_1)
	v_mul_lo_u32 v3, v2, s12
	v_sub_nc_u32_e32 v1, v1, v3
	v_add_nc_u32_e32 v3, 1, v2
	s_delay_alu instid0(VALU_DEP_2) | instskip(SKIP_2) | instid1(VALU_DEP_2)
	v_subrev_nc_u32_e32 v4, s12, v1
	v_cmp_le_u32_e32 vcc_lo, s12, v1
	s_wait_alu 0xfffd
	v_dual_cndmask_b32 v2, v2, v3 :: v_dual_cndmask_b32 v1, v1, v4
	v_ashrrev_i32_e32 v3, 31, v12
	s_delay_alu instid0(VALU_DEP_2) | instskip(NEXT) | instid1(VALU_DEP_3)
	v_add_nc_u32_e32 v4, 1, v2
	v_cmp_le_u32_e32 vcc_lo, s12, v1
	s_delay_alu instid0(VALU_DEP_3) | instskip(SKIP_1) | instid1(VALU_DEP_3)
	v_xor_b32_e32 v3, s19, v3
	s_wait_alu 0xfffd
	v_cndmask_b32_e32 v1, v2, v4, vcc_lo
	s_delay_alu instid0(VALU_DEP_1) | instskip(NEXT) | instid1(VALU_DEP_1)
	v_xor_b32_e32 v1, v1, v3
	v_sub_nc_u32_e32 v1, v1, v3
	s_delay_alu instid0(VALU_DEP_1) | instskip(SKIP_1) | instid1(VALU_DEP_2)
	v_add_nc_u32_e32 v2, s17, v1
	v_cmp_lt_i32_e64 s0, s3, v1
	v_sub_nc_u32_e32 v3, 0, v2
	s_delay_alu instid0(VALU_DEP_1) | instskip(SKIP_1) | instid1(VALU_DEP_1)
	v_max_i32_e32 v3, v2, v3
	s_wait_alu 0xfffe
	v_mul_hi_u32 v4, v3, s6
	s_delay_alu instid0(VALU_DEP_1) | instskip(NEXT) | instid1(VALU_DEP_1)
	v_mul_lo_u32 v4, v4, s2
	v_sub_nc_u32_e32 v3, v3, v4
	s_delay_alu instid0(VALU_DEP_1) | instskip(SKIP_2) | instid1(VALU_DEP_2)
	v_subrev_nc_u32_e32 v4, s2, v3
	v_cmp_le_u32_e32 vcc_lo, s2, v3
	s_wait_alu 0xfffd
	v_cndmask_b32_e32 v3, v3, v4, vcc_lo
	v_ashrrev_i32_e32 v2, 31, v2
	s_delay_alu instid0(VALU_DEP_2) | instskip(SKIP_2) | instid1(VALU_DEP_2)
	v_subrev_nc_u32_e32 v4, s2, v3
	v_cmp_le_u32_e32 vcc_lo, s2, v3
	s_wait_alu 0xfffd
	v_cndmask_b32_e32 v3, v3, v4, vcc_lo
	s_delay_alu instid0(VALU_DEP_1) | instskip(NEXT) | instid1(VALU_DEP_1)
	v_xor_b32_e32 v3, v3, v2
	v_sub_nc_u32_e32 v2, v3, v2
	s_delay_alu instid0(VALU_DEP_1)
	v_cmp_eq_u32_e32 vcc_lo, 0, v2
	s_or_b32 s0, vcc_lo, s0
	s_wait_alu 0xfffe
	s_and_saveexec_b32 s7, s0
	s_cbranch_execz .LBB90_41
; %bb.43:                               ;   in Loop: Header=BB90_42 Depth=1
	global_load_b32 v7, v[5:6], off
	ds_load_2addr_b64 v[1:4], v21 offset1:1
	ds_load_2addr_b64 v[22:25], v21 offset0:2 offset1:3
	v_add_nc_u32_e32 v27, v17, v12
	s_wait_dscnt 0x1
	;;#ASMSTART
	v_cvt_f16_f32 v31, v1;

	;;#ASMEND
	;;#ASMSTART
	v_cvt_f16_f32 v30, v2;

	;;#ASMEND
	;; [unrolled: 4-line block ×4, first 2 shown]
	s_wait_dscnt 0x0
	;;#ASMSTART
	v_cvt_f16_f32 v37, v22;

	;;#ASMEND
	;;#ASMSTART
	v_cvt_f16_f32 v33, v23;

	;;#ASMEND
	;; [unrolled: 4-line block ×4, first 2 shown]
	v_add_nc_u32_e32 v29, 1, v27
	v_add_nc_u32_e32 v28, 2, v27
	;; [unrolled: 1-line block ×7, first 2 shown]
	s_wait_loadcnt 0x0
	v_mad_co_i64_i32 v[7:8], null, v7, s4, 0
	s_delay_alu instid0(VALU_DEP_1) | instskip(NEXT) | instid1(VALU_DEP_1)
	v_lshlrev_b64_e32 v[7:8], 1, v[7:8]
	v_add_co_u32 v7, vcc_lo, v19, v7
	s_wait_alu 0xfffd
	s_delay_alu instid0(VALU_DEP_2)
	v_add_co_ci_u32_e64 v8, null, v20, v8, vcc_lo
	v_cmp_eq_u32_e32 vcc_lo, s35, v13
	global_load_b128 v[1:4], v[7:8], off
	s_wait_loadcnt 0x0
	v_lshrrev_b32_e32 v40, 16, v1
	v_lshrrev_b32_e32 v39, 16, v2
	;; [unrolled: 1-line block ×3, first 2 shown]
	s_and_saveexec_b32 s9, vcc_lo
	s_cbranch_execz .LBB90_45
; %bb.44:                               ;   in Loop: Header=BB90_42 Depth=1
	v_cmp_gt_i32_e64 s0, s30, v27
	v_and_b32_e32 v41, 0xffff, v4
	v_and_b32_e32 v4, 0xffff0000, v4
	s_wait_alu 0xf1ff
	s_delay_alu instid0(VALU_DEP_3) | instskip(SKIP_2) | instid1(VALU_DEP_1)
	v_cndmask_b32_e64 v1, 0, v1, s0
	v_cmp_gt_i32_e64 s0, s30, v29
	s_wait_alu 0xf1ff
	v_cndmask_b32_e64 v40, 0, v40, s0
	v_cmp_gt_i32_e64 s0, s30, v28
	s_wait_alu 0xf1ff
	s_delay_alu instid0(VALU_DEP_1) | instskip(SKIP_2) | instid1(VALU_DEP_1)
	v_cndmask_b32_e64 v2, 0, v2, s0
	v_cmp_gt_i32_e64 s0, s30, v24
	s_wait_alu 0xf1ff
	v_cndmask_b32_e64 v39, 0, v39, s0
	v_cmp_gt_i32_e64 s0, s30, v25
	s_wait_alu 0xf1ff
	s_delay_alu instid0(VALU_DEP_1) | instskip(SKIP_2) | instid1(VALU_DEP_1)
	v_cndmask_b32_e64 v41, 0, v41, s0
	v_cmp_gt_i32_e64 s0, s30, v26
	s_wait_alu 0xf1ff
	v_cndmask_b32_e64 v4, 0, v4, s0
	v_cmp_gt_i32_e64 s0, s30, v23
	s_delay_alu instid0(VALU_DEP_2) | instskip(SKIP_1) | instid1(VALU_DEP_2)
	v_or_b32_e32 v4, v41, v4
	s_wait_alu 0xf1ff
	v_cndmask_b32_e64 v3, 0, v3, s0
	v_cmp_gt_i32_e64 s0, s30, v22
	s_wait_alu 0xf1ff
	s_delay_alu instid0(VALU_DEP_1)
	v_cndmask_b32_e64 v38, 0, v38, s0
.LBB90_45:                              ;   in Loop: Header=BB90_42 Depth=1
	s_or_b32 exec_lo, exec_lo, s9
	v_and_b32_e32 v31, 0xffff, v31
	v_and_b32_e32 v36, 0xffff, v36
	v_lshlrev_b32_e32 v40, 16, v40
	v_and_b32_e32 v37, 0xffff, v37
	v_and_b32_e32 v35, 0xffff, v35
	v_lshl_or_b32 v31, v30, 16, v31
	v_lshl_or_b32 v30, v34, 16, v36
	v_lshlrev_b32_e32 v34, 16, v39
	v_lshlrev_b32_e32 v36, 16, v38
	v_and_or_b32 v1, 0xffff, v1, v40
	;;#ASMSTART
	v_pk_mul_f16 v1, v31, v1;

	;;#ASMEND
	v_lshl_or_b32 v33, v33, 16, v37
	v_and_or_b32 v2, 0xffff, v2, v34
	v_and_or_b32 v3, 0xffff, v3, v36
	v_lshl_or_b32 v34, v32, 16, v35
	;;#ASMSTART
	v_pk_mul_f16 v2, v30, v2;

	;;#ASMEND
	;;#ASMSTART
	v_pk_mul_f16 v3, v33, v3;

	;;#ASMEND
	;; [unrolled: 4-line block ×3, first 2 shown]
	;;#ASMSTART
	v_pk_add_f16 v1, v1, v2;

	;;#ASMEND
	;;#ASMSTART
	v_pk_add_f16 v1, v1, v3;

	;;#ASMEND
	;; [unrolled: 4-line block ×3, first 2 shown]
	v_and_b32_e32 v2, 0xffff, v1
	v_lshrrev_b32_e32 v1, 16, v1
	;;#ASMSTART
	v_cvt_f32_f16 v32, v2;
	;;#ASMEND
	;;#ASMSTART
	v_cvt_f32_f16 v35, v1;
	;;#ASMEND
	global_load_b128 v[1:4], v[7:8], off offset:512
	s_wait_loadcnt 0x0
	v_lshrrev_b32_e32 v36, 16, v1
	v_lshrrev_b32_e32 v8, 16, v2
	;; [unrolled: 1-line block ×3, first 2 shown]
	s_and_saveexec_b32 s0, vcc_lo
	s_cbranch_execz .LBB90_40
; %bb.46:                               ;   in Loop: Header=BB90_42 Depth=1
	v_cmp_gt_i32_e32 vcc_lo, s30, v27
	v_and_b32_e32 v27, 0xffff, v4
	s_wait_alu 0xfffd
	v_dual_cndmask_b32 v1, 0, v1 :: v_dual_and_b32 v4, 0xffff0000, v4
	v_cmp_gt_i32_e32 vcc_lo, s30, v29
	s_wait_alu 0xfffd
	v_cndmask_b32_e32 v36, 0, v36, vcc_lo
	v_cmp_gt_i32_e32 vcc_lo, s30, v28
	s_wait_alu 0xfffd
	v_cndmask_b32_e32 v2, 0, v2, vcc_lo
	;; [unrolled: 3-line block ×5, first 2 shown]
	v_cmp_gt_i32_e32 vcc_lo, s30, v23
	s_delay_alu instid0(VALU_DEP_2)
	v_or_b32_e32 v4, v24, v4
	s_wait_alu 0xfffd
	v_cndmask_b32_e32 v3, 0, v3, vcc_lo
	v_cmp_gt_i32_e32 vcc_lo, s30, v22
	s_wait_alu 0xfffd
	v_cndmask_b32_e32 v7, 0, v7, vcc_lo
	s_branch .LBB90_40
.LBB90_47:
	s_or_b32 exec_lo, exec_lo, s5
.LBB90_48:
	s_wait_alu 0xfffe
	s_or_b32 exec_lo, exec_lo, s1
	ds_bpermute_b32 v1, v15, v16
	ds_bpermute_b32 v5, v15, v18
	v_lshrrev_b32_e32 v3, 1, v14
	v_and_b32_e32 v6, 0x3c1, v0
	s_mov_b32 s0, exec_lo
	s_wait_storecnt 0x0
	s_wait_loadcnt_dscnt 0x0
	s_barrier_signal -1
	v_lshl_add_u32 v4, v3, 2, 0x60
	s_barrier_wait -1
	global_inv scope:SCOPE_SE
	v_add_f32_e32 v2, v16, v1
	v_add_f32_e32 v1, v18, v5
	v_cmpx_eq_u32_e32 64, v6
	s_cbranch_execz .LBB90_50
; %bb.49:
	v_lshl_add_u32 v5, v11, 7, v4
	s_delay_alu instid0(VALU_DEP_1)
	v_add_nc_u32_e32 v6, 0xffffff00, v5
	v_add_nc_u32_e32 v5, 0xffffff40, v5
	ds_store_b32 v6, v2
	ds_store_b32 v5, v1
.LBB90_50:
	s_wait_alu 0xfffe
	s_or_b32 exec_lo, exec_lo, s0
	v_and_b32_e32 v5, 0x3e0, v0
	v_lshlrev_b32_e32 v3, 2, v3
	s_mov_b32 s1, exec_lo
	v_cmp_eq_u32_e32 vcc_lo, 0, v10
	s_wait_loadcnt_dscnt 0x0
	v_lshlrev_b32_e32 v5, 2, v5
	s_barrier_signal -1
	s_barrier_wait -1
	global_inv scope:SCOPE_SE
	v_add3_u32 v3, 0x60, v5, v3
	v_cmpx_gt_u32_e32 64, v0
	s_cbranch_execz .LBB90_56
; %bb.51:
	s_and_saveexec_b32 s0, vcc_lo
	s_cbranch_execz .LBB90_53
; %bb.52:
	ds_load_b32 v5, v3
	s_wait_dscnt 0x0
	v_add_f32_e32 v2, v2, v5
.LBB90_53:
	s_wait_alu 0xfffe
	s_or_b32 exec_lo, exec_lo, s0
	s_and_saveexec_b32 s0, vcc_lo
	s_cbranch_execz .LBB90_55
; %bb.54:
	ds_load_b32 v5, v3 offset:64
	s_wait_dscnt 0x0
	v_add_f32_e32 v1, v1, v5
.LBB90_55:
	s_wait_alu 0xfffe
	s_or_b32 exec_lo, exec_lo, s0
.LBB90_56:
	s_wait_alu 0xfffe
	s_or_b32 exec_lo, exec_lo, s1
	v_and_b32_e32 v5, 0x3e1, v0
	s_mov_b32 s1, exec_lo
	s_wait_loadcnt 0x0
	s_barrier_signal -1
	s_barrier_wait -1
	global_inv scope:SCOPE_SE
	v_cmpx_eq_u32_e32 32, v5
; %bb.57:
	ds_store_2addr_b32 v4, v2, v1 offset1:16
; %bb.58:
	s_wait_alu 0xfffe
	s_or_b32 exec_lo, exec_lo, s1
	s_delay_alu instid0(SALU_CYCLE_1)
	s_mov_b32 s1, exec_lo
	s_wait_loadcnt_dscnt 0x0
	s_barrier_signal -1
	s_barrier_wait -1
	global_inv scope:SCOPE_SE
	v_cmpx_gt_u32_e32 32, v0
	s_cbranch_execz .LBB90_64
; %bb.59:
	s_and_saveexec_b32 s0, vcc_lo
	s_cbranch_execz .LBB90_61
; %bb.60:
	ds_load_b32 v0, v3
	s_wait_dscnt 0x0
	v_add_f32_e32 v2, v2, v0
.LBB90_61:
	s_wait_alu 0xfffe
	s_or_b32 exec_lo, exec_lo, s0
	s_and_saveexec_b32 s0, vcc_lo
	s_cbranch_execz .LBB90_63
; %bb.62:
	ds_load_b32 v0, v3 offset:64
	s_wait_dscnt 0x0
	v_add_f32_e32 v1, v1, v0
.LBB90_63:
	s_wait_alu 0xfffe
	s_or_b32 exec_lo, exec_lo, s0
.LBB90_64:
	s_wait_alu 0xfffe
	s_or_b32 exec_lo, exec_lo, s1
	s_mov_b32 s1, 0
	s_wait_loadcnt 0x0
	s_barrier_signal -1
	s_barrier_wait -1
	global_inv scope:SCOPE_SE
	s_mov_b32 s0, exec_lo
	v_cmpx_eq_u32_e32 0, v5
	s_cbranch_execz .LBB90_66
; %bb.65:
	s_lshl_b32 s2, s26, 5
	s_wait_kmcnt 0x0
	s_mul_i32 s4, s8, s16
	s_wait_alu 0xfffe
	s_ashr_i32 s3, s2, 31
	s_ashr_i32 s5, s4, 31
	s_wait_alu 0xfffe
	s_lshl_b64 s[2:3], s[2:3], 1
	s_lshl_b64 s[4:5], s[4:5], 1
	s_wait_alu 0xfffe
	s_add_nc_u64 s[2:3], s[14:15], s[2:3]
	v_lshlrev_b32_e32 v0, 1, v9
	s_lshl_b32 s0, s11, 1
	s_wait_alu 0xfffe
	s_add_nc_u64 s[2:3], s[2:3], s[4:5]
	;;#ASMSTART
	v_cvt_f16_f32 v2, v2;

	;;#ASMEND
	s_wait_alu 0xfffe
	s_add_nc_u64 s[0:1], s[2:3], s[0:1]
	global_store_b16 v0, v2, s[0:1]
	;;#ASMSTART
	v_cvt_f16_f32 v1, v1;

	;;#ASMEND
	global_store_b16 v0, v1, s[0:1] offset:32
.LBB90_66:
	s_endpgm
	.section	.rodata,"a",@progbits
	.p2align	6, 0x0
	.amdhsa_kernel _ZN4vllm25paged_attention_v2_kernelIttLi32ELi16ELi128ELNS_18Fp8KVCacheDataTypeE0ELb1ELi512EEEvPfS2_PT_PKS3_PKT0_S9_ifPKiSB_iPKfiiiSD_SD_iiiii
		.amdhsa_group_segment_fixed_size 96
		.amdhsa_private_segment_fixed_size 0
		.amdhsa_kernarg_size 400
		.amdhsa_user_sgpr_count 2
		.amdhsa_user_sgpr_dispatch_ptr 0
		.amdhsa_user_sgpr_queue_ptr 0
		.amdhsa_user_sgpr_kernarg_segment_ptr 1
		.amdhsa_user_sgpr_dispatch_id 0
		.amdhsa_user_sgpr_private_segment_size 0
		.amdhsa_wavefront_size32 1
		.amdhsa_uses_dynamic_stack 0
		.amdhsa_enable_private_segment 0
		.amdhsa_system_sgpr_workgroup_id_x 1
		.amdhsa_system_sgpr_workgroup_id_y 1
		.amdhsa_system_sgpr_workgroup_id_z 1
		.amdhsa_system_sgpr_workgroup_info 0
		.amdhsa_system_vgpr_workitem_id 0
		.amdhsa_next_free_vgpr 52
		.amdhsa_next_free_sgpr 42
		.amdhsa_reserve_vcc 1
		.amdhsa_float_round_mode_32 0
		.amdhsa_float_round_mode_16_64 0
		.amdhsa_float_denorm_mode_32 3
		.amdhsa_float_denorm_mode_16_64 3
		.amdhsa_fp16_overflow 0
		.amdhsa_workgroup_processor_mode 1
		.amdhsa_memory_ordered 1
		.amdhsa_forward_progress 1
		.amdhsa_inst_pref_size 42
		.amdhsa_round_robin_scheduling 0
		.amdhsa_exception_fp_ieee_invalid_op 0
		.amdhsa_exception_fp_denorm_src 0
		.amdhsa_exception_fp_ieee_div_zero 0
		.amdhsa_exception_fp_ieee_overflow 0
		.amdhsa_exception_fp_ieee_underflow 0
		.amdhsa_exception_fp_ieee_inexact 0
		.amdhsa_exception_int_div_zero 0
	.end_amdhsa_kernel
	.section	.text._ZN4vllm25paged_attention_v2_kernelIttLi32ELi16ELi128ELNS_18Fp8KVCacheDataTypeE0ELb1ELi512EEEvPfS2_PT_PKS3_PKT0_S9_ifPKiSB_iPKfiiiSD_SD_iiiii,"axG",@progbits,_ZN4vllm25paged_attention_v2_kernelIttLi32ELi16ELi128ELNS_18Fp8KVCacheDataTypeE0ELb1ELi512EEEvPfS2_PT_PKS3_PKT0_S9_ifPKiSB_iPKfiiiSD_SD_iiiii,comdat
.Lfunc_end90:
	.size	_ZN4vllm25paged_attention_v2_kernelIttLi32ELi16ELi128ELNS_18Fp8KVCacheDataTypeE0ELb1ELi512EEEvPfS2_PT_PKS3_PKT0_S9_ifPKiSB_iPKfiiiSD_SD_iiiii, .Lfunc_end90-_ZN4vllm25paged_attention_v2_kernelIttLi32ELi16ELi128ELNS_18Fp8KVCacheDataTypeE0ELb1ELi512EEEvPfS2_PT_PKS3_PKT0_S9_ifPKiSB_iPKfiiiSD_SD_iiiii
                                        ; -- End function
	.set _ZN4vllm25paged_attention_v2_kernelIttLi32ELi16ELi128ELNS_18Fp8KVCacheDataTypeE0ELb1ELi512EEEvPfS2_PT_PKS3_PKT0_S9_ifPKiSB_iPKfiiiSD_SD_iiiii.num_vgpr, 52
	.set _ZN4vllm25paged_attention_v2_kernelIttLi32ELi16ELi128ELNS_18Fp8KVCacheDataTypeE0ELb1ELi512EEEvPfS2_PT_PKS3_PKT0_S9_ifPKiSB_iPKfiiiSD_SD_iiiii.num_agpr, 0
	.set _ZN4vllm25paged_attention_v2_kernelIttLi32ELi16ELi128ELNS_18Fp8KVCacheDataTypeE0ELb1ELi512EEEvPfS2_PT_PKS3_PKT0_S9_ifPKiSB_iPKfiiiSD_SD_iiiii.numbered_sgpr, 42
	.set _ZN4vllm25paged_attention_v2_kernelIttLi32ELi16ELi128ELNS_18Fp8KVCacheDataTypeE0ELb1ELi512EEEvPfS2_PT_PKS3_PKT0_S9_ifPKiSB_iPKfiiiSD_SD_iiiii.num_named_barrier, 0
	.set _ZN4vllm25paged_attention_v2_kernelIttLi32ELi16ELi128ELNS_18Fp8KVCacheDataTypeE0ELb1ELi512EEEvPfS2_PT_PKS3_PKT0_S9_ifPKiSB_iPKfiiiSD_SD_iiiii.private_seg_size, 0
	.set _ZN4vllm25paged_attention_v2_kernelIttLi32ELi16ELi128ELNS_18Fp8KVCacheDataTypeE0ELb1ELi512EEEvPfS2_PT_PKS3_PKT0_S9_ifPKiSB_iPKfiiiSD_SD_iiiii.uses_vcc, 1
	.set _ZN4vllm25paged_attention_v2_kernelIttLi32ELi16ELi128ELNS_18Fp8KVCacheDataTypeE0ELb1ELi512EEEvPfS2_PT_PKS3_PKT0_S9_ifPKiSB_iPKfiiiSD_SD_iiiii.uses_flat_scratch, 0
	.set _ZN4vllm25paged_attention_v2_kernelIttLi32ELi16ELi128ELNS_18Fp8KVCacheDataTypeE0ELb1ELi512EEEvPfS2_PT_PKS3_PKT0_S9_ifPKiSB_iPKfiiiSD_SD_iiiii.has_dyn_sized_stack, 0
	.set _ZN4vllm25paged_attention_v2_kernelIttLi32ELi16ELi128ELNS_18Fp8KVCacheDataTypeE0ELb1ELi512EEEvPfS2_PT_PKS3_PKT0_S9_ifPKiSB_iPKfiiiSD_SD_iiiii.has_recursion, 0
	.set _ZN4vllm25paged_attention_v2_kernelIttLi32ELi16ELi128ELNS_18Fp8KVCacheDataTypeE0ELb1ELi512EEEvPfS2_PT_PKS3_PKT0_S9_ifPKiSB_iPKfiiiSD_SD_iiiii.has_indirect_call, 0
	.section	.AMDGPU.csdata,"",@progbits
; Kernel info:
; codeLenInByte = 5264
; TotalNumSgprs: 44
; NumVgprs: 52
; ScratchSize: 0
; MemoryBound: 0
; FloatMode: 240
; IeeeMode: 1
; LDSByteSize: 96 bytes/workgroup (compile time only)
; SGPRBlocks: 0
; VGPRBlocks: 6
; NumSGPRsForWavesPerEU: 44
; NumVGPRsForWavesPerEU: 52
; Occupancy: 16
; WaveLimiterHint : 1
; COMPUTE_PGM_RSRC2:SCRATCH_EN: 0
; COMPUTE_PGM_RSRC2:USER_SGPR: 2
; COMPUTE_PGM_RSRC2:TRAP_HANDLER: 0
; COMPUTE_PGM_RSRC2:TGID_X_EN: 1
; COMPUTE_PGM_RSRC2:TGID_Y_EN: 1
; COMPUTE_PGM_RSRC2:TGID_Z_EN: 1
; COMPUTE_PGM_RSRC2:TIDIG_COMP_CNT: 0
	.section	.text._ZN4vllm25paged_attention_v2_kernelIttLi64ELi16ELi128ELNS_18Fp8KVCacheDataTypeE0ELb1ELi512EEEvPfS2_PT_PKS3_PKT0_S9_ifPKiSB_iPKfiiiSD_SD_iiiii,"axG",@progbits,_ZN4vllm25paged_attention_v2_kernelIttLi64ELi16ELi128ELNS_18Fp8KVCacheDataTypeE0ELb1ELi512EEEvPfS2_PT_PKS3_PKT0_S9_ifPKiSB_iPKfiiiSD_SD_iiiii,comdat
	.protected	_ZN4vllm25paged_attention_v2_kernelIttLi64ELi16ELi128ELNS_18Fp8KVCacheDataTypeE0ELb1ELi512EEEvPfS2_PT_PKS3_PKT0_S9_ifPKiSB_iPKfiiiSD_SD_iiiii ; -- Begin function _ZN4vllm25paged_attention_v2_kernelIttLi64ELi16ELi128ELNS_18Fp8KVCacheDataTypeE0ELb1ELi512EEEvPfS2_PT_PKS3_PKT0_S9_ifPKiSB_iPKfiiiSD_SD_iiiii
	.globl	_ZN4vllm25paged_attention_v2_kernelIttLi64ELi16ELi128ELNS_18Fp8KVCacheDataTypeE0ELb1ELi512EEEvPfS2_PT_PKS3_PKT0_S9_ifPKiSB_iPKfiiiSD_SD_iiiii
	.p2align	8
	.type	_ZN4vllm25paged_attention_v2_kernelIttLi64ELi16ELi128ELNS_18Fp8KVCacheDataTypeE0ELb1ELi512EEEvPfS2_PT_PKS3_PKT0_S9_ifPKiSB_iPKfiiiSD_SD_iiiii,@function
_ZN4vllm25paged_attention_v2_kernelIttLi64ELi16ELi128ELNS_18Fp8KVCacheDataTypeE0ELb1ELi512EEEvPfS2_PT_PKS3_PKT0_S9_ifPKiSB_iPKfiiiSD_SD_iiiii: ; @_ZN4vllm25paged_attention_v2_kernelIttLi64ELi16ELi128ELNS_18Fp8KVCacheDataTypeE0ELb1ELi512EEEvPfS2_PT_PKS3_PKT0_S9_ifPKiSB_iPKfiiiSD_SD_iiiii
; %bb.0:
	s_load_b64 s[2:3], s[0:1], 0x40
	s_and_b32 s26, ttmp7, 0xffff
	s_lshr_b32 s30, ttmp7, 16
	s_lshl_b32 s4, s26, 2
	s_lshl_b32 s33, s30, 9
	s_wait_kmcnt 0x0
	s_load_b32 s31, s[2:3], s4 offset:0x0
	s_wait_kmcnt 0x0
	s_cmp_ge_i32 s33, s31
	s_cbranch_scc1 .LBB91_72
; %bb.1:
	s_clause 0x1
	s_load_b32 s27, s[0:1], 0x90
	s_load_b64 s[6:7], s[0:1], 0x30
	s_wait_kmcnt 0x0
	s_abs_i32 s5, s27
	s_abs_i32 s2, s6
	s_delay_alu instid0(SALU_CYCLE_1) | instskip(SKIP_1) | instid1(SALU_CYCLE_2)
	s_cvt_f32_u32 s3, s2
	s_sub_co_i32 s4, 0, s2
	v_rcp_iflag_f32_e32 v1, s3
	s_delay_alu instid0(TRANS32_DEP_1) | instskip(SKIP_2) | instid1(SALU_CYCLE_2)
	v_readfirstlane_b32 s3, v1
	s_mul_f32 s3, s3, 0x4f7ffffe
	s_wait_alu 0xfffe
	s_cvt_u32_f32 s3, s3
	s_wait_alu 0xfffe
	s_delay_alu instid0(SALU_CYCLE_2) | instskip(NEXT) | instid1(SALU_CYCLE_1)
	s_mul_i32 s4, s4, s3
	s_mul_hi_u32 s4, s3, s4
	s_delay_alu instid0(SALU_CYCLE_1)
	s_add_co_i32 s3, s3, s4
	s_xor_b32 s4, s27, s6
	s_wait_alu 0xfffe
	s_mul_hi_u32 s3, s5, s3
	s_ashr_i32 s4, s4, 31
	s_wait_alu 0xfffe
	s_mul_i32 s8, s3, s2
	s_delay_alu instid0(SALU_CYCLE_1)
	s_sub_co_i32 s5, s5, s8
	s_add_co_i32 s8, s3, 1
	s_sub_co_i32 s9, s5, s2
	s_cmp_ge_u32 s5, s2
	s_cselect_b32 s3, s8, s3
	s_cselect_b32 s5, s9, s5
	s_wait_alu 0xfffe
	s_add_co_i32 s8, s3, 1
	s_cmp_ge_u32 s5, s2
	s_cselect_b32 s2, s8, s3
	s_load_b64 s[8:9], s[0:1], 0x50
	s_xor_b32 s2, s2, s4
	s_mov_b32 s3, 0
	s_wait_alu 0xfffe
	s_sub_co_i32 s10, s2, s4
	s_mov_b32 s15, s3
	s_abs_i32 s18, s10
	s_delay_alu instid0(SALU_CYCLE_1) | instskip(SKIP_1) | instid1(SALU_CYCLE_2)
	s_cvt_f32_u32 s2, s18
	s_wait_alu 0xfffe
	v_rcp_iflag_f32_e32 v1, s2
	s_delay_alu instid0(TRANS32_DEP_1) | instskip(SKIP_2) | instid1(SALU_CYCLE_2)
	v_readfirstlane_b32 s2, v1
	s_mul_f32 s2, s2, 0x4f7ffffe
	s_wait_alu 0xfffe
	s_cvt_u32_f32 s4, s2
	s_sub_co_i32 s2, 0, s18
	s_wait_alu 0xfffe
	s_delay_alu instid0(SALU_CYCLE_1)
	s_mul_i32 s2, s2, s4
	s_wait_alu 0xfffe
	s_mul_hi_u32 s5, s4, s2
	s_abs_i32 s2, ttmp9
	s_add_co_i32 s4, s4, s5
	s_mov_b32 s5, s3
	s_wait_kmcnt 0x0
	s_cmp_eq_u64 s[8:9], 0
	s_cbranch_scc1 .LBB91_3
; %bb.2:
	s_mov_b32 s12, ttmp9
	s_ashr_i32 s13, ttmp9, 31
	s_delay_alu instid0(SALU_CYCLE_1) | instskip(NEXT) | instid1(SALU_CYCLE_1)
	s_lshl_b64 s[12:13], s[12:13], 2
	s_add_nc_u64 s[8:9], s[8:9], s[12:13]
	s_load_b32 s15, s[8:9], 0x0
.LBB91_3:
	s_load_b96 s[12:14], s[0:1], 0x58
	v_lshrrev_b32_e32 v9, 1, v0
	v_and_b32_e32 v10, 1, v0
	v_lshlrev_b32_e32 v3, 3, v0
	s_mul_u64 s[4:5], s[2:3], s[4:5]
	s_ashr_i32 s3, ttmp9, 31
	s_ashr_i32 s4, s10, 31
	s_lshl_b32 s16, ttmp9, 6
	s_mov_b32 s8, exec_lo
	v_cmpx_gt_u32_e32 16, v0
	s_cbranch_execz .LBB91_5
; %bb.4:
	s_load_b64 s[10:11], s[0:1], 0x18
	s_wait_kmcnt 0x0
	s_mul_i32 s20, s12, s26
	s_ashr_i32 s17, s16, 31
	s_ashr_i32 s21, s20, 31
	v_lshlrev_b32_e32 v4, 3, v9
	s_lshl_b64 s[20:21], s[20:21], 1
	s_delay_alu instid0(VALU_DEP_1) | instskip(SKIP_2) | instid1(SALU_CYCLE_1)
	v_lshl_add_u32 v4, v10, 6, v4
	s_add_nc_u64 s[10:11], s[10:11], s[20:21]
	s_lshl_b64 s[20:21], s[16:17], 1
	s_add_nc_u64 s[10:11], s[10:11], s[20:21]
	global_load_b64 v[1:2], v3, s[10:11]
	s_wait_loadcnt 0x0
	ds_store_b64 v4, v[1:2]
.LBB91_5:
	s_or_b32 exec_lo, exec_lo, s8
	s_clause 0x1
	s_load_b128 s[8:11], s[0:1], 0x78
	s_load_b32 s20, s[0:1], 0x88
	s_wait_kmcnt 0x0
	s_mul_i32 s12, s5, s18
	s_xor_b32 s3, s3, s4
	s_sub_co_i32 s2, s2, s12
	s_add_co_i32 s4, s5, 1
	s_wait_alu 0xfffe
	s_sub_co_i32 s12, s2, s18
	s_cmp_ge_u32 s2, s18
	s_mov_b32 s22, -1
	s_cselect_b32 s4, s4, s5
	s_cselect_b32 s2, s12, s2
	s_add_co_i32 s5, s4, 1
	s_wait_alu 0xfffe
	s_cmp_ge_u32 s2, s18
	s_wait_dscnt 0x0
	s_cselect_b32 s2, s5, s4
	s_add_co_i32 s21, s31, -1
	s_wait_alu 0xfffe
	s_xor_b32 s2, s2, s3
	s_barrier_signal -1
	s_wait_alu 0xfffe
	s_sub_co_i32 s24, s2, s3
	s_barrier_wait -1
	s_abs_i32 s12, s11
	global_inv scope:SCOPE_SE
	s_cvt_f32_u32 s4, s12
                                        ; implicit-def: $sgpr17
	s_delay_alu instid0(SALU_CYCLE_3) | instskip(NEXT) | instid1(TRANS32_DEP_1)
	v_rcp_iflag_f32_e32 v1, s4
	v_readfirstlane_b32 s4, v1
	s_mul_f32 s2, s4, 0x4f7ffffe
	s_wait_alu 0xfffe
	s_delay_alu instid0(SALU_CYCLE_2) | instskip(SKIP_2) | instid1(SALU_CYCLE_1)
	s_cvt_u32_f32 s4, s2
	s_sub_co_i32 s2, 0, s12
	s_wait_alu 0xfffe
	s_mul_i32 s3, s2, s4
	s_abs_i32 s2, s21
	s_wait_alu 0xfffe
	s_mul_hi_u32 s5, s4, s3
	s_mov_b32 s3, 0
	s_wait_alu 0xfffe
	s_add_co_i32 s18, s4, s5
	s_cmp_lt_i32 s20, 0
	s_mov_b32 s19, s3
	s_cbranch_scc0 .LBB91_7
; %bb.6:
	s_mul_i32 s4, s8, s6
	s_mov_b32 s22, s3
	s_wait_alu 0xfffe
	s_add_co_i32 s4, s24, s4
	s_wait_alu 0xfffe
	s_mul_i32 s4, s4, s20
	s_wait_alu 0xfffe
	s_sub_co_i32 s17, 1, s4
.LBB91_7:
	s_mul_u64 s[4:5], s[2:3], s[18:19]
	s_ashr_i32 s3, s21, 31
	s_and_not1_b32 vcc_lo, exec_lo, s22
	s_ashr_i32 s11, s11, 31
	s_cbranch_vccnz .LBB91_9
; %bb.8:
	s_mul_i32 s4, s27, s8
	s_wait_alu 0xfffe
	s_add_co_i32 s4, s4, ttmp9
	s_wait_alu 0xfffe
	s_mul_i32 s4, s4, s20
	s_wait_alu 0xfffe
	s_add_co_i32 s17, s4, 1
.LBB91_9:
	s_clause 0x2
	s_load_b32 s4, s[0:1], 0x48
	s_load_b64 s[20:21], s[0:1], 0x38
	s_load_b32 s8, s[0:1], 0x98
	s_mul_i32 s6, s5, s12
	s_xor_b32 s3, s3, s11
	s_sub_co_i32 s2, s2, s6
	s_add_co_i32 s19, s5, 1
	v_lshrrev_b32_e32 v11, 5, v0
	v_mov_b32_e32 v6, 0xff7fffff
	v_mbcnt_lo_u32_b32 v5, -1, 0
	s_mul_i32 s24, s24, s14
	s_delay_alu instid0(VALU_DEP_3)
	v_lshl_add_u32 v12, v11, 4, s33
	s_wait_kmcnt 0x0
	s_mul_i32 s22, s4, s26
	s_wait_alu 0xfffe
	s_sub_co_i32 s4, s2, s12
	s_ashr_i32 s23, s22, 31
	s_cmp_ge_u32 s2, s12
	s_cselect_b32 s5, s19, s5
	s_wait_alu 0xfffe
	s_cselect_b32 s2, s4, s2
	s_add_co_i32 s4, s5, 1
	s_wait_alu 0xfffe
	s_cmp_ge_u32 s2, s12
	s_cselect_b32 s2, s4, s5
	s_add_co_i32 s4, s31, 15
	s_lshl_b32 s36, s30, 5
	s_wait_alu 0xfffe
	s_ashr_i32 s5, s4, 31
	v_or_b32_e32 v13, s36, v11
	s_wait_alu 0xfffe
	s_lshr_b32 s5, s5, 28
	s_wait_alu 0xfffe
	s_add_co_i32 s4, s4, s5
	s_add_co_i32 s5, s36, 32
	s_wait_alu 0xfffe
	s_ashr_i32 s34, s4, 4
	s_xor_b32 s4, s2, s3
	s_min_i32 s19, s5, s34
	v_lshlrev_b32_e32 v4, 2, v13
	v_cmp_gt_i32_e64 s2, s19, v13
	s_wait_alu 0xfffe
	s_sub_co_i32 s35, s4, s3
	s_and_saveexec_b32 s6, s2
	s_cbranch_execz .LBB91_21
; %bb.10:
	s_ashr_i32 s25, s24, 31
	s_sub_co_i32 s14, s35, s9
	s_lshl_b64 s[4:5], s[24:25], 1
	s_cmp_neq_f32 s15, 0
	s_load_b64 s[38:39], s[0:1], 0x20
	v_bfe_u32 v7, v0, 1, 4
	v_dual_mov_b32 v19, 0xff7fffff :: v_dual_and_b32 v2, 8, v3
	s_cselect_b32 vcc_lo, -1, 0
	s_abs_i32 s25, s10
	s_delay_alu instid0(VALU_DEP_2)
	v_lshlrev_b32_e32 v6, 4, v7
	s_cvt_f32_u32 s3, s25
	v_lshlrev_b32_e32 v14, 2, v7
	s_lshl_b64 s[40:41], s[22:23], 2
	v_subrev_nc_u32_e32 v17, s31, v7
	s_wait_alu 0xfffe
	v_rcp_iflag_f32_e32 v1, s3
	s_add_nc_u64 s[40:41], s[20:21], s[40:41]
	v_lshl_or_b32 v18, v11, 6, v14
	s_sub_co_i32 s37, 0, s25
	v_cmp_eq_u32_e64 s3, 0, v10
	v_dual_mov_b32 v21, v13 :: v_dual_lshlrev_b32 v8, 6, v10
	v_lshl_add_u32 v16, v11, 4, s33
	v_add_nc_u32_e32 v17, 1, v17
	s_wait_kmcnt 0x0
	s_add_nc_u64 s[4:5], s[38:39], s[4:5]
	v_readfirstlane_b32 s29, v1
	s_wait_alu 0xfffe
	v_add_co_u32 v1, s4, s4, v6
	s_wait_alu 0xf1ff
	v_add_co_ci_u32_e64 v6, null, s5, 0, s4
	s_mul_f32 s29, s29, 0x4f7ffffe
	v_add_co_u32 v14, s4, v1, v2
	s_wait_alu 0xf1ff
	v_add_co_ci_u32_e64 v15, null, 0, v6, s4
	s_cvt_u32_f32 s5, s29
	v_add_co_u32 v1, s4, s40, v4
	s_wait_alu 0xf1ff
	v_add_co_ci_u32_e64 v2, null, s41, 0, s4
	s_wait_alu 0xfffe
	s_mul_i32 s37, s37, s5
	v_add_nc_u32_e32 v18, 0xa0, v18
	v_xor_b32_e32 v20, 1, v5
	v_mov_b32_e32 v6, 0xff7fffff
	s_wait_alu 0xfffe
	s_mul_hi_u32 s4, s5, s37
	s_mov_b32 s28, 0
	s_mov_b32 s29, s13
	s_wait_alu 0xfffe
	s_add_co_i32 s37, s5, s4
	s_branch .LBB91_13
.LBB91_11:                              ;   in Loop: Header=BB91_13 Depth=1
	s_or_b32 exec_lo, exec_lo, s38
.LBB91_12:                              ;   in Loop: Header=BB91_13 Depth=1
	s_wait_alu 0xfffe
	s_or_b32 exec_lo, exec_lo, s5
	v_add_nc_u32_e32 v21, 4, v21
	v_add_co_u32 v1, s5, v1, 16
	s_wait_alu 0xf1ff
	v_add_co_ci_u32_e64 v2, null, 0, v2, s5
	s_delay_alu instid0(VALU_DEP_3)
	v_cmp_le_i32_e64 s4, s19, v21
	v_add_nc_u32_e32 v16, 64, v16
	v_add_nc_u32_e32 v18, 0x100, v18
	s_or_b32 s28, s4, s28
	s_wait_alu 0xfffe
	s_and_not1_b32 exec_lo, exec_lo, s28
	s_cbranch_execz .LBB91_20
.LBB91_13:                              ; =>This Inner Loop Header: Depth=1
	v_sub_nc_u32_e32 v22, 0, v16
	s_delay_alu instid0(VALU_DEP_1) | instskip(SKIP_1) | instid1(VALU_DEP_1)
	v_max_i32_e32 v22, v16, v22
	s_wait_dscnt 0x0
	v_mul_hi_u32 v23, v22, s18
	s_delay_alu instid0(VALU_DEP_1) | instskip(NEXT) | instid1(VALU_DEP_1)
	v_mul_lo_u32 v24, v23, s12
	v_sub_nc_u32_e32 v22, v22, v24
	v_add_nc_u32_e32 v24, 1, v23
	s_delay_alu instid0(VALU_DEP_2) | instskip(SKIP_2) | instid1(VALU_DEP_1)
	v_subrev_nc_u32_e32 v25, s12, v22
	v_cmp_le_u32_e64 s4, s12, v22
	s_wait_alu 0xf1ff
	v_cndmask_b32_e64 v23, v23, v24, s4
	s_delay_alu instid0(VALU_DEP_3) | instskip(SKIP_1) | instid1(VALU_DEP_3)
	v_cndmask_b32_e64 v22, v22, v25, s4
	v_ashrrev_i32_e32 v24, 31, v16
	v_add_nc_u32_e32 v25, 1, v23
	s_delay_alu instid0(VALU_DEP_3) | instskip(NEXT) | instid1(VALU_DEP_3)
	v_cmp_le_u32_e64 s4, s12, v22
	v_xor_b32_e32 v24, s11, v24
	s_wait_alu 0xf1ff
	s_delay_alu instid0(VALU_DEP_2) | instskip(NEXT) | instid1(VALU_DEP_1)
	v_cndmask_b32_e64 v22, v23, v25, s4
	v_xor_b32_e32 v22, v22, v24
	s_delay_alu instid0(VALU_DEP_1) | instskip(NEXT) | instid1(VALU_DEP_1)
	v_sub_nc_u32_e32 v22, v22, v24
	v_add_nc_u32_e32 v23, s17, v22
	v_cmp_ge_i32_e64 s5, s14, v22
	s_delay_alu instid0(VALU_DEP_2) | instskip(NEXT) | instid1(VALU_DEP_1)
	v_sub_nc_u32_e32 v24, 0, v23
	v_max_i32_e32 v24, v23, v24
	v_ashrrev_i32_e32 v23, 31, v23
	s_wait_alu 0xfffe
	s_delay_alu instid0(VALU_DEP_2) | instskip(NEXT) | instid1(VALU_DEP_1)
	v_mul_hi_u32 v25, v24, s37
	v_mul_lo_u32 v25, v25, s25
	s_delay_alu instid0(VALU_DEP_1) | instskip(NEXT) | instid1(VALU_DEP_1)
	v_sub_nc_u32_e32 v24, v24, v25
	v_subrev_nc_u32_e32 v25, s25, v24
	v_cmp_le_u32_e64 s4, s25, v24
	s_wait_alu 0xf1ff
	s_delay_alu instid0(VALU_DEP_1) | instskip(NEXT) | instid1(VALU_DEP_1)
	v_cndmask_b32_e64 v24, v24, v25, s4
	v_subrev_nc_u32_e32 v25, s25, v24
	v_cmp_le_u32_e64 s4, s25, v24
	s_wait_alu 0xf1ff
	s_delay_alu instid0(VALU_DEP_1) | instskip(NEXT) | instid1(VALU_DEP_1)
	v_cndmask_b32_e64 v24, v24, v25, s4
	v_xor_b32_e32 v24, v24, v23
	s_delay_alu instid0(VALU_DEP_1) | instskip(NEXT) | instid1(VALU_DEP_1)
	v_sub_nc_u32_e32 v23, v24, v23
	v_cmp_ne_u32_e64 s4, 0, v23
	s_and_b32 s4, s4, s5
	s_wait_alu 0xfffe
	s_and_saveexec_b32 s5, s4
	s_wait_alu 0xfffe
	s_xor_b32 s4, exec_lo, s5
	s_cbranch_execz .LBB91_17
; %bb.14:                               ;   in Loop: Header=BB91_13 Depth=1
	s_and_saveexec_b32 s5, s3
; %bb.15:                               ;   in Loop: Header=BB91_13 Depth=1
	ds_store_b32 v18, v19
; %bb.16:                               ;   in Loop: Header=BB91_13 Depth=1
	s_wait_alu 0xfffe
	s_or_b32 exec_lo, exec_lo, s5
.LBB91_17:                              ;   in Loop: Header=BB91_13 Depth=1
	s_wait_alu 0xfffe
	s_and_not1_saveexec_b32 s5, s4
	s_cbranch_execz .LBB91_12
; %bb.18:                               ;   in Loop: Header=BB91_13 Depth=1
	global_load_b32 v22, v[1:2], off
	s_wait_loadcnt 0x0
	v_mad_co_i64_i32 v[22:23], null, v22, s29, 0
	s_delay_alu instid0(VALU_DEP_1) | instskip(NEXT) | instid1(VALU_DEP_1)
	v_lshlrev_b64_e32 v[22:23], 1, v[22:23]
	v_add_co_u32 v22, s4, v14, v22
	s_wait_alu 0xf1ff
	s_delay_alu instid0(VALU_DEP_2)
	v_add_co_ci_u32_e64 v23, null, v15, v23, s4
	v_cmp_gt_i32_e64 s4, 32, v20
	s_clause 0x7
	global_load_b64 v[24:25], v[22:23], off
	global_load_b64 v[26:27], v[22:23], off offset:256
	global_load_b64 v[28:29], v[22:23], off offset:512
	global_load_b64 v[30:31], v[22:23], off offset:768
	global_load_b64 v[32:33], v[22:23], off offset:1024
	global_load_b64 v[34:35], v[22:23], off offset:1280
	global_load_b64 v[36:37], v[22:23], off offset:1536
	global_load_b64 v[22:23], v[22:23], off offset:1792
	ds_load_b64 v[38:39], v8
	s_wait_dscnt 0x0
	v_and_b32_e32 v40, 0xffff, v38
	v_lshrrev_b32_e32 v41, 16, v38
	v_lshrrev_b32_e32 v43, 16, v39
	v_and_b32_e32 v42, 0xffff, v39
	;;#ASMSTART
	v_cvt_f32_f16 v38, v40;
	;;#ASMEND
	;;#ASMSTART
	v_cvt_f32_f16 v39, v41;
	;;#ASMEND
	s_wait_loadcnt 0x7
	v_and_b32_e32 v40, 0xffff, v24
	v_lshrrev_b32_e32 v24, 16, v24
	v_lshrrev_b32_e32 v45, 16, v25
	v_and_b32_e32 v25, 0xffff, v25
	;;#ASMSTART
	v_cvt_f32_f16 v40, v40;
	;;#ASMEND
	;;#ASMSTART
	v_cvt_f32_f16 v41, v24;
	;;#ASMEND
	;; [unrolled: 3-line block ×6, first 2 shown]
	ds_load_b64 v[24:25], v8 offset:8
	s_wait_loadcnt 0x6
	v_lshrrev_b32_e32 v47, 16, v26
	v_and_b32_e32 v46, 0xffff, v26
	v_lshrrev_b32_e32 v51, 16, v27
	v_and_b32_e32 v50, 0xffff, v27
	s_wait_loadcnt 0x5
	v_lshrrev_b32_e32 v53, 16, v28
	v_and_b32_e32 v52, 0xffff, v28
	v_lshrrev_b32_e32 v57, 16, v29
	v_and_b32_e32 v56, 0xffff, v29
	;; [unrolled: 5-line block ×3, first 2 shown]
	s_wait_loadcnt 0x1
	v_lshrrev_b32_e32 v76, 16, v36
	v_lshrrev_b32_e32 v65, 16, v32
	v_and_b32_e32 v64, 0xffff, v32
	v_lshrrev_b32_e32 v69, 16, v33
	v_and_b32_e32 v68, 0xffff, v33
	;; [unrolled: 2-line block ×3, first 2 shown]
	s_wait_dscnt 0x0
	v_and_b32_e32 v26, 0xffff, v24
	v_lshrrev_b32_e32 v24, 16, v24
	v_lshrrev_b32_e32 v49, 16, v25
	v_and_b32_e32 v25, 0xffff, v25
	;;#ASMSTART
	v_cvt_f32_f16 v26, v26;
	;;#ASMEND
	;;#ASMSTART
	v_cvt_f32_f16 v27, v24;
	;;#ASMEND
	;; [unrolled: 3-line block ×8, first 2 shown]
	ds_load_b64 v[24:25], v8 offset:16
	v_mul_f32_e32 v26, v26, v46
	v_lshrrev_b32_e32 v75, 16, v35
	v_and_b32_e32 v74, 0xffff, v35
	v_mul_f32_e32 v27, v27, v47
	v_lshrrev_b32_e32 v78, 16, v37
	v_fmac_f32_e32 v26, v38, v40
	v_dual_mul_f32 v37, v49, v51 :: v_dual_and_b32 v46, 0xffff, v37
	s_delay_alu instid0(VALU_DEP_4)
	v_fmac_f32_e32 v27, v39, v41
	s_wait_loadcnt 0x0
	v_lshrrev_b32_e32 v47, 16, v22
	s_wait_dscnt 0x0
	v_dual_fmac_f32 v37, v43, v45 :: v_dual_and_b32 v28, 0xffff, v24
	v_lshrrev_b32_e32 v24, 16, v24
	v_lshrrev_b32_e32 v55, 16, v25
	v_and_b32_e32 v25, 0xffff, v25
	;;#ASMSTART
	v_cvt_f32_f16 v28, v28;
	;;#ASMEND
	;;#ASMSTART
	v_cvt_f32_f16 v29, v24;
	;;#ASMEND
	;; [unrolled: 3-line block ×8, first 2 shown]
	ds_load_b64 v[24:25], v8 offset:24
	v_fmac_f32_e32 v27, v29, v53
	v_dual_fmac_f32 v37, v55, v57 :: v_dual_fmac_f32 v26, v28, v52
	s_wait_dscnt 0x0
	v_and_b32_e32 v30, 0xffff, v24
	v_lshrrev_b32_e32 v24, 16, v24
	;;#ASMSTART
	v_cvt_f32_f16 v30, v30;
	;;#ASMEND
	;;#ASMSTART
	v_cvt_f32_f16 v31, v24;
	;;#ASMEND
	;; [unrolled: 3-line block ×3, first 2 shown]
	v_dual_fmac_f32 v26, v30, v58 :: v_dual_and_b32 v77, 0xffff, v36
	v_mul_f32_e32 v36, v48, v50
	v_lshrrev_b32_e32 v61, 16, v25
	v_and_b32_e32 v25, 0xffff, v25
	;;#ASMSTART
	v_cvt_f32_f16 v59, v59;
	;;#ASMEND
	s_delay_alu instid0(VALU_DEP_3)
	v_dual_fmac_f32 v27, v31, v59 :: v_dual_fmac_f32 v36, v42, v44
	;;#ASMSTART
	v_cvt_f32_f16 v60, v25;
	;;#ASMEND
	;;#ASMSTART
	v_cvt_f32_f16 v61, v61;
	;;#ASMEND
	;;#ASMSTART
	v_cvt_f32_f16 v62, v62;
	;;#ASMEND
	;;#ASMSTART
	v_cvt_f32_f16 v63, v63;
	;;#ASMEND
	ds_load_b64 v[24:25], v8 offset:32
	v_dual_fmac_f32 v36, v54, v56 :: v_dual_fmac_f32 v37, v61, v63
	v_and_b32_e32 v30, 0xffff, v22
	v_lshrrev_b32_e32 v31, 16, v23
	s_delay_alu instid0(VALU_DEP_3)
	v_fmac_f32_e32 v36, v60, v62
	s_wait_dscnt 0x0
	v_and_b32_e32 v32, 0xffff, v24
	v_lshrrev_b32_e32 v24, 16, v24
	v_lshrrev_b32_e32 v67, 16, v25
	v_and_b32_e32 v25, 0xffff, v25
	;;#ASMSTART
	v_cvt_f32_f16 v32, v32;
	;;#ASMEND
	;;#ASMSTART
	v_cvt_f32_f16 v33, v24;
	;;#ASMEND
	;; [unrolled: 3-line block ×8, first 2 shown]
	ds_load_b64 v[24:25], v8 offset:40
	v_dual_fmac_f32 v27, v33, v65 :: v_dual_fmac_f32 v36, v66, v68
	s_wait_dscnt 0x0
	v_dual_fmac_f32 v37, v67, v69 :: v_dual_and_b32 v34, 0xffff, v24
	v_lshrrev_b32_e32 v24, 16, v24
	v_lshrrev_b32_e32 v73, 16, v25
	v_and_b32_e32 v25, 0xffff, v25
	;;#ASMSTART
	v_cvt_f32_f16 v34, v34;
	;;#ASMEND
	;;#ASMSTART
	v_cvt_f32_f16 v35, v24;
	;;#ASMEND
	;; [unrolled: 3-line block ×8, first 2 shown]
	ds_load_b64 v[24:25], v8 offset:48
	v_dual_fmac_f32 v27, v35, v71 :: v_dual_fmac_f32 v36, v72, v74
	s_wait_dscnt 0x0
	v_dual_fmac_f32 v37, v73, v75 :: v_dual_and_b32 v28, 0xffff, v24
	v_lshrrev_b32_e32 v24, 16, v24
	v_lshrrev_b32_e32 v41, 16, v25
	v_and_b32_e32 v25, 0xffff, v25
	;;#ASMSTART
	v_cvt_f32_f16 v28, v28;
	;;#ASMEND
	;;#ASMSTART
	v_cvt_f32_f16 v29, v24;
	;;#ASMEND
	;; [unrolled: 3-line block ×8, first 2 shown]
	ds_load_b64 v[24:25], v8 offset:56
	v_dual_fmac_f32 v26, v32, v64 :: v_dual_fmac_f32 v27, v29, v39
	v_and_b32_e32 v32, 0xffff, v23
	v_dual_fmac_f32 v36, v40, v42 :: v_dual_fmac_f32 v37, v41, v43
	s_wait_dscnt 0x0
	s_delay_alu instid0(VALU_DEP_3)
	v_dual_fmac_f32 v26, v34, v70 :: v_dual_and_b32 v29, 0xffff, v25
	v_and_b32_e32 v22, 0xffff, v24
	v_lshrrev_b32_e32 v23, 16, v24
	;;#ASMSTART
	v_cvt_f32_f16 v22, v22;
	;;#ASMEND
	;;#ASMSTART
	v_cvt_f32_f16 v23, v23;
	;;#ASMEND
	v_fmac_f32_e32 v26, v28, v38
	v_lshrrev_b32_e32 v28, 16, v25
	;;#ASMSTART
	v_cvt_f32_f16 v24, v30;
	;;#ASMEND
	;;#ASMSTART
	v_cvt_f32_f16 v25, v47;
	;;#ASMEND
	s_delay_alu instid0(VALU_DEP_2)
	v_dual_fmac_f32 v27, v23, v25 :: v_dual_fmac_f32 v26, v22, v24
	;;#ASMSTART
	v_cvt_f32_f16 v22, v29;
	;;#ASMEND
	;;#ASMSTART
	v_cvt_f32_f16 v23, v28;
	;;#ASMEND
	;; [unrolled: 3-line block ×3, first 2 shown]
	v_fmac_f32_e32 v36, v22, v24
	v_add_f32_e32 v22, v26, v27
	;;#ASMSTART
	v_cvt_f32_f16 v24, v31;
	;;#ASMEND
	v_fmac_f32_e32 v37, v23, v24
	s_wait_alu 0xf1ff
	v_cndmask_b32_e64 v23, v5, v20, s4
	s_delay_alu instid0(VALU_DEP_1) | instskip(NEXT) | instid1(VALU_DEP_1)
	v_dual_add_f32 v22, v22, v36 :: v_dual_lshlrev_b32 v23, 2, v23
	v_add_f32_e32 v22, v37, v22
	ds_bpermute_b32 v23, v23, v22
	s_and_saveexec_b32 s38, s3
	s_cbranch_execz .LBB91_11
; %bb.19:                               ;   in Loop: Header=BB91_13 Depth=1
	s_wait_dscnt 0x0
	v_add_f32_e32 v22, v22, v23
	v_add_nc_u32_e32 v24, v17, v16
	s_delay_alu instid0(VALU_DEP_1) | instskip(NEXT) | instid1(VALU_DEP_1)
	v_cvt_f32_i32_e32 v24, v24
	v_mul_f32_e32 v24, s15, v24
	s_delay_alu instid0(VALU_DEP_1) | instskip(NEXT) | instid1(VALU_DEP_1)
	v_dual_cndmask_b32 v23, 0, v24 :: v_dual_max_num_f32 v24, v6, v6
	v_dual_fmac_f32 v23, s7, v22 :: v_dual_add_nc_u32 v22, v7, v16
	s_delay_alu instid0(VALU_DEP_1) | instskip(NEXT) | instid1(VALU_DEP_2)
	v_max_num_f32_e32 v24, v24, v23
	v_cmp_gt_i32_e64 s4, s31, v22
	s_wait_alu 0xf1ff
	s_delay_alu instid0(VALU_DEP_1) | instskip(NEXT) | instid1(VALU_DEP_3)
	v_cndmask_b32_e64 v22, 0, v23, s4
	v_cndmask_b32_e64 v6, v6, v24, s4
	ds_store_b32 v18, v22
	s_branch .LBB91_11
.LBB91_20:
	s_or_b32 exec_lo, exec_lo, s28
.LBB91_21:
	s_delay_alu instid0(SALU_CYCLE_1)
	s_or_b32 exec_lo, exec_lo, s6
	v_xor_b32_e32 v1, 16, v5
	v_xor_b32_e32 v2, 8, v5
	;; [unrolled: 1-line block ×3, first 2 shown]
	s_clause 0x2
	s_load_b128 s[4:7], s[0:1], 0x0
	s_load_b64 s[14:15], s[0:1], 0x10
	s_load_b64 s[28:29], s[0:1], 0x28
	v_lshlrev_b32_e32 v16, 2, v11
	v_cmp_gt_i32_e32 vcc_lo, 32, v1
	s_wait_alu 0xfffd
	v_dual_max_num_f32 v8, v6, v6 :: v_dual_cndmask_b32 v1, v5, v1
	v_cmp_gt_i32_e32 vcc_lo, 32, v2
	s_wait_alu 0xfffd
	s_delay_alu instid0(VALU_DEP_2) | instskip(SKIP_3) | instid1(VALU_DEP_1)
	v_dual_cndmask_b32 v2, v5, v2 :: v_dual_lshlrev_b32 v7, 2, v1
	ds_bpermute_b32 v1, v7, v6
	s_wait_dscnt 0x0
	v_dual_max_num_f32 v1, v1, v1 :: v_dual_lshlrev_b32 v6, 2, v2
	v_max_num_f32_e32 v1, v8, v1
	v_xor_b32_e32 v8, 4, v5
	s_delay_alu instid0(VALU_DEP_1)
	v_cmp_gt_i32_e32 vcc_lo, 32, v8
	s_wait_alu 0xfffd
	v_cndmask_b32_e32 v8, v5, v8, vcc_lo
	ds_bpermute_b32 v2, v6, v1
	v_cmp_gt_i32_e32 vcc_lo, 32, v14
	s_wait_alu 0xfffd
	v_cndmask_b32_e32 v14, v5, v14, vcc_lo
	s_wait_dscnt 0x0
	v_max_num_f32_e32 v2, v2, v2
	s_delay_alu instid0(VALU_DEP_1) | instskip(SKIP_3) | instid1(VALU_DEP_1)
	v_dual_max_num_f32 v1, v1, v2 :: v_dual_lshlrev_b32 v8, 2, v8
	ds_bpermute_b32 v2, v8, v1
	s_wait_dscnt 0x0
	v_max_num_f32_e32 v2, v2, v2
	v_max_num_f32_e32 v1, v1, v2
	v_lshlrev_b32_e32 v2, 2, v14
	v_and_b32_e32 v14, 31, v0
	ds_bpermute_b32 v15, v2, v1
	v_cmp_eq_u32_e32 vcc_lo, 0, v14
	s_and_saveexec_b32 s0, vcc_lo
	s_cbranch_execz .LBB91_23
; %bb.22:
	s_wait_dscnt 0x0
	v_max_num_f32_e32 v15, v15, v15
	v_max_num_f32_e32 v1, v1, v1
	s_delay_alu instid0(VALU_DEP_1)
	v_max_num_f32_e32 v1, v1, v15
	ds_store_b32 v16, v1 offset:128
.LBB91_23:
	s_or_b32 exec_lo, exec_lo, s0
	v_cmp_gt_u32_e64 s0, 4, v14
	v_mov_b32_e32 v1, 0xff7fffff
	v_lshlrev_b32_e32 v17, 2, v14
	s_wait_loadcnt_dscnt 0x0
	s_barrier_signal -1
	s_barrier_wait -1
	global_inv scope:SCOPE_SE
	s_and_saveexec_b32 s1, s0
; %bb.24:
	ds_load_b32 v1, v17 offset:128
; %bb.25:
	s_or_b32 exec_lo, exec_lo, s1
	s_wait_dscnt 0x0
	ds_bpermute_b32 v15, v2, v1
	v_xor_b32_e32 v18, 1, v5
	v_max_num_f32_e32 v1, v1, v1
	s_delay_alu instid0(VALU_DEP_2) | instskip(NEXT) | instid1(VALU_DEP_1)
	v_cmp_gt_i32_e64 s1, 32, v18
	v_cndmask_b32_e64 v5, v5, v18, s1
	s_sub_co_i32 s1, s19, s36
	s_wait_alu 0xfffe
	s_lshl_b32 s1, s1, 4
	s_wait_alu 0xfffe
	s_add_co_i32 s1, s1, s33
	s_wait_alu 0xfffe
	s_min_i32 s1, s1, s31
	s_wait_alu 0xfffe
	s_sub_co_i32 s25, s1, s33
	s_wait_dscnt 0x0
	v_dual_max_num_f32 v18, v15, v15 :: v_dual_lshlrev_b32 v15, 2, v5
	s_wait_alu 0xfffe
	v_cmp_gt_i32_e64 s1, s25, v0
	s_delay_alu instid0(VALU_DEP_2) | instskip(SKIP_3) | instid1(VALU_DEP_1)
	v_dual_max_num_f32 v1, v1, v18 :: v_dual_mov_b32 v18, 0
	ds_bpermute_b32 v5, v15, v1
	s_wait_dscnt 0x0
	v_max_num_f32_e32 v5, v5, v5
	v_max_num_f32_e32 v1, v1, v5
	v_lshl_add_u32 v5, v0, 2, 0xa0
	ds_bpermute_b32 v1, v18, v1
	s_and_saveexec_b32 s33, s1
	s_cbranch_execz .LBB91_29
; %bb.26:
	v_lshl_add_u32 v19, v0, 2, 0xa0
	v_mov_b32_e32 v18, 0
	v_mov_b32_e32 v20, v0
	s_mov_b32 s36, 0
.LBB91_27:                              ; =>This Inner Loop Header: Depth=1
	ds_load_b32 v21, v19
	v_add_nc_u32_e32 v20, 0x80, v20
	s_delay_alu instid0(VALU_DEP_1) | instskip(SKIP_4) | instid1(VALU_DEP_1)
	v_cmp_le_i32_e64 s3, s25, v20
	s_wait_alu 0xfffe
	s_or_b32 s36, s3, s36
	s_wait_dscnt 0x0
	v_sub_f32_e32 v21, v21, v1
	v_mul_f32_e32 v21, 0x3fb8aa3b, v21
	s_delay_alu instid0(VALU_DEP_1)
	v_exp_f32_e32 v21, v21
	ds_store_b32 v19, v21
	v_dual_add_f32 v18, v18, v21 :: v_dual_add_nc_u32 v19, 0x200, v19
	s_wait_alu 0xfffe
	s_and_not1_b32 exec_lo, exec_lo, s36
	s_cbranch_execnz .LBB91_27
; %bb.28:
	s_or_b32 exec_lo, exec_lo, s36
.LBB91_29:
	s_wait_alu 0xfffe
	s_or_b32 exec_lo, exec_lo, s33
	ds_bpermute_b32 v7, v7, v18
	s_wait_dscnt 0x0
	v_add_f32_e32 v7, v18, v7
	ds_bpermute_b32 v6, v6, v7
	s_wait_dscnt 0x0
	v_add_f32_e32 v6, v7, v6
	;; [unrolled: 3-line block ×5, first 2 shown]
	s_and_saveexec_b32 s3, vcc_lo
; %bb.30:
	ds_store_b32 v16, v6 offset:144
; %bb.31:
	s_wait_alu 0xfffe
	s_or_b32 exec_lo, exec_lo, s3
	s_wait_loadcnt_dscnt 0x0
	s_barrier_signal -1
	s_barrier_wait -1
	global_inv scope:SCOPE_SE
	s_and_saveexec_b32 s3, s0
; %bb.32:
	ds_load_b32 v6, v17 offset:144
; %bb.33:
	s_wait_alu 0xfffe
	s_or_b32 exec_lo, exec_lo, s3
	s_wait_dscnt 0x0
	ds_bpermute_b32 v2, v2, v6
	s_wait_dscnt 0x0
	v_add_f32_e32 v2, v6, v2
	ds_bpermute_b32 v6, v15, v2
	s_wait_dscnt 0x0
	v_add_f32_e32 v2, v2, v6
	v_mov_b32_e32 v6, 0
	ds_bpermute_b32 v2, v6, v2
	s_and_saveexec_b32 s0, s1
	s_cbranch_execz .LBB91_36
; %bb.34:
	s_wait_dscnt 0x0
	v_add_f32_e32 v6, 0x358637bd, v2
	s_mov_b32 s1, 0
	s_delay_alu instid0(VALU_DEP_1) | instskip(SKIP_1) | instid1(VALU_DEP_2)
	v_div_scale_f32 v7, null, v6, v6, 1.0
	v_div_scale_f32 v17, vcc_lo, 1.0, v6, 1.0
	v_rcp_f32_e32 v8, v7
	s_delay_alu instid0(TRANS32_DEP_1) | instskip(NEXT) | instid1(VALU_DEP_1)
	v_fma_f32 v16, -v7, v8, 1.0
	v_fmac_f32_e32 v8, v16, v8
	s_delay_alu instid0(VALU_DEP_1) | instskip(NEXT) | instid1(VALU_DEP_1)
	v_mul_f32_e32 v16, v17, v8
	v_fma_f32 v18, -v7, v16, v17
	s_delay_alu instid0(VALU_DEP_1) | instskip(NEXT) | instid1(VALU_DEP_1)
	v_fmac_f32_e32 v16, v18, v8
	v_fma_f32 v7, -v7, v16, v17
	s_wait_alu 0xfffd
	s_delay_alu instid0(VALU_DEP_1) | instskip(NEXT) | instid1(VALU_DEP_1)
	v_div_fmas_f32 v7, v7, v8, v16
	v_div_fixup_f32 v6, v7, v6, 1.0
	v_mov_b32_e32 v7, v0
.LBB91_35:                              ; =>This Inner Loop Header: Depth=1
	ds_load_b32 v8, v5
	s_wait_dscnt 0x0
	v_dual_mul_f32 v8, v6, v8 :: v_dual_add_nc_u32 v7, 0x80, v7
	s_delay_alu instid0(VALU_DEP_1)
	v_cmp_le_i32_e32 vcc_lo, s25, v7
	ds_store_b32 v5, v8
	v_add_nc_u32_e32 v5, 0x200, v5
	s_wait_alu 0xfffe
	s_or_b32 s1, vcc_lo, s1
	s_wait_alu 0xfffe
	s_and_not1_b32 exec_lo, exec_lo, s1
	s_cbranch_execnz .LBB91_35
.LBB91_36:
	s_wait_alu 0xfffe
	s_or_b32 exec_lo, exec_lo, s0
	s_mul_i32 s0, s8, s26
	s_wait_loadcnt_dscnt 0x0
	s_wait_alu 0xfffe
	s_mul_i32 s26, s0, s27
	s_mov_b32 s0, exec_lo
	s_barrier_signal -1
	s_barrier_wait -1
	global_inv scope:SCOPE_SE
	v_cmpx_eq_u32_e32 0, v0
	s_cbranch_execz .LBB91_38
; %bb.37:
	s_ashr_i32 s27, s26, 31
	s_wait_alu 0xfffe
	s_mul_i32 s36, s8, ttmp9
	s_lshl_b32 s1, s30, 2
	s_lshl_b64 s[38:39], s[26:27], 2
	s_wait_alu 0xfffe
	s_ashr_i32 s37, s36, 31
	v_mov_b32_e32 v5, s1
	s_wait_kmcnt 0x0
	s_add_nc_u64 s[6:7], s[6:7], s[38:39]
	s_wait_alu 0xfffe
	s_lshl_b64 s[36:37], s[36:37], 2
	s_add_nc_u64 s[4:5], s[4:5], s[38:39]
	s_wait_alu 0xfffe
	s_add_nc_u64 s[6:7], s[6:7], s[36:37]
	s_add_nc_u64 s[4:5], s[4:5], s[36:37]
	s_clause 0x1
	global_store_b32 v5, v1, s[6:7]
	global_store_b32 v5, v2, s[4:5]
.LBB91_38:
	s_wait_alu 0xfffe
	s_or_b32 exec_lo, exec_lo, s0
	v_dual_mov_b32 v20, 0 :: v_dual_mov_b32 v19, 0
	v_mov_b32_e32 v18, 0
	v_mov_b32_e32 v16, 0
	s_and_saveexec_b32 s1, s2
	s_cbranch_execz .LBB91_52
; %bb.39:
	s_abs_i32 s2, s10
	v_dual_mov_b32 v19, 0 :: v_dual_lshlrev_b32 v2, 4, v0
	s_wait_alu 0xfffe
	s_cvt_f32_u32 s0, s2
	v_dual_mov_b32 v16, 0 :: v_dual_and_b32 v17, 8, v3
	v_dual_mov_b32 v18, 0 :: v_dual_lshlrev_b32 v3, 5, v10
	s_wait_alu 0xfffe
	v_rcp_iflag_f32_e32 v1, s0
	s_ashr_i32 s25, s24, 31
	s_wait_kmcnt 0x0
	s_lshl_b64 s[6:7], s[22:23], 2
	s_wait_alu 0xfffe
	s_lshl_b64 s[22:23], s[24:25], 1
	s_add_nc_u64 s[6:7], s[20:21], s[6:7]
	s_add_nc_u64 s[20:21], s[28:29], s[22:23]
	s_wait_alu 0xfffe
	v_add_co_u32 v5, s6, s6, v4
	s_sub_co_i32 s5, 0, s2
	v_add_co_ci_u32_e64 v6, null, s7, 0, s6
	v_readfirstlane_b32 s0, v1
	v_dual_mov_b32 v20, 0 :: v_dual_and_b32 v1, 0x1f0, v2
	v_lshl_or_b32 v2, v11, 6, v3
	s_sub_co_i32 s3, s35, s9
	s_mul_f32 s0, s0, 0x4f7ffffe
	s_delay_alu instid0(VALU_DEP_2)
	v_add_co_u32 v21, s6, s20, v1
	s_wait_alu 0xf1ff
	v_add_co_ci_u32_e64 v22, null, s21, 0, s6
	s_wait_alu 0xfffe
	s_cvt_u32_f32 s0, s0
	v_add_nc_u32_e32 v23, 0xa0, v2
	s_mov_b32 s4, s13
	s_add_co_i32 s34, s34, -1
	s_wait_alu 0xfffe
	s_mul_i32 s5, s5, s0
	s_wait_alu 0xfffe
	s_mul_hi_u32 s6, s0, s5
	s_mov_b32 s5, 0
	s_wait_alu 0xfffe
	s_add_co_i32 s6, s0, s6
	s_branch .LBB91_42
.LBB91_40:                              ;   in Loop: Header=BB91_42 Depth=1
	s_wait_alu 0xfffe
	s_or_b32 exec_lo, exec_lo, s0
	v_lshlrev_b32_e32 v24, 16, v42
	v_lshlrev_b32_e32 v8, 16, v8
	;; [unrolled: 1-line block ×3, first 2 shown]
	s_delay_alu instid0(VALU_DEP_3) | instskip(NEXT) | instid1(VALU_DEP_3)
	v_and_or_b32 v1, 0xffff, v1, v24
	v_and_or_b32 v2, 0xffff, v2, v8
	s_delay_alu instid0(VALU_DEP_3)
	v_and_or_b32 v3, 0xffff, v3, v7
	;;#ASMSTART
	v_pk_mul_f16 v1, v33, v1;

	;;#ASMEND
	;;#ASMSTART
	v_pk_mul_f16 v2, v32, v2;

	;;#ASMEND
	;; [unrolled: 4-line block ×4, first 2 shown]
	;;#ASMSTART
	v_pk_add_f16 v1, v1, v2;

	;;#ASMEND
	v_add_f32_e32 v2, v38, v39
	;;#ASMSTART
	v_pk_add_f16 v1, v1, v3;

	;;#ASMEND
	;;#ASMSTART
	v_pk_add_f16 v1, v1, v4;

	;;#ASMEND
	v_and_b32_e32 v4, 0xffff, v1
	v_lshrrev_b32_e32 v7, 16, v1
	v_add_f32_e32 v19, v19, v2
	;;#ASMSTART
	v_cvt_f32_f16 v4, v4;
	;;#ASMEND
	v_add_f32_e32 v1, v40, v41
	v_add_f32_e32 v3, v34, v35
	;;#ASMSTART
	v_cvt_f32_f16 v7, v7;
	;;#ASMEND
	v_add_f32_e32 v4, v4, v7
	s_delay_alu instid0(VALU_DEP_3) | instskip(NEXT) | instid1(VALU_DEP_3)
	v_add_f32_e32 v18, v18, v1
	v_add_f32_e32 v20, v20, v3
	s_delay_alu instid0(VALU_DEP_3)
	v_add_f32_e32 v16, v16, v4
.LBB91_41:                              ;   in Loop: Header=BB91_42 Depth=1
	s_wait_alu 0xfffe
	s_or_b32 exec_lo, exec_lo, s7
	v_add_nc_u32_e32 v13, 4, v13
	v_add_co_u32 v5, s0, v5, 16
	s_wait_alu 0xf1ff
	v_add_co_ci_u32_e64 v6, null, 0, v6, s0
	s_delay_alu instid0(VALU_DEP_3)
	v_cmp_le_i32_e32 vcc_lo, s19, v13
	v_add_nc_u32_e32 v12, 64, v12
	v_add_nc_u32_e32 v23, 0x100, v23
	s_or_b32 s5, vcc_lo, s5
	s_wait_alu 0xfffe
	s_and_not1_b32 exec_lo, exec_lo, s5
	s_cbranch_execz .LBB91_51
.LBB91_42:                              ; =>This Inner Loop Header: Depth=1
	v_sub_nc_u32_e32 v1, 0, v12
	s_delay_alu instid0(VALU_DEP_1) | instskip(NEXT) | instid1(VALU_DEP_1)
	v_max_i32_e32 v1, v12, v1
	v_mul_hi_u32 v2, v1, s18
	s_delay_alu instid0(VALU_DEP_1) | instskip(NEXT) | instid1(VALU_DEP_1)
	v_mul_lo_u32 v3, v2, s12
	v_sub_nc_u32_e32 v1, v1, v3
	v_add_nc_u32_e32 v3, 1, v2
	s_delay_alu instid0(VALU_DEP_2) | instskip(SKIP_2) | instid1(VALU_DEP_2)
	v_subrev_nc_u32_e32 v4, s12, v1
	v_cmp_le_u32_e32 vcc_lo, s12, v1
	s_wait_alu 0xfffd
	v_dual_cndmask_b32 v2, v2, v3 :: v_dual_cndmask_b32 v1, v1, v4
	v_ashrrev_i32_e32 v3, 31, v12
	s_delay_alu instid0(VALU_DEP_2) | instskip(NEXT) | instid1(VALU_DEP_3)
	v_add_nc_u32_e32 v4, 1, v2
	v_cmp_le_u32_e32 vcc_lo, s12, v1
	s_delay_alu instid0(VALU_DEP_3) | instskip(SKIP_1) | instid1(VALU_DEP_3)
	v_xor_b32_e32 v3, s11, v3
	s_wait_alu 0xfffd
	v_cndmask_b32_e32 v1, v2, v4, vcc_lo
	s_delay_alu instid0(VALU_DEP_1) | instskip(NEXT) | instid1(VALU_DEP_1)
	v_xor_b32_e32 v1, v1, v3
	v_sub_nc_u32_e32 v1, v1, v3
	s_delay_alu instid0(VALU_DEP_1) | instskip(SKIP_1) | instid1(VALU_DEP_2)
	v_add_nc_u32_e32 v2, s17, v1
	v_cmp_lt_i32_e64 s0, s3, v1
	v_sub_nc_u32_e32 v3, 0, v2
	s_delay_alu instid0(VALU_DEP_1) | instskip(SKIP_1) | instid1(VALU_DEP_1)
	v_max_i32_e32 v3, v2, v3
	s_wait_alu 0xfffe
	v_mul_hi_u32 v4, v3, s6
	s_delay_alu instid0(VALU_DEP_1) | instskip(NEXT) | instid1(VALU_DEP_1)
	v_mul_lo_u32 v4, v4, s2
	v_sub_nc_u32_e32 v3, v3, v4
	s_delay_alu instid0(VALU_DEP_1) | instskip(SKIP_2) | instid1(VALU_DEP_2)
	v_subrev_nc_u32_e32 v4, s2, v3
	v_cmp_le_u32_e32 vcc_lo, s2, v3
	s_wait_alu 0xfffd
	v_cndmask_b32_e32 v3, v3, v4, vcc_lo
	v_ashrrev_i32_e32 v2, 31, v2
	s_delay_alu instid0(VALU_DEP_2) | instskip(SKIP_2) | instid1(VALU_DEP_2)
	v_subrev_nc_u32_e32 v4, s2, v3
	v_cmp_le_u32_e32 vcc_lo, s2, v3
	s_wait_alu 0xfffd
	v_cndmask_b32_e32 v3, v3, v4, vcc_lo
	s_delay_alu instid0(VALU_DEP_1) | instskip(NEXT) | instid1(VALU_DEP_1)
	v_xor_b32_e32 v3, v3, v2
	v_sub_nc_u32_e32 v2, v3, v2
	s_delay_alu instid0(VALU_DEP_1)
	v_cmp_eq_u32_e32 vcc_lo, 0, v2
	s_or_b32 s0, vcc_lo, s0
	s_wait_alu 0xfffe
	s_and_saveexec_b32 s7, s0
	s_cbranch_execz .LBB91_41
; %bb.43:                               ;   in Loop: Header=BB91_42 Depth=1
	global_load_b32 v7, v[5:6], off
	ds_load_2addr_b64 v[1:4], v23 offset1:1
	ds_load_2addr_b64 v[24:27], v23 offset0:2 offset1:3
	v_add_nc_u32_e32 v29, v17, v12
	s_wait_dscnt 0x1
	;;#ASMSTART
	v_cvt_f16_f32 v33, v1;

	;;#ASMEND
	;;#ASMSTART
	v_cvt_f16_f32 v32, v2;

	;;#ASMEND
	;; [unrolled: 4-line block ×4, first 2 shown]
	s_wait_dscnt 0x0
	;;#ASMSTART
	v_cvt_f16_f32 v39, v24;

	;;#ASMEND
	;;#ASMSTART
	v_cvt_f16_f32 v35, v25;

	;;#ASMEND
	;; [unrolled: 4-line block ×4, first 2 shown]
	v_add_nc_u32_e32 v31, 1, v29
	v_add_nc_u32_e32 v30, 2, v29
	v_add_nc_u32_e32 v26, 3, v29
	v_add_nc_u32_e32 v25, 4, v29
	v_add_nc_u32_e32 v24, 5, v29
	v_add_nc_u32_e32 v27, 6, v29
	v_add_nc_u32_e32 v28, 7, v29
	s_wait_loadcnt 0x0
	v_mad_co_i64_i32 v[7:8], null, v7, s4, 0
	s_delay_alu instid0(VALU_DEP_1) | instskip(NEXT) | instid1(VALU_DEP_1)
	v_lshlrev_b64_e32 v[7:8], 1, v[7:8]
	v_add_co_u32 v7, vcc_lo, v21, v7
	s_wait_alu 0xfffd
	s_delay_alu instid0(VALU_DEP_2)
	v_add_co_ci_u32_e64 v8, null, v22, v8, vcc_lo
	v_cmp_eq_u32_e32 vcc_lo, s34, v13
	global_load_b128 v[1:4], v[7:8], off
	s_wait_loadcnt 0x0
	v_lshrrev_b32_e32 v42, 16, v1
	v_lshrrev_b32_e32 v41, 16, v2
	;; [unrolled: 1-line block ×3, first 2 shown]
	s_and_saveexec_b32 s9, vcc_lo
	s_cbranch_execz .LBB91_45
; %bb.44:                               ;   in Loop: Header=BB91_42 Depth=1
	v_cmp_gt_i32_e64 s0, s31, v29
	v_and_b32_e32 v43, 0xffff, v4
	v_and_b32_e32 v4, 0xffff0000, v4
	s_wait_alu 0xf1ff
	s_delay_alu instid0(VALU_DEP_3) | instskip(SKIP_2) | instid1(VALU_DEP_1)
	v_cndmask_b32_e64 v1, 0, v1, s0
	v_cmp_gt_i32_e64 s0, s31, v31
	s_wait_alu 0xf1ff
	v_cndmask_b32_e64 v42, 0, v42, s0
	v_cmp_gt_i32_e64 s0, s31, v30
	s_wait_alu 0xf1ff
	s_delay_alu instid0(VALU_DEP_1) | instskip(SKIP_2) | instid1(VALU_DEP_1)
	v_cndmask_b32_e64 v2, 0, v2, s0
	v_cmp_gt_i32_e64 s0, s31, v26
	s_wait_alu 0xf1ff
	v_cndmask_b32_e64 v41, 0, v41, s0
	v_cmp_gt_i32_e64 s0, s31, v27
	s_wait_alu 0xf1ff
	s_delay_alu instid0(VALU_DEP_1) | instskip(SKIP_2) | instid1(VALU_DEP_1)
	v_cndmask_b32_e64 v43, 0, v43, s0
	v_cmp_gt_i32_e64 s0, s31, v28
	s_wait_alu 0xf1ff
	v_cndmask_b32_e64 v4, 0, v4, s0
	v_cmp_gt_i32_e64 s0, s31, v25
	s_delay_alu instid0(VALU_DEP_2) | instskip(SKIP_1) | instid1(VALU_DEP_2)
	v_or_b32_e32 v4, v43, v4
	s_wait_alu 0xf1ff
	v_cndmask_b32_e64 v3, 0, v3, s0
	v_cmp_gt_i32_e64 s0, s31, v24
	s_wait_alu 0xf1ff
	s_delay_alu instid0(VALU_DEP_1)
	v_cndmask_b32_e64 v40, 0, v40, s0
.LBB91_45:                              ;   in Loop: Header=BB91_42 Depth=1
	s_or_b32 exec_lo, exec_lo, s9
	v_and_b32_e32 v33, 0xffff, v33
	v_and_b32_e32 v38, 0xffff, v38
	v_lshlrev_b32_e32 v42, 16, v42
	v_lshlrev_b32_e32 v40, 16, v40
	v_and_b32_e32 v39, 0xffff, v39
	v_lshl_or_b32 v33, v32, 16, v33
	v_lshl_or_b32 v32, v36, 16, v38
	v_lshlrev_b32_e32 v38, 16, v41
	v_and_b32_e32 v37, 0xffff, v37
	v_and_or_b32 v1, 0xffff, v1, v42
	v_and_or_b32 v3, 0xffff, v3, v40
	;;#ASMSTART
	v_pk_mul_f16 v1, v33, v1;

	;;#ASMEND
	v_and_or_b32 v2, 0xffff, v2, v38
	v_lshl_or_b32 v36, v35, 16, v39
	v_lshl_or_b32 v37, v34, 16, v37
	;;#ASMSTART
	v_pk_mul_f16 v2, v32, v2;

	;;#ASMEND
	;;#ASMSTART
	v_pk_mul_f16 v3, v36, v3;

	;;#ASMEND
	;; [unrolled: 4-line block ×3, first 2 shown]
	;;#ASMSTART
	v_pk_add_f16 v1, v1, v2;

	;;#ASMEND
	;;#ASMSTART
	v_pk_add_f16 v1, v1, v3;

	;;#ASMEND
	;; [unrolled: 4-line block ×3, first 2 shown]
	v_and_b32_e32 v2, 0xffff, v1
	v_lshrrev_b32_e32 v1, 16, v1
	;;#ASMSTART
	v_cvt_f32_f16 v34, v2;
	;;#ASMEND
	;;#ASMSTART
	v_cvt_f32_f16 v35, v1;
	;;#ASMEND
	global_load_b128 v[1:4], v[7:8], off offset:512
	s_wait_loadcnt 0x0
	v_lshrrev_b32_e32 v40, 16, v1
	v_lshrrev_b32_e32 v39, 16, v2
	;; [unrolled: 1-line block ×3, first 2 shown]
	s_and_saveexec_b32 s9, vcc_lo
	s_cbranch_execz .LBB91_47
; %bb.46:                               ;   in Loop: Header=BB91_42 Depth=1
	v_cmp_gt_i32_e64 s0, s31, v29
	v_and_b32_e32 v41, 0xffff, v4
	v_and_b32_e32 v4, 0xffff0000, v4
	s_wait_alu 0xf1ff
	s_delay_alu instid0(VALU_DEP_3) | instskip(SKIP_2) | instid1(VALU_DEP_1)
	v_cndmask_b32_e64 v1, 0, v1, s0
	v_cmp_gt_i32_e64 s0, s31, v31
	s_wait_alu 0xf1ff
	v_cndmask_b32_e64 v40, 0, v40, s0
	v_cmp_gt_i32_e64 s0, s31, v30
	s_wait_alu 0xf1ff
	s_delay_alu instid0(VALU_DEP_1) | instskip(SKIP_2) | instid1(VALU_DEP_1)
	v_cndmask_b32_e64 v2, 0, v2, s0
	v_cmp_gt_i32_e64 s0, s31, v26
	s_wait_alu 0xf1ff
	v_cndmask_b32_e64 v39, 0, v39, s0
	v_cmp_gt_i32_e64 s0, s31, v27
	s_wait_alu 0xf1ff
	s_delay_alu instid0(VALU_DEP_1) | instskip(SKIP_2) | instid1(VALU_DEP_1)
	v_cndmask_b32_e64 v41, 0, v41, s0
	v_cmp_gt_i32_e64 s0, s31, v28
	s_wait_alu 0xf1ff
	v_cndmask_b32_e64 v4, 0, v4, s0
	v_cmp_gt_i32_e64 s0, s31, v25
	s_delay_alu instid0(VALU_DEP_2) | instskip(SKIP_1) | instid1(VALU_DEP_2)
	v_or_b32_e32 v4, v41, v4
	s_wait_alu 0xf1ff
	v_cndmask_b32_e64 v3, 0, v3, s0
	v_cmp_gt_i32_e64 s0, s31, v24
	s_wait_alu 0xf1ff
	s_delay_alu instid0(VALU_DEP_1)
	v_cndmask_b32_e64 v38, 0, v38, s0
.LBB91_47:                              ;   in Loop: Header=BB91_42 Depth=1
	s_or_b32 exec_lo, exec_lo, s9
	v_lshlrev_b32_e32 v40, 16, v40
	v_lshlrev_b32_e32 v39, 16, v39
	s_delay_alu instid0(VALU_DEP_3) | instskip(NEXT) | instid1(VALU_DEP_3)
	v_lshlrev_b32_e32 v38, 16, v38
	v_and_or_b32 v1, 0xffff, v1, v40
	s_delay_alu instid0(VALU_DEP_3) | instskip(NEXT) | instid1(VALU_DEP_3)
	v_and_or_b32 v2, 0xffff, v2, v39
	v_and_or_b32 v3, 0xffff, v3, v38
	;;#ASMSTART
	v_pk_mul_f16 v1, v33, v1;

	;;#ASMEND
	;;#ASMSTART
	v_pk_mul_f16 v2, v32, v2;

	;;#ASMEND
	;; [unrolled: 4-line block ×4, first 2 shown]
	;;#ASMSTART
	v_pk_add_f16 v1, v1, v2;

	;;#ASMEND
	;;#ASMSTART
	v_pk_add_f16 v1, v1, v3;

	;;#ASMEND
	;; [unrolled: 4-line block ×3, first 2 shown]
	v_and_b32_e32 v2, 0xffff, v1
	v_lshrrev_b32_e32 v1, 16, v1
	;;#ASMSTART
	v_cvt_f32_f16 v38, v2;
	;;#ASMEND
	;;#ASMSTART
	v_cvt_f32_f16 v39, v1;
	;;#ASMEND
	global_load_b128 v[1:4], v[7:8], off offset:1024
	s_wait_loadcnt 0x0
	v_lshrrev_b32_e32 v42, 16, v1
	v_lshrrev_b32_e32 v41, 16, v2
	;; [unrolled: 1-line block ×3, first 2 shown]
	s_and_saveexec_b32 s9, vcc_lo
	s_cbranch_execz .LBB91_49
; %bb.48:                               ;   in Loop: Header=BB91_42 Depth=1
	v_cmp_gt_i32_e64 s0, s31, v29
	v_and_b32_e32 v43, 0xffff, v4
	v_and_b32_e32 v4, 0xffff0000, v4
	s_wait_alu 0xf1ff
	s_delay_alu instid0(VALU_DEP_3) | instskip(SKIP_2) | instid1(VALU_DEP_1)
	v_cndmask_b32_e64 v1, 0, v1, s0
	v_cmp_gt_i32_e64 s0, s31, v31
	s_wait_alu 0xf1ff
	v_cndmask_b32_e64 v42, 0, v42, s0
	v_cmp_gt_i32_e64 s0, s31, v30
	s_wait_alu 0xf1ff
	s_delay_alu instid0(VALU_DEP_1) | instskip(SKIP_2) | instid1(VALU_DEP_1)
	v_cndmask_b32_e64 v2, 0, v2, s0
	v_cmp_gt_i32_e64 s0, s31, v26
	s_wait_alu 0xf1ff
	v_cndmask_b32_e64 v41, 0, v41, s0
	v_cmp_gt_i32_e64 s0, s31, v27
	s_wait_alu 0xf1ff
	s_delay_alu instid0(VALU_DEP_1) | instskip(SKIP_2) | instid1(VALU_DEP_1)
	v_cndmask_b32_e64 v43, 0, v43, s0
	v_cmp_gt_i32_e64 s0, s31, v28
	s_wait_alu 0xf1ff
	v_cndmask_b32_e64 v4, 0, v4, s0
	v_cmp_gt_i32_e64 s0, s31, v25
	s_delay_alu instid0(VALU_DEP_2) | instskip(SKIP_1) | instid1(VALU_DEP_2)
	v_or_b32_e32 v4, v43, v4
	s_wait_alu 0xf1ff
	v_cndmask_b32_e64 v3, 0, v3, s0
	v_cmp_gt_i32_e64 s0, s31, v24
	s_wait_alu 0xf1ff
	s_delay_alu instid0(VALU_DEP_1)
	v_cndmask_b32_e64 v40, 0, v40, s0
.LBB91_49:                              ;   in Loop: Header=BB91_42 Depth=1
	s_or_b32 exec_lo, exec_lo, s9
	v_lshlrev_b32_e32 v42, 16, v42
	v_lshlrev_b32_e32 v41, 16, v41
	s_delay_alu instid0(VALU_DEP_3) | instskip(NEXT) | instid1(VALU_DEP_3)
	v_lshlrev_b32_e32 v40, 16, v40
	v_and_or_b32 v1, 0xffff, v1, v42
	s_delay_alu instid0(VALU_DEP_3) | instskip(NEXT) | instid1(VALU_DEP_3)
	v_and_or_b32 v2, 0xffff, v2, v41
	v_and_or_b32 v3, 0xffff, v3, v40
	;;#ASMSTART
	v_pk_mul_f16 v1, v33, v1;

	;;#ASMEND
	;;#ASMSTART
	v_pk_mul_f16 v2, v32, v2;

	;;#ASMEND
	;;#ASMSTART
	v_pk_mul_f16 v3, v36, v3;

	;;#ASMEND
	;;#ASMSTART
	v_pk_mul_f16 v4, v37, v4;

	;;#ASMEND
	;;#ASMSTART
	v_pk_add_f16 v1, v1, v2;

	;;#ASMEND
	;;#ASMSTART
	v_pk_add_f16 v1, v1, v3;

	;;#ASMEND
	;; [unrolled: 4-line block ×3, first 2 shown]
	v_and_b32_e32 v2, 0xffff, v1
	v_lshrrev_b32_e32 v1, 16, v1
	;;#ASMSTART
	v_cvt_f32_f16 v40, v2;
	;;#ASMEND
	;;#ASMSTART
	v_cvt_f32_f16 v41, v1;
	;;#ASMEND
	global_load_b128 v[1:4], v[7:8], off offset:1536
	s_wait_loadcnt 0x0
	v_lshrrev_b32_e32 v42, 16, v1
	v_lshrrev_b32_e32 v8, 16, v2
	;; [unrolled: 1-line block ×3, first 2 shown]
	s_and_saveexec_b32 s0, vcc_lo
	s_cbranch_execz .LBB91_40
; %bb.50:                               ;   in Loop: Header=BB91_42 Depth=1
	v_cmp_gt_i32_e32 vcc_lo, s31, v29
	v_and_b32_e32 v29, 0xffff, v4
	s_wait_alu 0xfffd
	v_dual_cndmask_b32 v1, 0, v1 :: v_dual_and_b32 v4, 0xffff0000, v4
	v_cmp_gt_i32_e32 vcc_lo, s31, v31
	s_wait_alu 0xfffd
	v_cndmask_b32_e32 v42, 0, v42, vcc_lo
	v_cmp_gt_i32_e32 vcc_lo, s31, v30
	s_wait_alu 0xfffd
	v_cndmask_b32_e32 v2, 0, v2, vcc_lo
	;; [unrolled: 3-line block ×5, first 2 shown]
	v_cmp_gt_i32_e32 vcc_lo, s31, v25
	s_delay_alu instid0(VALU_DEP_2)
	v_or_b32_e32 v4, v26, v4
	s_wait_alu 0xfffd
	v_cndmask_b32_e32 v3, 0, v3, vcc_lo
	v_cmp_gt_i32_e32 vcc_lo, s31, v24
	s_wait_alu 0xfffd
	v_cndmask_b32_e32 v7, 0, v7, vcc_lo
	s_branch .LBB91_40
.LBB91_51:
	s_or_b32 exec_lo, exec_lo, s5
.LBB91_52:
	s_wait_alu 0xfffe
	s_or_b32 exec_lo, exec_lo, s1
	ds_bpermute_b32 v1, v15, v20
	ds_bpermute_b32 v2, v15, v19
	;; [unrolled: 1-line block ×4, first 2 shown]
	v_lshrrev_b32_e32 v5, 1, v14
	v_lshlrev_b32_e32 v7, 8, v11
	v_and_b32_e32 v11, 0x3c1, v0
	s_mov_b32 s0, exec_lo
	s_wait_storecnt 0x0
	s_wait_loadcnt_dscnt 0x0
	v_lshl_add_u32 v6, v5, 2, 0xa0
	s_barrier_signal -1
	s_barrier_wait -1
	global_inv scope:SCOPE_SE
	v_dual_add_f32 v4, v20, v1 :: v_dual_add_f32 v3, v19, v2
	v_add_f32_e32 v2, v18, v8
	v_add_f32_e32 v1, v16, v12
	v_cmpx_eq_u32_e32 64, v11
	s_cbranch_execz .LBB91_54
; %bb.53:
	v_add_nc_u32_e32 v8, v6, v7
	s_delay_alu instid0(VALU_DEP_1)
	v_add_nc_u32_e32 v11, 0xfffffe00, v8
	v_add_nc_u32_e32 v12, 0xfffffe40, v8
	;; [unrolled: 1-line block ×4, first 2 shown]
	ds_store_b32 v11, v4
	ds_store_b32 v12, v3
	;; [unrolled: 1-line block ×4, first 2 shown]
.LBB91_54:
	s_wait_alu 0xfffe
	s_or_b32 exec_lo, exec_lo, s0
	v_lshlrev_b32_e32 v5, 2, v5
	s_mov_b32 s1, exec_lo
	v_cmp_eq_u32_e32 vcc_lo, 0, v10
	s_wait_loadcnt_dscnt 0x0
	s_barrier_signal -1
	v_add3_u32 v5, 0xa0, v7, v5
	s_barrier_wait -1
	global_inv scope:SCOPE_SE
	v_cmpx_gt_u32_e32 64, v0
	s_cbranch_execz .LBB91_61
; %bb.55:
	s_and_saveexec_b32 s0, vcc_lo
	s_cbranch_execnz .LBB91_73
; %bb.56:
	s_wait_alu 0xfffe
	s_or_b32 exec_lo, exec_lo, s0
	s_and_saveexec_b32 s0, vcc_lo
	s_cbranch_execnz .LBB91_74
.LBB91_57:
	s_wait_alu 0xfffe
	s_or_b32 exec_lo, exec_lo, s0
	s_and_saveexec_b32 s0, vcc_lo
	s_cbranch_execnz .LBB91_75
.LBB91_58:
	s_wait_alu 0xfffe
	s_or_b32 exec_lo, exec_lo, s0
	s_and_saveexec_b32 s0, vcc_lo
	s_cbranch_execz .LBB91_60
.LBB91_59:
	ds_load_b32 v7, v5 offset:192
	s_wait_dscnt 0x0
	v_add_f32_e32 v1, v1, v7
.LBB91_60:
	s_wait_alu 0xfffe
	s_or_b32 exec_lo, exec_lo, s0
.LBB91_61:
	s_wait_alu 0xfffe
	s_or_b32 exec_lo, exec_lo, s1
	v_and_b32_e32 v7, 0x3e1, v0
	s_mov_b32 s1, exec_lo
	s_wait_loadcnt 0x0
	s_barrier_signal -1
	s_barrier_wait -1
	global_inv scope:SCOPE_SE
	v_cmpx_eq_u32_e32 32, v7
	s_cbranch_execz .LBB91_63
; %bb.62:
	ds_store_2addr_b32 v6, v4, v3 offset1:16
	ds_store_2addr_b32 v6, v2, v1 offset0:32 offset1:48
.LBB91_63:
	s_wait_alu 0xfffe
	s_or_b32 exec_lo, exec_lo, s1
	s_delay_alu instid0(SALU_CYCLE_1)
	s_mov_b32 s1, exec_lo
	s_wait_loadcnt_dscnt 0x0
	s_barrier_signal -1
	s_barrier_wait -1
	global_inv scope:SCOPE_SE
	v_cmpx_gt_u32_e32 32, v0
	s_cbranch_execz .LBB91_70
; %bb.64:
	s_and_saveexec_b32 s0, vcc_lo
	s_cbranch_execnz .LBB91_76
; %bb.65:
	s_wait_alu 0xfffe
	s_or_b32 exec_lo, exec_lo, s0
	s_and_saveexec_b32 s0, vcc_lo
	s_cbranch_execnz .LBB91_77
.LBB91_66:
	s_wait_alu 0xfffe
	s_or_b32 exec_lo, exec_lo, s0
	s_and_saveexec_b32 s0, vcc_lo
	s_cbranch_execnz .LBB91_78
.LBB91_67:
	s_wait_alu 0xfffe
	s_or_b32 exec_lo, exec_lo, s0
	s_and_saveexec_b32 s0, vcc_lo
	s_cbranch_execz .LBB91_69
.LBB91_68:
	ds_load_b32 v0, v5 offset:192
	s_wait_dscnt 0x0
	v_add_f32_e32 v1, v1, v0
.LBB91_69:
	s_wait_alu 0xfffe
	s_or_b32 exec_lo, exec_lo, s0
.LBB91_70:
	s_wait_alu 0xfffe
	s_or_b32 exec_lo, exec_lo, s1
	s_mov_b32 s1, 0
	s_wait_loadcnt 0x0
	s_barrier_signal -1
	s_barrier_wait -1
	global_inv scope:SCOPE_SE
	s_mov_b32 s0, exec_lo
	v_cmpx_eq_u32_e32 0, v7
	s_cbranch_execz .LBB91_72
; %bb.71:
	s_lshl_b32 s2, s26, 6
	s_wait_kmcnt 0x0
	s_mul_i32 s4, s8, s16
	s_wait_alu 0xfffe
	s_ashr_i32 s3, s2, 31
	s_ashr_i32 s5, s4, 31
	s_wait_alu 0xfffe
	s_lshl_b64 s[2:3], s[2:3], 1
	s_lshl_b64 s[4:5], s[4:5], 1
	s_wait_alu 0xfffe
	s_add_nc_u64 s[2:3], s[14:15], s[2:3]
	v_lshlrev_b32_e32 v0, 1, v9
	s_lshl_b32 s0, s30, 7
	s_wait_alu 0xfffe
	s_add_nc_u64 s[2:3], s[2:3], s[4:5]
	;;#ASMSTART
	v_cvt_f16_f32 v4, v4;

	;;#ASMEND
	s_wait_alu 0xfffe
	s_add_nc_u64 s[0:1], s[2:3], s[0:1]
	global_store_b16 v0, v4, s[0:1]
	;;#ASMSTART
	v_cvt_f16_f32 v3, v3;

	;;#ASMEND
	global_store_b16 v0, v3, s[0:1] offset:32
	;;#ASMSTART
	v_cvt_f16_f32 v2, v2;

	;;#ASMEND
	global_store_b16 v0, v2, s[0:1] offset:64
	;; [unrolled: 5-line block ×3, first 2 shown]
.LBB91_72:
	s_endpgm
.LBB91_73:
	ds_load_b32 v7, v5
	s_wait_dscnt 0x0
	v_add_f32_e32 v4, v4, v7
	s_wait_alu 0xfffe
	s_or_b32 exec_lo, exec_lo, s0
	s_and_saveexec_b32 s0, vcc_lo
	s_cbranch_execz .LBB91_57
.LBB91_74:
	ds_load_b32 v7, v5 offset:64
	s_wait_dscnt 0x0
	v_add_f32_e32 v3, v3, v7
	s_wait_alu 0xfffe
	s_or_b32 exec_lo, exec_lo, s0
	s_and_saveexec_b32 s0, vcc_lo
	s_cbranch_execz .LBB91_58
.LBB91_75:
	ds_load_b32 v7, v5 offset:128
	s_wait_dscnt 0x0
	v_add_f32_e32 v2, v2, v7
	s_wait_alu 0xfffe
	s_or_b32 exec_lo, exec_lo, s0
	s_and_saveexec_b32 s0, vcc_lo
	s_cbranch_execnz .LBB91_59
	s_branch .LBB91_60
.LBB91_76:
	ds_load_b32 v0, v5
	s_wait_dscnt 0x0
	v_add_f32_e32 v4, v4, v0
	s_wait_alu 0xfffe
	s_or_b32 exec_lo, exec_lo, s0
	s_and_saveexec_b32 s0, vcc_lo
	s_cbranch_execz .LBB91_66
.LBB91_77:
	ds_load_b32 v0, v5 offset:64
	s_wait_dscnt 0x0
	v_add_f32_e32 v3, v3, v0
	s_wait_alu 0xfffe
	s_or_b32 exec_lo, exec_lo, s0
	s_and_saveexec_b32 s0, vcc_lo
	s_cbranch_execz .LBB91_67
.LBB91_78:
	ds_load_b32 v0, v5 offset:128
	s_wait_dscnt 0x0
	v_add_f32_e32 v2, v2, v0
	s_wait_alu 0xfffe
	s_or_b32 exec_lo, exec_lo, s0
	s_and_saveexec_b32 s0, vcc_lo
	s_cbranch_execnz .LBB91_68
	s_branch .LBB91_69
	.section	.rodata,"a",@progbits
	.p2align	6, 0x0
	.amdhsa_kernel _ZN4vllm25paged_attention_v2_kernelIttLi64ELi16ELi128ELNS_18Fp8KVCacheDataTypeE0ELb1ELi512EEEvPfS2_PT_PKS3_PKT0_S9_ifPKiSB_iPKfiiiSD_SD_iiiii
		.amdhsa_group_segment_fixed_size 160
		.amdhsa_private_segment_fixed_size 0
		.amdhsa_kernarg_size 400
		.amdhsa_user_sgpr_count 2
		.amdhsa_user_sgpr_dispatch_ptr 0
		.amdhsa_user_sgpr_queue_ptr 0
		.amdhsa_user_sgpr_kernarg_segment_ptr 1
		.amdhsa_user_sgpr_dispatch_id 0
		.amdhsa_user_sgpr_private_segment_size 0
		.amdhsa_wavefront_size32 1
		.amdhsa_uses_dynamic_stack 0
		.amdhsa_enable_private_segment 0
		.amdhsa_system_sgpr_workgroup_id_x 1
		.amdhsa_system_sgpr_workgroup_id_y 1
		.amdhsa_system_sgpr_workgroup_id_z 1
		.amdhsa_system_sgpr_workgroup_info 0
		.amdhsa_system_vgpr_workitem_id 0
		.amdhsa_next_free_vgpr 79
		.amdhsa_next_free_sgpr 42
		.amdhsa_reserve_vcc 1
		.amdhsa_float_round_mode_32 0
		.amdhsa_float_round_mode_16_64 0
		.amdhsa_float_denorm_mode_32 3
		.amdhsa_float_denorm_mode_16_64 3
		.amdhsa_fp16_overflow 0
		.amdhsa_workgroup_processor_mode 1
		.amdhsa_memory_ordered 1
		.amdhsa_forward_progress 1
		.amdhsa_inst_pref_size 52
		.amdhsa_round_robin_scheduling 0
		.amdhsa_exception_fp_ieee_invalid_op 0
		.amdhsa_exception_fp_denorm_src 0
		.amdhsa_exception_fp_ieee_div_zero 0
		.amdhsa_exception_fp_ieee_overflow 0
		.amdhsa_exception_fp_ieee_underflow 0
		.amdhsa_exception_fp_ieee_inexact 0
		.amdhsa_exception_int_div_zero 0
	.end_amdhsa_kernel
	.section	.text._ZN4vllm25paged_attention_v2_kernelIttLi64ELi16ELi128ELNS_18Fp8KVCacheDataTypeE0ELb1ELi512EEEvPfS2_PT_PKS3_PKT0_S9_ifPKiSB_iPKfiiiSD_SD_iiiii,"axG",@progbits,_ZN4vllm25paged_attention_v2_kernelIttLi64ELi16ELi128ELNS_18Fp8KVCacheDataTypeE0ELb1ELi512EEEvPfS2_PT_PKS3_PKT0_S9_ifPKiSB_iPKfiiiSD_SD_iiiii,comdat
.Lfunc_end91:
	.size	_ZN4vllm25paged_attention_v2_kernelIttLi64ELi16ELi128ELNS_18Fp8KVCacheDataTypeE0ELb1ELi512EEEvPfS2_PT_PKS3_PKT0_S9_ifPKiSB_iPKfiiiSD_SD_iiiii, .Lfunc_end91-_ZN4vllm25paged_attention_v2_kernelIttLi64ELi16ELi128ELNS_18Fp8KVCacheDataTypeE0ELb1ELi512EEEvPfS2_PT_PKS3_PKT0_S9_ifPKiSB_iPKfiiiSD_SD_iiiii
                                        ; -- End function
	.set _ZN4vllm25paged_attention_v2_kernelIttLi64ELi16ELi128ELNS_18Fp8KVCacheDataTypeE0ELb1ELi512EEEvPfS2_PT_PKS3_PKT0_S9_ifPKiSB_iPKfiiiSD_SD_iiiii.num_vgpr, 79
	.set _ZN4vllm25paged_attention_v2_kernelIttLi64ELi16ELi128ELNS_18Fp8KVCacheDataTypeE0ELb1ELi512EEEvPfS2_PT_PKS3_PKT0_S9_ifPKiSB_iPKfiiiSD_SD_iiiii.num_agpr, 0
	.set _ZN4vllm25paged_attention_v2_kernelIttLi64ELi16ELi128ELNS_18Fp8KVCacheDataTypeE0ELb1ELi512EEEvPfS2_PT_PKS3_PKT0_S9_ifPKiSB_iPKfiiiSD_SD_iiiii.numbered_sgpr, 42
	.set _ZN4vllm25paged_attention_v2_kernelIttLi64ELi16ELi128ELNS_18Fp8KVCacheDataTypeE0ELb1ELi512EEEvPfS2_PT_PKS3_PKT0_S9_ifPKiSB_iPKfiiiSD_SD_iiiii.num_named_barrier, 0
	.set _ZN4vllm25paged_attention_v2_kernelIttLi64ELi16ELi128ELNS_18Fp8KVCacheDataTypeE0ELb1ELi512EEEvPfS2_PT_PKS3_PKT0_S9_ifPKiSB_iPKfiiiSD_SD_iiiii.private_seg_size, 0
	.set _ZN4vllm25paged_attention_v2_kernelIttLi64ELi16ELi128ELNS_18Fp8KVCacheDataTypeE0ELb1ELi512EEEvPfS2_PT_PKS3_PKT0_S9_ifPKiSB_iPKfiiiSD_SD_iiiii.uses_vcc, 1
	.set _ZN4vllm25paged_attention_v2_kernelIttLi64ELi16ELi128ELNS_18Fp8KVCacheDataTypeE0ELb1ELi512EEEvPfS2_PT_PKS3_PKT0_S9_ifPKiSB_iPKfiiiSD_SD_iiiii.uses_flat_scratch, 0
	.set _ZN4vllm25paged_attention_v2_kernelIttLi64ELi16ELi128ELNS_18Fp8KVCacheDataTypeE0ELb1ELi512EEEvPfS2_PT_PKS3_PKT0_S9_ifPKiSB_iPKfiiiSD_SD_iiiii.has_dyn_sized_stack, 0
	.set _ZN4vllm25paged_attention_v2_kernelIttLi64ELi16ELi128ELNS_18Fp8KVCacheDataTypeE0ELb1ELi512EEEvPfS2_PT_PKS3_PKT0_S9_ifPKiSB_iPKfiiiSD_SD_iiiii.has_recursion, 0
	.set _ZN4vllm25paged_attention_v2_kernelIttLi64ELi16ELi128ELNS_18Fp8KVCacheDataTypeE0ELb1ELi512EEEvPfS2_PT_PKS3_PKT0_S9_ifPKiSB_iPKfiiiSD_SD_iiiii.has_indirect_call, 0
	.section	.AMDGPU.csdata,"",@progbits
; Kernel info:
; codeLenInByte = 6612
; TotalNumSgprs: 44
; NumVgprs: 79
; ScratchSize: 0
; MemoryBound: 0
; FloatMode: 240
; IeeeMode: 1
; LDSByteSize: 160 bytes/workgroup (compile time only)
; SGPRBlocks: 0
; VGPRBlocks: 9
; NumSGPRsForWavesPerEU: 44
; NumVGPRsForWavesPerEU: 79
; Occupancy: 16
; WaveLimiterHint : 1
; COMPUTE_PGM_RSRC2:SCRATCH_EN: 0
; COMPUTE_PGM_RSRC2:USER_SGPR: 2
; COMPUTE_PGM_RSRC2:TRAP_HANDLER: 0
; COMPUTE_PGM_RSRC2:TGID_X_EN: 1
; COMPUTE_PGM_RSRC2:TGID_Y_EN: 1
; COMPUTE_PGM_RSRC2:TGID_Z_EN: 1
; COMPUTE_PGM_RSRC2:TIDIG_COMP_CNT: 0
	.section	.text._ZN4vllm25paged_attention_v2_kernelIttLi80ELi16ELi128ELNS_18Fp8KVCacheDataTypeE0ELb1ELi512EEEvPfS2_PT_PKS3_PKT0_S9_ifPKiSB_iPKfiiiSD_SD_iiiii,"axG",@progbits,_ZN4vllm25paged_attention_v2_kernelIttLi80ELi16ELi128ELNS_18Fp8KVCacheDataTypeE0ELb1ELi512EEEvPfS2_PT_PKS3_PKT0_S9_ifPKiSB_iPKfiiiSD_SD_iiiii,comdat
	.protected	_ZN4vllm25paged_attention_v2_kernelIttLi80ELi16ELi128ELNS_18Fp8KVCacheDataTypeE0ELb1ELi512EEEvPfS2_PT_PKS3_PKT0_S9_ifPKiSB_iPKfiiiSD_SD_iiiii ; -- Begin function _ZN4vllm25paged_attention_v2_kernelIttLi80ELi16ELi128ELNS_18Fp8KVCacheDataTypeE0ELb1ELi512EEEvPfS2_PT_PKS3_PKT0_S9_ifPKiSB_iPKfiiiSD_SD_iiiii
	.globl	_ZN4vllm25paged_attention_v2_kernelIttLi80ELi16ELi128ELNS_18Fp8KVCacheDataTypeE0ELb1ELi512EEEvPfS2_PT_PKS3_PKT0_S9_ifPKiSB_iPKfiiiSD_SD_iiiii
	.p2align	8
	.type	_ZN4vllm25paged_attention_v2_kernelIttLi80ELi16ELi128ELNS_18Fp8KVCacheDataTypeE0ELb1ELi512EEEvPfS2_PT_PKS3_PKT0_S9_ifPKiSB_iPKfiiiSD_SD_iiiii,@function
_ZN4vllm25paged_attention_v2_kernelIttLi80ELi16ELi128ELNS_18Fp8KVCacheDataTypeE0ELb1ELi512EEEvPfS2_PT_PKS3_PKT0_S9_ifPKiSB_iPKfiiiSD_SD_iiiii: ; @_ZN4vllm25paged_attention_v2_kernelIttLi80ELi16ELi128ELNS_18Fp8KVCacheDataTypeE0ELb1ELi512EEEvPfS2_PT_PKS3_PKT0_S9_ifPKiSB_iPKfiiiSD_SD_iiiii
; %bb.0:
	s_load_b64 s[2:3], s[0:1], 0x40
	s_and_b32 s24, ttmp7, 0xffff
	s_lshr_b32 s30, ttmp7, 16
	s_lshl_b32 s4, s24, 2
	s_lshl_b32 s33, s30, 9
	s_wait_kmcnt 0x0
	s_load_b32 s31, s[2:3], s4 offset:0x0
	s_wait_kmcnt 0x0
	s_cmp_ge_i32 s33, s31
	s_cbranch_scc1 .LBB92_76
; %bb.1:
	s_clause 0x1
	s_load_b32 s25, s[0:1], 0x90
	s_load_b64 s[6:7], s[0:1], 0x30
	s_wait_kmcnt 0x0
	s_abs_i32 s5, s25
	s_abs_i32 s2, s6
	s_delay_alu instid0(SALU_CYCLE_1) | instskip(SKIP_1) | instid1(SALU_CYCLE_2)
	s_cvt_f32_u32 s3, s2
	s_sub_co_i32 s4, 0, s2
	v_rcp_iflag_f32_e32 v1, s3
	s_delay_alu instid0(TRANS32_DEP_1) | instskip(SKIP_2) | instid1(SALU_CYCLE_2)
	v_readfirstlane_b32 s3, v1
	s_mul_f32 s3, s3, 0x4f7ffffe
	s_wait_alu 0xfffe
	s_cvt_u32_f32 s3, s3
	s_wait_alu 0xfffe
	s_delay_alu instid0(SALU_CYCLE_2) | instskip(NEXT) | instid1(SALU_CYCLE_1)
	s_mul_i32 s4, s4, s3
	s_mul_hi_u32 s4, s3, s4
	s_delay_alu instid0(SALU_CYCLE_1)
	s_add_co_i32 s3, s3, s4
	s_xor_b32 s4, s25, s6
	s_wait_alu 0xfffe
	s_mul_hi_u32 s3, s5, s3
	s_ashr_i32 s4, s4, 31
	s_wait_alu 0xfffe
	s_mul_i32 s8, s3, s2
	s_delay_alu instid0(SALU_CYCLE_1)
	s_sub_co_i32 s5, s5, s8
	s_add_co_i32 s8, s3, 1
	s_sub_co_i32 s9, s5, s2
	s_cmp_ge_u32 s5, s2
	s_cselect_b32 s3, s8, s3
	s_cselect_b32 s5, s9, s5
	s_wait_alu 0xfffe
	s_add_co_i32 s8, s3, 1
	s_cmp_ge_u32 s5, s2
	s_cselect_b32 s2, s8, s3
	s_load_b64 s[8:9], s[0:1], 0x50
	s_xor_b32 s2, s2, s4
	s_mov_b32 s3, 0
	s_wait_alu 0xfffe
	s_sub_co_i32 s10, s2, s4
	s_mov_b32 s15, s3
	s_abs_i32 s18, s10
	s_delay_alu instid0(SALU_CYCLE_1) | instskip(SKIP_1) | instid1(SALU_CYCLE_2)
	s_cvt_f32_u32 s2, s18
	s_wait_alu 0xfffe
	v_rcp_iflag_f32_e32 v1, s2
	s_delay_alu instid0(TRANS32_DEP_1) | instskip(SKIP_2) | instid1(SALU_CYCLE_2)
	v_readfirstlane_b32 s2, v1
	s_mul_f32 s2, s2, 0x4f7ffffe
	s_wait_alu 0xfffe
	s_cvt_u32_f32 s4, s2
	s_sub_co_i32 s2, 0, s18
	s_wait_alu 0xfffe
	s_delay_alu instid0(SALU_CYCLE_1)
	s_mul_i32 s2, s2, s4
	s_wait_alu 0xfffe
	s_mul_hi_u32 s5, s4, s2
	s_abs_i32 s2, ttmp9
	s_add_co_i32 s4, s4, s5
	s_mov_b32 s5, s3
	s_wait_kmcnt 0x0
	s_cmp_eq_u64 s[8:9], 0
	s_cbranch_scc1 .LBB92_3
; %bb.2:
	s_mov_b32 s12, ttmp9
	s_ashr_i32 s13, ttmp9, 31
	s_delay_alu instid0(SALU_CYCLE_1) | instskip(NEXT) | instid1(SALU_CYCLE_1)
	s_lshl_b64 s[12:13], s[12:13], 2
	s_add_nc_u64 s[8:9], s[8:9], s[12:13]
	s_load_b32 s15, s[8:9], 0x0
.LBB92_3:
	s_load_b96 s[12:14], s[0:1], 0x58
	v_lshrrev_b32_e32 v9, 1, v0
	v_and_b32_e32 v10, 1, v0
	v_lshlrev_b32_e32 v5, 3, v0
	s_mul_u64 s[4:5], s[2:3], s[4:5]
	s_ashr_i32 s3, ttmp9, 31
	s_ashr_i32 s4, s10, 31
	s_mul_i32 s16, ttmp9, 0x50
	s_mov_b32 s8, exec_lo
	v_cmpx_gt_u32_e32 20, v0
	s_cbranch_execz .LBB92_5
; %bb.4:
	s_load_b64 s[10:11], s[0:1], 0x18
	s_wait_kmcnt 0x0
	s_mul_i32 s20, s12, s24
	s_ashr_i32 s17, s16, 31
	s_ashr_i32 s21, s20, 31
	v_lshlrev_b32_e32 v3, 3, v9
	s_lshl_b64 s[20:21], s[20:21], 1
	s_delay_alu instid0(VALU_DEP_1) | instskip(SKIP_2) | instid1(SALU_CYCLE_1)
	v_mad_u32_u24 v3, 0x50, v10, v3
	s_add_nc_u64 s[10:11], s[10:11], s[20:21]
	s_lshl_b64 s[20:21], s[16:17], 1
	s_add_nc_u64 s[10:11], s[10:11], s[20:21]
	global_load_b64 v[1:2], v5, s[10:11]
	s_wait_loadcnt 0x0
	ds_store_b64 v3, v[1:2]
.LBB92_5:
	s_or_b32 exec_lo, exec_lo, s8
	s_clause 0x1
	s_load_b128 s[8:11], s[0:1], 0x78
	s_load_b32 s20, s[0:1], 0x88
	s_wait_kmcnt 0x0
	s_mul_i32 s12, s5, s18
	s_xor_b32 s3, s3, s4
	s_sub_co_i32 s2, s2, s12
	s_add_co_i32 s4, s5, 1
	s_wait_alu 0xfffe
	s_sub_co_i32 s12, s2, s18
	s_cmp_ge_u32 s2, s18
	s_mov_b32 s22, -1
	s_cselect_b32 s4, s4, s5
	s_cselect_b32 s2, s12, s2
	s_add_co_i32 s5, s4, 1
	s_wait_alu 0xfffe
	s_cmp_ge_u32 s2, s18
	s_wait_dscnt 0x0
	s_cselect_b32 s2, s5, s4
	s_add_co_i32 s21, s31, -1
	s_wait_alu 0xfffe
	s_xor_b32 s2, s2, s3
	s_barrier_signal -1
	s_wait_alu 0xfffe
	s_sub_co_i32 s26, s2, s3
	s_barrier_wait -1
	s_abs_i32 s12, s11
	global_inv scope:SCOPE_SE
	s_cvt_f32_u32 s4, s12
                                        ; implicit-def: $sgpr17
	s_delay_alu instid0(SALU_CYCLE_3) | instskip(NEXT) | instid1(TRANS32_DEP_1)
	v_rcp_iflag_f32_e32 v1, s4
	v_readfirstlane_b32 s4, v1
	s_mul_f32 s2, s4, 0x4f7ffffe
	s_wait_alu 0xfffe
	s_delay_alu instid0(SALU_CYCLE_2) | instskip(SKIP_2) | instid1(SALU_CYCLE_1)
	s_cvt_u32_f32 s4, s2
	s_sub_co_i32 s2, 0, s12
	s_wait_alu 0xfffe
	s_mul_i32 s3, s2, s4
	s_abs_i32 s2, s21
	s_wait_alu 0xfffe
	s_mul_hi_u32 s5, s4, s3
	s_mov_b32 s3, 0
	s_wait_alu 0xfffe
	s_add_co_i32 s18, s4, s5
	s_cmp_lt_i32 s20, 0
	s_mov_b32 s19, s3
	s_cbranch_scc0 .LBB92_7
; %bb.6:
	s_mul_i32 s4, s8, s6
	s_mov_b32 s22, s3
	s_wait_alu 0xfffe
	s_add_co_i32 s4, s26, s4
	s_wait_alu 0xfffe
	s_mul_i32 s4, s4, s20
	s_wait_alu 0xfffe
	s_sub_co_i32 s17, 1, s4
.LBB92_7:
	s_mul_u64 s[4:5], s[2:3], s[18:19]
	s_ashr_i32 s3, s21, 31
	s_and_not1_b32 vcc_lo, exec_lo, s22
	s_ashr_i32 s11, s11, 31
	s_cbranch_vccnz .LBB92_9
; %bb.8:
	s_mul_i32 s4, s25, s8
	s_wait_alu 0xfffe
	s_add_co_i32 s4, s4, ttmp9
	s_wait_alu 0xfffe
	s_mul_i32 s4, s4, s20
	s_wait_alu 0xfffe
	s_add_co_i32 s17, s4, 1
.LBB92_9:
	s_clause 0x2
	s_load_b32 s4, s[0:1], 0x48
	s_load_b64 s[20:21], s[0:1], 0x38
	s_load_b32 s8, s[0:1], 0x98
	s_mul_i32 s6, s5, s12
	s_xor_b32 s3, s3, s11
	s_sub_co_i32 s2, s2, s6
	s_add_co_i32 s19, s5, 1
	v_lshrrev_b32_e32 v11, 5, v0
	v_mov_b32_e32 v8, 0xff7fffff
	v_mbcnt_lo_u32_b32 v7, -1, 0
	s_mul_i32 s26, s26, s14
	s_delay_alu instid0(VALU_DEP_3)
	v_lshl_add_u32 v12, v11, 4, s33
	s_wait_kmcnt 0x0
	s_mul_i32 s22, s4, s24
	s_wait_alu 0xfffe
	s_sub_co_i32 s4, s2, s12
	s_ashr_i32 s23, s22, 31
	s_cmp_ge_u32 s2, s12
	s_cselect_b32 s5, s19, s5
	s_wait_alu 0xfffe
	s_cselect_b32 s2, s4, s2
	s_add_co_i32 s4, s5, 1
	s_wait_alu 0xfffe
	s_cmp_ge_u32 s2, s12
	s_cselect_b32 s2, s4, s5
	s_add_co_i32 s4, s31, 15
	s_lshl_b32 s36, s30, 5
	s_wait_alu 0xfffe
	s_ashr_i32 s5, s4, 31
	v_or_b32_e32 v13, s36, v11
	s_wait_alu 0xfffe
	s_lshr_b32 s5, s5, 28
	s_wait_alu 0xfffe
	s_add_co_i32 s4, s4, s5
	s_add_co_i32 s5, s36, 32
	s_wait_alu 0xfffe
	s_ashr_i32 s34, s4, 4
	s_xor_b32 s4, s2, s3
	s_min_i32 s19, s5, s34
	v_lshlrev_b32_e32 v6, 2, v13
	v_cmp_gt_i32_e64 s2, s19, v13
	s_wait_alu 0xfffe
	s_sub_co_i32 s35, s4, s3
	s_and_saveexec_b32 s6, s2
	s_cbranch_execz .LBB92_21
; %bb.10:
	s_ashr_i32 s27, s26, 31
	s_sub_co_i32 s14, s35, s9
	s_lshl_b64 s[4:5], s[26:27], 1
	s_cmp_neq_f32 s15, 0
	s_load_b64 s[38:39], s[0:1], 0x20
	v_bfe_u32 v14, v0, 1, 4
	v_mov_b32_e32 v23, v13
	s_cselect_b32 vcc_lo, -1, 0
	s_abs_i32 s27, s10
	v_dual_mov_b32 v21, 0xff7fffff :: v_dual_and_b32 v2, 8, v5
	s_cvt_f32_u32 s3, s27
	v_lshlrev_b32_e32 v8, 2, v14
	v_lshlrev_b32_e32 v3, 4, v14
	s_lshl_b64 s[40:41], s[22:23], 2
	s_wait_alu 0xfffe
	v_rcp_iflag_f32_e32 v1, s3
	v_subrev_nc_u32_e32 v4, s31, v14
	v_lshl_or_b32 v8, v11, 6, v8
	s_add_nc_u64 s[40:41], s[20:21], s[40:41]
	s_sub_co_i32 s37, 0, s27
	v_cmp_eq_u32_e64 s3, 0, v10
	v_mul_u32_u24_e32 v15, 0x50, v10
	v_add_nc_u32_e32 v20, 0xc0, v8
	v_mov_b32_e32 v8, 0xff7fffff
	s_wait_kmcnt 0x0
	s_add_nc_u64 s[4:5], s[38:39], s[4:5]
	v_readfirstlane_b32 s29, v1
	s_wait_alu 0xfffe
	v_add_co_u32 v1, s4, s4, v3
	s_wait_alu 0xf1ff
	v_add_co_ci_u32_e64 v3, null, s5, 0, s4
	s_mul_f32 s29, s29, 0x4f7ffffe
	v_add_co_u32 v16, s4, v1, v2
	s_wait_alu 0xf1ff
	v_add_co_ci_u32_e64 v17, null, 0, v3, s4
	s_cvt_u32_f32 s5, s29
	v_add_co_u32 v1, s4, s40, v6
	s_wait_alu 0xf1ff
	v_add_co_ci_u32_e64 v2, null, s41, 0, s4
	s_wait_alu 0xfffe
	s_mul_i32 s37, s37, s5
	v_lshl_add_u32 v18, v11, 4, s33
	v_add_nc_u32_e32 v19, 1, v4
	v_xor_b32_e32 v22, 1, v7
	s_wait_alu 0xfffe
	s_mul_hi_u32 s4, s5, s37
	s_mov_b32 s28, 0
	s_mov_b32 s29, s13
	s_wait_alu 0xfffe
	s_add_co_i32 s37, s5, s4
	s_branch .LBB92_13
.LBB92_11:                              ;   in Loop: Header=BB92_13 Depth=1
	s_or_b32 exec_lo, exec_lo, s38
.LBB92_12:                              ;   in Loop: Header=BB92_13 Depth=1
	s_wait_alu 0xfffe
	s_or_b32 exec_lo, exec_lo, s5
	v_add_nc_u32_e32 v23, 4, v23
	v_add_co_u32 v1, s5, v1, 16
	s_wait_alu 0xf1ff
	v_add_co_ci_u32_e64 v2, null, 0, v2, s5
	s_delay_alu instid0(VALU_DEP_3)
	v_cmp_le_i32_e64 s4, s19, v23
	v_add_nc_u32_e32 v18, 64, v18
	v_add_nc_u32_e32 v20, 0x100, v20
	s_or_b32 s28, s4, s28
	s_wait_alu 0xfffe
	s_and_not1_b32 exec_lo, exec_lo, s28
	s_cbranch_execz .LBB92_20
.LBB92_13:                              ; =>This Inner Loop Header: Depth=1
	v_sub_nc_u32_e32 v3, 0, v18
	s_delay_alu instid0(VALU_DEP_1) | instskip(SKIP_1) | instid1(VALU_DEP_1)
	v_max_i32_e32 v3, v18, v3
	s_wait_dscnt 0x0
	v_mul_hi_u32 v4, v3, s18
	s_delay_alu instid0(VALU_DEP_1) | instskip(NEXT) | instid1(VALU_DEP_1)
	v_mul_lo_u32 v24, v4, s12
	v_sub_nc_u32_e32 v3, v3, v24
	v_add_nc_u32_e32 v24, 1, v4
	s_delay_alu instid0(VALU_DEP_2) | instskip(SKIP_2) | instid1(VALU_DEP_1)
	v_subrev_nc_u32_e32 v25, s12, v3
	v_cmp_le_u32_e64 s4, s12, v3
	s_wait_alu 0xf1ff
	v_cndmask_b32_e64 v4, v4, v24, s4
	s_delay_alu instid0(VALU_DEP_3) | instskip(SKIP_1) | instid1(VALU_DEP_3)
	v_cndmask_b32_e64 v3, v3, v25, s4
	v_ashrrev_i32_e32 v24, 31, v18
	v_add_nc_u32_e32 v25, 1, v4
	s_delay_alu instid0(VALU_DEP_3) | instskip(NEXT) | instid1(VALU_DEP_3)
	v_cmp_le_u32_e64 s4, s12, v3
	v_xor_b32_e32 v24, s11, v24
	s_wait_alu 0xf1ff
	s_delay_alu instid0(VALU_DEP_2) | instskip(NEXT) | instid1(VALU_DEP_1)
	v_cndmask_b32_e64 v3, v4, v25, s4
	v_xor_b32_e32 v3, v3, v24
	s_delay_alu instid0(VALU_DEP_1) | instskip(NEXT) | instid1(VALU_DEP_1)
	v_sub_nc_u32_e32 v3, v3, v24
	v_add_nc_u32_e32 v4, s17, v3
	v_cmp_ge_i32_e64 s5, s14, v3
	s_delay_alu instid0(VALU_DEP_2) | instskip(NEXT) | instid1(VALU_DEP_1)
	v_sub_nc_u32_e32 v24, 0, v4
	v_max_i32_e32 v24, v4, v24
	v_ashrrev_i32_e32 v4, 31, v4
	s_wait_alu 0xfffe
	s_delay_alu instid0(VALU_DEP_2) | instskip(NEXT) | instid1(VALU_DEP_1)
	v_mul_hi_u32 v25, v24, s37
	v_mul_lo_u32 v25, v25, s27
	s_delay_alu instid0(VALU_DEP_1) | instskip(NEXT) | instid1(VALU_DEP_1)
	v_sub_nc_u32_e32 v24, v24, v25
	v_subrev_nc_u32_e32 v25, s27, v24
	v_cmp_le_u32_e64 s4, s27, v24
	s_wait_alu 0xf1ff
	s_delay_alu instid0(VALU_DEP_1) | instskip(NEXT) | instid1(VALU_DEP_1)
	v_cndmask_b32_e64 v24, v24, v25, s4
	v_subrev_nc_u32_e32 v25, s27, v24
	v_cmp_le_u32_e64 s4, s27, v24
	s_wait_alu 0xf1ff
	s_delay_alu instid0(VALU_DEP_1) | instskip(NEXT) | instid1(VALU_DEP_1)
	v_cndmask_b32_e64 v24, v24, v25, s4
	v_xor_b32_e32 v24, v24, v4
	s_delay_alu instid0(VALU_DEP_1) | instskip(NEXT) | instid1(VALU_DEP_1)
	v_sub_nc_u32_e32 v4, v24, v4
	v_cmp_ne_u32_e64 s4, 0, v4
	s_and_b32 s4, s4, s5
	s_wait_alu 0xfffe
	s_and_saveexec_b32 s5, s4
	s_wait_alu 0xfffe
	s_xor_b32 s4, exec_lo, s5
	s_cbranch_execz .LBB92_17
; %bb.14:                               ;   in Loop: Header=BB92_13 Depth=1
	s_and_saveexec_b32 s5, s3
; %bb.15:                               ;   in Loop: Header=BB92_13 Depth=1
	ds_store_b32 v20, v21
; %bb.16:                               ;   in Loop: Header=BB92_13 Depth=1
	s_wait_alu 0xfffe
	s_or_b32 exec_lo, exec_lo, s5
.LBB92_17:                              ;   in Loop: Header=BB92_13 Depth=1
	s_wait_alu 0xfffe
	s_and_not1_saveexec_b32 s5, s4
	s_cbranch_execz .LBB92_12
; %bb.18:                               ;   in Loop: Header=BB92_13 Depth=1
	global_load_b32 v3, v[1:2], off
	s_wait_loadcnt 0x0
	v_mad_co_i64_i32 v[3:4], null, v3, s29, 0
	s_delay_alu instid0(VALU_DEP_1) | instskip(NEXT) | instid1(VALU_DEP_1)
	v_lshlrev_b64_e32 v[3:4], 1, v[3:4]
	v_add_co_u32 v3, s4, v16, v3
	s_wait_alu 0xf1ff
	s_delay_alu instid0(VALU_DEP_2)
	v_add_co_ci_u32_e64 v4, null, v17, v4, s4
	v_cmp_gt_i32_e64 s4, 32, v22
	s_clause 0x9
	global_load_b64 v[24:25], v[3:4], off
	global_load_b64 v[26:27], v[3:4], off offset:256
	global_load_b64 v[28:29], v[3:4], off offset:512
	;; [unrolled: 1-line block ×9, first 2 shown]
	ds_load_b64 v[42:43], v15
	s_wait_dscnt 0x0
	v_and_b32_e32 v44, 0xffff, v42
	v_lshrrev_b32_e32 v45, 16, v42
	v_lshrrev_b32_e32 v47, 16, v43
	v_and_b32_e32 v46, 0xffff, v43
	;;#ASMSTART
	v_cvt_f32_f16 v42, v44;
	;;#ASMEND
	;;#ASMSTART
	v_cvt_f32_f16 v43, v45;
	;;#ASMEND
	s_wait_loadcnt 0x9
	v_and_b32_e32 v44, 0xffff, v24
	v_lshrrev_b32_e32 v24, 16, v24
	v_lshrrev_b32_e32 v49, 16, v25
	v_and_b32_e32 v25, 0xffff, v25
	;;#ASMSTART
	v_cvt_f32_f16 v44, v44;
	;;#ASMEND
	;;#ASMSTART
	v_cvt_f32_f16 v45, v24;
	;;#ASMEND
	;; [unrolled: 3-line block ×6, first 2 shown]
	ds_load_b64 v[24:25], v15 offset:8
	s_wait_loadcnt 0x8
	v_lshrrev_b32_e32 v51, 16, v26
	v_and_b32_e32 v50, 0xffff, v26
	v_lshrrev_b32_e32 v55, 16, v27
	v_and_b32_e32 v54, 0xffff, v27
	s_wait_loadcnt 0x7
	v_lshrrev_b32_e32 v57, 16, v28
	v_and_b32_e32 v56, 0xffff, v28
	v_lshrrev_b32_e32 v61, 16, v29
	v_and_b32_e32 v60, 0xffff, v29
	;; [unrolled: 5-line block ×4, first 2 shown]
	s_wait_loadcnt 0x4
	v_lshrrev_b32_e32 v75, 16, v34
	v_and_b32_e32 v74, 0xffff, v34
	v_lshrrev_b32_e32 v79, 16, v35
	s_wait_dscnt 0x0
	v_and_b32_e32 v26, 0xffff, v24
	v_lshrrev_b32_e32 v24, 16, v24
	v_lshrrev_b32_e32 v53, 16, v25
	v_and_b32_e32 v25, 0xffff, v25
	;;#ASMSTART
	v_cvt_f32_f16 v26, v26;
	;;#ASMEND
	;;#ASMSTART
	v_cvt_f32_f16 v27, v24;
	;;#ASMEND
	;; [unrolled: 3-line block ×8, first 2 shown]
	ds_load_b64 v[24:25], v15 offset:16
	v_mul_f32_e32 v26, v26, v50
	v_mul_f32_e32 v52, v52, v54
	v_and_b32_e32 v78, 0xffff, v35
	s_wait_loadcnt 0x3
	v_lshrrev_b32_e32 v81, 16, v36
	v_and_b32_e32 v80, 0xffff, v36
	v_fmac_f32_e32 v26, v42, v44
	v_lshrrev_b32_e32 v85, 16, v37
	v_and_b32_e32 v84, 0xffff, v37
	s_wait_loadcnt 0x2
	v_lshrrev_b32_e32 v86, 16, v38
	v_lshrrev_b32_e32 v88, 16, v39
	s_wait_loadcnt 0x1
	v_lshrrev_b32_e32 v90, 16, v40
	v_mul_f32_e32 v27, v27, v51
	v_mul_f32_e32 v53, v53, v55
	v_lshrrev_b32_e32 v42, 16, v41
	s_delay_alu instid0(VALU_DEP_3) | instskip(NEXT) | instid1(VALU_DEP_3)
	v_dual_fmac_f32 v52, v46, v48 :: v_dual_fmac_f32 v27, v43, v45
	v_fmac_f32_e32 v53, v47, v49
	s_wait_loadcnt 0x0
	v_lshrrev_b32_e32 v43, 16, v3
	s_wait_dscnt 0x0
	v_and_b32_e32 v28, 0xffff, v24
	v_lshrrev_b32_e32 v24, 16, v24
	v_lshrrev_b32_e32 v59, 16, v25
	v_and_b32_e32 v25, 0xffff, v25
	;;#ASMSTART
	v_cvt_f32_f16 v28, v28;
	;;#ASMEND
	;;#ASMSTART
	v_cvt_f32_f16 v29, v24;
	;;#ASMEND
	;; [unrolled: 3-line block ×8, first 2 shown]
	ds_load_b64 v[24:25], v15 offset:24
	v_fmac_f32_e32 v27, v29, v57
	v_dual_fmac_f32 v53, v59, v61 :: v_dual_fmac_f32 v26, v28, v56
	v_fmac_f32_e32 v52, v58, v60
	s_wait_dscnt 0x0
	v_and_b32_e32 v30, 0xffff, v24
	v_lshrrev_b32_e32 v24, 16, v24
	v_lshrrev_b32_e32 v65, 16, v25
	v_and_b32_e32 v25, 0xffff, v25
	;;#ASMSTART
	v_cvt_f32_f16 v30, v30;
	;;#ASMEND
	;;#ASMSTART
	v_cvt_f32_f16 v31, v24;
	;;#ASMEND
	;; [unrolled: 3-line block ×8, first 2 shown]
	ds_load_b64 v[24:25], v15 offset:32
	v_dual_fmac_f32 v52, v64, v66 :: v_dual_and_b32 v89, 0xffff, v39
	v_fmac_f32_e32 v27, v31, v63
	v_dual_fmac_f32 v53, v65, v67 :: v_dual_fmac_f32 v26, v30, v62
	s_wait_dscnt 0x0
	v_and_b32_e32 v32, 0xffff, v24
	v_lshrrev_b32_e32 v24, 16, v24
	v_lshrrev_b32_e32 v71, 16, v25
	v_and_b32_e32 v25, 0xffff, v25
	;;#ASMSTART
	v_cvt_f32_f16 v32, v32;
	;;#ASMEND
	;;#ASMSTART
	v_cvt_f32_f16 v33, v24;
	;;#ASMEND
	;; [unrolled: 3-line block ×8, first 2 shown]
	ds_load_b64 v[24:25], v15 offset:40
	v_dual_fmac_f32 v26, v32, v68 :: v_dual_and_b32 v87, 0xffff, v38
	v_fmac_f32_e32 v27, v33, v69
	v_dual_fmac_f32 v53, v71, v73 :: v_dual_fmac_f32 v52, v70, v72
	s_wait_dscnt 0x0
	v_and_b32_e32 v34, 0xffff, v24
	v_lshrrev_b32_e32 v24, 16, v24
	v_lshrrev_b32_e32 v77, 16, v25
	v_and_b32_e32 v25, 0xffff, v25
	;;#ASMSTART
	v_cvt_f32_f16 v34, v34;
	;;#ASMEND
	;;#ASMSTART
	v_cvt_f32_f16 v35, v24;
	;;#ASMEND
	;; [unrolled: 3-line block ×8, first 2 shown]
	ds_load_b64 v[24:25], v15 offset:48
	v_dual_fmac_f32 v26, v34, v74 :: v_dual_and_b32 v91, 0xffff, v40
	v_dual_fmac_f32 v52, v76, v78 :: v_dual_and_b32 v41, 0xffff, v41
	v_fmac_f32_e32 v27, v35, v75
	v_fmac_f32_e32 v53, v77, v79
	v_and_b32_e32 v34, 0xffff, v3
	v_lshrrev_b32_e32 v35, 16, v4
	s_wait_dscnt 0x0
	v_and_b32_e32 v36, 0xffff, v24
	v_lshrrev_b32_e32 v24, 16, v24
	v_lshrrev_b32_e32 v83, 16, v25
	v_and_b32_e32 v25, 0xffff, v25
	;;#ASMSTART
	v_cvt_f32_f16 v36, v36;
	;;#ASMEND
	;;#ASMSTART
	v_cvt_f32_f16 v37, v24;
	;;#ASMEND
	;; [unrolled: 3-line block ×8, first 2 shown]
	ds_load_b64 v[24:25], v15 offset:56
	v_dual_fmac_f32 v26, v36, v80 :: v_dual_fmac_f32 v27, v37, v81
	v_dual_fmac_f32 v53, v83, v85 :: v_dual_and_b32 v36, 0xffff, v4
	s_wait_dscnt 0x0
	v_and_b32_e32 v38, 0xffff, v24
	v_lshrrev_b32_e32 v24, 16, v24
	v_lshrrev_b32_e32 v92, 16, v25
	v_and_b32_e32 v25, 0xffff, v25
	;;#ASMSTART
	v_cvt_f32_f16 v38, v38;
	;;#ASMEND
	;;#ASMSTART
	v_cvt_f32_f16 v39, v24;
	;;#ASMEND
	;; [unrolled: 3-line block ×8, first 2 shown]
	ds_load_b64 v[24:25], v15 offset:64
	v_dual_fmac_f32 v26, v38, v40 :: v_dual_fmac_f32 v27, v39, v50
	v_fmac_f32_e32 v53, v86, v88
	s_wait_dscnt 0x0
	v_and_b32_e32 v28, 0xffff, v24
	v_lshrrev_b32_e32 v24, 16, v24
	v_lshrrev_b32_e32 v33, 16, v25
	v_and_b32_e32 v25, 0xffff, v25
	;;#ASMSTART
	v_cvt_f32_f16 v28, v28;
	;;#ASMEND
	;;#ASMSTART
	v_cvt_f32_f16 v29, v24;
	;;#ASMEND
	;; [unrolled: 3-line block ×8, first 2 shown]
	ds_load_b64 v[24:25], v15 offset:72
	v_fmac_f32_e32 v52, v82, v84
	v_dual_fmac_f32 v26, v28, v30 :: v_dual_fmac_f32 v27, v29, v31
	v_fmac_f32_e32 v53, v33, v42
	s_wait_dscnt 0x0
	s_delay_alu instid0(VALU_DEP_3)
	v_dual_fmac_f32 v52, v51, v87 :: v_dual_and_b32 v29, 0xffff, v25
	v_and_b32_e32 v3, 0xffff, v24
	v_lshrrev_b32_e32 v4, 16, v24
	v_lshrrev_b32_e32 v28, 16, v25
	;;#ASMSTART
	v_cvt_f32_f16 v3, v3;
	;;#ASMEND
	v_fmac_f32_e32 v52, v32, v41
	;;#ASMSTART
	v_cvt_f32_f16 v4, v4;
	;;#ASMEND
	;;#ASMSTART
	v_cvt_f32_f16 v24, v34;
	;;#ASMEND
	;; [unrolled: 3-line block ×3, first 2 shown]
	v_dual_fmac_f32 v26, v3, v24 :: v_dual_fmac_f32 v27, v4, v25
	;;#ASMSTART
	v_cvt_f32_f16 v3, v29;
	;;#ASMEND
	;;#ASMSTART
	v_cvt_f32_f16 v4, v28;
	;;#ASMEND
	;; [unrolled: 3-line block ×3, first 2 shown]
	s_delay_alu instid0(VALU_DEP_1)
	v_dual_fmac_f32 v52, v3, v24 :: v_dual_add_f32 v3, v26, v27
	;;#ASMSTART
	v_cvt_f32_f16 v24, v35;
	;;#ASMEND
	v_fmac_f32_e32 v53, v4, v24
	s_wait_alu 0xf1ff
	v_cndmask_b32_e64 v4, v7, v22, s4
	v_add_f32_e32 v3, v3, v52
	s_delay_alu instid0(VALU_DEP_1)
	v_dual_add_f32 v3, v53, v3 :: v_dual_lshlrev_b32 v4, 2, v4
	ds_bpermute_b32 v4, v4, v3
	s_and_saveexec_b32 s38, s3
	s_cbranch_execz .LBB92_11
; %bb.19:                               ;   in Loop: Header=BB92_13 Depth=1
	v_add_nc_u32_e32 v24, v19, v18
	s_wait_dscnt 0x0
	v_add_f32_e32 v3, v3, v4
	s_delay_alu instid0(VALU_DEP_2) | instskip(NEXT) | instid1(VALU_DEP_1)
	v_cvt_f32_i32_e32 v24, v24
	v_mul_f32_e32 v24, s15, v24
	s_delay_alu instid0(VALU_DEP_1) | instskip(SKIP_1) | instid1(VALU_DEP_2)
	v_cndmask_b32_e32 v4, 0, v24, vcc_lo
	v_max_num_f32_e32 v24, v8, v8
	v_dual_fmac_f32 v4, s7, v3 :: v_dual_add_nc_u32 v3, v14, v18
	s_delay_alu instid0(VALU_DEP_1) | instskip(NEXT) | instid1(VALU_DEP_2)
	v_max_num_f32_e32 v24, v24, v4
	v_cmp_gt_i32_e64 s4, s31, v3
	s_wait_alu 0xf1ff
	s_delay_alu instid0(VALU_DEP_1) | instskip(NEXT) | instid1(VALU_DEP_3)
	v_cndmask_b32_e64 v3, 0, v4, s4
	v_cndmask_b32_e64 v8, v8, v24, s4
	ds_store_b32 v20, v3
	s_branch .LBB92_11
.LBB92_20:
	s_or_b32 exec_lo, exec_lo, s28
.LBB92_21:
	s_delay_alu instid0(SALU_CYCLE_1)
	s_or_b32 exec_lo, exec_lo, s6
	v_xor_b32_e32 v1, 16, v7
	v_xor_b32_e32 v2, 8, v7
	;; [unrolled: 1-line block ×3, first 2 shown]
	s_clause 0x2
	s_load_b128 s[4:7], s[0:1], 0x0
	s_load_b64 s[14:15], s[0:1], 0x10
	s_load_b64 s[28:29], s[0:1], 0x28
	v_lshlrev_b32_e32 v16, 2, v11
	v_cmp_gt_i32_e32 vcc_lo, 32, v1
	s_wait_alu 0xfffd
	v_cndmask_b32_e32 v1, v7, v1, vcc_lo
	v_cmp_gt_i32_e32 vcc_lo, 32, v2
	s_wait_alu 0xfffd
	s_delay_alu instid0(VALU_DEP_2) | instskip(SKIP_4) | instid1(VALU_DEP_1)
	v_dual_cndmask_b32 v2, v7, v2 :: v_dual_lshlrev_b32 v3, 2, v1
	ds_bpermute_b32 v1, v3, v8
	v_max_num_f32_e32 v8, v8, v8
	s_wait_dscnt 0x0
	v_dual_max_num_f32 v1, v1, v1 :: v_dual_lshlrev_b32 v4, 2, v2
	v_max_num_f32_e32 v1, v8, v1
	v_xor_b32_e32 v8, 4, v7
	s_delay_alu instid0(VALU_DEP_1)
	v_cmp_gt_i32_e32 vcc_lo, 32, v8
	s_wait_alu 0xfffd
	v_cndmask_b32_e32 v8, v7, v8, vcc_lo
	ds_bpermute_b32 v2, v4, v1
	v_cmp_gt_i32_e32 vcc_lo, 32, v14
	s_wait_alu 0xfffd
	v_cndmask_b32_e32 v14, v7, v14, vcc_lo
	s_wait_dscnt 0x0
	v_max_num_f32_e32 v2, v2, v2
	s_delay_alu instid0(VALU_DEP_1) | instskip(SKIP_3) | instid1(VALU_DEP_1)
	v_dual_max_num_f32 v1, v1, v2 :: v_dual_lshlrev_b32 v8, 2, v8
	ds_bpermute_b32 v2, v8, v1
	s_wait_dscnt 0x0
	v_max_num_f32_e32 v2, v2, v2
	v_max_num_f32_e32 v1, v1, v2
	v_lshlrev_b32_e32 v2, 2, v14
	v_and_b32_e32 v14, 31, v0
	ds_bpermute_b32 v15, v2, v1
	v_cmp_eq_u32_e32 vcc_lo, 0, v14
	s_and_saveexec_b32 s0, vcc_lo
	s_cbranch_execz .LBB92_23
; %bb.22:
	s_wait_dscnt 0x0
	v_max_num_f32_e32 v15, v15, v15
	v_max_num_f32_e32 v1, v1, v1
	s_delay_alu instid0(VALU_DEP_1)
	v_max_num_f32_e32 v1, v1, v15
	ds_store_b32 v16, v1 offset:160
.LBB92_23:
	s_or_b32 exec_lo, exec_lo, s0
	v_cmp_gt_u32_e64 s0, 4, v14
	v_mov_b32_e32 v1, 0xff7fffff
	v_lshlrev_b32_e32 v17, 2, v14
	s_wait_loadcnt_dscnt 0x0
	s_barrier_signal -1
	s_barrier_wait -1
	global_inv scope:SCOPE_SE
	s_and_saveexec_b32 s1, s0
; %bb.24:
	ds_load_b32 v1, v17 offset:160
; %bb.25:
	s_or_b32 exec_lo, exec_lo, s1
	s_wait_dscnt 0x0
	ds_bpermute_b32 v15, v2, v1
	v_xor_b32_e32 v18, 1, v7
	v_max_num_f32_e32 v1, v1, v1
	s_delay_alu instid0(VALU_DEP_2) | instskip(NEXT) | instid1(VALU_DEP_1)
	v_cmp_gt_i32_e64 s1, 32, v18
	v_cndmask_b32_e64 v7, v7, v18, s1
	s_sub_co_i32 s1, s19, s36
	s_wait_alu 0xfffe
	s_lshl_b32 s1, s1, 4
	s_wait_alu 0xfffe
	s_add_co_i32 s1, s1, s33
	s_wait_alu 0xfffe
	s_min_i32 s1, s1, s31
	s_wait_alu 0xfffe
	s_sub_co_i32 s27, s1, s33
	s_wait_dscnt 0x0
	v_max_num_f32_e32 v18, v15, v15
	v_lshlrev_b32_e32 v15, 2, v7
	s_wait_alu 0xfffe
	v_cmp_gt_i32_e64 s1, s27, v0
	s_delay_alu instid0(VALU_DEP_3) | instskip(SKIP_3) | instid1(VALU_DEP_1)
	v_dual_max_num_f32 v1, v1, v18 :: v_dual_mov_b32 v18, 0
	ds_bpermute_b32 v7, v15, v1
	s_wait_dscnt 0x0
	v_max_num_f32_e32 v7, v7, v7
	v_max_num_f32_e32 v1, v1, v7
	v_lshl_add_u32 v7, v0, 2, 0xc0
	ds_bpermute_b32 v1, v18, v1
	s_and_saveexec_b32 s33, s1
	s_cbranch_execz .LBB92_29
; %bb.26:
	v_lshl_add_u32 v19, v0, 2, 0xc0
	v_mov_b32_e32 v18, 0
	v_mov_b32_e32 v20, v0
	s_mov_b32 s36, 0
.LBB92_27:                              ; =>This Inner Loop Header: Depth=1
	ds_load_b32 v21, v19
	v_add_nc_u32_e32 v20, 0x80, v20
	s_delay_alu instid0(VALU_DEP_1) | instskip(SKIP_4) | instid1(VALU_DEP_1)
	v_cmp_le_i32_e64 s3, s27, v20
	s_wait_alu 0xfffe
	s_or_b32 s36, s3, s36
	s_wait_dscnt 0x0
	v_sub_f32_e32 v21, v21, v1
	v_mul_f32_e32 v21, 0x3fb8aa3b, v21
	s_delay_alu instid0(VALU_DEP_1)
	v_exp_f32_e32 v21, v21
	ds_store_b32 v19, v21
	v_dual_add_f32 v18, v18, v21 :: v_dual_add_nc_u32 v19, 0x200, v19
	s_wait_alu 0xfffe
	s_and_not1_b32 exec_lo, exec_lo, s36
	s_cbranch_execnz .LBB92_27
; %bb.28:
	s_or_b32 exec_lo, exec_lo, s36
.LBB92_29:
	s_wait_alu 0xfffe
	s_or_b32 exec_lo, exec_lo, s33
	ds_bpermute_b32 v3, v3, v18
	s_wait_dscnt 0x0
	v_add_f32_e32 v3, v18, v3
	ds_bpermute_b32 v4, v4, v3
	s_wait_dscnt 0x0
	v_add_f32_e32 v3, v3, v4
	;; [unrolled: 3-line block ×5, first 2 shown]
	s_and_saveexec_b32 s3, vcc_lo
; %bb.30:
	ds_store_b32 v16, v3 offset:176
; %bb.31:
	s_wait_alu 0xfffe
	s_or_b32 exec_lo, exec_lo, s3
	s_wait_loadcnt_dscnt 0x0
	s_barrier_signal -1
	s_barrier_wait -1
	global_inv scope:SCOPE_SE
	s_and_saveexec_b32 s3, s0
; %bb.32:
	ds_load_b32 v3, v17 offset:176
; %bb.33:
	s_wait_alu 0xfffe
	s_or_b32 exec_lo, exec_lo, s3
	s_wait_dscnt 0x0
	ds_bpermute_b32 v2, v2, v3
	s_wait_dscnt 0x0
	v_add_f32_e32 v2, v3, v2
	ds_bpermute_b32 v3, v15, v2
	s_wait_dscnt 0x0
	v_dual_add_f32 v2, v2, v3 :: v_dual_mov_b32 v3, 0
	ds_bpermute_b32 v2, v3, v2
	s_and_saveexec_b32 s0, s1
	s_cbranch_execz .LBB92_36
; %bb.34:
	s_wait_dscnt 0x0
	v_add_f32_e32 v3, 0x358637bd, v2
	s_mov_b32 s1, 0
	s_delay_alu instid0(VALU_DEP_1) | instskip(NEXT) | instid1(VALU_DEP_1)
	v_div_scale_f32 v4, null, v3, v3, 1.0
	v_rcp_f32_e32 v8, v4
	s_delay_alu instid0(TRANS32_DEP_1) | instskip(NEXT) | instid1(VALU_DEP_1)
	v_fma_f32 v16, -v4, v8, 1.0
	v_fmac_f32_e32 v8, v16, v8
	v_div_scale_f32 v17, vcc_lo, 1.0, v3, 1.0
	s_delay_alu instid0(VALU_DEP_1) | instskip(NEXT) | instid1(VALU_DEP_1)
	v_mul_f32_e32 v16, v17, v8
	v_fma_f32 v18, -v4, v16, v17
	s_delay_alu instid0(VALU_DEP_1) | instskip(NEXT) | instid1(VALU_DEP_1)
	v_fmac_f32_e32 v16, v18, v8
	v_fma_f32 v4, -v4, v16, v17
	s_wait_alu 0xfffd
	s_delay_alu instid0(VALU_DEP_1) | instskip(NEXT) | instid1(VALU_DEP_1)
	v_div_fmas_f32 v4, v4, v8, v16
	v_div_fixup_f32 v3, v4, v3, 1.0
	v_mov_b32_e32 v4, v0
.LBB92_35:                              ; =>This Inner Loop Header: Depth=1
	ds_load_b32 v8, v7
	v_add_nc_u32_e32 v4, 0x80, v4
	s_delay_alu instid0(VALU_DEP_1)
	v_cmp_le_i32_e32 vcc_lo, s27, v4
	s_wait_alu 0xfffe
	s_or_b32 s1, vcc_lo, s1
	s_wait_dscnt 0x0
	v_mul_f32_e32 v8, v3, v8
	ds_store_b32 v7, v8
	v_add_nc_u32_e32 v7, 0x200, v7
	s_wait_alu 0xfffe
	s_and_not1_b32 exec_lo, exec_lo, s1
	s_cbranch_execnz .LBB92_35
.LBB92_36:
	s_wait_alu 0xfffe
	s_or_b32 exec_lo, exec_lo, s0
	s_mul_i32 s0, s8, s24
	s_wait_loadcnt_dscnt 0x0
	s_wait_alu 0xfffe
	s_mul_i32 s24, s0, s25
	s_mov_b32 s0, exec_lo
	s_barrier_signal -1
	s_barrier_wait -1
	global_inv scope:SCOPE_SE
	v_cmpx_eq_u32_e32 0, v0
	s_cbranch_execz .LBB92_38
; %bb.37:
	s_ashr_i32 s25, s24, 31
	s_wait_alu 0xfffe
	s_mul_i32 s36, s8, ttmp9
	s_lshl_b32 s1, s30, 2
	s_lshl_b64 s[38:39], s[24:25], 2
	s_wait_alu 0xfffe
	s_ashr_i32 s37, s36, 31
	v_mov_b32_e32 v3, s1
	s_wait_kmcnt 0x0
	s_add_nc_u64 s[6:7], s[6:7], s[38:39]
	s_wait_alu 0xfffe
	s_lshl_b64 s[36:37], s[36:37], 2
	s_add_nc_u64 s[4:5], s[4:5], s[38:39]
	s_wait_alu 0xfffe
	s_add_nc_u64 s[6:7], s[6:7], s[36:37]
	s_add_nc_u64 s[4:5], s[4:5], s[36:37]
	s_clause 0x1
	global_store_b32 v3, v1, s[6:7]
	global_store_b32 v3, v2, s[4:5]
.LBB92_38:
	s_wait_alu 0xfffe
	s_or_b32 exec_lo, exec_lo, s0
	v_dual_mov_b32 v20, 0 :: v_dual_mov_b32 v19, 0
	v_dual_mov_b32 v18, 0 :: v_dual_mov_b32 v17, 0
	v_mov_b32_e32 v16, 0
	s_and_saveexec_b32 s1, s2
	s_cbranch_execz .LBB92_54
; %bb.39:
	s_abs_i32 s2, s10
	v_dual_mov_b32 v17, 0 :: v_dual_lshlrev_b32 v2, 4, v0
	s_wait_alu 0xfffe
	s_cvt_f32_u32 s0, s2
	v_dual_mov_b32 v18, 0 :: v_dual_lshlrev_b32 v3, 5, v10
	s_ashr_i32 s27, s26, 31
	s_wait_alu 0xfffe
	v_rcp_iflag_f32_e32 v1, s0
	s_wait_kmcnt 0x0
	s_lshl_b64 s[6:7], s[22:23], 2
	s_lshl_b64 s[22:23], s[26:27], 1
	s_wait_alu 0xfffe
	s_add_nc_u64 s[6:7], s[20:21], s[6:7]
	v_dual_mov_b32 v16, 0 :: v_dual_and_b32 v21, 8, v5
	s_add_nc_u64 s[20:21], s[28:29], s[22:23]
	s_wait_alu 0xfffe
	v_add_co_u32 v5, s6, s6, v6
	s_sub_co_i32 s5, 0, s2
	v_readfirstlane_b32 s0, v1
	v_dual_mov_b32 v20, 0 :: v_dual_and_b32 v1, 0x1f0, v2
	v_lshl_or_b32 v2, v11, 6, v3
	v_add_co_ci_u32_e64 v6, null, s7, 0, s6
	s_mul_f32 s0, s0, 0x4f7ffffe
	v_add_co_u32 v22, s6, s20, v1
	s_wait_alu 0xf1ff
	v_add_co_ci_u32_e64 v23, null, s21, 0, s6
	s_wait_alu 0xfffe
	s_cvt_u32_f32 s0, s0
	v_dual_mov_b32 v19, 0 :: v_dual_add_nc_u32 v24, 0xc0, v2
	s_sub_co_i32 s3, s35, s9
	s_wait_alu 0xfffe
	s_mul_i32 s5, s5, s0
	s_mov_b32 s4, s13
	s_wait_alu 0xfffe
	s_mul_hi_u32 s6, s0, s5
	s_add_co_i32 s34, s34, -1
	s_mov_b32 s5, 0
	s_wait_alu 0xfffe
	s_add_co_i32 s6, s0, s6
	s_branch .LBB92_42
.LBB92_40:                              ;   in Loop: Header=BB92_42 Depth=1
	s_wait_alu 0xfffe
	s_or_b32 exec_lo, exec_lo, s0
	v_lshlrev_b32_e32 v25, 16, v45
	v_lshlrev_b32_e32 v8, 16, v8
	;; [unrolled: 1-line block ×3, first 2 shown]
	s_delay_alu instid0(VALU_DEP_3) | instskip(NEXT) | instid1(VALU_DEP_3)
	v_and_or_b32 v1, 0xffff, v1, v25
	v_and_or_b32 v2, 0xffff, v2, v8
	s_delay_alu instid0(VALU_DEP_3)
	v_and_or_b32 v3, 0xffff, v3, v7
	;;#ASMSTART
	v_pk_mul_f16 v1, v34, v1;

	;;#ASMEND
	;;#ASMSTART
	v_pk_mul_f16 v2, v33, v2;

	;;#ASMEND
	;; [unrolled: 4-line block ×4, first 2 shown]
	;;#ASMSTART
	v_pk_add_f16 v1, v1, v2;

	;;#ASMEND
	;;#ASMSTART
	v_pk_add_f16 v1, v1, v3;

	;;#ASMEND
	;; [unrolled: 4-line block ×3, first 2 shown]
	v_dual_add_f32 v7, v43, v44 :: v_dual_and_b32 v4, 0xffff, v1
	v_lshrrev_b32_e32 v8, 16, v1
	;;#ASMSTART
	v_cvt_f32_f16 v4, v4;
	;;#ASMEND
	v_dual_add_f32 v1, v41, v42 :: v_dual_add_f32 v2, v39, v40
	v_add_f32_e32 v3, v35, v36
	;;#ASMSTART
	v_cvt_f32_f16 v8, v8;
	;;#ASMEND
	v_dual_add_f32 v4, v4, v8 :: v_dual_add_f32 v17, v17, v7
	s_delay_alu instid0(VALU_DEP_3) | instskip(NEXT) | instid1(VALU_DEP_3)
	v_dual_add_f32 v18, v18, v1 :: v_dual_add_f32 v19, v19, v2
	v_add_f32_e32 v20, v20, v3
	s_delay_alu instid0(VALU_DEP_3)
	v_add_f32_e32 v16, v16, v4
.LBB92_41:                              ;   in Loop: Header=BB92_42 Depth=1
	s_wait_alu 0xfffe
	s_or_b32 exec_lo, exec_lo, s7
	v_add_nc_u32_e32 v13, 4, v13
	v_add_co_u32 v5, s0, v5, 16
	s_wait_alu 0xf1ff
	v_add_co_ci_u32_e64 v6, null, 0, v6, s0
	s_delay_alu instid0(VALU_DEP_3)
	v_cmp_le_i32_e32 vcc_lo, s19, v13
	v_add_nc_u32_e32 v12, 64, v12
	v_add_nc_u32_e32 v24, 0x100, v24
	s_or_b32 s5, vcc_lo, s5
	s_wait_alu 0xfffe
	s_and_not1_b32 exec_lo, exec_lo, s5
	s_cbranch_execz .LBB92_53
.LBB92_42:                              ; =>This Inner Loop Header: Depth=1
	v_sub_nc_u32_e32 v1, 0, v12
	s_delay_alu instid0(VALU_DEP_1) | instskip(NEXT) | instid1(VALU_DEP_1)
	v_max_i32_e32 v1, v12, v1
	v_mul_hi_u32 v2, v1, s18
	s_delay_alu instid0(VALU_DEP_1) | instskip(NEXT) | instid1(VALU_DEP_1)
	v_mul_lo_u32 v3, v2, s12
	v_sub_nc_u32_e32 v1, v1, v3
	v_add_nc_u32_e32 v3, 1, v2
	s_delay_alu instid0(VALU_DEP_2) | instskip(SKIP_2) | instid1(VALU_DEP_2)
	v_subrev_nc_u32_e32 v4, s12, v1
	v_cmp_le_u32_e32 vcc_lo, s12, v1
	s_wait_alu 0xfffd
	v_dual_cndmask_b32 v2, v2, v3 :: v_dual_cndmask_b32 v1, v1, v4
	v_ashrrev_i32_e32 v3, 31, v12
	s_delay_alu instid0(VALU_DEP_2) | instskip(NEXT) | instid1(VALU_DEP_3)
	v_add_nc_u32_e32 v4, 1, v2
	v_cmp_le_u32_e32 vcc_lo, s12, v1
	s_delay_alu instid0(VALU_DEP_3) | instskip(SKIP_1) | instid1(VALU_DEP_3)
	v_xor_b32_e32 v3, s11, v3
	s_wait_alu 0xfffd
	v_cndmask_b32_e32 v1, v2, v4, vcc_lo
	s_delay_alu instid0(VALU_DEP_1) | instskip(NEXT) | instid1(VALU_DEP_1)
	v_xor_b32_e32 v1, v1, v3
	v_sub_nc_u32_e32 v1, v1, v3
	s_delay_alu instid0(VALU_DEP_1) | instskip(SKIP_1) | instid1(VALU_DEP_2)
	v_add_nc_u32_e32 v2, s17, v1
	v_cmp_lt_i32_e64 s0, s3, v1
	v_sub_nc_u32_e32 v3, 0, v2
	s_delay_alu instid0(VALU_DEP_1) | instskip(SKIP_1) | instid1(VALU_DEP_1)
	v_max_i32_e32 v3, v2, v3
	s_wait_alu 0xfffe
	v_mul_hi_u32 v4, v3, s6
	s_delay_alu instid0(VALU_DEP_1) | instskip(NEXT) | instid1(VALU_DEP_1)
	v_mul_lo_u32 v4, v4, s2
	v_sub_nc_u32_e32 v3, v3, v4
	s_delay_alu instid0(VALU_DEP_1) | instskip(SKIP_2) | instid1(VALU_DEP_2)
	v_subrev_nc_u32_e32 v4, s2, v3
	v_cmp_le_u32_e32 vcc_lo, s2, v3
	s_wait_alu 0xfffd
	v_cndmask_b32_e32 v3, v3, v4, vcc_lo
	v_ashrrev_i32_e32 v2, 31, v2
	s_delay_alu instid0(VALU_DEP_2) | instskip(SKIP_2) | instid1(VALU_DEP_2)
	v_subrev_nc_u32_e32 v4, s2, v3
	v_cmp_le_u32_e32 vcc_lo, s2, v3
	s_wait_alu 0xfffd
	v_cndmask_b32_e32 v3, v3, v4, vcc_lo
	s_delay_alu instid0(VALU_DEP_1) | instskip(NEXT) | instid1(VALU_DEP_1)
	v_xor_b32_e32 v3, v3, v2
	v_sub_nc_u32_e32 v2, v3, v2
	s_delay_alu instid0(VALU_DEP_1)
	v_cmp_eq_u32_e32 vcc_lo, 0, v2
	s_or_b32 s0, vcc_lo, s0
	s_wait_alu 0xfffe
	s_and_saveexec_b32 s7, s0
	s_cbranch_execz .LBB92_41
; %bb.43:                               ;   in Loop: Header=BB92_42 Depth=1
	global_load_b32 v7, v[5:6], off
	ds_load_2addr_b64 v[1:4], v24 offset1:1
	ds_load_2addr_b64 v[25:28], v24 offset0:2 offset1:3
	v_add_nc_u32_e32 v30, v21, v12
	s_wait_dscnt 0x1
	;;#ASMSTART
	v_cvt_f16_f32 v34, v1;

	;;#ASMEND
	;;#ASMSTART
	v_cvt_f16_f32 v33, v2;

	;;#ASMEND
	;; [unrolled: 4-line block ×4, first 2 shown]
	s_wait_dscnt 0x0
	;;#ASMSTART
	v_cvt_f16_f32 v40, v25;

	;;#ASMEND
	;;#ASMSTART
	v_cvt_f16_f32 v36, v26;

	;;#ASMEND
	;; [unrolled: 4-line block ×4, first 2 shown]
	v_add_nc_u32_e32 v32, 1, v30
	v_add_nc_u32_e32 v31, 2, v30
	;; [unrolled: 1-line block ×7, first 2 shown]
	s_wait_loadcnt 0x0
	v_mad_co_i64_i32 v[7:8], null, v7, s4, 0
	s_delay_alu instid0(VALU_DEP_1) | instskip(NEXT) | instid1(VALU_DEP_1)
	v_lshlrev_b64_e32 v[7:8], 1, v[7:8]
	v_add_co_u32 v7, vcc_lo, v22, v7
	s_wait_alu 0xfffd
	s_delay_alu instid0(VALU_DEP_2)
	v_add_co_ci_u32_e64 v8, null, v23, v8, vcc_lo
	v_cmp_eq_u32_e32 vcc_lo, s34, v13
	global_load_b128 v[1:4], v[7:8], off
	s_wait_loadcnt 0x0
	v_lshrrev_b32_e32 v43, 16, v1
	v_lshrrev_b32_e32 v42, 16, v2
	;; [unrolled: 1-line block ×3, first 2 shown]
	s_and_saveexec_b32 s9, vcc_lo
	s_cbranch_execz .LBB92_45
; %bb.44:                               ;   in Loop: Header=BB92_42 Depth=1
	v_cmp_gt_i32_e64 s0, s31, v30
	v_and_b32_e32 v44, 0xffff, v4
	v_and_b32_e32 v4, 0xffff0000, v4
	s_wait_alu 0xf1ff
	s_delay_alu instid0(VALU_DEP_3) | instskip(SKIP_2) | instid1(VALU_DEP_1)
	v_cndmask_b32_e64 v1, 0, v1, s0
	v_cmp_gt_i32_e64 s0, s31, v32
	s_wait_alu 0xf1ff
	v_cndmask_b32_e64 v43, 0, v43, s0
	v_cmp_gt_i32_e64 s0, s31, v31
	s_wait_alu 0xf1ff
	s_delay_alu instid0(VALU_DEP_1) | instskip(SKIP_2) | instid1(VALU_DEP_1)
	v_cndmask_b32_e64 v2, 0, v2, s0
	v_cmp_gt_i32_e64 s0, s31, v27
	s_wait_alu 0xf1ff
	v_cndmask_b32_e64 v42, 0, v42, s0
	v_cmp_gt_i32_e64 s0, s31, v28
	s_wait_alu 0xf1ff
	s_delay_alu instid0(VALU_DEP_1) | instskip(SKIP_2) | instid1(VALU_DEP_1)
	v_cndmask_b32_e64 v44, 0, v44, s0
	v_cmp_gt_i32_e64 s0, s31, v29
	s_wait_alu 0xf1ff
	v_cndmask_b32_e64 v4, 0, v4, s0
	v_cmp_gt_i32_e64 s0, s31, v26
	s_delay_alu instid0(VALU_DEP_2) | instskip(SKIP_1) | instid1(VALU_DEP_2)
	v_or_b32_e32 v4, v44, v4
	s_wait_alu 0xf1ff
	v_cndmask_b32_e64 v3, 0, v3, s0
	v_cmp_gt_i32_e64 s0, s31, v25
	s_wait_alu 0xf1ff
	s_delay_alu instid0(VALU_DEP_1)
	v_cndmask_b32_e64 v41, 0, v41, s0
.LBB92_45:                              ;   in Loop: Header=BB92_42 Depth=1
	s_or_b32 exec_lo, exec_lo, s9
	v_and_b32_e32 v34, 0xffff, v34
	v_and_b32_e32 v39, 0xffff, v39
	v_lshlrev_b32_e32 v43, 16, v43
	v_lshlrev_b32_e32 v41, 16, v41
	v_and_b32_e32 v40, 0xffff, v40
	v_lshl_or_b32 v34, v33, 16, v34
	v_lshl_or_b32 v33, v37, 16, v39
	v_lshlrev_b32_e32 v39, 16, v42
	v_and_b32_e32 v38, 0xffff, v38
	v_and_or_b32 v1, 0xffff, v1, v43
	v_and_or_b32 v3, 0xffff, v3, v41
	;;#ASMSTART
	v_pk_mul_f16 v1, v34, v1;

	;;#ASMEND
	v_and_or_b32 v2, 0xffff, v2, v39
	v_lshl_or_b32 v37, v36, 16, v40
	v_lshl_or_b32 v38, v35, 16, v38
	;;#ASMSTART
	v_pk_mul_f16 v2, v33, v2;

	;;#ASMEND
	;;#ASMSTART
	v_pk_mul_f16 v3, v37, v3;

	;;#ASMEND
	;; [unrolled: 4-line block ×3, first 2 shown]
	;;#ASMSTART
	v_pk_add_f16 v1, v1, v2;

	;;#ASMEND
	;;#ASMSTART
	v_pk_add_f16 v1, v1, v3;

	;;#ASMEND
	;; [unrolled: 4-line block ×3, first 2 shown]
	v_and_b32_e32 v2, 0xffff, v1
	v_lshrrev_b32_e32 v1, 16, v1
	;;#ASMSTART
	v_cvt_f32_f16 v35, v2;
	;;#ASMEND
	;;#ASMSTART
	v_cvt_f32_f16 v36, v1;
	;;#ASMEND
	global_load_b128 v[1:4], v[7:8], off offset:512
	s_wait_loadcnt 0x0
	v_lshrrev_b32_e32 v41, 16, v1
	v_lshrrev_b32_e32 v40, 16, v2
	v_lshrrev_b32_e32 v39, 16, v3
	s_and_saveexec_b32 s9, vcc_lo
	s_cbranch_execz .LBB92_47
; %bb.46:                               ;   in Loop: Header=BB92_42 Depth=1
	v_cmp_gt_i32_e64 s0, s31, v30
	v_and_b32_e32 v42, 0xffff, v4
	v_and_b32_e32 v4, 0xffff0000, v4
	s_wait_alu 0xf1ff
	s_delay_alu instid0(VALU_DEP_3) | instskip(SKIP_2) | instid1(VALU_DEP_1)
	v_cndmask_b32_e64 v1, 0, v1, s0
	v_cmp_gt_i32_e64 s0, s31, v32
	s_wait_alu 0xf1ff
	v_cndmask_b32_e64 v41, 0, v41, s0
	v_cmp_gt_i32_e64 s0, s31, v31
	s_wait_alu 0xf1ff
	s_delay_alu instid0(VALU_DEP_1) | instskip(SKIP_2) | instid1(VALU_DEP_1)
	v_cndmask_b32_e64 v2, 0, v2, s0
	v_cmp_gt_i32_e64 s0, s31, v27
	s_wait_alu 0xf1ff
	v_cndmask_b32_e64 v40, 0, v40, s0
	v_cmp_gt_i32_e64 s0, s31, v28
	s_wait_alu 0xf1ff
	s_delay_alu instid0(VALU_DEP_1) | instskip(SKIP_2) | instid1(VALU_DEP_1)
	v_cndmask_b32_e64 v42, 0, v42, s0
	v_cmp_gt_i32_e64 s0, s31, v29
	s_wait_alu 0xf1ff
	v_cndmask_b32_e64 v4, 0, v4, s0
	v_cmp_gt_i32_e64 s0, s31, v26
	s_delay_alu instid0(VALU_DEP_2) | instskip(SKIP_1) | instid1(VALU_DEP_2)
	v_or_b32_e32 v4, v42, v4
	s_wait_alu 0xf1ff
	v_cndmask_b32_e64 v3, 0, v3, s0
	v_cmp_gt_i32_e64 s0, s31, v25
	s_wait_alu 0xf1ff
	s_delay_alu instid0(VALU_DEP_1)
	v_cndmask_b32_e64 v39, 0, v39, s0
.LBB92_47:                              ;   in Loop: Header=BB92_42 Depth=1
	s_or_b32 exec_lo, exec_lo, s9
	v_lshlrev_b32_e32 v41, 16, v41
	v_lshlrev_b32_e32 v40, 16, v40
	s_delay_alu instid0(VALU_DEP_3) | instskip(NEXT) | instid1(VALU_DEP_3)
	v_lshlrev_b32_e32 v39, 16, v39
	v_and_or_b32 v1, 0xffff, v1, v41
	s_delay_alu instid0(VALU_DEP_3) | instskip(NEXT) | instid1(VALU_DEP_3)
	v_and_or_b32 v2, 0xffff, v2, v40
	v_and_or_b32 v3, 0xffff, v3, v39
	;;#ASMSTART
	v_pk_mul_f16 v1, v34, v1;

	;;#ASMEND
	;;#ASMSTART
	v_pk_mul_f16 v2, v33, v2;

	;;#ASMEND
	;; [unrolled: 4-line block ×4, first 2 shown]
	;;#ASMSTART
	v_pk_add_f16 v1, v1, v2;

	;;#ASMEND
	;;#ASMSTART
	v_pk_add_f16 v1, v1, v3;

	;;#ASMEND
	;; [unrolled: 4-line block ×3, first 2 shown]
	v_and_b32_e32 v2, 0xffff, v1
	v_lshrrev_b32_e32 v1, 16, v1
	;;#ASMSTART
	v_cvt_f32_f16 v39, v2;
	;;#ASMEND
	;;#ASMSTART
	v_cvt_f32_f16 v40, v1;
	;;#ASMEND
	global_load_b128 v[1:4], v[7:8], off offset:1024
	s_wait_loadcnt 0x0
	v_lshrrev_b32_e32 v43, 16, v1
	v_lshrrev_b32_e32 v42, 16, v2
	;; [unrolled: 1-line block ×3, first 2 shown]
	s_and_saveexec_b32 s9, vcc_lo
	s_cbranch_execz .LBB92_49
; %bb.48:                               ;   in Loop: Header=BB92_42 Depth=1
	v_cmp_gt_i32_e64 s0, s31, v30
	v_and_b32_e32 v44, 0xffff, v4
	v_and_b32_e32 v4, 0xffff0000, v4
	s_wait_alu 0xf1ff
	s_delay_alu instid0(VALU_DEP_3) | instskip(SKIP_2) | instid1(VALU_DEP_1)
	v_cndmask_b32_e64 v1, 0, v1, s0
	v_cmp_gt_i32_e64 s0, s31, v32
	s_wait_alu 0xf1ff
	v_cndmask_b32_e64 v43, 0, v43, s0
	v_cmp_gt_i32_e64 s0, s31, v31
	s_wait_alu 0xf1ff
	s_delay_alu instid0(VALU_DEP_1) | instskip(SKIP_2) | instid1(VALU_DEP_1)
	v_cndmask_b32_e64 v2, 0, v2, s0
	v_cmp_gt_i32_e64 s0, s31, v27
	s_wait_alu 0xf1ff
	v_cndmask_b32_e64 v42, 0, v42, s0
	v_cmp_gt_i32_e64 s0, s31, v28
	s_wait_alu 0xf1ff
	s_delay_alu instid0(VALU_DEP_1) | instskip(SKIP_2) | instid1(VALU_DEP_1)
	v_cndmask_b32_e64 v44, 0, v44, s0
	v_cmp_gt_i32_e64 s0, s31, v29
	s_wait_alu 0xf1ff
	v_cndmask_b32_e64 v4, 0, v4, s0
	v_cmp_gt_i32_e64 s0, s31, v26
	s_delay_alu instid0(VALU_DEP_2) | instskip(SKIP_1) | instid1(VALU_DEP_2)
	v_or_b32_e32 v4, v44, v4
	s_wait_alu 0xf1ff
	v_cndmask_b32_e64 v3, 0, v3, s0
	v_cmp_gt_i32_e64 s0, s31, v25
	s_wait_alu 0xf1ff
	s_delay_alu instid0(VALU_DEP_1)
	v_cndmask_b32_e64 v41, 0, v41, s0
.LBB92_49:                              ;   in Loop: Header=BB92_42 Depth=1
	s_or_b32 exec_lo, exec_lo, s9
	v_lshlrev_b32_e32 v43, 16, v43
	v_lshlrev_b32_e32 v42, 16, v42
	s_delay_alu instid0(VALU_DEP_3) | instskip(NEXT) | instid1(VALU_DEP_3)
	v_lshlrev_b32_e32 v41, 16, v41
	v_and_or_b32 v1, 0xffff, v1, v43
	s_delay_alu instid0(VALU_DEP_3) | instskip(NEXT) | instid1(VALU_DEP_3)
	v_and_or_b32 v2, 0xffff, v2, v42
	v_and_or_b32 v3, 0xffff, v3, v41
	;;#ASMSTART
	v_pk_mul_f16 v1, v34, v1;

	;;#ASMEND
	;;#ASMSTART
	v_pk_mul_f16 v2, v33, v2;

	;;#ASMEND
	;; [unrolled: 4-line block ×4, first 2 shown]
	;;#ASMSTART
	v_pk_add_f16 v1, v1, v2;

	;;#ASMEND
	;;#ASMSTART
	v_pk_add_f16 v1, v1, v3;

	;;#ASMEND
	;; [unrolled: 4-line block ×3, first 2 shown]
	v_and_b32_e32 v2, 0xffff, v1
	v_lshrrev_b32_e32 v1, 16, v1
	;;#ASMSTART
	v_cvt_f32_f16 v41, v2;
	;;#ASMEND
	;;#ASMSTART
	v_cvt_f32_f16 v42, v1;
	;;#ASMEND
	global_load_b128 v[1:4], v[7:8], off offset:1536
	s_wait_loadcnt 0x0
	v_lshrrev_b32_e32 v45, 16, v1
	v_lshrrev_b32_e32 v44, 16, v2
	;; [unrolled: 1-line block ×3, first 2 shown]
	s_and_saveexec_b32 s9, vcc_lo
	s_cbranch_execz .LBB92_51
; %bb.50:                               ;   in Loop: Header=BB92_42 Depth=1
	v_cmp_gt_i32_e64 s0, s31, v30
	v_and_b32_e32 v46, 0xffff, v4
	v_and_b32_e32 v4, 0xffff0000, v4
	s_wait_alu 0xf1ff
	s_delay_alu instid0(VALU_DEP_3) | instskip(SKIP_2) | instid1(VALU_DEP_1)
	v_cndmask_b32_e64 v1, 0, v1, s0
	v_cmp_gt_i32_e64 s0, s31, v32
	s_wait_alu 0xf1ff
	v_cndmask_b32_e64 v45, 0, v45, s0
	v_cmp_gt_i32_e64 s0, s31, v31
	s_wait_alu 0xf1ff
	s_delay_alu instid0(VALU_DEP_1) | instskip(SKIP_2) | instid1(VALU_DEP_1)
	v_cndmask_b32_e64 v2, 0, v2, s0
	v_cmp_gt_i32_e64 s0, s31, v27
	s_wait_alu 0xf1ff
	v_cndmask_b32_e64 v44, 0, v44, s0
	v_cmp_gt_i32_e64 s0, s31, v28
	s_wait_alu 0xf1ff
	s_delay_alu instid0(VALU_DEP_1) | instskip(SKIP_2) | instid1(VALU_DEP_1)
	v_cndmask_b32_e64 v46, 0, v46, s0
	v_cmp_gt_i32_e64 s0, s31, v29
	s_wait_alu 0xf1ff
	v_cndmask_b32_e64 v4, 0, v4, s0
	v_cmp_gt_i32_e64 s0, s31, v26
	s_delay_alu instid0(VALU_DEP_2) | instskip(SKIP_1) | instid1(VALU_DEP_2)
	v_or_b32_e32 v4, v46, v4
	s_wait_alu 0xf1ff
	v_cndmask_b32_e64 v3, 0, v3, s0
	v_cmp_gt_i32_e64 s0, s31, v25
	s_wait_alu 0xf1ff
	s_delay_alu instid0(VALU_DEP_1)
	v_cndmask_b32_e64 v43, 0, v43, s0
.LBB92_51:                              ;   in Loop: Header=BB92_42 Depth=1
	s_or_b32 exec_lo, exec_lo, s9
	v_lshlrev_b32_e32 v45, 16, v45
	v_lshlrev_b32_e32 v44, 16, v44
	s_delay_alu instid0(VALU_DEP_3) | instskip(NEXT) | instid1(VALU_DEP_3)
	v_lshlrev_b32_e32 v43, 16, v43
	v_and_or_b32 v1, 0xffff, v1, v45
	s_delay_alu instid0(VALU_DEP_3) | instskip(NEXT) | instid1(VALU_DEP_3)
	v_and_or_b32 v2, 0xffff, v2, v44
	v_and_or_b32 v3, 0xffff, v3, v43
	;;#ASMSTART
	v_pk_mul_f16 v1, v34, v1;

	;;#ASMEND
	;;#ASMSTART
	v_pk_mul_f16 v2, v33, v2;

	;;#ASMEND
	;; [unrolled: 4-line block ×4, first 2 shown]
	;;#ASMSTART
	v_pk_add_f16 v1, v1, v2;

	;;#ASMEND
	;;#ASMSTART
	v_pk_add_f16 v1, v1, v3;

	;;#ASMEND
	;; [unrolled: 4-line block ×3, first 2 shown]
	v_and_b32_e32 v2, 0xffff, v1
	v_lshrrev_b32_e32 v1, 16, v1
	;;#ASMSTART
	v_cvt_f32_f16 v43, v2;
	;;#ASMEND
	;;#ASMSTART
	v_cvt_f32_f16 v44, v1;
	;;#ASMEND
	global_load_b128 v[1:4], v[7:8], off offset:2048
	s_wait_loadcnt 0x0
	v_lshrrev_b32_e32 v45, 16, v1
	v_lshrrev_b32_e32 v8, 16, v2
	;; [unrolled: 1-line block ×3, first 2 shown]
	s_and_saveexec_b32 s0, vcc_lo
	s_cbranch_execz .LBB92_40
; %bb.52:                               ;   in Loop: Header=BB92_42 Depth=1
	v_cmp_gt_i32_e32 vcc_lo, s31, v30
	s_wait_alu 0xfffd
	v_dual_cndmask_b32 v1, 0, v1 :: v_dual_and_b32 v30, 0xffff, v4
	v_cmp_gt_i32_e32 vcc_lo, s31, v32
	s_wait_alu 0xfffd
	v_cndmask_b32_e32 v45, 0, v45, vcc_lo
	v_cmp_gt_i32_e32 vcc_lo, s31, v31
	s_wait_alu 0xfffd
	v_cndmask_b32_e32 v2, 0, v2, vcc_lo
	;; [unrolled: 3-line block ×3, first 2 shown]
	v_cmp_gt_i32_e32 vcc_lo, s31, v28
	s_wait_alu 0xfffd
	v_dual_cndmask_b32 v27, 0, v30 :: v_dual_and_b32 v4, 0xffff0000, v4
	v_cmp_gt_i32_e32 vcc_lo, s31, v29
	s_wait_alu 0xfffd
	s_delay_alu instid0(VALU_DEP_2)
	v_cndmask_b32_e32 v4, 0, v4, vcc_lo
	v_cmp_gt_i32_e32 vcc_lo, s31, v26
	s_wait_alu 0xfffd
	v_cndmask_b32_e32 v3, 0, v3, vcc_lo
	v_cmp_gt_i32_e32 vcc_lo, s31, v25
	s_wait_alu 0xfffd
	v_cndmask_b32_e32 v7, 0, v7, vcc_lo
	v_or_b32_e32 v4, v27, v4
	s_branch .LBB92_40
.LBB92_53:
	s_or_b32 exec_lo, exec_lo, s5
.LBB92_54:
	s_wait_alu 0xfffe
	s_or_b32 exec_lo, exec_lo, s1
	ds_bpermute_b32 v1, v15, v20
	ds_bpermute_b32 v2, v15, v19
	;; [unrolled: 1-line block ×5, first 2 shown]
	v_lshrrev_b32_e32 v6, 1, v14
	v_mul_u32_u24_e32 v8, 0x140, v11
	v_and_b32_e32 v11, 0x3c1, v0
	s_mov_b32 s0, exec_lo
	s_wait_storecnt 0x0
	s_wait_loadcnt_dscnt 0x0
	v_lshl_add_u32 v7, v6, 2, 0xc0
	s_barrier_signal -1
	s_barrier_wait -1
	global_inv scope:SCOPE_SE
	v_dual_add_f32 v5, v20, v1 :: v_dual_add_f32 v4, v19, v2
	v_dual_add_f32 v3, v18, v3 :: v_dual_add_f32 v2, v17, v12
	v_add_f32_e32 v1, v16, v13
	v_cmpx_eq_u32_e32 64, v11
	s_cbranch_execz .LBB92_56
; %bb.55:
	v_add_nc_u32_e32 v11, v7, v8
	s_delay_alu instid0(VALU_DEP_1)
	v_add_nc_u32_e32 v12, 0xfffffd80, v11
	v_add_nc_u32_e32 v13, 0xfffffdc0, v11
	;; [unrolled: 1-line block ×5, first 2 shown]
	ds_store_b32 v12, v5
	ds_store_b32 v13, v4
	;; [unrolled: 1-line block ×5, first 2 shown]
.LBB92_56:
	s_wait_alu 0xfffe
	s_or_b32 exec_lo, exec_lo, s0
	v_lshlrev_b32_e32 v6, 2, v6
	s_mov_b32 s1, exec_lo
	v_cmp_eq_u32_e32 vcc_lo, 0, v10
	s_wait_loadcnt_dscnt 0x0
	s_barrier_signal -1
	v_add3_u32 v6, 0xc0, v8, v6
	s_barrier_wait -1
	global_inv scope:SCOPE_SE
	v_cmpx_gt_u32_e32 64, v0
	s_cbranch_execz .LBB92_64
; %bb.57:
	s_and_saveexec_b32 s0, vcc_lo
	s_cbranch_execnz .LBB92_77
; %bb.58:
	s_wait_alu 0xfffe
	s_or_b32 exec_lo, exec_lo, s0
	s_and_saveexec_b32 s0, vcc_lo
	s_cbranch_execnz .LBB92_78
.LBB92_59:
	s_wait_alu 0xfffe
	s_or_b32 exec_lo, exec_lo, s0
	s_and_saveexec_b32 s0, vcc_lo
	s_cbranch_execnz .LBB92_79
.LBB92_60:
	s_wait_alu 0xfffe
	s_or_b32 exec_lo, exec_lo, s0
	s_and_saveexec_b32 s0, vcc_lo
	s_cbranch_execnz .LBB92_80
.LBB92_61:
	s_wait_alu 0xfffe
	s_or_b32 exec_lo, exec_lo, s0
	s_and_saveexec_b32 s0, vcc_lo
	s_cbranch_execz .LBB92_63
.LBB92_62:
	ds_load_b32 v8, v6 offset:256
	s_wait_dscnt 0x0
	v_add_f32_e32 v1, v1, v8
.LBB92_63:
	s_wait_alu 0xfffe
	s_or_b32 exec_lo, exec_lo, s0
.LBB92_64:
	s_wait_alu 0xfffe
	s_or_b32 exec_lo, exec_lo, s1
	v_and_b32_e32 v8, 0x3e1, v0
	s_mov_b32 s1, exec_lo
	s_wait_loadcnt 0x0
	s_barrier_signal -1
	s_barrier_wait -1
	global_inv scope:SCOPE_SE
	v_cmpx_eq_u32_e32 32, v8
	s_cbranch_execz .LBB92_66
; %bb.65:
	ds_store_2addr_b32 v7, v5, v4 offset1:16
	ds_store_2addr_b32 v7, v3, v2 offset0:32 offset1:48
	ds_store_b32 v7, v1 offset:256
.LBB92_66:
	s_wait_alu 0xfffe
	s_or_b32 exec_lo, exec_lo, s1
	s_delay_alu instid0(SALU_CYCLE_1)
	s_mov_b32 s1, exec_lo
	s_wait_loadcnt_dscnt 0x0
	s_barrier_signal -1
	s_barrier_wait -1
	global_inv scope:SCOPE_SE
	v_cmpx_gt_u32_e32 32, v0
	s_cbranch_execz .LBB92_74
; %bb.67:
	s_and_saveexec_b32 s0, vcc_lo
	s_cbranch_execnz .LBB92_81
; %bb.68:
	s_wait_alu 0xfffe
	s_or_b32 exec_lo, exec_lo, s0
	s_and_saveexec_b32 s0, vcc_lo
	s_cbranch_execnz .LBB92_82
.LBB92_69:
	s_wait_alu 0xfffe
	s_or_b32 exec_lo, exec_lo, s0
	s_and_saveexec_b32 s0, vcc_lo
	s_cbranch_execnz .LBB92_83
.LBB92_70:
	s_wait_alu 0xfffe
	s_or_b32 exec_lo, exec_lo, s0
	s_and_saveexec_b32 s0, vcc_lo
	s_cbranch_execnz .LBB92_84
.LBB92_71:
	s_wait_alu 0xfffe
	s_or_b32 exec_lo, exec_lo, s0
	s_and_saveexec_b32 s0, vcc_lo
	s_cbranch_execz .LBB92_73
.LBB92_72:
	ds_load_b32 v0, v6 offset:256
	s_wait_dscnt 0x0
	v_add_f32_e32 v1, v1, v0
.LBB92_73:
	s_wait_alu 0xfffe
	s_or_b32 exec_lo, exec_lo, s0
.LBB92_74:
	s_wait_alu 0xfffe
	s_or_b32 exec_lo, exec_lo, s1
	s_mov_b32 s1, 0
	s_wait_loadcnt 0x0
	s_barrier_signal -1
	s_barrier_wait -1
	global_inv scope:SCOPE_SE
	s_mov_b32 s0, exec_lo
	v_cmpx_eq_u32_e32 0, v8
	s_cbranch_execz .LBB92_76
; %bb.75:
	s_mul_i32 s2, s24, 0x50
	s_wait_kmcnt 0x0
	s_mul_i32 s4, s8, s16
	s_wait_alu 0xfffe
	s_ashr_i32 s3, s2, 31
	s_ashr_i32 s5, s4, 31
	s_wait_alu 0xfffe
	s_lshl_b64 s[2:3], s[2:3], 1
	s_lshl_b64 s[4:5], s[4:5], 1
	s_wait_alu 0xfffe
	s_add_nc_u64 s[2:3], s[14:15], s[2:3]
	v_lshlrev_b32_e32 v0, 1, v9
	s_mul_i32 s0, s30, 0xa0
	s_wait_alu 0xfffe
	s_add_nc_u64 s[2:3], s[2:3], s[4:5]
	;;#ASMSTART
	v_cvt_f16_f32 v5, v5;

	;;#ASMEND
	s_wait_alu 0xfffe
	s_add_nc_u64 s[0:1], s[2:3], s[0:1]
	global_store_b16 v0, v5, s[0:1]
	;;#ASMSTART
	v_cvt_f16_f32 v4, v4;

	;;#ASMEND
	global_store_b16 v0, v4, s[0:1] offset:32
	;;#ASMSTART
	v_cvt_f16_f32 v3, v3;

	;;#ASMEND
	global_store_b16 v0, v3, s[0:1] offset:64
	;; [unrolled: 5-line block ×4, first 2 shown]
.LBB92_76:
	s_endpgm
.LBB92_77:
	ds_load_b32 v8, v6
	s_wait_dscnt 0x0
	v_add_f32_e32 v5, v5, v8
	s_wait_alu 0xfffe
	s_or_b32 exec_lo, exec_lo, s0
	s_and_saveexec_b32 s0, vcc_lo
	s_cbranch_execz .LBB92_59
.LBB92_78:
	ds_load_b32 v8, v6 offset:64
	s_wait_dscnt 0x0
	v_add_f32_e32 v4, v4, v8
	s_wait_alu 0xfffe
	s_or_b32 exec_lo, exec_lo, s0
	s_and_saveexec_b32 s0, vcc_lo
	s_cbranch_execz .LBB92_60
.LBB92_79:
	ds_load_b32 v8, v6 offset:128
	s_wait_dscnt 0x0
	v_add_f32_e32 v3, v3, v8
	s_wait_alu 0xfffe
	s_or_b32 exec_lo, exec_lo, s0
	s_and_saveexec_b32 s0, vcc_lo
	s_cbranch_execz .LBB92_61
.LBB92_80:
	ds_load_b32 v8, v6 offset:192
	s_wait_dscnt 0x0
	v_add_f32_e32 v2, v2, v8
	s_wait_alu 0xfffe
	s_or_b32 exec_lo, exec_lo, s0
	s_and_saveexec_b32 s0, vcc_lo
	s_cbranch_execnz .LBB92_62
	s_branch .LBB92_63
.LBB92_81:
	ds_load_b32 v0, v6
	s_wait_dscnt 0x0
	v_add_f32_e32 v5, v5, v0
	s_wait_alu 0xfffe
	s_or_b32 exec_lo, exec_lo, s0
	s_and_saveexec_b32 s0, vcc_lo
	s_cbranch_execz .LBB92_69
.LBB92_82:
	ds_load_b32 v0, v6 offset:64
	s_wait_dscnt 0x0
	v_add_f32_e32 v4, v4, v0
	s_wait_alu 0xfffe
	s_or_b32 exec_lo, exec_lo, s0
	s_and_saveexec_b32 s0, vcc_lo
	s_cbranch_execz .LBB92_70
.LBB92_83:
	ds_load_b32 v0, v6 offset:128
	s_wait_dscnt 0x0
	v_add_f32_e32 v3, v3, v0
	s_wait_alu 0xfffe
	s_or_b32 exec_lo, exec_lo, s0
	s_and_saveexec_b32 s0, vcc_lo
	s_cbranch_execz .LBB92_71
.LBB92_84:
	ds_load_b32 v0, v6 offset:192
	s_wait_dscnt 0x0
	v_add_f32_e32 v2, v2, v0
	s_wait_alu 0xfffe
	s_or_b32 exec_lo, exec_lo, s0
	s_and_saveexec_b32 s0, vcc_lo
	s_cbranch_execnz .LBB92_72
	s_branch .LBB92_73
	.section	.rodata,"a",@progbits
	.p2align	6, 0x0
	.amdhsa_kernel _ZN4vllm25paged_attention_v2_kernelIttLi80ELi16ELi128ELNS_18Fp8KVCacheDataTypeE0ELb1ELi512EEEvPfS2_PT_PKS3_PKT0_S9_ifPKiSB_iPKfiiiSD_SD_iiiii
		.amdhsa_group_segment_fixed_size 192
		.amdhsa_private_segment_fixed_size 0
		.amdhsa_kernarg_size 400
		.amdhsa_user_sgpr_count 2
		.amdhsa_user_sgpr_dispatch_ptr 0
		.amdhsa_user_sgpr_queue_ptr 0
		.amdhsa_user_sgpr_kernarg_segment_ptr 1
		.amdhsa_user_sgpr_dispatch_id 0
		.amdhsa_user_sgpr_private_segment_size 0
		.amdhsa_wavefront_size32 1
		.amdhsa_uses_dynamic_stack 0
		.amdhsa_enable_private_segment 0
		.amdhsa_system_sgpr_workgroup_id_x 1
		.amdhsa_system_sgpr_workgroup_id_y 1
		.amdhsa_system_sgpr_workgroup_id_z 1
		.amdhsa_system_sgpr_workgroup_info 0
		.amdhsa_system_vgpr_workitem_id 0
		.amdhsa_next_free_vgpr 93
		.amdhsa_next_free_sgpr 42
		.amdhsa_reserve_vcc 1
		.amdhsa_float_round_mode_32 0
		.amdhsa_float_round_mode_16_64 0
		.amdhsa_float_denorm_mode_32 3
		.amdhsa_float_denorm_mode_16_64 3
		.amdhsa_fp16_overflow 0
		.amdhsa_workgroup_processor_mode 1
		.amdhsa_memory_ordered 1
		.amdhsa_forward_progress 1
		.amdhsa_inst_pref_size 57
		.amdhsa_round_robin_scheduling 0
		.amdhsa_exception_fp_ieee_invalid_op 0
		.amdhsa_exception_fp_denorm_src 0
		.amdhsa_exception_fp_ieee_div_zero 0
		.amdhsa_exception_fp_ieee_overflow 0
		.amdhsa_exception_fp_ieee_underflow 0
		.amdhsa_exception_fp_ieee_inexact 0
		.amdhsa_exception_int_div_zero 0
	.end_amdhsa_kernel
	.section	.text._ZN4vllm25paged_attention_v2_kernelIttLi80ELi16ELi128ELNS_18Fp8KVCacheDataTypeE0ELb1ELi512EEEvPfS2_PT_PKS3_PKT0_S9_ifPKiSB_iPKfiiiSD_SD_iiiii,"axG",@progbits,_ZN4vllm25paged_attention_v2_kernelIttLi80ELi16ELi128ELNS_18Fp8KVCacheDataTypeE0ELb1ELi512EEEvPfS2_PT_PKS3_PKT0_S9_ifPKiSB_iPKfiiiSD_SD_iiiii,comdat
.Lfunc_end92:
	.size	_ZN4vllm25paged_attention_v2_kernelIttLi80ELi16ELi128ELNS_18Fp8KVCacheDataTypeE0ELb1ELi512EEEvPfS2_PT_PKS3_PKT0_S9_ifPKiSB_iPKfiiiSD_SD_iiiii, .Lfunc_end92-_ZN4vllm25paged_attention_v2_kernelIttLi80ELi16ELi128ELNS_18Fp8KVCacheDataTypeE0ELb1ELi512EEEvPfS2_PT_PKS3_PKT0_S9_ifPKiSB_iPKfiiiSD_SD_iiiii
                                        ; -- End function
	.set _ZN4vllm25paged_attention_v2_kernelIttLi80ELi16ELi128ELNS_18Fp8KVCacheDataTypeE0ELb1ELi512EEEvPfS2_PT_PKS3_PKT0_S9_ifPKiSB_iPKfiiiSD_SD_iiiii.num_vgpr, 93
	.set _ZN4vllm25paged_attention_v2_kernelIttLi80ELi16ELi128ELNS_18Fp8KVCacheDataTypeE0ELb1ELi512EEEvPfS2_PT_PKS3_PKT0_S9_ifPKiSB_iPKfiiiSD_SD_iiiii.num_agpr, 0
	.set _ZN4vllm25paged_attention_v2_kernelIttLi80ELi16ELi128ELNS_18Fp8KVCacheDataTypeE0ELb1ELi512EEEvPfS2_PT_PKS3_PKT0_S9_ifPKiSB_iPKfiiiSD_SD_iiiii.numbered_sgpr, 42
	.set _ZN4vllm25paged_attention_v2_kernelIttLi80ELi16ELi128ELNS_18Fp8KVCacheDataTypeE0ELb1ELi512EEEvPfS2_PT_PKS3_PKT0_S9_ifPKiSB_iPKfiiiSD_SD_iiiii.num_named_barrier, 0
	.set _ZN4vllm25paged_attention_v2_kernelIttLi80ELi16ELi128ELNS_18Fp8KVCacheDataTypeE0ELb1ELi512EEEvPfS2_PT_PKS3_PKT0_S9_ifPKiSB_iPKfiiiSD_SD_iiiii.private_seg_size, 0
	.set _ZN4vllm25paged_attention_v2_kernelIttLi80ELi16ELi128ELNS_18Fp8KVCacheDataTypeE0ELb1ELi512EEEvPfS2_PT_PKS3_PKT0_S9_ifPKiSB_iPKfiiiSD_SD_iiiii.uses_vcc, 1
	.set _ZN4vllm25paged_attention_v2_kernelIttLi80ELi16ELi128ELNS_18Fp8KVCacheDataTypeE0ELb1ELi512EEEvPfS2_PT_PKS3_PKT0_S9_ifPKiSB_iPKfiiiSD_SD_iiiii.uses_flat_scratch, 0
	.set _ZN4vllm25paged_attention_v2_kernelIttLi80ELi16ELi128ELNS_18Fp8KVCacheDataTypeE0ELb1ELi512EEEvPfS2_PT_PKS3_PKT0_S9_ifPKiSB_iPKfiiiSD_SD_iiiii.has_dyn_sized_stack, 0
	.set _ZN4vllm25paged_attention_v2_kernelIttLi80ELi16ELi128ELNS_18Fp8KVCacheDataTypeE0ELb1ELi512EEEvPfS2_PT_PKS3_PKT0_S9_ifPKiSB_iPKfiiiSD_SD_iiiii.has_recursion, 0
	.set _ZN4vllm25paged_attention_v2_kernelIttLi80ELi16ELi128ELNS_18Fp8KVCacheDataTypeE0ELb1ELi512EEEvPfS2_PT_PKS3_PKT0_S9_ifPKiSB_iPKfiiiSD_SD_iiiii.has_indirect_call, 0
	.section	.AMDGPU.csdata,"",@progbits
; Kernel info:
; codeLenInByte = 7280
; TotalNumSgprs: 44
; NumVgprs: 93
; ScratchSize: 0
; MemoryBound: 0
; FloatMode: 240
; IeeeMode: 1
; LDSByteSize: 192 bytes/workgroup (compile time only)
; SGPRBlocks: 0
; VGPRBlocks: 11
; NumSGPRsForWavesPerEU: 44
; NumVGPRsForWavesPerEU: 93
; Occupancy: 16
; WaveLimiterHint : 1
; COMPUTE_PGM_RSRC2:SCRATCH_EN: 0
; COMPUTE_PGM_RSRC2:USER_SGPR: 2
; COMPUTE_PGM_RSRC2:TRAP_HANDLER: 0
; COMPUTE_PGM_RSRC2:TGID_X_EN: 1
; COMPUTE_PGM_RSRC2:TGID_Y_EN: 1
; COMPUTE_PGM_RSRC2:TGID_Z_EN: 1
; COMPUTE_PGM_RSRC2:TIDIG_COMP_CNT: 0
	.section	.text._ZN4vllm25paged_attention_v2_kernelIttLi96ELi16ELi128ELNS_18Fp8KVCacheDataTypeE0ELb1ELi512EEEvPfS2_PT_PKS3_PKT0_S9_ifPKiSB_iPKfiiiSD_SD_iiiii,"axG",@progbits,_ZN4vllm25paged_attention_v2_kernelIttLi96ELi16ELi128ELNS_18Fp8KVCacheDataTypeE0ELb1ELi512EEEvPfS2_PT_PKS3_PKT0_S9_ifPKiSB_iPKfiiiSD_SD_iiiii,comdat
	.protected	_ZN4vllm25paged_attention_v2_kernelIttLi96ELi16ELi128ELNS_18Fp8KVCacheDataTypeE0ELb1ELi512EEEvPfS2_PT_PKS3_PKT0_S9_ifPKiSB_iPKfiiiSD_SD_iiiii ; -- Begin function _ZN4vllm25paged_attention_v2_kernelIttLi96ELi16ELi128ELNS_18Fp8KVCacheDataTypeE0ELb1ELi512EEEvPfS2_PT_PKS3_PKT0_S9_ifPKiSB_iPKfiiiSD_SD_iiiii
	.globl	_ZN4vllm25paged_attention_v2_kernelIttLi96ELi16ELi128ELNS_18Fp8KVCacheDataTypeE0ELb1ELi512EEEvPfS2_PT_PKS3_PKT0_S9_ifPKiSB_iPKfiiiSD_SD_iiiii
	.p2align	8
	.type	_ZN4vllm25paged_attention_v2_kernelIttLi96ELi16ELi128ELNS_18Fp8KVCacheDataTypeE0ELb1ELi512EEEvPfS2_PT_PKS3_PKT0_S9_ifPKiSB_iPKfiiiSD_SD_iiiii,@function
_ZN4vllm25paged_attention_v2_kernelIttLi96ELi16ELi128ELNS_18Fp8KVCacheDataTypeE0ELb1ELi512EEEvPfS2_PT_PKS3_PKT0_S9_ifPKiSB_iPKfiiiSD_SD_iiiii: ; @_ZN4vllm25paged_attention_v2_kernelIttLi96ELi16ELi128ELNS_18Fp8KVCacheDataTypeE0ELb1ELi512EEEvPfS2_PT_PKS3_PKT0_S9_ifPKiSB_iPKfiiiSD_SD_iiiii
; %bb.0:
	s_load_b64 s[2:3], s[0:1], 0x40
	s_and_b32 s22, ttmp7, 0xffff
	s_lshr_b32 s30, ttmp7, 16
	s_lshl_b32 s4, s22, 2
	s_lshl_b32 s33, s30, 9
	s_wait_kmcnt 0x0
	s_load_b32 s31, s[2:3], s4 offset:0x0
	s_wait_kmcnt 0x0
	s_cmp_ge_i32 s33, s31
	s_cbranch_scc1 .LBB93_80
; %bb.1:
	s_clause 0x1
	s_load_b32 s23, s[0:1], 0x90
	s_load_b64 s[6:7], s[0:1], 0x30
	s_wait_kmcnt 0x0
	s_abs_i32 s5, s23
	s_abs_i32 s2, s6
	s_delay_alu instid0(SALU_CYCLE_1) | instskip(SKIP_1) | instid1(SALU_CYCLE_2)
	s_cvt_f32_u32 s3, s2
	s_sub_co_i32 s4, 0, s2
	v_rcp_iflag_f32_e32 v1, s3
	s_delay_alu instid0(TRANS32_DEP_1) | instskip(SKIP_2) | instid1(SALU_CYCLE_2)
	v_readfirstlane_b32 s3, v1
	s_mul_f32 s3, s3, 0x4f7ffffe
	s_wait_alu 0xfffe
	s_cvt_u32_f32 s3, s3
	s_wait_alu 0xfffe
	s_delay_alu instid0(SALU_CYCLE_2) | instskip(NEXT) | instid1(SALU_CYCLE_1)
	s_mul_i32 s4, s4, s3
	s_mul_hi_u32 s4, s3, s4
	s_delay_alu instid0(SALU_CYCLE_1)
	s_add_co_i32 s3, s3, s4
	s_xor_b32 s4, s23, s6
	s_wait_alu 0xfffe
	s_mul_hi_u32 s3, s5, s3
	s_ashr_i32 s4, s4, 31
	s_wait_alu 0xfffe
	s_mul_i32 s8, s3, s2
	s_delay_alu instid0(SALU_CYCLE_1)
	s_sub_co_i32 s5, s5, s8
	s_add_co_i32 s8, s3, 1
	s_sub_co_i32 s9, s5, s2
	s_cmp_ge_u32 s5, s2
	s_cselect_b32 s3, s8, s3
	s_cselect_b32 s5, s9, s5
	s_wait_alu 0xfffe
	s_add_co_i32 s8, s3, 1
	s_cmp_ge_u32 s5, s2
	s_cselect_b32 s2, s8, s3
	s_load_b64 s[8:9], s[0:1], 0x50
	s_xor_b32 s2, s2, s4
	s_mov_b32 s3, 0
	s_wait_alu 0xfffe
	s_sub_co_i32 s10, s2, s4
	s_mov_b32 s15, s3
	s_abs_i32 s18, s10
	s_delay_alu instid0(SALU_CYCLE_1) | instskip(SKIP_1) | instid1(SALU_CYCLE_2)
	s_cvt_f32_u32 s2, s18
	s_wait_alu 0xfffe
	v_rcp_iflag_f32_e32 v1, s2
	s_delay_alu instid0(TRANS32_DEP_1) | instskip(SKIP_2) | instid1(SALU_CYCLE_2)
	v_readfirstlane_b32 s2, v1
	s_mul_f32 s2, s2, 0x4f7ffffe
	s_wait_alu 0xfffe
	s_cvt_u32_f32 s4, s2
	s_sub_co_i32 s2, 0, s18
	s_wait_alu 0xfffe
	s_delay_alu instid0(SALU_CYCLE_1)
	s_mul_i32 s2, s2, s4
	s_wait_alu 0xfffe
	s_mul_hi_u32 s5, s4, s2
	s_abs_i32 s2, ttmp9
	s_add_co_i32 s4, s4, s5
	s_mov_b32 s5, s3
	s_wait_kmcnt 0x0
	s_cmp_eq_u64 s[8:9], 0
	s_cbranch_scc1 .LBB93_3
; %bb.2:
	s_mov_b32 s12, ttmp9
	s_ashr_i32 s13, ttmp9, 31
	s_delay_alu instid0(SALU_CYCLE_1) | instskip(NEXT) | instid1(SALU_CYCLE_1)
	s_lshl_b64 s[12:13], s[12:13], 2
	s_add_nc_u64 s[8:9], s[8:9], s[12:13]
	s_load_b32 s15, s[8:9], 0x0
.LBB93_3:
	s_load_b96 s[12:14], s[0:1], 0x58
	v_lshrrev_b32_e32 v9, 1, v0
	v_and_b32_e32 v10, 1, v0
	v_lshlrev_b32_e32 v14, 3, v0
	s_mul_u64 s[4:5], s[2:3], s[4:5]
	s_ashr_i32 s3, ttmp9, 31
	s_ashr_i32 s4, s10, 31
	s_mul_i32 s16, ttmp9, 0x60
	s_mov_b32 s8, exec_lo
	v_cmpx_gt_u32_e32 24, v0
	s_cbranch_execz .LBB93_5
; %bb.4:
	s_load_b64 s[10:11], s[0:1], 0x18
	s_wait_kmcnt 0x0
	s_mul_i32 s20, s12, s22
	s_ashr_i32 s17, s16, 31
	s_ashr_i32 s21, s20, 31
	v_lshlrev_b32_e32 v3, 3, v9
	s_lshl_b64 s[20:21], s[20:21], 1
	s_delay_alu instid0(VALU_DEP_1) | instskip(SKIP_2) | instid1(SALU_CYCLE_1)
	v_mad_u32_u24 v3, 0x60, v10, v3
	s_add_nc_u64 s[10:11], s[10:11], s[20:21]
	s_lshl_b64 s[20:21], s[16:17], 1
	s_add_nc_u64 s[10:11], s[10:11], s[20:21]
	global_load_b64 v[1:2], v14, s[10:11]
	s_wait_loadcnt 0x0
	ds_store_b64 v3, v[1:2]
.LBB93_5:
	s_or_b32 exec_lo, exec_lo, s8
	s_clause 0x1
	s_load_b128 s[8:11], s[0:1], 0x78
	s_load_b32 s20, s[0:1], 0x88
	s_wait_kmcnt 0x0
	s_mul_i32 s12, s5, s18
	s_xor_b32 s3, s3, s4
	s_sub_co_i32 s2, s2, s12
	s_add_co_i32 s4, s5, 1
	s_wait_alu 0xfffe
	s_sub_co_i32 s12, s2, s18
	s_cmp_ge_u32 s2, s18
	s_mov_b32 s24, -1
	s_cselect_b32 s4, s4, s5
	s_cselect_b32 s2, s12, s2
	s_add_co_i32 s5, s4, 1
	s_wait_alu 0xfffe
	s_cmp_ge_u32 s2, s18
	s_wait_dscnt 0x0
	s_cselect_b32 s2, s5, s4
	s_add_co_i32 s21, s31, -1
	s_wait_alu 0xfffe
	s_xor_b32 s2, s2, s3
	s_barrier_signal -1
	s_wait_alu 0xfffe
	s_sub_co_i32 s26, s2, s3
	s_barrier_wait -1
	s_abs_i32 s12, s11
	global_inv scope:SCOPE_SE
	s_cvt_f32_u32 s4, s12
                                        ; implicit-def: $sgpr17
	s_delay_alu instid0(SALU_CYCLE_3) | instskip(NEXT) | instid1(TRANS32_DEP_1)
	v_rcp_iflag_f32_e32 v1, s4
	v_readfirstlane_b32 s4, v1
	s_mul_f32 s2, s4, 0x4f7ffffe
	s_wait_alu 0xfffe
	s_delay_alu instid0(SALU_CYCLE_2) | instskip(SKIP_2) | instid1(SALU_CYCLE_1)
	s_cvt_u32_f32 s4, s2
	s_sub_co_i32 s2, 0, s12
	s_wait_alu 0xfffe
	s_mul_i32 s3, s2, s4
	s_abs_i32 s2, s21
	s_wait_alu 0xfffe
	s_mul_hi_u32 s5, s4, s3
	s_mov_b32 s3, 0
	s_wait_alu 0xfffe
	s_add_co_i32 s18, s4, s5
	s_cmp_lt_i32 s20, 0
	s_mov_b32 s19, s3
	s_cbranch_scc0 .LBB93_7
; %bb.6:
	s_mul_i32 s4, s8, s6
	s_mov_b32 s24, s3
	s_wait_alu 0xfffe
	s_add_co_i32 s4, s26, s4
	s_wait_alu 0xfffe
	s_mul_i32 s4, s4, s20
	s_wait_alu 0xfffe
	s_sub_co_i32 s17, 1, s4
.LBB93_7:
	s_mul_u64 s[4:5], s[2:3], s[18:19]
	s_ashr_i32 s3, s21, 31
	s_and_not1_b32 vcc_lo, exec_lo, s24
	s_ashr_i32 s11, s11, 31
	s_cbranch_vccnz .LBB93_9
; %bb.8:
	s_mul_i32 s4, s23, s8
	s_wait_alu 0xfffe
	s_add_co_i32 s4, s4, ttmp9
	s_wait_alu 0xfffe
	s_mul_i32 s4, s4, s20
	s_wait_alu 0xfffe
	s_add_co_i32 s17, s4, 1
.LBB93_9:
	s_clause 0x2
	s_load_b32 s4, s[0:1], 0x48
	s_load_b64 s[20:21], s[0:1], 0x38
	s_load_b32 s8, s[0:1], 0x98
	s_mul_i32 s6, s5, s12
	s_xor_b32 s3, s3, s11
	s_sub_co_i32 s2, s2, s6
	s_add_co_i32 s19, s5, 1
	v_lshrrev_b32_e32 v11, 5, v0
	v_mbcnt_lo_u32_b32 v17, -1, 0
	s_mul_i32 s26, s26, s14
	s_delay_alu instid0(VALU_DEP_2)
	v_lshl_add_u32 v12, v11, 4, s33
	s_wait_kmcnt 0x0
	s_mul_i32 s24, s4, s22
	s_wait_alu 0xfffe
	s_sub_co_i32 s4, s2, s12
	s_ashr_i32 s25, s24, 31
	s_cmp_ge_u32 s2, s12
	s_cselect_b32 s5, s19, s5
	s_wait_alu 0xfffe
	s_cselect_b32 s2, s4, s2
	s_add_co_i32 s4, s5, 1
	s_wait_alu 0xfffe
	s_cmp_ge_u32 s2, s12
	s_cselect_b32 s2, s4, s5
	s_add_co_i32 s4, s31, 15
	s_lshl_b32 s36, s30, 5
	s_wait_alu 0xfffe
	s_ashr_i32 s5, s4, 31
	v_or_b32_e32 v13, s36, v11
	s_wait_alu 0xfffe
	s_lshr_b32 s5, s5, 28
	v_mov_b32_e32 v16, 0xff7fffff
	s_wait_alu 0xfffe
	s_add_co_i32 s4, s4, s5
	s_add_co_i32 s5, s36, 32
	s_wait_alu 0xfffe
	s_ashr_i32 s34, s4, 4
	s_xor_b32 s4, s2, s3
	s_min_i32 s19, s5, s34
	v_lshlrev_b32_e32 v15, 2, v13
	v_cmp_gt_i32_e64 s2, s19, v13
	s_wait_alu 0xfffe
	s_sub_co_i32 s35, s4, s3
	s_and_saveexec_b32 s6, s2
	s_cbranch_execz .LBB93_21
; %bb.10:
	s_ashr_i32 s27, s26, 31
	s_sub_co_i32 s14, s35, s9
	s_lshl_b64 s[4:5], s[26:27], 1
	s_cmp_neq_f32 s15, 0
	s_load_b64 s[38:39], s[0:1], 0x20
	v_bfe_u32 v18, v0, 1, 4
	v_dual_mov_b32 v25, 0xff7fffff :: v_dual_and_b32 v2, 8, v14
	s_cselect_b32 vcc_lo, -1, 0
	s_abs_i32 s27, s10
	s_delay_alu instid0(VALU_DEP_2)
	v_dual_mov_b32 v16, 0xff7fffff :: v_dual_lshlrev_b32 v3, 4, v18
	s_cvt_f32_u32 s3, s27
	v_lshlrev_b32_e32 v5, 2, v18
	s_lshl_b64 s[40:41], s[24:25], 2
	v_subrev_nc_u32_e32 v4, s31, v18
	s_wait_alu 0xfffe
	v_rcp_iflag_f32_e32 v1, s3
	s_add_nc_u64 s[40:41], s[20:21], s[40:41]
	v_lshl_or_b32 v5, v11, 6, v5
	s_sub_co_i32 s37, 0, s27
	v_cmp_eq_u32_e64 s3, 0, v10
	v_mul_u32_u24_e32 v19, 0x60, v10
	v_lshl_add_u32 v22, v11, 4, s33
	v_add_nc_u32_e32 v23, 1, v4
	s_wait_kmcnt 0x0
	s_add_nc_u64 s[4:5], s[38:39], s[4:5]
	v_dual_mov_b32 v27, v13 :: v_dual_add_nc_u32 v24, 0xe0, v5
	v_readfirstlane_b32 s29, v1
	s_wait_alu 0xfffe
	v_add_co_u32 v1, s4, s4, v3
	s_wait_alu 0xf1ff
	v_add_co_ci_u32_e64 v3, null, s5, 0, s4
	s_mul_f32 s29, s29, 0x4f7ffffe
	v_add_co_u32 v20, s4, v1, v2
	s_wait_alu 0xf1ff
	v_add_co_ci_u32_e64 v21, null, 0, v3, s4
	s_cvt_u32_f32 s5, s29
	v_add_co_u32 v1, s4, s40, v15
	s_wait_alu 0xf1ff
	v_add_co_ci_u32_e64 v2, null, s41, 0, s4
	s_wait_alu 0xfffe
	s_mul_i32 s37, s37, s5
	v_xor_b32_e32 v26, 1, v17
	s_wait_alu 0xfffe
	s_mul_hi_u32 s4, s5, s37
	s_mov_b32 s28, 0
	s_mov_b32 s29, s13
	s_wait_alu 0xfffe
	s_add_co_i32 s37, s5, s4
	s_branch .LBB93_13
.LBB93_11:                              ;   in Loop: Header=BB93_13 Depth=1
	s_or_b32 exec_lo, exec_lo, s38
.LBB93_12:                              ;   in Loop: Header=BB93_13 Depth=1
	s_wait_alu 0xfffe
	s_or_b32 exec_lo, exec_lo, s5
	v_add_nc_u32_e32 v27, 4, v27
	v_add_co_u32 v1, s5, v1, 16
	s_wait_alu 0xf1ff
	v_add_co_ci_u32_e64 v2, null, 0, v2, s5
	s_delay_alu instid0(VALU_DEP_3)
	v_cmp_le_i32_e64 s4, s19, v27
	v_add_nc_u32_e32 v22, 64, v22
	v_add_nc_u32_e32 v24, 0x100, v24
	s_or_b32 s28, s4, s28
	s_wait_alu 0xfffe
	s_and_not1_b32 exec_lo, exec_lo, s28
	s_cbranch_execz .LBB93_20
.LBB93_13:                              ; =>This Inner Loop Header: Depth=1
	v_sub_nc_u32_e32 v3, 0, v22
	s_delay_alu instid0(VALU_DEP_1) | instskip(SKIP_1) | instid1(VALU_DEP_1)
	v_max_i32_e32 v3, v22, v3
	s_wait_dscnt 0x0
	v_mul_hi_u32 v4, v3, s18
	s_delay_alu instid0(VALU_DEP_1) | instskip(NEXT) | instid1(VALU_DEP_1)
	v_mul_lo_u32 v5, v4, s12
	v_sub_nc_u32_e32 v3, v3, v5
	v_add_nc_u32_e32 v5, 1, v4
	s_delay_alu instid0(VALU_DEP_2) | instskip(SKIP_2) | instid1(VALU_DEP_1)
	v_subrev_nc_u32_e32 v6, s12, v3
	v_cmp_le_u32_e64 s4, s12, v3
	s_wait_alu 0xf1ff
	v_cndmask_b32_e64 v4, v4, v5, s4
	s_delay_alu instid0(VALU_DEP_3) | instskip(SKIP_1) | instid1(VALU_DEP_3)
	v_cndmask_b32_e64 v3, v3, v6, s4
	v_ashrrev_i32_e32 v5, 31, v22
	v_add_nc_u32_e32 v6, 1, v4
	s_delay_alu instid0(VALU_DEP_3) | instskip(NEXT) | instid1(VALU_DEP_3)
	v_cmp_le_u32_e64 s4, s12, v3
	v_xor_b32_e32 v5, s11, v5
	s_wait_alu 0xf1ff
	s_delay_alu instid0(VALU_DEP_2) | instskip(NEXT) | instid1(VALU_DEP_1)
	v_cndmask_b32_e64 v3, v4, v6, s4
	v_xor_b32_e32 v3, v3, v5
	s_delay_alu instid0(VALU_DEP_1) | instskip(NEXT) | instid1(VALU_DEP_1)
	v_sub_nc_u32_e32 v3, v3, v5
	v_add_nc_u32_e32 v4, s17, v3
	v_cmp_ge_i32_e64 s5, s14, v3
	s_delay_alu instid0(VALU_DEP_2) | instskip(NEXT) | instid1(VALU_DEP_1)
	v_sub_nc_u32_e32 v5, 0, v4
	v_max_i32_e32 v5, v4, v5
	v_ashrrev_i32_e32 v4, 31, v4
	s_wait_alu 0xfffe
	s_delay_alu instid0(VALU_DEP_2) | instskip(NEXT) | instid1(VALU_DEP_1)
	v_mul_hi_u32 v6, v5, s37
	v_mul_lo_u32 v6, v6, s27
	s_delay_alu instid0(VALU_DEP_1) | instskip(NEXT) | instid1(VALU_DEP_1)
	v_sub_nc_u32_e32 v5, v5, v6
	v_subrev_nc_u32_e32 v6, s27, v5
	v_cmp_le_u32_e64 s4, s27, v5
	s_wait_alu 0xf1ff
	s_delay_alu instid0(VALU_DEP_1) | instskip(NEXT) | instid1(VALU_DEP_1)
	v_cndmask_b32_e64 v5, v5, v6, s4
	v_subrev_nc_u32_e32 v6, s27, v5
	v_cmp_le_u32_e64 s4, s27, v5
	s_wait_alu 0xf1ff
	s_delay_alu instid0(VALU_DEP_1) | instskip(NEXT) | instid1(VALU_DEP_1)
	v_cndmask_b32_e64 v5, v5, v6, s4
	v_xor_b32_e32 v5, v5, v4
	s_delay_alu instid0(VALU_DEP_1) | instskip(NEXT) | instid1(VALU_DEP_1)
	v_sub_nc_u32_e32 v4, v5, v4
	v_cmp_ne_u32_e64 s4, 0, v4
	s_and_b32 s4, s4, s5
	s_wait_alu 0xfffe
	s_and_saveexec_b32 s5, s4
	s_wait_alu 0xfffe
	s_xor_b32 s4, exec_lo, s5
	s_cbranch_execz .LBB93_17
; %bb.14:                               ;   in Loop: Header=BB93_13 Depth=1
	s_and_saveexec_b32 s5, s3
; %bb.15:                               ;   in Loop: Header=BB93_13 Depth=1
	ds_store_b32 v24, v25
; %bb.16:                               ;   in Loop: Header=BB93_13 Depth=1
	s_wait_alu 0xfffe
	s_or_b32 exec_lo, exec_lo, s5
.LBB93_17:                              ;   in Loop: Header=BB93_13 Depth=1
	s_wait_alu 0xfffe
	s_and_not1_saveexec_b32 s5, s4
	s_cbranch_execz .LBB93_12
; %bb.18:                               ;   in Loop: Header=BB93_13 Depth=1
	global_load_b32 v3, v[1:2], off
	s_wait_loadcnt 0x0
	v_mad_co_i64_i32 v[3:4], null, v3, s29, 0
	s_delay_alu instid0(VALU_DEP_1) | instskip(NEXT) | instid1(VALU_DEP_1)
	v_lshlrev_b64_e32 v[3:4], 1, v[3:4]
	v_add_co_u32 v3, s4, v20, v3
	s_wait_alu 0xf1ff
	s_delay_alu instid0(VALU_DEP_2)
	v_add_co_ci_u32_e64 v4, null, v21, v4, s4
	v_cmp_gt_i32_e64 s4, 32, v26
	s_clause 0xb
	global_load_b64 v[29:30], v[3:4], off
	global_load_b64 v[36:37], v[3:4], off offset:256
	global_load_b64 v[38:39], v[3:4], off offset:512
	;; [unrolled: 1-line block ×11, first 2 shown]
	ds_load_b64 v[31:32], v19
	s_wait_dscnt 0x0
	v_and_b32_e32 v28, 0xffff, v31
	v_lshrrev_b32_e32 v31, 16, v31
	v_lshrrev_b32_e32 v34, 16, v32
	v_and_b32_e32 v32, 0xffff, v32
	;;#ASMSTART
	v_cvt_f32_f16 v28, v28;
	;;#ASMEND
	s_wait_loadcnt 0xb
	v_and_b32_e32 v33, 0xffff, v29
	v_lshrrev_b32_e32 v35, 16, v29
	;;#ASMSTART
	v_cvt_f32_f16 v29, v31;
	;;#ASMEND
	v_lshrrev_b32_e32 v52, 16, v30
	;;#ASMSTART
	v_cvt_f32_f16 v33, v33;
	;;#ASMEND
	v_and_b32_e32 v53, 0xffff, v30
	;;#ASMSTART
	v_cvt_f32_f16 v30, v35;
	;;#ASMEND
	;;#ASMSTART
	v_cvt_f32_f16 v31, v32;
	;;#ASMEND
	;; [unrolled: 3-line block ×5, first 2 shown]
	ds_load_b64 v[52:53], v19 offset:8
	s_wait_loadcnt 0xa
	v_lshrrev_b32_e32 v55, 16, v36
	v_and_b32_e32 v36, 0xffff, v36
	v_lshrrev_b32_e32 v59, 16, v37
	s_wait_loadcnt 0x9
	v_lshrrev_b32_e32 v61, 16, v38
	v_lshrrev_b32_e32 v65, 16, v39
	v_and_b32_e32 v64, 0xffff, v39
	s_wait_loadcnt 0x8
	v_lshrrev_b32_e32 v67, 16, v40
	v_lshrrev_b32_e32 v71, 16, v41
	v_and_b32_e32 v70, 0xffff, v41
	s_wait_loadcnt 0x7
	v_lshrrev_b32_e32 v73, 16, v42
	v_and_b32_e32 v72, 0xffff, v42
	v_lshrrev_b32_e32 v77, 16, v43
	v_and_b32_e32 v76, 0xffff, v43
	s_wait_loadcnt 0x6
	v_lshrrev_b32_e32 v79, 16, v44
	v_and_b32_e32 v78, 0xffff, v44
	;; [unrolled: 5-line block ×3, first 2 shown]
	s_wait_dscnt 0x0
	v_and_b32_e32 v54, 0xffff, v52
	v_lshrrev_b32_e32 v56, 16, v52
	v_lshrrev_b32_e32 v57, 16, v53
	v_and_b32_e32 v58, 0xffff, v53
	;;#ASMSTART
	v_cvt_f32_f16 v52, v54;
	;;#ASMEND
	;;#ASMSTART
	v_cvt_f32_f16 v53, v56;
	;;#ASMEND
	;; [unrolled: 3-line block ×5, first 2 shown]
	v_and_b32_e32 v37, 0xffff, v37
	;;#ASMSTART
	v_cvt_f32_f16 v57, v57;
	;;#ASMEND
	;;#ASMSTART
	v_cvt_f32_f16 v58, v37;
	;;#ASMEND
	;; [unrolled: 3-line block ×3, first 2 shown]
	ds_load_b64 v[36:37], v19 offset:16
	v_mul_f32_e32 v53, v53, v55
	v_dual_mul_f32 v55, v57, v59 :: v_dual_mul_f32 v52, v52, v54
	v_mul_f32_e32 v54, v56, v58
	v_lshrrev_b32_e32 v89, 16, v47
	s_delay_alu instid0(VALU_DEP_4) | instskip(NEXT) | instid1(VALU_DEP_4)
	v_fmac_f32_e32 v53, v29, v30
	v_dual_fmac_f32 v55, v32, v35 :: v_dual_and_b32 v60, 0xffff, v38
	s_delay_alu instid0(VALU_DEP_4)
	v_fmac_f32_e32 v54, v31, v34
	v_fmac_f32_e32 v52, v28, v33
	v_and_b32_e32 v88, 0xffff, v47
	s_wait_loadcnt 0x4
	v_lshrrev_b32_e32 v91, 16, v48
	v_and_b32_e32 v90, 0xffff, v48
	v_lshrrev_b32_e32 v95, 16, v49
	v_and_b32_e32 v94, 0xffff, v49
	s_wait_loadcnt 0x3
	v_lshrrev_b32_e32 v97, 16, v50
	v_and_b32_e32 v96, 0xffff, v50
	v_lshrrev_b32_e32 v101, 16, v51
	v_and_b32_e32 v100, 0xffff, v51
	s_wait_dscnt 0x0
	v_and_b32_e32 v38, 0xffff, v36
	v_lshrrev_b32_e32 v36, 16, v36
	v_lshrrev_b32_e32 v63, 16, v37
	v_and_b32_e32 v37, 0xffff, v37
	;;#ASMSTART
	v_cvt_f32_f16 v38, v38;
	;;#ASMEND
	;;#ASMSTART
	v_cvt_f32_f16 v39, v36;
	;;#ASMEND
	;; [unrolled: 3-line block ×8, first 2 shown]
	ds_load_b64 v[36:37], v19 offset:24
	v_dual_fmac_f32 v55, v63, v65 :: v_dual_and_b32 v66, 0xffff, v40
	v_fmac_f32_e32 v52, v38, v60
	s_wait_loadcnt 0x2
	v_lshrrev_b32_e32 v102, 16, v7
	v_lshrrev_b32_e32 v103, 16, v8
	v_dual_fmac_f32 v53, v39, v61 :: v_dual_and_b32 v8, 0xffff, v8
	s_wait_loadcnt 0x1
	v_lshrrev_b32_e32 v104, 16, v5
	v_fmac_f32_e32 v54, v62, v64
	s_wait_dscnt 0x0
	v_and_b32_e32 v40, 0xffff, v36
	v_lshrrev_b32_e32 v36, 16, v36
	v_lshrrev_b32_e32 v69, 16, v37
	v_and_b32_e32 v37, 0xffff, v37
	;;#ASMSTART
	v_cvt_f32_f16 v40, v40;
	;;#ASMEND
	;;#ASMSTART
	v_cvt_f32_f16 v41, v36;
	;;#ASMEND
	;;#ASMSTART
	v_cvt_f32_f16 v66, v66;
	;;#ASMEND
	;;#ASMSTART
	v_cvt_f32_f16 v67, v67;
	;;#ASMEND
	;;#ASMSTART
	v_cvt_f32_f16 v68, v37;
	;;#ASMEND
	;;#ASMSTART
	v_cvt_f32_f16 v69, v69;
	;;#ASMEND
	;;#ASMSTART
	v_cvt_f32_f16 v70, v70;
	;;#ASMEND
	;;#ASMSTART
	v_cvt_f32_f16 v71, v71;
	;;#ASMEND
	ds_load_b64 v[36:37], v19 offset:32
	v_dual_fmac_f32 v52, v40, v66 :: v_dual_fmac_f32 v53, v41, v67
	v_lshrrev_b32_e32 v41, 16, v6
	v_dual_fmac_f32 v55, v69, v71 :: v_dual_and_b32 v6, 0xffff, v6
	v_fmac_f32_e32 v54, v68, v70
	s_wait_dscnt 0x0
	v_and_b32_e32 v42, 0xffff, v36
	v_lshrrev_b32_e32 v36, 16, v36
	v_lshrrev_b32_e32 v75, 16, v37
	v_and_b32_e32 v37, 0xffff, v37
	;;#ASMSTART
	v_cvt_f32_f16 v42, v42;
	;;#ASMEND
	;;#ASMSTART
	v_cvt_f32_f16 v43, v36;
	;;#ASMEND
	;; [unrolled: 3-line block ×8, first 2 shown]
	ds_load_b64 v[36:37], v19 offset:40
	v_fmac_f32_e32 v53, v43, v73
	v_dual_fmac_f32 v55, v75, v77 :: v_dual_fmac_f32 v52, v42, v72
	s_wait_loadcnt 0x0
	v_lshrrev_b32_e32 v42, 16, v3
	v_dual_fmac_f32 v54, v74, v76 :: v_dual_and_b32 v43, 0xffff, v3
	s_wait_dscnt 0x0
	v_and_b32_e32 v44, 0xffff, v36
	v_lshrrev_b32_e32 v36, 16, v36
	v_lshrrev_b32_e32 v81, 16, v37
	v_and_b32_e32 v37, 0xffff, v37
	;;#ASMSTART
	v_cvt_f32_f16 v44, v44;
	;;#ASMEND
	;;#ASMSTART
	v_cvt_f32_f16 v45, v36;
	;;#ASMEND
	;; [unrolled: 3-line block ×8, first 2 shown]
	ds_load_b64 v[36:37], v19 offset:48
	v_dual_fmac_f32 v52, v44, v78 :: v_dual_and_b32 v7, 0xffff, v7
	v_dual_fmac_f32 v54, v80, v82 :: v_dual_and_b32 v5, 0xffff, v5
	v_fmac_f32_e32 v53, v45, v79
	v_fmac_f32_e32 v55, v81, v83
	v_lshrrev_b32_e32 v44, 16, v4
	s_wait_dscnt 0x0
	v_and_b32_e32 v46, 0xffff, v36
	v_lshrrev_b32_e32 v36, 16, v36
	v_lshrrev_b32_e32 v87, 16, v37
	v_and_b32_e32 v37, 0xffff, v37
	;;#ASMSTART
	v_cvt_f32_f16 v46, v46;
	;;#ASMEND
	;;#ASMSTART
	v_cvt_f32_f16 v47, v36;
	;;#ASMEND
	;;#ASMSTART
	v_cvt_f32_f16 v84, v84;
	;;#ASMEND
	;;#ASMSTART
	v_cvt_f32_f16 v85, v85;
	;;#ASMEND
	;;#ASMSTART
	v_cvt_f32_f16 v86, v37;
	;;#ASMEND
	;;#ASMSTART
	v_cvt_f32_f16 v87, v87;
	;;#ASMEND
	;;#ASMSTART
	v_cvt_f32_f16 v88, v88;
	;;#ASMEND
	;;#ASMSTART
	v_cvt_f32_f16 v89, v89;
	;;#ASMEND
	ds_load_b64 v[36:37], v19 offset:56
	v_dual_fmac_f32 v52, v46, v84 :: v_dual_fmac_f32 v53, v47, v85
	s_wait_dscnt 0x0
	v_dual_fmac_f32 v55, v87, v89 :: v_dual_and_b32 v48, 0xffff, v36
	v_lshrrev_b32_e32 v36, 16, v36
	v_lshrrev_b32_e32 v93, 16, v37
	v_and_b32_e32 v37, 0xffff, v37
	;;#ASMSTART
	v_cvt_f32_f16 v48, v48;
	;;#ASMEND
	;;#ASMSTART
	v_cvt_f32_f16 v49, v36;
	;;#ASMEND
	;;#ASMSTART
	v_cvt_f32_f16 v90, v90;
	;;#ASMEND
	;;#ASMSTART
	v_cvt_f32_f16 v91, v91;
	;;#ASMEND
	;;#ASMSTART
	v_cvt_f32_f16 v92, v37;
	;;#ASMEND
	;;#ASMSTART
	v_cvt_f32_f16 v93, v93;
	;;#ASMEND
	;;#ASMSTART
	v_cvt_f32_f16 v94, v94;
	;;#ASMEND
	;;#ASMSTART
	v_cvt_f32_f16 v95, v95;
	;;#ASMEND
	ds_load_b64 v[36:37], v19 offset:64
	v_dual_fmac_f32 v52, v48, v90 :: v_dual_fmac_f32 v53, v49, v91
	s_wait_dscnt 0x0
	v_dual_fmac_f32 v55, v93, v95 :: v_dual_and_b32 v50, 0xffff, v36
	;; [unrolled: 31-line block ×3, first 2 shown]
	v_lshrrev_b32_e32 v29, 16, v36
	v_lshrrev_b32_e32 v33, 16, v37
	v_and_b32_e32 v32, 0xffff, v37
	;;#ASMSTART
	v_cvt_f32_f16 v28, v28;
	;;#ASMEND
	;;#ASMSTART
	v_cvt_f32_f16 v29, v29;
	;;#ASMEND
	;; [unrolled: 3-line block ×8, first 2 shown]
	ds_load_b64 v[7:8], v19 offset:80
	v_dual_fmac_f32 v52, v28, v30 :: v_dual_fmac_f32 v53, v29, v31
	v_dual_fmac_f32 v55, v33, v35 :: v_dual_and_b32 v28, 0xffff, v4
	s_wait_dscnt 0x0
	v_and_b32_e32 v36, 0xffff, v7
	v_lshrrev_b32_e32 v37, 16, v7
	v_lshrrev_b32_e32 v39, 16, v8
	v_and_b32_e32 v38, 0xffff, v8
	;;#ASMSTART
	v_cvt_f32_f16 v7, v36;
	;;#ASMEND
	;;#ASMSTART
	v_cvt_f32_f16 v8, v37;
	;;#ASMEND
	;; [unrolled: 3-line block ×8, first 2 shown]
	ds_load_b64 v[5:6], v19 offset:88
	v_fmac_f32_e32 v54, v86, v88
	v_dual_fmac_f32 v52, v7, v36 :: v_dual_fmac_f32 v53, v8, v37
	v_fmac_f32_e32 v55, v39, v41
	s_wait_dscnt 0x0
	s_delay_alu instid0(VALU_DEP_3)
	v_dual_fmac_f32 v54, v92, v94 :: v_dual_and_b32 v3, 0xffff, v5
	v_lshrrev_b32_e32 v4, 16, v5
	v_lshrrev_b32_e32 v7, 16, v6
	v_and_b32_e32 v8, 0xffff, v6
	;;#ASMSTART
	v_cvt_f32_f16 v3, v3;
	;;#ASMEND
	v_fmac_f32_e32 v54, v98, v100
	;;#ASMSTART
	v_cvt_f32_f16 v4, v4;
	;;#ASMEND
	;;#ASMSTART
	v_cvt_f32_f16 v5, v43;
	;;#ASMEND
	;; [unrolled: 3-line block ×3, first 2 shown]
	v_fmac_f32_e32 v52, v3, v5
	v_fmac_f32_e32 v54, v32, v34
	;; [unrolled: 1-line block ×3, first 2 shown]
	;;#ASMSTART
	v_cvt_f32_f16 v3, v8;
	;;#ASMEND
	;;#ASMSTART
	v_cvt_f32_f16 v4, v7;
	;;#ASMEND
	;; [unrolled: 3-line block ×3, first 2 shown]
	v_fmac_f32_e32 v54, v38, v40
	s_delay_alu instid0(VALU_DEP_1)
	v_fmac_f32_e32 v54, v3, v5
	v_add_f32_e32 v3, v52, v53
	;;#ASMSTART
	v_cvt_f32_f16 v5, v44;
	;;#ASMEND
	v_fmac_f32_e32 v55, v4, v5
	s_wait_alu 0xf1ff
	v_cndmask_b32_e64 v4, v17, v26, s4
	s_delay_alu instid0(VALU_DEP_1) | instskip(NEXT) | instid1(VALU_DEP_1)
	v_dual_add_f32 v3, v3, v54 :: v_dual_lshlrev_b32 v4, 2, v4
	v_add_f32_e32 v3, v55, v3
	ds_bpermute_b32 v4, v4, v3
	s_and_saveexec_b32 s38, s3
	s_cbranch_execz .LBB93_11
; %bb.19:                               ;   in Loop: Header=BB93_13 Depth=1
	s_wait_dscnt 0x0
	v_add_f32_e32 v3, v3, v4
	v_add_nc_u32_e32 v5, v23, v22
	s_delay_alu instid0(VALU_DEP_1) | instskip(NEXT) | instid1(VALU_DEP_1)
	v_cvt_f32_i32_e32 v5, v5
	v_mul_f32_e32 v5, s15, v5
	s_delay_alu instid0(VALU_DEP_1) | instskip(NEXT) | instid1(VALU_DEP_1)
	v_dual_cndmask_b32 v4, 0, v5 :: v_dual_max_num_f32 v5, v16, v16
	v_dual_fmac_f32 v4, s7, v3 :: v_dual_add_nc_u32 v3, v18, v22
	s_delay_alu instid0(VALU_DEP_1) | instskip(NEXT) | instid1(VALU_DEP_2)
	v_max_num_f32_e32 v5, v5, v4
	v_cmp_gt_i32_e64 s4, s31, v3
	s_wait_alu 0xf1ff
	s_delay_alu instid0(VALU_DEP_1) | instskip(NEXT) | instid1(VALU_DEP_3)
	v_cndmask_b32_e64 v3, 0, v4, s4
	v_cndmask_b32_e64 v16, v16, v5, s4
	ds_store_b32 v24, v3
	s_branch .LBB93_11
.LBB93_20:
	s_or_b32 exec_lo, exec_lo, s28
.LBB93_21:
	s_delay_alu instid0(SALU_CYCLE_1)
	s_or_b32 exec_lo, exec_lo, s6
	v_xor_b32_e32 v1, 16, v17
	v_xor_b32_e32 v2, 8, v17
	s_clause 0x2
	s_load_b128 s[4:7], s[0:1], 0x0
	s_load_b64 s[14:15], s[0:1], 0x10
	s_load_b64 s[28:29], s[0:1], 0x28
	v_lshlrev_b32_e32 v7, 2, v11
	v_cmp_gt_i32_e32 vcc_lo, 32, v1
	s_wait_alu 0xfffd
	v_cndmask_b32_e32 v1, v17, v1, vcc_lo
	v_cmp_gt_i32_e32 vcc_lo, 32, v2
	s_wait_alu 0xfffd
	v_dual_max_num_f32 v5, v16, v16 :: v_dual_cndmask_b32 v2, v17, v2
	s_wait_dscnt 0x0
	s_delay_alu instid0(VALU_DEP_1) | instskip(SKIP_4) | instid1(VALU_DEP_1)
	v_lshlrev_b32_e32 v4, 2, v2
	v_lshlrev_b32_e32 v3, 2, v1
	ds_bpermute_b32 v1, v3, v16
	s_wait_dscnt 0x0
	v_dual_max_num_f32 v1, v1, v1 :: v_dual_and_b32 v16, 31, v0
	v_max_num_f32_e32 v1, v5, v1
	v_xor_b32_e32 v5, 4, v17
	ds_bpermute_b32 v2, v4, v1
	v_cmp_gt_i32_e32 vcc_lo, 32, v5
	s_wait_dscnt 0x0
	s_wait_alu 0xfffd
	v_dual_cndmask_b32 v5, v17, v5 :: v_dual_max_num_f32 v2, v2, v2
	s_delay_alu instid0(VALU_DEP_1) | instskip(SKIP_1) | instid1(VALU_DEP_3)
	v_lshlrev_b32_e32 v6, 2, v5
	v_xor_b32_e32 v5, 2, v17
	v_max_num_f32_e32 v1, v1, v2
	s_delay_alu instid0(VALU_DEP_2)
	v_cmp_gt_i32_e32 vcc_lo, 32, v5
	ds_bpermute_b32 v2, v6, v1
	s_wait_alu 0xfffd
	v_cndmask_b32_e32 v5, v17, v5, vcc_lo
	v_cmp_eq_u32_e32 vcc_lo, 0, v16
	s_wait_dscnt 0x0
	v_max_num_f32_e32 v2, v2, v2
	s_delay_alu instid0(VALU_DEP_1)
	v_dual_max_num_f32 v1, v1, v2 :: v_dual_lshlrev_b32 v2, 2, v5
	ds_bpermute_b32 v5, v2, v1
	s_and_saveexec_b32 s0, vcc_lo
	s_cbranch_execz .LBB93_23
; %bb.22:
	s_wait_dscnt 0x0
	v_max_num_f32_e32 v5, v5, v5
	v_max_num_f32_e32 v1, v1, v1
	s_delay_alu instid0(VALU_DEP_1)
	v_max_num_f32_e32 v1, v1, v5
	ds_store_b32 v7, v1 offset:192
.LBB93_23:
	s_or_b32 exec_lo, exec_lo, s0
	v_cmp_gt_u32_e64 s0, 4, v16
	v_dual_mov_b32 v1, 0xff7fffff :: v_dual_lshlrev_b32 v8, 2, v16
	s_wait_loadcnt_dscnt 0x0
	s_barrier_signal -1
	s_barrier_wait -1
	global_inv scope:SCOPE_SE
	s_and_saveexec_b32 s1, s0
; %bb.24:
	ds_load_b32 v1, v8 offset:192
; %bb.25:
	s_or_b32 exec_lo, exec_lo, s1
	s_wait_dscnt 0x0
	ds_bpermute_b32 v5, v2, v1
	v_xor_b32_e32 v18, 1, v17
	v_max_num_f32_e32 v1, v1, v1
	s_delay_alu instid0(VALU_DEP_2) | instskip(NEXT) | instid1(VALU_DEP_1)
	v_cmp_gt_i32_e64 s1, 32, v18
	v_cndmask_b32_e64 v17, v17, v18, s1
	v_mov_b32_e32 v18, 0
	s_sub_co_i32 s1, s19, s36
	s_wait_alu 0xfffe
	s_lshl_b32 s1, s1, 4
	v_lshlrev_b32_e32 v17, 2, v17
	s_wait_alu 0xfffe
	s_add_co_i32 s1, s1, s33
	s_wait_alu 0xfffe
	s_min_i32 s1, s1, s31
	s_wait_dscnt 0x0
	v_max_num_f32_e32 v5, v5, v5
	s_wait_alu 0xfffe
	s_sub_co_i32 s27, s1, s33
	s_wait_alu 0xfffe
	v_cmp_gt_i32_e64 s1, s27, v0
	v_max_num_f32_e32 v1, v1, v5
	ds_bpermute_b32 v5, v17, v1
	s_wait_dscnt 0x0
	v_max_num_f32_e32 v5, v5, v5
	s_delay_alu instid0(VALU_DEP_1)
	v_max_num_f32_e32 v1, v1, v5
	v_lshl_add_u32 v5, v0, 2, 0xe0
	ds_bpermute_b32 v1, v18, v1
	s_and_saveexec_b32 s33, s1
	s_cbranch_execz .LBB93_29
; %bb.26:
	v_lshl_add_u32 v19, v0, 2, 0xe0
	v_mov_b32_e32 v18, 0
	v_mov_b32_e32 v20, v0
	s_mov_b32 s36, 0
.LBB93_27:                              ; =>This Inner Loop Header: Depth=1
	ds_load_b32 v21, v19
	v_add_nc_u32_e32 v20, 0x80, v20
	s_delay_alu instid0(VALU_DEP_1) | instskip(SKIP_4) | instid1(VALU_DEP_1)
	v_cmp_le_i32_e64 s3, s27, v20
	s_wait_alu 0xfffe
	s_or_b32 s36, s3, s36
	s_wait_dscnt 0x0
	v_sub_f32_e32 v21, v21, v1
	v_mul_f32_e32 v21, 0x3fb8aa3b, v21
	s_delay_alu instid0(VALU_DEP_1)
	v_exp_f32_e32 v21, v21
	ds_store_b32 v19, v21
	v_dual_add_f32 v18, v18, v21 :: v_dual_add_nc_u32 v19, 0x200, v19
	s_wait_alu 0xfffe
	s_and_not1_b32 exec_lo, exec_lo, s36
	s_cbranch_execnz .LBB93_27
; %bb.28:
	s_or_b32 exec_lo, exec_lo, s36
.LBB93_29:
	s_wait_alu 0xfffe
	s_or_b32 exec_lo, exec_lo, s33
	ds_bpermute_b32 v3, v3, v18
	s_wait_dscnt 0x0
	v_add_f32_e32 v3, v18, v3
	ds_bpermute_b32 v4, v4, v3
	s_wait_dscnt 0x0
	v_add_f32_e32 v3, v3, v4
	;; [unrolled: 3-line block ×5, first 2 shown]
	s_and_saveexec_b32 s3, vcc_lo
; %bb.30:
	ds_store_b32 v7, v3 offset:208
; %bb.31:
	s_wait_alu 0xfffe
	s_or_b32 exec_lo, exec_lo, s3
	s_wait_loadcnt_dscnt 0x0
	s_barrier_signal -1
	s_barrier_wait -1
	global_inv scope:SCOPE_SE
	s_and_saveexec_b32 s3, s0
; %bb.32:
	ds_load_b32 v3, v8 offset:208
; %bb.33:
	s_wait_alu 0xfffe
	s_or_b32 exec_lo, exec_lo, s3
	s_wait_dscnt 0x0
	ds_bpermute_b32 v2, v2, v3
	s_wait_dscnt 0x0
	v_add_f32_e32 v2, v3, v2
	ds_bpermute_b32 v3, v17, v2
	s_wait_dscnt 0x0
	v_dual_add_f32 v2, v2, v3 :: v_dual_mov_b32 v3, 0
	ds_bpermute_b32 v2, v3, v2
	s_and_saveexec_b32 s0, s1
	s_cbranch_execz .LBB93_36
; %bb.34:
	s_wait_dscnt 0x0
	v_add_f32_e32 v3, 0x358637bd, v2
	s_mov_b32 s1, 0
	s_delay_alu instid0(VALU_DEP_1) | instskip(SKIP_1) | instid1(VALU_DEP_2)
	v_div_scale_f32 v4, null, v3, v3, 1.0
	v_div_scale_f32 v8, vcc_lo, 1.0, v3, 1.0
	v_rcp_f32_e32 v6, v4
	s_delay_alu instid0(TRANS32_DEP_1) | instskip(NEXT) | instid1(VALU_DEP_1)
	v_fma_f32 v7, -v4, v6, 1.0
	v_fmac_f32_e32 v6, v7, v6
	s_delay_alu instid0(VALU_DEP_1) | instskip(NEXT) | instid1(VALU_DEP_1)
	v_mul_f32_e32 v7, v8, v6
	v_fma_f32 v18, -v4, v7, v8
	s_delay_alu instid0(VALU_DEP_1) | instskip(NEXT) | instid1(VALU_DEP_1)
	v_fmac_f32_e32 v7, v18, v6
	v_fma_f32 v4, -v4, v7, v8
	s_wait_alu 0xfffd
	s_delay_alu instid0(VALU_DEP_1) | instskip(NEXT) | instid1(VALU_DEP_1)
	v_div_fmas_f32 v4, v4, v6, v7
	v_div_fixup_f32 v3, v4, v3, 1.0
	v_mov_b32_e32 v4, v0
.LBB93_35:                              ; =>This Inner Loop Header: Depth=1
	ds_load_b32 v6, v5
	v_add_nc_u32_e32 v4, 0x80, v4
	s_delay_alu instid0(VALU_DEP_1)
	v_cmp_le_i32_e32 vcc_lo, s27, v4
	s_wait_alu 0xfffe
	s_or_b32 s1, vcc_lo, s1
	s_wait_dscnt 0x0
	v_mul_f32_e32 v6, v3, v6
	ds_store_b32 v5, v6
	v_add_nc_u32_e32 v5, 0x200, v5
	s_wait_alu 0xfffe
	s_and_not1_b32 exec_lo, exec_lo, s1
	s_cbranch_execnz .LBB93_35
.LBB93_36:
	s_wait_alu 0xfffe
	s_or_b32 exec_lo, exec_lo, s0
	s_mul_i32 s0, s8, s22
	s_wait_loadcnt_dscnt 0x0
	s_wait_alu 0xfffe
	s_mul_i32 s22, s0, s23
	s_mov_b32 s0, exec_lo
	s_barrier_signal -1
	s_barrier_wait -1
	global_inv scope:SCOPE_SE
	v_cmpx_eq_u32_e32 0, v0
	s_cbranch_execz .LBB93_38
; %bb.37:
	s_ashr_i32 s23, s22, 31
	s_wait_alu 0xfffe
	s_mul_i32 s36, s8, ttmp9
	s_lshl_b32 s1, s30, 2
	s_lshl_b64 s[38:39], s[22:23], 2
	s_wait_alu 0xfffe
	s_ashr_i32 s37, s36, 31
	v_mov_b32_e32 v3, s1
	s_wait_kmcnt 0x0
	s_add_nc_u64 s[6:7], s[6:7], s[38:39]
	s_wait_alu 0xfffe
	s_lshl_b64 s[36:37], s[36:37], 2
	s_add_nc_u64 s[4:5], s[4:5], s[38:39]
	s_wait_alu 0xfffe
	s_add_nc_u64 s[6:7], s[6:7], s[36:37]
	s_add_nc_u64 s[4:5], s[4:5], s[36:37]
	s_clause 0x1
	global_store_b32 v3, v1, s[6:7]
	global_store_b32 v3, v2, s[4:5]
.LBB93_38:
	s_wait_alu 0xfffe
	s_or_b32 exec_lo, exec_lo, s0
	v_dual_mov_b32 v23, 0 :: v_dual_mov_b32 v22, 0
	v_dual_mov_b32 v21, 0 :: v_dual_mov_b32 v20, 0
	;; [unrolled: 1-line block ×3, first 2 shown]
	s_and_saveexec_b32 s1, s2
	s_cbranch_execz .LBB93_56
; %bb.39:
	s_abs_i32 s2, s10
	v_dual_mov_b32 v21, 0 :: v_dual_lshlrev_b32 v2, 4, v0
	s_wait_alu 0xfffe
	s_cvt_f32_u32 s0, s2
	v_dual_mov_b32 v18, 0 :: v_dual_lshlrev_b32 v3, 5, v10
	s_ashr_i32 s27, s26, 31
	s_wait_alu 0xfffe
	v_rcp_iflag_f32_e32 v1, s0
	s_wait_kmcnt 0x0
	s_lshl_b64 s[6:7], s[24:25], 2
	s_lshl_b64 s[24:25], s[26:27], 1
	s_wait_alu 0xfffe
	s_add_nc_u64 s[6:7], s[20:21], s[6:7]
	s_add_nc_u64 s[20:21], s[28:29], s[24:25]
	s_wait_alu 0xfffe
	v_add_co_u32 v5, s6, s6, v15
	s_sub_co_i32 s5, 0, s2
	v_add_co_ci_u32_e64 v6, null, s7, 0, s6
	v_readfirstlane_b32 s0, v1
	v_dual_mov_b32 v20, 0 :: v_dual_and_b32 v1, 0x1f0, v2
	v_lshl_or_b32 v2, v11, 6, v3
	v_dual_mov_b32 v19, 0 :: v_dual_and_b32 v14, 8, v14
	s_mul_f32 s0, s0, 0x4f7ffffe
	s_delay_alu instid0(VALU_DEP_3)
	v_add_co_u32 v15, s6, s20, v1
	s_wait_alu 0xf1ff
	v_add_co_ci_u32_e64 v24, null, s21, 0, s6
	s_wait_alu 0xfffe
	s_cvt_u32_f32 s0, s0
	v_dual_mov_b32 v22, 0 :: v_dual_add_nc_u32 v25, 0xe0, v2
	v_mov_b32_e32 v23, 0
	s_wait_alu 0xfffe
	s_mul_i32 s5, s5, s0
	s_sub_co_i32 s3, s35, s9
	s_wait_alu 0xfffe
	s_mul_hi_u32 s6, s0, s5
	s_mov_b32 s4, s13
	s_add_co_i32 s34, s34, -1
	s_mov_b32 s5, 0
	s_wait_alu 0xfffe
	s_add_co_i32 s6, s0, s6
	s_branch .LBB93_42
.LBB93_40:                              ;   in Loop: Header=BB93_42 Depth=1
	s_wait_alu 0xfffe
	s_or_b32 exec_lo, exec_lo, s0
	v_dual_add_f32 v27, v46, v47 :: v_dual_lshlrev_b32 v26, 16, v48
	v_lshlrev_b32_e32 v8, 16, v8
	v_lshlrev_b32_e32 v7, 16, v7
	s_delay_alu instid0(VALU_DEP_3) | instskip(SKIP_1) | instid1(VALU_DEP_2)
	v_and_or_b32 v1, 0xffff, v1, v26
	;;#ASMSTART
	v_pk_mul_f16 v1, v35, v1;

	;;#ASMEND
	v_and_or_b32 v3, 0xffff, v3, v7
	v_add_f32_e32 v7, v44, v45
	v_and_or_b32 v2, 0xffff, v2, v8
	;;#ASMSTART
	v_pk_mul_f16 v2, v34, v2;

	;;#ASMEND
	;;#ASMSTART
	v_pk_mul_f16 v3, v38, v3;

	;;#ASMEND
	;; [unrolled: 4-line block ×3, first 2 shown]
	;;#ASMSTART
	v_pk_add_f16 v1, v1, v2;

	;;#ASMEND
	;;#ASMSTART
	v_pk_add_f16 v1, v1, v3;

	;;#ASMEND
	;; [unrolled: 4-line block ×3, first 2 shown]
	v_dual_add_f32 v19, v19, v27 :: v_dual_and_b32 v4, 0xffff, v1
	v_lshrrev_b32_e32 v8, 16, v1
	;;#ASMSTART
	v_cvt_f32_f16 v4, v4;
	;;#ASMEND
	v_add_f32_e32 v2, v40, v41
	v_add_f32_e32 v3, v36, v37
	;;#ASMSTART
	v_cvt_f32_f16 v8, v8;
	;;#ASMEND
	v_dual_add_f32 v1, v42, v43 :: v_dual_add_f32 v4, v4, v8
	v_add_f32_e32 v20, v20, v7
	s_delay_alu instid0(VALU_DEP_3) | instskip(NEXT) | instid1(VALU_DEP_3)
	v_dual_add_f32 v22, v22, v2 :: v_dual_add_f32 v23, v23, v3
	v_dual_add_f32 v21, v21, v1 :: v_dual_add_f32 v18, v18, v4
.LBB93_41:                              ;   in Loop: Header=BB93_42 Depth=1
	s_wait_alu 0xfffe
	s_or_b32 exec_lo, exec_lo, s7
	v_add_nc_u32_e32 v13, 4, v13
	v_add_co_u32 v5, s0, v5, 16
	s_wait_alu 0xf1ff
	v_add_co_ci_u32_e64 v6, null, 0, v6, s0
	s_delay_alu instid0(VALU_DEP_3)
	v_cmp_le_i32_e32 vcc_lo, s19, v13
	v_add_nc_u32_e32 v12, 64, v12
	v_add_nc_u32_e32 v25, 0x100, v25
	s_or_b32 s5, vcc_lo, s5
	s_wait_alu 0xfffe
	s_and_not1_b32 exec_lo, exec_lo, s5
	s_cbranch_execz .LBB93_55
.LBB93_42:                              ; =>This Inner Loop Header: Depth=1
	v_sub_nc_u32_e32 v1, 0, v12
	s_delay_alu instid0(VALU_DEP_1) | instskip(NEXT) | instid1(VALU_DEP_1)
	v_max_i32_e32 v1, v12, v1
	v_mul_hi_u32 v2, v1, s18
	s_delay_alu instid0(VALU_DEP_1) | instskip(NEXT) | instid1(VALU_DEP_1)
	v_mul_lo_u32 v3, v2, s12
	v_sub_nc_u32_e32 v1, v1, v3
	v_add_nc_u32_e32 v3, 1, v2
	s_delay_alu instid0(VALU_DEP_2) | instskip(SKIP_2) | instid1(VALU_DEP_2)
	v_subrev_nc_u32_e32 v4, s12, v1
	v_cmp_le_u32_e32 vcc_lo, s12, v1
	s_wait_alu 0xfffd
	v_dual_cndmask_b32 v2, v2, v3 :: v_dual_cndmask_b32 v1, v1, v4
	v_ashrrev_i32_e32 v3, 31, v12
	s_delay_alu instid0(VALU_DEP_2) | instskip(NEXT) | instid1(VALU_DEP_3)
	v_add_nc_u32_e32 v4, 1, v2
	v_cmp_le_u32_e32 vcc_lo, s12, v1
	s_delay_alu instid0(VALU_DEP_3) | instskip(SKIP_1) | instid1(VALU_DEP_3)
	v_xor_b32_e32 v3, s11, v3
	s_wait_alu 0xfffd
	v_cndmask_b32_e32 v1, v2, v4, vcc_lo
	s_delay_alu instid0(VALU_DEP_1) | instskip(NEXT) | instid1(VALU_DEP_1)
	v_xor_b32_e32 v1, v1, v3
	v_sub_nc_u32_e32 v1, v1, v3
	s_delay_alu instid0(VALU_DEP_1) | instskip(SKIP_1) | instid1(VALU_DEP_2)
	v_add_nc_u32_e32 v2, s17, v1
	v_cmp_lt_i32_e64 s0, s3, v1
	v_sub_nc_u32_e32 v3, 0, v2
	s_delay_alu instid0(VALU_DEP_1) | instskip(SKIP_1) | instid1(VALU_DEP_1)
	v_max_i32_e32 v3, v2, v3
	s_wait_alu 0xfffe
	v_mul_hi_u32 v4, v3, s6
	s_delay_alu instid0(VALU_DEP_1) | instskip(NEXT) | instid1(VALU_DEP_1)
	v_mul_lo_u32 v4, v4, s2
	v_sub_nc_u32_e32 v3, v3, v4
	s_delay_alu instid0(VALU_DEP_1) | instskip(SKIP_2) | instid1(VALU_DEP_2)
	v_subrev_nc_u32_e32 v4, s2, v3
	v_cmp_le_u32_e32 vcc_lo, s2, v3
	s_wait_alu 0xfffd
	v_cndmask_b32_e32 v3, v3, v4, vcc_lo
	v_ashrrev_i32_e32 v2, 31, v2
	s_delay_alu instid0(VALU_DEP_2) | instskip(SKIP_2) | instid1(VALU_DEP_2)
	v_subrev_nc_u32_e32 v4, s2, v3
	v_cmp_le_u32_e32 vcc_lo, s2, v3
	s_wait_alu 0xfffd
	v_cndmask_b32_e32 v3, v3, v4, vcc_lo
	s_delay_alu instid0(VALU_DEP_1) | instskip(NEXT) | instid1(VALU_DEP_1)
	v_xor_b32_e32 v3, v3, v2
	v_sub_nc_u32_e32 v2, v3, v2
	s_delay_alu instid0(VALU_DEP_1)
	v_cmp_eq_u32_e32 vcc_lo, 0, v2
	s_or_b32 s0, vcc_lo, s0
	s_wait_alu 0xfffe
	s_and_saveexec_b32 s7, s0
	s_cbranch_execz .LBB93_41
; %bb.43:                               ;   in Loop: Header=BB93_42 Depth=1
	global_load_b32 v7, v[5:6], off
	ds_load_2addr_b64 v[1:4], v25 offset1:1
	ds_load_2addr_b64 v[26:29], v25 offset0:2 offset1:3
	v_add_nc_u32_e32 v31, v14, v12
	s_wait_dscnt 0x1
	;;#ASMSTART
	v_cvt_f16_f32 v35, v1;

	;;#ASMEND
	;;#ASMSTART
	v_cvt_f16_f32 v34, v2;

	;;#ASMEND
	;; [unrolled: 4-line block ×4, first 2 shown]
	s_wait_dscnt 0x0
	;;#ASMSTART
	v_cvt_f16_f32 v41, v26;

	;;#ASMEND
	;;#ASMSTART
	v_cvt_f16_f32 v37, v27;

	;;#ASMEND
	;; [unrolled: 4-line block ×4, first 2 shown]
	v_add_nc_u32_e32 v33, 1, v31
	v_add_nc_u32_e32 v32, 2, v31
	;; [unrolled: 1-line block ×7, first 2 shown]
	s_wait_loadcnt 0x0
	v_mad_co_i64_i32 v[7:8], null, v7, s4, 0
	s_delay_alu instid0(VALU_DEP_1) | instskip(NEXT) | instid1(VALU_DEP_1)
	v_lshlrev_b64_e32 v[7:8], 1, v[7:8]
	v_add_co_u32 v7, vcc_lo, v15, v7
	s_wait_alu 0xfffd
	s_delay_alu instid0(VALU_DEP_2)
	v_add_co_ci_u32_e64 v8, null, v24, v8, vcc_lo
	v_cmp_eq_u32_e32 vcc_lo, s34, v13
	global_load_b128 v[1:4], v[7:8], off
	s_wait_loadcnt 0x0
	v_lshrrev_b32_e32 v44, 16, v1
	v_lshrrev_b32_e32 v43, 16, v2
	;; [unrolled: 1-line block ×3, first 2 shown]
	s_and_saveexec_b32 s9, vcc_lo
	s_cbranch_execz .LBB93_45
; %bb.44:                               ;   in Loop: Header=BB93_42 Depth=1
	v_cmp_gt_i32_e64 s0, s31, v31
	v_and_b32_e32 v45, 0xffff, v4
	v_and_b32_e32 v4, 0xffff0000, v4
	s_wait_alu 0xf1ff
	s_delay_alu instid0(VALU_DEP_3) | instskip(SKIP_2) | instid1(VALU_DEP_1)
	v_cndmask_b32_e64 v1, 0, v1, s0
	v_cmp_gt_i32_e64 s0, s31, v33
	s_wait_alu 0xf1ff
	v_cndmask_b32_e64 v44, 0, v44, s0
	v_cmp_gt_i32_e64 s0, s31, v32
	s_wait_alu 0xf1ff
	s_delay_alu instid0(VALU_DEP_1) | instskip(SKIP_2) | instid1(VALU_DEP_1)
	v_cndmask_b32_e64 v2, 0, v2, s0
	v_cmp_gt_i32_e64 s0, s31, v28
	s_wait_alu 0xf1ff
	v_cndmask_b32_e64 v43, 0, v43, s0
	v_cmp_gt_i32_e64 s0, s31, v29
	s_wait_alu 0xf1ff
	s_delay_alu instid0(VALU_DEP_1) | instskip(SKIP_2) | instid1(VALU_DEP_1)
	v_cndmask_b32_e64 v45, 0, v45, s0
	v_cmp_gt_i32_e64 s0, s31, v30
	s_wait_alu 0xf1ff
	v_cndmask_b32_e64 v4, 0, v4, s0
	v_cmp_gt_i32_e64 s0, s31, v27
	s_delay_alu instid0(VALU_DEP_2) | instskip(SKIP_1) | instid1(VALU_DEP_2)
	v_or_b32_e32 v4, v45, v4
	s_wait_alu 0xf1ff
	v_cndmask_b32_e64 v3, 0, v3, s0
	v_cmp_gt_i32_e64 s0, s31, v26
	s_wait_alu 0xf1ff
	s_delay_alu instid0(VALU_DEP_1)
	v_cndmask_b32_e64 v42, 0, v42, s0
.LBB93_45:                              ;   in Loop: Header=BB93_42 Depth=1
	s_or_b32 exec_lo, exec_lo, s9
	v_and_b32_e32 v35, 0xffff, v35
	v_and_b32_e32 v40, 0xffff, v40
	v_lshlrev_b32_e32 v44, 16, v44
	v_lshlrev_b32_e32 v42, 16, v42
	v_and_b32_e32 v41, 0xffff, v41
	v_lshl_or_b32 v35, v34, 16, v35
	v_lshl_or_b32 v34, v38, 16, v40
	v_lshlrev_b32_e32 v40, 16, v43
	v_and_b32_e32 v39, 0xffff, v39
	v_and_or_b32 v1, 0xffff, v1, v44
	v_and_or_b32 v3, 0xffff, v3, v42
	;;#ASMSTART
	v_pk_mul_f16 v1, v35, v1;

	;;#ASMEND
	v_and_or_b32 v2, 0xffff, v2, v40
	v_lshl_or_b32 v38, v37, 16, v41
	v_lshl_or_b32 v39, v36, 16, v39
	;;#ASMSTART
	v_pk_mul_f16 v2, v34, v2;

	;;#ASMEND
	;;#ASMSTART
	v_pk_mul_f16 v3, v38, v3;

	;;#ASMEND
	;; [unrolled: 4-line block ×3, first 2 shown]
	;;#ASMSTART
	v_pk_add_f16 v1, v1, v2;

	;;#ASMEND
	;;#ASMSTART
	v_pk_add_f16 v1, v1, v3;

	;;#ASMEND
	;; [unrolled: 4-line block ×3, first 2 shown]
	v_and_b32_e32 v2, 0xffff, v1
	v_lshrrev_b32_e32 v1, 16, v1
	;;#ASMSTART
	v_cvt_f32_f16 v36, v2;
	;;#ASMEND
	;;#ASMSTART
	v_cvt_f32_f16 v37, v1;
	;;#ASMEND
	global_load_b128 v[1:4], v[7:8], off offset:512
	s_wait_loadcnt 0x0
	v_lshrrev_b32_e32 v42, 16, v1
	v_lshrrev_b32_e32 v41, 16, v2
	v_lshrrev_b32_e32 v40, 16, v3
	s_and_saveexec_b32 s9, vcc_lo
	s_cbranch_execz .LBB93_47
; %bb.46:                               ;   in Loop: Header=BB93_42 Depth=1
	v_cmp_gt_i32_e64 s0, s31, v31
	v_and_b32_e32 v43, 0xffff, v4
	v_and_b32_e32 v4, 0xffff0000, v4
	s_wait_alu 0xf1ff
	s_delay_alu instid0(VALU_DEP_3) | instskip(SKIP_2) | instid1(VALU_DEP_1)
	v_cndmask_b32_e64 v1, 0, v1, s0
	v_cmp_gt_i32_e64 s0, s31, v33
	s_wait_alu 0xf1ff
	v_cndmask_b32_e64 v42, 0, v42, s0
	v_cmp_gt_i32_e64 s0, s31, v32
	s_wait_alu 0xf1ff
	s_delay_alu instid0(VALU_DEP_1) | instskip(SKIP_2) | instid1(VALU_DEP_1)
	v_cndmask_b32_e64 v2, 0, v2, s0
	v_cmp_gt_i32_e64 s0, s31, v28
	s_wait_alu 0xf1ff
	v_cndmask_b32_e64 v41, 0, v41, s0
	v_cmp_gt_i32_e64 s0, s31, v29
	s_wait_alu 0xf1ff
	s_delay_alu instid0(VALU_DEP_1) | instskip(SKIP_2) | instid1(VALU_DEP_1)
	v_cndmask_b32_e64 v43, 0, v43, s0
	v_cmp_gt_i32_e64 s0, s31, v30
	s_wait_alu 0xf1ff
	v_cndmask_b32_e64 v4, 0, v4, s0
	v_cmp_gt_i32_e64 s0, s31, v27
	s_delay_alu instid0(VALU_DEP_2) | instskip(SKIP_1) | instid1(VALU_DEP_2)
	v_or_b32_e32 v4, v43, v4
	s_wait_alu 0xf1ff
	v_cndmask_b32_e64 v3, 0, v3, s0
	v_cmp_gt_i32_e64 s0, s31, v26
	s_wait_alu 0xf1ff
	s_delay_alu instid0(VALU_DEP_1)
	v_cndmask_b32_e64 v40, 0, v40, s0
.LBB93_47:                              ;   in Loop: Header=BB93_42 Depth=1
	s_or_b32 exec_lo, exec_lo, s9
	v_lshlrev_b32_e32 v42, 16, v42
	v_lshlrev_b32_e32 v41, 16, v41
	s_delay_alu instid0(VALU_DEP_3) | instskip(NEXT) | instid1(VALU_DEP_3)
	v_lshlrev_b32_e32 v40, 16, v40
	v_and_or_b32 v1, 0xffff, v1, v42
	s_delay_alu instid0(VALU_DEP_3) | instskip(NEXT) | instid1(VALU_DEP_3)
	v_and_or_b32 v2, 0xffff, v2, v41
	v_and_or_b32 v3, 0xffff, v3, v40
	;;#ASMSTART
	v_pk_mul_f16 v1, v35, v1;

	;;#ASMEND
	;;#ASMSTART
	v_pk_mul_f16 v2, v34, v2;

	;;#ASMEND
	;;#ASMSTART
	v_pk_mul_f16 v3, v38, v3;

	;;#ASMEND
	;;#ASMSTART
	v_pk_mul_f16 v4, v39, v4;

	;;#ASMEND
	;;#ASMSTART
	v_pk_add_f16 v1, v1, v2;

	;;#ASMEND
	;;#ASMSTART
	v_pk_add_f16 v1, v1, v3;

	;;#ASMEND
	;; [unrolled: 4-line block ×3, first 2 shown]
	v_and_b32_e32 v2, 0xffff, v1
	v_lshrrev_b32_e32 v1, 16, v1
	;;#ASMSTART
	v_cvt_f32_f16 v40, v2;
	;;#ASMEND
	;;#ASMSTART
	v_cvt_f32_f16 v41, v1;
	;;#ASMEND
	global_load_b128 v[1:4], v[7:8], off offset:1024
	s_wait_loadcnt 0x0
	v_lshrrev_b32_e32 v44, 16, v1
	v_lshrrev_b32_e32 v43, 16, v2
	;; [unrolled: 1-line block ×3, first 2 shown]
	s_and_saveexec_b32 s9, vcc_lo
	s_cbranch_execz .LBB93_49
; %bb.48:                               ;   in Loop: Header=BB93_42 Depth=1
	v_cmp_gt_i32_e64 s0, s31, v31
	v_and_b32_e32 v45, 0xffff, v4
	v_and_b32_e32 v4, 0xffff0000, v4
	s_wait_alu 0xf1ff
	s_delay_alu instid0(VALU_DEP_3) | instskip(SKIP_2) | instid1(VALU_DEP_1)
	v_cndmask_b32_e64 v1, 0, v1, s0
	v_cmp_gt_i32_e64 s0, s31, v33
	s_wait_alu 0xf1ff
	v_cndmask_b32_e64 v44, 0, v44, s0
	v_cmp_gt_i32_e64 s0, s31, v32
	s_wait_alu 0xf1ff
	s_delay_alu instid0(VALU_DEP_1) | instskip(SKIP_2) | instid1(VALU_DEP_1)
	v_cndmask_b32_e64 v2, 0, v2, s0
	v_cmp_gt_i32_e64 s0, s31, v28
	s_wait_alu 0xf1ff
	v_cndmask_b32_e64 v43, 0, v43, s0
	v_cmp_gt_i32_e64 s0, s31, v29
	s_wait_alu 0xf1ff
	s_delay_alu instid0(VALU_DEP_1) | instskip(SKIP_2) | instid1(VALU_DEP_1)
	v_cndmask_b32_e64 v45, 0, v45, s0
	v_cmp_gt_i32_e64 s0, s31, v30
	s_wait_alu 0xf1ff
	v_cndmask_b32_e64 v4, 0, v4, s0
	v_cmp_gt_i32_e64 s0, s31, v27
	s_delay_alu instid0(VALU_DEP_2) | instskip(SKIP_1) | instid1(VALU_DEP_2)
	v_or_b32_e32 v4, v45, v4
	s_wait_alu 0xf1ff
	v_cndmask_b32_e64 v3, 0, v3, s0
	v_cmp_gt_i32_e64 s0, s31, v26
	s_wait_alu 0xf1ff
	s_delay_alu instid0(VALU_DEP_1)
	v_cndmask_b32_e64 v42, 0, v42, s0
.LBB93_49:                              ;   in Loop: Header=BB93_42 Depth=1
	s_or_b32 exec_lo, exec_lo, s9
	v_lshlrev_b32_e32 v44, 16, v44
	v_lshlrev_b32_e32 v43, 16, v43
	s_delay_alu instid0(VALU_DEP_3) | instskip(NEXT) | instid1(VALU_DEP_3)
	v_lshlrev_b32_e32 v42, 16, v42
	v_and_or_b32 v1, 0xffff, v1, v44
	s_delay_alu instid0(VALU_DEP_3) | instskip(NEXT) | instid1(VALU_DEP_3)
	v_and_or_b32 v2, 0xffff, v2, v43
	v_and_or_b32 v3, 0xffff, v3, v42
	;;#ASMSTART
	v_pk_mul_f16 v1, v35, v1;

	;;#ASMEND
	;;#ASMSTART
	v_pk_mul_f16 v2, v34, v2;

	;;#ASMEND
	;; [unrolled: 4-line block ×4, first 2 shown]
	;;#ASMSTART
	v_pk_add_f16 v1, v1, v2;

	;;#ASMEND
	;;#ASMSTART
	v_pk_add_f16 v1, v1, v3;

	;;#ASMEND
	;; [unrolled: 4-line block ×3, first 2 shown]
	v_and_b32_e32 v2, 0xffff, v1
	v_lshrrev_b32_e32 v1, 16, v1
	;;#ASMSTART
	v_cvt_f32_f16 v42, v2;
	;;#ASMEND
	;;#ASMSTART
	v_cvt_f32_f16 v43, v1;
	;;#ASMEND
	global_load_b128 v[1:4], v[7:8], off offset:1536
	s_wait_loadcnt 0x0
	v_lshrrev_b32_e32 v46, 16, v1
	v_lshrrev_b32_e32 v45, 16, v2
	;; [unrolled: 1-line block ×3, first 2 shown]
	s_and_saveexec_b32 s9, vcc_lo
	s_cbranch_execz .LBB93_51
; %bb.50:                               ;   in Loop: Header=BB93_42 Depth=1
	v_cmp_gt_i32_e64 s0, s31, v31
	v_and_b32_e32 v47, 0xffff, v4
	v_and_b32_e32 v4, 0xffff0000, v4
	s_wait_alu 0xf1ff
	s_delay_alu instid0(VALU_DEP_3) | instskip(SKIP_2) | instid1(VALU_DEP_1)
	v_cndmask_b32_e64 v1, 0, v1, s0
	v_cmp_gt_i32_e64 s0, s31, v33
	s_wait_alu 0xf1ff
	v_cndmask_b32_e64 v46, 0, v46, s0
	v_cmp_gt_i32_e64 s0, s31, v32
	s_wait_alu 0xf1ff
	s_delay_alu instid0(VALU_DEP_1) | instskip(SKIP_2) | instid1(VALU_DEP_1)
	v_cndmask_b32_e64 v2, 0, v2, s0
	v_cmp_gt_i32_e64 s0, s31, v28
	s_wait_alu 0xf1ff
	v_cndmask_b32_e64 v45, 0, v45, s0
	v_cmp_gt_i32_e64 s0, s31, v29
	s_wait_alu 0xf1ff
	s_delay_alu instid0(VALU_DEP_1) | instskip(SKIP_2) | instid1(VALU_DEP_1)
	v_cndmask_b32_e64 v47, 0, v47, s0
	v_cmp_gt_i32_e64 s0, s31, v30
	s_wait_alu 0xf1ff
	v_cndmask_b32_e64 v4, 0, v4, s0
	v_cmp_gt_i32_e64 s0, s31, v27
	s_delay_alu instid0(VALU_DEP_2) | instskip(SKIP_1) | instid1(VALU_DEP_2)
	v_or_b32_e32 v4, v47, v4
	s_wait_alu 0xf1ff
	v_cndmask_b32_e64 v3, 0, v3, s0
	v_cmp_gt_i32_e64 s0, s31, v26
	s_wait_alu 0xf1ff
	s_delay_alu instid0(VALU_DEP_1)
	v_cndmask_b32_e64 v44, 0, v44, s0
.LBB93_51:                              ;   in Loop: Header=BB93_42 Depth=1
	s_or_b32 exec_lo, exec_lo, s9
	v_lshlrev_b32_e32 v46, 16, v46
	v_lshlrev_b32_e32 v45, 16, v45
	s_delay_alu instid0(VALU_DEP_3) | instskip(NEXT) | instid1(VALU_DEP_3)
	v_lshlrev_b32_e32 v44, 16, v44
	v_and_or_b32 v1, 0xffff, v1, v46
	s_delay_alu instid0(VALU_DEP_3) | instskip(NEXT) | instid1(VALU_DEP_3)
	v_and_or_b32 v2, 0xffff, v2, v45
	v_and_or_b32 v3, 0xffff, v3, v44
	;;#ASMSTART
	v_pk_mul_f16 v1, v35, v1;

	;;#ASMEND
	;;#ASMSTART
	v_pk_mul_f16 v2, v34, v2;

	;;#ASMEND
	;; [unrolled: 4-line block ×4, first 2 shown]
	;;#ASMSTART
	v_pk_add_f16 v1, v1, v2;

	;;#ASMEND
	;;#ASMSTART
	v_pk_add_f16 v1, v1, v3;

	;;#ASMEND
	;; [unrolled: 4-line block ×3, first 2 shown]
	v_and_b32_e32 v2, 0xffff, v1
	v_lshrrev_b32_e32 v1, 16, v1
	;;#ASMSTART
	v_cvt_f32_f16 v44, v2;
	;;#ASMEND
	;;#ASMSTART
	v_cvt_f32_f16 v45, v1;
	;;#ASMEND
	global_load_b128 v[1:4], v[7:8], off offset:2048
	s_wait_loadcnt 0x0
	v_lshrrev_b32_e32 v48, 16, v1
	v_lshrrev_b32_e32 v47, 16, v2
	;; [unrolled: 1-line block ×3, first 2 shown]
	s_and_saveexec_b32 s9, vcc_lo
	s_cbranch_execz .LBB93_53
; %bb.52:                               ;   in Loop: Header=BB93_42 Depth=1
	v_cmp_gt_i32_e64 s0, s31, v31
	v_and_b32_e32 v49, 0xffff, v4
	v_and_b32_e32 v4, 0xffff0000, v4
	s_wait_alu 0xf1ff
	s_delay_alu instid0(VALU_DEP_3) | instskip(SKIP_2) | instid1(VALU_DEP_1)
	v_cndmask_b32_e64 v1, 0, v1, s0
	v_cmp_gt_i32_e64 s0, s31, v33
	s_wait_alu 0xf1ff
	v_cndmask_b32_e64 v48, 0, v48, s0
	v_cmp_gt_i32_e64 s0, s31, v32
	s_wait_alu 0xf1ff
	s_delay_alu instid0(VALU_DEP_1) | instskip(SKIP_2) | instid1(VALU_DEP_1)
	v_cndmask_b32_e64 v2, 0, v2, s0
	v_cmp_gt_i32_e64 s0, s31, v28
	s_wait_alu 0xf1ff
	v_cndmask_b32_e64 v47, 0, v47, s0
	v_cmp_gt_i32_e64 s0, s31, v29
	s_wait_alu 0xf1ff
	s_delay_alu instid0(VALU_DEP_1) | instskip(SKIP_2) | instid1(VALU_DEP_1)
	v_cndmask_b32_e64 v49, 0, v49, s0
	v_cmp_gt_i32_e64 s0, s31, v30
	s_wait_alu 0xf1ff
	v_cndmask_b32_e64 v4, 0, v4, s0
	v_cmp_gt_i32_e64 s0, s31, v27
	s_delay_alu instid0(VALU_DEP_2) | instskip(SKIP_1) | instid1(VALU_DEP_2)
	v_or_b32_e32 v4, v49, v4
	s_wait_alu 0xf1ff
	v_cndmask_b32_e64 v3, 0, v3, s0
	v_cmp_gt_i32_e64 s0, s31, v26
	s_wait_alu 0xf1ff
	s_delay_alu instid0(VALU_DEP_1)
	v_cndmask_b32_e64 v46, 0, v46, s0
.LBB93_53:                              ;   in Loop: Header=BB93_42 Depth=1
	s_or_b32 exec_lo, exec_lo, s9
	v_lshlrev_b32_e32 v48, 16, v48
	v_lshlrev_b32_e32 v47, 16, v47
	s_delay_alu instid0(VALU_DEP_3) | instskip(NEXT) | instid1(VALU_DEP_3)
	v_lshlrev_b32_e32 v46, 16, v46
	v_and_or_b32 v1, 0xffff, v1, v48
	s_delay_alu instid0(VALU_DEP_3) | instskip(NEXT) | instid1(VALU_DEP_3)
	v_and_or_b32 v2, 0xffff, v2, v47
	v_and_or_b32 v3, 0xffff, v3, v46
	;;#ASMSTART
	v_pk_mul_f16 v1, v35, v1;

	;;#ASMEND
	;;#ASMSTART
	v_pk_mul_f16 v2, v34, v2;

	;;#ASMEND
	;; [unrolled: 4-line block ×4, first 2 shown]
	;;#ASMSTART
	v_pk_add_f16 v1, v1, v2;

	;;#ASMEND
	;;#ASMSTART
	v_pk_add_f16 v1, v1, v3;

	;;#ASMEND
	;; [unrolled: 4-line block ×3, first 2 shown]
	v_and_b32_e32 v2, 0xffff, v1
	v_lshrrev_b32_e32 v1, 16, v1
	;;#ASMSTART
	v_cvt_f32_f16 v46, v2;
	;;#ASMEND
	;;#ASMSTART
	v_cvt_f32_f16 v47, v1;
	;;#ASMEND
	global_load_b128 v[1:4], v[7:8], off offset:2560
	s_wait_loadcnt 0x0
	v_lshrrev_b32_e32 v48, 16, v1
	v_lshrrev_b32_e32 v8, 16, v2
	;; [unrolled: 1-line block ×3, first 2 shown]
	s_and_saveexec_b32 s0, vcc_lo
	s_cbranch_execz .LBB93_40
; %bb.54:                               ;   in Loop: Header=BB93_42 Depth=1
	v_cmp_gt_i32_e32 vcc_lo, s31, v31
	v_and_b32_e32 v31, 0xffff, v4
	s_wait_alu 0xfffd
	v_dual_cndmask_b32 v1, 0, v1 :: v_dual_and_b32 v4, 0xffff0000, v4
	v_cmp_gt_i32_e32 vcc_lo, s31, v33
	s_wait_alu 0xfffd
	v_cndmask_b32_e32 v48, 0, v48, vcc_lo
	v_cmp_gt_i32_e32 vcc_lo, s31, v32
	s_wait_alu 0xfffd
	v_cndmask_b32_e32 v2, 0, v2, vcc_lo
	;; [unrolled: 3-line block ×5, first 2 shown]
	v_cmp_gt_i32_e32 vcc_lo, s31, v27
	s_delay_alu instid0(VALU_DEP_2)
	v_or_b32_e32 v4, v28, v4
	s_wait_alu 0xfffd
	v_cndmask_b32_e32 v3, 0, v3, vcc_lo
	v_cmp_gt_i32_e32 vcc_lo, s31, v26
	s_wait_alu 0xfffd
	v_cndmask_b32_e32 v7, 0, v7, vcc_lo
	s_branch .LBB93_40
.LBB93_55:
	s_or_b32 exec_lo, exec_lo, s5
.LBB93_56:
	s_wait_alu 0xfffe
	s_or_b32 exec_lo, exec_lo, s1
	ds_bpermute_b32 v1, v17, v23
	ds_bpermute_b32 v2, v17, v22
	ds_bpermute_b32 v3, v17, v21
	ds_bpermute_b32 v12, v17, v20
	ds_bpermute_b32 v13, v17, v19
	ds_bpermute_b32 v14, v17, v18
	v_lshrrev_b32_e32 v7, 1, v16
	v_mul_u32_u24_e32 v11, 0x180, v11
	v_and_b32_e32 v15, 0x3c1, v0
	s_mov_b32 s0, exec_lo
	s_wait_storecnt 0x0
	s_wait_loadcnt_dscnt 0x0
	v_lshl_add_u32 v8, v7, 2, 0xe0
	s_barrier_signal -1
	s_barrier_wait -1
	global_inv scope:SCOPE_SE
	v_dual_add_f32 v6, v23, v1 :: v_dual_add_f32 v5, v22, v2
	v_dual_add_f32 v4, v21, v3 :: v_dual_add_f32 v3, v20, v12
	v_dual_add_f32 v2, v19, v13 :: v_dual_add_f32 v1, v18, v14
	v_cmpx_eq_u32_e32 64, v15
	s_cbranch_execz .LBB93_58
; %bb.57:
	v_add_nc_u32_e32 v12, v8, v11
	s_delay_alu instid0(VALU_DEP_1)
	v_add_nc_u32_e32 v13, 0xfffffd00, v12
	v_add_nc_u32_e32 v14, 0xfffffd40, v12
	;; [unrolled: 1-line block ×6, first 2 shown]
	ds_store_b32 v13, v6
	ds_store_b32 v14, v5
	;; [unrolled: 1-line block ×6, first 2 shown]
.LBB93_58:
	s_wait_alu 0xfffe
	s_or_b32 exec_lo, exec_lo, s0
	v_lshlrev_b32_e32 v7, 2, v7
	s_mov_b32 s1, exec_lo
	v_cmp_eq_u32_e32 vcc_lo, 0, v10
	s_wait_loadcnt_dscnt 0x0
	s_barrier_signal -1
	v_add3_u32 v7, 0xe0, v11, v7
	s_barrier_wait -1
	global_inv scope:SCOPE_SE
	v_cmpx_gt_u32_e32 64, v0
	s_cbranch_execz .LBB93_67
; %bb.59:
	s_and_saveexec_b32 s0, vcc_lo
	s_cbranch_execnz .LBB93_81
; %bb.60:
	s_wait_alu 0xfffe
	s_or_b32 exec_lo, exec_lo, s0
	s_and_saveexec_b32 s0, vcc_lo
	s_cbranch_execnz .LBB93_82
.LBB93_61:
	s_wait_alu 0xfffe
	s_or_b32 exec_lo, exec_lo, s0
	s_and_saveexec_b32 s0, vcc_lo
	s_cbranch_execnz .LBB93_83
.LBB93_62:
	s_wait_alu 0xfffe
	s_or_b32 exec_lo, exec_lo, s0
	s_and_saveexec_b32 s0, vcc_lo
	s_cbranch_execnz .LBB93_84
.LBB93_63:
	s_wait_alu 0xfffe
	s_or_b32 exec_lo, exec_lo, s0
	s_and_saveexec_b32 s0, vcc_lo
	s_cbranch_execnz .LBB93_85
.LBB93_64:
	s_wait_alu 0xfffe
	s_or_b32 exec_lo, exec_lo, s0
	s_and_saveexec_b32 s0, vcc_lo
	s_cbranch_execz .LBB93_66
.LBB93_65:
	ds_load_b32 v10, v7 offset:320
	s_wait_dscnt 0x0
	v_add_f32_e32 v1, v1, v10
.LBB93_66:
	s_wait_alu 0xfffe
	s_or_b32 exec_lo, exec_lo, s0
.LBB93_67:
	s_wait_alu 0xfffe
	s_or_b32 exec_lo, exec_lo, s1
	v_and_b32_e32 v10, 0x3e1, v0
	s_mov_b32 s1, exec_lo
	s_wait_loadcnt 0x0
	s_barrier_signal -1
	s_barrier_wait -1
	global_inv scope:SCOPE_SE
	v_cmpx_eq_u32_e32 32, v10
	s_cbranch_execz .LBB93_69
; %bb.68:
	ds_store_2addr_b32 v8, v6, v5 offset1:16
	ds_store_2addr_b32 v8, v4, v3 offset0:32 offset1:48
	ds_store_2addr_b32 v8, v2, v1 offset0:64 offset1:80
.LBB93_69:
	s_wait_alu 0xfffe
	s_or_b32 exec_lo, exec_lo, s1
	s_delay_alu instid0(SALU_CYCLE_1)
	s_mov_b32 s1, exec_lo
	s_wait_loadcnt_dscnt 0x0
	s_barrier_signal -1
	s_barrier_wait -1
	global_inv scope:SCOPE_SE
	v_cmpx_gt_u32_e32 32, v0
	s_cbranch_execz .LBB93_78
; %bb.70:
	s_and_saveexec_b32 s0, vcc_lo
	s_cbranch_execnz .LBB93_86
; %bb.71:
	s_wait_alu 0xfffe
	s_or_b32 exec_lo, exec_lo, s0
	s_and_saveexec_b32 s0, vcc_lo
	s_cbranch_execnz .LBB93_87
.LBB93_72:
	s_wait_alu 0xfffe
	s_or_b32 exec_lo, exec_lo, s0
	s_and_saveexec_b32 s0, vcc_lo
	s_cbranch_execnz .LBB93_88
.LBB93_73:
	s_wait_alu 0xfffe
	s_or_b32 exec_lo, exec_lo, s0
	s_and_saveexec_b32 s0, vcc_lo
	s_cbranch_execnz .LBB93_89
.LBB93_74:
	s_wait_alu 0xfffe
	s_or_b32 exec_lo, exec_lo, s0
	s_and_saveexec_b32 s0, vcc_lo
	s_cbranch_execnz .LBB93_90
.LBB93_75:
	s_wait_alu 0xfffe
	s_or_b32 exec_lo, exec_lo, s0
	s_and_saveexec_b32 s0, vcc_lo
	s_cbranch_execz .LBB93_77
.LBB93_76:
	ds_load_b32 v0, v7 offset:320
	s_wait_dscnt 0x0
	v_add_f32_e32 v1, v1, v0
.LBB93_77:
	s_wait_alu 0xfffe
	s_or_b32 exec_lo, exec_lo, s0
.LBB93_78:
	s_wait_alu 0xfffe
	s_or_b32 exec_lo, exec_lo, s1
	s_mov_b32 s1, 0
	s_wait_loadcnt 0x0
	s_barrier_signal -1
	s_barrier_wait -1
	global_inv scope:SCOPE_SE
	s_mov_b32 s0, exec_lo
	v_cmpx_eq_u32_e32 0, v10
	s_cbranch_execz .LBB93_80
; %bb.79:
	s_mul_i32 s2, s22, 0x60
	s_wait_kmcnt 0x0
	s_mul_i32 s4, s8, s16
	s_wait_alu 0xfffe
	s_ashr_i32 s3, s2, 31
	s_ashr_i32 s5, s4, 31
	s_wait_alu 0xfffe
	s_lshl_b64 s[2:3], s[2:3], 1
	s_lshl_b64 s[4:5], s[4:5], 1
	s_wait_alu 0xfffe
	s_add_nc_u64 s[2:3], s[14:15], s[2:3]
	v_lshlrev_b32_e32 v0, 1, v9
	s_mul_i32 s0, s30, 0xc0
	s_wait_alu 0xfffe
	s_add_nc_u64 s[2:3], s[2:3], s[4:5]
	;;#ASMSTART
	v_cvt_f16_f32 v6, v6;

	;;#ASMEND
	s_wait_alu 0xfffe
	s_add_nc_u64 s[0:1], s[2:3], s[0:1]
	global_store_b16 v0, v6, s[0:1]
	;;#ASMSTART
	v_cvt_f16_f32 v5, v5;

	;;#ASMEND
	global_store_b16 v0, v5, s[0:1] offset:32
	;;#ASMSTART
	v_cvt_f16_f32 v4, v4;

	;;#ASMEND
	global_store_b16 v0, v4, s[0:1] offset:64
	;; [unrolled: 5-line block ×5, first 2 shown]
.LBB93_80:
	s_nop 0
	s_sendmsg sendmsg(MSG_DEALLOC_VGPRS)
	s_endpgm
.LBB93_81:
	ds_load_b32 v10, v7
	s_wait_dscnt 0x0
	v_add_f32_e32 v6, v6, v10
	s_wait_alu 0xfffe
	s_or_b32 exec_lo, exec_lo, s0
	s_and_saveexec_b32 s0, vcc_lo
	s_cbranch_execz .LBB93_61
.LBB93_82:
	ds_load_b32 v10, v7 offset:64
	s_wait_dscnt 0x0
	v_add_f32_e32 v5, v5, v10
	s_wait_alu 0xfffe
	s_or_b32 exec_lo, exec_lo, s0
	s_and_saveexec_b32 s0, vcc_lo
	s_cbranch_execz .LBB93_62
.LBB93_83:
	ds_load_b32 v10, v7 offset:128
	s_wait_dscnt 0x0
	v_add_f32_e32 v4, v4, v10
	s_wait_alu 0xfffe
	s_or_b32 exec_lo, exec_lo, s0
	s_and_saveexec_b32 s0, vcc_lo
	s_cbranch_execz .LBB93_63
.LBB93_84:
	ds_load_b32 v10, v7 offset:192
	s_wait_dscnt 0x0
	v_add_f32_e32 v3, v3, v10
	s_wait_alu 0xfffe
	s_or_b32 exec_lo, exec_lo, s0
	s_and_saveexec_b32 s0, vcc_lo
	s_cbranch_execz .LBB93_64
.LBB93_85:
	ds_load_b32 v10, v7 offset:256
	s_wait_dscnt 0x0
	v_add_f32_e32 v2, v2, v10
	s_wait_alu 0xfffe
	s_or_b32 exec_lo, exec_lo, s0
	s_and_saveexec_b32 s0, vcc_lo
	s_cbranch_execnz .LBB93_65
	s_branch .LBB93_66
.LBB93_86:
	ds_load_b32 v0, v7
	s_wait_dscnt 0x0
	v_add_f32_e32 v6, v6, v0
	s_wait_alu 0xfffe
	s_or_b32 exec_lo, exec_lo, s0
	s_and_saveexec_b32 s0, vcc_lo
	s_cbranch_execz .LBB93_72
.LBB93_87:
	ds_load_b32 v0, v7 offset:64
	s_wait_dscnt 0x0
	v_add_f32_e32 v5, v5, v0
	s_wait_alu 0xfffe
	s_or_b32 exec_lo, exec_lo, s0
	s_and_saveexec_b32 s0, vcc_lo
	s_cbranch_execz .LBB93_73
.LBB93_88:
	ds_load_b32 v0, v7 offset:128
	s_wait_dscnt 0x0
	v_add_f32_e32 v4, v4, v0
	s_wait_alu 0xfffe
	s_or_b32 exec_lo, exec_lo, s0
	s_and_saveexec_b32 s0, vcc_lo
	s_cbranch_execz .LBB93_74
.LBB93_89:
	ds_load_b32 v0, v7 offset:192
	s_wait_dscnt 0x0
	v_add_f32_e32 v3, v3, v0
	s_wait_alu 0xfffe
	s_or_b32 exec_lo, exec_lo, s0
	s_and_saveexec_b32 s0, vcc_lo
	s_cbranch_execz .LBB93_75
.LBB93_90:
	ds_load_b32 v0, v7 offset:256
	s_wait_dscnt 0x0
	v_add_f32_e32 v2, v2, v0
	s_wait_alu 0xfffe
	s_or_b32 exec_lo, exec_lo, s0
	s_and_saveexec_b32 s0, vcc_lo
	s_cbranch_execnz .LBB93_76
	s_branch .LBB93_77
	.section	.rodata,"a",@progbits
	.p2align	6, 0x0
	.amdhsa_kernel _ZN4vllm25paged_attention_v2_kernelIttLi96ELi16ELi128ELNS_18Fp8KVCacheDataTypeE0ELb1ELi512EEEvPfS2_PT_PKS3_PKT0_S9_ifPKiSB_iPKfiiiSD_SD_iiiii
		.amdhsa_group_segment_fixed_size 224
		.amdhsa_private_segment_fixed_size 0
		.amdhsa_kernarg_size 400
		.amdhsa_user_sgpr_count 2
		.amdhsa_user_sgpr_dispatch_ptr 0
		.amdhsa_user_sgpr_queue_ptr 0
		.amdhsa_user_sgpr_kernarg_segment_ptr 1
		.amdhsa_user_sgpr_dispatch_id 0
		.amdhsa_user_sgpr_private_segment_size 0
		.amdhsa_wavefront_size32 1
		.amdhsa_uses_dynamic_stack 0
		.amdhsa_enable_private_segment 0
		.amdhsa_system_sgpr_workgroup_id_x 1
		.amdhsa_system_sgpr_workgroup_id_y 1
		.amdhsa_system_sgpr_workgroup_id_z 1
		.amdhsa_system_sgpr_workgroup_info 0
		.amdhsa_system_vgpr_workitem_id 0
		.amdhsa_next_free_vgpr 105
		.amdhsa_next_free_sgpr 42
		.amdhsa_reserve_vcc 1
		.amdhsa_float_round_mode_32 0
		.amdhsa_float_round_mode_16_64 0
		.amdhsa_float_denorm_mode_32 3
		.amdhsa_float_denorm_mode_16_64 3
		.amdhsa_fp16_overflow 0
		.amdhsa_workgroup_processor_mode 1
		.amdhsa_memory_ordered 1
		.amdhsa_forward_progress 1
		.amdhsa_inst_pref_size 63
		.amdhsa_round_robin_scheduling 0
		.amdhsa_exception_fp_ieee_invalid_op 0
		.amdhsa_exception_fp_denorm_src 0
		.amdhsa_exception_fp_ieee_div_zero 0
		.amdhsa_exception_fp_ieee_overflow 0
		.amdhsa_exception_fp_ieee_underflow 0
		.amdhsa_exception_fp_ieee_inexact 0
		.amdhsa_exception_int_div_zero 0
	.end_amdhsa_kernel
	.section	.text._ZN4vllm25paged_attention_v2_kernelIttLi96ELi16ELi128ELNS_18Fp8KVCacheDataTypeE0ELb1ELi512EEEvPfS2_PT_PKS3_PKT0_S9_ifPKiSB_iPKfiiiSD_SD_iiiii,"axG",@progbits,_ZN4vllm25paged_attention_v2_kernelIttLi96ELi16ELi128ELNS_18Fp8KVCacheDataTypeE0ELb1ELi512EEEvPfS2_PT_PKS3_PKT0_S9_ifPKiSB_iPKfiiiSD_SD_iiiii,comdat
.Lfunc_end93:
	.size	_ZN4vllm25paged_attention_v2_kernelIttLi96ELi16ELi128ELNS_18Fp8KVCacheDataTypeE0ELb1ELi512EEEvPfS2_PT_PKS3_PKT0_S9_ifPKiSB_iPKfiiiSD_SD_iiiii, .Lfunc_end93-_ZN4vllm25paged_attention_v2_kernelIttLi96ELi16ELi128ELNS_18Fp8KVCacheDataTypeE0ELb1ELi512EEEvPfS2_PT_PKS3_PKT0_S9_ifPKiSB_iPKfiiiSD_SD_iiiii
                                        ; -- End function
	.set _ZN4vllm25paged_attention_v2_kernelIttLi96ELi16ELi128ELNS_18Fp8KVCacheDataTypeE0ELb1ELi512EEEvPfS2_PT_PKS3_PKT0_S9_ifPKiSB_iPKfiiiSD_SD_iiiii.num_vgpr, 105
	.set _ZN4vllm25paged_attention_v2_kernelIttLi96ELi16ELi128ELNS_18Fp8KVCacheDataTypeE0ELb1ELi512EEEvPfS2_PT_PKS3_PKT0_S9_ifPKiSB_iPKfiiiSD_SD_iiiii.num_agpr, 0
	.set _ZN4vllm25paged_attention_v2_kernelIttLi96ELi16ELi128ELNS_18Fp8KVCacheDataTypeE0ELb1ELi512EEEvPfS2_PT_PKS3_PKT0_S9_ifPKiSB_iPKfiiiSD_SD_iiiii.numbered_sgpr, 42
	.set _ZN4vllm25paged_attention_v2_kernelIttLi96ELi16ELi128ELNS_18Fp8KVCacheDataTypeE0ELb1ELi512EEEvPfS2_PT_PKS3_PKT0_S9_ifPKiSB_iPKfiiiSD_SD_iiiii.num_named_barrier, 0
	.set _ZN4vllm25paged_attention_v2_kernelIttLi96ELi16ELi128ELNS_18Fp8KVCacheDataTypeE0ELb1ELi512EEEvPfS2_PT_PKS3_PKT0_S9_ifPKiSB_iPKfiiiSD_SD_iiiii.private_seg_size, 0
	.set _ZN4vllm25paged_attention_v2_kernelIttLi96ELi16ELi128ELNS_18Fp8KVCacheDataTypeE0ELb1ELi512EEEvPfS2_PT_PKS3_PKT0_S9_ifPKiSB_iPKfiiiSD_SD_iiiii.uses_vcc, 1
	.set _ZN4vllm25paged_attention_v2_kernelIttLi96ELi16ELi128ELNS_18Fp8KVCacheDataTypeE0ELb1ELi512EEEvPfS2_PT_PKS3_PKT0_S9_ifPKiSB_iPKfiiiSD_SD_iiiii.uses_flat_scratch, 0
	.set _ZN4vllm25paged_attention_v2_kernelIttLi96ELi16ELi128ELNS_18Fp8KVCacheDataTypeE0ELb1ELi512EEEvPfS2_PT_PKS3_PKT0_S9_ifPKiSB_iPKfiiiSD_SD_iiiii.has_dyn_sized_stack, 0
	.set _ZN4vllm25paged_attention_v2_kernelIttLi96ELi16ELi128ELNS_18Fp8KVCacheDataTypeE0ELb1ELi512EEEvPfS2_PT_PKS3_PKT0_S9_ifPKiSB_iPKfiiiSD_SD_iiiii.has_recursion, 0
	.set _ZN4vllm25paged_attention_v2_kernelIttLi96ELi16ELi128ELNS_18Fp8KVCacheDataTypeE0ELb1ELi512EEEvPfS2_PT_PKS3_PKT0_S9_ifPKiSB_iPKfiiiSD_SD_iiiii.has_indirect_call, 0
	.section	.AMDGPU.csdata,"",@progbits
; Kernel info:
; codeLenInByte = 7944
; TotalNumSgprs: 44
; NumVgprs: 105
; ScratchSize: 0
; MemoryBound: 0
; FloatMode: 240
; IeeeMode: 1
; LDSByteSize: 224 bytes/workgroup (compile time only)
; SGPRBlocks: 0
; VGPRBlocks: 13
; NumSGPRsForWavesPerEU: 44
; NumVGPRsForWavesPerEU: 105
; Occupancy: 12
; WaveLimiterHint : 1
; COMPUTE_PGM_RSRC2:SCRATCH_EN: 0
; COMPUTE_PGM_RSRC2:USER_SGPR: 2
; COMPUTE_PGM_RSRC2:TRAP_HANDLER: 0
; COMPUTE_PGM_RSRC2:TGID_X_EN: 1
; COMPUTE_PGM_RSRC2:TGID_Y_EN: 1
; COMPUTE_PGM_RSRC2:TGID_Z_EN: 1
; COMPUTE_PGM_RSRC2:TIDIG_COMP_CNT: 0
	.section	.text._ZN4vllm25paged_attention_v2_kernelIttLi112ELi16ELi128ELNS_18Fp8KVCacheDataTypeE0ELb1ELi512EEEvPfS2_PT_PKS3_PKT0_S9_ifPKiSB_iPKfiiiSD_SD_iiiii,"axG",@progbits,_ZN4vllm25paged_attention_v2_kernelIttLi112ELi16ELi128ELNS_18Fp8KVCacheDataTypeE0ELb1ELi512EEEvPfS2_PT_PKS3_PKT0_S9_ifPKiSB_iPKfiiiSD_SD_iiiii,comdat
	.protected	_ZN4vllm25paged_attention_v2_kernelIttLi112ELi16ELi128ELNS_18Fp8KVCacheDataTypeE0ELb1ELi512EEEvPfS2_PT_PKS3_PKT0_S9_ifPKiSB_iPKfiiiSD_SD_iiiii ; -- Begin function _ZN4vllm25paged_attention_v2_kernelIttLi112ELi16ELi128ELNS_18Fp8KVCacheDataTypeE0ELb1ELi512EEEvPfS2_PT_PKS3_PKT0_S9_ifPKiSB_iPKfiiiSD_SD_iiiii
	.globl	_ZN4vllm25paged_attention_v2_kernelIttLi112ELi16ELi128ELNS_18Fp8KVCacheDataTypeE0ELb1ELi512EEEvPfS2_PT_PKS3_PKT0_S9_ifPKiSB_iPKfiiiSD_SD_iiiii
	.p2align	8
	.type	_ZN4vllm25paged_attention_v2_kernelIttLi112ELi16ELi128ELNS_18Fp8KVCacheDataTypeE0ELb1ELi512EEEvPfS2_PT_PKS3_PKT0_S9_ifPKiSB_iPKfiiiSD_SD_iiiii,@function
_ZN4vllm25paged_attention_v2_kernelIttLi112ELi16ELi128ELNS_18Fp8KVCacheDataTypeE0ELb1ELi512EEEvPfS2_PT_PKS3_PKT0_S9_ifPKiSB_iPKfiiiSD_SD_iiiii: ; @_ZN4vllm25paged_attention_v2_kernelIttLi112ELi16ELi128ELNS_18Fp8KVCacheDataTypeE0ELb1ELi512EEEvPfS2_PT_PKS3_PKT0_S9_ifPKiSB_iPKfiiiSD_SD_iiiii
; %bb.0:
	s_load_b64 s[2:3], s[0:1], 0x40
	s_and_b32 s26, ttmp7, 0xffff
	s_lshr_b32 s30, ttmp7, 16
	s_lshl_b32 s4, s26, 2
	s_lshl_b32 s33, s30, 9
	s_wait_kmcnt 0x0
	s_load_b32 s31, s[2:3], s4 offset:0x0
	s_wait_kmcnt 0x0
	s_cmp_ge_i32 s33, s31
	s_cbranch_scc1 .LBB94_84
; %bb.1:
	s_clause 0x1
	s_load_b32 s27, s[0:1], 0x90
	s_load_b64 s[6:7], s[0:1], 0x30
	s_wait_kmcnt 0x0
	s_abs_i32 s5, s27
	s_abs_i32 s2, s6
	s_delay_alu instid0(SALU_CYCLE_1) | instskip(SKIP_1) | instid1(SALU_CYCLE_2)
	s_cvt_f32_u32 s3, s2
	s_sub_co_i32 s4, 0, s2
	v_rcp_iflag_f32_e32 v1, s3
	s_delay_alu instid0(TRANS32_DEP_1) | instskip(SKIP_2) | instid1(SALU_CYCLE_2)
	v_readfirstlane_b32 s3, v1
	s_mul_f32 s3, s3, 0x4f7ffffe
	s_wait_alu 0xfffe
	s_cvt_u32_f32 s3, s3
	s_wait_alu 0xfffe
	s_delay_alu instid0(SALU_CYCLE_2) | instskip(NEXT) | instid1(SALU_CYCLE_1)
	s_mul_i32 s4, s4, s3
	s_mul_hi_u32 s4, s3, s4
	s_delay_alu instid0(SALU_CYCLE_1)
	s_add_co_i32 s3, s3, s4
	s_xor_b32 s4, s27, s6
	s_wait_alu 0xfffe
	s_mul_hi_u32 s3, s5, s3
	s_ashr_i32 s4, s4, 31
	s_wait_alu 0xfffe
	s_mul_i32 s8, s3, s2
	s_delay_alu instid0(SALU_CYCLE_1)
	s_sub_co_i32 s5, s5, s8
	s_add_co_i32 s8, s3, 1
	s_sub_co_i32 s9, s5, s2
	s_cmp_ge_u32 s5, s2
	s_cselect_b32 s3, s8, s3
	s_cselect_b32 s5, s9, s5
	s_wait_alu 0xfffe
	s_add_co_i32 s8, s3, 1
	s_cmp_ge_u32 s5, s2
	s_cselect_b32 s2, s8, s3
	s_load_b64 s[8:9], s[0:1], 0x50
	s_xor_b32 s2, s2, s4
	s_mov_b32 s3, 0
	s_wait_alu 0xfffe
	s_sub_co_i32 s10, s2, s4
	s_mov_b32 s15, s3
	s_abs_i32 s18, s10
	s_delay_alu instid0(SALU_CYCLE_1) | instskip(SKIP_1) | instid1(SALU_CYCLE_2)
	s_cvt_f32_u32 s2, s18
	s_wait_alu 0xfffe
	v_rcp_iflag_f32_e32 v1, s2
	s_delay_alu instid0(TRANS32_DEP_1) | instskip(SKIP_2) | instid1(SALU_CYCLE_2)
	v_readfirstlane_b32 s2, v1
	s_mul_f32 s2, s2, 0x4f7ffffe
	s_wait_alu 0xfffe
	s_cvt_u32_f32 s4, s2
	s_sub_co_i32 s2, 0, s18
	s_wait_alu 0xfffe
	s_delay_alu instid0(SALU_CYCLE_1)
	s_mul_i32 s2, s2, s4
	s_wait_alu 0xfffe
	s_mul_hi_u32 s5, s4, s2
	s_abs_i32 s2, ttmp9
	s_add_co_i32 s4, s4, s5
	s_mov_b32 s5, s3
	s_wait_kmcnt 0x0
	s_cmp_eq_u64 s[8:9], 0
	s_cbranch_scc1 .LBB94_3
; %bb.2:
	s_mov_b32 s12, ttmp9
	s_ashr_i32 s13, ttmp9, 31
	s_delay_alu instid0(SALU_CYCLE_1) | instskip(NEXT) | instid1(SALU_CYCLE_1)
	s_lshl_b64 s[12:13], s[12:13], 2
	s_add_nc_u64 s[8:9], s[8:9], s[12:13]
	s_load_b32 s15, s[8:9], 0x0
.LBB94_3:
	s_load_b96 s[12:14], s[0:1], 0x58
	v_lshrrev_b32_e32 v21, 1, v0
	v_and_b32_e32 v22, 1, v0
	v_lshlrev_b32_e32 v26, 3, v0
	s_mul_u64 s[4:5], s[2:3], s[4:5]
	s_ashr_i32 s3, ttmp9, 31
	s_ashr_i32 s4, s10, 31
	s_mul_i32 s16, ttmp9, 0x70
	s_mov_b32 s8, exec_lo
	v_cmpx_gt_u32_e32 28, v0
	s_cbranch_execz .LBB94_5
; %bb.4:
	s_load_b64 s[10:11], s[0:1], 0x18
	s_wait_kmcnt 0x0
	s_mul_i32 s20, s12, s26
	s_ashr_i32 s17, s16, 31
	s_ashr_i32 s21, s20, 31
	v_lshlrev_b32_e32 v3, 3, v21
	s_lshl_b64 s[20:21], s[20:21], 1
	s_delay_alu instid0(VALU_DEP_1) | instskip(SKIP_2) | instid1(SALU_CYCLE_1)
	v_mad_u32_u24 v3, 0x70, v22, v3
	s_add_nc_u64 s[10:11], s[10:11], s[20:21]
	s_lshl_b64 s[20:21], s[16:17], 1
	s_add_nc_u64 s[10:11], s[10:11], s[20:21]
	global_load_b64 v[1:2], v26, s[10:11]
	s_wait_loadcnt 0x0
	ds_store_b64 v3, v[1:2]
.LBB94_5:
	s_or_b32 exec_lo, exec_lo, s8
	s_clause 0x1
	s_load_b128 s[8:11], s[0:1], 0x78
	s_load_b32 s20, s[0:1], 0x88
	s_wait_kmcnt 0x0
	s_mul_i32 s12, s5, s18
	s_xor_b32 s3, s3, s4
	s_sub_co_i32 s2, s2, s12
	s_add_co_i32 s4, s5, 1
	s_wait_alu 0xfffe
	s_sub_co_i32 s12, s2, s18
	s_cmp_ge_u32 s2, s18
	s_mov_b32 s22, -1
	s_cselect_b32 s4, s4, s5
	s_cselect_b32 s2, s12, s2
	s_add_co_i32 s5, s4, 1
	s_wait_alu 0xfffe
	s_cmp_ge_u32 s2, s18
	s_wait_dscnt 0x0
	s_cselect_b32 s2, s5, s4
	s_add_co_i32 s21, s31, -1
	s_wait_alu 0xfffe
	s_xor_b32 s2, s2, s3
	s_barrier_signal -1
	s_wait_alu 0xfffe
	s_sub_co_i32 s24, s2, s3
	s_barrier_wait -1
	s_abs_i32 s12, s11
	global_inv scope:SCOPE_SE
	s_cvt_f32_u32 s4, s12
                                        ; implicit-def: $sgpr17
	s_delay_alu instid0(SALU_CYCLE_3) | instskip(NEXT) | instid1(TRANS32_DEP_1)
	v_rcp_iflag_f32_e32 v1, s4
	v_readfirstlane_b32 s4, v1
	s_mul_f32 s2, s4, 0x4f7ffffe
	s_wait_alu 0xfffe
	s_delay_alu instid0(SALU_CYCLE_2) | instskip(SKIP_2) | instid1(SALU_CYCLE_1)
	s_cvt_u32_f32 s4, s2
	s_sub_co_i32 s2, 0, s12
	s_wait_alu 0xfffe
	s_mul_i32 s3, s2, s4
	s_abs_i32 s2, s21
	s_wait_alu 0xfffe
	s_mul_hi_u32 s5, s4, s3
	s_mov_b32 s3, 0
	s_wait_alu 0xfffe
	s_add_co_i32 s18, s4, s5
	s_cmp_lt_i32 s20, 0
	s_mov_b32 s19, s3
	s_cbranch_scc0 .LBB94_7
; %bb.6:
	s_mul_i32 s4, s8, s6
	s_mov_b32 s22, s3
	s_wait_alu 0xfffe
	s_add_co_i32 s4, s24, s4
	s_wait_alu 0xfffe
	s_mul_i32 s4, s4, s20
	s_wait_alu 0xfffe
	s_sub_co_i32 s17, 1, s4
.LBB94_7:
	s_mul_u64 s[4:5], s[2:3], s[18:19]
	s_ashr_i32 s3, s21, 31
	s_and_not1_b32 vcc_lo, exec_lo, s22
	s_ashr_i32 s11, s11, 31
	s_cbranch_vccnz .LBB94_9
; %bb.8:
	s_mul_i32 s4, s27, s8
	s_wait_alu 0xfffe
	s_add_co_i32 s4, s4, ttmp9
	s_wait_alu 0xfffe
	s_mul_i32 s4, s4, s20
	s_wait_alu 0xfffe
	s_add_co_i32 s17, s4, 1
.LBB94_9:
	s_clause 0x2
	s_load_b32 s4, s[0:1], 0x48
	s_load_b64 s[20:21], s[0:1], 0x38
	s_load_b32 s8, s[0:1], 0x98
	s_mul_i32 s6, s5, s12
	s_xor_b32 s3, s3, s11
	s_sub_co_i32 s2, s2, s6
	s_add_co_i32 s19, s5, 1
	v_lshrrev_b32_e32 v23, 5, v0
	v_mov_b32_e32 v29, 0xff7fffff
	v_mbcnt_lo_u32_b32 v28, -1, 0
	s_mul_i32 s24, s24, s14
	s_delay_alu instid0(VALU_DEP_3)
	v_lshl_add_u32 v24, v23, 4, s33
	s_wait_kmcnt 0x0
	s_mul_i32 s22, s4, s26
	s_wait_alu 0xfffe
	s_sub_co_i32 s4, s2, s12
	s_ashr_i32 s23, s22, 31
	s_cmp_ge_u32 s2, s12
	s_cselect_b32 s5, s19, s5
	s_wait_alu 0xfffe
	s_cselect_b32 s2, s4, s2
	s_add_co_i32 s4, s5, 1
	s_wait_alu 0xfffe
	s_cmp_ge_u32 s2, s12
	s_cselect_b32 s2, s4, s5
	s_add_co_i32 s4, s31, 15
	s_lshl_b32 s36, s30, 5
	s_wait_alu 0xfffe
	s_ashr_i32 s5, s4, 31
	v_or_b32_e32 v25, s36, v23
	s_wait_alu 0xfffe
	s_lshr_b32 s5, s5, 28
	s_wait_alu 0xfffe
	s_add_co_i32 s4, s4, s5
	s_add_co_i32 s5, s36, 32
	s_wait_alu 0xfffe
	s_ashr_i32 s34, s4, 4
	s_xor_b32 s4, s2, s3
	s_min_i32 s19, s5, s34
	v_lshlrev_b32_e32 v27, 2, v25
	v_cmp_gt_i32_e64 s2, s19, v25
	s_wait_alu 0xfffe
	s_sub_co_i32 s35, s4, s3
	s_and_saveexec_b32 s6, s2
	s_cbranch_execz .LBB94_21
; %bb.10:
	s_ashr_i32 s25, s24, 31
	s_sub_co_i32 s14, s35, s9
	s_lshl_b64 s[4:5], s[24:25], 1
	s_cmp_neq_f32 s15, 0
	s_load_b64 s[38:39], s[0:1], 0x20
	v_bfe_u32 v30, v0, 1, 4
	v_dual_mov_b32 v37, 0xff7fffff :: v_dual_and_b32 v2, 8, v26
	s_cselect_b32 vcc_lo, -1, 0
	s_abs_i32 s25, s10
	s_delay_alu instid0(VALU_DEP_2)
	v_lshlrev_b32_e32 v3, 4, v30
	s_cvt_f32_u32 s3, s25
	v_lshlrev_b32_e32 v5, 2, v30
	s_lshl_b64 s[40:41], s[22:23], 2
	v_subrev_nc_u32_e32 v4, s31, v30
	s_wait_alu 0xfffe
	v_rcp_iflag_f32_e32 v1, s3
	s_add_nc_u64 s[40:41], s[20:21], s[40:41]
	v_lshl_or_b32 v5, v23, 6, v5
	s_sub_co_i32 s37, 0, s25
	v_cmp_eq_u32_e64 s3, 0, v22
	v_mul_u32_u24_e32 v31, 0x70, v22
	v_lshl_add_u32 v34, v23, 4, s33
	v_add_nc_u32_e32 v35, 1, v4
	v_dual_mov_b32 v39, v25 :: v_dual_add_nc_u32 v36, 0x100, v5
	s_delay_alu instid0(TRANS32_DEP_1)
	v_readfirstlane_b32 s29, v1
	s_wait_kmcnt 0x0
	s_add_nc_u64 s[4:5], s[38:39], s[4:5]
	v_xor_b32_e32 v38, 1, v28
	s_wait_alu 0xfffe
	v_add_co_u32 v1, s4, s4, v3
	s_mul_f32 s29, s29, 0x4f7ffffe
	s_wait_alu 0xf1ff
	v_add_co_ci_u32_e64 v3, null, s5, 0, s4
	v_add_co_u32 v32, s4, v1, v2
	s_cvt_u32_f32 s5, s29
	s_wait_alu 0xf1ff
	v_add_co_ci_u32_e64 v33, null, 0, v3, s4
	v_add_co_u32 v1, s4, s40, v27
	s_wait_alu 0xfffe
	s_mul_i32 s37, s37, s5
	v_add_co_ci_u32_e64 v2, null, s41, 0, s4
	v_mov_b32_e32 v29, 0xff7fffff
	s_wait_alu 0xfffe
	s_mul_hi_u32 s4, s5, s37
	s_mov_b32 s28, 0
	s_mov_b32 s29, s13
	s_wait_alu 0xfffe
	s_add_co_i32 s37, s5, s4
	s_branch .LBB94_13
.LBB94_11:                              ;   in Loop: Header=BB94_13 Depth=1
	s_or_b32 exec_lo, exec_lo, s38
.LBB94_12:                              ;   in Loop: Header=BB94_13 Depth=1
	s_wait_alu 0xfffe
	s_or_b32 exec_lo, exec_lo, s5
	v_add_nc_u32_e32 v39, 4, v39
	v_add_co_u32 v1, s5, v1, 16
	s_wait_alu 0xf1ff
	v_add_co_ci_u32_e64 v2, null, 0, v2, s5
	s_delay_alu instid0(VALU_DEP_3)
	v_cmp_le_i32_e64 s4, s19, v39
	v_add_nc_u32_e32 v34, 64, v34
	v_add_nc_u32_e32 v36, 0x100, v36
	s_or_b32 s28, s4, s28
	s_wait_alu 0xfffe
	s_and_not1_b32 exec_lo, exec_lo, s28
	s_cbranch_execz .LBB94_20
.LBB94_13:                              ; =>This Inner Loop Header: Depth=1
	v_sub_nc_u32_e32 v3, 0, v34
	s_delay_alu instid0(VALU_DEP_1) | instskip(SKIP_1) | instid1(VALU_DEP_1)
	v_max_i32_e32 v3, v34, v3
	s_wait_dscnt 0x0
	v_mul_hi_u32 v4, v3, s18
	s_delay_alu instid0(VALU_DEP_1) | instskip(NEXT) | instid1(VALU_DEP_1)
	v_mul_lo_u32 v5, v4, s12
	v_sub_nc_u32_e32 v3, v3, v5
	v_add_nc_u32_e32 v5, 1, v4
	s_delay_alu instid0(VALU_DEP_2) | instskip(SKIP_2) | instid1(VALU_DEP_1)
	v_subrev_nc_u32_e32 v6, s12, v3
	v_cmp_le_u32_e64 s4, s12, v3
	s_wait_alu 0xf1ff
	v_cndmask_b32_e64 v4, v4, v5, s4
	s_delay_alu instid0(VALU_DEP_3) | instskip(SKIP_1) | instid1(VALU_DEP_3)
	v_cndmask_b32_e64 v3, v3, v6, s4
	v_ashrrev_i32_e32 v5, 31, v34
	v_add_nc_u32_e32 v6, 1, v4
	s_delay_alu instid0(VALU_DEP_3) | instskip(NEXT) | instid1(VALU_DEP_3)
	v_cmp_le_u32_e64 s4, s12, v3
	v_xor_b32_e32 v5, s11, v5
	s_wait_alu 0xf1ff
	s_delay_alu instid0(VALU_DEP_2) | instskip(NEXT) | instid1(VALU_DEP_1)
	v_cndmask_b32_e64 v3, v4, v6, s4
	v_xor_b32_e32 v3, v3, v5
	s_delay_alu instid0(VALU_DEP_1) | instskip(NEXT) | instid1(VALU_DEP_1)
	v_sub_nc_u32_e32 v3, v3, v5
	v_add_nc_u32_e32 v4, s17, v3
	v_cmp_ge_i32_e64 s5, s14, v3
	s_delay_alu instid0(VALU_DEP_2) | instskip(NEXT) | instid1(VALU_DEP_1)
	v_sub_nc_u32_e32 v5, 0, v4
	v_max_i32_e32 v5, v4, v5
	v_ashrrev_i32_e32 v4, 31, v4
	s_wait_alu 0xfffe
	s_delay_alu instid0(VALU_DEP_2) | instskip(NEXT) | instid1(VALU_DEP_1)
	v_mul_hi_u32 v6, v5, s37
	v_mul_lo_u32 v6, v6, s25
	s_delay_alu instid0(VALU_DEP_1) | instskip(NEXT) | instid1(VALU_DEP_1)
	v_sub_nc_u32_e32 v5, v5, v6
	v_subrev_nc_u32_e32 v6, s25, v5
	v_cmp_le_u32_e64 s4, s25, v5
	s_wait_alu 0xf1ff
	s_delay_alu instid0(VALU_DEP_1) | instskip(NEXT) | instid1(VALU_DEP_1)
	v_cndmask_b32_e64 v5, v5, v6, s4
	v_subrev_nc_u32_e32 v6, s25, v5
	v_cmp_le_u32_e64 s4, s25, v5
	s_wait_alu 0xf1ff
	s_delay_alu instid0(VALU_DEP_1) | instskip(NEXT) | instid1(VALU_DEP_1)
	v_cndmask_b32_e64 v5, v5, v6, s4
	v_xor_b32_e32 v5, v5, v4
	s_delay_alu instid0(VALU_DEP_1) | instskip(NEXT) | instid1(VALU_DEP_1)
	v_sub_nc_u32_e32 v4, v5, v4
	v_cmp_ne_u32_e64 s4, 0, v4
	s_and_b32 s4, s4, s5
	s_wait_alu 0xfffe
	s_and_saveexec_b32 s5, s4
	s_wait_alu 0xfffe
	s_xor_b32 s4, exec_lo, s5
	s_cbranch_execz .LBB94_17
; %bb.14:                               ;   in Loop: Header=BB94_13 Depth=1
	s_and_saveexec_b32 s5, s3
; %bb.15:                               ;   in Loop: Header=BB94_13 Depth=1
	ds_store_b32 v36, v37
; %bb.16:                               ;   in Loop: Header=BB94_13 Depth=1
	s_wait_alu 0xfffe
	s_or_b32 exec_lo, exec_lo, s5
.LBB94_17:                              ;   in Loop: Header=BB94_13 Depth=1
	s_wait_alu 0xfffe
	s_and_not1_saveexec_b32 s5, s4
	s_cbranch_execz .LBB94_12
; %bb.18:                               ;   in Loop: Header=BB94_13 Depth=1
	global_load_b32 v3, v[1:2], off
	s_wait_loadcnt 0x0
	v_mad_co_i64_i32 v[3:4], null, v3, s29, 0
	s_delay_alu instid0(VALU_DEP_1) | instskip(NEXT) | instid1(VALU_DEP_1)
	v_lshlrev_b64_e32 v[3:4], 1, v[3:4]
	v_add_co_u32 v3, s4, v32, v3
	s_wait_alu 0xf1ff
	s_delay_alu instid0(VALU_DEP_2)
	v_add_co_ci_u32_e64 v4, null, v33, v4, s4
	v_cmp_gt_i32_e64 s4, 32, v38
	s_clause 0x9
	global_load_b64 v[41:42], v[3:4], off
	global_load_b64 v[48:49], v[3:4], off offset:256
	global_load_b64 v[56:57], v[3:4], off offset:512
	;; [unrolled: 1-line block ×9, first 2 shown]
	ds_load_b64 v[5:6], v31
	s_wait_dscnt 0x0
	v_lshrrev_b32_e32 v43, 16, v5
	v_and_b32_e32 v40, 0xffff, v5
	v_lshrrev_b32_e32 v44, 16, v6
	v_and_b32_e32 v46, 0xffff, v6
	s_clause 0x3
	global_load_b64 v[9:10], v[3:4], off offset:2560
	global_load_b64 v[7:8], v[3:4], off offset:2816
	;; [unrolled: 1-line block ×4, first 2 shown]
	;;#ASMSTART
	v_cvt_f32_f16 v40, v40;
	;;#ASMEND
	s_wait_loadcnt 0xd
	v_and_b32_e32 v45, 0xffff, v41
	v_lshrrev_b32_e32 v47, 16, v41
	v_lshrrev_b32_e32 v50, 16, v42
	v_and_b32_e32 v51, 0xffff, v42
	;;#ASMSTART
	v_cvt_f32_f16 v41, v43;
	;;#ASMEND
	;;#ASMSTART
	v_cvt_f32_f16 v45, v45;
	;;#ASMEND
	;; [unrolled: 3-line block ×7, first 2 shown]
	ds_load_b64 v[50:51], v31 offset:8
	s_wait_loadcnt 0xc
	v_lshrrev_b32_e32 v52, 16, v48
	v_and_b32_e32 v53, 0xffff, v48
	v_lshrrev_b32_e32 v58, 16, v49
	v_and_b32_e32 v59, 0xffff, v49
	s_wait_loadcnt 0xb
	v_lshrrev_b32_e32 v63, 16, v57
	s_wait_loadcnt 0xa
	v_lshrrev_b32_e32 v68, 16, v64
	v_lshrrev_b32_e32 v71, 16, v65
	s_wait_loadcnt 0x9
	v_lshrrev_b32_e32 v77, 16, v72
	;; [unrolled: 3-line block ×3, first 2 shown]
	v_and_b32_e32 v19, 0xffff, v19
	v_lshrrev_b32_e32 v87, 16, v20
	s_wait_loadcnt 0x7
	v_lshrrev_b32_e32 v89, 16, v17
	v_lshrrev_b32_e32 v93, 16, v18
	v_and_b32_e32 v18, 0xffff, v18
	s_wait_loadcnt 0x6
	v_lshrrev_b32_e32 v95, 16, v15
	v_and_b32_e32 v15, 0xffff, v15
	v_lshrrev_b32_e32 v99, 16, v16
	v_and_b32_e32 v16, 0xffff, v16
	s_wait_dscnt 0x0
	v_and_b32_e32 v48, 0xffff, v50
	v_lshrrev_b32_e32 v50, 16, v50
	v_lshrrev_b32_e32 v60, 16, v51
	v_and_b32_e32 v51, 0xffff, v51
	;;#ASMSTART
	v_cvt_f32_f16 v54, v48;
	;;#ASMEND
	;;#ASMSTART
	v_cvt_f32_f16 v48, v50;
	;;#ASMEND
	;; [unrolled: 3-line block ×8, first 2 shown]
	ds_load_b64 v[58:59], v31 offset:16
	v_dual_mul_f32 v48, v48, v49 :: v_dual_mul_f32 v49, v50, v52
	v_lshrrev_b32_e32 v60, 16, v56
	v_dual_mul_f32 v50, v51, v53 :: v_dual_and_b32 v61, 0xffff, v56
	s_delay_alu instid0(VALU_DEP_3)
	v_dual_fmac_f32 v49, v43, v46 :: v_dual_and_b32 v62, 0xffff, v57
	s_wait_loadcnt 0x5
	v_lshrrev_b32_e32 v101, 16, v11
	v_and_b32_e32 v11, 0xffff, v11
	v_fmac_f32_e32 v50, v44, v47
	v_lshrrev_b32_e32 v105, 16, v12
	v_and_b32_e32 v12, 0xffff, v12
	s_wait_loadcnt 0x4
	v_lshrrev_b32_e32 v107, 16, v13
	v_and_b32_e32 v106, 0xffff, v13
	v_lshrrev_b32_e32 v111, 16, v14
	v_and_b32_e32 v110, 0xffff, v14
	v_fmac_f32_e32 v48, v41, v42
	s_wait_loadcnt 0x3
	v_lshrrev_b32_e32 v112, 16, v9
	v_lshrrev_b32_e32 v116, 16, v10
	s_wait_dscnt 0x0
	v_and_b32_e32 v56, 0xffff, v58
	v_lshrrev_b32_e32 v58, 16, v58
	v_lshrrev_b32_e32 v66, 16, v59
	v_and_b32_e32 v59, 0xffff, v59
	;;#ASMSTART
	v_cvt_f32_f16 v57, v56;
	;;#ASMEND
	;;#ASMSTART
	v_cvt_f32_f16 v56, v58;
	;;#ASMEND
	;; [unrolled: 3-line block ×8, first 2 shown]
	ds_load_b64 v[66:67], v31 offset:24
	v_dual_fmac_f32 v50, v60, v63 :: v_dual_and_b32 v69, 0xffff, v64
	v_dual_fmac_f32 v49, v59, v62 :: v_dual_and_b32 v70, 0xffff, v65
	v_fmac_f32_e32 v48, v56, v58
	v_and_b32_e32 v10, 0xffff, v10
	s_wait_loadcnt 0x2
	v_lshrrev_b32_e32 v117, 16, v7
	v_lshrrev_b32_e32 v118, 16, v8
	v_and_b32_e32 v8, 0xffff, v8
	s_wait_loadcnt 0x1
	v_lshrrev_b32_e32 v46, 16, v5
	v_lshrrev_b32_e32 v47, 16, v6
	v_and_b32_e32 v6, 0xffff, v6
	s_wait_loadcnt 0x0
	v_lshrrev_b32_e32 v51, 16, v3
	s_wait_dscnt 0x0
	v_and_b32_e32 v64, 0xffff, v66
	v_lshrrev_b32_e32 v66, 16, v66
	v_lshrrev_b32_e32 v74, 16, v67
	v_and_b32_e32 v67, 0xffff, v67
	;;#ASMSTART
	v_cvt_f32_f16 v65, v64;
	;;#ASMEND
	;;#ASMSTART
	v_cvt_f32_f16 v64, v66;
	;;#ASMEND
	;; [unrolled: 3-line block ×8, first 2 shown]
	ds_load_b64 v[74:75], v31 offset:32
	v_dual_fmac_f32 v49, v67, v70 :: v_dual_and_b32 v72, 0xffff, v72
	v_and_b32_e32 v82, 0xffff, v73
	v_dual_fmac_f32 v50, v68, v71 :: v_dual_and_b32 v17, 0xffff, v17
	v_fmac_f32_e32 v48, v64, v66
	s_wait_dscnt 0x0
	v_and_b32_e32 v76, 0xffff, v74
	v_lshrrev_b32_e32 v74, 16, v74
	v_lshrrev_b32_e32 v73, 16, v75
	v_and_b32_e32 v75, 0xffff, v75
	;;#ASMSTART
	v_cvt_f32_f16 v79, v76;
	;;#ASMEND
	;;#ASMSTART
	v_cvt_f32_f16 v76, v74;
	;;#ASMEND
	;; [unrolled: 3-line block ×8, first 2 shown]
	ds_load_b64 v[77:78], v31 offset:40
	v_fmac_f32_e32 v49, v72, v74
	v_fmac_f32_e32 v48, v76, v81
	v_dual_fmac_f32 v50, v73, v75 :: v_dual_and_b32 v9, 0xffff, v9
	s_wait_dscnt 0x0
	v_and_b32_e32 v82, 0xffff, v77
	v_lshrrev_b32_e32 v84, 16, v77
	v_lshrrev_b32_e32 v85, 16, v78
	v_and_b32_e32 v86, 0xffff, v78
	;;#ASMSTART
	v_cvt_f32_f16 v77, v82;
	;;#ASMEND
	;;#ASMSTART
	v_cvt_f32_f16 v78, v84;
	;;#ASMEND
	;; [unrolled: 3-line block ×3, first 2 shown]
	v_and_b32_e32 v20, 0xffff, v20
	;;#ASMSTART
	v_cvt_f32_f16 v83, v83;
	;;#ASMEND
	;;#ASMSTART
	v_cvt_f32_f16 v84, v86;
	;;#ASMEND
	;; [unrolled: 3-line block ×5, first 2 shown]
	ds_load_b64 v[19:20], v31 offset:48
	v_fmac_f32_e32 v49, v84, v86
	v_dual_fmac_f32 v50, v85, v87 :: v_dual_and_b32 v5, 0xffff, v5
	v_fmac_f32_e32 v48, v78, v83
	s_wait_dscnt 0x0
	v_and_b32_e32 v88, 0xffff, v19
	v_lshrrev_b32_e32 v90, 16, v19
	v_lshrrev_b32_e32 v91, 16, v20
	v_and_b32_e32 v92, 0xffff, v20
	;;#ASMSTART
	v_cvt_f32_f16 v19, v88;
	;;#ASMEND
	;;#ASMSTART
	v_cvt_f32_f16 v20, v90;
	;;#ASMEND
	;;#ASMSTART
	v_cvt_f32_f16 v88, v17;
	;;#ASMEND
	;;#ASMSTART
	v_cvt_f32_f16 v89, v89;
	;;#ASMEND
	;;#ASMSTART
	v_cvt_f32_f16 v90, v92;
	;;#ASMEND
	;;#ASMSTART
	v_cvt_f32_f16 v91, v91;
	;;#ASMEND
	;;#ASMSTART
	v_cvt_f32_f16 v92, v18;
	;;#ASMEND
	;;#ASMSTART
	v_cvt_f32_f16 v93, v93;
	;;#ASMEND
	ds_load_b64 v[17:18], v31 offset:56
	v_dual_fmac_f32 v49, v90, v92 :: v_dual_fmac_f32 v50, v91, v93
	v_fmac_f32_e32 v48, v20, v89
	s_wait_dscnt 0x0
	v_and_b32_e32 v94, 0xffff, v17
	v_lshrrev_b32_e32 v96, 16, v17
	v_lshrrev_b32_e32 v97, 16, v18
	v_and_b32_e32 v98, 0xffff, v18
	;;#ASMSTART
	v_cvt_f32_f16 v17, v94;
	;;#ASMEND
	;;#ASMSTART
	v_cvt_f32_f16 v18, v96;
	;;#ASMEND
	;;#ASMSTART
	v_cvt_f32_f16 v94, v15;
	;;#ASMEND
	;;#ASMSTART
	v_cvt_f32_f16 v95, v95;
	;;#ASMEND
	;;#ASMSTART
	v_cvt_f32_f16 v96, v98;
	;;#ASMEND
	;;#ASMSTART
	v_cvt_f32_f16 v97, v97;
	;;#ASMEND
	;;#ASMSTART
	v_cvt_f32_f16 v98, v16;
	;;#ASMEND
	;;#ASMSTART
	v_cvt_f32_f16 v99, v99;
	;;#ASMEND
	ds_load_b64 v[15:16], v31 offset:64
	v_dual_fmac_f32 v48, v18, v95 :: v_dual_fmac_f32 v49, v96, v98
	;; [unrolled: 32-line block ×3, first 2 shown]
	s_wait_dscnt 0x0
	v_and_b32_e32 v13, 0xffff, v11
	v_lshrrev_b32_e32 v11, 16, v11
	v_lshrrev_b32_e32 v109, 16, v12
	v_and_b32_e32 v12, 0xffff, v12
	;;#ASMSTART
	v_cvt_f32_f16 v13, v13;
	;;#ASMEND
	;;#ASMSTART
	v_cvt_f32_f16 v14, v11;
	;;#ASMEND
	;; [unrolled: 3-line block ×8, first 2 shown]
	ds_load_b64 v[11:12], v31 offset:80
	v_dual_fmac_f32 v48, v14, v107 :: v_dual_fmac_f32 v49, v108, v110
	s_wait_dscnt 0x0
	v_and_b32_e32 v113, 0xffff, v11
	v_lshrrev_b32_e32 v114, 16, v11
	v_mul_f32_e32 v11, v54, v55
	v_and_b32_e32 v119, 0xffff, v12
	v_lshrrev_b32_e32 v115, 16, v12
	;;#ASMSTART
	v_cvt_f32_f16 v12, v113;
	;;#ASMEND
	;;#ASMSTART
	v_cvt_f32_f16 v54, v114;
	;;#ASMEND
	v_fmac_f32_e32 v11, v40, v45
	;;#ASMSTART
	v_cvt_f32_f16 v55, v9;
	;;#ASMEND
	;;#ASMSTART
	v_cvt_f32_f16 v112, v112;
	;;#ASMEND
	;; [unrolled: 3-line block ×4, first 2 shown]
	v_fmac_f32_e32 v11, v57, v61
	;;#ASMSTART
	v_cvt_f32_f16 v115, v10;
	;;#ASMEND
	;;#ASMSTART
	v_cvt_f32_f16 v116, v116;
	;;#ASMEND
	ds_load_b64 v[9:10], v31 offset:88
	v_dual_fmac_f32 v48, v54, v112 :: v_dual_fmac_f32 v11, v65, v69
	v_fmac_f32_e32 v49, v113, v115
	s_delay_alu instid0(VALU_DEP_2) | instskip(NEXT) | instid1(VALU_DEP_1)
	v_fmac_f32_e32 v11, v79, v80
	v_fmac_f32_e32 v11, v77, v82
	s_wait_dscnt 0x0
	s_delay_alu instid0(VALU_DEP_1)
	v_dual_fmac_f32 v11, v19, v88 :: v_dual_and_b32 v40, 0xffff, v9
	v_lshrrev_b32_e32 v41, 16, v9
	v_lshrrev_b32_e32 v43, 16, v10
	v_and_b32_e32 v42, 0xffff, v10
	;;#ASMSTART
	v_cvt_f32_f16 v9, v40;
	;;#ASMEND
	;;#ASMSTART
	v_cvt_f32_f16 v10, v41;
	;;#ASMEND
	v_and_b32_e32 v7, 0xffff, v7
	;;#ASMSTART
	v_cvt_f32_f16 v40, v7;
	;;#ASMEND
	;;#ASMSTART
	v_cvt_f32_f16 v41, v117;
	;;#ASMEND
	;; [unrolled: 3-line block ×6, first 2 shown]
	ds_load_b64 v[7:8], v31 offset:96
	v_dual_fmac_f32 v11, v17, v94 :: v_dual_fmac_f32 v48, v10, v41
	v_fmac_f32_e32 v49, v42, v44
	s_delay_alu instid0(VALU_DEP_2) | instskip(NEXT) | instid1(VALU_DEP_1)
	v_fmac_f32_e32 v11, v15, v100
	v_fmac_f32_e32 v11, v13, v106
	s_delay_alu instid0(VALU_DEP_1)
	v_fmac_f32_e32 v11, v12, v55
	v_lshrrev_b32_e32 v12, 16, v4
	s_wait_dscnt 0x0
	v_and_b32_e32 v15, 0xffff, v7
	v_lshrrev_b32_e32 v16, 16, v7
	v_lshrrev_b32_e32 v18, 16, v8
	v_and_b32_e32 v17, 0xffff, v8
	;;#ASMSTART
	v_cvt_f32_f16 v7, v15;
	;;#ASMEND
	;;#ASMSTART
	v_cvt_f32_f16 v8, v16;
	;;#ASMEND
	;; [unrolled: 3-line block ×8, first 2 shown]
	ds_load_b64 v[5:6], v31 offset:104
	v_fmac_f32_e32 v11, v9, v40
	v_dual_fmac_f32 v50, v103, v105 :: v_dual_and_b32 v9, 0xffff, v4
	v_dual_fmac_f32 v48, v8, v16 :: v_dual_fmac_f32 v49, v17, v19
	s_delay_alu instid0(VALU_DEP_3) | instskip(NEXT) | instid1(VALU_DEP_3)
	v_fmac_f32_e32 v11, v7, v15
	v_fmac_f32_e32 v50, v109, v111
	s_delay_alu instid0(VALU_DEP_1) | instskip(NEXT) | instid1(VALU_DEP_1)
	v_fmac_f32_e32 v50, v114, v116
	v_dual_fmac_f32 v50, v43, v45 :: v_dual_and_b32 v13, 0xffff, v3
	s_wait_dscnt 0x0
	v_and_b32_e32 v3, 0xffff, v5
	v_lshrrev_b32_e32 v4, 16, v5
	v_lshrrev_b32_e32 v7, 16, v6
	v_fmac_f32_e32 v50, v18, v20
	v_and_b32_e32 v8, 0xffff, v6
	;;#ASMSTART
	v_cvt_f32_f16 v3, v3;
	;;#ASMEND
	;;#ASMSTART
	v_cvt_f32_f16 v4, v4;
	;;#ASMEND
	;; [unrolled: 3-line block ×4, first 2 shown]
	v_dual_fmac_f32 v11, v3, v5 :: v_dual_fmac_f32 v48, v4, v6
	;;#ASMSTART
	v_cvt_f32_f16 v3, v8;
	;;#ASMEND
	;;#ASMSTART
	v_cvt_f32_f16 v4, v7;
	;;#ASMEND
	;; [unrolled: 3-line block ×3, first 2 shown]
	v_fmac_f32_e32 v49, v3, v5
	v_add_f32_e32 v3, v11, v48
	;;#ASMSTART
	v_cvt_f32_f16 v5, v12;
	;;#ASMEND
	v_fmac_f32_e32 v50, v4, v5
	s_wait_alu 0xf1ff
	v_cndmask_b32_e64 v4, v28, v38, s4
	s_delay_alu instid0(VALU_DEP_1) | instskip(NEXT) | instid1(VALU_DEP_1)
	v_dual_add_f32 v3, v3, v49 :: v_dual_lshlrev_b32 v4, 2, v4
	v_add_f32_e32 v3, v50, v3
	ds_bpermute_b32 v4, v4, v3
	s_and_saveexec_b32 s38, s3
	s_cbranch_execz .LBB94_11
; %bb.19:                               ;   in Loop: Header=BB94_13 Depth=1
	s_wait_dscnt 0x0
	v_add_f32_e32 v3, v3, v4
	v_add_nc_u32_e32 v5, v35, v34
	s_delay_alu instid0(VALU_DEP_1) | instskip(NEXT) | instid1(VALU_DEP_1)
	v_cvt_f32_i32_e32 v5, v5
	v_mul_f32_e32 v5, s15, v5
	s_delay_alu instid0(VALU_DEP_1) | instskip(NEXT) | instid1(VALU_DEP_1)
	v_cndmask_b32_e32 v4, 0, v5, vcc_lo
	v_dual_max_num_f32 v5, v29, v29 :: v_dual_fmac_f32 v4, s7, v3
	v_add_nc_u32_e32 v3, v30, v34
	s_delay_alu instid0(VALU_DEP_2) | instskip(NEXT) | instid1(VALU_DEP_2)
	v_max_num_f32_e32 v5, v5, v4
	v_cmp_gt_i32_e64 s4, s31, v3
	s_wait_alu 0xf1ff
	s_delay_alu instid0(VALU_DEP_1) | instskip(NEXT) | instid1(VALU_DEP_3)
	v_cndmask_b32_e64 v3, 0, v4, s4
	v_cndmask_b32_e64 v29, v29, v5, s4
	ds_store_b32 v36, v3
	s_branch .LBB94_11
.LBB94_20:
	s_or_b32 exec_lo, exec_lo, s28
.LBB94_21:
	s_delay_alu instid0(SALU_CYCLE_1)
	s_or_b32 exec_lo, exec_lo, s6
	v_xor_b32_e32 v1, 16, v28
	v_xor_b32_e32 v2, 8, v28
	s_clause 0x2
	s_load_b128 s[4:7], s[0:1], 0x0
	s_load_b64 s[14:15], s[0:1], 0x10
	s_load_b64 s[28:29], s[0:1], 0x28
	v_and_b32_e32 v9, 31, v0
	v_lshlrev_b32_e32 v7, 2, v23
	v_cmp_gt_i32_e32 vcc_lo, 32, v1
	s_wait_alu 0xfffd
	v_cndmask_b32_e32 v1, v28, v1, vcc_lo
	v_cmp_gt_i32_e32 vcc_lo, 32, v2
	s_wait_alu 0xfffd
	v_dual_max_num_f32 v5, v29, v29 :: v_dual_cndmask_b32 v2, v28, v2
	s_wait_dscnt 0x0
	s_delay_alu instid0(VALU_DEP_1) | instskip(SKIP_4) | instid1(VALU_DEP_1)
	v_lshlrev_b32_e32 v4, 2, v2
	v_lshlrev_b32_e32 v3, 2, v1
	ds_bpermute_b32 v1, v3, v29
	s_wait_dscnt 0x0
	v_max_num_f32_e32 v1, v1, v1
	v_max_num_f32_e32 v1, v5, v1
	v_xor_b32_e32 v5, 4, v28
	ds_bpermute_b32 v2, v4, v1
	v_cmp_gt_i32_e32 vcc_lo, 32, v5
	s_wait_dscnt 0x0
	s_wait_alu 0xfffd
	v_dual_cndmask_b32 v5, v28, v5 :: v_dual_max_num_f32 v2, v2, v2
	s_delay_alu instid0(VALU_DEP_1) | instskip(SKIP_1) | instid1(VALU_DEP_3)
	v_lshlrev_b32_e32 v6, 2, v5
	v_xor_b32_e32 v5, 2, v28
	v_max_num_f32_e32 v1, v1, v2
	s_delay_alu instid0(VALU_DEP_2)
	v_cmp_gt_i32_e32 vcc_lo, 32, v5
	ds_bpermute_b32 v2, v6, v1
	s_wait_alu 0xfffd
	v_cndmask_b32_e32 v5, v28, v5, vcc_lo
	v_cmp_eq_u32_e32 vcc_lo, 0, v9
	s_wait_dscnt 0x0
	v_max_num_f32_e32 v2, v2, v2
	s_delay_alu instid0(VALU_DEP_1)
	v_dual_max_num_f32 v1, v1, v2 :: v_dual_lshlrev_b32 v2, 2, v5
	ds_bpermute_b32 v5, v2, v1
	s_and_saveexec_b32 s0, vcc_lo
	s_cbranch_execz .LBB94_23
; %bb.22:
	s_wait_dscnt 0x0
	v_max_num_f32_e32 v5, v5, v5
	v_max_num_f32_e32 v1, v1, v1
	s_delay_alu instid0(VALU_DEP_1)
	v_max_num_f32_e32 v1, v1, v5
	ds_store_b32 v7, v1 offset:224
.LBB94_23:
	s_or_b32 exec_lo, exec_lo, s0
	v_cmp_gt_u32_e64 s0, 4, v9
	v_dual_mov_b32 v1, 0xff7fffff :: v_dual_lshlrev_b32 v8, 2, v9
	s_wait_loadcnt_dscnt 0x0
	s_barrier_signal -1
	s_barrier_wait -1
	global_inv scope:SCOPE_SE
	s_and_saveexec_b32 s1, s0
; %bb.24:
	ds_load_b32 v1, v8 offset:224
; %bb.25:
	s_or_b32 exec_lo, exec_lo, s1
	s_wait_dscnt 0x0
	ds_bpermute_b32 v5, v2, v1
	v_xor_b32_e32 v10, 1, v28
	v_mov_b32_e32 v11, 0
	s_delay_alu instid0(VALU_DEP_2) | instskip(NEXT) | instid1(VALU_DEP_1)
	v_cmp_gt_i32_e64 s1, 32, v10
	v_cndmask_b32_e64 v10, v28, v10, s1
	v_max_num_f32_e32 v1, v1, v1
	s_sub_co_i32 s1, s19, s36
	s_wait_alu 0xfffe
	s_lshl_b32 s1, s1, 4
	v_lshlrev_b32_e32 v10, 2, v10
	s_wait_alu 0xfffe
	s_add_co_i32 s1, s1, s33
	s_wait_alu 0xfffe
	s_min_i32 s1, s1, s31
	s_wait_dscnt 0x0
	v_max_num_f32_e32 v5, v5, v5
	s_wait_alu 0xfffe
	s_sub_co_i32 s25, s1, s33
	s_wait_alu 0xfffe
	v_cmp_gt_i32_e64 s1, s25, v0
	v_max_num_f32_e32 v1, v1, v5
	ds_bpermute_b32 v5, v10, v1
	s_wait_dscnt 0x0
	v_max_num_f32_e32 v5, v5, v5
	s_delay_alu instid0(VALU_DEP_1)
	v_max_num_f32_e32 v1, v1, v5
	v_lshl_add_u32 v5, v0, 2, 0x100
	ds_bpermute_b32 v1, v11, v1
	s_and_saveexec_b32 s33, s1
	s_cbranch_execz .LBB94_29
; %bb.26:
	v_lshl_add_u32 v12, v0, 2, 0x100
	v_mov_b32_e32 v11, 0
	v_mov_b32_e32 v13, v0
	s_mov_b32 s36, 0
.LBB94_27:                              ; =>This Inner Loop Header: Depth=1
	ds_load_b32 v14, v12
	v_add_nc_u32_e32 v13, 0x80, v13
	s_delay_alu instid0(VALU_DEP_1) | instskip(SKIP_4) | instid1(VALU_DEP_1)
	v_cmp_le_i32_e64 s3, s25, v13
	s_wait_alu 0xfffe
	s_or_b32 s36, s3, s36
	s_wait_dscnt 0x0
	v_sub_f32_e32 v14, v14, v1
	v_mul_f32_e32 v14, 0x3fb8aa3b, v14
	s_delay_alu instid0(VALU_DEP_1)
	v_exp_f32_e32 v14, v14
	ds_store_b32 v12, v14
	v_dual_add_f32 v11, v11, v14 :: v_dual_add_nc_u32 v12, 0x200, v12
	s_wait_alu 0xfffe
	s_and_not1_b32 exec_lo, exec_lo, s36
	s_cbranch_execnz .LBB94_27
; %bb.28:
	s_or_b32 exec_lo, exec_lo, s36
.LBB94_29:
	s_wait_alu 0xfffe
	s_or_b32 exec_lo, exec_lo, s33
	ds_bpermute_b32 v3, v3, v11
	s_wait_dscnt 0x0
	v_add_f32_e32 v3, v11, v3
	ds_bpermute_b32 v4, v4, v3
	s_wait_dscnt 0x0
	v_add_f32_e32 v3, v3, v4
	;; [unrolled: 3-line block ×5, first 2 shown]
	s_and_saveexec_b32 s3, vcc_lo
; %bb.30:
	ds_store_b32 v7, v3 offset:240
; %bb.31:
	s_wait_alu 0xfffe
	s_or_b32 exec_lo, exec_lo, s3
	s_wait_loadcnt_dscnt 0x0
	s_barrier_signal -1
	s_barrier_wait -1
	global_inv scope:SCOPE_SE
	s_and_saveexec_b32 s3, s0
; %bb.32:
	ds_load_b32 v3, v8 offset:240
; %bb.33:
	s_wait_alu 0xfffe
	s_or_b32 exec_lo, exec_lo, s3
	s_wait_dscnt 0x0
	ds_bpermute_b32 v2, v2, v3
	s_wait_dscnt 0x0
	v_add_f32_e32 v2, v3, v2
	ds_bpermute_b32 v3, v10, v2
	s_wait_dscnt 0x0
	v_dual_add_f32 v2, v2, v3 :: v_dual_mov_b32 v3, 0
	ds_bpermute_b32 v2, v3, v2
	s_and_saveexec_b32 s0, s1
	s_cbranch_execz .LBB94_36
; %bb.34:
	s_wait_dscnt 0x0
	v_add_f32_e32 v3, 0x358637bd, v2
	s_mov_b32 s1, 0
	s_delay_alu instid0(VALU_DEP_1) | instskip(SKIP_1) | instid1(VALU_DEP_2)
	v_div_scale_f32 v4, null, v3, v3, 1.0
	v_div_scale_f32 v8, vcc_lo, 1.0, v3, 1.0
	v_rcp_f32_e32 v6, v4
	s_delay_alu instid0(TRANS32_DEP_1) | instskip(NEXT) | instid1(VALU_DEP_1)
	v_fma_f32 v7, -v4, v6, 1.0
	v_fmac_f32_e32 v6, v7, v6
	s_delay_alu instid0(VALU_DEP_1) | instskip(NEXT) | instid1(VALU_DEP_1)
	v_mul_f32_e32 v7, v8, v6
	v_fma_f32 v11, -v4, v7, v8
	s_delay_alu instid0(VALU_DEP_1) | instskip(NEXT) | instid1(VALU_DEP_1)
	v_fmac_f32_e32 v7, v11, v6
	v_fma_f32 v4, -v4, v7, v8
	s_wait_alu 0xfffd
	s_delay_alu instid0(VALU_DEP_1) | instskip(NEXT) | instid1(VALU_DEP_1)
	v_div_fmas_f32 v4, v4, v6, v7
	v_div_fixup_f32 v3, v4, v3, 1.0
	v_mov_b32_e32 v4, v0
.LBB94_35:                              ; =>This Inner Loop Header: Depth=1
	ds_load_b32 v6, v5
	v_add_nc_u32_e32 v4, 0x80, v4
	s_delay_alu instid0(VALU_DEP_1)
	v_cmp_le_i32_e32 vcc_lo, s25, v4
	s_wait_alu 0xfffe
	s_or_b32 s1, vcc_lo, s1
	s_wait_dscnt 0x0
	v_mul_f32_e32 v6, v3, v6
	ds_store_b32 v5, v6
	v_add_nc_u32_e32 v5, 0x200, v5
	s_wait_alu 0xfffe
	s_and_not1_b32 exec_lo, exec_lo, s1
	s_cbranch_execnz .LBB94_35
.LBB94_36:
	s_wait_alu 0xfffe
	s_or_b32 exec_lo, exec_lo, s0
	s_mul_i32 s0, s8, s26
	s_wait_loadcnt_dscnt 0x0
	s_wait_alu 0xfffe
	s_mul_i32 s26, s0, s27
	s_mov_b32 s0, exec_lo
	s_barrier_signal -1
	s_barrier_wait -1
	global_inv scope:SCOPE_SE
	v_cmpx_eq_u32_e32 0, v0
	s_cbranch_execz .LBB94_38
; %bb.37:
	s_ashr_i32 s27, s26, 31
	s_wait_alu 0xfffe
	s_mul_i32 s36, s8, ttmp9
	s_lshl_b32 s1, s30, 2
	s_lshl_b64 s[38:39], s[26:27], 2
	s_wait_alu 0xfffe
	s_ashr_i32 s37, s36, 31
	v_mov_b32_e32 v3, s1
	s_wait_kmcnt 0x0
	s_add_nc_u64 s[6:7], s[6:7], s[38:39]
	s_wait_alu 0xfffe
	s_lshl_b64 s[36:37], s[36:37], 2
	s_add_nc_u64 s[4:5], s[4:5], s[38:39]
	s_wait_alu 0xfffe
	s_add_nc_u64 s[6:7], s[6:7], s[36:37]
	s_add_nc_u64 s[4:5], s[4:5], s[36:37]
	s_clause 0x1
	global_store_b32 v3, v1, s[6:7]
	global_store_b32 v3, v2, s[4:5]
.LBB94_38:
	s_wait_alu 0xfffe
	s_or_b32 exec_lo, exec_lo, s0
	v_dual_mov_b32 v17, 0 :: v_dual_mov_b32 v16, 0
	v_dual_mov_b32 v15, 0 :: v_dual_mov_b32 v14, 0
	;; [unrolled: 1-line block ×3, first 2 shown]
	v_mov_b32_e32 v11, 0
	s_and_saveexec_b32 s1, s2
	s_cbranch_execz .LBB94_58
; %bb.39:
	s_abs_i32 s2, s10
	v_dual_mov_b32 v13, 0 :: v_dual_lshlrev_b32 v2, 4, v0
	s_wait_alu 0xfffe
	s_cvt_f32_u32 s0, s2
	v_dual_mov_b32 v12, 0 :: v_dual_lshlrev_b32 v3, 5, v22
	s_ashr_i32 s25, s24, 31
	s_wait_alu 0xfffe
	v_rcp_iflag_f32_e32 v1, s0
	s_wait_kmcnt 0x0
	s_lshl_b64 s[6:7], s[22:23], 2
	s_lshl_b64 s[22:23], s[24:25], 1
	s_wait_alu 0xfffe
	s_add_nc_u64 s[6:7], s[20:21], s[6:7]
	s_add_nc_u64 s[20:21], s[28:29], s[22:23]
	s_wait_alu 0xfffe
	v_add_co_u32 v5, s6, s6, v27
	s_sub_co_i32 s5, 0, s2
	v_add_co_ci_u32_e64 v6, null, s7, 0, s6
	v_readfirstlane_b32 s0, v1
	v_dual_mov_b32 v14, 0 :: v_dual_and_b32 v1, 0x1f0, v2
	v_lshl_or_b32 v2, v23, 6, v3
	v_dual_mov_b32 v11, 0 :: v_dual_and_b32 v18, 8, v26
	s_mul_f32 s0, s0, 0x4f7ffffe
	s_delay_alu instid0(VALU_DEP_3)
	v_add_co_u32 v19, s6, s20, v1
	s_wait_alu 0xf1ff
	v_add_co_ci_u32_e64 v20, null, s21, 0, s6
	s_wait_alu 0xfffe
	s_cvt_u32_f32 s0, s0
	v_dual_mov_b32 v15, 0 :: v_dual_add_nc_u32 v26, 0x100, v2
	v_dual_mov_b32 v16, 0 :: v_dual_mov_b32 v17, 0
	s_wait_alu 0xfffe
	s_mul_i32 s5, s5, s0
	s_sub_co_i32 s3, s35, s9
	s_wait_alu 0xfffe
	s_mul_hi_u32 s6, s0, s5
	s_mov_b32 s4, s13
	s_add_co_i32 s34, s34, -1
	s_mov_b32 s5, 0
	s_wait_alu 0xfffe
	s_add_co_i32 s6, s0, s6
	s_branch .LBB94_42
.LBB94_40:                              ;   in Loop: Header=BB94_42 Depth=1
	s_wait_alu 0xfffe
	s_or_b32 exec_lo, exec_lo, s0
	v_dual_add_f32 v27, v50, v51 :: v_dual_lshlrev_b32 v28, 16, v49
	v_lshlrev_b32_e32 v7, 16, v7
	s_delay_alu instid0(VALU_DEP_2) | instskip(SKIP_1) | instid1(VALU_DEP_4)
	v_dual_add_f32 v29, v47, v48 :: v_dual_add_f32 v12, v12, v27
	v_lshlrev_b32_e32 v8, 16, v8
	v_and_or_b32 v1, 0xffff, v1, v28
	s_delay_alu instid0(VALU_DEP_4) | instskip(NEXT) | instid1(VALU_DEP_4)
	v_and_or_b32 v3, 0xffff, v3, v7
	v_add_f32_e32 v13, v13, v29
	;;#ASMSTART
	v_pk_mul_f16 v1, v36, v1;

	;;#ASMEND
	v_and_or_b32 v2, 0xffff, v2, v8
	;;#ASMSTART
	v_pk_mul_f16 v2, v35, v2;

	;;#ASMEND
	;;#ASMSTART
	v_pk_mul_f16 v3, v39, v3;

	;;#ASMEND
	;; [unrolled: 4-line block ×3, first 2 shown]
	;;#ASMSTART
	v_pk_add_f16 v1, v1, v2;

	;;#ASMEND
	;;#ASMSTART
	v_pk_add_f16 v1, v1, v3;

	;;#ASMEND
	;; [unrolled: 4-line block ×3, first 2 shown]
	v_dual_add_f32 v7, v45, v46 :: v_dual_and_b32 v4, 0xffff, v1
	v_lshrrev_b32_e32 v8, 16, v1
	;;#ASMSTART
	v_cvt_f32_f16 v4, v4;
	;;#ASMEND
	s_delay_alu instid0(VALU_DEP_2) | instskip(SKIP_3) | instid1(VALU_DEP_2)
	v_dual_add_f32 v1, v43, v44 :: v_dual_add_f32 v14, v14, v7
	v_add_f32_e32 v2, v41, v42
	;;#ASMSTART
	v_cvt_f32_f16 v8, v8;
	;;#ASMEND
	v_dual_add_f32 v3, v37, v38 :: v_dual_add_f32 v4, v4, v8
	v_dual_add_f32 v15, v15, v1 :: v_dual_add_f32 v16, v16, v2
	s_delay_alu instid0(VALU_DEP_2) | instskip(NEXT) | instid1(VALU_DEP_3)
	v_add_f32_e32 v17, v17, v3
	v_add_f32_e32 v11, v11, v4
.LBB94_41:                              ;   in Loop: Header=BB94_42 Depth=1
	s_wait_alu 0xfffe
	s_or_b32 exec_lo, exec_lo, s7
	v_add_nc_u32_e32 v25, 4, v25
	v_add_co_u32 v5, s0, v5, 16
	s_wait_alu 0xf1ff
	v_add_co_ci_u32_e64 v6, null, 0, v6, s0
	s_delay_alu instid0(VALU_DEP_3)
	v_cmp_le_i32_e32 vcc_lo, s19, v25
	v_add_nc_u32_e32 v24, 64, v24
	v_add_nc_u32_e32 v26, 0x100, v26
	s_or_b32 s5, vcc_lo, s5
	s_wait_alu 0xfffe
	s_and_not1_b32 exec_lo, exec_lo, s5
	s_cbranch_execz .LBB94_57
.LBB94_42:                              ; =>This Inner Loop Header: Depth=1
	v_sub_nc_u32_e32 v1, 0, v24
	s_delay_alu instid0(VALU_DEP_1) | instskip(NEXT) | instid1(VALU_DEP_1)
	v_max_i32_e32 v1, v24, v1
	v_mul_hi_u32 v2, v1, s18
	s_delay_alu instid0(VALU_DEP_1) | instskip(NEXT) | instid1(VALU_DEP_1)
	v_mul_lo_u32 v3, v2, s12
	v_sub_nc_u32_e32 v1, v1, v3
	v_add_nc_u32_e32 v3, 1, v2
	s_delay_alu instid0(VALU_DEP_2) | instskip(SKIP_2) | instid1(VALU_DEP_2)
	v_subrev_nc_u32_e32 v4, s12, v1
	v_cmp_le_u32_e32 vcc_lo, s12, v1
	s_wait_alu 0xfffd
	v_dual_cndmask_b32 v2, v2, v3 :: v_dual_cndmask_b32 v1, v1, v4
	v_ashrrev_i32_e32 v3, 31, v24
	s_delay_alu instid0(VALU_DEP_2) | instskip(NEXT) | instid1(VALU_DEP_3)
	v_add_nc_u32_e32 v4, 1, v2
	v_cmp_le_u32_e32 vcc_lo, s12, v1
	s_delay_alu instid0(VALU_DEP_3) | instskip(SKIP_1) | instid1(VALU_DEP_3)
	v_xor_b32_e32 v3, s11, v3
	s_wait_alu 0xfffd
	v_cndmask_b32_e32 v1, v2, v4, vcc_lo
	s_delay_alu instid0(VALU_DEP_1) | instskip(NEXT) | instid1(VALU_DEP_1)
	v_xor_b32_e32 v1, v1, v3
	v_sub_nc_u32_e32 v1, v1, v3
	s_delay_alu instid0(VALU_DEP_1) | instskip(SKIP_1) | instid1(VALU_DEP_2)
	v_add_nc_u32_e32 v2, s17, v1
	v_cmp_lt_i32_e64 s0, s3, v1
	v_sub_nc_u32_e32 v3, 0, v2
	s_delay_alu instid0(VALU_DEP_1) | instskip(SKIP_1) | instid1(VALU_DEP_1)
	v_max_i32_e32 v3, v2, v3
	s_wait_alu 0xfffe
	v_mul_hi_u32 v4, v3, s6
	s_delay_alu instid0(VALU_DEP_1) | instskip(NEXT) | instid1(VALU_DEP_1)
	v_mul_lo_u32 v4, v4, s2
	v_sub_nc_u32_e32 v3, v3, v4
	s_delay_alu instid0(VALU_DEP_1) | instskip(SKIP_2) | instid1(VALU_DEP_2)
	v_subrev_nc_u32_e32 v4, s2, v3
	v_cmp_le_u32_e32 vcc_lo, s2, v3
	s_wait_alu 0xfffd
	v_cndmask_b32_e32 v3, v3, v4, vcc_lo
	v_ashrrev_i32_e32 v2, 31, v2
	s_delay_alu instid0(VALU_DEP_2) | instskip(SKIP_2) | instid1(VALU_DEP_2)
	v_subrev_nc_u32_e32 v4, s2, v3
	v_cmp_le_u32_e32 vcc_lo, s2, v3
	s_wait_alu 0xfffd
	v_cndmask_b32_e32 v3, v3, v4, vcc_lo
	s_delay_alu instid0(VALU_DEP_1) | instskip(NEXT) | instid1(VALU_DEP_1)
	v_xor_b32_e32 v3, v3, v2
	v_sub_nc_u32_e32 v2, v3, v2
	s_delay_alu instid0(VALU_DEP_1)
	v_cmp_eq_u32_e32 vcc_lo, 0, v2
	s_or_b32 s0, vcc_lo, s0
	s_wait_alu 0xfffe
	s_and_saveexec_b32 s7, s0
	s_cbranch_execz .LBB94_41
; %bb.43:                               ;   in Loop: Header=BB94_42 Depth=1
	global_load_b32 v7, v[5:6], off
	ds_load_2addr_b64 v[1:4], v26 offset1:1
	ds_load_2addr_b64 v[27:30], v26 offset0:2 offset1:3
	v_add_nc_u32_e32 v32, v18, v24
	s_wait_dscnt 0x1
	;;#ASMSTART
	v_cvt_f16_f32 v36, v1;

	;;#ASMEND
	;;#ASMSTART
	v_cvt_f16_f32 v35, v2;

	;;#ASMEND
	;; [unrolled: 4-line block ×4, first 2 shown]
	s_wait_dscnt 0x0
	;;#ASMSTART
	v_cvt_f16_f32 v42, v27;

	;;#ASMEND
	;;#ASMSTART
	v_cvt_f16_f32 v38, v28;

	;;#ASMEND
	;; [unrolled: 4-line block ×4, first 2 shown]
	v_add_nc_u32_e32 v34, 1, v32
	v_add_nc_u32_e32 v33, 2, v32
	;; [unrolled: 1-line block ×7, first 2 shown]
	s_wait_loadcnt 0x0
	v_mad_co_i64_i32 v[7:8], null, v7, s4, 0
	s_delay_alu instid0(VALU_DEP_1) | instskip(NEXT) | instid1(VALU_DEP_1)
	v_lshlrev_b64_e32 v[7:8], 1, v[7:8]
	v_add_co_u32 v7, vcc_lo, v19, v7
	s_wait_alu 0xfffd
	s_delay_alu instid0(VALU_DEP_2)
	v_add_co_ci_u32_e64 v8, null, v20, v8, vcc_lo
	v_cmp_eq_u32_e32 vcc_lo, s34, v25
	global_load_b128 v[1:4], v[7:8], off
	s_wait_loadcnt 0x0
	v_lshrrev_b32_e32 v45, 16, v1
	v_lshrrev_b32_e32 v44, 16, v2
	;; [unrolled: 1-line block ×3, first 2 shown]
	s_and_saveexec_b32 s9, vcc_lo
	s_cbranch_execz .LBB94_45
; %bb.44:                               ;   in Loop: Header=BB94_42 Depth=1
	v_cmp_gt_i32_e64 s0, s31, v32
	v_and_b32_e32 v46, 0xffff, v4
	v_and_b32_e32 v4, 0xffff0000, v4
	s_wait_alu 0xf1ff
	s_delay_alu instid0(VALU_DEP_3) | instskip(SKIP_2) | instid1(VALU_DEP_1)
	v_cndmask_b32_e64 v1, 0, v1, s0
	v_cmp_gt_i32_e64 s0, s31, v34
	s_wait_alu 0xf1ff
	v_cndmask_b32_e64 v45, 0, v45, s0
	v_cmp_gt_i32_e64 s0, s31, v33
	s_wait_alu 0xf1ff
	s_delay_alu instid0(VALU_DEP_1) | instskip(SKIP_2) | instid1(VALU_DEP_1)
	v_cndmask_b32_e64 v2, 0, v2, s0
	v_cmp_gt_i32_e64 s0, s31, v29
	s_wait_alu 0xf1ff
	v_cndmask_b32_e64 v44, 0, v44, s0
	v_cmp_gt_i32_e64 s0, s31, v30
	s_wait_alu 0xf1ff
	s_delay_alu instid0(VALU_DEP_1) | instskip(SKIP_2) | instid1(VALU_DEP_1)
	v_cndmask_b32_e64 v46, 0, v46, s0
	v_cmp_gt_i32_e64 s0, s31, v31
	s_wait_alu 0xf1ff
	v_cndmask_b32_e64 v4, 0, v4, s0
	v_cmp_gt_i32_e64 s0, s31, v28
	s_delay_alu instid0(VALU_DEP_2) | instskip(SKIP_1) | instid1(VALU_DEP_2)
	v_or_b32_e32 v4, v46, v4
	s_wait_alu 0xf1ff
	v_cndmask_b32_e64 v3, 0, v3, s0
	v_cmp_gt_i32_e64 s0, s31, v27
	s_wait_alu 0xf1ff
	s_delay_alu instid0(VALU_DEP_1)
	v_cndmask_b32_e64 v43, 0, v43, s0
.LBB94_45:                              ;   in Loop: Header=BB94_42 Depth=1
	s_or_b32 exec_lo, exec_lo, s9
	v_and_b32_e32 v36, 0xffff, v36
	v_and_b32_e32 v41, 0xffff, v41
	v_lshlrev_b32_e32 v45, 16, v45
	v_lshlrev_b32_e32 v43, 16, v43
	v_and_b32_e32 v42, 0xffff, v42
	v_lshl_or_b32 v36, v35, 16, v36
	v_lshl_or_b32 v35, v39, 16, v41
	v_lshlrev_b32_e32 v41, 16, v44
	v_and_b32_e32 v40, 0xffff, v40
	v_and_or_b32 v1, 0xffff, v1, v45
	v_and_or_b32 v3, 0xffff, v3, v43
	;;#ASMSTART
	v_pk_mul_f16 v1, v36, v1;

	;;#ASMEND
	v_and_or_b32 v2, 0xffff, v2, v41
	v_lshl_or_b32 v39, v38, 16, v42
	v_lshl_or_b32 v40, v37, 16, v40
	;;#ASMSTART
	v_pk_mul_f16 v2, v35, v2;

	;;#ASMEND
	;;#ASMSTART
	v_pk_mul_f16 v3, v39, v3;

	;;#ASMEND
	;; [unrolled: 4-line block ×3, first 2 shown]
	;;#ASMSTART
	v_pk_add_f16 v1, v1, v2;

	;;#ASMEND
	;;#ASMSTART
	v_pk_add_f16 v1, v1, v3;

	;;#ASMEND
	;; [unrolled: 4-line block ×3, first 2 shown]
	v_and_b32_e32 v2, 0xffff, v1
	v_lshrrev_b32_e32 v1, 16, v1
	;;#ASMSTART
	v_cvt_f32_f16 v37, v2;
	;;#ASMEND
	;;#ASMSTART
	v_cvt_f32_f16 v38, v1;
	;;#ASMEND
	global_load_b128 v[1:4], v[7:8], off offset:512
	s_wait_loadcnt 0x0
	v_lshrrev_b32_e32 v43, 16, v1
	v_lshrrev_b32_e32 v42, 16, v2
	;; [unrolled: 1-line block ×3, first 2 shown]
	s_and_saveexec_b32 s9, vcc_lo
	s_cbranch_execz .LBB94_47
; %bb.46:                               ;   in Loop: Header=BB94_42 Depth=1
	v_cmp_gt_i32_e64 s0, s31, v32
	v_and_b32_e32 v44, 0xffff, v4
	v_and_b32_e32 v4, 0xffff0000, v4
	s_wait_alu 0xf1ff
	s_delay_alu instid0(VALU_DEP_3) | instskip(SKIP_2) | instid1(VALU_DEP_1)
	v_cndmask_b32_e64 v1, 0, v1, s0
	v_cmp_gt_i32_e64 s0, s31, v34
	s_wait_alu 0xf1ff
	v_cndmask_b32_e64 v43, 0, v43, s0
	v_cmp_gt_i32_e64 s0, s31, v33
	s_wait_alu 0xf1ff
	s_delay_alu instid0(VALU_DEP_1) | instskip(SKIP_2) | instid1(VALU_DEP_1)
	v_cndmask_b32_e64 v2, 0, v2, s0
	v_cmp_gt_i32_e64 s0, s31, v29
	s_wait_alu 0xf1ff
	v_cndmask_b32_e64 v42, 0, v42, s0
	v_cmp_gt_i32_e64 s0, s31, v30
	s_wait_alu 0xf1ff
	s_delay_alu instid0(VALU_DEP_1) | instskip(SKIP_2) | instid1(VALU_DEP_1)
	v_cndmask_b32_e64 v44, 0, v44, s0
	v_cmp_gt_i32_e64 s0, s31, v31
	s_wait_alu 0xf1ff
	v_cndmask_b32_e64 v4, 0, v4, s0
	v_cmp_gt_i32_e64 s0, s31, v28
	s_delay_alu instid0(VALU_DEP_2) | instskip(SKIP_1) | instid1(VALU_DEP_2)
	v_or_b32_e32 v4, v44, v4
	s_wait_alu 0xf1ff
	v_cndmask_b32_e64 v3, 0, v3, s0
	v_cmp_gt_i32_e64 s0, s31, v27
	s_wait_alu 0xf1ff
	s_delay_alu instid0(VALU_DEP_1)
	v_cndmask_b32_e64 v41, 0, v41, s0
.LBB94_47:                              ;   in Loop: Header=BB94_42 Depth=1
	s_or_b32 exec_lo, exec_lo, s9
	v_lshlrev_b32_e32 v43, 16, v43
	v_lshlrev_b32_e32 v42, 16, v42
	s_delay_alu instid0(VALU_DEP_3) | instskip(NEXT) | instid1(VALU_DEP_3)
	v_lshlrev_b32_e32 v41, 16, v41
	v_and_or_b32 v1, 0xffff, v1, v43
	s_delay_alu instid0(VALU_DEP_3) | instskip(NEXT) | instid1(VALU_DEP_3)
	v_and_or_b32 v2, 0xffff, v2, v42
	v_and_or_b32 v3, 0xffff, v3, v41
	;;#ASMSTART
	v_pk_mul_f16 v1, v36, v1;

	;;#ASMEND
	;;#ASMSTART
	v_pk_mul_f16 v2, v35, v2;

	;;#ASMEND
	;; [unrolled: 4-line block ×4, first 2 shown]
	;;#ASMSTART
	v_pk_add_f16 v1, v1, v2;

	;;#ASMEND
	;;#ASMSTART
	v_pk_add_f16 v1, v1, v3;

	;;#ASMEND
	;; [unrolled: 4-line block ×3, first 2 shown]
	v_and_b32_e32 v2, 0xffff, v1
	v_lshrrev_b32_e32 v1, 16, v1
	;;#ASMSTART
	v_cvt_f32_f16 v41, v2;
	;;#ASMEND
	;;#ASMSTART
	v_cvt_f32_f16 v42, v1;
	;;#ASMEND
	global_load_b128 v[1:4], v[7:8], off offset:1024
	s_wait_loadcnt 0x0
	v_lshrrev_b32_e32 v45, 16, v1
	v_lshrrev_b32_e32 v44, 16, v2
	;; [unrolled: 1-line block ×3, first 2 shown]
	s_and_saveexec_b32 s9, vcc_lo
	s_cbranch_execz .LBB94_49
; %bb.48:                               ;   in Loop: Header=BB94_42 Depth=1
	v_cmp_gt_i32_e64 s0, s31, v32
	v_and_b32_e32 v46, 0xffff, v4
	v_and_b32_e32 v4, 0xffff0000, v4
	s_wait_alu 0xf1ff
	s_delay_alu instid0(VALU_DEP_3) | instskip(SKIP_2) | instid1(VALU_DEP_1)
	v_cndmask_b32_e64 v1, 0, v1, s0
	v_cmp_gt_i32_e64 s0, s31, v34
	s_wait_alu 0xf1ff
	v_cndmask_b32_e64 v45, 0, v45, s0
	v_cmp_gt_i32_e64 s0, s31, v33
	s_wait_alu 0xf1ff
	s_delay_alu instid0(VALU_DEP_1) | instskip(SKIP_2) | instid1(VALU_DEP_1)
	v_cndmask_b32_e64 v2, 0, v2, s0
	v_cmp_gt_i32_e64 s0, s31, v29
	s_wait_alu 0xf1ff
	v_cndmask_b32_e64 v44, 0, v44, s0
	v_cmp_gt_i32_e64 s0, s31, v30
	s_wait_alu 0xf1ff
	s_delay_alu instid0(VALU_DEP_1) | instskip(SKIP_2) | instid1(VALU_DEP_1)
	v_cndmask_b32_e64 v46, 0, v46, s0
	v_cmp_gt_i32_e64 s0, s31, v31
	s_wait_alu 0xf1ff
	v_cndmask_b32_e64 v4, 0, v4, s0
	v_cmp_gt_i32_e64 s0, s31, v28
	s_delay_alu instid0(VALU_DEP_2) | instskip(SKIP_1) | instid1(VALU_DEP_2)
	v_or_b32_e32 v4, v46, v4
	s_wait_alu 0xf1ff
	v_cndmask_b32_e64 v3, 0, v3, s0
	v_cmp_gt_i32_e64 s0, s31, v27
	s_wait_alu 0xf1ff
	s_delay_alu instid0(VALU_DEP_1)
	v_cndmask_b32_e64 v43, 0, v43, s0
.LBB94_49:                              ;   in Loop: Header=BB94_42 Depth=1
	s_or_b32 exec_lo, exec_lo, s9
	v_lshlrev_b32_e32 v45, 16, v45
	v_lshlrev_b32_e32 v44, 16, v44
	s_delay_alu instid0(VALU_DEP_3) | instskip(NEXT) | instid1(VALU_DEP_3)
	v_lshlrev_b32_e32 v43, 16, v43
	v_and_or_b32 v1, 0xffff, v1, v45
	s_delay_alu instid0(VALU_DEP_3) | instskip(NEXT) | instid1(VALU_DEP_3)
	v_and_or_b32 v2, 0xffff, v2, v44
	v_and_or_b32 v3, 0xffff, v3, v43
	;;#ASMSTART
	v_pk_mul_f16 v1, v36, v1;

	;;#ASMEND
	;;#ASMSTART
	v_pk_mul_f16 v2, v35, v2;

	;;#ASMEND
	;; [unrolled: 4-line block ×4, first 2 shown]
	;;#ASMSTART
	v_pk_add_f16 v1, v1, v2;

	;;#ASMEND
	;;#ASMSTART
	v_pk_add_f16 v1, v1, v3;

	;;#ASMEND
	;; [unrolled: 4-line block ×3, first 2 shown]
	v_and_b32_e32 v2, 0xffff, v1
	v_lshrrev_b32_e32 v1, 16, v1
	;;#ASMSTART
	v_cvt_f32_f16 v43, v2;
	;;#ASMEND
	;;#ASMSTART
	v_cvt_f32_f16 v44, v1;
	;;#ASMEND
	global_load_b128 v[1:4], v[7:8], off offset:1536
	s_wait_loadcnt 0x0
	v_lshrrev_b32_e32 v47, 16, v1
	v_lshrrev_b32_e32 v46, 16, v2
	;; [unrolled: 1-line block ×3, first 2 shown]
	s_and_saveexec_b32 s9, vcc_lo
	s_cbranch_execz .LBB94_51
; %bb.50:                               ;   in Loop: Header=BB94_42 Depth=1
	v_cmp_gt_i32_e64 s0, s31, v32
	v_and_b32_e32 v48, 0xffff, v4
	v_and_b32_e32 v4, 0xffff0000, v4
	s_wait_alu 0xf1ff
	s_delay_alu instid0(VALU_DEP_3) | instskip(SKIP_2) | instid1(VALU_DEP_1)
	v_cndmask_b32_e64 v1, 0, v1, s0
	v_cmp_gt_i32_e64 s0, s31, v34
	s_wait_alu 0xf1ff
	v_cndmask_b32_e64 v47, 0, v47, s0
	v_cmp_gt_i32_e64 s0, s31, v33
	s_wait_alu 0xf1ff
	s_delay_alu instid0(VALU_DEP_1) | instskip(SKIP_2) | instid1(VALU_DEP_1)
	v_cndmask_b32_e64 v2, 0, v2, s0
	v_cmp_gt_i32_e64 s0, s31, v29
	s_wait_alu 0xf1ff
	v_cndmask_b32_e64 v46, 0, v46, s0
	v_cmp_gt_i32_e64 s0, s31, v30
	s_wait_alu 0xf1ff
	s_delay_alu instid0(VALU_DEP_1) | instskip(SKIP_2) | instid1(VALU_DEP_1)
	v_cndmask_b32_e64 v48, 0, v48, s0
	v_cmp_gt_i32_e64 s0, s31, v31
	s_wait_alu 0xf1ff
	v_cndmask_b32_e64 v4, 0, v4, s0
	v_cmp_gt_i32_e64 s0, s31, v28
	s_delay_alu instid0(VALU_DEP_2) | instskip(SKIP_1) | instid1(VALU_DEP_2)
	v_or_b32_e32 v4, v48, v4
	s_wait_alu 0xf1ff
	v_cndmask_b32_e64 v3, 0, v3, s0
	v_cmp_gt_i32_e64 s0, s31, v27
	s_wait_alu 0xf1ff
	s_delay_alu instid0(VALU_DEP_1)
	v_cndmask_b32_e64 v45, 0, v45, s0
.LBB94_51:                              ;   in Loop: Header=BB94_42 Depth=1
	s_or_b32 exec_lo, exec_lo, s9
	v_lshlrev_b32_e32 v47, 16, v47
	v_lshlrev_b32_e32 v46, 16, v46
	s_delay_alu instid0(VALU_DEP_3) | instskip(NEXT) | instid1(VALU_DEP_3)
	v_lshlrev_b32_e32 v45, 16, v45
	v_and_or_b32 v1, 0xffff, v1, v47
	s_delay_alu instid0(VALU_DEP_3) | instskip(NEXT) | instid1(VALU_DEP_3)
	v_and_or_b32 v2, 0xffff, v2, v46
	v_and_or_b32 v3, 0xffff, v3, v45
	;;#ASMSTART
	v_pk_mul_f16 v1, v36, v1;

	;;#ASMEND
	;;#ASMSTART
	v_pk_mul_f16 v2, v35, v2;

	;;#ASMEND
	;; [unrolled: 4-line block ×4, first 2 shown]
	;;#ASMSTART
	v_pk_add_f16 v1, v1, v2;

	;;#ASMEND
	;;#ASMSTART
	v_pk_add_f16 v1, v1, v3;

	;;#ASMEND
	;; [unrolled: 4-line block ×3, first 2 shown]
	v_and_b32_e32 v2, 0xffff, v1
	v_lshrrev_b32_e32 v1, 16, v1
	;;#ASMSTART
	v_cvt_f32_f16 v45, v2;
	;;#ASMEND
	;;#ASMSTART
	v_cvt_f32_f16 v46, v1;
	;;#ASMEND
	global_load_b128 v[1:4], v[7:8], off offset:2048
	s_wait_loadcnt 0x0
	v_lshrrev_b32_e32 v49, 16, v1
	v_lshrrev_b32_e32 v48, 16, v2
	;; [unrolled: 1-line block ×3, first 2 shown]
	s_and_saveexec_b32 s9, vcc_lo
	s_cbranch_execz .LBB94_53
; %bb.52:                               ;   in Loop: Header=BB94_42 Depth=1
	v_cmp_gt_i32_e64 s0, s31, v32
	v_and_b32_e32 v50, 0xffff, v4
	v_and_b32_e32 v4, 0xffff0000, v4
	s_wait_alu 0xf1ff
	s_delay_alu instid0(VALU_DEP_3) | instskip(SKIP_2) | instid1(VALU_DEP_1)
	v_cndmask_b32_e64 v1, 0, v1, s0
	v_cmp_gt_i32_e64 s0, s31, v34
	s_wait_alu 0xf1ff
	v_cndmask_b32_e64 v49, 0, v49, s0
	v_cmp_gt_i32_e64 s0, s31, v33
	s_wait_alu 0xf1ff
	s_delay_alu instid0(VALU_DEP_1) | instskip(SKIP_2) | instid1(VALU_DEP_1)
	v_cndmask_b32_e64 v2, 0, v2, s0
	v_cmp_gt_i32_e64 s0, s31, v29
	s_wait_alu 0xf1ff
	v_cndmask_b32_e64 v48, 0, v48, s0
	v_cmp_gt_i32_e64 s0, s31, v30
	s_wait_alu 0xf1ff
	s_delay_alu instid0(VALU_DEP_1) | instskip(SKIP_2) | instid1(VALU_DEP_1)
	v_cndmask_b32_e64 v50, 0, v50, s0
	v_cmp_gt_i32_e64 s0, s31, v31
	s_wait_alu 0xf1ff
	v_cndmask_b32_e64 v4, 0, v4, s0
	v_cmp_gt_i32_e64 s0, s31, v28
	s_delay_alu instid0(VALU_DEP_2) | instskip(SKIP_1) | instid1(VALU_DEP_2)
	v_or_b32_e32 v4, v50, v4
	s_wait_alu 0xf1ff
	v_cndmask_b32_e64 v3, 0, v3, s0
	v_cmp_gt_i32_e64 s0, s31, v27
	s_wait_alu 0xf1ff
	s_delay_alu instid0(VALU_DEP_1)
	v_cndmask_b32_e64 v47, 0, v47, s0
.LBB94_53:                              ;   in Loop: Header=BB94_42 Depth=1
	s_or_b32 exec_lo, exec_lo, s9
	v_lshlrev_b32_e32 v49, 16, v49
	v_lshlrev_b32_e32 v48, 16, v48
	s_delay_alu instid0(VALU_DEP_3) | instskip(NEXT) | instid1(VALU_DEP_3)
	v_lshlrev_b32_e32 v47, 16, v47
	v_and_or_b32 v1, 0xffff, v1, v49
	s_delay_alu instid0(VALU_DEP_3) | instskip(NEXT) | instid1(VALU_DEP_3)
	v_and_or_b32 v2, 0xffff, v2, v48
	v_and_or_b32 v3, 0xffff, v3, v47
	;;#ASMSTART
	v_pk_mul_f16 v1, v36, v1;

	;;#ASMEND
	;;#ASMSTART
	v_pk_mul_f16 v2, v35, v2;

	;;#ASMEND
	;; [unrolled: 4-line block ×4, first 2 shown]
	;;#ASMSTART
	v_pk_add_f16 v1, v1, v2;

	;;#ASMEND
	;;#ASMSTART
	v_pk_add_f16 v1, v1, v3;

	;;#ASMEND
	;; [unrolled: 4-line block ×3, first 2 shown]
	v_and_b32_e32 v2, 0xffff, v1
	v_lshrrev_b32_e32 v1, 16, v1
	;;#ASMSTART
	v_cvt_f32_f16 v47, v2;
	;;#ASMEND
	;;#ASMSTART
	v_cvt_f32_f16 v48, v1;
	;;#ASMEND
	global_load_b128 v[1:4], v[7:8], off offset:2560
	s_wait_loadcnt 0x0
	v_lshrrev_b32_e32 v51, 16, v1
	v_lshrrev_b32_e32 v50, 16, v2
	;; [unrolled: 1-line block ×3, first 2 shown]
	s_and_saveexec_b32 s9, vcc_lo
	s_cbranch_execz .LBB94_55
; %bb.54:                               ;   in Loop: Header=BB94_42 Depth=1
	v_cmp_gt_i32_e64 s0, s31, v32
	v_and_b32_e32 v52, 0xffff, v4
	v_and_b32_e32 v4, 0xffff0000, v4
	s_wait_alu 0xf1ff
	s_delay_alu instid0(VALU_DEP_3) | instskip(SKIP_2) | instid1(VALU_DEP_1)
	v_cndmask_b32_e64 v1, 0, v1, s0
	v_cmp_gt_i32_e64 s0, s31, v34
	s_wait_alu 0xf1ff
	v_cndmask_b32_e64 v51, 0, v51, s0
	v_cmp_gt_i32_e64 s0, s31, v33
	s_wait_alu 0xf1ff
	s_delay_alu instid0(VALU_DEP_1) | instskip(SKIP_2) | instid1(VALU_DEP_1)
	v_cndmask_b32_e64 v2, 0, v2, s0
	v_cmp_gt_i32_e64 s0, s31, v29
	s_wait_alu 0xf1ff
	v_cndmask_b32_e64 v50, 0, v50, s0
	v_cmp_gt_i32_e64 s0, s31, v30
	s_wait_alu 0xf1ff
	s_delay_alu instid0(VALU_DEP_1) | instskip(SKIP_2) | instid1(VALU_DEP_1)
	v_cndmask_b32_e64 v52, 0, v52, s0
	v_cmp_gt_i32_e64 s0, s31, v31
	s_wait_alu 0xf1ff
	v_cndmask_b32_e64 v4, 0, v4, s0
	v_cmp_gt_i32_e64 s0, s31, v28
	s_delay_alu instid0(VALU_DEP_2) | instskip(SKIP_1) | instid1(VALU_DEP_2)
	v_or_b32_e32 v4, v52, v4
	s_wait_alu 0xf1ff
	v_cndmask_b32_e64 v3, 0, v3, s0
	v_cmp_gt_i32_e64 s0, s31, v27
	s_wait_alu 0xf1ff
	s_delay_alu instid0(VALU_DEP_1)
	v_cndmask_b32_e64 v49, 0, v49, s0
.LBB94_55:                              ;   in Loop: Header=BB94_42 Depth=1
	s_or_b32 exec_lo, exec_lo, s9
	v_lshlrev_b32_e32 v51, 16, v51
	v_lshlrev_b32_e32 v50, 16, v50
	s_delay_alu instid0(VALU_DEP_3) | instskip(NEXT) | instid1(VALU_DEP_3)
	v_lshlrev_b32_e32 v49, 16, v49
	v_and_or_b32 v1, 0xffff, v1, v51
	s_delay_alu instid0(VALU_DEP_3) | instskip(NEXT) | instid1(VALU_DEP_3)
	v_and_or_b32 v2, 0xffff, v2, v50
	v_and_or_b32 v3, 0xffff, v3, v49
	;;#ASMSTART
	v_pk_mul_f16 v1, v36, v1;

	;;#ASMEND
	;;#ASMSTART
	v_pk_mul_f16 v2, v35, v2;

	;;#ASMEND
	;; [unrolled: 4-line block ×4, first 2 shown]
	;;#ASMSTART
	v_pk_add_f16 v1, v1, v2;

	;;#ASMEND
	;;#ASMSTART
	v_pk_add_f16 v1, v1, v3;

	;;#ASMEND
	;; [unrolled: 4-line block ×3, first 2 shown]
	v_and_b32_e32 v2, 0xffff, v1
	v_lshrrev_b32_e32 v1, 16, v1
	;;#ASMSTART
	v_cvt_f32_f16 v50, v2;
	;;#ASMEND
	;;#ASMSTART
	v_cvt_f32_f16 v51, v1;
	;;#ASMEND
	global_load_b128 v[1:4], v[7:8], off offset:3072
	s_wait_loadcnt 0x0
	v_lshrrev_b32_e32 v49, 16, v1
	v_lshrrev_b32_e32 v8, 16, v2
	;; [unrolled: 1-line block ×3, first 2 shown]
	s_and_saveexec_b32 s0, vcc_lo
	s_cbranch_execz .LBB94_40
; %bb.56:                               ;   in Loop: Header=BB94_42 Depth=1
	v_cmp_gt_i32_e32 vcc_lo, s31, v32
	v_and_b32_e32 v32, 0xffff, v4
	s_wait_alu 0xfffd
	v_dual_cndmask_b32 v1, 0, v1 :: v_dual_and_b32 v4, 0xffff0000, v4
	v_cmp_gt_i32_e32 vcc_lo, s31, v34
	s_wait_alu 0xfffd
	v_cndmask_b32_e32 v49, 0, v49, vcc_lo
	v_cmp_gt_i32_e32 vcc_lo, s31, v33
	s_wait_alu 0xfffd
	v_cndmask_b32_e32 v2, 0, v2, vcc_lo
	;; [unrolled: 3-line block ×5, first 2 shown]
	v_cmp_gt_i32_e32 vcc_lo, s31, v28
	s_delay_alu instid0(VALU_DEP_2)
	v_or_b32_e32 v4, v29, v4
	s_wait_alu 0xfffd
	v_cndmask_b32_e32 v3, 0, v3, vcc_lo
	v_cmp_gt_i32_e32 vcc_lo, s31, v27
	s_wait_alu 0xfffd
	v_cndmask_b32_e32 v7, 0, v7, vcc_lo
	s_branch .LBB94_40
.LBB94_57:
	s_or_b32 exec_lo, exec_lo, s5
.LBB94_58:
	s_wait_alu 0xfffe
	s_or_b32 exec_lo, exec_lo, s1
	ds_bpermute_b32 v1, v10, v17
	ds_bpermute_b32 v2, v10, v16
	ds_bpermute_b32 v3, v10, v15
	ds_bpermute_b32 v4, v10, v14
	ds_bpermute_b32 v18, v10, v13
	ds_bpermute_b32 v19, v10, v12
	ds_bpermute_b32 v20, v10, v11
	v_lshrrev_b32_e32 v8, 1, v9
	v_mul_u32_u24_e32 v10, 0x1c0, v23
	v_and_b32_e32 v23, 0x3c1, v0
	s_mov_b32 s0, exec_lo
	s_wait_storecnt 0x0
	s_wait_loadcnt_dscnt 0x0
	v_lshl_add_u32 v9, v8, 2, 0x100
	s_barrier_signal -1
	s_barrier_wait -1
	global_inv scope:SCOPE_SE
	v_dual_add_f32 v7, v17, v1 :: v_dual_add_f32 v6, v16, v2
	v_dual_add_f32 v5, v15, v3 :: v_dual_add_f32 v4, v14, v4
	;; [unrolled: 1-line block ×3, first 2 shown]
	v_add_f32_e32 v1, v11, v20
	v_cmpx_eq_u32_e32 64, v23
	s_cbranch_execz .LBB94_60
; %bb.59:
	v_add_nc_u32_e32 v11, v9, v10
	s_delay_alu instid0(VALU_DEP_1)
	v_add_nc_u32_e32 v12, 0xfffffc80, v11
	v_add_nc_u32_e32 v13, 0xfffffcc0, v11
	;; [unrolled: 1-line block ×7, first 2 shown]
	ds_store_b32 v12, v7
	ds_store_b32 v13, v6
	;; [unrolled: 1-line block ×7, first 2 shown]
.LBB94_60:
	s_wait_alu 0xfffe
	s_or_b32 exec_lo, exec_lo, s0
	v_lshlrev_b32_e32 v8, 2, v8
	s_mov_b32 s1, exec_lo
	v_cmp_eq_u32_e32 vcc_lo, 0, v22
	s_wait_loadcnt_dscnt 0x0
	s_barrier_signal -1
	v_add3_u32 v8, 0x100, v10, v8
	s_barrier_wait -1
	global_inv scope:SCOPE_SE
	v_cmpx_gt_u32_e32 64, v0
	s_cbranch_execz .LBB94_70
; %bb.61:
	s_and_saveexec_b32 s0, vcc_lo
	s_cbranch_execnz .LBB94_85
; %bb.62:
	s_wait_alu 0xfffe
	s_or_b32 exec_lo, exec_lo, s0
	s_and_saveexec_b32 s0, vcc_lo
	s_cbranch_execnz .LBB94_86
.LBB94_63:
	s_wait_alu 0xfffe
	s_or_b32 exec_lo, exec_lo, s0
	s_and_saveexec_b32 s0, vcc_lo
	s_cbranch_execnz .LBB94_87
.LBB94_64:
	s_wait_alu 0xfffe
	s_or_b32 exec_lo, exec_lo, s0
	s_and_saveexec_b32 s0, vcc_lo
	s_cbranch_execnz .LBB94_88
.LBB94_65:
	s_wait_alu 0xfffe
	s_or_b32 exec_lo, exec_lo, s0
	s_and_saveexec_b32 s0, vcc_lo
	s_cbranch_execnz .LBB94_89
.LBB94_66:
	s_wait_alu 0xfffe
	s_or_b32 exec_lo, exec_lo, s0
	s_and_saveexec_b32 s0, vcc_lo
	s_cbranch_execnz .LBB94_90
.LBB94_67:
	s_wait_alu 0xfffe
	s_or_b32 exec_lo, exec_lo, s0
	s_and_saveexec_b32 s0, vcc_lo
	s_cbranch_execz .LBB94_69
.LBB94_68:
	ds_load_b32 v10, v8 offset:384
	s_wait_dscnt 0x0
	v_add_f32_e32 v1, v1, v10
.LBB94_69:
	s_wait_alu 0xfffe
	s_or_b32 exec_lo, exec_lo, s0
.LBB94_70:
	s_wait_alu 0xfffe
	s_or_b32 exec_lo, exec_lo, s1
	v_and_b32_e32 v10, 0x3e1, v0
	s_mov_b32 s1, exec_lo
	s_wait_loadcnt 0x0
	s_barrier_signal -1
	s_barrier_wait -1
	global_inv scope:SCOPE_SE
	v_cmpx_eq_u32_e32 32, v10
	s_cbranch_execz .LBB94_72
; %bb.71:
	ds_store_2addr_b32 v9, v7, v6 offset1:16
	ds_store_2addr_b32 v9, v5, v4 offset0:32 offset1:48
	ds_store_2addr_b32 v9, v3, v2 offset0:64 offset1:80
	ds_store_b32 v9, v1 offset:384
.LBB94_72:
	s_wait_alu 0xfffe
	s_or_b32 exec_lo, exec_lo, s1
	s_delay_alu instid0(SALU_CYCLE_1)
	s_mov_b32 s1, exec_lo
	s_wait_loadcnt_dscnt 0x0
	s_barrier_signal -1
	s_barrier_wait -1
	global_inv scope:SCOPE_SE
	v_cmpx_gt_u32_e32 32, v0
	s_cbranch_execz .LBB94_82
; %bb.73:
	s_and_saveexec_b32 s0, vcc_lo
	s_cbranch_execnz .LBB94_91
; %bb.74:
	s_wait_alu 0xfffe
	s_or_b32 exec_lo, exec_lo, s0
	s_and_saveexec_b32 s0, vcc_lo
	s_cbranch_execnz .LBB94_92
.LBB94_75:
	s_wait_alu 0xfffe
	s_or_b32 exec_lo, exec_lo, s0
	s_and_saveexec_b32 s0, vcc_lo
	s_cbranch_execnz .LBB94_93
.LBB94_76:
	s_wait_alu 0xfffe
	s_or_b32 exec_lo, exec_lo, s0
	s_and_saveexec_b32 s0, vcc_lo
	s_cbranch_execnz .LBB94_94
.LBB94_77:
	s_wait_alu 0xfffe
	s_or_b32 exec_lo, exec_lo, s0
	s_and_saveexec_b32 s0, vcc_lo
	s_cbranch_execnz .LBB94_95
.LBB94_78:
	s_wait_alu 0xfffe
	s_or_b32 exec_lo, exec_lo, s0
	s_and_saveexec_b32 s0, vcc_lo
	s_cbranch_execnz .LBB94_96
.LBB94_79:
	s_wait_alu 0xfffe
	s_or_b32 exec_lo, exec_lo, s0
	s_and_saveexec_b32 s0, vcc_lo
	s_cbranch_execz .LBB94_81
.LBB94_80:
	ds_load_b32 v0, v8 offset:384
	s_wait_dscnt 0x0
	v_add_f32_e32 v1, v1, v0
.LBB94_81:
	s_wait_alu 0xfffe
	s_or_b32 exec_lo, exec_lo, s0
.LBB94_82:
	s_wait_alu 0xfffe
	s_or_b32 exec_lo, exec_lo, s1
	s_mov_b32 s1, 0
	s_wait_loadcnt 0x0
	s_barrier_signal -1
	s_barrier_wait -1
	global_inv scope:SCOPE_SE
	s_mov_b32 s0, exec_lo
	v_cmpx_eq_u32_e32 0, v10
	s_cbranch_execz .LBB94_84
; %bb.83:
	s_mul_i32 s2, s26, 0x70
	s_wait_kmcnt 0x0
	s_mul_i32 s4, s8, s16
	s_wait_alu 0xfffe
	s_ashr_i32 s3, s2, 31
	s_ashr_i32 s5, s4, 31
	s_wait_alu 0xfffe
	s_lshl_b64 s[2:3], s[2:3], 1
	s_lshl_b64 s[4:5], s[4:5], 1
	s_wait_alu 0xfffe
	s_add_nc_u64 s[2:3], s[14:15], s[2:3]
	v_lshlrev_b32_e32 v0, 1, v21
	s_mul_i32 s0, s30, 0xe0
	s_wait_alu 0xfffe
	s_add_nc_u64 s[2:3], s[2:3], s[4:5]
	;;#ASMSTART
	v_cvt_f16_f32 v7, v7;

	;;#ASMEND
	s_wait_alu 0xfffe
	s_add_nc_u64 s[0:1], s[2:3], s[0:1]
	global_store_b16 v0, v7, s[0:1]
	;;#ASMSTART
	v_cvt_f16_f32 v6, v6;

	;;#ASMEND
	global_store_b16 v0, v6, s[0:1] offset:32
	;;#ASMSTART
	v_cvt_f16_f32 v5, v5;

	;;#ASMEND
	global_store_b16 v0, v5, s[0:1] offset:64
	;; [unrolled: 5-line block ×6, first 2 shown]
.LBB94_84:
	s_nop 0
	s_sendmsg sendmsg(MSG_DEALLOC_VGPRS)
	s_endpgm
.LBB94_85:
	ds_load_b32 v10, v8
	s_wait_dscnt 0x0
	v_add_f32_e32 v7, v7, v10
	s_wait_alu 0xfffe
	s_or_b32 exec_lo, exec_lo, s0
	s_and_saveexec_b32 s0, vcc_lo
	s_cbranch_execz .LBB94_63
.LBB94_86:
	ds_load_b32 v10, v8 offset:64
	s_wait_dscnt 0x0
	v_add_f32_e32 v6, v6, v10
	s_wait_alu 0xfffe
	s_or_b32 exec_lo, exec_lo, s0
	s_and_saveexec_b32 s0, vcc_lo
	s_cbranch_execz .LBB94_64
.LBB94_87:
	ds_load_b32 v10, v8 offset:128
	s_wait_dscnt 0x0
	v_add_f32_e32 v5, v5, v10
	s_wait_alu 0xfffe
	s_or_b32 exec_lo, exec_lo, s0
	s_and_saveexec_b32 s0, vcc_lo
	s_cbranch_execz .LBB94_65
.LBB94_88:
	ds_load_b32 v10, v8 offset:192
	s_wait_dscnt 0x0
	v_add_f32_e32 v4, v4, v10
	s_wait_alu 0xfffe
	s_or_b32 exec_lo, exec_lo, s0
	s_and_saveexec_b32 s0, vcc_lo
	s_cbranch_execz .LBB94_66
.LBB94_89:
	ds_load_b32 v10, v8 offset:256
	s_wait_dscnt 0x0
	v_add_f32_e32 v3, v3, v10
	s_wait_alu 0xfffe
	s_or_b32 exec_lo, exec_lo, s0
	s_and_saveexec_b32 s0, vcc_lo
	s_cbranch_execz .LBB94_67
.LBB94_90:
	ds_load_b32 v10, v8 offset:320
	s_wait_dscnt 0x0
	v_add_f32_e32 v2, v2, v10
	s_wait_alu 0xfffe
	s_or_b32 exec_lo, exec_lo, s0
	s_and_saveexec_b32 s0, vcc_lo
	s_cbranch_execnz .LBB94_68
	s_branch .LBB94_69
.LBB94_91:
	ds_load_b32 v0, v8
	s_wait_dscnt 0x0
	v_add_f32_e32 v7, v7, v0
	s_wait_alu 0xfffe
	s_or_b32 exec_lo, exec_lo, s0
	s_and_saveexec_b32 s0, vcc_lo
	s_cbranch_execz .LBB94_75
.LBB94_92:
	ds_load_b32 v0, v8 offset:64
	s_wait_dscnt 0x0
	v_add_f32_e32 v6, v6, v0
	s_wait_alu 0xfffe
	s_or_b32 exec_lo, exec_lo, s0
	s_and_saveexec_b32 s0, vcc_lo
	s_cbranch_execz .LBB94_76
.LBB94_93:
	ds_load_b32 v0, v8 offset:128
	s_wait_dscnt 0x0
	v_add_f32_e32 v5, v5, v0
	s_wait_alu 0xfffe
	s_or_b32 exec_lo, exec_lo, s0
	s_and_saveexec_b32 s0, vcc_lo
	s_cbranch_execz .LBB94_77
.LBB94_94:
	ds_load_b32 v0, v8 offset:192
	s_wait_dscnt 0x0
	v_add_f32_e32 v4, v4, v0
	s_wait_alu 0xfffe
	s_or_b32 exec_lo, exec_lo, s0
	s_and_saveexec_b32 s0, vcc_lo
	s_cbranch_execz .LBB94_78
.LBB94_95:
	ds_load_b32 v0, v8 offset:256
	s_wait_dscnt 0x0
	v_add_f32_e32 v3, v3, v0
	s_wait_alu 0xfffe
	s_or_b32 exec_lo, exec_lo, s0
	s_and_saveexec_b32 s0, vcc_lo
	s_cbranch_execz .LBB94_79
.LBB94_96:
	ds_load_b32 v0, v8 offset:320
	s_wait_dscnt 0x0
	v_add_f32_e32 v2, v2, v0
	s_wait_alu 0xfffe
	s_or_b32 exec_lo, exec_lo, s0
	s_and_saveexec_b32 s0, vcc_lo
	s_cbranch_execnz .LBB94_80
	s_branch .LBB94_81
	.section	.rodata,"a",@progbits
	.p2align	6, 0x0
	.amdhsa_kernel _ZN4vllm25paged_attention_v2_kernelIttLi112ELi16ELi128ELNS_18Fp8KVCacheDataTypeE0ELb1ELi512EEEvPfS2_PT_PKS3_PKT0_S9_ifPKiSB_iPKfiiiSD_SD_iiiii
		.amdhsa_group_segment_fixed_size 256
		.amdhsa_private_segment_fixed_size 0
		.amdhsa_kernarg_size 400
		.amdhsa_user_sgpr_count 2
		.amdhsa_user_sgpr_dispatch_ptr 0
		.amdhsa_user_sgpr_queue_ptr 0
		.amdhsa_user_sgpr_kernarg_segment_ptr 1
		.amdhsa_user_sgpr_dispatch_id 0
		.amdhsa_user_sgpr_private_segment_size 0
		.amdhsa_wavefront_size32 1
		.amdhsa_uses_dynamic_stack 0
		.amdhsa_enable_private_segment 0
		.amdhsa_system_sgpr_workgroup_id_x 1
		.amdhsa_system_sgpr_workgroup_id_y 1
		.amdhsa_system_sgpr_workgroup_id_z 1
		.amdhsa_system_sgpr_workgroup_info 0
		.amdhsa_system_vgpr_workitem_id 0
		.amdhsa_next_free_vgpr 120
		.amdhsa_next_free_sgpr 42
		.amdhsa_reserve_vcc 1
		.amdhsa_float_round_mode_32 0
		.amdhsa_float_round_mode_16_64 0
		.amdhsa_float_denorm_mode_32 3
		.amdhsa_float_denorm_mode_16_64 3
		.amdhsa_fp16_overflow 0
		.amdhsa_workgroup_processor_mode 1
		.amdhsa_memory_ordered 1
		.amdhsa_forward_progress 1
		.amdhsa_inst_pref_size 68
		.amdhsa_round_robin_scheduling 0
		.amdhsa_exception_fp_ieee_invalid_op 0
		.amdhsa_exception_fp_denorm_src 0
		.amdhsa_exception_fp_ieee_div_zero 0
		.amdhsa_exception_fp_ieee_overflow 0
		.amdhsa_exception_fp_ieee_underflow 0
		.amdhsa_exception_fp_ieee_inexact 0
		.amdhsa_exception_int_div_zero 0
	.end_amdhsa_kernel
	.section	.text._ZN4vllm25paged_attention_v2_kernelIttLi112ELi16ELi128ELNS_18Fp8KVCacheDataTypeE0ELb1ELi512EEEvPfS2_PT_PKS3_PKT0_S9_ifPKiSB_iPKfiiiSD_SD_iiiii,"axG",@progbits,_ZN4vllm25paged_attention_v2_kernelIttLi112ELi16ELi128ELNS_18Fp8KVCacheDataTypeE0ELb1ELi512EEEvPfS2_PT_PKS3_PKT0_S9_ifPKiSB_iPKfiiiSD_SD_iiiii,comdat
.Lfunc_end94:
	.size	_ZN4vllm25paged_attention_v2_kernelIttLi112ELi16ELi128ELNS_18Fp8KVCacheDataTypeE0ELb1ELi512EEEvPfS2_PT_PKS3_PKT0_S9_ifPKiSB_iPKfiiiSD_SD_iiiii, .Lfunc_end94-_ZN4vllm25paged_attention_v2_kernelIttLi112ELi16ELi128ELNS_18Fp8KVCacheDataTypeE0ELb1ELi512EEEvPfS2_PT_PKS3_PKT0_S9_ifPKiSB_iPKfiiiSD_SD_iiiii
                                        ; -- End function
	.set _ZN4vllm25paged_attention_v2_kernelIttLi112ELi16ELi128ELNS_18Fp8KVCacheDataTypeE0ELb1ELi512EEEvPfS2_PT_PKS3_PKT0_S9_ifPKiSB_iPKfiiiSD_SD_iiiii.num_vgpr, 120
	.set _ZN4vllm25paged_attention_v2_kernelIttLi112ELi16ELi128ELNS_18Fp8KVCacheDataTypeE0ELb1ELi512EEEvPfS2_PT_PKS3_PKT0_S9_ifPKiSB_iPKfiiiSD_SD_iiiii.num_agpr, 0
	.set _ZN4vllm25paged_attention_v2_kernelIttLi112ELi16ELi128ELNS_18Fp8KVCacheDataTypeE0ELb1ELi512EEEvPfS2_PT_PKS3_PKT0_S9_ifPKiSB_iPKfiiiSD_SD_iiiii.numbered_sgpr, 42
	.set _ZN4vllm25paged_attention_v2_kernelIttLi112ELi16ELi128ELNS_18Fp8KVCacheDataTypeE0ELb1ELi512EEEvPfS2_PT_PKS3_PKT0_S9_ifPKiSB_iPKfiiiSD_SD_iiiii.num_named_barrier, 0
	.set _ZN4vllm25paged_attention_v2_kernelIttLi112ELi16ELi128ELNS_18Fp8KVCacheDataTypeE0ELb1ELi512EEEvPfS2_PT_PKS3_PKT0_S9_ifPKiSB_iPKfiiiSD_SD_iiiii.private_seg_size, 0
	.set _ZN4vllm25paged_attention_v2_kernelIttLi112ELi16ELi128ELNS_18Fp8KVCacheDataTypeE0ELb1ELi512EEEvPfS2_PT_PKS3_PKT0_S9_ifPKiSB_iPKfiiiSD_SD_iiiii.uses_vcc, 1
	.set _ZN4vllm25paged_attention_v2_kernelIttLi112ELi16ELi128ELNS_18Fp8KVCacheDataTypeE0ELb1ELi512EEEvPfS2_PT_PKS3_PKT0_S9_ifPKiSB_iPKfiiiSD_SD_iiiii.uses_flat_scratch, 0
	.set _ZN4vllm25paged_attention_v2_kernelIttLi112ELi16ELi128ELNS_18Fp8KVCacheDataTypeE0ELb1ELi512EEEvPfS2_PT_PKS3_PKT0_S9_ifPKiSB_iPKfiiiSD_SD_iiiii.has_dyn_sized_stack, 0
	.set _ZN4vllm25paged_attention_v2_kernelIttLi112ELi16ELi128ELNS_18Fp8KVCacheDataTypeE0ELb1ELi512EEEvPfS2_PT_PKS3_PKT0_S9_ifPKiSB_iPKfiiiSD_SD_iiiii.has_recursion, 0
	.set _ZN4vllm25paged_attention_v2_kernelIttLi112ELi16ELi128ELNS_18Fp8KVCacheDataTypeE0ELb1ELi512EEEvPfS2_PT_PKS3_PKT0_S9_ifPKiSB_iPKfiiiSD_SD_iiiii.has_indirect_call, 0
	.section	.AMDGPU.csdata,"",@progbits
; Kernel info:
; codeLenInByte = 8620
; TotalNumSgprs: 44
; NumVgprs: 120
; ScratchSize: 0
; MemoryBound: 0
; FloatMode: 240
; IeeeMode: 1
; LDSByteSize: 256 bytes/workgroup (compile time only)
; SGPRBlocks: 0
; VGPRBlocks: 14
; NumSGPRsForWavesPerEU: 44
; NumVGPRsForWavesPerEU: 120
; Occupancy: 12
; WaveLimiterHint : 1
; COMPUTE_PGM_RSRC2:SCRATCH_EN: 0
; COMPUTE_PGM_RSRC2:USER_SGPR: 2
; COMPUTE_PGM_RSRC2:TRAP_HANDLER: 0
; COMPUTE_PGM_RSRC2:TGID_X_EN: 1
; COMPUTE_PGM_RSRC2:TGID_Y_EN: 1
; COMPUTE_PGM_RSRC2:TGID_Z_EN: 1
; COMPUTE_PGM_RSRC2:TIDIG_COMP_CNT: 0
	.section	.text._ZN4vllm25paged_attention_v2_kernelIttLi120ELi16ELi128ELNS_18Fp8KVCacheDataTypeE0ELb1ELi512EEEvPfS2_PT_PKS3_PKT0_S9_ifPKiSB_iPKfiiiSD_SD_iiiii,"axG",@progbits,_ZN4vllm25paged_attention_v2_kernelIttLi120ELi16ELi128ELNS_18Fp8KVCacheDataTypeE0ELb1ELi512EEEvPfS2_PT_PKS3_PKT0_S9_ifPKiSB_iPKfiiiSD_SD_iiiii,comdat
	.protected	_ZN4vllm25paged_attention_v2_kernelIttLi120ELi16ELi128ELNS_18Fp8KVCacheDataTypeE0ELb1ELi512EEEvPfS2_PT_PKS3_PKT0_S9_ifPKiSB_iPKfiiiSD_SD_iiiii ; -- Begin function _ZN4vllm25paged_attention_v2_kernelIttLi120ELi16ELi128ELNS_18Fp8KVCacheDataTypeE0ELb1ELi512EEEvPfS2_PT_PKS3_PKT0_S9_ifPKiSB_iPKfiiiSD_SD_iiiii
	.globl	_ZN4vllm25paged_attention_v2_kernelIttLi120ELi16ELi128ELNS_18Fp8KVCacheDataTypeE0ELb1ELi512EEEvPfS2_PT_PKS3_PKT0_S9_ifPKiSB_iPKfiiiSD_SD_iiiii
	.p2align	8
	.type	_ZN4vllm25paged_attention_v2_kernelIttLi120ELi16ELi128ELNS_18Fp8KVCacheDataTypeE0ELb1ELi512EEEvPfS2_PT_PKS3_PKT0_S9_ifPKiSB_iPKfiiiSD_SD_iiiii,@function
_ZN4vllm25paged_attention_v2_kernelIttLi120ELi16ELi128ELNS_18Fp8KVCacheDataTypeE0ELb1ELi512EEEvPfS2_PT_PKS3_PKT0_S9_ifPKiSB_iPKfiiiSD_SD_iiiii: ; @_ZN4vllm25paged_attention_v2_kernelIttLi120ELi16ELi128ELNS_18Fp8KVCacheDataTypeE0ELb1ELi512EEEvPfS2_PT_PKS3_PKT0_S9_ifPKiSB_iPKfiiiSD_SD_iiiii
; %bb.0:
	s_load_b64 s[2:3], s[0:1], 0x40
	s_and_b32 s20, ttmp7, 0xffff
	s_lshr_b32 s30, ttmp7, 16
	s_lshl_b32 s4, s20, 2
	s_lshl_b32 s33, s30, 9
	s_wait_kmcnt 0x0
	s_load_b32 s31, s[2:3], s4 offset:0x0
	s_wait_kmcnt 0x0
	s_cmp_ge_i32 s33, s31
	s_cbranch_scc1 .LBB95_115
; %bb.1:
	s_clause 0x1
	s_load_b32 s21, s[0:1], 0x90
	s_load_b64 s[6:7], s[0:1], 0x30
	s_wait_kmcnt 0x0
	s_abs_i32 s5, s21
	s_abs_i32 s2, s6
	s_delay_alu instid0(SALU_CYCLE_1) | instskip(SKIP_1) | instid1(SALU_CYCLE_2)
	s_cvt_f32_u32 s3, s2
	s_sub_co_i32 s4, 0, s2
	v_rcp_iflag_f32_e32 v1, s3
	s_delay_alu instid0(TRANS32_DEP_1) | instskip(SKIP_2) | instid1(SALU_CYCLE_2)
	v_readfirstlane_b32 s3, v1
	s_mul_f32 s3, s3, 0x4f7ffffe
	s_wait_alu 0xfffe
	s_cvt_u32_f32 s3, s3
	s_wait_alu 0xfffe
	s_delay_alu instid0(SALU_CYCLE_2) | instskip(NEXT) | instid1(SALU_CYCLE_1)
	s_mul_i32 s4, s4, s3
	s_mul_hi_u32 s4, s3, s4
	s_delay_alu instid0(SALU_CYCLE_1)
	s_add_co_i32 s3, s3, s4
	s_xor_b32 s4, s21, s6
	s_wait_alu 0xfffe
	s_mul_hi_u32 s3, s5, s3
	s_ashr_i32 s4, s4, 31
	s_wait_alu 0xfffe
	s_mul_i32 s8, s3, s2
	s_delay_alu instid0(SALU_CYCLE_1)
	s_sub_co_i32 s5, s5, s8
	s_add_co_i32 s8, s3, 1
	s_sub_co_i32 s9, s5, s2
	s_cmp_ge_u32 s5, s2
	s_cselect_b32 s3, s8, s3
	s_cselect_b32 s5, s9, s5
	s_wait_alu 0xfffe
	s_add_co_i32 s8, s3, 1
	s_cmp_ge_u32 s5, s2
	s_cselect_b32 s2, s8, s3
	s_load_b64 s[8:9], s[0:1], 0x50
	s_xor_b32 s2, s2, s4
	s_mov_b32 s3, 0
	s_wait_alu 0xfffe
	s_sub_co_i32 s10, s2, s4
	s_mov_b32 s15, s3
	s_abs_i32 s18, s10
	s_delay_alu instid0(SALU_CYCLE_1) | instskip(SKIP_1) | instid1(SALU_CYCLE_2)
	s_cvt_f32_u32 s2, s18
	s_wait_alu 0xfffe
	v_rcp_iflag_f32_e32 v1, s2
	s_delay_alu instid0(TRANS32_DEP_1) | instskip(SKIP_2) | instid1(SALU_CYCLE_2)
	v_readfirstlane_b32 s2, v1
	s_mul_f32 s2, s2, 0x4f7ffffe
	s_wait_alu 0xfffe
	s_cvt_u32_f32 s4, s2
	s_sub_co_i32 s2, 0, s18
	s_wait_alu 0xfffe
	s_delay_alu instid0(SALU_CYCLE_1)
	s_mul_i32 s2, s2, s4
	s_wait_alu 0xfffe
	s_mul_hi_u32 s5, s4, s2
	s_abs_i32 s2, ttmp9
	s_add_co_i32 s4, s4, s5
	s_mov_b32 s5, s3
	s_wait_kmcnt 0x0
	s_cmp_eq_u64 s[8:9], 0
	s_cbranch_scc1 .LBB95_3
; %bb.2:
	s_mov_b32 s12, ttmp9
	s_ashr_i32 s13, ttmp9, 31
	s_delay_alu instid0(SALU_CYCLE_1) | instskip(NEXT) | instid1(SALU_CYCLE_1)
	s_lshl_b64 s[12:13], s[12:13], 2
	s_add_nc_u64 s[8:9], s[8:9], s[12:13]
	s_load_b32 s15, s[8:9], 0x0
.LBB95_3:
	s_load_b96 s[12:14], s[0:1], 0x58
	v_lshrrev_b32_e32 v25, 1, v0
	v_and_b32_e32 v26, 1, v0
	v_lshlrev_b32_e32 v30, 3, v0
	s_mul_u64 s[4:5], s[2:3], s[4:5]
	s_ashr_i32 s3, ttmp9, 31
	s_ashr_i32 s4, s10, 31
	s_mul_i32 s16, ttmp9, 0x78
	s_mov_b32 s8, exec_lo
	v_cmpx_gt_u32_e32 30, v0
	s_cbranch_execz .LBB95_5
; %bb.4:
	s_load_b64 s[10:11], s[0:1], 0x18
	s_wait_kmcnt 0x0
	s_mul_i32 s22, s12, s20
	s_ashr_i32 s17, s16, 31
	s_ashr_i32 s23, s22, 31
	v_lshlrev_b32_e32 v3, 3, v25
	s_lshl_b64 s[22:23], s[22:23], 1
	s_delay_alu instid0(VALU_DEP_1) | instskip(SKIP_2) | instid1(SALU_CYCLE_1)
	v_mad_u32_u24 v3, 0x78, v26, v3
	s_add_nc_u64 s[10:11], s[10:11], s[22:23]
	s_lshl_b64 s[22:23], s[16:17], 1
	s_add_nc_u64 s[10:11], s[10:11], s[22:23]
	global_load_b64 v[1:2], v30, s[10:11]
	s_wait_loadcnt 0x0
	ds_store_b64 v3, v[1:2]
.LBB95_5:
	s_or_b32 exec_lo, exec_lo, s8
	s_clause 0x1
	s_load_b128 s[8:11], s[0:1], 0x78
	s_load_b32 s22, s[0:1], 0x88
	s_wait_kmcnt 0x0
	s_mul_i32 s12, s5, s18
	s_xor_b32 s3, s3, s4
	s_sub_co_i32 s2, s2, s12
	s_add_co_i32 s4, s5, 1
	s_wait_alu 0xfffe
	s_sub_co_i32 s12, s2, s18
	s_cmp_ge_u32 s2, s18
	s_mov_b32 s24, -1
	s_cselect_b32 s4, s4, s5
	s_cselect_b32 s2, s12, s2
	s_add_co_i32 s5, s4, 1
	s_wait_alu 0xfffe
	s_cmp_ge_u32 s2, s18
	s_wait_dscnt 0x0
	s_cselect_b32 s2, s5, s4
	s_add_co_i32 s23, s31, -1
	s_wait_alu 0xfffe
	s_xor_b32 s2, s2, s3
	s_barrier_signal -1
	s_wait_alu 0xfffe
	s_sub_co_i32 s26, s2, s3
	s_barrier_wait -1
	s_abs_i32 s12, s11
	global_inv scope:SCOPE_SE
	s_cvt_f32_u32 s4, s12
                                        ; implicit-def: $sgpr17
	s_delay_alu instid0(SALU_CYCLE_3) | instskip(NEXT) | instid1(TRANS32_DEP_1)
	v_rcp_iflag_f32_e32 v1, s4
	v_readfirstlane_b32 s4, v1
	s_mul_f32 s2, s4, 0x4f7ffffe
	s_wait_alu 0xfffe
	s_delay_alu instid0(SALU_CYCLE_2) | instskip(SKIP_2) | instid1(SALU_CYCLE_1)
	s_cvt_u32_f32 s4, s2
	s_sub_co_i32 s2, 0, s12
	s_wait_alu 0xfffe
	s_mul_i32 s3, s2, s4
	s_abs_i32 s2, s23
	s_wait_alu 0xfffe
	s_mul_hi_u32 s5, s4, s3
	s_mov_b32 s3, 0
	s_wait_alu 0xfffe
	s_add_co_i32 s18, s4, s5
	s_cmp_lt_i32 s22, 0
	s_mov_b32 s19, s3
	s_cbranch_scc0 .LBB95_7
; %bb.6:
	s_mul_i32 s4, s8, s6
	s_mov_b32 s24, s3
	s_wait_alu 0xfffe
	s_add_co_i32 s4, s26, s4
	s_wait_alu 0xfffe
	s_mul_i32 s4, s4, s22
	s_wait_alu 0xfffe
	s_sub_co_i32 s17, 1, s4
.LBB95_7:
	s_mul_u64 s[4:5], s[2:3], s[18:19]
	s_ashr_i32 s3, s23, 31
	s_and_not1_b32 vcc_lo, exec_lo, s24
	s_ashr_i32 s11, s11, 31
	s_cbranch_vccnz .LBB95_9
; %bb.8:
	s_mul_i32 s4, s21, s8
	s_wait_alu 0xfffe
	s_add_co_i32 s4, s4, ttmp9
	s_wait_alu 0xfffe
	s_mul_i32 s4, s4, s22
	s_wait_alu 0xfffe
	s_add_co_i32 s17, s4, 1
.LBB95_9:
	s_clause 0x2
	s_load_b32 s4, s[0:1], 0x48
	s_load_b64 s[22:23], s[0:1], 0x38
	s_load_b32 s8, s[0:1], 0x98
	s_mul_i32 s6, s5, s12
	s_xor_b32 s3, s3, s11
	s_sub_co_i32 s2, s2, s6
	s_add_co_i32 s19, s5, 1
	v_lshrrev_b32_e32 v27, 5, v0
	v_mov_b32_e32 v33, 0xff7fffff
	v_mbcnt_lo_u32_b32 v32, -1, 0
	s_mul_i32 s26, s26, s14
	s_mov_b32 s6, exec_lo
	v_lshl_add_u32 v28, v27, 4, s33
	s_wait_kmcnt 0x0
	s_mul_i32 s24, s4, s20
	s_wait_alu 0xfffe
	s_sub_co_i32 s4, s2, s12
	s_ashr_i32 s25, s24, 31
	s_cmp_ge_u32 s2, s12
	s_cselect_b32 s5, s19, s5
	s_wait_alu 0xfffe
	s_cselect_b32 s2, s4, s2
	s_add_co_i32 s4, s5, 1
	s_wait_alu 0xfffe
	s_cmp_ge_u32 s2, s12
	s_cselect_b32 s2, s4, s5
	s_add_co_i32 s4, s31, 15
	s_lshl_b32 s36, s30, 5
	s_wait_alu 0xfffe
	s_ashr_i32 s5, s4, 31
	v_or_b32_e32 v29, s36, v27
	s_wait_alu 0xfffe
	s_lshr_b32 s5, s5, 28
	s_wait_alu 0xfffe
	s_add_co_i32 s4, s4, s5
	s_add_co_i32 s5, s36, 32
	s_wait_alu 0xfffe
	s_ashr_i32 s34, s4, 4
	s_xor_b32 s4, s2, s3
	s_min_i32 s19, s5, s34
	v_lshlrev_b32_e32 v31, 2, v29
	v_cmp_le_i32_e64 s2, s19, v29
	s_wait_alu 0xfffe
	s_sub_co_i32 s35, s4, s3
	v_cmpx_gt_i32_e64 s19, v29
	s_cbranch_execz .LBB95_21
; %bb.10:
	s_ashr_i32 s27, s26, 31
	s_sub_co_i32 s14, s35, s9
	s_lshl_b64 s[4:5], s[26:27], 1
	s_cmp_neq_f32 s15, 0
	s_load_b64 s[38:39], s[0:1], 0x20
	v_bfe_u32 v34, v0, 1, 4
	v_dual_mov_b32 v41, 0xff7fffff :: v_dual_and_b32 v2, 8, v30
	s_cselect_b32 vcc_lo, -1, 0
	s_abs_i32 s27, s10
	s_delay_alu instid0(VALU_DEP_2)
	v_lshlrev_b32_e32 v3, 4, v34
	s_cvt_f32_u32 s3, s27
	v_lshlrev_b32_e32 v5, 2, v34
	s_lshl_b64 s[40:41], s[24:25], 2
	v_subrev_nc_u32_e32 v4, s31, v34
	s_wait_alu 0xfffe
	v_rcp_iflag_f32_e32 v1, s3
	s_add_nc_u64 s[40:41], s[22:23], s[40:41]
	v_lshl_or_b32 v5, v27, 6, v5
	s_sub_co_i32 s37, 0, s27
	v_cmp_eq_u32_e64 s3, 0, v26
	v_mul_u32_u24_e32 v35, 0x78, v26
	v_lshl_add_u32 v38, v27, 4, s33
	v_add_nc_u32_e32 v39, 1, v4
	v_dual_mov_b32 v43, v29 :: v_dual_add_nc_u32 v40, 0x110, v5
	s_delay_alu instid0(TRANS32_DEP_1)
	v_readfirstlane_b32 s29, v1
	s_wait_kmcnt 0x0
	s_add_nc_u64 s[4:5], s[38:39], s[4:5]
	v_xor_b32_e32 v42, 1, v32
	s_wait_alu 0xfffe
	v_add_co_u32 v1, s4, s4, v3
	s_mul_f32 s29, s29, 0x4f7ffffe
	s_wait_alu 0xf1ff
	v_add_co_ci_u32_e64 v3, null, s5, 0, s4
	v_add_co_u32 v36, s4, v1, v2
	s_cvt_u32_f32 s5, s29
	s_wait_alu 0xf1ff
	v_add_co_ci_u32_e64 v37, null, 0, v3, s4
	v_add_co_u32 v1, s4, s40, v31
	s_wait_alu 0xfffe
	s_mul_i32 s37, s37, s5
	v_add_co_ci_u32_e64 v2, null, s41, 0, s4
	v_mov_b32_e32 v33, 0xff7fffff
	s_wait_alu 0xfffe
	s_mul_hi_u32 s4, s5, s37
	s_mov_b32 s28, 0
	s_mov_b32 s29, s13
	s_wait_alu 0xfffe
	s_add_co_i32 s37, s5, s4
	s_branch .LBB95_13
.LBB95_11:                              ;   in Loop: Header=BB95_13 Depth=1
	s_or_b32 exec_lo, exec_lo, s38
.LBB95_12:                              ;   in Loop: Header=BB95_13 Depth=1
	s_wait_alu 0xfffe
	s_or_b32 exec_lo, exec_lo, s5
	v_add_nc_u32_e32 v43, 4, v43
	v_add_co_u32 v1, s5, v1, 16
	s_wait_alu 0xf1ff
	v_add_co_ci_u32_e64 v2, null, 0, v2, s5
	s_delay_alu instid0(VALU_DEP_3)
	v_cmp_le_i32_e64 s4, s19, v43
	v_add_nc_u32_e32 v38, 64, v38
	v_add_nc_u32_e32 v40, 0x100, v40
	s_or_b32 s28, s4, s28
	s_wait_alu 0xfffe
	s_and_not1_b32 exec_lo, exec_lo, s28
	s_cbranch_execz .LBB95_20
.LBB95_13:                              ; =>This Inner Loop Header: Depth=1
	v_sub_nc_u32_e32 v3, 0, v38
	s_delay_alu instid0(VALU_DEP_1) | instskip(SKIP_1) | instid1(VALU_DEP_1)
	v_max_i32_e32 v3, v38, v3
	s_wait_dscnt 0x0
	v_mul_hi_u32 v4, v3, s18
	s_delay_alu instid0(VALU_DEP_1) | instskip(NEXT) | instid1(VALU_DEP_1)
	v_mul_lo_u32 v5, v4, s12
	v_sub_nc_u32_e32 v3, v3, v5
	v_add_nc_u32_e32 v5, 1, v4
	s_delay_alu instid0(VALU_DEP_2) | instskip(SKIP_2) | instid1(VALU_DEP_1)
	v_subrev_nc_u32_e32 v6, s12, v3
	v_cmp_le_u32_e64 s4, s12, v3
	s_wait_alu 0xf1ff
	v_cndmask_b32_e64 v4, v4, v5, s4
	s_delay_alu instid0(VALU_DEP_3) | instskip(SKIP_1) | instid1(VALU_DEP_3)
	v_cndmask_b32_e64 v3, v3, v6, s4
	v_ashrrev_i32_e32 v5, 31, v38
	v_add_nc_u32_e32 v6, 1, v4
	s_delay_alu instid0(VALU_DEP_3) | instskip(NEXT) | instid1(VALU_DEP_3)
	v_cmp_le_u32_e64 s4, s12, v3
	v_xor_b32_e32 v5, s11, v5
	s_wait_alu 0xf1ff
	s_delay_alu instid0(VALU_DEP_2) | instskip(NEXT) | instid1(VALU_DEP_1)
	v_cndmask_b32_e64 v3, v4, v6, s4
	v_xor_b32_e32 v3, v3, v5
	s_delay_alu instid0(VALU_DEP_1) | instskip(NEXT) | instid1(VALU_DEP_1)
	v_sub_nc_u32_e32 v3, v3, v5
	v_add_nc_u32_e32 v4, s17, v3
	v_cmp_ge_i32_e64 s5, s14, v3
	s_delay_alu instid0(VALU_DEP_2) | instskip(NEXT) | instid1(VALU_DEP_1)
	v_sub_nc_u32_e32 v5, 0, v4
	v_max_i32_e32 v5, v4, v5
	v_ashrrev_i32_e32 v4, 31, v4
	s_wait_alu 0xfffe
	s_delay_alu instid0(VALU_DEP_2) | instskip(NEXT) | instid1(VALU_DEP_1)
	v_mul_hi_u32 v6, v5, s37
	v_mul_lo_u32 v6, v6, s27
	s_delay_alu instid0(VALU_DEP_1) | instskip(NEXT) | instid1(VALU_DEP_1)
	v_sub_nc_u32_e32 v5, v5, v6
	v_subrev_nc_u32_e32 v6, s27, v5
	v_cmp_le_u32_e64 s4, s27, v5
	s_wait_alu 0xf1ff
	s_delay_alu instid0(VALU_DEP_1) | instskip(NEXT) | instid1(VALU_DEP_1)
	v_cndmask_b32_e64 v5, v5, v6, s4
	v_subrev_nc_u32_e32 v6, s27, v5
	v_cmp_le_u32_e64 s4, s27, v5
	s_wait_alu 0xf1ff
	s_delay_alu instid0(VALU_DEP_1) | instskip(NEXT) | instid1(VALU_DEP_1)
	v_cndmask_b32_e64 v5, v5, v6, s4
	v_xor_b32_e32 v5, v5, v4
	s_delay_alu instid0(VALU_DEP_1) | instskip(NEXT) | instid1(VALU_DEP_1)
	v_sub_nc_u32_e32 v4, v5, v4
	v_cmp_ne_u32_e64 s4, 0, v4
	s_and_b32 s4, s4, s5
	s_wait_alu 0xfffe
	s_and_saveexec_b32 s5, s4
	s_wait_alu 0xfffe
	s_xor_b32 s4, exec_lo, s5
	s_cbranch_execz .LBB95_17
; %bb.14:                               ;   in Loop: Header=BB95_13 Depth=1
	s_and_saveexec_b32 s5, s3
; %bb.15:                               ;   in Loop: Header=BB95_13 Depth=1
	ds_store_b32 v40, v41
; %bb.16:                               ;   in Loop: Header=BB95_13 Depth=1
	s_wait_alu 0xfffe
	s_or_b32 exec_lo, exec_lo, s5
.LBB95_17:                              ;   in Loop: Header=BB95_13 Depth=1
	s_wait_alu 0xfffe
	s_and_not1_saveexec_b32 s5, s4
	s_cbranch_execz .LBB95_12
; %bb.18:                               ;   in Loop: Header=BB95_13 Depth=1
	global_load_b32 v3, v[1:2], off
	s_wait_loadcnt 0x0
	v_mad_co_i64_i32 v[3:4], null, v3, s29, 0
	s_delay_alu instid0(VALU_DEP_1) | instskip(NEXT) | instid1(VALU_DEP_1)
	v_lshlrev_b64_e32 v[3:4], 1, v[3:4]
	v_add_co_u32 v3, s4, v36, v3
	s_wait_alu 0xf1ff
	s_delay_alu instid0(VALU_DEP_2)
	v_add_co_ci_u32_e64 v4, null, v37, v4, s4
	v_cmp_gt_i32_e64 s4, 32, v42
	s_clause 0x9
	global_load_b64 v[44:45], v[3:4], off
	global_load_b64 v[52:53], v[3:4], off offset:256
	global_load_b64 v[60:61], v[3:4], off offset:512
	;; [unrolled: 1-line block ×9, first 2 shown]
	ds_load_b64 v[5:6], v35
	s_wait_dscnt 0x0
	v_lshrrev_b32_e32 v46, 16, v5
	v_and_b32_e32 v47, 0xffff, v5
	v_lshrrev_b32_e32 v49, 16, v6
	v_and_b32_e32 v50, 0xffff, v6
	s_clause 0x4
	global_load_b64 v[11:12], v[3:4], off offset:2560
	global_load_b64 v[9:10], v[3:4], off offset:2816
	global_load_b64 v[7:8], v[3:4], off offset:3072
	global_load_b64 v[5:6], v[3:4], off offset:3328
	global_load_b64 v[3:4], v[3:4], off offset:3584
	;;#ASMSTART
	v_cvt_f32_f16 v48, v47;
	;;#ASMEND
	s_wait_loadcnt 0xe
	v_and_b32_e32 v47, 0xffff, v44
	v_lshrrev_b32_e32 v54, 16, v44
	v_lshrrev_b32_e32 v55, 16, v45
	;;#ASMSTART
	v_cvt_f32_f16 v44, v46;
	;;#ASMEND
	v_and_b32_e32 v56, 0xffff, v45
	;;#ASMSTART
	v_cvt_f32_f16 v51, v47;
	;;#ASMEND
	;;#ASMSTART
	v_cvt_f32_f16 v45, v54;
	;;#ASMEND
	;;#ASMSTART
	v_cvt_f32_f16 v46, v50;
	;;#ASMEND
	;;#ASMSTART
	v_cvt_f32_f16 v47, v49;
	;;#ASMEND
	;;#ASMSTART
	v_cvt_f32_f16 v49, v56;
	;;#ASMEND
	;;#ASMSTART
	v_cvt_f32_f16 v50, v55;
	;;#ASMEND
	ds_load_b64 v[54:55], v35 offset:8
	s_wait_loadcnt 0xd
	v_lshrrev_b32_e32 v56, 16, v52
	v_and_b32_e32 v57, 0xffff, v52
	v_lshrrev_b32_e32 v59, 16, v53
	v_and_b32_e32 v58, 0xffff, v53
	s_wait_loadcnt 0xc
	v_lshrrev_b32_e32 v64, 16, v60
	v_lshrrev_b32_e32 v67, 16, v61
	s_wait_loadcnt 0xb
	v_lshrrev_b32_e32 v72, 16, v68
	v_lshrrev_b32_e32 v75, 16, v69
	;; [unrolled: 3-line block ×5, first 2 shown]
	v_and_b32_e32 v20, 0xffff, v20
	s_wait_loadcnt 0x7
	v_lshrrev_b32_e32 v97, 16, v17
	v_lshrrev_b32_e32 v101, 16, v18
	v_and_b32_e32 v18, 0xffff, v18
	s_wait_loadcnt 0x6
	v_lshrrev_b32_e32 v103, 16, v13
	s_wait_dscnt 0x0
	v_and_b32_e32 v52, 0xffff, v54
	v_lshrrev_b32_e32 v54, 16, v54
	v_lshrrev_b32_e32 v62, 16, v55
	v_and_b32_e32 v63, 0xffff, v55
	;;#ASMSTART
	v_cvt_f32_f16 v52, v52;
	;;#ASMEND
	;;#ASMSTART
	v_cvt_f32_f16 v53, v54;
	;;#ASMEND
	;; [unrolled: 3-line block ×8, first 2 shown]
	ds_load_b64 v[62:63], v35 offset:16
	v_dual_mul_f32 v52, v52, v54 :: v_dual_mul_f32 v53, v53, v55
	v_dual_mul_f32 v54, v56, v58 :: v_dual_mul_f32 v55, v57, v59
	v_lshrrev_b32_e32 v107, 16, v14
	s_delay_alu instid0(VALU_DEP_3) | instskip(NEXT) | instid1(VALU_DEP_4)
	v_fmac_f32_e32 v52, v48, v51
	v_fmac_f32_e32 v53, v44, v45
	s_delay_alu instid0(VALU_DEP_4)
	v_dual_fmac_f32 v54, v46, v49 :: v_dual_and_b32 v65, 0xffff, v60
	v_dual_fmac_f32 v55, v47, v50 :: v_dual_and_b32 v66, 0xffff, v61
	v_and_b32_e32 v14, 0xffff, v14
	s_wait_loadcnt 0x5
	v_lshrrev_b32_e32 v109, 16, v15
	v_and_b32_e32 v108, 0xffff, v15
	v_lshrrev_b32_e32 v113, 16, v16
	v_and_b32_e32 v112, 0xffff, v16
	s_wait_loadcnt 0x4
	v_lshrrev_b32_e32 v115, 16, v11
	v_lshrrev_b32_e32 v119, 16, v12
	v_and_b32_e32 v12, 0xffff, v12
	s_wait_dscnt 0x0
	v_and_b32_e32 v60, 0xffff, v62
	v_lshrrev_b32_e32 v62, 16, v62
	v_lshrrev_b32_e32 v70, 16, v63
	;;#ASMSTART
	v_cvt_f32_f16 v61, v60;
	;;#ASMEND
	;;#ASMSTART
	v_cvt_f32_f16 v60, v62;
	;;#ASMEND
	;; [unrolled: 3-line block ×3, first 2 shown]
	v_dual_fmac_f32 v52, v61, v65 :: v_dual_and_b32 v63, 0xffff, v63
	;;#ASMSTART
	v_cvt_f32_f16 v62, v64;
	;;#ASMEND
	;;#ASMSTART
	v_cvt_f32_f16 v63, v63;
	;;#ASMEND
	;; [unrolled: 3-line block ×3, first 2 shown]
	v_fmac_f32_e32 v53, v60, v62
	;;#ASMSTART
	v_cvt_f32_f16 v66, v66;
	;;#ASMEND
	;;#ASMSTART
	v_cvt_f32_f16 v67, v67;
	;;#ASMEND
	ds_load_b64 v[70:71], v35 offset:24
	v_dual_fmac_f32 v54, v63, v66 :: v_dual_and_b32 v73, 0xffff, v68
	v_dual_fmac_f32 v55, v64, v67 :: v_dual_and_b32 v74, 0xffff, v69
	s_wait_loadcnt 0x3
	v_lshrrev_b32_e32 v120, 16, v9
	v_lshrrev_b32_e32 v121, 16, v10
	v_and_b32_e32 v10, 0xffff, v10
	s_wait_loadcnt 0x2
	v_lshrrev_b32_e32 v122, 16, v7
	v_lshrrev_b32_e32 v123, 16, v8
	v_and_b32_e32 v8, 0xffff, v8
	s_wait_loadcnt 0x1
	v_lshrrev_b32_e32 v49, 16, v5
	s_wait_dscnt 0x0
	v_and_b32_e32 v68, 0xffff, v70
	v_lshrrev_b32_e32 v70, 16, v70
	v_lshrrev_b32_e32 v76, 16, v71
	;;#ASMSTART
	v_cvt_f32_f16 v69, v68;
	;;#ASMEND
	;;#ASMSTART
	v_cvt_f32_f16 v68, v70;
	;;#ASMEND
	;; [unrolled: 3-line block ×3, first 2 shown]
	v_dual_fmac_f32 v52, v69, v73 :: v_dual_and_b32 v71, 0xffff, v71
	;;#ASMSTART
	v_cvt_f32_f16 v70, v72;
	;;#ASMEND
	;;#ASMSTART
	v_cvt_f32_f16 v71, v71;
	;;#ASMEND
	;; [unrolled: 3-line block ×3, first 2 shown]
	v_fmac_f32_e32 v53, v68, v70
	;;#ASMSTART
	v_cvt_f32_f16 v74, v74;
	;;#ASMEND
	;;#ASMSTART
	v_cvt_f32_f16 v75, v75;
	;;#ASMEND
	ds_load_b64 v[76:77], v35 offset:32
	v_dual_fmac_f32 v55, v72, v75 :: v_dual_fmac_f32 v54, v71, v74
	s_wait_dscnt 0x0
	v_and_b32_e32 v78, 0xffff, v76
	v_lshrrev_b32_e32 v80, 16, v76
	v_lshrrev_b32_e32 v81, 16, v77
	v_and_b32_e32 v82, 0xffff, v77
	;;#ASMSTART
	v_cvt_f32_f16 v76, v78;
	;;#ASMEND
	v_and_b32_e32 v23, 0xffff, v23
	;;#ASMSTART
	v_cvt_f32_f16 v77, v80;
	;;#ASMEND
	;;#ASMSTART
	v_cvt_f32_f16 v78, v23;
	;;#ASMEND
	;; [unrolled: 3-line block ×5, first 2 shown]
	v_and_b32_e32 v24, 0xffff, v24
	;;#ASMSTART
	v_cvt_f32_f16 v82, v24;
	;;#ASMEND
	;;#ASMSTART
	v_cvt_f32_f16 v83, v83;
	;;#ASMEND
	ds_load_b64 v[23:24], v35 offset:40
	v_fmac_f32_e32 v53, v77, v79
	v_dual_fmac_f32 v54, v80, v82 :: v_dual_and_b32 v21, 0xffff, v21
	v_dual_fmac_f32 v55, v81, v83 :: v_dual_fmac_f32 v52, v76, v78
	s_wait_dscnt 0x0
	v_and_b32_e32 v84, 0xffff, v23
	v_lshrrev_b32_e32 v86, 16, v23
	v_lshrrev_b32_e32 v87, 16, v24
	v_and_b32_e32 v88, 0xffff, v24
	;;#ASMSTART
	v_cvt_f32_f16 v23, v84;
	;;#ASMEND
	;;#ASMSTART
	v_cvt_f32_f16 v24, v86;
	;;#ASMEND
	;; [unrolled: 3-line block ×6, first 2 shown]
	v_and_b32_e32 v22, 0xffff, v22
	;;#ASMSTART
	v_cvt_f32_f16 v88, v22;
	;;#ASMEND
	;;#ASMSTART
	v_cvt_f32_f16 v89, v89;
	;;#ASMEND
	ds_load_b64 v[21:22], v35 offset:48
	v_dual_fmac_f32 v52, v23, v84 :: v_dual_and_b32 v19, 0xffff, v19
	v_dual_fmac_f32 v54, v86, v88 :: v_dual_and_b32 v17, 0xffff, v17
	v_fmac_f32_e32 v53, v24, v85
	v_fmac_f32_e32 v55, v87, v89
	s_wait_dscnt 0x0
	v_and_b32_e32 v90, 0xffff, v21
	v_lshrrev_b32_e32 v92, 16, v21
	v_lshrrev_b32_e32 v93, 16, v22
	v_and_b32_e32 v94, 0xffff, v22
	;;#ASMSTART
	v_cvt_f32_f16 v21, v90;
	;;#ASMEND
	;;#ASMSTART
	v_cvt_f32_f16 v22, v92;
	;;#ASMEND
	;; [unrolled: 3-line block ×8, first 2 shown]
	ds_load_b64 v[19:20], v35 offset:56
	v_dual_fmac_f32 v52, v21, v90 :: v_dual_and_b32 v13, 0xffff, v13
	v_dual_fmac_f32 v54, v92, v94 :: v_dual_fmac_f32 v53, v22, v91
	v_fmac_f32_e32 v55, v93, v95
	v_lshrrev_b32_e32 v21, 16, v6
	v_and_b32_e32 v6, 0xffff, v6
	s_wait_loadcnt 0x0
	v_lshrrev_b32_e32 v22, 16, v3
	s_wait_dscnt 0x0
	v_and_b32_e32 v96, 0xffff, v19
	v_lshrrev_b32_e32 v98, 16, v19
	v_lshrrev_b32_e32 v99, 16, v20
	v_and_b32_e32 v100, 0xffff, v20
	;;#ASMSTART
	v_cvt_f32_f16 v19, v96;
	;;#ASMEND
	;;#ASMSTART
	v_cvt_f32_f16 v20, v98;
	;;#ASMEND
	;; [unrolled: 3-line block ×8, first 2 shown]
	ds_load_b64 v[17:18], v35 offset:64
	v_dual_fmac_f32 v52, v19, v96 :: v_dual_and_b32 v11, 0xffff, v11
	v_dual_fmac_f32 v54, v98, v100 :: v_dual_and_b32 v9, 0xffff, v9
	v_fmac_f32_e32 v53, v20, v97
	v_fmac_f32_e32 v55, v99, v101
	s_wait_dscnt 0x0
	v_and_b32_e32 v102, 0xffff, v17
	v_lshrrev_b32_e32 v104, 16, v17
	v_lshrrev_b32_e32 v105, 16, v18
	v_and_b32_e32 v106, 0xffff, v18
	;;#ASMSTART
	v_cvt_f32_f16 v17, v102;
	;;#ASMEND
	;;#ASMSTART
	v_cvt_f32_f16 v18, v104;
	;;#ASMEND
	;; [unrolled: 3-line block ×8, first 2 shown]
	ds_load_b64 v[13:14], v35 offset:72
	v_dual_fmac_f32 v54, v104, v106 :: v_dual_and_b32 v7, 0xffff, v7
	v_dual_fmac_f32 v52, v17, v102 :: v_dual_fmac_f32 v53, v18, v103
	v_fmac_f32_e32 v55, v105, v107
	s_wait_dscnt 0x0
	v_and_b32_e32 v15, 0xffff, v13
	v_lshrrev_b32_e32 v13, 16, v13
	v_lshrrev_b32_e32 v111, 16, v14
	v_and_b32_e32 v14, 0xffff, v14
	;;#ASMSTART
	v_cvt_f32_f16 v15, v15;
	;;#ASMEND
	;;#ASMSTART
	v_cvt_f32_f16 v16, v13;
	;;#ASMEND
	;; [unrolled: 3-line block ×8, first 2 shown]
	ds_load_b64 v[13:14], v35 offset:80
	v_dual_fmac_f32 v54, v110, v112 :: v_dual_and_b32 v5, 0xffff, v5
	v_dual_fmac_f32 v52, v15, v108 :: v_dual_fmac_f32 v53, v16, v109
	v_fmac_f32_e32 v55, v111, v113
	s_wait_dscnt 0x0
	v_and_b32_e32 v114, 0xffff, v13
	v_lshrrev_b32_e32 v116, 16, v13
	v_lshrrev_b32_e32 v117, 16, v14
	v_and_b32_e32 v118, 0xffff, v14
	;;#ASMSTART
	v_cvt_f32_f16 v13, v114;
	;;#ASMEND
	;;#ASMSTART
	v_cvt_f32_f16 v14, v116;
	;;#ASMEND
	;; [unrolled: 3-line block ×8, first 2 shown]
	ds_load_b64 v[11:12], v35 offset:88
	v_fmac_f32_e32 v52, v13, v114
	v_dual_fmac_f32 v54, v116, v118 :: v_dual_fmac_f32 v53, v14, v115
	v_fmac_f32_e32 v55, v117, v119
	s_wait_dscnt 0x0
	v_and_b32_e32 v56, 0xffff, v11
	v_lshrrev_b32_e32 v57, 16, v11
	v_lshrrev_b32_e32 v58, 16, v12
	v_and_b32_e32 v59, 0xffff, v12
	;;#ASMSTART
	v_cvt_f32_f16 v11, v56;
	;;#ASMEND
	;;#ASMSTART
	v_cvt_f32_f16 v12, v57;
	;;#ASMEND
	;;#ASMSTART
	v_cvt_f32_f16 v48, v9;
	;;#ASMEND
	;;#ASMSTART
	v_cvt_f32_f16 v51, v120;
	;;#ASMEND
	;;#ASMSTART
	v_cvt_f32_f16 v56, v59;
	;;#ASMEND
	;;#ASMSTART
	v_cvt_f32_f16 v57, v58;
	;;#ASMEND
	;;#ASMSTART
	v_cvt_f32_f16 v58, v10;
	;;#ASMEND
	;;#ASMSTART
	v_cvt_f32_f16 v59, v121;
	;;#ASMEND
	ds_load_b64 v[9:10], v35 offset:96
	v_dual_fmac_f32 v52, v11, v48 :: v_dual_and_b32 v13, 0xffff, v3
	v_fmac_f32_e32 v53, v12, v51
	v_dual_fmac_f32 v54, v56, v58 :: v_dual_fmac_f32 v55, v57, v59
	v_lshrrev_b32_e32 v11, 16, v4
	s_wait_dscnt 0x0
	v_and_b32_e32 v23, 0xffff, v9
	v_lshrrev_b32_e32 v44, 16, v9
	v_lshrrev_b32_e32 v45, 16, v10
	v_and_b32_e32 v46, 0xffff, v10
	;;#ASMSTART
	v_cvt_f32_f16 v9, v23;
	;;#ASMEND
	;;#ASMSTART
	v_cvt_f32_f16 v10, v44;
	;;#ASMEND
	;; [unrolled: 3-line block ×8, first 2 shown]
	ds_load_b64 v[7:8], v35 offset:104
	v_fmac_f32_e32 v53, v10, v24
	v_fmac_f32_e32 v55, v45, v47
	s_wait_dscnt 0x0
	v_and_b32_e32 v15, 0xffff, v7
	v_lshrrev_b32_e32 v16, 16, v7
	v_lshrrev_b32_e32 v18, 16, v8
	v_and_b32_e32 v17, 0xffff, v8
	;;#ASMSTART
	v_cvt_f32_f16 v7, v15;
	;;#ASMEND
	;;#ASMSTART
	v_cvt_f32_f16 v8, v16;
	;;#ASMEND
	;; [unrolled: 3-line block ×8, first 2 shown]
	ds_load_b64 v[5:6], v35 offset:112
	v_dual_fmac_f32 v52, v9, v23 :: v_dual_and_b32 v9, 0xffff, v4
	v_fmac_f32_e32 v54, v44, v46
	v_fmac_f32_e32 v53, v8, v16
	s_delay_alu instid0(VALU_DEP_2)
	v_dual_fmac_f32 v55, v18, v20 :: v_dual_fmac_f32 v54, v17, v19
	s_wait_dscnt 0x0
	v_dual_fmac_f32 v52, v7, v15 :: v_dual_and_b32 v3, 0xffff, v5
	v_lshrrev_b32_e32 v4, 16, v5
	v_lshrrev_b32_e32 v7, 16, v6
	v_and_b32_e32 v8, 0xffff, v6
	;;#ASMSTART
	v_cvt_f32_f16 v3, v3;
	;;#ASMEND
	;;#ASMSTART
	v_cvt_f32_f16 v4, v4;
	;;#ASMEND
	;;#ASMSTART
	v_cvt_f32_f16 v5, v13;
	;;#ASMEND
	;;#ASMSTART
	v_cvt_f32_f16 v6, v22;
	;;#ASMEND
	v_dual_fmac_f32 v52, v3, v5 :: v_dual_fmac_f32 v53, v4, v6
	;;#ASMSTART
	v_cvt_f32_f16 v3, v8;
	;;#ASMEND
	;;#ASMSTART
	v_cvt_f32_f16 v4, v7;
	;;#ASMEND
	;; [unrolled: 3-line block ×3, first 2 shown]
	v_fmac_f32_e32 v54, v3, v5
	v_add_f32_e32 v3, v52, v53
	;;#ASMSTART
	v_cvt_f32_f16 v5, v11;
	;;#ASMEND
	v_fmac_f32_e32 v55, v4, v5
	s_wait_alu 0xf1ff
	v_cndmask_b32_e64 v4, v32, v42, s4
	s_delay_alu instid0(VALU_DEP_1) | instskip(NEXT) | instid1(VALU_DEP_1)
	v_dual_add_f32 v3, v3, v54 :: v_dual_lshlrev_b32 v4, 2, v4
	v_add_f32_e32 v3, v55, v3
	ds_bpermute_b32 v4, v4, v3
	s_and_saveexec_b32 s38, s3
	s_cbranch_execz .LBB95_11
; %bb.19:                               ;   in Loop: Header=BB95_13 Depth=1
	s_wait_dscnt 0x0
	v_add_f32_e32 v3, v3, v4
	v_add_nc_u32_e32 v5, v39, v38
	s_delay_alu instid0(VALU_DEP_1) | instskip(NEXT) | instid1(VALU_DEP_1)
	v_cvt_f32_i32_e32 v5, v5
	v_mul_f32_e32 v5, s15, v5
	s_delay_alu instid0(VALU_DEP_1) | instskip(NEXT) | instid1(VALU_DEP_1)
	v_cndmask_b32_e32 v4, 0, v5, vcc_lo
	v_dual_max_num_f32 v5, v33, v33 :: v_dual_fmac_f32 v4, s7, v3
	v_add_nc_u32_e32 v3, v34, v38
	s_delay_alu instid0(VALU_DEP_2) | instskip(NEXT) | instid1(VALU_DEP_2)
	v_max_num_f32_e32 v5, v5, v4
	v_cmp_gt_i32_e64 s4, s31, v3
	s_wait_alu 0xf1ff
	s_delay_alu instid0(VALU_DEP_1) | instskip(NEXT) | instid1(VALU_DEP_3)
	v_cndmask_b32_e64 v3, 0, v4, s4
	v_cndmask_b32_e64 v33, v33, v5, s4
	ds_store_b32 v40, v3
	s_branch .LBB95_11
.LBB95_20:
	s_or_b32 exec_lo, exec_lo, s28
.LBB95_21:
	s_delay_alu instid0(SALU_CYCLE_1)
	s_or_b32 exec_lo, exec_lo, s6
	v_xor_b32_e32 v1, 16, v32
	v_xor_b32_e32 v2, 8, v32
	s_clause 0x2
	s_load_b128 s[4:7], s[0:1], 0x0
	s_load_b64 s[14:15], s[0:1], 0x10
	s_load_b64 s[28:29], s[0:1], 0x28
	v_lshlrev_b32_e32 v8, 2, v27
	v_cmp_gt_i32_e32 vcc_lo, 32, v1
	s_wait_alu 0xfffd
	v_cndmask_b32_e32 v1, v32, v1, vcc_lo
	v_cmp_gt_i32_e32 vcc_lo, 32, v2
	v_max_num_f32_e32 v3, v33, v33
	s_wait_dscnt 0x0
	s_delay_alu instid0(VALU_DEP_3)
	v_lshlrev_b32_e32 v4, 2, v1
	s_wait_alu 0xfffd
	v_cndmask_b32_e32 v2, v32, v2, vcc_lo
	ds_bpermute_b32 v1, v4, v33
	v_lshlrev_b32_e32 v5, 2, v2
	s_wait_dscnt 0x0
	v_max_num_f32_e32 v1, v1, v1
	s_delay_alu instid0(VALU_DEP_1)
	v_max_num_f32_e32 v1, v3, v1
	v_xor_b32_e32 v3, 4, v32
	ds_bpermute_b32 v2, v5, v1
	v_cmp_gt_i32_e32 vcc_lo, 32, v3
	s_wait_dscnt 0x0
	s_wait_alu 0xfffd
	v_dual_cndmask_b32 v3, v32, v3 :: v_dual_max_num_f32 v2, v2, v2
	s_delay_alu instid0(VALU_DEP_1) | instskip(NEXT) | instid1(VALU_DEP_2)
	v_max_num_f32_e32 v1, v1, v2
	v_lshlrev_b32_e32 v7, 2, v3
	v_xor_b32_e32 v3, 2, v32
	ds_bpermute_b32 v2, v7, v1
	v_cmp_gt_i32_e32 vcc_lo, 32, v3
	s_wait_alu 0xfffd
	v_cndmask_b32_e32 v3, v32, v3, vcc_lo
	s_wait_dscnt 0x0
	s_delay_alu instid0(VALU_DEP_1) | instskip(NEXT) | instid1(VALU_DEP_1)
	v_dual_max_num_f32 v2, v2, v2 :: v_dual_lshlrev_b32 v3, 2, v3
	v_dual_max_num_f32 v2, v1, v2 :: v_dual_and_b32 v1, 31, v0
	ds_bpermute_b32 v6, v3, v2
	v_cmp_eq_u32_e32 vcc_lo, 0, v1
	s_and_saveexec_b32 s0, vcc_lo
	s_cbranch_execz .LBB95_23
; %bb.22:
	s_wait_dscnt 0x0
	v_max_num_f32_e32 v6, v6, v6
	v_max_num_f32_e32 v2, v2, v2
	s_delay_alu instid0(VALU_DEP_1)
	v_max_num_f32_e32 v2, v2, v6
	ds_store_b32 v8, v2 offset:240
.LBB95_23:
	s_or_b32 exec_lo, exec_lo, s0
	v_cmp_gt_u32_e64 s0, 4, v1
	v_dual_mov_b32 v2, 0xff7fffff :: v_dual_lshlrev_b32 v9, 2, v1
	s_wait_loadcnt_dscnt 0x0
	s_barrier_signal -1
	s_barrier_wait -1
	global_inv scope:SCOPE_SE
	s_and_saveexec_b32 s1, s0
; %bb.24:
	ds_load_b32 v2, v9 offset:240
; %bb.25:
	s_or_b32 exec_lo, exec_lo, s1
	s_wait_dscnt 0x0
	ds_bpermute_b32 v6, v3, v2
	v_xor_b32_e32 v10, 1, v32
	v_dual_max_num_f32 v2, v2, v2 :: v_dual_mov_b32 v11, 0
	s_delay_alu instid0(VALU_DEP_2) | instskip(NEXT) | instid1(VALU_DEP_1)
	v_cmp_gt_i32_e64 s1, 32, v10
	v_cndmask_b32_e64 v10, v32, v10, s1
	s_sub_co_i32 s1, s19, s36
	s_wait_alu 0xfffe
	s_lshl_b32 s1, s1, 4
	s_delay_alu instid0(VALU_DEP_1)
	v_lshlrev_b32_e32 v10, 2, v10
	s_wait_alu 0xfffe
	s_add_co_i32 s1, s1, s33
	s_wait_alu 0xfffe
	s_min_i32 s1, s1, s31
	s_wait_dscnt 0x0
	v_max_num_f32_e32 v6, v6, v6
	s_wait_alu 0xfffe
	s_sub_co_i32 s27, s1, s33
	s_wait_alu 0xfffe
	v_cmp_gt_i32_e64 s1, s27, v0
	v_max_num_f32_e32 v2, v2, v6
	ds_bpermute_b32 v6, v10, v2
	s_wait_dscnt 0x0
	v_max_num_f32_e32 v6, v6, v6
	s_delay_alu instid0(VALU_DEP_1)
	v_max_num_f32_e32 v2, v2, v6
	v_lshl_add_u32 v6, v0, 2, 0x110
	ds_bpermute_b32 v2, v11, v2
	s_and_saveexec_b32 s33, s1
	s_cbranch_execz .LBB95_29
; %bb.26:
	v_lshl_add_u32 v12, v0, 2, 0x110
	v_mov_b32_e32 v11, 0
	v_mov_b32_e32 v13, v0
	s_mov_b32 s36, 0
.LBB95_27:                              ; =>This Inner Loop Header: Depth=1
	ds_load_b32 v14, v12
	v_add_nc_u32_e32 v13, 0x80, v13
	s_delay_alu instid0(VALU_DEP_1) | instskip(SKIP_4) | instid1(VALU_DEP_1)
	v_cmp_le_i32_e64 s3, s27, v13
	s_wait_alu 0xfffe
	s_or_b32 s36, s3, s36
	s_wait_dscnt 0x0
	v_sub_f32_e32 v14, v14, v2
	v_mul_f32_e32 v14, 0x3fb8aa3b, v14
	s_delay_alu instid0(VALU_DEP_1)
	v_exp_f32_e32 v14, v14
	ds_store_b32 v12, v14
	v_dual_add_f32 v11, v11, v14 :: v_dual_add_nc_u32 v12, 0x200, v12
	s_wait_alu 0xfffe
	s_and_not1_b32 exec_lo, exec_lo, s36
	s_cbranch_execnz .LBB95_27
; %bb.28:
	s_or_b32 exec_lo, exec_lo, s36
.LBB95_29:
	s_wait_alu 0xfffe
	s_or_b32 exec_lo, exec_lo, s33
	ds_bpermute_b32 v4, v4, v11
	s_wait_dscnt 0x0
	v_add_f32_e32 v4, v11, v4
	ds_bpermute_b32 v5, v5, v4
	s_wait_dscnt 0x0
	v_add_f32_e32 v4, v4, v5
	;; [unrolled: 3-line block ×5, first 2 shown]
	s_and_saveexec_b32 s3, vcc_lo
; %bb.30:
	ds_store_b32 v8, v4 offset:256
; %bb.31:
	s_wait_alu 0xfffe
	s_or_b32 exec_lo, exec_lo, s3
	s_wait_loadcnt_dscnt 0x0
	s_barrier_signal -1
	s_barrier_wait -1
	global_inv scope:SCOPE_SE
	s_and_saveexec_b32 s3, s0
; %bb.32:
	ds_load_b32 v4, v9 offset:256
; %bb.33:
	s_wait_alu 0xfffe
	s_or_b32 exec_lo, exec_lo, s3
	s_wait_dscnt 0x0
	ds_bpermute_b32 v3, v3, v4
	s_wait_dscnt 0x0
	v_add_f32_e32 v3, v4, v3
	ds_bpermute_b32 v4, v10, v3
	s_wait_dscnt 0x0
	v_dual_add_f32 v3, v3, v4 :: v_dual_mov_b32 v4, 0
	ds_bpermute_b32 v3, v4, v3
	s_and_saveexec_b32 s0, s1
	s_cbranch_execz .LBB95_36
; %bb.34:
	s_wait_dscnt 0x0
	v_add_f32_e32 v4, 0x358637bd, v3
	s_mov_b32 s1, 0
	s_delay_alu instid0(VALU_DEP_1) | instskip(SKIP_1) | instid1(VALU_DEP_2)
	v_div_scale_f32 v5, null, v4, v4, 1.0
	v_div_scale_f32 v9, vcc_lo, 1.0, v4, 1.0
	v_rcp_f32_e32 v7, v5
	s_delay_alu instid0(TRANS32_DEP_1) | instskip(NEXT) | instid1(VALU_DEP_1)
	v_fma_f32 v8, -v5, v7, 1.0
	v_fmac_f32_e32 v7, v8, v7
	s_delay_alu instid0(VALU_DEP_1) | instskip(NEXT) | instid1(VALU_DEP_1)
	v_mul_f32_e32 v8, v9, v7
	v_fma_f32 v11, -v5, v8, v9
	s_delay_alu instid0(VALU_DEP_1) | instskip(NEXT) | instid1(VALU_DEP_1)
	v_fmac_f32_e32 v8, v11, v7
	v_fma_f32 v5, -v5, v8, v9
	s_wait_alu 0xfffd
	s_delay_alu instid0(VALU_DEP_1) | instskip(NEXT) | instid1(VALU_DEP_1)
	v_div_fmas_f32 v5, v5, v7, v8
	v_div_fixup_f32 v4, v5, v4, 1.0
	v_mov_b32_e32 v5, v0
.LBB95_35:                              ; =>This Inner Loop Header: Depth=1
	ds_load_b32 v7, v6
	v_add_nc_u32_e32 v5, 0x80, v5
	s_delay_alu instid0(VALU_DEP_1)
	v_cmp_le_i32_e32 vcc_lo, s27, v5
	s_wait_alu 0xfffe
	s_or_b32 s1, vcc_lo, s1
	s_wait_dscnt 0x0
	v_mul_f32_e32 v7, v4, v7
	ds_store_b32 v6, v7
	v_add_nc_u32_e32 v6, 0x200, v6
	s_wait_alu 0xfffe
	s_and_not1_b32 exec_lo, exec_lo, s1
	s_cbranch_execnz .LBB95_35
.LBB95_36:
	s_wait_alu 0xfffe
	s_or_b32 exec_lo, exec_lo, s0
	s_mul_i32 s0, s8, s20
	s_wait_loadcnt_dscnt 0x0
	s_wait_alu 0xfffe
	s_mul_i32 s20, s0, s21
	s_mov_b32 s0, exec_lo
	s_barrier_signal -1
	s_barrier_wait -1
	global_inv scope:SCOPE_SE
	v_cmpx_eq_u32_e32 0, v0
	s_cbranch_execz .LBB95_38
; %bb.37:
	s_ashr_i32 s21, s20, 31
	s_wait_alu 0xfffe
	s_mul_i32 s36, s8, ttmp9
	s_lshl_b32 s1, s30, 2
	s_lshl_b64 s[38:39], s[20:21], 2
	s_wait_alu 0xfffe
	s_ashr_i32 s37, s36, 31
	v_mov_b32_e32 v4, s1
	s_wait_kmcnt 0x0
	s_add_nc_u64 s[6:7], s[6:7], s[38:39]
	s_wait_alu 0xfffe
	s_lshl_b64 s[36:37], s[36:37], 2
	s_add_nc_u64 s[4:5], s[4:5], s[38:39]
	s_wait_alu 0xfffe
	s_add_nc_u64 s[6:7], s[6:7], s[36:37]
	s_add_nc_u64 s[4:5], s[4:5], s[36:37]
	s_clause 0x1
	global_store_b32 v4, v2, s[6:7]
	global_store_b32 v4, v3, s[4:5]
.LBB95_38:
	s_wait_alu 0xfffe
	s_or_b32 exec_lo, exec_lo, s0
	v_lshrrev_b32_e32 v9, 1, v1
	s_and_saveexec_b32 s0, s2
	s_wait_alu 0xfffe
	s_xor_b32 s0, exec_lo, s0
; %bb.39:
	v_lshrrev_b32_e32 v9, 1, v1
                                        ; implicit-def: $vgpr28
                                        ; implicit-def: $vgpr29
                                        ; implicit-def: $vgpr30
                                        ; implicit-def: $vgpr31
; %bb.40:
	s_wait_kmcnt 0x0
	s_wait_alu 0xfffe
	s_or_saveexec_b32 s4, s0
	v_dual_mov_b32 v18, 0 :: v_dual_mov_b32 v17, 0
	v_dual_mov_b32 v16, 0 :: v_dual_mov_b32 v15, 0
	;; [unrolled: 1-line block ×4, first 2 shown]
	s_wait_alu 0xfffe
	s_xor_b32 exec_lo, exec_lo, s4
	s_cbranch_execz .LBB95_64
; %bb.41:
	s_abs_i32 s5, s10
	v_dual_mov_b32 v12, 0 :: v_dual_and_b32 v19, 8, v30
	s_wait_alu 0xfffe
	s_cvt_f32_u32 s0, s5
	v_or_b32_e32 v2, 0x70, v9
	v_dual_mov_b32 v14, 0 :: v_dual_lshlrev_b32 v3, 5, v26
	s_wait_alu 0xfffe
	v_rcp_iflag_f32_e32 v1, s0
	s_lshl_b64 s[0:1], s[24:25], 2
	v_lshl_or_b32 v4, v2, 4, v19
	s_wait_alu 0xfffe
	s_add_nc_u64 s[0:1], s[22:23], s[0:1]
	s_sub_co_i32 s6, s35, s9
	s_wait_alu 0xfffe
	v_add_co_u32 v5, s0, s0, v31
	s_wait_alu 0xf1ff
	v_add_co_ci_u32_e64 v6, null, s1, 0, s0
	s_sub_co_i32 s9, 0, s5
	v_readfirstlane_b32 s10, v1
	v_lshl_or_b32 v1, v27, 6, v3
	v_lshl_or_b32 v3, v9, 4, v19
	s_ashr_i32 s27, s26, 31
	v_mov_b32_e32 v11, 0
	s_mul_f32 s0, s10, 0x4f7ffffe
	v_add_nc_u32_e32 v20, 0x110, v1
	v_dual_mov_b32 v16, 0 :: v_dual_lshlrev_b32 v21, 1, v3
	s_wait_alu 0xfffe
	s_cvt_u32_f32 s0, s0
	v_dual_mov_b32 v13, 0 :: v_dual_lshlrev_b32 v22, 1, v4
	v_dual_mov_b32 v15, 0 :: v_dual_mov_b32 v18, 0
	s_wait_alu 0xfffe
	s_mul_i32 s9, s9, s0
	v_mov_b32_e32 v17, 0
	s_lshl_b64 s[2:3], s[26:27], 1
	s_mul_hi_u32 s1, s0, s9
	s_mov_b32 s7, s13
	s_add_co_i32 s34, s34, -1
	s_wait_alu 0xfffe
	s_add_nc_u64 s[2:3], s[28:29], s[2:3]
	s_mov_b32 s9, 0
	s_add_co_i32 s10, s0, s1
	v_cmp_gt_u32_e32 vcc_lo, 0x78, v2
	s_branch .LBB95_45
.LBB95_42:                              ;   in Loop: Header=BB95_45 Depth=1
	s_wait_alu 0xfffe
	s_or_b32 exec_lo, exec_lo, s1
	v_lshlrev_b32_e32 v23, 16, v47
	v_lshlrev_b32_e32 v32, 16, v32
	;; [unrolled: 1-line block ×3, first 2 shown]
	s_delay_alu instid0(VALU_DEP_3) | instskip(NEXT) | instid1(VALU_DEP_3)
	v_and_or_b32 v1, 0xffff, v1, v23
	v_and_or_b32 v2, 0xffff, v2, v32
	s_delay_alu instid0(VALU_DEP_3)
	v_and_or_b32 v3, 0xffff, v3, v31
	;;#ASMSTART
	v_pk_mul_f16 v1, v34, v1;

	;;#ASMEND
	;;#ASMSTART
	v_pk_mul_f16 v2, v33, v2;

	;;#ASMEND
	;; [unrolled: 4-line block ×4, first 2 shown]
	;;#ASMSTART
	v_pk_add_f16 v1, v1, v2;

	;;#ASMEND
	;;#ASMSTART
	v_pk_add_f16 v1, v1, v3;

	;;#ASMEND
	;; [unrolled: 4-line block ×3, first 2 shown]
	v_and_b32_e32 v2, 0xffff, v1
	v_lshrrev_b32_e32 v3, 16, v1
	;;#ASMSTART
	v_cvt_f32_f16 v1, v2;
	;;#ASMEND
	;;#ASMSTART
	v_cvt_f32_f16 v2, v3;
	;;#ASMEND
	s_delay_alu instid0(VALU_DEP_2) | instskip(NEXT) | instid1(VALU_DEP_1)
	v_add_f32_e32 v1, v1, v2
	v_add_f32_e32 v11, v11, v1
.LBB95_43:                              ;   in Loop: Header=BB95_45 Depth=1
	s_or_b32 exec_lo, exec_lo, s21
	v_dual_add_f32 v1, v45, v46 :: v_dual_add_f32 v2, v43, v44
	v_dual_add_f32 v3, v41, v42 :: v_dual_add_f32 v4, v39, v40
	v_add_f32_e32 v7, v7, v8
	s_delay_alu instid0(VALU_DEP_3) | instskip(NEXT) | instid1(VALU_DEP_3)
	v_dual_add_f32 v13, v13, v1 :: v_dual_add_f32 v14, v14, v2
	v_dual_add_f32 v1, v37, v38 :: v_dual_add_f32 v16, v16, v4
	s_delay_alu instid0(VALU_DEP_4) | instskip(NEXT) | instid1(VALU_DEP_2)
	v_dual_add_f32 v2, v24, v30 :: v_dual_add_f32 v15, v15, v3
	v_dual_add_f32 v12, v12, v7 :: v_dual_add_f32 v17, v17, v1
	s_delay_alu instid0(VALU_DEP_2)
	v_add_f32_e32 v18, v18, v2
.LBB95_44:                              ;   in Loop: Header=BB95_45 Depth=1
	s_wait_alu 0xfffe
	s_or_b32 exec_lo, exec_lo, s13
	v_add_nc_u32_e32 v29, 4, v29
	v_add_co_u32 v5, s1, v5, 16
	s_wait_alu 0xf1ff
	v_add_co_ci_u32_e64 v6, null, 0, v6, s1
	s_delay_alu instid0(VALU_DEP_3) | instskip(SKIP_3) | instid1(SALU_CYCLE_1)
	v_cmp_le_i32_e64 s0, s19, v29
	v_add_nc_u32_e32 v28, 64, v28
	v_add_nc_u32_e32 v20, 0x100, v20
	s_or_b32 s9, s0, s9
	s_and_not1_b32 exec_lo, exec_lo, s9
	s_cbranch_execz .LBB95_63
.LBB95_45:                              ; =>This Inner Loop Header: Depth=1
	v_sub_nc_u32_e32 v1, 0, v28
	s_delay_alu instid0(VALU_DEP_1) | instskip(NEXT) | instid1(VALU_DEP_1)
	v_max_i32_e32 v1, v28, v1
	v_mul_hi_u32 v2, v1, s18
	s_delay_alu instid0(VALU_DEP_1) | instskip(NEXT) | instid1(VALU_DEP_1)
	v_mul_lo_u32 v3, v2, s12
	v_sub_nc_u32_e32 v1, v1, v3
	v_add_nc_u32_e32 v3, 1, v2
	s_delay_alu instid0(VALU_DEP_2) | instskip(SKIP_2) | instid1(VALU_DEP_1)
	v_subrev_nc_u32_e32 v4, s12, v1
	v_cmp_le_u32_e64 s0, s12, v1
	s_wait_alu 0xf1ff
	v_cndmask_b32_e64 v2, v2, v3, s0
	s_delay_alu instid0(VALU_DEP_3) | instskip(SKIP_1) | instid1(VALU_DEP_3)
	v_cndmask_b32_e64 v1, v1, v4, s0
	v_ashrrev_i32_e32 v3, 31, v28
	v_add_nc_u32_e32 v4, 1, v2
	s_delay_alu instid0(VALU_DEP_3) | instskip(NEXT) | instid1(VALU_DEP_3)
	v_cmp_le_u32_e64 s0, s12, v1
	v_xor_b32_e32 v3, s11, v3
	s_wait_alu 0xf1ff
	s_delay_alu instid0(VALU_DEP_2) | instskip(NEXT) | instid1(VALU_DEP_1)
	v_cndmask_b32_e64 v1, v2, v4, s0
	v_xor_b32_e32 v1, v1, v3
	s_delay_alu instid0(VALU_DEP_1) | instskip(NEXT) | instid1(VALU_DEP_1)
	v_sub_nc_u32_e32 v1, v1, v3
	v_add_nc_u32_e32 v2, s17, v1
	v_cmp_lt_i32_e64 s1, s6, v1
	s_delay_alu instid0(VALU_DEP_2) | instskip(NEXT) | instid1(VALU_DEP_1)
	v_sub_nc_u32_e32 v3, 0, v2
	v_max_i32_e32 v3, v2, v3
	v_ashrrev_i32_e32 v2, 31, v2
	s_wait_alu 0xfffe
	s_delay_alu instid0(VALU_DEP_2) | instskip(NEXT) | instid1(VALU_DEP_1)
	v_mul_hi_u32 v4, v3, s10
	v_mul_lo_u32 v4, v4, s5
	s_delay_alu instid0(VALU_DEP_1) | instskip(NEXT) | instid1(VALU_DEP_1)
	v_sub_nc_u32_e32 v3, v3, v4
	v_subrev_nc_u32_e32 v4, s5, v3
	v_cmp_le_u32_e64 s0, s5, v3
	s_wait_alu 0xf1ff
	s_delay_alu instid0(VALU_DEP_1) | instskip(NEXT) | instid1(VALU_DEP_1)
	v_cndmask_b32_e64 v3, v3, v4, s0
	v_subrev_nc_u32_e32 v4, s5, v3
	v_cmp_le_u32_e64 s0, s5, v3
	s_wait_alu 0xf1ff
	s_delay_alu instid0(VALU_DEP_1) | instskip(NEXT) | instid1(VALU_DEP_1)
	v_cndmask_b32_e64 v3, v3, v4, s0
	v_xor_b32_e32 v3, v3, v2
	s_delay_alu instid0(VALU_DEP_1) | instskip(NEXT) | instid1(VALU_DEP_1)
	v_sub_nc_u32_e32 v2, v3, v2
	v_cmp_eq_u32_e64 s0, 0, v2
	s_or_b32 s0, s0, s1
	s_wait_alu 0xfffe
	s_and_saveexec_b32 s13, s0
	s_cbranch_execz .LBB95_44
; %bb.46:                               ;   in Loop: Header=BB95_45 Depth=1
	global_load_b32 v7, v[5:6], off
	ds_load_2addr_b64 v[1:4], v20 offset1:1
	ds_load_2addr_b64 v[38:41], v20 offset0:2 offset1:3
	s_wait_dscnt 0x1
	;;#ASMSTART
	v_cvt_f16_f32 v34, v1;

	;;#ASMEND
	;;#ASMSTART
	v_cvt_f16_f32 v24, v2;

	;;#ASMEND
	;;#ASMSTART
	v_cvt_f16_f32 v37, v3;

	;;#ASMEND
	;;#ASMSTART
	v_cvt_f16_f32 v33, v4;

	;;#ASMEND
	s_wait_dscnt 0x0
	;;#ASMSTART
	v_cvt_f16_f32 v38, v38;

	;;#ASMEND
	;;#ASMSTART
	v_cvt_f16_f32 v35, v39;

	;;#ASMEND
	;; [unrolled: 4-line block ×4, first 2 shown]
	v_add_nc_u32_e32 v23, v19, v28
	s_wait_loadcnt 0x0
	v_mad_co_i64_i32 v[7:8], null, v7, s7, 0
	s_delay_alu instid0(VALU_DEP_1) | instskip(NEXT) | instid1(VALU_DEP_1)
	v_lshlrev_b64_e32 v[7:8], 1, v[7:8]
	v_add_co_u32 v31, s0, s2, v7
	s_wait_alu 0xf1ff
	s_delay_alu instid0(VALU_DEP_2) | instskip(NEXT) | instid1(VALU_DEP_2)
	v_add_co_ci_u32_e64 v32, null, s3, v8, s0
	v_add_co_u32 v7, s0, v31, v21
	s_wait_alu 0xf1ff
	s_delay_alu instid0(VALU_DEP_2)
	v_add_co_ci_u32_e64 v8, null, 0, v32, s0
	v_cmp_eq_u32_e64 s0, s34, v29
	global_load_b128 v[1:4], v[7:8], off
	s_wait_loadcnt 0x0
	v_lshrrev_b32_e32 v41, 16, v1
	v_lshrrev_b32_e32 v40, 16, v2
	;; [unrolled: 1-line block ×3, first 2 shown]
	s_and_saveexec_b32 s21, s0
	s_cbranch_execz .LBB95_48
; %bb.47:                               ;   in Loop: Header=BB95_45 Depth=1
	v_add_nc_u32_e32 v42, 1, v23
	v_cmp_gt_i32_e64 s1, s31, v23
	v_add_nc_u32_e32 v43, 2, v23
	v_add_nc_u32_e32 v44, 3, v23
	;; [unrolled: 1-line block ×4, first 2 shown]
	s_wait_alu 0xf1ff
	v_cndmask_b32_e64 v1, 0, v1, s1
	v_cmp_gt_i32_e64 s1, s31, v42
	v_add_nc_u32_e32 v42, 4, v23
	s_wait_alu 0xf1ff
	s_delay_alu instid0(VALU_DEP_2) | instskip(SKIP_3) | instid1(VALU_DEP_2)
	v_cndmask_b32_e64 v41, 0, v41, s1
	v_cmp_gt_i32_e64 s1, s31, v43
	v_add_nc_u32_e32 v43, 6, v23
	s_wait_alu 0xf1ff
	v_cndmask_b32_e64 v2, 0, v2, s1
	v_cmp_gt_i32_e64 s1, s31, v44
	v_and_b32_e32 v44, 0xffff, v4
	v_and_b32_e32 v4, 0xffff0000, v4
	s_wait_alu 0xf1ff
	s_delay_alu instid0(VALU_DEP_3) | instskip(SKIP_2) | instid1(VALU_DEP_1)
	v_cndmask_b32_e64 v40, 0, v40, s1
	v_cmp_gt_i32_e64 s1, s31, v43
	s_wait_alu 0xf1ff
	v_cndmask_b32_e64 v43, 0, v44, s1
	v_cmp_gt_i32_e64 s1, s31, v45
	s_wait_alu 0xf1ff
	s_delay_alu instid0(VALU_DEP_1) | instskip(SKIP_1) | instid1(VALU_DEP_2)
	v_cndmask_b32_e64 v4, 0, v4, s1
	v_cmp_gt_i32_e64 s1, s31, v42
	v_or_b32_e32 v4, v43, v4
	s_wait_alu 0xf1ff
	s_delay_alu instid0(VALU_DEP_2) | instskip(SKIP_2) | instid1(VALU_DEP_1)
	v_cndmask_b32_e64 v3, 0, v3, s1
	v_cmp_gt_i32_e64 s1, s31, v46
	s_wait_alu 0xf1ff
	v_cndmask_b32_e64 v39, 0, v39, s1
.LBB95_48:                              ;   in Loop: Header=BB95_45 Depth=1
	s_or_b32 exec_lo, exec_lo, s21
	v_and_b32_e32 v34, 0xffff, v34
	v_and_b32_e32 v37, 0xffff, v37
	v_lshlrev_b32_e32 v41, 16, v41
	v_and_b32_e32 v38, 0xffff, v38
	v_and_b32_e32 v36, 0xffff, v36
	v_lshl_or_b32 v34, v24, 16, v34
	v_lshl_or_b32 v33, v33, 16, v37
	v_lshlrev_b32_e32 v24, 16, v40
	v_lshlrev_b32_e32 v37, 16, v39
	v_and_or_b32 v1, 0xffff, v1, v41
	;;#ASMSTART
	v_pk_mul_f16 v1, v34, v1;

	;;#ASMEND
	v_lshl_or_b32 v35, v35, 16, v38
	v_and_or_b32 v2, 0xffff, v2, v24
	v_and_or_b32 v3, 0xffff, v3, v37
	v_lshl_or_b32 v36, v30, 16, v36
	;;#ASMSTART
	v_pk_mul_f16 v2, v33, v2;

	;;#ASMEND
	;;#ASMSTART
	v_pk_mul_f16 v3, v35, v3;

	;;#ASMEND
	;; [unrolled: 4-line block ×3, first 2 shown]
	;;#ASMSTART
	v_pk_add_f16 v1, v1, v2;

	;;#ASMEND
	;;#ASMSTART
	v_pk_add_f16 v1, v1, v3;

	;;#ASMEND
	;; [unrolled: 4-line block ×3, first 2 shown]
	v_and_b32_e32 v2, 0xffff, v1
	v_lshrrev_b32_e32 v1, 16, v1
	;;#ASMSTART
	v_cvt_f32_f16 v24, v2;
	;;#ASMEND
	;;#ASMSTART
	v_cvt_f32_f16 v30, v1;
	;;#ASMEND
	global_load_b128 v[1:4], v[7:8], off offset:512
	s_wait_loadcnt 0x0
	v_lshrrev_b32_e32 v39, 16, v1
	v_lshrrev_b32_e32 v38, 16, v2
	;; [unrolled: 1-line block ×3, first 2 shown]
	s_and_saveexec_b32 s21, s0
	s_cbranch_execz .LBB95_50
; %bb.49:                               ;   in Loop: Header=BB95_45 Depth=1
	v_add_nc_u32_e32 v40, 1, v23
	v_cmp_gt_i32_e64 s1, s31, v23
	v_add_nc_u32_e32 v41, 2, v23
	v_add_nc_u32_e32 v42, 3, v23
	;; [unrolled: 1-line block ×4, first 2 shown]
	s_wait_alu 0xf1ff
	v_cndmask_b32_e64 v1, 0, v1, s1
	v_cmp_gt_i32_e64 s1, s31, v40
	v_add_nc_u32_e32 v40, 4, v23
	s_wait_alu 0xf1ff
	s_delay_alu instid0(VALU_DEP_2) | instskip(SKIP_3) | instid1(VALU_DEP_2)
	v_cndmask_b32_e64 v39, 0, v39, s1
	v_cmp_gt_i32_e64 s1, s31, v41
	v_add_nc_u32_e32 v41, 6, v23
	s_wait_alu 0xf1ff
	v_cndmask_b32_e64 v2, 0, v2, s1
	v_cmp_gt_i32_e64 s1, s31, v42
	v_and_b32_e32 v42, 0xffff, v4
	v_and_b32_e32 v4, 0xffff0000, v4
	s_wait_alu 0xf1ff
	s_delay_alu instid0(VALU_DEP_3) | instskip(SKIP_2) | instid1(VALU_DEP_1)
	v_cndmask_b32_e64 v38, 0, v38, s1
	v_cmp_gt_i32_e64 s1, s31, v41
	s_wait_alu 0xf1ff
	v_cndmask_b32_e64 v41, 0, v42, s1
	v_cmp_gt_i32_e64 s1, s31, v43
	s_wait_alu 0xf1ff
	s_delay_alu instid0(VALU_DEP_1) | instskip(SKIP_1) | instid1(VALU_DEP_2)
	v_cndmask_b32_e64 v4, 0, v4, s1
	v_cmp_gt_i32_e64 s1, s31, v40
	v_or_b32_e32 v4, v41, v4
	s_wait_alu 0xf1ff
	s_delay_alu instid0(VALU_DEP_2) | instskip(SKIP_2) | instid1(VALU_DEP_1)
	v_cndmask_b32_e64 v3, 0, v3, s1
	v_cmp_gt_i32_e64 s1, s31, v44
	s_wait_alu 0xf1ff
	v_cndmask_b32_e64 v37, 0, v37, s1
.LBB95_50:                              ;   in Loop: Header=BB95_45 Depth=1
	s_or_b32 exec_lo, exec_lo, s21
	v_lshlrev_b32_e32 v39, 16, v39
	v_lshlrev_b32_e32 v38, 16, v38
	s_delay_alu instid0(VALU_DEP_3) | instskip(NEXT) | instid1(VALU_DEP_3)
	v_lshlrev_b32_e32 v37, 16, v37
	v_and_or_b32 v1, 0xffff, v1, v39
	s_delay_alu instid0(VALU_DEP_3) | instskip(NEXT) | instid1(VALU_DEP_3)
	v_and_or_b32 v2, 0xffff, v2, v38
	v_and_or_b32 v3, 0xffff, v3, v37
	;;#ASMSTART
	v_pk_mul_f16 v1, v34, v1;

	;;#ASMEND
	;;#ASMSTART
	v_pk_mul_f16 v2, v33, v2;

	;;#ASMEND
	;; [unrolled: 4-line block ×4, first 2 shown]
	;;#ASMSTART
	v_pk_add_f16 v1, v1, v2;

	;;#ASMEND
	;;#ASMSTART
	v_pk_add_f16 v1, v1, v3;

	;;#ASMEND
	;; [unrolled: 4-line block ×3, first 2 shown]
	v_and_b32_e32 v2, 0xffff, v1
	v_lshrrev_b32_e32 v1, 16, v1
	;;#ASMSTART
	v_cvt_f32_f16 v37, v2;
	;;#ASMEND
	;;#ASMSTART
	v_cvt_f32_f16 v38, v1;
	;;#ASMEND
	global_load_b128 v[1:4], v[7:8], off offset:1024
	s_wait_loadcnt 0x0
	v_lshrrev_b32_e32 v41, 16, v1
	v_lshrrev_b32_e32 v40, 16, v2
	;; [unrolled: 1-line block ×3, first 2 shown]
	s_and_saveexec_b32 s21, s0
	s_cbranch_execz .LBB95_52
; %bb.51:                               ;   in Loop: Header=BB95_45 Depth=1
	v_add_nc_u32_e32 v42, 1, v23
	v_cmp_gt_i32_e64 s1, s31, v23
	v_add_nc_u32_e32 v43, 2, v23
	v_add_nc_u32_e32 v44, 3, v23
	;; [unrolled: 1-line block ×4, first 2 shown]
	s_wait_alu 0xf1ff
	v_cndmask_b32_e64 v1, 0, v1, s1
	v_cmp_gt_i32_e64 s1, s31, v42
	v_add_nc_u32_e32 v42, 4, v23
	s_wait_alu 0xf1ff
	s_delay_alu instid0(VALU_DEP_2) | instskip(SKIP_3) | instid1(VALU_DEP_2)
	v_cndmask_b32_e64 v41, 0, v41, s1
	v_cmp_gt_i32_e64 s1, s31, v43
	v_add_nc_u32_e32 v43, 6, v23
	s_wait_alu 0xf1ff
	v_cndmask_b32_e64 v2, 0, v2, s1
	v_cmp_gt_i32_e64 s1, s31, v44
	v_and_b32_e32 v44, 0xffff, v4
	v_and_b32_e32 v4, 0xffff0000, v4
	s_wait_alu 0xf1ff
	s_delay_alu instid0(VALU_DEP_3) | instskip(SKIP_2) | instid1(VALU_DEP_1)
	v_cndmask_b32_e64 v40, 0, v40, s1
	v_cmp_gt_i32_e64 s1, s31, v43
	s_wait_alu 0xf1ff
	v_cndmask_b32_e64 v43, 0, v44, s1
	v_cmp_gt_i32_e64 s1, s31, v45
	s_wait_alu 0xf1ff
	s_delay_alu instid0(VALU_DEP_1) | instskip(SKIP_1) | instid1(VALU_DEP_2)
	v_cndmask_b32_e64 v4, 0, v4, s1
	v_cmp_gt_i32_e64 s1, s31, v42
	v_or_b32_e32 v4, v43, v4
	s_wait_alu 0xf1ff
	s_delay_alu instid0(VALU_DEP_2) | instskip(SKIP_2) | instid1(VALU_DEP_1)
	v_cndmask_b32_e64 v3, 0, v3, s1
	v_cmp_gt_i32_e64 s1, s31, v46
	s_wait_alu 0xf1ff
	v_cndmask_b32_e64 v39, 0, v39, s1
.LBB95_52:                              ;   in Loop: Header=BB95_45 Depth=1
	s_or_b32 exec_lo, exec_lo, s21
	v_lshlrev_b32_e32 v41, 16, v41
	v_lshlrev_b32_e32 v40, 16, v40
	s_delay_alu instid0(VALU_DEP_3) | instskip(NEXT) | instid1(VALU_DEP_3)
	v_lshlrev_b32_e32 v39, 16, v39
	v_and_or_b32 v1, 0xffff, v1, v41
	s_delay_alu instid0(VALU_DEP_3) | instskip(NEXT) | instid1(VALU_DEP_3)
	v_and_or_b32 v2, 0xffff, v2, v40
	v_and_or_b32 v3, 0xffff, v3, v39
	;;#ASMSTART
	v_pk_mul_f16 v1, v34, v1;

	;;#ASMEND
	;;#ASMSTART
	v_pk_mul_f16 v2, v33, v2;

	;;#ASMEND
	;; [unrolled: 4-line block ×4, first 2 shown]
	;;#ASMSTART
	v_pk_add_f16 v1, v1, v2;

	;;#ASMEND
	;;#ASMSTART
	v_pk_add_f16 v1, v1, v3;

	;;#ASMEND
	;; [unrolled: 4-line block ×3, first 2 shown]
	v_and_b32_e32 v2, 0xffff, v1
	v_lshrrev_b32_e32 v1, 16, v1
	;;#ASMSTART
	v_cvt_f32_f16 v39, v2;
	;;#ASMEND
	;;#ASMSTART
	v_cvt_f32_f16 v40, v1;
	;;#ASMEND
	global_load_b128 v[1:4], v[7:8], off offset:1536
	s_wait_loadcnt 0x0
	v_lshrrev_b32_e32 v43, 16, v1
	v_lshrrev_b32_e32 v42, 16, v2
	;; [unrolled: 1-line block ×3, first 2 shown]
	s_and_saveexec_b32 s21, s0
	s_cbranch_execz .LBB95_54
; %bb.53:                               ;   in Loop: Header=BB95_45 Depth=1
	v_add_nc_u32_e32 v44, 1, v23
	v_cmp_gt_i32_e64 s1, s31, v23
	v_add_nc_u32_e32 v45, 2, v23
	v_add_nc_u32_e32 v46, 3, v23
	;; [unrolled: 1-line block ×4, first 2 shown]
	s_wait_alu 0xf1ff
	v_cndmask_b32_e64 v1, 0, v1, s1
	v_cmp_gt_i32_e64 s1, s31, v44
	v_add_nc_u32_e32 v44, 4, v23
	s_wait_alu 0xf1ff
	s_delay_alu instid0(VALU_DEP_2) | instskip(SKIP_3) | instid1(VALU_DEP_2)
	v_cndmask_b32_e64 v43, 0, v43, s1
	v_cmp_gt_i32_e64 s1, s31, v45
	v_add_nc_u32_e32 v45, 6, v23
	s_wait_alu 0xf1ff
	v_cndmask_b32_e64 v2, 0, v2, s1
	v_cmp_gt_i32_e64 s1, s31, v46
	v_and_b32_e32 v46, 0xffff, v4
	v_and_b32_e32 v4, 0xffff0000, v4
	s_wait_alu 0xf1ff
	s_delay_alu instid0(VALU_DEP_3) | instskip(SKIP_2) | instid1(VALU_DEP_1)
	v_cndmask_b32_e64 v42, 0, v42, s1
	v_cmp_gt_i32_e64 s1, s31, v45
	s_wait_alu 0xf1ff
	v_cndmask_b32_e64 v45, 0, v46, s1
	v_cmp_gt_i32_e64 s1, s31, v47
	s_wait_alu 0xf1ff
	s_delay_alu instid0(VALU_DEP_1) | instskip(SKIP_1) | instid1(VALU_DEP_2)
	v_cndmask_b32_e64 v4, 0, v4, s1
	v_cmp_gt_i32_e64 s1, s31, v44
	v_or_b32_e32 v4, v45, v4
	s_wait_alu 0xf1ff
	s_delay_alu instid0(VALU_DEP_2) | instskip(SKIP_2) | instid1(VALU_DEP_1)
	v_cndmask_b32_e64 v3, 0, v3, s1
	v_cmp_gt_i32_e64 s1, s31, v48
	s_wait_alu 0xf1ff
	v_cndmask_b32_e64 v41, 0, v41, s1
.LBB95_54:                              ;   in Loop: Header=BB95_45 Depth=1
	s_or_b32 exec_lo, exec_lo, s21
	v_lshlrev_b32_e32 v43, 16, v43
	v_lshlrev_b32_e32 v42, 16, v42
	s_delay_alu instid0(VALU_DEP_3) | instskip(NEXT) | instid1(VALU_DEP_3)
	v_lshlrev_b32_e32 v41, 16, v41
	v_and_or_b32 v1, 0xffff, v1, v43
	s_delay_alu instid0(VALU_DEP_3) | instskip(NEXT) | instid1(VALU_DEP_3)
	v_and_or_b32 v2, 0xffff, v2, v42
	v_and_or_b32 v3, 0xffff, v3, v41
	;;#ASMSTART
	v_pk_mul_f16 v1, v34, v1;

	;;#ASMEND
	;;#ASMSTART
	v_pk_mul_f16 v2, v33, v2;

	;;#ASMEND
	;; [unrolled: 4-line block ×4, first 2 shown]
	;;#ASMSTART
	v_pk_add_f16 v1, v1, v2;

	;;#ASMEND
	;;#ASMSTART
	v_pk_add_f16 v1, v1, v3;

	;;#ASMEND
	;; [unrolled: 4-line block ×3, first 2 shown]
	v_and_b32_e32 v2, 0xffff, v1
	v_lshrrev_b32_e32 v1, 16, v1
	;;#ASMSTART
	v_cvt_f32_f16 v41, v2;
	;;#ASMEND
	;;#ASMSTART
	v_cvt_f32_f16 v42, v1;
	;;#ASMEND
	global_load_b128 v[1:4], v[7:8], off offset:2048
	s_wait_loadcnt 0x0
	v_lshrrev_b32_e32 v45, 16, v1
	v_lshrrev_b32_e32 v44, 16, v2
	v_lshrrev_b32_e32 v43, 16, v3
	s_and_saveexec_b32 s21, s0
	s_cbranch_execz .LBB95_56
; %bb.55:                               ;   in Loop: Header=BB95_45 Depth=1
	v_add_nc_u32_e32 v46, 1, v23
	v_cmp_gt_i32_e64 s1, s31, v23
	v_add_nc_u32_e32 v47, 2, v23
	v_add_nc_u32_e32 v48, 3, v23
	;; [unrolled: 1-line block ×4, first 2 shown]
	s_wait_alu 0xf1ff
	v_cndmask_b32_e64 v1, 0, v1, s1
	v_cmp_gt_i32_e64 s1, s31, v46
	v_add_nc_u32_e32 v46, 4, v23
	s_wait_alu 0xf1ff
	s_delay_alu instid0(VALU_DEP_2) | instskip(SKIP_3) | instid1(VALU_DEP_2)
	v_cndmask_b32_e64 v45, 0, v45, s1
	v_cmp_gt_i32_e64 s1, s31, v47
	v_add_nc_u32_e32 v47, 6, v23
	s_wait_alu 0xf1ff
	v_cndmask_b32_e64 v2, 0, v2, s1
	v_cmp_gt_i32_e64 s1, s31, v48
	v_and_b32_e32 v48, 0xffff, v4
	v_and_b32_e32 v4, 0xffff0000, v4
	s_wait_alu 0xf1ff
	s_delay_alu instid0(VALU_DEP_3) | instskip(SKIP_2) | instid1(VALU_DEP_1)
	v_cndmask_b32_e64 v44, 0, v44, s1
	v_cmp_gt_i32_e64 s1, s31, v47
	s_wait_alu 0xf1ff
	v_cndmask_b32_e64 v47, 0, v48, s1
	v_cmp_gt_i32_e64 s1, s31, v49
	s_wait_alu 0xf1ff
	s_delay_alu instid0(VALU_DEP_1) | instskip(SKIP_1) | instid1(VALU_DEP_2)
	v_cndmask_b32_e64 v4, 0, v4, s1
	v_cmp_gt_i32_e64 s1, s31, v46
	v_or_b32_e32 v4, v47, v4
	s_wait_alu 0xf1ff
	s_delay_alu instid0(VALU_DEP_2) | instskip(SKIP_2) | instid1(VALU_DEP_1)
	v_cndmask_b32_e64 v3, 0, v3, s1
	v_cmp_gt_i32_e64 s1, s31, v50
	s_wait_alu 0xf1ff
	v_cndmask_b32_e64 v43, 0, v43, s1
.LBB95_56:                              ;   in Loop: Header=BB95_45 Depth=1
	s_or_b32 exec_lo, exec_lo, s21
	v_lshlrev_b32_e32 v45, 16, v45
	v_lshlrev_b32_e32 v44, 16, v44
	s_delay_alu instid0(VALU_DEP_3) | instskip(NEXT) | instid1(VALU_DEP_3)
	v_lshlrev_b32_e32 v43, 16, v43
	v_and_or_b32 v1, 0xffff, v1, v45
	s_delay_alu instid0(VALU_DEP_3) | instskip(NEXT) | instid1(VALU_DEP_3)
	v_and_or_b32 v2, 0xffff, v2, v44
	v_and_or_b32 v3, 0xffff, v3, v43
	;;#ASMSTART
	v_pk_mul_f16 v1, v34, v1;

	;;#ASMEND
	;;#ASMSTART
	v_pk_mul_f16 v2, v33, v2;

	;;#ASMEND
	;; [unrolled: 4-line block ×4, first 2 shown]
	;;#ASMSTART
	v_pk_add_f16 v1, v1, v2;

	;;#ASMEND
	;;#ASMSTART
	v_pk_add_f16 v1, v1, v3;

	;;#ASMEND
	;; [unrolled: 4-line block ×3, first 2 shown]
	v_and_b32_e32 v2, 0xffff, v1
	v_lshrrev_b32_e32 v1, 16, v1
	;;#ASMSTART
	v_cvt_f32_f16 v43, v2;
	;;#ASMEND
	;;#ASMSTART
	v_cvt_f32_f16 v44, v1;
	;;#ASMEND
	global_load_b128 v[1:4], v[7:8], off offset:2560
	s_wait_loadcnt 0x0
	v_lshrrev_b32_e32 v47, 16, v1
	v_lshrrev_b32_e32 v46, 16, v2
	;; [unrolled: 1-line block ×3, first 2 shown]
	s_and_saveexec_b32 s21, s0
	s_cbranch_execz .LBB95_58
; %bb.57:                               ;   in Loop: Header=BB95_45 Depth=1
	v_add_nc_u32_e32 v48, 1, v23
	v_cmp_gt_i32_e64 s1, s31, v23
	v_add_nc_u32_e32 v49, 2, v23
	v_add_nc_u32_e32 v50, 3, v23
	v_add_nc_u32_e32 v51, 7, v23
	v_add_nc_u32_e32 v52, 5, v23
	s_wait_alu 0xf1ff
	v_cndmask_b32_e64 v1, 0, v1, s1
	v_cmp_gt_i32_e64 s1, s31, v48
	v_add_nc_u32_e32 v48, 4, v23
	s_wait_alu 0xf1ff
	s_delay_alu instid0(VALU_DEP_2) | instskip(SKIP_3) | instid1(VALU_DEP_2)
	v_cndmask_b32_e64 v47, 0, v47, s1
	v_cmp_gt_i32_e64 s1, s31, v49
	v_add_nc_u32_e32 v49, 6, v23
	s_wait_alu 0xf1ff
	v_cndmask_b32_e64 v2, 0, v2, s1
	v_cmp_gt_i32_e64 s1, s31, v50
	v_and_b32_e32 v50, 0xffff, v4
	v_and_b32_e32 v4, 0xffff0000, v4
	s_wait_alu 0xf1ff
	s_delay_alu instid0(VALU_DEP_3) | instskip(SKIP_2) | instid1(VALU_DEP_1)
	v_cndmask_b32_e64 v46, 0, v46, s1
	v_cmp_gt_i32_e64 s1, s31, v49
	s_wait_alu 0xf1ff
	v_cndmask_b32_e64 v49, 0, v50, s1
	v_cmp_gt_i32_e64 s1, s31, v51
	s_wait_alu 0xf1ff
	s_delay_alu instid0(VALU_DEP_1) | instskip(SKIP_1) | instid1(VALU_DEP_2)
	v_cndmask_b32_e64 v4, 0, v4, s1
	v_cmp_gt_i32_e64 s1, s31, v48
	v_or_b32_e32 v4, v49, v4
	s_wait_alu 0xf1ff
	s_delay_alu instid0(VALU_DEP_2) | instskip(SKIP_2) | instid1(VALU_DEP_1)
	v_cndmask_b32_e64 v3, 0, v3, s1
	v_cmp_gt_i32_e64 s1, s31, v52
	s_wait_alu 0xf1ff
	v_cndmask_b32_e64 v45, 0, v45, s1
.LBB95_58:                              ;   in Loop: Header=BB95_45 Depth=1
	s_or_b32 exec_lo, exec_lo, s21
	v_lshlrev_b32_e32 v47, 16, v47
	v_lshlrev_b32_e32 v46, 16, v46
	s_delay_alu instid0(VALU_DEP_3) | instskip(NEXT) | instid1(VALU_DEP_3)
	v_lshlrev_b32_e32 v45, 16, v45
	v_and_or_b32 v1, 0xffff, v1, v47
	s_delay_alu instid0(VALU_DEP_3) | instskip(NEXT) | instid1(VALU_DEP_3)
	v_and_or_b32 v2, 0xffff, v2, v46
	v_and_or_b32 v3, 0xffff, v3, v45
	;;#ASMSTART
	v_pk_mul_f16 v1, v34, v1;

	;;#ASMEND
	;;#ASMSTART
	v_pk_mul_f16 v2, v33, v2;

	;;#ASMEND
	;; [unrolled: 4-line block ×4, first 2 shown]
	;;#ASMSTART
	v_pk_add_f16 v1, v1, v2;

	;;#ASMEND
	;;#ASMSTART
	v_pk_add_f16 v1, v1, v3;

	;;#ASMEND
	;; [unrolled: 4-line block ×3, first 2 shown]
	v_and_b32_e32 v2, 0xffff, v1
	v_lshrrev_b32_e32 v1, 16, v1
	;;#ASMSTART
	v_cvt_f32_f16 v45, v2;
	;;#ASMEND
	;;#ASMSTART
	v_cvt_f32_f16 v46, v1;
	;;#ASMEND
	global_load_b128 v[1:4], v[7:8], off offset:3072
	s_wait_loadcnt 0x0
	v_lshrrev_b32_e32 v47, 16, v1
	v_lshrrev_b32_e32 v8, 16, v2
	;; [unrolled: 1-line block ×3, first 2 shown]
	s_and_saveexec_b32 s21, s0
	s_cbranch_execz .LBB95_60
; %bb.59:                               ;   in Loop: Header=BB95_45 Depth=1
	v_add_nc_u32_e32 v48, 1, v23
	v_cmp_gt_i32_e64 s1, s31, v23
	v_add_nc_u32_e32 v49, 2, v23
	v_add_nc_u32_e32 v50, 3, v23
	;; [unrolled: 1-line block ×4, first 2 shown]
	s_wait_alu 0xf1ff
	v_cndmask_b32_e64 v1, 0, v1, s1
	v_cmp_gt_i32_e64 s1, s31, v48
	v_add_nc_u32_e32 v48, 4, v23
	s_wait_alu 0xf1ff
	s_delay_alu instid0(VALU_DEP_2) | instskip(SKIP_3) | instid1(VALU_DEP_2)
	v_cndmask_b32_e64 v47, 0, v47, s1
	v_cmp_gt_i32_e64 s1, s31, v49
	v_add_nc_u32_e32 v49, 6, v23
	s_wait_alu 0xf1ff
	v_cndmask_b32_e64 v2, 0, v2, s1
	v_cmp_gt_i32_e64 s1, s31, v50
	v_and_b32_e32 v50, 0xffff, v4
	v_and_b32_e32 v4, 0xffff0000, v4
	s_wait_alu 0xf1ff
	s_delay_alu instid0(VALU_DEP_3) | instskip(SKIP_2) | instid1(VALU_DEP_1)
	v_cndmask_b32_e64 v8, 0, v8, s1
	v_cmp_gt_i32_e64 s1, s31, v49
	s_wait_alu 0xf1ff
	v_cndmask_b32_e64 v49, 0, v50, s1
	v_cmp_gt_i32_e64 s1, s31, v51
	s_wait_alu 0xf1ff
	s_delay_alu instid0(VALU_DEP_1) | instskip(SKIP_1) | instid1(VALU_DEP_2)
	v_cndmask_b32_e64 v4, 0, v4, s1
	v_cmp_gt_i32_e64 s1, s31, v48
	v_or_b32_e32 v4, v49, v4
	s_wait_alu 0xf1ff
	s_delay_alu instid0(VALU_DEP_2) | instskip(SKIP_2) | instid1(VALU_DEP_1)
	v_cndmask_b32_e64 v3, 0, v3, s1
	v_cmp_gt_i32_e64 s1, s31, v52
	s_wait_alu 0xf1ff
	v_cndmask_b32_e64 v7, 0, v7, s1
.LBB95_60:                              ;   in Loop: Header=BB95_45 Depth=1
	s_or_b32 exec_lo, exec_lo, s21
	v_lshlrev_b32_e32 v47, 16, v47
	v_lshlrev_b32_e32 v8, 16, v8
	s_delay_alu instid0(VALU_DEP_3) | instskip(NEXT) | instid1(VALU_DEP_3)
	v_lshlrev_b32_e32 v7, 16, v7
	v_and_or_b32 v1, 0xffff, v1, v47
	s_delay_alu instid0(VALU_DEP_3) | instskip(NEXT) | instid1(VALU_DEP_3)
	v_and_or_b32 v2, 0xffff, v2, v8
	v_and_or_b32 v3, 0xffff, v3, v7
	;;#ASMSTART
	v_pk_mul_f16 v1, v34, v1;

	;;#ASMEND
	;;#ASMSTART
	v_pk_mul_f16 v2, v33, v2;

	;;#ASMEND
	;; [unrolled: 4-line block ×4, first 2 shown]
	;;#ASMSTART
	v_pk_add_f16 v1, v1, v2;

	;;#ASMEND
	;;#ASMSTART
	v_pk_add_f16 v1, v1, v3;

	;;#ASMEND
	;; [unrolled: 4-line block ×3, first 2 shown]
	v_and_b32_e32 v2, 0xffff, v1
	v_lshrrev_b32_e32 v1, 16, v1
	;;#ASMSTART
	v_cvt_f32_f16 v7, v2;
	;;#ASMEND
	;;#ASMSTART
	v_cvt_f32_f16 v8, v1;
	;;#ASMEND
	s_and_saveexec_b32 s21, vcc_lo
	s_cbranch_execz .LBB95_43
; %bb.61:                               ;   in Loop: Header=BB95_45 Depth=1
	v_add_co_u32 v1, s1, v31, v22
	s_wait_alu 0xf1ff
	v_add_co_ci_u32_e64 v2, null, 0, v32, s1
	global_load_b128 v[1:4], v[1:2], off
	s_wait_loadcnt 0x0
	v_lshrrev_b32_e32 v47, 16, v1
	v_lshrrev_b32_e32 v32, 16, v2
	;; [unrolled: 1-line block ×3, first 2 shown]
	s_and_saveexec_b32 s1, s0
	s_cbranch_execz .LBB95_42
; %bb.62:                               ;   in Loop: Header=BB95_45 Depth=1
	v_add_nc_u32_e32 v48, 1, v23
	v_cmp_gt_i32_e64 s0, s31, v23
	v_add_nc_u32_e32 v49, 2, v23
	v_add_nc_u32_e32 v50, 3, v23
	;; [unrolled: 1-line block ×3, first 2 shown]
	s_wait_alu 0xf1ff
	v_cndmask_b32_e64 v1, 0, v1, s0
	v_cmp_gt_i32_e64 s0, s31, v48
	v_add_nc_u32_e32 v48, 4, v23
	s_wait_alu 0xf1ff
	s_delay_alu instid0(VALU_DEP_2) | instskip(SKIP_4) | instid1(VALU_DEP_3)
	v_cndmask_b32_e64 v47, 0, v47, s0
	v_cmp_gt_i32_e64 s0, s31, v49
	v_add_nc_u32_e32 v49, 6, v23
	v_add_nc_u32_e32 v23, 5, v23
	s_wait_alu 0xf1ff
	v_cndmask_b32_e64 v2, 0, v2, s0
	v_cmp_gt_i32_e64 s0, s31, v50
	v_and_b32_e32 v50, 0xffff, v4
	v_and_b32_e32 v4, 0xffff0000, v4
	s_wait_alu 0xf1ff
	s_delay_alu instid0(VALU_DEP_3) | instskip(SKIP_2) | instid1(VALU_DEP_1)
	v_cndmask_b32_e64 v32, 0, v32, s0
	v_cmp_gt_i32_e64 s0, s31, v49
	s_wait_alu 0xf1ff
	v_cndmask_b32_e64 v49, 0, v50, s0
	v_cmp_gt_i32_e64 s0, s31, v51
	s_wait_alu 0xf1ff
	s_delay_alu instid0(VALU_DEP_1) | instskip(SKIP_1) | instid1(VALU_DEP_2)
	v_cndmask_b32_e64 v4, 0, v4, s0
	v_cmp_gt_i32_e64 s0, s31, v48
	v_or_b32_e32 v4, v49, v4
	s_wait_alu 0xf1ff
	s_delay_alu instid0(VALU_DEP_2) | instskip(SKIP_2) | instid1(VALU_DEP_1)
	v_cndmask_b32_e64 v3, 0, v3, s0
	v_cmp_gt_i32_e64 s0, s31, v23
	s_wait_alu 0xf1ff
	v_cndmask_b32_e64 v31, 0, v31, s0
	s_branch .LBB95_42
.LBB95_63:
	s_or_b32 exec_lo, exec_lo, s9
.LBB95_64:
	s_delay_alu instid0(SALU_CYCLE_1)
	s_or_b32 exec_lo, exec_lo, s4
	ds_bpermute_b32 v1, v10, v18
	ds_bpermute_b32 v2, v10, v17
	;; [unrolled: 1-line block ×8, first 2 shown]
	s_movk_i32 s0, 0x1e0
	v_and_b32_e32 v23, 0x3c0, v0
	s_wait_alu 0xfffe
	v_mad_u32_u24 v10, v27, s0, 0x110
	s_mov_b32 s1, exec_lo
	v_cmp_eq_u32_e32 vcc_lo, 0, v26
	s_wait_storecnt 0x0
	s_wait_loadcnt_dscnt 0x0
	s_barrier_signal -1
	s_barrier_wait -1
	global_inv scope:SCOPE_SE
	v_dual_add_f32 v8, v18, v1 :: v_dual_add_f32 v7, v17, v2
	v_dual_add_f32 v6, v16, v3 :: v_dual_add_f32 v5, v15, v4
	;; [unrolled: 1-line block ×4, first 2 shown]
	v_cmpx_eq_u32_e32 64, v23
	s_cbranch_execz .LBB95_69
; %bb.65:
	v_add_nc_u32_e32 v11, 0xfffffc40, v10
	s_and_saveexec_b32 s0, vcc_lo
	s_cbranch_execz .LBB95_67
; %bb.66:
	s_delay_alu instid0(VALU_DEP_1)
	v_lshl_add_u32 v12, v9, 2, v11
	ds_store_2addr_b32 v12, v8, v7 offset1:16
	ds_store_2addr_b32 v12, v6, v5 offset0:32 offset1:48
	ds_store_2addr_b32 v12, v4, v3 offset0:64 offset1:80
	ds_store_b32 v12, v2 offset:384
.LBB95_67:
	s_wait_alu 0xfffe
	s_or_b32 exec_lo, exec_lo, s0
	v_or_b32_e32 v12, 0x70, v9
	s_delay_alu instid0(VALU_DEP_1)
	v_cmp_gt_u32_e64 s0, 0x78, v12
	s_and_b32 s0, vcc_lo, s0
	s_wait_alu 0xfffe
	s_and_b32 exec_lo, exec_lo, s0
; %bb.68:
	v_lshl_add_u32 v11, v12, 2, v11
	ds_store_b32 v11, v1
.LBB95_69:
	s_wait_alu 0xfffe
	s_or_b32 exec_lo, exec_lo, s1
	s_delay_alu instid0(SALU_CYCLE_1)
	s_mov_b32 s1, exec_lo
	s_wait_loadcnt_dscnt 0x0
	s_barrier_signal -1
	s_barrier_wait -1
	global_inv scope:SCOPE_SE
	v_cmpx_gt_u32_e32 64, v0
	s_cbranch_execz .LBB95_81
; %bb.70:
	s_and_saveexec_b32 s0, vcc_lo
	s_cbranch_execnz .LBB95_116
; %bb.71:
	s_wait_alu 0xfffe
	s_or_b32 exec_lo, exec_lo, s0
	s_and_saveexec_b32 s0, vcc_lo
	s_cbranch_execnz .LBB95_117
.LBB95_72:
	s_wait_alu 0xfffe
	s_or_b32 exec_lo, exec_lo, s0
	s_and_saveexec_b32 s0, vcc_lo
	s_cbranch_execnz .LBB95_118
.LBB95_73:
	s_wait_alu 0xfffe
	s_or_b32 exec_lo, exec_lo, s0
	s_and_saveexec_b32 s0, vcc_lo
	s_cbranch_execnz .LBB95_119
.LBB95_74:
	s_wait_alu 0xfffe
	s_or_b32 exec_lo, exec_lo, s0
	s_and_saveexec_b32 s0, vcc_lo
	s_cbranch_execnz .LBB95_120
.LBB95_75:
	s_wait_alu 0xfffe
	s_or_b32 exec_lo, exec_lo, s0
	s_and_saveexec_b32 s0, vcc_lo
	s_cbranch_execnz .LBB95_121
.LBB95_76:
	s_wait_alu 0xfffe
	s_or_b32 exec_lo, exec_lo, s0
	s_and_saveexec_b32 s0, vcc_lo
	s_cbranch_execz .LBB95_78
.LBB95_77:
	v_lshl_add_u32 v11, v9, 2, v10
	ds_load_b32 v11, v11 offset:384
	s_wait_dscnt 0x0
	v_add_f32_e32 v2, v2, v11
.LBB95_78:
	s_wait_alu 0xfffe
	s_or_b32 exec_lo, exec_lo, s0
	v_or_b32_e32 v11, 0x70, v9
	s_delay_alu instid0(VALU_DEP_1)
	v_cmp_gt_u32_e64 s0, 0x78, v11
	s_and_b32 s2, vcc_lo, s0
	s_wait_alu 0xfffe
	s_and_saveexec_b32 s0, s2
	s_cbranch_execz .LBB95_80
; %bb.79:
	v_lshl_add_u32 v11, v9, 2, v10
	ds_load_b32 v11, v11 offset:448
	s_wait_dscnt 0x0
	v_add_f32_e32 v1, v1, v11
.LBB95_80:
	s_wait_alu 0xfffe
	s_or_b32 exec_lo, exec_lo, s0
.LBB95_81:
	s_wait_alu 0xfffe
	s_or_b32 exec_lo, exec_lo, s1
	v_and_b32_e32 v11, 0x3e0, v0
	s_mov_b32 s1, exec_lo
	s_wait_loadcnt 0x0
	s_barrier_signal -1
	s_barrier_wait -1
	global_inv scope:SCOPE_SE
	v_cmpx_eq_u32_e32 32, v11
	s_cbranch_execz .LBB95_86
; %bb.82:
	v_lshl_add_u32 v11, v9, 2, 0x110
	s_and_saveexec_b32 s0, vcc_lo
	s_cbranch_execz .LBB95_84
; %bb.83:
	ds_store_2addr_b32 v11, v8, v7 offset1:16
	ds_store_2addr_b32 v11, v6, v5 offset0:32 offset1:48
	ds_store_2addr_b32 v11, v4, v3 offset0:64 offset1:80
	ds_store_b32 v11, v2 offset:384
.LBB95_84:
	s_wait_alu 0xfffe
	s_or_b32 exec_lo, exec_lo, s0
	v_or_b32_e32 v12, 0x70, v9
	s_delay_alu instid0(VALU_DEP_1)
	v_cmp_gt_u32_e64 s0, 0x78, v12
	s_and_b32 s0, vcc_lo, s0
	s_wait_alu 0xfffe
	s_and_b32 exec_lo, exec_lo, s0
; %bb.85:
	ds_store_b32 v11, v1 offset:448
.LBB95_86:
	s_wait_alu 0xfffe
	s_or_b32 exec_lo, exec_lo, s1
	v_cmp_gt_u32_e64 s0, 32, v0
	s_wait_loadcnt_dscnt 0x0
	s_barrier_signal -1
	s_barrier_wait -1
	global_inv scope:SCOPE_SE
	s_and_saveexec_b32 s2, s0
	s_cbranch_execz .LBB95_98
; %bb.87:
	v_lshl_add_u32 v0, v9, 2, v10
	s_and_saveexec_b32 s1, vcc_lo
	s_cbranch_execnz .LBB95_122
; %bb.88:
	s_wait_alu 0xfffe
	s_or_b32 exec_lo, exec_lo, s1
	s_and_saveexec_b32 s1, vcc_lo
	s_cbranch_execnz .LBB95_123
.LBB95_89:
	s_wait_alu 0xfffe
	s_or_b32 exec_lo, exec_lo, s1
	s_and_saveexec_b32 s1, vcc_lo
	s_cbranch_execnz .LBB95_124
.LBB95_90:
	s_wait_alu 0xfffe
	s_or_b32 exec_lo, exec_lo, s1
	s_and_saveexec_b32 s1, vcc_lo
	s_cbranch_execnz .LBB95_125
.LBB95_91:
	s_wait_alu 0xfffe
	s_or_b32 exec_lo, exec_lo, s1
	s_and_saveexec_b32 s1, vcc_lo
	s_cbranch_execnz .LBB95_126
.LBB95_92:
	s_wait_alu 0xfffe
	s_or_b32 exec_lo, exec_lo, s1
	s_and_saveexec_b32 s1, vcc_lo
	s_cbranch_execnz .LBB95_127
.LBB95_93:
	s_wait_alu 0xfffe
	s_or_b32 exec_lo, exec_lo, s1
	s_and_saveexec_b32 s1, vcc_lo
	s_cbranch_execz .LBB95_95
.LBB95_94:
	ds_load_b32 v10, v0 offset:384
	s_wait_dscnt 0x0
	v_add_f32_e32 v2, v2, v10
.LBB95_95:
	s_wait_alu 0xfffe
	s_or_b32 exec_lo, exec_lo, s1
	v_or_b32_e32 v9, 0x70, v9
	s_delay_alu instid0(VALU_DEP_1)
	v_cmp_gt_u32_e64 s1, 0x78, v9
	s_and_b32 s3, vcc_lo, s1
	s_wait_alu 0xfffe
	s_and_saveexec_b32 s1, s3
	s_cbranch_execz .LBB95_97
; %bb.96:
	ds_load_b32 v0, v0 offset:448
	s_wait_dscnt 0x0
	v_add_f32_e32 v1, v1, v0
.LBB95_97:
	s_wait_alu 0xfffe
	s_or_b32 exec_lo, exec_lo, s1
.LBB95_98:
	s_wait_alu 0xfffe
	s_or_b32 exec_lo, exec_lo, s2
	s_wait_loadcnt 0x0
	s_barrier_signal -1
	s_barrier_wait -1
	global_inv scope:SCOPE_SE
	s_and_saveexec_b32 s1, s0
	s_cbranch_execz .LBB95_115
; %bb.99:
	s_mul_i32 s0, s20, 0x78
	s_mul_i32 s2, s8, s16
	s_wait_alu 0xfffe
	s_ashr_i32 s1, s0, 31
	s_ashr_i32 s3, s2, 31
	s_wait_alu 0xfffe
	s_lshl_b64 s[0:1], s[0:1], 1
	s_lshl_b64 s[2:3], s[2:3], 1
	s_wait_alu 0xfffe
	s_add_nc_u64 s[0:1], s[14:15], s[0:1]
	v_lshlrev_b32_e32 v0, 1, v25
	s_mul_i32 s4, s30, 0xf0
	s_wait_alu 0xfffe
	s_add_nc_u64 s[0:1], s[0:1], s[2:3]
	s_mov_b32 s5, 0
	s_wait_alu 0xfffe
	s_add_nc_u64 s[2:3], s[0:1], s[4:5]
	s_and_saveexec_b32 s0, vcc_lo
	s_cbranch_execz .LBB95_101
; %bb.100:
	;;#ASMSTART
	v_cvt_f16_f32 v8, v8;

	;;#ASMEND
	global_store_b16 v0, v8, s[2:3]
.LBB95_101:
	s_wait_alu 0xfffe
	s_or_b32 exec_lo, exec_lo, s0
	v_or_b32_e32 v8, 16, v25
	s_delay_alu instid0(VALU_DEP_1)
	v_cmp_gt_u32_e64 s0, 0x78, v8
	s_and_b32 s1, vcc_lo, s0
	s_wait_alu 0xfffe
	s_and_saveexec_b32 s0, s1
	s_cbranch_execz .LBB95_103
; %bb.102:
	;;#ASMSTART
	v_cvt_f16_f32 v7, v7;

	;;#ASMEND
	global_store_b16 v0, v7, s[2:3] offset:32
.LBB95_103:
	s_wait_alu 0xfffe
	s_or_b32 exec_lo, exec_lo, s0
	v_or_b32_e32 v7, 32, v25
	s_delay_alu instid0(VALU_DEP_1)
	v_cmp_gt_u32_e64 s0, 0x78, v7
	s_and_b32 s1, vcc_lo, s0
	s_wait_alu 0xfffe
	s_and_saveexec_b32 s0, s1
	s_cbranch_execz .LBB95_105
; %bb.104:
	;;#ASMSTART
	v_cvt_f16_f32 v6, v6;

	;;#ASMEND
	global_store_b16 v0, v6, s[2:3] offset:64
.LBB95_105:
	;; [unrolled: 16-line block ×6, first 2 shown]
	s_wait_alu 0xfffe
	s_or_b32 exec_lo, exec_lo, s0
	v_or_b32_e32 v2, 0x70, v25
	s_delay_alu instid0(VALU_DEP_1)
	v_cmp_gt_u32_e64 s0, 0x78, v2
	s_and_b32 s0, vcc_lo, s0
	s_wait_alu 0xfffe
	s_and_b32 exec_lo, exec_lo, s0
	s_cbranch_execz .LBB95_115
; %bb.114:
	;;#ASMSTART
	v_cvt_f16_f32 v1, v1;

	;;#ASMEND
	global_store_b16 v0, v1, s[2:3] offset:224
.LBB95_115:
	s_nop 0
	s_sendmsg sendmsg(MSG_DEALLOC_VGPRS)
	s_endpgm
.LBB95_116:
	v_lshl_add_u32 v11, v9, 2, v10
	ds_load_b32 v11, v11
	s_wait_dscnt 0x0
	v_add_f32_e32 v8, v8, v11
	s_wait_alu 0xfffe
	s_or_b32 exec_lo, exec_lo, s0
	s_and_saveexec_b32 s0, vcc_lo
	s_cbranch_execz .LBB95_72
.LBB95_117:
	v_lshl_add_u32 v11, v9, 2, v10
	ds_load_b32 v11, v11 offset:64
	s_wait_dscnt 0x0
	v_add_f32_e32 v7, v7, v11
	s_wait_alu 0xfffe
	s_or_b32 exec_lo, exec_lo, s0
	s_and_saveexec_b32 s0, vcc_lo
	s_cbranch_execz .LBB95_73
.LBB95_118:
	v_lshl_add_u32 v11, v9, 2, v10
	ds_load_b32 v11, v11 offset:128
	s_wait_dscnt 0x0
	v_add_f32_e32 v6, v6, v11
	s_wait_alu 0xfffe
	s_or_b32 exec_lo, exec_lo, s0
	s_and_saveexec_b32 s0, vcc_lo
	s_cbranch_execz .LBB95_74
.LBB95_119:
	v_lshl_add_u32 v11, v9, 2, v10
	ds_load_b32 v11, v11 offset:192
	s_wait_dscnt 0x0
	v_add_f32_e32 v5, v5, v11
	s_wait_alu 0xfffe
	s_or_b32 exec_lo, exec_lo, s0
	s_and_saveexec_b32 s0, vcc_lo
	s_cbranch_execz .LBB95_75
.LBB95_120:
	v_lshl_add_u32 v11, v9, 2, v10
	ds_load_b32 v11, v11 offset:256
	s_wait_dscnt 0x0
	v_add_f32_e32 v4, v4, v11
	s_wait_alu 0xfffe
	s_or_b32 exec_lo, exec_lo, s0
	s_and_saveexec_b32 s0, vcc_lo
	s_cbranch_execz .LBB95_76
.LBB95_121:
	v_lshl_add_u32 v11, v9, 2, v10
	ds_load_b32 v11, v11 offset:320
	s_wait_dscnt 0x0
	v_add_f32_e32 v3, v3, v11
	s_wait_alu 0xfffe
	s_or_b32 exec_lo, exec_lo, s0
	s_and_saveexec_b32 s0, vcc_lo
	s_cbranch_execnz .LBB95_77
	s_branch .LBB95_78
.LBB95_122:
	ds_load_b32 v10, v0
	s_wait_dscnt 0x0
	v_add_f32_e32 v8, v8, v10
	s_wait_alu 0xfffe
	s_or_b32 exec_lo, exec_lo, s1
	s_and_saveexec_b32 s1, vcc_lo
	s_cbranch_execz .LBB95_89
.LBB95_123:
	ds_load_b32 v10, v0 offset:64
	s_wait_dscnt 0x0
	v_add_f32_e32 v7, v7, v10
	s_wait_alu 0xfffe
	s_or_b32 exec_lo, exec_lo, s1
	s_and_saveexec_b32 s1, vcc_lo
	s_cbranch_execz .LBB95_90
.LBB95_124:
	ds_load_b32 v10, v0 offset:128
	s_wait_dscnt 0x0
	v_add_f32_e32 v6, v6, v10
	s_wait_alu 0xfffe
	s_or_b32 exec_lo, exec_lo, s1
	s_and_saveexec_b32 s1, vcc_lo
	s_cbranch_execz .LBB95_91
.LBB95_125:
	ds_load_b32 v10, v0 offset:192
	s_wait_dscnt 0x0
	v_add_f32_e32 v5, v5, v10
	s_wait_alu 0xfffe
	s_or_b32 exec_lo, exec_lo, s1
	s_and_saveexec_b32 s1, vcc_lo
	s_cbranch_execz .LBB95_92
.LBB95_126:
	ds_load_b32 v10, v0 offset:256
	s_wait_dscnt 0x0
	v_add_f32_e32 v4, v4, v10
	s_wait_alu 0xfffe
	s_or_b32 exec_lo, exec_lo, s1
	s_and_saveexec_b32 s1, vcc_lo
	s_cbranch_execz .LBB95_93
.LBB95_127:
	ds_load_b32 v10, v0 offset:320
	s_wait_dscnt 0x0
	v_add_f32_e32 v3, v3, v10
	s_wait_alu 0xfffe
	s_or_b32 exec_lo, exec_lo, s1
	s_and_saveexec_b32 s1, vcc_lo
	s_cbranch_execnz .LBB95_94
	s_branch .LBB95_95
	.section	.rodata,"a",@progbits
	.p2align	6, 0x0
	.amdhsa_kernel _ZN4vllm25paged_attention_v2_kernelIttLi120ELi16ELi128ELNS_18Fp8KVCacheDataTypeE0ELb1ELi512EEEvPfS2_PT_PKS3_PKT0_S9_ifPKiSB_iPKfiiiSD_SD_iiiii
		.amdhsa_group_segment_fixed_size 272
		.amdhsa_private_segment_fixed_size 0
		.amdhsa_kernarg_size 400
		.amdhsa_user_sgpr_count 2
		.amdhsa_user_sgpr_dispatch_ptr 0
		.amdhsa_user_sgpr_queue_ptr 0
		.amdhsa_user_sgpr_kernarg_segment_ptr 1
		.amdhsa_user_sgpr_dispatch_id 0
		.amdhsa_user_sgpr_private_segment_size 0
		.amdhsa_wavefront_size32 1
		.amdhsa_uses_dynamic_stack 0
		.amdhsa_enable_private_segment 0
		.amdhsa_system_sgpr_workgroup_id_x 1
		.amdhsa_system_sgpr_workgroup_id_y 1
		.amdhsa_system_sgpr_workgroup_id_z 1
		.amdhsa_system_sgpr_workgroup_info 0
		.amdhsa_system_vgpr_workitem_id 0
		.amdhsa_next_free_vgpr 124
		.amdhsa_next_free_sgpr 42
		.amdhsa_reserve_vcc 1
		.amdhsa_float_round_mode_32 0
		.amdhsa_float_round_mode_16_64 0
		.amdhsa_float_denorm_mode_32 3
		.amdhsa_float_denorm_mode_16_64 3
		.amdhsa_fp16_overflow 0
		.amdhsa_workgroup_processor_mode 1
		.amdhsa_memory_ordered 1
		.amdhsa_forward_progress 1
		.amdhsa_inst_pref_size 79
		.amdhsa_round_robin_scheduling 0
		.amdhsa_exception_fp_ieee_invalid_op 0
		.amdhsa_exception_fp_denorm_src 0
		.amdhsa_exception_fp_ieee_div_zero 0
		.amdhsa_exception_fp_ieee_overflow 0
		.amdhsa_exception_fp_ieee_underflow 0
		.amdhsa_exception_fp_ieee_inexact 0
		.amdhsa_exception_int_div_zero 0
	.end_amdhsa_kernel
	.section	.text._ZN4vllm25paged_attention_v2_kernelIttLi120ELi16ELi128ELNS_18Fp8KVCacheDataTypeE0ELb1ELi512EEEvPfS2_PT_PKS3_PKT0_S9_ifPKiSB_iPKfiiiSD_SD_iiiii,"axG",@progbits,_ZN4vllm25paged_attention_v2_kernelIttLi120ELi16ELi128ELNS_18Fp8KVCacheDataTypeE0ELb1ELi512EEEvPfS2_PT_PKS3_PKT0_S9_ifPKiSB_iPKfiiiSD_SD_iiiii,comdat
.Lfunc_end95:
	.size	_ZN4vllm25paged_attention_v2_kernelIttLi120ELi16ELi128ELNS_18Fp8KVCacheDataTypeE0ELb1ELi512EEEvPfS2_PT_PKS3_PKT0_S9_ifPKiSB_iPKfiiiSD_SD_iiiii, .Lfunc_end95-_ZN4vllm25paged_attention_v2_kernelIttLi120ELi16ELi128ELNS_18Fp8KVCacheDataTypeE0ELb1ELi512EEEvPfS2_PT_PKS3_PKT0_S9_ifPKiSB_iPKfiiiSD_SD_iiiii
                                        ; -- End function
	.set _ZN4vllm25paged_attention_v2_kernelIttLi120ELi16ELi128ELNS_18Fp8KVCacheDataTypeE0ELb1ELi512EEEvPfS2_PT_PKS3_PKT0_S9_ifPKiSB_iPKfiiiSD_SD_iiiii.num_vgpr, 124
	.set _ZN4vllm25paged_attention_v2_kernelIttLi120ELi16ELi128ELNS_18Fp8KVCacheDataTypeE0ELb1ELi512EEEvPfS2_PT_PKS3_PKT0_S9_ifPKiSB_iPKfiiiSD_SD_iiiii.num_agpr, 0
	.set _ZN4vllm25paged_attention_v2_kernelIttLi120ELi16ELi128ELNS_18Fp8KVCacheDataTypeE0ELb1ELi512EEEvPfS2_PT_PKS3_PKT0_S9_ifPKiSB_iPKfiiiSD_SD_iiiii.numbered_sgpr, 42
	.set _ZN4vllm25paged_attention_v2_kernelIttLi120ELi16ELi128ELNS_18Fp8KVCacheDataTypeE0ELb1ELi512EEEvPfS2_PT_PKS3_PKT0_S9_ifPKiSB_iPKfiiiSD_SD_iiiii.num_named_barrier, 0
	.set _ZN4vllm25paged_attention_v2_kernelIttLi120ELi16ELi128ELNS_18Fp8KVCacheDataTypeE0ELb1ELi512EEEvPfS2_PT_PKS3_PKT0_S9_ifPKiSB_iPKfiiiSD_SD_iiiii.private_seg_size, 0
	.set _ZN4vllm25paged_attention_v2_kernelIttLi120ELi16ELi128ELNS_18Fp8KVCacheDataTypeE0ELb1ELi512EEEvPfS2_PT_PKS3_PKT0_S9_ifPKiSB_iPKfiiiSD_SD_iiiii.uses_vcc, 1
	.set _ZN4vllm25paged_attention_v2_kernelIttLi120ELi16ELi128ELNS_18Fp8KVCacheDataTypeE0ELb1ELi512EEEvPfS2_PT_PKS3_PKT0_S9_ifPKiSB_iPKfiiiSD_SD_iiiii.uses_flat_scratch, 0
	.set _ZN4vllm25paged_attention_v2_kernelIttLi120ELi16ELi128ELNS_18Fp8KVCacheDataTypeE0ELb1ELi512EEEvPfS2_PT_PKS3_PKT0_S9_ifPKiSB_iPKfiiiSD_SD_iiiii.has_dyn_sized_stack, 0
	.set _ZN4vllm25paged_attention_v2_kernelIttLi120ELi16ELi128ELNS_18Fp8KVCacheDataTypeE0ELb1ELi512EEEvPfS2_PT_PKS3_PKT0_S9_ifPKiSB_iPKfiiiSD_SD_iiiii.has_recursion, 0
	.set _ZN4vllm25paged_attention_v2_kernelIttLi120ELi16ELi128ELNS_18Fp8KVCacheDataTypeE0ELb1ELi512EEEvPfS2_PT_PKS3_PKT0_S9_ifPKiSB_iPKfiiiSD_SD_iiiii.has_indirect_call, 0
	.section	.AMDGPU.csdata,"",@progbits
; Kernel info:
; codeLenInByte = 10016
; TotalNumSgprs: 44
; NumVgprs: 124
; ScratchSize: 0
; MemoryBound: 0
; FloatMode: 240
; IeeeMode: 1
; LDSByteSize: 272 bytes/workgroup (compile time only)
; SGPRBlocks: 0
; VGPRBlocks: 15
; NumSGPRsForWavesPerEU: 44
; NumVGPRsForWavesPerEU: 124
; Occupancy: 10
; WaveLimiterHint : 1
; COMPUTE_PGM_RSRC2:SCRATCH_EN: 0
; COMPUTE_PGM_RSRC2:USER_SGPR: 2
; COMPUTE_PGM_RSRC2:TRAP_HANDLER: 0
; COMPUTE_PGM_RSRC2:TGID_X_EN: 1
; COMPUTE_PGM_RSRC2:TGID_Y_EN: 1
; COMPUTE_PGM_RSRC2:TGID_Z_EN: 1
; COMPUTE_PGM_RSRC2:TIDIG_COMP_CNT: 0
	.section	.text._ZN4vllm25paged_attention_v2_kernelIttLi128ELi16ELi128ELNS_18Fp8KVCacheDataTypeE0ELb1ELi512EEEvPfS2_PT_PKS3_PKT0_S9_ifPKiSB_iPKfiiiSD_SD_iiiii,"axG",@progbits,_ZN4vllm25paged_attention_v2_kernelIttLi128ELi16ELi128ELNS_18Fp8KVCacheDataTypeE0ELb1ELi512EEEvPfS2_PT_PKS3_PKT0_S9_ifPKiSB_iPKfiiiSD_SD_iiiii,comdat
	.protected	_ZN4vllm25paged_attention_v2_kernelIttLi128ELi16ELi128ELNS_18Fp8KVCacheDataTypeE0ELb1ELi512EEEvPfS2_PT_PKS3_PKT0_S9_ifPKiSB_iPKfiiiSD_SD_iiiii ; -- Begin function _ZN4vllm25paged_attention_v2_kernelIttLi128ELi16ELi128ELNS_18Fp8KVCacheDataTypeE0ELb1ELi512EEEvPfS2_PT_PKS3_PKT0_S9_ifPKiSB_iPKfiiiSD_SD_iiiii
	.globl	_ZN4vllm25paged_attention_v2_kernelIttLi128ELi16ELi128ELNS_18Fp8KVCacheDataTypeE0ELb1ELi512EEEvPfS2_PT_PKS3_PKT0_S9_ifPKiSB_iPKfiiiSD_SD_iiiii
	.p2align	8
	.type	_ZN4vllm25paged_attention_v2_kernelIttLi128ELi16ELi128ELNS_18Fp8KVCacheDataTypeE0ELb1ELi512EEEvPfS2_PT_PKS3_PKT0_S9_ifPKiSB_iPKfiiiSD_SD_iiiii,@function
_ZN4vllm25paged_attention_v2_kernelIttLi128ELi16ELi128ELNS_18Fp8KVCacheDataTypeE0ELb1ELi512EEEvPfS2_PT_PKS3_PKT0_S9_ifPKiSB_iPKfiiiSD_SD_iiiii: ; @_ZN4vllm25paged_attention_v2_kernelIttLi128ELi16ELi128ELNS_18Fp8KVCacheDataTypeE0ELb1ELi512EEEvPfS2_PT_PKS3_PKT0_S9_ifPKiSB_iPKfiiiSD_SD_iiiii
; %bb.0:
	s_load_b64 s[2:3], s[0:1], 0x40
	s_and_b32 s33, ttmp7, 0xffff
	s_lshr_b32 s30, ttmp7, 16
	s_lshl_b32 s4, s33, 2
	s_lshl_b32 s35, s30, 9
	s_wait_kmcnt 0x0
	s_load_b32 s31, s[2:3], s4 offset:0x0
	s_wait_kmcnt 0x0
	s_cmp_ge_i32 s35, s31
	s_cbranch_scc1 .LBB96_88
; %bb.1:
	s_clause 0x1
	s_load_b32 s34, s[0:1], 0x90
	s_load_b64 s[6:7], s[0:1], 0x30
	s_wait_kmcnt 0x0
	s_abs_i32 s5, s34
	s_abs_i32 s2, s6
	s_delay_alu instid0(SALU_CYCLE_1) | instskip(SKIP_1) | instid1(SALU_CYCLE_2)
	s_cvt_f32_u32 s3, s2
	s_sub_co_i32 s4, 0, s2
	v_rcp_iflag_f32_e32 v1, s3
	s_delay_alu instid0(TRANS32_DEP_1) | instskip(SKIP_2) | instid1(SALU_CYCLE_2)
	v_readfirstlane_b32 s3, v1
	s_mul_f32 s3, s3, 0x4f7ffffe
	s_wait_alu 0xfffe
	s_cvt_u32_f32 s3, s3
	s_wait_alu 0xfffe
	s_delay_alu instid0(SALU_CYCLE_2) | instskip(NEXT) | instid1(SALU_CYCLE_1)
	s_mul_i32 s4, s4, s3
	s_mul_hi_u32 s4, s3, s4
	s_delay_alu instid0(SALU_CYCLE_1)
	s_add_co_i32 s3, s3, s4
	s_xor_b32 s4, s34, s6
	s_wait_alu 0xfffe
	s_mul_hi_u32 s3, s5, s3
	s_ashr_i32 s4, s4, 31
	s_wait_alu 0xfffe
	s_mul_i32 s8, s3, s2
	s_delay_alu instid0(SALU_CYCLE_1)
	s_sub_co_i32 s5, s5, s8
	s_add_co_i32 s8, s3, 1
	s_sub_co_i32 s9, s5, s2
	s_cmp_ge_u32 s5, s2
	s_cselect_b32 s3, s8, s3
	s_cselect_b32 s5, s9, s5
	s_wait_alu 0xfffe
	s_add_co_i32 s8, s3, 1
	s_cmp_ge_u32 s5, s2
	s_mov_b32 s5, 0
	s_cselect_b32 s2, s8, s3
	s_load_b64 s[8:9], s[0:1], 0x50
	s_xor_b32 s2, s2, s4
	s_mov_b32 s14, s5
	s_wait_alu 0xfffe
	s_sub_co_i32 s10, s2, s4
	s_abs_i32 s4, ttmp9
	s_abs_i32 s12, s10
	s_delay_alu instid0(SALU_CYCLE_1) | instskip(SKIP_2) | instid1(SALU_CYCLE_1)
	s_cvt_f32_u32 s2, s12
	s_sub_co_i32 s3, 0, s12
	s_wait_alu 0xfffe
	v_rcp_iflag_f32_e32 v1, s2
	s_delay_alu instid0(TRANS32_DEP_1) | instskip(SKIP_2) | instid1(SALU_CYCLE_2)
	v_readfirstlane_b32 s2, v1
	s_mul_f32 s2, s2, 0x4f7ffffe
	s_wait_alu 0xfffe
	s_cvt_u32_f32 s2, s2
	s_wait_alu 0xfffe
	s_delay_alu instid0(SALU_CYCLE_2)
	s_mul_i32 s3, s3, s2
	s_wait_alu 0xfffe
	s_mul_hi_u32 s3, s2, s3
	s_wait_alu 0xfffe
	s_add_co_i32 s2, s2, s3
	s_mov_b32 s3, s5
	s_wait_kmcnt 0x0
	s_cmp_eq_u64 s[8:9], 0
	s_cbranch_scc1 .LBB96_3
; %bb.2:
	s_mov_b32 s14, ttmp9
	s_ashr_i32 s15, ttmp9, 31
	s_delay_alu instid0(SALU_CYCLE_1) | instskip(NEXT) | instid1(SALU_CYCLE_1)
	s_lshl_b64 s[14:15], s[14:15], 2
	s_add_nc_u64 s[8:9], s[8:9], s[14:15]
	s_load_b32 s14, s[8:9], 0x0
.LBB96_3:
	s_load_b96 s[16:18], s[0:1], 0x58
	s_mul_u64 s[2:3], s[4:5], s[2:3]
	v_lshrrev_b32_e32 v31, 1, v0
	v_and_b32_e32 v32, 1, v0
	v_cmp_gt_u32_e64 s2, 32, v0
	v_lshlrev_b32_e32 v36, 3, v0
	s_ashr_i32 s5, ttmp9, 31
	s_ashr_i32 s13, s10, 31
	s_lshl_b32 s20, ttmp9, 7
	s_wait_alu 0xfffe
	s_and_saveexec_b32 s8, s2
	s_cbranch_execz .LBB96_5
; %bb.4:
	s_load_b64 s[10:11], s[0:1], 0x18
	s_wait_kmcnt 0x0
	s_mul_i32 s22, s16, s33
	s_ashr_i32 s21, s20, 31
	s_ashr_i32 s23, s22, 31
	v_lshlrev_b32_e32 v3, 3, v31
	s_lshl_b64 s[22:23], s[22:23], 1
	s_delay_alu instid0(VALU_DEP_1) | instskip(SKIP_2) | instid1(SALU_CYCLE_1)
	v_lshl_add_u32 v3, v32, 7, v3
	s_add_nc_u64 s[10:11], s[10:11], s[22:23]
	s_lshl_b64 s[22:23], s[20:21], 1
	s_add_nc_u64 s[10:11], s[10:11], s[22:23]
	global_load_b64 v[1:2], v36, s[10:11]
	s_wait_loadcnt 0x0
	ds_store_b64 v3, v[1:2]
.LBB96_5:
	s_or_b32 exec_lo, exec_lo, s8
	s_load_b128 s[8:11], s[0:1], 0x78
	s_mul_i32 s15, s3, s12
	s_xor_b32 s5, s5, s13
	s_sub_co_i32 s4, s4, s15
	s_add_co_i32 s13, s3, 1
	s_sub_co_i32 s15, s4, s12
	s_cmp_ge_u32 s4, s12
	s_mov_b32 s24, -1
	s_cselect_b32 s3, s13, s3
	s_cselect_b32 s4, s15, s4
	s_wait_alu 0xfffe
	s_add_co_i32 s13, s3, 1
	s_cmp_ge_u32 s4, s12
                                        ; implicit-def: $sgpr21
	s_cselect_b32 s4, s13, s3
	s_load_b32 s3, s[0:1], 0x88
	s_xor_b32 s4, s4, s5
	s_add_co_i32 s19, s31, -1
	s_sub_co_i32 s15, s4, s5
	s_wait_dscnt 0x0
	s_barrier_signal -1
	s_wait_kmcnt 0x0
	s_abs_i32 s16, s11
	s_barrier_wait -1
	s_cvt_f32_u32 s12, s16
	global_inv scope:SCOPE_SE
	v_rcp_iflag_f32_e32 v1, s12
	s_delay_alu instid0(TRANS32_DEP_1) | instskip(SKIP_1) | instid1(SALU_CYCLE_3)
	v_readfirstlane_b32 s12, v1
	s_mul_f32 s4, s12, 0x4f7ffffe
	s_cvt_u32_f32 s12, s4
	s_sub_co_i32 s4, 0, s16
	s_wait_alu 0xfffe
	s_delay_alu instid0(SALU_CYCLE_1)
	s_mul_i32 s5, s4, s12
	s_abs_i32 s4, s19
	s_mul_hi_u32 s13, s12, s5
	s_mov_b32 s5, 0
	s_wait_alu 0xfffe
	s_add_co_i32 s22, s12, s13
	s_cmp_lt_i32 s3, 0
	s_mov_b32 s23, s5
	s_cbranch_scc0 .LBB96_7
; %bb.6:
	s_mul_i32 s6, s8, s6
	s_mov_b32 s24, s5
	s_add_co_i32 s6, s15, s6
	s_delay_alu instid0(SALU_CYCLE_1) | instskip(NEXT) | instid1(SALU_CYCLE_1)
	s_mul_i32 s6, s6, s3
	s_sub_co_i32 s21, 1, s6
.LBB96_7:
	s_mul_u64 s[12:13], s[4:5], s[22:23]
	s_ashr_i32 s5, s19, 31
	s_and_not1_b32 vcc_lo, exec_lo, s24
	s_ashr_i32 s11, s11, 31
	s_cbranch_vccnz .LBB96_9
; %bb.8:
	s_mul_i32 s6, s34, s8
	s_delay_alu instid0(SALU_CYCLE_1) | instskip(NEXT) | instid1(SALU_CYCLE_1)
	s_add_co_i32 s6, s6, ttmp9
	s_mul_i32 s3, s6, s3
	s_wait_alu 0xfffe
	s_add_co_i32 s21, s3, 1
.LBB96_9:
	s_clause 0x2
	s_load_b32 s3, s[0:1], 0x48
	s_load_b64 s[24:25], s[0:1], 0x38
	s_load_b32 s8, s[0:1], 0x98
	s_mul_i32 s6, s13, s16
	s_xor_b32 s5, s5, s11
	s_sub_co_i32 s4, s4, s6
	s_add_co_i32 s12, s13, 1
	v_lshrrev_b32_e32 v33, 5, v0
	v_mov_b32_e32 v39, 0xff7fffff
	v_mbcnt_lo_u32_b32 v38, -1, 0
	s_mul_i32 s18, s15, s18
	s_delay_alu instid0(VALU_DEP_3)
	v_lshl_add_u32 v34, v33, 4, s35
	s_wait_kmcnt 0x0
	s_mul_i32 s26, s3, s33
	s_sub_co_i32 s3, s4, s16
	s_ashr_i32 s27, s26, 31
	s_cmp_ge_u32 s4, s16
	s_wait_alu 0xfffe
	s_cselect_b32 s6, s12, s13
	s_cselect_b32 s3, s3, s4
	s_add_co_i32 s4, s6, 1
	s_wait_alu 0xfffe
	s_cmp_ge_u32 s3, s16
	s_cselect_b32 s3, s4, s6
	s_add_co_i32 s4, s31, 15
	s_lshl_b32 s38, s30, 5
	s_ashr_i32 s6, s4, 31
	v_or_b32_e32 v35, s38, v33
	s_lshr_b32 s6, s6, 28
	s_delay_alu instid0(SALU_CYCLE_1)
	s_add_co_i32 s4, s4, s6
	s_add_co_i32 s6, s38, 32
	s_ashr_i32 s36, s4, 4
	s_wait_alu 0xfffe
	s_xor_b32 s4, s3, s5
	s_min_i32 s23, s6, s36
	v_lshlrev_b32_e32 v37, 2, v35
	v_cmp_gt_i32_e64 s3, s23, v35
	s_sub_co_i32 s37, s4, s5
	s_and_saveexec_b32 s12, s3
	s_cbranch_execz .LBB96_21
; %bb.10:
	s_ashr_i32 s19, s18, 31
	s_sub_co_i32 s13, s37, s9
	s_lshl_b64 s[28:29], s[18:19], 1
	s_cmp_neq_f32 s14, 0
	s_load_b64 s[40:41], s[0:1], 0x20
	v_bfe_u32 v40, v0, 1, 4
	v_dual_mov_b32 v47, 0xff7fffff :: v_dual_and_b32 v2, 8, v36
	s_cselect_b32 vcc_lo, -1, 0
	s_abs_i32 s15, s10
	s_delay_alu instid0(VALU_DEP_2)
	v_lshlrev_b32_e32 v3, 4, v40
	s_cvt_f32_u32 s4, s15
	v_lshlrev_b32_e32 v5, 2, v40
	s_lshl_b64 s[42:43], s[26:27], 2
	v_subrev_nc_u32_e32 v4, s31, v40
	v_rcp_iflag_f32_e32 v1, s4
	s_add_nc_u64 s[42:43], s[24:25], s[42:43]
	v_lshl_or_b32 v5, v33, 6, v5
	s_sub_co_i32 s6, 0, s15
	v_cmp_eq_u32_e64 s4, 0, v32
	v_lshlrev_b32_e32 v41, 7, v32
	v_lshl_add_u32 v44, v33, 4, s35
	v_add_nc_u32_e32 v45, 1, v4
	v_dual_mov_b32 v49, v35 :: v_dual_add_nc_u32 v46, 0x120, v5
	s_delay_alu instid0(TRANS32_DEP_1)
	v_readfirstlane_b32 s5, v1
	s_wait_kmcnt 0x0
	s_add_nc_u64 s[28:29], s[40:41], s[28:29]
	v_xor_b32_e32 v48, 1, v38
	v_add_co_u32 v1, s28, s28, v3
	s_mul_f32 s5, s5, 0x4f7ffffe
	v_add_co_ci_u32_e64 v3, null, s29, 0, s28
	v_mov_b32_e32 v39, 0xff7fffff
	s_wait_alu 0xfffe
	s_cvt_u32_f32 s29, s5
	v_add_co_u32 v42, s5, v1, v2
	s_wait_alu 0xf1ff
	v_add_co_ci_u32_e64 v43, null, 0, v3, s5
	v_add_co_u32 v1, s5, s42, v37
	s_wait_alu 0xfffe
	s_mul_i32 s6, s6, s29
	v_add_co_ci_u32_e64 v2, null, s43, 0, s5
	s_mul_hi_u32 s5, s29, s6
	s_mov_b32 s19, 0
	s_mov_b32 s28, s17
	s_wait_alu 0xfffe
	s_add_co_i32 s29, s29, s5
	s_branch .LBB96_13
.LBB96_11:                              ;   in Loop: Header=BB96_13 Depth=1
	s_wait_alu 0xfffe
	s_or_b32 exec_lo, exec_lo, s39
.LBB96_12:                              ;   in Loop: Header=BB96_13 Depth=1
	s_wait_alu 0xfffe
	s_or_b32 exec_lo, exec_lo, s6
	v_add_nc_u32_e32 v49, 4, v49
	v_add_co_u32 v1, s6, v1, 16
	s_wait_alu 0xf1ff
	v_add_co_ci_u32_e64 v2, null, 0, v2, s6
	s_delay_alu instid0(VALU_DEP_3) | instskip(SKIP_3) | instid1(SALU_CYCLE_1)
	v_cmp_le_i32_e64 s5, s23, v49
	v_add_nc_u32_e32 v44, 64, v44
	v_add_nc_u32_e32 v46, 0x100, v46
	s_or_b32 s19, s5, s19
	s_and_not1_b32 exec_lo, exec_lo, s19
	s_cbranch_execz .LBB96_20
.LBB96_13:                              ; =>This Inner Loop Header: Depth=1
	v_sub_nc_u32_e32 v3, 0, v44
	s_delay_alu instid0(VALU_DEP_1) | instskip(SKIP_1) | instid1(VALU_DEP_1)
	v_max_i32_e32 v3, v44, v3
	s_wait_dscnt 0x0
	v_mul_hi_u32 v4, v3, s22
	s_delay_alu instid0(VALU_DEP_1) | instskip(NEXT) | instid1(VALU_DEP_1)
	v_mul_lo_u32 v5, v4, s16
	v_sub_nc_u32_e32 v3, v3, v5
	v_add_nc_u32_e32 v5, 1, v4
	s_delay_alu instid0(VALU_DEP_2) | instskip(SKIP_2) | instid1(VALU_DEP_1)
	v_subrev_nc_u32_e32 v6, s16, v3
	v_cmp_le_u32_e64 s5, s16, v3
	s_wait_alu 0xf1ff
	v_cndmask_b32_e64 v4, v4, v5, s5
	s_delay_alu instid0(VALU_DEP_3) | instskip(SKIP_1) | instid1(VALU_DEP_3)
	v_cndmask_b32_e64 v3, v3, v6, s5
	v_ashrrev_i32_e32 v5, 31, v44
	v_add_nc_u32_e32 v6, 1, v4
	s_delay_alu instid0(VALU_DEP_3) | instskip(NEXT) | instid1(VALU_DEP_3)
	v_cmp_le_u32_e64 s5, s16, v3
	v_xor_b32_e32 v5, s11, v5
	s_wait_alu 0xf1ff
	s_delay_alu instid0(VALU_DEP_2) | instskip(NEXT) | instid1(VALU_DEP_1)
	v_cndmask_b32_e64 v3, v4, v6, s5
	v_xor_b32_e32 v3, v3, v5
	s_delay_alu instid0(VALU_DEP_1) | instskip(NEXT) | instid1(VALU_DEP_1)
	v_sub_nc_u32_e32 v3, v3, v5
	v_add_nc_u32_e32 v4, s21, v3
	v_cmp_ge_i32_e64 s6, s13, v3
	s_delay_alu instid0(VALU_DEP_2) | instskip(NEXT) | instid1(VALU_DEP_1)
	v_sub_nc_u32_e32 v5, 0, v4
	v_max_i32_e32 v5, v4, v5
	v_ashrrev_i32_e32 v4, 31, v4
	s_wait_alu 0xfffe
	s_delay_alu instid0(VALU_DEP_2) | instskip(NEXT) | instid1(VALU_DEP_1)
	v_mul_hi_u32 v6, v5, s29
	v_mul_lo_u32 v6, v6, s15
	s_delay_alu instid0(VALU_DEP_1) | instskip(NEXT) | instid1(VALU_DEP_1)
	v_sub_nc_u32_e32 v5, v5, v6
	v_subrev_nc_u32_e32 v6, s15, v5
	v_cmp_le_u32_e64 s5, s15, v5
	s_wait_alu 0xf1ff
	s_delay_alu instid0(VALU_DEP_1) | instskip(NEXT) | instid1(VALU_DEP_1)
	v_cndmask_b32_e64 v5, v5, v6, s5
	v_subrev_nc_u32_e32 v6, s15, v5
	v_cmp_le_u32_e64 s5, s15, v5
	s_wait_alu 0xf1ff
	s_delay_alu instid0(VALU_DEP_1) | instskip(NEXT) | instid1(VALU_DEP_1)
	v_cndmask_b32_e64 v5, v5, v6, s5
	v_xor_b32_e32 v5, v5, v4
	s_delay_alu instid0(VALU_DEP_1) | instskip(NEXT) | instid1(VALU_DEP_1)
	v_sub_nc_u32_e32 v4, v5, v4
	v_cmp_ne_u32_e64 s5, 0, v4
	s_and_b32 s5, s5, s6
	s_wait_alu 0xfffe
	s_and_saveexec_b32 s6, s5
	s_wait_alu 0xfffe
	s_xor_b32 s5, exec_lo, s6
	s_cbranch_execz .LBB96_17
; %bb.14:                               ;   in Loop: Header=BB96_13 Depth=1
	s_and_saveexec_b32 s6, s4
; %bb.15:                               ;   in Loop: Header=BB96_13 Depth=1
	ds_store_b32 v46, v47
; %bb.16:                               ;   in Loop: Header=BB96_13 Depth=1
	s_wait_alu 0xfffe
	s_or_b32 exec_lo, exec_lo, s6
.LBB96_17:                              ;   in Loop: Header=BB96_13 Depth=1
	s_wait_alu 0xfffe
	s_and_not1_saveexec_b32 s6, s5
	s_cbranch_execz .LBB96_12
; %bb.18:                               ;   in Loop: Header=BB96_13 Depth=1
	global_load_b32 v3, v[1:2], off
	s_wait_loadcnt 0x0
	v_mad_co_i64_i32 v[3:4], null, v3, s28, 0
	s_delay_alu instid0(VALU_DEP_1) | instskip(NEXT) | instid1(VALU_DEP_1)
	v_lshlrev_b64_e32 v[3:4], 1, v[3:4]
	v_add_co_u32 v3, s5, v42, v3
	s_wait_alu 0xf1ff
	s_delay_alu instid0(VALU_DEP_2)
	v_add_co_ci_u32_e64 v4, null, v43, v4, s5
	v_cmp_gt_i32_e64 s5, 32, v48
	s_clause 0x9
	global_load_b64 v[51:52], v[3:4], off
	global_load_b64 v[58:59], v[3:4], off offset:256
	global_load_b64 v[29:30], v[3:4], off offset:512
	global_load_b64 v[27:28], v[3:4], off offset:768
	global_load_b64 v[25:26], v[3:4], off offset:1024
	global_load_b64 v[23:24], v[3:4], off offset:1280
	global_load_b64 v[21:22], v[3:4], off offset:1536
	global_load_b64 v[19:20], v[3:4], off offset:1792
	global_load_b64 v[15:16], v[3:4], off offset:2048
	global_load_b64 v[17:18], v[3:4], off offset:2304
	ds_load_b64 v[5:6], v41
	s_wait_dscnt 0x0
	v_lshrrev_b32_e32 v53, 16, v5
	v_and_b32_e32 v50, 0xffff, v5
	v_lshrrev_b32_e32 v55, 16, v6
	v_and_b32_e32 v54, 0xffff, v6
	s_clause 0x5
	global_load_b64 v[13:14], v[3:4], off offset:2560
	global_load_b64 v[11:12], v[3:4], off offset:2816
	;; [unrolled: 1-line block ×6, first 2 shown]
	;;#ASMSTART
	v_cvt_f32_f16 v50, v50;
	;;#ASMEND
	s_wait_loadcnt 0xf
	v_and_b32_e32 v56, 0xffff, v51
	v_lshrrev_b32_e32 v57, 16, v51
	;;#ASMSTART
	v_cvt_f32_f16 v51, v53;
	;;#ASMEND
	v_lshrrev_b32_e32 v60, 16, v52
	v_and_b32_e32 v61, 0xffff, v52
	;;#ASMSTART
	v_cvt_f32_f16 v52, v56;
	;;#ASMEND
	;;#ASMSTART
	v_cvt_f32_f16 v53, v57;
	;;#ASMEND
	;; [unrolled: 3-line block ×6, first 2 shown]
	ds_load_b64 v[60:61], v41 offset:8
	s_wait_loadcnt 0xe
	v_lshrrev_b32_e32 v62, 16, v58
	v_and_b32_e32 v63, 0xffff, v58
	v_lshrrev_b32_e32 v65, 16, v59
	v_and_b32_e32 v64, 0xffff, v59
	s_wait_loadcnt 0xd
	v_lshrrev_b32_e32 v68, 16, v29
	v_lshrrev_b32_e32 v72, 16, v30
	v_and_b32_e32 v73, 0xffff, v30
	s_wait_loadcnt 0xc
	v_lshrrev_b32_e32 v75, 16, v27
	v_lshrrev_b32_e32 v79, 16, v28
	s_wait_loadcnt 0xb
	v_lshrrev_b32_e32 v81, 16, v25
	v_lshrrev_b32_e32 v85, 16, v26
	;; [unrolled: 3-line block ×3, first 2 shown]
	v_and_b32_e32 v24, 0xffff, v24
	s_wait_loadcnt 0x9
	v_lshrrev_b32_e32 v93, 16, v21
	v_lshrrev_b32_e32 v97, 16, v22
	v_and_b32_e32 v22, 0xffff, v22
	s_wait_loadcnt 0x8
	v_lshrrev_b32_e32 v99, 16, v19
	v_lshrrev_b32_e32 v103, 16, v20
	s_wait_dscnt 0x0
	v_and_b32_e32 v58, 0xffff, v60
	v_lshrrev_b32_e32 v60, 16, v60
	v_lshrrev_b32_e32 v66, 16, v61
	v_and_b32_e32 v61, 0xffff, v61
	;;#ASMSTART
	v_cvt_f32_f16 v59, v58;
	;;#ASMEND
	;;#ASMSTART
	v_cvt_f32_f16 v58, v60;
	;;#ASMEND
	;; [unrolled: 3-line block ×8, first 2 shown]
	ds_load_b64 v[66:67], v41 offset:16
	v_dual_mul_f32 v58, v58, v60 :: v_dual_and_b32 v69, 0xffff, v29
	v_dual_mul_f32 v60, v61, v64 :: v_dual_mul_f32 v59, v59, v63
	v_mul_f32_e32 v61, v62, v65
	s_delay_alu instid0(VALU_DEP_3) | instskip(SKIP_1) | instid1(VALU_DEP_4)
	v_fmac_f32_e32 v58, v51, v53
	v_and_b32_e32 v20, 0xffff, v20
	v_fmac_f32_e32 v60, v54, v56
	v_fmac_f32_e32 v59, v50, v52
	;; [unrolled: 1-line block ×3, first 2 shown]
	s_wait_loadcnt 0x7
	v_lshrrev_b32_e32 v105, 16, v15
	v_lshrrev_b32_e32 v109, 16, v16
	v_and_b32_e32 v16, 0xffff, v16
	s_wait_loadcnt 0x6
	v_lshrrev_b32_e32 v111, 16, v17
	v_and_b32_e32 v110, 0xffff, v17
	v_lshrrev_b32_e32 v115, 16, v18
	v_and_b32_e32 v114, 0xffff, v18
	s_wait_loadcnt 0x5
	v_lshrrev_b32_e32 v117, 16, v13
	v_lshrrev_b32_e32 v121, 16, v14
	s_wait_dscnt 0x0
	v_and_b32_e32 v29, 0xffff, v66
	v_lshrrev_b32_e32 v66, 16, v66
	v_lshrrev_b32_e32 v74, 16, v67
	;;#ASMSTART
	v_cvt_f32_f16 v70, v29;
	;;#ASMEND
	;;#ASMSTART
	v_cvt_f32_f16 v29, v66;
	;;#ASMEND
	;; [unrolled: 3-line block ×4, first 2 shown]
	v_dual_fmac_f32 v58, v29, v30 :: v_dual_and_b32 v67, 0xffff, v67
	;;#ASMSTART
	v_cvt_f32_f16 v66, v67;
	;;#ASMEND
	;;#ASMSTART
	v_cvt_f32_f16 v67, v74;
	;;#ASMEND
	;; [unrolled: 3-line block ×4, first 2 shown]
	ds_load_b64 v[72:73], v41 offset:24
	v_fmac_f32_e32 v59, v70, v71
	v_dual_fmac_f32 v60, v66, v68 :: v_dual_and_b32 v27, 0xffff, v27
	v_dual_fmac_f32 v61, v67, v69 :: v_dual_and_b32 v14, 0xffff, v14
	s_wait_loadcnt 0x4
	v_lshrrev_b32_e32 v123, 16, v11
	v_lshrrev_b32_e32 v127, 16, v12
	v_and_b32_e32 v12, 0xffff, v12
	s_wait_loadcnt 0x3
	v_lshrrev_b32_e32 v128, 16, v9
	v_lshrrev_b32_e32 v129, 16, v10
	v_and_b32_e32 v10, 0xffff, v10
	s_wait_loadcnt 0x2
	v_lshrrev_b32_e32 v130, 16, v7
	s_wait_loadcnt 0x1
	v_lshrrev_b32_e32 v29, 16, v5
	v_lshrrev_b32_e32 v62, 16, v8
	v_and_b32_e32 v8, 0xffff, v8
	s_wait_dscnt 0x0
	v_and_b32_e32 v74, 0xffff, v72
	v_lshrrev_b32_e32 v76, 16, v72
	v_lshrrev_b32_e32 v77, 16, v73
	v_and_b32_e32 v78, 0xffff, v73
	;;#ASMSTART
	v_cvt_f32_f16 v72, v74;
	;;#ASMEND
	;;#ASMSTART
	v_cvt_f32_f16 v73, v76;
	;;#ASMEND
	;;#ASMSTART
	v_cvt_f32_f16 v74, v27;
	;;#ASMEND
	v_dual_fmac_f32 v59, v72, v74 :: v_dual_and_b32 v28, 0xffff, v28
	;;#ASMSTART
	v_cvt_f32_f16 v75, v75;
	;;#ASMEND
	;;#ASMSTART
	v_cvt_f32_f16 v76, v78;
	;;#ASMEND
	;; [unrolled: 3-line block ×5, first 2 shown]
	ds_load_b64 v[27:28], v41 offset:32
	v_fmac_f32_e32 v61, v77, v79
	v_dual_fmac_f32 v58, v73, v75 :: v_dual_and_b32 v25, 0xffff, v25
	v_fmac_f32_e32 v60, v76, v78
	s_wait_dscnt 0x0
	v_and_b32_e32 v80, 0xffff, v27
	v_lshrrev_b32_e32 v82, 16, v27
	v_lshrrev_b32_e32 v83, 16, v28
	v_and_b32_e32 v84, 0xffff, v28
	;;#ASMSTART
	v_cvt_f32_f16 v27, v80;
	;;#ASMEND
	;;#ASMSTART
	v_cvt_f32_f16 v28, v82;
	;;#ASMEND
	;; [unrolled: 3-line block ×3, first 2 shown]
	v_dual_fmac_f32 v59, v27, v80 :: v_dual_and_b32 v26, 0xffff, v26
	;;#ASMSTART
	v_cvt_f32_f16 v81, v81;
	;;#ASMEND
	;;#ASMSTART
	v_cvt_f32_f16 v82, v84;
	;;#ASMEND
	;; [unrolled: 3-line block ×5, first 2 shown]
	ds_load_b64 v[25:26], v41 offset:40
	v_dual_fmac_f32 v60, v82, v84 :: v_dual_and_b32 v23, 0xffff, v23
	v_fmac_f32_e32 v61, v83, v85
	v_fmac_f32_e32 v58, v28, v81
	s_wait_dscnt 0x0
	v_and_b32_e32 v86, 0xffff, v25
	v_lshrrev_b32_e32 v88, 16, v25
	v_lshrrev_b32_e32 v89, 16, v26
	v_and_b32_e32 v90, 0xffff, v26
	;;#ASMSTART
	v_cvt_f32_f16 v25, v86;
	;;#ASMEND
	;;#ASMSTART
	v_cvt_f32_f16 v26, v88;
	;;#ASMEND
	;; [unrolled: 3-line block ×8, first 2 shown]
	ds_load_b64 v[23:24], v41 offset:48
	v_dual_fmac_f32 v58, v26, v87 :: v_dual_and_b32 v21, 0xffff, v21
	v_dual_fmac_f32 v60, v88, v90 :: v_dual_and_b32 v19, 0xffff, v19
	v_fmac_f32_e32 v59, v25, v86
	v_fmac_f32_e32 v61, v89, v91
	s_wait_dscnt 0x0
	v_and_b32_e32 v92, 0xffff, v23
	v_lshrrev_b32_e32 v94, 16, v23
	v_lshrrev_b32_e32 v95, 16, v24
	v_and_b32_e32 v96, 0xffff, v24
	;;#ASMSTART
	v_cvt_f32_f16 v23, v92;
	;;#ASMEND
	;;#ASMSTART
	v_cvt_f32_f16 v24, v94;
	;;#ASMEND
	;; [unrolled: 3-line block ×8, first 2 shown]
	ds_load_b64 v[21:22], v41 offset:56
	v_dual_fmac_f32 v58, v24, v93 :: v_dual_and_b32 v15, 0xffff, v15
	v_fmac_f32_e32 v60, v94, v96
	v_fmac_f32_e32 v59, v23, v92
	;; [unrolled: 1-line block ×3, first 2 shown]
	s_wait_dscnt 0x0
	v_and_b32_e32 v98, 0xffff, v21
	v_lshrrev_b32_e32 v100, 16, v21
	v_lshrrev_b32_e32 v101, 16, v22
	v_and_b32_e32 v102, 0xffff, v22
	;;#ASMSTART
	v_cvt_f32_f16 v21, v98;
	;;#ASMEND
	;;#ASMSTART
	v_cvt_f32_f16 v22, v100;
	;;#ASMEND
	;; [unrolled: 3-line block ×8, first 2 shown]
	ds_load_b64 v[19:20], v41 offset:64
	v_dual_fmac_f32 v58, v22, v99 :: v_dual_and_b32 v13, 0xffff, v13
	v_dual_fmac_f32 v60, v100, v102 :: v_dual_and_b32 v11, 0xffff, v11
	v_fmac_f32_e32 v59, v21, v98
	v_fmac_f32_e32 v61, v101, v103
	v_lshrrev_b32_e32 v21, 16, v6
	v_and_b32_e32 v6, 0xffff, v6
	s_wait_loadcnt 0x0
	v_lshrrev_b32_e32 v22, 16, v3
	s_wait_dscnt 0x0
	v_and_b32_e32 v104, 0xffff, v19
	v_lshrrev_b32_e32 v106, 16, v19
	v_lshrrev_b32_e32 v107, 16, v20
	v_and_b32_e32 v108, 0xffff, v20
	;;#ASMSTART
	v_cvt_f32_f16 v19, v104;
	;;#ASMEND
	;;#ASMSTART
	v_cvt_f32_f16 v20, v106;
	;;#ASMEND
	;; [unrolled: 3-line block ×8, first 2 shown]
	ds_load_b64 v[15:16], v41 offset:72
	v_dual_fmac_f32 v60, v106, v108 :: v_dual_and_b32 v9, 0xffff, v9
	v_dual_fmac_f32 v58, v20, v105 :: v_dual_and_b32 v7, 0xffff, v7
	v_fmac_f32_e32 v59, v19, v104
	v_fmac_f32_e32 v61, v107, v109
	s_wait_dscnt 0x0
	v_and_b32_e32 v17, 0xffff, v15
	v_lshrrev_b32_e32 v15, 16, v15
	v_lshrrev_b32_e32 v113, 16, v16
	v_and_b32_e32 v16, 0xffff, v16
	;;#ASMSTART
	v_cvt_f32_f16 v17, v17;
	;;#ASMEND
	;;#ASMSTART
	v_cvt_f32_f16 v18, v15;
	;;#ASMEND
	;; [unrolled: 3-line block ×8, first 2 shown]
	ds_load_b64 v[15:16], v41 offset:80
	v_dual_fmac_f32 v58, v18, v111 :: v_dual_and_b32 v5, 0xffff, v5
	v_fmac_f32_e32 v60, v112, v114
	v_fmac_f32_e32 v59, v17, v110
	;; [unrolled: 1-line block ×3, first 2 shown]
	s_wait_dscnt 0x0
	v_and_b32_e32 v116, 0xffff, v15
	v_lshrrev_b32_e32 v118, 16, v15
	v_lshrrev_b32_e32 v119, 16, v16
	v_and_b32_e32 v120, 0xffff, v16
	;;#ASMSTART
	v_cvt_f32_f16 v15, v116;
	;;#ASMEND
	;;#ASMSTART
	v_cvt_f32_f16 v16, v118;
	;;#ASMEND
	;; [unrolled: 3-line block ×8, first 2 shown]
	ds_load_b64 v[13:14], v41 offset:88
	v_dual_fmac_f32 v58, v16, v117 :: v_dual_fmac_f32 v59, v15, v116
	v_dual_fmac_f32 v60, v118, v120 :: v_dual_fmac_f32 v61, v119, v121
	s_wait_dscnt 0x0
	v_and_b32_e32 v122, 0xffff, v13
	v_lshrrev_b32_e32 v124, 16, v13
	v_lshrrev_b32_e32 v125, 16, v14
	v_and_b32_e32 v126, 0xffff, v14
	;;#ASMSTART
	v_cvt_f32_f16 v13, v122;
	;;#ASMEND
	;;#ASMSTART
	v_cvt_f32_f16 v14, v124;
	;;#ASMEND
	;; [unrolled: 3-line block ×8, first 2 shown]
	ds_load_b64 v[11:12], v41 offset:96
	v_dual_fmac_f32 v58, v14, v123 :: v_dual_fmac_f32 v59, v13, v122
	v_dual_fmac_f32 v60, v124, v126 :: v_dual_and_b32 v13, 0xffff, v3
	v_fmac_f32_e32 v61, v125, v127
	s_wait_dscnt 0x0
	v_and_b32_e32 v50, 0xffff, v11
	v_lshrrev_b32_e32 v51, 16, v11
	v_lshrrev_b32_e32 v53, 16, v12
	v_and_b32_e32 v52, 0xffff, v12
	;;#ASMSTART
	v_cvt_f32_f16 v11, v50;
	;;#ASMEND
	;;#ASMSTART
	v_cvt_f32_f16 v12, v51;
	;;#ASMEND
	;; [unrolled: 3-line block ×8, first 2 shown]
	ds_load_b64 v[9:10], v41 offset:104
	v_dual_fmac_f32 v59, v11, v50 :: v_dual_fmac_f32 v58, v12, v51
	v_fmac_f32_e32 v61, v53, v55
	v_lshrrev_b32_e32 v11, 16, v4
	s_wait_dscnt 0x0
	v_and_b32_e32 v23, 0xffff, v9
	v_lshrrev_b32_e32 v25, 16, v9
	v_lshrrev_b32_e32 v26, 16, v10
	v_and_b32_e32 v27, 0xffff, v10
	;;#ASMSTART
	v_cvt_f32_f16 v9, v23;
	;;#ASMEND
	;;#ASMSTART
	v_cvt_f32_f16 v10, v25;
	;;#ASMEND
	;; [unrolled: 3-line block ×8, first 2 shown]
	ds_load_b64 v[7:8], v41 offset:112
	v_fmac_f32_e32 v59, v9, v23
	v_and_b32_e32 v9, 0xffff, v4
	v_fmac_f32_e32 v58, v10, v24
	v_fmac_f32_e32 v61, v26, v28
	s_wait_dscnt 0x0
	v_and_b32_e32 v15, 0xffff, v7
	v_lshrrev_b32_e32 v16, 16, v7
	v_lshrrev_b32_e32 v18, 16, v8
	v_and_b32_e32 v17, 0xffff, v8
	;;#ASMSTART
	v_cvt_f32_f16 v7, v15;
	;;#ASMEND
	;;#ASMSTART
	v_cvt_f32_f16 v8, v16;
	;;#ASMEND
	;;#ASMSTART
	v_cvt_f32_f16 v15, v5;
	;;#ASMEND
	;;#ASMSTART
	v_cvt_f32_f16 v16, v29;
	;;#ASMEND
	;;#ASMSTART
	v_cvt_f32_f16 v17, v17;
	;;#ASMEND
	;;#ASMSTART
	v_cvt_f32_f16 v18, v18;
	;;#ASMEND
	;;#ASMSTART
	v_cvt_f32_f16 v19, v6;
	;;#ASMEND
	;;#ASMSTART
	v_cvt_f32_f16 v20, v21;
	;;#ASMEND
	ds_load_b64 v[5:6], v41 offset:120
	v_dual_fmac_f32 v60, v52, v54 :: v_dual_fmac_f32 v59, v7, v15
	v_fmac_f32_e32 v58, v8, v16
	v_fmac_f32_e32 v61, v18, v20
	s_wait_dscnt 0x0
	s_delay_alu instid0(VALU_DEP_3)
	v_dual_fmac_f32 v60, v25, v27 :: v_dual_and_b32 v3, 0xffff, v5
	v_lshrrev_b32_e32 v4, 16, v5
	v_lshrrev_b32_e32 v7, 16, v6
	v_and_b32_e32 v8, 0xffff, v6
	;;#ASMSTART
	v_cvt_f32_f16 v3, v3;
	;;#ASMEND
	v_fmac_f32_e32 v60, v17, v19
	;;#ASMSTART
	v_cvt_f32_f16 v4, v4;
	;;#ASMEND
	;;#ASMSTART
	v_cvt_f32_f16 v5, v13;
	;;#ASMEND
	;;#ASMSTART
	v_cvt_f32_f16 v6, v22;
	;;#ASMEND
	v_dual_fmac_f32 v59, v3, v5 :: v_dual_fmac_f32 v58, v4, v6
	;;#ASMSTART
	v_cvt_f32_f16 v3, v8;
	;;#ASMEND
	;;#ASMSTART
	v_cvt_f32_f16 v4, v7;
	;;#ASMEND
	;; [unrolled: 3-line block ×3, first 2 shown]
	v_fmac_f32_e32 v60, v3, v5
	v_add_f32_e32 v3, v59, v58
	;;#ASMSTART
	v_cvt_f32_f16 v5, v11;
	;;#ASMEND
	v_fmac_f32_e32 v61, v4, v5
	s_wait_alu 0xf1ff
	v_cndmask_b32_e64 v4, v38, v48, s5
	v_add_f32_e32 v3, v3, v60
	s_delay_alu instid0(VALU_DEP_1)
	v_dual_add_f32 v3, v61, v3 :: v_dual_lshlrev_b32 v4, 2, v4
	ds_bpermute_b32 v4, v4, v3
	s_and_saveexec_b32 s39, s4
	s_cbranch_execz .LBB96_11
; %bb.19:                               ;   in Loop: Header=BB96_13 Depth=1
	s_wait_dscnt 0x0
	v_add_f32_e32 v3, v3, v4
	v_add_nc_u32_e32 v5, v45, v44
	s_delay_alu instid0(VALU_DEP_1) | instskip(NEXT) | instid1(VALU_DEP_1)
	v_cvt_f32_i32_e32 v5, v5
	v_mul_f32_e32 v5, s14, v5
	s_delay_alu instid0(VALU_DEP_1) | instskip(NEXT) | instid1(VALU_DEP_1)
	v_dual_cndmask_b32 v4, 0, v5 :: v_dual_max_num_f32 v5, v39, v39
	v_dual_fmac_f32 v4, s7, v3 :: v_dual_add_nc_u32 v3, v40, v44
	s_delay_alu instid0(VALU_DEP_1) | instskip(NEXT) | instid1(VALU_DEP_2)
	v_max_num_f32_e32 v5, v5, v4
	v_cmp_gt_i32_e64 s5, s31, v3
	s_wait_alu 0xf1ff
	s_delay_alu instid0(VALU_DEP_1) | instskip(NEXT) | instid1(VALU_DEP_3)
	v_cndmask_b32_e64 v3, 0, v4, s5
	v_cndmask_b32_e64 v39, v39, v5, s5
	ds_store_b32 v46, v3
	s_branch .LBB96_11
.LBB96_20:
	s_or_b32 exec_lo, exec_lo, s19
.LBB96_21:
	s_wait_alu 0xfffe
	s_or_b32 exec_lo, exec_lo, s12
	v_xor_b32_e32 v1, 16, v38
	v_xor_b32_e32 v2, 8, v38
	s_clause 0x2
	s_load_b128 s[12:15], s[0:1], 0x0
	s_load_b64 s[6:7], s[0:1], 0x10
	s_load_b64 s[28:29], s[0:1], 0x28
	v_and_b32_e32 v9, 31, v0
	v_lshlrev_b32_e32 v7, 2, v33
	v_cmp_gt_i32_e32 vcc_lo, 32, v1
	s_wait_alu 0xfffd
	v_cndmask_b32_e32 v1, v38, v1, vcc_lo
	v_cmp_gt_i32_e32 vcc_lo, 32, v2
	s_wait_alu 0xfffd
	v_dual_max_num_f32 v5, v39, v39 :: v_dual_cndmask_b32 v2, v38, v2
	s_wait_dscnt 0x0
	s_delay_alu instid0(VALU_DEP_1) | instskip(SKIP_4) | instid1(VALU_DEP_1)
	v_lshlrev_b32_e32 v4, 2, v2
	v_lshlrev_b32_e32 v3, 2, v1
	ds_bpermute_b32 v1, v3, v39
	s_wait_dscnt 0x0
	v_max_num_f32_e32 v1, v1, v1
	v_max_num_f32_e32 v1, v5, v1
	v_xor_b32_e32 v5, 4, v38
	ds_bpermute_b32 v2, v4, v1
	v_cmp_gt_i32_e32 vcc_lo, 32, v5
	s_wait_alu 0xfffd
	v_cndmask_b32_e32 v5, v38, v5, vcc_lo
	s_wait_dscnt 0x0
	v_max_num_f32_e32 v2, v2, v2
	s_delay_alu instid0(VALU_DEP_2) | instskip(SKIP_1) | instid1(VALU_DEP_3)
	v_lshlrev_b32_e32 v6, 2, v5
	v_xor_b32_e32 v5, 2, v38
	v_max_num_f32_e32 v1, v1, v2
	s_delay_alu instid0(VALU_DEP_2)
	v_cmp_gt_i32_e32 vcc_lo, 32, v5
	ds_bpermute_b32 v2, v6, v1
	s_wait_alu 0xfffd
	v_cndmask_b32_e32 v5, v38, v5, vcc_lo
	v_cmp_eq_u32_e32 vcc_lo, 0, v9
	s_wait_dscnt 0x0
	v_max_num_f32_e32 v2, v2, v2
	s_delay_alu instid0(VALU_DEP_1)
	v_dual_max_num_f32 v1, v1, v2 :: v_dual_lshlrev_b32 v2, 2, v5
	ds_bpermute_b32 v5, v2, v1
	s_and_saveexec_b32 s0, vcc_lo
	s_cbranch_execz .LBB96_23
; %bb.22:
	s_wait_dscnt 0x0
	v_max_num_f32_e32 v5, v5, v5
	v_max_num_f32_e32 v1, v1, v1
	s_delay_alu instid0(VALU_DEP_1)
	v_max_num_f32_e32 v1, v1, v5
	ds_store_b32 v7, v1 offset:256
.LBB96_23:
	s_or_b32 exec_lo, exec_lo, s0
	v_cmp_gt_u32_e64 s0, 4, v9
	v_dual_mov_b32 v1, 0xff7fffff :: v_dual_lshlrev_b32 v8, 2, v9
	s_wait_loadcnt_dscnt 0x0
	s_barrier_signal -1
	s_barrier_wait -1
	global_inv scope:SCOPE_SE
	s_and_saveexec_b32 s1, s0
; %bb.24:
	ds_load_b32 v1, v8 offset:256
; %bb.25:
	s_or_b32 exec_lo, exec_lo, s1
	s_wait_dscnt 0x0
	ds_bpermute_b32 v5, v2, v1
	v_xor_b32_e32 v10, 1, v38
	v_mov_b32_e32 v11, 0
	s_delay_alu instid0(VALU_DEP_2) | instskip(NEXT) | instid1(VALU_DEP_1)
	v_cmp_gt_i32_e64 s1, 32, v10
	v_cndmask_b32_e64 v10, v38, v10, s1
	v_max_num_f32_e32 v1, v1, v1
	s_sub_co_i32 s1, s23, s38
	s_wait_alu 0xfffe
	s_lshl_b32 s1, s1, 4
	v_lshlrev_b32_e32 v10, 2, v10
	s_wait_alu 0xfffe
	s_add_co_i32 s1, s1, s35
	s_wait_alu 0xfffe
	s_min_i32 s1, s1, s31
	s_wait_dscnt 0x0
	v_max_num_f32_e32 v5, v5, v5
	s_wait_alu 0xfffe
	s_sub_co_i32 s5, s1, s35
	s_wait_alu 0xfffe
	v_cmp_gt_i32_e64 s1, s5, v0
	v_max_num_f32_e32 v1, v1, v5
	ds_bpermute_b32 v5, v10, v1
	s_wait_dscnt 0x0
	v_max_num_f32_e32 v5, v5, v5
	s_delay_alu instid0(VALU_DEP_1)
	v_max_num_f32_e32 v1, v1, v5
	v_lshl_add_u32 v5, v0, 2, 0x120
	ds_bpermute_b32 v1, v11, v1
	s_and_saveexec_b32 s19, s1
	s_cbranch_execz .LBB96_29
; %bb.26:
	v_lshl_add_u32 v12, v0, 2, 0x120
	v_mov_b32_e32 v11, 0
	v_mov_b32_e32 v13, v0
	s_mov_b32 s35, 0
.LBB96_27:                              ; =>This Inner Loop Header: Depth=1
	ds_load_b32 v14, v12
	v_add_nc_u32_e32 v13, 0x80, v13
	s_delay_alu instid0(VALU_DEP_1) | instskip(SKIP_4) | instid1(VALU_DEP_1)
	v_cmp_le_i32_e64 s4, s5, v13
	s_wait_alu 0xfffe
	s_or_b32 s35, s4, s35
	s_wait_dscnt 0x0
	v_sub_f32_e32 v14, v14, v1
	v_mul_f32_e32 v14, 0x3fb8aa3b, v14
	s_delay_alu instid0(VALU_DEP_1)
	v_exp_f32_e32 v14, v14
	ds_store_b32 v12, v14
	v_dual_add_f32 v11, v11, v14 :: v_dual_add_nc_u32 v12, 0x200, v12
	s_wait_alu 0xfffe
	s_and_not1_b32 exec_lo, exec_lo, s35
	s_cbranch_execnz .LBB96_27
; %bb.28:
	s_or_b32 exec_lo, exec_lo, s35
.LBB96_29:
	s_delay_alu instid0(SALU_CYCLE_1)
	s_or_b32 exec_lo, exec_lo, s19
	ds_bpermute_b32 v3, v3, v11
	s_wait_dscnt 0x0
	v_add_f32_e32 v3, v11, v3
	ds_bpermute_b32 v4, v4, v3
	s_wait_dscnt 0x0
	v_add_f32_e32 v3, v3, v4
	;; [unrolled: 3-line block ×5, first 2 shown]
	s_and_saveexec_b32 s4, vcc_lo
; %bb.30:
	ds_store_b32 v7, v3 offset:272
; %bb.31:
	s_wait_alu 0xfffe
	s_or_b32 exec_lo, exec_lo, s4
	s_wait_loadcnt_dscnt 0x0
	s_barrier_signal -1
	s_barrier_wait -1
	global_inv scope:SCOPE_SE
	s_and_saveexec_b32 s4, s0
; %bb.32:
	ds_load_b32 v3, v8 offset:272
; %bb.33:
	s_wait_alu 0xfffe
	s_or_b32 exec_lo, exec_lo, s4
	s_wait_dscnt 0x0
	ds_bpermute_b32 v2, v2, v3
	s_wait_dscnt 0x0
	v_add_f32_e32 v2, v3, v2
	ds_bpermute_b32 v3, v10, v2
	s_wait_dscnt 0x0
	v_dual_add_f32 v2, v2, v3 :: v_dual_mov_b32 v3, 0
	ds_bpermute_b32 v2, v3, v2
	s_and_saveexec_b32 s0, s1
	s_cbranch_execz .LBB96_36
; %bb.34:
	s_wait_dscnt 0x0
	v_add_f32_e32 v3, 0x358637bd, v2
	s_mov_b32 s1, 0
	s_delay_alu instid0(VALU_DEP_1) | instskip(SKIP_1) | instid1(VALU_DEP_2)
	v_div_scale_f32 v4, null, v3, v3, 1.0
	v_div_scale_f32 v8, vcc_lo, 1.0, v3, 1.0
	v_rcp_f32_e32 v6, v4
	s_delay_alu instid0(TRANS32_DEP_1) | instskip(NEXT) | instid1(VALU_DEP_1)
	v_fma_f32 v7, -v4, v6, 1.0
	v_fmac_f32_e32 v6, v7, v6
	s_delay_alu instid0(VALU_DEP_1) | instskip(NEXT) | instid1(VALU_DEP_1)
	v_mul_f32_e32 v7, v8, v6
	v_fma_f32 v11, -v4, v7, v8
	s_delay_alu instid0(VALU_DEP_1) | instskip(NEXT) | instid1(VALU_DEP_1)
	v_fmac_f32_e32 v7, v11, v6
	v_fma_f32 v4, -v4, v7, v8
	s_wait_alu 0xfffd
	s_delay_alu instid0(VALU_DEP_1) | instskip(NEXT) | instid1(VALU_DEP_1)
	v_div_fmas_f32 v4, v4, v6, v7
	v_div_fixup_f32 v3, v4, v3, 1.0
	v_mov_b32_e32 v4, v0
.LBB96_35:                              ; =>This Inner Loop Header: Depth=1
	ds_load_b32 v6, v5
	v_add_nc_u32_e32 v4, 0x80, v4
	s_delay_alu instid0(VALU_DEP_1)
	v_cmp_le_i32_e32 vcc_lo, s5, v4
	s_wait_alu 0xfffe
	s_or_b32 s1, vcc_lo, s1
	s_wait_dscnt 0x0
	v_mul_f32_e32 v6, v3, v6
	ds_store_b32 v5, v6
	v_add_nc_u32_e32 v5, 0x200, v5
	s_wait_alu 0xfffe
	s_and_not1_b32 exec_lo, exec_lo, s1
	s_cbranch_execnz .LBB96_35
.LBB96_36:
	s_wait_alu 0xfffe
	s_or_b32 exec_lo, exec_lo, s0
	s_mul_i32 s0, s8, s33
	s_wait_loadcnt_dscnt 0x0
	s_wait_alu 0xfffe
	s_mul_i32 s4, s0, s34
	s_mov_b32 s0, exec_lo
	s_barrier_signal -1
	s_barrier_wait -1
	global_inv scope:SCOPE_SE
	v_cmpx_eq_u32_e32 0, v0
	s_cbranch_execz .LBB96_38
; %bb.37:
	s_wait_alu 0xfffe
	s_ashr_i32 s5, s4, 31
	s_mul_i32 s34, s8, ttmp9
	s_lshl_b32 s1, s30, 2
	s_wait_alu 0xfffe
	s_lshl_b64 s[38:39], s[4:5], 2
	s_ashr_i32 s35, s34, 31
	v_mov_b32_e32 v3, s1
	s_wait_kmcnt 0x0
	s_wait_alu 0xfffe
	s_add_nc_u64 s[14:15], s[14:15], s[38:39]
	s_lshl_b64 s[34:35], s[34:35], 2
	s_add_nc_u64 s[12:13], s[12:13], s[38:39]
	s_wait_alu 0xfffe
	s_add_nc_u64 s[14:15], s[14:15], s[34:35]
	s_add_nc_u64 s[12:13], s[12:13], s[34:35]
	s_clause 0x1
	global_store_b32 v3, v1, s[14:15]
	global_store_b32 v3, v2, s[12:13]
.LBB96_38:
	s_wait_alu 0xfffe
	s_or_b32 exec_lo, exec_lo, s0
	v_dual_mov_b32 v18, 0 :: v_dual_mov_b32 v17, 0
	v_dual_mov_b32 v16, 0 :: v_dual_mov_b32 v15, 0
	;; [unrolled: 1-line block ×4, first 2 shown]
	s_and_saveexec_b32 s1, s3
	s_cbranch_execz .LBB96_60
; %bb.39:
	s_abs_i32 s3, s10
	v_dual_mov_b32 v11, 0 :: v_dual_lshlrev_b32 v2, 4, v0
	s_wait_alu 0xfffe
	s_cvt_f32_u32 s0, s3
	v_dual_mov_b32 v14, 0 :: v_dual_lshlrev_b32 v3, 5, v32
	s_ashr_i32 s19, s18, 31
	s_wait_alu 0xfffe
	v_rcp_iflag_f32_e32 v1, s0
	s_wait_kmcnt 0x0
	s_lshl_b64 s[12:13], s[26:27], 2
	s_lshl_b64 s[14:15], s[18:19], 1
	s_wait_alu 0xfffe
	s_add_nc_u64 s[12:13], s[24:25], s[12:13]
	s_add_nc_u64 s[14:15], s[28:29], s[14:15]
	s_wait_alu 0xfffe
	v_add_co_u32 v5, s12, s12, v37
	s_sub_co_i32 s10, 0, s3
	v_add_co_ci_u32_e64 v6, null, s13, 0, s12
	v_readfirstlane_b32 s0, v1
	v_dual_mov_b32 v16, 0 :: v_dual_and_b32 v1, 0x1f0, v2
	v_lshl_or_b32 v2, v33, 6, v3
	v_dual_mov_b32 v12, 0 :: v_dual_and_b32 v19, 8, v36
	s_mul_f32 s0, s0, 0x4f7ffffe
	s_delay_alu instid0(VALU_DEP_3)
	v_add_co_u32 v20, s12, s14, v1
	s_wait_alu 0xf1ff
	v_add_co_ci_u32_e64 v21, null, s15, 0, s12
	s_wait_alu 0xfffe
	s_cvt_u32_f32 s0, s0
	v_dual_mov_b32 v13, 0 :: v_dual_add_nc_u32 v22, 0x120, v2
	v_dual_mov_b32 v15, 0 :: v_dual_mov_b32 v18, 0
	s_wait_alu 0xfffe
	s_mul_i32 s10, s10, s0
	v_mov_b32_e32 v17, 0
	s_wait_alu 0xfffe
	s_mul_hi_u32 s12, s0, s10
	s_sub_co_i32 s5, s37, s9
	s_mov_b32 s9, s17
	s_add_co_i32 s36, s36, -1
	s_mov_b32 s10, 0
	s_wait_alu 0xfffe
	s_add_co_i32 s12, s0, s12
	s_branch .LBB96_42
.LBB96_40:                              ;   in Loop: Header=BB96_42 Depth=1
	s_wait_alu 0xfffe
	s_or_b32 exec_lo, exec_lo, s0
	v_dual_add_f32 v23, v53, v54 :: v_dual_add_f32 v24, v50, v51
	v_lshlrev_b32_e32 v25, 16, v52
	v_lshlrev_b32_e32 v8, 16, v8
	;; [unrolled: 1-line block ×3, first 2 shown]
	s_delay_alu instid0(VALU_DEP_4)
	v_add_f32_e32 v12, v12, v23
	v_add_f32_e32 v23, v48, v49
	v_and_or_b32 v1, 0xffff, v1, v25
	v_and_or_b32 v2, 0xffff, v2, v8
	;; [unrolled: 1-line block ×3, first 2 shown]
	;;#ASMSTART
	v_pk_mul_f16 v1, v37, v1;

	;;#ASMEND
	;;#ASMSTART
	v_pk_mul_f16 v2, v36, v2;

	;;#ASMEND
	;; [unrolled: 4-line block ×4, first 2 shown]
	;;#ASMSTART
	v_pk_add_f16 v1, v1, v2;

	;;#ASMEND
	;;#ASMSTART
	v_pk_add_f16 v1, v1, v3;

	;;#ASMEND
	;;#ASMSTART
	v_pk_add_f16 v1, v1, v4;

	;;#ASMEND
	v_dual_add_f32 v7, v46, v47 :: v_dual_and_b32 v4, 0xffff, v1
	v_lshrrev_b32_e32 v8, 16, v1
	;;#ASMSTART
	v_cvt_f32_f16 v4, v4;
	;;#ASMEND
	v_dual_add_f32 v1, v44, v45 :: v_dual_add_f32 v2, v42, v43
	v_add_f32_e32 v3, v38, v39
	;;#ASMSTART
	v_cvt_f32_f16 v8, v8;
	;;#ASMEND
	v_add_f32_e32 v4, v4, v8
	v_dual_add_f32 v13, v13, v24 :: v_dual_add_f32 v14, v14, v23
	v_dual_add_f32 v15, v15, v7 :: v_dual_add_f32 v16, v16, v1
	;; [unrolled: 1-line block ×3, first 2 shown]
	s_delay_alu instid0(VALU_DEP_4)
	v_add_f32_e32 v11, v11, v4
.LBB96_41:                              ;   in Loop: Header=BB96_42 Depth=1
	s_wait_alu 0xfffe
	s_or_b32 exec_lo, exec_lo, s13
	v_add_nc_u32_e32 v35, 4, v35
	v_add_co_u32 v5, s0, v5, 16
	s_wait_alu 0xf1ff
	v_add_co_ci_u32_e64 v6, null, 0, v6, s0
	s_delay_alu instid0(VALU_DEP_3)
	v_cmp_le_i32_e32 vcc_lo, s23, v35
	v_add_nc_u32_e32 v34, 64, v34
	v_add_nc_u32_e32 v22, 0x100, v22
	s_or_b32 s10, vcc_lo, s10
	s_wait_alu 0xfffe
	s_and_not1_b32 exec_lo, exec_lo, s10
	s_cbranch_execz .LBB96_59
.LBB96_42:                              ; =>This Inner Loop Header: Depth=1
	v_sub_nc_u32_e32 v1, 0, v34
	s_delay_alu instid0(VALU_DEP_1) | instskip(NEXT) | instid1(VALU_DEP_1)
	v_max_i32_e32 v1, v34, v1
	v_mul_hi_u32 v2, v1, s22
	s_delay_alu instid0(VALU_DEP_1) | instskip(NEXT) | instid1(VALU_DEP_1)
	v_mul_lo_u32 v3, v2, s16
	v_sub_nc_u32_e32 v1, v1, v3
	v_add_nc_u32_e32 v3, 1, v2
	s_delay_alu instid0(VALU_DEP_2) | instskip(SKIP_2) | instid1(VALU_DEP_2)
	v_subrev_nc_u32_e32 v4, s16, v1
	v_cmp_le_u32_e32 vcc_lo, s16, v1
	s_wait_alu 0xfffd
	v_dual_cndmask_b32 v2, v2, v3 :: v_dual_cndmask_b32 v1, v1, v4
	v_ashrrev_i32_e32 v3, 31, v34
	s_delay_alu instid0(VALU_DEP_2) | instskip(NEXT) | instid1(VALU_DEP_3)
	v_add_nc_u32_e32 v4, 1, v2
	v_cmp_le_u32_e32 vcc_lo, s16, v1
	s_delay_alu instid0(VALU_DEP_3) | instskip(SKIP_1) | instid1(VALU_DEP_3)
	v_xor_b32_e32 v3, s11, v3
	s_wait_alu 0xfffd
	v_cndmask_b32_e32 v1, v2, v4, vcc_lo
	s_delay_alu instid0(VALU_DEP_1) | instskip(NEXT) | instid1(VALU_DEP_1)
	v_xor_b32_e32 v1, v1, v3
	v_sub_nc_u32_e32 v1, v1, v3
	s_delay_alu instid0(VALU_DEP_1) | instskip(SKIP_1) | instid1(VALU_DEP_2)
	v_add_nc_u32_e32 v2, s21, v1
	v_cmp_lt_i32_e64 s0, s5, v1
	v_sub_nc_u32_e32 v3, 0, v2
	s_delay_alu instid0(VALU_DEP_1) | instskip(SKIP_1) | instid1(VALU_DEP_1)
	v_max_i32_e32 v3, v2, v3
	s_wait_alu 0xfffe
	v_mul_hi_u32 v4, v3, s12
	s_delay_alu instid0(VALU_DEP_1) | instskip(NEXT) | instid1(VALU_DEP_1)
	v_mul_lo_u32 v4, v4, s3
	v_sub_nc_u32_e32 v3, v3, v4
	s_delay_alu instid0(VALU_DEP_1) | instskip(SKIP_2) | instid1(VALU_DEP_2)
	v_subrev_nc_u32_e32 v4, s3, v3
	v_cmp_le_u32_e32 vcc_lo, s3, v3
	s_wait_alu 0xfffd
	v_cndmask_b32_e32 v3, v3, v4, vcc_lo
	v_ashrrev_i32_e32 v2, 31, v2
	s_delay_alu instid0(VALU_DEP_2) | instskip(SKIP_2) | instid1(VALU_DEP_2)
	v_subrev_nc_u32_e32 v4, s3, v3
	v_cmp_le_u32_e32 vcc_lo, s3, v3
	s_wait_alu 0xfffd
	v_cndmask_b32_e32 v3, v3, v4, vcc_lo
	s_delay_alu instid0(VALU_DEP_1) | instskip(NEXT) | instid1(VALU_DEP_1)
	v_xor_b32_e32 v3, v3, v2
	v_sub_nc_u32_e32 v2, v3, v2
	s_delay_alu instid0(VALU_DEP_1)
	v_cmp_eq_u32_e32 vcc_lo, 0, v2
	s_or_b32 s0, vcc_lo, s0
	s_wait_alu 0xfffe
	s_and_saveexec_b32 s13, s0
	s_cbranch_execz .LBB96_41
; %bb.43:                               ;   in Loop: Header=BB96_42 Depth=1
	global_load_b32 v7, v[5:6], off
	ds_load_2addr_b64 v[1:4], v22 offset1:1
	ds_load_2addr_b64 v[23:26], v22 offset0:2 offset1:3
	v_add_nc_u32_e32 v28, v19, v34
	s_wait_dscnt 0x1
	;;#ASMSTART
	v_cvt_f16_f32 v37, v1;

	;;#ASMEND
	;;#ASMSTART
	v_cvt_f16_f32 v36, v2;

	;;#ASMEND
	;; [unrolled: 4-line block ×4, first 2 shown]
	s_wait_dscnt 0x0
	;;#ASMSTART
	v_cvt_f16_f32 v43, v23;

	;;#ASMEND
	;;#ASMSTART
	v_cvt_f16_f32 v39, v24;

	;;#ASMEND
	;; [unrolled: 4-line block ×4, first 2 shown]
	v_add_nc_u32_e32 v30, 1, v28
	v_add_nc_u32_e32 v29, 2, v28
	;; [unrolled: 1-line block ×7, first 2 shown]
	s_wait_loadcnt 0x0
	v_mad_co_i64_i32 v[7:8], null, v7, s9, 0
	s_delay_alu instid0(VALU_DEP_1) | instskip(NEXT) | instid1(VALU_DEP_1)
	v_lshlrev_b64_e32 v[7:8], 1, v[7:8]
	v_add_co_u32 v7, vcc_lo, v20, v7
	s_wait_alu 0xfffd
	s_delay_alu instid0(VALU_DEP_2)
	v_add_co_ci_u32_e64 v8, null, v21, v8, vcc_lo
	v_cmp_eq_u32_e32 vcc_lo, s36, v35
	global_load_b128 v[1:4], v[7:8], off
	s_wait_loadcnt 0x0
	v_lshrrev_b32_e32 v46, 16, v1
	v_lshrrev_b32_e32 v45, 16, v2
	;; [unrolled: 1-line block ×3, first 2 shown]
	s_and_saveexec_b32 s14, vcc_lo
	s_cbranch_execz .LBB96_45
; %bb.44:                               ;   in Loop: Header=BB96_42 Depth=1
	v_cmp_gt_i32_e64 s0, s31, v28
	v_and_b32_e32 v47, 0xffff, v4
	v_and_b32_e32 v4, 0xffff0000, v4
	s_wait_alu 0xf1ff
	s_delay_alu instid0(VALU_DEP_3) | instskip(SKIP_2) | instid1(VALU_DEP_1)
	v_cndmask_b32_e64 v1, 0, v1, s0
	v_cmp_gt_i32_e64 s0, s31, v30
	s_wait_alu 0xf1ff
	v_cndmask_b32_e64 v46, 0, v46, s0
	v_cmp_gt_i32_e64 s0, s31, v29
	s_wait_alu 0xf1ff
	s_delay_alu instid0(VALU_DEP_1) | instskip(SKIP_2) | instid1(VALU_DEP_1)
	v_cndmask_b32_e64 v2, 0, v2, s0
	v_cmp_gt_i32_e64 s0, s31, v25
	s_wait_alu 0xf1ff
	v_cndmask_b32_e64 v45, 0, v45, s0
	v_cmp_gt_i32_e64 s0, s31, v26
	s_wait_alu 0xf1ff
	s_delay_alu instid0(VALU_DEP_1) | instskip(SKIP_2) | instid1(VALU_DEP_1)
	v_cndmask_b32_e64 v47, 0, v47, s0
	v_cmp_gt_i32_e64 s0, s31, v27
	s_wait_alu 0xf1ff
	v_cndmask_b32_e64 v4, 0, v4, s0
	v_cmp_gt_i32_e64 s0, s31, v24
	s_delay_alu instid0(VALU_DEP_2) | instskip(SKIP_1) | instid1(VALU_DEP_2)
	v_or_b32_e32 v4, v47, v4
	s_wait_alu 0xf1ff
	v_cndmask_b32_e64 v3, 0, v3, s0
	v_cmp_gt_i32_e64 s0, s31, v23
	s_wait_alu 0xf1ff
	s_delay_alu instid0(VALU_DEP_1)
	v_cndmask_b32_e64 v44, 0, v44, s0
.LBB96_45:                              ;   in Loop: Header=BB96_42 Depth=1
	s_wait_alu 0xfffe
	s_or_b32 exec_lo, exec_lo, s14
	v_and_b32_e32 v37, 0xffff, v37
	v_and_b32_e32 v42, 0xffff, v42
	v_lshlrev_b32_e32 v46, 16, v46
	v_lshlrev_b32_e32 v44, 16, v44
	v_and_b32_e32 v43, 0xffff, v43
	v_lshl_or_b32 v37, v36, 16, v37
	v_lshl_or_b32 v36, v40, 16, v42
	v_lshlrev_b32_e32 v42, 16, v45
	v_and_b32_e32 v41, 0xffff, v41
	v_and_or_b32 v1, 0xffff, v1, v46
	v_and_or_b32 v3, 0xffff, v3, v44
	;;#ASMSTART
	v_pk_mul_f16 v1, v37, v1;

	;;#ASMEND
	v_and_or_b32 v2, 0xffff, v2, v42
	v_lshl_or_b32 v40, v39, 16, v43
	v_lshl_or_b32 v41, v38, 16, v41
	;;#ASMSTART
	v_pk_mul_f16 v2, v36, v2;

	;;#ASMEND
	;;#ASMSTART
	v_pk_mul_f16 v3, v40, v3;

	;;#ASMEND
	;; [unrolled: 4-line block ×3, first 2 shown]
	;;#ASMSTART
	v_pk_add_f16 v1, v1, v2;

	;;#ASMEND
	;;#ASMSTART
	v_pk_add_f16 v1, v1, v3;

	;;#ASMEND
	;; [unrolled: 4-line block ×3, first 2 shown]
	v_and_b32_e32 v2, 0xffff, v1
	v_lshrrev_b32_e32 v1, 16, v1
	;;#ASMSTART
	v_cvt_f32_f16 v38, v2;
	;;#ASMEND
	;;#ASMSTART
	v_cvt_f32_f16 v39, v1;
	;;#ASMEND
	global_load_b128 v[1:4], v[7:8], off offset:512
	s_wait_loadcnt 0x0
	v_lshrrev_b32_e32 v44, 16, v1
	v_lshrrev_b32_e32 v43, 16, v2
	;; [unrolled: 1-line block ×3, first 2 shown]
	s_and_saveexec_b32 s14, vcc_lo
	s_cbranch_execz .LBB96_47
; %bb.46:                               ;   in Loop: Header=BB96_42 Depth=1
	v_cmp_gt_i32_e64 s0, s31, v28
	v_and_b32_e32 v45, 0xffff, v4
	v_and_b32_e32 v4, 0xffff0000, v4
	s_wait_alu 0xf1ff
	s_delay_alu instid0(VALU_DEP_3) | instskip(SKIP_2) | instid1(VALU_DEP_1)
	v_cndmask_b32_e64 v1, 0, v1, s0
	v_cmp_gt_i32_e64 s0, s31, v30
	s_wait_alu 0xf1ff
	v_cndmask_b32_e64 v44, 0, v44, s0
	v_cmp_gt_i32_e64 s0, s31, v29
	s_wait_alu 0xf1ff
	s_delay_alu instid0(VALU_DEP_1) | instskip(SKIP_2) | instid1(VALU_DEP_1)
	v_cndmask_b32_e64 v2, 0, v2, s0
	v_cmp_gt_i32_e64 s0, s31, v25
	s_wait_alu 0xf1ff
	v_cndmask_b32_e64 v43, 0, v43, s0
	v_cmp_gt_i32_e64 s0, s31, v26
	s_wait_alu 0xf1ff
	s_delay_alu instid0(VALU_DEP_1) | instskip(SKIP_2) | instid1(VALU_DEP_1)
	v_cndmask_b32_e64 v45, 0, v45, s0
	v_cmp_gt_i32_e64 s0, s31, v27
	s_wait_alu 0xf1ff
	v_cndmask_b32_e64 v4, 0, v4, s0
	v_cmp_gt_i32_e64 s0, s31, v24
	s_delay_alu instid0(VALU_DEP_2) | instskip(SKIP_1) | instid1(VALU_DEP_2)
	v_or_b32_e32 v4, v45, v4
	s_wait_alu 0xf1ff
	v_cndmask_b32_e64 v3, 0, v3, s0
	v_cmp_gt_i32_e64 s0, s31, v23
	s_wait_alu 0xf1ff
	s_delay_alu instid0(VALU_DEP_1)
	v_cndmask_b32_e64 v42, 0, v42, s0
.LBB96_47:                              ;   in Loop: Header=BB96_42 Depth=1
	s_wait_alu 0xfffe
	s_or_b32 exec_lo, exec_lo, s14
	v_lshlrev_b32_e32 v44, 16, v44
	v_lshlrev_b32_e32 v43, 16, v43
	;; [unrolled: 1-line block ×3, first 2 shown]
	s_delay_alu instid0(VALU_DEP_3) | instskip(NEXT) | instid1(VALU_DEP_3)
	v_and_or_b32 v1, 0xffff, v1, v44
	v_and_or_b32 v2, 0xffff, v2, v43
	s_delay_alu instid0(VALU_DEP_3)
	v_and_or_b32 v3, 0xffff, v3, v42
	;;#ASMSTART
	v_pk_mul_f16 v1, v37, v1;

	;;#ASMEND
	;;#ASMSTART
	v_pk_mul_f16 v2, v36, v2;

	;;#ASMEND
	;; [unrolled: 4-line block ×4, first 2 shown]
	;;#ASMSTART
	v_pk_add_f16 v1, v1, v2;

	;;#ASMEND
	;;#ASMSTART
	v_pk_add_f16 v1, v1, v3;

	;;#ASMEND
	;; [unrolled: 4-line block ×3, first 2 shown]
	v_and_b32_e32 v2, 0xffff, v1
	v_lshrrev_b32_e32 v1, 16, v1
	;;#ASMSTART
	v_cvt_f32_f16 v42, v2;
	;;#ASMEND
	;;#ASMSTART
	v_cvt_f32_f16 v43, v1;
	;;#ASMEND
	global_load_b128 v[1:4], v[7:8], off offset:1024
	s_wait_loadcnt 0x0
	v_lshrrev_b32_e32 v46, 16, v1
	v_lshrrev_b32_e32 v45, 16, v2
	;; [unrolled: 1-line block ×3, first 2 shown]
	s_and_saveexec_b32 s14, vcc_lo
	s_cbranch_execz .LBB96_49
; %bb.48:                               ;   in Loop: Header=BB96_42 Depth=1
	v_cmp_gt_i32_e64 s0, s31, v28
	v_and_b32_e32 v47, 0xffff, v4
	v_and_b32_e32 v4, 0xffff0000, v4
	s_wait_alu 0xf1ff
	s_delay_alu instid0(VALU_DEP_3) | instskip(SKIP_2) | instid1(VALU_DEP_1)
	v_cndmask_b32_e64 v1, 0, v1, s0
	v_cmp_gt_i32_e64 s0, s31, v30
	s_wait_alu 0xf1ff
	v_cndmask_b32_e64 v46, 0, v46, s0
	v_cmp_gt_i32_e64 s0, s31, v29
	s_wait_alu 0xf1ff
	s_delay_alu instid0(VALU_DEP_1) | instskip(SKIP_2) | instid1(VALU_DEP_1)
	v_cndmask_b32_e64 v2, 0, v2, s0
	v_cmp_gt_i32_e64 s0, s31, v25
	s_wait_alu 0xf1ff
	v_cndmask_b32_e64 v45, 0, v45, s0
	v_cmp_gt_i32_e64 s0, s31, v26
	s_wait_alu 0xf1ff
	s_delay_alu instid0(VALU_DEP_1) | instskip(SKIP_2) | instid1(VALU_DEP_1)
	v_cndmask_b32_e64 v47, 0, v47, s0
	v_cmp_gt_i32_e64 s0, s31, v27
	s_wait_alu 0xf1ff
	v_cndmask_b32_e64 v4, 0, v4, s0
	v_cmp_gt_i32_e64 s0, s31, v24
	s_delay_alu instid0(VALU_DEP_2) | instskip(SKIP_1) | instid1(VALU_DEP_2)
	v_or_b32_e32 v4, v47, v4
	s_wait_alu 0xf1ff
	v_cndmask_b32_e64 v3, 0, v3, s0
	v_cmp_gt_i32_e64 s0, s31, v23
	s_wait_alu 0xf1ff
	s_delay_alu instid0(VALU_DEP_1)
	v_cndmask_b32_e64 v44, 0, v44, s0
.LBB96_49:                              ;   in Loop: Header=BB96_42 Depth=1
	s_wait_alu 0xfffe
	s_or_b32 exec_lo, exec_lo, s14
	v_lshlrev_b32_e32 v46, 16, v46
	v_lshlrev_b32_e32 v45, 16, v45
	;; [unrolled: 1-line block ×3, first 2 shown]
	s_delay_alu instid0(VALU_DEP_3) | instskip(NEXT) | instid1(VALU_DEP_3)
	v_and_or_b32 v1, 0xffff, v1, v46
	v_and_or_b32 v2, 0xffff, v2, v45
	s_delay_alu instid0(VALU_DEP_3)
	v_and_or_b32 v3, 0xffff, v3, v44
	;;#ASMSTART
	v_pk_mul_f16 v1, v37, v1;

	;;#ASMEND
	;;#ASMSTART
	v_pk_mul_f16 v2, v36, v2;

	;;#ASMEND
	;; [unrolled: 4-line block ×4, first 2 shown]
	;;#ASMSTART
	v_pk_add_f16 v1, v1, v2;

	;;#ASMEND
	;;#ASMSTART
	v_pk_add_f16 v1, v1, v3;

	;;#ASMEND
	;; [unrolled: 4-line block ×3, first 2 shown]
	v_and_b32_e32 v2, 0xffff, v1
	v_lshrrev_b32_e32 v1, 16, v1
	;;#ASMSTART
	v_cvt_f32_f16 v44, v2;
	;;#ASMEND
	;;#ASMSTART
	v_cvt_f32_f16 v45, v1;
	;;#ASMEND
	global_load_b128 v[1:4], v[7:8], off offset:1536
	s_wait_loadcnt 0x0
	v_lshrrev_b32_e32 v48, 16, v1
	v_lshrrev_b32_e32 v47, 16, v2
	;; [unrolled: 1-line block ×3, first 2 shown]
	s_and_saveexec_b32 s14, vcc_lo
	s_cbranch_execz .LBB96_51
; %bb.50:                               ;   in Loop: Header=BB96_42 Depth=1
	v_cmp_gt_i32_e64 s0, s31, v28
	v_and_b32_e32 v49, 0xffff, v4
	v_and_b32_e32 v4, 0xffff0000, v4
	s_wait_alu 0xf1ff
	s_delay_alu instid0(VALU_DEP_3) | instskip(SKIP_2) | instid1(VALU_DEP_1)
	v_cndmask_b32_e64 v1, 0, v1, s0
	v_cmp_gt_i32_e64 s0, s31, v30
	s_wait_alu 0xf1ff
	v_cndmask_b32_e64 v48, 0, v48, s0
	v_cmp_gt_i32_e64 s0, s31, v29
	s_wait_alu 0xf1ff
	s_delay_alu instid0(VALU_DEP_1) | instskip(SKIP_2) | instid1(VALU_DEP_1)
	v_cndmask_b32_e64 v2, 0, v2, s0
	v_cmp_gt_i32_e64 s0, s31, v25
	s_wait_alu 0xf1ff
	v_cndmask_b32_e64 v47, 0, v47, s0
	v_cmp_gt_i32_e64 s0, s31, v26
	s_wait_alu 0xf1ff
	s_delay_alu instid0(VALU_DEP_1) | instskip(SKIP_2) | instid1(VALU_DEP_1)
	v_cndmask_b32_e64 v49, 0, v49, s0
	v_cmp_gt_i32_e64 s0, s31, v27
	s_wait_alu 0xf1ff
	v_cndmask_b32_e64 v4, 0, v4, s0
	v_cmp_gt_i32_e64 s0, s31, v24
	s_delay_alu instid0(VALU_DEP_2) | instskip(SKIP_1) | instid1(VALU_DEP_2)
	v_or_b32_e32 v4, v49, v4
	s_wait_alu 0xf1ff
	v_cndmask_b32_e64 v3, 0, v3, s0
	v_cmp_gt_i32_e64 s0, s31, v23
	s_wait_alu 0xf1ff
	s_delay_alu instid0(VALU_DEP_1)
	v_cndmask_b32_e64 v46, 0, v46, s0
.LBB96_51:                              ;   in Loop: Header=BB96_42 Depth=1
	s_wait_alu 0xfffe
	s_or_b32 exec_lo, exec_lo, s14
	v_lshlrev_b32_e32 v48, 16, v48
	v_lshlrev_b32_e32 v47, 16, v47
	;; [unrolled: 1-line block ×3, first 2 shown]
	s_delay_alu instid0(VALU_DEP_3) | instskip(NEXT) | instid1(VALU_DEP_3)
	v_and_or_b32 v1, 0xffff, v1, v48
	v_and_or_b32 v2, 0xffff, v2, v47
	s_delay_alu instid0(VALU_DEP_3)
	v_and_or_b32 v3, 0xffff, v3, v46
	;;#ASMSTART
	v_pk_mul_f16 v1, v37, v1;

	;;#ASMEND
	;;#ASMSTART
	v_pk_mul_f16 v2, v36, v2;

	;;#ASMEND
	;; [unrolled: 4-line block ×4, first 2 shown]
	;;#ASMSTART
	v_pk_add_f16 v1, v1, v2;

	;;#ASMEND
	;;#ASMSTART
	v_pk_add_f16 v1, v1, v3;

	;;#ASMEND
	;; [unrolled: 4-line block ×3, first 2 shown]
	v_and_b32_e32 v2, 0xffff, v1
	v_lshrrev_b32_e32 v1, 16, v1
	;;#ASMSTART
	v_cvt_f32_f16 v46, v2;
	;;#ASMEND
	;;#ASMSTART
	v_cvt_f32_f16 v47, v1;
	;;#ASMEND
	global_load_b128 v[1:4], v[7:8], off offset:2048
	s_wait_loadcnt 0x0
	v_lshrrev_b32_e32 v50, 16, v1
	v_lshrrev_b32_e32 v49, 16, v2
	;; [unrolled: 1-line block ×3, first 2 shown]
	s_and_saveexec_b32 s14, vcc_lo
	s_cbranch_execz .LBB96_53
; %bb.52:                               ;   in Loop: Header=BB96_42 Depth=1
	v_cmp_gt_i32_e64 s0, s31, v28
	v_and_b32_e32 v51, 0xffff, v4
	v_and_b32_e32 v4, 0xffff0000, v4
	s_wait_alu 0xf1ff
	s_delay_alu instid0(VALU_DEP_3) | instskip(SKIP_2) | instid1(VALU_DEP_1)
	v_cndmask_b32_e64 v1, 0, v1, s0
	v_cmp_gt_i32_e64 s0, s31, v30
	s_wait_alu 0xf1ff
	v_cndmask_b32_e64 v50, 0, v50, s0
	v_cmp_gt_i32_e64 s0, s31, v29
	s_wait_alu 0xf1ff
	s_delay_alu instid0(VALU_DEP_1) | instskip(SKIP_2) | instid1(VALU_DEP_1)
	v_cndmask_b32_e64 v2, 0, v2, s0
	v_cmp_gt_i32_e64 s0, s31, v25
	s_wait_alu 0xf1ff
	v_cndmask_b32_e64 v49, 0, v49, s0
	v_cmp_gt_i32_e64 s0, s31, v26
	s_wait_alu 0xf1ff
	s_delay_alu instid0(VALU_DEP_1) | instskip(SKIP_2) | instid1(VALU_DEP_1)
	v_cndmask_b32_e64 v51, 0, v51, s0
	v_cmp_gt_i32_e64 s0, s31, v27
	s_wait_alu 0xf1ff
	v_cndmask_b32_e64 v4, 0, v4, s0
	v_cmp_gt_i32_e64 s0, s31, v24
	s_delay_alu instid0(VALU_DEP_2) | instskip(SKIP_1) | instid1(VALU_DEP_2)
	v_or_b32_e32 v4, v51, v4
	s_wait_alu 0xf1ff
	v_cndmask_b32_e64 v3, 0, v3, s0
	v_cmp_gt_i32_e64 s0, s31, v23
	s_wait_alu 0xf1ff
	s_delay_alu instid0(VALU_DEP_1)
	v_cndmask_b32_e64 v48, 0, v48, s0
.LBB96_53:                              ;   in Loop: Header=BB96_42 Depth=1
	s_wait_alu 0xfffe
	s_or_b32 exec_lo, exec_lo, s14
	v_lshlrev_b32_e32 v50, 16, v50
	v_lshlrev_b32_e32 v49, 16, v49
	;; [unrolled: 1-line block ×3, first 2 shown]
	s_delay_alu instid0(VALU_DEP_3) | instskip(NEXT) | instid1(VALU_DEP_3)
	v_and_or_b32 v1, 0xffff, v1, v50
	v_and_or_b32 v2, 0xffff, v2, v49
	s_delay_alu instid0(VALU_DEP_3)
	v_and_or_b32 v3, 0xffff, v3, v48
	;;#ASMSTART
	v_pk_mul_f16 v1, v37, v1;

	;;#ASMEND
	;;#ASMSTART
	v_pk_mul_f16 v2, v36, v2;

	;;#ASMEND
	;; [unrolled: 4-line block ×4, first 2 shown]
	;;#ASMSTART
	v_pk_add_f16 v1, v1, v2;

	;;#ASMEND
	;;#ASMSTART
	v_pk_add_f16 v1, v1, v3;

	;;#ASMEND
	;; [unrolled: 4-line block ×3, first 2 shown]
	v_and_b32_e32 v2, 0xffff, v1
	v_lshrrev_b32_e32 v1, 16, v1
	;;#ASMSTART
	v_cvt_f32_f16 v48, v2;
	;;#ASMEND
	;;#ASMSTART
	v_cvt_f32_f16 v49, v1;
	;;#ASMEND
	global_load_b128 v[1:4], v[7:8], off offset:2560
	s_wait_loadcnt 0x0
	v_lshrrev_b32_e32 v52, 16, v1
	v_lshrrev_b32_e32 v51, 16, v2
	;; [unrolled: 1-line block ×3, first 2 shown]
	s_and_saveexec_b32 s14, vcc_lo
	s_cbranch_execz .LBB96_55
; %bb.54:                               ;   in Loop: Header=BB96_42 Depth=1
	v_cmp_gt_i32_e64 s0, s31, v28
	v_and_b32_e32 v53, 0xffff, v4
	v_and_b32_e32 v4, 0xffff0000, v4
	s_wait_alu 0xf1ff
	s_delay_alu instid0(VALU_DEP_3) | instskip(SKIP_2) | instid1(VALU_DEP_1)
	v_cndmask_b32_e64 v1, 0, v1, s0
	v_cmp_gt_i32_e64 s0, s31, v30
	s_wait_alu 0xf1ff
	v_cndmask_b32_e64 v52, 0, v52, s0
	v_cmp_gt_i32_e64 s0, s31, v29
	s_wait_alu 0xf1ff
	s_delay_alu instid0(VALU_DEP_1) | instskip(SKIP_2) | instid1(VALU_DEP_1)
	v_cndmask_b32_e64 v2, 0, v2, s0
	v_cmp_gt_i32_e64 s0, s31, v25
	s_wait_alu 0xf1ff
	v_cndmask_b32_e64 v51, 0, v51, s0
	v_cmp_gt_i32_e64 s0, s31, v26
	s_wait_alu 0xf1ff
	s_delay_alu instid0(VALU_DEP_1) | instskip(SKIP_2) | instid1(VALU_DEP_1)
	v_cndmask_b32_e64 v53, 0, v53, s0
	v_cmp_gt_i32_e64 s0, s31, v27
	s_wait_alu 0xf1ff
	v_cndmask_b32_e64 v4, 0, v4, s0
	v_cmp_gt_i32_e64 s0, s31, v24
	s_delay_alu instid0(VALU_DEP_2) | instskip(SKIP_1) | instid1(VALU_DEP_2)
	v_or_b32_e32 v4, v53, v4
	s_wait_alu 0xf1ff
	v_cndmask_b32_e64 v3, 0, v3, s0
	v_cmp_gt_i32_e64 s0, s31, v23
	s_wait_alu 0xf1ff
	s_delay_alu instid0(VALU_DEP_1)
	v_cndmask_b32_e64 v50, 0, v50, s0
.LBB96_55:                              ;   in Loop: Header=BB96_42 Depth=1
	s_wait_alu 0xfffe
	s_or_b32 exec_lo, exec_lo, s14
	v_lshlrev_b32_e32 v52, 16, v52
	v_lshlrev_b32_e32 v51, 16, v51
	;; [unrolled: 1-line block ×3, first 2 shown]
	s_delay_alu instid0(VALU_DEP_3) | instskip(NEXT) | instid1(VALU_DEP_3)
	v_and_or_b32 v1, 0xffff, v1, v52
	v_and_or_b32 v2, 0xffff, v2, v51
	s_delay_alu instid0(VALU_DEP_3)
	v_and_or_b32 v3, 0xffff, v3, v50
	;;#ASMSTART
	v_pk_mul_f16 v1, v37, v1;

	;;#ASMEND
	;;#ASMSTART
	v_pk_mul_f16 v2, v36, v2;

	;;#ASMEND
	;; [unrolled: 4-line block ×4, first 2 shown]
	;;#ASMSTART
	v_pk_add_f16 v1, v1, v2;

	;;#ASMEND
	;;#ASMSTART
	v_pk_add_f16 v1, v1, v3;

	;;#ASMEND
	;; [unrolled: 4-line block ×3, first 2 shown]
	v_and_b32_e32 v2, 0xffff, v1
	v_lshrrev_b32_e32 v1, 16, v1
	;;#ASMSTART
	v_cvt_f32_f16 v50, v2;
	;;#ASMEND
	;;#ASMSTART
	v_cvt_f32_f16 v51, v1;
	;;#ASMEND
	global_load_b128 v[1:4], v[7:8], off offset:3072
	s_wait_loadcnt 0x0
	v_lshrrev_b32_e32 v54, 16, v1
	v_lshrrev_b32_e32 v53, 16, v2
	;; [unrolled: 1-line block ×3, first 2 shown]
	s_and_saveexec_b32 s14, vcc_lo
	s_cbranch_execz .LBB96_57
; %bb.56:                               ;   in Loop: Header=BB96_42 Depth=1
	v_cmp_gt_i32_e64 s0, s31, v28
	v_and_b32_e32 v55, 0xffff, v4
	v_and_b32_e32 v4, 0xffff0000, v4
	s_wait_alu 0xf1ff
	s_delay_alu instid0(VALU_DEP_3) | instskip(SKIP_2) | instid1(VALU_DEP_1)
	v_cndmask_b32_e64 v1, 0, v1, s0
	v_cmp_gt_i32_e64 s0, s31, v30
	s_wait_alu 0xf1ff
	v_cndmask_b32_e64 v54, 0, v54, s0
	v_cmp_gt_i32_e64 s0, s31, v29
	s_wait_alu 0xf1ff
	s_delay_alu instid0(VALU_DEP_1) | instskip(SKIP_2) | instid1(VALU_DEP_1)
	v_cndmask_b32_e64 v2, 0, v2, s0
	v_cmp_gt_i32_e64 s0, s31, v25
	s_wait_alu 0xf1ff
	v_cndmask_b32_e64 v53, 0, v53, s0
	v_cmp_gt_i32_e64 s0, s31, v26
	s_wait_alu 0xf1ff
	s_delay_alu instid0(VALU_DEP_1) | instskip(SKIP_2) | instid1(VALU_DEP_1)
	v_cndmask_b32_e64 v55, 0, v55, s0
	v_cmp_gt_i32_e64 s0, s31, v27
	s_wait_alu 0xf1ff
	v_cndmask_b32_e64 v4, 0, v4, s0
	v_cmp_gt_i32_e64 s0, s31, v24
	s_delay_alu instid0(VALU_DEP_2) | instskip(SKIP_1) | instid1(VALU_DEP_2)
	v_or_b32_e32 v4, v55, v4
	s_wait_alu 0xf1ff
	v_cndmask_b32_e64 v3, 0, v3, s0
	v_cmp_gt_i32_e64 s0, s31, v23
	s_wait_alu 0xf1ff
	s_delay_alu instid0(VALU_DEP_1)
	v_cndmask_b32_e64 v52, 0, v52, s0
.LBB96_57:                              ;   in Loop: Header=BB96_42 Depth=1
	s_wait_alu 0xfffe
	s_or_b32 exec_lo, exec_lo, s14
	v_lshlrev_b32_e32 v54, 16, v54
	v_lshlrev_b32_e32 v53, 16, v53
	;; [unrolled: 1-line block ×3, first 2 shown]
	s_delay_alu instid0(VALU_DEP_3) | instskip(NEXT) | instid1(VALU_DEP_3)
	v_and_or_b32 v1, 0xffff, v1, v54
	v_and_or_b32 v2, 0xffff, v2, v53
	s_delay_alu instid0(VALU_DEP_3)
	v_and_or_b32 v3, 0xffff, v3, v52
	;;#ASMSTART
	v_pk_mul_f16 v1, v37, v1;

	;;#ASMEND
	;;#ASMSTART
	v_pk_mul_f16 v2, v36, v2;

	;;#ASMEND
	;; [unrolled: 4-line block ×4, first 2 shown]
	;;#ASMSTART
	v_pk_add_f16 v1, v1, v2;

	;;#ASMEND
	;;#ASMSTART
	v_pk_add_f16 v1, v1, v3;

	;;#ASMEND
	;; [unrolled: 4-line block ×3, first 2 shown]
	v_and_b32_e32 v2, 0xffff, v1
	v_lshrrev_b32_e32 v1, 16, v1
	;;#ASMSTART
	v_cvt_f32_f16 v53, v2;
	;;#ASMEND
	;;#ASMSTART
	v_cvt_f32_f16 v54, v1;
	;;#ASMEND
	global_load_b128 v[1:4], v[7:8], off offset:3584
	s_wait_loadcnt 0x0
	v_lshrrev_b32_e32 v52, 16, v1
	v_lshrrev_b32_e32 v8, 16, v2
	;; [unrolled: 1-line block ×3, first 2 shown]
	s_and_saveexec_b32 s0, vcc_lo
	s_cbranch_execz .LBB96_40
; %bb.58:                               ;   in Loop: Header=BB96_42 Depth=1
	v_cmp_gt_i32_e32 vcc_lo, s31, v28
	v_and_b32_e32 v28, 0xffff, v4
	s_wait_alu 0xfffd
	v_dual_cndmask_b32 v1, 0, v1 :: v_dual_and_b32 v4, 0xffff0000, v4
	v_cmp_gt_i32_e32 vcc_lo, s31, v30
	s_wait_alu 0xfffd
	v_cndmask_b32_e32 v52, 0, v52, vcc_lo
	v_cmp_gt_i32_e32 vcc_lo, s31, v29
	s_wait_alu 0xfffd
	v_cndmask_b32_e32 v2, 0, v2, vcc_lo
	;; [unrolled: 3-line block ×5, first 2 shown]
	v_cmp_gt_i32_e32 vcc_lo, s31, v24
	s_delay_alu instid0(VALU_DEP_2)
	v_or_b32_e32 v4, v25, v4
	s_wait_alu 0xfffd
	v_cndmask_b32_e32 v3, 0, v3, vcc_lo
	v_cmp_gt_i32_e32 vcc_lo, s31, v23
	s_wait_alu 0xfffd
	v_cndmask_b32_e32 v7, 0, v7, vcc_lo
	s_branch .LBB96_40
.LBB96_59:
	s_or_b32 exec_lo, exec_lo, s10
.LBB96_60:
	s_wait_alu 0xfffe
	s_or_b32 exec_lo, exec_lo, s1
	ds_bpermute_b32 v1, v10, v18
	ds_bpermute_b32 v2, v10, v17
	;; [unrolled: 1-line block ×8, first 2 shown]
	v_lshrrev_b32_e32 v9, 1, v9
	v_lshlrev_b32_e32 v19, 9, v33
	v_and_b32_e32 v24, 0x3c1, v0
	s_mov_b32 s0, exec_lo
	s_wait_storecnt 0x0
	s_wait_loadcnt_dscnt 0x0
	v_lshl_add_u32 v10, v9, 2, 0x120
	s_barrier_signal -1
	s_barrier_wait -1
	global_inv scope:SCOPE_SE
	v_dual_add_f32 v8, v18, v1 :: v_dual_add_f32 v7, v17, v2
	v_dual_add_f32 v6, v16, v3 :: v_dual_add_f32 v5, v15, v4
	;; [unrolled: 1-line block ×4, first 2 shown]
	v_cmpx_eq_u32_e32 64, v24
	s_cbranch_execz .LBB96_62
; %bb.61:
	v_add_nc_u32_e32 v11, v10, v19
	s_delay_alu instid0(VALU_DEP_1)
	v_add_nc_u32_e32 v12, 0xfffffc00, v11
	v_add_nc_u32_e32 v13, 0xfffffc40, v11
	;; [unrolled: 1-line block ×8, first 2 shown]
	ds_store_b32 v12, v8
	ds_store_b32 v13, v7
	;; [unrolled: 1-line block ×8, first 2 shown]
.LBB96_62:
	s_wait_alu 0xfffe
	s_or_b32 exec_lo, exec_lo, s0
	v_lshlrev_b32_e32 v9, 2, v9
	s_mov_b32 s1, exec_lo
	v_cmp_eq_u32_e32 vcc_lo, 0, v32
	s_wait_loadcnt_dscnt 0x0
	s_barrier_signal -1
	v_add3_u32 v9, 0x120, v19, v9
	s_barrier_wait -1
	global_inv scope:SCOPE_SE
	v_cmpx_gt_u32_e32 64, v0
	s_cbranch_execz .LBB96_73
; %bb.63:
	s_and_saveexec_b32 s0, vcc_lo
	s_cbranch_execnz .LBB96_89
; %bb.64:
	s_wait_alu 0xfffe
	s_or_b32 exec_lo, exec_lo, s0
	s_and_saveexec_b32 s0, vcc_lo
	s_cbranch_execnz .LBB96_90
.LBB96_65:
	s_wait_alu 0xfffe
	s_or_b32 exec_lo, exec_lo, s0
	s_and_saveexec_b32 s0, vcc_lo
	s_cbranch_execnz .LBB96_91
.LBB96_66:
	s_wait_alu 0xfffe
	s_or_b32 exec_lo, exec_lo, s0
	s_and_saveexec_b32 s0, vcc_lo
	s_cbranch_execnz .LBB96_92
.LBB96_67:
	s_wait_alu 0xfffe
	s_or_b32 exec_lo, exec_lo, s0
	s_and_saveexec_b32 s0, vcc_lo
	s_cbranch_execnz .LBB96_93
.LBB96_68:
	s_wait_alu 0xfffe
	s_or_b32 exec_lo, exec_lo, s0
	s_and_saveexec_b32 s0, vcc_lo
	s_cbranch_execnz .LBB96_94
.LBB96_69:
	s_wait_alu 0xfffe
	s_or_b32 exec_lo, exec_lo, s0
	s_and_saveexec_b32 s0, vcc_lo
	s_cbranch_execnz .LBB96_95
.LBB96_70:
	s_wait_alu 0xfffe
	s_or_b32 exec_lo, exec_lo, s0
	s_and_saveexec_b32 s0, vcc_lo
	s_cbranch_execz .LBB96_72
.LBB96_71:
	ds_load_b32 v11, v9 offset:448
	s_wait_dscnt 0x0
	v_add_f32_e32 v1, v1, v11
.LBB96_72:
	s_wait_alu 0xfffe
	s_or_b32 exec_lo, exec_lo, s0
.LBB96_73:
	s_wait_alu 0xfffe
	s_or_b32 exec_lo, exec_lo, s1
	v_and_b32_e32 v0, 0x3e1, v0
	s_mov_b32 s1, exec_lo
	s_wait_loadcnt 0x0
	s_barrier_signal -1
	s_barrier_wait -1
	global_inv scope:SCOPE_SE
	v_cmpx_eq_u32_e32 32, v0
	s_cbranch_execz .LBB96_75
; %bb.74:
	ds_store_2addr_b32 v10, v8, v7 offset1:16
	ds_store_2addr_b32 v10, v6, v5 offset0:32 offset1:48
	ds_store_2addr_b32 v10, v4, v3 offset0:64 offset1:80
	;; [unrolled: 1-line block ×3, first 2 shown]
.LBB96_75:
	s_wait_alu 0xfffe
	s_or_b32 exec_lo, exec_lo, s1
	s_wait_loadcnt_dscnt 0x0
	s_barrier_signal -1
	s_barrier_wait -1
	global_inv scope:SCOPE_SE
	s_and_saveexec_b32 s0, s2
	s_cbranch_execz .LBB96_86
; %bb.76:
	s_and_saveexec_b32 s1, vcc_lo
	s_cbranch_execnz .LBB96_96
; %bb.77:
	s_wait_alu 0xfffe
	s_or_b32 exec_lo, exec_lo, s1
	s_and_saveexec_b32 s1, vcc_lo
	s_cbranch_execnz .LBB96_97
.LBB96_78:
	s_wait_alu 0xfffe
	s_or_b32 exec_lo, exec_lo, s1
	s_and_saveexec_b32 s1, vcc_lo
	s_cbranch_execnz .LBB96_98
.LBB96_79:
	s_wait_alu 0xfffe
	s_or_b32 exec_lo, exec_lo, s1
	s_and_saveexec_b32 s1, vcc_lo
	s_cbranch_execnz .LBB96_99
.LBB96_80:
	s_wait_alu 0xfffe
	s_or_b32 exec_lo, exec_lo, s1
	s_and_saveexec_b32 s1, vcc_lo
	s_cbranch_execnz .LBB96_100
.LBB96_81:
	s_wait_alu 0xfffe
	s_or_b32 exec_lo, exec_lo, s1
	s_and_saveexec_b32 s1, vcc_lo
	s_cbranch_execnz .LBB96_101
.LBB96_82:
	s_wait_alu 0xfffe
	s_or_b32 exec_lo, exec_lo, s1
	s_and_saveexec_b32 s1, vcc_lo
	s_cbranch_execnz .LBB96_102
.LBB96_83:
	s_wait_alu 0xfffe
	s_or_b32 exec_lo, exec_lo, s1
	s_and_saveexec_b32 s1, vcc_lo
	s_cbranch_execz .LBB96_85
.LBB96_84:
	ds_load_b32 v9, v9 offset:448
	s_wait_dscnt 0x0
	v_add_f32_e32 v1, v1, v9
.LBB96_85:
	s_wait_alu 0xfffe
	s_or_b32 exec_lo, exec_lo, s1
.LBB96_86:
	s_wait_alu 0xfffe
	s_or_b32 exec_lo, exec_lo, s0
	s_mov_b32 s1, 0
	s_wait_loadcnt 0x0
	s_barrier_signal -1
	s_barrier_wait -1
	global_inv scope:SCOPE_SE
	s_mov_b32 s0, exec_lo
	v_cmpx_eq_u32_e32 0, v0
	s_cbranch_execz .LBB96_88
; %bb.87:
	s_lshl_b32 s2, s4, 7
	s_mul_i32 s4, s8, s20
	s_wait_alu 0xfffe
	s_ashr_i32 s3, s2, 31
	s_ashr_i32 s5, s4, 31
	s_wait_alu 0xfffe
	s_lshl_b64 s[2:3], s[2:3], 1
	s_lshl_b64 s[4:5], s[4:5], 1
	s_wait_kmcnt 0x0
	s_wait_alu 0xfffe
	s_add_nc_u64 s[2:3], s[6:7], s[2:3]
	v_lshlrev_b32_e32 v0, 1, v31
	s_lshl_b32 s0, s30, 8
	s_wait_alu 0xfffe
	s_add_nc_u64 s[2:3], s[2:3], s[4:5]
	;;#ASMSTART
	v_cvt_f16_f32 v8, v8;

	;;#ASMEND
	s_wait_alu 0xfffe
	s_add_nc_u64 s[0:1], s[2:3], s[0:1]
	global_store_b16 v0, v8, s[0:1]
	;;#ASMSTART
	v_cvt_f16_f32 v7, v7;

	;;#ASMEND
	global_store_b16 v0, v7, s[0:1] offset:32
	;;#ASMSTART
	v_cvt_f16_f32 v6, v6;

	;;#ASMEND
	global_store_b16 v0, v6, s[0:1] offset:64
	;; [unrolled: 5-line block ×7, first 2 shown]
.LBB96_88:
	s_nop 0
	s_sendmsg sendmsg(MSG_DEALLOC_VGPRS)
	s_endpgm
.LBB96_89:
	ds_load_b32 v11, v9
	s_wait_dscnt 0x0
	v_add_f32_e32 v8, v8, v11
	s_wait_alu 0xfffe
	s_or_b32 exec_lo, exec_lo, s0
	s_and_saveexec_b32 s0, vcc_lo
	s_cbranch_execz .LBB96_65
.LBB96_90:
	ds_load_b32 v11, v9 offset:64
	s_wait_dscnt 0x0
	v_add_f32_e32 v7, v7, v11
	s_wait_alu 0xfffe
	s_or_b32 exec_lo, exec_lo, s0
	s_and_saveexec_b32 s0, vcc_lo
	s_cbranch_execz .LBB96_66
.LBB96_91:
	ds_load_b32 v11, v9 offset:128
	s_wait_dscnt 0x0
	v_add_f32_e32 v6, v6, v11
	s_wait_alu 0xfffe
	s_or_b32 exec_lo, exec_lo, s0
	s_and_saveexec_b32 s0, vcc_lo
	s_cbranch_execz .LBB96_67
.LBB96_92:
	ds_load_b32 v11, v9 offset:192
	s_wait_dscnt 0x0
	v_add_f32_e32 v5, v5, v11
	s_wait_alu 0xfffe
	s_or_b32 exec_lo, exec_lo, s0
	s_and_saveexec_b32 s0, vcc_lo
	s_cbranch_execz .LBB96_68
.LBB96_93:
	ds_load_b32 v11, v9 offset:256
	s_wait_dscnt 0x0
	v_add_f32_e32 v4, v4, v11
	s_wait_alu 0xfffe
	s_or_b32 exec_lo, exec_lo, s0
	s_and_saveexec_b32 s0, vcc_lo
	s_cbranch_execz .LBB96_69
.LBB96_94:
	ds_load_b32 v11, v9 offset:320
	s_wait_dscnt 0x0
	v_add_f32_e32 v3, v3, v11
	s_wait_alu 0xfffe
	s_or_b32 exec_lo, exec_lo, s0
	s_and_saveexec_b32 s0, vcc_lo
	s_cbranch_execz .LBB96_70
.LBB96_95:
	ds_load_b32 v11, v9 offset:384
	s_wait_dscnt 0x0
	v_add_f32_e32 v2, v2, v11
	s_wait_alu 0xfffe
	s_or_b32 exec_lo, exec_lo, s0
	s_and_saveexec_b32 s0, vcc_lo
	s_cbranch_execnz .LBB96_71
	s_branch .LBB96_72
.LBB96_96:
	ds_load_b32 v10, v9
	s_wait_dscnt 0x0
	v_add_f32_e32 v8, v8, v10
	s_wait_alu 0xfffe
	s_or_b32 exec_lo, exec_lo, s1
	s_and_saveexec_b32 s1, vcc_lo
	s_cbranch_execz .LBB96_78
.LBB96_97:
	ds_load_b32 v10, v9 offset:64
	s_wait_dscnt 0x0
	v_add_f32_e32 v7, v7, v10
	s_wait_alu 0xfffe
	s_or_b32 exec_lo, exec_lo, s1
	s_and_saveexec_b32 s1, vcc_lo
	s_cbranch_execz .LBB96_79
.LBB96_98:
	ds_load_b32 v10, v9 offset:128
	s_wait_dscnt 0x0
	v_add_f32_e32 v6, v6, v10
	s_wait_alu 0xfffe
	s_or_b32 exec_lo, exec_lo, s1
	s_and_saveexec_b32 s1, vcc_lo
	s_cbranch_execz .LBB96_80
.LBB96_99:
	ds_load_b32 v10, v9 offset:192
	s_wait_dscnt 0x0
	v_add_f32_e32 v5, v5, v10
	s_wait_alu 0xfffe
	s_or_b32 exec_lo, exec_lo, s1
	s_and_saveexec_b32 s1, vcc_lo
	s_cbranch_execz .LBB96_81
.LBB96_100:
	ds_load_b32 v10, v9 offset:256
	s_wait_dscnt 0x0
	v_add_f32_e32 v4, v4, v10
	s_wait_alu 0xfffe
	s_or_b32 exec_lo, exec_lo, s1
	s_and_saveexec_b32 s1, vcc_lo
	s_cbranch_execz .LBB96_82
.LBB96_101:
	ds_load_b32 v10, v9 offset:320
	s_wait_dscnt 0x0
	v_add_f32_e32 v3, v3, v10
	s_wait_alu 0xfffe
	s_or_b32 exec_lo, exec_lo, s1
	s_and_saveexec_b32 s1, vcc_lo
	s_cbranch_execz .LBB96_83
.LBB96_102:
	ds_load_b32 v10, v9 offset:384
	s_wait_dscnt 0x0
	v_add_f32_e32 v2, v2, v10
	s_wait_alu 0xfffe
	s_or_b32 exec_lo, exec_lo, s1
	s_and_saveexec_b32 s1, vcc_lo
	s_cbranch_execnz .LBB96_84
	s_branch .LBB96_85
	.section	.rodata,"a",@progbits
	.p2align	6, 0x0
	.amdhsa_kernel _ZN4vllm25paged_attention_v2_kernelIttLi128ELi16ELi128ELNS_18Fp8KVCacheDataTypeE0ELb1ELi512EEEvPfS2_PT_PKS3_PKT0_S9_ifPKiSB_iPKfiiiSD_SD_iiiii
		.amdhsa_group_segment_fixed_size 288
		.amdhsa_private_segment_fixed_size 0
		.amdhsa_kernarg_size 400
		.amdhsa_user_sgpr_count 2
		.amdhsa_user_sgpr_dispatch_ptr 0
		.amdhsa_user_sgpr_queue_ptr 0
		.amdhsa_user_sgpr_kernarg_segment_ptr 1
		.amdhsa_user_sgpr_dispatch_id 0
		.amdhsa_user_sgpr_private_segment_size 0
		.amdhsa_wavefront_size32 1
		.amdhsa_uses_dynamic_stack 0
		.amdhsa_enable_private_segment 0
		.amdhsa_system_sgpr_workgroup_id_x 1
		.amdhsa_system_sgpr_workgroup_id_y 1
		.amdhsa_system_sgpr_workgroup_id_z 1
		.amdhsa_system_sgpr_workgroup_info 0
		.amdhsa_system_vgpr_workitem_id 0
		.amdhsa_next_free_vgpr 131
		.amdhsa_next_free_sgpr 44
		.amdhsa_reserve_vcc 1
		.amdhsa_float_round_mode_32 0
		.amdhsa_float_round_mode_16_64 0
		.amdhsa_float_denorm_mode_32 3
		.amdhsa_float_denorm_mode_16_64 3
		.amdhsa_fp16_overflow 0
		.amdhsa_workgroup_processor_mode 1
		.amdhsa_memory_ordered 1
		.amdhsa_forward_progress 1
		.amdhsa_inst_pref_size 72
		.amdhsa_round_robin_scheduling 0
		.amdhsa_exception_fp_ieee_invalid_op 0
		.amdhsa_exception_fp_denorm_src 0
		.amdhsa_exception_fp_ieee_div_zero 0
		.amdhsa_exception_fp_ieee_overflow 0
		.amdhsa_exception_fp_ieee_underflow 0
		.amdhsa_exception_fp_ieee_inexact 0
		.amdhsa_exception_int_div_zero 0
	.end_amdhsa_kernel
	.section	.text._ZN4vllm25paged_attention_v2_kernelIttLi128ELi16ELi128ELNS_18Fp8KVCacheDataTypeE0ELb1ELi512EEEvPfS2_PT_PKS3_PKT0_S9_ifPKiSB_iPKfiiiSD_SD_iiiii,"axG",@progbits,_ZN4vllm25paged_attention_v2_kernelIttLi128ELi16ELi128ELNS_18Fp8KVCacheDataTypeE0ELb1ELi512EEEvPfS2_PT_PKS3_PKT0_S9_ifPKiSB_iPKfiiiSD_SD_iiiii,comdat
.Lfunc_end96:
	.size	_ZN4vllm25paged_attention_v2_kernelIttLi128ELi16ELi128ELNS_18Fp8KVCacheDataTypeE0ELb1ELi512EEEvPfS2_PT_PKS3_PKT0_S9_ifPKiSB_iPKfiiiSD_SD_iiiii, .Lfunc_end96-_ZN4vllm25paged_attention_v2_kernelIttLi128ELi16ELi128ELNS_18Fp8KVCacheDataTypeE0ELb1ELi512EEEvPfS2_PT_PKS3_PKT0_S9_ifPKiSB_iPKfiiiSD_SD_iiiii
                                        ; -- End function
	.set _ZN4vllm25paged_attention_v2_kernelIttLi128ELi16ELi128ELNS_18Fp8KVCacheDataTypeE0ELb1ELi512EEEvPfS2_PT_PKS3_PKT0_S9_ifPKiSB_iPKfiiiSD_SD_iiiii.num_vgpr, 131
	.set _ZN4vllm25paged_attention_v2_kernelIttLi128ELi16ELi128ELNS_18Fp8KVCacheDataTypeE0ELb1ELi512EEEvPfS2_PT_PKS3_PKT0_S9_ifPKiSB_iPKfiiiSD_SD_iiiii.num_agpr, 0
	.set _ZN4vllm25paged_attention_v2_kernelIttLi128ELi16ELi128ELNS_18Fp8KVCacheDataTypeE0ELb1ELi512EEEvPfS2_PT_PKS3_PKT0_S9_ifPKiSB_iPKfiiiSD_SD_iiiii.numbered_sgpr, 44
	.set _ZN4vllm25paged_attention_v2_kernelIttLi128ELi16ELi128ELNS_18Fp8KVCacheDataTypeE0ELb1ELi512EEEvPfS2_PT_PKS3_PKT0_S9_ifPKiSB_iPKfiiiSD_SD_iiiii.num_named_barrier, 0
	.set _ZN4vllm25paged_attention_v2_kernelIttLi128ELi16ELi128ELNS_18Fp8KVCacheDataTypeE0ELb1ELi512EEEvPfS2_PT_PKS3_PKT0_S9_ifPKiSB_iPKfiiiSD_SD_iiiii.private_seg_size, 0
	.set _ZN4vllm25paged_attention_v2_kernelIttLi128ELi16ELi128ELNS_18Fp8KVCacheDataTypeE0ELb1ELi512EEEvPfS2_PT_PKS3_PKT0_S9_ifPKiSB_iPKfiiiSD_SD_iiiii.uses_vcc, 1
	.set _ZN4vllm25paged_attention_v2_kernelIttLi128ELi16ELi128ELNS_18Fp8KVCacheDataTypeE0ELb1ELi512EEEvPfS2_PT_PKS3_PKT0_S9_ifPKiSB_iPKfiiiSD_SD_iiiii.uses_flat_scratch, 0
	.set _ZN4vllm25paged_attention_v2_kernelIttLi128ELi16ELi128ELNS_18Fp8KVCacheDataTypeE0ELb1ELi512EEEvPfS2_PT_PKS3_PKT0_S9_ifPKiSB_iPKfiiiSD_SD_iiiii.has_dyn_sized_stack, 0
	.set _ZN4vllm25paged_attention_v2_kernelIttLi128ELi16ELi128ELNS_18Fp8KVCacheDataTypeE0ELb1ELi512EEEvPfS2_PT_PKS3_PKT0_S9_ifPKiSB_iPKfiiiSD_SD_iiiii.has_recursion, 0
	.set _ZN4vllm25paged_attention_v2_kernelIttLi128ELi16ELi128ELNS_18Fp8KVCacheDataTypeE0ELb1ELi512EEEvPfS2_PT_PKS3_PKT0_S9_ifPKiSB_iPKfiiiSD_SD_iiiii.has_indirect_call, 0
	.section	.AMDGPU.csdata,"",@progbits
; Kernel info:
; codeLenInByte = 9180
; TotalNumSgprs: 46
; NumVgprs: 131
; ScratchSize: 0
; MemoryBound: 0
; FloatMode: 240
; IeeeMode: 1
; LDSByteSize: 288 bytes/workgroup (compile time only)
; SGPRBlocks: 0
; VGPRBlocks: 16
; NumSGPRsForWavesPerEU: 46
; NumVGPRsForWavesPerEU: 131
; Occupancy: 10
; WaveLimiterHint : 1
; COMPUTE_PGM_RSRC2:SCRATCH_EN: 0
; COMPUTE_PGM_RSRC2:USER_SGPR: 2
; COMPUTE_PGM_RSRC2:TRAP_HANDLER: 0
; COMPUTE_PGM_RSRC2:TGID_X_EN: 1
; COMPUTE_PGM_RSRC2:TGID_Y_EN: 1
; COMPUTE_PGM_RSRC2:TGID_Z_EN: 1
; COMPUTE_PGM_RSRC2:TIDIG_COMP_CNT: 0
	.section	.text._ZN4vllm25paged_attention_v2_kernelIttLi192ELi16ELi128ELNS_18Fp8KVCacheDataTypeE0ELb1ELi512EEEvPfS2_PT_PKS3_PKT0_S9_ifPKiSB_iPKfiiiSD_SD_iiiii,"axG",@progbits,_ZN4vllm25paged_attention_v2_kernelIttLi192ELi16ELi128ELNS_18Fp8KVCacheDataTypeE0ELb1ELi512EEEvPfS2_PT_PKS3_PKT0_S9_ifPKiSB_iPKfiiiSD_SD_iiiii,comdat
	.protected	_ZN4vllm25paged_attention_v2_kernelIttLi192ELi16ELi128ELNS_18Fp8KVCacheDataTypeE0ELb1ELi512EEEvPfS2_PT_PKS3_PKT0_S9_ifPKiSB_iPKfiiiSD_SD_iiiii ; -- Begin function _ZN4vllm25paged_attention_v2_kernelIttLi192ELi16ELi128ELNS_18Fp8KVCacheDataTypeE0ELb1ELi512EEEvPfS2_PT_PKS3_PKT0_S9_ifPKiSB_iPKfiiiSD_SD_iiiii
	.globl	_ZN4vllm25paged_attention_v2_kernelIttLi192ELi16ELi128ELNS_18Fp8KVCacheDataTypeE0ELb1ELi512EEEvPfS2_PT_PKS3_PKT0_S9_ifPKiSB_iPKfiiiSD_SD_iiiii
	.p2align	8
	.type	_ZN4vllm25paged_attention_v2_kernelIttLi192ELi16ELi128ELNS_18Fp8KVCacheDataTypeE0ELb1ELi512EEEvPfS2_PT_PKS3_PKT0_S9_ifPKiSB_iPKfiiiSD_SD_iiiii,@function
_ZN4vllm25paged_attention_v2_kernelIttLi192ELi16ELi128ELNS_18Fp8KVCacheDataTypeE0ELb1ELi512EEEvPfS2_PT_PKS3_PKT0_S9_ifPKiSB_iPKfiiiSD_SD_iiiii: ; @_ZN4vllm25paged_attention_v2_kernelIttLi192ELi16ELi128ELNS_18Fp8KVCacheDataTypeE0ELb1ELi512EEEvPfS2_PT_PKS3_PKT0_S9_ifPKiSB_iPKfiiiSD_SD_iiiii
; %bb.0:
	s_load_b64 s[2:3], s[0:1], 0x40
	s_and_b32 s26, ttmp7, 0xffff
	s_lshr_b32 s30, ttmp7, 16
	s_lshl_b32 s4, s26, 2
	s_lshl_b32 s33, s30, 9
	s_wait_kmcnt 0x0
	s_load_b32 s31, s[2:3], s4 offset:0x0
	s_wait_kmcnt 0x0
	s_cmp_ge_i32 s33, s31
	s_cbranch_scc1 .LBB97_104
; %bb.1:
	s_clause 0x1
	s_load_b32 s27, s[0:1], 0x90
	s_load_b64 s[6:7], s[0:1], 0x30
	s_wait_kmcnt 0x0
	s_abs_i32 s5, s27
	s_abs_i32 s2, s6
	s_delay_alu instid0(SALU_CYCLE_1) | instskip(SKIP_1) | instid1(SALU_CYCLE_2)
	s_cvt_f32_u32 s3, s2
	s_sub_co_i32 s4, 0, s2
	v_rcp_iflag_f32_e32 v1, s3
	s_delay_alu instid0(TRANS32_DEP_1) | instskip(SKIP_2) | instid1(SALU_CYCLE_2)
	v_readfirstlane_b32 s3, v1
	s_mul_f32 s3, s3, 0x4f7ffffe
	s_wait_alu 0xfffe
	s_cvt_u32_f32 s3, s3
	s_wait_alu 0xfffe
	s_delay_alu instid0(SALU_CYCLE_2) | instskip(NEXT) | instid1(SALU_CYCLE_1)
	s_mul_i32 s4, s4, s3
	s_mul_hi_u32 s4, s3, s4
	s_delay_alu instid0(SALU_CYCLE_1)
	s_add_co_i32 s3, s3, s4
	s_xor_b32 s4, s27, s6
	s_wait_alu 0xfffe
	s_mul_hi_u32 s3, s5, s3
	s_ashr_i32 s4, s4, 31
	s_wait_alu 0xfffe
	s_mul_i32 s8, s3, s2
	s_delay_alu instid0(SALU_CYCLE_1)
	s_sub_co_i32 s5, s5, s8
	s_add_co_i32 s8, s3, 1
	s_sub_co_i32 s9, s5, s2
	s_cmp_ge_u32 s5, s2
	s_cselect_b32 s3, s8, s3
	s_cselect_b32 s5, s9, s5
	s_wait_alu 0xfffe
	s_add_co_i32 s8, s3, 1
	s_cmp_ge_u32 s5, s2
	s_cselect_b32 s2, s8, s3
	s_load_b64 s[8:9], s[0:1], 0x50
	s_xor_b32 s2, s2, s4
	s_mov_b32 s3, 0
	s_wait_alu 0xfffe
	s_sub_co_i32 s10, s2, s4
	s_mov_b32 s15, s3
	s_abs_i32 s18, s10
	s_delay_alu instid0(SALU_CYCLE_1) | instskip(SKIP_1) | instid1(SALU_CYCLE_2)
	s_cvt_f32_u32 s2, s18
	s_wait_alu 0xfffe
	v_rcp_iflag_f32_e32 v1, s2
	s_delay_alu instid0(TRANS32_DEP_1) | instskip(SKIP_2) | instid1(SALU_CYCLE_2)
	v_readfirstlane_b32 s2, v1
	s_mul_f32 s2, s2, 0x4f7ffffe
	s_wait_alu 0xfffe
	s_cvt_u32_f32 s4, s2
	s_sub_co_i32 s2, 0, s18
	s_wait_alu 0xfffe
	s_delay_alu instid0(SALU_CYCLE_1)
	s_mul_i32 s2, s2, s4
	s_wait_alu 0xfffe
	s_mul_hi_u32 s5, s4, s2
	s_abs_i32 s2, ttmp9
	s_add_co_i32 s4, s4, s5
	s_mov_b32 s5, s3
	s_wait_kmcnt 0x0
	s_cmp_eq_u64 s[8:9], 0
	s_cbranch_scc1 .LBB97_3
; %bb.2:
	s_mov_b32 s12, ttmp9
	s_ashr_i32 s13, ttmp9, 31
	s_delay_alu instid0(SALU_CYCLE_1) | instskip(NEXT) | instid1(SALU_CYCLE_1)
	s_lshl_b64 s[12:13], s[12:13], 2
	s_add_nc_u64 s[8:9], s[8:9], s[12:13]
	s_load_b32 s15, s[8:9], 0x0
.LBB97_3:
	s_load_b96 s[12:14], s[0:1], 0x58
	v_lshrrev_b32_e32 v49, 1, v0
	v_and_b32_e32 v50, 1, v0
	v_lshlrev_b32_e32 v54, 3, v0
	s_mul_u64 s[4:5], s[2:3], s[4:5]
	s_ashr_i32 s3, ttmp9, 31
	s_ashr_i32 s4, s10, 31
	s_mul_i32 s16, ttmp9, 0xc0
	s_mov_b32 s8, exec_lo
	v_cmpx_gt_u32_e32 48, v0
	s_cbranch_execz .LBB97_5
; %bb.4:
	s_load_b64 s[10:11], s[0:1], 0x18
	s_wait_kmcnt 0x0
	s_mul_i32 s20, s12, s26
	s_ashr_i32 s17, s16, 31
	s_ashr_i32 s21, s20, 31
	v_lshlrev_b32_e32 v3, 3, v49
	s_lshl_b64 s[20:21], s[20:21], 1
	s_delay_alu instid0(VALU_DEP_1) | instskip(SKIP_2) | instid1(SALU_CYCLE_1)
	v_mad_u32_u24 v3, 0xc0, v50, v3
	s_add_nc_u64 s[10:11], s[10:11], s[20:21]
	s_lshl_b64 s[20:21], s[16:17], 1
	s_add_nc_u64 s[10:11], s[10:11], s[20:21]
	global_load_b64 v[1:2], v54, s[10:11]
	s_wait_loadcnt 0x0
	ds_store_b64 v3, v[1:2]
.LBB97_5:
	s_or_b32 exec_lo, exec_lo, s8
	s_clause 0x1
	s_load_b128 s[8:11], s[0:1], 0x78
	s_load_b32 s20, s[0:1], 0x88
	s_wait_kmcnt 0x0
	s_mul_i32 s12, s5, s18
	s_xor_b32 s3, s3, s4
	s_sub_co_i32 s2, s2, s12
	s_add_co_i32 s4, s5, 1
	s_wait_alu 0xfffe
	s_sub_co_i32 s12, s2, s18
	s_cmp_ge_u32 s2, s18
	s_mov_b32 s22, -1
	s_cselect_b32 s4, s4, s5
	s_cselect_b32 s2, s12, s2
	s_add_co_i32 s5, s4, 1
	s_wait_alu 0xfffe
	s_cmp_ge_u32 s2, s18
	s_wait_dscnt 0x0
	s_cselect_b32 s2, s5, s4
	s_add_co_i32 s21, s31, -1
	s_wait_alu 0xfffe
	s_xor_b32 s2, s2, s3
	s_barrier_signal -1
	s_wait_alu 0xfffe
	s_sub_co_i32 s24, s2, s3
	s_barrier_wait -1
	s_abs_i32 s12, s11
	global_inv scope:SCOPE_SE
	s_cvt_f32_u32 s4, s12
                                        ; implicit-def: $sgpr17
	s_delay_alu instid0(SALU_CYCLE_3) | instskip(NEXT) | instid1(TRANS32_DEP_1)
	v_rcp_iflag_f32_e32 v1, s4
	v_readfirstlane_b32 s4, v1
	s_mul_f32 s2, s4, 0x4f7ffffe
	s_wait_alu 0xfffe
	s_delay_alu instid0(SALU_CYCLE_2) | instskip(SKIP_2) | instid1(SALU_CYCLE_1)
	s_cvt_u32_f32 s4, s2
	s_sub_co_i32 s2, 0, s12
	s_wait_alu 0xfffe
	s_mul_i32 s3, s2, s4
	s_abs_i32 s2, s21
	s_wait_alu 0xfffe
	s_mul_hi_u32 s5, s4, s3
	s_mov_b32 s3, 0
	s_wait_alu 0xfffe
	s_add_co_i32 s18, s4, s5
	s_cmp_lt_i32 s20, 0
	s_mov_b32 s19, s3
	s_cbranch_scc0 .LBB97_7
; %bb.6:
	s_mul_i32 s4, s8, s6
	s_mov_b32 s22, s3
	s_wait_alu 0xfffe
	s_add_co_i32 s4, s24, s4
	s_wait_alu 0xfffe
	s_mul_i32 s4, s4, s20
	s_wait_alu 0xfffe
	s_sub_co_i32 s17, 1, s4
.LBB97_7:
	s_mul_u64 s[4:5], s[2:3], s[18:19]
	s_ashr_i32 s3, s21, 31
	s_and_not1_b32 vcc_lo, exec_lo, s22
	s_ashr_i32 s11, s11, 31
	s_cbranch_vccnz .LBB97_9
; %bb.8:
	s_mul_i32 s4, s27, s8
	s_wait_alu 0xfffe
	s_add_co_i32 s4, s4, ttmp9
	s_wait_alu 0xfffe
	s_mul_i32 s4, s4, s20
	s_wait_alu 0xfffe
	s_add_co_i32 s17, s4, 1
.LBB97_9:
	s_clause 0x2
	s_load_b32 s4, s[0:1], 0x48
	s_load_b64 s[20:21], s[0:1], 0x38
	s_load_b32 s8, s[0:1], 0x98
	s_mul_i32 s6, s5, s12
	s_xor_b32 s3, s3, s11
	s_sub_co_i32 s2, s2, s6
	s_add_co_i32 s19, s5, 1
	v_lshrrev_b32_e32 v51, 5, v0
	v_mov_b32_e32 v57, 0xff7fffff
	v_mbcnt_lo_u32_b32 v56, -1, 0
	s_mul_i32 s24, s24, s14
	s_delay_alu instid0(VALU_DEP_3)
	v_lshl_add_u32 v52, v51, 4, s33
	s_wait_kmcnt 0x0
	s_mul_i32 s22, s4, s26
	s_wait_alu 0xfffe
	s_sub_co_i32 s4, s2, s12
	s_ashr_i32 s23, s22, 31
	s_cmp_ge_u32 s2, s12
	s_cselect_b32 s5, s19, s5
	s_wait_alu 0xfffe
	s_cselect_b32 s2, s4, s2
	s_add_co_i32 s4, s5, 1
	s_wait_alu 0xfffe
	s_cmp_ge_u32 s2, s12
	s_cselect_b32 s2, s4, s5
	s_add_co_i32 s4, s31, 15
	s_lshl_b32 s36, s30, 5
	s_wait_alu 0xfffe
	s_ashr_i32 s5, s4, 31
	v_or_b32_e32 v53, s36, v51
	s_wait_alu 0xfffe
	s_lshr_b32 s5, s5, 28
	s_wait_alu 0xfffe
	s_add_co_i32 s4, s4, s5
	s_add_co_i32 s5, s36, 32
	s_wait_alu 0xfffe
	s_ashr_i32 s34, s4, 4
	s_xor_b32 s4, s2, s3
	s_min_i32 s19, s5, s34
	v_lshlrev_b32_e32 v55, 2, v53
	v_cmp_gt_i32_e64 s2, s19, v53
	s_wait_alu 0xfffe
	s_sub_co_i32 s35, s4, s3
	s_and_saveexec_b32 s6, s2
	s_cbranch_execz .LBB97_21
; %bb.10:
	s_ashr_i32 s25, s24, 31
	s_sub_co_i32 s14, s35, s9
	s_lshl_b64 s[4:5], s[24:25], 1
	s_cmp_neq_f32 s15, 0
	s_load_b64 s[38:39], s[0:1], 0x20
	v_bfe_u32 v58, v0, 1, 4
	v_dual_mov_b32 v65, 0xff7fffff :: v_dual_and_b32 v2, 8, v54
	s_cselect_b32 vcc_lo, -1, 0
	s_abs_i32 s25, s10
	s_delay_alu instid0(VALU_DEP_2)
	v_lshlrev_b32_e32 v3, 4, v58
	s_cvt_f32_u32 s3, s25
	v_lshlrev_b32_e32 v5, 2, v58
	s_lshl_b64 s[40:41], s[22:23], 2
	v_subrev_nc_u32_e32 v4, s31, v58
	s_wait_alu 0xfffe
	v_rcp_iflag_f32_e32 v1, s3
	s_add_nc_u64 s[40:41], s[20:21], s[40:41]
	v_lshl_or_b32 v5, v51, 6, v5
	s_sub_co_i32 s37, 0, s25
	v_cmp_eq_u32_e64 s3, 0, v50
	v_mul_u32_u24_e32 v59, 0xc0, v50
	v_lshl_add_u32 v62, v51, 4, s33
	v_add_nc_u32_e32 v63, 1, v4
	v_dual_mov_b32 v67, v53 :: v_dual_add_nc_u32 v64, 0x1a0, v5
	s_delay_alu instid0(TRANS32_DEP_1)
	v_readfirstlane_b32 s29, v1
	s_wait_kmcnt 0x0
	s_add_nc_u64 s[4:5], s[38:39], s[4:5]
	v_xor_b32_e32 v66, 1, v56
	s_wait_alu 0xfffe
	v_add_co_u32 v1, s4, s4, v3
	s_mul_f32 s29, s29, 0x4f7ffffe
	s_wait_alu 0xf1ff
	v_add_co_ci_u32_e64 v3, null, s5, 0, s4
	v_add_co_u32 v60, s4, v1, v2
	s_cvt_u32_f32 s5, s29
	s_wait_alu 0xf1ff
	v_add_co_ci_u32_e64 v61, null, 0, v3, s4
	v_add_co_u32 v1, s4, s40, v55
	s_wait_alu 0xfffe
	s_mul_i32 s37, s37, s5
	v_add_co_ci_u32_e64 v2, null, s41, 0, s4
	v_mov_b32_e32 v57, 0xff7fffff
	s_wait_alu 0xfffe
	s_mul_hi_u32 s4, s5, s37
	s_mov_b32 s28, 0
	s_mov_b32 s29, s13
	s_wait_alu 0xfffe
	s_add_co_i32 s37, s5, s4
	s_branch .LBB97_13
.LBB97_11:                              ;   in Loop: Header=BB97_13 Depth=1
	s_or_b32 exec_lo, exec_lo, s38
.LBB97_12:                              ;   in Loop: Header=BB97_13 Depth=1
	s_wait_alu 0xfffe
	s_or_b32 exec_lo, exec_lo, s5
	v_add_nc_u32_e32 v67, 4, v67
	v_add_co_u32 v1, s5, v1, 16
	s_wait_alu 0xf1ff
	v_add_co_ci_u32_e64 v2, null, 0, v2, s5
	s_delay_alu instid0(VALU_DEP_3)
	v_cmp_le_i32_e64 s4, s19, v67
	v_add_nc_u32_e32 v62, 64, v62
	v_add_nc_u32_e32 v64, 0x100, v64
	s_or_b32 s28, s4, s28
	s_wait_alu 0xfffe
	s_and_not1_b32 exec_lo, exec_lo, s28
	s_cbranch_execz .LBB97_20
.LBB97_13:                              ; =>This Inner Loop Header: Depth=1
	v_sub_nc_u32_e32 v3, 0, v62
	s_delay_alu instid0(VALU_DEP_1) | instskip(SKIP_1) | instid1(VALU_DEP_1)
	v_max_i32_e32 v3, v62, v3
	s_wait_dscnt 0x0
	v_mul_hi_u32 v4, v3, s18
	s_delay_alu instid0(VALU_DEP_1) | instskip(NEXT) | instid1(VALU_DEP_1)
	v_mul_lo_u32 v5, v4, s12
	v_sub_nc_u32_e32 v3, v3, v5
	v_add_nc_u32_e32 v5, 1, v4
	s_delay_alu instid0(VALU_DEP_2) | instskip(SKIP_2) | instid1(VALU_DEP_1)
	v_subrev_nc_u32_e32 v6, s12, v3
	v_cmp_le_u32_e64 s4, s12, v3
	s_wait_alu 0xf1ff
	v_cndmask_b32_e64 v4, v4, v5, s4
	s_delay_alu instid0(VALU_DEP_3) | instskip(SKIP_1) | instid1(VALU_DEP_3)
	v_cndmask_b32_e64 v3, v3, v6, s4
	v_ashrrev_i32_e32 v5, 31, v62
	v_add_nc_u32_e32 v6, 1, v4
	s_delay_alu instid0(VALU_DEP_3) | instskip(NEXT) | instid1(VALU_DEP_3)
	v_cmp_le_u32_e64 s4, s12, v3
	v_xor_b32_e32 v5, s11, v5
	s_wait_alu 0xf1ff
	s_delay_alu instid0(VALU_DEP_2) | instskip(NEXT) | instid1(VALU_DEP_1)
	v_cndmask_b32_e64 v3, v4, v6, s4
	v_xor_b32_e32 v3, v3, v5
	s_delay_alu instid0(VALU_DEP_1) | instskip(NEXT) | instid1(VALU_DEP_1)
	v_sub_nc_u32_e32 v3, v3, v5
	v_add_nc_u32_e32 v4, s17, v3
	v_cmp_ge_i32_e64 s5, s14, v3
	s_delay_alu instid0(VALU_DEP_2) | instskip(NEXT) | instid1(VALU_DEP_1)
	v_sub_nc_u32_e32 v5, 0, v4
	v_max_i32_e32 v5, v4, v5
	v_ashrrev_i32_e32 v4, 31, v4
	s_wait_alu 0xfffe
	s_delay_alu instid0(VALU_DEP_2) | instskip(NEXT) | instid1(VALU_DEP_1)
	v_mul_hi_u32 v6, v5, s37
	v_mul_lo_u32 v6, v6, s25
	s_delay_alu instid0(VALU_DEP_1) | instskip(NEXT) | instid1(VALU_DEP_1)
	v_sub_nc_u32_e32 v5, v5, v6
	v_subrev_nc_u32_e32 v6, s25, v5
	v_cmp_le_u32_e64 s4, s25, v5
	s_wait_alu 0xf1ff
	s_delay_alu instid0(VALU_DEP_1) | instskip(NEXT) | instid1(VALU_DEP_1)
	v_cndmask_b32_e64 v5, v5, v6, s4
	v_subrev_nc_u32_e32 v6, s25, v5
	v_cmp_le_u32_e64 s4, s25, v5
	s_wait_alu 0xf1ff
	s_delay_alu instid0(VALU_DEP_1) | instskip(NEXT) | instid1(VALU_DEP_1)
	v_cndmask_b32_e64 v5, v5, v6, s4
	v_xor_b32_e32 v5, v5, v4
	s_delay_alu instid0(VALU_DEP_1) | instskip(NEXT) | instid1(VALU_DEP_1)
	v_sub_nc_u32_e32 v4, v5, v4
	v_cmp_ne_u32_e64 s4, 0, v4
	s_and_b32 s4, s4, s5
	s_wait_alu 0xfffe
	s_and_saveexec_b32 s5, s4
	s_wait_alu 0xfffe
	s_xor_b32 s4, exec_lo, s5
	s_cbranch_execz .LBB97_17
; %bb.14:                               ;   in Loop: Header=BB97_13 Depth=1
	s_and_saveexec_b32 s5, s3
; %bb.15:                               ;   in Loop: Header=BB97_13 Depth=1
	ds_store_b32 v64, v65
; %bb.16:                               ;   in Loop: Header=BB97_13 Depth=1
	s_wait_alu 0xfffe
	s_or_b32 exec_lo, exec_lo, s5
.LBB97_17:                              ;   in Loop: Header=BB97_13 Depth=1
	s_wait_alu 0xfffe
	s_and_not1_saveexec_b32 s5, s4
	s_cbranch_execz .LBB97_12
; %bb.18:                               ;   in Loop: Header=BB97_13 Depth=1
	global_load_b32 v3, v[1:2], off
	s_wait_loadcnt 0x0
	v_mad_co_i64_i32 v[3:4], null, v3, s29, 0
	s_delay_alu instid0(VALU_DEP_1) | instskip(NEXT) | instid1(VALU_DEP_1)
	v_lshlrev_b64_e32 v[3:4], 1, v[3:4]
	v_add_co_u32 v3, s4, v60, v3
	s_wait_alu 0xf1ff
	s_delay_alu instid0(VALU_DEP_2)
	v_add_co_ci_u32_e64 v4, null, v61, v4, s4
	v_cmp_gt_i32_e64 s4, 32, v66
	s_clause 0x8
	global_load_b64 v[69:70], v[3:4], off
	global_load_b64 v[47:48], v[3:4], off offset:256
	global_load_b64 v[45:46], v[3:4], off offset:512
	;; [unrolled: 1-line block ×8, first 2 shown]
	ds_load_b64 v[5:6], v59
	s_clause 0x1
	global_load_b64 v[35:36], v[3:4], off offset:2304
	global_load_b64 v[33:34], v[3:4], off offset:2560
	s_wait_dscnt 0x0
	v_lshrrev_b32_e32 v71, 16, v5
	v_and_b32_e32 v68, 0xffff, v5
	v_lshrrev_b32_e32 v73, 16, v6
	v_and_b32_e32 v72, 0xffff, v6
	s_clause 0xc
	global_load_b64 v[27:28], v[3:4], off offset:2816
	global_load_b64 v[25:26], v[3:4], off offset:3072
	;; [unrolled: 1-line block ×13, first 2 shown]
	;;#ASMSTART
	v_cvt_f32_f16 v68, v68;
	;;#ASMEND
	s_wait_loadcnt 0x17
	v_and_b32_e32 v74, 0xffff, v69
	v_lshrrev_b32_e32 v76, 16, v69
	;;#ASMSTART
	v_cvt_f32_f16 v69, v71;
	;;#ASMEND
	v_lshrrev_b32_e32 v71, 16, v70
	;;#ASMSTART
	v_cvt_f32_f16 v75, v74;
	;;#ASMEND
	v_and_b32_e32 v77, 0xffff, v70
	;;#ASMSTART
	v_cvt_f32_f16 v74, v76;
	;;#ASMEND
	;;#ASMSTART
	v_cvt_f32_f16 v72, v72;
	;;#ASMEND
	;; [unrolled: 3-line block ×5, first 2 shown]
	ds_load_b64 v[76:77], v59 offset:8
	s_wait_loadcnt 0x16
	v_lshrrev_b32_e32 v78, 16, v47
	v_lshrrev_b32_e32 v81, 16, v48
	v_and_b32_e32 v80, 0xffff, v48
	s_wait_loadcnt 0x15
	v_lshrrev_b32_e32 v85, 16, v45
	v_and_b32_e32 v84, 0xffff, v45
	v_lshrrev_b32_e32 v88, 16, v46
	s_wait_loadcnt 0x14
	v_lshrrev_b32_e32 v91, 16, v43
	v_lshrrev_b32_e32 v95, 16, v44
	s_wait_loadcnt 0x13
	v_lshrrev_b32_e32 v97, 16, v41
	;; [unrolled: 3-line block ×4, first 2 shown]
	v_lshrrev_b32_e32 v113, 16, v38
	v_and_b32_e32 v38, 0xffff, v38
	s_wait_loadcnt 0x10
	v_lshrrev_b32_e32 v117, 16, v31
	v_lshrrev_b32_e32 v121, 16, v32
	v_and_b32_e32 v32, 0xffff, v32
	s_wait_loadcnt 0xe
	v_lshrrev_b32_e32 v131, 16, v36
	s_wait_dscnt 0x0
	v_and_b32_e32 v79, 0xffff, v76
	v_lshrrev_b32_e32 v76, 16, v76
	v_and_b32_e32 v82, 0xffff, v77
	v_lshrrev_b32_e32 v83, 16, v77
	;;#ASMSTART
	v_cvt_f32_f16 v48, v79;
	;;#ASMEND
	v_and_b32_e32 v47, 0xffff, v47
	;;#ASMSTART
	v_cvt_f32_f16 v76, v76;
	;;#ASMEND
	;;#ASMSTART
	v_cvt_f32_f16 v77, v47;
	;;#ASMEND
	;; [unrolled: 3-line block ×7, first 2 shown]
	ds_load_b64 v[82:83], v59 offset:16
	v_and_b32_e32 v132, 0xffff, v36
	s_wait_loadcnt 0xd
	v_lshrrev_b32_e32 v133, 16, v33
	v_and_b32_e32 v134, 0xffff, v33
	v_and_b32_e32 v130, 0xffff, v35
	v_lshrrev_b32_e32 v135, 16, v34
	v_and_b32_e32 v34, 0xffff, v34
	s_wait_dscnt 0x0
	v_and_b32_e32 v45, 0xffff, v82
	v_lshrrev_b32_e32 v86, 16, v82
	v_and_b32_e32 v89, 0xffff, v83
	v_lshrrev_b32_e32 v83, 16, v83
	;;#ASMSTART
	v_cvt_f32_f16 v82, v45;
	;;#ASMEND
	;;#ASMSTART
	v_cvt_f32_f16 v45, v86;
	;;#ASMEND
	;; [unrolled: 3-line block ×3, first 2 shown]
	v_and_b32_e32 v87, 0xffff, v46
	;;#ASMSTART
	v_cvt_f32_f16 v46, v85;
	;;#ASMEND
	;;#ASMSTART
	v_cvt_f32_f16 v86, v89;
	;;#ASMEND
	;; [unrolled: 3-line block ×5, first 2 shown]
	ds_load_b64 v[88:89], v59 offset:24
	s_wait_dscnt 0x0
	v_and_b32_e32 v90, 0xffff, v88
	v_lshrrev_b32_e32 v92, 16, v88
	v_and_b32_e32 v93, 0xffff, v89
	v_lshrrev_b32_e32 v94, 16, v89
	;;#ASMSTART
	v_cvt_f32_f16 v88, v90;
	;;#ASMEND
	v_and_b32_e32 v43, 0xffff, v43
	;;#ASMSTART
	v_cvt_f32_f16 v89, v92;
	;;#ASMEND
	;;#ASMSTART
	v_cvt_f32_f16 v90, v43;
	;;#ASMEND
	;; [unrolled: 3-line block ×4, first 2 shown]
	v_and_b32_e32 v44, 0xffff, v44
	;;#ASMSTART
	v_cvt_f32_f16 v93, v94;
	;;#ASMEND
	;;#ASMSTART
	v_cvt_f32_f16 v94, v44;
	;;#ASMEND
	;;#ASMSTART
	v_cvt_f32_f16 v95, v95;
	;;#ASMEND
	ds_load_b64 v[43:44], v59 offset:32
	v_and_b32_e32 v41, 0xffff, v41
	s_wait_dscnt 0x0
	v_and_b32_e32 v96, 0xffff, v43
	v_lshrrev_b32_e32 v98, 16, v43
	v_and_b32_e32 v99, 0xffff, v44
	v_lshrrev_b32_e32 v100, 16, v44
	;;#ASMSTART
	v_cvt_f32_f16 v43, v96;
	;;#ASMEND
	;;#ASMSTART
	v_cvt_f32_f16 v44, v98;
	;;#ASMEND
	;; [unrolled: 3-line block ×5, first 2 shown]
	v_and_b32_e32 v42, 0xffff, v42
	;;#ASMSTART
	v_cvt_f32_f16 v99, v100;
	;;#ASMEND
	;;#ASMSTART
	v_cvt_f32_f16 v100, v42;
	;;#ASMEND
	;; [unrolled: 3-line block ×3, first 2 shown]
	ds_load_b64 v[41:42], v59 offset:40
	v_and_b32_e32 v39, 0xffff, v39
	s_wait_dscnt 0x0
	v_and_b32_e32 v102, 0xffff, v41
	v_lshrrev_b32_e32 v104, 16, v41
	v_lshrrev_b32_e32 v105, 16, v42
	v_and_b32_e32 v106, 0xffff, v42
	;;#ASMSTART
	v_cvt_f32_f16 v41, v102;
	;;#ASMEND
	;;#ASMSTART
	v_cvt_f32_f16 v42, v104;
	;;#ASMEND
	;; [unrolled: 3-line block ×5, first 2 shown]
	v_and_b32_e32 v40, 0xffff, v40
	;;#ASMSTART
	v_cvt_f32_f16 v105, v105;
	;;#ASMEND
	;;#ASMSTART
	v_cvt_f32_f16 v106, v40;
	;;#ASMEND
	;; [unrolled: 3-line block ×3, first 2 shown]
	ds_load_b64 v[39:40], v59 offset:48
	v_and_b32_e32 v37, 0xffff, v37
	s_wait_dscnt 0x0
	v_and_b32_e32 v108, 0xffff, v39
	v_lshrrev_b32_e32 v110, 16, v39
	v_lshrrev_b32_e32 v111, 16, v40
	v_and_b32_e32 v112, 0xffff, v40
	;;#ASMSTART
	v_cvt_f32_f16 v39, v108;
	;;#ASMEND
	;;#ASMSTART
	v_cvt_f32_f16 v40, v110;
	;;#ASMEND
	;; [unrolled: 3-line block ×8, first 2 shown]
	ds_load_b64 v[37:38], v59 offset:56
	v_and_b32_e32 v31, 0xffff, v31
	s_wait_dscnt 0x0
	v_and_b32_e32 v114, 0xffff, v37
	v_lshrrev_b32_e32 v119, 16, v38
	v_lshrrev_b32_e32 v37, 16, v37
	v_and_b32_e32 v38, 0xffff, v38
	;;#ASMSTART
	v_cvt_f32_f16 v114, v114;
	;;#ASMEND
	;;#ASMSTART
	v_cvt_f32_f16 v115, v37;
	;;#ASMEND
	;; [unrolled: 3-line block ×8, first 2 shown]
	ds_load_b64 v[31:32], v59 offset:64
	v_lshrrev_b32_e32 v38, 16, v30
	v_and_b32_e32 v30, 0xffff, v30
	v_lshrrev_b32_e32 v37, 16, v29
	v_and_b32_e32 v29, 0xffff, v29
	s_wait_dscnt 0x0
	v_and_b32_e32 v122, 0xffff, v31
	v_lshrrev_b32_e32 v127, 16, v32
	v_lshrrev_b32_e32 v31, 16, v31
	v_and_b32_e32 v32, 0xffff, v32
	;;#ASMSTART
	v_cvt_f32_f16 v122, v122;
	;;#ASMEND
	;;#ASMSTART
	v_cvt_f32_f16 v123, v31;
	;;#ASMEND
	;; [unrolled: 3-line block ×7, first 2 shown]
	v_mul_f32_e32 v30, v48, v77
	;;#ASMSTART
	v_cvt_f32_f16 v129, v38;
	;;#ASMEND
	ds_load_b64 v[37:38], v59 offset:72
	v_lshrrev_b32_e32 v32, 16, v35
	v_mul_f32_e32 v31, v76, v78
	v_dual_fmac_f32 v30, v68, v75 :: v_dual_mul_f32 v29, v79, v80
	s_delay_alu instid0(VALU_DEP_1) | instskip(NEXT) | instid1(VALU_DEP_2)
	v_dual_fmac_f32 v31, v69, v74 :: v_dual_fmac_f32 v30, v82, v84
	v_fmac_f32_e32 v29, v72, v73
	s_wait_loadcnt 0xb
	v_lshrrev_b32_e32 v82, 16, v25
	s_delay_alu instid0(VALU_DEP_3) | instskip(NEXT) | instid1(VALU_DEP_3)
	v_fmac_f32_e32 v31, v45, v46
	v_dual_fmac_f32 v30, v88, v90 :: v_dual_fmac_f32 v29, v86, v87
	s_wait_loadcnt 0xa
	v_lshrrev_b32_e32 v87, 16, v23
	s_delay_alu instid0(VALU_DEP_2) | instskip(NEXT) | instid1(VALU_DEP_3)
	v_dual_fmac_f32 v31, v89, v91 :: v_dual_fmac_f32 v30, v43, v96
	v_fmac_f32_e32 v29, v92, v94
	s_wait_dscnt 0x0
	v_lshrrev_b32_e32 v36, 16, v37
	v_lshrrev_b32_e32 v76, 16, v38
	v_and_b32_e32 v48, 0xffff, v38
	v_dual_fmac_f32 v30, v41, v102 :: v_dual_fmac_f32 v29, v98, v100
	s_wait_loadcnt 0x9
	v_lshrrev_b32_e32 v92, 16, v21
	v_fmac_f32_e32 v31, v44, v97
	s_wait_loadcnt 0x8
	v_lshrrev_b32_e32 v100, 16, v20
	v_dual_fmac_f32 v30, v39, v108 :: v_dual_fmac_f32 v29, v104, v106
	s_wait_loadcnt 0x6
	v_lshrrev_b32_e32 v106, 16, v15
	v_dual_fmac_f32 v31, v42, v103 :: v_dual_and_b32 v20, 0xffff, v20
	s_delay_alu instid0(VALU_DEP_3) | instskip(SKIP_3) | instid1(VALU_DEP_3)
	v_dual_fmac_f32 v30, v114, v116 :: v_dual_and_b32 v33, 0xffff, v37
	v_fmac_f32_e32 v29, v110, v112
	s_wait_loadcnt 0x5
	v_lshrrev_b32_e32 v112, 16, v13
	v_dual_fmac_f32 v31, v40, v109 :: v_dual_fmac_f32 v30, v122, v124
	;;#ASMSTART
	v_cvt_f32_f16 v35, v33;
	;;#ASMEND
	;;#ASMSTART
	v_cvt_f32_f16 v36, v36;
	;;#ASMEND
	;; [unrolled: 3-line block ×8, first 2 shown]
	ds_load_b64 v[32:33], v59 offset:80
	v_fmac_f32_e32 v30, v35, v37
	v_lshrrev_b32_e32 v132, 16, v28
	v_dual_fmac_f32 v31, v115, v117 :: v_dual_and_b32 v28, 0xffff, v28
	s_wait_loadcnt 0x4
	v_lshrrev_b32_e32 v117, 16, v11
	v_fmac_f32_e32 v29, v118, v120
	s_wait_loadcnt 0x3
	v_lshrrev_b32_e32 v122, 16, v9
	s_wait_loadcnt 0x2
	v_lshrrev_b32_e32 v124, 16, v7
	v_fmac_f32_e32 v31, v123, v125
	v_lshrrev_b32_e32 v123, 16, v10
	v_dual_fmac_f32 v29, v126, v128 :: v_dual_and_b32 v10, 0xffff, v10
	v_lshrrev_b32_e32 v125, 16, v8
	s_delay_alu instid0(VALU_DEP_4) | instskip(SKIP_1) | instid1(VALU_DEP_3)
	v_dual_fmac_f32 v31, v36, v38 :: v_dual_and_b32 v8, 0xffff, v8
	s_wait_dscnt 0x0
	v_dual_fmac_f32 v29, v48, v77 :: v_dual_and_b32 v68, 0xffff, v32
	v_lshrrev_b32_e32 v32, 16, v32
	;;#ASMSTART
	v_cvt_f32_f16 v68, v68;
	;;#ASMEND
	;;#ASMSTART
	v_cvt_f32_f16 v69, v32;
	;;#ASMEND
	v_mul_f32_e32 v32, v47, v81
	v_lshrrev_b32_e32 v81, 16, v27
	v_lshrrev_b32_e32 v80, 16, v33
	;;#ASMSTART
	v_cvt_f32_f16 v74, v134;
	;;#ASMEND
	;;#ASMSTART
	v_cvt_f32_f16 v75, v133;
	;;#ASMEND
	v_fmac_f32_e32 v32, v70, v71
	v_dual_fmac_f32 v30, v68, v74 :: v_dual_fmac_f32 v31, v69, v75
	s_delay_alu instid0(VALU_DEP_2) | instskip(NEXT) | instid1(VALU_DEP_1)
	v_fmac_f32_e32 v32, v83, v85
	v_fmac_f32_e32 v32, v93, v95
	v_lshrrev_b32_e32 v95, 16, v22
	v_and_b32_e32 v22, 0xffff, v22
	s_delay_alu instid0(VALU_DEP_3) | instskip(NEXT) | instid1(VALU_DEP_1)
	v_fmac_f32_e32 v32, v99, v101
	v_fmac_f32_e32 v32, v105, v107
	s_delay_alu instid0(VALU_DEP_1) | instskip(NEXT) | instid1(VALU_DEP_1)
	v_dual_fmac_f32 v32, v111, v113 :: v_dual_and_b32 v27, 0xffff, v27
	v_dual_fmac_f32 v32, v119, v121 :: v_dual_and_b32 v23, 0xffff, v23
	s_delay_alu instid0(VALU_DEP_1) | instskip(NEXT) | instid1(VALU_DEP_1)
	v_dual_fmac_f32 v32, v127, v129 :: v_dual_and_b32 v15, 0xffff, v15
	v_dual_fmac_f32 v32, v76, v78 :: v_dual_and_b32 v33, 0xffff, v33
	;;#ASMSTART
	v_cvt_f32_f16 v79, v33;
	;;#ASMEND
	;;#ASMSTART
	v_cvt_f32_f16 v80, v80;
	;;#ASMEND
	;; [unrolled: 3-line block ×4, first 2 shown]
	ds_load_b64 v[33:34], v59 offset:88
	v_dual_fmac_f32 v32, v80, v131 :: v_dual_and_b32 v25, 0xffff, v25
	v_fmac_f32_e32 v29, v79, v130
	s_wait_dscnt 0x0
	v_and_b32_e32 v71, 0xffff, v34
	v_and_b32_e32 v47, 0xffff, v33
	v_lshrrev_b32_e32 v70, 16, v33
	v_lshrrev_b32_e32 v72, 16, v34
	;;#ASMSTART
	v_cvt_f32_f16 v33, v47;
	;;#ASMEND
	;;#ASMSTART
	v_cvt_f32_f16 v34, v70;
	;;#ASMEND
	;; [unrolled: 3-line block ×8, first 2 shown]
	ds_load_b64 v[27:28], v59 offset:96
	v_lshrrev_b32_e32 v132, 16, v26
	v_and_b32_e32 v26, 0xffff, v26
	v_fmac_f32_e32 v32, v72, v81
	v_dual_fmac_f32 v30, v33, v47 :: v_dual_and_b32 v21, 0xffff, v21
	v_fmac_f32_e32 v31, v34, v70
	v_fmac_f32_e32 v29, v71, v73
	s_wait_loadcnt 0x1
	v_lshrrev_b32_e32 v33, 16, v5
	s_wait_dscnt 0x0
	v_and_b32_e32 v45, 0xffff, v27
	v_lshrrev_b32_e32 v46, 16, v27
	v_lshrrev_b32_e32 v83, 16, v28
	v_and_b32_e32 v84, 0xffff, v28
	;;#ASMSTART
	v_cvt_f32_f16 v27, v45;
	;;#ASMEND
	;;#ASMSTART
	v_cvt_f32_f16 v28, v46;
	;;#ASMEND
	;; [unrolled: 3-line block ×8, first 2 shown]
	ds_load_b64 v[25:26], v59 offset:104
	v_lshrrev_b32_e32 v132, 16, v24
	v_and_b32_e32 v24, 0xffff, v24
	v_fmac_f32_e32 v30, v27, v45
	v_dual_fmac_f32 v32, v83, v85 :: v_dual_fmac_f32 v31, v28, v46
	s_wait_dscnt 0x0
	v_dual_fmac_f32 v29, v82, v84 :: v_dual_and_b32 v86, 0xffff, v25
	v_lshrrev_b32_e32 v88, 16, v25
	v_lshrrev_b32_e32 v89, 16, v26
	v_and_b32_e32 v90, 0xffff, v26
	;;#ASMSTART
	v_cvt_f32_f16 v25, v86;
	;;#ASMEND
	;;#ASMSTART
	v_cvt_f32_f16 v26, v88;
	;;#ASMEND
	;;#ASMSTART
	v_cvt_f32_f16 v86, v23;
	;;#ASMEND
	;;#ASMSTART
	v_cvt_f32_f16 v87, v87;
	;;#ASMEND
	;;#ASMSTART
	v_cvt_f32_f16 v88, v90;
	;;#ASMEND
	;;#ASMSTART
	v_cvt_f32_f16 v89, v89;
	;;#ASMEND
	;;#ASMSTART
	v_cvt_f32_f16 v90, v24;
	;;#ASMEND
	;;#ASMSTART
	v_cvt_f32_f16 v91, v132;
	;;#ASMEND
	ds_load_b64 v[23:24], v59 offset:112
	v_fmac_f32_e32 v30, v25, v86
	v_fmac_f32_e32 v32, v89, v91
	v_lshrrev_b32_e32 v132, 16, v18
	v_dual_fmac_f32 v31, v26, v87 :: v_dual_and_b32 v18, 0xffff, v18
	v_fmac_f32_e32 v29, v88, v90
	s_wait_dscnt 0x0
	v_and_b32_e32 v43, 0xffff, v23
	v_lshrrev_b32_e32 v93, 16, v23
	v_lshrrev_b32_e32 v94, 16, v24
	v_and_b32_e32 v96, 0xffff, v24
	;;#ASMSTART
	v_cvt_f32_f16 v23, v43;
	;;#ASMEND
	;;#ASMSTART
	v_cvt_f32_f16 v24, v93;
	;;#ASMEND
	;; [unrolled: 3-line block ×8, first 2 shown]
	ds_load_b64 v[21:22], v59 offset:120
	v_lshrrev_b32_e32 v96, 16, v19
	v_and_b32_e32 v19, 0xffff, v19
	v_fmac_f32_e32 v30, v23, v43
	v_dual_fmac_f32 v32, v93, v95 :: v_dual_fmac_f32 v31, v24, v44
	v_fmac_f32_e32 v29, v92, v94
	s_wait_dscnt 0x0
	v_and_b32_e32 v97, 0xffff, v21
	v_lshrrev_b32_e32 v98, 16, v21
	v_lshrrev_b32_e32 v99, 16, v22
	v_and_b32_e32 v101, 0xffff, v22
	;;#ASMSTART
	v_cvt_f32_f16 v21, v97;
	;;#ASMEND
	;;#ASMSTART
	v_cvt_f32_f16 v22, v98;
	;;#ASMEND
	;;#ASMSTART
	v_cvt_f32_f16 v41, v19;
	;;#ASMEND
	;;#ASMSTART
	v_cvt_f32_f16 v96, v96;
	;;#ASMEND
	;;#ASMSTART
	v_cvt_f32_f16 v97, v101;
	;;#ASMEND
	;;#ASMSTART
	v_cvt_f32_f16 v98, v99;
	;;#ASMEND
	;;#ASMSTART
	v_cvt_f32_f16 v99, v20;
	;;#ASMEND
	;;#ASMSTART
	v_cvt_f32_f16 v100, v100;
	;;#ASMEND
	ds_load_b64 v[19:20], v59 offset:128
	v_lshrrev_b32_e32 v101, 16, v17
	v_and_b32_e32 v17, 0xffff, v17
	v_dual_fmac_f32 v32, v98, v100 :: v_dual_and_b32 v13, 0xffff, v13
	v_dual_fmac_f32 v30, v21, v41 :: v_dual_and_b32 v11, 0xffff, v11
	v_fmac_f32_e32 v31, v22, v96
	v_fmac_f32_e32 v29, v97, v99
	v_lshrrev_b32_e32 v21, 16, v6
	v_and_b32_e32 v6, 0xffff, v6
	s_wait_loadcnt 0x0
	v_lshrrev_b32_e32 v22, 16, v3
	s_wait_dscnt 0x0
	v_and_b32_e32 v42, 0xffff, v19
	v_lshrrev_b32_e32 v102, 16, v19
	v_lshrrev_b32_e32 v103, 16, v20
	v_and_b32_e32 v104, 0xffff, v20
	;;#ASMSTART
	v_cvt_f32_f16 v19, v42;
	;;#ASMEND
	;;#ASMSTART
	v_cvt_f32_f16 v20, v102;
	;;#ASMEND
	;; [unrolled: 3-line block ×8, first 2 shown]
	ds_load_b64 v[17:18], v59 offset:136
	v_lshrrev_b32_e32 v132, 16, v16
	v_and_b32_e32 v16, 0xffff, v16
	v_dual_fmac_f32 v30, v19, v42 :: v_dual_and_b32 v9, 0xffff, v9
	v_dual_fmac_f32 v32, v103, v105 :: v_dual_and_b32 v7, 0xffff, v7
	v_fmac_f32_e32 v31, v20, v101
	v_fmac_f32_e32 v29, v102, v104
	s_wait_dscnt 0x0
	v_and_b32_e32 v39, 0xffff, v17
	v_lshrrev_b32_e32 v40, 16, v17
	v_lshrrev_b32_e32 v107, 16, v18
	v_and_b32_e32 v108, 0xffff, v18
	;;#ASMSTART
	v_cvt_f32_f16 v17, v39;
	;;#ASMEND
	;;#ASMSTART
	v_cvt_f32_f16 v18, v40;
	;;#ASMEND
	;;#ASMSTART
	v_cvt_f32_f16 v39, v15;
	;;#ASMEND
	;;#ASMSTART
	v_cvt_f32_f16 v40, v106;
	;;#ASMEND
	;;#ASMSTART
	v_cvt_f32_f16 v106, v108;
	;;#ASMEND
	;;#ASMSTART
	v_cvt_f32_f16 v107, v107;
	;;#ASMEND
	;;#ASMSTART
	v_cvt_f32_f16 v108, v16;
	;;#ASMEND
	;;#ASMSTART
	v_cvt_f32_f16 v109, v132;
	;;#ASMEND
	ds_load_b64 v[15:16], v59 offset:144
	v_lshrrev_b32_e32 v132, 16, v14
	v_and_b32_e32 v14, 0xffff, v14
	v_fmac_f32_e32 v30, v17, v39
	v_dual_fmac_f32 v32, v107, v109 :: v_dual_fmac_f32 v31, v18, v40
	s_wait_dscnt 0x0
	v_dual_fmac_f32 v29, v106, v108 :: v_dual_and_b32 v110, 0xffff, v15
	v_lshrrev_b32_e32 v111, 16, v15
	v_lshrrev_b32_e32 v113, 16, v16
	v_and_b32_e32 v114, 0xffff, v16
	;;#ASMSTART
	v_cvt_f32_f16 v15, v110;
	;;#ASMEND
	;;#ASMSTART
	v_cvt_f32_f16 v16, v111;
	;;#ASMEND
	;; [unrolled: 3-line block ×8, first 2 shown]
	ds_load_b64 v[13:14], v59 offset:152
	v_lshrrev_b32_e32 v132, 16, v12
	v_and_b32_e32 v12, 0xffff, v12
	v_dual_fmac_f32 v30, v15, v110 :: v_dual_and_b32 v5, 0xffff, v5
	v_fmac_f32_e32 v32, v113, v115
	v_fmac_f32_e32 v31, v16, v111
	s_wait_dscnt 0x0
	v_dual_fmac_f32 v29, v112, v114 :: v_dual_and_b32 v116, 0xffff, v13
	v_lshrrev_b32_e32 v118, 16, v13
	v_lshrrev_b32_e32 v119, 16, v14
	v_and_b32_e32 v120, 0xffff, v14
	;;#ASMSTART
	v_cvt_f32_f16 v13, v116;
	;;#ASMEND
	;;#ASMSTART
	v_cvt_f32_f16 v14, v118;
	;;#ASMEND
	;; [unrolled: 3-line block ×8, first 2 shown]
	ds_load_b64 v[11:12], v59 offset:160
	v_fmac_f32_e32 v30, v13, v116
	v_fmac_f32_e32 v32, v119, v121
	;; [unrolled: 1-line block ×4, first 2 shown]
	s_wait_dscnt 0x0
	v_and_b32_e32 v35, 0xffff, v11
	v_lshrrev_b32_e32 v36, 16, v11
	v_lshrrev_b32_e32 v38, 16, v12
	v_and_b32_e32 v37, 0xffff, v12
	;;#ASMSTART
	v_cvt_f32_f16 v11, v35;
	;;#ASMEND
	;;#ASMSTART
	v_cvt_f32_f16 v12, v36;
	;;#ASMEND
	;;#ASMSTART
	v_cvt_f32_f16 v35, v9;
	;;#ASMEND
	;;#ASMSTART
	v_cvt_f32_f16 v36, v122;
	;;#ASMEND
	;;#ASMSTART
	v_cvt_f32_f16 v37, v37;
	;;#ASMEND
	;;#ASMSTART
	v_cvt_f32_f16 v38, v38;
	;;#ASMEND
	;;#ASMSTART
	v_cvt_f32_f16 v48, v10;
	;;#ASMEND
	;;#ASMSTART
	v_cvt_f32_f16 v68, v123;
	;;#ASMEND
	ds_load_b64 v[9:10], v59 offset:168
	v_dual_fmac_f32 v30, v11, v35 :: v_dual_fmac_f32 v31, v12, v36
	v_fmac_f32_e32 v29, v37, v48
	v_dual_fmac_f32 v32, v38, v68 :: v_dual_and_b32 v13, 0xffff, v3
	v_lshrrev_b32_e32 v11, 16, v4
	s_wait_dscnt 0x0
	v_and_b32_e32 v23, 0xffff, v9
	v_lshrrev_b32_e32 v25, 16, v9
	v_lshrrev_b32_e32 v26, 16, v10
	v_and_b32_e32 v27, 0xffff, v10
	;;#ASMSTART
	v_cvt_f32_f16 v9, v23;
	;;#ASMEND
	;;#ASMSTART
	v_cvt_f32_f16 v10, v25;
	;;#ASMEND
	;; [unrolled: 3-line block ×8, first 2 shown]
	ds_load_b64 v[7:8], v59 offset:176
	v_dual_fmac_f32 v30, v9, v23 :: v_dual_and_b32 v9, 0xffff, v4
	v_fmac_f32_e32 v31, v10, v24
	v_fmac_f32_e32 v29, v25, v27
	s_wait_dscnt 0x0
	v_and_b32_e32 v15, 0xffff, v7
	v_lshrrev_b32_e32 v16, 16, v7
	v_lshrrev_b32_e32 v18, 16, v8
	v_and_b32_e32 v17, 0xffff, v8
	;;#ASMSTART
	v_cvt_f32_f16 v7, v15;
	;;#ASMEND
	;;#ASMSTART
	v_cvt_f32_f16 v8, v16;
	;;#ASMEND
	;; [unrolled: 3-line block ×8, first 2 shown]
	ds_load_b64 v[5:6], v59 offset:184
	v_dual_fmac_f32 v30, v7, v15 :: v_dual_fmac_f32 v31, v8, v16
	v_dual_fmac_f32 v32, v26, v28 :: v_dual_fmac_f32 v29, v17, v19
	s_wait_dscnt 0x0
	v_and_b32_e32 v3, 0xffff, v5
	v_lshrrev_b32_e32 v4, 16, v5
	v_lshrrev_b32_e32 v7, 16, v6
	v_and_b32_e32 v8, 0xffff, v6
	;;#ASMSTART
	v_cvt_f32_f16 v3, v3;
	;;#ASMEND
	;;#ASMSTART
	v_cvt_f32_f16 v4, v4;
	;;#ASMEND
	;; [unrolled: 3-line block ×4, first 2 shown]
	v_dual_fmac_f32 v30, v3, v5 :: v_dual_fmac_f32 v31, v4, v6
	;;#ASMSTART
	v_cvt_f32_f16 v3, v8;
	;;#ASMEND
	v_fmac_f32_e32 v32, v18, v20
	;;#ASMSTART
	v_cvt_f32_f16 v4, v7;
	;;#ASMEND
	;;#ASMSTART
	v_cvt_f32_f16 v5, v9;
	;;#ASMEND
	v_fmac_f32_e32 v29, v3, v5
	v_add_f32_e32 v3, v30, v31
	;;#ASMSTART
	v_cvt_f32_f16 v5, v11;
	;;#ASMEND
	v_fmac_f32_e32 v32, v4, v5
	s_wait_alu 0xf1ff
	v_cndmask_b32_e64 v4, v56, v66, s4
	s_delay_alu instid0(VALU_DEP_1) | instskip(NEXT) | instid1(VALU_DEP_1)
	v_dual_add_f32 v3, v3, v29 :: v_dual_lshlrev_b32 v4, 2, v4
	v_add_f32_e32 v3, v32, v3
	ds_bpermute_b32 v4, v4, v3
	s_and_saveexec_b32 s38, s3
	s_cbranch_execz .LBB97_11
; %bb.19:                               ;   in Loop: Header=BB97_13 Depth=1
	s_wait_dscnt 0x0
	v_add_f32_e32 v3, v3, v4
	v_add_nc_u32_e32 v5, v63, v62
	s_delay_alu instid0(VALU_DEP_1) | instskip(NEXT) | instid1(VALU_DEP_1)
	v_cvt_f32_i32_e32 v5, v5
	v_mul_f32_e32 v5, s15, v5
	s_delay_alu instid0(VALU_DEP_1) | instskip(NEXT) | instid1(VALU_DEP_1)
	v_cndmask_b32_e32 v4, 0, v5, vcc_lo
	v_dual_max_num_f32 v5, v57, v57 :: v_dual_fmac_f32 v4, s7, v3
	v_add_nc_u32_e32 v3, v58, v62
	s_delay_alu instid0(VALU_DEP_2) | instskip(NEXT) | instid1(VALU_DEP_2)
	v_max_num_f32_e32 v5, v5, v4
	v_cmp_gt_i32_e64 s4, s31, v3
	s_wait_alu 0xf1ff
	s_delay_alu instid0(VALU_DEP_1) | instskip(NEXT) | instid1(VALU_DEP_3)
	v_cndmask_b32_e64 v3, 0, v4, s4
	v_cndmask_b32_e64 v57, v57, v5, s4
	ds_store_b32 v64, v3
	s_branch .LBB97_11
.LBB97_20:
	s_or_b32 exec_lo, exec_lo, s28
.LBB97_21:
	s_delay_alu instid0(SALU_CYCLE_1)
	s_or_b32 exec_lo, exec_lo, s6
	v_xor_b32_e32 v1, 16, v56
	v_xor_b32_e32 v2, 8, v56
	s_clause 0x2
	s_load_b128 s[4:7], s[0:1], 0x0
	s_load_b64 s[14:15], s[0:1], 0x10
	s_load_b64 s[28:29], s[0:1], 0x28
	v_and_b32_e32 v9, 31, v0
	v_lshlrev_b32_e32 v7, 2, v51
	v_cmp_gt_i32_e32 vcc_lo, 32, v1
	s_wait_alu 0xfffd
	v_cndmask_b32_e32 v1, v56, v1, vcc_lo
	v_cmp_gt_i32_e32 vcc_lo, 32, v2
	s_wait_alu 0xfffd
	v_dual_max_num_f32 v5, v57, v57 :: v_dual_cndmask_b32 v2, v56, v2
	s_wait_dscnt 0x0
	s_delay_alu instid0(VALU_DEP_1) | instskip(SKIP_4) | instid1(VALU_DEP_1)
	v_lshlrev_b32_e32 v4, 2, v2
	v_lshlrev_b32_e32 v3, 2, v1
	ds_bpermute_b32 v1, v3, v57
	s_wait_dscnt 0x0
	v_max_num_f32_e32 v1, v1, v1
	v_max_num_f32_e32 v1, v5, v1
	v_xor_b32_e32 v5, 4, v56
	ds_bpermute_b32 v2, v4, v1
	v_cmp_gt_i32_e32 vcc_lo, 32, v5
	s_wait_dscnt 0x0
	s_wait_alu 0xfffd
	v_dual_cndmask_b32 v5, v56, v5 :: v_dual_max_num_f32 v2, v2, v2
	s_delay_alu instid0(VALU_DEP_1) | instskip(SKIP_1) | instid1(VALU_DEP_3)
	v_lshlrev_b32_e32 v6, 2, v5
	v_xor_b32_e32 v5, 2, v56
	v_max_num_f32_e32 v1, v1, v2
	s_delay_alu instid0(VALU_DEP_2)
	v_cmp_gt_i32_e32 vcc_lo, 32, v5
	ds_bpermute_b32 v2, v6, v1
	s_wait_alu 0xfffd
	v_cndmask_b32_e32 v5, v56, v5, vcc_lo
	v_cmp_eq_u32_e32 vcc_lo, 0, v9
	s_wait_dscnt 0x0
	v_max_num_f32_e32 v2, v2, v2
	s_delay_alu instid0(VALU_DEP_1)
	v_dual_max_num_f32 v1, v1, v2 :: v_dual_lshlrev_b32 v2, 2, v5
	ds_bpermute_b32 v5, v2, v1
	s_and_saveexec_b32 s0, vcc_lo
	s_cbranch_execz .LBB97_23
; %bb.22:
	s_wait_dscnt 0x0
	v_max_num_f32_e32 v5, v5, v5
	v_max_num_f32_e32 v1, v1, v1
	s_delay_alu instid0(VALU_DEP_1)
	v_max_num_f32_e32 v1, v1, v5
	ds_store_b32 v7, v1 offset:384
.LBB97_23:
	s_or_b32 exec_lo, exec_lo, s0
	v_cmp_gt_u32_e64 s0, 4, v9
	v_dual_mov_b32 v1, 0xff7fffff :: v_dual_lshlrev_b32 v8, 2, v9
	s_wait_loadcnt_dscnt 0x0
	s_barrier_signal -1
	s_barrier_wait -1
	global_inv scope:SCOPE_SE
	s_and_saveexec_b32 s1, s0
; %bb.24:
	ds_load_b32 v1, v8 offset:384
; %bb.25:
	s_or_b32 exec_lo, exec_lo, s1
	s_wait_dscnt 0x0
	ds_bpermute_b32 v5, v2, v1
	v_xor_b32_e32 v10, 1, v56
	v_mov_b32_e32 v11, 0
	s_delay_alu instid0(VALU_DEP_2) | instskip(NEXT) | instid1(VALU_DEP_1)
	v_cmp_gt_i32_e64 s1, 32, v10
	v_cndmask_b32_e64 v10, v56, v10, s1
	v_max_num_f32_e32 v1, v1, v1
	s_sub_co_i32 s1, s19, s36
	s_wait_alu 0xfffe
	s_lshl_b32 s1, s1, 4
	v_lshlrev_b32_e32 v10, 2, v10
	s_wait_alu 0xfffe
	s_add_co_i32 s1, s1, s33
	s_wait_alu 0xfffe
	s_min_i32 s1, s1, s31
	s_wait_dscnt 0x0
	v_max_num_f32_e32 v5, v5, v5
	s_wait_alu 0xfffe
	s_sub_co_i32 s25, s1, s33
	s_wait_alu 0xfffe
	v_cmp_gt_i32_e64 s1, s25, v0
	v_max_num_f32_e32 v1, v1, v5
	ds_bpermute_b32 v5, v10, v1
	s_wait_dscnt 0x0
	v_max_num_f32_e32 v5, v5, v5
	s_delay_alu instid0(VALU_DEP_1)
	v_max_num_f32_e32 v1, v1, v5
	v_lshl_add_u32 v5, v0, 2, 0x1a0
	ds_bpermute_b32 v1, v11, v1
	s_and_saveexec_b32 s33, s1
	s_cbranch_execz .LBB97_29
; %bb.26:
	v_lshl_add_u32 v12, v0, 2, 0x1a0
	v_mov_b32_e32 v11, 0
	v_mov_b32_e32 v13, v0
	s_mov_b32 s36, 0
.LBB97_27:                              ; =>This Inner Loop Header: Depth=1
	ds_load_b32 v14, v12
	v_add_nc_u32_e32 v13, 0x80, v13
	s_delay_alu instid0(VALU_DEP_1) | instskip(SKIP_4) | instid1(VALU_DEP_1)
	v_cmp_le_i32_e64 s3, s25, v13
	s_wait_alu 0xfffe
	s_or_b32 s36, s3, s36
	s_wait_dscnt 0x0
	v_sub_f32_e32 v14, v14, v1
	v_mul_f32_e32 v14, 0x3fb8aa3b, v14
	s_delay_alu instid0(VALU_DEP_1)
	v_exp_f32_e32 v14, v14
	ds_store_b32 v12, v14
	v_dual_add_f32 v11, v11, v14 :: v_dual_add_nc_u32 v12, 0x200, v12
	s_wait_alu 0xfffe
	s_and_not1_b32 exec_lo, exec_lo, s36
	s_cbranch_execnz .LBB97_27
; %bb.28:
	s_or_b32 exec_lo, exec_lo, s36
.LBB97_29:
	s_wait_alu 0xfffe
	s_or_b32 exec_lo, exec_lo, s33
	ds_bpermute_b32 v3, v3, v11
	s_wait_dscnt 0x0
	v_add_f32_e32 v3, v11, v3
	ds_bpermute_b32 v4, v4, v3
	s_wait_dscnt 0x0
	v_add_f32_e32 v3, v3, v4
	;; [unrolled: 3-line block ×5, first 2 shown]
	s_and_saveexec_b32 s3, vcc_lo
; %bb.30:
	ds_store_b32 v7, v3 offset:400
; %bb.31:
	s_wait_alu 0xfffe
	s_or_b32 exec_lo, exec_lo, s3
	s_wait_loadcnt_dscnt 0x0
	s_barrier_signal -1
	s_barrier_wait -1
	global_inv scope:SCOPE_SE
	s_and_saveexec_b32 s3, s0
; %bb.32:
	ds_load_b32 v3, v8 offset:400
; %bb.33:
	s_wait_alu 0xfffe
	s_or_b32 exec_lo, exec_lo, s3
	s_wait_dscnt 0x0
	ds_bpermute_b32 v2, v2, v3
	s_wait_dscnt 0x0
	v_add_f32_e32 v2, v3, v2
	ds_bpermute_b32 v3, v10, v2
	s_wait_dscnt 0x0
	v_dual_add_f32 v2, v2, v3 :: v_dual_mov_b32 v3, 0
	ds_bpermute_b32 v2, v3, v2
	s_and_saveexec_b32 s0, s1
	s_cbranch_execz .LBB97_36
; %bb.34:
	s_wait_dscnt 0x0
	v_add_f32_e32 v3, 0x358637bd, v2
	s_mov_b32 s1, 0
	s_delay_alu instid0(VALU_DEP_1) | instskip(SKIP_1) | instid1(VALU_DEP_2)
	v_div_scale_f32 v4, null, v3, v3, 1.0
	v_div_scale_f32 v8, vcc_lo, 1.0, v3, 1.0
	v_rcp_f32_e32 v6, v4
	s_delay_alu instid0(TRANS32_DEP_1) | instskip(NEXT) | instid1(VALU_DEP_1)
	v_fma_f32 v7, -v4, v6, 1.0
	v_fmac_f32_e32 v6, v7, v6
	s_delay_alu instid0(VALU_DEP_1) | instskip(NEXT) | instid1(VALU_DEP_1)
	v_mul_f32_e32 v7, v8, v6
	v_fma_f32 v11, -v4, v7, v8
	s_delay_alu instid0(VALU_DEP_1) | instskip(NEXT) | instid1(VALU_DEP_1)
	v_fmac_f32_e32 v7, v11, v6
	v_fma_f32 v4, -v4, v7, v8
	s_wait_alu 0xfffd
	s_delay_alu instid0(VALU_DEP_1) | instskip(NEXT) | instid1(VALU_DEP_1)
	v_div_fmas_f32 v4, v4, v6, v7
	v_div_fixup_f32 v3, v4, v3, 1.0
	v_mov_b32_e32 v4, v0
.LBB97_35:                              ; =>This Inner Loop Header: Depth=1
	ds_load_b32 v6, v5
	v_add_nc_u32_e32 v4, 0x80, v4
	s_delay_alu instid0(VALU_DEP_1)
	v_cmp_le_i32_e32 vcc_lo, s25, v4
	s_wait_alu 0xfffe
	s_or_b32 s1, vcc_lo, s1
	s_wait_dscnt 0x0
	v_mul_f32_e32 v6, v3, v6
	ds_store_b32 v5, v6
	v_add_nc_u32_e32 v5, 0x200, v5
	s_wait_alu 0xfffe
	s_and_not1_b32 exec_lo, exec_lo, s1
	s_cbranch_execnz .LBB97_35
.LBB97_36:
	s_wait_alu 0xfffe
	s_or_b32 exec_lo, exec_lo, s0
	s_mul_i32 s0, s8, s26
	s_wait_loadcnt_dscnt 0x0
	s_wait_alu 0xfffe
	s_mul_i32 s26, s0, s27
	s_mov_b32 s0, exec_lo
	s_barrier_signal -1
	s_barrier_wait -1
	global_inv scope:SCOPE_SE
	v_cmpx_eq_u32_e32 0, v0
	s_cbranch_execz .LBB97_38
; %bb.37:
	s_ashr_i32 s27, s26, 31
	s_wait_alu 0xfffe
	s_mul_i32 s36, s8, ttmp9
	s_lshl_b32 s1, s30, 2
	s_lshl_b64 s[38:39], s[26:27], 2
	s_wait_alu 0xfffe
	s_ashr_i32 s37, s36, 31
	v_mov_b32_e32 v3, s1
	s_wait_kmcnt 0x0
	s_add_nc_u64 s[6:7], s[6:7], s[38:39]
	s_wait_alu 0xfffe
	s_lshl_b64 s[36:37], s[36:37], 2
	s_add_nc_u64 s[4:5], s[4:5], s[38:39]
	s_wait_alu 0xfffe
	s_add_nc_u64 s[6:7], s[6:7], s[36:37]
	s_add_nc_u64 s[4:5], s[4:5], s[36:37]
	s_clause 0x1
	global_store_b32 v3, v1, s[6:7]
	global_store_b32 v3, v2, s[4:5]
.LBB97_38:
	s_wait_alu 0xfffe
	s_or_b32 exec_lo, exec_lo, s0
	v_dual_mov_b32 v22, 0 :: v_dual_mov_b32 v21, 0
	v_dual_mov_b32 v20, 0 :: v_dual_mov_b32 v19, 0
	;; [unrolled: 1-line block ×6, first 2 shown]
	s_and_saveexec_b32 s1, s2
	s_cbranch_execz .LBB97_68
; %bb.39:
	s_abs_i32 s2, s10
	v_dual_mov_b32 v11, 0 :: v_dual_lshlrev_b32 v2, 4, v0
	s_wait_alu 0xfffe
	s_cvt_f32_u32 s0, s2
	v_dual_mov_b32 v14, 0 :: v_dual_lshlrev_b32 v3, 5, v50
	s_ashr_i32 s25, s24, 31
	s_wait_alu 0xfffe
	v_rcp_iflag_f32_e32 v1, s0
	s_wait_kmcnt 0x0
	s_lshl_b64 s[6:7], s[22:23], 2
	s_lshl_b64 s[22:23], s[24:25], 1
	s_wait_alu 0xfffe
	s_add_nc_u64 s[6:7], s[20:21], s[6:7]
	s_add_nc_u64 s[20:21], s[28:29], s[22:23]
	s_wait_alu 0xfffe
	v_add_co_u32 v5, s6, s6, v55
	s_sub_co_i32 s5, 0, s2
	v_add_co_ci_u32_e64 v6, null, s7, 0, s6
	v_readfirstlane_b32 s0, v1
	v_dual_mov_b32 v16, 0 :: v_dual_and_b32 v1, 0x1f0, v2
	v_lshl_or_b32 v2, v51, 6, v3
	v_dual_mov_b32 v12, 0 :: v_dual_and_b32 v23, 8, v54
	s_mul_f32 s0, s0, 0x4f7ffffe
	s_delay_alu instid0(VALU_DEP_3)
	v_add_co_u32 v24, s6, s20, v1
	s_wait_alu 0xf1ff
	v_add_co_ci_u32_e64 v25, null, s21, 0, s6
	s_wait_alu 0xfffe
	s_cvt_u32_f32 s0, s0
	v_dual_mov_b32 v13, 0 :: v_dual_add_nc_u32 v26, 0x1a0, v2
	v_dual_mov_b32 v15, 0 :: v_dual_mov_b32 v18, 0
	s_wait_alu 0xfffe
	s_mul_i32 s5, s5, s0
	v_dual_mov_b32 v17, 0 :: v_dual_mov_b32 v20, 0
	v_dual_mov_b32 v19, 0 :: v_dual_mov_b32 v22, 0
	v_mov_b32_e32 v21, 0
	s_wait_alu 0xfffe
	s_mul_hi_u32 s6, s0, s5
	s_sub_co_i32 s3, s35, s9
	s_mov_b32 s4, s13
	s_add_co_i32 s34, s34, -1
	s_mov_b32 s5, 0
	s_wait_alu 0xfffe
	s_add_co_i32 s6, s0, s6
	s_branch .LBB97_42
.LBB97_40:                              ;   in Loop: Header=BB97_42 Depth=1
	s_wait_alu 0xfffe
	s_or_b32 exec_lo, exec_lo, s0
	v_dual_add_f32 v27, v65, v66 :: v_dual_add_f32 v28, v62, v63
	v_dual_add_f32 v29, v60, v61 :: v_dual_add_f32 v30, v58, v59
	v_add_f32_e32 v31, v56, v57
	s_delay_alu instid0(VALU_DEP_3) | instskip(SKIP_1) | instid1(VALU_DEP_4)
	v_dual_add_f32 v12, v12, v27 :: v_dual_add_f32 v13, v13, v28
	v_lshlrev_b32_e32 v28, 16, v64
	v_dual_add_f32 v14, v14, v29 :: v_dual_add_f32 v15, v15, v30
	s_delay_alu instid0(VALU_DEP_4) | instskip(SKIP_3) | instid1(VALU_DEP_4)
	v_dual_add_f32 v16, v16, v31 :: v_dual_add_f32 v29, v47, v48
	v_dual_add_f32 v27, v54, v55 :: v_dual_lshlrev_b32 v8, 16, v8
	v_lshlrev_b32_e32 v7, 16, v7
	v_and_or_b32 v1, 0xffff, v1, v28
	v_add_f32_e32 v18, v18, v29
	;;#ASMSTART
	v_pk_mul_f16 v1, v34, v1;

	;;#ASMEND
	v_and_or_b32 v2, 0xffff, v2, v8
	v_and_or_b32 v3, 0xffff, v3, v7
	;;#ASMSTART
	v_pk_mul_f16 v2, v33, v2;

	;;#ASMEND
	;;#ASMSTART
	v_pk_mul_f16 v3, v37, v3;

	;;#ASMEND
	;; [unrolled: 4-line block ×3, first 2 shown]
	;;#ASMSTART
	v_pk_add_f16 v1, v1, v2;

	;;#ASMEND
	;;#ASMSTART
	v_pk_add_f16 v1, v1, v3;

	;;#ASMEND
	;;#ASMSTART
	v_pk_add_f16 v1, v1, v4;

	;;#ASMEND
	v_dual_add_f32 v17, v17, v27 :: v_dual_and_b32 v4, 0xffff, v1
	v_lshrrev_b32_e32 v8, 16, v1
	;;#ASMSTART
	v_cvt_f32_f16 v4, v4;
	;;#ASMEND
	v_dual_add_f32 v1, v43, v44 :: v_dual_add_f32 v2, v41, v42
	v_add_f32_e32 v3, v35, v36
	;;#ASMSTART
	v_cvt_f32_f16 v8, v8;
	;;#ASMEND
	v_dual_add_f32 v7, v45, v46 :: v_dual_add_f32 v4, v4, v8
	s_delay_alu instid0(VALU_DEP_3) | instskip(NEXT) | instid1(VALU_DEP_3)
	v_dual_add_f32 v20, v20, v1 :: v_dual_add_f32 v21, v21, v2
	v_add_f32_e32 v22, v22, v3
	s_delay_alu instid0(VALU_DEP_3) | instskip(NEXT) | instid1(VALU_DEP_4)
	v_add_f32_e32 v19, v19, v7
	v_add_f32_e32 v11, v11, v4
.LBB97_41:                              ;   in Loop: Header=BB97_42 Depth=1
	s_wait_alu 0xfffe
	s_or_b32 exec_lo, exec_lo, s7
	v_add_nc_u32_e32 v53, 4, v53
	v_add_co_u32 v5, s0, v5, 16
	s_wait_alu 0xf1ff
	v_add_co_ci_u32_e64 v6, null, 0, v6, s0
	s_delay_alu instid0(VALU_DEP_3)
	v_cmp_le_i32_e32 vcc_lo, s19, v53
	v_add_nc_u32_e32 v52, 64, v52
	v_add_nc_u32_e32 v26, 0x100, v26
	s_or_b32 s5, vcc_lo, s5
	s_wait_alu 0xfffe
	s_and_not1_b32 exec_lo, exec_lo, s5
	s_cbranch_execz .LBB97_67
.LBB97_42:                              ; =>This Inner Loop Header: Depth=1
	v_sub_nc_u32_e32 v1, 0, v52
	s_delay_alu instid0(VALU_DEP_1) | instskip(NEXT) | instid1(VALU_DEP_1)
	v_max_i32_e32 v1, v52, v1
	v_mul_hi_u32 v2, v1, s18
	s_delay_alu instid0(VALU_DEP_1) | instskip(NEXT) | instid1(VALU_DEP_1)
	v_mul_lo_u32 v3, v2, s12
	v_sub_nc_u32_e32 v1, v1, v3
	v_add_nc_u32_e32 v3, 1, v2
	s_delay_alu instid0(VALU_DEP_2) | instskip(SKIP_2) | instid1(VALU_DEP_2)
	v_subrev_nc_u32_e32 v4, s12, v1
	v_cmp_le_u32_e32 vcc_lo, s12, v1
	s_wait_alu 0xfffd
	v_dual_cndmask_b32 v2, v2, v3 :: v_dual_cndmask_b32 v1, v1, v4
	v_ashrrev_i32_e32 v3, 31, v52
	s_delay_alu instid0(VALU_DEP_2) | instskip(NEXT) | instid1(VALU_DEP_3)
	v_add_nc_u32_e32 v4, 1, v2
	v_cmp_le_u32_e32 vcc_lo, s12, v1
	s_delay_alu instid0(VALU_DEP_3) | instskip(SKIP_1) | instid1(VALU_DEP_3)
	v_xor_b32_e32 v3, s11, v3
	s_wait_alu 0xfffd
	v_cndmask_b32_e32 v1, v2, v4, vcc_lo
	s_delay_alu instid0(VALU_DEP_1) | instskip(NEXT) | instid1(VALU_DEP_1)
	v_xor_b32_e32 v1, v1, v3
	v_sub_nc_u32_e32 v1, v1, v3
	s_delay_alu instid0(VALU_DEP_1) | instskip(SKIP_1) | instid1(VALU_DEP_2)
	v_add_nc_u32_e32 v2, s17, v1
	v_cmp_lt_i32_e64 s0, s3, v1
	v_sub_nc_u32_e32 v3, 0, v2
	s_delay_alu instid0(VALU_DEP_1) | instskip(SKIP_1) | instid1(VALU_DEP_1)
	v_max_i32_e32 v3, v2, v3
	s_wait_alu 0xfffe
	v_mul_hi_u32 v4, v3, s6
	s_delay_alu instid0(VALU_DEP_1) | instskip(NEXT) | instid1(VALU_DEP_1)
	v_mul_lo_u32 v4, v4, s2
	v_sub_nc_u32_e32 v3, v3, v4
	s_delay_alu instid0(VALU_DEP_1) | instskip(SKIP_2) | instid1(VALU_DEP_2)
	v_subrev_nc_u32_e32 v4, s2, v3
	v_cmp_le_u32_e32 vcc_lo, s2, v3
	s_wait_alu 0xfffd
	v_cndmask_b32_e32 v3, v3, v4, vcc_lo
	v_ashrrev_i32_e32 v2, 31, v2
	s_delay_alu instid0(VALU_DEP_2) | instskip(SKIP_2) | instid1(VALU_DEP_2)
	v_subrev_nc_u32_e32 v4, s2, v3
	v_cmp_le_u32_e32 vcc_lo, s2, v3
	s_wait_alu 0xfffd
	v_cndmask_b32_e32 v3, v3, v4, vcc_lo
	s_delay_alu instid0(VALU_DEP_1) | instskip(NEXT) | instid1(VALU_DEP_1)
	v_xor_b32_e32 v3, v3, v2
	v_sub_nc_u32_e32 v2, v3, v2
	s_delay_alu instid0(VALU_DEP_1)
	v_cmp_eq_u32_e32 vcc_lo, 0, v2
	s_or_b32 s0, vcc_lo, s0
	s_wait_alu 0xfffe
	s_and_saveexec_b32 s7, s0
	s_cbranch_execz .LBB97_41
; %bb.43:                               ;   in Loop: Header=BB97_42 Depth=1
	global_load_b32 v7, v[5:6], off
	ds_load_2addr_b64 v[1:4], v26 offset1:1
	ds_load_2addr_b64 v[27:30], v26 offset0:2 offset1:3
	v_add_nc_u32_e32 v32, v23, v52
	s_wait_dscnt 0x1
	;;#ASMSTART
	v_cvt_f16_f32 v34, v1;

	;;#ASMEND
	;;#ASMSTART
	v_cvt_f16_f32 v33, v2;

	;;#ASMEND
	;; [unrolled: 4-line block ×4, first 2 shown]
	s_wait_dscnt 0x0
	;;#ASMSTART
	v_cvt_f16_f32 v42, v27;

	;;#ASMEND
	;;#ASMSTART
	v_cvt_f16_f32 v36, v28;

	;;#ASMEND
	;; [unrolled: 4-line block ×4, first 2 shown]
	v_add_nc_u32_e32 v40, 1, v32
	v_add_nc_u32_e32 v38, 2, v32
	;; [unrolled: 1-line block ×7, first 2 shown]
	s_wait_loadcnt 0x0
	v_mad_co_i64_i32 v[7:8], null, v7, s4, 0
	s_delay_alu instid0(VALU_DEP_1) | instskip(NEXT) | instid1(VALU_DEP_1)
	v_lshlrev_b64_e32 v[7:8], 1, v[7:8]
	v_add_co_u32 v7, vcc_lo, v24, v7
	s_wait_alu 0xfffd
	s_delay_alu instid0(VALU_DEP_2)
	v_add_co_ci_u32_e64 v8, null, v25, v8, vcc_lo
	v_cmp_eq_u32_e32 vcc_lo, s34, v53
	global_load_b128 v[1:4], v[7:8], off
	s_wait_loadcnt 0x0
	v_lshrrev_b32_e32 v45, 16, v1
	v_lshrrev_b32_e32 v44, 16, v2
	;; [unrolled: 1-line block ×3, first 2 shown]
	s_and_saveexec_b32 s9, vcc_lo
	s_cbranch_execz .LBB97_45
; %bb.44:                               ;   in Loop: Header=BB97_42 Depth=1
	v_cmp_gt_i32_e64 s0, s31, v32
	v_and_b32_e32 v46, 0xffff, v4
	v_and_b32_e32 v4, 0xffff0000, v4
	s_wait_alu 0xf1ff
	s_delay_alu instid0(VALU_DEP_3) | instskip(SKIP_2) | instid1(VALU_DEP_1)
	v_cndmask_b32_e64 v1, 0, v1, s0
	v_cmp_gt_i32_e64 s0, s31, v40
	s_wait_alu 0xf1ff
	v_cndmask_b32_e64 v45, 0, v45, s0
	v_cmp_gt_i32_e64 s0, s31, v38
	s_wait_alu 0xf1ff
	s_delay_alu instid0(VALU_DEP_1) | instskip(SKIP_2) | instid1(VALU_DEP_1)
	v_cndmask_b32_e64 v2, 0, v2, s0
	v_cmp_gt_i32_e64 s0, s31, v29
	s_wait_alu 0xf1ff
	v_cndmask_b32_e64 v44, 0, v44, s0
	v_cmp_gt_i32_e64 s0, s31, v30
	s_wait_alu 0xf1ff
	s_delay_alu instid0(VALU_DEP_1) | instskip(SKIP_2) | instid1(VALU_DEP_1)
	v_cndmask_b32_e64 v46, 0, v46, s0
	v_cmp_gt_i32_e64 s0, s31, v31
	s_wait_alu 0xf1ff
	v_cndmask_b32_e64 v4, 0, v4, s0
	v_cmp_gt_i32_e64 s0, s31, v28
	s_delay_alu instid0(VALU_DEP_2) | instskip(SKIP_1) | instid1(VALU_DEP_2)
	v_or_b32_e32 v4, v46, v4
	s_wait_alu 0xf1ff
	v_cndmask_b32_e64 v3, 0, v3, s0
	v_cmp_gt_i32_e64 s0, s31, v27
	s_wait_alu 0xf1ff
	s_delay_alu instid0(VALU_DEP_1)
	v_cndmask_b32_e64 v43, 0, v43, s0
.LBB97_45:                              ;   in Loop: Header=BB97_42 Depth=1
	s_or_b32 exec_lo, exec_lo, s9
	v_and_b32_e32 v34, 0xffff, v34
	v_and_b32_e32 v41, 0xffff, v41
	v_lshlrev_b32_e32 v45, 16, v45
	v_lshlrev_b32_e32 v43, 16, v43
	v_and_b32_e32 v42, 0xffff, v42
	v_lshl_or_b32 v34, v33, 16, v34
	v_lshl_or_b32 v33, v37, 16, v41
	v_lshlrev_b32_e32 v41, 16, v44
	v_and_b32_e32 v39, 0xffff, v39
	v_and_or_b32 v1, 0xffff, v1, v45
	v_and_or_b32 v3, 0xffff, v3, v43
	;;#ASMSTART
	v_pk_mul_f16 v1, v34, v1;

	;;#ASMEND
	v_and_or_b32 v2, 0xffff, v2, v41
	v_lshl_or_b32 v37, v36, 16, v42
	v_lshl_or_b32 v39, v35, 16, v39
	;;#ASMSTART
	v_pk_mul_f16 v2, v33, v2;

	;;#ASMEND
	;;#ASMSTART
	v_pk_mul_f16 v3, v37, v3;

	;;#ASMEND
	;; [unrolled: 4-line block ×3, first 2 shown]
	;;#ASMSTART
	v_pk_add_f16 v1, v1, v2;

	;;#ASMEND
	;;#ASMSTART
	v_pk_add_f16 v1, v1, v3;

	;;#ASMEND
	;; [unrolled: 4-line block ×3, first 2 shown]
	v_and_b32_e32 v2, 0xffff, v1
	v_lshrrev_b32_e32 v1, 16, v1
	;;#ASMSTART
	v_cvt_f32_f16 v35, v2;
	;;#ASMEND
	;;#ASMSTART
	v_cvt_f32_f16 v36, v1;
	;;#ASMEND
	global_load_b128 v[1:4], v[7:8], off offset:512
	s_wait_loadcnt 0x0
	v_lshrrev_b32_e32 v43, 16, v1
	v_lshrrev_b32_e32 v42, 16, v2
	;; [unrolled: 1-line block ×3, first 2 shown]
	s_and_saveexec_b32 s9, vcc_lo
	s_cbranch_execz .LBB97_47
; %bb.46:                               ;   in Loop: Header=BB97_42 Depth=1
	v_cmp_gt_i32_e64 s0, s31, v32
	v_and_b32_e32 v44, 0xffff, v4
	v_and_b32_e32 v4, 0xffff0000, v4
	s_wait_alu 0xf1ff
	s_delay_alu instid0(VALU_DEP_3) | instskip(SKIP_2) | instid1(VALU_DEP_1)
	v_cndmask_b32_e64 v1, 0, v1, s0
	v_cmp_gt_i32_e64 s0, s31, v40
	s_wait_alu 0xf1ff
	v_cndmask_b32_e64 v43, 0, v43, s0
	v_cmp_gt_i32_e64 s0, s31, v38
	s_wait_alu 0xf1ff
	s_delay_alu instid0(VALU_DEP_1) | instskip(SKIP_2) | instid1(VALU_DEP_1)
	v_cndmask_b32_e64 v2, 0, v2, s0
	v_cmp_gt_i32_e64 s0, s31, v29
	s_wait_alu 0xf1ff
	v_cndmask_b32_e64 v42, 0, v42, s0
	v_cmp_gt_i32_e64 s0, s31, v30
	s_wait_alu 0xf1ff
	s_delay_alu instid0(VALU_DEP_1) | instskip(SKIP_2) | instid1(VALU_DEP_1)
	v_cndmask_b32_e64 v44, 0, v44, s0
	v_cmp_gt_i32_e64 s0, s31, v31
	s_wait_alu 0xf1ff
	v_cndmask_b32_e64 v4, 0, v4, s0
	v_cmp_gt_i32_e64 s0, s31, v28
	s_delay_alu instid0(VALU_DEP_2) | instskip(SKIP_1) | instid1(VALU_DEP_2)
	v_or_b32_e32 v4, v44, v4
	s_wait_alu 0xf1ff
	v_cndmask_b32_e64 v3, 0, v3, s0
	v_cmp_gt_i32_e64 s0, s31, v27
	s_wait_alu 0xf1ff
	s_delay_alu instid0(VALU_DEP_1)
	v_cndmask_b32_e64 v41, 0, v41, s0
.LBB97_47:                              ;   in Loop: Header=BB97_42 Depth=1
	s_or_b32 exec_lo, exec_lo, s9
	v_lshlrev_b32_e32 v43, 16, v43
	v_lshlrev_b32_e32 v42, 16, v42
	s_delay_alu instid0(VALU_DEP_3) | instskip(NEXT) | instid1(VALU_DEP_3)
	v_lshlrev_b32_e32 v41, 16, v41
	v_and_or_b32 v1, 0xffff, v1, v43
	s_delay_alu instid0(VALU_DEP_3) | instskip(NEXT) | instid1(VALU_DEP_3)
	v_and_or_b32 v2, 0xffff, v2, v42
	v_and_or_b32 v3, 0xffff, v3, v41
	;;#ASMSTART
	v_pk_mul_f16 v1, v34, v1;

	;;#ASMEND
	;;#ASMSTART
	v_pk_mul_f16 v2, v33, v2;

	;;#ASMEND
	;; [unrolled: 4-line block ×4, first 2 shown]
	;;#ASMSTART
	v_pk_add_f16 v1, v1, v2;

	;;#ASMEND
	;;#ASMSTART
	v_pk_add_f16 v1, v1, v3;

	;;#ASMEND
	;;#ASMSTART
	v_pk_add_f16 v1, v1, v4;

	;;#ASMEND
	v_and_b32_e32 v2, 0xffff, v1
	v_lshrrev_b32_e32 v1, 16, v1
	;;#ASMSTART
	v_cvt_f32_f16 v41, v2;
	;;#ASMEND
	;;#ASMSTART
	v_cvt_f32_f16 v42, v1;
	;;#ASMEND
	global_load_b128 v[1:4], v[7:8], off offset:1024
	s_wait_loadcnt 0x0
	v_lshrrev_b32_e32 v45, 16, v1
	v_lshrrev_b32_e32 v44, 16, v2
	;; [unrolled: 1-line block ×3, first 2 shown]
	s_and_saveexec_b32 s9, vcc_lo
	s_cbranch_execz .LBB97_49
; %bb.48:                               ;   in Loop: Header=BB97_42 Depth=1
	v_cmp_gt_i32_e64 s0, s31, v32
	v_and_b32_e32 v46, 0xffff, v4
	v_and_b32_e32 v4, 0xffff0000, v4
	s_wait_alu 0xf1ff
	s_delay_alu instid0(VALU_DEP_3) | instskip(SKIP_2) | instid1(VALU_DEP_1)
	v_cndmask_b32_e64 v1, 0, v1, s0
	v_cmp_gt_i32_e64 s0, s31, v40
	s_wait_alu 0xf1ff
	v_cndmask_b32_e64 v45, 0, v45, s0
	v_cmp_gt_i32_e64 s0, s31, v38
	s_wait_alu 0xf1ff
	s_delay_alu instid0(VALU_DEP_1) | instskip(SKIP_2) | instid1(VALU_DEP_1)
	v_cndmask_b32_e64 v2, 0, v2, s0
	v_cmp_gt_i32_e64 s0, s31, v29
	s_wait_alu 0xf1ff
	v_cndmask_b32_e64 v44, 0, v44, s0
	v_cmp_gt_i32_e64 s0, s31, v30
	s_wait_alu 0xf1ff
	s_delay_alu instid0(VALU_DEP_1) | instskip(SKIP_2) | instid1(VALU_DEP_1)
	v_cndmask_b32_e64 v46, 0, v46, s0
	v_cmp_gt_i32_e64 s0, s31, v31
	s_wait_alu 0xf1ff
	v_cndmask_b32_e64 v4, 0, v4, s0
	v_cmp_gt_i32_e64 s0, s31, v28
	s_delay_alu instid0(VALU_DEP_2) | instskip(SKIP_1) | instid1(VALU_DEP_2)
	v_or_b32_e32 v4, v46, v4
	s_wait_alu 0xf1ff
	v_cndmask_b32_e64 v3, 0, v3, s0
	v_cmp_gt_i32_e64 s0, s31, v27
	s_wait_alu 0xf1ff
	s_delay_alu instid0(VALU_DEP_1)
	v_cndmask_b32_e64 v43, 0, v43, s0
.LBB97_49:                              ;   in Loop: Header=BB97_42 Depth=1
	s_or_b32 exec_lo, exec_lo, s9
	v_lshlrev_b32_e32 v45, 16, v45
	v_lshlrev_b32_e32 v44, 16, v44
	s_delay_alu instid0(VALU_DEP_3) | instskip(NEXT) | instid1(VALU_DEP_3)
	v_lshlrev_b32_e32 v43, 16, v43
	v_and_or_b32 v1, 0xffff, v1, v45
	s_delay_alu instid0(VALU_DEP_3) | instskip(NEXT) | instid1(VALU_DEP_3)
	v_and_or_b32 v2, 0xffff, v2, v44
	v_and_or_b32 v3, 0xffff, v3, v43
	;;#ASMSTART
	v_pk_mul_f16 v1, v34, v1;

	;;#ASMEND
	;;#ASMSTART
	v_pk_mul_f16 v2, v33, v2;

	;;#ASMEND
	;; [unrolled: 4-line block ×4, first 2 shown]
	;;#ASMSTART
	v_pk_add_f16 v1, v1, v2;

	;;#ASMEND
	;;#ASMSTART
	v_pk_add_f16 v1, v1, v3;

	;;#ASMEND
	;; [unrolled: 4-line block ×3, first 2 shown]
	v_and_b32_e32 v2, 0xffff, v1
	v_lshrrev_b32_e32 v1, 16, v1
	;;#ASMSTART
	v_cvt_f32_f16 v43, v2;
	;;#ASMEND
	;;#ASMSTART
	v_cvt_f32_f16 v44, v1;
	;;#ASMEND
	global_load_b128 v[1:4], v[7:8], off offset:1536
	s_wait_loadcnt 0x0
	v_lshrrev_b32_e32 v47, 16, v1
	v_lshrrev_b32_e32 v46, 16, v2
	;; [unrolled: 1-line block ×3, first 2 shown]
	s_and_saveexec_b32 s9, vcc_lo
	s_cbranch_execz .LBB97_51
; %bb.50:                               ;   in Loop: Header=BB97_42 Depth=1
	v_cmp_gt_i32_e64 s0, s31, v32
	v_and_b32_e32 v48, 0xffff, v4
	v_and_b32_e32 v4, 0xffff0000, v4
	s_wait_alu 0xf1ff
	s_delay_alu instid0(VALU_DEP_3) | instskip(SKIP_2) | instid1(VALU_DEP_1)
	v_cndmask_b32_e64 v1, 0, v1, s0
	v_cmp_gt_i32_e64 s0, s31, v40
	s_wait_alu 0xf1ff
	v_cndmask_b32_e64 v47, 0, v47, s0
	v_cmp_gt_i32_e64 s0, s31, v38
	s_wait_alu 0xf1ff
	s_delay_alu instid0(VALU_DEP_1) | instskip(SKIP_2) | instid1(VALU_DEP_1)
	v_cndmask_b32_e64 v2, 0, v2, s0
	v_cmp_gt_i32_e64 s0, s31, v29
	s_wait_alu 0xf1ff
	v_cndmask_b32_e64 v46, 0, v46, s0
	v_cmp_gt_i32_e64 s0, s31, v30
	s_wait_alu 0xf1ff
	s_delay_alu instid0(VALU_DEP_1) | instskip(SKIP_2) | instid1(VALU_DEP_1)
	v_cndmask_b32_e64 v48, 0, v48, s0
	v_cmp_gt_i32_e64 s0, s31, v31
	s_wait_alu 0xf1ff
	v_cndmask_b32_e64 v4, 0, v4, s0
	v_cmp_gt_i32_e64 s0, s31, v28
	s_delay_alu instid0(VALU_DEP_2) | instskip(SKIP_1) | instid1(VALU_DEP_2)
	v_or_b32_e32 v4, v48, v4
	s_wait_alu 0xf1ff
	v_cndmask_b32_e64 v3, 0, v3, s0
	v_cmp_gt_i32_e64 s0, s31, v27
	s_wait_alu 0xf1ff
	s_delay_alu instid0(VALU_DEP_1)
	v_cndmask_b32_e64 v45, 0, v45, s0
.LBB97_51:                              ;   in Loop: Header=BB97_42 Depth=1
	s_or_b32 exec_lo, exec_lo, s9
	v_lshlrev_b32_e32 v47, 16, v47
	v_lshlrev_b32_e32 v46, 16, v46
	s_delay_alu instid0(VALU_DEP_3) | instskip(NEXT) | instid1(VALU_DEP_3)
	v_lshlrev_b32_e32 v45, 16, v45
	v_and_or_b32 v1, 0xffff, v1, v47
	s_delay_alu instid0(VALU_DEP_3) | instskip(NEXT) | instid1(VALU_DEP_3)
	v_and_or_b32 v2, 0xffff, v2, v46
	v_and_or_b32 v3, 0xffff, v3, v45
	;;#ASMSTART
	v_pk_mul_f16 v1, v34, v1;

	;;#ASMEND
	;;#ASMSTART
	v_pk_mul_f16 v2, v33, v2;

	;;#ASMEND
	;; [unrolled: 4-line block ×4, first 2 shown]
	;;#ASMSTART
	v_pk_add_f16 v1, v1, v2;

	;;#ASMEND
	;;#ASMSTART
	v_pk_add_f16 v1, v1, v3;

	;;#ASMEND
	;; [unrolled: 4-line block ×3, first 2 shown]
	v_and_b32_e32 v2, 0xffff, v1
	v_lshrrev_b32_e32 v1, 16, v1
	;;#ASMSTART
	v_cvt_f32_f16 v45, v2;
	;;#ASMEND
	;;#ASMSTART
	v_cvt_f32_f16 v46, v1;
	;;#ASMEND
	global_load_b128 v[1:4], v[7:8], off offset:2048
	s_wait_loadcnt 0x0
	v_lshrrev_b32_e32 v54, 16, v1
	v_lshrrev_b32_e32 v48, 16, v2
	;; [unrolled: 1-line block ×3, first 2 shown]
	s_and_saveexec_b32 s9, vcc_lo
	s_cbranch_execz .LBB97_53
; %bb.52:                               ;   in Loop: Header=BB97_42 Depth=1
	v_cmp_gt_i32_e64 s0, s31, v32
	v_and_b32_e32 v55, 0xffff, v4
	v_and_b32_e32 v4, 0xffff0000, v4
	s_wait_alu 0xf1ff
	s_delay_alu instid0(VALU_DEP_3) | instskip(SKIP_2) | instid1(VALU_DEP_1)
	v_cndmask_b32_e64 v1, 0, v1, s0
	v_cmp_gt_i32_e64 s0, s31, v40
	s_wait_alu 0xf1ff
	v_cndmask_b32_e64 v54, 0, v54, s0
	v_cmp_gt_i32_e64 s0, s31, v38
	s_wait_alu 0xf1ff
	s_delay_alu instid0(VALU_DEP_1) | instskip(SKIP_2) | instid1(VALU_DEP_1)
	v_cndmask_b32_e64 v2, 0, v2, s0
	v_cmp_gt_i32_e64 s0, s31, v29
	s_wait_alu 0xf1ff
	v_cndmask_b32_e64 v48, 0, v48, s0
	v_cmp_gt_i32_e64 s0, s31, v30
	s_wait_alu 0xf1ff
	s_delay_alu instid0(VALU_DEP_1) | instskip(SKIP_2) | instid1(VALU_DEP_1)
	v_cndmask_b32_e64 v55, 0, v55, s0
	v_cmp_gt_i32_e64 s0, s31, v31
	s_wait_alu 0xf1ff
	v_cndmask_b32_e64 v4, 0, v4, s0
	v_cmp_gt_i32_e64 s0, s31, v28
	s_delay_alu instid0(VALU_DEP_2) | instskip(SKIP_1) | instid1(VALU_DEP_2)
	v_or_b32_e32 v4, v55, v4
	s_wait_alu 0xf1ff
	v_cndmask_b32_e64 v3, 0, v3, s0
	v_cmp_gt_i32_e64 s0, s31, v27
	s_wait_alu 0xf1ff
	s_delay_alu instid0(VALU_DEP_1)
	v_cndmask_b32_e64 v47, 0, v47, s0
.LBB97_53:                              ;   in Loop: Header=BB97_42 Depth=1
	s_or_b32 exec_lo, exec_lo, s9
	v_lshlrev_b32_e32 v54, 16, v54
	v_lshlrev_b32_e32 v48, 16, v48
	s_delay_alu instid0(VALU_DEP_3) | instskip(NEXT) | instid1(VALU_DEP_3)
	v_lshlrev_b32_e32 v47, 16, v47
	v_and_or_b32 v1, 0xffff, v1, v54
	s_delay_alu instid0(VALU_DEP_3) | instskip(NEXT) | instid1(VALU_DEP_3)
	v_and_or_b32 v2, 0xffff, v2, v48
	v_and_or_b32 v3, 0xffff, v3, v47
	;;#ASMSTART
	v_pk_mul_f16 v1, v34, v1;

	;;#ASMEND
	;;#ASMSTART
	v_pk_mul_f16 v2, v33, v2;

	;;#ASMEND
	;; [unrolled: 4-line block ×4, first 2 shown]
	;;#ASMSTART
	v_pk_add_f16 v1, v1, v2;

	;;#ASMEND
	;;#ASMSTART
	v_pk_add_f16 v1, v1, v3;

	;;#ASMEND
	;; [unrolled: 4-line block ×3, first 2 shown]
	v_and_b32_e32 v2, 0xffff, v1
	v_lshrrev_b32_e32 v1, 16, v1
	;;#ASMSTART
	v_cvt_f32_f16 v47, v2;
	;;#ASMEND
	;;#ASMSTART
	v_cvt_f32_f16 v48, v1;
	;;#ASMEND
	global_load_b128 v[1:4], v[7:8], off offset:2560
	s_wait_loadcnt 0x0
	v_lshrrev_b32_e32 v56, 16, v1
	v_lshrrev_b32_e32 v55, 16, v2
	;; [unrolled: 1-line block ×3, first 2 shown]
	s_and_saveexec_b32 s9, vcc_lo
	s_cbranch_execz .LBB97_55
; %bb.54:                               ;   in Loop: Header=BB97_42 Depth=1
	v_cmp_gt_i32_e64 s0, s31, v32
	v_and_b32_e32 v57, 0xffff, v4
	v_and_b32_e32 v4, 0xffff0000, v4
	s_wait_alu 0xf1ff
	s_delay_alu instid0(VALU_DEP_3) | instskip(SKIP_2) | instid1(VALU_DEP_1)
	v_cndmask_b32_e64 v1, 0, v1, s0
	v_cmp_gt_i32_e64 s0, s31, v40
	s_wait_alu 0xf1ff
	v_cndmask_b32_e64 v56, 0, v56, s0
	v_cmp_gt_i32_e64 s0, s31, v38
	s_wait_alu 0xf1ff
	s_delay_alu instid0(VALU_DEP_1) | instskip(SKIP_2) | instid1(VALU_DEP_1)
	v_cndmask_b32_e64 v2, 0, v2, s0
	v_cmp_gt_i32_e64 s0, s31, v29
	s_wait_alu 0xf1ff
	v_cndmask_b32_e64 v55, 0, v55, s0
	v_cmp_gt_i32_e64 s0, s31, v30
	s_wait_alu 0xf1ff
	s_delay_alu instid0(VALU_DEP_1) | instskip(SKIP_2) | instid1(VALU_DEP_1)
	v_cndmask_b32_e64 v57, 0, v57, s0
	v_cmp_gt_i32_e64 s0, s31, v31
	s_wait_alu 0xf1ff
	v_cndmask_b32_e64 v4, 0, v4, s0
	v_cmp_gt_i32_e64 s0, s31, v28
	s_delay_alu instid0(VALU_DEP_2) | instskip(SKIP_1) | instid1(VALU_DEP_2)
	v_or_b32_e32 v4, v57, v4
	s_wait_alu 0xf1ff
	v_cndmask_b32_e64 v3, 0, v3, s0
	v_cmp_gt_i32_e64 s0, s31, v27
	s_wait_alu 0xf1ff
	s_delay_alu instid0(VALU_DEP_1)
	v_cndmask_b32_e64 v54, 0, v54, s0
.LBB97_55:                              ;   in Loop: Header=BB97_42 Depth=1
	s_or_b32 exec_lo, exec_lo, s9
	v_lshlrev_b32_e32 v56, 16, v56
	v_lshlrev_b32_e32 v55, 16, v55
	s_delay_alu instid0(VALU_DEP_3) | instskip(NEXT) | instid1(VALU_DEP_3)
	v_lshlrev_b32_e32 v54, 16, v54
	v_and_or_b32 v1, 0xffff, v1, v56
	s_delay_alu instid0(VALU_DEP_3) | instskip(NEXT) | instid1(VALU_DEP_3)
	v_and_or_b32 v2, 0xffff, v2, v55
	v_and_or_b32 v3, 0xffff, v3, v54
	;;#ASMSTART
	v_pk_mul_f16 v1, v34, v1;

	;;#ASMEND
	;;#ASMSTART
	v_pk_mul_f16 v2, v33, v2;

	;;#ASMEND
	;; [unrolled: 4-line block ×4, first 2 shown]
	;;#ASMSTART
	v_pk_add_f16 v1, v1, v2;

	;;#ASMEND
	;;#ASMSTART
	v_pk_add_f16 v1, v1, v3;

	;;#ASMEND
	;; [unrolled: 4-line block ×3, first 2 shown]
	v_and_b32_e32 v2, 0xffff, v1
	v_lshrrev_b32_e32 v1, 16, v1
	;;#ASMSTART
	v_cvt_f32_f16 v54, v2;
	;;#ASMEND
	;;#ASMSTART
	v_cvt_f32_f16 v55, v1;
	;;#ASMEND
	global_load_b128 v[1:4], v[7:8], off offset:3072
	s_wait_loadcnt 0x0
	v_lshrrev_b32_e32 v58, 16, v1
	v_lshrrev_b32_e32 v57, 16, v2
	;; [unrolled: 1-line block ×3, first 2 shown]
	s_and_saveexec_b32 s9, vcc_lo
	s_cbranch_execz .LBB97_57
; %bb.56:                               ;   in Loop: Header=BB97_42 Depth=1
	v_cmp_gt_i32_e64 s0, s31, v32
	v_and_b32_e32 v59, 0xffff, v4
	v_and_b32_e32 v4, 0xffff0000, v4
	s_wait_alu 0xf1ff
	s_delay_alu instid0(VALU_DEP_3) | instskip(SKIP_2) | instid1(VALU_DEP_1)
	v_cndmask_b32_e64 v1, 0, v1, s0
	v_cmp_gt_i32_e64 s0, s31, v40
	s_wait_alu 0xf1ff
	v_cndmask_b32_e64 v58, 0, v58, s0
	v_cmp_gt_i32_e64 s0, s31, v38
	s_wait_alu 0xf1ff
	s_delay_alu instid0(VALU_DEP_1) | instskip(SKIP_2) | instid1(VALU_DEP_1)
	v_cndmask_b32_e64 v2, 0, v2, s0
	v_cmp_gt_i32_e64 s0, s31, v29
	s_wait_alu 0xf1ff
	v_cndmask_b32_e64 v57, 0, v57, s0
	v_cmp_gt_i32_e64 s0, s31, v30
	s_wait_alu 0xf1ff
	s_delay_alu instid0(VALU_DEP_1) | instskip(SKIP_2) | instid1(VALU_DEP_1)
	v_cndmask_b32_e64 v59, 0, v59, s0
	v_cmp_gt_i32_e64 s0, s31, v31
	s_wait_alu 0xf1ff
	v_cndmask_b32_e64 v4, 0, v4, s0
	v_cmp_gt_i32_e64 s0, s31, v28
	s_delay_alu instid0(VALU_DEP_2) | instskip(SKIP_1) | instid1(VALU_DEP_2)
	v_or_b32_e32 v4, v59, v4
	s_wait_alu 0xf1ff
	v_cndmask_b32_e64 v3, 0, v3, s0
	v_cmp_gt_i32_e64 s0, s31, v27
	s_wait_alu 0xf1ff
	s_delay_alu instid0(VALU_DEP_1)
	v_cndmask_b32_e64 v56, 0, v56, s0
.LBB97_57:                              ;   in Loop: Header=BB97_42 Depth=1
	s_or_b32 exec_lo, exec_lo, s9
	v_lshlrev_b32_e32 v58, 16, v58
	v_lshlrev_b32_e32 v57, 16, v57
	s_delay_alu instid0(VALU_DEP_3) | instskip(NEXT) | instid1(VALU_DEP_3)
	v_lshlrev_b32_e32 v56, 16, v56
	v_and_or_b32 v1, 0xffff, v1, v58
	s_delay_alu instid0(VALU_DEP_3) | instskip(NEXT) | instid1(VALU_DEP_3)
	v_and_or_b32 v2, 0xffff, v2, v57
	v_and_or_b32 v3, 0xffff, v3, v56
	;;#ASMSTART
	v_pk_mul_f16 v1, v34, v1;

	;;#ASMEND
	;;#ASMSTART
	v_pk_mul_f16 v2, v33, v2;

	;;#ASMEND
	;; [unrolled: 4-line block ×4, first 2 shown]
	;;#ASMSTART
	v_pk_add_f16 v1, v1, v2;

	;;#ASMEND
	;;#ASMSTART
	v_pk_add_f16 v1, v1, v3;

	;;#ASMEND
	;; [unrolled: 4-line block ×3, first 2 shown]
	v_and_b32_e32 v2, 0xffff, v1
	v_lshrrev_b32_e32 v1, 16, v1
	;;#ASMSTART
	v_cvt_f32_f16 v56, v2;
	;;#ASMEND
	;;#ASMSTART
	v_cvt_f32_f16 v57, v1;
	;;#ASMEND
	global_load_b128 v[1:4], v[7:8], off offset:3584
	s_wait_loadcnt 0x0
	v_lshrrev_b32_e32 v60, 16, v1
	v_lshrrev_b32_e32 v59, 16, v2
	;; [unrolled: 1-line block ×3, first 2 shown]
	s_and_saveexec_b32 s9, vcc_lo
	s_cbranch_execz .LBB97_59
; %bb.58:                               ;   in Loop: Header=BB97_42 Depth=1
	v_cmp_gt_i32_e64 s0, s31, v32
	v_and_b32_e32 v61, 0xffff, v4
	v_and_b32_e32 v4, 0xffff0000, v4
	s_wait_alu 0xf1ff
	s_delay_alu instid0(VALU_DEP_3) | instskip(SKIP_2) | instid1(VALU_DEP_1)
	v_cndmask_b32_e64 v1, 0, v1, s0
	v_cmp_gt_i32_e64 s0, s31, v40
	s_wait_alu 0xf1ff
	v_cndmask_b32_e64 v60, 0, v60, s0
	v_cmp_gt_i32_e64 s0, s31, v38
	s_wait_alu 0xf1ff
	s_delay_alu instid0(VALU_DEP_1) | instskip(SKIP_2) | instid1(VALU_DEP_1)
	v_cndmask_b32_e64 v2, 0, v2, s0
	v_cmp_gt_i32_e64 s0, s31, v29
	s_wait_alu 0xf1ff
	v_cndmask_b32_e64 v59, 0, v59, s0
	v_cmp_gt_i32_e64 s0, s31, v30
	s_wait_alu 0xf1ff
	s_delay_alu instid0(VALU_DEP_1) | instskip(SKIP_2) | instid1(VALU_DEP_1)
	v_cndmask_b32_e64 v61, 0, v61, s0
	v_cmp_gt_i32_e64 s0, s31, v31
	s_wait_alu 0xf1ff
	v_cndmask_b32_e64 v4, 0, v4, s0
	v_cmp_gt_i32_e64 s0, s31, v28
	s_delay_alu instid0(VALU_DEP_2) | instskip(SKIP_1) | instid1(VALU_DEP_2)
	v_or_b32_e32 v4, v61, v4
	s_wait_alu 0xf1ff
	v_cndmask_b32_e64 v3, 0, v3, s0
	v_cmp_gt_i32_e64 s0, s31, v27
	s_wait_alu 0xf1ff
	s_delay_alu instid0(VALU_DEP_1)
	v_cndmask_b32_e64 v58, 0, v58, s0
.LBB97_59:                              ;   in Loop: Header=BB97_42 Depth=1
	s_or_b32 exec_lo, exec_lo, s9
	v_lshlrev_b32_e32 v60, 16, v60
	v_lshlrev_b32_e32 v59, 16, v59
	s_delay_alu instid0(VALU_DEP_3) | instskip(NEXT) | instid1(VALU_DEP_3)
	v_lshlrev_b32_e32 v58, 16, v58
	v_and_or_b32 v1, 0xffff, v1, v60
	s_delay_alu instid0(VALU_DEP_3) | instskip(NEXT) | instid1(VALU_DEP_3)
	v_and_or_b32 v2, 0xffff, v2, v59
	v_and_or_b32 v3, 0xffff, v3, v58
	;;#ASMSTART
	v_pk_mul_f16 v1, v34, v1;

	;;#ASMEND
	;;#ASMSTART
	v_pk_mul_f16 v2, v33, v2;

	;;#ASMEND
	;; [unrolled: 4-line block ×4, first 2 shown]
	;;#ASMSTART
	v_pk_add_f16 v1, v1, v2;

	;;#ASMEND
	;;#ASMSTART
	v_pk_add_f16 v1, v1, v3;

	;;#ASMEND
	;;#ASMSTART
	v_pk_add_f16 v1, v1, v4;

	;;#ASMEND
	v_and_b32_e32 v2, 0xffff, v1
	v_lshrrev_b32_e32 v1, 16, v1
	;;#ASMSTART
	v_cvt_f32_f16 v58, v2;
	;;#ASMEND
	;;#ASMSTART
	v_cvt_f32_f16 v59, v1;
	;;#ASMEND
	global_load_b128 v[1:4], v[7:8], off offset:4096
	s_wait_loadcnt 0x0
	v_lshrrev_b32_e32 v62, 16, v1
	v_lshrrev_b32_e32 v61, 16, v2
	;; [unrolled: 1-line block ×3, first 2 shown]
	s_and_saveexec_b32 s9, vcc_lo
	s_cbranch_execz .LBB97_61
; %bb.60:                               ;   in Loop: Header=BB97_42 Depth=1
	v_cmp_gt_i32_e64 s0, s31, v32
	v_and_b32_e32 v63, 0xffff, v4
	v_and_b32_e32 v4, 0xffff0000, v4
	s_wait_alu 0xf1ff
	s_delay_alu instid0(VALU_DEP_3) | instskip(SKIP_2) | instid1(VALU_DEP_1)
	v_cndmask_b32_e64 v1, 0, v1, s0
	v_cmp_gt_i32_e64 s0, s31, v40
	s_wait_alu 0xf1ff
	v_cndmask_b32_e64 v62, 0, v62, s0
	v_cmp_gt_i32_e64 s0, s31, v38
	s_wait_alu 0xf1ff
	s_delay_alu instid0(VALU_DEP_1) | instskip(SKIP_2) | instid1(VALU_DEP_1)
	v_cndmask_b32_e64 v2, 0, v2, s0
	v_cmp_gt_i32_e64 s0, s31, v29
	s_wait_alu 0xf1ff
	v_cndmask_b32_e64 v61, 0, v61, s0
	v_cmp_gt_i32_e64 s0, s31, v30
	s_wait_alu 0xf1ff
	s_delay_alu instid0(VALU_DEP_1) | instskip(SKIP_2) | instid1(VALU_DEP_1)
	v_cndmask_b32_e64 v63, 0, v63, s0
	v_cmp_gt_i32_e64 s0, s31, v31
	s_wait_alu 0xf1ff
	v_cndmask_b32_e64 v4, 0, v4, s0
	v_cmp_gt_i32_e64 s0, s31, v28
	s_delay_alu instid0(VALU_DEP_2) | instskip(SKIP_1) | instid1(VALU_DEP_2)
	v_or_b32_e32 v4, v63, v4
	s_wait_alu 0xf1ff
	v_cndmask_b32_e64 v3, 0, v3, s0
	v_cmp_gt_i32_e64 s0, s31, v27
	s_wait_alu 0xf1ff
	s_delay_alu instid0(VALU_DEP_1)
	v_cndmask_b32_e64 v60, 0, v60, s0
.LBB97_61:                              ;   in Loop: Header=BB97_42 Depth=1
	s_or_b32 exec_lo, exec_lo, s9
	v_lshlrev_b32_e32 v62, 16, v62
	v_lshlrev_b32_e32 v61, 16, v61
	s_delay_alu instid0(VALU_DEP_3) | instskip(NEXT) | instid1(VALU_DEP_3)
	v_lshlrev_b32_e32 v60, 16, v60
	v_and_or_b32 v1, 0xffff, v1, v62
	s_delay_alu instid0(VALU_DEP_3) | instskip(NEXT) | instid1(VALU_DEP_3)
	v_and_or_b32 v2, 0xffff, v2, v61
	v_and_or_b32 v3, 0xffff, v3, v60
	;;#ASMSTART
	v_pk_mul_f16 v1, v34, v1;

	;;#ASMEND
	;;#ASMSTART
	v_pk_mul_f16 v2, v33, v2;

	;;#ASMEND
	;; [unrolled: 4-line block ×4, first 2 shown]
	;;#ASMSTART
	v_pk_add_f16 v1, v1, v2;

	;;#ASMEND
	;;#ASMSTART
	v_pk_add_f16 v1, v1, v3;

	;;#ASMEND
	;; [unrolled: 4-line block ×3, first 2 shown]
	v_and_b32_e32 v2, 0xffff, v1
	v_lshrrev_b32_e32 v1, 16, v1
	;;#ASMSTART
	v_cvt_f32_f16 v60, v2;
	;;#ASMEND
	;;#ASMSTART
	v_cvt_f32_f16 v61, v1;
	;;#ASMEND
	global_load_b128 v[1:4], v[7:8], off offset:4608
	s_wait_loadcnt 0x0
	v_lshrrev_b32_e32 v64, 16, v1
	v_lshrrev_b32_e32 v63, 16, v2
	;; [unrolled: 1-line block ×3, first 2 shown]
	s_and_saveexec_b32 s9, vcc_lo
	s_cbranch_execz .LBB97_63
; %bb.62:                               ;   in Loop: Header=BB97_42 Depth=1
	v_cmp_gt_i32_e64 s0, s31, v32
	v_and_b32_e32 v65, 0xffff, v4
	v_and_b32_e32 v4, 0xffff0000, v4
	s_wait_alu 0xf1ff
	s_delay_alu instid0(VALU_DEP_3) | instskip(SKIP_2) | instid1(VALU_DEP_1)
	v_cndmask_b32_e64 v1, 0, v1, s0
	v_cmp_gt_i32_e64 s0, s31, v40
	s_wait_alu 0xf1ff
	v_cndmask_b32_e64 v64, 0, v64, s0
	v_cmp_gt_i32_e64 s0, s31, v38
	s_wait_alu 0xf1ff
	s_delay_alu instid0(VALU_DEP_1) | instskip(SKIP_2) | instid1(VALU_DEP_1)
	v_cndmask_b32_e64 v2, 0, v2, s0
	v_cmp_gt_i32_e64 s0, s31, v29
	s_wait_alu 0xf1ff
	v_cndmask_b32_e64 v63, 0, v63, s0
	v_cmp_gt_i32_e64 s0, s31, v30
	s_wait_alu 0xf1ff
	s_delay_alu instid0(VALU_DEP_1) | instskip(SKIP_2) | instid1(VALU_DEP_1)
	v_cndmask_b32_e64 v65, 0, v65, s0
	v_cmp_gt_i32_e64 s0, s31, v31
	s_wait_alu 0xf1ff
	v_cndmask_b32_e64 v4, 0, v4, s0
	v_cmp_gt_i32_e64 s0, s31, v28
	s_delay_alu instid0(VALU_DEP_2) | instskip(SKIP_1) | instid1(VALU_DEP_2)
	v_or_b32_e32 v4, v65, v4
	s_wait_alu 0xf1ff
	v_cndmask_b32_e64 v3, 0, v3, s0
	v_cmp_gt_i32_e64 s0, s31, v27
	s_wait_alu 0xf1ff
	s_delay_alu instid0(VALU_DEP_1)
	v_cndmask_b32_e64 v62, 0, v62, s0
.LBB97_63:                              ;   in Loop: Header=BB97_42 Depth=1
	s_or_b32 exec_lo, exec_lo, s9
	v_lshlrev_b32_e32 v64, 16, v64
	v_lshlrev_b32_e32 v63, 16, v63
	s_delay_alu instid0(VALU_DEP_3) | instskip(NEXT) | instid1(VALU_DEP_3)
	v_lshlrev_b32_e32 v62, 16, v62
	v_and_or_b32 v1, 0xffff, v1, v64
	s_delay_alu instid0(VALU_DEP_3) | instskip(NEXT) | instid1(VALU_DEP_3)
	v_and_or_b32 v2, 0xffff, v2, v63
	v_and_or_b32 v3, 0xffff, v3, v62
	;;#ASMSTART
	v_pk_mul_f16 v1, v34, v1;

	;;#ASMEND
	;;#ASMSTART
	v_pk_mul_f16 v2, v33, v2;

	;;#ASMEND
	;; [unrolled: 4-line block ×4, first 2 shown]
	;;#ASMSTART
	v_pk_add_f16 v1, v1, v2;

	;;#ASMEND
	;;#ASMSTART
	v_pk_add_f16 v1, v1, v3;

	;;#ASMEND
	;;#ASMSTART
	v_pk_add_f16 v1, v1, v4;

	;;#ASMEND
	v_and_b32_e32 v2, 0xffff, v1
	v_lshrrev_b32_e32 v1, 16, v1
	;;#ASMSTART
	v_cvt_f32_f16 v62, v2;
	;;#ASMEND
	;;#ASMSTART
	v_cvt_f32_f16 v63, v1;
	;;#ASMEND
	global_load_b128 v[1:4], v[7:8], off offset:5120
	s_wait_loadcnt 0x0
	v_lshrrev_b32_e32 v66, 16, v1
	v_lshrrev_b32_e32 v65, 16, v2
	;; [unrolled: 1-line block ×3, first 2 shown]
	s_and_saveexec_b32 s9, vcc_lo
	s_cbranch_execz .LBB97_65
; %bb.64:                               ;   in Loop: Header=BB97_42 Depth=1
	v_cmp_gt_i32_e64 s0, s31, v32
	v_and_b32_e32 v67, 0xffff, v4
	v_and_b32_e32 v4, 0xffff0000, v4
	s_wait_alu 0xf1ff
	s_delay_alu instid0(VALU_DEP_3) | instskip(SKIP_2) | instid1(VALU_DEP_1)
	v_cndmask_b32_e64 v1, 0, v1, s0
	v_cmp_gt_i32_e64 s0, s31, v40
	s_wait_alu 0xf1ff
	v_cndmask_b32_e64 v66, 0, v66, s0
	v_cmp_gt_i32_e64 s0, s31, v38
	s_wait_alu 0xf1ff
	s_delay_alu instid0(VALU_DEP_1) | instskip(SKIP_2) | instid1(VALU_DEP_1)
	v_cndmask_b32_e64 v2, 0, v2, s0
	v_cmp_gt_i32_e64 s0, s31, v29
	s_wait_alu 0xf1ff
	v_cndmask_b32_e64 v65, 0, v65, s0
	v_cmp_gt_i32_e64 s0, s31, v30
	s_wait_alu 0xf1ff
	s_delay_alu instid0(VALU_DEP_1) | instskip(SKIP_2) | instid1(VALU_DEP_1)
	v_cndmask_b32_e64 v67, 0, v67, s0
	v_cmp_gt_i32_e64 s0, s31, v31
	s_wait_alu 0xf1ff
	v_cndmask_b32_e64 v4, 0, v4, s0
	v_cmp_gt_i32_e64 s0, s31, v28
	s_delay_alu instid0(VALU_DEP_2) | instskip(SKIP_1) | instid1(VALU_DEP_2)
	v_or_b32_e32 v4, v67, v4
	s_wait_alu 0xf1ff
	v_cndmask_b32_e64 v3, 0, v3, s0
	v_cmp_gt_i32_e64 s0, s31, v27
	s_wait_alu 0xf1ff
	s_delay_alu instid0(VALU_DEP_1)
	v_cndmask_b32_e64 v64, 0, v64, s0
.LBB97_65:                              ;   in Loop: Header=BB97_42 Depth=1
	s_or_b32 exec_lo, exec_lo, s9
	v_lshlrev_b32_e32 v66, 16, v66
	v_lshlrev_b32_e32 v65, 16, v65
	s_delay_alu instid0(VALU_DEP_3) | instskip(NEXT) | instid1(VALU_DEP_3)
	v_lshlrev_b32_e32 v64, 16, v64
	v_and_or_b32 v1, 0xffff, v1, v66
	s_delay_alu instid0(VALU_DEP_3) | instskip(NEXT) | instid1(VALU_DEP_3)
	v_and_or_b32 v2, 0xffff, v2, v65
	v_and_or_b32 v3, 0xffff, v3, v64
	;;#ASMSTART
	v_pk_mul_f16 v1, v34, v1;

	;;#ASMEND
	;;#ASMSTART
	v_pk_mul_f16 v2, v33, v2;

	;;#ASMEND
	;; [unrolled: 4-line block ×4, first 2 shown]
	;;#ASMSTART
	v_pk_add_f16 v1, v1, v2;

	;;#ASMEND
	;;#ASMSTART
	v_pk_add_f16 v1, v1, v3;

	;;#ASMEND
	;; [unrolled: 4-line block ×3, first 2 shown]
	v_and_b32_e32 v2, 0xffff, v1
	v_lshrrev_b32_e32 v1, 16, v1
	;;#ASMSTART
	v_cvt_f32_f16 v65, v2;
	;;#ASMEND
	;;#ASMSTART
	v_cvt_f32_f16 v66, v1;
	;;#ASMEND
	global_load_b128 v[1:4], v[7:8], off offset:5632
	s_wait_loadcnt 0x0
	v_lshrrev_b32_e32 v64, 16, v1
	v_lshrrev_b32_e32 v8, 16, v2
	;; [unrolled: 1-line block ×3, first 2 shown]
	s_and_saveexec_b32 s0, vcc_lo
	s_cbranch_execz .LBB97_40
; %bb.66:                               ;   in Loop: Header=BB97_42 Depth=1
	v_cmp_gt_i32_e32 vcc_lo, s31, v32
	v_and_b32_e32 v32, 0xffff, v4
	s_wait_alu 0xfffd
	v_dual_cndmask_b32 v1, 0, v1 :: v_dual_and_b32 v4, 0xffff0000, v4
	v_cmp_gt_i32_e32 vcc_lo, s31, v40
	s_wait_alu 0xfffd
	v_cndmask_b32_e32 v64, 0, v64, vcc_lo
	v_cmp_gt_i32_e32 vcc_lo, s31, v38
	s_wait_alu 0xfffd
	v_cndmask_b32_e32 v2, 0, v2, vcc_lo
	;; [unrolled: 3-line block ×5, first 2 shown]
	v_cmp_gt_i32_e32 vcc_lo, s31, v28
	s_delay_alu instid0(VALU_DEP_2)
	v_or_b32_e32 v4, v29, v4
	s_wait_alu 0xfffd
	v_cndmask_b32_e32 v3, 0, v3, vcc_lo
	v_cmp_gt_i32_e32 vcc_lo, s31, v27
	s_wait_alu 0xfffd
	v_cndmask_b32_e32 v7, 0, v7, vcc_lo
	s_branch .LBB97_40
.LBB97_67:
	s_or_b32 exec_lo, exec_lo, s5
.LBB97_68:
	s_wait_alu 0xfffe
	s_or_b32 exec_lo, exec_lo, s1
	ds_bpermute_b32 v1, v10, v22
	ds_bpermute_b32 v2, v10, v21
	;; [unrolled: 1-line block ×12, first 2 shown]
	v_lshrrev_b32_e32 v9, 1, v9
	s_mov_b32 s0, exec_lo
	s_wait_storecnt 0x0
	s_wait_loadcnt_dscnt 0x0
	s_barrier_signal -1
	s_barrier_wait -1
	global_inv scope:SCOPE_SE
	v_dual_add_f32 v22, v22, v1 :: v_dual_add_f32 v21, v21, v2
	v_add_f32_e32 v20, v20, v3
	v_add_f32_e32 v10, v19, v4
	v_dual_add_f32 v8, v18, v5 :: v_dual_add_f32 v7, v17, v6
	v_add_f32_e32 v4, v16, v23
	v_dual_add_f32 v2, v15, v24 :: v_dual_add_f32 v1, v14, v25
	v_add_f32_e32 v5, v13, v26
	v_dual_add_f32 v6, v12, v27 :: v_dual_and_b32 v13, 0x3c1, v0
	v_add_f32_e32 v3, v11, v28
	v_lshl_add_u32 v11, v9, 2, 0x1a0
	v_mul_u32_u24_e32 v12, 0x300, v51
	s_delay_alu instid0(VALU_DEP_4)
	v_cmpx_eq_u32_e32 64, v13
	s_cbranch_execz .LBB97_70
; %bb.69:
	s_delay_alu instid0(VALU_DEP_2) | instskip(NEXT) | instid1(VALU_DEP_1)
	v_add_nc_u32_e32 v13, v11, v12
	v_add_nc_u32_e32 v14, 0xfffffa00, v13
	;; [unrolled: 1-line block ×13, first 2 shown]
	ds_store_b32 v14, v22
	ds_store_b32 v15, v21
	ds_store_b32 v16, v20
	ds_store_b32 v17, v10
	ds_store_b32 v18, v8
	ds_store_b32 v19, v7
	ds_store_b32 v23, v4
	ds_store_b32 v24, v2
	ds_store_b32 v25, v1
	ds_store_b32 v26, v5
	ds_store_b32 v27, v6
	ds_store_b32 v13, v3
.LBB97_70:
	s_wait_alu 0xfffe
	s_or_b32 exec_lo, exec_lo, s0
	v_lshlrev_b32_e32 v9, 2, v9
	s_mov_b32 s1, exec_lo
	v_cmp_eq_u32_e32 vcc_lo, 0, v50
	s_wait_loadcnt_dscnt 0x0
	s_barrier_signal -1
	v_add3_u32 v9, 0x1a0, v12, v9
	s_barrier_wait -1
	global_inv scope:SCOPE_SE
	v_cmpx_gt_u32_e32 64, v0
	s_cbranch_execz .LBB97_85
; %bb.71:
	s_and_saveexec_b32 s0, vcc_lo
	s_cbranch_execnz .LBB97_105
; %bb.72:
	s_wait_alu 0xfffe
	s_or_b32 exec_lo, exec_lo, s0
	s_and_saveexec_b32 s0, vcc_lo
	s_cbranch_execnz .LBB97_106
.LBB97_73:
	s_wait_alu 0xfffe
	s_or_b32 exec_lo, exec_lo, s0
	s_and_saveexec_b32 s0, vcc_lo
	s_cbranch_execnz .LBB97_107
.LBB97_74:
	s_wait_alu 0xfffe
	s_or_b32 exec_lo, exec_lo, s0
	s_and_saveexec_b32 s0, vcc_lo
	s_cbranch_execnz .LBB97_108
.LBB97_75:
	s_wait_alu 0xfffe
	s_or_b32 exec_lo, exec_lo, s0
	s_and_saveexec_b32 s0, vcc_lo
	s_cbranch_execnz .LBB97_109
.LBB97_76:
	s_wait_alu 0xfffe
	s_or_b32 exec_lo, exec_lo, s0
	s_and_saveexec_b32 s0, vcc_lo
	s_cbranch_execnz .LBB97_110
.LBB97_77:
	s_wait_alu 0xfffe
	s_or_b32 exec_lo, exec_lo, s0
	s_and_saveexec_b32 s0, vcc_lo
	s_cbranch_execnz .LBB97_111
.LBB97_78:
	s_wait_alu 0xfffe
	s_or_b32 exec_lo, exec_lo, s0
	s_and_saveexec_b32 s0, vcc_lo
	s_cbranch_execnz .LBB97_112
.LBB97_79:
	s_wait_alu 0xfffe
	s_or_b32 exec_lo, exec_lo, s0
	s_and_saveexec_b32 s0, vcc_lo
	s_cbranch_execnz .LBB97_113
.LBB97_80:
	s_wait_alu 0xfffe
	s_or_b32 exec_lo, exec_lo, s0
	s_and_saveexec_b32 s0, vcc_lo
	s_cbranch_execnz .LBB97_114
.LBB97_81:
	s_wait_alu 0xfffe
	s_or_b32 exec_lo, exec_lo, s0
	s_and_saveexec_b32 s0, vcc_lo
	s_cbranch_execnz .LBB97_115
.LBB97_82:
	s_wait_alu 0xfffe
	s_or_b32 exec_lo, exec_lo, s0
	s_and_saveexec_b32 s0, vcc_lo
	s_cbranch_execz .LBB97_84
.LBB97_83:
	ds_load_b32 v12, v9 offset:704
	s_wait_dscnt 0x0
	v_add_f32_e32 v3, v3, v12
.LBB97_84:
	s_wait_alu 0xfffe
	s_or_b32 exec_lo, exec_lo, s0
.LBB97_85:
	s_wait_alu 0xfffe
	s_or_b32 exec_lo, exec_lo, s1
	v_and_b32_e32 v12, 0x3e1, v0
	s_mov_b32 s1, exec_lo
	s_wait_loadcnt 0x0
	s_barrier_signal -1
	s_barrier_wait -1
	global_inv scope:SCOPE_SE
	v_cmpx_eq_u32_e32 32, v12
	s_cbranch_execz .LBB97_87
; %bb.86:
	ds_store_2addr_b32 v11, v22, v21 offset1:16
	ds_store_2addr_b32 v11, v20, v10 offset0:32 offset1:48
	ds_store_2addr_b32 v11, v8, v7 offset0:64 offset1:80
	;; [unrolled: 1-line block ×5, first 2 shown]
.LBB97_87:
	s_wait_alu 0xfffe
	s_or_b32 exec_lo, exec_lo, s1
	s_delay_alu instid0(SALU_CYCLE_1)
	s_mov_b32 s1, exec_lo
	s_wait_loadcnt_dscnt 0x0
	s_barrier_signal -1
	s_barrier_wait -1
	global_inv scope:SCOPE_SE
	v_cmpx_gt_u32_e32 32, v0
	s_cbranch_execz .LBB97_102
; %bb.88:
	s_and_saveexec_b32 s0, vcc_lo
	s_cbranch_execnz .LBB97_116
; %bb.89:
	s_wait_alu 0xfffe
	s_or_b32 exec_lo, exec_lo, s0
	s_and_saveexec_b32 s0, vcc_lo
	s_cbranch_execnz .LBB97_117
.LBB97_90:
	s_wait_alu 0xfffe
	s_or_b32 exec_lo, exec_lo, s0
	s_and_saveexec_b32 s0, vcc_lo
	s_cbranch_execnz .LBB97_118
.LBB97_91:
	s_wait_alu 0xfffe
	s_or_b32 exec_lo, exec_lo, s0
	s_and_saveexec_b32 s0, vcc_lo
	s_cbranch_execnz .LBB97_119
.LBB97_92:
	s_wait_alu 0xfffe
	s_or_b32 exec_lo, exec_lo, s0
	s_and_saveexec_b32 s0, vcc_lo
	s_cbranch_execnz .LBB97_120
.LBB97_93:
	s_wait_alu 0xfffe
	s_or_b32 exec_lo, exec_lo, s0
	s_and_saveexec_b32 s0, vcc_lo
	s_cbranch_execnz .LBB97_121
.LBB97_94:
	s_wait_alu 0xfffe
	s_or_b32 exec_lo, exec_lo, s0
	s_and_saveexec_b32 s0, vcc_lo
	s_cbranch_execnz .LBB97_122
.LBB97_95:
	s_wait_alu 0xfffe
	s_or_b32 exec_lo, exec_lo, s0
	s_and_saveexec_b32 s0, vcc_lo
	s_cbranch_execnz .LBB97_123
.LBB97_96:
	s_wait_alu 0xfffe
	s_or_b32 exec_lo, exec_lo, s0
	s_and_saveexec_b32 s0, vcc_lo
	s_cbranch_execnz .LBB97_124
.LBB97_97:
	s_wait_alu 0xfffe
	s_or_b32 exec_lo, exec_lo, s0
	s_and_saveexec_b32 s0, vcc_lo
	s_cbranch_execnz .LBB97_125
.LBB97_98:
	s_wait_alu 0xfffe
	s_or_b32 exec_lo, exec_lo, s0
	s_and_saveexec_b32 s0, vcc_lo
	s_cbranch_execnz .LBB97_126
.LBB97_99:
	s_wait_alu 0xfffe
	s_or_b32 exec_lo, exec_lo, s0
	s_and_saveexec_b32 s0, vcc_lo
	s_cbranch_execz .LBB97_101
.LBB97_100:
	ds_load_b32 v0, v9 offset:704
	s_wait_dscnt 0x0
	v_add_f32_e32 v3, v3, v0
.LBB97_101:
	s_wait_alu 0xfffe
	s_or_b32 exec_lo, exec_lo, s0
.LBB97_102:
	s_wait_alu 0xfffe
	s_or_b32 exec_lo, exec_lo, s1
	s_mov_b32 s1, 0
	s_wait_loadcnt 0x0
	s_barrier_signal -1
	s_barrier_wait -1
	global_inv scope:SCOPE_SE
	s_mov_b32 s0, exec_lo
	v_cmpx_eq_u32_e32 0, v12
	s_cbranch_execz .LBB97_104
; %bb.103:
	s_mul_i32 s2, s26, 0xc0
	s_wait_kmcnt 0x0
	s_mul_i32 s4, s8, s16
	s_wait_alu 0xfffe
	s_ashr_i32 s3, s2, 31
	s_ashr_i32 s5, s4, 31
	s_wait_alu 0xfffe
	s_lshl_b64 s[2:3], s[2:3], 1
	s_lshl_b64 s[4:5], s[4:5], 1
	s_wait_alu 0xfffe
	s_add_nc_u64 s[2:3], s[14:15], s[2:3]
	v_lshlrev_b32_e32 v0, 1, v49
	s_mul_i32 s0, s30, 0x180
	s_wait_alu 0xfffe
	s_add_nc_u64 s[2:3], s[2:3], s[4:5]
	;;#ASMSTART
	v_cvt_f16_f32 v9, v22;

	;;#ASMEND
	s_wait_alu 0xfffe
	s_add_nc_u64 s[0:1], s[2:3], s[0:1]
	global_store_b16 v0, v9, s[0:1]
	;;#ASMSTART
	v_cvt_f16_f32 v9, v21;

	;;#ASMEND
	global_store_b16 v0, v9, s[0:1] offset:32
	;;#ASMSTART
	v_cvt_f16_f32 v9, v20;

	;;#ASMEND
	global_store_b16 v0, v9, s[0:1] offset:64
	;; [unrolled: 5-line block ×11, first 2 shown]
.LBB97_104:
	s_nop 0
	s_sendmsg sendmsg(MSG_DEALLOC_VGPRS)
	s_endpgm
.LBB97_105:
	ds_load_b32 v12, v9
	s_wait_dscnt 0x0
	v_add_f32_e32 v22, v22, v12
	s_wait_alu 0xfffe
	s_or_b32 exec_lo, exec_lo, s0
	s_and_saveexec_b32 s0, vcc_lo
	s_cbranch_execz .LBB97_73
.LBB97_106:
	ds_load_b32 v12, v9 offset:64
	s_wait_dscnt 0x0
	v_add_f32_e32 v21, v21, v12
	s_wait_alu 0xfffe
	s_or_b32 exec_lo, exec_lo, s0
	s_and_saveexec_b32 s0, vcc_lo
	s_cbranch_execz .LBB97_74
.LBB97_107:
	ds_load_b32 v12, v9 offset:128
	s_wait_dscnt 0x0
	v_add_f32_e32 v20, v20, v12
	s_wait_alu 0xfffe
	s_or_b32 exec_lo, exec_lo, s0
	s_and_saveexec_b32 s0, vcc_lo
	s_cbranch_execz .LBB97_75
.LBB97_108:
	ds_load_b32 v12, v9 offset:192
	s_wait_dscnt 0x0
	v_add_f32_e32 v10, v10, v12
	s_wait_alu 0xfffe
	s_or_b32 exec_lo, exec_lo, s0
	s_and_saveexec_b32 s0, vcc_lo
	s_cbranch_execz .LBB97_76
.LBB97_109:
	ds_load_b32 v12, v9 offset:256
	s_wait_dscnt 0x0
	v_add_f32_e32 v8, v8, v12
	s_wait_alu 0xfffe
	s_or_b32 exec_lo, exec_lo, s0
	s_and_saveexec_b32 s0, vcc_lo
	s_cbranch_execz .LBB97_77
.LBB97_110:
	ds_load_b32 v12, v9 offset:320
	s_wait_dscnt 0x0
	v_add_f32_e32 v7, v7, v12
	s_wait_alu 0xfffe
	s_or_b32 exec_lo, exec_lo, s0
	s_and_saveexec_b32 s0, vcc_lo
	s_cbranch_execz .LBB97_78
.LBB97_111:
	ds_load_b32 v12, v9 offset:384
	s_wait_dscnt 0x0
	v_add_f32_e32 v4, v4, v12
	s_wait_alu 0xfffe
	s_or_b32 exec_lo, exec_lo, s0
	s_and_saveexec_b32 s0, vcc_lo
	s_cbranch_execz .LBB97_79
.LBB97_112:
	ds_load_b32 v12, v9 offset:448
	s_wait_dscnt 0x0
	v_add_f32_e32 v2, v2, v12
	s_wait_alu 0xfffe
	s_or_b32 exec_lo, exec_lo, s0
	s_and_saveexec_b32 s0, vcc_lo
	s_cbranch_execz .LBB97_80
.LBB97_113:
	ds_load_b32 v12, v9 offset:512
	s_wait_dscnt 0x0
	v_add_f32_e32 v1, v1, v12
	s_wait_alu 0xfffe
	s_or_b32 exec_lo, exec_lo, s0
	s_and_saveexec_b32 s0, vcc_lo
	s_cbranch_execz .LBB97_81
.LBB97_114:
	ds_load_b32 v12, v9 offset:576
	s_wait_dscnt 0x0
	v_add_f32_e32 v5, v5, v12
	s_wait_alu 0xfffe
	s_or_b32 exec_lo, exec_lo, s0
	s_and_saveexec_b32 s0, vcc_lo
	s_cbranch_execz .LBB97_82
.LBB97_115:
	ds_load_b32 v12, v9 offset:640
	s_wait_dscnt 0x0
	v_add_f32_e32 v6, v6, v12
	s_wait_alu 0xfffe
	s_or_b32 exec_lo, exec_lo, s0
	s_and_saveexec_b32 s0, vcc_lo
	s_cbranch_execnz .LBB97_83
	s_branch .LBB97_84
.LBB97_116:
	ds_load_b32 v0, v9
	s_wait_dscnt 0x0
	v_add_f32_e32 v22, v22, v0
	s_wait_alu 0xfffe
	s_or_b32 exec_lo, exec_lo, s0
	s_and_saveexec_b32 s0, vcc_lo
	s_cbranch_execz .LBB97_90
.LBB97_117:
	ds_load_b32 v0, v9 offset:64
	s_wait_dscnt 0x0
	v_add_f32_e32 v21, v21, v0
	s_wait_alu 0xfffe
	s_or_b32 exec_lo, exec_lo, s0
	s_and_saveexec_b32 s0, vcc_lo
	s_cbranch_execz .LBB97_91
.LBB97_118:
	ds_load_b32 v0, v9 offset:128
	s_wait_dscnt 0x0
	v_add_f32_e32 v20, v20, v0
	s_wait_alu 0xfffe
	s_or_b32 exec_lo, exec_lo, s0
	s_and_saveexec_b32 s0, vcc_lo
	s_cbranch_execz .LBB97_92
.LBB97_119:
	ds_load_b32 v0, v9 offset:192
	s_wait_dscnt 0x0
	v_add_f32_e32 v10, v10, v0
	s_wait_alu 0xfffe
	s_or_b32 exec_lo, exec_lo, s0
	s_and_saveexec_b32 s0, vcc_lo
	s_cbranch_execz .LBB97_93
.LBB97_120:
	ds_load_b32 v0, v9 offset:256
	s_wait_dscnt 0x0
	v_add_f32_e32 v8, v8, v0
	s_wait_alu 0xfffe
	s_or_b32 exec_lo, exec_lo, s0
	s_and_saveexec_b32 s0, vcc_lo
	s_cbranch_execz .LBB97_94
.LBB97_121:
	ds_load_b32 v0, v9 offset:320
	s_wait_dscnt 0x0
	v_add_f32_e32 v7, v7, v0
	s_wait_alu 0xfffe
	s_or_b32 exec_lo, exec_lo, s0
	s_and_saveexec_b32 s0, vcc_lo
	s_cbranch_execz .LBB97_95
.LBB97_122:
	ds_load_b32 v0, v9 offset:384
	s_wait_dscnt 0x0
	v_add_f32_e32 v4, v4, v0
	s_wait_alu 0xfffe
	s_or_b32 exec_lo, exec_lo, s0
	s_and_saveexec_b32 s0, vcc_lo
	s_cbranch_execz .LBB97_96
.LBB97_123:
	ds_load_b32 v0, v9 offset:448
	s_wait_dscnt 0x0
	v_add_f32_e32 v2, v2, v0
	s_wait_alu 0xfffe
	s_or_b32 exec_lo, exec_lo, s0
	s_and_saveexec_b32 s0, vcc_lo
	s_cbranch_execz .LBB97_97
.LBB97_124:
	ds_load_b32 v0, v9 offset:512
	s_wait_dscnt 0x0
	v_add_f32_e32 v1, v1, v0
	s_wait_alu 0xfffe
	s_or_b32 exec_lo, exec_lo, s0
	s_and_saveexec_b32 s0, vcc_lo
	s_cbranch_execz .LBB97_98
.LBB97_125:
	ds_load_b32 v0, v9 offset:576
	s_wait_dscnt 0x0
	v_add_f32_e32 v5, v5, v0
	s_wait_alu 0xfffe
	s_or_b32 exec_lo, exec_lo, s0
	s_and_saveexec_b32 s0, vcc_lo
	s_cbranch_execz .LBB97_99
.LBB97_126:
	ds_load_b32 v0, v9 offset:640
	s_wait_dscnt 0x0
	v_add_f32_e32 v6, v6, v0
	s_wait_alu 0xfffe
	s_or_b32 exec_lo, exec_lo, s0
	s_and_saveexec_b32 s0, vcc_lo
	s_cbranch_execnz .LBB97_100
	s_branch .LBB97_101
	.section	.rodata,"a",@progbits
	.p2align	6, 0x0
	.amdhsa_kernel _ZN4vllm25paged_attention_v2_kernelIttLi192ELi16ELi128ELNS_18Fp8KVCacheDataTypeE0ELb1ELi512EEEvPfS2_PT_PKS3_PKT0_S9_ifPKiSB_iPKfiiiSD_SD_iiiii
		.amdhsa_group_segment_fixed_size 416
		.amdhsa_private_segment_fixed_size 0
		.amdhsa_kernarg_size 400
		.amdhsa_user_sgpr_count 2
		.amdhsa_user_sgpr_dispatch_ptr 0
		.amdhsa_user_sgpr_queue_ptr 0
		.amdhsa_user_sgpr_kernarg_segment_ptr 1
		.amdhsa_user_sgpr_dispatch_id 0
		.amdhsa_user_sgpr_private_segment_size 0
		.amdhsa_wavefront_size32 1
		.amdhsa_uses_dynamic_stack 0
		.amdhsa_enable_private_segment 0
		.amdhsa_system_sgpr_workgroup_id_x 1
		.amdhsa_system_sgpr_workgroup_id_y 1
		.amdhsa_system_sgpr_workgroup_id_z 1
		.amdhsa_system_sgpr_workgroup_info 0
		.amdhsa_system_vgpr_workitem_id 0
		.amdhsa_next_free_vgpr 136
		.amdhsa_next_free_sgpr 42
		.amdhsa_reserve_vcc 1
		.amdhsa_float_round_mode_32 0
		.amdhsa_float_round_mode_16_64 0
		.amdhsa_float_denorm_mode_32 3
		.amdhsa_float_denorm_mode_16_64 3
		.amdhsa_fp16_overflow 0
		.amdhsa_workgroup_processor_mode 1
		.amdhsa_memory_ordered 1
		.amdhsa_forward_progress 1
		.amdhsa_inst_pref_size 93
		.amdhsa_round_robin_scheduling 0
		.amdhsa_exception_fp_ieee_invalid_op 0
		.amdhsa_exception_fp_denorm_src 0
		.amdhsa_exception_fp_ieee_div_zero 0
		.amdhsa_exception_fp_ieee_overflow 0
		.amdhsa_exception_fp_ieee_underflow 0
		.amdhsa_exception_fp_ieee_inexact 0
		.amdhsa_exception_int_div_zero 0
	.end_amdhsa_kernel
	.section	.text._ZN4vllm25paged_attention_v2_kernelIttLi192ELi16ELi128ELNS_18Fp8KVCacheDataTypeE0ELb1ELi512EEEvPfS2_PT_PKS3_PKT0_S9_ifPKiSB_iPKfiiiSD_SD_iiiii,"axG",@progbits,_ZN4vllm25paged_attention_v2_kernelIttLi192ELi16ELi128ELNS_18Fp8KVCacheDataTypeE0ELb1ELi512EEEvPfS2_PT_PKS3_PKT0_S9_ifPKiSB_iPKfiiiSD_SD_iiiii,comdat
.Lfunc_end97:
	.size	_ZN4vllm25paged_attention_v2_kernelIttLi192ELi16ELi128ELNS_18Fp8KVCacheDataTypeE0ELb1ELi512EEEvPfS2_PT_PKS3_PKT0_S9_ifPKiSB_iPKfiiiSD_SD_iiiii, .Lfunc_end97-_ZN4vllm25paged_attention_v2_kernelIttLi192ELi16ELi128ELNS_18Fp8KVCacheDataTypeE0ELb1ELi512EEEvPfS2_PT_PKS3_PKT0_S9_ifPKiSB_iPKfiiiSD_SD_iiiii
                                        ; -- End function
	.set _ZN4vllm25paged_attention_v2_kernelIttLi192ELi16ELi128ELNS_18Fp8KVCacheDataTypeE0ELb1ELi512EEEvPfS2_PT_PKS3_PKT0_S9_ifPKiSB_iPKfiiiSD_SD_iiiii.num_vgpr, 136
	.set _ZN4vllm25paged_attention_v2_kernelIttLi192ELi16ELi128ELNS_18Fp8KVCacheDataTypeE0ELb1ELi512EEEvPfS2_PT_PKS3_PKT0_S9_ifPKiSB_iPKfiiiSD_SD_iiiii.num_agpr, 0
	.set _ZN4vllm25paged_attention_v2_kernelIttLi192ELi16ELi128ELNS_18Fp8KVCacheDataTypeE0ELb1ELi512EEEvPfS2_PT_PKS3_PKT0_S9_ifPKiSB_iPKfiiiSD_SD_iiiii.numbered_sgpr, 42
	.set _ZN4vllm25paged_attention_v2_kernelIttLi192ELi16ELi128ELNS_18Fp8KVCacheDataTypeE0ELb1ELi512EEEvPfS2_PT_PKS3_PKT0_S9_ifPKiSB_iPKfiiiSD_SD_iiiii.num_named_barrier, 0
	.set _ZN4vllm25paged_attention_v2_kernelIttLi192ELi16ELi128ELNS_18Fp8KVCacheDataTypeE0ELb1ELi512EEEvPfS2_PT_PKS3_PKT0_S9_ifPKiSB_iPKfiiiSD_SD_iiiii.private_seg_size, 0
	.set _ZN4vllm25paged_attention_v2_kernelIttLi192ELi16ELi128ELNS_18Fp8KVCacheDataTypeE0ELb1ELi512EEEvPfS2_PT_PKS3_PKT0_S9_ifPKiSB_iPKfiiiSD_SD_iiiii.uses_vcc, 1
	.set _ZN4vllm25paged_attention_v2_kernelIttLi192ELi16ELi128ELNS_18Fp8KVCacheDataTypeE0ELb1ELi512EEEvPfS2_PT_PKS3_PKT0_S9_ifPKiSB_iPKfiiiSD_SD_iiiii.uses_flat_scratch, 0
	.set _ZN4vllm25paged_attention_v2_kernelIttLi192ELi16ELi128ELNS_18Fp8KVCacheDataTypeE0ELb1ELi512EEEvPfS2_PT_PKS3_PKT0_S9_ifPKiSB_iPKfiiiSD_SD_iiiii.has_dyn_sized_stack, 0
	.set _ZN4vllm25paged_attention_v2_kernelIttLi192ELi16ELi128ELNS_18Fp8KVCacheDataTypeE0ELb1ELi512EEEvPfS2_PT_PKS3_PKT0_S9_ifPKiSB_iPKfiiiSD_SD_iiiii.has_recursion, 0
	.set _ZN4vllm25paged_attention_v2_kernelIttLi192ELi16ELi128ELNS_18Fp8KVCacheDataTypeE0ELb1ELi512EEEvPfS2_PT_PKS3_PKT0_S9_ifPKiSB_iPKfiiiSD_SD_iiiii.has_indirect_call, 0
	.section	.AMDGPU.csdata,"",@progbits
; Kernel info:
; codeLenInByte = 11860
; TotalNumSgprs: 44
; NumVgprs: 136
; ScratchSize: 0
; MemoryBound: 0
; FloatMode: 240
; IeeeMode: 1
; LDSByteSize: 416 bytes/workgroup (compile time only)
; SGPRBlocks: 0
; VGPRBlocks: 16
; NumSGPRsForWavesPerEU: 44
; NumVGPRsForWavesPerEU: 136
; Occupancy: 10
; WaveLimiterHint : 1
; COMPUTE_PGM_RSRC2:SCRATCH_EN: 0
; COMPUTE_PGM_RSRC2:USER_SGPR: 2
; COMPUTE_PGM_RSRC2:TRAP_HANDLER: 0
; COMPUTE_PGM_RSRC2:TGID_X_EN: 1
; COMPUTE_PGM_RSRC2:TGID_Y_EN: 1
; COMPUTE_PGM_RSRC2:TGID_Z_EN: 1
; COMPUTE_PGM_RSRC2:TIDIG_COMP_CNT: 0
	.section	.text._ZN4vllm25paged_attention_v2_kernelIttLi256ELi16ELi128ELNS_18Fp8KVCacheDataTypeE0ELb1ELi512EEEvPfS2_PT_PKS3_PKT0_S9_ifPKiSB_iPKfiiiSD_SD_iiiii,"axG",@progbits,_ZN4vllm25paged_attention_v2_kernelIttLi256ELi16ELi128ELNS_18Fp8KVCacheDataTypeE0ELb1ELi512EEEvPfS2_PT_PKS3_PKT0_S9_ifPKiSB_iPKfiiiSD_SD_iiiii,comdat
	.protected	_ZN4vllm25paged_attention_v2_kernelIttLi256ELi16ELi128ELNS_18Fp8KVCacheDataTypeE0ELb1ELi512EEEvPfS2_PT_PKS3_PKT0_S9_ifPKiSB_iPKfiiiSD_SD_iiiii ; -- Begin function _ZN4vllm25paged_attention_v2_kernelIttLi256ELi16ELi128ELNS_18Fp8KVCacheDataTypeE0ELb1ELi512EEEvPfS2_PT_PKS3_PKT0_S9_ifPKiSB_iPKfiiiSD_SD_iiiii
	.globl	_ZN4vllm25paged_attention_v2_kernelIttLi256ELi16ELi128ELNS_18Fp8KVCacheDataTypeE0ELb1ELi512EEEvPfS2_PT_PKS3_PKT0_S9_ifPKiSB_iPKfiiiSD_SD_iiiii
	.p2align	8
	.type	_ZN4vllm25paged_attention_v2_kernelIttLi256ELi16ELi128ELNS_18Fp8KVCacheDataTypeE0ELb1ELi512EEEvPfS2_PT_PKS3_PKT0_S9_ifPKiSB_iPKfiiiSD_SD_iiiii,@function
_ZN4vllm25paged_attention_v2_kernelIttLi256ELi16ELi128ELNS_18Fp8KVCacheDataTypeE0ELb1ELi512EEEvPfS2_PT_PKS3_PKT0_S9_ifPKiSB_iPKfiiiSD_SD_iiiii: ; @_ZN4vllm25paged_attention_v2_kernelIttLi256ELi16ELi128ELNS_18Fp8KVCacheDataTypeE0ELb1ELi512EEEvPfS2_PT_PKS3_PKT0_S9_ifPKiSB_iPKfiiiSD_SD_iiiii
; %bb.0:
	s_load_b64 s[2:3], s[0:1], 0x40
	s_and_b32 s34, ttmp7, 0xffff
	s_lshr_b32 s33, ttmp7, 16
	s_lshl_b32 s4, s34, 2
	s_lshl_b32 s20, s33, 9
	s_wait_kmcnt 0x0
	s_load_b32 s21, s[2:3], s4 offset:0x0
	s_wait_kmcnt 0x0
	s_cmp_ge_i32 s20, s21
	s_cbranch_scc1 .LBB98_120
; %bb.1:
	s_clause 0x1
	s_load_b32 s35, s[0:1], 0x90
	s_load_b64 s[6:7], s[0:1], 0x30
	s_wait_kmcnt 0x0
	s_abs_i32 s5, s35
	s_abs_i32 s2, s6
	s_delay_alu instid0(SALU_CYCLE_1) | instskip(SKIP_1) | instid1(SALU_CYCLE_2)
	s_cvt_f32_u32 s3, s2
	s_sub_co_i32 s4, 0, s2
	v_rcp_iflag_f32_e32 v1, s3
	s_delay_alu instid0(TRANS32_DEP_1) | instskip(SKIP_2) | instid1(SALU_CYCLE_2)
	v_readfirstlane_b32 s3, v1
	s_mul_f32 s3, s3, 0x4f7ffffe
	s_wait_alu 0xfffe
	s_cvt_u32_f32 s3, s3
	s_wait_alu 0xfffe
	s_delay_alu instid0(SALU_CYCLE_2) | instskip(NEXT) | instid1(SALU_CYCLE_1)
	s_mul_i32 s4, s4, s3
	s_mul_hi_u32 s4, s3, s4
	s_delay_alu instid0(SALU_CYCLE_1)
	s_add_co_i32 s3, s3, s4
	s_xor_b32 s4, s35, s6
	s_wait_alu 0xfffe
	s_mul_hi_u32 s3, s5, s3
	s_ashr_i32 s4, s4, 31
	s_wait_alu 0xfffe
	s_mul_i32 s8, s3, s2
	s_delay_alu instid0(SALU_CYCLE_1)
	s_sub_co_i32 s5, s5, s8
	s_add_co_i32 s8, s3, 1
	s_sub_co_i32 s9, s5, s2
	s_cmp_ge_u32 s5, s2
	s_cselect_b32 s3, s8, s3
	s_cselect_b32 s5, s9, s5
	s_wait_alu 0xfffe
	s_add_co_i32 s8, s3, 1
	s_cmp_ge_u32 s5, s2
	s_mov_b32 s5, 0
	s_cselect_b32 s2, s8, s3
	s_load_b64 s[8:9], s[0:1], 0x50
	s_xor_b32 s2, s2, s4
	s_mov_b32 s14, s5
	s_wait_alu 0xfffe
	s_sub_co_i32 s10, s2, s4
	s_abs_i32 s4, ttmp9
	s_abs_i32 s12, s10
	s_delay_alu instid0(SALU_CYCLE_1) | instskip(SKIP_2) | instid1(SALU_CYCLE_1)
	s_cvt_f32_u32 s2, s12
	s_sub_co_i32 s3, 0, s12
	s_wait_alu 0xfffe
	v_rcp_iflag_f32_e32 v1, s2
	s_delay_alu instid0(TRANS32_DEP_1) | instskip(SKIP_2) | instid1(SALU_CYCLE_2)
	v_readfirstlane_b32 s2, v1
	s_mul_f32 s2, s2, 0x4f7ffffe
	s_wait_alu 0xfffe
	s_cvt_u32_f32 s2, s2
	s_wait_alu 0xfffe
	s_delay_alu instid0(SALU_CYCLE_2)
	s_mul_i32 s3, s3, s2
	s_wait_alu 0xfffe
	s_mul_hi_u32 s3, s2, s3
	s_wait_alu 0xfffe
	s_add_co_i32 s2, s2, s3
	s_mov_b32 s3, s5
	s_wait_kmcnt 0x0
	s_cmp_eq_u64 s[8:9], 0
	s_cbranch_scc1 .LBB98_3
; %bb.2:
	s_mov_b32 s14, ttmp9
	s_ashr_i32 s15, ttmp9, 31
	s_delay_alu instid0(SALU_CYCLE_1) | instskip(NEXT) | instid1(SALU_CYCLE_1)
	s_lshl_b64 s[14:15], s[14:15], 2
	s_add_nc_u64 s[8:9], s[8:9], s[14:15]
	s_load_b32 s14, s[8:9], 0x0
.LBB98_3:
	s_load_b96 s[16:18], s[0:1], 0x58
	s_mul_u64 s[2:3], s[4:5], s[2:3]
	v_lshrrev_b32_e32 v63, 1, v0
	v_and_b32_e32 v64, 1, v0
	v_cmp_gt_u32_e64 s2, 64, v0
	v_lshlrev_b32_e32 v68, 3, v0
	s_ashr_i32 s5, ttmp9, 31
	s_ashr_i32 s13, s10, 31
	s_lshl_b32 s22, ttmp9, 8
	s_wait_alu 0xfffe
	s_and_saveexec_b32 s8, s2
	s_cbranch_execz .LBB98_5
; %bb.4:
	s_load_b64 s[10:11], s[0:1], 0x18
	s_wait_kmcnt 0x0
	s_mul_i32 s24, s16, s34
	s_ashr_i32 s23, s22, 31
	s_ashr_i32 s25, s24, 31
	v_lshlrev_b32_e32 v3, 3, v63
	s_lshl_b64 s[24:25], s[24:25], 1
	s_delay_alu instid0(VALU_DEP_1) | instskip(SKIP_2) | instid1(SALU_CYCLE_1)
	v_lshl_add_u32 v3, v64, 8, v3
	s_add_nc_u64 s[10:11], s[10:11], s[24:25]
	s_lshl_b64 s[24:25], s[22:23], 1
	s_add_nc_u64 s[10:11], s[10:11], s[24:25]
	global_load_b64 v[1:2], v68, s[10:11]
	s_wait_loadcnt 0x0
	ds_store_b64 v3, v[1:2]
.LBB98_5:
	s_or_b32 exec_lo, exec_lo, s8
	s_load_b128 s[8:11], s[0:1], 0x78
	s_mul_i32 s15, s3, s12
	s_xor_b32 s5, s5, s13
	s_sub_co_i32 s4, s4, s15
	s_add_co_i32 s13, s3, 1
	s_sub_co_i32 s15, s4, s12
	s_cmp_ge_u32 s4, s12
	s_mov_b32 s26, -1
	s_cselect_b32 s3, s13, s3
	s_cselect_b32 s4, s15, s4
	s_wait_alu 0xfffe
	s_add_co_i32 s13, s3, 1
	s_cmp_ge_u32 s4, s12
                                        ; implicit-def: $sgpr23
	s_cselect_b32 s4, s13, s3
	s_load_b32 s3, s[0:1], 0x88
	s_xor_b32 s4, s4, s5
	s_add_co_i32 s19, s21, -1
	s_sub_co_i32 s15, s4, s5
	s_wait_dscnt 0x0
	s_barrier_signal -1
	s_wait_kmcnt 0x0
	s_abs_i32 s16, s11
	s_barrier_wait -1
	s_cvt_f32_u32 s12, s16
	global_inv scope:SCOPE_SE
	v_rcp_iflag_f32_e32 v1, s12
	s_delay_alu instid0(TRANS32_DEP_1) | instskip(SKIP_1) | instid1(SALU_CYCLE_3)
	v_readfirstlane_b32 s12, v1
	s_mul_f32 s4, s12, 0x4f7ffffe
	s_cvt_u32_f32 s12, s4
	s_sub_co_i32 s4, 0, s16
	s_wait_alu 0xfffe
	s_delay_alu instid0(SALU_CYCLE_1)
	s_mul_i32 s5, s4, s12
	s_abs_i32 s4, s19
	s_mul_hi_u32 s13, s12, s5
	s_mov_b32 s5, 0
	s_wait_alu 0xfffe
	s_add_co_i32 s24, s12, s13
	s_cmp_lt_i32 s3, 0
	s_mov_b32 s25, s5
	s_cbranch_scc0 .LBB98_7
; %bb.6:
	s_mul_i32 s6, s8, s6
	s_mov_b32 s26, s5
	s_add_co_i32 s6, s15, s6
	s_delay_alu instid0(SALU_CYCLE_1) | instskip(NEXT) | instid1(SALU_CYCLE_1)
	s_mul_i32 s6, s6, s3
	s_sub_co_i32 s23, 1, s6
.LBB98_7:
	s_mul_u64 s[12:13], s[4:5], s[24:25]
	s_ashr_i32 s5, s19, 31
	s_and_not1_b32 vcc_lo, exec_lo, s26
	s_ashr_i32 s11, s11, 31
	s_cbranch_vccnz .LBB98_9
; %bb.8:
	s_mul_i32 s6, s35, s8
	s_delay_alu instid0(SALU_CYCLE_1) | instskip(NEXT) | instid1(SALU_CYCLE_1)
	s_add_co_i32 s6, s6, ttmp9
	s_mul_i32 s3, s6, s3
	s_wait_alu 0xfffe
	s_add_co_i32 s23, s3, 1
.LBB98_9:
	s_clause 0x2
	s_load_b32 s3, s[0:1], 0x48
	s_load_b64 s[26:27], s[0:1], 0x38
	s_load_b32 s8, s[0:1], 0x98
	s_mul_i32 s6, s13, s16
	s_xor_b32 s5, s5, s11
	s_sub_co_i32 s4, s4, s6
	s_add_co_i32 s12, s13, 1
	v_lshrrev_b32_e32 v65, 5, v0
	v_mov_b32_e32 v71, 0xff7fffff
	v_mbcnt_lo_u32_b32 v70, -1, 0
	s_mul_i32 s18, s15, s18
	s_delay_alu instid0(VALU_DEP_3)
	v_lshl_add_u32 v66, v65, 4, s20
	s_wait_kmcnt 0x0
	s_mul_i32 s28, s3, s34
	s_sub_co_i32 s3, s4, s16
	s_ashr_i32 s29, s28, 31
	s_cmp_ge_u32 s4, s16
	s_wait_alu 0xfffe
	s_cselect_b32 s6, s12, s13
	s_cselect_b32 s3, s3, s4
	s_add_co_i32 s4, s6, 1
	s_wait_alu 0xfffe
	s_cmp_ge_u32 s3, s16
	s_cselect_b32 s3, s4, s6
	s_add_co_i32 s4, s21, 15
	s_lshl_b32 s38, s33, 5
	s_ashr_i32 s6, s4, 31
	v_or_b32_e32 v67, s38, v65
	s_lshr_b32 s6, s6, 28
	s_delay_alu instid0(SALU_CYCLE_1)
	s_add_co_i32 s4, s4, s6
	s_add_co_i32 s6, s38, 32
	s_ashr_i32 s36, s4, 4
	s_wait_alu 0xfffe
	s_xor_b32 s4, s3, s5
	s_min_i32 s25, s6, s36
	v_lshlrev_b32_e32 v69, 2, v67
	v_cmp_gt_i32_e64 s3, s25, v67
	s_sub_co_i32 s37, s4, s5
	s_and_saveexec_b32 s12, s3
	s_cbranch_execz .LBB98_21
; %bb.10:
	s_ashr_i32 s19, s18, 31
	s_sub_co_i32 s13, s37, s9
	s_lshl_b64 s[30:31], s[18:19], 1
	s_cmp_neq_f32 s14, 0
	s_load_b64 s[40:41], s[0:1], 0x20
	v_bfe_u32 v72, v0, 1, 4
	v_dual_mov_b32 v79, 0xff7fffff :: v_dual_and_b32 v2, 8, v68
	s_cselect_b32 vcc_lo, -1, 0
	s_abs_i32 s15, s10
	s_delay_alu instid0(VALU_DEP_2)
	v_lshlrev_b32_e32 v3, 4, v72
	s_cvt_f32_u32 s4, s15
	v_lshlrev_b32_e32 v5, 2, v72
	s_lshl_b64 s[42:43], s[28:29], 2
	v_subrev_nc_u32_e32 v4, s21, v72
	v_rcp_iflag_f32_e32 v1, s4
	s_add_nc_u64 s[42:43], s[26:27], s[42:43]
	v_lshl_or_b32 v5, v65, 6, v5
	s_sub_co_i32 s6, 0, s15
	v_cmp_eq_u32_e64 s4, 0, v64
	v_lshlrev_b32_e32 v73, 8, v64
	v_lshl_add_u32 v76, v65, 4, s20
	v_add_nc_u32_e32 v77, 1, v4
	v_dual_mov_b32 v81, v67 :: v_dual_add_nc_u32 v78, 0x220, v5
	s_delay_alu instid0(TRANS32_DEP_1)
	v_readfirstlane_b32 s5, v1
	s_wait_kmcnt 0x0
	s_add_nc_u64 s[30:31], s[40:41], s[30:31]
	v_xor_b32_e32 v80, 1, v70
	v_add_co_u32 v1, s30, s30, v3
	s_mul_f32 s5, s5, 0x4f7ffffe
	v_add_co_ci_u32_e64 v3, null, s31, 0, s30
	v_mov_b32_e32 v71, 0xff7fffff
	s_wait_alu 0xfffe
	s_cvt_u32_f32 s31, s5
	v_add_co_u32 v74, s5, v1, v2
	s_wait_alu 0xf1ff
	v_add_co_ci_u32_e64 v75, null, 0, v3, s5
	v_add_co_u32 v1, s5, s42, v69
	s_wait_alu 0xfffe
	s_mul_i32 s6, s6, s31
	v_add_co_ci_u32_e64 v2, null, s43, 0, s5
	s_mul_hi_u32 s5, s31, s6
	s_mov_b32 s19, 0
	s_mov_b32 s30, s17
	s_wait_alu 0xfffe
	s_add_co_i32 s31, s31, s5
	s_branch .LBB98_13
.LBB98_11:                              ;   in Loop: Header=BB98_13 Depth=1
	s_wait_alu 0xfffe
	s_or_b32 exec_lo, exec_lo, s39
.LBB98_12:                              ;   in Loop: Header=BB98_13 Depth=1
	s_wait_alu 0xfffe
	s_or_b32 exec_lo, exec_lo, s6
	v_add_nc_u32_e32 v81, 4, v81
	v_add_co_u32 v1, s6, v1, 16
	s_wait_alu 0xf1ff
	v_add_co_ci_u32_e64 v2, null, 0, v2, s6
	s_delay_alu instid0(VALU_DEP_3) | instskip(SKIP_3) | instid1(SALU_CYCLE_1)
	v_cmp_le_i32_e64 s5, s25, v81
	v_add_nc_u32_e32 v76, 64, v76
	v_add_nc_u32_e32 v78, 0x100, v78
	s_or_b32 s19, s5, s19
	s_and_not1_b32 exec_lo, exec_lo, s19
	s_cbranch_execz .LBB98_20
.LBB98_13:                              ; =>This Inner Loop Header: Depth=1
	v_sub_nc_u32_e32 v3, 0, v76
	s_delay_alu instid0(VALU_DEP_1) | instskip(SKIP_1) | instid1(VALU_DEP_1)
	v_max_i32_e32 v3, v76, v3
	s_wait_dscnt 0x0
	v_mul_hi_u32 v4, v3, s24
	s_delay_alu instid0(VALU_DEP_1) | instskip(NEXT) | instid1(VALU_DEP_1)
	v_mul_lo_u32 v5, v4, s16
	v_sub_nc_u32_e32 v3, v3, v5
	v_add_nc_u32_e32 v5, 1, v4
	s_delay_alu instid0(VALU_DEP_2) | instskip(SKIP_2) | instid1(VALU_DEP_1)
	v_subrev_nc_u32_e32 v6, s16, v3
	v_cmp_le_u32_e64 s5, s16, v3
	s_wait_alu 0xf1ff
	v_cndmask_b32_e64 v4, v4, v5, s5
	s_delay_alu instid0(VALU_DEP_3) | instskip(SKIP_1) | instid1(VALU_DEP_3)
	v_cndmask_b32_e64 v3, v3, v6, s5
	v_ashrrev_i32_e32 v5, 31, v76
	v_add_nc_u32_e32 v6, 1, v4
	s_delay_alu instid0(VALU_DEP_3) | instskip(NEXT) | instid1(VALU_DEP_3)
	v_cmp_le_u32_e64 s5, s16, v3
	v_xor_b32_e32 v5, s11, v5
	s_wait_alu 0xf1ff
	s_delay_alu instid0(VALU_DEP_2) | instskip(NEXT) | instid1(VALU_DEP_1)
	v_cndmask_b32_e64 v3, v4, v6, s5
	v_xor_b32_e32 v3, v3, v5
	s_delay_alu instid0(VALU_DEP_1) | instskip(NEXT) | instid1(VALU_DEP_1)
	v_sub_nc_u32_e32 v3, v3, v5
	v_add_nc_u32_e32 v4, s23, v3
	v_cmp_ge_i32_e64 s6, s13, v3
	s_delay_alu instid0(VALU_DEP_2) | instskip(NEXT) | instid1(VALU_DEP_1)
	v_sub_nc_u32_e32 v5, 0, v4
	v_max_i32_e32 v5, v4, v5
	v_ashrrev_i32_e32 v4, 31, v4
	s_wait_alu 0xfffe
	s_delay_alu instid0(VALU_DEP_2) | instskip(NEXT) | instid1(VALU_DEP_1)
	v_mul_hi_u32 v6, v5, s31
	v_mul_lo_u32 v6, v6, s15
	s_delay_alu instid0(VALU_DEP_1) | instskip(NEXT) | instid1(VALU_DEP_1)
	v_sub_nc_u32_e32 v5, v5, v6
	v_subrev_nc_u32_e32 v6, s15, v5
	v_cmp_le_u32_e64 s5, s15, v5
	s_wait_alu 0xf1ff
	s_delay_alu instid0(VALU_DEP_1) | instskip(NEXT) | instid1(VALU_DEP_1)
	v_cndmask_b32_e64 v5, v5, v6, s5
	v_subrev_nc_u32_e32 v6, s15, v5
	v_cmp_le_u32_e64 s5, s15, v5
	s_wait_alu 0xf1ff
	s_delay_alu instid0(VALU_DEP_1) | instskip(NEXT) | instid1(VALU_DEP_1)
	v_cndmask_b32_e64 v5, v5, v6, s5
	v_xor_b32_e32 v5, v5, v4
	s_delay_alu instid0(VALU_DEP_1) | instskip(NEXT) | instid1(VALU_DEP_1)
	v_sub_nc_u32_e32 v4, v5, v4
	v_cmp_ne_u32_e64 s5, 0, v4
	s_and_b32 s5, s5, s6
	s_wait_alu 0xfffe
	s_and_saveexec_b32 s6, s5
	s_wait_alu 0xfffe
	s_xor_b32 s5, exec_lo, s6
	s_cbranch_execz .LBB98_17
; %bb.14:                               ;   in Loop: Header=BB98_13 Depth=1
	s_and_saveexec_b32 s6, s4
; %bb.15:                               ;   in Loop: Header=BB98_13 Depth=1
	ds_store_b32 v78, v79
; %bb.16:                               ;   in Loop: Header=BB98_13 Depth=1
	s_wait_alu 0xfffe
	s_or_b32 exec_lo, exec_lo, s6
.LBB98_17:                              ;   in Loop: Header=BB98_13 Depth=1
	s_wait_alu 0xfffe
	s_and_not1_saveexec_b32 s6, s5
	s_cbranch_execz .LBB98_12
; %bb.18:                               ;   in Loop: Header=BB98_13 Depth=1
	global_load_b32 v3, v[1:2], off
	s_wait_loadcnt 0x0
	v_mad_co_i64_i32 v[3:4], null, v3, s30, 0
	s_delay_alu instid0(VALU_DEP_1) | instskip(NEXT) | instid1(VALU_DEP_1)
	v_lshlrev_b64_e32 v[3:4], 1, v[3:4]
	v_add_co_u32 v3, s5, v74, v3
	s_wait_alu 0xf1ff
	s_delay_alu instid0(VALU_DEP_2)
	v_add_co_ci_u32_e64 v4, null, v75, v4, s5
	v_cmp_gt_i32_e64 s5, 32, v80
	s_clause 0x9
	global_load_b64 v[82:83], v[3:4], off
	global_load_b64 v[90:91], v[3:4], off offset:256
	global_load_b64 v[61:62], v[3:4], off offset:512
	;; [unrolled: 1-line block ×9, first 2 shown]
	ds_load_b64 v[5:6], v73
	s_wait_dscnt 0x0
	v_lshrrev_b32_e32 v84, 16, v5
	v_and_b32_e32 v85, 0xffff, v5
	v_lshrrev_b32_e32 v92, 16, v6
	v_and_b32_e32 v93, 0xffff, v6
	s_clause 0x15
	global_load_b64 v[45:46], v[3:4], off offset:2560
	global_load_b64 v[43:44], v[3:4], off offset:2816
	global_load_b64 v[41:42], v[3:4], off offset:3072
	global_load_b64 v[39:40], v[3:4], off offset:3328
	global_load_b64 v[37:38], v[3:4], off offset:3584
	global_load_b64 v[35:36], v[3:4], off offset:3840
	global_load_b64 v[33:34], v[3:4], off offset:4096
	global_load_b64 v[31:32], v[3:4], off offset:4352
	global_load_b64 v[29:30], v[3:4], off offset:4608
	global_load_b64 v[27:28], v[3:4], off offset:4864
	global_load_b64 v[25:26], v[3:4], off offset:5120
	global_load_b64 v[23:24], v[3:4], off offset:5376
	global_load_b64 v[21:22], v[3:4], off offset:5632
	global_load_b64 v[19:20], v[3:4], off offset:5888
	global_load_b64 v[17:18], v[3:4], off offset:6144
	global_load_b64 v[15:16], v[3:4], off offset:6400
	global_load_b64 v[13:14], v[3:4], off offset:6656
	global_load_b64 v[11:12], v[3:4], off offset:6912
	global_load_b64 v[9:10], v[3:4], off offset:7168
	global_load_b64 v[7:8], v[3:4], off offset:7424
	global_load_b64 v[5:6], v[3:4], off offset:7680
	global_load_b64 v[3:4], v[3:4], off offset:7936
	;;#ASMSTART
	v_cvt_f32_f16 v87, v85;
	;;#ASMEND
	;;#ASMSTART
	v_cvt_f32_f16 v86, v84;
	;;#ASMEND
	s_wait_loadcnt 0x1f
	v_and_b32_e32 v85, 0xffff, v82
	v_lshrrev_b32_e32 v82, 16, v82
	v_lshrrev_b32_e32 v84, 16, v83
	v_and_b32_e32 v94, 0xffff, v83
	;;#ASMSTART
	v_cvt_f32_f16 v89, v85;
	;;#ASMEND
	;;#ASMSTART
	v_cvt_f32_f16 v88, v82;
	;;#ASMEND
	;; [unrolled: 3-line block ×6, first 2 shown]
	ds_load_b64 v[92:93], v73 offset:8
	s_wait_loadcnt 0x1e
	v_lshrrev_b32_e32 v94, 16, v90
	v_lshrrev_b32_e32 v95, 16, v91
	v_and_b32_e32 v91, 0xffff, v91
	s_wait_loadcnt 0x1a
	v_lshrrev_b32_e32 v102, 16, v56
	s_wait_loadcnt 0x19
	v_lshrrev_b32_e32 v104, 16, v53
	v_and_b32_e32 v53, 0xffff, v53
	v_lshrrev_b32_e32 v106, 16, v54
	s_wait_loadcnt 0x18
	v_lshrrev_b32_e32 v131, 16, v51
	v_lshrrev_b32_e32 v132, 16, v52
	s_wait_dscnt 0x0
	v_and_b32_e32 v96, 0xffff, v92
	v_lshrrev_b32_e32 v92, 16, v92
	;;#ASMSTART
	v_cvt_f32_f16 v123, v96;
	;;#ASMEND
	;;#ASMSTART
	v_cvt_f32_f16 v122, v92;
	;;#ASMEND
	v_and_b32_e32 v90, 0xffff, v90
	v_and_b32_e32 v97, 0xffff, v93
	v_lshrrev_b32_e32 v93, 16, v93
	;;#ASMSTART
	v_cvt_f32_f16 v125, v90;
	;;#ASMEND
	;;#ASMSTART
	v_cvt_f32_f16 v124, v94;
	;;#ASMEND
	;; [unrolled: 3-line block ×6, first 2 shown]
	ds_load_b64 v[90:91], v73 offset:16
	v_lshrrev_b32_e32 v92, 16, v61
	v_and_b32_e32 v61, 0xffff, v61
	v_lshrrev_b32_e32 v93, 16, v62
	v_and_b32_e32 v62, 0xffff, v62
	s_wait_dscnt 0x0
	v_and_b32_e32 v94, 0xffff, v90
	v_lshrrev_b32_e32 v90, 16, v90
	v_and_b32_e32 v95, 0xffff, v91
	v_lshrrev_b32_e32 v91, 16, v91
	;;#ASMSTART
	v_cvt_f32_f16 v120, v94;
	;;#ASMEND
	;;#ASMSTART
	v_cvt_f32_f16 v118, v90;
	;;#ASMEND
	;;#ASMSTART
	v_cvt_f32_f16 v121, v61;
	;;#ASMEND
	;;#ASMSTART
	v_cvt_f32_f16 v119, v92;
	;;#ASMEND
	;;#ASMSTART
	v_cvt_f32_f16 v126, v95;
	;;#ASMEND
	;;#ASMSTART
	v_cvt_f32_f16 v100, v91;
	;;#ASMEND
	;;#ASMSTART
	v_cvt_f32_f16 v127, v62;
	;;#ASMEND
	;;#ASMSTART
	v_cvt_f32_f16 v101, v93;
	;;#ASMEND
	ds_load_b64 v[61:62], v73 offset:24
	v_lshrrev_b32_e32 v90, 16, v59
	v_and_b32_e32 v59, 0xffff, v59
	v_lshrrev_b32_e32 v91, 16, v60
	v_and_b32_e32 v60, 0xffff, v60
	v_and_b32_e32 v56, 0xffff, v56
	s_wait_dscnt 0x0
	v_and_b32_e32 v92, 0xffff, v61
	v_lshrrev_b32_e32 v61, 16, v61
	v_and_b32_e32 v93, 0xffff, v62
	v_lshrrev_b32_e32 v62, 16, v62
	;;#ASMSTART
	v_cvt_f32_f16 v116, v92;
	;;#ASMEND
	;;#ASMSTART
	v_cvt_f32_f16 v114, v61;
	;;#ASMEND
	;; [unrolled: 3-line block ×8, first 2 shown]
	ds_load_b64 v[59:60], v73 offset:32
	v_lshrrev_b32_e32 v62, 16, v57
	v_and_b32_e32 v57, 0xffff, v57
	v_lshrrev_b32_e32 v90, 16, v58
	v_and_b32_e32 v58, 0xffff, v58
	v_and_b32_e32 v108, 0xffff, v54
	s_wait_dscnt 0x0
	v_and_b32_e32 v61, 0xffff, v59
	v_lshrrev_b32_e32 v59, 16, v59
	v_and_b32_e32 v91, 0xffff, v60
	v_lshrrev_b32_e32 v60, 16, v60
	;;#ASMSTART
	v_cvt_f32_f16 v112, v61;
	;;#ASMEND
	;;#ASMSTART
	v_cvt_f32_f16 v61, v59;
	;;#ASMEND
	;; [unrolled: 3-line block ×8, first 2 shown]
	ds_load_b64 v[57:58], v73 offset:40
	v_lshrrev_b32_e32 v90, 16, v55
	v_and_b32_e32 v55, 0xffff, v55
	s_wait_dscnt 0x0
	v_and_b32_e32 v59, 0xffff, v57
	v_lshrrev_b32_e32 v57, 16, v57
	v_and_b32_e32 v91, 0xffff, v58
	v_lshrrev_b32_e32 v103, 16, v58
	;;#ASMSTART
	v_cvt_f32_f16 v59, v59;
	;;#ASMEND
	;;#ASMSTART
	v_cvt_f32_f16 v57, v57;
	;;#ASMEND
	;; [unrolled: 3-line block ×8, first 2 shown]
	ds_load_b64 v[102:103], v73 offset:48
	s_wait_dscnt 0x0
	v_and_b32_e32 v105, 0xffff, v102
	v_lshrrev_b32_e32 v102, 16, v102
	v_and_b32_e32 v107, 0xffff, v103
	v_lshrrev_b32_e32 v129, 16, v103
	;;#ASMSTART
	v_cvt_f32_f16 v103, v105;
	;;#ASMEND
	;;#ASMSTART
	v_cvt_f32_f16 v54, v102;
	;;#ASMEND
	;; [unrolled: 3-line block ×3, first 2 shown]
	v_mul_f32_e32 v53, v123, v125
	;;#ASMSTART
	v_cvt_f32_f16 v102, v104;
	;;#ASMEND
	;;#ASMSTART
	v_cvt_f32_f16 v107, v107;
	;;#ASMEND
	;; [unrolled: 3-line block ×3, first 2 shown]
	v_and_b32_e32 v123, 0xffff, v51
	v_fmac_f32_e32 v53, v87, v89
	v_mul_f32_e32 v51, v122, v124
	s_delay_alu instid0(VALU_DEP_2) | instskip(NEXT) | instid1(VALU_DEP_2)
	v_fmac_f32_e32 v53, v120, v121
	v_fmac_f32_e32 v51, v86, v88
	s_wait_loadcnt 0x16
	v_lshrrev_b32_e32 v121, 16, v48
	s_delay_alu instid0(VALU_DEP_3)
	v_fmac_f32_e32 v53, v116, v117
	;;#ASMSTART
	v_cvt_f32_f16 v108, v108;
	;;#ASMEND
	;;#ASMSTART
	v_cvt_f32_f16 v106, v106;
	;;#ASMEND
	ds_load_b64 v[129:130], v73 offset:56
	v_dual_fmac_f32 v51, v118, v119 :: v_dual_and_b32 v52, 0xffff, v52
	v_fmac_f32_e32 v53, v112, v113
	s_delay_alu instid0(VALU_DEP_2) | instskip(NEXT) | instid1(VALU_DEP_2)
	v_fmac_f32_e32 v51, v114, v115
	v_fmac_f32_e32 v53, v59, v60
	s_delay_alu instid0(VALU_DEP_2) | instskip(NEXT) | instid1(VALU_DEP_2)
	v_fmac_f32_e32 v51, v61, v62
	v_fmac_f32_e32 v53, v103, v105
	s_delay_alu instid0(VALU_DEP_2)
	v_fmac_f32_e32 v51, v57, v58
	s_wait_dscnt 0x0
	v_and_b32_e32 v87, 0xffff, v129
	v_lshrrev_b32_e32 v89, 16, v129
	v_and_b32_e32 v124, 0xffff, v130
	v_lshrrev_b32_e32 v125, 16, v130
	;;#ASMSTART
	v_cvt_f32_f16 v88, v87;
	;;#ASMEND
	;;#ASMSTART
	v_cvt_f32_f16 v86, v89;
	;;#ASMEND
	;; [unrolled: 3-line block ×8, first 2 shown]
	ds_load_b64 v[129:130], v73 offset:64
	v_lshrrev_b32_e32 v131, 16, v49
	v_mul_f32_e32 v52, v110, v111
	v_dual_mul_f32 v49, v109, v128 :: v_dual_and_b32 v110, 0xffff, v49
	v_lshrrev_b32_e32 v109, 16, v50
	s_delay_alu instid0(VALU_DEP_3) | instskip(SKIP_1) | instid1(VALU_DEP_4)
	v_dual_fmac_f32 v52, v83, v85 :: v_dual_and_b32 v111, 0xffff, v50
	v_fmac_f32_e32 v51, v54, v102
	v_fmac_f32_e32 v49, v82, v84
	s_delay_alu instid0(VALU_DEP_3) | instskip(NEXT) | instid1(VALU_DEP_3)
	v_dual_fmac_f32 v53, v88, v122 :: v_dual_fmac_f32 v52, v126, v127
	v_fmac_f32_e32 v51, v86, v87
	s_delay_alu instid0(VALU_DEP_3) | instskip(SKIP_1) | instid1(VALU_DEP_3)
	v_fmac_f32_e32 v49, v100, v101
	s_wait_loadcnt 0x15
	v_dual_fmac_f32 v52, v98, v99 :: v_dual_and_b32 v101, 0xffff, v45
	s_wait_dscnt 0x0
	s_delay_alu instid0(VALU_DEP_2)
	v_dual_fmac_f32 v49, v96, v97 :: v_dual_and_b32 v84, 0xffff, v130
	v_and_b32_e32 v50, 0xffff, v129
	v_lshrrev_b32_e32 v85, 16, v129
	v_lshrrev_b32_e32 v128, 16, v130
	;;#ASMSTART
	v_cvt_f32_f16 v83, v50;
	;;#ASMEND
	;;#ASMSTART
	v_cvt_f32_f16 v50, v85;
	;;#ASMEND
	;; [unrolled: 3-line block ×8, first 2 shown]
	ds_load_b64 v[128:129], v73 offset:72
	v_lshrrev_b32_e32 v130, 16, v47
	v_dual_fmac_f32 v49, v92, v93 :: v_dual_and_b32 v120, 0xffff, v47
	v_and_b32_e32 v131, 0xffff, v48
	v_and_b32_e32 v132, 0xffff, v46
	v_dual_fmac_f32 v52, v94, v95 :: v_dual_fmac_f32 v53, v83, v85
	s_delay_alu instid0(VALU_DEP_4) | instskip(SKIP_1) | instid1(VALU_DEP_2)
	v_fmac_f32_e32 v49, v55, v56
	v_fmac_f32_e32 v51, v50, v82
	v_dual_fmac_f32 v52, v90, v91 :: v_dual_fmac_f32 v49, v104, v106
	s_delay_alu instid0(VALU_DEP_1)
	v_dual_fmac_f32 v52, v107, v108 :: v_dual_fmac_f32 v49, v89, v123
	s_wait_dscnt 0x0
	v_and_b32_e32 v47, 0xffff, v128
	v_lshrrev_b32_e32 v48, 16, v128
	v_and_b32_e32 v119, 0xffff, v129
	v_lshrrev_b32_e32 v127, 16, v129
	;;#ASMSTART
	v_cvt_f32_f16 v118, v47;
	;;#ASMEND
	;;#ASMSTART
	v_cvt_f32_f16 v47, v48;
	;;#ASMEND
	;; [unrolled: 3-line block ×8, first 2 shown]
	ds_load_b64 v[128:129], v73 offset:80
	v_lshrrev_b32_e32 v130, 16, v45
	v_lshrrev_b32_e32 v131, 16, v46
	v_fmac_f32_e32 v49, v84, v109
	v_dual_fmac_f32 v52, v124, v125 :: v_dual_fmac_f32 v53, v118, v120
	v_fmac_f32_e32 v51, v47, v48
	s_delay_alu instid0(VALU_DEP_2) | instskip(NEXT) | instid1(VALU_DEP_1)
	v_dual_fmac_f32 v49, v119, v121 :: v_dual_fmac_f32 v52, v110, v111
	v_fmac_f32_e32 v52, v126, v127
	s_wait_loadcnt 0xc
	v_lshrrev_b32_e32 v127, 16, v28
	s_wait_dscnt 0x0
	v_and_b32_e32 v45, 0xffff, v128
	v_lshrrev_b32_e32 v46, 16, v128
	v_and_b32_e32 v115, 0xffff, v129
	v_lshrrev_b32_e32 v117, 16, v129
	;;#ASMSTART
	v_cvt_f32_f16 v100, v45;
	;;#ASMEND
	;;#ASMSTART
	v_cvt_f32_f16 v45, v46;
	;;#ASMEND
	;; [unrolled: 3-line block ×8, first 2 shown]
	ds_load_b64 v[128:129], v73 offset:88
	v_lshrrev_b32_e32 v131, 16, v44
	v_and_b32_e32 v44, 0xffff, v44
	v_lshrrev_b32_e32 v130, 16, v43
	v_dual_fmac_f32 v52, v116, v117 :: v_dual_and_b32 v43, 0xffff, v43
	v_fmac_f32_e32 v53, v100, v114
	v_fmac_f32_e32 v49, v101, v115
	s_wait_dscnt 0x0
	v_dual_fmac_f32 v51, v45, v46 :: v_dual_and_b32 v96, 0xffff, v128
	v_lshrrev_b32_e32 v97, 16, v128
	v_and_b32_e32 v112, 0xffff, v129
	v_lshrrev_b32_e32 v113, 16, v129
	;;#ASMSTART
	v_cvt_f32_f16 v96, v96;
	;;#ASMEND
	;;#ASMSTART
	v_cvt_f32_f16 v97, v97;
	;;#ASMEND
	;; [unrolled: 3-line block ×8, first 2 shown]
	ds_load_b64 v[43:44], v73 offset:96
	v_lshrrev_b32_e32 v130, 16, v41
	v_and_b32_e32 v41, 0xffff, v41
	v_lshrrev_b32_e32 v131, 16, v42
	v_and_b32_e32 v42, 0xffff, v42
	v_dual_fmac_f32 v53, v96, v98 :: v_dual_and_b32 v28, 0xffff, v28
	v_dual_fmac_f32 v51, v97, v99 :: v_dual_fmac_f32 v52, v112, v128
	v_fmac_f32_e32 v49, v113, v129
	s_wait_loadcnt 0x9
	v_lshrrev_b32_e32 v129, 16, v22
	s_wait_dscnt 0x0
	v_and_b32_e32 v61, 0xffff, v43
	v_lshrrev_b32_e32 v62, 16, v43
	v_and_b32_e32 v92, 0xffff, v44
	v_lshrrev_b32_e32 v93, 16, v44
	;;#ASMSTART
	v_cvt_f32_f16 v43, v61;
	;;#ASMEND
	;;#ASMSTART
	v_cvt_f32_f16 v44, v62;
	;;#ASMEND
	;; [unrolled: 3-line block ×8, first 2 shown]
	ds_load_b64 v[41:42], v73 offset:104
	v_lshrrev_b32_e32 v130, 16, v39
	v_and_b32_e32 v39, 0xffff, v39
	v_lshrrev_b32_e32 v131, 16, v40
	v_and_b32_e32 v40, 0xffff, v40
	v_dual_fmac_f32 v52, v92, v94 :: v_dual_fmac_f32 v53, v43, v61
	v_fmac_f32_e32 v51, v44, v62
	v_fmac_f32_e32 v49, v93, v95
	s_wait_dscnt 0x0
	v_and_b32_e32 v57, 0xffff, v41
	v_lshrrev_b32_e32 v58, 16, v41
	v_lshrrev_b32_e32 v60, 16, v42
	v_and_b32_e32 v59, 0xffff, v42
	;;#ASMSTART
	v_cvt_f32_f16 v41, v57;
	;;#ASMEND
	;;#ASMSTART
	v_cvt_f32_f16 v42, v58;
	;;#ASMEND
	;; [unrolled: 3-line block ×8, first 2 shown]
	ds_load_b64 v[39:40], v73 offset:112
	v_lshrrev_b32_e32 v130, 16, v37
	v_and_b32_e32 v37, 0xffff, v37
	v_lshrrev_b32_e32 v131, 16, v38
	v_and_b32_e32 v38, 0xffff, v38
	v_dual_fmac_f32 v53, v41, v57 :: v_dual_and_b32 v22, 0xffff, v22
	v_fmac_f32_e32 v52, v59, v90
	v_fmac_f32_e32 v51, v42, v58
	;; [unrolled: 1-line block ×3, first 2 shown]
	s_wait_dscnt 0x0
	v_and_b32_e32 v55, 0xffff, v39
	v_lshrrev_b32_e32 v56, 16, v39
	v_lshrrev_b32_e32 v102, 16, v40
	v_and_b32_e32 v103, 0xffff, v40
	;;#ASMSTART
	v_cvt_f32_f16 v39, v55;
	;;#ASMEND
	;;#ASMSTART
	v_cvt_f32_f16 v40, v56;
	;;#ASMEND
	;; [unrolled: 3-line block ×8, first 2 shown]
	ds_load_b64 v[37:38], v73 offset:120
	v_lshrrev_b32_e32 v130, 16, v35
	v_and_b32_e32 v35, 0xffff, v35
	v_lshrrev_b32_e32 v131, 16, v36
	v_and_b32_e32 v36, 0xffff, v36
	v_fmac_f32_e32 v52, v56, v103
	v_fmac_f32_e32 v51, v40, v55
	;; [unrolled: 1-line block ×4, first 2 shown]
	s_wait_loadcnt 0x5
	v_lshrrev_b32_e32 v105, 16, v14
	s_wait_dscnt 0x0
	v_and_b32_e32 v104, 0xffff, v37
	v_lshrrev_b32_e32 v106, 16, v37
	v_lshrrev_b32_e32 v107, 16, v38
	v_and_b32_e32 v108, 0xffff, v38
	;;#ASMSTART
	v_cvt_f32_f16 v37, v104;
	;;#ASMEND
	;;#ASMSTART
	v_cvt_f32_f16 v38, v106;
	;;#ASMEND
	;; [unrolled: 3-line block ×8, first 2 shown]
	ds_load_b64 v[35:36], v73 offset:128
	v_lshrrev_b32_e32 v130, 16, v33
	v_and_b32_e32 v33, 0xffff, v33
	v_lshrrev_b32_e32 v131, 16, v34
	v_and_b32_e32 v34, 0xffff, v34
	v_dual_fmac_f32 v51, v38, v104 :: v_dual_and_b32 v14, 0xffff, v14
	v_fmac_f32_e32 v52, v106, v108
	v_fmac_f32_e32 v53, v37, v88
	s_wait_dscnt 0x0
	v_dual_fmac_f32 v49, v107, v122 :: v_dual_and_b32 v86, 0xffff, v35
	v_lshrrev_b32_e32 v87, 16, v35
	v_lshrrev_b32_e32 v123, 16, v36
	v_and_b32_e32 v89, 0xffff, v36
	;;#ASMSTART
	v_cvt_f32_f16 v35, v86;
	;;#ASMEND
	;;#ASMSTART
	v_cvt_f32_f16 v36, v87;
	;;#ASMEND
	;; [unrolled: 3-line block ×8, first 2 shown]
	ds_load_b64 v[33:34], v73 offset:136
	v_lshrrev_b32_e32 v130, 16, v31
	v_and_b32_e32 v31, 0xffff, v31
	v_lshrrev_b32_e32 v131, 16, v32
	v_dual_fmac_f32 v53, v35, v86 :: v_dual_and_b32 v32, 0xffff, v32
	v_fmac_f32_e32 v52, v89, v124
	s_wait_loadcnt 0x2
	v_lshrrev_b32_e32 v89, 16, v8
	v_dual_fmac_f32 v51, v36, v87 :: v_dual_and_b32 v8, 0xffff, v8
	v_fmac_f32_e32 v49, v123, v125
	v_lshrrev_b32_e32 v87, 16, v10
	s_wait_dscnt 0x0
	v_and_b32_e32 v50, 0xffff, v33
	v_lshrrev_b32_e32 v82, 16, v33
	v_lshrrev_b32_e32 v85, 16, v34
	v_and_b32_e32 v83, 0xffff, v34
	;;#ASMSTART
	v_cvt_f32_f16 v33, v50;
	;;#ASMEND
	;;#ASMSTART
	v_cvt_f32_f16 v34, v82;
	;;#ASMEND
	;; [unrolled: 3-line block ×8, first 2 shown]
	ds_load_b64 v[31:32], v73 offset:144
	v_lshrrev_b32_e32 v130, 16, v29
	v_and_b32_e32 v29, 0xffff, v29
	v_lshrrev_b32_e32 v131, 16, v30
	v_and_b32_e32 v30, 0xffff, v30
	v_fmac_f32_e32 v53, v33, v50
	v_fmac_f32_e32 v52, v83, v110
	v_dual_fmac_f32 v49, v85, v111 :: v_dual_and_b32 v10, 0xffff, v10
	s_wait_dscnt 0x0
	v_dual_fmac_f32 v51, v34, v82 :: v_dual_and_b32 v84, 0xffff, v31
	v_lshrrev_b32_e32 v109, 16, v31
	v_lshrrev_b32_e32 v118, 16, v32
	v_and_b32_e32 v120, 0xffff, v32
	;;#ASMSTART
	v_cvt_f32_f16 v31, v84;
	;;#ASMEND
	;;#ASMSTART
	v_cvt_f32_f16 v32, v109;
	;;#ASMEND
	;; [unrolled: 3-line block ×8, first 2 shown]
	ds_load_b64 v[29:30], v73 offset:152
	v_lshrrev_b32_e32 v130, 16, v27
	v_and_b32_e32 v27, 0xffff, v27
	v_fmac_f32_e32 v53, v31, v47
	v_fmac_f32_e32 v51, v32, v48
	v_dual_fmac_f32 v52, v84, v118 :: v_dual_fmac_f32 v49, v109, v120
	s_wait_dscnt 0x0
	v_and_b32_e32 v119, 0xffff, v29
	v_lshrrev_b32_e32 v121, 16, v29
	v_lshrrev_b32_e32 v126, 16, v30
	v_and_b32_e32 v131, 0xffff, v30
	;;#ASMSTART
	v_cvt_f32_f16 v29, v119;
	;;#ASMEND
	;;#ASMSTART
	v_cvt_f32_f16 v30, v121;
	;;#ASMEND
	;; [unrolled: 3-line block ×8, first 2 shown]
	ds_load_b64 v[27:28], v73 offset:160
	v_lshrrev_b32_e32 v130, 16, v25
	v_and_b32_e32 v25, 0xffff, v25
	v_lshrrev_b32_e32 v131, 16, v26
	v_dual_fmac_f32 v53, v29, v100 :: v_dual_and_b32 v26, 0xffff, v26
	v_fmac_f32_e32 v51, v30, v114
	v_dual_fmac_f32 v52, v119, v126 :: v_dual_fmac_f32 v49, v121, v127
	s_wait_loadcnt 0x1
	v_lshrrev_b32_e32 v29, 16, v5
	v_and_b32_e32 v5, 0xffff, v5
	s_wait_dscnt 0x0
	v_and_b32_e32 v45, 0xffff, v27
	v_lshrrev_b32_e32 v46, 16, v27
	v_lshrrev_b32_e32 v115, 16, v28
	v_and_b32_e32 v101, 0xffff, v28
	;;#ASMSTART
	v_cvt_f32_f16 v27, v45;
	;;#ASMEND
	;;#ASMSTART
	v_cvt_f32_f16 v28, v46;
	;;#ASMEND
	;; [unrolled: 3-line block ×8, first 2 shown]
	ds_load_b64 v[25:26], v73 offset:168
	v_lshrrev_b32_e32 v130, 16, v23
	v_and_b32_e32 v23, 0xffff, v23
	v_lshrrev_b32_e32 v131, 16, v24
	v_dual_fmac_f32 v53, v27, v45 :: v_dual_and_b32 v24, 0xffff, v24
	v_dual_fmac_f32 v51, v28, v46 :: v_dual_fmac_f32 v52, v101, v116
	v_fmac_f32_e32 v49, v115, v117
	s_wait_dscnt 0x0
	v_and_b32_e32 v96, 0xffff, v25
	v_lshrrev_b32_e32 v97, 16, v25
	v_lshrrev_b32_e32 v99, 16, v26
	v_and_b32_e32 v98, 0xffff, v26
	;;#ASMSTART
	v_cvt_f32_f16 v25, v96;
	;;#ASMEND
	;;#ASMSTART
	v_cvt_f32_f16 v26, v97;
	;;#ASMEND
	;; [unrolled: 3-line block ×8, first 2 shown]
	ds_load_b64 v[23:24], v73 offset:176
	v_lshrrev_b32_e32 v130, 16, v21
	v_and_b32_e32 v21, 0xffff, v21
	v_lshrrev_b32_e32 v131, 16, v20
	v_and_b32_e32 v20, 0xffff, v20
	v_fmac_f32_e32 v53, v25, v96
	v_fmac_f32_e32 v51, v26, v97
	;; [unrolled: 1-line block ×4, first 2 shown]
	s_wait_dscnt 0x0
	v_and_b32_e32 v43, 0xffff, v23
	v_lshrrev_b32_e32 v61, 16, v23
	v_lshrrev_b32_e32 v62, 16, v24
	v_and_b32_e32 v113, 0xffff, v24
	;;#ASMSTART
	v_cvt_f32_f16 v23, v43;
	;;#ASMEND
	;;#ASMSTART
	v_cvt_f32_f16 v24, v61;
	;;#ASMEND
	;; [unrolled: 3-line block ×8, first 2 shown]
	ds_load_b64 v[21:22], v73 offset:184
	v_lshrrev_b32_e32 v130, 16, v19
	v_and_b32_e32 v19, 0xffff, v19
	v_fmac_f32_e32 v53, v23, v43
	v_dual_fmac_f32 v51, v24, v44 :: v_dual_fmac_f32 v52, v61, v113
	v_fmac_f32_e32 v49, v62, v129
	s_wait_dscnt 0x0
	v_and_b32_e32 v92, 0xffff, v21
	v_lshrrev_b32_e32 v93, 16, v21
	v_lshrrev_b32_e32 v94, 16, v22
	v_and_b32_e32 v95, 0xffff, v22
	;;#ASMSTART
	v_cvt_f32_f16 v21, v92;
	;;#ASMEND
	;;#ASMSTART
	v_cvt_f32_f16 v22, v93;
	;;#ASMEND
	;; [unrolled: 3-line block ×8, first 2 shown]
	ds_load_b64 v[19:20], v73 offset:192
	v_lshrrev_b32_e32 v130, 16, v17
	v_and_b32_e32 v17, 0xffff, v17
	v_lshrrev_b32_e32 v131, 16, v18
	v_dual_fmac_f32 v53, v21, v41 :: v_dual_and_b32 v18, 0xffff, v18
	v_dual_fmac_f32 v51, v22, v57 :: v_dual_fmac_f32 v52, v92, v94
	v_fmac_f32_e32 v49, v93, v95
	v_lshrrev_b32_e32 v21, 16, v6
	v_and_b32_e32 v6, 0xffff, v6
	s_wait_loadcnt 0x0
	v_lshrrev_b32_e32 v22, 16, v3
	s_wait_dscnt 0x0
	v_and_b32_e32 v42, 0xffff, v19
	v_lshrrev_b32_e32 v58, 16, v19
	v_lshrrev_b32_e32 v60, 16, v20
	v_and_b32_e32 v59, 0xffff, v20
	;;#ASMSTART
	v_cvt_f32_f16 v19, v42;
	;;#ASMEND
	;;#ASMSTART
	v_cvt_f32_f16 v20, v58;
	;;#ASMEND
	;; [unrolled: 3-line block ×8, first 2 shown]
	ds_load_b64 v[17:18], v73 offset:200
	v_lshrrev_b32_e32 v130, 16, v15
	v_and_b32_e32 v15, 0xffff, v15
	v_lshrrev_b32_e32 v131, 16, v16
	v_dual_fmac_f32 v53, v19, v42 :: v_dual_and_b32 v16, 0xffff, v16
	v_fmac_f32_e32 v51, v20, v58
	v_dual_fmac_f32 v52, v59, v90 :: v_dual_fmac_f32 v49, v60, v91
	s_wait_dscnt 0x0
	v_and_b32_e32 v39, 0xffff, v17
	v_lshrrev_b32_e32 v40, 16, v17
	v_lshrrev_b32_e32 v55, 16, v18
	v_and_b32_e32 v54, 0xffff, v18
	;;#ASMSTART
	v_cvt_f32_f16 v17, v39;
	;;#ASMEND
	;;#ASMSTART
	v_cvt_f32_f16 v18, v40;
	;;#ASMEND
	;; [unrolled: 3-line block ×8, first 2 shown]
	ds_load_b64 v[15:16], v73 offset:208
	v_lshrrev_b32_e32 v130, 16, v13
	v_and_b32_e32 v13, 0xffff, v13
	v_lshrrev_b32_e32 v131, 16, v12
	v_dual_fmac_f32 v53, v17, v39 :: v_dual_and_b32 v12, 0xffff, v12
	v_fmac_f32_e32 v51, v18, v40
	v_dual_fmac_f32 v52, v54, v56 :: v_dual_fmac_f32 v49, v55, v103
	s_wait_dscnt 0x0
	v_and_b32_e32 v37, 0xffff, v15
	v_lshrrev_b32_e32 v88, 16, v15
	v_lshrrev_b32_e32 v102, 16, v16
	v_and_b32_e32 v104, 0xffff, v16
	;;#ASMSTART
	v_cvt_f32_f16 v15, v37;
	;;#ASMEND
	;;#ASMSTART
	v_cvt_f32_f16 v16, v88;
	;;#ASMEND
	;; [unrolled: 3-line block ×8, first 2 shown]
	ds_load_b64 v[13:14], v73 offset:216
	v_lshrrev_b32_e32 v130, 16, v11
	v_and_b32_e32 v11, 0xffff, v11
	v_fmac_f32_e32 v53, v15, v37
	v_fmac_f32_e32 v51, v16, v38
	v_dual_fmac_f32 v52, v88, v104 :: v_dual_fmac_f32 v49, v102, v105
	s_wait_dscnt 0x0
	v_and_b32_e32 v106, 0xffff, v13
	v_lshrrev_b32_e32 v107, 16, v13
	v_lshrrev_b32_e32 v108, 16, v14
	v_and_b32_e32 v122, 0xffff, v14
	;;#ASMSTART
	v_cvt_f32_f16 v13, v106;
	;;#ASMEND
	;;#ASMSTART
	v_cvt_f32_f16 v14, v107;
	;;#ASMEND
	;; [unrolled: 3-line block ×8, first 2 shown]
	ds_load_b64 v[11:12], v73 offset:224
	v_lshrrev_b32_e32 v130, 16, v9
	v_and_b32_e32 v9, 0xffff, v9
	v_lshrrev_b32_e32 v131, 16, v7
	v_and_b32_e32 v7, 0xffff, v7
	v_fmac_f32_e32 v53, v13, v35
	v_fmac_f32_e32 v51, v14, v86
	v_dual_fmac_f32 v52, v106, v108 :: v_dual_fmac_f32 v49, v107, v122
	v_and_b32_e32 v13, 0xffff, v3
	s_wait_dscnt 0x0
	v_and_b32_e32 v33, 0xffff, v11
	v_lshrrev_b32_e32 v34, 16, v11
	v_lshrrev_b32_e32 v36, 16, v12
	v_and_b32_e32 v47, 0xffff, v12
	;;#ASMSTART
	v_cvt_f32_f16 v11, v33;
	;;#ASMEND
	;;#ASMSTART
	v_cvt_f32_f16 v12, v34;
	;;#ASMEND
	;; [unrolled: 3-line block ×8, first 2 shown]
	ds_load_b64 v[9:10], v73 offset:232
	v_fmac_f32_e32 v53, v11, v31
	v_dual_fmac_f32 v51, v12, v33 :: v_dual_fmac_f32 v52, v34, v47
	v_fmac_f32_e32 v49, v36, v50
	v_lshrrev_b32_e32 v11, 16, v4
	s_wait_dscnt 0x0
	v_and_b32_e32 v23, 0xffff, v9
	v_lshrrev_b32_e32 v25, 16, v9
	v_lshrrev_b32_e32 v26, 16, v10
	v_and_b32_e32 v27, 0xffff, v10
	;;#ASMSTART
	v_cvt_f32_f16 v9, v23;
	;;#ASMEND
	;;#ASMSTART
	v_cvt_f32_f16 v10, v25;
	;;#ASMEND
	;; [unrolled: 3-line block ×8, first 2 shown]
	ds_load_b64 v[7:8], v73 offset:240
	v_fmac_f32_e32 v53, v9, v23
	v_dual_fmac_f32 v51, v10, v24 :: v_dual_fmac_f32 v52, v25, v27
	v_and_b32_e32 v9, 0xffff, v4
	v_fmac_f32_e32 v49, v26, v28
	s_wait_dscnt 0x0
	v_and_b32_e32 v15, 0xffff, v7
	v_lshrrev_b32_e32 v16, 16, v7
	v_lshrrev_b32_e32 v18, 16, v8
	v_and_b32_e32 v17, 0xffff, v8
	;;#ASMSTART
	v_cvt_f32_f16 v7, v15;
	;;#ASMEND
	;;#ASMSTART
	v_cvt_f32_f16 v8, v16;
	;;#ASMEND
	;; [unrolled: 3-line block ×8, first 2 shown]
	ds_load_b64 v[5:6], v73 offset:248
	v_fmac_f32_e32 v53, v7, v15
	v_dual_fmac_f32 v51, v8, v16 :: v_dual_fmac_f32 v52, v17, v19
	v_fmac_f32_e32 v49, v18, v20
	s_wait_dscnt 0x0
	v_and_b32_e32 v3, 0xffff, v5
	v_lshrrev_b32_e32 v4, 16, v5
	v_lshrrev_b32_e32 v7, 16, v6
	v_and_b32_e32 v8, 0xffff, v6
	;;#ASMSTART
	v_cvt_f32_f16 v3, v3;
	;;#ASMEND
	;;#ASMSTART
	v_cvt_f32_f16 v4, v4;
	;;#ASMEND
	;; [unrolled: 3-line block ×4, first 2 shown]
	v_fmac_f32_e32 v53, v3, v5
	v_fmac_f32_e32 v51, v4, v6
	;;#ASMSTART
	v_cvt_f32_f16 v3, v8;
	;;#ASMEND
	;;#ASMSTART
	v_cvt_f32_f16 v4, v7;
	;;#ASMEND
	;; [unrolled: 3-line block ×3, first 2 shown]
	s_delay_alu instid0(VALU_DEP_1)
	v_dual_fmac_f32 v52, v3, v5 :: v_dual_add_f32 v3, v53, v51
	;;#ASMSTART
	v_cvt_f32_f16 v5, v11;
	;;#ASMEND
	v_fmac_f32_e32 v49, v4, v5
	s_wait_alu 0xf1ff
	v_cndmask_b32_e64 v4, v70, v80, s5
	v_add_f32_e32 v3, v3, v52
	s_delay_alu instid0(VALU_DEP_1)
	v_dual_add_f32 v3, v49, v3 :: v_dual_lshlrev_b32 v4, 2, v4
	ds_bpermute_b32 v4, v4, v3
	s_and_saveexec_b32 s39, s4
	s_cbranch_execz .LBB98_11
; %bb.19:                               ;   in Loop: Header=BB98_13 Depth=1
	s_wait_dscnt 0x0
	v_add_f32_e32 v3, v3, v4
	v_add_nc_u32_e32 v5, v77, v76
	s_delay_alu instid0(VALU_DEP_1) | instskip(NEXT) | instid1(VALU_DEP_1)
	v_cvt_f32_i32_e32 v5, v5
	v_mul_f32_e32 v5, s14, v5
	s_delay_alu instid0(VALU_DEP_1) | instskip(NEXT) | instid1(VALU_DEP_1)
	v_dual_cndmask_b32 v4, 0, v5 :: v_dual_max_num_f32 v5, v71, v71
	v_dual_fmac_f32 v4, s7, v3 :: v_dual_add_nc_u32 v3, v72, v76
	s_delay_alu instid0(VALU_DEP_1) | instskip(NEXT) | instid1(VALU_DEP_2)
	v_max_num_f32_e32 v5, v5, v4
	v_cmp_gt_i32_e64 s5, s21, v3
	s_wait_alu 0xf1ff
	s_delay_alu instid0(VALU_DEP_1) | instskip(NEXT) | instid1(VALU_DEP_3)
	v_cndmask_b32_e64 v3, 0, v4, s5
	v_cndmask_b32_e64 v71, v71, v5, s5
	ds_store_b32 v78, v3
	s_branch .LBB98_11
.LBB98_20:
	s_or_b32 exec_lo, exec_lo, s19
.LBB98_21:
	s_wait_alu 0xfffe
	s_or_b32 exec_lo, exec_lo, s12
	v_xor_b32_e32 v1, 16, v70
	v_xor_b32_e32 v2, 8, v70
	s_clause 0x2
	s_load_b128 s[12:15], s[0:1], 0x0
	s_load_b64 s[6:7], s[0:1], 0x10
	s_load_b64 s[30:31], s[0:1], 0x28
	v_and_b32_e32 v9, 31, v0
	v_lshlrev_b32_e32 v7, 2, v65
	v_cmp_gt_i32_e32 vcc_lo, 32, v1
	s_wait_alu 0xfffd
	v_cndmask_b32_e32 v1, v70, v1, vcc_lo
	v_cmp_gt_i32_e32 vcc_lo, 32, v2
	s_wait_alu 0xfffd
	v_dual_max_num_f32 v5, v71, v71 :: v_dual_cndmask_b32 v2, v70, v2
	s_wait_dscnt 0x0
	s_delay_alu instid0(VALU_DEP_1) | instskip(SKIP_4) | instid1(VALU_DEP_1)
	v_lshlrev_b32_e32 v4, 2, v2
	v_lshlrev_b32_e32 v3, 2, v1
	ds_bpermute_b32 v1, v3, v71
	s_wait_dscnt 0x0
	v_max_num_f32_e32 v1, v1, v1
	v_max_num_f32_e32 v1, v5, v1
	v_xor_b32_e32 v5, 4, v70
	ds_bpermute_b32 v2, v4, v1
	v_cmp_gt_i32_e32 vcc_lo, 32, v5
	s_wait_alu 0xfffd
	v_cndmask_b32_e32 v5, v70, v5, vcc_lo
	s_wait_dscnt 0x0
	v_max_num_f32_e32 v2, v2, v2
	s_delay_alu instid0(VALU_DEP_2) | instskip(SKIP_1) | instid1(VALU_DEP_3)
	v_lshlrev_b32_e32 v6, 2, v5
	v_xor_b32_e32 v5, 2, v70
	v_max_num_f32_e32 v1, v1, v2
	s_delay_alu instid0(VALU_DEP_2)
	v_cmp_gt_i32_e32 vcc_lo, 32, v5
	ds_bpermute_b32 v2, v6, v1
	s_wait_alu 0xfffd
	v_cndmask_b32_e32 v5, v70, v5, vcc_lo
	v_cmp_eq_u32_e32 vcc_lo, 0, v9
	s_wait_dscnt 0x0
	v_max_num_f32_e32 v2, v2, v2
	s_delay_alu instid0(VALU_DEP_1)
	v_dual_max_num_f32 v1, v1, v2 :: v_dual_lshlrev_b32 v2, 2, v5
	ds_bpermute_b32 v5, v2, v1
	s_and_saveexec_b32 s0, vcc_lo
	s_cbranch_execz .LBB98_23
; %bb.22:
	s_wait_dscnt 0x0
	v_max_num_f32_e32 v5, v5, v5
	v_max_num_f32_e32 v1, v1, v1
	s_delay_alu instid0(VALU_DEP_1)
	v_max_num_f32_e32 v1, v1, v5
	ds_store_b32 v7, v1 offset:512
.LBB98_23:
	s_or_b32 exec_lo, exec_lo, s0
	v_cmp_gt_u32_e64 s0, 4, v9
	v_dual_mov_b32 v1, 0xff7fffff :: v_dual_lshlrev_b32 v8, 2, v9
	s_wait_loadcnt_dscnt 0x0
	s_barrier_signal -1
	s_barrier_wait -1
	global_inv scope:SCOPE_SE
	s_and_saveexec_b32 s1, s0
; %bb.24:
	ds_load_b32 v1, v8 offset:512
; %bb.25:
	s_or_b32 exec_lo, exec_lo, s1
	s_wait_dscnt 0x0
	ds_bpermute_b32 v5, v2, v1
	v_xor_b32_e32 v10, 1, v70
	v_mov_b32_e32 v11, 0
	s_delay_alu instid0(VALU_DEP_2) | instskip(NEXT) | instid1(VALU_DEP_1)
	v_cmp_gt_i32_e64 s1, 32, v10
	v_cndmask_b32_e64 v10, v70, v10, s1
	v_max_num_f32_e32 v1, v1, v1
	s_sub_co_i32 s1, s25, s38
	s_wait_alu 0xfffe
	s_lshl_b32 s1, s1, 4
	v_lshlrev_b32_e32 v10, 2, v10
	s_wait_alu 0xfffe
	s_add_co_i32 s1, s1, s20
	s_wait_alu 0xfffe
	s_min_i32 s1, s1, s21
	s_wait_dscnt 0x0
	v_max_num_f32_e32 v5, v5, v5
	s_wait_alu 0xfffe
	s_sub_co_i32 s5, s1, s20
	s_wait_alu 0xfffe
	v_cmp_gt_i32_e64 s1, s5, v0
	v_max_num_f32_e32 v1, v1, v5
	ds_bpermute_b32 v5, v10, v1
	s_wait_dscnt 0x0
	v_max_num_f32_e32 v5, v5, v5
	s_delay_alu instid0(VALU_DEP_1)
	v_max_num_f32_e32 v1, v1, v5
	v_lshl_add_u32 v5, v0, 2, 0x220
	ds_bpermute_b32 v1, v11, v1
	s_and_saveexec_b32 s19, s1
	s_cbranch_execz .LBB98_29
; %bb.26:
	v_lshl_add_u32 v12, v0, 2, 0x220
	v_mov_b32_e32 v11, 0
	v_mov_b32_e32 v13, v0
	s_mov_b32 s38, 0
.LBB98_27:                              ; =>This Inner Loop Header: Depth=1
	ds_load_b32 v14, v12
	v_add_nc_u32_e32 v13, 0x80, v13
	s_delay_alu instid0(VALU_DEP_1) | instskip(SKIP_4) | instid1(VALU_DEP_1)
	v_cmp_le_i32_e64 s4, s5, v13
	s_wait_alu 0xfffe
	s_or_b32 s38, s4, s38
	s_wait_dscnt 0x0
	v_sub_f32_e32 v14, v14, v1
	v_mul_f32_e32 v14, 0x3fb8aa3b, v14
	s_delay_alu instid0(VALU_DEP_1)
	v_exp_f32_e32 v14, v14
	ds_store_b32 v12, v14
	v_dual_add_f32 v11, v11, v14 :: v_dual_add_nc_u32 v12, 0x200, v12
	s_wait_alu 0xfffe
	s_and_not1_b32 exec_lo, exec_lo, s38
	s_cbranch_execnz .LBB98_27
; %bb.28:
	s_or_b32 exec_lo, exec_lo, s38
.LBB98_29:
	s_delay_alu instid0(SALU_CYCLE_1)
	s_or_b32 exec_lo, exec_lo, s19
	ds_bpermute_b32 v3, v3, v11
	s_wait_dscnt 0x0
	v_add_f32_e32 v3, v11, v3
	ds_bpermute_b32 v4, v4, v3
	s_wait_dscnt 0x0
	v_add_f32_e32 v3, v3, v4
	ds_bpermute_b32 v4, v6, v3
	s_wait_dscnt 0x0
	v_add_f32_e32 v3, v3, v4
	ds_bpermute_b32 v4, v2, v3
	s_wait_dscnt 0x0
	v_add_f32_e32 v3, v3, v4
	ds_bpermute_b32 v4, v10, v3
	s_wait_dscnt 0x0
	v_add_f32_e32 v3, v3, v4
	s_and_saveexec_b32 s4, vcc_lo
; %bb.30:
	ds_store_b32 v7, v3 offset:528
; %bb.31:
	s_wait_alu 0xfffe
	s_or_b32 exec_lo, exec_lo, s4
	s_wait_loadcnt_dscnt 0x0
	s_barrier_signal -1
	s_barrier_wait -1
	global_inv scope:SCOPE_SE
	s_and_saveexec_b32 s4, s0
; %bb.32:
	ds_load_b32 v3, v8 offset:528
; %bb.33:
	s_wait_alu 0xfffe
	s_or_b32 exec_lo, exec_lo, s4
	s_wait_dscnt 0x0
	ds_bpermute_b32 v2, v2, v3
	s_wait_dscnt 0x0
	v_add_f32_e32 v2, v3, v2
	ds_bpermute_b32 v3, v10, v2
	s_wait_dscnt 0x0
	v_dual_add_f32 v2, v2, v3 :: v_dual_mov_b32 v3, 0
	ds_bpermute_b32 v2, v3, v2
	s_and_saveexec_b32 s0, s1
	s_cbranch_execz .LBB98_36
; %bb.34:
	s_wait_dscnt 0x0
	v_add_f32_e32 v3, 0x358637bd, v2
	s_mov_b32 s1, 0
	s_delay_alu instid0(VALU_DEP_1) | instskip(SKIP_1) | instid1(VALU_DEP_2)
	v_div_scale_f32 v4, null, v3, v3, 1.0
	v_div_scale_f32 v8, vcc_lo, 1.0, v3, 1.0
	v_rcp_f32_e32 v6, v4
	s_delay_alu instid0(TRANS32_DEP_1) | instskip(NEXT) | instid1(VALU_DEP_1)
	v_fma_f32 v7, -v4, v6, 1.0
	v_fmac_f32_e32 v6, v7, v6
	s_delay_alu instid0(VALU_DEP_1) | instskip(NEXT) | instid1(VALU_DEP_1)
	v_mul_f32_e32 v7, v8, v6
	v_fma_f32 v11, -v4, v7, v8
	s_delay_alu instid0(VALU_DEP_1) | instskip(NEXT) | instid1(VALU_DEP_1)
	v_fmac_f32_e32 v7, v11, v6
	v_fma_f32 v4, -v4, v7, v8
	s_wait_alu 0xfffd
	s_delay_alu instid0(VALU_DEP_1) | instskip(NEXT) | instid1(VALU_DEP_1)
	v_div_fmas_f32 v4, v4, v6, v7
	v_div_fixup_f32 v3, v4, v3, 1.0
	v_mov_b32_e32 v4, v0
.LBB98_35:                              ; =>This Inner Loop Header: Depth=1
	ds_load_b32 v6, v5
	v_add_nc_u32_e32 v4, 0x80, v4
	s_delay_alu instid0(VALU_DEP_1)
	v_cmp_le_i32_e32 vcc_lo, s5, v4
	s_wait_alu 0xfffe
	s_or_b32 s1, vcc_lo, s1
	s_wait_dscnt 0x0
	v_mul_f32_e32 v6, v3, v6
	ds_store_b32 v5, v6
	v_add_nc_u32_e32 v5, 0x200, v5
	s_wait_alu 0xfffe
	s_and_not1_b32 exec_lo, exec_lo, s1
	s_cbranch_execnz .LBB98_35
.LBB98_36:
	s_wait_alu 0xfffe
	s_or_b32 exec_lo, exec_lo, s0
	s_mul_i32 s0, s8, s34
	s_wait_loadcnt_dscnt 0x0
	s_wait_alu 0xfffe
	s_mul_i32 s4, s0, s35
	s_mov_b32 s0, exec_lo
	s_barrier_signal -1
	s_barrier_wait -1
	global_inv scope:SCOPE_SE
	v_cmpx_eq_u32_e32 0, v0
	s_cbranch_execz .LBB98_38
; %bb.37:
	s_wait_alu 0xfffe
	s_ashr_i32 s5, s4, 31
	s_mul_i32 s34, s8, ttmp9
	s_lshl_b32 s1, s33, 2
	s_wait_alu 0xfffe
	s_lshl_b64 s[38:39], s[4:5], 2
	s_ashr_i32 s35, s34, 31
	v_mov_b32_e32 v3, s1
	s_wait_kmcnt 0x0
	s_wait_alu 0xfffe
	s_add_nc_u64 s[14:15], s[14:15], s[38:39]
	s_lshl_b64 s[34:35], s[34:35], 2
	s_add_nc_u64 s[12:13], s[12:13], s[38:39]
	s_wait_alu 0xfffe
	s_add_nc_u64 s[14:15], s[14:15], s[34:35]
	s_add_nc_u64 s[12:13], s[12:13], s[34:35]
	s_clause 0x1
	global_store_b32 v3, v1, s[14:15]
	global_store_b32 v3, v2, s[12:13]
.LBB98_38:
	s_wait_alu 0xfffe
	s_or_b32 exec_lo, exec_lo, s0
	v_dual_mov_b32 v26, 0 :: v_dual_mov_b32 v25, 0
	v_dual_mov_b32 v24, 0 :: v_dual_mov_b32 v23, 0
	;; [unrolled: 1-line block ×8, first 2 shown]
	s_and_saveexec_b32 s1, s3
	s_cbranch_execz .LBB98_76
; %bb.39:
	s_abs_i32 s3, s10
	v_dual_mov_b32 v11, 0 :: v_dual_lshlrev_b32 v2, 4, v0
	s_wait_alu 0xfffe
	s_cvt_f32_u32 s0, s3
	v_dual_mov_b32 v14, 0 :: v_dual_lshlrev_b32 v3, 5, v64
	s_ashr_i32 s19, s18, 31
	s_wait_alu 0xfffe
	v_rcp_iflag_f32_e32 v1, s0
	s_wait_kmcnt 0x0
	s_lshl_b64 s[12:13], s[28:29], 2
	s_lshl_b64 s[14:15], s[18:19], 1
	s_wait_alu 0xfffe
	s_add_nc_u64 s[12:13], s[26:27], s[12:13]
	s_add_nc_u64 s[14:15], s[30:31], s[14:15]
	s_wait_alu 0xfffe
	v_add_co_u32 v5, s12, s12, v69
	s_sub_co_i32 s10, 0, s3
	v_add_co_ci_u32_e64 v6, null, s13, 0, s12
	v_readfirstlane_b32 s0, v1
	v_dual_mov_b32 v16, 0 :: v_dual_and_b32 v1, 0x1f0, v2
	v_lshl_or_b32 v2, v65, 6, v3
	v_dual_mov_b32 v12, 0 :: v_dual_and_b32 v27, 8, v68
	s_mul_f32 s0, s0, 0x4f7ffffe
	s_delay_alu instid0(VALU_DEP_3)
	v_add_co_u32 v28, s12, s14, v1
	s_wait_alu 0xf1ff
	v_add_co_ci_u32_e64 v29, null, s15, 0, s12
	s_wait_alu 0xfffe
	s_cvt_u32_f32 s0, s0
	v_dual_mov_b32 v13, 0 :: v_dual_add_nc_u32 v30, 0x220, v2
	v_dual_mov_b32 v15, 0 :: v_dual_mov_b32 v18, 0
	s_wait_alu 0xfffe
	s_mul_i32 s10, s10, s0
	v_dual_mov_b32 v17, 0 :: v_dual_mov_b32 v20, 0
	v_dual_mov_b32 v19, 0 :: v_dual_mov_b32 v22, 0
	v_dual_mov_b32 v21, 0 :: v_dual_mov_b32 v24, 0
	v_dual_mov_b32 v23, 0 :: v_dual_mov_b32 v26, 0
	v_mov_b32_e32 v25, 0
	s_wait_alu 0xfffe
	s_mul_hi_u32 s12, s0, s10
	s_sub_co_i32 s5, s37, s9
	s_mov_b32 s9, s17
	s_add_co_i32 s36, s36, -1
	s_mov_b32 s10, 0
	s_wait_alu 0xfffe
	s_add_co_i32 s12, s0, s12
	s_branch .LBB98_42
.LBB98_40:                              ;   in Loop: Header=BB98_42 Depth=1
	s_wait_alu 0xfffe
	s_or_b32 exec_lo, exec_lo, s0
	v_dual_add_f32 v31, v77, v78 :: v_dual_add_f32 v32, v74, v75
	v_dual_add_f32 v36, v72, v73 :: v_dual_add_f32 v39, v70, v71
	v_lshlrev_b32_e32 v7, 16, v7
	s_delay_alu instid0(VALU_DEP_3) | instskip(SKIP_3) | instid1(VALU_DEP_3)
	v_dual_add_f32 v12, v12, v31 :: v_dual_add_f32 v13, v13, v32
	v_dual_add_f32 v31, v68, v69 :: v_dual_add_f32 v32, v61, v62
	v_add_f32_e32 v41, v55, v56
	v_dual_add_f32 v14, v14, v36 :: v_dual_add_f32 v15, v15, v39
	v_dual_add_f32 v16, v16, v31 :: v_dual_add_f32 v17, v17, v32
	s_delay_alu instid0(VALU_DEP_3) | instskip(SKIP_2) | instid1(VALU_DEP_3)
	v_dual_add_f32 v20, v20, v41 :: v_dual_add_f32 v31, v53, v54
	v_lshlrev_b32_e32 v32, 16, v76
	v_dual_add_f32 v36, v59, v60 :: v_dual_add_f32 v39, v57, v58
	v_dual_add_f32 v21, v21, v31 :: v_dual_lshlrev_b32 v8, 16, v8
	s_delay_alu instid0(VALU_DEP_3) | instskip(NEXT) | instid1(VALU_DEP_3)
	v_and_or_b32 v1, 0xffff, v1, v32
	v_dual_add_f32 v18, v18, v36 :: v_dual_add_f32 v19, v19, v39
	v_add_f32_e32 v36, v51, v52
	s_delay_alu instid0(VALU_DEP_4)
	v_and_or_b32 v2, 0xffff, v2, v8
	v_and_or_b32 v3, 0xffff, v3, v7
	;;#ASMSTART
	v_pk_mul_f16 v1, v34, v1;

	;;#ASMEND
	;;#ASMSTART
	v_pk_mul_f16 v2, v33, v2;

	;;#ASMEND
	;; [unrolled: 4-line block ×4, first 2 shown]
	;;#ASMSTART
	v_pk_add_f16 v1, v1, v2;

	;;#ASMEND
	;;#ASMSTART
	v_pk_add_f16 v1, v1, v3;

	;;#ASMEND
	;; [unrolled: 4-line block ×3, first 2 shown]
	v_and_b32_e32 v4, 0xffff, v1
	v_lshrrev_b32_e32 v8, 16, v1
	v_add_f32_e32 v1, v47, v48
	;;#ASMSTART
	v_cvt_f32_f16 v4, v4;
	;;#ASMEND
	v_dual_add_f32 v22, v22, v36 :: v_dual_add_f32 v7, v49, v50
	v_dual_add_f32 v2, v45, v46 :: v_dual_add_f32 v3, v35, v37
	;;#ASMSTART
	v_cvt_f32_f16 v8, v8;
	;;#ASMEND
	s_delay_alu instid0(VALU_DEP_2) | instskip(NEXT) | instid1(VALU_DEP_2)
	v_dual_add_f32 v4, v4, v8 :: v_dual_add_f32 v23, v23, v7
	v_dual_add_f32 v24, v24, v1 :: v_dual_add_f32 v25, v25, v2
	s_delay_alu instid0(VALU_DEP_2)
	v_dual_add_f32 v26, v26, v3 :: v_dual_add_f32 v11, v11, v4
.LBB98_41:                              ;   in Loop: Header=BB98_42 Depth=1
	s_wait_alu 0xfffe
	s_or_b32 exec_lo, exec_lo, s13
	v_add_nc_u32_e32 v67, 4, v67
	v_add_co_u32 v5, s0, v5, 16
	s_wait_alu 0xf1ff
	v_add_co_ci_u32_e64 v6, null, 0, v6, s0
	s_delay_alu instid0(VALU_DEP_3)
	v_cmp_le_i32_e32 vcc_lo, s25, v67
	v_add_nc_u32_e32 v66, 64, v66
	v_add_nc_u32_e32 v30, 0x100, v30
	s_or_b32 s10, vcc_lo, s10
	s_wait_alu 0xfffe
	s_and_not1_b32 exec_lo, exec_lo, s10
	s_cbranch_execz .LBB98_75
.LBB98_42:                              ; =>This Inner Loop Header: Depth=1
	v_sub_nc_u32_e32 v1, 0, v66
	s_delay_alu instid0(VALU_DEP_1) | instskip(NEXT) | instid1(VALU_DEP_1)
	v_max_i32_e32 v1, v66, v1
	v_mul_hi_u32 v2, v1, s24
	s_delay_alu instid0(VALU_DEP_1) | instskip(NEXT) | instid1(VALU_DEP_1)
	v_mul_lo_u32 v3, v2, s16
	v_sub_nc_u32_e32 v1, v1, v3
	v_add_nc_u32_e32 v3, 1, v2
	s_delay_alu instid0(VALU_DEP_2) | instskip(SKIP_2) | instid1(VALU_DEP_2)
	v_subrev_nc_u32_e32 v4, s16, v1
	v_cmp_le_u32_e32 vcc_lo, s16, v1
	s_wait_alu 0xfffd
	v_dual_cndmask_b32 v2, v2, v3 :: v_dual_cndmask_b32 v1, v1, v4
	v_ashrrev_i32_e32 v3, 31, v66
	s_delay_alu instid0(VALU_DEP_2) | instskip(NEXT) | instid1(VALU_DEP_3)
	v_add_nc_u32_e32 v4, 1, v2
	v_cmp_le_u32_e32 vcc_lo, s16, v1
	s_delay_alu instid0(VALU_DEP_3) | instskip(SKIP_1) | instid1(VALU_DEP_3)
	v_xor_b32_e32 v3, s11, v3
	s_wait_alu 0xfffd
	v_cndmask_b32_e32 v1, v2, v4, vcc_lo
	s_delay_alu instid0(VALU_DEP_1) | instskip(NEXT) | instid1(VALU_DEP_1)
	v_xor_b32_e32 v1, v1, v3
	v_sub_nc_u32_e32 v1, v1, v3
	s_delay_alu instid0(VALU_DEP_1) | instskip(SKIP_1) | instid1(VALU_DEP_2)
	v_add_nc_u32_e32 v2, s23, v1
	v_cmp_lt_i32_e64 s0, s5, v1
	v_sub_nc_u32_e32 v3, 0, v2
	s_delay_alu instid0(VALU_DEP_1) | instskip(SKIP_1) | instid1(VALU_DEP_1)
	v_max_i32_e32 v3, v2, v3
	s_wait_alu 0xfffe
	v_mul_hi_u32 v4, v3, s12
	s_delay_alu instid0(VALU_DEP_1) | instskip(NEXT) | instid1(VALU_DEP_1)
	v_mul_lo_u32 v4, v4, s3
	v_sub_nc_u32_e32 v3, v3, v4
	s_delay_alu instid0(VALU_DEP_1) | instskip(SKIP_2) | instid1(VALU_DEP_2)
	v_subrev_nc_u32_e32 v4, s3, v3
	v_cmp_le_u32_e32 vcc_lo, s3, v3
	s_wait_alu 0xfffd
	v_cndmask_b32_e32 v3, v3, v4, vcc_lo
	v_ashrrev_i32_e32 v2, 31, v2
	s_delay_alu instid0(VALU_DEP_2) | instskip(SKIP_2) | instid1(VALU_DEP_2)
	v_subrev_nc_u32_e32 v4, s3, v3
	v_cmp_le_u32_e32 vcc_lo, s3, v3
	s_wait_alu 0xfffd
	v_cndmask_b32_e32 v3, v3, v4, vcc_lo
	s_delay_alu instid0(VALU_DEP_1) | instskip(NEXT) | instid1(VALU_DEP_1)
	v_xor_b32_e32 v3, v3, v2
	v_sub_nc_u32_e32 v2, v3, v2
	s_delay_alu instid0(VALU_DEP_1)
	v_cmp_eq_u32_e32 vcc_lo, 0, v2
	s_or_b32 s0, vcc_lo, s0
	s_wait_alu 0xfffe
	s_and_saveexec_b32 s13, s0
	s_cbranch_execz .LBB98_41
; %bb.43:                               ;   in Loop: Header=BB98_42 Depth=1
	global_load_b32 v7, v[5:6], off
	ds_load_2addr_b64 v[1:4], v30 offset1:1
	ds_load_2addr_b64 v[39:42], v30 offset0:2 offset1:3
	s_wait_dscnt 0x1
	;;#ASMSTART
	v_cvt_f16_f32 v34, v1;

	;;#ASMEND
	;;#ASMSTART
	v_cvt_f16_f32 v33, v2;

	;;#ASMEND
	;; [unrolled: 4-line block ×4, first 2 shown]
	s_wait_dscnt 0x0
	;;#ASMSTART
	v_cvt_f16_f32 v46, v39;

	;;#ASMEND
	;;#ASMSTART
	v_cvt_f16_f32 v37, v40;

	;;#ASMEND
	;; [unrolled: 4-line block ×4, first 2 shown]
	v_add_nc_u32_e32 v42, v27, v66
	s_delay_alu instid0(VALU_DEP_1)
	v_add_nc_u32_e32 v44, 1, v42
	v_add_nc_u32_e32 v43, 2, v42
	;; [unrolled: 1-line block ×7, first 2 shown]
	s_wait_loadcnt 0x0
	v_mad_co_i64_i32 v[7:8], null, v7, s9, 0
	s_delay_alu instid0(VALU_DEP_1) | instskip(NEXT) | instid1(VALU_DEP_1)
	v_lshlrev_b64_e32 v[7:8], 1, v[7:8]
	v_add_co_u32 v7, vcc_lo, v28, v7
	s_wait_alu 0xfffd
	s_delay_alu instid0(VALU_DEP_2)
	v_add_co_ci_u32_e64 v8, null, v29, v8, vcc_lo
	v_cmp_eq_u32_e32 vcc_lo, s36, v67
	global_load_b128 v[1:4], v[7:8], off
	s_wait_loadcnt 0x0
	v_lshrrev_b32_e32 v49, 16, v1
	v_lshrrev_b32_e32 v48, 16, v2
	;; [unrolled: 1-line block ×3, first 2 shown]
	s_and_saveexec_b32 s14, vcc_lo
	s_cbranch_execz .LBB98_45
; %bb.44:                               ;   in Loop: Header=BB98_42 Depth=1
	v_cmp_gt_i32_e64 s0, s21, v42
	v_and_b32_e32 v50, 0xffff, v4
	v_and_b32_e32 v4, 0xffff0000, v4
	s_wait_alu 0xf1ff
	s_delay_alu instid0(VALU_DEP_3) | instskip(SKIP_2) | instid1(VALU_DEP_1)
	v_cndmask_b32_e64 v1, 0, v1, s0
	v_cmp_gt_i32_e64 s0, s21, v44
	s_wait_alu 0xf1ff
	v_cndmask_b32_e64 v49, 0, v49, s0
	v_cmp_gt_i32_e64 s0, s21, v43
	s_wait_alu 0xf1ff
	s_delay_alu instid0(VALU_DEP_1) | instskip(SKIP_2) | instid1(VALU_DEP_1)
	v_cndmask_b32_e64 v2, 0, v2, s0
	v_cmp_gt_i32_e64 s0, s21, v36
	s_wait_alu 0xf1ff
	v_cndmask_b32_e64 v48, 0, v48, s0
	v_cmp_gt_i32_e64 s0, s21, v39
	s_wait_alu 0xf1ff
	s_delay_alu instid0(VALU_DEP_1) | instskip(SKIP_2) | instid1(VALU_DEP_1)
	v_cndmask_b32_e64 v50, 0, v50, s0
	v_cmp_gt_i32_e64 s0, s21, v41
	s_wait_alu 0xf1ff
	v_cndmask_b32_e64 v4, 0, v4, s0
	v_cmp_gt_i32_e64 s0, s21, v32
	s_delay_alu instid0(VALU_DEP_2) | instskip(SKIP_1) | instid1(VALU_DEP_2)
	v_or_b32_e32 v4, v50, v4
	s_wait_alu 0xf1ff
	v_cndmask_b32_e64 v3, 0, v3, s0
	v_cmp_gt_i32_e64 s0, s21, v31
	s_wait_alu 0xf1ff
	s_delay_alu instid0(VALU_DEP_1)
	v_cndmask_b32_e64 v47, 0, v47, s0
.LBB98_45:                              ;   in Loop: Header=BB98_42 Depth=1
	s_wait_alu 0xfffe
	s_or_b32 exec_lo, exec_lo, s14
	v_and_b32_e32 v34, 0xffff, v34
	v_and_b32_e32 v45, 0xffff, v45
	v_lshlrev_b32_e32 v49, 16, v49
	v_lshlrev_b32_e32 v47, 16, v47
	v_and_b32_e32 v46, 0xffff, v46
	v_lshl_or_b32 v34, v33, 16, v34
	v_lshl_or_b32 v33, v38, 16, v45
	v_lshlrev_b32_e32 v45, 16, v48
	v_and_b32_e32 v40, 0xffff, v40
	v_and_or_b32 v1, 0xffff, v1, v49
	v_and_or_b32 v3, 0xffff, v3, v47
	;;#ASMSTART
	v_pk_mul_f16 v1, v34, v1;

	;;#ASMEND
	v_and_or_b32 v2, 0xffff, v2, v45
	v_lshl_or_b32 v38, v37, 16, v46
	v_lshl_or_b32 v40, v35, 16, v40
	;;#ASMSTART
	v_pk_mul_f16 v2, v33, v2;

	;;#ASMEND
	;;#ASMSTART
	v_pk_mul_f16 v3, v38, v3;

	;;#ASMEND
	;; [unrolled: 4-line block ×3, first 2 shown]
	;;#ASMSTART
	v_pk_add_f16 v1, v1, v2;

	;;#ASMEND
	;;#ASMSTART
	v_pk_add_f16 v1, v1, v3;

	;;#ASMEND
	;; [unrolled: 4-line block ×3, first 2 shown]
	v_and_b32_e32 v2, 0xffff, v1
	v_lshrrev_b32_e32 v1, 16, v1
	;;#ASMSTART
	v_cvt_f32_f16 v35, v2;
	;;#ASMEND
	;;#ASMSTART
	v_cvt_f32_f16 v37, v1;
	;;#ASMEND
	global_load_b128 v[1:4], v[7:8], off offset:512
	s_wait_loadcnt 0x0
	v_lshrrev_b32_e32 v47, 16, v1
	v_lshrrev_b32_e32 v46, 16, v2
	;; [unrolled: 1-line block ×3, first 2 shown]
	s_and_saveexec_b32 s14, vcc_lo
	s_cbranch_execz .LBB98_47
; %bb.46:                               ;   in Loop: Header=BB98_42 Depth=1
	v_cmp_gt_i32_e64 s0, s21, v42
	v_and_b32_e32 v48, 0xffff, v4
	v_and_b32_e32 v4, 0xffff0000, v4
	s_wait_alu 0xf1ff
	s_delay_alu instid0(VALU_DEP_3) | instskip(SKIP_2) | instid1(VALU_DEP_1)
	v_cndmask_b32_e64 v1, 0, v1, s0
	v_cmp_gt_i32_e64 s0, s21, v44
	s_wait_alu 0xf1ff
	v_cndmask_b32_e64 v47, 0, v47, s0
	v_cmp_gt_i32_e64 s0, s21, v43
	s_wait_alu 0xf1ff
	s_delay_alu instid0(VALU_DEP_1) | instskip(SKIP_2) | instid1(VALU_DEP_1)
	v_cndmask_b32_e64 v2, 0, v2, s0
	v_cmp_gt_i32_e64 s0, s21, v36
	s_wait_alu 0xf1ff
	v_cndmask_b32_e64 v46, 0, v46, s0
	v_cmp_gt_i32_e64 s0, s21, v39
	s_wait_alu 0xf1ff
	s_delay_alu instid0(VALU_DEP_1) | instskip(SKIP_2) | instid1(VALU_DEP_1)
	v_cndmask_b32_e64 v48, 0, v48, s0
	v_cmp_gt_i32_e64 s0, s21, v41
	s_wait_alu 0xf1ff
	v_cndmask_b32_e64 v4, 0, v4, s0
	v_cmp_gt_i32_e64 s0, s21, v32
	s_delay_alu instid0(VALU_DEP_2) | instskip(SKIP_1) | instid1(VALU_DEP_2)
	v_or_b32_e32 v4, v48, v4
	s_wait_alu 0xf1ff
	v_cndmask_b32_e64 v3, 0, v3, s0
	v_cmp_gt_i32_e64 s0, s21, v31
	s_wait_alu 0xf1ff
	s_delay_alu instid0(VALU_DEP_1)
	v_cndmask_b32_e64 v45, 0, v45, s0
.LBB98_47:                              ;   in Loop: Header=BB98_42 Depth=1
	s_wait_alu 0xfffe
	s_or_b32 exec_lo, exec_lo, s14
	v_lshlrev_b32_e32 v47, 16, v47
	v_lshlrev_b32_e32 v46, 16, v46
	;; [unrolled: 1-line block ×3, first 2 shown]
	s_delay_alu instid0(VALU_DEP_3) | instskip(NEXT) | instid1(VALU_DEP_3)
	v_and_or_b32 v1, 0xffff, v1, v47
	v_and_or_b32 v2, 0xffff, v2, v46
	s_delay_alu instid0(VALU_DEP_3)
	v_and_or_b32 v3, 0xffff, v3, v45
	;;#ASMSTART
	v_pk_mul_f16 v1, v34, v1;

	;;#ASMEND
	;;#ASMSTART
	v_pk_mul_f16 v2, v33, v2;

	;;#ASMEND
	;; [unrolled: 4-line block ×4, first 2 shown]
	;;#ASMSTART
	v_pk_add_f16 v1, v1, v2;

	;;#ASMEND
	;;#ASMSTART
	v_pk_add_f16 v1, v1, v3;

	;;#ASMEND
	;; [unrolled: 4-line block ×3, first 2 shown]
	v_and_b32_e32 v2, 0xffff, v1
	v_lshrrev_b32_e32 v1, 16, v1
	;;#ASMSTART
	v_cvt_f32_f16 v45, v2;
	;;#ASMEND
	;;#ASMSTART
	v_cvt_f32_f16 v46, v1;
	;;#ASMEND
	global_load_b128 v[1:4], v[7:8], off offset:1024
	s_wait_loadcnt 0x0
	v_lshrrev_b32_e32 v49, 16, v1
	v_lshrrev_b32_e32 v48, 16, v2
	;; [unrolled: 1-line block ×3, first 2 shown]
	s_and_saveexec_b32 s14, vcc_lo
	s_cbranch_execz .LBB98_49
; %bb.48:                               ;   in Loop: Header=BB98_42 Depth=1
	v_cmp_gt_i32_e64 s0, s21, v42
	v_and_b32_e32 v50, 0xffff, v4
	v_and_b32_e32 v4, 0xffff0000, v4
	s_wait_alu 0xf1ff
	s_delay_alu instid0(VALU_DEP_3) | instskip(SKIP_2) | instid1(VALU_DEP_1)
	v_cndmask_b32_e64 v1, 0, v1, s0
	v_cmp_gt_i32_e64 s0, s21, v44
	s_wait_alu 0xf1ff
	v_cndmask_b32_e64 v49, 0, v49, s0
	v_cmp_gt_i32_e64 s0, s21, v43
	s_wait_alu 0xf1ff
	s_delay_alu instid0(VALU_DEP_1) | instskip(SKIP_2) | instid1(VALU_DEP_1)
	v_cndmask_b32_e64 v2, 0, v2, s0
	v_cmp_gt_i32_e64 s0, s21, v36
	s_wait_alu 0xf1ff
	v_cndmask_b32_e64 v48, 0, v48, s0
	v_cmp_gt_i32_e64 s0, s21, v39
	s_wait_alu 0xf1ff
	s_delay_alu instid0(VALU_DEP_1) | instskip(SKIP_2) | instid1(VALU_DEP_1)
	v_cndmask_b32_e64 v50, 0, v50, s0
	v_cmp_gt_i32_e64 s0, s21, v41
	s_wait_alu 0xf1ff
	v_cndmask_b32_e64 v4, 0, v4, s0
	v_cmp_gt_i32_e64 s0, s21, v32
	s_delay_alu instid0(VALU_DEP_2) | instskip(SKIP_1) | instid1(VALU_DEP_2)
	v_or_b32_e32 v4, v50, v4
	s_wait_alu 0xf1ff
	v_cndmask_b32_e64 v3, 0, v3, s0
	v_cmp_gt_i32_e64 s0, s21, v31
	s_wait_alu 0xf1ff
	s_delay_alu instid0(VALU_DEP_1)
	v_cndmask_b32_e64 v47, 0, v47, s0
.LBB98_49:                              ;   in Loop: Header=BB98_42 Depth=1
	s_wait_alu 0xfffe
	s_or_b32 exec_lo, exec_lo, s14
	v_lshlrev_b32_e32 v49, 16, v49
	v_lshlrev_b32_e32 v48, 16, v48
	;; [unrolled: 1-line block ×3, first 2 shown]
	s_delay_alu instid0(VALU_DEP_3) | instskip(NEXT) | instid1(VALU_DEP_3)
	v_and_or_b32 v1, 0xffff, v1, v49
	v_and_or_b32 v2, 0xffff, v2, v48
	s_delay_alu instid0(VALU_DEP_3)
	v_and_or_b32 v3, 0xffff, v3, v47
	;;#ASMSTART
	v_pk_mul_f16 v1, v34, v1;

	;;#ASMEND
	;;#ASMSTART
	v_pk_mul_f16 v2, v33, v2;

	;;#ASMEND
	;; [unrolled: 4-line block ×4, first 2 shown]
	;;#ASMSTART
	v_pk_add_f16 v1, v1, v2;

	;;#ASMEND
	;;#ASMSTART
	v_pk_add_f16 v1, v1, v3;

	;;#ASMEND
	;; [unrolled: 4-line block ×3, first 2 shown]
	v_and_b32_e32 v2, 0xffff, v1
	v_lshrrev_b32_e32 v1, 16, v1
	;;#ASMSTART
	v_cvt_f32_f16 v47, v2;
	;;#ASMEND
	;;#ASMSTART
	v_cvt_f32_f16 v48, v1;
	;;#ASMEND
	global_load_b128 v[1:4], v[7:8], off offset:1536
	s_wait_loadcnt 0x0
	v_lshrrev_b32_e32 v51, 16, v1
	v_lshrrev_b32_e32 v50, 16, v2
	v_lshrrev_b32_e32 v49, 16, v3
	s_and_saveexec_b32 s14, vcc_lo
	s_cbranch_execz .LBB98_51
; %bb.50:                               ;   in Loop: Header=BB98_42 Depth=1
	v_cmp_gt_i32_e64 s0, s21, v42
	v_and_b32_e32 v52, 0xffff, v4
	v_and_b32_e32 v4, 0xffff0000, v4
	s_wait_alu 0xf1ff
	s_delay_alu instid0(VALU_DEP_3) | instskip(SKIP_2) | instid1(VALU_DEP_1)
	v_cndmask_b32_e64 v1, 0, v1, s0
	v_cmp_gt_i32_e64 s0, s21, v44
	s_wait_alu 0xf1ff
	v_cndmask_b32_e64 v51, 0, v51, s0
	v_cmp_gt_i32_e64 s0, s21, v43
	s_wait_alu 0xf1ff
	s_delay_alu instid0(VALU_DEP_1) | instskip(SKIP_2) | instid1(VALU_DEP_1)
	v_cndmask_b32_e64 v2, 0, v2, s0
	v_cmp_gt_i32_e64 s0, s21, v36
	s_wait_alu 0xf1ff
	v_cndmask_b32_e64 v50, 0, v50, s0
	v_cmp_gt_i32_e64 s0, s21, v39
	s_wait_alu 0xf1ff
	s_delay_alu instid0(VALU_DEP_1) | instskip(SKIP_2) | instid1(VALU_DEP_1)
	v_cndmask_b32_e64 v52, 0, v52, s0
	v_cmp_gt_i32_e64 s0, s21, v41
	s_wait_alu 0xf1ff
	v_cndmask_b32_e64 v4, 0, v4, s0
	v_cmp_gt_i32_e64 s0, s21, v32
	s_delay_alu instid0(VALU_DEP_2) | instskip(SKIP_1) | instid1(VALU_DEP_2)
	v_or_b32_e32 v4, v52, v4
	s_wait_alu 0xf1ff
	v_cndmask_b32_e64 v3, 0, v3, s0
	v_cmp_gt_i32_e64 s0, s21, v31
	s_wait_alu 0xf1ff
	s_delay_alu instid0(VALU_DEP_1)
	v_cndmask_b32_e64 v49, 0, v49, s0
.LBB98_51:                              ;   in Loop: Header=BB98_42 Depth=1
	s_wait_alu 0xfffe
	s_or_b32 exec_lo, exec_lo, s14
	v_lshlrev_b32_e32 v51, 16, v51
	v_lshlrev_b32_e32 v50, 16, v50
	;; [unrolled: 1-line block ×3, first 2 shown]
	s_delay_alu instid0(VALU_DEP_3) | instskip(NEXT) | instid1(VALU_DEP_3)
	v_and_or_b32 v1, 0xffff, v1, v51
	v_and_or_b32 v2, 0xffff, v2, v50
	s_delay_alu instid0(VALU_DEP_3)
	v_and_or_b32 v3, 0xffff, v3, v49
	;;#ASMSTART
	v_pk_mul_f16 v1, v34, v1;

	;;#ASMEND
	;;#ASMSTART
	v_pk_mul_f16 v2, v33, v2;

	;;#ASMEND
	;; [unrolled: 4-line block ×4, first 2 shown]
	;;#ASMSTART
	v_pk_add_f16 v1, v1, v2;

	;;#ASMEND
	;;#ASMSTART
	v_pk_add_f16 v1, v1, v3;

	;;#ASMEND
	;; [unrolled: 4-line block ×3, first 2 shown]
	v_and_b32_e32 v2, 0xffff, v1
	v_lshrrev_b32_e32 v1, 16, v1
	;;#ASMSTART
	v_cvt_f32_f16 v49, v2;
	;;#ASMEND
	;;#ASMSTART
	v_cvt_f32_f16 v50, v1;
	;;#ASMEND
	global_load_b128 v[1:4], v[7:8], off offset:2048
	s_wait_loadcnt 0x0
	v_lshrrev_b32_e32 v53, 16, v1
	v_lshrrev_b32_e32 v52, 16, v2
	;; [unrolled: 1-line block ×3, first 2 shown]
	s_and_saveexec_b32 s14, vcc_lo
	s_cbranch_execz .LBB98_53
; %bb.52:                               ;   in Loop: Header=BB98_42 Depth=1
	v_cmp_gt_i32_e64 s0, s21, v42
	v_and_b32_e32 v54, 0xffff, v4
	v_and_b32_e32 v4, 0xffff0000, v4
	s_wait_alu 0xf1ff
	s_delay_alu instid0(VALU_DEP_3) | instskip(SKIP_2) | instid1(VALU_DEP_1)
	v_cndmask_b32_e64 v1, 0, v1, s0
	v_cmp_gt_i32_e64 s0, s21, v44
	s_wait_alu 0xf1ff
	v_cndmask_b32_e64 v53, 0, v53, s0
	v_cmp_gt_i32_e64 s0, s21, v43
	s_wait_alu 0xf1ff
	s_delay_alu instid0(VALU_DEP_1) | instskip(SKIP_2) | instid1(VALU_DEP_1)
	v_cndmask_b32_e64 v2, 0, v2, s0
	v_cmp_gt_i32_e64 s0, s21, v36
	s_wait_alu 0xf1ff
	v_cndmask_b32_e64 v52, 0, v52, s0
	v_cmp_gt_i32_e64 s0, s21, v39
	s_wait_alu 0xf1ff
	s_delay_alu instid0(VALU_DEP_1) | instskip(SKIP_2) | instid1(VALU_DEP_1)
	v_cndmask_b32_e64 v54, 0, v54, s0
	v_cmp_gt_i32_e64 s0, s21, v41
	s_wait_alu 0xf1ff
	v_cndmask_b32_e64 v4, 0, v4, s0
	v_cmp_gt_i32_e64 s0, s21, v32
	s_delay_alu instid0(VALU_DEP_2) | instskip(SKIP_1) | instid1(VALU_DEP_2)
	v_or_b32_e32 v4, v54, v4
	s_wait_alu 0xf1ff
	v_cndmask_b32_e64 v3, 0, v3, s0
	v_cmp_gt_i32_e64 s0, s21, v31
	s_wait_alu 0xf1ff
	s_delay_alu instid0(VALU_DEP_1)
	v_cndmask_b32_e64 v51, 0, v51, s0
.LBB98_53:                              ;   in Loop: Header=BB98_42 Depth=1
	s_wait_alu 0xfffe
	s_or_b32 exec_lo, exec_lo, s14
	v_lshlrev_b32_e32 v53, 16, v53
	v_lshlrev_b32_e32 v52, 16, v52
	;; [unrolled: 1-line block ×3, first 2 shown]
	s_delay_alu instid0(VALU_DEP_3) | instskip(NEXT) | instid1(VALU_DEP_3)
	v_and_or_b32 v1, 0xffff, v1, v53
	v_and_or_b32 v2, 0xffff, v2, v52
	s_delay_alu instid0(VALU_DEP_3)
	v_and_or_b32 v3, 0xffff, v3, v51
	;;#ASMSTART
	v_pk_mul_f16 v1, v34, v1;

	;;#ASMEND
	;;#ASMSTART
	v_pk_mul_f16 v2, v33, v2;

	;;#ASMEND
	;; [unrolled: 4-line block ×4, first 2 shown]
	;;#ASMSTART
	v_pk_add_f16 v1, v1, v2;

	;;#ASMEND
	;;#ASMSTART
	v_pk_add_f16 v1, v1, v3;

	;;#ASMEND
	;; [unrolled: 4-line block ×3, first 2 shown]
	v_and_b32_e32 v2, 0xffff, v1
	v_lshrrev_b32_e32 v1, 16, v1
	;;#ASMSTART
	v_cvt_f32_f16 v51, v2;
	;;#ASMEND
	;;#ASMSTART
	v_cvt_f32_f16 v52, v1;
	;;#ASMEND
	global_load_b128 v[1:4], v[7:8], off offset:2560
	s_wait_loadcnt 0x0
	v_lshrrev_b32_e32 v55, 16, v1
	v_lshrrev_b32_e32 v54, 16, v2
	;; [unrolled: 1-line block ×3, first 2 shown]
	s_and_saveexec_b32 s14, vcc_lo
	s_cbranch_execz .LBB98_55
; %bb.54:                               ;   in Loop: Header=BB98_42 Depth=1
	v_cmp_gt_i32_e64 s0, s21, v42
	v_and_b32_e32 v56, 0xffff, v4
	v_and_b32_e32 v4, 0xffff0000, v4
	s_wait_alu 0xf1ff
	s_delay_alu instid0(VALU_DEP_3) | instskip(SKIP_2) | instid1(VALU_DEP_1)
	v_cndmask_b32_e64 v1, 0, v1, s0
	v_cmp_gt_i32_e64 s0, s21, v44
	s_wait_alu 0xf1ff
	v_cndmask_b32_e64 v55, 0, v55, s0
	v_cmp_gt_i32_e64 s0, s21, v43
	s_wait_alu 0xf1ff
	s_delay_alu instid0(VALU_DEP_1) | instskip(SKIP_2) | instid1(VALU_DEP_1)
	v_cndmask_b32_e64 v2, 0, v2, s0
	v_cmp_gt_i32_e64 s0, s21, v36
	s_wait_alu 0xf1ff
	v_cndmask_b32_e64 v54, 0, v54, s0
	v_cmp_gt_i32_e64 s0, s21, v39
	s_wait_alu 0xf1ff
	s_delay_alu instid0(VALU_DEP_1) | instskip(SKIP_2) | instid1(VALU_DEP_1)
	v_cndmask_b32_e64 v56, 0, v56, s0
	v_cmp_gt_i32_e64 s0, s21, v41
	s_wait_alu 0xf1ff
	v_cndmask_b32_e64 v4, 0, v4, s0
	v_cmp_gt_i32_e64 s0, s21, v32
	s_delay_alu instid0(VALU_DEP_2) | instskip(SKIP_1) | instid1(VALU_DEP_2)
	v_or_b32_e32 v4, v56, v4
	s_wait_alu 0xf1ff
	v_cndmask_b32_e64 v3, 0, v3, s0
	v_cmp_gt_i32_e64 s0, s21, v31
	s_wait_alu 0xf1ff
	s_delay_alu instid0(VALU_DEP_1)
	v_cndmask_b32_e64 v53, 0, v53, s0
.LBB98_55:                              ;   in Loop: Header=BB98_42 Depth=1
	s_wait_alu 0xfffe
	s_or_b32 exec_lo, exec_lo, s14
	v_lshlrev_b32_e32 v55, 16, v55
	v_lshlrev_b32_e32 v54, 16, v54
	;; [unrolled: 1-line block ×3, first 2 shown]
	s_delay_alu instid0(VALU_DEP_3) | instskip(NEXT) | instid1(VALU_DEP_3)
	v_and_or_b32 v1, 0xffff, v1, v55
	v_and_or_b32 v2, 0xffff, v2, v54
	s_delay_alu instid0(VALU_DEP_3)
	v_and_or_b32 v3, 0xffff, v3, v53
	;;#ASMSTART
	v_pk_mul_f16 v1, v34, v1;

	;;#ASMEND
	;;#ASMSTART
	v_pk_mul_f16 v2, v33, v2;

	;;#ASMEND
	;; [unrolled: 4-line block ×4, first 2 shown]
	;;#ASMSTART
	v_pk_add_f16 v1, v1, v2;

	;;#ASMEND
	;;#ASMSTART
	v_pk_add_f16 v1, v1, v3;

	;;#ASMEND
	;; [unrolled: 4-line block ×3, first 2 shown]
	v_and_b32_e32 v2, 0xffff, v1
	v_lshrrev_b32_e32 v1, 16, v1
	;;#ASMSTART
	v_cvt_f32_f16 v53, v2;
	;;#ASMEND
	;;#ASMSTART
	v_cvt_f32_f16 v54, v1;
	;;#ASMEND
	global_load_b128 v[1:4], v[7:8], off offset:3072
	s_wait_loadcnt 0x0
	v_lshrrev_b32_e32 v57, 16, v1
	v_lshrrev_b32_e32 v56, 16, v2
	;; [unrolled: 1-line block ×3, first 2 shown]
	s_and_saveexec_b32 s14, vcc_lo
	s_cbranch_execz .LBB98_57
; %bb.56:                               ;   in Loop: Header=BB98_42 Depth=1
	v_cmp_gt_i32_e64 s0, s21, v42
	v_and_b32_e32 v58, 0xffff, v4
	v_and_b32_e32 v4, 0xffff0000, v4
	s_wait_alu 0xf1ff
	s_delay_alu instid0(VALU_DEP_3) | instskip(SKIP_2) | instid1(VALU_DEP_1)
	v_cndmask_b32_e64 v1, 0, v1, s0
	v_cmp_gt_i32_e64 s0, s21, v44
	s_wait_alu 0xf1ff
	v_cndmask_b32_e64 v57, 0, v57, s0
	v_cmp_gt_i32_e64 s0, s21, v43
	s_wait_alu 0xf1ff
	s_delay_alu instid0(VALU_DEP_1) | instskip(SKIP_2) | instid1(VALU_DEP_1)
	v_cndmask_b32_e64 v2, 0, v2, s0
	v_cmp_gt_i32_e64 s0, s21, v36
	s_wait_alu 0xf1ff
	v_cndmask_b32_e64 v56, 0, v56, s0
	v_cmp_gt_i32_e64 s0, s21, v39
	s_wait_alu 0xf1ff
	s_delay_alu instid0(VALU_DEP_1) | instskip(SKIP_2) | instid1(VALU_DEP_1)
	v_cndmask_b32_e64 v58, 0, v58, s0
	v_cmp_gt_i32_e64 s0, s21, v41
	s_wait_alu 0xf1ff
	v_cndmask_b32_e64 v4, 0, v4, s0
	v_cmp_gt_i32_e64 s0, s21, v32
	s_delay_alu instid0(VALU_DEP_2) | instskip(SKIP_1) | instid1(VALU_DEP_2)
	v_or_b32_e32 v4, v58, v4
	s_wait_alu 0xf1ff
	v_cndmask_b32_e64 v3, 0, v3, s0
	v_cmp_gt_i32_e64 s0, s21, v31
	s_wait_alu 0xf1ff
	s_delay_alu instid0(VALU_DEP_1)
	v_cndmask_b32_e64 v55, 0, v55, s0
.LBB98_57:                              ;   in Loop: Header=BB98_42 Depth=1
	s_wait_alu 0xfffe
	s_or_b32 exec_lo, exec_lo, s14
	v_lshlrev_b32_e32 v57, 16, v57
	v_lshlrev_b32_e32 v56, 16, v56
	;; [unrolled: 1-line block ×3, first 2 shown]
	s_delay_alu instid0(VALU_DEP_3) | instskip(NEXT) | instid1(VALU_DEP_3)
	v_and_or_b32 v1, 0xffff, v1, v57
	v_and_or_b32 v2, 0xffff, v2, v56
	s_delay_alu instid0(VALU_DEP_3)
	v_and_or_b32 v3, 0xffff, v3, v55
	;;#ASMSTART
	v_pk_mul_f16 v1, v34, v1;

	;;#ASMEND
	;;#ASMSTART
	v_pk_mul_f16 v2, v33, v2;

	;;#ASMEND
	;; [unrolled: 4-line block ×4, first 2 shown]
	;;#ASMSTART
	v_pk_add_f16 v1, v1, v2;

	;;#ASMEND
	;;#ASMSTART
	v_pk_add_f16 v1, v1, v3;

	;;#ASMEND
	;;#ASMSTART
	v_pk_add_f16 v1, v1, v4;

	;;#ASMEND
	v_and_b32_e32 v2, 0xffff, v1
	v_lshrrev_b32_e32 v1, 16, v1
	;;#ASMSTART
	v_cvt_f32_f16 v55, v2;
	;;#ASMEND
	;;#ASMSTART
	v_cvt_f32_f16 v56, v1;
	;;#ASMEND
	global_load_b128 v[1:4], v[7:8], off offset:3584
	s_wait_loadcnt 0x0
	v_lshrrev_b32_e32 v59, 16, v1
	v_lshrrev_b32_e32 v58, 16, v2
	v_lshrrev_b32_e32 v57, 16, v3
	s_and_saveexec_b32 s14, vcc_lo
	s_cbranch_execz .LBB98_59
; %bb.58:                               ;   in Loop: Header=BB98_42 Depth=1
	v_cmp_gt_i32_e64 s0, s21, v42
	v_and_b32_e32 v60, 0xffff, v4
	v_and_b32_e32 v4, 0xffff0000, v4
	s_wait_alu 0xf1ff
	s_delay_alu instid0(VALU_DEP_3) | instskip(SKIP_2) | instid1(VALU_DEP_1)
	v_cndmask_b32_e64 v1, 0, v1, s0
	v_cmp_gt_i32_e64 s0, s21, v44
	s_wait_alu 0xf1ff
	v_cndmask_b32_e64 v59, 0, v59, s0
	v_cmp_gt_i32_e64 s0, s21, v43
	s_wait_alu 0xf1ff
	s_delay_alu instid0(VALU_DEP_1) | instskip(SKIP_2) | instid1(VALU_DEP_1)
	v_cndmask_b32_e64 v2, 0, v2, s0
	v_cmp_gt_i32_e64 s0, s21, v36
	s_wait_alu 0xf1ff
	v_cndmask_b32_e64 v58, 0, v58, s0
	v_cmp_gt_i32_e64 s0, s21, v39
	s_wait_alu 0xf1ff
	s_delay_alu instid0(VALU_DEP_1) | instskip(SKIP_2) | instid1(VALU_DEP_1)
	v_cndmask_b32_e64 v60, 0, v60, s0
	v_cmp_gt_i32_e64 s0, s21, v41
	s_wait_alu 0xf1ff
	v_cndmask_b32_e64 v4, 0, v4, s0
	v_cmp_gt_i32_e64 s0, s21, v32
	s_delay_alu instid0(VALU_DEP_2) | instskip(SKIP_1) | instid1(VALU_DEP_2)
	v_or_b32_e32 v4, v60, v4
	s_wait_alu 0xf1ff
	v_cndmask_b32_e64 v3, 0, v3, s0
	v_cmp_gt_i32_e64 s0, s21, v31
	s_wait_alu 0xf1ff
	s_delay_alu instid0(VALU_DEP_1)
	v_cndmask_b32_e64 v57, 0, v57, s0
.LBB98_59:                              ;   in Loop: Header=BB98_42 Depth=1
	s_wait_alu 0xfffe
	s_or_b32 exec_lo, exec_lo, s14
	v_lshlrev_b32_e32 v59, 16, v59
	v_lshlrev_b32_e32 v58, 16, v58
	;; [unrolled: 1-line block ×3, first 2 shown]
	s_delay_alu instid0(VALU_DEP_3) | instskip(NEXT) | instid1(VALU_DEP_3)
	v_and_or_b32 v1, 0xffff, v1, v59
	v_and_or_b32 v2, 0xffff, v2, v58
	s_delay_alu instid0(VALU_DEP_3)
	v_and_or_b32 v3, 0xffff, v3, v57
	;;#ASMSTART
	v_pk_mul_f16 v1, v34, v1;

	;;#ASMEND
	;;#ASMSTART
	v_pk_mul_f16 v2, v33, v2;

	;;#ASMEND
	;; [unrolled: 4-line block ×4, first 2 shown]
	;;#ASMSTART
	v_pk_add_f16 v1, v1, v2;

	;;#ASMEND
	;;#ASMSTART
	v_pk_add_f16 v1, v1, v3;

	;;#ASMEND
	;; [unrolled: 4-line block ×3, first 2 shown]
	v_and_b32_e32 v2, 0xffff, v1
	v_lshrrev_b32_e32 v1, 16, v1
	;;#ASMSTART
	v_cvt_f32_f16 v57, v2;
	;;#ASMEND
	;;#ASMSTART
	v_cvt_f32_f16 v58, v1;
	;;#ASMEND
	global_load_b128 v[1:4], v[7:8], off offset:4096
	s_wait_loadcnt 0x0
	v_lshrrev_b32_e32 v61, 16, v1
	v_lshrrev_b32_e32 v60, 16, v2
	;; [unrolled: 1-line block ×3, first 2 shown]
	s_and_saveexec_b32 s14, vcc_lo
	s_cbranch_execz .LBB98_61
; %bb.60:                               ;   in Loop: Header=BB98_42 Depth=1
	v_cmp_gt_i32_e64 s0, s21, v42
	v_and_b32_e32 v62, 0xffff, v4
	v_and_b32_e32 v4, 0xffff0000, v4
	s_wait_alu 0xf1ff
	s_delay_alu instid0(VALU_DEP_3) | instskip(SKIP_2) | instid1(VALU_DEP_1)
	v_cndmask_b32_e64 v1, 0, v1, s0
	v_cmp_gt_i32_e64 s0, s21, v44
	s_wait_alu 0xf1ff
	v_cndmask_b32_e64 v61, 0, v61, s0
	v_cmp_gt_i32_e64 s0, s21, v43
	s_wait_alu 0xf1ff
	s_delay_alu instid0(VALU_DEP_1) | instskip(SKIP_2) | instid1(VALU_DEP_1)
	v_cndmask_b32_e64 v2, 0, v2, s0
	v_cmp_gt_i32_e64 s0, s21, v36
	s_wait_alu 0xf1ff
	v_cndmask_b32_e64 v60, 0, v60, s0
	v_cmp_gt_i32_e64 s0, s21, v39
	s_wait_alu 0xf1ff
	s_delay_alu instid0(VALU_DEP_1) | instskip(SKIP_2) | instid1(VALU_DEP_1)
	v_cndmask_b32_e64 v62, 0, v62, s0
	v_cmp_gt_i32_e64 s0, s21, v41
	s_wait_alu 0xf1ff
	v_cndmask_b32_e64 v4, 0, v4, s0
	v_cmp_gt_i32_e64 s0, s21, v32
	s_delay_alu instid0(VALU_DEP_2) | instskip(SKIP_1) | instid1(VALU_DEP_2)
	v_or_b32_e32 v4, v62, v4
	s_wait_alu 0xf1ff
	v_cndmask_b32_e64 v3, 0, v3, s0
	v_cmp_gt_i32_e64 s0, s21, v31
	s_wait_alu 0xf1ff
	s_delay_alu instid0(VALU_DEP_1)
	v_cndmask_b32_e64 v59, 0, v59, s0
.LBB98_61:                              ;   in Loop: Header=BB98_42 Depth=1
	s_wait_alu 0xfffe
	s_or_b32 exec_lo, exec_lo, s14
	v_lshlrev_b32_e32 v61, 16, v61
	v_lshlrev_b32_e32 v60, 16, v60
	;; [unrolled: 1-line block ×3, first 2 shown]
	s_delay_alu instid0(VALU_DEP_3) | instskip(NEXT) | instid1(VALU_DEP_3)
	v_and_or_b32 v1, 0xffff, v1, v61
	v_and_or_b32 v2, 0xffff, v2, v60
	s_delay_alu instid0(VALU_DEP_3)
	v_and_or_b32 v3, 0xffff, v3, v59
	;;#ASMSTART
	v_pk_mul_f16 v1, v34, v1;

	;;#ASMEND
	;;#ASMSTART
	v_pk_mul_f16 v2, v33, v2;

	;;#ASMEND
	;; [unrolled: 4-line block ×4, first 2 shown]
	;;#ASMSTART
	v_pk_add_f16 v1, v1, v2;

	;;#ASMEND
	;;#ASMSTART
	v_pk_add_f16 v1, v1, v3;

	;;#ASMEND
	;; [unrolled: 4-line block ×3, first 2 shown]
	v_and_b32_e32 v2, 0xffff, v1
	v_lshrrev_b32_e32 v1, 16, v1
	;;#ASMSTART
	v_cvt_f32_f16 v59, v2;
	;;#ASMEND
	;;#ASMSTART
	v_cvt_f32_f16 v60, v1;
	;;#ASMEND
	global_load_b128 v[1:4], v[7:8], off offset:4608
	s_wait_loadcnt 0x0
	v_lshrrev_b32_e32 v68, 16, v1
	v_lshrrev_b32_e32 v62, 16, v2
	;; [unrolled: 1-line block ×3, first 2 shown]
	s_and_saveexec_b32 s14, vcc_lo
	s_cbranch_execz .LBB98_63
; %bb.62:                               ;   in Loop: Header=BB98_42 Depth=1
	v_cmp_gt_i32_e64 s0, s21, v42
	v_and_b32_e32 v69, 0xffff, v4
	v_and_b32_e32 v4, 0xffff0000, v4
	s_wait_alu 0xf1ff
	s_delay_alu instid0(VALU_DEP_3) | instskip(SKIP_2) | instid1(VALU_DEP_1)
	v_cndmask_b32_e64 v1, 0, v1, s0
	v_cmp_gt_i32_e64 s0, s21, v44
	s_wait_alu 0xf1ff
	v_cndmask_b32_e64 v68, 0, v68, s0
	v_cmp_gt_i32_e64 s0, s21, v43
	s_wait_alu 0xf1ff
	s_delay_alu instid0(VALU_DEP_1) | instskip(SKIP_2) | instid1(VALU_DEP_1)
	v_cndmask_b32_e64 v2, 0, v2, s0
	v_cmp_gt_i32_e64 s0, s21, v36
	s_wait_alu 0xf1ff
	v_cndmask_b32_e64 v62, 0, v62, s0
	v_cmp_gt_i32_e64 s0, s21, v39
	s_wait_alu 0xf1ff
	s_delay_alu instid0(VALU_DEP_1) | instskip(SKIP_2) | instid1(VALU_DEP_1)
	v_cndmask_b32_e64 v69, 0, v69, s0
	v_cmp_gt_i32_e64 s0, s21, v41
	s_wait_alu 0xf1ff
	v_cndmask_b32_e64 v4, 0, v4, s0
	v_cmp_gt_i32_e64 s0, s21, v32
	s_delay_alu instid0(VALU_DEP_2) | instskip(SKIP_1) | instid1(VALU_DEP_2)
	v_or_b32_e32 v4, v69, v4
	s_wait_alu 0xf1ff
	v_cndmask_b32_e64 v3, 0, v3, s0
	v_cmp_gt_i32_e64 s0, s21, v31
	s_wait_alu 0xf1ff
	s_delay_alu instid0(VALU_DEP_1)
	v_cndmask_b32_e64 v61, 0, v61, s0
.LBB98_63:                              ;   in Loop: Header=BB98_42 Depth=1
	s_wait_alu 0xfffe
	s_or_b32 exec_lo, exec_lo, s14
	v_lshlrev_b32_e32 v68, 16, v68
	v_lshlrev_b32_e32 v62, 16, v62
	;; [unrolled: 1-line block ×3, first 2 shown]
	s_delay_alu instid0(VALU_DEP_3) | instskip(NEXT) | instid1(VALU_DEP_3)
	v_and_or_b32 v1, 0xffff, v1, v68
	v_and_or_b32 v2, 0xffff, v2, v62
	s_delay_alu instid0(VALU_DEP_3)
	v_and_or_b32 v3, 0xffff, v3, v61
	;;#ASMSTART
	v_pk_mul_f16 v1, v34, v1;

	;;#ASMEND
	;;#ASMSTART
	v_pk_mul_f16 v2, v33, v2;

	;;#ASMEND
	;; [unrolled: 4-line block ×4, first 2 shown]
	;;#ASMSTART
	v_pk_add_f16 v1, v1, v2;

	;;#ASMEND
	;;#ASMSTART
	v_pk_add_f16 v1, v1, v3;

	;;#ASMEND
	;;#ASMSTART
	v_pk_add_f16 v1, v1, v4;

	;;#ASMEND
	v_and_b32_e32 v2, 0xffff, v1
	v_lshrrev_b32_e32 v1, 16, v1
	;;#ASMSTART
	v_cvt_f32_f16 v61, v2;
	;;#ASMEND
	;;#ASMSTART
	v_cvt_f32_f16 v62, v1;
	;;#ASMEND
	global_load_b128 v[1:4], v[7:8], off offset:5120
	s_wait_loadcnt 0x0
	v_lshrrev_b32_e32 v70, 16, v1
	v_lshrrev_b32_e32 v69, 16, v2
	v_lshrrev_b32_e32 v68, 16, v3
	s_and_saveexec_b32 s14, vcc_lo
	s_cbranch_execz .LBB98_65
; %bb.64:                               ;   in Loop: Header=BB98_42 Depth=1
	v_cmp_gt_i32_e64 s0, s21, v42
	v_and_b32_e32 v71, 0xffff, v4
	v_and_b32_e32 v4, 0xffff0000, v4
	s_wait_alu 0xf1ff
	s_delay_alu instid0(VALU_DEP_3) | instskip(SKIP_2) | instid1(VALU_DEP_1)
	v_cndmask_b32_e64 v1, 0, v1, s0
	v_cmp_gt_i32_e64 s0, s21, v44
	s_wait_alu 0xf1ff
	v_cndmask_b32_e64 v70, 0, v70, s0
	v_cmp_gt_i32_e64 s0, s21, v43
	s_wait_alu 0xf1ff
	s_delay_alu instid0(VALU_DEP_1) | instskip(SKIP_2) | instid1(VALU_DEP_1)
	v_cndmask_b32_e64 v2, 0, v2, s0
	v_cmp_gt_i32_e64 s0, s21, v36
	s_wait_alu 0xf1ff
	v_cndmask_b32_e64 v69, 0, v69, s0
	v_cmp_gt_i32_e64 s0, s21, v39
	s_wait_alu 0xf1ff
	s_delay_alu instid0(VALU_DEP_1) | instskip(SKIP_2) | instid1(VALU_DEP_1)
	v_cndmask_b32_e64 v71, 0, v71, s0
	v_cmp_gt_i32_e64 s0, s21, v41
	s_wait_alu 0xf1ff
	v_cndmask_b32_e64 v4, 0, v4, s0
	v_cmp_gt_i32_e64 s0, s21, v32
	s_delay_alu instid0(VALU_DEP_2) | instskip(SKIP_1) | instid1(VALU_DEP_2)
	v_or_b32_e32 v4, v71, v4
	s_wait_alu 0xf1ff
	v_cndmask_b32_e64 v3, 0, v3, s0
	v_cmp_gt_i32_e64 s0, s21, v31
	s_wait_alu 0xf1ff
	s_delay_alu instid0(VALU_DEP_1)
	v_cndmask_b32_e64 v68, 0, v68, s0
.LBB98_65:                              ;   in Loop: Header=BB98_42 Depth=1
	s_wait_alu 0xfffe
	s_or_b32 exec_lo, exec_lo, s14
	v_lshlrev_b32_e32 v70, 16, v70
	v_lshlrev_b32_e32 v69, 16, v69
	;; [unrolled: 1-line block ×3, first 2 shown]
	s_delay_alu instid0(VALU_DEP_3) | instskip(NEXT) | instid1(VALU_DEP_3)
	v_and_or_b32 v1, 0xffff, v1, v70
	v_and_or_b32 v2, 0xffff, v2, v69
	s_delay_alu instid0(VALU_DEP_3)
	v_and_or_b32 v3, 0xffff, v3, v68
	;;#ASMSTART
	v_pk_mul_f16 v1, v34, v1;

	;;#ASMEND
	;;#ASMSTART
	v_pk_mul_f16 v2, v33, v2;

	;;#ASMEND
	;; [unrolled: 4-line block ×4, first 2 shown]
	;;#ASMSTART
	v_pk_add_f16 v1, v1, v2;

	;;#ASMEND
	;;#ASMSTART
	v_pk_add_f16 v1, v1, v3;

	;;#ASMEND
	;; [unrolled: 4-line block ×3, first 2 shown]
	v_and_b32_e32 v2, 0xffff, v1
	v_lshrrev_b32_e32 v1, 16, v1
	;;#ASMSTART
	v_cvt_f32_f16 v68, v2;
	;;#ASMEND
	;;#ASMSTART
	v_cvt_f32_f16 v69, v1;
	;;#ASMEND
	global_load_b128 v[1:4], v[7:8], off offset:5632
	s_wait_loadcnt 0x0
	v_lshrrev_b32_e32 v72, 16, v1
	v_lshrrev_b32_e32 v71, 16, v2
	;; [unrolled: 1-line block ×3, first 2 shown]
	s_and_saveexec_b32 s14, vcc_lo
	s_cbranch_execz .LBB98_67
; %bb.66:                               ;   in Loop: Header=BB98_42 Depth=1
	v_cmp_gt_i32_e64 s0, s21, v42
	v_and_b32_e32 v73, 0xffff, v4
	v_and_b32_e32 v4, 0xffff0000, v4
	s_wait_alu 0xf1ff
	s_delay_alu instid0(VALU_DEP_3) | instskip(SKIP_2) | instid1(VALU_DEP_1)
	v_cndmask_b32_e64 v1, 0, v1, s0
	v_cmp_gt_i32_e64 s0, s21, v44
	s_wait_alu 0xf1ff
	v_cndmask_b32_e64 v72, 0, v72, s0
	v_cmp_gt_i32_e64 s0, s21, v43
	s_wait_alu 0xf1ff
	s_delay_alu instid0(VALU_DEP_1) | instskip(SKIP_2) | instid1(VALU_DEP_1)
	v_cndmask_b32_e64 v2, 0, v2, s0
	v_cmp_gt_i32_e64 s0, s21, v36
	s_wait_alu 0xf1ff
	v_cndmask_b32_e64 v71, 0, v71, s0
	v_cmp_gt_i32_e64 s0, s21, v39
	s_wait_alu 0xf1ff
	s_delay_alu instid0(VALU_DEP_1) | instskip(SKIP_2) | instid1(VALU_DEP_1)
	v_cndmask_b32_e64 v73, 0, v73, s0
	v_cmp_gt_i32_e64 s0, s21, v41
	s_wait_alu 0xf1ff
	v_cndmask_b32_e64 v4, 0, v4, s0
	v_cmp_gt_i32_e64 s0, s21, v32
	s_delay_alu instid0(VALU_DEP_2) | instskip(SKIP_1) | instid1(VALU_DEP_2)
	v_or_b32_e32 v4, v73, v4
	s_wait_alu 0xf1ff
	v_cndmask_b32_e64 v3, 0, v3, s0
	v_cmp_gt_i32_e64 s0, s21, v31
	s_wait_alu 0xf1ff
	s_delay_alu instid0(VALU_DEP_1)
	v_cndmask_b32_e64 v70, 0, v70, s0
.LBB98_67:                              ;   in Loop: Header=BB98_42 Depth=1
	s_wait_alu 0xfffe
	s_or_b32 exec_lo, exec_lo, s14
	v_lshlrev_b32_e32 v72, 16, v72
	v_lshlrev_b32_e32 v71, 16, v71
	;; [unrolled: 1-line block ×3, first 2 shown]
	s_delay_alu instid0(VALU_DEP_3) | instskip(NEXT) | instid1(VALU_DEP_3)
	v_and_or_b32 v1, 0xffff, v1, v72
	v_and_or_b32 v2, 0xffff, v2, v71
	s_delay_alu instid0(VALU_DEP_3)
	v_and_or_b32 v3, 0xffff, v3, v70
	;;#ASMSTART
	v_pk_mul_f16 v1, v34, v1;

	;;#ASMEND
	;;#ASMSTART
	v_pk_mul_f16 v2, v33, v2;

	;;#ASMEND
	;; [unrolled: 4-line block ×4, first 2 shown]
	;;#ASMSTART
	v_pk_add_f16 v1, v1, v2;

	;;#ASMEND
	;;#ASMSTART
	v_pk_add_f16 v1, v1, v3;

	;;#ASMEND
	;; [unrolled: 4-line block ×3, first 2 shown]
	v_and_b32_e32 v2, 0xffff, v1
	v_lshrrev_b32_e32 v1, 16, v1
	;;#ASMSTART
	v_cvt_f32_f16 v70, v2;
	;;#ASMEND
	;;#ASMSTART
	v_cvt_f32_f16 v71, v1;
	;;#ASMEND
	global_load_b128 v[1:4], v[7:8], off offset:6144
	s_wait_loadcnt 0x0
	v_lshrrev_b32_e32 v74, 16, v1
	v_lshrrev_b32_e32 v73, 16, v2
	;; [unrolled: 1-line block ×3, first 2 shown]
	s_and_saveexec_b32 s14, vcc_lo
	s_cbranch_execz .LBB98_69
; %bb.68:                               ;   in Loop: Header=BB98_42 Depth=1
	v_cmp_gt_i32_e64 s0, s21, v42
	v_and_b32_e32 v75, 0xffff, v4
	v_and_b32_e32 v4, 0xffff0000, v4
	s_wait_alu 0xf1ff
	s_delay_alu instid0(VALU_DEP_3) | instskip(SKIP_2) | instid1(VALU_DEP_1)
	v_cndmask_b32_e64 v1, 0, v1, s0
	v_cmp_gt_i32_e64 s0, s21, v44
	s_wait_alu 0xf1ff
	v_cndmask_b32_e64 v74, 0, v74, s0
	v_cmp_gt_i32_e64 s0, s21, v43
	s_wait_alu 0xf1ff
	s_delay_alu instid0(VALU_DEP_1) | instskip(SKIP_2) | instid1(VALU_DEP_1)
	v_cndmask_b32_e64 v2, 0, v2, s0
	v_cmp_gt_i32_e64 s0, s21, v36
	s_wait_alu 0xf1ff
	v_cndmask_b32_e64 v73, 0, v73, s0
	v_cmp_gt_i32_e64 s0, s21, v39
	s_wait_alu 0xf1ff
	s_delay_alu instid0(VALU_DEP_1) | instskip(SKIP_2) | instid1(VALU_DEP_1)
	v_cndmask_b32_e64 v75, 0, v75, s0
	v_cmp_gt_i32_e64 s0, s21, v41
	s_wait_alu 0xf1ff
	v_cndmask_b32_e64 v4, 0, v4, s0
	v_cmp_gt_i32_e64 s0, s21, v32
	s_delay_alu instid0(VALU_DEP_2) | instskip(SKIP_1) | instid1(VALU_DEP_2)
	v_or_b32_e32 v4, v75, v4
	s_wait_alu 0xf1ff
	v_cndmask_b32_e64 v3, 0, v3, s0
	v_cmp_gt_i32_e64 s0, s21, v31
	s_wait_alu 0xf1ff
	s_delay_alu instid0(VALU_DEP_1)
	v_cndmask_b32_e64 v72, 0, v72, s0
.LBB98_69:                              ;   in Loop: Header=BB98_42 Depth=1
	s_wait_alu 0xfffe
	s_or_b32 exec_lo, exec_lo, s14
	v_lshlrev_b32_e32 v74, 16, v74
	v_lshlrev_b32_e32 v73, 16, v73
	;; [unrolled: 1-line block ×3, first 2 shown]
	s_delay_alu instid0(VALU_DEP_3) | instskip(NEXT) | instid1(VALU_DEP_3)
	v_and_or_b32 v1, 0xffff, v1, v74
	v_and_or_b32 v2, 0xffff, v2, v73
	s_delay_alu instid0(VALU_DEP_3)
	v_and_or_b32 v3, 0xffff, v3, v72
	;;#ASMSTART
	v_pk_mul_f16 v1, v34, v1;

	;;#ASMEND
	;;#ASMSTART
	v_pk_mul_f16 v2, v33, v2;

	;;#ASMEND
	;; [unrolled: 4-line block ×4, first 2 shown]
	;;#ASMSTART
	v_pk_add_f16 v1, v1, v2;

	;;#ASMEND
	;;#ASMSTART
	v_pk_add_f16 v1, v1, v3;

	;;#ASMEND
	;; [unrolled: 4-line block ×3, first 2 shown]
	v_and_b32_e32 v2, 0xffff, v1
	v_lshrrev_b32_e32 v1, 16, v1
	;;#ASMSTART
	v_cvt_f32_f16 v72, v2;
	;;#ASMEND
	;;#ASMSTART
	v_cvt_f32_f16 v73, v1;
	;;#ASMEND
	global_load_b128 v[1:4], v[7:8], off offset:6656
	s_wait_loadcnt 0x0
	v_lshrrev_b32_e32 v76, 16, v1
	v_lshrrev_b32_e32 v75, 16, v2
	;; [unrolled: 1-line block ×3, first 2 shown]
	s_and_saveexec_b32 s14, vcc_lo
	s_cbranch_execz .LBB98_71
; %bb.70:                               ;   in Loop: Header=BB98_42 Depth=1
	v_cmp_gt_i32_e64 s0, s21, v42
	v_and_b32_e32 v77, 0xffff, v4
	v_and_b32_e32 v4, 0xffff0000, v4
	s_wait_alu 0xf1ff
	s_delay_alu instid0(VALU_DEP_3) | instskip(SKIP_2) | instid1(VALU_DEP_1)
	v_cndmask_b32_e64 v1, 0, v1, s0
	v_cmp_gt_i32_e64 s0, s21, v44
	s_wait_alu 0xf1ff
	v_cndmask_b32_e64 v76, 0, v76, s0
	v_cmp_gt_i32_e64 s0, s21, v43
	s_wait_alu 0xf1ff
	s_delay_alu instid0(VALU_DEP_1) | instskip(SKIP_2) | instid1(VALU_DEP_1)
	v_cndmask_b32_e64 v2, 0, v2, s0
	v_cmp_gt_i32_e64 s0, s21, v36
	s_wait_alu 0xf1ff
	v_cndmask_b32_e64 v75, 0, v75, s0
	v_cmp_gt_i32_e64 s0, s21, v39
	s_wait_alu 0xf1ff
	s_delay_alu instid0(VALU_DEP_1) | instskip(SKIP_2) | instid1(VALU_DEP_1)
	v_cndmask_b32_e64 v77, 0, v77, s0
	v_cmp_gt_i32_e64 s0, s21, v41
	s_wait_alu 0xf1ff
	v_cndmask_b32_e64 v4, 0, v4, s0
	v_cmp_gt_i32_e64 s0, s21, v32
	s_delay_alu instid0(VALU_DEP_2) | instskip(SKIP_1) | instid1(VALU_DEP_2)
	v_or_b32_e32 v4, v77, v4
	s_wait_alu 0xf1ff
	v_cndmask_b32_e64 v3, 0, v3, s0
	v_cmp_gt_i32_e64 s0, s21, v31
	s_wait_alu 0xf1ff
	s_delay_alu instid0(VALU_DEP_1)
	v_cndmask_b32_e64 v74, 0, v74, s0
.LBB98_71:                              ;   in Loop: Header=BB98_42 Depth=1
	s_wait_alu 0xfffe
	s_or_b32 exec_lo, exec_lo, s14
	v_lshlrev_b32_e32 v76, 16, v76
	v_lshlrev_b32_e32 v75, 16, v75
	;; [unrolled: 1-line block ×3, first 2 shown]
	s_delay_alu instid0(VALU_DEP_3) | instskip(NEXT) | instid1(VALU_DEP_3)
	v_and_or_b32 v1, 0xffff, v1, v76
	v_and_or_b32 v2, 0xffff, v2, v75
	s_delay_alu instid0(VALU_DEP_3)
	v_and_or_b32 v3, 0xffff, v3, v74
	;;#ASMSTART
	v_pk_mul_f16 v1, v34, v1;

	;;#ASMEND
	;;#ASMSTART
	v_pk_mul_f16 v2, v33, v2;

	;;#ASMEND
	;; [unrolled: 4-line block ×4, first 2 shown]
	;;#ASMSTART
	v_pk_add_f16 v1, v1, v2;

	;;#ASMEND
	;;#ASMSTART
	v_pk_add_f16 v1, v1, v3;

	;;#ASMEND
	;; [unrolled: 4-line block ×3, first 2 shown]
	v_and_b32_e32 v2, 0xffff, v1
	v_lshrrev_b32_e32 v1, 16, v1
	;;#ASMSTART
	v_cvt_f32_f16 v74, v2;
	;;#ASMEND
	;;#ASMSTART
	v_cvt_f32_f16 v75, v1;
	;;#ASMEND
	global_load_b128 v[1:4], v[7:8], off offset:7168
	s_wait_loadcnt 0x0
	v_lshrrev_b32_e32 v78, 16, v1
	v_lshrrev_b32_e32 v77, 16, v2
	;; [unrolled: 1-line block ×3, first 2 shown]
	s_and_saveexec_b32 s14, vcc_lo
	s_cbranch_execz .LBB98_73
; %bb.72:                               ;   in Loop: Header=BB98_42 Depth=1
	v_cmp_gt_i32_e64 s0, s21, v42
	v_and_b32_e32 v79, 0xffff, v4
	v_and_b32_e32 v4, 0xffff0000, v4
	s_wait_alu 0xf1ff
	s_delay_alu instid0(VALU_DEP_3) | instskip(SKIP_2) | instid1(VALU_DEP_1)
	v_cndmask_b32_e64 v1, 0, v1, s0
	v_cmp_gt_i32_e64 s0, s21, v44
	s_wait_alu 0xf1ff
	v_cndmask_b32_e64 v78, 0, v78, s0
	v_cmp_gt_i32_e64 s0, s21, v43
	s_wait_alu 0xf1ff
	s_delay_alu instid0(VALU_DEP_1) | instskip(SKIP_2) | instid1(VALU_DEP_1)
	v_cndmask_b32_e64 v2, 0, v2, s0
	v_cmp_gt_i32_e64 s0, s21, v36
	s_wait_alu 0xf1ff
	v_cndmask_b32_e64 v77, 0, v77, s0
	v_cmp_gt_i32_e64 s0, s21, v39
	s_wait_alu 0xf1ff
	s_delay_alu instid0(VALU_DEP_1) | instskip(SKIP_2) | instid1(VALU_DEP_1)
	v_cndmask_b32_e64 v79, 0, v79, s0
	v_cmp_gt_i32_e64 s0, s21, v41
	s_wait_alu 0xf1ff
	v_cndmask_b32_e64 v4, 0, v4, s0
	v_cmp_gt_i32_e64 s0, s21, v32
	s_delay_alu instid0(VALU_DEP_2) | instskip(SKIP_1) | instid1(VALU_DEP_2)
	v_or_b32_e32 v4, v79, v4
	s_wait_alu 0xf1ff
	v_cndmask_b32_e64 v3, 0, v3, s0
	v_cmp_gt_i32_e64 s0, s21, v31
	s_wait_alu 0xf1ff
	s_delay_alu instid0(VALU_DEP_1)
	v_cndmask_b32_e64 v76, 0, v76, s0
.LBB98_73:                              ;   in Loop: Header=BB98_42 Depth=1
	s_wait_alu 0xfffe
	s_or_b32 exec_lo, exec_lo, s14
	v_lshlrev_b32_e32 v78, 16, v78
	v_lshlrev_b32_e32 v77, 16, v77
	v_lshlrev_b32_e32 v76, 16, v76
	s_delay_alu instid0(VALU_DEP_3) | instskip(NEXT) | instid1(VALU_DEP_3)
	v_and_or_b32 v1, 0xffff, v1, v78
	v_and_or_b32 v2, 0xffff, v2, v77
	s_delay_alu instid0(VALU_DEP_3)
	v_and_or_b32 v3, 0xffff, v3, v76
	;;#ASMSTART
	v_pk_mul_f16 v1, v34, v1;

	;;#ASMEND
	;;#ASMSTART
	v_pk_mul_f16 v2, v33, v2;

	;;#ASMEND
	;; [unrolled: 4-line block ×4, first 2 shown]
	;;#ASMSTART
	v_pk_add_f16 v1, v1, v2;

	;;#ASMEND
	;;#ASMSTART
	v_pk_add_f16 v1, v1, v3;

	;;#ASMEND
	;; [unrolled: 4-line block ×3, first 2 shown]
	v_and_b32_e32 v2, 0xffff, v1
	v_lshrrev_b32_e32 v1, 16, v1
	;;#ASMSTART
	v_cvt_f32_f16 v77, v2;
	;;#ASMEND
	;;#ASMSTART
	v_cvt_f32_f16 v78, v1;
	;;#ASMEND
	global_load_b128 v[1:4], v[7:8], off offset:7680
	s_wait_loadcnt 0x0
	v_lshrrev_b32_e32 v76, 16, v1
	v_lshrrev_b32_e32 v8, 16, v2
	v_lshrrev_b32_e32 v7, 16, v3
	s_and_saveexec_b32 s0, vcc_lo
	s_cbranch_execz .LBB98_40
; %bb.74:                               ;   in Loop: Header=BB98_42 Depth=1
	v_cmp_gt_i32_e32 vcc_lo, s21, v42
	v_and_b32_e32 v42, 0xffff, v4
	s_wait_alu 0xfffd
	v_dual_cndmask_b32 v1, 0, v1 :: v_dual_and_b32 v4, 0xffff0000, v4
	v_cmp_gt_i32_e32 vcc_lo, s21, v44
	s_wait_alu 0xfffd
	v_cndmask_b32_e32 v76, 0, v76, vcc_lo
	v_cmp_gt_i32_e32 vcc_lo, s21, v43
	s_wait_alu 0xfffd
	v_cndmask_b32_e32 v2, 0, v2, vcc_lo
	;; [unrolled: 3-line block ×5, first 2 shown]
	v_cmp_gt_i32_e32 vcc_lo, s21, v32
	s_delay_alu instid0(VALU_DEP_2)
	v_or_b32_e32 v4, v36, v4
	s_wait_alu 0xfffd
	v_cndmask_b32_e32 v3, 0, v3, vcc_lo
	v_cmp_gt_i32_e32 vcc_lo, s21, v31
	s_wait_alu 0xfffd
	v_cndmask_b32_e32 v7, 0, v7, vcc_lo
	s_branch .LBB98_40
.LBB98_75:
	s_or_b32 exec_lo, exec_lo, s10
.LBB98_76:
	s_wait_alu 0xfffe
	s_or_b32 exec_lo, exec_lo, s1
	ds_bpermute_b32 v1, v10, v26
	ds_bpermute_b32 v2, v10, v25
	;; [unrolled: 1-line block ×16, first 2 shown]
	v_lshrrev_b32_e32 v9, 1, v9
	s_mov_b32 s0, exec_lo
	s_wait_storecnt 0x0
	s_wait_loadcnt_dscnt 0x0
	s_barrier_signal -1
	v_dual_add_f32 v26, v26, v1 :: v_dual_add_f32 v25, v25, v2
	v_dual_add_f32 v24, v24, v3 :: v_dual_add_f32 v23, v23, v4
	v_dual_add_f32 v22, v22, v5 :: v_dual_add_f32 v21, v21, v6
	v_add_f32_e32 v20, v20, v7
	v_add_f32_e32 v10, v19, v8
	v_dual_add_f32 v8, v18, v27 :: v_dual_add_f32 v7, v17, v28
	v_add_f32_e32 v4, v16, v29
	v_dual_add_f32 v2, v15, v30 :: v_dual_add_f32 v1, v14, v31
	v_add_f32_e32 v5, v13, v32
	v_dual_add_f32 v6, v12, v33 :: v_dual_and_b32 v13, 0x3c1, v0
	v_add_f32_e32 v3, v11, v34
	v_lshl_add_u32 v11, v9, 2, 0x220
	v_lshlrev_b32_e32 v12, 10, v65
	s_barrier_wait -1
	global_inv scope:SCOPE_SE
	v_cmpx_eq_u32_e32 64, v13
	s_cbranch_execz .LBB98_78
; %bb.77:
	v_add_nc_u32_e32 v13, v11, v12
	s_delay_alu instid0(VALU_DEP_1)
	v_add_nc_u32_e32 v14, 0xfffff800, v13
	v_add_nc_u32_e32 v15, 0xfffff840, v13
	;; [unrolled: 1-line block ×8, first 2 shown]
	ds_store_b32 v14, v26
	ds_store_b32 v15, v25
	;; [unrolled: 1-line block ×8, first 2 shown]
	v_add_nc_u32_e32 v14, 0xfffffa00, v13
	v_add_nc_u32_e32 v15, 0xfffffa40, v13
	;; [unrolled: 1-line block ×8, first 2 shown]
	ds_store_b32 v14, v8
	ds_store_b32 v15, v7
	;; [unrolled: 1-line block ×8, first 2 shown]
.LBB98_78:
	s_wait_alu 0xfffe
	s_or_b32 exec_lo, exec_lo, s0
	v_lshlrev_b32_e32 v9, 2, v9
	v_cmp_eq_u32_e32 vcc_lo, 0, v64
	s_wait_loadcnt_dscnt 0x0
	s_barrier_signal -1
	s_barrier_wait -1
	v_add3_u32 v9, 0x220, v12, v9
	global_inv scope:SCOPE_SE
	s_and_saveexec_b32 s0, s2
	s_cbranch_execz .LBB98_97
; %bb.79:
	s_and_saveexec_b32 s1, vcc_lo
	s_cbranch_execnz .LBB98_121
; %bb.80:
	s_wait_alu 0xfffe
	s_or_b32 exec_lo, exec_lo, s1
	s_and_saveexec_b32 s1, vcc_lo
	s_cbranch_execnz .LBB98_122
.LBB98_81:
	s_wait_alu 0xfffe
	s_or_b32 exec_lo, exec_lo, s1
	s_and_saveexec_b32 s1, vcc_lo
	s_cbranch_execnz .LBB98_123
.LBB98_82:
	s_wait_alu 0xfffe
	s_or_b32 exec_lo, exec_lo, s1
	s_and_saveexec_b32 s1, vcc_lo
	s_cbranch_execnz .LBB98_124
.LBB98_83:
	s_wait_alu 0xfffe
	s_or_b32 exec_lo, exec_lo, s1
	s_and_saveexec_b32 s1, vcc_lo
	s_cbranch_execnz .LBB98_125
.LBB98_84:
	s_wait_alu 0xfffe
	s_or_b32 exec_lo, exec_lo, s1
	s_and_saveexec_b32 s1, vcc_lo
	s_cbranch_execnz .LBB98_126
.LBB98_85:
	s_wait_alu 0xfffe
	s_or_b32 exec_lo, exec_lo, s1
	s_and_saveexec_b32 s1, vcc_lo
	s_cbranch_execnz .LBB98_127
.LBB98_86:
	s_wait_alu 0xfffe
	s_or_b32 exec_lo, exec_lo, s1
	s_and_saveexec_b32 s1, vcc_lo
	s_cbranch_execnz .LBB98_128
.LBB98_87:
	s_wait_alu 0xfffe
	s_or_b32 exec_lo, exec_lo, s1
	s_and_saveexec_b32 s1, vcc_lo
	s_cbranch_execnz .LBB98_129
.LBB98_88:
	s_wait_alu 0xfffe
	s_or_b32 exec_lo, exec_lo, s1
	s_and_saveexec_b32 s1, vcc_lo
	s_cbranch_execnz .LBB98_130
.LBB98_89:
	s_wait_alu 0xfffe
	s_or_b32 exec_lo, exec_lo, s1
	s_and_saveexec_b32 s1, vcc_lo
	s_cbranch_execnz .LBB98_131
.LBB98_90:
	s_wait_alu 0xfffe
	s_or_b32 exec_lo, exec_lo, s1
	s_and_saveexec_b32 s1, vcc_lo
	s_cbranch_execnz .LBB98_132
.LBB98_91:
	s_wait_alu 0xfffe
	s_or_b32 exec_lo, exec_lo, s1
	s_and_saveexec_b32 s1, vcc_lo
	s_cbranch_execnz .LBB98_133
.LBB98_92:
	s_wait_alu 0xfffe
	s_or_b32 exec_lo, exec_lo, s1
	s_and_saveexec_b32 s1, vcc_lo
	s_cbranch_execnz .LBB98_134
.LBB98_93:
	s_wait_alu 0xfffe
	s_or_b32 exec_lo, exec_lo, s1
	s_and_saveexec_b32 s1, vcc_lo
	s_cbranch_execnz .LBB98_135
.LBB98_94:
	s_wait_alu 0xfffe
	s_or_b32 exec_lo, exec_lo, s1
	s_and_saveexec_b32 s1, vcc_lo
	s_cbranch_execz .LBB98_96
.LBB98_95:
	ds_load_b32 v12, v9 offset:960
	s_wait_dscnt 0x0
	v_add_f32_e32 v3, v3, v12
.LBB98_96:
	s_wait_alu 0xfffe
	s_or_b32 exec_lo, exec_lo, s1
.LBB98_97:
	s_wait_alu 0xfffe
	s_or_b32 exec_lo, exec_lo, s0
	v_and_b32_e32 v12, 0x3e1, v0
	s_mov_b32 s1, exec_lo
	s_wait_loadcnt 0x0
	s_barrier_signal -1
	s_barrier_wait -1
	global_inv scope:SCOPE_SE
	v_cmpx_eq_u32_e32 32, v12
	s_cbranch_execz .LBB98_99
; %bb.98:
	ds_store_2addr_b32 v11, v26, v25 offset1:16
	ds_store_2addr_b32 v11, v24, v23 offset0:32 offset1:48
	ds_store_2addr_b32 v11, v22, v21 offset0:64 offset1:80
	;; [unrolled: 1-line block ×7, first 2 shown]
.LBB98_99:
	s_wait_alu 0xfffe
	s_or_b32 exec_lo, exec_lo, s1
	s_delay_alu instid0(SALU_CYCLE_1)
	s_mov_b32 s1, exec_lo
	s_wait_loadcnt_dscnt 0x0
	s_barrier_signal -1
	s_barrier_wait -1
	global_inv scope:SCOPE_SE
	v_cmpx_gt_u32_e32 32, v0
	s_cbranch_execz .LBB98_118
; %bb.100:
	s_and_saveexec_b32 s0, vcc_lo
	s_cbranch_execnz .LBB98_136
; %bb.101:
	s_wait_alu 0xfffe
	s_or_b32 exec_lo, exec_lo, s0
	s_and_saveexec_b32 s0, vcc_lo
	s_cbranch_execnz .LBB98_137
.LBB98_102:
	s_wait_alu 0xfffe
	s_or_b32 exec_lo, exec_lo, s0
	s_and_saveexec_b32 s0, vcc_lo
	s_cbranch_execnz .LBB98_138
.LBB98_103:
	s_wait_alu 0xfffe
	s_or_b32 exec_lo, exec_lo, s0
	s_and_saveexec_b32 s0, vcc_lo
	s_cbranch_execnz .LBB98_139
.LBB98_104:
	s_wait_alu 0xfffe
	s_or_b32 exec_lo, exec_lo, s0
	s_and_saveexec_b32 s0, vcc_lo
	s_cbranch_execnz .LBB98_140
.LBB98_105:
	s_wait_alu 0xfffe
	s_or_b32 exec_lo, exec_lo, s0
	s_and_saveexec_b32 s0, vcc_lo
	s_cbranch_execnz .LBB98_141
.LBB98_106:
	s_wait_alu 0xfffe
	s_or_b32 exec_lo, exec_lo, s0
	s_and_saveexec_b32 s0, vcc_lo
	s_cbranch_execnz .LBB98_142
.LBB98_107:
	s_wait_alu 0xfffe
	s_or_b32 exec_lo, exec_lo, s0
	s_and_saveexec_b32 s0, vcc_lo
	s_cbranch_execnz .LBB98_143
.LBB98_108:
	s_wait_alu 0xfffe
	s_or_b32 exec_lo, exec_lo, s0
	s_and_saveexec_b32 s0, vcc_lo
	s_cbranch_execnz .LBB98_144
.LBB98_109:
	s_wait_alu 0xfffe
	s_or_b32 exec_lo, exec_lo, s0
	s_and_saveexec_b32 s0, vcc_lo
	s_cbranch_execnz .LBB98_145
.LBB98_110:
	s_wait_alu 0xfffe
	s_or_b32 exec_lo, exec_lo, s0
	s_and_saveexec_b32 s0, vcc_lo
	s_cbranch_execnz .LBB98_146
.LBB98_111:
	s_wait_alu 0xfffe
	s_or_b32 exec_lo, exec_lo, s0
	s_and_saveexec_b32 s0, vcc_lo
	s_cbranch_execnz .LBB98_147
.LBB98_112:
	s_wait_alu 0xfffe
	s_or_b32 exec_lo, exec_lo, s0
	s_and_saveexec_b32 s0, vcc_lo
	s_cbranch_execnz .LBB98_148
.LBB98_113:
	s_wait_alu 0xfffe
	s_or_b32 exec_lo, exec_lo, s0
	s_and_saveexec_b32 s0, vcc_lo
	s_cbranch_execnz .LBB98_149
.LBB98_114:
	s_wait_alu 0xfffe
	s_or_b32 exec_lo, exec_lo, s0
	s_and_saveexec_b32 s0, vcc_lo
	s_cbranch_execnz .LBB98_150
.LBB98_115:
	s_wait_alu 0xfffe
	s_or_b32 exec_lo, exec_lo, s0
	s_and_saveexec_b32 s0, vcc_lo
	s_cbranch_execz .LBB98_117
.LBB98_116:
	ds_load_b32 v0, v9 offset:960
	s_wait_dscnt 0x0
	v_add_f32_e32 v3, v3, v0
.LBB98_117:
	s_wait_alu 0xfffe
	s_or_b32 exec_lo, exec_lo, s0
.LBB98_118:
	s_wait_alu 0xfffe
	s_or_b32 exec_lo, exec_lo, s1
	s_mov_b32 s21, 0
	s_wait_loadcnt 0x0
	s_barrier_signal -1
	s_barrier_wait -1
	global_inv scope:SCOPE_SE
	s_mov_b32 s0, exec_lo
	v_cmpx_eq_u32_e32 0, v12
	s_cbranch_execz .LBB98_120
; %bb.119:
	s_lshl_b32 s0, s4, 8
	s_mul_i32 s2, s8, s22
	s_wait_alu 0xfffe
	s_ashr_i32 s1, s0, 31
	s_ashr_i32 s3, s2, 31
	s_wait_alu 0xfffe
	s_lshl_b64 s[0:1], s[0:1], 1
	s_lshl_b64 s[2:3], s[2:3], 1
	s_wait_kmcnt 0x0
	s_wait_alu 0xfffe
	s_add_nc_u64 s[0:1], s[6:7], s[0:1]
	v_lshlrev_b32_e32 v0, 1, v63
	s_wait_alu 0xfffe
	s_add_nc_u64 s[0:1], s[0:1], s[2:3]
	;;#ASMSTART
	v_cvt_f16_f32 v9, v26;

	;;#ASMEND
	s_wait_alu 0xfffe
	s_add_nc_u64 s[0:1], s[0:1], s[20:21]
	global_store_b16 v0, v9, s[0:1]
	;;#ASMSTART
	v_cvt_f16_f32 v9, v25;

	;;#ASMEND
	global_store_b16 v0, v9, s[0:1] offset:32
	;;#ASMSTART
	v_cvt_f16_f32 v9, v24;

	;;#ASMEND
	global_store_b16 v0, v9, s[0:1] offset:64
	;;#ASMSTART
	v_cvt_f16_f32 v9, v23;

	;;#ASMEND
	global_store_b16 v0, v9, s[0:1] offset:96
	;;#ASMSTART
	v_cvt_f16_f32 v9, v22;

	;;#ASMEND
	global_store_b16 v0, v9, s[0:1] offset:128
	;;#ASMSTART
	v_cvt_f16_f32 v9, v21;

	;;#ASMEND
	global_store_b16 v0, v9, s[0:1] offset:160
	;;#ASMSTART
	v_cvt_f16_f32 v9, v20;

	;;#ASMEND
	global_store_b16 v0, v9, s[0:1] offset:192
	;;#ASMSTART
	v_cvt_f16_f32 v9, v10;

	;;#ASMEND
	global_store_b16 v0, v9, s[0:1] offset:224
	;;#ASMSTART
	v_cvt_f16_f32 v8, v8;

	;;#ASMEND
	global_store_b16 v0, v8, s[0:1] offset:256
	;;#ASMSTART
	v_cvt_f16_f32 v7, v7;

	;;#ASMEND
	global_store_b16 v0, v7, s[0:1] offset:288
	;;#ASMSTART
	v_cvt_f16_f32 v4, v4;

	;;#ASMEND
	global_store_b16 v0, v4, s[0:1] offset:320
	;;#ASMSTART
	v_cvt_f16_f32 v2, v2;

	;;#ASMEND
	global_store_b16 v0, v2, s[0:1] offset:352
	;;#ASMSTART
	v_cvt_f16_f32 v1, v1;

	;;#ASMEND
	global_store_b16 v0, v1, s[0:1] offset:384
	;;#ASMSTART
	v_cvt_f16_f32 v1, v5;

	;;#ASMEND
	global_store_b16 v0, v1, s[0:1] offset:416
	;;#ASMSTART
	v_cvt_f16_f32 v1, v6;

	;;#ASMEND
	global_store_b16 v0, v1, s[0:1] offset:448
	;;#ASMSTART
	v_cvt_f16_f32 v1, v3;

	;;#ASMEND
	global_store_b16 v0, v1, s[0:1] offset:480
.LBB98_120:
	s_nop 0
	s_sendmsg sendmsg(MSG_DEALLOC_VGPRS)
	s_endpgm
.LBB98_121:
	ds_load_b32 v12, v9
	s_wait_dscnt 0x0
	v_add_f32_e32 v26, v26, v12
	s_wait_alu 0xfffe
	s_or_b32 exec_lo, exec_lo, s1
	s_and_saveexec_b32 s1, vcc_lo
	s_cbranch_execz .LBB98_81
.LBB98_122:
	ds_load_b32 v12, v9 offset:64
	s_wait_dscnt 0x0
	v_add_f32_e32 v25, v25, v12
	s_wait_alu 0xfffe
	s_or_b32 exec_lo, exec_lo, s1
	s_and_saveexec_b32 s1, vcc_lo
	s_cbranch_execz .LBB98_82
.LBB98_123:
	ds_load_b32 v12, v9 offset:128
	s_wait_dscnt 0x0
	v_add_f32_e32 v24, v24, v12
	s_wait_alu 0xfffe
	s_or_b32 exec_lo, exec_lo, s1
	s_and_saveexec_b32 s1, vcc_lo
	s_cbranch_execz .LBB98_83
.LBB98_124:
	ds_load_b32 v12, v9 offset:192
	s_wait_dscnt 0x0
	v_add_f32_e32 v23, v23, v12
	s_wait_alu 0xfffe
	s_or_b32 exec_lo, exec_lo, s1
	s_and_saveexec_b32 s1, vcc_lo
	s_cbranch_execz .LBB98_84
.LBB98_125:
	ds_load_b32 v12, v9 offset:256
	s_wait_dscnt 0x0
	v_add_f32_e32 v22, v22, v12
	s_wait_alu 0xfffe
	s_or_b32 exec_lo, exec_lo, s1
	s_and_saveexec_b32 s1, vcc_lo
	s_cbranch_execz .LBB98_85
.LBB98_126:
	ds_load_b32 v12, v9 offset:320
	s_wait_dscnt 0x0
	v_add_f32_e32 v21, v21, v12
	s_wait_alu 0xfffe
	s_or_b32 exec_lo, exec_lo, s1
	s_and_saveexec_b32 s1, vcc_lo
	s_cbranch_execz .LBB98_86
.LBB98_127:
	ds_load_b32 v12, v9 offset:384
	s_wait_dscnt 0x0
	v_add_f32_e32 v20, v20, v12
	s_wait_alu 0xfffe
	s_or_b32 exec_lo, exec_lo, s1
	s_and_saveexec_b32 s1, vcc_lo
	s_cbranch_execz .LBB98_87
.LBB98_128:
	ds_load_b32 v12, v9 offset:448
	s_wait_dscnt 0x0
	v_add_f32_e32 v10, v10, v12
	s_wait_alu 0xfffe
	s_or_b32 exec_lo, exec_lo, s1
	s_and_saveexec_b32 s1, vcc_lo
	s_cbranch_execz .LBB98_88
.LBB98_129:
	ds_load_b32 v12, v9 offset:512
	s_wait_dscnt 0x0
	v_add_f32_e32 v8, v8, v12
	s_wait_alu 0xfffe
	s_or_b32 exec_lo, exec_lo, s1
	s_and_saveexec_b32 s1, vcc_lo
	s_cbranch_execz .LBB98_89
.LBB98_130:
	ds_load_b32 v12, v9 offset:576
	s_wait_dscnt 0x0
	v_add_f32_e32 v7, v7, v12
	s_wait_alu 0xfffe
	s_or_b32 exec_lo, exec_lo, s1
	s_and_saveexec_b32 s1, vcc_lo
	s_cbranch_execz .LBB98_90
.LBB98_131:
	ds_load_b32 v12, v9 offset:640
	s_wait_dscnt 0x0
	v_add_f32_e32 v4, v4, v12
	s_wait_alu 0xfffe
	s_or_b32 exec_lo, exec_lo, s1
	s_and_saveexec_b32 s1, vcc_lo
	s_cbranch_execz .LBB98_91
.LBB98_132:
	ds_load_b32 v12, v9 offset:704
	s_wait_dscnt 0x0
	v_add_f32_e32 v2, v2, v12
	s_wait_alu 0xfffe
	s_or_b32 exec_lo, exec_lo, s1
	s_and_saveexec_b32 s1, vcc_lo
	s_cbranch_execz .LBB98_92
.LBB98_133:
	ds_load_b32 v12, v9 offset:768
	s_wait_dscnt 0x0
	v_add_f32_e32 v1, v1, v12
	s_wait_alu 0xfffe
	s_or_b32 exec_lo, exec_lo, s1
	s_and_saveexec_b32 s1, vcc_lo
	s_cbranch_execz .LBB98_93
.LBB98_134:
	ds_load_b32 v12, v9 offset:832
	s_wait_dscnt 0x0
	v_add_f32_e32 v5, v5, v12
	s_wait_alu 0xfffe
	s_or_b32 exec_lo, exec_lo, s1
	s_and_saveexec_b32 s1, vcc_lo
	s_cbranch_execz .LBB98_94
.LBB98_135:
	ds_load_b32 v12, v9 offset:896
	s_wait_dscnt 0x0
	v_add_f32_e32 v6, v6, v12
	s_wait_alu 0xfffe
	s_or_b32 exec_lo, exec_lo, s1
	s_and_saveexec_b32 s1, vcc_lo
	s_cbranch_execnz .LBB98_95
	s_branch .LBB98_96
.LBB98_136:
	ds_load_b32 v0, v9
	s_wait_dscnt 0x0
	v_add_f32_e32 v26, v26, v0
	s_wait_alu 0xfffe
	s_or_b32 exec_lo, exec_lo, s0
	s_and_saveexec_b32 s0, vcc_lo
	s_cbranch_execz .LBB98_102
.LBB98_137:
	ds_load_b32 v0, v9 offset:64
	s_wait_dscnt 0x0
	v_add_f32_e32 v25, v25, v0
	s_wait_alu 0xfffe
	s_or_b32 exec_lo, exec_lo, s0
	s_and_saveexec_b32 s0, vcc_lo
	s_cbranch_execz .LBB98_103
.LBB98_138:
	ds_load_b32 v0, v9 offset:128
	s_wait_dscnt 0x0
	v_add_f32_e32 v24, v24, v0
	s_wait_alu 0xfffe
	s_or_b32 exec_lo, exec_lo, s0
	s_and_saveexec_b32 s0, vcc_lo
	s_cbranch_execz .LBB98_104
.LBB98_139:
	ds_load_b32 v0, v9 offset:192
	s_wait_dscnt 0x0
	v_add_f32_e32 v23, v23, v0
	s_wait_alu 0xfffe
	s_or_b32 exec_lo, exec_lo, s0
	s_and_saveexec_b32 s0, vcc_lo
	s_cbranch_execz .LBB98_105
.LBB98_140:
	ds_load_b32 v0, v9 offset:256
	s_wait_dscnt 0x0
	v_add_f32_e32 v22, v22, v0
	s_wait_alu 0xfffe
	s_or_b32 exec_lo, exec_lo, s0
	s_and_saveexec_b32 s0, vcc_lo
	s_cbranch_execz .LBB98_106
.LBB98_141:
	ds_load_b32 v0, v9 offset:320
	s_wait_dscnt 0x0
	v_add_f32_e32 v21, v21, v0
	s_wait_alu 0xfffe
	s_or_b32 exec_lo, exec_lo, s0
	s_and_saveexec_b32 s0, vcc_lo
	s_cbranch_execz .LBB98_107
.LBB98_142:
	ds_load_b32 v0, v9 offset:384
	s_wait_dscnt 0x0
	v_add_f32_e32 v20, v20, v0
	s_wait_alu 0xfffe
	s_or_b32 exec_lo, exec_lo, s0
	s_and_saveexec_b32 s0, vcc_lo
	s_cbranch_execz .LBB98_108
.LBB98_143:
	ds_load_b32 v0, v9 offset:448
	s_wait_dscnt 0x0
	v_add_f32_e32 v10, v10, v0
	s_wait_alu 0xfffe
	s_or_b32 exec_lo, exec_lo, s0
	s_and_saveexec_b32 s0, vcc_lo
	s_cbranch_execz .LBB98_109
.LBB98_144:
	ds_load_b32 v0, v9 offset:512
	s_wait_dscnt 0x0
	v_add_f32_e32 v8, v8, v0
	s_wait_alu 0xfffe
	s_or_b32 exec_lo, exec_lo, s0
	s_and_saveexec_b32 s0, vcc_lo
	s_cbranch_execz .LBB98_110
.LBB98_145:
	ds_load_b32 v0, v9 offset:576
	s_wait_dscnt 0x0
	v_add_f32_e32 v7, v7, v0
	s_wait_alu 0xfffe
	s_or_b32 exec_lo, exec_lo, s0
	s_and_saveexec_b32 s0, vcc_lo
	s_cbranch_execz .LBB98_111
.LBB98_146:
	ds_load_b32 v0, v9 offset:640
	s_wait_dscnt 0x0
	v_add_f32_e32 v4, v4, v0
	s_wait_alu 0xfffe
	s_or_b32 exec_lo, exec_lo, s0
	s_and_saveexec_b32 s0, vcc_lo
	s_cbranch_execz .LBB98_112
.LBB98_147:
	ds_load_b32 v0, v9 offset:704
	s_wait_dscnt 0x0
	v_add_f32_e32 v2, v2, v0
	s_wait_alu 0xfffe
	s_or_b32 exec_lo, exec_lo, s0
	s_and_saveexec_b32 s0, vcc_lo
	s_cbranch_execz .LBB98_113
.LBB98_148:
	ds_load_b32 v0, v9 offset:768
	s_wait_dscnt 0x0
	v_add_f32_e32 v1, v1, v0
	s_wait_alu 0xfffe
	s_or_b32 exec_lo, exec_lo, s0
	s_and_saveexec_b32 s0, vcc_lo
	s_cbranch_execz .LBB98_114
.LBB98_149:
	ds_load_b32 v0, v9 offset:832
	s_wait_dscnt 0x0
	v_add_f32_e32 v5, v5, v0
	s_wait_alu 0xfffe
	s_or_b32 exec_lo, exec_lo, s0
	s_and_saveexec_b32 s0, vcc_lo
	s_cbranch_execz .LBB98_115
.LBB98_150:
	ds_load_b32 v0, v9 offset:896
	s_wait_dscnt 0x0
	v_add_f32_e32 v6, v6, v0
	s_wait_alu 0xfffe
	s_or_b32 exec_lo, exec_lo, s0
	s_and_saveexec_b32 s0, vcc_lo
	s_cbranch_execnz .LBB98_116
	s_branch .LBB98_117
	.section	.rodata,"a",@progbits
	.p2align	6, 0x0
	.amdhsa_kernel _ZN4vllm25paged_attention_v2_kernelIttLi256ELi16ELi128ELNS_18Fp8KVCacheDataTypeE0ELb1ELi512EEEvPfS2_PT_PKS3_PKT0_S9_ifPKiSB_iPKfiiiSD_SD_iiiii
		.amdhsa_group_segment_fixed_size 544
		.amdhsa_private_segment_fixed_size 0
		.amdhsa_kernarg_size 400
		.amdhsa_user_sgpr_count 2
		.amdhsa_user_sgpr_dispatch_ptr 0
		.amdhsa_user_sgpr_queue_ptr 0
		.amdhsa_user_sgpr_kernarg_segment_ptr 1
		.amdhsa_user_sgpr_dispatch_id 0
		.amdhsa_user_sgpr_private_segment_size 0
		.amdhsa_wavefront_size32 1
		.amdhsa_uses_dynamic_stack 0
		.amdhsa_enable_private_segment 0
		.amdhsa_system_sgpr_workgroup_id_x 1
		.amdhsa_system_sgpr_workgroup_id_y 1
		.amdhsa_system_sgpr_workgroup_id_z 1
		.amdhsa_system_sgpr_workgroup_info 0
		.amdhsa_system_vgpr_workitem_id 0
		.amdhsa_next_free_vgpr 133
		.amdhsa_next_free_sgpr 44
		.amdhsa_reserve_vcc 1
		.amdhsa_float_round_mode_32 0
		.amdhsa_float_round_mode_16_64 0
		.amdhsa_float_denorm_mode_32 3
		.amdhsa_float_denorm_mode_16_64 3
		.amdhsa_fp16_overflow 0
		.amdhsa_workgroup_processor_mode 1
		.amdhsa_memory_ordered 1
		.amdhsa_forward_progress 1
		.amdhsa_inst_pref_size 113
		.amdhsa_round_robin_scheduling 0
		.amdhsa_exception_fp_ieee_invalid_op 0
		.amdhsa_exception_fp_denorm_src 0
		.amdhsa_exception_fp_ieee_div_zero 0
		.amdhsa_exception_fp_ieee_overflow 0
		.amdhsa_exception_fp_ieee_underflow 0
		.amdhsa_exception_fp_ieee_inexact 0
		.amdhsa_exception_int_div_zero 0
	.end_amdhsa_kernel
	.section	.text._ZN4vllm25paged_attention_v2_kernelIttLi256ELi16ELi128ELNS_18Fp8KVCacheDataTypeE0ELb1ELi512EEEvPfS2_PT_PKS3_PKT0_S9_ifPKiSB_iPKfiiiSD_SD_iiiii,"axG",@progbits,_ZN4vllm25paged_attention_v2_kernelIttLi256ELi16ELi128ELNS_18Fp8KVCacheDataTypeE0ELb1ELi512EEEvPfS2_PT_PKS3_PKT0_S9_ifPKiSB_iPKfiiiSD_SD_iiiii,comdat
.Lfunc_end98:
	.size	_ZN4vllm25paged_attention_v2_kernelIttLi256ELi16ELi128ELNS_18Fp8KVCacheDataTypeE0ELb1ELi512EEEvPfS2_PT_PKS3_PKT0_S9_ifPKiSB_iPKfiiiSD_SD_iiiii, .Lfunc_end98-_ZN4vllm25paged_attention_v2_kernelIttLi256ELi16ELi128ELNS_18Fp8KVCacheDataTypeE0ELb1ELi512EEEvPfS2_PT_PKS3_PKT0_S9_ifPKiSB_iPKfiiiSD_SD_iiiii
                                        ; -- End function
	.set _ZN4vllm25paged_attention_v2_kernelIttLi256ELi16ELi128ELNS_18Fp8KVCacheDataTypeE0ELb1ELi512EEEvPfS2_PT_PKS3_PKT0_S9_ifPKiSB_iPKfiiiSD_SD_iiiii.num_vgpr, 133
	.set _ZN4vllm25paged_attention_v2_kernelIttLi256ELi16ELi128ELNS_18Fp8KVCacheDataTypeE0ELb1ELi512EEEvPfS2_PT_PKS3_PKT0_S9_ifPKiSB_iPKfiiiSD_SD_iiiii.num_agpr, 0
	.set _ZN4vllm25paged_attention_v2_kernelIttLi256ELi16ELi128ELNS_18Fp8KVCacheDataTypeE0ELb1ELi512EEEvPfS2_PT_PKS3_PKT0_S9_ifPKiSB_iPKfiiiSD_SD_iiiii.numbered_sgpr, 44
	.set _ZN4vllm25paged_attention_v2_kernelIttLi256ELi16ELi128ELNS_18Fp8KVCacheDataTypeE0ELb1ELi512EEEvPfS2_PT_PKS3_PKT0_S9_ifPKiSB_iPKfiiiSD_SD_iiiii.num_named_barrier, 0
	.set _ZN4vllm25paged_attention_v2_kernelIttLi256ELi16ELi128ELNS_18Fp8KVCacheDataTypeE0ELb1ELi512EEEvPfS2_PT_PKS3_PKT0_S9_ifPKiSB_iPKfiiiSD_SD_iiiii.private_seg_size, 0
	.set _ZN4vllm25paged_attention_v2_kernelIttLi256ELi16ELi128ELNS_18Fp8KVCacheDataTypeE0ELb1ELi512EEEvPfS2_PT_PKS3_PKT0_S9_ifPKiSB_iPKfiiiSD_SD_iiiii.uses_vcc, 1
	.set _ZN4vllm25paged_attention_v2_kernelIttLi256ELi16ELi128ELNS_18Fp8KVCacheDataTypeE0ELb1ELi512EEEvPfS2_PT_PKS3_PKT0_S9_ifPKiSB_iPKfiiiSD_SD_iiiii.uses_flat_scratch, 0
	.set _ZN4vllm25paged_attention_v2_kernelIttLi256ELi16ELi128ELNS_18Fp8KVCacheDataTypeE0ELb1ELi512EEEvPfS2_PT_PKS3_PKT0_S9_ifPKiSB_iPKfiiiSD_SD_iiiii.has_dyn_sized_stack, 0
	.set _ZN4vllm25paged_attention_v2_kernelIttLi256ELi16ELi128ELNS_18Fp8KVCacheDataTypeE0ELb1ELi512EEEvPfS2_PT_PKS3_PKT0_S9_ifPKiSB_iPKfiiiSD_SD_iiiii.has_recursion, 0
	.set _ZN4vllm25paged_attention_v2_kernelIttLi256ELi16ELi128ELNS_18Fp8KVCacheDataTypeE0ELb1ELi512EEEvPfS2_PT_PKS3_PKT0_S9_ifPKiSB_iPKfiiiSD_SD_iiiii.has_indirect_call, 0
	.section	.AMDGPU.csdata,"",@progbits
; Kernel info:
; codeLenInByte = 14384
; TotalNumSgprs: 46
; NumVgprs: 133
; ScratchSize: 0
; MemoryBound: 0
; FloatMode: 240
; IeeeMode: 1
; LDSByteSize: 544 bytes/workgroup (compile time only)
; SGPRBlocks: 0
; VGPRBlocks: 16
; NumSGPRsForWavesPerEU: 46
; NumVGPRsForWavesPerEU: 133
; Occupancy: 10
; WaveLimiterHint : 1
; COMPUTE_PGM_RSRC2:SCRATCH_EN: 0
; COMPUTE_PGM_RSRC2:USER_SGPR: 2
; COMPUTE_PGM_RSRC2:TRAP_HANDLER: 0
; COMPUTE_PGM_RSRC2:TGID_X_EN: 1
; COMPUTE_PGM_RSRC2:TGID_Y_EN: 1
; COMPUTE_PGM_RSRC2:TGID_Z_EN: 1
; COMPUTE_PGM_RSRC2:TIDIG_COMP_CNT: 0
	.section	.text._ZN4vllm25paged_attention_v2_kernelIttLi32ELi16ELi128ELNS_18Fp8KVCacheDataTypeE0ELb0ELi512EEEvPfS2_PT_PKS3_PKT0_S9_ifPKiSB_iPKfiiiSD_SD_iiiii,"axG",@progbits,_ZN4vllm25paged_attention_v2_kernelIttLi32ELi16ELi128ELNS_18Fp8KVCacheDataTypeE0ELb0ELi512EEEvPfS2_PT_PKS3_PKT0_S9_ifPKiSB_iPKfiiiSD_SD_iiiii,comdat
	.protected	_ZN4vllm25paged_attention_v2_kernelIttLi32ELi16ELi128ELNS_18Fp8KVCacheDataTypeE0ELb0ELi512EEEvPfS2_PT_PKS3_PKT0_S9_ifPKiSB_iPKfiiiSD_SD_iiiii ; -- Begin function _ZN4vllm25paged_attention_v2_kernelIttLi32ELi16ELi128ELNS_18Fp8KVCacheDataTypeE0ELb0ELi512EEEvPfS2_PT_PKS3_PKT0_S9_ifPKiSB_iPKfiiiSD_SD_iiiii
	.globl	_ZN4vllm25paged_attention_v2_kernelIttLi32ELi16ELi128ELNS_18Fp8KVCacheDataTypeE0ELb0ELi512EEEvPfS2_PT_PKS3_PKT0_S9_ifPKiSB_iPKfiiiSD_SD_iiiii
	.p2align	8
	.type	_ZN4vllm25paged_attention_v2_kernelIttLi32ELi16ELi128ELNS_18Fp8KVCacheDataTypeE0ELb0ELi512EEEvPfS2_PT_PKS3_PKT0_S9_ifPKiSB_iPKfiiiSD_SD_iiiii,@function
_ZN4vllm25paged_attention_v2_kernelIttLi32ELi16ELi128ELNS_18Fp8KVCacheDataTypeE0ELb0ELi512EEEvPfS2_PT_PKS3_PKT0_S9_ifPKiSB_iPKfiiiSD_SD_iiiii: ; @_ZN4vllm25paged_attention_v2_kernelIttLi32ELi16ELi128ELNS_18Fp8KVCacheDataTypeE0ELb0ELi512EEEvPfS2_PT_PKS3_PKT0_S9_ifPKiSB_iPKfiiiSD_SD_iiiii
; %bb.0:
	s_load_b64 s[2:3], s[0:1], 0x40
	s_and_b32 s20, ttmp7, 0xffff
	s_lshr_b32 s27, ttmp7, 16
	s_lshl_b32 s4, s20, 2
	s_lshl_b32 s26, s27, 9
	s_wait_kmcnt 0x0
	s_load_b32 s24, s[2:3], s4 offset:0x0
	s_wait_kmcnt 0x0
	s_cmp_ge_i32 s26, s24
	s_cbranch_scc1 .LBB99_56
; %bb.1:
	s_clause 0x1
	s_load_b32 s21, s[0:1], 0x90
	s_load_b64 s[6:7], s[0:1], 0x30
	s_wait_kmcnt 0x0
	s_abs_i32 s5, s21
	s_abs_i32 s2, s6
	s_delay_alu instid0(SALU_CYCLE_1) | instskip(SKIP_1) | instid1(SALU_CYCLE_2)
	s_cvt_f32_u32 s3, s2
	s_sub_co_i32 s4, 0, s2
	v_rcp_iflag_f32_e32 v1, s3
	s_delay_alu instid0(TRANS32_DEP_1) | instskip(SKIP_2) | instid1(SALU_CYCLE_2)
	v_readfirstlane_b32 s3, v1
	s_mul_f32 s3, s3, 0x4f7ffffe
	s_wait_alu 0xfffe
	s_cvt_u32_f32 s3, s3
	s_wait_alu 0xfffe
	s_delay_alu instid0(SALU_CYCLE_2) | instskip(NEXT) | instid1(SALU_CYCLE_1)
	s_mul_i32 s4, s4, s3
	s_mul_hi_u32 s4, s3, s4
	s_delay_alu instid0(SALU_CYCLE_1)
	s_add_co_i32 s3, s3, s4
	s_xor_b32 s4, s21, s6
	s_wait_alu 0xfffe
	s_mul_hi_u32 s3, s5, s3
	s_ashr_i32 s4, s4, 31
	s_wait_alu 0xfffe
	s_mul_i32 s6, s3, s2
	s_delay_alu instid0(SALU_CYCLE_1)
	s_sub_co_i32 s5, s5, s6
	s_add_co_i32 s6, s3, 1
	s_sub_co_i32 s8, s5, s2
	s_cmp_ge_u32 s5, s2
	s_cselect_b32 s3, s6, s3
	s_cselect_b32 s5, s8, s5
	s_wait_alu 0xfffe
	s_add_co_i32 s6, s3, 1
	s_cmp_ge_u32 s5, s2
	s_load_b64 s[8:9], s[0:1], 0x50
	s_cselect_b32 s2, s6, s3
	s_mov_b32 s3, 0
	s_wait_alu 0xfffe
	s_xor_b32 s2, s2, s4
	s_mov_b32 s6, s3
	s_wait_alu 0xfffe
	s_sub_co_i32 s12, s2, s4
	s_delay_alu instid0(SALU_CYCLE_1) | instskip(NEXT) | instid1(SALU_CYCLE_1)
	s_abs_i32 s11, s12
	s_cvt_f32_u32 s2, s11
	s_wait_alu 0xfffe
	s_delay_alu instid0(SALU_CYCLE_2) | instskip(NEXT) | instid1(TRANS32_DEP_1)
	v_rcp_iflag_f32_e32 v1, s2
	v_readfirstlane_b32 s2, v1
	s_mul_f32 s2, s2, 0x4f7ffffe
	s_wait_alu 0xfffe
	s_delay_alu instid0(SALU_CYCLE_2) | instskip(SKIP_2) | instid1(SALU_CYCLE_1)
	s_cvt_u32_f32 s4, s2
	s_sub_co_i32 s2, 0, s11
	s_wait_alu 0xfffe
	s_mul_i32 s2, s2, s4
	s_wait_alu 0xfffe
	s_mul_hi_u32 s5, s4, s2
	s_abs_i32 s2, ttmp9
	s_add_co_i32 s4, s4, s5
	s_mov_b32 s5, s3
	s_wait_kmcnt 0x0
	s_cmp_eq_u64 s[8:9], 0
	s_cbranch_scc1 .LBB99_3
; %bb.2:
	s_mov_b32 s14, ttmp9
	s_ashr_i32 s15, ttmp9, 31
	s_delay_alu instid0(SALU_CYCLE_1) | instskip(NEXT) | instid1(SALU_CYCLE_1)
	s_lshl_b64 s[14:15], s[14:15], 2
	s_add_nc_u64 s[8:9], s[8:9], s[14:15]
	s_load_b32 s6, s[8:9], 0x0
.LBB99_3:
	s_load_b96 s[8:10], s[0:1], 0x58
	v_lshrrev_b32_e32 v9, 1, v0
	v_and_b32_e32 v10, 1, v0
	v_lshlrev_b32_e32 v3, 3, v0
	s_mul_u64 s[4:5], s[2:3], s[4:5]
	s_ashr_i32 s3, ttmp9, 31
	s_ashr_i32 s4, s12, 31
	s_lshl_b32 s12, ttmp9, 5
	s_mov_b32 s14, exec_lo
	v_cmpx_gt_u32_e32 8, v0
	s_cbranch_execz .LBB99_5
; %bb.4:
	s_load_b64 s[16:17], s[0:1], 0x18
	s_wait_kmcnt 0x0
	s_mul_i32 s18, s8, s20
	s_ashr_i32 s13, s12, 31
	s_ashr_i32 s19, s18, 31
	v_lshlrev_b32_e32 v4, 3, v9
	s_lshl_b64 s[18:19], s[18:19], 1
	s_delay_alu instid0(VALU_DEP_1) | instskip(SKIP_2) | instid1(SALU_CYCLE_1)
	v_lshl_add_u32 v4, v10, 5, v4
	s_add_nc_u64 s[16:17], s[16:17], s[18:19]
	s_lshl_b64 s[18:19], s[12:13], 1
	s_add_nc_u64 s[16:17], s[16:17], s[18:19]
	global_load_b64 v[1:2], v3, s[16:17]
	s_wait_loadcnt 0x0
	ds_store_b64 v4, v[1:2]
.LBB99_5:
	s_or_b32 exec_lo, exec_lo, s14
	s_add_co_i32 s13, s24, 15
	s_wait_alu 0xfffe
	s_xor_b32 s3, s3, s4
	s_ashr_i32 s14, s13, 31
	s_wait_kmcnt 0x0
	s_lshl_b32 s8, s27, 5
	s_lshr_b32 s4, s14, 28
	s_mul_i32 s14, s5, s11
	s_add_co_i32 s13, s13, s4
	s_add_co_i32 s4, s8, 32
	s_ashr_i32 s28, s13, 4
	s_load_b32 s13, s[0:1], 0x48
	s_sub_co_i32 s2, s2, s14
	s_min_i32 s25, s4, s28
	s_add_co_i32 s4, s5, 1
	s_wait_alu 0xfffe
	s_sub_co_i32 s14, s2, s11
	s_cmp_ge_u32 s2, s11
	v_lshrrev_b32_e32 v11, 5, v0
	s_cselect_b32 s4, s4, s5
	s_cselect_b32 s2, s14, s2
	s_add_co_i32 s5, s4, 1
	s_wait_alu 0xfffe
	s_cmp_ge_u32 s2, s11
	v_or_b32_e32 v12, s8, v11
	s_cselect_b32 s2, s5, s4
	v_mbcnt_lo_u32_b32 v5, -1, 0
	s_wait_alu 0xfffe
	s_xor_b32 s2, s2, s3
	s_mov_b32 s4, exec_lo
	s_wait_alu 0xfffe
	s_sub_co_i32 s3, s2, s3
	v_cmp_gt_i32_e64 s2, s25, v12
	s_wait_dscnt 0x0
	s_barrier_signal -1
	s_wait_kmcnt 0x0
	s_mul_i32 s14, s13, s20
	s_barrier_wait -1
	s_ashr_i32 s15, s14, 31
	global_inv scope:SCOPE_SE
                                        ; implicit-def: $vgpr6
                                        ; implicit-def: $vgpr7
	v_cmpx_le_i32_e64 s25, v12
	s_xor_b32 s4, exec_lo, s4
; %bb.6:
	v_dual_mov_b32 v6, 0 :: v_dual_mov_b32 v7, 32
	v_mbcnt_lo_u32_b32 v5, -1, 0
; %bb.7:
	s_or_saveexec_b32 s11, s4
	s_clause 0x1
	s_load_b64 s[16:17], s[0:1], 0x38
	s_load_b32 s13, s[0:1], 0x98
	v_mov_b32_e32 v8, 0xff7fffff
	v_lshlrev_b32_e32 v4, 2, v12
	s_mul_i32 s18, s3, s10
	s_xor_b32 exec_lo, exec_lo, s11
	s_cbranch_execz .LBB99_13
; %bb.8:
	s_load_b64 s[4:5], s[0:1], 0x20
	v_bfe_u32 v1, v0, 1, 4
	s_ashr_i32 s19, s18, 31
	v_lshlrev_b32_e32 v7, 4, v11
	s_lshl_b64 s[22:23], s[18:19], 1
	s_cmp_neq_f32 s6, 0
	v_dual_mov_b32 v19, v12 :: v_dual_lshlrev_b32 v8, 4, v1
	v_lshlrev_b32_e32 v15, 2, v1
	v_and_b32_e32 v2, 8, v3
	v_add3_u32 v14, s26, v7, v1
	s_cselect_b32 s3, -1, 0
	s_lshl_b64 s[30:31], s[14:15], 2
	v_lshl_or_b32 v1, v11, 6, v15
	s_wait_kmcnt 0x0
	s_add_nc_u64 s[30:31], s[16:17], s[30:31]
	v_dual_mov_b32 v6, 0 :: v_dual_lshlrev_b32 v13, 5, v10
	v_xor_b32_e32 v18, 1, v5
	v_add_nc_u32_e32 v15, 0x60, v1
	s_mov_b32 s19, s9
	s_add_nc_u64 s[4:5], s[4:5], s[22:23]
	s_mov_b32 s10, 0
	v_add_co_u32 v7, s4, s4, v8
	s_wait_alu 0xf1ff
	v_add_co_ci_u32_e64 v8, null, s5, 0, s4
	s_sub_co_i32 s22, 1, s24
	v_add_co_u32 v16, s4, v7, v2
	s_wait_alu 0xf1ff
	v_add_co_ci_u32_e64 v17, null, 0, v8, s4
	v_add_co_u32 v1, s4, s30, v4
	s_wait_alu 0xf1ff
	v_add_co_ci_u32_e64 v2, null, s31, 0, s4
	v_dual_mov_b32 v8, 0xff7fffff :: v_dual_mov_b32 v7, 32
	v_cmp_eq_u32_e32 vcc_lo, 0, v10
	s_branch .LBB99_10
.LBB99_9:                               ;   in Loop: Header=BB99_10 Depth=1
	s_wait_alu 0xfffe
	s_or_b32 exec_lo, exec_lo, s5
	v_add_nc_u32_e32 v19, 4, v19
	v_add_co_u32 v1, s5, v1, 16
	v_add_nc_u32_e32 v14, 64, v14
	v_add_nc_u32_e32 v15, 0x100, v15
	s_delay_alu instid0(VALU_DEP_4) | instskip(SKIP_3) | instid1(SALU_CYCLE_1)
	v_cmp_le_i32_e64 s4, s25, v19
	s_wait_alu 0xf1ff
	v_add_co_ci_u32_e64 v2, null, 0, v2, s5
	s_or_b32 s10, s4, s10
	s_and_not1_b32 exec_lo, exec_lo, s10
	s_cbranch_execz .LBB99_12
.LBB99_10:                              ; =>This Inner Loop Header: Depth=1
	global_load_b32 v20, v[1:2], off
	s_wait_loadcnt_dscnt 0x0
	v_mad_co_i64_i32 v[20:21], null, v20, s19, 0
	s_delay_alu instid0(VALU_DEP_1) | instskip(NEXT) | instid1(VALU_DEP_1)
	v_lshlrev_b64_e32 v[20:21], 1, v[20:21]
	v_add_co_u32 v20, s4, v16, v20
	s_wait_alu 0xf1ff
	s_delay_alu instid0(VALU_DEP_2)
	v_add_co_ci_u32_e64 v21, null, v17, v21, s4
	v_cmp_gt_i32_e64 s4, 32, v18
	s_clause 0x3
	global_load_b64 v[22:23], v[20:21], off
	global_load_b64 v[24:25], v[20:21], off offset:256
	global_load_b64 v[26:27], v[20:21], off offset:512
	global_load_b64 v[20:21], v[20:21], off offset:768
	ds_load_b64 v[28:29], v13
	s_wait_dscnt 0x0
	v_and_b32_e32 v30, 0xffff, v28
	v_lshrrev_b32_e32 v31, 16, v28
	v_lshrrev_b32_e32 v33, 16, v29
	v_and_b32_e32 v32, 0xffff, v29
	;;#ASMSTART
	v_cvt_f32_f16 v28, v30;
	;;#ASMEND
	;;#ASMSTART
	v_cvt_f32_f16 v29, v31;
	;;#ASMEND
	s_wait_loadcnt 0x3
	v_and_b32_e32 v30, 0xffff, v22
	v_lshrrev_b32_e32 v22, 16, v22
	v_lshrrev_b32_e32 v35, 16, v23
	v_and_b32_e32 v23, 0xffff, v23
	;;#ASMSTART
	v_cvt_f32_f16 v30, v30;
	;;#ASMEND
	;;#ASMSTART
	v_cvt_f32_f16 v31, v22;
	;;#ASMEND
	;; [unrolled: 3-line block ×6, first 2 shown]
	ds_load_b64 v[22:23], v13 offset:8
	s_wait_loadcnt 0x2
	v_lshrrev_b32_e32 v37, 16, v24
	v_and_b32_e32 v36, 0xffff, v24
	v_lshrrev_b32_e32 v41, 16, v25
	v_and_b32_e32 v40, 0xffff, v25
	s_wait_loadcnt 0x0
	v_lshrrev_b32_e32 v48, 16, v20
	v_and_b32_e32 v49, 0xffff, v20
	v_lshrrev_b32_e32 v43, 16, v26
	v_and_b32_e32 v42, 0xffff, v26
	;; [unrolled: 2-line block ×3, first 2 shown]
	s_wait_dscnt 0x0
	v_and_b32_e32 v24, 0xffff, v22
	v_lshrrev_b32_e32 v22, 16, v22
	v_lshrrev_b32_e32 v39, 16, v23
	;;#ASMSTART
	v_cvt_f32_f16 v24, v24;
	;;#ASMEND
	;;#ASMSTART
	v_cvt_f32_f16 v25, v22;
	;;#ASMEND
	;; [unrolled: 3-line block ×4, first 2 shown]
	v_dual_mul_f32 v20, v24, v36 :: v_dual_and_b32 v23, 0xffff, v23
	v_mul_f32_e32 v24, v25, v37
	;;#ASMSTART
	v_cvt_f32_f16 v38, v23;
	;;#ASMEND
	;;#ASMSTART
	v_cvt_f32_f16 v39, v39;
	;;#ASMEND
	;; [unrolled: 3-line block ×4, first 2 shown]
	ds_load_b64 v[22:23], v13 offset:16
	v_dual_mul_f32 v36, v39, v41 :: v_dual_mul_f32 v25, v38, v40
	v_fmac_f32_e32 v20, v28, v30
	v_lshrrev_b32_e32 v37, 16, v21
	v_and_b32_e32 v28, 0xffff, v21
	s_delay_alu instid0(VALU_DEP_4)
	v_dual_fmac_f32 v36, v33, v35 :: v_dual_fmac_f32 v25, v32, v34
	s_wait_dscnt 0x0
	v_and_b32_e32 v26, 0xffff, v22
	v_lshrrev_b32_e32 v22, 16, v22
	v_lshrrev_b32_e32 v45, 16, v23
	v_and_b32_e32 v23, 0xffff, v23
	;;#ASMSTART
	v_cvt_f32_f16 v26, v26;
	;;#ASMEND
	;;#ASMSTART
	v_cvt_f32_f16 v27, v22;
	;;#ASMEND
	;;#ASMSTART
	v_cvt_f32_f16 v42, v42;
	;;#ASMEND
	;;#ASMSTART
	v_cvt_f32_f16 v43, v43;
	;;#ASMEND
	;;#ASMSTART
	v_cvt_f32_f16 v44, v23;
	;;#ASMEND
	;;#ASMSTART
	v_cvt_f32_f16 v45, v45;
	;;#ASMEND
	;;#ASMSTART
	v_cvt_f32_f16 v46, v46;
	;;#ASMEND
	;;#ASMSTART
	v_cvt_f32_f16 v47, v47;
	;;#ASMEND
	ds_load_b64 v[22:23], v13 offset:24
	v_fmac_f32_e32 v24, v29, v31
	v_fmac_f32_e32 v20, v26, v42
	v_dual_fmac_f32 v25, v44, v46 :: v_dual_fmac_f32 v36, v45, v47
	s_wait_dscnt 0x0
	s_delay_alu instid0(VALU_DEP_3)
	v_dual_fmac_f32 v24, v27, v43 :: v_dual_and_b32 v21, 0xffff, v22
	v_lshrrev_b32_e32 v22, 16, v22
	v_lshrrev_b32_e32 v27, 16, v23
	v_and_b32_e32 v29, 0xffff, v23
	;;#ASMSTART
	v_cvt_f32_f16 v21, v21;
	;;#ASMEND
	;;#ASMSTART
	v_cvt_f32_f16 v22, v22;
	;;#ASMEND
	;; [unrolled: 3-line block ×4, first 2 shown]
	v_fmac_f32_e32 v20, v21, v23
	v_fmac_f32_e32 v24, v22, v26
	;;#ASMSTART
	v_cvt_f32_f16 v21, v29;
	;;#ASMEND
	;;#ASMSTART
	v_cvt_f32_f16 v22, v27;
	;;#ASMEND
	;;#ASMSTART
	v_cvt_f32_f16 v23, v28;
	;;#ASMEND
	s_delay_alu instid0(VALU_DEP_1)
	v_dual_fmac_f32 v25, v21, v23 :: v_dual_add_f32 v20, v20, v24
	;;#ASMSTART
	v_cvt_f32_f16 v21, v37;
	;;#ASMEND
	v_fmac_f32_e32 v36, v22, v21
	s_wait_alu 0xf1ff
	v_cndmask_b32_e64 v21, v5, v18, s4
	v_add_f32_e32 v20, v20, v25
	s_delay_alu instid0(VALU_DEP_1)
	v_dual_add_f32 v20, v36, v20 :: v_dual_lshlrev_b32 v21, 2, v21
	ds_bpermute_b32 v21, v21, v20
	s_and_saveexec_b32 s5, vcc_lo
	s_cbranch_execz .LBB99_9
; %bb.11:                               ;   in Loop: Header=BB99_10 Depth=1
	s_wait_dscnt 0x0
	v_add_f32_e32 v20, v20, v21
	v_add_nc_u32_e32 v22, s22, v14
	v_cmp_gt_i32_e64 s4, s24, v14
	s_delay_alu instid0(VALU_DEP_2) | instskip(NEXT) | instid1(VALU_DEP_1)
	v_cvt_f32_i32_e32 v22, v22
	v_mul_f32_e32 v22, s6, v22
	s_wait_alu 0xfffe
	s_delay_alu instid0(VALU_DEP_1) | instskip(SKIP_1) | instid1(VALU_DEP_2)
	v_cndmask_b32_e64 v21, 0, v22, s3
	v_max_num_f32_e32 v22, v8, v8
	v_fmac_f32_e32 v21, s7, v20
	s_delay_alu instid0(VALU_DEP_1) | instskip(SKIP_2) | instid1(VALU_DEP_2)
	v_max_num_f32_e32 v20, v22, v21
	s_wait_alu 0xf1ff
	v_cndmask_b32_e64 v21, 0, v21, s4
	v_cndmask_b32_e64 v8, v8, v20, s4
	ds_store_b32 v15, v21
	s_branch .LBB99_9
.LBB99_12:
	s_or_b32 exec_lo, exec_lo, s10
.LBB99_13:
	s_delay_alu instid0(SALU_CYCLE_1)
	s_or_b32 exec_lo, exec_lo, s11
	v_xor_b32_e32 v1, 16, v5
	v_xor_b32_e32 v2, 8, v5
	v_max_num_f32_e32 v13, v8, v8
	s_clause 0x2
	s_load_b128 s[4:7], s[0:1], 0x0
	s_load_b64 s[10:11], s[0:1], 0x10
	s_load_b64 s[22:23], s[0:1], 0x28
	v_lshlrev_b32_e32 v17, 2, v11
	v_cmp_lt_i32_e32 vcc_lo, v1, v7
	v_cndmask_b32_e32 v1, v5, v1, vcc_lo
	v_cmp_lt_i32_e32 vcc_lo, v2, v7
	s_wait_alu 0xfffd
	s_delay_alu instid0(VALU_DEP_2) | instskip(SKIP_3) | instid1(VALU_DEP_1)
	v_dual_cndmask_b32 v2, v5, v2 :: v_dual_lshlrev_b32 v15, 2, v1
	ds_bpermute_b32 v1, v15, v8
	s_wait_dscnt 0x0
	v_dual_max_num_f32 v1, v1, v1 :: v_dual_lshlrev_b32 v8, 2, v2
	v_max_num_f32_e32 v1, v13, v1
	v_xor_b32_e32 v13, 4, v5
	ds_bpermute_b32 v2, v8, v1
	v_cmp_lt_i32_e32 vcc_lo, v13, v7
	s_wait_dscnt 0x0
	s_wait_alu 0xfffd
	v_dual_cndmask_b32 v13, v5, v13 :: v_dual_max_num_f32 v2, v2, v2
	s_delay_alu instid0(VALU_DEP_1) | instskip(SKIP_1) | instid1(VALU_DEP_3)
	v_lshlrev_b32_e32 v16, 2, v13
	v_xor_b32_e32 v13, 2, v5
	v_max_num_f32_e32 v1, v1, v2
	s_delay_alu instid0(VALU_DEP_2) | instskip(SKIP_4) | instid1(VALU_DEP_1)
	v_cmp_lt_i32_e32 vcc_lo, v13, v7
	ds_bpermute_b32 v2, v16, v1
	s_wait_dscnt 0x0
	s_wait_alu 0xfffd
	v_dual_cndmask_b32 v13, v5, v13 :: v_dual_max_num_f32 v2, v2, v2
	v_dual_max_num_f32 v1, v1, v2 :: v_dual_lshlrev_b32 v2, 2, v13
	v_and_b32_e32 v13, 31, v0
	ds_bpermute_b32 v14, v2, v1
	v_cmp_eq_u32_e32 vcc_lo, 0, v13
	s_and_saveexec_b32 s0, vcc_lo
	s_cbranch_execz .LBB99_15
; %bb.14:
	s_wait_dscnt 0x0
	v_dual_max_num_f32 v14, v14, v14 :: v_dual_max_num_f32 v1, v1, v1
	s_delay_alu instid0(VALU_DEP_1)
	v_max_num_f32_e32 v1, v1, v14
	ds_store_b32 v17, v1 offset:64
.LBB99_15:
	s_or_b32 exec_lo, exec_lo, s0
	v_cmp_gt_u32_e64 s0, 4, v13
	v_dual_mov_b32 v1, 0xff7fffff :: v_dual_lshlrev_b32 v18, 2, v13
	s_wait_loadcnt_dscnt 0x0
	s_barrier_signal -1
	s_barrier_wait -1
	global_inv scope:SCOPE_SE
	s_and_saveexec_b32 s1, s0
; %bb.16:
	ds_load_b32 v1, v18 offset:64
; %bb.17:
	s_or_b32 exec_lo, exec_lo, s1
	s_wait_dscnt 0x0
	ds_bpermute_b32 v14, v2, v1
	v_xor_b32_e32 v19, 1, v5
	v_lshlrev_b32_e32 v6, 2, v6
	s_delay_alu instid0(VALU_DEP_2) | instskip(NEXT) | instid1(VALU_DEP_1)
	v_cmp_lt_i32_e64 s1, v19, v7
	v_cndmask_b32_e64 v7, v5, v19, s1
	v_max_num_f32_e32 v1, v1, v1
	s_sub_co_i32 s1, s25, s8
	s_wait_alu 0xfffe
	s_lshl_b32 s1, s1, 4
	s_wait_alu 0xfffe
	s_add_co_i32 s1, s1, s26
	s_wait_alu 0xfffe
	s_min_i32 s1, s1, s24
	s_wait_dscnt 0x0
	v_dual_max_num_f32 v19, v14, v14 :: v_dual_lshlrev_b32 v14, 2, v7
	s_wait_alu 0xfffe
	s_sub_co_i32 s19, s1, s26
	s_wait_alu 0xfffe
	v_cmp_gt_i32_e64 s1, s19, v0
	v_max_num_f32_e32 v1, v1, v19
	ds_bpermute_b32 v7, v14, v1
	s_wait_dscnt 0x0
	v_max_num_f32_e32 v7, v7, v7
	s_delay_alu instid0(VALU_DEP_1)
	v_max_num_f32_e32 v1, v1, v7
	v_mov_b32_e32 v7, 0
	ds_bpermute_b32 v1, v6, v1
	v_lshl_add_u32 v6, v0, 2, 0x60
	s_and_saveexec_b32 s29, s1
	s_cbranch_execz .LBB99_21
; %bb.18:
	v_lshl_add_u32 v19, v0, 2, 0x60
	v_dual_mov_b32 v7, 0 :: v_dual_mov_b32 v20, v0
	s_mov_b32 s30, 0
.LBB99_19:                              ; =>This Inner Loop Header: Depth=1
	ds_load_b32 v21, v19
	v_add_nc_u32_e32 v20, 0x80, v20
	s_delay_alu instid0(VALU_DEP_1) | instskip(SKIP_4) | instid1(VALU_DEP_1)
	v_cmp_le_i32_e64 s3, s19, v20
	s_wait_alu 0xfffe
	s_or_b32 s30, s3, s30
	s_wait_dscnt 0x0
	v_sub_f32_e32 v21, v21, v1
	v_mul_f32_e32 v21, 0x3fb8aa3b, v21
	s_delay_alu instid0(VALU_DEP_1)
	v_exp_f32_e32 v21, v21
	ds_store_b32 v19, v21
	v_add_f32_e32 v7, v7, v21
	v_add_nc_u32_e32 v19, 0x200, v19
	s_wait_alu 0xfffe
	s_and_not1_b32 exec_lo, exec_lo, s30
	s_cbranch_execnz .LBB99_19
; %bb.20:
	s_or_b32 exec_lo, exec_lo, s30
.LBB99_21:
	s_delay_alu instid0(SALU_CYCLE_1)
	s_or_b32 exec_lo, exec_lo, s29
	ds_bpermute_b32 v15, v15, v7
	s_wait_dscnt 0x0
	v_add_f32_e32 v7, v7, v15
	ds_bpermute_b32 v8, v8, v7
	s_wait_dscnt 0x0
	v_add_f32_e32 v7, v7, v8
	ds_bpermute_b32 v8, v16, v7
	s_wait_dscnt 0x0
	v_add_f32_e32 v7, v7, v8
	ds_bpermute_b32 v8, v2, v7
	s_wait_dscnt 0x0
	v_add_f32_e32 v7, v7, v8
	ds_bpermute_b32 v8, v14, v7
	s_wait_dscnt 0x0
	v_add_f32_e32 v7, v7, v8
	s_and_saveexec_b32 s3, vcc_lo
; %bb.22:
	ds_store_b32 v17, v7 offset:80
; %bb.23:
	s_wait_alu 0xfffe
	s_or_b32 exec_lo, exec_lo, s3
	s_wait_loadcnt_dscnt 0x0
	s_barrier_signal -1
	s_barrier_wait -1
	global_inv scope:SCOPE_SE
	s_and_saveexec_b32 s3, s0
; %bb.24:
	ds_load_b32 v7, v18 offset:80
; %bb.25:
	s_wait_alu 0xfffe
	s_or_b32 exec_lo, exec_lo, s3
	s_wait_dscnt 0x0
	ds_bpermute_b32 v2, v2, v7
	v_lshlrev_b32_e32 v5, 2, v5
	s_wait_dscnt 0x0
	s_delay_alu instid0(VALU_DEP_1)
	v_dual_add_f32 v2, v7, v2 :: v_dual_and_b32 v5, 0xffffff80, v5
	ds_bpermute_b32 v7, v14, v2
	s_wait_dscnt 0x0
	v_add_f32_e32 v2, v2, v7
	ds_bpermute_b32 v2, v5, v2
	s_and_saveexec_b32 s0, s1
	s_cbranch_execz .LBB99_28
; %bb.26:
	s_wait_dscnt 0x0
	v_add_f32_e32 v5, 0x358637bd, v2
	s_mov_b32 s1, 0
	s_delay_alu instid0(VALU_DEP_1) | instskip(NEXT) | instid1(VALU_DEP_1)
	v_div_scale_f32 v7, null, v5, v5, 1.0
	v_rcp_f32_e32 v8, v7
	s_delay_alu instid0(TRANS32_DEP_1) | instskip(NEXT) | instid1(VALU_DEP_1)
	v_fma_f32 v15, -v7, v8, 1.0
	v_fmac_f32_e32 v8, v15, v8
	v_div_scale_f32 v16, vcc_lo, 1.0, v5, 1.0
	s_delay_alu instid0(VALU_DEP_1) | instskip(NEXT) | instid1(VALU_DEP_1)
	v_mul_f32_e32 v15, v16, v8
	v_fma_f32 v17, -v7, v15, v16
	s_delay_alu instid0(VALU_DEP_1) | instskip(NEXT) | instid1(VALU_DEP_1)
	v_fmac_f32_e32 v15, v17, v8
	v_fma_f32 v7, -v7, v15, v16
	s_wait_alu 0xfffd
	s_delay_alu instid0(VALU_DEP_1) | instskip(NEXT) | instid1(VALU_DEP_1)
	v_div_fmas_f32 v7, v7, v8, v15
	v_div_fixup_f32 v5, v7, v5, 1.0
	v_mov_b32_e32 v7, v0
.LBB99_27:                              ; =>This Inner Loop Header: Depth=1
	ds_load_b32 v8, v6
	s_wait_dscnt 0x0
	v_dual_mul_f32 v8, v5, v8 :: v_dual_add_nc_u32 v7, 0x80, v7
	s_delay_alu instid0(VALU_DEP_1)
	v_cmp_le_i32_e32 vcc_lo, s19, v7
	ds_store_b32 v6, v8
	v_add_nc_u32_e32 v6, 0x200, v6
	s_wait_alu 0xfffe
	s_or_b32 s1, vcc_lo, s1
	s_wait_alu 0xfffe
	s_and_not1_b32 exec_lo, exec_lo, s1
	s_cbranch_execnz .LBB99_27
.LBB99_28:
	s_wait_alu 0xfffe
	s_or_b32 exec_lo, exec_lo, s0
	s_wait_kmcnt 0x0
	s_mul_i32 s0, s13, s20
	s_wait_loadcnt_dscnt 0x0
	s_wait_alu 0xfffe
	s_mul_i32 s20, s0, s21
	s_mov_b32 s0, exec_lo
	s_barrier_signal -1
	s_barrier_wait -1
	global_inv scope:SCOPE_SE
	v_cmpx_eq_u32_e32 0, v0
	s_cbranch_execz .LBB99_30
; %bb.29:
	s_ashr_i32 s21, s20, 31
	s_wait_alu 0xfffe
	s_mul_i32 s30, s13, ttmp9
	s_lshl_b32 s1, s27, 2
	s_lshl_b64 s[34:35], s[20:21], 2
	s_wait_alu 0xfffe
	s_ashr_i32 s31, s30, 31
	v_mov_b32_e32 v5, s1
	s_add_nc_u64 s[6:7], s[6:7], s[34:35]
	s_wait_alu 0xfffe
	s_lshl_b64 s[30:31], s[30:31], 2
	s_add_nc_u64 s[4:5], s[4:5], s[34:35]
	s_wait_alu 0xfffe
	s_add_nc_u64 s[6:7], s[6:7], s[30:31]
	s_add_nc_u64 s[4:5], s[4:5], s[30:31]
	s_clause 0x1
	global_store_b32 v5, v1, s[6:7]
	global_store_b32 v5, v2, s[4:5]
.LBB99_30:
	s_wait_alu 0xfffe
	s_or_b32 exec_lo, exec_lo, s0
	v_dual_mov_b32 v16, 0 :: v_dual_mov_b32 v15, 0
	s_and_saveexec_b32 s1, s2
	s_cbranch_execz .LBB99_38
; %bb.31:
	v_dual_mov_b32 v16, 0 :: v_dual_lshlrev_b32 v1, 4, v0
	s_ashr_i32 s19, s18, 31
	v_dual_mov_b32 v15, 0 :: v_dual_and_b32 v2, 8, v3
	s_delay_alu instid0(VALU_DEP_2)
	v_and_b32_e32 v1, 0x1f0, v1
	s_wait_alu 0xfffe
	s_lshl_b64 s[2:3], s[18:19], 1
	v_lshlrev_b32_e32 v3, 5, v10
	s_wait_alu 0xfffe
	s_add_nc_u64 s[2:3], s[22:23], s[2:3]
	v_lshl_add_u32 v5, v11, 4, s26
	s_wait_alu 0xfffe
	v_add_co_u32 v17, s0, s2, v1
	s_wait_alu 0xf1ff
	v_add_co_ci_u32_e64 v18, null, s3, 0, s0
	s_lshl_b64 s[2:3], s[14:15], 2
	v_lshl_or_b32 v3, v11, 6, v3
	s_wait_alu 0xfffe
	s_add_nc_u64 s[2:3], s[16:17], s[2:3]
	v_add3_u32 v19, v5, v2, 7
	s_wait_alu 0xfffe
	v_add_co_u32 v5, s0, s2, v4
	v_add_nc_u32_e32 v20, 0x60, v3
	s_wait_alu 0xf1ff
	v_add_co_ci_u32_e64 v6, null, s3, 0, s0
	s_mov_b32 s2, s9
	s_add_co_i32 s28, s28, -1
	s_mov_b32 s3, 0
	s_branch .LBB99_33
.LBB99_32:                              ;   in Loop: Header=BB99_33 Depth=1
	s_wait_alu 0xfffe
	s_or_b32 exec_lo, exec_lo, s0
	v_lshlrev_b32_e32 v21, 16, v34
	v_lshlrev_b32_e32 v8, 16, v8
	;; [unrolled: 1-line block ×3, first 2 shown]
	v_add_co_u32 v5, s0, v5, 16
	s_delay_alu instid0(VALU_DEP_4) | instskip(NEXT) | instid1(VALU_DEP_4)
	v_and_or_b32 v1, 0xffff, v1, v21
	v_and_or_b32 v2, 0xffff, v2, v8
	s_delay_alu instid0(VALU_DEP_4)
	v_and_or_b32 v3, 0xffff, v3, v7
	;;#ASMSTART
	v_pk_mul_f16 v1, v29, v1;

	;;#ASMEND
	;;#ASMSTART
	v_pk_mul_f16 v2, v28, v2;

	;;#ASMEND
	;; [unrolled: 4-line block ×4, first 2 shown]
	;;#ASMSTART
	v_pk_add_f16 v1, v1, v2;

	;;#ASMEND
	;;#ASMSTART
	v_pk_add_f16 v1, v1, v3;

	;;#ASMEND
	;; [unrolled: 4-line block ×3, first 2 shown]
	v_and_b32_e32 v2, 0xffff, v1
	v_lshrrev_b32_e32 v3, 16, v1
	v_dual_add_f32 v1, v32, v33 :: v_dual_add_nc_u32 v12, 4, v12
	;;#ASMSTART
	v_cvt_f32_f16 v2, v2;
	;;#ASMEND
	;;#ASMSTART
	v_cvt_f32_f16 v3, v3;
	;;#ASMEND
	s_delay_alu instid0(VALU_DEP_1) | instskip(NEXT) | instid1(VALU_DEP_2)
	v_dual_add_f32 v2, v2, v3 :: v_dual_add_f32 v15, v15, v1
	v_cmp_le_i32_e32 vcc_lo, s25, v12
	v_add_nc_u32_e32 v19, 64, v19
	v_add_nc_u32_e32 v20, 0x100, v20
	s_delay_alu instid0(VALU_DEP_4)
	v_add_f32_e32 v16, v16, v2
	s_wait_alu 0xf1ff
	v_add_co_ci_u32_e64 v6, null, 0, v6, s0
	s_or_b32 s3, vcc_lo, s3
	s_wait_alu 0xfffe
	s_and_not1_b32 exec_lo, exec_lo, s3
	s_cbranch_execz .LBB99_37
.LBB99_33:                              ; =>This Inner Loop Header: Depth=1
	global_load_b32 v7, v[5:6], off
	ds_load_2addr_b64 v[1:4], v20 offset1:1
	ds_load_2addr_b64 v[21:24], v20 offset0:2 offset1:3
	v_add_nc_u32_e32 v25, -7, v19
	v_add_nc_u32_e32 v27, -6, v19
	;; [unrolled: 1-line block ×3, first 2 shown]
	s_wait_dscnt 0x1
	;;#ASMSTART
	v_cvt_f16_f32 v29, v1;

	;;#ASMEND
	;;#ASMSTART
	v_cvt_f16_f32 v28, v2;

	;;#ASMEND
	;; [unrolled: 4-line block ×4, first 2 shown]
	s_wait_dscnt 0x0
	;;#ASMSTART
	v_cvt_f16_f32 v35, v21;

	;;#ASMEND
	;;#ASMSTART
	v_cvt_f16_f32 v31, v22;

	;;#ASMEND
	;; [unrolled: 4-line block ×4, first 2 shown]
	v_add_nc_u32_e32 v23, -4, v19
	v_add_nc_u32_e32 v22, -3, v19
	;; [unrolled: 1-line block ×4, first 2 shown]
	s_wait_loadcnt 0x0
	s_wait_alu 0xfffe
	v_mad_co_i64_i32 v[7:8], null, v7, s2, 0
	s_delay_alu instid0(VALU_DEP_1) | instskip(NEXT) | instid1(VALU_DEP_1)
	v_lshlrev_b64_e32 v[7:8], 1, v[7:8]
	v_add_co_u32 v7, vcc_lo, v17, v7
	s_wait_alu 0xfffd
	s_delay_alu instid0(VALU_DEP_2)
	v_add_co_ci_u32_e64 v8, null, v18, v8, vcc_lo
	v_cmp_eq_u32_e32 vcc_lo, s28, v12
	global_load_b128 v[1:4], v[7:8], off
	s_wait_loadcnt 0x0
	v_lshrrev_b32_e32 v38, 16, v1
	v_lshrrev_b32_e32 v37, 16, v2
	v_lshrrev_b32_e32 v36, 16, v3
	s_and_saveexec_b32 s4, vcc_lo
	s_cbranch_execz .LBB99_35
; %bb.34:                               ;   in Loop: Header=BB99_33 Depth=1
	v_cmp_gt_i32_e64 s0, s24, v25
	v_and_b32_e32 v39, 0xffff, v4
	v_and_b32_e32 v4, 0xffff0000, v4
	s_wait_alu 0xf1ff
	s_delay_alu instid0(VALU_DEP_3) | instskip(SKIP_2) | instid1(VALU_DEP_1)
	v_cndmask_b32_e64 v1, 0, v1, s0
	v_cmp_gt_i32_e64 s0, s24, v27
	s_wait_alu 0xf1ff
	v_cndmask_b32_e64 v38, 0, v38, s0
	v_cmp_gt_i32_e64 s0, s24, v26
	s_wait_alu 0xf1ff
	s_delay_alu instid0(VALU_DEP_1) | instskip(SKIP_2) | instid1(VALU_DEP_1)
	v_cndmask_b32_e64 v2, 0, v2, s0
	v_cmp_gt_i32_e64 s0, s24, v23
	s_wait_alu 0xf1ff
	v_cndmask_b32_e64 v37, 0, v37, s0
	v_cmp_gt_i32_e64 s0, s24, v24
	s_wait_alu 0xf1ff
	s_delay_alu instid0(VALU_DEP_1) | instskip(SKIP_2) | instid1(VALU_DEP_1)
	v_cndmask_b32_e64 v39, 0, v39, s0
	v_cmp_gt_i32_e64 s0, s24, v19
	s_wait_alu 0xf1ff
	v_cndmask_b32_e64 v4, 0, v4, s0
	v_cmp_gt_i32_e64 s0, s24, v22
	s_delay_alu instid0(VALU_DEP_2) | instskip(SKIP_1) | instid1(VALU_DEP_2)
	v_or_b32_e32 v4, v39, v4
	s_wait_alu 0xf1ff
	v_cndmask_b32_e64 v3, 0, v3, s0
	v_cmp_gt_i32_e64 s0, s24, v21
	s_wait_alu 0xf1ff
	s_delay_alu instid0(VALU_DEP_1)
	v_cndmask_b32_e64 v36, 0, v36, s0
.LBB99_35:                              ;   in Loop: Header=BB99_33 Depth=1
	s_wait_alu 0xfffe
	s_or_b32 exec_lo, exec_lo, s4
	v_and_b32_e32 v29, 0xffff, v29
	v_and_b32_e32 v34, 0xffff, v34
	v_lshlrev_b32_e32 v38, 16, v38
	v_and_b32_e32 v35, 0xffff, v35
	v_and_b32_e32 v33, 0xffff, v33
	v_lshl_or_b32 v29, v28, 16, v29
	v_lshl_or_b32 v28, v32, 16, v34
	v_lshlrev_b32_e32 v32, 16, v37
	v_lshlrev_b32_e32 v34, 16, v36
	v_and_or_b32 v1, 0xffff, v1, v38
	;;#ASMSTART
	v_pk_mul_f16 v1, v29, v1;

	;;#ASMEND
	v_lshl_or_b32 v31, v31, 16, v35
	v_and_or_b32 v2, 0xffff, v2, v32
	v_and_or_b32 v3, 0xffff, v3, v34
	v_lshl_or_b32 v30, v30, 16, v33
	;;#ASMSTART
	v_pk_mul_f16 v2, v28, v2;

	;;#ASMEND
	;;#ASMSTART
	v_pk_mul_f16 v3, v31, v3;

	;;#ASMEND
	;; [unrolled: 4-line block ×3, first 2 shown]
	;;#ASMSTART
	v_pk_add_f16 v1, v1, v2;

	;;#ASMEND
	;;#ASMSTART
	v_pk_add_f16 v1, v1, v3;

	;;#ASMEND
	;; [unrolled: 4-line block ×3, first 2 shown]
	v_and_b32_e32 v2, 0xffff, v1
	v_lshrrev_b32_e32 v1, 16, v1
	;;#ASMSTART
	v_cvt_f32_f16 v32, v2;
	;;#ASMEND
	;;#ASMSTART
	v_cvt_f32_f16 v33, v1;
	;;#ASMEND
	global_load_b128 v[1:4], v[7:8], off offset:512
	s_wait_loadcnt 0x0
	v_lshrrev_b32_e32 v34, 16, v1
	v_lshrrev_b32_e32 v8, 16, v2
	;; [unrolled: 1-line block ×3, first 2 shown]
	s_and_saveexec_b32 s0, vcc_lo
	s_cbranch_execz .LBB99_32
; %bb.36:                               ;   in Loop: Header=BB99_33 Depth=1
	v_cmp_gt_i32_e32 vcc_lo, s24, v25
	v_and_b32_e32 v25, 0xffff, v4
	s_wait_alu 0xfffd
	v_cndmask_b32_e32 v1, 0, v1, vcc_lo
	v_cmp_gt_i32_e32 vcc_lo, s24, v27
	s_wait_alu 0xfffd
	v_cndmask_b32_e32 v34, 0, v34, vcc_lo
	v_cmp_gt_i32_e32 vcc_lo, s24, v26
	;; [unrolled: 3-line block ×4, first 2 shown]
	s_wait_alu 0xfffd
	v_dual_cndmask_b32 v23, 0, v25 :: v_dual_and_b32 v4, 0xffff0000, v4
	v_cmp_gt_i32_e32 vcc_lo, s24, v19
	s_wait_alu 0xfffd
	s_delay_alu instid0(VALU_DEP_2)
	v_cndmask_b32_e32 v4, 0, v4, vcc_lo
	v_cmp_gt_i32_e32 vcc_lo, s24, v22
	s_wait_alu 0xfffd
	v_cndmask_b32_e32 v3, 0, v3, vcc_lo
	v_cmp_gt_i32_e32 vcc_lo, s24, v21
	s_wait_alu 0xfffd
	v_cndmask_b32_e32 v7, 0, v7, vcc_lo
	v_or_b32_e32 v4, v23, v4
	s_branch .LBB99_32
.LBB99_37:
	s_or_b32 exec_lo, exec_lo, s3
.LBB99_38:
	s_wait_alu 0xfffe
	s_or_b32 exec_lo, exec_lo, s1
	ds_bpermute_b32 v1, v14, v15
	ds_bpermute_b32 v5, v14, v16
	v_lshrrev_b32_e32 v3, 1, v13
	v_and_b32_e32 v6, 0x3c1, v0
	s_mov_b32 s0, exec_lo
	s_wait_storecnt 0x0
	s_wait_loadcnt_dscnt 0x0
	s_barrier_signal -1
	v_lshl_add_u32 v4, v3, 2, 0x60
	s_barrier_wait -1
	global_inv scope:SCOPE_SE
	v_add_f32_e32 v2, v15, v1
	v_add_f32_e32 v1, v16, v5
	v_cmpx_eq_u32_e32 64, v6
	s_cbranch_execz .LBB99_40
; %bb.39:
	v_lshl_add_u32 v5, v11, 7, v4
	s_delay_alu instid0(VALU_DEP_1)
	v_add_nc_u32_e32 v6, 0xffffff00, v5
	v_add_nc_u32_e32 v5, 0xffffff40, v5
	ds_store_b32 v6, v2
	ds_store_b32 v5, v1
.LBB99_40:
	s_wait_alu 0xfffe
	s_or_b32 exec_lo, exec_lo, s0
	v_and_b32_e32 v5, 0x3e0, v0
	v_lshlrev_b32_e32 v3, 2, v3
	s_mov_b32 s1, exec_lo
	v_cmp_eq_u32_e32 vcc_lo, 0, v10
	s_wait_loadcnt_dscnt 0x0
	v_lshlrev_b32_e32 v5, 2, v5
	s_barrier_signal -1
	s_barrier_wait -1
	global_inv scope:SCOPE_SE
	v_add3_u32 v3, 0x60, v5, v3
	v_cmpx_gt_u32_e32 64, v0
	s_cbranch_execz .LBB99_46
; %bb.41:
	s_and_saveexec_b32 s0, vcc_lo
	s_cbranch_execz .LBB99_43
; %bb.42:
	ds_load_b32 v5, v3
	s_wait_dscnt 0x0
	v_add_f32_e32 v2, v2, v5
.LBB99_43:
	s_wait_alu 0xfffe
	s_or_b32 exec_lo, exec_lo, s0
	s_and_saveexec_b32 s0, vcc_lo
	s_cbranch_execz .LBB99_45
; %bb.44:
	ds_load_b32 v5, v3 offset:64
	s_wait_dscnt 0x0
	v_add_f32_e32 v1, v1, v5
.LBB99_45:
	s_wait_alu 0xfffe
	s_or_b32 exec_lo, exec_lo, s0
.LBB99_46:
	s_wait_alu 0xfffe
	s_or_b32 exec_lo, exec_lo, s1
	v_and_b32_e32 v5, 0x3e1, v0
	s_mov_b32 s1, exec_lo
	s_wait_loadcnt 0x0
	s_barrier_signal -1
	s_barrier_wait -1
	global_inv scope:SCOPE_SE
	v_cmpx_eq_u32_e32 32, v5
; %bb.47:
	ds_store_2addr_b32 v4, v2, v1 offset1:16
; %bb.48:
	s_wait_alu 0xfffe
	s_or_b32 exec_lo, exec_lo, s1
	s_delay_alu instid0(SALU_CYCLE_1)
	s_mov_b32 s1, exec_lo
	s_wait_loadcnt_dscnt 0x0
	s_barrier_signal -1
	s_barrier_wait -1
	global_inv scope:SCOPE_SE
	v_cmpx_gt_u32_e32 32, v0
	s_cbranch_execz .LBB99_54
; %bb.49:
	s_and_saveexec_b32 s0, vcc_lo
	s_cbranch_execz .LBB99_51
; %bb.50:
	ds_load_b32 v0, v3
	s_wait_dscnt 0x0
	v_add_f32_e32 v2, v2, v0
.LBB99_51:
	s_wait_alu 0xfffe
	s_or_b32 exec_lo, exec_lo, s0
	s_and_saveexec_b32 s0, vcc_lo
	s_cbranch_execz .LBB99_53
; %bb.52:
	ds_load_b32 v0, v3 offset:64
	s_wait_dscnt 0x0
	v_add_f32_e32 v1, v1, v0
.LBB99_53:
	s_wait_alu 0xfffe
	s_or_b32 exec_lo, exec_lo, s0
.LBB99_54:
	s_wait_alu 0xfffe
	s_or_b32 exec_lo, exec_lo, s1
	s_mov_b32 s1, 0
	s_wait_loadcnt 0x0
	s_barrier_signal -1
	s_barrier_wait -1
	global_inv scope:SCOPE_SE
	s_mov_b32 s0, exec_lo
	v_cmpx_eq_u32_e32 0, v5
	s_cbranch_execz .LBB99_56
; %bb.55:
	s_lshl_b32 s2, s20, 5
	s_mul_i32 s4, s13, s12
	s_wait_alu 0xfffe
	s_ashr_i32 s3, s2, 31
	s_ashr_i32 s5, s4, 31
	s_wait_alu 0xfffe
	s_lshl_b64 s[2:3], s[2:3], 1
	s_lshl_b64 s[4:5], s[4:5], 1
	s_wait_alu 0xfffe
	s_add_nc_u64 s[2:3], s[10:11], s[2:3]
	v_lshlrev_b32_e32 v0, 1, v9
	s_lshl_b32 s0, s8, 1
	s_wait_alu 0xfffe
	s_add_nc_u64 s[2:3], s[2:3], s[4:5]
	;;#ASMSTART
	v_cvt_f16_f32 v2, v2;

	;;#ASMEND
	s_wait_alu 0xfffe
	s_add_nc_u64 s[0:1], s[2:3], s[0:1]
	global_store_b16 v0, v2, s[0:1]
	;;#ASMSTART
	v_cvt_f16_f32 v1, v1;

	;;#ASMEND
	global_store_b16 v0, v1, s[0:1] offset:32
.LBB99_56:
	s_endpgm
	.section	.rodata,"a",@progbits
	.p2align	6, 0x0
	.amdhsa_kernel _ZN4vllm25paged_attention_v2_kernelIttLi32ELi16ELi128ELNS_18Fp8KVCacheDataTypeE0ELb0ELi512EEEvPfS2_PT_PKS3_PKT0_S9_ifPKiSB_iPKfiiiSD_SD_iiiii
		.amdhsa_group_segment_fixed_size 96
		.amdhsa_private_segment_fixed_size 0
		.amdhsa_kernarg_size 400
		.amdhsa_user_sgpr_count 2
		.amdhsa_user_sgpr_dispatch_ptr 0
		.amdhsa_user_sgpr_queue_ptr 0
		.amdhsa_user_sgpr_kernarg_segment_ptr 1
		.amdhsa_user_sgpr_dispatch_id 0
		.amdhsa_user_sgpr_private_segment_size 0
		.amdhsa_wavefront_size32 1
		.amdhsa_uses_dynamic_stack 0
		.amdhsa_enable_private_segment 0
		.amdhsa_system_sgpr_workgroup_id_x 1
		.amdhsa_system_sgpr_workgroup_id_y 1
		.amdhsa_system_sgpr_workgroup_id_z 1
		.amdhsa_system_sgpr_workgroup_info 0
		.amdhsa_system_vgpr_workitem_id 0
		.amdhsa_next_free_vgpr 50
		.amdhsa_next_free_sgpr 36
		.amdhsa_reserve_vcc 1
		.amdhsa_float_round_mode_32 0
		.amdhsa_float_round_mode_16_64 0
		.amdhsa_float_denorm_mode_32 3
		.amdhsa_float_denorm_mode_16_64 3
		.amdhsa_fp16_overflow 0
		.amdhsa_workgroup_processor_mode 1
		.amdhsa_memory_ordered 1
		.amdhsa_forward_progress 1
		.amdhsa_inst_pref_size 34
		.amdhsa_round_robin_scheduling 0
		.amdhsa_exception_fp_ieee_invalid_op 0
		.amdhsa_exception_fp_denorm_src 0
		.amdhsa_exception_fp_ieee_div_zero 0
		.amdhsa_exception_fp_ieee_overflow 0
		.amdhsa_exception_fp_ieee_underflow 0
		.amdhsa_exception_fp_ieee_inexact 0
		.amdhsa_exception_int_div_zero 0
	.end_amdhsa_kernel
	.section	.text._ZN4vllm25paged_attention_v2_kernelIttLi32ELi16ELi128ELNS_18Fp8KVCacheDataTypeE0ELb0ELi512EEEvPfS2_PT_PKS3_PKT0_S9_ifPKiSB_iPKfiiiSD_SD_iiiii,"axG",@progbits,_ZN4vllm25paged_attention_v2_kernelIttLi32ELi16ELi128ELNS_18Fp8KVCacheDataTypeE0ELb0ELi512EEEvPfS2_PT_PKS3_PKT0_S9_ifPKiSB_iPKfiiiSD_SD_iiiii,comdat
.Lfunc_end99:
	.size	_ZN4vllm25paged_attention_v2_kernelIttLi32ELi16ELi128ELNS_18Fp8KVCacheDataTypeE0ELb0ELi512EEEvPfS2_PT_PKS3_PKT0_S9_ifPKiSB_iPKfiiiSD_SD_iiiii, .Lfunc_end99-_ZN4vllm25paged_attention_v2_kernelIttLi32ELi16ELi128ELNS_18Fp8KVCacheDataTypeE0ELb0ELi512EEEvPfS2_PT_PKS3_PKT0_S9_ifPKiSB_iPKfiiiSD_SD_iiiii
                                        ; -- End function
	.set _ZN4vllm25paged_attention_v2_kernelIttLi32ELi16ELi128ELNS_18Fp8KVCacheDataTypeE0ELb0ELi512EEEvPfS2_PT_PKS3_PKT0_S9_ifPKiSB_iPKfiiiSD_SD_iiiii.num_vgpr, 50
	.set _ZN4vllm25paged_attention_v2_kernelIttLi32ELi16ELi128ELNS_18Fp8KVCacheDataTypeE0ELb0ELi512EEEvPfS2_PT_PKS3_PKT0_S9_ifPKiSB_iPKfiiiSD_SD_iiiii.num_agpr, 0
	.set _ZN4vllm25paged_attention_v2_kernelIttLi32ELi16ELi128ELNS_18Fp8KVCacheDataTypeE0ELb0ELi512EEEvPfS2_PT_PKS3_PKT0_S9_ifPKiSB_iPKfiiiSD_SD_iiiii.numbered_sgpr, 36
	.set _ZN4vllm25paged_attention_v2_kernelIttLi32ELi16ELi128ELNS_18Fp8KVCacheDataTypeE0ELb0ELi512EEEvPfS2_PT_PKS3_PKT0_S9_ifPKiSB_iPKfiiiSD_SD_iiiii.num_named_barrier, 0
	.set _ZN4vllm25paged_attention_v2_kernelIttLi32ELi16ELi128ELNS_18Fp8KVCacheDataTypeE0ELb0ELi512EEEvPfS2_PT_PKS3_PKT0_S9_ifPKiSB_iPKfiiiSD_SD_iiiii.private_seg_size, 0
	.set _ZN4vllm25paged_attention_v2_kernelIttLi32ELi16ELi128ELNS_18Fp8KVCacheDataTypeE0ELb0ELi512EEEvPfS2_PT_PKS3_PKT0_S9_ifPKiSB_iPKfiiiSD_SD_iiiii.uses_vcc, 1
	.set _ZN4vllm25paged_attention_v2_kernelIttLi32ELi16ELi128ELNS_18Fp8KVCacheDataTypeE0ELb0ELi512EEEvPfS2_PT_PKS3_PKT0_S9_ifPKiSB_iPKfiiiSD_SD_iiiii.uses_flat_scratch, 0
	.set _ZN4vllm25paged_attention_v2_kernelIttLi32ELi16ELi128ELNS_18Fp8KVCacheDataTypeE0ELb0ELi512EEEvPfS2_PT_PKS3_PKT0_S9_ifPKiSB_iPKfiiiSD_SD_iiiii.has_dyn_sized_stack, 0
	.set _ZN4vllm25paged_attention_v2_kernelIttLi32ELi16ELi128ELNS_18Fp8KVCacheDataTypeE0ELb0ELi512EEEvPfS2_PT_PKS3_PKT0_S9_ifPKiSB_iPKfiiiSD_SD_iiiii.has_recursion, 0
	.set _ZN4vllm25paged_attention_v2_kernelIttLi32ELi16ELi128ELNS_18Fp8KVCacheDataTypeE0ELb0ELi512EEEvPfS2_PT_PKS3_PKT0_S9_ifPKiSB_iPKfiiiSD_SD_iiiii.has_indirect_call, 0
	.section	.AMDGPU.csdata,"",@progbits
; Kernel info:
; codeLenInByte = 4332
; TotalNumSgprs: 38
; NumVgprs: 50
; ScratchSize: 0
; MemoryBound: 0
; FloatMode: 240
; IeeeMode: 1
; LDSByteSize: 96 bytes/workgroup (compile time only)
; SGPRBlocks: 0
; VGPRBlocks: 6
; NumSGPRsForWavesPerEU: 38
; NumVGPRsForWavesPerEU: 50
; Occupancy: 16
; WaveLimiterHint : 1
; COMPUTE_PGM_RSRC2:SCRATCH_EN: 0
; COMPUTE_PGM_RSRC2:USER_SGPR: 2
; COMPUTE_PGM_RSRC2:TRAP_HANDLER: 0
; COMPUTE_PGM_RSRC2:TGID_X_EN: 1
; COMPUTE_PGM_RSRC2:TGID_Y_EN: 1
; COMPUTE_PGM_RSRC2:TGID_Z_EN: 1
; COMPUTE_PGM_RSRC2:TIDIG_COMP_CNT: 0
	.section	.text._ZN4vllm25paged_attention_v2_kernelIttLi64ELi16ELi128ELNS_18Fp8KVCacheDataTypeE0ELb0ELi512EEEvPfS2_PT_PKS3_PKT0_S9_ifPKiSB_iPKfiiiSD_SD_iiiii,"axG",@progbits,_ZN4vllm25paged_attention_v2_kernelIttLi64ELi16ELi128ELNS_18Fp8KVCacheDataTypeE0ELb0ELi512EEEvPfS2_PT_PKS3_PKT0_S9_ifPKiSB_iPKfiiiSD_SD_iiiii,comdat
	.protected	_ZN4vllm25paged_attention_v2_kernelIttLi64ELi16ELi128ELNS_18Fp8KVCacheDataTypeE0ELb0ELi512EEEvPfS2_PT_PKS3_PKT0_S9_ifPKiSB_iPKfiiiSD_SD_iiiii ; -- Begin function _ZN4vllm25paged_attention_v2_kernelIttLi64ELi16ELi128ELNS_18Fp8KVCacheDataTypeE0ELb0ELi512EEEvPfS2_PT_PKS3_PKT0_S9_ifPKiSB_iPKfiiiSD_SD_iiiii
	.globl	_ZN4vllm25paged_attention_v2_kernelIttLi64ELi16ELi128ELNS_18Fp8KVCacheDataTypeE0ELb0ELi512EEEvPfS2_PT_PKS3_PKT0_S9_ifPKiSB_iPKfiiiSD_SD_iiiii
	.p2align	8
	.type	_ZN4vllm25paged_attention_v2_kernelIttLi64ELi16ELi128ELNS_18Fp8KVCacheDataTypeE0ELb0ELi512EEEvPfS2_PT_PKS3_PKT0_S9_ifPKiSB_iPKfiiiSD_SD_iiiii,@function
_ZN4vllm25paged_attention_v2_kernelIttLi64ELi16ELi128ELNS_18Fp8KVCacheDataTypeE0ELb0ELi512EEEvPfS2_PT_PKS3_PKT0_S9_ifPKiSB_iPKfiiiSD_SD_iiiii: ; @_ZN4vllm25paged_attention_v2_kernelIttLi64ELi16ELi128ELNS_18Fp8KVCacheDataTypeE0ELb0ELi512EEEvPfS2_PT_PKS3_PKT0_S9_ifPKiSB_iPKfiiiSD_SD_iiiii
; %bb.0:
	s_load_b64 s[2:3], s[0:1], 0x40
	s_and_b32 s20, ttmp7, 0xffff
	s_lshr_b32 s24, ttmp7, 16
	s_lshl_b32 s4, s20, 2
	s_lshl_b32 s26, s24, 9
	s_wait_kmcnt 0x0
	s_load_b32 s25, s[2:3], s4 offset:0x0
	s_wait_kmcnt 0x0
	s_cmp_ge_i32 s26, s25
	s_cbranch_scc1 .LBB100_62
; %bb.1:
	s_clause 0x1
	s_load_b32 s21, s[0:1], 0x90
	s_load_b64 s[6:7], s[0:1], 0x30
	s_wait_kmcnt 0x0
	s_abs_i32 s5, s21
	s_abs_i32 s2, s6
	s_delay_alu instid0(SALU_CYCLE_1) | instskip(SKIP_1) | instid1(SALU_CYCLE_2)
	s_cvt_f32_u32 s3, s2
	s_sub_co_i32 s4, 0, s2
	v_rcp_iflag_f32_e32 v1, s3
	s_delay_alu instid0(TRANS32_DEP_1) | instskip(SKIP_2) | instid1(SALU_CYCLE_2)
	v_readfirstlane_b32 s3, v1
	s_mul_f32 s3, s3, 0x4f7ffffe
	s_wait_alu 0xfffe
	s_cvt_u32_f32 s3, s3
	s_wait_alu 0xfffe
	s_delay_alu instid0(SALU_CYCLE_2) | instskip(NEXT) | instid1(SALU_CYCLE_1)
	s_mul_i32 s4, s4, s3
	s_mul_hi_u32 s4, s3, s4
	s_delay_alu instid0(SALU_CYCLE_1)
	s_add_co_i32 s3, s3, s4
	s_xor_b32 s4, s21, s6
	s_wait_alu 0xfffe
	s_mul_hi_u32 s3, s5, s3
	s_ashr_i32 s4, s4, 31
	s_wait_alu 0xfffe
	s_mul_i32 s6, s3, s2
	s_delay_alu instid0(SALU_CYCLE_1)
	s_sub_co_i32 s5, s5, s6
	s_add_co_i32 s6, s3, 1
	s_sub_co_i32 s8, s5, s2
	s_cmp_ge_u32 s5, s2
	s_cselect_b32 s3, s6, s3
	s_cselect_b32 s5, s8, s5
	s_wait_alu 0xfffe
	s_add_co_i32 s6, s3, 1
	s_cmp_ge_u32 s5, s2
	s_load_b64 s[8:9], s[0:1], 0x50
	s_cselect_b32 s2, s6, s3
	s_mov_b32 s3, 0
	s_wait_alu 0xfffe
	s_xor_b32 s2, s2, s4
	s_mov_b32 s6, s3
	s_wait_alu 0xfffe
	s_sub_co_i32 s12, s2, s4
	s_delay_alu instid0(SALU_CYCLE_1) | instskip(NEXT) | instid1(SALU_CYCLE_1)
	s_abs_i32 s11, s12
	s_cvt_f32_u32 s2, s11
	s_wait_alu 0xfffe
	s_delay_alu instid0(SALU_CYCLE_2) | instskip(NEXT) | instid1(TRANS32_DEP_1)
	v_rcp_iflag_f32_e32 v1, s2
	v_readfirstlane_b32 s2, v1
	s_mul_f32 s2, s2, 0x4f7ffffe
	s_wait_alu 0xfffe
	s_delay_alu instid0(SALU_CYCLE_2) | instskip(SKIP_2) | instid1(SALU_CYCLE_1)
	s_cvt_u32_f32 s4, s2
	s_sub_co_i32 s2, 0, s11
	s_wait_alu 0xfffe
	s_mul_i32 s2, s2, s4
	s_wait_alu 0xfffe
	s_mul_hi_u32 s5, s4, s2
	s_abs_i32 s2, ttmp9
	s_add_co_i32 s4, s4, s5
	s_mov_b32 s5, s3
	s_wait_kmcnt 0x0
	s_cmp_eq_u64 s[8:9], 0
	s_cbranch_scc1 .LBB100_3
; %bb.2:
	s_mov_b32 s14, ttmp9
	s_ashr_i32 s15, ttmp9, 31
	s_delay_alu instid0(SALU_CYCLE_1) | instskip(NEXT) | instid1(SALU_CYCLE_1)
	s_lshl_b64 s[14:15], s[14:15], 2
	s_add_nc_u64 s[8:9], s[8:9], s[14:15]
	s_load_b32 s6, s[8:9], 0x0
.LBB100_3:
	s_load_b96 s[8:10], s[0:1], 0x58
	v_lshrrev_b32_e32 v9, 1, v0
	v_and_b32_e32 v10, 1, v0
	v_lshlrev_b32_e32 v3, 3, v0
	s_mul_u64 s[4:5], s[2:3], s[4:5]
	s_ashr_i32 s3, ttmp9, 31
	s_ashr_i32 s4, s12, 31
	s_lshl_b32 s12, ttmp9, 6
	s_mov_b32 s14, exec_lo
	v_cmpx_gt_u32_e32 16, v0
	s_cbranch_execz .LBB100_5
; %bb.4:
	s_load_b64 s[16:17], s[0:1], 0x18
	s_wait_kmcnt 0x0
	s_mul_i32 s18, s8, s20
	s_ashr_i32 s13, s12, 31
	s_ashr_i32 s19, s18, 31
	v_lshlrev_b32_e32 v4, 3, v9
	s_lshl_b64 s[18:19], s[18:19], 1
	s_delay_alu instid0(VALU_DEP_1) | instskip(SKIP_2) | instid1(SALU_CYCLE_1)
	v_lshl_add_u32 v4, v10, 6, v4
	s_add_nc_u64 s[16:17], s[16:17], s[18:19]
	s_lshl_b64 s[18:19], s[12:13], 1
	s_add_nc_u64 s[16:17], s[16:17], s[18:19]
	global_load_b64 v[1:2], v3, s[16:17]
	s_wait_loadcnt 0x0
	ds_store_b64 v4, v[1:2]
.LBB100_5:
	s_or_b32 exec_lo, exec_lo, s14
	s_wait_kmcnt 0x0
	s_add_co_i32 s8, s25, 15
	s_wait_alu 0xfffe
	s_xor_b32 s3, s3, s4
	s_ashr_i32 s13, s8, 31
	s_lshl_b32 s28, s24, 5
	s_lshr_b32 s4, s13, 28
	s_mul_i32 s13, s5, s11
	s_add_co_i32 s8, s8, s4
	s_add_co_i32 s4, s28, 32
	s_ashr_i32 s27, s8, 4
	s_load_b32 s8, s[0:1], 0x48
	s_sub_co_i32 s2, s2, s13
	s_min_i32 s13, s4, s27
	s_add_co_i32 s4, s5, 1
	s_wait_alu 0xfffe
	s_sub_co_i32 s14, s2, s11
	s_cmp_ge_u32 s2, s11
	v_lshrrev_b32_e32 v11, 5, v0
	s_cselect_b32 s4, s4, s5
	s_cselect_b32 s2, s14, s2
	s_add_co_i32 s5, s4, 1
	s_wait_alu 0xfffe
	s_cmp_ge_u32 s2, s11
	v_or_b32_e32 v12, s28, v11
	s_cselect_b32 s2, s5, s4
	v_mbcnt_lo_u32_b32 v5, -1, 0
	s_wait_alu 0xfffe
	s_xor_b32 s2, s2, s3
	s_mov_b32 s4, exec_lo
	s_wait_alu 0xfffe
	s_sub_co_i32 s3, s2, s3
	v_cmp_gt_i32_e64 s2, s13, v12
	s_wait_dscnt 0x0
	s_barrier_signal -1
	s_wait_kmcnt 0x0
	s_mul_i32 s14, s8, s20
	s_barrier_wait -1
	s_ashr_i32 s15, s14, 31
	global_inv scope:SCOPE_SE
                                        ; implicit-def: $vgpr6
                                        ; implicit-def: $vgpr7
	v_cmpx_le_i32_e64 s13, v12
	s_xor_b32 s4, exec_lo, s4
; %bb.6:
	v_dual_mov_b32 v6, 0 :: v_dual_mov_b32 v7, 32
	v_mbcnt_lo_u32_b32 v5, -1, 0
; %bb.7:
	s_or_saveexec_b32 s11, s4
	s_clause 0x1
	s_load_b64 s[16:17], s[0:1], 0x38
	s_load_b32 s8, s[0:1], 0x98
	v_mov_b32_e32 v8, 0xff7fffff
	v_lshlrev_b32_e32 v4, 2, v12
	s_mul_i32 s18, s3, s10
	s_xor_b32 exec_lo, exec_lo, s11
	s_cbranch_execz .LBB100_13
; %bb.8:
	s_load_b64 s[4:5], s[0:1], 0x20
	v_bfe_u32 v1, v0, 1, 4
	s_ashr_i32 s19, s18, 31
	v_lshlrev_b32_e32 v7, 4, v11
	s_lshl_b64 s[22:23], s[18:19], 1
	s_cmp_neq_f32 s6, 0
	v_dual_mov_b32 v19, v12 :: v_dual_lshlrev_b32 v8, 4, v1
	v_lshlrev_b32_e32 v15, 2, v1
	v_and_b32_e32 v2, 8, v3
	v_add3_u32 v14, s26, v7, v1
	s_cselect_b32 s3, -1, 0
	s_lshl_b64 s[30:31], s[14:15], 2
	v_lshl_or_b32 v1, v11, 6, v15
	s_wait_kmcnt 0x0
	s_add_nc_u64 s[30:31], s[16:17], s[30:31]
	v_dual_mov_b32 v6, 0 :: v_dual_lshlrev_b32 v13, 6, v10
	v_xor_b32_e32 v18, 1, v5
	v_add_nc_u32_e32 v15, 0xa0, v1
	s_mov_b32 s19, s9
	s_add_nc_u64 s[4:5], s[4:5], s[22:23]
	s_mov_b32 s10, 0
	v_add_co_u32 v7, s4, s4, v8
	s_wait_alu 0xf1ff
	v_add_co_ci_u32_e64 v8, null, s5, 0, s4
	s_sub_co_i32 s22, 1, s25
	v_add_co_u32 v16, s4, v7, v2
	s_wait_alu 0xf1ff
	v_add_co_ci_u32_e64 v17, null, 0, v8, s4
	v_add_co_u32 v1, s4, s30, v4
	s_wait_alu 0xf1ff
	v_add_co_ci_u32_e64 v2, null, s31, 0, s4
	v_dual_mov_b32 v8, 0xff7fffff :: v_dual_mov_b32 v7, 32
	v_cmp_eq_u32_e32 vcc_lo, 0, v10
	s_branch .LBB100_10
.LBB100_9:                              ;   in Loop: Header=BB100_10 Depth=1
	s_wait_alu 0xfffe
	s_or_b32 exec_lo, exec_lo, s5
	v_add_nc_u32_e32 v19, 4, v19
	v_add_co_u32 v1, s5, v1, 16
	v_add_nc_u32_e32 v14, 64, v14
	v_add_nc_u32_e32 v15, 0x100, v15
	s_delay_alu instid0(VALU_DEP_4) | instskip(SKIP_3) | instid1(SALU_CYCLE_1)
	v_cmp_le_i32_e64 s4, s13, v19
	s_wait_alu 0xf1ff
	v_add_co_ci_u32_e64 v2, null, 0, v2, s5
	s_or_b32 s10, s4, s10
	s_and_not1_b32 exec_lo, exec_lo, s10
	s_cbranch_execz .LBB100_12
.LBB100_10:                             ; =>This Inner Loop Header: Depth=1
	global_load_b32 v20, v[1:2], off
	s_wait_loadcnt_dscnt 0x0
	v_mad_co_i64_i32 v[20:21], null, v20, s19, 0
	s_delay_alu instid0(VALU_DEP_1) | instskip(NEXT) | instid1(VALU_DEP_1)
	v_lshlrev_b64_e32 v[20:21], 1, v[20:21]
	v_add_co_u32 v20, s4, v16, v20
	s_wait_alu 0xf1ff
	s_delay_alu instid0(VALU_DEP_2)
	v_add_co_ci_u32_e64 v21, null, v17, v21, s4
	v_cmp_gt_i32_e64 s4, 32, v18
	s_clause 0x7
	global_load_b64 v[22:23], v[20:21], off
	global_load_b64 v[24:25], v[20:21], off offset:256
	global_load_b64 v[26:27], v[20:21], off offset:512
	;; [unrolled: 1-line block ×7, first 2 shown]
	ds_load_b64 v[36:37], v13
	s_wait_dscnt 0x0
	v_and_b32_e32 v38, 0xffff, v36
	v_lshrrev_b32_e32 v39, 16, v36
	v_lshrrev_b32_e32 v41, 16, v37
	v_and_b32_e32 v40, 0xffff, v37
	;;#ASMSTART
	v_cvt_f32_f16 v36, v38;
	;;#ASMEND
	;;#ASMSTART
	v_cvt_f32_f16 v37, v39;
	;;#ASMEND
	s_wait_loadcnt 0x7
	v_and_b32_e32 v38, 0xffff, v22
	v_lshrrev_b32_e32 v22, 16, v22
	v_lshrrev_b32_e32 v43, 16, v23
	v_and_b32_e32 v23, 0xffff, v23
	;;#ASMSTART
	v_cvt_f32_f16 v38, v38;
	;;#ASMEND
	;;#ASMSTART
	v_cvt_f32_f16 v39, v22;
	;;#ASMEND
	;; [unrolled: 3-line block ×6, first 2 shown]
	ds_load_b64 v[22:23], v13 offset:8
	s_wait_loadcnt 0x6
	v_lshrrev_b32_e32 v45, 16, v24
	v_and_b32_e32 v44, 0xffff, v24
	v_lshrrev_b32_e32 v49, 16, v25
	v_and_b32_e32 v48, 0xffff, v25
	s_wait_loadcnt 0x5
	v_lshrrev_b32_e32 v51, 16, v26
	v_and_b32_e32 v50, 0xffff, v26
	v_lshrrev_b32_e32 v55, 16, v27
	v_and_b32_e32 v54, 0xffff, v27
	;; [unrolled: 5-line block ×3, first 2 shown]
	s_wait_loadcnt 0x1
	v_lshrrev_b32_e32 v74, 16, v34
	v_lshrrev_b32_e32 v63, 16, v30
	v_and_b32_e32 v62, 0xffff, v30
	v_lshrrev_b32_e32 v67, 16, v31
	v_and_b32_e32 v66, 0xffff, v31
	;; [unrolled: 2-line block ×3, first 2 shown]
	s_wait_dscnt 0x0
	v_and_b32_e32 v24, 0xffff, v22
	v_lshrrev_b32_e32 v22, 16, v22
	v_lshrrev_b32_e32 v47, 16, v23
	v_and_b32_e32 v23, 0xffff, v23
	;;#ASMSTART
	v_cvt_f32_f16 v24, v24;
	;;#ASMEND
	;;#ASMSTART
	v_cvt_f32_f16 v25, v22;
	;;#ASMEND
	;; [unrolled: 3-line block ×8, first 2 shown]
	ds_load_b64 v[22:23], v13 offset:16
	v_mul_f32_e32 v24, v24, v44
	v_lshrrev_b32_e32 v73, 16, v33
	v_and_b32_e32 v72, 0xffff, v33
	v_mul_f32_e32 v25, v25, v45
	v_lshrrev_b32_e32 v76, 16, v35
	v_fmac_f32_e32 v24, v36, v38
	v_dual_mul_f32 v35, v47, v49 :: v_dual_and_b32 v44, 0xffff, v35
	s_delay_alu instid0(VALU_DEP_4)
	v_fmac_f32_e32 v25, v37, v39
	s_wait_loadcnt 0x0
	v_lshrrev_b32_e32 v45, 16, v20
	s_wait_dscnt 0x0
	v_dual_fmac_f32 v35, v41, v43 :: v_dual_and_b32 v26, 0xffff, v22
	v_lshrrev_b32_e32 v22, 16, v22
	v_lshrrev_b32_e32 v53, 16, v23
	v_and_b32_e32 v23, 0xffff, v23
	;;#ASMSTART
	v_cvt_f32_f16 v26, v26;
	;;#ASMEND
	;;#ASMSTART
	v_cvt_f32_f16 v27, v22;
	;;#ASMEND
	;; [unrolled: 3-line block ×8, first 2 shown]
	ds_load_b64 v[22:23], v13 offset:24
	v_fmac_f32_e32 v25, v27, v51
	v_dual_fmac_f32 v35, v53, v55 :: v_dual_fmac_f32 v24, v26, v50
	s_wait_dscnt 0x0
	v_and_b32_e32 v28, 0xffff, v22
	v_lshrrev_b32_e32 v22, 16, v22
	;;#ASMSTART
	v_cvt_f32_f16 v28, v28;
	;;#ASMEND
	;;#ASMSTART
	v_cvt_f32_f16 v29, v22;
	;;#ASMEND
	;; [unrolled: 3-line block ×3, first 2 shown]
	v_dual_fmac_f32 v24, v28, v56 :: v_dual_and_b32 v75, 0xffff, v34
	v_mul_f32_e32 v34, v46, v48
	v_lshrrev_b32_e32 v59, 16, v23
	v_and_b32_e32 v23, 0xffff, v23
	;;#ASMSTART
	v_cvt_f32_f16 v57, v57;
	;;#ASMEND
	s_delay_alu instid0(VALU_DEP_3)
	v_dual_fmac_f32 v25, v29, v57 :: v_dual_fmac_f32 v34, v40, v42
	;;#ASMSTART
	v_cvt_f32_f16 v58, v23;
	;;#ASMEND
	;;#ASMSTART
	v_cvt_f32_f16 v59, v59;
	;;#ASMEND
	;; [unrolled: 3-line block ×4, first 2 shown]
	ds_load_b64 v[22:23], v13 offset:32
	v_dual_fmac_f32 v34, v52, v54 :: v_dual_fmac_f32 v35, v59, v61
	v_and_b32_e32 v28, 0xffff, v20
	v_lshrrev_b32_e32 v29, 16, v21
	s_delay_alu instid0(VALU_DEP_3)
	v_fmac_f32_e32 v34, v58, v60
	s_wait_dscnt 0x0
	v_and_b32_e32 v30, 0xffff, v22
	v_lshrrev_b32_e32 v22, 16, v22
	v_lshrrev_b32_e32 v65, 16, v23
	v_and_b32_e32 v23, 0xffff, v23
	;;#ASMSTART
	v_cvt_f32_f16 v30, v30;
	;;#ASMEND
	;;#ASMSTART
	v_cvt_f32_f16 v31, v22;
	;;#ASMEND
	;; [unrolled: 3-line block ×8, first 2 shown]
	ds_load_b64 v[22:23], v13 offset:40
	v_dual_fmac_f32 v25, v31, v63 :: v_dual_fmac_f32 v34, v64, v66
	s_wait_dscnt 0x0
	v_dual_fmac_f32 v35, v65, v67 :: v_dual_and_b32 v32, 0xffff, v22
	v_lshrrev_b32_e32 v22, 16, v22
	v_lshrrev_b32_e32 v71, 16, v23
	v_and_b32_e32 v23, 0xffff, v23
	;;#ASMSTART
	v_cvt_f32_f16 v32, v32;
	;;#ASMEND
	;;#ASMSTART
	v_cvt_f32_f16 v33, v22;
	;;#ASMEND
	;; [unrolled: 3-line block ×8, first 2 shown]
	ds_load_b64 v[22:23], v13 offset:48
	v_dual_fmac_f32 v25, v33, v69 :: v_dual_fmac_f32 v34, v70, v72
	s_wait_dscnt 0x0
	v_dual_fmac_f32 v35, v71, v73 :: v_dual_and_b32 v26, 0xffff, v22
	v_lshrrev_b32_e32 v22, 16, v22
	v_lshrrev_b32_e32 v39, 16, v23
	v_and_b32_e32 v23, 0xffff, v23
	;;#ASMSTART
	v_cvt_f32_f16 v26, v26;
	;;#ASMEND
	;;#ASMSTART
	v_cvt_f32_f16 v27, v22;
	;;#ASMEND
	;; [unrolled: 3-line block ×8, first 2 shown]
	ds_load_b64 v[22:23], v13 offset:56
	v_dual_fmac_f32 v24, v30, v62 :: v_dual_fmac_f32 v25, v27, v37
	v_and_b32_e32 v30, 0xffff, v21
	v_dual_fmac_f32 v34, v38, v40 :: v_dual_fmac_f32 v35, v39, v41
	s_wait_dscnt 0x0
	s_delay_alu instid0(VALU_DEP_3)
	v_dual_fmac_f32 v24, v32, v68 :: v_dual_and_b32 v27, 0xffff, v23
	v_and_b32_e32 v20, 0xffff, v22
	v_lshrrev_b32_e32 v21, 16, v22
	;;#ASMSTART
	v_cvt_f32_f16 v20, v20;
	;;#ASMEND
	;;#ASMSTART
	v_cvt_f32_f16 v21, v21;
	;;#ASMEND
	v_fmac_f32_e32 v24, v26, v36
	v_lshrrev_b32_e32 v26, 16, v23
	;;#ASMSTART
	v_cvt_f32_f16 v22, v28;
	;;#ASMEND
	;;#ASMSTART
	v_cvt_f32_f16 v23, v45;
	;;#ASMEND
	s_delay_alu instid0(VALU_DEP_2)
	v_dual_fmac_f32 v25, v21, v23 :: v_dual_fmac_f32 v24, v20, v22
	;;#ASMSTART
	v_cvt_f32_f16 v20, v27;
	;;#ASMEND
	;;#ASMSTART
	v_cvt_f32_f16 v21, v26;
	;;#ASMEND
	;; [unrolled: 3-line block ×3, first 2 shown]
	v_fmac_f32_e32 v34, v20, v22
	v_add_f32_e32 v20, v24, v25
	;;#ASMSTART
	v_cvt_f32_f16 v22, v29;
	;;#ASMEND
	v_fmac_f32_e32 v35, v21, v22
	s_wait_alu 0xf1ff
	v_cndmask_b32_e64 v21, v5, v18, s4
	s_delay_alu instid0(VALU_DEP_1) | instskip(NEXT) | instid1(VALU_DEP_1)
	v_dual_add_f32 v20, v20, v34 :: v_dual_lshlrev_b32 v21, 2, v21
	v_add_f32_e32 v20, v35, v20
	ds_bpermute_b32 v21, v21, v20
	s_and_saveexec_b32 s5, vcc_lo
	s_cbranch_execz .LBB100_9
; %bb.11:                               ;   in Loop: Header=BB100_10 Depth=1
	s_wait_dscnt 0x0
	v_add_f32_e32 v20, v20, v21
	v_add_nc_u32_e32 v22, s22, v14
	v_cmp_gt_i32_e64 s4, s25, v14
	s_delay_alu instid0(VALU_DEP_2) | instskip(NEXT) | instid1(VALU_DEP_1)
	v_cvt_f32_i32_e32 v22, v22
	v_mul_f32_e32 v22, s6, v22
	s_wait_alu 0xfffe
	s_delay_alu instid0(VALU_DEP_1) | instskip(SKIP_1) | instid1(VALU_DEP_2)
	v_cndmask_b32_e64 v21, 0, v22, s3
	v_max_num_f32_e32 v22, v8, v8
	v_fmac_f32_e32 v21, s7, v20
	s_delay_alu instid0(VALU_DEP_1) | instskip(SKIP_2) | instid1(VALU_DEP_2)
	v_max_num_f32_e32 v20, v22, v21
	s_wait_alu 0xf1ff
	v_cndmask_b32_e64 v21, 0, v21, s4
	v_cndmask_b32_e64 v8, v8, v20, s4
	ds_store_b32 v15, v21
	s_branch .LBB100_9
.LBB100_12:
	s_or_b32 exec_lo, exec_lo, s10
.LBB100_13:
	s_delay_alu instid0(SALU_CYCLE_1)
	s_or_b32 exec_lo, exec_lo, s11
	v_xor_b32_e32 v1, 16, v5
	v_xor_b32_e32 v2, 8, v5
	v_max_num_f32_e32 v13, v8, v8
	s_clause 0x2
	s_load_b128 s[4:7], s[0:1], 0x0
	s_load_b64 s[10:11], s[0:1], 0x10
	s_load_b64 s[22:23], s[0:1], 0x28
	v_lshlrev_b32_e32 v17, 2, v11
	v_cmp_lt_i32_e32 vcc_lo, v1, v7
	v_cndmask_b32_e32 v1, v5, v1, vcc_lo
	v_cmp_lt_i32_e32 vcc_lo, v2, v7
	s_wait_alu 0xfffd
	s_delay_alu instid0(VALU_DEP_2) | instskip(SKIP_3) | instid1(VALU_DEP_1)
	v_dual_cndmask_b32 v2, v5, v2 :: v_dual_lshlrev_b32 v15, 2, v1
	ds_bpermute_b32 v1, v15, v8
	s_wait_dscnt 0x0
	v_dual_max_num_f32 v1, v1, v1 :: v_dual_lshlrev_b32 v8, 2, v2
	v_max_num_f32_e32 v1, v13, v1
	v_xor_b32_e32 v13, 4, v5
	ds_bpermute_b32 v2, v8, v1
	v_cmp_lt_i32_e32 vcc_lo, v13, v7
	s_wait_dscnt 0x0
	s_wait_alu 0xfffd
	v_dual_cndmask_b32 v13, v5, v13 :: v_dual_max_num_f32 v2, v2, v2
	s_delay_alu instid0(VALU_DEP_1) | instskip(SKIP_1) | instid1(VALU_DEP_3)
	v_lshlrev_b32_e32 v16, 2, v13
	v_xor_b32_e32 v13, 2, v5
	v_max_num_f32_e32 v1, v1, v2
	s_delay_alu instid0(VALU_DEP_2) | instskip(SKIP_4) | instid1(VALU_DEP_1)
	v_cmp_lt_i32_e32 vcc_lo, v13, v7
	ds_bpermute_b32 v2, v16, v1
	s_wait_dscnt 0x0
	s_wait_alu 0xfffd
	v_dual_cndmask_b32 v13, v5, v13 :: v_dual_max_num_f32 v2, v2, v2
	v_dual_max_num_f32 v1, v1, v2 :: v_dual_lshlrev_b32 v2, 2, v13
	v_and_b32_e32 v13, 31, v0
	ds_bpermute_b32 v14, v2, v1
	v_cmp_eq_u32_e32 vcc_lo, 0, v13
	s_and_saveexec_b32 s0, vcc_lo
	s_cbranch_execz .LBB100_15
; %bb.14:
	s_wait_dscnt 0x0
	v_dual_max_num_f32 v14, v14, v14 :: v_dual_max_num_f32 v1, v1, v1
	s_delay_alu instid0(VALU_DEP_1)
	v_max_num_f32_e32 v1, v1, v14
	ds_store_b32 v17, v1 offset:128
.LBB100_15:
	s_or_b32 exec_lo, exec_lo, s0
	v_cmp_gt_u32_e64 s0, 4, v13
	v_dual_mov_b32 v1, 0xff7fffff :: v_dual_lshlrev_b32 v18, 2, v13
	s_wait_loadcnt_dscnt 0x0
	s_barrier_signal -1
	s_barrier_wait -1
	global_inv scope:SCOPE_SE
	s_and_saveexec_b32 s1, s0
; %bb.16:
	ds_load_b32 v1, v18 offset:128
; %bb.17:
	s_or_b32 exec_lo, exec_lo, s1
	s_wait_dscnt 0x0
	ds_bpermute_b32 v14, v2, v1
	v_xor_b32_e32 v19, 1, v5
	v_lshlrev_b32_e32 v6, 2, v6
	s_delay_alu instid0(VALU_DEP_2) | instskip(NEXT) | instid1(VALU_DEP_1)
	v_cmp_lt_i32_e64 s1, v19, v7
	v_cndmask_b32_e64 v7, v5, v19, s1
	v_max_num_f32_e32 v1, v1, v1
	s_sub_co_i32 s1, s13, s28
	s_wait_alu 0xfffe
	s_lshl_b32 s1, s1, 4
	s_wait_alu 0xfffe
	s_add_co_i32 s1, s1, s26
	s_wait_alu 0xfffe
	s_min_i32 s1, s1, s25
	s_wait_dscnt 0x0
	v_dual_max_num_f32 v19, v14, v14 :: v_dual_lshlrev_b32 v14, 2, v7
	s_wait_alu 0xfffe
	s_sub_co_i32 s19, s1, s26
	s_wait_alu 0xfffe
	v_cmp_gt_i32_e64 s1, s19, v0
	v_max_num_f32_e32 v1, v1, v19
	ds_bpermute_b32 v7, v14, v1
	s_wait_dscnt 0x0
	v_max_num_f32_e32 v7, v7, v7
	s_delay_alu instid0(VALU_DEP_1)
	v_max_num_f32_e32 v1, v1, v7
	v_mov_b32_e32 v7, 0
	ds_bpermute_b32 v1, v6, v1
	v_lshl_add_u32 v6, v0, 2, 0xa0
	s_and_saveexec_b32 s28, s1
	s_cbranch_execz .LBB100_21
; %bb.18:
	v_lshl_add_u32 v19, v0, 2, 0xa0
	v_dual_mov_b32 v7, 0 :: v_dual_mov_b32 v20, v0
	s_mov_b32 s29, 0
.LBB100_19:                             ; =>This Inner Loop Header: Depth=1
	ds_load_b32 v21, v19
	v_add_nc_u32_e32 v20, 0x80, v20
	s_delay_alu instid0(VALU_DEP_1) | instskip(SKIP_4) | instid1(VALU_DEP_1)
	v_cmp_le_i32_e64 s3, s19, v20
	s_wait_alu 0xfffe
	s_or_b32 s29, s3, s29
	s_wait_dscnt 0x0
	v_sub_f32_e32 v21, v21, v1
	v_mul_f32_e32 v21, 0x3fb8aa3b, v21
	s_delay_alu instid0(VALU_DEP_1)
	v_exp_f32_e32 v21, v21
	ds_store_b32 v19, v21
	v_add_f32_e32 v7, v7, v21
	v_add_nc_u32_e32 v19, 0x200, v19
	s_wait_alu 0xfffe
	s_and_not1_b32 exec_lo, exec_lo, s29
	s_cbranch_execnz .LBB100_19
; %bb.20:
	s_or_b32 exec_lo, exec_lo, s29
.LBB100_21:
	s_wait_alu 0xfffe
	s_or_b32 exec_lo, exec_lo, s28
	ds_bpermute_b32 v15, v15, v7
	s_wait_dscnt 0x0
	v_add_f32_e32 v7, v7, v15
	ds_bpermute_b32 v8, v8, v7
	s_wait_dscnt 0x0
	v_add_f32_e32 v7, v7, v8
	;; [unrolled: 3-line block ×5, first 2 shown]
	s_and_saveexec_b32 s3, vcc_lo
; %bb.22:
	ds_store_b32 v17, v7 offset:144
; %bb.23:
	s_wait_alu 0xfffe
	s_or_b32 exec_lo, exec_lo, s3
	s_wait_loadcnt_dscnt 0x0
	s_barrier_signal -1
	s_barrier_wait -1
	global_inv scope:SCOPE_SE
	s_and_saveexec_b32 s3, s0
; %bb.24:
	ds_load_b32 v7, v18 offset:144
; %bb.25:
	s_wait_alu 0xfffe
	s_or_b32 exec_lo, exec_lo, s3
	s_wait_dscnt 0x0
	ds_bpermute_b32 v2, v2, v7
	v_lshlrev_b32_e32 v5, 2, v5
	s_wait_dscnt 0x0
	s_delay_alu instid0(VALU_DEP_1)
	v_dual_add_f32 v2, v7, v2 :: v_dual_and_b32 v5, 0xffffff80, v5
	ds_bpermute_b32 v7, v14, v2
	s_wait_dscnt 0x0
	v_add_f32_e32 v2, v2, v7
	ds_bpermute_b32 v2, v5, v2
	s_and_saveexec_b32 s0, s1
	s_cbranch_execz .LBB100_28
; %bb.26:
	s_wait_dscnt 0x0
	v_add_f32_e32 v5, 0x358637bd, v2
	s_mov_b32 s1, 0
	s_delay_alu instid0(VALU_DEP_1) | instskip(NEXT) | instid1(VALU_DEP_1)
	v_div_scale_f32 v7, null, v5, v5, 1.0
	v_rcp_f32_e32 v8, v7
	s_delay_alu instid0(TRANS32_DEP_1) | instskip(NEXT) | instid1(VALU_DEP_1)
	v_fma_f32 v15, -v7, v8, 1.0
	v_fmac_f32_e32 v8, v15, v8
	v_div_scale_f32 v16, vcc_lo, 1.0, v5, 1.0
	s_delay_alu instid0(VALU_DEP_1) | instskip(NEXT) | instid1(VALU_DEP_1)
	v_mul_f32_e32 v15, v16, v8
	v_fma_f32 v17, -v7, v15, v16
	s_delay_alu instid0(VALU_DEP_1) | instskip(NEXT) | instid1(VALU_DEP_1)
	v_fmac_f32_e32 v15, v17, v8
	v_fma_f32 v7, -v7, v15, v16
	s_wait_alu 0xfffd
	s_delay_alu instid0(VALU_DEP_1) | instskip(NEXT) | instid1(VALU_DEP_1)
	v_div_fmas_f32 v7, v7, v8, v15
	v_div_fixup_f32 v5, v7, v5, 1.0
	v_mov_b32_e32 v7, v0
.LBB100_27:                             ; =>This Inner Loop Header: Depth=1
	ds_load_b32 v8, v6
	s_wait_dscnt 0x0
	v_dual_mul_f32 v8, v5, v8 :: v_dual_add_nc_u32 v7, 0x80, v7
	s_delay_alu instid0(VALU_DEP_1)
	v_cmp_le_i32_e32 vcc_lo, s19, v7
	ds_store_b32 v6, v8
	v_add_nc_u32_e32 v6, 0x200, v6
	s_wait_alu 0xfffe
	s_or_b32 s1, vcc_lo, s1
	s_wait_alu 0xfffe
	s_and_not1_b32 exec_lo, exec_lo, s1
	s_cbranch_execnz .LBB100_27
.LBB100_28:
	s_wait_alu 0xfffe
	s_or_b32 exec_lo, exec_lo, s0
	s_wait_kmcnt 0x0
	s_mul_i32 s0, s8, s20
	s_wait_loadcnt_dscnt 0x0
	s_wait_alu 0xfffe
	s_mul_i32 s20, s0, s21
	s_mov_b32 s0, exec_lo
	s_barrier_signal -1
	s_barrier_wait -1
	global_inv scope:SCOPE_SE
	v_cmpx_eq_u32_e32 0, v0
	s_cbranch_execz .LBB100_30
; %bb.29:
	s_ashr_i32 s21, s20, 31
	s_wait_alu 0xfffe
	s_mul_i32 s28, s8, ttmp9
	s_lshl_b32 s1, s24, 2
	s_lshl_b64 s[30:31], s[20:21], 2
	s_wait_alu 0xfffe
	s_ashr_i32 s29, s28, 31
	v_mov_b32_e32 v5, s1
	s_add_nc_u64 s[6:7], s[6:7], s[30:31]
	s_wait_alu 0xfffe
	s_lshl_b64 s[28:29], s[28:29], 2
	s_add_nc_u64 s[4:5], s[4:5], s[30:31]
	s_wait_alu 0xfffe
	s_add_nc_u64 s[6:7], s[6:7], s[28:29]
	s_add_nc_u64 s[4:5], s[4:5], s[28:29]
	s_clause 0x1
	global_store_b32 v5, v1, s[6:7]
	global_store_b32 v5, v2, s[4:5]
.LBB100_30:
	s_wait_alu 0xfffe
	s_or_b32 exec_lo, exec_lo, s0
	v_dual_mov_b32 v17, 0 :: v_dual_mov_b32 v18, 0
	v_dual_mov_b32 v16, 0 :: v_dual_mov_b32 v15, 0
	s_and_saveexec_b32 s1, s2
	s_cbranch_execz .LBB100_42
; %bb.31:
	v_dual_mov_b32 v16, 0 :: v_dual_lshlrev_b32 v1, 4, v0
	s_ashr_i32 s19, s18, 31
	v_dual_mov_b32 v15, 0 :: v_dual_and_b32 v2, 8, v3
	s_delay_alu instid0(VALU_DEP_2)
	v_and_b32_e32 v1, 0x1f0, v1
	s_wait_alu 0xfffe
	s_lshl_b64 s[2:3], s[18:19], 1
	v_dual_mov_b32 v18, 0 :: v_dual_lshlrev_b32 v3, 5, v10
	s_wait_alu 0xfffe
	s_add_nc_u64 s[2:3], s[22:23], s[2:3]
	v_lshl_add_u32 v5, v11, 4, s26
	s_wait_alu 0xfffe
	v_add_co_u32 v19, s0, s2, v1
	s_wait_alu 0xf1ff
	v_add_co_ci_u32_e64 v20, null, s3, 0, s0
	s_lshl_b64 s[2:3], s[14:15], 2
	v_lshl_or_b32 v3, v11, 6, v3
	s_wait_alu 0xfffe
	s_add_nc_u64 s[2:3], s[16:17], s[2:3]
	v_add3_u32 v21, v5, v2, 7
	s_wait_alu 0xfffe
	v_add_co_u32 v5, s0, s2, v4
	v_dual_mov_b32 v17, 0 :: v_dual_add_nc_u32 v22, 0xa0, v3
	s_wait_alu 0xf1ff
	v_add_co_ci_u32_e64 v6, null, s3, 0, s0
	s_mov_b32 s2, s9
	s_add_co_i32 s27, s27, -1
	s_mov_b32 s3, 0
	s_branch .LBB100_33
.LBB100_32:                             ;   in Loop: Header=BB100_33 Depth=1
	s_wait_alu 0xfffe
	s_or_b32 exec_lo, exec_lo, s0
	v_lshlrev_b32_e32 v23, 16, v40
	v_lshlrev_b32_e32 v8, 16, v8
	;; [unrolled: 1-line block ×3, first 2 shown]
	v_add_co_u32 v5, s0, v5, 16
	s_delay_alu instid0(VALU_DEP_4) | instskip(NEXT) | instid1(VALU_DEP_4)
	v_and_or_b32 v1, 0xffff, v1, v23
	v_and_or_b32 v2, 0xffff, v2, v8
	s_delay_alu instid0(VALU_DEP_4)
	v_and_or_b32 v3, 0xffff, v3, v7
	;;#ASMSTART
	v_pk_mul_f16 v1, v31, v1;

	;;#ASMEND
	;;#ASMSTART
	v_pk_mul_f16 v2, v30, v2;

	;;#ASMEND
	;; [unrolled: 4-line block ×4, first 2 shown]
	;;#ASMSTART
	v_pk_add_f16 v1, v1, v2;

	;;#ASMEND
	;;#ASMSTART
	v_pk_add_f16 v1, v1, v3;

	;;#ASMEND
	;; [unrolled: 4-line block ×3, first 2 shown]
	v_dual_add_f32 v3, v34, v35 :: v_dual_and_b32 v4, 0xffff, v1
	v_add_nc_u32_e32 v12, 4, v12
	v_lshrrev_b32_e32 v7, 16, v1
	;;#ASMSTART
	v_cvt_f32_f16 v4, v4;
	;;#ASMEND
	v_dual_add_f32 v1, v38, v39 :: v_dual_add_f32 v2, v36, v37
	;;#ASMSTART
	v_cvt_f32_f16 v7, v7;
	;;#ASMEND
	s_delay_alu instid0(VALU_DEP_2) | instskip(SKIP_3) | instid1(VALU_DEP_4)
	v_dual_add_f32 v4, v4, v7 :: v_dual_add_nc_u32 v21, 64, v21
	v_add_f32_e32 v17, v17, v3
	v_cmp_le_i32_e32 vcc_lo, s13, v12
	v_add_f32_e32 v16, v16, v1
	v_dual_add_f32 v18, v18, v2 :: v_dual_add_f32 v15, v15, v4
	v_add_nc_u32_e32 v22, 0x100, v22
	s_wait_alu 0xf1ff
	v_add_co_ci_u32_e64 v6, null, 0, v6, s0
	s_or_b32 s3, vcc_lo, s3
	s_wait_alu 0xfffe
	s_and_not1_b32 exec_lo, exec_lo, s3
	s_cbranch_execz .LBB100_41
.LBB100_33:                             ; =>This Inner Loop Header: Depth=1
	global_load_b32 v7, v[5:6], off
	ds_load_2addr_b64 v[1:4], v22 offset1:1
	ds_load_2addr_b64 v[23:26], v22 offset0:2 offset1:3
	v_add_nc_u32_e32 v27, -7, v21
	v_add_nc_u32_e32 v29, -6, v21
	;; [unrolled: 1-line block ×3, first 2 shown]
	s_wait_dscnt 0x1
	;;#ASMSTART
	v_cvt_f16_f32 v31, v1;

	;;#ASMEND
	;;#ASMSTART
	v_cvt_f16_f32 v30, v2;

	;;#ASMEND
	;; [unrolled: 4-line block ×4, first 2 shown]
	s_wait_dscnt 0x0
	;;#ASMSTART
	v_cvt_f16_f32 v37, v23;

	;;#ASMEND
	;;#ASMSTART
	v_cvt_f16_f32 v32, v24;

	;;#ASMEND
	;; [unrolled: 4-line block ×4, first 2 shown]
	v_add_nc_u32_e32 v25, -4, v21
	v_add_nc_u32_e32 v24, -3, v21
	;; [unrolled: 1-line block ×4, first 2 shown]
	s_wait_loadcnt 0x0
	s_wait_alu 0xfffe
	v_mad_co_i64_i32 v[7:8], null, v7, s2, 0
	s_delay_alu instid0(VALU_DEP_1) | instskip(NEXT) | instid1(VALU_DEP_1)
	v_lshlrev_b64_e32 v[7:8], 1, v[7:8]
	v_add_co_u32 v7, vcc_lo, v19, v7
	s_wait_alu 0xfffd
	s_delay_alu instid0(VALU_DEP_2)
	v_add_co_ci_u32_e64 v8, null, v20, v8, vcc_lo
	v_cmp_eq_u32_e32 vcc_lo, s27, v12
	global_load_b128 v[1:4], v[7:8], off
	s_wait_loadcnt 0x0
	v_lshrrev_b32_e32 v40, 16, v1
	v_lshrrev_b32_e32 v39, 16, v2
	;; [unrolled: 1-line block ×3, first 2 shown]
	s_and_saveexec_b32 s4, vcc_lo
	s_cbranch_execz .LBB100_35
; %bb.34:                               ;   in Loop: Header=BB100_33 Depth=1
	v_cmp_gt_i32_e64 s0, s25, v27
	v_and_b32_e32 v41, 0xffff, v4
	v_and_b32_e32 v4, 0xffff0000, v4
	s_wait_alu 0xf1ff
	s_delay_alu instid0(VALU_DEP_3) | instskip(SKIP_2) | instid1(VALU_DEP_1)
	v_cndmask_b32_e64 v1, 0, v1, s0
	v_cmp_gt_i32_e64 s0, s25, v29
	s_wait_alu 0xf1ff
	v_cndmask_b32_e64 v40, 0, v40, s0
	v_cmp_gt_i32_e64 s0, s25, v28
	s_wait_alu 0xf1ff
	s_delay_alu instid0(VALU_DEP_1) | instskip(SKIP_2) | instid1(VALU_DEP_1)
	v_cndmask_b32_e64 v2, 0, v2, s0
	v_cmp_gt_i32_e64 s0, s25, v25
	s_wait_alu 0xf1ff
	v_cndmask_b32_e64 v39, 0, v39, s0
	v_cmp_gt_i32_e64 s0, s25, v26
	s_wait_alu 0xf1ff
	s_delay_alu instid0(VALU_DEP_1) | instskip(SKIP_2) | instid1(VALU_DEP_1)
	v_cndmask_b32_e64 v41, 0, v41, s0
	v_cmp_gt_i32_e64 s0, s25, v21
	s_wait_alu 0xf1ff
	v_cndmask_b32_e64 v4, 0, v4, s0
	v_cmp_gt_i32_e64 s0, s25, v24
	s_delay_alu instid0(VALU_DEP_2) | instskip(SKIP_1) | instid1(VALU_DEP_2)
	v_or_b32_e32 v4, v41, v4
	s_wait_alu 0xf1ff
	v_cndmask_b32_e64 v3, 0, v3, s0
	v_cmp_gt_i32_e64 s0, s25, v23
	s_wait_alu 0xf1ff
	s_delay_alu instid0(VALU_DEP_1)
	v_cndmask_b32_e64 v38, 0, v38, s0
.LBB100_35:                             ;   in Loop: Header=BB100_33 Depth=1
	s_wait_alu 0xfffe
	s_or_b32 exec_lo, exec_lo, s4
	v_and_b32_e32 v31, 0xffff, v31
	v_and_b32_e32 v36, 0xffff, v36
	v_lshlrev_b32_e32 v40, 16, v40
	v_and_b32_e32 v37, 0xffff, v37
	v_and_b32_e32 v35, 0xffff, v35
	v_lshl_or_b32 v31, v30, 16, v31
	v_lshl_or_b32 v30, v34, 16, v36
	v_lshlrev_b32_e32 v34, 16, v39
	v_lshlrev_b32_e32 v36, 16, v38
	v_and_or_b32 v1, 0xffff, v1, v40
	;;#ASMSTART
	v_pk_mul_f16 v1, v31, v1;

	;;#ASMEND
	v_lshl_or_b32 v32, v32, 16, v37
	v_and_or_b32 v2, 0xffff, v2, v34
	v_and_or_b32 v3, 0xffff, v3, v36
	v_lshl_or_b32 v33, v33, 16, v35
	;;#ASMSTART
	v_pk_mul_f16 v2, v30, v2;

	;;#ASMEND
	;;#ASMSTART
	v_pk_mul_f16 v3, v32, v3;

	;;#ASMEND
	;; [unrolled: 4-line block ×3, first 2 shown]
	;;#ASMSTART
	v_pk_add_f16 v1, v1, v2;

	;;#ASMEND
	;;#ASMSTART
	v_pk_add_f16 v1, v1, v3;

	;;#ASMEND
	;; [unrolled: 4-line block ×3, first 2 shown]
	v_and_b32_e32 v2, 0xffff, v1
	v_lshrrev_b32_e32 v1, 16, v1
	;;#ASMSTART
	v_cvt_f32_f16 v34, v2;
	;;#ASMEND
	;;#ASMSTART
	v_cvt_f32_f16 v35, v1;
	;;#ASMEND
	global_load_b128 v[1:4], v[7:8], off offset:512
	s_wait_loadcnt 0x0
	v_lshrrev_b32_e32 v38, 16, v1
	v_lshrrev_b32_e32 v37, 16, v2
	;; [unrolled: 1-line block ×3, first 2 shown]
	s_and_saveexec_b32 s4, vcc_lo
	s_cbranch_execz .LBB100_37
; %bb.36:                               ;   in Loop: Header=BB100_33 Depth=1
	v_cmp_gt_i32_e64 s0, s25, v27
	v_and_b32_e32 v39, 0xffff, v4
	v_and_b32_e32 v4, 0xffff0000, v4
	s_wait_alu 0xf1ff
	s_delay_alu instid0(VALU_DEP_3) | instskip(SKIP_2) | instid1(VALU_DEP_1)
	v_cndmask_b32_e64 v1, 0, v1, s0
	v_cmp_gt_i32_e64 s0, s25, v29
	s_wait_alu 0xf1ff
	v_cndmask_b32_e64 v38, 0, v38, s0
	v_cmp_gt_i32_e64 s0, s25, v28
	s_wait_alu 0xf1ff
	s_delay_alu instid0(VALU_DEP_1) | instskip(SKIP_2) | instid1(VALU_DEP_1)
	v_cndmask_b32_e64 v2, 0, v2, s0
	v_cmp_gt_i32_e64 s0, s25, v25
	s_wait_alu 0xf1ff
	v_cndmask_b32_e64 v37, 0, v37, s0
	v_cmp_gt_i32_e64 s0, s25, v26
	s_wait_alu 0xf1ff
	s_delay_alu instid0(VALU_DEP_1) | instskip(SKIP_2) | instid1(VALU_DEP_1)
	v_cndmask_b32_e64 v39, 0, v39, s0
	v_cmp_gt_i32_e64 s0, s25, v21
	s_wait_alu 0xf1ff
	v_cndmask_b32_e64 v4, 0, v4, s0
	v_cmp_gt_i32_e64 s0, s25, v24
	s_delay_alu instid0(VALU_DEP_2) | instskip(SKIP_1) | instid1(VALU_DEP_2)
	v_or_b32_e32 v4, v39, v4
	s_wait_alu 0xf1ff
	v_cndmask_b32_e64 v3, 0, v3, s0
	v_cmp_gt_i32_e64 s0, s25, v23
	s_wait_alu 0xf1ff
	s_delay_alu instid0(VALU_DEP_1)
	v_cndmask_b32_e64 v36, 0, v36, s0
.LBB100_37:                             ;   in Loop: Header=BB100_33 Depth=1
	s_wait_alu 0xfffe
	s_or_b32 exec_lo, exec_lo, s4
	v_lshlrev_b32_e32 v38, 16, v38
	v_lshlrev_b32_e32 v37, 16, v37
	v_lshlrev_b32_e32 v36, 16, v36
	s_delay_alu instid0(VALU_DEP_3) | instskip(NEXT) | instid1(VALU_DEP_3)
	v_and_or_b32 v1, 0xffff, v1, v38
	v_and_or_b32 v2, 0xffff, v2, v37
	s_delay_alu instid0(VALU_DEP_3)
	v_and_or_b32 v3, 0xffff, v3, v36
	;;#ASMSTART
	v_pk_mul_f16 v1, v31, v1;

	;;#ASMEND
	;;#ASMSTART
	v_pk_mul_f16 v2, v30, v2;

	;;#ASMEND
	;; [unrolled: 4-line block ×4, first 2 shown]
	;;#ASMSTART
	v_pk_add_f16 v1, v1, v2;

	;;#ASMEND
	;;#ASMSTART
	v_pk_add_f16 v1, v1, v3;

	;;#ASMEND
	;; [unrolled: 4-line block ×3, first 2 shown]
	v_and_b32_e32 v2, 0xffff, v1
	v_lshrrev_b32_e32 v1, 16, v1
	;;#ASMSTART
	v_cvt_f32_f16 v36, v2;
	;;#ASMEND
	;;#ASMSTART
	v_cvt_f32_f16 v37, v1;
	;;#ASMEND
	global_load_b128 v[1:4], v[7:8], off offset:1024
	s_wait_loadcnt 0x0
	v_lshrrev_b32_e32 v40, 16, v1
	v_lshrrev_b32_e32 v39, 16, v2
	;; [unrolled: 1-line block ×3, first 2 shown]
	s_and_saveexec_b32 s4, vcc_lo
	s_cbranch_execz .LBB100_39
; %bb.38:                               ;   in Loop: Header=BB100_33 Depth=1
	v_cmp_gt_i32_e64 s0, s25, v27
	v_and_b32_e32 v41, 0xffff, v4
	v_and_b32_e32 v4, 0xffff0000, v4
	s_wait_alu 0xf1ff
	s_delay_alu instid0(VALU_DEP_3) | instskip(SKIP_2) | instid1(VALU_DEP_1)
	v_cndmask_b32_e64 v1, 0, v1, s0
	v_cmp_gt_i32_e64 s0, s25, v29
	s_wait_alu 0xf1ff
	v_cndmask_b32_e64 v40, 0, v40, s0
	v_cmp_gt_i32_e64 s0, s25, v28
	s_wait_alu 0xf1ff
	s_delay_alu instid0(VALU_DEP_1) | instskip(SKIP_2) | instid1(VALU_DEP_1)
	v_cndmask_b32_e64 v2, 0, v2, s0
	v_cmp_gt_i32_e64 s0, s25, v25
	s_wait_alu 0xf1ff
	v_cndmask_b32_e64 v39, 0, v39, s0
	v_cmp_gt_i32_e64 s0, s25, v26
	s_wait_alu 0xf1ff
	s_delay_alu instid0(VALU_DEP_1) | instskip(SKIP_2) | instid1(VALU_DEP_1)
	v_cndmask_b32_e64 v41, 0, v41, s0
	v_cmp_gt_i32_e64 s0, s25, v21
	s_wait_alu 0xf1ff
	v_cndmask_b32_e64 v4, 0, v4, s0
	v_cmp_gt_i32_e64 s0, s25, v24
	s_delay_alu instid0(VALU_DEP_2) | instskip(SKIP_1) | instid1(VALU_DEP_2)
	v_or_b32_e32 v4, v41, v4
	s_wait_alu 0xf1ff
	v_cndmask_b32_e64 v3, 0, v3, s0
	v_cmp_gt_i32_e64 s0, s25, v23
	s_wait_alu 0xf1ff
	s_delay_alu instid0(VALU_DEP_1)
	v_cndmask_b32_e64 v38, 0, v38, s0
.LBB100_39:                             ;   in Loop: Header=BB100_33 Depth=1
	s_wait_alu 0xfffe
	s_or_b32 exec_lo, exec_lo, s4
	v_lshlrev_b32_e32 v40, 16, v40
	v_lshlrev_b32_e32 v39, 16, v39
	;; [unrolled: 1-line block ×3, first 2 shown]
	s_delay_alu instid0(VALU_DEP_3) | instskip(NEXT) | instid1(VALU_DEP_3)
	v_and_or_b32 v1, 0xffff, v1, v40
	v_and_or_b32 v2, 0xffff, v2, v39
	s_delay_alu instid0(VALU_DEP_3)
	v_and_or_b32 v3, 0xffff, v3, v38
	;;#ASMSTART
	v_pk_mul_f16 v1, v31, v1;

	;;#ASMEND
	;;#ASMSTART
	v_pk_mul_f16 v2, v30, v2;

	;;#ASMEND
	;; [unrolled: 4-line block ×4, first 2 shown]
	;;#ASMSTART
	v_pk_add_f16 v1, v1, v2;

	;;#ASMEND
	;;#ASMSTART
	v_pk_add_f16 v1, v1, v3;

	;;#ASMEND
	;; [unrolled: 4-line block ×3, first 2 shown]
	v_and_b32_e32 v2, 0xffff, v1
	v_lshrrev_b32_e32 v1, 16, v1
	;;#ASMSTART
	v_cvt_f32_f16 v38, v2;
	;;#ASMEND
	;;#ASMSTART
	v_cvt_f32_f16 v39, v1;
	;;#ASMEND
	global_load_b128 v[1:4], v[7:8], off offset:1536
	s_wait_loadcnt 0x0
	v_lshrrev_b32_e32 v40, 16, v1
	v_lshrrev_b32_e32 v8, 16, v2
	;; [unrolled: 1-line block ×3, first 2 shown]
	s_and_saveexec_b32 s0, vcc_lo
	s_cbranch_execz .LBB100_32
; %bb.40:                               ;   in Loop: Header=BB100_33 Depth=1
	v_cmp_gt_i32_e32 vcc_lo, s25, v27
	v_and_b32_e32 v27, 0xffff, v4
	s_wait_alu 0xfffd
	v_cndmask_b32_e32 v1, 0, v1, vcc_lo
	v_cmp_gt_i32_e32 vcc_lo, s25, v29
	s_wait_alu 0xfffd
	v_cndmask_b32_e32 v40, 0, v40, vcc_lo
	v_cmp_gt_i32_e32 vcc_lo, s25, v28
	s_wait_alu 0xfffd
	v_cndmask_b32_e32 v2, 0, v2, vcc_lo
	v_cmp_gt_i32_e32 vcc_lo, s25, v25
	s_wait_alu 0xfffd
	v_cndmask_b32_e32 v8, 0, v8, vcc_lo
	v_cmp_gt_i32_e32 vcc_lo, s25, v26
	s_wait_alu 0xfffd
	v_dual_cndmask_b32 v25, 0, v27 :: v_dual_and_b32 v4, 0xffff0000, v4
	v_cmp_gt_i32_e32 vcc_lo, s25, v21
	s_wait_alu 0xfffd
	s_delay_alu instid0(VALU_DEP_2)
	v_cndmask_b32_e32 v4, 0, v4, vcc_lo
	v_cmp_gt_i32_e32 vcc_lo, s25, v24
	s_wait_alu 0xfffd
	v_cndmask_b32_e32 v3, 0, v3, vcc_lo
	v_cmp_gt_i32_e32 vcc_lo, s25, v23
	s_wait_alu 0xfffd
	v_cndmask_b32_e32 v7, 0, v7, vcc_lo
	v_or_b32_e32 v4, v25, v4
	s_branch .LBB100_32
.LBB100_41:
	s_or_b32 exec_lo, exec_lo, s3
.LBB100_42:
	s_wait_alu 0xfffe
	s_or_b32 exec_lo, exec_lo, s1
	ds_bpermute_b32 v1, v14, v17
	ds_bpermute_b32 v2, v14, v18
	;; [unrolled: 1-line block ×4, first 2 shown]
	v_lshrrev_b32_e32 v5, 1, v13
	v_lshlrev_b32_e32 v7, 8, v11
	v_and_b32_e32 v11, 0x3c1, v0
	s_mov_b32 s0, exec_lo
	s_wait_storecnt 0x0
	s_wait_loadcnt_dscnt 0x0
	v_lshl_add_u32 v6, v5, 2, 0xa0
	s_barrier_signal -1
	s_barrier_wait -1
	global_inv scope:SCOPE_SE
	v_dual_add_f32 v4, v17, v1 :: v_dual_add_f32 v3, v18, v2
	v_add_f32_e32 v2, v16, v8
	v_add_f32_e32 v1, v15, v12
	v_cmpx_eq_u32_e32 64, v11
	s_cbranch_execz .LBB100_44
; %bb.43:
	v_add_nc_u32_e32 v8, v6, v7
	s_delay_alu instid0(VALU_DEP_1)
	v_add_nc_u32_e32 v11, 0xfffffe00, v8
	v_add_nc_u32_e32 v12, 0xfffffe40, v8
	;; [unrolled: 1-line block ×4, first 2 shown]
	ds_store_b32 v11, v4
	ds_store_b32 v12, v3
	ds_store_b32 v13, v2
	ds_store_b32 v8, v1
.LBB100_44:
	s_wait_alu 0xfffe
	s_or_b32 exec_lo, exec_lo, s0
	v_lshlrev_b32_e32 v5, 2, v5
	s_mov_b32 s1, exec_lo
	v_cmp_eq_u32_e32 vcc_lo, 0, v10
	s_wait_loadcnt_dscnt 0x0
	s_barrier_signal -1
	v_add3_u32 v5, 0xa0, v7, v5
	s_barrier_wait -1
	global_inv scope:SCOPE_SE
	v_cmpx_gt_u32_e32 64, v0
	s_cbranch_execz .LBB100_51
; %bb.45:
	s_and_saveexec_b32 s0, vcc_lo
	s_cbranch_execnz .LBB100_63
; %bb.46:
	s_wait_alu 0xfffe
	s_or_b32 exec_lo, exec_lo, s0
	s_and_saveexec_b32 s0, vcc_lo
	s_cbranch_execnz .LBB100_64
.LBB100_47:
	s_wait_alu 0xfffe
	s_or_b32 exec_lo, exec_lo, s0
	s_and_saveexec_b32 s0, vcc_lo
	s_cbranch_execnz .LBB100_65
.LBB100_48:
	s_wait_alu 0xfffe
	s_or_b32 exec_lo, exec_lo, s0
	s_and_saveexec_b32 s0, vcc_lo
	s_cbranch_execz .LBB100_50
.LBB100_49:
	ds_load_b32 v7, v5 offset:192
	s_wait_dscnt 0x0
	v_add_f32_e32 v1, v1, v7
.LBB100_50:
	s_wait_alu 0xfffe
	s_or_b32 exec_lo, exec_lo, s0
.LBB100_51:
	s_wait_alu 0xfffe
	s_or_b32 exec_lo, exec_lo, s1
	v_and_b32_e32 v7, 0x3e1, v0
	s_mov_b32 s1, exec_lo
	s_wait_loadcnt 0x0
	s_barrier_signal -1
	s_barrier_wait -1
	global_inv scope:SCOPE_SE
	v_cmpx_eq_u32_e32 32, v7
	s_cbranch_execz .LBB100_53
; %bb.52:
	ds_store_2addr_b32 v6, v4, v3 offset1:16
	ds_store_2addr_b32 v6, v2, v1 offset0:32 offset1:48
.LBB100_53:
	s_wait_alu 0xfffe
	s_or_b32 exec_lo, exec_lo, s1
	s_delay_alu instid0(SALU_CYCLE_1)
	s_mov_b32 s1, exec_lo
	s_wait_loadcnt_dscnt 0x0
	s_barrier_signal -1
	s_barrier_wait -1
	global_inv scope:SCOPE_SE
	v_cmpx_gt_u32_e32 32, v0
	s_cbranch_execz .LBB100_60
; %bb.54:
	s_and_saveexec_b32 s0, vcc_lo
	s_cbranch_execnz .LBB100_66
; %bb.55:
	s_wait_alu 0xfffe
	s_or_b32 exec_lo, exec_lo, s0
	s_and_saveexec_b32 s0, vcc_lo
	s_cbranch_execnz .LBB100_67
.LBB100_56:
	s_wait_alu 0xfffe
	s_or_b32 exec_lo, exec_lo, s0
	s_and_saveexec_b32 s0, vcc_lo
	s_cbranch_execnz .LBB100_68
.LBB100_57:
	s_wait_alu 0xfffe
	s_or_b32 exec_lo, exec_lo, s0
	s_and_saveexec_b32 s0, vcc_lo
	s_cbranch_execz .LBB100_59
.LBB100_58:
	ds_load_b32 v0, v5 offset:192
	s_wait_dscnt 0x0
	v_add_f32_e32 v1, v1, v0
.LBB100_59:
	s_wait_alu 0xfffe
	s_or_b32 exec_lo, exec_lo, s0
.LBB100_60:
	s_wait_alu 0xfffe
	s_or_b32 exec_lo, exec_lo, s1
	s_mov_b32 s1, 0
	s_wait_loadcnt 0x0
	s_barrier_signal -1
	s_barrier_wait -1
	global_inv scope:SCOPE_SE
	s_mov_b32 s0, exec_lo
	v_cmpx_eq_u32_e32 0, v7
	s_cbranch_execz .LBB100_62
; %bb.61:
	s_lshl_b32 s2, s20, 6
	s_mul_i32 s4, s8, s12
	s_wait_alu 0xfffe
	s_ashr_i32 s3, s2, 31
	s_ashr_i32 s5, s4, 31
	s_wait_alu 0xfffe
	s_lshl_b64 s[2:3], s[2:3], 1
	s_lshl_b64 s[4:5], s[4:5], 1
	s_wait_alu 0xfffe
	s_add_nc_u64 s[2:3], s[10:11], s[2:3]
	v_lshlrev_b32_e32 v0, 1, v9
	s_lshl_b32 s0, s24, 7
	s_wait_alu 0xfffe
	s_add_nc_u64 s[2:3], s[2:3], s[4:5]
	;;#ASMSTART
	v_cvt_f16_f32 v4, v4;

	;;#ASMEND
	s_wait_alu 0xfffe
	s_add_nc_u64 s[0:1], s[2:3], s[0:1]
	global_store_b16 v0, v4, s[0:1]
	;;#ASMSTART
	v_cvt_f16_f32 v3, v3;

	;;#ASMEND
	global_store_b16 v0, v3, s[0:1] offset:32
	;;#ASMSTART
	v_cvt_f16_f32 v2, v2;

	;;#ASMEND
	global_store_b16 v0, v2, s[0:1] offset:64
	;; [unrolled: 5-line block ×3, first 2 shown]
.LBB100_62:
	s_endpgm
.LBB100_63:
	ds_load_b32 v7, v5
	s_wait_dscnt 0x0
	v_add_f32_e32 v4, v4, v7
	s_wait_alu 0xfffe
	s_or_b32 exec_lo, exec_lo, s0
	s_and_saveexec_b32 s0, vcc_lo
	s_cbranch_execz .LBB100_47
.LBB100_64:
	ds_load_b32 v7, v5 offset:64
	s_wait_dscnt 0x0
	v_add_f32_e32 v3, v3, v7
	s_wait_alu 0xfffe
	s_or_b32 exec_lo, exec_lo, s0
	s_and_saveexec_b32 s0, vcc_lo
	s_cbranch_execz .LBB100_48
.LBB100_65:
	ds_load_b32 v7, v5 offset:128
	s_wait_dscnt 0x0
	v_add_f32_e32 v2, v2, v7
	s_wait_alu 0xfffe
	s_or_b32 exec_lo, exec_lo, s0
	s_and_saveexec_b32 s0, vcc_lo
	s_cbranch_execnz .LBB100_49
	s_branch .LBB100_50
.LBB100_66:
	ds_load_b32 v0, v5
	s_wait_dscnt 0x0
	v_add_f32_e32 v4, v4, v0
	s_wait_alu 0xfffe
	s_or_b32 exec_lo, exec_lo, s0
	s_and_saveexec_b32 s0, vcc_lo
	s_cbranch_execz .LBB100_56
.LBB100_67:
	ds_load_b32 v0, v5 offset:64
	s_wait_dscnt 0x0
	v_add_f32_e32 v3, v3, v0
	s_wait_alu 0xfffe
	s_or_b32 exec_lo, exec_lo, s0
	s_and_saveexec_b32 s0, vcc_lo
	s_cbranch_execz .LBB100_57
.LBB100_68:
	ds_load_b32 v0, v5 offset:128
	s_wait_dscnt 0x0
	v_add_f32_e32 v2, v2, v0
	s_wait_alu 0xfffe
	s_or_b32 exec_lo, exec_lo, s0
	s_and_saveexec_b32 s0, vcc_lo
	s_cbranch_execnz .LBB100_58
	s_branch .LBB100_59
	.section	.rodata,"a",@progbits
	.p2align	6, 0x0
	.amdhsa_kernel _ZN4vllm25paged_attention_v2_kernelIttLi64ELi16ELi128ELNS_18Fp8KVCacheDataTypeE0ELb0ELi512EEEvPfS2_PT_PKS3_PKT0_S9_ifPKiSB_iPKfiiiSD_SD_iiiii
		.amdhsa_group_segment_fixed_size 160
		.amdhsa_private_segment_fixed_size 0
		.amdhsa_kernarg_size 400
		.amdhsa_user_sgpr_count 2
		.amdhsa_user_sgpr_dispatch_ptr 0
		.amdhsa_user_sgpr_queue_ptr 0
		.amdhsa_user_sgpr_kernarg_segment_ptr 1
		.amdhsa_user_sgpr_dispatch_id 0
		.amdhsa_user_sgpr_private_segment_size 0
		.amdhsa_wavefront_size32 1
		.amdhsa_uses_dynamic_stack 0
		.amdhsa_enable_private_segment 0
		.amdhsa_system_sgpr_workgroup_id_x 1
		.amdhsa_system_sgpr_workgroup_id_y 1
		.amdhsa_system_sgpr_workgroup_id_z 1
		.amdhsa_system_sgpr_workgroup_info 0
		.amdhsa_system_vgpr_workitem_id 0
		.amdhsa_next_free_vgpr 77
		.amdhsa_next_free_sgpr 32
		.amdhsa_reserve_vcc 1
		.amdhsa_float_round_mode_32 0
		.amdhsa_float_round_mode_16_64 0
		.amdhsa_float_denorm_mode_32 3
		.amdhsa_float_denorm_mode_16_64 3
		.amdhsa_fp16_overflow 0
		.amdhsa_workgroup_processor_mode 1
		.amdhsa_memory_ordered 1
		.amdhsa_forward_progress 1
		.amdhsa_inst_pref_size 45
		.amdhsa_round_robin_scheduling 0
		.amdhsa_exception_fp_ieee_invalid_op 0
		.amdhsa_exception_fp_denorm_src 0
		.amdhsa_exception_fp_ieee_div_zero 0
		.amdhsa_exception_fp_ieee_overflow 0
		.amdhsa_exception_fp_ieee_underflow 0
		.amdhsa_exception_fp_ieee_inexact 0
		.amdhsa_exception_int_div_zero 0
	.end_amdhsa_kernel
	.section	.text._ZN4vllm25paged_attention_v2_kernelIttLi64ELi16ELi128ELNS_18Fp8KVCacheDataTypeE0ELb0ELi512EEEvPfS2_PT_PKS3_PKT0_S9_ifPKiSB_iPKfiiiSD_SD_iiiii,"axG",@progbits,_ZN4vllm25paged_attention_v2_kernelIttLi64ELi16ELi128ELNS_18Fp8KVCacheDataTypeE0ELb0ELi512EEEvPfS2_PT_PKS3_PKT0_S9_ifPKiSB_iPKfiiiSD_SD_iiiii,comdat
.Lfunc_end100:
	.size	_ZN4vllm25paged_attention_v2_kernelIttLi64ELi16ELi128ELNS_18Fp8KVCacheDataTypeE0ELb0ELi512EEEvPfS2_PT_PKS3_PKT0_S9_ifPKiSB_iPKfiiiSD_SD_iiiii, .Lfunc_end100-_ZN4vllm25paged_attention_v2_kernelIttLi64ELi16ELi128ELNS_18Fp8KVCacheDataTypeE0ELb0ELi512EEEvPfS2_PT_PKS3_PKT0_S9_ifPKiSB_iPKfiiiSD_SD_iiiii
                                        ; -- End function
	.set _ZN4vllm25paged_attention_v2_kernelIttLi64ELi16ELi128ELNS_18Fp8KVCacheDataTypeE0ELb0ELi512EEEvPfS2_PT_PKS3_PKT0_S9_ifPKiSB_iPKfiiiSD_SD_iiiii.num_vgpr, 77
	.set _ZN4vllm25paged_attention_v2_kernelIttLi64ELi16ELi128ELNS_18Fp8KVCacheDataTypeE0ELb0ELi512EEEvPfS2_PT_PKS3_PKT0_S9_ifPKiSB_iPKfiiiSD_SD_iiiii.num_agpr, 0
	.set _ZN4vllm25paged_attention_v2_kernelIttLi64ELi16ELi128ELNS_18Fp8KVCacheDataTypeE0ELb0ELi512EEEvPfS2_PT_PKS3_PKT0_S9_ifPKiSB_iPKfiiiSD_SD_iiiii.numbered_sgpr, 32
	.set _ZN4vllm25paged_attention_v2_kernelIttLi64ELi16ELi128ELNS_18Fp8KVCacheDataTypeE0ELb0ELi512EEEvPfS2_PT_PKS3_PKT0_S9_ifPKiSB_iPKfiiiSD_SD_iiiii.num_named_barrier, 0
	.set _ZN4vllm25paged_attention_v2_kernelIttLi64ELi16ELi128ELNS_18Fp8KVCacheDataTypeE0ELb0ELi512EEEvPfS2_PT_PKS3_PKT0_S9_ifPKiSB_iPKfiiiSD_SD_iiiii.private_seg_size, 0
	.set _ZN4vllm25paged_attention_v2_kernelIttLi64ELi16ELi128ELNS_18Fp8KVCacheDataTypeE0ELb0ELi512EEEvPfS2_PT_PKS3_PKT0_S9_ifPKiSB_iPKfiiiSD_SD_iiiii.uses_vcc, 1
	.set _ZN4vllm25paged_attention_v2_kernelIttLi64ELi16ELi128ELNS_18Fp8KVCacheDataTypeE0ELb0ELi512EEEvPfS2_PT_PKS3_PKT0_S9_ifPKiSB_iPKfiiiSD_SD_iiiii.uses_flat_scratch, 0
	.set _ZN4vllm25paged_attention_v2_kernelIttLi64ELi16ELi128ELNS_18Fp8KVCacheDataTypeE0ELb0ELi512EEEvPfS2_PT_PKS3_PKT0_S9_ifPKiSB_iPKfiiiSD_SD_iiiii.has_dyn_sized_stack, 0
	.set _ZN4vllm25paged_attention_v2_kernelIttLi64ELi16ELi128ELNS_18Fp8KVCacheDataTypeE0ELb0ELi512EEEvPfS2_PT_PKS3_PKT0_S9_ifPKiSB_iPKfiiiSD_SD_iiiii.has_recursion, 0
	.set _ZN4vllm25paged_attention_v2_kernelIttLi64ELi16ELi128ELNS_18Fp8KVCacheDataTypeE0ELb0ELi512EEEvPfS2_PT_PKS3_PKT0_S9_ifPKiSB_iPKfiiiSD_SD_iiiii.has_indirect_call, 0
	.section	.AMDGPU.csdata,"",@progbits
; Kernel info:
; codeLenInByte = 5668
; TotalNumSgprs: 34
; NumVgprs: 77
; ScratchSize: 0
; MemoryBound: 0
; FloatMode: 240
; IeeeMode: 1
; LDSByteSize: 160 bytes/workgroup (compile time only)
; SGPRBlocks: 0
; VGPRBlocks: 9
; NumSGPRsForWavesPerEU: 34
; NumVGPRsForWavesPerEU: 77
; Occupancy: 16
; WaveLimiterHint : 1
; COMPUTE_PGM_RSRC2:SCRATCH_EN: 0
; COMPUTE_PGM_RSRC2:USER_SGPR: 2
; COMPUTE_PGM_RSRC2:TRAP_HANDLER: 0
; COMPUTE_PGM_RSRC2:TGID_X_EN: 1
; COMPUTE_PGM_RSRC2:TGID_Y_EN: 1
; COMPUTE_PGM_RSRC2:TGID_Z_EN: 1
; COMPUTE_PGM_RSRC2:TIDIG_COMP_CNT: 0
	.section	.text._ZN4vllm25paged_attention_v2_kernelIttLi80ELi16ELi128ELNS_18Fp8KVCacheDataTypeE0ELb0ELi512EEEvPfS2_PT_PKS3_PKT0_S9_ifPKiSB_iPKfiiiSD_SD_iiiii,"axG",@progbits,_ZN4vllm25paged_attention_v2_kernelIttLi80ELi16ELi128ELNS_18Fp8KVCacheDataTypeE0ELb0ELi512EEEvPfS2_PT_PKS3_PKT0_S9_ifPKiSB_iPKfiiiSD_SD_iiiii,comdat
	.protected	_ZN4vllm25paged_attention_v2_kernelIttLi80ELi16ELi128ELNS_18Fp8KVCacheDataTypeE0ELb0ELi512EEEvPfS2_PT_PKS3_PKT0_S9_ifPKiSB_iPKfiiiSD_SD_iiiii ; -- Begin function _ZN4vllm25paged_attention_v2_kernelIttLi80ELi16ELi128ELNS_18Fp8KVCacheDataTypeE0ELb0ELi512EEEvPfS2_PT_PKS3_PKT0_S9_ifPKiSB_iPKfiiiSD_SD_iiiii
	.globl	_ZN4vllm25paged_attention_v2_kernelIttLi80ELi16ELi128ELNS_18Fp8KVCacheDataTypeE0ELb0ELi512EEEvPfS2_PT_PKS3_PKT0_S9_ifPKiSB_iPKfiiiSD_SD_iiiii
	.p2align	8
	.type	_ZN4vllm25paged_attention_v2_kernelIttLi80ELi16ELi128ELNS_18Fp8KVCacheDataTypeE0ELb0ELi512EEEvPfS2_PT_PKS3_PKT0_S9_ifPKiSB_iPKfiiiSD_SD_iiiii,@function
_ZN4vllm25paged_attention_v2_kernelIttLi80ELi16ELi128ELNS_18Fp8KVCacheDataTypeE0ELb0ELi512EEEvPfS2_PT_PKS3_PKT0_S9_ifPKiSB_iPKfiiiSD_SD_iiiii: ; @_ZN4vllm25paged_attention_v2_kernelIttLi80ELi16ELi128ELNS_18Fp8KVCacheDataTypeE0ELb0ELi512EEEvPfS2_PT_PKS3_PKT0_S9_ifPKiSB_iPKfiiiSD_SD_iiiii
; %bb.0:
	s_load_b64 s[2:3], s[0:1], 0x40
	s_and_b32 s18, ttmp7, 0xffff
	s_lshr_b32 s24, ttmp7, 16
	s_lshl_b32 s4, s18, 2
	s_lshl_b32 s26, s24, 9
	s_wait_kmcnt 0x0
	s_load_b32 s25, s[2:3], s4 offset:0x0
	s_wait_kmcnt 0x0
	s_cmp_ge_i32 s26, s25
	s_cbranch_scc1 .LBB101_66
; %bb.1:
	s_clause 0x1
	s_load_b32 s19, s[0:1], 0x90
	s_load_b64 s[6:7], s[0:1], 0x30
	s_wait_kmcnt 0x0
	s_abs_i32 s5, s19
	s_abs_i32 s2, s6
	s_delay_alu instid0(SALU_CYCLE_1) | instskip(SKIP_1) | instid1(SALU_CYCLE_2)
	s_cvt_f32_u32 s3, s2
	s_sub_co_i32 s4, 0, s2
	v_rcp_iflag_f32_e32 v1, s3
	s_delay_alu instid0(TRANS32_DEP_1) | instskip(SKIP_2) | instid1(SALU_CYCLE_2)
	v_readfirstlane_b32 s3, v1
	s_mul_f32 s3, s3, 0x4f7ffffe
	s_wait_alu 0xfffe
	s_cvt_u32_f32 s3, s3
	s_wait_alu 0xfffe
	s_delay_alu instid0(SALU_CYCLE_2) | instskip(NEXT) | instid1(SALU_CYCLE_1)
	s_mul_i32 s4, s4, s3
	s_mul_hi_u32 s4, s3, s4
	s_delay_alu instid0(SALU_CYCLE_1)
	s_add_co_i32 s3, s3, s4
	s_xor_b32 s4, s19, s6
	s_wait_alu 0xfffe
	s_mul_hi_u32 s3, s5, s3
	s_ashr_i32 s4, s4, 31
	s_wait_alu 0xfffe
	s_mul_i32 s6, s3, s2
	s_delay_alu instid0(SALU_CYCLE_1)
	s_sub_co_i32 s5, s5, s6
	s_add_co_i32 s6, s3, 1
	s_sub_co_i32 s8, s5, s2
	s_cmp_ge_u32 s5, s2
	s_cselect_b32 s3, s6, s3
	s_cselect_b32 s5, s8, s5
	s_wait_alu 0xfffe
	s_add_co_i32 s6, s3, 1
	s_cmp_ge_u32 s5, s2
	s_load_b64 s[8:9], s[0:1], 0x50
	s_cselect_b32 s2, s6, s3
	s_mov_b32 s3, 0
	s_wait_alu 0xfffe
	s_xor_b32 s2, s2, s4
	s_mov_b32 s6, s3
	s_wait_alu 0xfffe
	s_sub_co_i32 s12, s2, s4
	s_delay_alu instid0(SALU_CYCLE_1) | instskip(NEXT) | instid1(SALU_CYCLE_1)
	s_abs_i32 s11, s12
	s_cvt_f32_u32 s2, s11
	s_wait_alu 0xfffe
	s_delay_alu instid0(SALU_CYCLE_2) | instskip(NEXT) | instid1(TRANS32_DEP_1)
	v_rcp_iflag_f32_e32 v1, s2
	v_readfirstlane_b32 s2, v1
	s_mul_f32 s2, s2, 0x4f7ffffe
	s_wait_alu 0xfffe
	s_delay_alu instid0(SALU_CYCLE_2) | instskip(SKIP_2) | instid1(SALU_CYCLE_1)
	s_cvt_u32_f32 s4, s2
	s_sub_co_i32 s2, 0, s11
	s_wait_alu 0xfffe
	s_mul_i32 s2, s2, s4
	s_wait_alu 0xfffe
	s_mul_hi_u32 s5, s4, s2
	s_abs_i32 s2, ttmp9
	s_add_co_i32 s4, s4, s5
	s_mov_b32 s5, s3
	s_wait_kmcnt 0x0
	s_cmp_eq_u64 s[8:9], 0
	s_cbranch_scc1 .LBB101_3
; %bb.2:
	s_mov_b32 s14, ttmp9
	s_ashr_i32 s15, ttmp9, 31
	s_delay_alu instid0(SALU_CYCLE_1) | instskip(NEXT) | instid1(SALU_CYCLE_1)
	s_lshl_b64 s[14:15], s[14:15], 2
	s_add_nc_u64 s[8:9], s[8:9], s[14:15]
	s_load_b32 s6, s[8:9], 0x0
.LBB101_3:
	s_load_b96 s[8:10], s[0:1], 0x58
	v_lshrrev_b32_e32 v9, 1, v0
	v_and_b32_e32 v10, 1, v0
	v_lshlrev_b32_e32 v5, 3, v0
	s_mul_u64 s[4:5], s[2:3], s[4:5]
	s_ashr_i32 s3, ttmp9, 31
	s_ashr_i32 s4, s12, 31
	s_mul_i32 s12, ttmp9, 0x50
	s_mov_b32 s14, exec_lo
	v_cmpx_gt_u32_e32 20, v0
	s_cbranch_execz .LBB101_5
; %bb.4:
	s_load_b64 s[16:17], s[0:1], 0x18
	s_wait_kmcnt 0x0
	s_mul_i32 s20, s8, s18
	s_ashr_i32 s13, s12, 31
	s_ashr_i32 s21, s20, 31
	v_lshlrev_b32_e32 v3, 3, v9
	s_lshl_b64 s[20:21], s[20:21], 1
	s_delay_alu instid0(VALU_DEP_1) | instskip(SKIP_2) | instid1(SALU_CYCLE_1)
	v_mad_u32_u24 v3, 0x50, v10, v3
	s_add_nc_u64 s[16:17], s[16:17], s[20:21]
	s_lshl_b64 s[20:21], s[12:13], 1
	s_add_nc_u64 s[16:17], s[16:17], s[20:21]
	global_load_b64 v[1:2], v5, s[16:17]
	s_wait_loadcnt 0x0
	ds_store_b64 v3, v[1:2]
.LBB101_5:
	s_or_b32 exec_lo, exec_lo, s14
	s_wait_kmcnt 0x0
	s_add_co_i32 s8, s25, 15
	s_wait_alu 0xfffe
	s_xor_b32 s3, s3, s4
	s_ashr_i32 s13, s8, 31
	s_lshl_b32 s28, s24, 5
	s_lshr_b32 s4, s13, 28
	s_mul_i32 s13, s5, s11
	s_add_co_i32 s8, s8, s4
	s_add_co_i32 s4, s28, 32
	s_ashr_i32 s27, s8, 4
	s_load_b32 s8, s[0:1], 0x48
	s_sub_co_i32 s2, s2, s13
	s_min_i32 s13, s4, s27
	s_add_co_i32 s4, s5, 1
	s_wait_alu 0xfffe
	s_sub_co_i32 s14, s2, s11
	s_cmp_ge_u32 s2, s11
	v_lshrrev_b32_e32 v11, 5, v0
	s_cselect_b32 s4, s4, s5
	s_cselect_b32 s2, s14, s2
	s_add_co_i32 s5, s4, 1
	s_wait_alu 0xfffe
	s_cmp_ge_u32 s2, s11
	v_or_b32_e32 v12, s28, v11
	s_cselect_b32 s2, s5, s4
	v_mbcnt_lo_u32_b32 v7, -1, 0
	s_wait_alu 0xfffe
	s_xor_b32 s2, s2, s3
	s_mov_b32 s4, exec_lo
	s_wait_alu 0xfffe
	s_sub_co_i32 s3, s2, s3
	v_cmp_gt_i32_e64 s2, s13, v12
	s_wait_dscnt 0x0
	s_barrier_signal -1
	s_wait_kmcnt 0x0
	s_mul_i32 s14, s8, s18
	s_barrier_wait -1
	s_ashr_i32 s15, s14, 31
	global_inv scope:SCOPE_SE
                                        ; implicit-def: $vgpr8
                                        ; implicit-def: $vgpr14
	v_cmpx_le_i32_e64 s13, v12
	s_xor_b32 s4, exec_lo, s4
; %bb.6:
	v_mov_b32_e32 v8, 0
	v_mbcnt_lo_u32_b32 v7, -1, 0
	v_mov_b32_e32 v14, 32
; %bb.7:
	s_or_saveexec_b32 s11, s4
	s_clause 0x1
	s_load_b64 s[16:17], s[0:1], 0x38
	s_load_b32 s8, s[0:1], 0x98
	v_dual_mov_b32 v13, 0xff7fffff :: v_dual_lshlrev_b32 v6, 2, v12
	s_mul_i32 s20, s3, s10
	s_xor_b32 exec_lo, exec_lo, s11
	s_cbranch_execz .LBB101_13
; %bb.8:
	s_load_b64 s[4:5], s[0:1], 0x20
	v_bfe_u32 v1, v0, 1, 4
	s_ashr_i32 s21, s20, 31
	v_dual_mov_b32 v8, 0 :: v_dual_lshlrev_b32 v3, 4, v11
	s_lshl_b64 s[22:23], s[20:21], 1
	s_delay_alu instid0(VALU_DEP_2) | instskip(SKIP_4) | instid1(VALU_DEP_3)
	v_dual_mov_b32 v21, v12 :: v_dual_lshlrev_b32 v4, 4, v1
	v_dual_mov_b32 v14, 32 :: v_dual_lshlrev_b32 v13, 2, v1
	s_cmp_neq_f32 s6, 0
	v_and_b32_e32 v2, 8, v5
	v_add3_u32 v16, s26, v3, v1
	v_lshl_or_b32 v1, v11, 6, v13
	s_cselect_b32 s3, -1, 0
	s_lshl_b64 s[30:31], s[14:15], 2
	v_mov_b32_e32 v13, 0xff7fffff
	s_wait_kmcnt 0x0
	s_add_nc_u64 s[30:31], s[16:17], s[30:31]
	v_add_nc_u32_e32 v17, 0xc0, v1
	v_mul_u32_u24_e32 v15, 0x50, v10
	s_add_nc_u64 s[4:5], s[4:5], s[22:23]
	v_xor_b32_e32 v20, 1, v7
	v_add_co_u32 v3, s4, s4, v4
	s_wait_alu 0xf1ff
	v_add_co_ci_u32_e64 v4, null, s5, 0, s4
	s_mov_b32 s21, s9
	v_add_co_u32 v18, s4, v3, v2
	s_wait_alu 0xf1ff
	v_add_co_ci_u32_e64 v19, null, 0, v4, s4
	v_add_co_u32 v1, s4, s30, v6
	s_wait_alu 0xf1ff
	v_add_co_ci_u32_e64 v2, null, s31, 0, s4
	s_mov_b32 s10, 0
	s_sub_co_i32 s22, 1, s25
	v_cmp_eq_u32_e32 vcc_lo, 0, v10
	s_branch .LBB101_10
.LBB101_9:                              ;   in Loop: Header=BB101_10 Depth=1
	s_wait_alu 0xfffe
	s_or_b32 exec_lo, exec_lo, s5
	v_add_nc_u32_e32 v21, 4, v21
	v_add_co_u32 v1, s5, v1, 16
	v_add_nc_u32_e32 v16, 64, v16
	v_add_nc_u32_e32 v17, 0x100, v17
	s_delay_alu instid0(VALU_DEP_4) | instskip(SKIP_3) | instid1(SALU_CYCLE_1)
	v_cmp_le_i32_e64 s4, s13, v21
	s_wait_alu 0xf1ff
	v_add_co_ci_u32_e64 v2, null, 0, v2, s5
	s_or_b32 s10, s4, s10
	s_and_not1_b32 exec_lo, exec_lo, s10
	s_cbranch_execz .LBB101_12
.LBB101_10:                             ; =>This Inner Loop Header: Depth=1
	global_load_b32 v3, v[1:2], off
	s_wait_loadcnt_dscnt 0x0
	v_mad_co_i64_i32 v[3:4], null, v3, s21, 0
	s_delay_alu instid0(VALU_DEP_1) | instskip(NEXT) | instid1(VALU_DEP_1)
	v_lshlrev_b64_e32 v[3:4], 1, v[3:4]
	v_add_co_u32 v3, s4, v18, v3
	s_wait_alu 0xf1ff
	s_delay_alu instid0(VALU_DEP_2)
	v_add_co_ci_u32_e64 v4, null, v19, v4, s4
	v_cmp_gt_i32_e64 s4, 32, v20
	s_clause 0x9
	global_load_b64 v[22:23], v[3:4], off
	global_load_b64 v[24:25], v[3:4], off offset:256
	global_load_b64 v[26:27], v[3:4], off offset:512
	;; [unrolled: 1-line block ×9, first 2 shown]
	ds_load_b64 v[40:41], v15
	s_wait_dscnt 0x0
	v_and_b32_e32 v42, 0xffff, v40
	v_lshrrev_b32_e32 v43, 16, v40
	v_lshrrev_b32_e32 v45, 16, v41
	v_and_b32_e32 v44, 0xffff, v41
	;;#ASMSTART
	v_cvt_f32_f16 v40, v42;
	;;#ASMEND
	;;#ASMSTART
	v_cvt_f32_f16 v41, v43;
	;;#ASMEND
	s_wait_loadcnt 0x9
	v_and_b32_e32 v42, 0xffff, v22
	v_lshrrev_b32_e32 v22, 16, v22
	v_lshrrev_b32_e32 v47, 16, v23
	v_and_b32_e32 v23, 0xffff, v23
	;;#ASMSTART
	v_cvt_f32_f16 v42, v42;
	;;#ASMEND
	;;#ASMSTART
	v_cvt_f32_f16 v43, v22;
	;;#ASMEND
	;; [unrolled: 3-line block ×6, first 2 shown]
	ds_load_b64 v[22:23], v15 offset:8
	s_wait_loadcnt 0x8
	v_lshrrev_b32_e32 v49, 16, v24
	v_and_b32_e32 v48, 0xffff, v24
	v_lshrrev_b32_e32 v53, 16, v25
	v_and_b32_e32 v52, 0xffff, v25
	s_wait_loadcnt 0x7
	v_lshrrev_b32_e32 v55, 16, v26
	v_and_b32_e32 v54, 0xffff, v26
	v_lshrrev_b32_e32 v59, 16, v27
	v_and_b32_e32 v58, 0xffff, v27
	;; [unrolled: 5-line block ×4, first 2 shown]
	s_wait_loadcnt 0x4
	v_lshrrev_b32_e32 v73, 16, v32
	v_and_b32_e32 v72, 0xffff, v32
	v_lshrrev_b32_e32 v77, 16, v33
	s_wait_dscnt 0x0
	v_and_b32_e32 v24, 0xffff, v22
	v_lshrrev_b32_e32 v22, 16, v22
	v_lshrrev_b32_e32 v51, 16, v23
	v_and_b32_e32 v23, 0xffff, v23
	;;#ASMSTART
	v_cvt_f32_f16 v24, v24;
	;;#ASMEND
	;;#ASMSTART
	v_cvt_f32_f16 v25, v22;
	;;#ASMEND
	;; [unrolled: 3-line block ×8, first 2 shown]
	ds_load_b64 v[22:23], v15 offset:16
	v_mul_f32_e32 v24, v24, v48
	v_mul_f32_e32 v50, v50, v52
	v_and_b32_e32 v76, 0xffff, v33
	s_wait_loadcnt 0x3
	v_lshrrev_b32_e32 v79, 16, v34
	v_and_b32_e32 v78, 0xffff, v34
	v_fmac_f32_e32 v24, v40, v42
	v_lshrrev_b32_e32 v83, 16, v35
	v_and_b32_e32 v82, 0xffff, v35
	s_wait_loadcnt 0x2
	v_lshrrev_b32_e32 v84, 16, v36
	v_lshrrev_b32_e32 v86, 16, v37
	s_wait_loadcnt 0x1
	v_lshrrev_b32_e32 v88, 16, v38
	v_mul_f32_e32 v25, v25, v49
	v_mul_f32_e32 v51, v51, v53
	v_lshrrev_b32_e32 v40, 16, v39
	s_delay_alu instid0(VALU_DEP_3) | instskip(NEXT) | instid1(VALU_DEP_3)
	v_dual_fmac_f32 v50, v44, v46 :: v_dual_fmac_f32 v25, v41, v43
	v_fmac_f32_e32 v51, v45, v47
	s_wait_loadcnt 0x0
	v_lshrrev_b32_e32 v41, 16, v3
	s_wait_dscnt 0x0
	v_and_b32_e32 v26, 0xffff, v22
	v_lshrrev_b32_e32 v22, 16, v22
	v_lshrrev_b32_e32 v57, 16, v23
	v_and_b32_e32 v23, 0xffff, v23
	;;#ASMSTART
	v_cvt_f32_f16 v26, v26;
	;;#ASMEND
	;;#ASMSTART
	v_cvt_f32_f16 v27, v22;
	;;#ASMEND
	;; [unrolled: 3-line block ×8, first 2 shown]
	ds_load_b64 v[22:23], v15 offset:24
	v_fmac_f32_e32 v25, v27, v55
	v_dual_fmac_f32 v51, v57, v59 :: v_dual_fmac_f32 v24, v26, v54
	v_fmac_f32_e32 v50, v56, v58
	s_wait_dscnt 0x0
	v_and_b32_e32 v28, 0xffff, v22
	v_lshrrev_b32_e32 v22, 16, v22
	v_lshrrev_b32_e32 v63, 16, v23
	v_and_b32_e32 v23, 0xffff, v23
	;;#ASMSTART
	v_cvt_f32_f16 v28, v28;
	;;#ASMEND
	;;#ASMSTART
	v_cvt_f32_f16 v29, v22;
	;;#ASMEND
	;; [unrolled: 3-line block ×8, first 2 shown]
	ds_load_b64 v[22:23], v15 offset:32
	v_dual_fmac_f32 v50, v62, v64 :: v_dual_and_b32 v87, 0xffff, v37
	v_fmac_f32_e32 v25, v29, v61
	v_dual_fmac_f32 v51, v63, v65 :: v_dual_fmac_f32 v24, v28, v60
	s_wait_dscnt 0x0
	v_and_b32_e32 v30, 0xffff, v22
	v_lshrrev_b32_e32 v22, 16, v22
	v_lshrrev_b32_e32 v69, 16, v23
	v_and_b32_e32 v23, 0xffff, v23
	;;#ASMSTART
	v_cvt_f32_f16 v30, v30;
	;;#ASMEND
	;;#ASMSTART
	v_cvt_f32_f16 v31, v22;
	;;#ASMEND
	;; [unrolled: 3-line block ×8, first 2 shown]
	ds_load_b64 v[22:23], v15 offset:40
	v_dual_fmac_f32 v24, v30, v66 :: v_dual_and_b32 v85, 0xffff, v36
	v_fmac_f32_e32 v25, v31, v67
	v_dual_fmac_f32 v51, v69, v71 :: v_dual_fmac_f32 v50, v68, v70
	s_wait_dscnt 0x0
	v_and_b32_e32 v32, 0xffff, v22
	v_lshrrev_b32_e32 v22, 16, v22
	v_lshrrev_b32_e32 v75, 16, v23
	v_and_b32_e32 v23, 0xffff, v23
	;;#ASMSTART
	v_cvt_f32_f16 v32, v32;
	;;#ASMEND
	;;#ASMSTART
	v_cvt_f32_f16 v33, v22;
	;;#ASMEND
	;; [unrolled: 3-line block ×8, first 2 shown]
	ds_load_b64 v[22:23], v15 offset:48
	v_dual_fmac_f32 v24, v32, v72 :: v_dual_and_b32 v89, 0xffff, v38
	v_dual_fmac_f32 v50, v74, v76 :: v_dual_and_b32 v39, 0xffff, v39
	v_fmac_f32_e32 v25, v33, v73
	v_dual_fmac_f32 v51, v75, v77 :: v_dual_and_b32 v32, 0xffff, v3
	v_lshrrev_b32_e32 v33, 16, v4
	s_wait_dscnt 0x0
	v_and_b32_e32 v34, 0xffff, v22
	v_lshrrev_b32_e32 v22, 16, v22
	v_lshrrev_b32_e32 v81, 16, v23
	v_and_b32_e32 v23, 0xffff, v23
	;;#ASMSTART
	v_cvt_f32_f16 v34, v34;
	;;#ASMEND
	;;#ASMSTART
	v_cvt_f32_f16 v35, v22;
	;;#ASMEND
	;; [unrolled: 3-line block ×8, first 2 shown]
	ds_load_b64 v[22:23], v15 offset:56
	v_dual_fmac_f32 v24, v34, v78 :: v_dual_fmac_f32 v25, v35, v79
	v_dual_fmac_f32 v51, v81, v83 :: v_dual_and_b32 v34, 0xffff, v4
	s_wait_dscnt 0x0
	v_and_b32_e32 v36, 0xffff, v22
	v_lshrrev_b32_e32 v22, 16, v22
	v_lshrrev_b32_e32 v90, 16, v23
	v_and_b32_e32 v23, 0xffff, v23
	;;#ASMSTART
	v_cvt_f32_f16 v36, v36;
	;;#ASMEND
	;;#ASMSTART
	v_cvt_f32_f16 v37, v22;
	;;#ASMEND
	;; [unrolled: 3-line block ×8, first 2 shown]
	ds_load_b64 v[22:23], v15 offset:64
	v_dual_fmac_f32 v24, v36, v38 :: v_dual_fmac_f32 v25, v37, v48
	v_fmac_f32_e32 v51, v84, v86
	s_wait_dscnt 0x0
	v_and_b32_e32 v26, 0xffff, v22
	v_lshrrev_b32_e32 v22, 16, v22
	v_lshrrev_b32_e32 v31, 16, v23
	v_and_b32_e32 v23, 0xffff, v23
	;;#ASMSTART
	v_cvt_f32_f16 v26, v26;
	;;#ASMEND
	;;#ASMSTART
	v_cvt_f32_f16 v27, v22;
	;;#ASMEND
	;; [unrolled: 3-line block ×8, first 2 shown]
	ds_load_b64 v[22:23], v15 offset:72
	v_fmac_f32_e32 v50, v80, v82
	v_dual_fmac_f32 v24, v26, v28 :: v_dual_fmac_f32 v25, v27, v29
	v_fmac_f32_e32 v51, v31, v40
	s_wait_dscnt 0x0
	s_delay_alu instid0(VALU_DEP_3)
	v_dual_fmac_f32 v50, v49, v85 :: v_dual_and_b32 v27, 0xffff, v23
	v_and_b32_e32 v3, 0xffff, v22
	v_lshrrev_b32_e32 v4, 16, v22
	v_lshrrev_b32_e32 v26, 16, v23
	;;#ASMSTART
	v_cvt_f32_f16 v3, v3;
	;;#ASMEND
	v_fmac_f32_e32 v50, v30, v39
	;;#ASMSTART
	v_cvt_f32_f16 v4, v4;
	;;#ASMEND
	;;#ASMSTART
	v_cvt_f32_f16 v22, v32;
	;;#ASMEND
	;;#ASMSTART
	v_cvt_f32_f16 v23, v41;
	;;#ASMEND
	v_dual_fmac_f32 v24, v3, v22 :: v_dual_fmac_f32 v25, v4, v23
	;;#ASMSTART
	v_cvt_f32_f16 v3, v27;
	;;#ASMEND
	;;#ASMSTART
	v_cvt_f32_f16 v4, v26;
	;;#ASMEND
	;; [unrolled: 3-line block ×3, first 2 shown]
	s_delay_alu instid0(VALU_DEP_1) | instskip(SKIP_4) | instid1(VALU_DEP_1)
	v_dual_fmac_f32 v50, v3, v22 :: v_dual_add_f32 v3, v24, v25
	;;#ASMSTART
	v_cvt_f32_f16 v22, v33;
	;;#ASMEND
	v_fmac_f32_e32 v51, v4, v22
	s_wait_alu 0xf1ff
	v_cndmask_b32_e64 v4, v7, v20, s4
	v_dual_add_f32 v3, v3, v50 :: v_dual_lshlrev_b32 v4, 2, v4
	s_delay_alu instid0(VALU_DEP_1)
	v_add_f32_e32 v3, v51, v3
	ds_bpermute_b32 v4, v4, v3
	s_and_saveexec_b32 s5, vcc_lo
	s_cbranch_execz .LBB101_9
; %bb.11:                               ;   in Loop: Header=BB101_10 Depth=1
	v_add_nc_u32_e32 v22, s22, v16
	v_cmp_gt_i32_e64 s4, s25, v16
	s_wait_dscnt 0x0
	v_add_f32_e32 v3, v3, v4
	s_delay_alu instid0(VALU_DEP_3) | instskip(NEXT) | instid1(VALU_DEP_1)
	v_cvt_f32_i32_e32 v22, v22
	v_mul_f32_e32 v22, s6, v22
	s_wait_alu 0xfffe
	s_delay_alu instid0(VALU_DEP_1) | instskip(SKIP_1) | instid1(VALU_DEP_2)
	v_cndmask_b32_e64 v4, 0, v22, s3
	v_max_num_f32_e32 v22, v13, v13
	v_fmac_f32_e32 v4, s7, v3
	s_delay_alu instid0(VALU_DEP_1) | instskip(SKIP_2) | instid1(VALU_DEP_2)
	v_max_num_f32_e32 v3, v22, v4
	s_wait_alu 0xf1ff
	v_cndmask_b32_e64 v4, 0, v4, s4
	v_cndmask_b32_e64 v13, v13, v3, s4
	ds_store_b32 v17, v4
	s_branch .LBB101_9
.LBB101_12:
	s_or_b32 exec_lo, exec_lo, s10
.LBB101_13:
	s_delay_alu instid0(SALU_CYCLE_1)
	s_or_b32 exec_lo, exec_lo, s11
	v_xor_b32_e32 v1, 16, v7
	v_xor_b32_e32 v2, 8, v7
	s_clause 0x2
	s_load_b128 s[4:7], s[0:1], 0x0
	s_load_b64 s[10:11], s[0:1], 0x10
	s_load_b64 s[22:23], s[0:1], 0x28
	v_lshlrev_b32_e32 v17, 2, v11
	v_cmp_lt_i32_e32 vcc_lo, v1, v14
	v_cndmask_b32_e32 v1, v7, v1, vcc_lo
	v_cmp_lt_i32_e32 vcc_lo, v2, v14
	s_wait_alu 0xfffd
	s_delay_alu instid0(VALU_DEP_2)
	v_dual_cndmask_b32 v2, v7, v2 :: v_dual_lshlrev_b32 v3, 2, v1
	s_wait_dscnt 0x0
	v_max_num_f32_e32 v4, v13, v13
	ds_bpermute_b32 v1, v3, v13
	v_lshlrev_b32_e32 v15, 2, v2
	v_and_b32_e32 v13, 31, v0
	s_wait_dscnt 0x0
	v_max_num_f32_e32 v1, v1, v1
	s_delay_alu instid0(VALU_DEP_1) | instskip(SKIP_1) | instid1(VALU_DEP_1)
	v_max_num_f32_e32 v1, v4, v1
	v_xor_b32_e32 v4, 4, v7
	v_cmp_lt_i32_e32 vcc_lo, v4, v14
	s_wait_alu 0xfffd
	v_cndmask_b32_e32 v4, v7, v4, vcc_lo
	s_delay_alu instid0(VALU_DEP_1) | instskip(SKIP_2) | instid1(VALU_DEP_1)
	v_lshlrev_b32_e32 v16, 2, v4
	ds_bpermute_b32 v2, v15, v1
	v_xor_b32_e32 v4, 2, v7
	v_cmp_lt_i32_e32 vcc_lo, v4, v14
	s_wait_alu 0xfffd
	v_cndmask_b32_e32 v4, v7, v4, vcc_lo
	v_cmp_eq_u32_e32 vcc_lo, 0, v13
	s_wait_dscnt 0x0
	v_max_num_f32_e32 v2, v2, v2
	s_delay_alu instid0(VALU_DEP_1) | instskip(SKIP_3) | instid1(VALU_DEP_1)
	v_max_num_f32_e32 v1, v1, v2
	ds_bpermute_b32 v2, v16, v1
	s_wait_dscnt 0x0
	v_max_num_f32_e32 v2, v2, v2
	v_dual_max_num_f32 v1, v1, v2 :: v_dual_lshlrev_b32 v2, 2, v4
	ds_bpermute_b32 v4, v2, v1
	s_and_saveexec_b32 s0, vcc_lo
	s_cbranch_execz .LBB101_15
; %bb.14:
	s_wait_dscnt 0x0
	v_dual_max_num_f32 v4, v4, v4 :: v_dual_max_num_f32 v1, v1, v1
	s_delay_alu instid0(VALU_DEP_1)
	v_max_num_f32_e32 v1, v1, v4
	ds_store_b32 v17, v1 offset:160
.LBB101_15:
	s_or_b32 exec_lo, exec_lo, s0
	v_cmp_gt_u32_e64 s0, 4, v13
	v_dual_mov_b32 v1, 0xff7fffff :: v_dual_lshlrev_b32 v18, 2, v13
	s_wait_loadcnt_dscnt 0x0
	s_barrier_signal -1
	s_barrier_wait -1
	global_inv scope:SCOPE_SE
	s_and_saveexec_b32 s1, s0
; %bb.16:
	ds_load_b32 v1, v18 offset:160
; %bb.17:
	s_or_b32 exec_lo, exec_lo, s1
	s_wait_dscnt 0x0
	ds_bpermute_b32 v4, v2, v1
	v_xor_b32_e32 v19, 1, v7
	v_max_num_f32_e32 v1, v1, v1
	s_delay_alu instid0(VALU_DEP_2) | instskip(NEXT) | instid1(VALU_DEP_1)
	v_cmp_lt_i32_e64 s1, v19, v14
	v_cndmask_b32_e64 v14, v7, v19, s1
	s_sub_co_i32 s1, s13, s28
	s_wait_alu 0xfffe
	s_lshl_b32 s1, s1, 4
	s_wait_alu 0xfffe
	s_add_co_i32 s1, s1, s26
	s_wait_alu 0xfffe
	s_min_i32 s1, s1, s25
	s_wait_alu 0xfffe
	s_sub_co_i32 s21, s1, s26
	s_wait_dscnt 0x0
	v_max_num_f32_e32 v4, v4, v4
	v_lshlrev_b32_e32 v14, 2, v14
	s_wait_alu 0xfffe
	v_cmp_gt_i32_e64 s1, s21, v0
	s_delay_alu instid0(VALU_DEP_3) | instskip(SKIP_3) | instid1(VALU_DEP_1)
	v_max_num_f32_e32 v1, v1, v4
	ds_bpermute_b32 v4, v14, v1
	s_wait_dscnt 0x0
	v_max_num_f32_e32 v4, v4, v4
	v_max_num_f32_e32 v1, v1, v4
	v_lshlrev_b32_e32 v4, 2, v8
	v_mov_b32_e32 v8, 0
	ds_bpermute_b32 v1, v4, v1
	v_lshl_add_u32 v4, v0, 2, 0xc0
	s_and_saveexec_b32 s28, s1
	s_cbranch_execz .LBB101_21
; %bb.18:
	v_lshl_add_u32 v19, v0, 2, 0xc0
	v_mov_b32_e32 v8, 0
	v_mov_b32_e32 v20, v0
	s_mov_b32 s29, 0
.LBB101_19:                             ; =>This Inner Loop Header: Depth=1
	ds_load_b32 v21, v19
	v_add_nc_u32_e32 v20, 0x80, v20
	s_delay_alu instid0(VALU_DEP_1) | instskip(SKIP_4) | instid1(VALU_DEP_1)
	v_cmp_le_i32_e64 s3, s21, v20
	s_wait_alu 0xfffe
	s_or_b32 s29, s3, s29
	s_wait_dscnt 0x0
	v_sub_f32_e32 v21, v21, v1
	v_mul_f32_e32 v21, 0x3fb8aa3b, v21
	s_delay_alu instid0(VALU_DEP_1)
	v_exp_f32_e32 v21, v21
	ds_store_b32 v19, v21
	v_dual_add_f32 v8, v8, v21 :: v_dual_add_nc_u32 v19, 0x200, v19
	s_wait_alu 0xfffe
	s_and_not1_b32 exec_lo, exec_lo, s29
	s_cbranch_execnz .LBB101_19
; %bb.20:
	s_or_b32 exec_lo, exec_lo, s29
.LBB101_21:
	s_wait_alu 0xfffe
	s_or_b32 exec_lo, exec_lo, s28
	ds_bpermute_b32 v3, v3, v8
	s_wait_dscnt 0x0
	v_add_f32_e32 v3, v8, v3
	ds_bpermute_b32 v8, v15, v3
	s_wait_dscnt 0x0
	v_add_f32_e32 v3, v3, v8
	;; [unrolled: 3-line block ×5, first 2 shown]
	s_and_saveexec_b32 s3, vcc_lo
; %bb.22:
	ds_store_b32 v17, v3 offset:176
; %bb.23:
	s_wait_alu 0xfffe
	s_or_b32 exec_lo, exec_lo, s3
	s_wait_loadcnt_dscnt 0x0
	s_barrier_signal -1
	s_barrier_wait -1
	global_inv scope:SCOPE_SE
	s_and_saveexec_b32 s3, s0
; %bb.24:
	ds_load_b32 v3, v18 offset:176
; %bb.25:
	s_wait_alu 0xfffe
	s_or_b32 exec_lo, exec_lo, s3
	s_wait_dscnt 0x0
	ds_bpermute_b32 v2, v2, v3
	s_wait_dscnt 0x0
	v_dual_add_f32 v2, v3, v2 :: v_dual_lshlrev_b32 v7, 2, v7
	ds_bpermute_b32 v3, v14, v2
	s_wait_dscnt 0x0
	v_add_f32_e32 v2, v2, v3
	v_and_b32_e32 v3, 0xffffff80, v7
	ds_bpermute_b32 v2, v3, v2
	s_and_saveexec_b32 s0, s1
	s_cbranch_execz .LBB101_28
; %bb.26:
	s_wait_dscnt 0x0
	v_add_f32_e32 v3, 0x358637bd, v2
	s_mov_b32 s1, 0
	s_delay_alu instid0(VALU_DEP_1) | instskip(NEXT) | instid1(VALU_DEP_1)
	v_div_scale_f32 v7, null, v3, v3, 1.0
	v_rcp_f32_e32 v8, v7
	s_delay_alu instid0(TRANS32_DEP_1) | instskip(NEXT) | instid1(VALU_DEP_1)
	v_fma_f32 v15, -v7, v8, 1.0
	v_fmac_f32_e32 v8, v15, v8
	v_div_scale_f32 v16, vcc_lo, 1.0, v3, 1.0
	s_delay_alu instid0(VALU_DEP_1) | instskip(NEXT) | instid1(VALU_DEP_1)
	v_mul_f32_e32 v15, v16, v8
	v_fma_f32 v17, -v7, v15, v16
	s_delay_alu instid0(VALU_DEP_1) | instskip(NEXT) | instid1(VALU_DEP_1)
	v_fmac_f32_e32 v15, v17, v8
	v_fma_f32 v7, -v7, v15, v16
	s_wait_alu 0xfffd
	s_delay_alu instid0(VALU_DEP_1) | instskip(NEXT) | instid1(VALU_DEP_1)
	v_div_fmas_f32 v7, v7, v8, v15
	v_div_fixup_f32 v3, v7, v3, 1.0
	v_mov_b32_e32 v7, v0
.LBB101_27:                             ; =>This Inner Loop Header: Depth=1
	ds_load_b32 v8, v4
	s_wait_dscnt 0x0
	v_dual_mul_f32 v8, v3, v8 :: v_dual_add_nc_u32 v7, 0x80, v7
	s_delay_alu instid0(VALU_DEP_1)
	v_cmp_le_i32_e32 vcc_lo, s21, v7
	ds_store_b32 v4, v8
	v_add_nc_u32_e32 v4, 0x200, v4
	s_wait_alu 0xfffe
	s_or_b32 s1, vcc_lo, s1
	s_wait_alu 0xfffe
	s_and_not1_b32 exec_lo, exec_lo, s1
	s_cbranch_execnz .LBB101_27
.LBB101_28:
	s_wait_alu 0xfffe
	s_or_b32 exec_lo, exec_lo, s0
	s_wait_kmcnt 0x0
	s_mul_i32 s0, s8, s18
	s_wait_loadcnt_dscnt 0x0
	s_wait_alu 0xfffe
	s_mul_i32 s18, s0, s19
	s_mov_b32 s0, exec_lo
	s_barrier_signal -1
	s_barrier_wait -1
	global_inv scope:SCOPE_SE
	v_cmpx_eq_u32_e32 0, v0
	s_cbranch_execz .LBB101_30
; %bb.29:
	s_ashr_i32 s19, s18, 31
	s_wait_alu 0xfffe
	s_mul_i32 s28, s8, ttmp9
	s_lshl_b32 s1, s24, 2
	s_lshl_b64 s[30:31], s[18:19], 2
	s_wait_alu 0xfffe
	s_ashr_i32 s29, s28, 31
	v_mov_b32_e32 v3, s1
	s_add_nc_u64 s[6:7], s[6:7], s[30:31]
	s_wait_alu 0xfffe
	s_lshl_b64 s[28:29], s[28:29], 2
	s_add_nc_u64 s[4:5], s[4:5], s[30:31]
	s_wait_alu 0xfffe
	s_add_nc_u64 s[6:7], s[6:7], s[28:29]
	s_add_nc_u64 s[4:5], s[4:5], s[28:29]
	s_clause 0x1
	global_store_b32 v3, v1, s[6:7]
	global_store_b32 v3, v2, s[4:5]
.LBB101_30:
	s_wait_alu 0xfffe
	s_or_b32 exec_lo, exec_lo, s0
	v_dual_mov_b32 v18, 0 :: v_dual_mov_b32 v19, 0
	v_dual_mov_b32 v17, 0 :: v_dual_mov_b32 v16, 0
	v_mov_b32_e32 v15, 0
	s_and_saveexec_b32 s1, s2
	s_cbranch_execz .LBB101_44
; %bb.31:
	v_dual_mov_b32 v16, 0 :: v_dual_lshlrev_b32 v1, 4, v0
	s_ashr_i32 s21, s20, 31
	v_dual_mov_b32 v18, 0 :: v_dual_lshlrev_b32 v3, 5, v10
	s_delay_alu instid0(VALU_DEP_2)
	v_and_b32_e32 v1, 0x1f0, v1
	s_wait_alu 0xfffe
	s_lshl_b64 s[2:3], s[20:21], 1
	v_dual_mov_b32 v15, 0 :: v_dual_and_b32 v2, 8, v5
	s_wait_alu 0xfffe
	s_add_nc_u64 s[2:3], s[22:23], s[2:3]
	v_lshl_add_u32 v4, v11, 4, s26
	s_wait_alu 0xfffe
	v_add_co_u32 v20, s0, s2, v1
	s_wait_alu 0xf1ff
	v_add_co_ci_u32_e64 v21, null, s3, 0, s0
	s_lshl_b64 s[2:3], s[14:15], 2
	v_lshl_or_b32 v3, v11, 6, v3
	s_wait_alu 0xfffe
	s_add_nc_u64 s[2:3], s[16:17], s[2:3]
	v_add3_u32 v22, v4, v2, 7
	s_wait_alu 0xfffe
	v_add_co_u32 v5, s0, s2, v6
	v_add_nc_u32_e32 v23, 0xc0, v3
	s_wait_alu 0xf1ff
	v_add_co_ci_u32_e64 v6, null, s3, 0, s0
	v_mov_b32_e32 v17, 0
	v_mov_b32_e32 v19, 0
	s_mov_b32 s2, s9
	s_add_co_i32 s27, s27, -1
	s_mov_b32 s3, 0
	s_branch .LBB101_33
.LBB101_32:                             ;   in Loop: Header=BB101_33 Depth=1
	s_wait_alu 0xfffe
	s_or_b32 exec_lo, exec_lo, s0
	v_dual_add_f32 v25, v41, v42 :: v_dual_lshlrev_b32 v24, 16, v43
	v_lshlrev_b32_e32 v8, 16, v8
	v_lshlrev_b32_e32 v7, 16, v7
	v_add_nc_u32_e32 v12, 4, v12
	s_delay_alu instid0(VALU_DEP_4)
	v_and_or_b32 v1, 0xffff, v1, v24
	v_add_f32_e32 v16, v16, v25
	v_and_or_b32 v2, 0xffff, v2, v8
	v_and_or_b32 v3, 0xffff, v3, v7
	;;#ASMSTART
	v_pk_mul_f16 v1, v32, v1;

	;;#ASMEND
	;;#ASMSTART
	v_pk_mul_f16 v2, v31, v2;

	;;#ASMEND
	;; [unrolled: 4-line block ×4, first 2 shown]
	;;#ASMSTART
	v_pk_add_f16 v1, v1, v2;

	;;#ASMEND
	;;#ASMSTART
	v_pk_add_f16 v1, v1, v3;

	;;#ASMEND
	;; [unrolled: 4-line block ×3, first 2 shown]
	v_and_b32_e32 v4, 0xffff, v1
	v_lshrrev_b32_e32 v7, 16, v1
	v_add_f32_e32 v1, v39, v40
	;;#ASMSTART
	v_cvt_f32_f16 v4, v4;
	;;#ASMEND
	v_dual_add_f32 v2, v37, v38 :: v_dual_add_f32 v3, v35, v36
	;;#ASMSTART
	v_cvt_f32_f16 v7, v7;
	;;#ASMEND
	v_add_f32_e32 v4, v4, v7
	v_cmp_le_i32_e32 vcc_lo, s13, v12
	v_add_co_u32 v5, s0, v5, 16
	v_add_f32_e32 v17, v17, v1
	v_dual_add_f32 v19, v19, v2 :: v_dual_add_f32 v18, v18, v3
	v_dual_add_f32 v15, v15, v4 :: v_dual_add_nc_u32 v22, 64, v22
	v_add_nc_u32_e32 v23, 0x100, v23
	s_wait_alu 0xf1ff
	v_add_co_ci_u32_e64 v6, null, 0, v6, s0
	s_or_b32 s3, vcc_lo, s3
	s_wait_alu 0xfffe
	s_and_not1_b32 exec_lo, exec_lo, s3
	s_cbranch_execz .LBB101_43
.LBB101_33:                             ; =>This Inner Loop Header: Depth=1
	global_load_b32 v7, v[5:6], off
	ds_load_2addr_b64 v[1:4], v23 offset1:1
	ds_load_2addr_b64 v[24:27], v23 offset0:2 offset1:3
	v_add_nc_u32_e32 v28, -7, v22
	v_add_nc_u32_e32 v30, -6, v22
	;; [unrolled: 1-line block ×3, first 2 shown]
	s_wait_dscnt 0x1
	;;#ASMSTART
	v_cvt_f16_f32 v32, v1;

	;;#ASMEND
	;;#ASMSTART
	v_cvt_f16_f32 v31, v2;

	;;#ASMEND
	;; [unrolled: 4-line block ×4, first 2 shown]
	s_wait_dscnt 0x0
	;;#ASMSTART
	v_cvt_f16_f32 v38, v24;

	;;#ASMEND
	;;#ASMSTART
	v_cvt_f16_f32 v33, v25;

	;;#ASMEND
	;; [unrolled: 4-line block ×4, first 2 shown]
	v_add_nc_u32_e32 v26, -4, v22
	v_add_nc_u32_e32 v25, -3, v22
	v_add_nc_u32_e32 v24, -2, v22
	v_add_nc_u32_e32 v27, -1, v22
	s_wait_loadcnt 0x0
	s_wait_alu 0xfffe
	v_mad_co_i64_i32 v[7:8], null, v7, s2, 0
	s_delay_alu instid0(VALU_DEP_1) | instskip(NEXT) | instid1(VALU_DEP_1)
	v_lshlrev_b64_e32 v[7:8], 1, v[7:8]
	v_add_co_u32 v7, vcc_lo, v20, v7
	s_wait_alu 0xfffd
	s_delay_alu instid0(VALU_DEP_2)
	v_add_co_ci_u32_e64 v8, null, v21, v8, vcc_lo
	v_cmp_eq_u32_e32 vcc_lo, s27, v12
	global_load_b128 v[1:4], v[7:8], off
	s_wait_loadcnt 0x0
	v_lshrrev_b32_e32 v41, 16, v1
	v_lshrrev_b32_e32 v40, 16, v2
	;; [unrolled: 1-line block ×3, first 2 shown]
	s_and_saveexec_b32 s4, vcc_lo
	s_cbranch_execz .LBB101_35
; %bb.34:                               ;   in Loop: Header=BB101_33 Depth=1
	v_cmp_gt_i32_e64 s0, s25, v28
	v_and_b32_e32 v42, 0xffff, v4
	v_and_b32_e32 v4, 0xffff0000, v4
	s_wait_alu 0xf1ff
	s_delay_alu instid0(VALU_DEP_3) | instskip(SKIP_2) | instid1(VALU_DEP_1)
	v_cndmask_b32_e64 v1, 0, v1, s0
	v_cmp_gt_i32_e64 s0, s25, v30
	s_wait_alu 0xf1ff
	v_cndmask_b32_e64 v41, 0, v41, s0
	v_cmp_gt_i32_e64 s0, s25, v29
	s_wait_alu 0xf1ff
	s_delay_alu instid0(VALU_DEP_1) | instskip(SKIP_2) | instid1(VALU_DEP_1)
	v_cndmask_b32_e64 v2, 0, v2, s0
	v_cmp_gt_i32_e64 s0, s25, v26
	s_wait_alu 0xf1ff
	v_cndmask_b32_e64 v40, 0, v40, s0
	v_cmp_gt_i32_e64 s0, s25, v27
	s_wait_alu 0xf1ff
	s_delay_alu instid0(VALU_DEP_1) | instskip(SKIP_2) | instid1(VALU_DEP_1)
	v_cndmask_b32_e64 v42, 0, v42, s0
	v_cmp_gt_i32_e64 s0, s25, v22
	s_wait_alu 0xf1ff
	v_cndmask_b32_e64 v4, 0, v4, s0
	v_cmp_gt_i32_e64 s0, s25, v25
	s_delay_alu instid0(VALU_DEP_2) | instskip(SKIP_1) | instid1(VALU_DEP_2)
	v_or_b32_e32 v4, v42, v4
	s_wait_alu 0xf1ff
	v_cndmask_b32_e64 v3, 0, v3, s0
	v_cmp_gt_i32_e64 s0, s25, v24
	s_wait_alu 0xf1ff
	s_delay_alu instid0(VALU_DEP_1)
	v_cndmask_b32_e64 v39, 0, v39, s0
.LBB101_35:                             ;   in Loop: Header=BB101_33 Depth=1
	s_wait_alu 0xfffe
	s_or_b32 exec_lo, exec_lo, s4
	v_and_b32_e32 v32, 0xffff, v32
	v_and_b32_e32 v37, 0xffff, v37
	v_lshlrev_b32_e32 v41, 16, v41
	v_and_b32_e32 v38, 0xffff, v38
	v_and_b32_e32 v36, 0xffff, v36
	v_lshl_or_b32 v32, v31, 16, v32
	v_lshl_or_b32 v31, v35, 16, v37
	v_lshlrev_b32_e32 v35, 16, v40
	v_lshlrev_b32_e32 v37, 16, v39
	v_and_or_b32 v1, 0xffff, v1, v41
	;;#ASMSTART
	v_pk_mul_f16 v1, v32, v1;

	;;#ASMEND
	v_lshl_or_b32 v33, v33, 16, v38
	v_and_or_b32 v2, 0xffff, v2, v35
	v_and_or_b32 v3, 0xffff, v3, v37
	v_lshl_or_b32 v34, v34, 16, v36
	;;#ASMSTART
	v_pk_mul_f16 v2, v31, v2;

	;;#ASMEND
	;;#ASMSTART
	v_pk_mul_f16 v3, v33, v3;

	;;#ASMEND
	;; [unrolled: 4-line block ×3, first 2 shown]
	;;#ASMSTART
	v_pk_add_f16 v1, v1, v2;

	;;#ASMEND
	;;#ASMSTART
	v_pk_add_f16 v1, v1, v3;

	;;#ASMEND
	;; [unrolled: 4-line block ×3, first 2 shown]
	v_and_b32_e32 v2, 0xffff, v1
	v_lshrrev_b32_e32 v1, 16, v1
	;;#ASMSTART
	v_cvt_f32_f16 v35, v2;
	;;#ASMEND
	;;#ASMSTART
	v_cvt_f32_f16 v36, v1;
	;;#ASMEND
	global_load_b128 v[1:4], v[7:8], off offset:512
	s_wait_loadcnt 0x0
	v_lshrrev_b32_e32 v39, 16, v1
	v_lshrrev_b32_e32 v38, 16, v2
	;; [unrolled: 1-line block ×3, first 2 shown]
	s_and_saveexec_b32 s4, vcc_lo
	s_cbranch_execz .LBB101_37
; %bb.36:                               ;   in Loop: Header=BB101_33 Depth=1
	v_cmp_gt_i32_e64 s0, s25, v28
	v_and_b32_e32 v40, 0xffff, v4
	v_and_b32_e32 v4, 0xffff0000, v4
	s_wait_alu 0xf1ff
	s_delay_alu instid0(VALU_DEP_3) | instskip(SKIP_2) | instid1(VALU_DEP_1)
	v_cndmask_b32_e64 v1, 0, v1, s0
	v_cmp_gt_i32_e64 s0, s25, v30
	s_wait_alu 0xf1ff
	v_cndmask_b32_e64 v39, 0, v39, s0
	v_cmp_gt_i32_e64 s0, s25, v29
	s_wait_alu 0xf1ff
	s_delay_alu instid0(VALU_DEP_1) | instskip(SKIP_2) | instid1(VALU_DEP_1)
	v_cndmask_b32_e64 v2, 0, v2, s0
	v_cmp_gt_i32_e64 s0, s25, v26
	s_wait_alu 0xf1ff
	v_cndmask_b32_e64 v38, 0, v38, s0
	v_cmp_gt_i32_e64 s0, s25, v27
	s_wait_alu 0xf1ff
	s_delay_alu instid0(VALU_DEP_1) | instskip(SKIP_2) | instid1(VALU_DEP_1)
	v_cndmask_b32_e64 v40, 0, v40, s0
	v_cmp_gt_i32_e64 s0, s25, v22
	s_wait_alu 0xf1ff
	v_cndmask_b32_e64 v4, 0, v4, s0
	v_cmp_gt_i32_e64 s0, s25, v25
	s_delay_alu instid0(VALU_DEP_2) | instskip(SKIP_1) | instid1(VALU_DEP_2)
	v_or_b32_e32 v4, v40, v4
	s_wait_alu 0xf1ff
	v_cndmask_b32_e64 v3, 0, v3, s0
	v_cmp_gt_i32_e64 s0, s25, v24
	s_wait_alu 0xf1ff
	s_delay_alu instid0(VALU_DEP_1)
	v_cndmask_b32_e64 v37, 0, v37, s0
.LBB101_37:                             ;   in Loop: Header=BB101_33 Depth=1
	s_wait_alu 0xfffe
	s_or_b32 exec_lo, exec_lo, s4
	v_lshlrev_b32_e32 v39, 16, v39
	v_lshlrev_b32_e32 v38, 16, v38
	v_lshlrev_b32_e32 v37, 16, v37
	s_delay_alu instid0(VALU_DEP_3) | instskip(NEXT) | instid1(VALU_DEP_3)
	v_and_or_b32 v1, 0xffff, v1, v39
	v_and_or_b32 v2, 0xffff, v2, v38
	s_delay_alu instid0(VALU_DEP_3)
	v_and_or_b32 v3, 0xffff, v3, v37
	;;#ASMSTART
	v_pk_mul_f16 v1, v32, v1;

	;;#ASMEND
	;;#ASMSTART
	v_pk_mul_f16 v2, v31, v2;

	;;#ASMEND
	;; [unrolled: 4-line block ×4, first 2 shown]
	;;#ASMSTART
	v_pk_add_f16 v1, v1, v2;

	;;#ASMEND
	;;#ASMSTART
	v_pk_add_f16 v1, v1, v3;

	;;#ASMEND
	;; [unrolled: 4-line block ×3, first 2 shown]
	v_and_b32_e32 v2, 0xffff, v1
	v_lshrrev_b32_e32 v1, 16, v1
	;;#ASMSTART
	v_cvt_f32_f16 v37, v2;
	;;#ASMEND
	;;#ASMSTART
	v_cvt_f32_f16 v38, v1;
	;;#ASMEND
	global_load_b128 v[1:4], v[7:8], off offset:1024
	s_wait_loadcnt 0x0
	v_lshrrev_b32_e32 v41, 16, v1
	v_lshrrev_b32_e32 v40, 16, v2
	;; [unrolled: 1-line block ×3, first 2 shown]
	s_and_saveexec_b32 s4, vcc_lo
	s_cbranch_execz .LBB101_39
; %bb.38:                               ;   in Loop: Header=BB101_33 Depth=1
	v_cmp_gt_i32_e64 s0, s25, v28
	v_and_b32_e32 v42, 0xffff, v4
	v_and_b32_e32 v4, 0xffff0000, v4
	s_wait_alu 0xf1ff
	s_delay_alu instid0(VALU_DEP_3) | instskip(SKIP_2) | instid1(VALU_DEP_1)
	v_cndmask_b32_e64 v1, 0, v1, s0
	v_cmp_gt_i32_e64 s0, s25, v30
	s_wait_alu 0xf1ff
	v_cndmask_b32_e64 v41, 0, v41, s0
	v_cmp_gt_i32_e64 s0, s25, v29
	s_wait_alu 0xf1ff
	s_delay_alu instid0(VALU_DEP_1) | instskip(SKIP_2) | instid1(VALU_DEP_1)
	v_cndmask_b32_e64 v2, 0, v2, s0
	v_cmp_gt_i32_e64 s0, s25, v26
	s_wait_alu 0xf1ff
	v_cndmask_b32_e64 v40, 0, v40, s0
	v_cmp_gt_i32_e64 s0, s25, v27
	s_wait_alu 0xf1ff
	s_delay_alu instid0(VALU_DEP_1) | instskip(SKIP_2) | instid1(VALU_DEP_1)
	v_cndmask_b32_e64 v42, 0, v42, s0
	v_cmp_gt_i32_e64 s0, s25, v22
	s_wait_alu 0xf1ff
	v_cndmask_b32_e64 v4, 0, v4, s0
	v_cmp_gt_i32_e64 s0, s25, v25
	s_delay_alu instid0(VALU_DEP_2) | instskip(SKIP_1) | instid1(VALU_DEP_2)
	v_or_b32_e32 v4, v42, v4
	s_wait_alu 0xf1ff
	v_cndmask_b32_e64 v3, 0, v3, s0
	v_cmp_gt_i32_e64 s0, s25, v24
	s_wait_alu 0xf1ff
	s_delay_alu instid0(VALU_DEP_1)
	v_cndmask_b32_e64 v39, 0, v39, s0
.LBB101_39:                             ;   in Loop: Header=BB101_33 Depth=1
	s_wait_alu 0xfffe
	s_or_b32 exec_lo, exec_lo, s4
	v_lshlrev_b32_e32 v41, 16, v41
	v_lshlrev_b32_e32 v40, 16, v40
	;; [unrolled: 1-line block ×3, first 2 shown]
	s_delay_alu instid0(VALU_DEP_3) | instskip(NEXT) | instid1(VALU_DEP_3)
	v_and_or_b32 v1, 0xffff, v1, v41
	v_and_or_b32 v2, 0xffff, v2, v40
	s_delay_alu instid0(VALU_DEP_3)
	v_and_or_b32 v3, 0xffff, v3, v39
	;;#ASMSTART
	v_pk_mul_f16 v1, v32, v1;

	;;#ASMEND
	;;#ASMSTART
	v_pk_mul_f16 v2, v31, v2;

	;;#ASMEND
	;; [unrolled: 4-line block ×4, first 2 shown]
	;;#ASMSTART
	v_pk_add_f16 v1, v1, v2;

	;;#ASMEND
	;;#ASMSTART
	v_pk_add_f16 v1, v1, v3;

	;;#ASMEND
	;; [unrolled: 4-line block ×3, first 2 shown]
	v_and_b32_e32 v2, 0xffff, v1
	v_lshrrev_b32_e32 v1, 16, v1
	;;#ASMSTART
	v_cvt_f32_f16 v39, v2;
	;;#ASMEND
	;;#ASMSTART
	v_cvt_f32_f16 v40, v1;
	;;#ASMEND
	global_load_b128 v[1:4], v[7:8], off offset:1536
	s_wait_loadcnt 0x0
	v_lshrrev_b32_e32 v43, 16, v1
	v_lshrrev_b32_e32 v42, 16, v2
	;; [unrolled: 1-line block ×3, first 2 shown]
	s_and_saveexec_b32 s4, vcc_lo
	s_cbranch_execz .LBB101_41
; %bb.40:                               ;   in Loop: Header=BB101_33 Depth=1
	v_cmp_gt_i32_e64 s0, s25, v28
	v_and_b32_e32 v44, 0xffff, v4
	v_and_b32_e32 v4, 0xffff0000, v4
	s_wait_alu 0xf1ff
	s_delay_alu instid0(VALU_DEP_3) | instskip(SKIP_2) | instid1(VALU_DEP_1)
	v_cndmask_b32_e64 v1, 0, v1, s0
	v_cmp_gt_i32_e64 s0, s25, v30
	s_wait_alu 0xf1ff
	v_cndmask_b32_e64 v43, 0, v43, s0
	v_cmp_gt_i32_e64 s0, s25, v29
	s_wait_alu 0xf1ff
	s_delay_alu instid0(VALU_DEP_1) | instskip(SKIP_2) | instid1(VALU_DEP_1)
	v_cndmask_b32_e64 v2, 0, v2, s0
	v_cmp_gt_i32_e64 s0, s25, v26
	s_wait_alu 0xf1ff
	v_cndmask_b32_e64 v42, 0, v42, s0
	v_cmp_gt_i32_e64 s0, s25, v27
	s_wait_alu 0xf1ff
	s_delay_alu instid0(VALU_DEP_1) | instskip(SKIP_2) | instid1(VALU_DEP_1)
	v_cndmask_b32_e64 v44, 0, v44, s0
	v_cmp_gt_i32_e64 s0, s25, v22
	s_wait_alu 0xf1ff
	v_cndmask_b32_e64 v4, 0, v4, s0
	v_cmp_gt_i32_e64 s0, s25, v25
	s_delay_alu instid0(VALU_DEP_2) | instskip(SKIP_1) | instid1(VALU_DEP_2)
	v_or_b32_e32 v4, v44, v4
	s_wait_alu 0xf1ff
	v_cndmask_b32_e64 v3, 0, v3, s0
	v_cmp_gt_i32_e64 s0, s25, v24
	s_wait_alu 0xf1ff
	s_delay_alu instid0(VALU_DEP_1)
	v_cndmask_b32_e64 v41, 0, v41, s0
.LBB101_41:                             ;   in Loop: Header=BB101_33 Depth=1
	s_wait_alu 0xfffe
	s_or_b32 exec_lo, exec_lo, s4
	v_lshlrev_b32_e32 v43, 16, v43
	v_lshlrev_b32_e32 v42, 16, v42
	;; [unrolled: 1-line block ×3, first 2 shown]
	s_delay_alu instid0(VALU_DEP_3) | instskip(NEXT) | instid1(VALU_DEP_3)
	v_and_or_b32 v1, 0xffff, v1, v43
	v_and_or_b32 v2, 0xffff, v2, v42
	s_delay_alu instid0(VALU_DEP_3)
	v_and_or_b32 v3, 0xffff, v3, v41
	;;#ASMSTART
	v_pk_mul_f16 v1, v32, v1;

	;;#ASMEND
	;;#ASMSTART
	v_pk_mul_f16 v2, v31, v2;

	;;#ASMEND
	;; [unrolled: 4-line block ×4, first 2 shown]
	;;#ASMSTART
	v_pk_add_f16 v1, v1, v2;

	;;#ASMEND
	;;#ASMSTART
	v_pk_add_f16 v1, v1, v3;

	;;#ASMEND
	;; [unrolled: 4-line block ×3, first 2 shown]
	v_and_b32_e32 v2, 0xffff, v1
	v_lshrrev_b32_e32 v1, 16, v1
	;;#ASMSTART
	v_cvt_f32_f16 v41, v2;
	;;#ASMEND
	;;#ASMSTART
	v_cvt_f32_f16 v42, v1;
	;;#ASMEND
	global_load_b128 v[1:4], v[7:8], off offset:2048
	s_wait_loadcnt 0x0
	v_lshrrev_b32_e32 v43, 16, v1
	v_lshrrev_b32_e32 v8, 16, v2
	v_lshrrev_b32_e32 v7, 16, v3
	s_and_saveexec_b32 s0, vcc_lo
	s_cbranch_execz .LBB101_32
; %bb.42:                               ;   in Loop: Header=BB101_33 Depth=1
	v_cmp_gt_i32_e32 vcc_lo, s25, v28
	v_and_b32_e32 v28, 0xffff, v4
	s_wait_alu 0xfffd
	v_dual_cndmask_b32 v1, 0, v1 :: v_dual_and_b32 v4, 0xffff0000, v4
	v_cmp_gt_i32_e32 vcc_lo, s25, v30
	s_wait_alu 0xfffd
	v_cndmask_b32_e32 v43, 0, v43, vcc_lo
	v_cmp_gt_i32_e32 vcc_lo, s25, v29
	s_wait_alu 0xfffd
	v_cndmask_b32_e32 v2, 0, v2, vcc_lo
	;; [unrolled: 3-line block ×5, first 2 shown]
	v_cmp_gt_i32_e32 vcc_lo, s25, v25
	s_delay_alu instid0(VALU_DEP_2)
	v_or_b32_e32 v4, v26, v4
	s_wait_alu 0xfffd
	v_cndmask_b32_e32 v3, 0, v3, vcc_lo
	v_cmp_gt_i32_e32 vcc_lo, s25, v24
	s_wait_alu 0xfffd
	v_cndmask_b32_e32 v7, 0, v7, vcc_lo
	s_branch .LBB101_32
.LBB101_43:
	s_or_b32 exec_lo, exec_lo, s3
.LBB101_44:
	s_wait_alu 0xfffe
	s_or_b32 exec_lo, exec_lo, s1
	ds_bpermute_b32 v1, v14, v18
	ds_bpermute_b32 v2, v14, v19
	;; [unrolled: 1-line block ×5, first 2 shown]
	v_lshrrev_b32_e32 v6, 1, v13
	v_mul_u32_u24_e32 v8, 0x140, v11
	v_and_b32_e32 v11, 0x3c1, v0
	s_mov_b32 s0, exec_lo
	s_wait_storecnt 0x0
	s_wait_loadcnt_dscnt 0x0
	v_lshl_add_u32 v7, v6, 2, 0xc0
	s_barrier_signal -1
	s_barrier_wait -1
	global_inv scope:SCOPE_SE
	v_dual_add_f32 v5, v18, v1 :: v_dual_add_f32 v4, v19, v2
	v_dual_add_f32 v3, v17, v3 :: v_dual_add_f32 v2, v16, v12
	v_add_f32_e32 v1, v15, v14
	v_cmpx_eq_u32_e32 64, v11
	s_cbranch_execz .LBB101_46
; %bb.45:
	v_add_nc_u32_e32 v11, v7, v8
	s_delay_alu instid0(VALU_DEP_1)
	v_add_nc_u32_e32 v12, 0xfffffd80, v11
	v_add_nc_u32_e32 v13, 0xfffffdc0, v11
	;; [unrolled: 1-line block ×5, first 2 shown]
	ds_store_b32 v12, v5
	ds_store_b32 v13, v4
	;; [unrolled: 1-line block ×5, first 2 shown]
.LBB101_46:
	s_wait_alu 0xfffe
	s_or_b32 exec_lo, exec_lo, s0
	v_lshlrev_b32_e32 v6, 2, v6
	s_mov_b32 s1, exec_lo
	v_cmp_eq_u32_e32 vcc_lo, 0, v10
	s_wait_loadcnt_dscnt 0x0
	s_barrier_signal -1
	v_add3_u32 v6, 0xc0, v8, v6
	s_barrier_wait -1
	global_inv scope:SCOPE_SE
	v_cmpx_gt_u32_e32 64, v0
	s_cbranch_execz .LBB101_54
; %bb.47:
	s_and_saveexec_b32 s0, vcc_lo
	s_cbranch_execnz .LBB101_67
; %bb.48:
	s_wait_alu 0xfffe
	s_or_b32 exec_lo, exec_lo, s0
	s_and_saveexec_b32 s0, vcc_lo
	s_cbranch_execnz .LBB101_68
.LBB101_49:
	s_wait_alu 0xfffe
	s_or_b32 exec_lo, exec_lo, s0
	s_and_saveexec_b32 s0, vcc_lo
	s_cbranch_execnz .LBB101_69
.LBB101_50:
	s_wait_alu 0xfffe
	s_or_b32 exec_lo, exec_lo, s0
	s_and_saveexec_b32 s0, vcc_lo
	s_cbranch_execnz .LBB101_70
.LBB101_51:
	s_wait_alu 0xfffe
	s_or_b32 exec_lo, exec_lo, s0
	s_and_saveexec_b32 s0, vcc_lo
	s_cbranch_execz .LBB101_53
.LBB101_52:
	ds_load_b32 v8, v6 offset:256
	s_wait_dscnt 0x0
	v_add_f32_e32 v1, v1, v8
.LBB101_53:
	s_wait_alu 0xfffe
	s_or_b32 exec_lo, exec_lo, s0
.LBB101_54:
	s_wait_alu 0xfffe
	s_or_b32 exec_lo, exec_lo, s1
	v_and_b32_e32 v8, 0x3e1, v0
	s_mov_b32 s1, exec_lo
	s_wait_loadcnt 0x0
	s_barrier_signal -1
	s_barrier_wait -1
	global_inv scope:SCOPE_SE
	v_cmpx_eq_u32_e32 32, v8
	s_cbranch_execz .LBB101_56
; %bb.55:
	ds_store_2addr_b32 v7, v5, v4 offset1:16
	ds_store_2addr_b32 v7, v3, v2 offset0:32 offset1:48
	ds_store_b32 v7, v1 offset:256
.LBB101_56:
	s_wait_alu 0xfffe
	s_or_b32 exec_lo, exec_lo, s1
	s_delay_alu instid0(SALU_CYCLE_1)
	s_mov_b32 s1, exec_lo
	s_wait_loadcnt_dscnt 0x0
	s_barrier_signal -1
	s_barrier_wait -1
	global_inv scope:SCOPE_SE
	v_cmpx_gt_u32_e32 32, v0
	s_cbranch_execz .LBB101_64
; %bb.57:
	s_and_saveexec_b32 s0, vcc_lo
	s_cbranch_execnz .LBB101_71
; %bb.58:
	s_wait_alu 0xfffe
	s_or_b32 exec_lo, exec_lo, s0
	s_and_saveexec_b32 s0, vcc_lo
	s_cbranch_execnz .LBB101_72
.LBB101_59:
	s_wait_alu 0xfffe
	s_or_b32 exec_lo, exec_lo, s0
	s_and_saveexec_b32 s0, vcc_lo
	s_cbranch_execnz .LBB101_73
.LBB101_60:
	s_wait_alu 0xfffe
	s_or_b32 exec_lo, exec_lo, s0
	s_and_saveexec_b32 s0, vcc_lo
	s_cbranch_execnz .LBB101_74
.LBB101_61:
	s_wait_alu 0xfffe
	s_or_b32 exec_lo, exec_lo, s0
	s_and_saveexec_b32 s0, vcc_lo
	s_cbranch_execz .LBB101_63
.LBB101_62:
	ds_load_b32 v0, v6 offset:256
	s_wait_dscnt 0x0
	v_add_f32_e32 v1, v1, v0
.LBB101_63:
	s_wait_alu 0xfffe
	s_or_b32 exec_lo, exec_lo, s0
.LBB101_64:
	s_wait_alu 0xfffe
	s_or_b32 exec_lo, exec_lo, s1
	s_mov_b32 s1, 0
	s_wait_loadcnt 0x0
	s_barrier_signal -1
	s_barrier_wait -1
	global_inv scope:SCOPE_SE
	s_mov_b32 s0, exec_lo
	v_cmpx_eq_u32_e32 0, v8
	s_cbranch_execz .LBB101_66
; %bb.65:
	s_mul_i32 s2, s18, 0x50
	s_mul_i32 s4, s8, s12
	s_wait_alu 0xfffe
	s_ashr_i32 s3, s2, 31
	s_ashr_i32 s5, s4, 31
	s_wait_alu 0xfffe
	s_lshl_b64 s[2:3], s[2:3], 1
	s_lshl_b64 s[4:5], s[4:5], 1
	s_wait_alu 0xfffe
	s_add_nc_u64 s[2:3], s[10:11], s[2:3]
	v_lshlrev_b32_e32 v0, 1, v9
	s_mul_i32 s0, s24, 0xa0
	s_wait_alu 0xfffe
	s_add_nc_u64 s[2:3], s[2:3], s[4:5]
	;;#ASMSTART
	v_cvt_f16_f32 v5, v5;

	;;#ASMEND
	s_wait_alu 0xfffe
	s_add_nc_u64 s[0:1], s[2:3], s[0:1]
	global_store_b16 v0, v5, s[0:1]
	;;#ASMSTART
	v_cvt_f16_f32 v4, v4;

	;;#ASMEND
	global_store_b16 v0, v4, s[0:1] offset:32
	;;#ASMSTART
	v_cvt_f16_f32 v3, v3;

	;;#ASMEND
	global_store_b16 v0, v3, s[0:1] offset:64
	;; [unrolled: 5-line block ×4, first 2 shown]
.LBB101_66:
	s_endpgm
.LBB101_67:
	ds_load_b32 v8, v6
	s_wait_dscnt 0x0
	v_add_f32_e32 v5, v5, v8
	s_wait_alu 0xfffe
	s_or_b32 exec_lo, exec_lo, s0
	s_and_saveexec_b32 s0, vcc_lo
	s_cbranch_execz .LBB101_49
.LBB101_68:
	ds_load_b32 v8, v6 offset:64
	s_wait_dscnt 0x0
	v_add_f32_e32 v4, v4, v8
	s_wait_alu 0xfffe
	s_or_b32 exec_lo, exec_lo, s0
	s_and_saveexec_b32 s0, vcc_lo
	s_cbranch_execz .LBB101_50
.LBB101_69:
	ds_load_b32 v8, v6 offset:128
	s_wait_dscnt 0x0
	v_add_f32_e32 v3, v3, v8
	s_wait_alu 0xfffe
	s_or_b32 exec_lo, exec_lo, s0
	s_and_saveexec_b32 s0, vcc_lo
	s_cbranch_execz .LBB101_51
.LBB101_70:
	ds_load_b32 v8, v6 offset:192
	s_wait_dscnt 0x0
	v_add_f32_e32 v2, v2, v8
	s_wait_alu 0xfffe
	s_or_b32 exec_lo, exec_lo, s0
	s_and_saveexec_b32 s0, vcc_lo
	s_cbranch_execnz .LBB101_52
	s_branch .LBB101_53
.LBB101_71:
	ds_load_b32 v0, v6
	s_wait_dscnt 0x0
	v_add_f32_e32 v5, v5, v0
	s_wait_alu 0xfffe
	s_or_b32 exec_lo, exec_lo, s0
	s_and_saveexec_b32 s0, vcc_lo
	s_cbranch_execz .LBB101_59
.LBB101_72:
	ds_load_b32 v0, v6 offset:64
	s_wait_dscnt 0x0
	v_add_f32_e32 v4, v4, v0
	s_wait_alu 0xfffe
	s_or_b32 exec_lo, exec_lo, s0
	s_and_saveexec_b32 s0, vcc_lo
	s_cbranch_execz .LBB101_60
.LBB101_73:
	ds_load_b32 v0, v6 offset:128
	s_wait_dscnt 0x0
	v_add_f32_e32 v3, v3, v0
	s_wait_alu 0xfffe
	s_or_b32 exec_lo, exec_lo, s0
	s_and_saveexec_b32 s0, vcc_lo
	s_cbranch_execz .LBB101_61
.LBB101_74:
	ds_load_b32 v0, v6 offset:192
	s_wait_dscnt 0x0
	v_add_f32_e32 v2, v2, v0
	s_wait_alu 0xfffe
	s_or_b32 exec_lo, exec_lo, s0
	s_and_saveexec_b32 s0, vcc_lo
	s_cbranch_execnz .LBB101_62
	s_branch .LBB101_63
	.section	.rodata,"a",@progbits
	.p2align	6, 0x0
	.amdhsa_kernel _ZN4vllm25paged_attention_v2_kernelIttLi80ELi16ELi128ELNS_18Fp8KVCacheDataTypeE0ELb0ELi512EEEvPfS2_PT_PKS3_PKT0_S9_ifPKiSB_iPKfiiiSD_SD_iiiii
		.amdhsa_group_segment_fixed_size 192
		.amdhsa_private_segment_fixed_size 0
		.amdhsa_kernarg_size 400
		.amdhsa_user_sgpr_count 2
		.amdhsa_user_sgpr_dispatch_ptr 0
		.amdhsa_user_sgpr_queue_ptr 0
		.amdhsa_user_sgpr_kernarg_segment_ptr 1
		.amdhsa_user_sgpr_dispatch_id 0
		.amdhsa_user_sgpr_private_segment_size 0
		.amdhsa_wavefront_size32 1
		.amdhsa_uses_dynamic_stack 0
		.amdhsa_enable_private_segment 0
		.amdhsa_system_sgpr_workgroup_id_x 1
		.amdhsa_system_sgpr_workgroup_id_y 1
		.amdhsa_system_sgpr_workgroup_id_z 1
		.amdhsa_system_sgpr_workgroup_info 0
		.amdhsa_system_vgpr_workitem_id 0
		.amdhsa_next_free_vgpr 91
		.amdhsa_next_free_sgpr 32
		.amdhsa_reserve_vcc 1
		.amdhsa_float_round_mode_32 0
		.amdhsa_float_round_mode_16_64 0
		.amdhsa_float_denorm_mode_32 3
		.amdhsa_float_denorm_mode_16_64 3
		.amdhsa_fp16_overflow 0
		.amdhsa_workgroup_processor_mode 1
		.amdhsa_memory_ordered 1
		.amdhsa_forward_progress 1
		.amdhsa_inst_pref_size 50
		.amdhsa_round_robin_scheduling 0
		.amdhsa_exception_fp_ieee_invalid_op 0
		.amdhsa_exception_fp_denorm_src 0
		.amdhsa_exception_fp_ieee_div_zero 0
		.amdhsa_exception_fp_ieee_overflow 0
		.amdhsa_exception_fp_ieee_underflow 0
		.amdhsa_exception_fp_ieee_inexact 0
		.amdhsa_exception_int_div_zero 0
	.end_amdhsa_kernel
	.section	.text._ZN4vllm25paged_attention_v2_kernelIttLi80ELi16ELi128ELNS_18Fp8KVCacheDataTypeE0ELb0ELi512EEEvPfS2_PT_PKS3_PKT0_S9_ifPKiSB_iPKfiiiSD_SD_iiiii,"axG",@progbits,_ZN4vllm25paged_attention_v2_kernelIttLi80ELi16ELi128ELNS_18Fp8KVCacheDataTypeE0ELb0ELi512EEEvPfS2_PT_PKS3_PKT0_S9_ifPKiSB_iPKfiiiSD_SD_iiiii,comdat
.Lfunc_end101:
	.size	_ZN4vllm25paged_attention_v2_kernelIttLi80ELi16ELi128ELNS_18Fp8KVCacheDataTypeE0ELb0ELi512EEEvPfS2_PT_PKS3_PKT0_S9_ifPKiSB_iPKfiiiSD_SD_iiiii, .Lfunc_end101-_ZN4vllm25paged_attention_v2_kernelIttLi80ELi16ELi128ELNS_18Fp8KVCacheDataTypeE0ELb0ELi512EEEvPfS2_PT_PKS3_PKT0_S9_ifPKiSB_iPKfiiiSD_SD_iiiii
                                        ; -- End function
	.set _ZN4vllm25paged_attention_v2_kernelIttLi80ELi16ELi128ELNS_18Fp8KVCacheDataTypeE0ELb0ELi512EEEvPfS2_PT_PKS3_PKT0_S9_ifPKiSB_iPKfiiiSD_SD_iiiii.num_vgpr, 91
	.set _ZN4vllm25paged_attention_v2_kernelIttLi80ELi16ELi128ELNS_18Fp8KVCacheDataTypeE0ELb0ELi512EEEvPfS2_PT_PKS3_PKT0_S9_ifPKiSB_iPKfiiiSD_SD_iiiii.num_agpr, 0
	.set _ZN4vllm25paged_attention_v2_kernelIttLi80ELi16ELi128ELNS_18Fp8KVCacheDataTypeE0ELb0ELi512EEEvPfS2_PT_PKS3_PKT0_S9_ifPKiSB_iPKfiiiSD_SD_iiiii.numbered_sgpr, 32
	.set _ZN4vllm25paged_attention_v2_kernelIttLi80ELi16ELi128ELNS_18Fp8KVCacheDataTypeE0ELb0ELi512EEEvPfS2_PT_PKS3_PKT0_S9_ifPKiSB_iPKfiiiSD_SD_iiiii.num_named_barrier, 0
	.set _ZN4vllm25paged_attention_v2_kernelIttLi80ELi16ELi128ELNS_18Fp8KVCacheDataTypeE0ELb0ELi512EEEvPfS2_PT_PKS3_PKT0_S9_ifPKiSB_iPKfiiiSD_SD_iiiii.private_seg_size, 0
	.set _ZN4vllm25paged_attention_v2_kernelIttLi80ELi16ELi128ELNS_18Fp8KVCacheDataTypeE0ELb0ELi512EEEvPfS2_PT_PKS3_PKT0_S9_ifPKiSB_iPKfiiiSD_SD_iiiii.uses_vcc, 1
	.set _ZN4vllm25paged_attention_v2_kernelIttLi80ELi16ELi128ELNS_18Fp8KVCacheDataTypeE0ELb0ELi512EEEvPfS2_PT_PKS3_PKT0_S9_ifPKiSB_iPKfiiiSD_SD_iiiii.uses_flat_scratch, 0
	.set _ZN4vllm25paged_attention_v2_kernelIttLi80ELi16ELi128ELNS_18Fp8KVCacheDataTypeE0ELb0ELi512EEEvPfS2_PT_PKS3_PKT0_S9_ifPKiSB_iPKfiiiSD_SD_iiiii.has_dyn_sized_stack, 0
	.set _ZN4vllm25paged_attention_v2_kernelIttLi80ELi16ELi128ELNS_18Fp8KVCacheDataTypeE0ELb0ELi512EEEvPfS2_PT_PKS3_PKT0_S9_ifPKiSB_iPKfiiiSD_SD_iiiii.has_recursion, 0
	.set _ZN4vllm25paged_attention_v2_kernelIttLi80ELi16ELi128ELNS_18Fp8KVCacheDataTypeE0ELb0ELi512EEEvPfS2_PT_PKS3_PKT0_S9_ifPKiSB_iPKfiiiSD_SD_iiiii.has_indirect_call, 0
	.section	.AMDGPU.csdata,"",@progbits
; Kernel info:
; codeLenInByte = 6348
; TotalNumSgprs: 34
; NumVgprs: 91
; ScratchSize: 0
; MemoryBound: 0
; FloatMode: 240
; IeeeMode: 1
; LDSByteSize: 192 bytes/workgroup (compile time only)
; SGPRBlocks: 0
; VGPRBlocks: 11
; NumSGPRsForWavesPerEU: 34
; NumVGPRsForWavesPerEU: 91
; Occupancy: 16
; WaveLimiterHint : 1
; COMPUTE_PGM_RSRC2:SCRATCH_EN: 0
; COMPUTE_PGM_RSRC2:USER_SGPR: 2
; COMPUTE_PGM_RSRC2:TRAP_HANDLER: 0
; COMPUTE_PGM_RSRC2:TGID_X_EN: 1
; COMPUTE_PGM_RSRC2:TGID_Y_EN: 1
; COMPUTE_PGM_RSRC2:TGID_Z_EN: 1
; COMPUTE_PGM_RSRC2:TIDIG_COMP_CNT: 0
	.section	.text._ZN4vllm25paged_attention_v2_kernelIttLi96ELi16ELi128ELNS_18Fp8KVCacheDataTypeE0ELb0ELi512EEEvPfS2_PT_PKS3_PKT0_S9_ifPKiSB_iPKfiiiSD_SD_iiiii,"axG",@progbits,_ZN4vllm25paged_attention_v2_kernelIttLi96ELi16ELi128ELNS_18Fp8KVCacheDataTypeE0ELb0ELi512EEEvPfS2_PT_PKS3_PKT0_S9_ifPKiSB_iPKfiiiSD_SD_iiiii,comdat
	.protected	_ZN4vllm25paged_attention_v2_kernelIttLi96ELi16ELi128ELNS_18Fp8KVCacheDataTypeE0ELb0ELi512EEEvPfS2_PT_PKS3_PKT0_S9_ifPKiSB_iPKfiiiSD_SD_iiiii ; -- Begin function _ZN4vllm25paged_attention_v2_kernelIttLi96ELi16ELi128ELNS_18Fp8KVCacheDataTypeE0ELb0ELi512EEEvPfS2_PT_PKS3_PKT0_S9_ifPKiSB_iPKfiiiSD_SD_iiiii
	.globl	_ZN4vllm25paged_attention_v2_kernelIttLi96ELi16ELi128ELNS_18Fp8KVCacheDataTypeE0ELb0ELi512EEEvPfS2_PT_PKS3_PKT0_S9_ifPKiSB_iPKfiiiSD_SD_iiiii
	.p2align	8
	.type	_ZN4vllm25paged_attention_v2_kernelIttLi96ELi16ELi128ELNS_18Fp8KVCacheDataTypeE0ELb0ELi512EEEvPfS2_PT_PKS3_PKT0_S9_ifPKiSB_iPKfiiiSD_SD_iiiii,@function
_ZN4vllm25paged_attention_v2_kernelIttLi96ELi16ELi128ELNS_18Fp8KVCacheDataTypeE0ELb0ELi512EEEvPfS2_PT_PKS3_PKT0_S9_ifPKiSB_iPKfiiiSD_SD_iiiii: ; @_ZN4vllm25paged_attention_v2_kernelIttLi96ELi16ELi128ELNS_18Fp8KVCacheDataTypeE0ELb0ELi512EEEvPfS2_PT_PKS3_PKT0_S9_ifPKiSB_iPKfiiiSD_SD_iiiii
; %bb.0:
	s_load_b64 s[2:3], s[0:1], 0x40
	s_and_b32 s14, ttmp7, 0xffff
	s_lshr_b32 s24, ttmp7, 16
	s_lshl_b32 s4, s14, 2
	s_lshl_b32 s26, s24, 9
	s_wait_kmcnt 0x0
	s_load_b32 s25, s[2:3], s4 offset:0x0
	s_wait_kmcnt 0x0
	s_cmp_ge_i32 s26, s25
	s_cbranch_scc1 .LBB102_70
; %bb.1:
	s_clause 0x1
	s_load_b32 s15, s[0:1], 0x90
	s_load_b64 s[6:7], s[0:1], 0x30
	s_wait_kmcnt 0x0
	s_abs_i32 s5, s15
	s_abs_i32 s2, s6
	s_delay_alu instid0(SALU_CYCLE_1) | instskip(SKIP_1) | instid1(SALU_CYCLE_2)
	s_cvt_f32_u32 s3, s2
	s_sub_co_i32 s4, 0, s2
	v_rcp_iflag_f32_e32 v1, s3
	s_delay_alu instid0(TRANS32_DEP_1) | instskip(SKIP_2) | instid1(SALU_CYCLE_2)
	v_readfirstlane_b32 s3, v1
	s_mul_f32 s3, s3, 0x4f7ffffe
	s_wait_alu 0xfffe
	s_cvt_u32_f32 s3, s3
	s_wait_alu 0xfffe
	s_delay_alu instid0(SALU_CYCLE_2) | instskip(NEXT) | instid1(SALU_CYCLE_1)
	s_mul_i32 s4, s4, s3
	s_mul_hi_u32 s4, s3, s4
	s_delay_alu instid0(SALU_CYCLE_1)
	s_add_co_i32 s3, s3, s4
	s_xor_b32 s4, s15, s6
	s_wait_alu 0xfffe
	s_mul_hi_u32 s3, s5, s3
	s_ashr_i32 s4, s4, 31
	s_wait_alu 0xfffe
	s_mul_i32 s6, s3, s2
	s_delay_alu instid0(SALU_CYCLE_1)
	s_sub_co_i32 s5, s5, s6
	s_add_co_i32 s6, s3, 1
	s_sub_co_i32 s8, s5, s2
	s_cmp_ge_u32 s5, s2
	s_cselect_b32 s3, s6, s3
	s_cselect_b32 s5, s8, s5
	s_wait_alu 0xfffe
	s_add_co_i32 s6, s3, 1
	s_cmp_ge_u32 s5, s2
	s_load_b64 s[8:9], s[0:1], 0x50
	s_cselect_b32 s2, s6, s3
	s_mov_b32 s3, 0
	s_wait_alu 0xfffe
	s_xor_b32 s2, s2, s4
	s_mov_b32 s6, s3
	s_wait_alu 0xfffe
	s_sub_co_i32 s12, s2, s4
	s_delay_alu instid0(SALU_CYCLE_1) | instskip(NEXT) | instid1(SALU_CYCLE_1)
	s_abs_i32 s11, s12
	s_cvt_f32_u32 s2, s11
	s_wait_alu 0xfffe
	s_delay_alu instid0(SALU_CYCLE_2) | instskip(NEXT) | instid1(TRANS32_DEP_1)
	v_rcp_iflag_f32_e32 v1, s2
	v_readfirstlane_b32 s2, v1
	s_mul_f32 s2, s2, 0x4f7ffffe
	s_wait_alu 0xfffe
	s_delay_alu instid0(SALU_CYCLE_2) | instskip(SKIP_2) | instid1(SALU_CYCLE_1)
	s_cvt_u32_f32 s4, s2
	s_sub_co_i32 s2, 0, s11
	s_wait_alu 0xfffe
	s_mul_i32 s2, s2, s4
	s_wait_alu 0xfffe
	s_mul_hi_u32 s5, s4, s2
	s_abs_i32 s2, ttmp9
	s_add_co_i32 s4, s4, s5
	s_mov_b32 s5, s3
	s_wait_kmcnt 0x0
	s_cmp_eq_u64 s[8:9], 0
	s_cbranch_scc1 .LBB102_3
; %bb.2:
	s_mov_b32 s16, ttmp9
	s_ashr_i32 s17, ttmp9, 31
	s_delay_alu instid0(SALU_CYCLE_1) | instskip(NEXT) | instid1(SALU_CYCLE_1)
	s_lshl_b64 s[16:17], s[16:17], 2
	s_add_nc_u64 s[8:9], s[8:9], s[16:17]
	s_load_b32 s6, s[8:9], 0x0
.LBB102_3:
	s_load_b96 s[8:10], s[0:1], 0x58
	v_lshrrev_b32_e32 v9, 1, v0
	v_and_b32_e32 v10, 1, v0
	v_lshlrev_b32_e32 v13, 3, v0
	s_mul_u64 s[4:5], s[2:3], s[4:5]
	s_ashr_i32 s3, ttmp9, 31
	s_ashr_i32 s4, s12, 31
	s_mul_i32 s12, ttmp9, 0x60
	s_mov_b32 s16, exec_lo
	v_cmpx_gt_u32_e32 24, v0
	s_cbranch_execz .LBB102_5
; %bb.4:
	s_load_b64 s[18:19], s[0:1], 0x18
	s_wait_kmcnt 0x0
	s_mul_i32 s20, s8, s14
	s_ashr_i32 s13, s12, 31
	s_ashr_i32 s21, s20, 31
	v_lshlrev_b32_e32 v3, 3, v9
	s_lshl_b64 s[20:21], s[20:21], 1
	s_delay_alu instid0(VALU_DEP_1) | instskip(SKIP_2) | instid1(SALU_CYCLE_1)
	v_mad_u32_u24 v3, 0x60, v10, v3
	s_add_nc_u64 s[18:19], s[18:19], s[20:21]
	s_lshl_b64 s[20:21], s[12:13], 1
	s_add_nc_u64 s[18:19], s[18:19], s[20:21]
	global_load_b64 v[1:2], v13, s[18:19]
	s_wait_loadcnt 0x0
	ds_store_b64 v3, v[1:2]
.LBB102_5:
	s_or_b32 exec_lo, exec_lo, s16
	s_wait_kmcnt 0x0
	s_add_co_i32 s8, s25, 15
	s_wait_alu 0xfffe
	s_xor_b32 s3, s3, s4
	s_ashr_i32 s13, s8, 31
	s_lshl_b32 s28, s24, 5
	s_lshr_b32 s4, s13, 28
	s_mul_i32 s13, s5, s11
	s_add_co_i32 s8, s8, s4
	s_add_co_i32 s4, s28, 32
	s_ashr_i32 s27, s8, 4
	s_load_b32 s8, s[0:1], 0x48
	s_sub_co_i32 s2, s2, s13
	s_min_i32 s13, s4, s27
	s_add_co_i32 s4, s5, 1
	s_wait_alu 0xfffe
	s_sub_co_i32 s16, s2, s11
	s_cmp_ge_u32 s2, s11
	v_lshrrev_b32_e32 v11, 5, v0
	s_cselect_b32 s4, s4, s5
	s_cselect_b32 s2, s16, s2
	s_add_co_i32 s5, s4, 1
	s_wait_alu 0xfffe
	s_cmp_ge_u32 s2, s11
	v_or_b32_e32 v12, s28, v11
	s_cselect_b32 s2, s5, s4
	v_mbcnt_lo_u32_b32 v16, -1, 0
	s_wait_alu 0xfffe
	s_xor_b32 s2, s2, s3
	s_mov_b32 s4, exec_lo
	s_wait_alu 0xfffe
	s_sub_co_i32 s3, s2, s3
	v_cmp_gt_i32_e64 s2, s13, v12
	s_wait_dscnt 0x0
	s_barrier_signal -1
	s_wait_kmcnt 0x0
	s_mul_i32 s16, s8, s14
	s_barrier_wait -1
	s_ashr_i32 s17, s16, 31
	global_inv scope:SCOPE_SE
                                        ; implicit-def: $vgpr18
                                        ; implicit-def: $vgpr17
	v_cmpx_le_i32_e64 s13, v12
	s_xor_b32 s4, exec_lo, s4
; %bb.6:
	v_dual_mov_b32 v18, 0 :: v_dual_mov_b32 v17, 32
	v_mbcnt_lo_u32_b32 v16, -1, 0
; %bb.7:
	s_or_saveexec_b32 s11, s4
	s_clause 0x1
	s_load_b64 s[18:19], s[0:1], 0x38
	s_load_b32 s8, s[0:1], 0x98
	v_dual_mov_b32 v15, 0xff7fffff :: v_dual_lshlrev_b32 v14, 2, v12
	s_mul_i32 s20, s3, s10
	s_xor_b32 exec_lo, exec_lo, s11
	s_cbranch_execz .LBB102_13
; %bb.8:
	s_load_b64 s[4:5], s[0:1], 0x20
	v_bfe_u32 v1, v0, 1, 4
	s_ashr_i32 s21, s20, 31
	v_dual_mov_b32 v18, 0 :: v_dual_lshlrev_b32 v3, 4, v11
	s_lshl_b64 s[22:23], s[20:21], 1
	s_delay_alu instid0(VALU_DEP_2) | instskip(SKIP_4) | instid1(VALU_DEP_3)
	v_dual_mov_b32 v17, 32 :: v_dual_lshlrev_b32 v4, 4, v1
	v_lshlrev_b32_e32 v5, 2, v1
	s_cmp_neq_f32 s6, 0
	v_dual_mov_b32 v15, 0xff7fffff :: v_dual_and_b32 v2, 8, v13
	v_add3_u32 v20, s26, v3, v1
	v_lshl_or_b32 v1, v11, 6, v5
	s_cselect_b32 s3, -1, 0
	s_lshl_b64 s[30:31], s[16:17], 2
	v_mul_u32_u24_e32 v19, 0x60, v10
	s_wait_kmcnt 0x0
	s_add_nc_u64 s[30:31], s[18:19], s[30:31]
	v_add_nc_u32_e32 v21, 0xe0, v1
	v_xor_b32_e32 v24, 1, v16
	s_add_nc_u64 s[4:5], s[4:5], s[22:23]
	v_mov_b32_e32 v25, v12
	v_add_co_u32 v3, s4, s4, v4
	s_wait_alu 0xf1ff
	v_add_co_ci_u32_e64 v4, null, s5, 0, s4
	s_mov_b32 s21, s9
	v_add_co_u32 v22, s4, v3, v2
	s_wait_alu 0xf1ff
	v_add_co_ci_u32_e64 v23, null, 0, v4, s4
	v_add_co_u32 v1, s4, s30, v14
	s_wait_alu 0xf1ff
	v_add_co_ci_u32_e64 v2, null, s31, 0, s4
	s_mov_b32 s10, 0
	s_sub_co_i32 s22, 1, s25
	v_cmp_eq_u32_e32 vcc_lo, 0, v10
	s_branch .LBB102_10
.LBB102_9:                              ;   in Loop: Header=BB102_10 Depth=1
	s_wait_alu 0xfffe
	s_or_b32 exec_lo, exec_lo, s5
	v_add_nc_u32_e32 v25, 4, v25
	v_add_co_u32 v1, s5, v1, 16
	v_add_nc_u32_e32 v20, 64, v20
	v_add_nc_u32_e32 v21, 0x100, v21
	s_delay_alu instid0(VALU_DEP_4) | instskip(SKIP_3) | instid1(SALU_CYCLE_1)
	v_cmp_le_i32_e64 s4, s13, v25
	s_wait_alu 0xf1ff
	v_add_co_ci_u32_e64 v2, null, 0, v2, s5
	s_or_b32 s10, s4, s10
	s_and_not1_b32 exec_lo, exec_lo, s10
	s_cbranch_execz .LBB102_12
.LBB102_10:                             ; =>This Inner Loop Header: Depth=1
	global_load_b32 v3, v[1:2], off
	s_wait_loadcnt_dscnt 0x0
	v_mad_co_i64_i32 v[3:4], null, v3, s21, 0
	s_delay_alu instid0(VALU_DEP_1) | instskip(NEXT) | instid1(VALU_DEP_1)
	v_lshlrev_b64_e32 v[3:4], 1, v[3:4]
	v_add_co_u32 v3, s4, v22, v3
	s_wait_alu 0xf1ff
	s_delay_alu instid0(VALU_DEP_2)
	v_add_co_ci_u32_e64 v4, null, v23, v4, s4
	v_cmp_gt_i32_e64 s4, 32, v24
	s_clause 0xb
	global_load_b64 v[27:28], v[3:4], off
	global_load_b64 v[34:35], v[3:4], off offset:256
	global_load_b64 v[36:37], v[3:4], off offset:512
	;; [unrolled: 1-line block ×11, first 2 shown]
	ds_load_b64 v[29:30], v19
	s_wait_dscnt 0x0
	v_and_b32_e32 v26, 0xffff, v29
	v_lshrrev_b32_e32 v29, 16, v29
	v_lshrrev_b32_e32 v32, 16, v30
	v_and_b32_e32 v30, 0xffff, v30
	;;#ASMSTART
	v_cvt_f32_f16 v26, v26;
	;;#ASMEND
	s_wait_loadcnt 0xb
	v_and_b32_e32 v31, 0xffff, v27
	v_lshrrev_b32_e32 v33, 16, v27
	;;#ASMSTART
	v_cvt_f32_f16 v27, v29;
	;;#ASMEND
	v_lshrrev_b32_e32 v50, 16, v28
	;;#ASMSTART
	v_cvt_f32_f16 v31, v31;
	;;#ASMEND
	v_and_b32_e32 v51, 0xffff, v28
	;;#ASMSTART
	v_cvt_f32_f16 v28, v33;
	;;#ASMEND
	;;#ASMSTART
	v_cvt_f32_f16 v29, v30;
	;;#ASMEND
	;; [unrolled: 3-line block ×5, first 2 shown]
	ds_load_b64 v[50:51], v19 offset:8
	s_wait_loadcnt 0xa
	v_lshrrev_b32_e32 v53, 16, v34
	v_and_b32_e32 v34, 0xffff, v34
	v_lshrrev_b32_e32 v57, 16, v35
	s_wait_loadcnt 0x9
	v_lshrrev_b32_e32 v59, 16, v36
	v_lshrrev_b32_e32 v63, 16, v37
	v_and_b32_e32 v62, 0xffff, v37
	s_wait_loadcnt 0x8
	v_lshrrev_b32_e32 v65, 16, v38
	v_lshrrev_b32_e32 v69, 16, v39
	v_and_b32_e32 v68, 0xffff, v39
	s_wait_loadcnt 0x7
	v_lshrrev_b32_e32 v71, 16, v40
	v_and_b32_e32 v70, 0xffff, v40
	v_lshrrev_b32_e32 v75, 16, v41
	v_and_b32_e32 v74, 0xffff, v41
	s_wait_loadcnt 0x6
	v_lshrrev_b32_e32 v77, 16, v42
	v_and_b32_e32 v76, 0xffff, v42
	;; [unrolled: 5-line block ×3, first 2 shown]
	s_wait_dscnt 0x0
	v_and_b32_e32 v52, 0xffff, v50
	v_lshrrev_b32_e32 v54, 16, v50
	v_lshrrev_b32_e32 v55, 16, v51
	v_and_b32_e32 v56, 0xffff, v51
	;;#ASMSTART
	v_cvt_f32_f16 v50, v52;
	;;#ASMEND
	;;#ASMSTART
	v_cvt_f32_f16 v51, v54;
	;;#ASMEND
	;; [unrolled: 3-line block ×5, first 2 shown]
	v_and_b32_e32 v35, 0xffff, v35
	;;#ASMSTART
	v_cvt_f32_f16 v55, v55;
	;;#ASMEND
	;;#ASMSTART
	v_cvt_f32_f16 v56, v35;
	;;#ASMEND
	;; [unrolled: 3-line block ×3, first 2 shown]
	ds_load_b64 v[34:35], v19 offset:16
	v_mul_f32_e32 v51, v51, v53
	v_dual_mul_f32 v53, v55, v57 :: v_dual_mul_f32 v50, v50, v52
	v_mul_f32_e32 v52, v54, v56
	v_lshrrev_b32_e32 v87, 16, v45
	s_delay_alu instid0(VALU_DEP_4) | instskip(NEXT) | instid1(VALU_DEP_4)
	v_fmac_f32_e32 v51, v27, v28
	v_dual_fmac_f32 v53, v30, v33 :: v_dual_and_b32 v58, 0xffff, v36
	s_delay_alu instid0(VALU_DEP_4)
	v_fmac_f32_e32 v52, v29, v32
	v_fmac_f32_e32 v50, v26, v31
	v_and_b32_e32 v86, 0xffff, v45
	s_wait_loadcnt 0x4
	v_lshrrev_b32_e32 v89, 16, v46
	v_and_b32_e32 v88, 0xffff, v46
	v_lshrrev_b32_e32 v93, 16, v47
	v_and_b32_e32 v92, 0xffff, v47
	s_wait_loadcnt 0x3
	v_lshrrev_b32_e32 v95, 16, v48
	v_and_b32_e32 v94, 0xffff, v48
	v_lshrrev_b32_e32 v99, 16, v49
	v_and_b32_e32 v98, 0xffff, v49
	s_wait_dscnt 0x0
	v_and_b32_e32 v36, 0xffff, v34
	v_lshrrev_b32_e32 v34, 16, v34
	v_lshrrev_b32_e32 v61, 16, v35
	v_and_b32_e32 v35, 0xffff, v35
	;;#ASMSTART
	v_cvt_f32_f16 v36, v36;
	;;#ASMEND
	;;#ASMSTART
	v_cvt_f32_f16 v37, v34;
	;;#ASMEND
	;; [unrolled: 3-line block ×8, first 2 shown]
	ds_load_b64 v[34:35], v19 offset:24
	v_dual_fmac_f32 v53, v61, v63 :: v_dual_and_b32 v64, 0xffff, v38
	v_fmac_f32_e32 v50, v36, v58
	s_wait_loadcnt 0x2
	v_lshrrev_b32_e32 v100, 16, v7
	v_lshrrev_b32_e32 v101, 16, v8
	v_dual_fmac_f32 v51, v37, v59 :: v_dual_and_b32 v8, 0xffff, v8
	s_wait_loadcnt 0x1
	v_lshrrev_b32_e32 v102, 16, v5
	v_fmac_f32_e32 v52, v60, v62
	s_wait_dscnt 0x0
	v_and_b32_e32 v38, 0xffff, v34
	v_lshrrev_b32_e32 v34, 16, v34
	v_lshrrev_b32_e32 v67, 16, v35
	v_and_b32_e32 v35, 0xffff, v35
	;;#ASMSTART
	v_cvt_f32_f16 v38, v38;
	;;#ASMEND
	;;#ASMSTART
	v_cvt_f32_f16 v39, v34;
	;;#ASMEND
	;; [unrolled: 3-line block ×8, first 2 shown]
	ds_load_b64 v[34:35], v19 offset:32
	v_dual_fmac_f32 v50, v38, v64 :: v_dual_fmac_f32 v51, v39, v65
	v_lshrrev_b32_e32 v39, 16, v6
	v_dual_fmac_f32 v53, v67, v69 :: v_dual_and_b32 v6, 0xffff, v6
	v_fmac_f32_e32 v52, v66, v68
	s_wait_dscnt 0x0
	v_and_b32_e32 v40, 0xffff, v34
	v_lshrrev_b32_e32 v34, 16, v34
	v_lshrrev_b32_e32 v73, 16, v35
	v_and_b32_e32 v35, 0xffff, v35
	;;#ASMSTART
	v_cvt_f32_f16 v40, v40;
	;;#ASMEND
	;;#ASMSTART
	v_cvt_f32_f16 v41, v34;
	;;#ASMEND
	;; [unrolled: 3-line block ×8, first 2 shown]
	ds_load_b64 v[34:35], v19 offset:40
	v_fmac_f32_e32 v51, v41, v71
	v_dual_fmac_f32 v53, v73, v75 :: v_dual_fmac_f32 v50, v40, v70
	s_wait_loadcnt 0x0
	v_lshrrev_b32_e32 v40, 16, v3
	v_dual_fmac_f32 v52, v72, v74 :: v_dual_and_b32 v41, 0xffff, v3
	s_wait_dscnt 0x0
	v_and_b32_e32 v42, 0xffff, v34
	v_lshrrev_b32_e32 v34, 16, v34
	v_lshrrev_b32_e32 v79, 16, v35
	v_and_b32_e32 v35, 0xffff, v35
	;;#ASMSTART
	v_cvt_f32_f16 v42, v42;
	;;#ASMEND
	;;#ASMSTART
	v_cvt_f32_f16 v43, v34;
	;;#ASMEND
	;; [unrolled: 3-line block ×8, first 2 shown]
	ds_load_b64 v[34:35], v19 offset:48
	v_dual_fmac_f32 v50, v42, v76 :: v_dual_and_b32 v7, 0xffff, v7
	v_dual_fmac_f32 v52, v78, v80 :: v_dual_and_b32 v5, 0xffff, v5
	v_fmac_f32_e32 v51, v43, v77
	v_fmac_f32_e32 v53, v79, v81
	v_lshrrev_b32_e32 v42, 16, v4
	s_wait_dscnt 0x0
	v_and_b32_e32 v44, 0xffff, v34
	v_lshrrev_b32_e32 v34, 16, v34
	v_lshrrev_b32_e32 v85, 16, v35
	v_and_b32_e32 v35, 0xffff, v35
	;;#ASMSTART
	v_cvt_f32_f16 v44, v44;
	;;#ASMEND
	;;#ASMSTART
	v_cvt_f32_f16 v45, v34;
	;;#ASMEND
	;;#ASMSTART
	v_cvt_f32_f16 v82, v82;
	;;#ASMEND
	;;#ASMSTART
	v_cvt_f32_f16 v83, v83;
	;;#ASMEND
	;;#ASMSTART
	v_cvt_f32_f16 v84, v35;
	;;#ASMEND
	;;#ASMSTART
	v_cvt_f32_f16 v85, v85;
	;;#ASMEND
	;;#ASMSTART
	v_cvt_f32_f16 v86, v86;
	;;#ASMEND
	;;#ASMSTART
	v_cvt_f32_f16 v87, v87;
	;;#ASMEND
	ds_load_b64 v[34:35], v19 offset:56
	v_dual_fmac_f32 v50, v44, v82 :: v_dual_fmac_f32 v51, v45, v83
	s_wait_dscnt 0x0
	v_dual_fmac_f32 v53, v85, v87 :: v_dual_and_b32 v46, 0xffff, v34
	v_lshrrev_b32_e32 v34, 16, v34
	v_lshrrev_b32_e32 v91, 16, v35
	v_and_b32_e32 v35, 0xffff, v35
	;;#ASMSTART
	v_cvt_f32_f16 v46, v46;
	;;#ASMEND
	;;#ASMSTART
	v_cvt_f32_f16 v47, v34;
	;;#ASMEND
	;;#ASMSTART
	v_cvt_f32_f16 v88, v88;
	;;#ASMEND
	;;#ASMSTART
	v_cvt_f32_f16 v89, v89;
	;;#ASMEND
	;;#ASMSTART
	v_cvt_f32_f16 v90, v35;
	;;#ASMEND
	;;#ASMSTART
	v_cvt_f32_f16 v91, v91;
	;;#ASMEND
	;;#ASMSTART
	v_cvt_f32_f16 v92, v92;
	;;#ASMEND
	;;#ASMSTART
	v_cvt_f32_f16 v93, v93;
	;;#ASMEND
	ds_load_b64 v[34:35], v19 offset:64
	v_dual_fmac_f32 v50, v46, v88 :: v_dual_fmac_f32 v51, v47, v89
	s_wait_dscnt 0x0
	v_dual_fmac_f32 v53, v91, v93 :: v_dual_and_b32 v48, 0xffff, v34
	;; [unrolled: 31-line block ×3, first 2 shown]
	v_lshrrev_b32_e32 v27, 16, v34
	v_lshrrev_b32_e32 v31, 16, v35
	v_and_b32_e32 v30, 0xffff, v35
	;;#ASMSTART
	v_cvt_f32_f16 v26, v26;
	;;#ASMEND
	;;#ASMSTART
	v_cvt_f32_f16 v27, v27;
	;;#ASMEND
	;; [unrolled: 3-line block ×8, first 2 shown]
	ds_load_b64 v[7:8], v19 offset:80
	v_dual_fmac_f32 v50, v26, v28 :: v_dual_fmac_f32 v51, v27, v29
	v_dual_fmac_f32 v53, v31, v33 :: v_dual_and_b32 v26, 0xffff, v4
	s_wait_dscnt 0x0
	v_and_b32_e32 v34, 0xffff, v7
	v_lshrrev_b32_e32 v35, 16, v7
	v_lshrrev_b32_e32 v37, 16, v8
	v_and_b32_e32 v36, 0xffff, v8
	;;#ASMSTART
	v_cvt_f32_f16 v7, v34;
	;;#ASMEND
	;;#ASMSTART
	v_cvt_f32_f16 v8, v35;
	;;#ASMEND
	;; [unrolled: 3-line block ×8, first 2 shown]
	ds_load_b64 v[5:6], v19 offset:88
	v_fmac_f32_e32 v52, v84, v86
	v_dual_fmac_f32 v50, v7, v34 :: v_dual_fmac_f32 v51, v8, v35
	v_fmac_f32_e32 v53, v37, v39
	s_wait_dscnt 0x0
	s_delay_alu instid0(VALU_DEP_3)
	v_dual_fmac_f32 v52, v90, v92 :: v_dual_and_b32 v3, 0xffff, v5
	v_lshrrev_b32_e32 v4, 16, v5
	v_lshrrev_b32_e32 v7, 16, v6
	v_and_b32_e32 v8, 0xffff, v6
	;;#ASMSTART
	v_cvt_f32_f16 v3, v3;
	;;#ASMEND
	v_fmac_f32_e32 v52, v96, v98
	;;#ASMSTART
	v_cvt_f32_f16 v4, v4;
	;;#ASMEND
	;;#ASMSTART
	v_cvt_f32_f16 v5, v41;
	;;#ASMEND
	;; [unrolled: 3-line block ×3, first 2 shown]
	v_fmac_f32_e32 v50, v3, v5
	v_dual_fmac_f32 v52, v30, v32 :: v_dual_fmac_f32 v51, v4, v6
	;;#ASMSTART
	v_cvt_f32_f16 v3, v8;
	;;#ASMEND
	;;#ASMSTART
	v_cvt_f32_f16 v4, v7;
	;;#ASMEND
	;;#ASMSTART
	v_cvt_f32_f16 v5, v26;
	;;#ASMEND
	s_delay_alu instid0(VALU_DEP_1) | instskip(NEXT) | instid1(VALU_DEP_1)
	v_fmac_f32_e32 v52, v36, v38
	v_dual_fmac_f32 v52, v3, v5 :: v_dual_add_f32 v3, v50, v51
	;;#ASMSTART
	v_cvt_f32_f16 v5, v42;
	;;#ASMEND
	v_fmac_f32_e32 v53, v4, v5
	s_wait_alu 0xf1ff
	v_cndmask_b32_e64 v4, v16, v24, s4
	v_add_f32_e32 v3, v3, v52
	s_delay_alu instid0(VALU_DEP_1)
	v_dual_add_f32 v3, v53, v3 :: v_dual_lshlrev_b32 v4, 2, v4
	ds_bpermute_b32 v4, v4, v3
	s_and_saveexec_b32 s5, vcc_lo
	s_cbranch_execz .LBB102_9
; %bb.11:                               ;   in Loop: Header=BB102_10 Depth=1
	s_wait_dscnt 0x0
	v_add_f32_e32 v3, v3, v4
	v_add_nc_u32_e32 v5, s22, v20
	v_cmp_gt_i32_e64 s4, s25, v20
	s_delay_alu instid0(VALU_DEP_2) | instskip(NEXT) | instid1(VALU_DEP_1)
	v_cvt_f32_i32_e32 v5, v5
	v_mul_f32_e32 v5, s6, v5
	s_wait_alu 0xfffe
	s_delay_alu instid0(VALU_DEP_1) | instskip(SKIP_1) | instid1(VALU_DEP_2)
	v_cndmask_b32_e64 v4, 0, v5, s3
	v_max_num_f32_e32 v5, v15, v15
	v_fmac_f32_e32 v4, s7, v3
	s_delay_alu instid0(VALU_DEP_1) | instskip(SKIP_2) | instid1(VALU_DEP_2)
	v_max_num_f32_e32 v3, v5, v4
	s_wait_alu 0xf1ff
	v_cndmask_b32_e64 v4, 0, v4, s4
	v_cndmask_b32_e64 v15, v15, v3, s4
	ds_store_b32 v21, v4
	s_branch .LBB102_9
.LBB102_12:
	s_or_b32 exec_lo, exec_lo, s10
.LBB102_13:
	s_delay_alu instid0(SALU_CYCLE_1)
	s_or_b32 exec_lo, exec_lo, s11
	v_xor_b32_e32 v1, 16, v16
	v_xor_b32_e32 v2, 8, v16
	s_clause 0x2
	s_load_b128 s[4:7], s[0:1], 0x0
	s_load_b64 s[10:11], s[0:1], 0x10
	s_load_b64 s[22:23], s[0:1], 0x28
	v_lshlrev_b32_e32 v7, 2, v11
	s_wait_dscnt 0x0
	v_max_num_f32_e32 v4, v15, v15
	v_cmp_lt_i32_e32 vcc_lo, v1, v17
	v_cndmask_b32_e32 v1, v16, v1, vcc_lo
	v_cmp_lt_i32_e32 vcc_lo, v2, v17
	s_wait_alu 0xfffd
	s_delay_alu instid0(VALU_DEP_2) | instskip(SKIP_4) | instid1(VALU_DEP_1)
	v_dual_cndmask_b32 v2, v16, v2 :: v_dual_lshlrev_b32 v3, 2, v1
	ds_bpermute_b32 v1, v3, v15
	v_and_b32_e32 v15, 31, v0
	s_wait_dscnt 0x0
	v_max_num_f32_e32 v1, v1, v1
	v_max_num_f32_e32 v1, v4, v1
	v_xor_b32_e32 v4, 4, v16
	s_delay_alu instid0(VALU_DEP_1) | instskip(SKIP_2) | instid1(VALU_DEP_1)
	v_cmp_lt_i32_e32 vcc_lo, v4, v17
	s_wait_alu 0xfffd
	v_cndmask_b32_e32 v4, v16, v4, vcc_lo
	v_lshlrev_b32_e32 v6, 2, v4
	v_xor_b32_e32 v4, 2, v16
	s_delay_alu instid0(VALU_DEP_1)
	v_cmp_lt_i32_e32 vcc_lo, v4, v17
	s_wait_alu 0xfffd
	v_dual_cndmask_b32 v4, v16, v4 :: v_dual_lshlrev_b32 v5, 2, v2
	ds_bpermute_b32 v2, v5, v1
	v_cmp_eq_u32_e32 vcc_lo, 0, v15
	s_wait_dscnt 0x0
	v_max_num_f32_e32 v2, v2, v2
	s_delay_alu instid0(VALU_DEP_1) | instskip(SKIP_3) | instid1(VALU_DEP_1)
	v_max_num_f32_e32 v1, v1, v2
	ds_bpermute_b32 v2, v6, v1
	s_wait_dscnt 0x0
	v_max_num_f32_e32 v2, v2, v2
	v_dual_max_num_f32 v1, v1, v2 :: v_dual_lshlrev_b32 v2, 2, v4
	ds_bpermute_b32 v4, v2, v1
	s_and_saveexec_b32 s0, vcc_lo
	s_cbranch_execz .LBB102_15
; %bb.14:
	s_wait_dscnt 0x0
	v_dual_max_num_f32 v4, v4, v4 :: v_dual_max_num_f32 v1, v1, v1
	s_delay_alu instid0(VALU_DEP_1)
	v_max_num_f32_e32 v1, v1, v4
	ds_store_b32 v7, v1 offset:192
.LBB102_15:
	s_or_b32 exec_lo, exec_lo, s0
	v_cmp_gt_u32_e64 s0, 4, v15
	v_dual_mov_b32 v1, 0xff7fffff :: v_dual_lshlrev_b32 v8, 2, v15
	s_wait_loadcnt_dscnt 0x0
	s_barrier_signal -1
	s_barrier_wait -1
	global_inv scope:SCOPE_SE
	s_and_saveexec_b32 s1, s0
; %bb.16:
	ds_load_b32 v1, v8 offset:192
; %bb.17:
	s_or_b32 exec_lo, exec_lo, s1
	s_wait_dscnt 0x0
	ds_bpermute_b32 v4, v2, v1
	v_xor_b32_e32 v19, 1, v16
	v_max_num_f32_e32 v1, v1, v1
	s_delay_alu instid0(VALU_DEP_2) | instskip(NEXT) | instid1(VALU_DEP_1)
	v_cmp_lt_i32_e64 s1, v19, v17
	v_cndmask_b32_e64 v17, v16, v19, s1
	s_sub_co_i32 s1, s13, s28
	s_wait_alu 0xfffe
	s_lshl_b32 s1, s1, 4
	s_delay_alu instid0(VALU_DEP_1)
	v_lshlrev_b32_e32 v17, 2, v17
	s_wait_alu 0xfffe
	s_add_co_i32 s1, s1, s26
	s_wait_alu 0xfffe
	s_min_i32 s1, s1, s25
	s_wait_dscnt 0x0
	v_max_num_f32_e32 v4, v4, v4
	s_wait_alu 0xfffe
	s_sub_co_i32 s21, s1, s26
	s_wait_alu 0xfffe
	v_cmp_gt_i32_e64 s1, s21, v0
	v_max_num_f32_e32 v1, v1, v4
	ds_bpermute_b32 v4, v17, v1
	s_wait_dscnt 0x0
	v_max_num_f32_e32 v4, v4, v4
	s_delay_alu instid0(VALU_DEP_1)
	v_dual_max_num_f32 v1, v1, v4 :: v_dual_lshlrev_b32 v4, 2, v18
	v_mov_b32_e32 v18, 0
	ds_bpermute_b32 v1, v4, v1
	v_lshl_add_u32 v4, v0, 2, 0xe0
	s_and_saveexec_b32 s28, s1
	s_cbranch_execz .LBB102_21
; %bb.18:
	v_lshl_add_u32 v19, v0, 2, 0xe0
	v_mov_b32_e32 v18, 0
	v_mov_b32_e32 v20, v0
	s_mov_b32 s29, 0
.LBB102_19:                             ; =>This Inner Loop Header: Depth=1
	ds_load_b32 v21, v19
	v_add_nc_u32_e32 v20, 0x80, v20
	s_delay_alu instid0(VALU_DEP_1) | instskip(SKIP_4) | instid1(VALU_DEP_1)
	v_cmp_le_i32_e64 s3, s21, v20
	s_wait_alu 0xfffe
	s_or_b32 s29, s3, s29
	s_wait_dscnt 0x0
	v_sub_f32_e32 v21, v21, v1
	v_mul_f32_e32 v21, 0x3fb8aa3b, v21
	s_delay_alu instid0(VALU_DEP_1)
	v_exp_f32_e32 v21, v21
	ds_store_b32 v19, v21
	v_dual_add_f32 v18, v18, v21 :: v_dual_add_nc_u32 v19, 0x200, v19
	s_wait_alu 0xfffe
	s_and_not1_b32 exec_lo, exec_lo, s29
	s_cbranch_execnz .LBB102_19
; %bb.20:
	s_or_b32 exec_lo, exec_lo, s29
.LBB102_21:
	s_wait_alu 0xfffe
	s_or_b32 exec_lo, exec_lo, s28
	ds_bpermute_b32 v3, v3, v18
	s_wait_dscnt 0x0
	v_add_f32_e32 v3, v18, v3
	ds_bpermute_b32 v5, v5, v3
	s_wait_dscnt 0x0
	v_add_f32_e32 v3, v3, v5
	;; [unrolled: 3-line block ×5, first 2 shown]
	s_and_saveexec_b32 s3, vcc_lo
; %bb.22:
	ds_store_b32 v7, v3 offset:208
; %bb.23:
	s_wait_alu 0xfffe
	s_or_b32 exec_lo, exec_lo, s3
	s_wait_loadcnt_dscnt 0x0
	s_barrier_signal -1
	s_barrier_wait -1
	global_inv scope:SCOPE_SE
	s_and_saveexec_b32 s3, s0
; %bb.24:
	ds_load_b32 v3, v8 offset:208
; %bb.25:
	s_wait_alu 0xfffe
	s_or_b32 exec_lo, exec_lo, s3
	s_wait_dscnt 0x0
	ds_bpermute_b32 v2, v2, v3
	s_wait_dscnt 0x0
	v_dual_add_f32 v2, v3, v2 :: v_dual_lshlrev_b32 v5, 2, v16
	ds_bpermute_b32 v3, v17, v2
	s_wait_dscnt 0x0
	v_dual_add_f32 v2, v2, v3 :: v_dual_and_b32 v3, 0xffffff80, v5
	ds_bpermute_b32 v2, v3, v2
	s_and_saveexec_b32 s0, s1
	s_cbranch_execz .LBB102_28
; %bb.26:
	s_wait_dscnt 0x0
	v_add_f32_e32 v3, 0x358637bd, v2
	s_mov_b32 s1, 0
	s_delay_alu instid0(VALU_DEP_1) | instskip(SKIP_1) | instid1(VALU_DEP_2)
	v_div_scale_f32 v5, null, v3, v3, 1.0
	v_div_scale_f32 v8, vcc_lo, 1.0, v3, 1.0
	v_rcp_f32_e32 v6, v5
	s_delay_alu instid0(TRANS32_DEP_1) | instskip(NEXT) | instid1(VALU_DEP_1)
	v_fma_f32 v7, -v5, v6, 1.0
	v_fmac_f32_e32 v6, v7, v6
	s_delay_alu instid0(VALU_DEP_1) | instskip(NEXT) | instid1(VALU_DEP_1)
	v_mul_f32_e32 v7, v8, v6
	v_fma_f32 v16, -v5, v7, v8
	s_delay_alu instid0(VALU_DEP_1) | instskip(NEXT) | instid1(VALU_DEP_1)
	v_fmac_f32_e32 v7, v16, v6
	v_fma_f32 v5, -v5, v7, v8
	s_wait_alu 0xfffd
	s_delay_alu instid0(VALU_DEP_1) | instskip(NEXT) | instid1(VALU_DEP_1)
	v_div_fmas_f32 v5, v5, v6, v7
	v_div_fixup_f32 v3, v5, v3, 1.0
	v_mov_b32_e32 v5, v0
.LBB102_27:                             ; =>This Inner Loop Header: Depth=1
	ds_load_b32 v6, v4
	s_wait_dscnt 0x0
	v_dual_mul_f32 v6, v3, v6 :: v_dual_add_nc_u32 v5, 0x80, v5
	s_delay_alu instid0(VALU_DEP_1)
	v_cmp_le_i32_e32 vcc_lo, s21, v5
	ds_store_b32 v4, v6
	v_add_nc_u32_e32 v4, 0x200, v4
	s_wait_alu 0xfffe
	s_or_b32 s1, vcc_lo, s1
	s_wait_alu 0xfffe
	s_and_not1_b32 exec_lo, exec_lo, s1
	s_cbranch_execnz .LBB102_27
.LBB102_28:
	s_wait_alu 0xfffe
	s_or_b32 exec_lo, exec_lo, s0
	s_wait_kmcnt 0x0
	s_mul_i32 s0, s8, s14
	s_wait_loadcnt_dscnt 0x0
	s_wait_alu 0xfffe
	s_mul_i32 s14, s0, s15
	s_mov_b32 s0, exec_lo
	s_barrier_signal -1
	s_barrier_wait -1
	global_inv scope:SCOPE_SE
	v_cmpx_eq_u32_e32 0, v0
	s_cbranch_execz .LBB102_30
; %bb.29:
	s_ashr_i32 s15, s14, 31
	s_wait_alu 0xfffe
	s_mul_i32 s28, s8, ttmp9
	s_lshl_b32 s1, s24, 2
	s_lshl_b64 s[30:31], s[14:15], 2
	s_wait_alu 0xfffe
	s_ashr_i32 s29, s28, 31
	v_mov_b32_e32 v3, s1
	s_add_nc_u64 s[6:7], s[6:7], s[30:31]
	s_wait_alu 0xfffe
	s_lshl_b64 s[28:29], s[28:29], 2
	s_add_nc_u64 s[4:5], s[4:5], s[30:31]
	s_wait_alu 0xfffe
	s_add_nc_u64 s[6:7], s[6:7], s[28:29]
	s_add_nc_u64 s[4:5], s[4:5], s[28:29]
	s_clause 0x1
	global_store_b32 v3, v1, s[6:7]
	global_store_b32 v3, v2, s[4:5]
.LBB102_30:
	s_wait_alu 0xfffe
	s_or_b32 exec_lo, exec_lo, s0
	v_dual_mov_b32 v21, 0 :: v_dual_mov_b32 v22, 0
	v_dual_mov_b32 v20, 0 :: v_dual_mov_b32 v19, 0
	v_mov_b32_e32 v18, 0
	v_mov_b32_e32 v16, 0
	s_and_saveexec_b32 s1, s2
	s_cbranch_execz .LBB102_46
; %bb.31:
	v_dual_mov_b32 v16, 0 :: v_dual_lshlrev_b32 v1, 4, v0
	s_ashr_i32 s21, s20, 31
	v_dual_mov_b32 v18, 0 :: v_dual_lshlrev_b32 v3, 5, v10
	s_delay_alu instid0(VALU_DEP_2)
	v_dual_mov_b32 v20, 0 :: v_dual_and_b32 v1, 0x1f0, v1
	s_wait_alu 0xfffe
	s_lshl_b64 s[2:3], s[20:21], 1
	v_dual_mov_b32 v19, 0 :: v_dual_and_b32 v2, 8, v13
	s_wait_alu 0xfffe
	s_add_nc_u64 s[2:3], s[22:23], s[2:3]
	v_lshl_add_u32 v4, v11, 4, s26
	s_wait_alu 0xfffe
	v_add_co_u32 v13, s0, s2, v1
	s_wait_alu 0xf1ff
	v_add_co_ci_u32_e64 v23, null, s3, 0, s0
	s_lshl_b64 s[2:3], s[16:17], 2
	v_lshl_or_b32 v3, v11, 6, v3
	s_wait_alu 0xfffe
	s_add_nc_u64 s[2:3], s[18:19], s[2:3]
	v_add3_u32 v24, v4, v2, 7
	s_wait_alu 0xfffe
	v_add_co_u32 v5, s0, s2, v14
	v_dual_mov_b32 v22, 0 :: v_dual_add_nc_u32 v25, 0xe0, v3
	s_wait_alu 0xf1ff
	v_add_co_ci_u32_e64 v6, null, s3, 0, s0
	v_mov_b32_e32 v21, 0
	s_mov_b32 s2, s9
	s_add_co_i32 s27, s27, -1
	s_mov_b32 s3, 0
	s_branch .LBB102_33
.LBB102_32:                             ;   in Loop: Header=BB102_33 Depth=1
	s_wait_alu 0xfffe
	s_or_b32 exec_lo, exec_lo, s0
	v_dual_add_f32 v27, v42, v43 :: v_dual_lshlrev_b32 v14, 16, v46
	v_lshlrev_b32_e32 v8, 16, v8
	v_dual_add_f32 v26, v44, v45 :: v_dual_lshlrev_b32 v7, 16, v7
	s_delay_alu instid0(VALU_DEP_3) | instskip(NEXT) | instid1(VALU_DEP_4)
	v_and_or_b32 v1, 0xffff, v1, v14
	v_add_f32_e32 v19, v19, v27
	s_delay_alu instid0(VALU_DEP_4) | instskip(NEXT) | instid1(VALU_DEP_4)
	v_and_or_b32 v2, 0xffff, v2, v8
	v_and_or_b32 v3, 0xffff, v3, v7
	;;#ASMSTART
	v_pk_mul_f16 v1, v33, v1;

	;;#ASMEND
	;;#ASMSTART
	v_pk_mul_f16 v2, v32, v2;

	;;#ASMEND
	;;#ASMSTART
	v_pk_mul_f16 v3, v34, v3;

	;;#ASMEND
	;;#ASMSTART
	v_pk_mul_f16 v4, v35, v4;

	;;#ASMEND
	;;#ASMSTART
	v_pk_add_f16 v1, v1, v2;

	;;#ASMEND
	;;#ASMSTART
	v_pk_add_f16 v1, v1, v3;

	;;#ASMEND
	v_dual_add_f32 v2, v38, v39 :: v_dual_add_f32 v3, v36, v37
	;;#ASMSTART
	v_pk_add_f16 v1, v1, v4;

	;;#ASMEND
	v_and_b32_e32 v4, 0xffff, v1
	v_add_nc_u32_e32 v12, 4, v12
	v_lshrrev_b32_e32 v7, 16, v1
	v_add_f32_e32 v21, v21, v3
	;;#ASMSTART
	v_cvt_f32_f16 v4, v4;
	;;#ASMEND
	v_dual_add_f32 v18, v18, v26 :: v_dual_add_f32 v1, v40, v41
	;;#ASMSTART
	v_cvt_f32_f16 v7, v7;
	;;#ASMEND
	v_dual_add_f32 v4, v4, v7 :: v_dual_add_nc_u32 v25, 0x100, v25
	v_cmp_le_i32_e32 vcc_lo, s13, v12
	v_add_co_u32 v5, s0, v5, 16
	v_add_f32_e32 v20, v20, v1
	v_add_f32_e32 v22, v22, v2
	;; [unrolled: 1-line block ×3, first 2 shown]
	v_add_nc_u32_e32 v24, 64, v24
	s_wait_alu 0xf1ff
	v_add_co_ci_u32_e64 v6, null, 0, v6, s0
	s_or_b32 s3, vcc_lo, s3
	s_wait_alu 0xfffe
	s_and_not1_b32 exec_lo, exec_lo, s3
	s_cbranch_execz .LBB102_45
.LBB102_33:                             ; =>This Inner Loop Header: Depth=1
	global_load_b32 v7, v[5:6], off
	ds_load_2addr_b64 v[1:4], v25 offset1:1
	ds_load_2addr_b64 v[26:29], v25 offset0:2 offset1:3
	v_add_nc_u32_e32 v31, -6, v24
	v_add_nc_u32_e32 v30, -5, v24
	;; [unrolled: 1-line block ×3, first 2 shown]
	s_wait_dscnt 0x1
	;;#ASMSTART
	v_cvt_f16_f32 v33, v1;

	;;#ASMEND
	;;#ASMSTART
	v_cvt_f16_f32 v32, v2;

	;;#ASMEND
	;;#ASMSTART
	v_cvt_f16_f32 v38, v3;

	;;#ASMEND
	;;#ASMSTART
	v_cvt_f16_f32 v36, v4;

	;;#ASMEND
	s_wait_dscnt 0x0
	;;#ASMSTART
	v_cvt_f16_f32 v39, v26;

	;;#ASMEND
	;;#ASMSTART
	v_cvt_f16_f32 v34, v27;

	;;#ASMEND
	;; [unrolled: 4-line block ×4, first 2 shown]
	v_add_nc_u32_e32 v29, -7, v24
	v_add_nc_u32_e32 v27, -4, v24
	;; [unrolled: 1-line block ×4, first 2 shown]
	s_wait_loadcnt 0x0
	s_wait_alu 0xfffe
	v_mad_co_i64_i32 v[7:8], null, v7, s2, 0
	s_delay_alu instid0(VALU_DEP_1) | instskip(NEXT) | instid1(VALU_DEP_1)
	v_lshlrev_b64_e32 v[7:8], 1, v[7:8]
	v_add_co_u32 v7, vcc_lo, v13, v7
	s_wait_alu 0xfffd
	s_delay_alu instid0(VALU_DEP_2)
	v_add_co_ci_u32_e64 v8, null, v23, v8, vcc_lo
	v_cmp_eq_u32_e32 vcc_lo, s27, v12
	global_load_b128 v[1:4], v[7:8], off
	s_wait_loadcnt 0x0
	v_lshrrev_b32_e32 v42, 16, v1
	v_lshrrev_b32_e32 v41, 16, v2
	v_lshrrev_b32_e32 v40, 16, v3
	s_and_saveexec_b32 s4, vcc_lo
	s_cbranch_execz .LBB102_35
; %bb.34:                               ;   in Loop: Header=BB102_33 Depth=1
	v_cmp_gt_i32_e64 s0, s25, v29
	v_and_b32_e32 v43, 0xffff, v4
	v_and_b32_e32 v4, 0xffff0000, v4
	s_wait_alu 0xf1ff
	s_delay_alu instid0(VALU_DEP_3) | instskip(SKIP_2) | instid1(VALU_DEP_1)
	v_cndmask_b32_e64 v1, 0, v1, s0
	v_cmp_gt_i32_e64 s0, s25, v31
	s_wait_alu 0xf1ff
	v_cndmask_b32_e64 v42, 0, v42, s0
	v_cmp_gt_i32_e64 s0, s25, v30
	s_wait_alu 0xf1ff
	s_delay_alu instid0(VALU_DEP_1) | instskip(SKIP_2) | instid1(VALU_DEP_1)
	v_cndmask_b32_e64 v2, 0, v2, s0
	v_cmp_gt_i32_e64 s0, s25, v27
	s_wait_alu 0xf1ff
	v_cndmask_b32_e64 v41, 0, v41, s0
	v_cmp_gt_i32_e64 s0, s25, v28
	s_wait_alu 0xf1ff
	s_delay_alu instid0(VALU_DEP_1) | instskip(SKIP_2) | instid1(VALU_DEP_1)
	v_cndmask_b32_e64 v43, 0, v43, s0
	v_cmp_gt_i32_e64 s0, s25, v24
	s_wait_alu 0xf1ff
	v_cndmask_b32_e64 v4, 0, v4, s0
	v_cmp_gt_i32_e64 s0, s25, v26
	s_delay_alu instid0(VALU_DEP_2) | instskip(SKIP_1) | instid1(VALU_DEP_2)
	v_or_b32_e32 v4, v43, v4
	s_wait_alu 0xf1ff
	v_cndmask_b32_e64 v3, 0, v3, s0
	v_cmp_gt_i32_e64 s0, s25, v14
	s_wait_alu 0xf1ff
	s_delay_alu instid0(VALU_DEP_1)
	v_cndmask_b32_e64 v40, 0, v40, s0
.LBB102_35:                             ;   in Loop: Header=BB102_33 Depth=1
	s_wait_alu 0xfffe
	s_or_b32 exec_lo, exec_lo, s4
	v_and_b32_e32 v33, 0xffff, v33
	v_and_b32_e32 v38, 0xffff, v38
	v_lshlrev_b32_e32 v42, 16, v42
	v_and_b32_e32 v39, 0xffff, v39
	v_and_b32_e32 v37, 0xffff, v37
	v_lshl_or_b32 v33, v32, 16, v33
	v_lshl_or_b32 v32, v36, 16, v38
	v_lshlrev_b32_e32 v36, 16, v41
	v_lshlrev_b32_e32 v38, 16, v40
	v_and_or_b32 v1, 0xffff, v1, v42
	;;#ASMSTART
	v_pk_mul_f16 v1, v33, v1;

	;;#ASMEND
	v_lshl_or_b32 v34, v34, 16, v39
	v_and_or_b32 v2, 0xffff, v2, v36
	v_and_or_b32 v3, 0xffff, v3, v38
	v_lshl_or_b32 v35, v35, 16, v37
	;;#ASMSTART
	v_pk_mul_f16 v2, v32, v2;

	;;#ASMEND
	;;#ASMSTART
	v_pk_mul_f16 v3, v34, v3;

	;;#ASMEND
	;; [unrolled: 4-line block ×3, first 2 shown]
	;;#ASMSTART
	v_pk_add_f16 v1, v1, v2;

	;;#ASMEND
	;;#ASMSTART
	v_pk_add_f16 v1, v1, v3;

	;;#ASMEND
	;;#ASMSTART
	v_pk_add_f16 v1, v1, v4;

	;;#ASMEND
	v_and_b32_e32 v2, 0xffff, v1
	v_lshrrev_b32_e32 v1, 16, v1
	;;#ASMSTART
	v_cvt_f32_f16 v36, v2;
	;;#ASMEND
	;;#ASMSTART
	v_cvt_f32_f16 v37, v1;
	;;#ASMEND
	global_load_b128 v[1:4], v[7:8], off offset:512
	s_wait_loadcnt 0x0
	v_lshrrev_b32_e32 v40, 16, v1
	v_lshrrev_b32_e32 v39, 16, v2
	;; [unrolled: 1-line block ×3, first 2 shown]
	s_and_saveexec_b32 s4, vcc_lo
	s_cbranch_execz .LBB102_37
; %bb.36:                               ;   in Loop: Header=BB102_33 Depth=1
	v_cmp_gt_i32_e64 s0, s25, v29
	v_and_b32_e32 v41, 0xffff, v4
	v_and_b32_e32 v4, 0xffff0000, v4
	s_wait_alu 0xf1ff
	s_delay_alu instid0(VALU_DEP_3) | instskip(SKIP_2) | instid1(VALU_DEP_1)
	v_cndmask_b32_e64 v1, 0, v1, s0
	v_cmp_gt_i32_e64 s0, s25, v31
	s_wait_alu 0xf1ff
	v_cndmask_b32_e64 v40, 0, v40, s0
	v_cmp_gt_i32_e64 s0, s25, v30
	s_wait_alu 0xf1ff
	s_delay_alu instid0(VALU_DEP_1) | instskip(SKIP_2) | instid1(VALU_DEP_1)
	v_cndmask_b32_e64 v2, 0, v2, s0
	v_cmp_gt_i32_e64 s0, s25, v27
	s_wait_alu 0xf1ff
	v_cndmask_b32_e64 v39, 0, v39, s0
	v_cmp_gt_i32_e64 s0, s25, v28
	s_wait_alu 0xf1ff
	s_delay_alu instid0(VALU_DEP_1) | instskip(SKIP_2) | instid1(VALU_DEP_1)
	v_cndmask_b32_e64 v41, 0, v41, s0
	v_cmp_gt_i32_e64 s0, s25, v24
	s_wait_alu 0xf1ff
	v_cndmask_b32_e64 v4, 0, v4, s0
	v_cmp_gt_i32_e64 s0, s25, v26
	s_delay_alu instid0(VALU_DEP_2) | instskip(SKIP_1) | instid1(VALU_DEP_2)
	v_or_b32_e32 v4, v41, v4
	s_wait_alu 0xf1ff
	v_cndmask_b32_e64 v3, 0, v3, s0
	v_cmp_gt_i32_e64 s0, s25, v14
	s_wait_alu 0xf1ff
	s_delay_alu instid0(VALU_DEP_1)
	v_cndmask_b32_e64 v38, 0, v38, s0
.LBB102_37:                             ;   in Loop: Header=BB102_33 Depth=1
	s_wait_alu 0xfffe
	s_or_b32 exec_lo, exec_lo, s4
	v_lshlrev_b32_e32 v40, 16, v40
	v_lshlrev_b32_e32 v39, 16, v39
	;; [unrolled: 1-line block ×3, first 2 shown]
	s_delay_alu instid0(VALU_DEP_3) | instskip(NEXT) | instid1(VALU_DEP_3)
	v_and_or_b32 v1, 0xffff, v1, v40
	v_and_or_b32 v2, 0xffff, v2, v39
	s_delay_alu instid0(VALU_DEP_3)
	v_and_or_b32 v3, 0xffff, v3, v38
	;;#ASMSTART
	v_pk_mul_f16 v1, v33, v1;

	;;#ASMEND
	;;#ASMSTART
	v_pk_mul_f16 v2, v32, v2;

	;;#ASMEND
	;; [unrolled: 4-line block ×4, first 2 shown]
	;;#ASMSTART
	v_pk_add_f16 v1, v1, v2;

	;;#ASMEND
	;;#ASMSTART
	v_pk_add_f16 v1, v1, v3;

	;;#ASMEND
	;; [unrolled: 4-line block ×3, first 2 shown]
	v_and_b32_e32 v2, 0xffff, v1
	v_lshrrev_b32_e32 v1, 16, v1
	;;#ASMSTART
	v_cvt_f32_f16 v38, v2;
	;;#ASMEND
	;;#ASMSTART
	v_cvt_f32_f16 v39, v1;
	;;#ASMEND
	global_load_b128 v[1:4], v[7:8], off offset:1024
	s_wait_loadcnt 0x0
	v_lshrrev_b32_e32 v42, 16, v1
	v_lshrrev_b32_e32 v41, 16, v2
	;; [unrolled: 1-line block ×3, first 2 shown]
	s_and_saveexec_b32 s4, vcc_lo
	s_cbranch_execz .LBB102_39
; %bb.38:                               ;   in Loop: Header=BB102_33 Depth=1
	v_cmp_gt_i32_e64 s0, s25, v29
	v_and_b32_e32 v43, 0xffff, v4
	v_and_b32_e32 v4, 0xffff0000, v4
	s_wait_alu 0xf1ff
	s_delay_alu instid0(VALU_DEP_3) | instskip(SKIP_2) | instid1(VALU_DEP_1)
	v_cndmask_b32_e64 v1, 0, v1, s0
	v_cmp_gt_i32_e64 s0, s25, v31
	s_wait_alu 0xf1ff
	v_cndmask_b32_e64 v42, 0, v42, s0
	v_cmp_gt_i32_e64 s0, s25, v30
	s_wait_alu 0xf1ff
	s_delay_alu instid0(VALU_DEP_1) | instskip(SKIP_2) | instid1(VALU_DEP_1)
	v_cndmask_b32_e64 v2, 0, v2, s0
	v_cmp_gt_i32_e64 s0, s25, v27
	s_wait_alu 0xf1ff
	v_cndmask_b32_e64 v41, 0, v41, s0
	v_cmp_gt_i32_e64 s0, s25, v28
	s_wait_alu 0xf1ff
	s_delay_alu instid0(VALU_DEP_1) | instskip(SKIP_2) | instid1(VALU_DEP_1)
	v_cndmask_b32_e64 v43, 0, v43, s0
	v_cmp_gt_i32_e64 s0, s25, v24
	s_wait_alu 0xf1ff
	v_cndmask_b32_e64 v4, 0, v4, s0
	v_cmp_gt_i32_e64 s0, s25, v26
	s_delay_alu instid0(VALU_DEP_2) | instskip(SKIP_1) | instid1(VALU_DEP_2)
	v_or_b32_e32 v4, v43, v4
	s_wait_alu 0xf1ff
	v_cndmask_b32_e64 v3, 0, v3, s0
	v_cmp_gt_i32_e64 s0, s25, v14
	s_wait_alu 0xf1ff
	s_delay_alu instid0(VALU_DEP_1)
	v_cndmask_b32_e64 v40, 0, v40, s0
.LBB102_39:                             ;   in Loop: Header=BB102_33 Depth=1
	s_wait_alu 0xfffe
	s_or_b32 exec_lo, exec_lo, s4
	v_lshlrev_b32_e32 v42, 16, v42
	v_lshlrev_b32_e32 v41, 16, v41
	;; [unrolled: 1-line block ×3, first 2 shown]
	s_delay_alu instid0(VALU_DEP_3) | instskip(NEXT) | instid1(VALU_DEP_3)
	v_and_or_b32 v1, 0xffff, v1, v42
	v_and_or_b32 v2, 0xffff, v2, v41
	s_delay_alu instid0(VALU_DEP_3)
	v_and_or_b32 v3, 0xffff, v3, v40
	;;#ASMSTART
	v_pk_mul_f16 v1, v33, v1;

	;;#ASMEND
	;;#ASMSTART
	v_pk_mul_f16 v2, v32, v2;

	;;#ASMEND
	;; [unrolled: 4-line block ×4, first 2 shown]
	;;#ASMSTART
	v_pk_add_f16 v1, v1, v2;

	;;#ASMEND
	;;#ASMSTART
	v_pk_add_f16 v1, v1, v3;

	;;#ASMEND
	;; [unrolled: 4-line block ×3, first 2 shown]
	v_and_b32_e32 v2, 0xffff, v1
	v_lshrrev_b32_e32 v1, 16, v1
	;;#ASMSTART
	v_cvt_f32_f16 v40, v2;
	;;#ASMEND
	;;#ASMSTART
	v_cvt_f32_f16 v41, v1;
	;;#ASMEND
	global_load_b128 v[1:4], v[7:8], off offset:1536
	s_wait_loadcnt 0x0
	v_lshrrev_b32_e32 v44, 16, v1
	v_lshrrev_b32_e32 v43, 16, v2
	;; [unrolled: 1-line block ×3, first 2 shown]
	s_and_saveexec_b32 s4, vcc_lo
	s_cbranch_execz .LBB102_41
; %bb.40:                               ;   in Loop: Header=BB102_33 Depth=1
	v_cmp_gt_i32_e64 s0, s25, v29
	v_and_b32_e32 v45, 0xffff, v4
	v_and_b32_e32 v4, 0xffff0000, v4
	s_wait_alu 0xf1ff
	s_delay_alu instid0(VALU_DEP_3) | instskip(SKIP_2) | instid1(VALU_DEP_1)
	v_cndmask_b32_e64 v1, 0, v1, s0
	v_cmp_gt_i32_e64 s0, s25, v31
	s_wait_alu 0xf1ff
	v_cndmask_b32_e64 v44, 0, v44, s0
	v_cmp_gt_i32_e64 s0, s25, v30
	s_wait_alu 0xf1ff
	s_delay_alu instid0(VALU_DEP_1) | instskip(SKIP_2) | instid1(VALU_DEP_1)
	v_cndmask_b32_e64 v2, 0, v2, s0
	v_cmp_gt_i32_e64 s0, s25, v27
	s_wait_alu 0xf1ff
	v_cndmask_b32_e64 v43, 0, v43, s0
	v_cmp_gt_i32_e64 s0, s25, v28
	s_wait_alu 0xf1ff
	s_delay_alu instid0(VALU_DEP_1) | instskip(SKIP_2) | instid1(VALU_DEP_1)
	v_cndmask_b32_e64 v45, 0, v45, s0
	v_cmp_gt_i32_e64 s0, s25, v24
	s_wait_alu 0xf1ff
	v_cndmask_b32_e64 v4, 0, v4, s0
	v_cmp_gt_i32_e64 s0, s25, v26
	s_delay_alu instid0(VALU_DEP_2) | instskip(SKIP_1) | instid1(VALU_DEP_2)
	v_or_b32_e32 v4, v45, v4
	s_wait_alu 0xf1ff
	v_cndmask_b32_e64 v3, 0, v3, s0
	v_cmp_gt_i32_e64 s0, s25, v14
	s_wait_alu 0xf1ff
	s_delay_alu instid0(VALU_DEP_1)
	v_cndmask_b32_e64 v42, 0, v42, s0
.LBB102_41:                             ;   in Loop: Header=BB102_33 Depth=1
	s_wait_alu 0xfffe
	s_or_b32 exec_lo, exec_lo, s4
	v_lshlrev_b32_e32 v44, 16, v44
	v_lshlrev_b32_e32 v43, 16, v43
	v_lshlrev_b32_e32 v42, 16, v42
	s_delay_alu instid0(VALU_DEP_3) | instskip(NEXT) | instid1(VALU_DEP_3)
	v_and_or_b32 v1, 0xffff, v1, v44
	v_and_or_b32 v2, 0xffff, v2, v43
	s_delay_alu instid0(VALU_DEP_3)
	v_and_or_b32 v3, 0xffff, v3, v42
	;;#ASMSTART
	v_pk_mul_f16 v1, v33, v1;

	;;#ASMEND
	;;#ASMSTART
	v_pk_mul_f16 v2, v32, v2;

	;;#ASMEND
	;; [unrolled: 4-line block ×4, first 2 shown]
	;;#ASMSTART
	v_pk_add_f16 v1, v1, v2;

	;;#ASMEND
	;;#ASMSTART
	v_pk_add_f16 v1, v1, v3;

	;;#ASMEND
	;; [unrolled: 4-line block ×3, first 2 shown]
	v_and_b32_e32 v2, 0xffff, v1
	v_lshrrev_b32_e32 v1, 16, v1
	;;#ASMSTART
	v_cvt_f32_f16 v42, v2;
	;;#ASMEND
	;;#ASMSTART
	v_cvt_f32_f16 v43, v1;
	;;#ASMEND
	global_load_b128 v[1:4], v[7:8], off offset:2048
	s_wait_loadcnt 0x0
	v_lshrrev_b32_e32 v46, 16, v1
	v_lshrrev_b32_e32 v45, 16, v2
	;; [unrolled: 1-line block ×3, first 2 shown]
	s_and_saveexec_b32 s4, vcc_lo
	s_cbranch_execz .LBB102_43
; %bb.42:                               ;   in Loop: Header=BB102_33 Depth=1
	v_cmp_gt_i32_e64 s0, s25, v29
	v_and_b32_e32 v47, 0xffff, v4
	v_and_b32_e32 v4, 0xffff0000, v4
	s_wait_alu 0xf1ff
	s_delay_alu instid0(VALU_DEP_3) | instskip(SKIP_2) | instid1(VALU_DEP_1)
	v_cndmask_b32_e64 v1, 0, v1, s0
	v_cmp_gt_i32_e64 s0, s25, v31
	s_wait_alu 0xf1ff
	v_cndmask_b32_e64 v46, 0, v46, s0
	v_cmp_gt_i32_e64 s0, s25, v30
	s_wait_alu 0xf1ff
	s_delay_alu instid0(VALU_DEP_1) | instskip(SKIP_2) | instid1(VALU_DEP_1)
	v_cndmask_b32_e64 v2, 0, v2, s0
	v_cmp_gt_i32_e64 s0, s25, v27
	s_wait_alu 0xf1ff
	v_cndmask_b32_e64 v45, 0, v45, s0
	v_cmp_gt_i32_e64 s0, s25, v28
	s_wait_alu 0xf1ff
	s_delay_alu instid0(VALU_DEP_1) | instskip(SKIP_2) | instid1(VALU_DEP_1)
	v_cndmask_b32_e64 v47, 0, v47, s0
	v_cmp_gt_i32_e64 s0, s25, v24
	s_wait_alu 0xf1ff
	v_cndmask_b32_e64 v4, 0, v4, s0
	v_cmp_gt_i32_e64 s0, s25, v26
	s_delay_alu instid0(VALU_DEP_2) | instskip(SKIP_1) | instid1(VALU_DEP_2)
	v_or_b32_e32 v4, v47, v4
	s_wait_alu 0xf1ff
	v_cndmask_b32_e64 v3, 0, v3, s0
	v_cmp_gt_i32_e64 s0, s25, v14
	s_wait_alu 0xf1ff
	s_delay_alu instid0(VALU_DEP_1)
	v_cndmask_b32_e64 v44, 0, v44, s0
.LBB102_43:                             ;   in Loop: Header=BB102_33 Depth=1
	s_wait_alu 0xfffe
	s_or_b32 exec_lo, exec_lo, s4
	v_lshlrev_b32_e32 v46, 16, v46
	v_lshlrev_b32_e32 v45, 16, v45
	;; [unrolled: 1-line block ×3, first 2 shown]
	s_delay_alu instid0(VALU_DEP_3) | instskip(NEXT) | instid1(VALU_DEP_3)
	v_and_or_b32 v1, 0xffff, v1, v46
	v_and_or_b32 v2, 0xffff, v2, v45
	s_delay_alu instid0(VALU_DEP_3)
	v_and_or_b32 v3, 0xffff, v3, v44
	;;#ASMSTART
	v_pk_mul_f16 v1, v33, v1;

	;;#ASMEND
	;;#ASMSTART
	v_pk_mul_f16 v2, v32, v2;

	;;#ASMEND
	;; [unrolled: 4-line block ×4, first 2 shown]
	;;#ASMSTART
	v_pk_add_f16 v1, v1, v2;

	;;#ASMEND
	;;#ASMSTART
	v_pk_add_f16 v1, v1, v3;

	;;#ASMEND
	;; [unrolled: 4-line block ×3, first 2 shown]
	v_and_b32_e32 v2, 0xffff, v1
	v_lshrrev_b32_e32 v1, 16, v1
	;;#ASMSTART
	v_cvt_f32_f16 v44, v2;
	;;#ASMEND
	;;#ASMSTART
	v_cvt_f32_f16 v45, v1;
	;;#ASMEND
	global_load_b128 v[1:4], v[7:8], off offset:2560
	s_wait_loadcnt 0x0
	v_lshrrev_b32_e32 v46, 16, v1
	v_lshrrev_b32_e32 v8, 16, v2
	;; [unrolled: 1-line block ×3, first 2 shown]
	s_and_saveexec_b32 s0, vcc_lo
	s_cbranch_execz .LBB102_32
; %bb.44:                               ;   in Loop: Header=BB102_33 Depth=1
	v_cmp_gt_i32_e32 vcc_lo, s25, v29
	v_and_b32_e32 v29, 0xffff, v4
	s_wait_alu 0xfffd
	v_cndmask_b32_e32 v1, 0, v1, vcc_lo
	v_cmp_gt_i32_e32 vcc_lo, s25, v31
	s_wait_alu 0xfffd
	v_cndmask_b32_e32 v46, 0, v46, vcc_lo
	v_cmp_gt_i32_e32 vcc_lo, s25, v30
	;; [unrolled: 3-line block ×4, first 2 shown]
	s_wait_alu 0xfffd
	v_dual_cndmask_b32 v27, 0, v29 :: v_dual_and_b32 v4, 0xffff0000, v4
	v_cmp_gt_i32_e32 vcc_lo, s25, v24
	s_wait_alu 0xfffd
	s_delay_alu instid0(VALU_DEP_2)
	v_cndmask_b32_e32 v4, 0, v4, vcc_lo
	v_cmp_gt_i32_e32 vcc_lo, s25, v26
	s_wait_alu 0xfffd
	v_cndmask_b32_e32 v3, 0, v3, vcc_lo
	v_cmp_gt_i32_e32 vcc_lo, s25, v14
	s_wait_alu 0xfffd
	v_cndmask_b32_e32 v7, 0, v7, vcc_lo
	v_or_b32_e32 v4, v27, v4
	s_branch .LBB102_32
.LBB102_45:
	s_or_b32 exec_lo, exec_lo, s3
.LBB102_46:
	s_wait_alu 0xfffe
	s_or_b32 exec_lo, exec_lo, s1
	ds_bpermute_b32 v1, v17, v21
	ds_bpermute_b32 v2, v17, v22
	;; [unrolled: 1-line block ×6, first 2 shown]
	v_lshrrev_b32_e32 v7, 1, v15
	v_mul_u32_u24_e32 v11, 0x180, v11
	v_and_b32_e32 v15, 0x3c1, v0
	s_mov_b32 s0, exec_lo
	s_wait_storecnt 0x0
	s_wait_loadcnt_dscnt 0x0
	v_lshl_add_u32 v8, v7, 2, 0xe0
	s_barrier_signal -1
	s_barrier_wait -1
	global_inv scope:SCOPE_SE
	v_dual_add_f32 v6, v21, v1 :: v_dual_add_f32 v5, v22, v2
	v_dual_add_f32 v4, v20, v3 :: v_dual_add_f32 v3, v19, v12
	;; [unrolled: 1-line block ×3, first 2 shown]
	v_cmpx_eq_u32_e32 64, v15
	s_cbranch_execz .LBB102_48
; %bb.47:
	v_add_nc_u32_e32 v12, v8, v11
	s_delay_alu instid0(VALU_DEP_1)
	v_add_nc_u32_e32 v13, 0xfffffd00, v12
	v_add_nc_u32_e32 v14, 0xfffffd40, v12
	;; [unrolled: 1-line block ×6, first 2 shown]
	ds_store_b32 v13, v6
	ds_store_b32 v14, v5
	;; [unrolled: 1-line block ×6, first 2 shown]
.LBB102_48:
	s_wait_alu 0xfffe
	s_or_b32 exec_lo, exec_lo, s0
	v_lshlrev_b32_e32 v7, 2, v7
	s_mov_b32 s1, exec_lo
	v_cmp_eq_u32_e32 vcc_lo, 0, v10
	s_wait_loadcnt_dscnt 0x0
	s_barrier_signal -1
	v_add3_u32 v7, 0xe0, v11, v7
	s_barrier_wait -1
	global_inv scope:SCOPE_SE
	v_cmpx_gt_u32_e32 64, v0
	s_cbranch_execz .LBB102_57
; %bb.49:
	s_and_saveexec_b32 s0, vcc_lo
	s_cbranch_execnz .LBB102_71
; %bb.50:
	s_wait_alu 0xfffe
	s_or_b32 exec_lo, exec_lo, s0
	s_and_saveexec_b32 s0, vcc_lo
	s_cbranch_execnz .LBB102_72
.LBB102_51:
	s_wait_alu 0xfffe
	s_or_b32 exec_lo, exec_lo, s0
	s_and_saveexec_b32 s0, vcc_lo
	s_cbranch_execnz .LBB102_73
.LBB102_52:
	s_wait_alu 0xfffe
	s_or_b32 exec_lo, exec_lo, s0
	s_and_saveexec_b32 s0, vcc_lo
	s_cbranch_execnz .LBB102_74
.LBB102_53:
	s_wait_alu 0xfffe
	s_or_b32 exec_lo, exec_lo, s0
	s_and_saveexec_b32 s0, vcc_lo
	s_cbranch_execnz .LBB102_75
.LBB102_54:
	s_wait_alu 0xfffe
	s_or_b32 exec_lo, exec_lo, s0
	s_and_saveexec_b32 s0, vcc_lo
	s_cbranch_execz .LBB102_56
.LBB102_55:
	ds_load_b32 v10, v7 offset:320
	s_wait_dscnt 0x0
	v_add_f32_e32 v1, v1, v10
.LBB102_56:
	s_wait_alu 0xfffe
	s_or_b32 exec_lo, exec_lo, s0
.LBB102_57:
	s_wait_alu 0xfffe
	s_or_b32 exec_lo, exec_lo, s1
	v_and_b32_e32 v10, 0x3e1, v0
	s_mov_b32 s1, exec_lo
	s_wait_loadcnt 0x0
	s_barrier_signal -1
	s_barrier_wait -1
	global_inv scope:SCOPE_SE
	v_cmpx_eq_u32_e32 32, v10
	s_cbranch_execz .LBB102_59
; %bb.58:
	ds_store_2addr_b32 v8, v6, v5 offset1:16
	ds_store_2addr_b32 v8, v4, v3 offset0:32 offset1:48
	ds_store_2addr_b32 v8, v2, v1 offset0:64 offset1:80
.LBB102_59:
	s_wait_alu 0xfffe
	s_or_b32 exec_lo, exec_lo, s1
	s_delay_alu instid0(SALU_CYCLE_1)
	s_mov_b32 s1, exec_lo
	s_wait_loadcnt_dscnt 0x0
	s_barrier_signal -1
	s_barrier_wait -1
	global_inv scope:SCOPE_SE
	v_cmpx_gt_u32_e32 32, v0
	s_cbranch_execz .LBB102_68
; %bb.60:
	s_and_saveexec_b32 s0, vcc_lo
	s_cbranch_execnz .LBB102_76
; %bb.61:
	s_wait_alu 0xfffe
	s_or_b32 exec_lo, exec_lo, s0
	s_and_saveexec_b32 s0, vcc_lo
	s_cbranch_execnz .LBB102_77
.LBB102_62:
	s_wait_alu 0xfffe
	s_or_b32 exec_lo, exec_lo, s0
	s_and_saveexec_b32 s0, vcc_lo
	s_cbranch_execnz .LBB102_78
.LBB102_63:
	s_wait_alu 0xfffe
	s_or_b32 exec_lo, exec_lo, s0
	s_and_saveexec_b32 s0, vcc_lo
	s_cbranch_execnz .LBB102_79
.LBB102_64:
	s_wait_alu 0xfffe
	s_or_b32 exec_lo, exec_lo, s0
	s_and_saveexec_b32 s0, vcc_lo
	s_cbranch_execnz .LBB102_80
.LBB102_65:
	s_wait_alu 0xfffe
	s_or_b32 exec_lo, exec_lo, s0
	s_and_saveexec_b32 s0, vcc_lo
	s_cbranch_execz .LBB102_67
.LBB102_66:
	ds_load_b32 v0, v7 offset:320
	s_wait_dscnt 0x0
	v_add_f32_e32 v1, v1, v0
.LBB102_67:
	s_wait_alu 0xfffe
	s_or_b32 exec_lo, exec_lo, s0
.LBB102_68:
	s_wait_alu 0xfffe
	s_or_b32 exec_lo, exec_lo, s1
	s_mov_b32 s1, 0
	s_wait_loadcnt 0x0
	s_barrier_signal -1
	s_barrier_wait -1
	global_inv scope:SCOPE_SE
	s_mov_b32 s0, exec_lo
	v_cmpx_eq_u32_e32 0, v10
	s_cbranch_execz .LBB102_70
; %bb.69:
	s_mul_i32 s2, s14, 0x60
	s_mul_i32 s4, s8, s12
	s_wait_alu 0xfffe
	s_ashr_i32 s3, s2, 31
	s_ashr_i32 s5, s4, 31
	s_wait_alu 0xfffe
	s_lshl_b64 s[2:3], s[2:3], 1
	s_lshl_b64 s[4:5], s[4:5], 1
	s_wait_alu 0xfffe
	s_add_nc_u64 s[2:3], s[10:11], s[2:3]
	v_lshlrev_b32_e32 v0, 1, v9
	s_mul_i32 s0, s24, 0xc0
	s_wait_alu 0xfffe
	s_add_nc_u64 s[2:3], s[2:3], s[4:5]
	;;#ASMSTART
	v_cvt_f16_f32 v6, v6;

	;;#ASMEND
	s_wait_alu 0xfffe
	s_add_nc_u64 s[0:1], s[2:3], s[0:1]
	global_store_b16 v0, v6, s[0:1]
	;;#ASMSTART
	v_cvt_f16_f32 v5, v5;

	;;#ASMEND
	global_store_b16 v0, v5, s[0:1] offset:32
	;;#ASMSTART
	v_cvt_f16_f32 v4, v4;

	;;#ASMEND
	global_store_b16 v0, v4, s[0:1] offset:64
	;; [unrolled: 5-line block ×5, first 2 shown]
.LBB102_70:
	s_nop 0
	s_sendmsg sendmsg(MSG_DEALLOC_VGPRS)
	s_endpgm
.LBB102_71:
	ds_load_b32 v10, v7
	s_wait_dscnt 0x0
	v_add_f32_e32 v6, v6, v10
	s_wait_alu 0xfffe
	s_or_b32 exec_lo, exec_lo, s0
	s_and_saveexec_b32 s0, vcc_lo
	s_cbranch_execz .LBB102_51
.LBB102_72:
	ds_load_b32 v10, v7 offset:64
	s_wait_dscnt 0x0
	v_add_f32_e32 v5, v5, v10
	s_wait_alu 0xfffe
	s_or_b32 exec_lo, exec_lo, s0
	s_and_saveexec_b32 s0, vcc_lo
	s_cbranch_execz .LBB102_52
.LBB102_73:
	ds_load_b32 v10, v7 offset:128
	s_wait_dscnt 0x0
	v_add_f32_e32 v4, v4, v10
	s_wait_alu 0xfffe
	s_or_b32 exec_lo, exec_lo, s0
	s_and_saveexec_b32 s0, vcc_lo
	s_cbranch_execz .LBB102_53
.LBB102_74:
	ds_load_b32 v10, v7 offset:192
	s_wait_dscnt 0x0
	v_add_f32_e32 v3, v3, v10
	s_wait_alu 0xfffe
	s_or_b32 exec_lo, exec_lo, s0
	s_and_saveexec_b32 s0, vcc_lo
	s_cbranch_execz .LBB102_54
.LBB102_75:
	ds_load_b32 v10, v7 offset:256
	s_wait_dscnt 0x0
	v_add_f32_e32 v2, v2, v10
	s_wait_alu 0xfffe
	s_or_b32 exec_lo, exec_lo, s0
	s_and_saveexec_b32 s0, vcc_lo
	s_cbranch_execnz .LBB102_55
	s_branch .LBB102_56
.LBB102_76:
	ds_load_b32 v0, v7
	s_wait_dscnt 0x0
	v_add_f32_e32 v6, v6, v0
	s_wait_alu 0xfffe
	s_or_b32 exec_lo, exec_lo, s0
	s_and_saveexec_b32 s0, vcc_lo
	s_cbranch_execz .LBB102_62
.LBB102_77:
	ds_load_b32 v0, v7 offset:64
	s_wait_dscnt 0x0
	v_add_f32_e32 v5, v5, v0
	s_wait_alu 0xfffe
	s_or_b32 exec_lo, exec_lo, s0
	s_and_saveexec_b32 s0, vcc_lo
	s_cbranch_execz .LBB102_63
.LBB102_78:
	ds_load_b32 v0, v7 offset:128
	s_wait_dscnt 0x0
	v_add_f32_e32 v4, v4, v0
	s_wait_alu 0xfffe
	s_or_b32 exec_lo, exec_lo, s0
	s_and_saveexec_b32 s0, vcc_lo
	s_cbranch_execz .LBB102_64
.LBB102_79:
	ds_load_b32 v0, v7 offset:192
	s_wait_dscnt 0x0
	v_add_f32_e32 v3, v3, v0
	s_wait_alu 0xfffe
	s_or_b32 exec_lo, exec_lo, s0
	s_and_saveexec_b32 s0, vcc_lo
	s_cbranch_execz .LBB102_65
.LBB102_80:
	ds_load_b32 v0, v7 offset:256
	s_wait_dscnt 0x0
	v_add_f32_e32 v2, v2, v0
	s_wait_alu 0xfffe
	s_or_b32 exec_lo, exec_lo, s0
	s_and_saveexec_b32 s0, vcc_lo
	s_cbranch_execnz .LBB102_66
	s_branch .LBB102_67
	.section	.rodata,"a",@progbits
	.p2align	6, 0x0
	.amdhsa_kernel _ZN4vllm25paged_attention_v2_kernelIttLi96ELi16ELi128ELNS_18Fp8KVCacheDataTypeE0ELb0ELi512EEEvPfS2_PT_PKS3_PKT0_S9_ifPKiSB_iPKfiiiSD_SD_iiiii
		.amdhsa_group_segment_fixed_size 224
		.amdhsa_private_segment_fixed_size 0
		.amdhsa_kernarg_size 400
		.amdhsa_user_sgpr_count 2
		.amdhsa_user_sgpr_dispatch_ptr 0
		.amdhsa_user_sgpr_queue_ptr 0
		.amdhsa_user_sgpr_kernarg_segment_ptr 1
		.amdhsa_user_sgpr_dispatch_id 0
		.amdhsa_user_sgpr_private_segment_size 0
		.amdhsa_wavefront_size32 1
		.amdhsa_uses_dynamic_stack 0
		.amdhsa_enable_private_segment 0
		.amdhsa_system_sgpr_workgroup_id_x 1
		.amdhsa_system_sgpr_workgroup_id_y 1
		.amdhsa_system_sgpr_workgroup_id_z 1
		.amdhsa_system_sgpr_workgroup_info 0
		.amdhsa_system_vgpr_workitem_id 0
		.amdhsa_next_free_vgpr 103
		.amdhsa_next_free_sgpr 32
		.amdhsa_reserve_vcc 1
		.amdhsa_float_round_mode_32 0
		.amdhsa_float_round_mode_16_64 0
		.amdhsa_float_denorm_mode_32 3
		.amdhsa_float_denorm_mode_16_64 3
		.amdhsa_fp16_overflow 0
		.amdhsa_workgroup_processor_mode 1
		.amdhsa_memory_ordered 1
		.amdhsa_forward_progress 1
		.amdhsa_inst_pref_size 55
		.amdhsa_round_robin_scheduling 0
		.amdhsa_exception_fp_ieee_invalid_op 0
		.amdhsa_exception_fp_denorm_src 0
		.amdhsa_exception_fp_ieee_div_zero 0
		.amdhsa_exception_fp_ieee_overflow 0
		.amdhsa_exception_fp_ieee_underflow 0
		.amdhsa_exception_fp_ieee_inexact 0
		.amdhsa_exception_int_div_zero 0
	.end_amdhsa_kernel
	.section	.text._ZN4vllm25paged_attention_v2_kernelIttLi96ELi16ELi128ELNS_18Fp8KVCacheDataTypeE0ELb0ELi512EEEvPfS2_PT_PKS3_PKT0_S9_ifPKiSB_iPKfiiiSD_SD_iiiii,"axG",@progbits,_ZN4vllm25paged_attention_v2_kernelIttLi96ELi16ELi128ELNS_18Fp8KVCacheDataTypeE0ELb0ELi512EEEvPfS2_PT_PKS3_PKT0_S9_ifPKiSB_iPKfiiiSD_SD_iiiii,comdat
.Lfunc_end102:
	.size	_ZN4vllm25paged_attention_v2_kernelIttLi96ELi16ELi128ELNS_18Fp8KVCacheDataTypeE0ELb0ELi512EEEvPfS2_PT_PKS3_PKT0_S9_ifPKiSB_iPKfiiiSD_SD_iiiii, .Lfunc_end102-_ZN4vllm25paged_attention_v2_kernelIttLi96ELi16ELi128ELNS_18Fp8KVCacheDataTypeE0ELb0ELi512EEEvPfS2_PT_PKS3_PKT0_S9_ifPKiSB_iPKfiiiSD_SD_iiiii
                                        ; -- End function
	.set _ZN4vllm25paged_attention_v2_kernelIttLi96ELi16ELi128ELNS_18Fp8KVCacheDataTypeE0ELb0ELi512EEEvPfS2_PT_PKS3_PKT0_S9_ifPKiSB_iPKfiiiSD_SD_iiiii.num_vgpr, 103
	.set _ZN4vllm25paged_attention_v2_kernelIttLi96ELi16ELi128ELNS_18Fp8KVCacheDataTypeE0ELb0ELi512EEEvPfS2_PT_PKS3_PKT0_S9_ifPKiSB_iPKfiiiSD_SD_iiiii.num_agpr, 0
	.set _ZN4vllm25paged_attention_v2_kernelIttLi96ELi16ELi128ELNS_18Fp8KVCacheDataTypeE0ELb0ELi512EEEvPfS2_PT_PKS3_PKT0_S9_ifPKiSB_iPKfiiiSD_SD_iiiii.numbered_sgpr, 32
	.set _ZN4vllm25paged_attention_v2_kernelIttLi96ELi16ELi128ELNS_18Fp8KVCacheDataTypeE0ELb0ELi512EEEvPfS2_PT_PKS3_PKT0_S9_ifPKiSB_iPKfiiiSD_SD_iiiii.num_named_barrier, 0
	.set _ZN4vllm25paged_attention_v2_kernelIttLi96ELi16ELi128ELNS_18Fp8KVCacheDataTypeE0ELb0ELi512EEEvPfS2_PT_PKS3_PKT0_S9_ifPKiSB_iPKfiiiSD_SD_iiiii.private_seg_size, 0
	.set _ZN4vllm25paged_attention_v2_kernelIttLi96ELi16ELi128ELNS_18Fp8KVCacheDataTypeE0ELb0ELi512EEEvPfS2_PT_PKS3_PKT0_S9_ifPKiSB_iPKfiiiSD_SD_iiiii.uses_vcc, 1
	.set _ZN4vllm25paged_attention_v2_kernelIttLi96ELi16ELi128ELNS_18Fp8KVCacheDataTypeE0ELb0ELi512EEEvPfS2_PT_PKS3_PKT0_S9_ifPKiSB_iPKfiiiSD_SD_iiiii.uses_flat_scratch, 0
	.set _ZN4vllm25paged_attention_v2_kernelIttLi96ELi16ELi128ELNS_18Fp8KVCacheDataTypeE0ELb0ELi512EEEvPfS2_PT_PKS3_PKT0_S9_ifPKiSB_iPKfiiiSD_SD_iiiii.has_dyn_sized_stack, 0
	.set _ZN4vllm25paged_attention_v2_kernelIttLi96ELi16ELi128ELNS_18Fp8KVCacheDataTypeE0ELb0ELi512EEEvPfS2_PT_PKS3_PKT0_S9_ifPKiSB_iPKfiiiSD_SD_iiiii.has_recursion, 0
	.set _ZN4vllm25paged_attention_v2_kernelIttLi96ELi16ELi128ELNS_18Fp8KVCacheDataTypeE0ELb0ELi512EEEvPfS2_PT_PKS3_PKT0_S9_ifPKiSB_iPKfiiiSD_SD_iiiii.has_indirect_call, 0
	.section	.AMDGPU.csdata,"",@progbits
; Kernel info:
; codeLenInByte = 7016
; TotalNumSgprs: 34
; NumVgprs: 103
; ScratchSize: 0
; MemoryBound: 0
; FloatMode: 240
; IeeeMode: 1
; LDSByteSize: 224 bytes/workgroup (compile time only)
; SGPRBlocks: 0
; VGPRBlocks: 12
; NumSGPRsForWavesPerEU: 34
; NumVGPRsForWavesPerEU: 103
; Occupancy: 12
; WaveLimiterHint : 1
; COMPUTE_PGM_RSRC2:SCRATCH_EN: 0
; COMPUTE_PGM_RSRC2:USER_SGPR: 2
; COMPUTE_PGM_RSRC2:TRAP_HANDLER: 0
; COMPUTE_PGM_RSRC2:TGID_X_EN: 1
; COMPUTE_PGM_RSRC2:TGID_Y_EN: 1
; COMPUTE_PGM_RSRC2:TGID_Z_EN: 1
; COMPUTE_PGM_RSRC2:TIDIG_COMP_CNT: 0
	.section	.text._ZN4vllm25paged_attention_v2_kernelIttLi112ELi16ELi128ELNS_18Fp8KVCacheDataTypeE0ELb0ELi512EEEvPfS2_PT_PKS3_PKT0_S9_ifPKiSB_iPKfiiiSD_SD_iiiii,"axG",@progbits,_ZN4vllm25paged_attention_v2_kernelIttLi112ELi16ELi128ELNS_18Fp8KVCacheDataTypeE0ELb0ELi512EEEvPfS2_PT_PKS3_PKT0_S9_ifPKiSB_iPKfiiiSD_SD_iiiii,comdat
	.protected	_ZN4vllm25paged_attention_v2_kernelIttLi112ELi16ELi128ELNS_18Fp8KVCacheDataTypeE0ELb0ELi512EEEvPfS2_PT_PKS3_PKT0_S9_ifPKiSB_iPKfiiiSD_SD_iiiii ; -- Begin function _ZN4vllm25paged_attention_v2_kernelIttLi112ELi16ELi128ELNS_18Fp8KVCacheDataTypeE0ELb0ELi512EEEvPfS2_PT_PKS3_PKT0_S9_ifPKiSB_iPKfiiiSD_SD_iiiii
	.globl	_ZN4vllm25paged_attention_v2_kernelIttLi112ELi16ELi128ELNS_18Fp8KVCacheDataTypeE0ELb0ELi512EEEvPfS2_PT_PKS3_PKT0_S9_ifPKiSB_iPKfiiiSD_SD_iiiii
	.p2align	8
	.type	_ZN4vllm25paged_attention_v2_kernelIttLi112ELi16ELi128ELNS_18Fp8KVCacheDataTypeE0ELb0ELi512EEEvPfS2_PT_PKS3_PKT0_S9_ifPKiSB_iPKfiiiSD_SD_iiiii,@function
_ZN4vllm25paged_attention_v2_kernelIttLi112ELi16ELi128ELNS_18Fp8KVCacheDataTypeE0ELb0ELi512EEEvPfS2_PT_PKS3_PKT0_S9_ifPKiSB_iPKfiiiSD_SD_iiiii: ; @_ZN4vllm25paged_attention_v2_kernelIttLi112ELi16ELi128ELNS_18Fp8KVCacheDataTypeE0ELb0ELi512EEEvPfS2_PT_PKS3_PKT0_S9_ifPKiSB_iPKfiiiSD_SD_iiiii
; %bb.0:
	s_load_b64 s[2:3], s[0:1], 0x40
	s_and_b32 s20, ttmp7, 0xffff
	s_lshr_b32 s24, ttmp7, 16
	s_lshl_b32 s4, s20, 2
	s_lshl_b32 s26, s24, 9
	s_wait_kmcnt 0x0
	s_load_b32 s25, s[2:3], s4 offset:0x0
	s_wait_kmcnt 0x0
	s_cmp_ge_i32 s26, s25
	s_cbranch_scc1 .LBB103_74
; %bb.1:
	s_clause 0x1
	s_load_b32 s21, s[0:1], 0x90
	s_load_b64 s[6:7], s[0:1], 0x30
	s_wait_kmcnt 0x0
	s_abs_i32 s5, s21
	s_abs_i32 s2, s6
	s_delay_alu instid0(SALU_CYCLE_1) | instskip(SKIP_1) | instid1(SALU_CYCLE_2)
	s_cvt_f32_u32 s3, s2
	s_sub_co_i32 s4, 0, s2
	v_rcp_iflag_f32_e32 v1, s3
	s_delay_alu instid0(TRANS32_DEP_1) | instskip(SKIP_2) | instid1(SALU_CYCLE_2)
	v_readfirstlane_b32 s3, v1
	s_mul_f32 s3, s3, 0x4f7ffffe
	s_wait_alu 0xfffe
	s_cvt_u32_f32 s3, s3
	s_wait_alu 0xfffe
	s_delay_alu instid0(SALU_CYCLE_2) | instskip(NEXT) | instid1(SALU_CYCLE_1)
	s_mul_i32 s4, s4, s3
	s_mul_hi_u32 s4, s3, s4
	s_delay_alu instid0(SALU_CYCLE_1)
	s_add_co_i32 s3, s3, s4
	s_xor_b32 s4, s21, s6
	s_wait_alu 0xfffe
	s_mul_hi_u32 s3, s5, s3
	s_ashr_i32 s4, s4, 31
	s_wait_alu 0xfffe
	s_mul_i32 s6, s3, s2
	s_delay_alu instid0(SALU_CYCLE_1)
	s_sub_co_i32 s5, s5, s6
	s_add_co_i32 s6, s3, 1
	s_sub_co_i32 s8, s5, s2
	s_cmp_ge_u32 s5, s2
	s_cselect_b32 s3, s6, s3
	s_cselect_b32 s5, s8, s5
	s_wait_alu 0xfffe
	s_add_co_i32 s6, s3, 1
	s_cmp_ge_u32 s5, s2
	s_load_b64 s[8:9], s[0:1], 0x50
	s_cselect_b32 s2, s6, s3
	s_mov_b32 s3, 0
	s_wait_alu 0xfffe
	s_xor_b32 s2, s2, s4
	s_mov_b32 s6, s3
	s_wait_alu 0xfffe
	s_sub_co_i32 s12, s2, s4
	s_delay_alu instid0(SALU_CYCLE_1) | instskip(NEXT) | instid1(SALU_CYCLE_1)
	s_abs_i32 s11, s12
	s_cvt_f32_u32 s2, s11
	s_wait_alu 0xfffe
	s_delay_alu instid0(SALU_CYCLE_2) | instskip(NEXT) | instid1(TRANS32_DEP_1)
	v_rcp_iflag_f32_e32 v1, s2
	v_readfirstlane_b32 s2, v1
	s_mul_f32 s2, s2, 0x4f7ffffe
	s_wait_alu 0xfffe
	s_delay_alu instid0(SALU_CYCLE_2) | instskip(SKIP_2) | instid1(SALU_CYCLE_1)
	s_cvt_u32_f32 s4, s2
	s_sub_co_i32 s2, 0, s11
	s_wait_alu 0xfffe
	s_mul_i32 s2, s2, s4
	s_wait_alu 0xfffe
	s_mul_hi_u32 s5, s4, s2
	s_abs_i32 s2, ttmp9
	s_add_co_i32 s4, s4, s5
	s_mov_b32 s5, s3
	s_wait_kmcnt 0x0
	s_cmp_eq_u64 s[8:9], 0
	s_cbranch_scc1 .LBB103_3
; %bb.2:
	s_mov_b32 s14, ttmp9
	s_ashr_i32 s15, ttmp9, 31
	s_delay_alu instid0(SALU_CYCLE_1) | instskip(NEXT) | instid1(SALU_CYCLE_1)
	s_lshl_b64 s[14:15], s[14:15], 2
	s_add_nc_u64 s[8:9], s[8:9], s[14:15]
	s_load_b32 s6, s[8:9], 0x0
.LBB103_3:
	s_load_b96 s[8:10], s[0:1], 0x58
	v_lshrrev_b32_e32 v21, 1, v0
	v_and_b32_e32 v22, 1, v0
	v_lshlrev_b32_e32 v25, 3, v0
	s_mul_u64 s[4:5], s[2:3], s[4:5]
	s_ashr_i32 s3, ttmp9, 31
	s_ashr_i32 s4, s12, 31
	s_mul_i32 s12, ttmp9, 0x70
	s_mov_b32 s14, exec_lo
	v_cmpx_gt_u32_e32 28, v0
	s_cbranch_execz .LBB103_5
; %bb.4:
	s_load_b64 s[16:17], s[0:1], 0x18
	s_wait_kmcnt 0x0
	s_mul_i32 s18, s8, s20
	s_ashr_i32 s13, s12, 31
	s_ashr_i32 s19, s18, 31
	v_lshlrev_b32_e32 v3, 3, v21
	s_lshl_b64 s[18:19], s[18:19], 1
	s_delay_alu instid0(VALU_DEP_1) | instskip(SKIP_2) | instid1(SALU_CYCLE_1)
	v_mad_u32_u24 v3, 0x70, v22, v3
	s_add_nc_u64 s[16:17], s[16:17], s[18:19]
	s_lshl_b64 s[18:19], s[12:13], 1
	s_add_nc_u64 s[16:17], s[16:17], s[18:19]
	global_load_b64 v[1:2], v25, s[16:17]
	s_wait_loadcnt 0x0
	ds_store_b64 v3, v[1:2]
.LBB103_5:
	s_or_b32 exec_lo, exec_lo, s14
	s_wait_kmcnt 0x0
	s_add_co_i32 s8, s25, 15
	s_wait_alu 0xfffe
	s_xor_b32 s3, s3, s4
	s_ashr_i32 s13, s8, 31
	s_lshl_b32 s28, s24, 5
	s_lshr_b32 s4, s13, 28
	s_mul_i32 s13, s5, s11
	s_add_co_i32 s8, s8, s4
	s_add_co_i32 s4, s28, 32
	s_ashr_i32 s27, s8, 4
	s_load_b32 s8, s[0:1], 0x48
	s_sub_co_i32 s2, s2, s13
	s_min_i32 s13, s4, s27
	s_add_co_i32 s4, s5, 1
	s_wait_alu 0xfffe
	s_sub_co_i32 s14, s2, s11
	s_cmp_ge_u32 s2, s11
	v_lshrrev_b32_e32 v23, 5, v0
	s_cselect_b32 s4, s4, s5
	s_cselect_b32 s2, s14, s2
	s_add_co_i32 s5, s4, 1
	s_wait_alu 0xfffe
	s_cmp_ge_u32 s2, s11
	v_or_b32_e32 v24, s28, v23
	s_cselect_b32 s2, s5, s4
	v_mbcnt_lo_u32_b32 v27, -1, 0
	s_wait_alu 0xfffe
	s_xor_b32 s2, s2, s3
	s_mov_b32 s4, exec_lo
	s_wait_alu 0xfffe
	s_sub_co_i32 s3, s2, s3
	v_cmp_gt_i32_e64 s2, s13, v24
	s_wait_dscnt 0x0
	s_barrier_signal -1
	s_wait_kmcnt 0x0
	s_mul_i32 s14, s8, s20
	s_barrier_wait -1
	s_ashr_i32 s15, s14, 31
	global_inv scope:SCOPE_SE
                                        ; implicit-def: $vgpr28
                                        ; implicit-def: $vgpr29
	v_cmpx_le_i32_e64 s13, v24
	s_xor_b32 s4, exec_lo, s4
; %bb.6:
	v_dual_mov_b32 v28, 0 :: v_dual_mov_b32 v29, 32
	v_mbcnt_lo_u32_b32 v27, -1, 0
; %bb.7:
	s_or_saveexec_b32 s11, s4
	s_clause 0x1
	s_load_b64 s[16:17], s[0:1], 0x38
	s_load_b32 s8, s[0:1], 0x98
	v_mov_b32_e32 v30, 0xff7fffff
	v_lshlrev_b32_e32 v26, 2, v24
	s_mul_i32 s18, s3, s10
	s_xor_b32 exec_lo, exec_lo, s11
	s_cbranch_execz .LBB103_13
; %bb.8:
	s_load_b64 s[4:5], s[0:1], 0x20
	v_bfe_u32 v1, v0, 1, 4
	s_ashr_i32 s19, s18, 31
	v_dual_mov_b32 v28, 0 :: v_dual_lshlrev_b32 v3, 4, v23
	s_lshl_b64 s[22:23], s[18:19], 1
	s_delay_alu instid0(VALU_DEP_2) | instskip(SKIP_4) | instid1(VALU_DEP_3)
	v_dual_mov_b32 v37, v24 :: v_dual_lshlrev_b32 v4, 4, v1
	v_dual_mov_b32 v30, 0xff7fffff :: v_dual_lshlrev_b32 v5, 2, v1
	s_cmp_neq_f32 s6, 0
	v_dual_mov_b32 v29, 32 :: v_dual_and_b32 v2, 8, v25
	v_add3_u32 v32, s26, v3, v1
	v_lshl_or_b32 v1, v23, 6, v5
	s_cselect_b32 s3, -1, 0
	s_lshl_b64 s[30:31], s[14:15], 2
	v_mul_u32_u24_e32 v31, 0x70, v22
	s_wait_kmcnt 0x0
	s_add_nc_u64 s[30:31], s[16:17], s[30:31]
	v_add_nc_u32_e32 v33, 0x100, v1
	s_add_nc_u64 s[4:5], s[4:5], s[22:23]
	v_xor_b32_e32 v36, 1, v27
	v_add_co_u32 v3, s4, s4, v4
	s_wait_alu 0xf1ff
	v_add_co_ci_u32_e64 v4, null, s5, 0, s4
	s_mov_b32 s19, s9
	v_add_co_u32 v34, s4, v3, v2
	s_wait_alu 0xf1ff
	v_add_co_ci_u32_e64 v35, null, 0, v4, s4
	v_add_co_u32 v1, s4, s30, v26
	s_wait_alu 0xf1ff
	v_add_co_ci_u32_e64 v2, null, s31, 0, s4
	s_mov_b32 s10, 0
	s_sub_co_i32 s22, 1, s25
	v_cmp_eq_u32_e32 vcc_lo, 0, v22
	s_branch .LBB103_10
.LBB103_9:                              ;   in Loop: Header=BB103_10 Depth=1
	s_wait_alu 0xfffe
	s_or_b32 exec_lo, exec_lo, s5
	v_add_nc_u32_e32 v37, 4, v37
	v_add_co_u32 v1, s5, v1, 16
	v_add_nc_u32_e32 v32, 64, v32
	v_add_nc_u32_e32 v33, 0x100, v33
	s_delay_alu instid0(VALU_DEP_4) | instskip(SKIP_3) | instid1(SALU_CYCLE_1)
	v_cmp_le_i32_e64 s4, s13, v37
	s_wait_alu 0xf1ff
	v_add_co_ci_u32_e64 v2, null, 0, v2, s5
	s_or_b32 s10, s4, s10
	s_and_not1_b32 exec_lo, exec_lo, s10
	s_cbranch_execz .LBB103_12
.LBB103_10:                             ; =>This Inner Loop Header: Depth=1
	global_load_b32 v3, v[1:2], off
	s_wait_loadcnt_dscnt 0x0
	v_mad_co_i64_i32 v[3:4], null, v3, s19, 0
	s_delay_alu instid0(VALU_DEP_1) | instskip(NEXT) | instid1(VALU_DEP_1)
	v_lshlrev_b64_e32 v[3:4], 1, v[3:4]
	v_add_co_u32 v3, s4, v34, v3
	s_wait_alu 0xf1ff
	s_delay_alu instid0(VALU_DEP_2)
	v_add_co_ci_u32_e64 v4, null, v35, v4, s4
	v_cmp_gt_i32_e64 s4, 32, v36
	s_clause 0x8
	global_load_b64 v[39:40], v[3:4], off
	global_load_b64 v[46:47], v[3:4], off offset:256
	global_load_b64 v[54:55], v[3:4], off offset:512
	;; [unrolled: 1-line block ×8, first 2 shown]
	ds_load_b64 v[5:6], v31
	global_load_b64 v[13:14], v[3:4], off offset:2304
	s_wait_dscnt 0x0
	v_lshrrev_b32_e32 v41, 16, v5
	v_and_b32_e32 v38, 0xffff, v5
	v_lshrrev_b32_e32 v42, 16, v6
	v_and_b32_e32 v44, 0xffff, v6
	s_clause 0x3
	global_load_b64 v[9:10], v[3:4], off offset:2560
	global_load_b64 v[7:8], v[3:4], off offset:2816
	global_load_b64 v[5:6], v[3:4], off offset:3072
	global_load_b64 v[3:4], v[3:4], off offset:3328
	;;#ASMSTART
	v_cvt_f32_f16 v38, v38;
	;;#ASMEND
	s_wait_loadcnt 0xd
	v_and_b32_e32 v43, 0xffff, v39
	v_lshrrev_b32_e32 v45, 16, v39
	v_lshrrev_b32_e32 v48, 16, v40
	v_and_b32_e32 v49, 0xffff, v40
	;;#ASMSTART
	v_cvt_f32_f16 v39, v41;
	;;#ASMEND
	;;#ASMSTART
	v_cvt_f32_f16 v43, v43;
	;;#ASMEND
	;; [unrolled: 3-line block ×7, first 2 shown]
	ds_load_b64 v[48:49], v31 offset:8
	s_wait_loadcnt 0xc
	v_lshrrev_b32_e32 v50, 16, v46
	v_and_b32_e32 v51, 0xffff, v46
	v_lshrrev_b32_e32 v56, 16, v47
	v_and_b32_e32 v57, 0xffff, v47
	s_wait_loadcnt 0xb
	v_lshrrev_b32_e32 v61, 16, v55
	s_wait_loadcnt 0xa
	v_lshrrev_b32_e32 v66, 16, v62
	v_lshrrev_b32_e32 v69, 16, v63
	s_wait_loadcnt 0x9
	v_lshrrev_b32_e32 v75, 16, v70
	;; [unrolled: 3-line block ×3, first 2 shown]
	v_lshrrev_b32_e32 v85, 16, v20
	v_and_b32_e32 v20, 0xffff, v20
	s_wait_loadcnt 0x7
	v_lshrrev_b32_e32 v87, 16, v17
	v_and_b32_e32 v17, 0xffff, v17
	v_lshrrev_b32_e32 v91, 16, v18
	v_and_b32_e32 v18, 0xffff, v18
	s_wait_loadcnt 0x6
	v_lshrrev_b32_e32 v93, 16, v15
	v_lshrrev_b32_e32 v97, 16, v16
	v_and_b32_e32 v16, 0xffff, v16
	s_wait_dscnt 0x0
	v_and_b32_e32 v46, 0xffff, v48
	v_lshrrev_b32_e32 v48, 16, v48
	v_lshrrev_b32_e32 v58, 16, v49
	v_and_b32_e32 v49, 0xffff, v49
	;;#ASMSTART
	v_cvt_f32_f16 v52, v46;
	;;#ASMEND
	;;#ASMSTART
	v_cvt_f32_f16 v46, v48;
	;;#ASMEND
	;; [unrolled: 3-line block ×8, first 2 shown]
	ds_load_b64 v[56:57], v31 offset:16
	v_dual_mul_f32 v46, v46, v47 :: v_dual_mul_f32 v47, v48, v50
	v_lshrrev_b32_e32 v58, 16, v54
	v_dual_mul_f32 v48, v49, v51 :: v_dual_and_b32 v59, 0xffff, v54
	s_delay_alu instid0(VALU_DEP_3) | instskip(NEXT) | instid1(VALU_DEP_4)
	v_dual_fmac_f32 v47, v41, v44 :: v_dual_and_b32 v60, 0xffff, v55
	v_fmac_f32_e32 v46, v39, v40
	s_wait_loadcnt 0x5
	v_lshrrev_b32_e32 v99, 16, v11
	v_fmac_f32_e32 v48, v42, v45
	v_lshrrev_b32_e32 v103, 16, v12
	v_and_b32_e32 v12, 0xffff, v12
	s_wait_loadcnt 0x4
	v_lshrrev_b32_e32 v105, 16, v13
	v_and_b32_e32 v104, 0xffff, v13
	v_lshrrev_b32_e32 v109, 16, v14
	v_and_b32_e32 v108, 0xffff, v14
	s_wait_loadcnt 0x2
	v_lshrrev_b32_e32 v115, 16, v7
	v_lshrrev_b32_e32 v110, 16, v9
	;; [unrolled: 1-line block ×3, first 2 shown]
	s_wait_dscnt 0x0
	v_and_b32_e32 v54, 0xffff, v56
	v_lshrrev_b32_e32 v56, 16, v56
	v_lshrrev_b32_e32 v64, 16, v57
	v_and_b32_e32 v57, 0xffff, v57
	;;#ASMSTART
	v_cvt_f32_f16 v55, v54;
	;;#ASMEND
	;;#ASMSTART
	v_cvt_f32_f16 v54, v56;
	;;#ASMEND
	;; [unrolled: 3-line block ×8, first 2 shown]
	ds_load_b64 v[64:65], v31 offset:24
	v_dual_fmac_f32 v48, v58, v61 :: v_dual_and_b32 v67, 0xffff, v62
	v_dual_fmac_f32 v47, v57, v60 :: v_dual_and_b32 v68, 0xffff, v63
	v_fmac_f32_e32 v46, v54, v56
	v_and_b32_e32 v10, 0xffff, v10
	v_lshrrev_b32_e32 v116, 16, v8
	v_and_b32_e32 v8, 0xffff, v8
	s_wait_loadcnt 0x1
	v_lshrrev_b32_e32 v44, 16, v5
	v_lshrrev_b32_e32 v45, 16, v6
	v_and_b32_e32 v6, 0xffff, v6
	s_wait_loadcnt 0x0
	v_lshrrev_b32_e32 v49, 16, v3
	s_wait_dscnt 0x0
	v_and_b32_e32 v62, 0xffff, v64
	v_lshrrev_b32_e32 v64, 16, v64
	v_lshrrev_b32_e32 v72, 16, v65
	v_and_b32_e32 v65, 0xffff, v65
	;;#ASMSTART
	v_cvt_f32_f16 v63, v62;
	;;#ASMEND
	;;#ASMSTART
	v_cvt_f32_f16 v62, v64;
	;;#ASMEND
	;; [unrolled: 3-line block ×8, first 2 shown]
	ds_load_b64 v[72:73], v31 offset:32
	v_dual_fmac_f32 v47, v65, v68 :: v_dual_and_b32 v70, 0xffff, v70
	v_and_b32_e32 v80, 0xffff, v71
	v_dual_fmac_f32 v48, v66, v69 :: v_dual_and_b32 v19, 0xffff, v19
	v_fmac_f32_e32 v46, v62, v64
	s_wait_dscnt 0x0
	v_and_b32_e32 v74, 0xffff, v72
	v_lshrrev_b32_e32 v72, 16, v72
	v_lshrrev_b32_e32 v71, 16, v73
	v_and_b32_e32 v73, 0xffff, v73
	;;#ASMSTART
	v_cvt_f32_f16 v77, v74;
	;;#ASMEND
	;;#ASMSTART
	v_cvt_f32_f16 v74, v72;
	;;#ASMEND
	;;#ASMSTART
	v_cvt_f32_f16 v78, v70;
	;;#ASMEND
	;;#ASMSTART
	v_cvt_f32_f16 v79, v75;
	;;#ASMEND
	;;#ASMSTART
	v_cvt_f32_f16 v70, v73;
	;;#ASMEND
	;;#ASMSTART
	v_cvt_f32_f16 v71, v71;
	;;#ASMEND
	;;#ASMSTART
	v_cvt_f32_f16 v72, v80;
	;;#ASMEND
	;;#ASMSTART
	v_cvt_f32_f16 v73, v76;
	;;#ASMEND
	ds_load_b64 v[75:76], v31 offset:40
	v_fmac_f32_e32 v47, v70, v72
	v_dual_fmac_f32 v48, v71, v73 :: v_dual_and_b32 v15, 0xffff, v15
	v_fmac_f32_e32 v46, v74, v79
	s_wait_dscnt 0x0
	v_and_b32_e32 v80, 0xffff, v75
	v_lshrrev_b32_e32 v82, 16, v75
	v_lshrrev_b32_e32 v83, 16, v76
	v_and_b32_e32 v84, 0xffff, v76
	;;#ASMSTART
	v_cvt_f32_f16 v75, v80;
	;;#ASMEND
	;;#ASMSTART
	v_cvt_f32_f16 v76, v82;
	;;#ASMEND
	;;#ASMSTART
	v_cvt_f32_f16 v80, v19;
	;;#ASMEND
	;;#ASMSTART
	v_cvt_f32_f16 v81, v81;
	;;#ASMEND
	;;#ASMSTART
	v_cvt_f32_f16 v82, v84;
	;;#ASMEND
	;;#ASMSTART
	v_cvt_f32_f16 v83, v83;
	;;#ASMEND
	;;#ASMSTART
	v_cvt_f32_f16 v84, v20;
	;;#ASMEND
	;;#ASMSTART
	v_cvt_f32_f16 v85, v85;
	;;#ASMEND
	ds_load_b64 v[19:20], v31 offset:48
	v_fmac_f32_e32 v47, v82, v84
	;; [unrolled: 33-line block ×3, first 2 shown]
	v_fmac_f32_e32 v46, v20, v87
	v_fmac_f32_e32 v48, v89, v91
	s_wait_dscnt 0x0
	v_and_b32_e32 v92, 0xffff, v17
	v_lshrrev_b32_e32 v94, 16, v17
	v_lshrrev_b32_e32 v95, 16, v18
	v_and_b32_e32 v96, 0xffff, v18
	;;#ASMSTART
	v_cvt_f32_f16 v17, v92;
	;;#ASMEND
	;;#ASMSTART
	v_cvt_f32_f16 v18, v94;
	;;#ASMEND
	;; [unrolled: 3-line block ×8, first 2 shown]
	ds_load_b64 v[15:16], v31 offset:64
	v_dual_fmac_f32 v46, v18, v93 :: v_dual_and_b32 v7, 0xffff, v7
	v_dual_fmac_f32 v48, v95, v97 :: v_dual_fmac_f32 v47, v94, v96
	s_wait_dscnt 0x0
	v_and_b32_e32 v98, 0xffff, v15
	v_lshrrev_b32_e32 v100, 16, v15
	v_lshrrev_b32_e32 v101, 16, v16
	v_and_b32_e32 v102, 0xffff, v16
	;;#ASMSTART
	v_cvt_f32_f16 v15, v98;
	;;#ASMEND
	;;#ASMSTART
	v_cvt_f32_f16 v16, v100;
	;;#ASMEND
	;; [unrolled: 3-line block ×8, first 2 shown]
	ds_load_b64 v[11:12], v31 offset:72
	v_dual_fmac_f32 v46, v16, v99 :: v_dual_and_b32 v9, 0xffff, v9
	v_dual_fmac_f32 v48, v101, v103 :: v_dual_fmac_f32 v47, v100, v102
	s_wait_dscnt 0x0
	v_and_b32_e32 v13, 0xffff, v11
	v_lshrrev_b32_e32 v11, 16, v11
	v_lshrrev_b32_e32 v107, 16, v12
	v_and_b32_e32 v12, 0xffff, v12
	;;#ASMSTART
	v_cvt_f32_f16 v13, v13;
	;;#ASMEND
	;;#ASMSTART
	v_cvt_f32_f16 v14, v11;
	;;#ASMEND
	;; [unrolled: 3-line block ×8, first 2 shown]
	ds_load_b64 v[11:12], v31 offset:80
	v_fmac_f32_e32 v46, v14, v105
	v_dual_fmac_f32 v48, v107, v109 :: v_dual_fmac_f32 v47, v106, v108
	s_wait_dscnt 0x0
	v_and_b32_e32 v111, 0xffff, v11
	v_lshrrev_b32_e32 v112, 16, v11
	v_lshrrev_b32_e32 v113, 16, v12
	v_mul_f32_e32 v11, v52, v53
	v_and_b32_e32 v117, 0xffff, v12
	;;#ASMSTART
	v_cvt_f32_f16 v12, v111;
	;;#ASMEND
	;;#ASMSTART
	v_cvt_f32_f16 v52, v112;
	;;#ASMEND
	;; [unrolled: 3-line block ×8, first 2 shown]
	ds_load_b64 v[9:10], v31 offset:88
	v_fmac_f32_e32 v11, v38, v43
	v_dual_fmac_f32 v46, v52, v110 :: v_dual_and_b32 v5, 0xffff, v5
	v_dual_fmac_f32 v48, v112, v114 :: v_dual_fmac_f32 v47, v111, v113
	s_delay_alu instid0(VALU_DEP_3) | instskip(NEXT) | instid1(VALU_DEP_1)
	v_fmac_f32_e32 v11, v55, v59
	v_fmac_f32_e32 v11, v63, v67
	s_wait_dscnt 0x0
	s_delay_alu instid0(VALU_DEP_1)
	v_dual_fmac_f32 v11, v77, v78 :: v_dual_and_b32 v38, 0xffff, v9
	v_lshrrev_b32_e32 v39, 16, v9
	v_lshrrev_b32_e32 v41, 16, v10
	v_and_b32_e32 v40, 0xffff, v10
	;;#ASMSTART
	v_cvt_f32_f16 v9, v38;
	;;#ASMEND
	;;#ASMSTART
	v_cvt_f32_f16 v10, v39;
	;;#ASMEND
	;; [unrolled: 3-line block ×8, first 2 shown]
	ds_load_b64 v[7:8], v31 offset:96
	v_dual_fmac_f32 v11, v75, v80 :: v_dual_fmac_f32 v46, v10, v39
	v_fmac_f32_e32 v47, v40, v42
	s_delay_alu instid0(VALU_DEP_2) | instskip(NEXT) | instid1(VALU_DEP_1)
	v_fmac_f32_e32 v11, v19, v86
	v_fmac_f32_e32 v11, v17, v92
	s_delay_alu instid0(VALU_DEP_1)
	v_fmac_f32_e32 v11, v15, v98
	s_wait_dscnt 0x0
	v_and_b32_e32 v15, 0xffff, v7
	v_lshrrev_b32_e32 v16, 16, v7
	v_lshrrev_b32_e32 v18, 16, v8
	v_and_b32_e32 v17, 0xffff, v8
	;;#ASMSTART
	v_cvt_f32_f16 v7, v15;
	;;#ASMEND
	;;#ASMSTART
	v_cvt_f32_f16 v8, v16;
	;;#ASMEND
	;; [unrolled: 3-line block ×8, first 2 shown]
	ds_load_b64 v[5:6], v31 offset:104
	v_fmac_f32_e32 v11, v13, v104
	v_fmac_f32_e32 v48, v41, v43
	;; [unrolled: 1-line block ×3, first 2 shown]
	s_delay_alu instid0(VALU_DEP_3) | instskip(SKIP_1) | instid1(VALU_DEP_2)
	v_fmac_f32_e32 v11, v12, v53
	v_lshrrev_b32_e32 v12, 16, v4
	v_fmac_f32_e32 v11, v9, v38
	v_and_b32_e32 v9, 0xffff, v4
	v_dual_fmac_f32 v46, v8, v16 :: v_dual_and_b32 v13, 0xffff, v3
	s_delay_alu instid0(VALU_DEP_3)
	v_fmac_f32_e32 v11, v7, v15
	s_wait_dscnt 0x0
	v_and_b32_e32 v3, 0xffff, v5
	v_lshrrev_b32_e32 v4, 16, v5
	v_lshrrev_b32_e32 v7, 16, v6
	v_and_b32_e32 v8, 0xffff, v6
	;;#ASMSTART
	v_cvt_f32_f16 v3, v3;
	;;#ASMEND
	;;#ASMSTART
	v_cvt_f32_f16 v4, v4;
	;;#ASMEND
	;; [unrolled: 3-line block ×4, first 2 shown]
	v_dual_fmac_f32 v11, v3, v5 :: v_dual_fmac_f32 v46, v4, v6
	;;#ASMSTART
	v_cvt_f32_f16 v3, v8;
	;;#ASMEND
	v_fmac_f32_e32 v48, v18, v20
	;;#ASMSTART
	v_cvt_f32_f16 v4, v7;
	;;#ASMEND
	;;#ASMSTART
	v_cvt_f32_f16 v5, v9;
	;;#ASMEND
	v_fmac_f32_e32 v47, v3, v5
	v_add_f32_e32 v3, v11, v46
	;;#ASMSTART
	v_cvt_f32_f16 v5, v12;
	;;#ASMEND
	v_fmac_f32_e32 v48, v4, v5
	s_wait_alu 0xf1ff
	v_cndmask_b32_e64 v4, v27, v36, s4
	s_delay_alu instid0(VALU_DEP_1) | instskip(NEXT) | instid1(VALU_DEP_1)
	v_dual_add_f32 v3, v3, v47 :: v_dual_lshlrev_b32 v4, 2, v4
	v_add_f32_e32 v3, v48, v3
	ds_bpermute_b32 v4, v4, v3
	s_and_saveexec_b32 s5, vcc_lo
	s_cbranch_execz .LBB103_9
; %bb.11:                               ;   in Loop: Header=BB103_10 Depth=1
	s_wait_dscnt 0x0
	v_add_f32_e32 v3, v3, v4
	v_add_nc_u32_e32 v5, s22, v32
	v_cmp_gt_i32_e64 s4, s25, v32
	s_delay_alu instid0(VALU_DEP_2) | instskip(NEXT) | instid1(VALU_DEP_1)
	v_cvt_f32_i32_e32 v5, v5
	v_mul_f32_e32 v5, s6, v5
	s_wait_alu 0xfffe
	s_delay_alu instid0(VALU_DEP_1) | instskip(NEXT) | instid1(VALU_DEP_1)
	v_cndmask_b32_e64 v4, 0, v5, s3
	v_dual_max_num_f32 v5, v30, v30 :: v_dual_fmac_f32 v4, s7, v3
	s_delay_alu instid0(VALU_DEP_1) | instskip(SKIP_2) | instid1(VALU_DEP_2)
	v_max_num_f32_e32 v3, v5, v4
	s_wait_alu 0xf1ff
	v_cndmask_b32_e64 v4, 0, v4, s4
	v_cndmask_b32_e64 v30, v30, v3, s4
	ds_store_b32 v33, v4
	s_branch .LBB103_9
.LBB103_12:
	s_or_b32 exec_lo, exec_lo, s10
.LBB103_13:
	s_delay_alu instid0(SALU_CYCLE_1)
	s_or_b32 exec_lo, exec_lo, s11
	v_xor_b32_e32 v1, 16, v27
	v_xor_b32_e32 v2, 8, v27
	s_clause 0x2
	s_load_b128 s[4:7], s[0:1], 0x0
	s_load_b64 s[10:11], s[0:1], 0x10
	s_load_b64 s[22:23], s[0:1], 0x28
	s_wait_dscnt 0x0
	v_dual_max_num_f32 v4, v30, v30 :: v_dual_lshlrev_b32 v7, 2, v23
	v_cmp_lt_i32_e32 vcc_lo, v1, v29
	v_and_b32_e32 v9, 31, v0
	v_cndmask_b32_e32 v1, v27, v1, vcc_lo
	v_cmp_lt_i32_e32 vcc_lo, v2, v29
	s_wait_alu 0xfffd
	s_delay_alu instid0(VALU_DEP_2) | instskip(SKIP_3) | instid1(VALU_DEP_1)
	v_dual_cndmask_b32 v2, v27, v2 :: v_dual_lshlrev_b32 v3, 2, v1
	ds_bpermute_b32 v1, v3, v30
	s_wait_dscnt 0x0
	v_max_num_f32_e32 v1, v1, v1
	v_max_num_f32_e32 v1, v4, v1
	v_xor_b32_e32 v4, 4, v27
	s_delay_alu instid0(VALU_DEP_1) | instskip(SKIP_2) | instid1(VALU_DEP_1)
	v_cmp_lt_i32_e32 vcc_lo, v4, v29
	s_wait_alu 0xfffd
	v_cndmask_b32_e32 v4, v27, v4, vcc_lo
	v_lshlrev_b32_e32 v6, 2, v4
	v_xor_b32_e32 v4, 2, v27
	s_delay_alu instid0(VALU_DEP_1)
	v_cmp_lt_i32_e32 vcc_lo, v4, v29
	s_wait_alu 0xfffd
	v_dual_cndmask_b32 v4, v27, v4 :: v_dual_lshlrev_b32 v5, 2, v2
	ds_bpermute_b32 v2, v5, v1
	v_cmp_eq_u32_e32 vcc_lo, 0, v9
	s_wait_dscnt 0x0
	v_max_num_f32_e32 v2, v2, v2
	s_delay_alu instid0(VALU_DEP_1) | instskip(SKIP_3) | instid1(VALU_DEP_1)
	v_max_num_f32_e32 v1, v1, v2
	ds_bpermute_b32 v2, v6, v1
	s_wait_dscnt 0x0
	v_max_num_f32_e32 v2, v2, v2
	v_dual_max_num_f32 v1, v1, v2 :: v_dual_lshlrev_b32 v2, 2, v4
	ds_bpermute_b32 v4, v2, v1
	s_and_saveexec_b32 s0, vcc_lo
	s_cbranch_execz .LBB103_15
; %bb.14:
	s_wait_dscnt 0x0
	v_dual_max_num_f32 v4, v4, v4 :: v_dual_max_num_f32 v1, v1, v1
	s_delay_alu instid0(VALU_DEP_1)
	v_max_num_f32_e32 v1, v1, v4
	ds_store_b32 v7, v1 offset:224
.LBB103_15:
	s_or_b32 exec_lo, exec_lo, s0
	v_cmp_gt_u32_e64 s0, 4, v9
	v_dual_mov_b32 v1, 0xff7fffff :: v_dual_lshlrev_b32 v8, 2, v9
	s_wait_loadcnt_dscnt 0x0
	s_barrier_signal -1
	s_barrier_wait -1
	global_inv scope:SCOPE_SE
	s_and_saveexec_b32 s1, s0
; %bb.16:
	ds_load_b32 v1, v8 offset:224
; %bb.17:
	s_or_b32 exec_lo, exec_lo, s1
	s_wait_dscnt 0x0
	ds_bpermute_b32 v4, v2, v1
	v_xor_b32_e32 v10, 1, v27
	v_max_num_f32_e32 v1, v1, v1
	v_mov_b32_e32 v11, 0
	s_delay_alu instid0(VALU_DEP_3) | instskip(NEXT) | instid1(VALU_DEP_1)
	v_cmp_lt_i32_e64 s1, v10, v29
	v_cndmask_b32_e64 v10, v27, v10, s1
	s_sub_co_i32 s1, s13, s28
	s_wait_alu 0xfffe
	s_lshl_b32 s1, s1, 4
	s_wait_alu 0xfffe
	s_add_co_i32 s1, s1, s26
	s_wait_alu 0xfffe
	s_min_i32 s1, s1, s25
	s_wait_dscnt 0x0
	v_max_num_f32_e32 v4, v4, v4
	v_lshlrev_b32_e32 v10, 2, v10
	s_wait_alu 0xfffe
	s_sub_co_i32 s19, s1, s26
	s_wait_alu 0xfffe
	v_cmp_gt_i32_e64 s1, s19, v0
	v_max_num_f32_e32 v1, v1, v4
	ds_bpermute_b32 v4, v10, v1
	s_wait_dscnt 0x0
	v_max_num_f32_e32 v4, v4, v4
	s_delay_alu instid0(VALU_DEP_1)
	v_max_num_f32_e32 v1, v1, v4
	v_lshlrev_b32_e32 v4, 2, v28
	ds_bpermute_b32 v1, v4, v1
	v_lshl_add_u32 v4, v0, 2, 0x100
	s_and_saveexec_b32 s28, s1
	s_cbranch_execz .LBB103_21
; %bb.18:
	v_lshl_add_u32 v12, v0, 2, 0x100
	v_mov_b32_e32 v11, 0
	v_mov_b32_e32 v13, v0
	s_mov_b32 s29, 0
.LBB103_19:                             ; =>This Inner Loop Header: Depth=1
	ds_load_b32 v14, v12
	v_add_nc_u32_e32 v13, 0x80, v13
	s_delay_alu instid0(VALU_DEP_1) | instskip(SKIP_4) | instid1(VALU_DEP_1)
	v_cmp_le_i32_e64 s3, s19, v13
	s_wait_alu 0xfffe
	s_or_b32 s29, s3, s29
	s_wait_dscnt 0x0
	v_sub_f32_e32 v14, v14, v1
	v_mul_f32_e32 v14, 0x3fb8aa3b, v14
	s_delay_alu instid0(VALU_DEP_1)
	v_exp_f32_e32 v14, v14
	ds_store_b32 v12, v14
	v_dual_add_f32 v11, v11, v14 :: v_dual_add_nc_u32 v12, 0x200, v12
	s_wait_alu 0xfffe
	s_and_not1_b32 exec_lo, exec_lo, s29
	s_cbranch_execnz .LBB103_19
; %bb.20:
	s_or_b32 exec_lo, exec_lo, s29
.LBB103_21:
	s_wait_alu 0xfffe
	s_or_b32 exec_lo, exec_lo, s28
	ds_bpermute_b32 v3, v3, v11
	s_wait_dscnt 0x0
	v_add_f32_e32 v3, v11, v3
	ds_bpermute_b32 v5, v5, v3
	s_wait_dscnt 0x0
	v_add_f32_e32 v3, v3, v5
	;; [unrolled: 3-line block ×5, first 2 shown]
	s_and_saveexec_b32 s3, vcc_lo
; %bb.22:
	ds_store_b32 v7, v3 offset:240
; %bb.23:
	s_wait_alu 0xfffe
	s_or_b32 exec_lo, exec_lo, s3
	s_wait_loadcnt_dscnt 0x0
	s_barrier_signal -1
	s_barrier_wait -1
	global_inv scope:SCOPE_SE
	s_and_saveexec_b32 s3, s0
; %bb.24:
	ds_load_b32 v3, v8 offset:240
; %bb.25:
	s_wait_alu 0xfffe
	s_or_b32 exec_lo, exec_lo, s3
	s_wait_dscnt 0x0
	ds_bpermute_b32 v2, v2, v3
	s_wait_dscnt 0x0
	v_dual_add_f32 v2, v3, v2 :: v_dual_lshlrev_b32 v5, 2, v27
	ds_bpermute_b32 v3, v10, v2
	s_wait_dscnt 0x0
	v_dual_add_f32 v2, v2, v3 :: v_dual_and_b32 v3, 0xffffff80, v5
	ds_bpermute_b32 v2, v3, v2
	s_and_saveexec_b32 s0, s1
	s_cbranch_execz .LBB103_28
; %bb.26:
	s_wait_dscnt 0x0
	v_add_f32_e32 v3, 0x358637bd, v2
	s_mov_b32 s1, 0
	s_delay_alu instid0(VALU_DEP_1) | instskip(SKIP_1) | instid1(VALU_DEP_2)
	v_div_scale_f32 v5, null, v3, v3, 1.0
	v_div_scale_f32 v8, vcc_lo, 1.0, v3, 1.0
	v_rcp_f32_e32 v6, v5
	s_delay_alu instid0(TRANS32_DEP_1) | instskip(NEXT) | instid1(VALU_DEP_1)
	v_fma_f32 v7, -v5, v6, 1.0
	v_fmac_f32_e32 v6, v7, v6
	s_delay_alu instid0(VALU_DEP_1) | instskip(NEXT) | instid1(VALU_DEP_1)
	v_mul_f32_e32 v7, v8, v6
	v_fma_f32 v11, -v5, v7, v8
	s_delay_alu instid0(VALU_DEP_1) | instskip(NEXT) | instid1(VALU_DEP_1)
	v_fmac_f32_e32 v7, v11, v6
	v_fma_f32 v5, -v5, v7, v8
	s_wait_alu 0xfffd
	s_delay_alu instid0(VALU_DEP_1) | instskip(NEXT) | instid1(VALU_DEP_1)
	v_div_fmas_f32 v5, v5, v6, v7
	v_div_fixup_f32 v3, v5, v3, 1.0
	v_mov_b32_e32 v5, v0
.LBB103_27:                             ; =>This Inner Loop Header: Depth=1
	ds_load_b32 v6, v4
	s_wait_dscnt 0x0
	v_dual_mul_f32 v6, v3, v6 :: v_dual_add_nc_u32 v5, 0x80, v5
	s_delay_alu instid0(VALU_DEP_1)
	v_cmp_le_i32_e32 vcc_lo, s19, v5
	ds_store_b32 v4, v6
	v_add_nc_u32_e32 v4, 0x200, v4
	s_wait_alu 0xfffe
	s_or_b32 s1, vcc_lo, s1
	s_wait_alu 0xfffe
	s_and_not1_b32 exec_lo, exec_lo, s1
	s_cbranch_execnz .LBB103_27
.LBB103_28:
	s_wait_alu 0xfffe
	s_or_b32 exec_lo, exec_lo, s0
	s_wait_kmcnt 0x0
	s_mul_i32 s0, s8, s20
	s_wait_loadcnt_dscnt 0x0
	s_wait_alu 0xfffe
	s_mul_i32 s20, s0, s21
	s_mov_b32 s0, exec_lo
	s_barrier_signal -1
	s_barrier_wait -1
	global_inv scope:SCOPE_SE
	v_cmpx_eq_u32_e32 0, v0
	s_cbranch_execz .LBB103_30
; %bb.29:
	s_ashr_i32 s21, s20, 31
	s_wait_alu 0xfffe
	s_mul_i32 s28, s8, ttmp9
	s_lshl_b32 s1, s24, 2
	s_lshl_b64 s[30:31], s[20:21], 2
	s_wait_alu 0xfffe
	s_ashr_i32 s29, s28, 31
	v_mov_b32_e32 v3, s1
	s_add_nc_u64 s[6:7], s[6:7], s[30:31]
	s_wait_alu 0xfffe
	s_lshl_b64 s[28:29], s[28:29], 2
	s_add_nc_u64 s[4:5], s[4:5], s[30:31]
	s_wait_alu 0xfffe
	s_add_nc_u64 s[6:7], s[6:7], s[28:29]
	s_add_nc_u64 s[4:5], s[4:5], s[28:29]
	s_clause 0x1
	global_store_b32 v3, v1, s[6:7]
	global_store_b32 v3, v2, s[4:5]
.LBB103_30:
	s_wait_alu 0xfffe
	s_or_b32 exec_lo, exec_lo, s0
	v_dual_mov_b32 v16, 0 :: v_dual_mov_b32 v17, 0
	v_dual_mov_b32 v15, 0 :: v_dual_mov_b32 v14, 0
	;; [unrolled: 1-line block ×3, first 2 shown]
	v_mov_b32_e32 v11, 0
	s_and_saveexec_b32 s1, s2
	s_cbranch_execz .LBB103_48
; %bb.31:
	v_dual_mov_b32 v12, 0 :: v_dual_lshlrev_b32 v1, 4, v0
	s_ashr_i32 s19, s18, 31
	v_dual_mov_b32 v14, 0 :: v_dual_lshlrev_b32 v3, 5, v22
	s_delay_alu instid0(VALU_DEP_2)
	v_dual_mov_b32 v16, 0 :: v_dual_and_b32 v1, 0x1f0, v1
	s_wait_alu 0xfffe
	s_lshl_b64 s[2:3], s[18:19], 1
	v_dual_mov_b32 v11, 0 :: v_dual_and_b32 v2, 8, v25
	s_wait_alu 0xfffe
	s_add_nc_u64 s[2:3], s[22:23], s[2:3]
	v_lshl_add_u32 v4, v23, 4, s26
	s_wait_alu 0xfffe
	v_add_co_u32 v18, s0, s2, v1
	s_wait_alu 0xf1ff
	v_add_co_ci_u32_e64 v19, null, s3, 0, s0
	s_lshl_b64 s[2:3], s[14:15], 2
	v_lshl_or_b32 v3, v23, 6, v3
	s_wait_alu 0xfffe
	s_add_nc_u64 s[2:3], s[16:17], s[2:3]
	v_add3_u32 v20, v4, v2, 7
	s_wait_alu 0xfffe
	v_add_co_u32 v5, s0, s2, v26
	v_add_nc_u32_e32 v25, 0x100, v3
	s_wait_alu 0xf1ff
	v_add_co_ci_u32_e64 v6, null, s3, 0, s0
	v_mov_b32_e32 v13, 0
	v_mov_b32_e32 v15, 0
	;; [unrolled: 1-line block ×3, first 2 shown]
	s_mov_b32 s2, s9
	s_add_co_i32 s27, s27, -1
	s_mov_b32 s3, 0
	s_branch .LBB103_33
.LBB103_32:                             ;   in Loop: Header=BB103_33 Depth=1
	s_wait_alu 0xfffe
	s_or_b32 exec_lo, exec_lo, s0
	v_dual_add_f32 v26, v48, v49 :: v_dual_add_f32 v27, v45, v46
	v_lshlrev_b32_e32 v28, 16, v47
	v_lshlrev_b32_e32 v8, 16, v8
	s_delay_alu instid0(VALU_DEP_3) | instskip(NEXT) | instid1(VALU_DEP_4)
	v_dual_add_f32 v12, v12, v26 :: v_dual_lshlrev_b32 v7, 16, v7
	v_add_f32_e32 v13, v13, v27
	s_delay_alu instid0(VALU_DEP_4) | instskip(NEXT) | instid1(VALU_DEP_4)
	v_and_or_b32 v1, 0xffff, v1, v28
	v_and_or_b32 v2, 0xffff, v2, v8
	s_delay_alu instid0(VALU_DEP_4)
	v_and_or_b32 v3, 0xffff, v3, v7
	;;#ASMSTART
	v_pk_mul_f16 v1, v34, v1;

	;;#ASMEND
	;;#ASMSTART
	v_pk_mul_f16 v2, v33, v2;

	;;#ASMEND
	;;#ASMSTART
	v_pk_mul_f16 v3, v35, v3;

	;;#ASMEND
	;;#ASMSTART
	v_pk_mul_f16 v4, v36, v4;

	;;#ASMEND
	;;#ASMSTART
	v_pk_add_f16 v1, v1, v2;

	;;#ASMEND
	v_dual_add_f32 v2, v39, v40 :: v_dual_add_nc_u32 v25, 0x100, v25
	;;#ASMSTART
	v_pk_add_f16 v1, v1, v3;

	;;#ASMEND
	;;#ASMSTART
	v_pk_add_f16 v1, v1, v4;

	;;#ASMEND
	s_delay_alu instid0(VALU_DEP_1)
	v_dual_add_f32 v17, v17, v2 :: v_dual_and_b32 v4, 0xffff, v1
	v_add_nc_u32_e32 v24, 4, v24
	v_lshrrev_b32_e32 v7, 16, v1
	;;#ASMSTART
	v_cvt_f32_f16 v4, v4;
	;;#ASMEND
	v_dual_add_f32 v26, v43, v44 :: v_dual_add_f32 v3, v37, v38
	v_add_f32_e32 v1, v41, v42
	;;#ASMSTART
	v_cvt_f32_f16 v7, v7;
	;;#ASMEND
	v_add_f32_e32 v4, v4, v7
	v_cmp_le_i32_e32 vcc_lo, s13, v24
	v_add_co_u32 v5, s0, v5, 16
	v_dual_add_f32 v14, v14, v26 :: v_dual_add_f32 v15, v15, v1
	s_delay_alu instid0(VALU_DEP_4)
	v_dual_add_f32 v16, v16, v3 :: v_dual_add_f32 v11, v11, v4
	v_add_nc_u32_e32 v20, 64, v20
	s_wait_alu 0xf1ff
	v_add_co_ci_u32_e64 v6, null, 0, v6, s0
	s_or_b32 s3, vcc_lo, s3
	s_wait_alu 0xfffe
	s_and_not1_b32 exec_lo, exec_lo, s3
	s_cbranch_execz .LBB103_47
.LBB103_33:                             ; =>This Inner Loop Header: Depth=1
	global_load_b32 v7, v[5:6], off
	ds_load_2addr_b64 v[1:4], v25 offset1:1
	ds_load_2addr_b64 v[26:29], v25 offset0:2 offset1:3
	v_add_nc_u32_e32 v30, -7, v20
	v_add_nc_u32_e32 v32, -6, v20
	;; [unrolled: 1-line block ×3, first 2 shown]
	s_wait_dscnt 0x1
	;;#ASMSTART
	v_cvt_f16_f32 v34, v1;

	;;#ASMEND
	;;#ASMSTART
	v_cvt_f16_f32 v33, v2;

	;;#ASMEND
	;; [unrolled: 4-line block ×4, first 2 shown]
	s_wait_dscnt 0x0
	;;#ASMSTART
	v_cvt_f16_f32 v40, v26;

	;;#ASMEND
	;;#ASMSTART
	v_cvt_f16_f32 v35, v27;

	;;#ASMEND
	;; [unrolled: 4-line block ×4, first 2 shown]
	v_add_nc_u32_e32 v28, -4, v20
	v_add_nc_u32_e32 v27, -3, v20
	;; [unrolled: 1-line block ×4, first 2 shown]
	s_wait_loadcnt 0x0
	s_wait_alu 0xfffe
	v_mad_co_i64_i32 v[7:8], null, v7, s2, 0
	s_delay_alu instid0(VALU_DEP_1) | instskip(NEXT) | instid1(VALU_DEP_1)
	v_lshlrev_b64_e32 v[7:8], 1, v[7:8]
	v_add_co_u32 v7, vcc_lo, v18, v7
	s_wait_alu 0xfffd
	s_delay_alu instid0(VALU_DEP_2)
	v_add_co_ci_u32_e64 v8, null, v19, v8, vcc_lo
	v_cmp_eq_u32_e32 vcc_lo, s27, v24
	global_load_b128 v[1:4], v[7:8], off
	s_wait_loadcnt 0x0
	v_lshrrev_b32_e32 v43, 16, v1
	v_lshrrev_b32_e32 v42, 16, v2
	;; [unrolled: 1-line block ×3, first 2 shown]
	s_and_saveexec_b32 s4, vcc_lo
	s_cbranch_execz .LBB103_35
; %bb.34:                               ;   in Loop: Header=BB103_33 Depth=1
	v_cmp_gt_i32_e64 s0, s25, v30
	v_and_b32_e32 v44, 0xffff, v4
	v_and_b32_e32 v4, 0xffff0000, v4
	s_wait_alu 0xf1ff
	s_delay_alu instid0(VALU_DEP_3) | instskip(SKIP_2) | instid1(VALU_DEP_1)
	v_cndmask_b32_e64 v1, 0, v1, s0
	v_cmp_gt_i32_e64 s0, s25, v32
	s_wait_alu 0xf1ff
	v_cndmask_b32_e64 v43, 0, v43, s0
	v_cmp_gt_i32_e64 s0, s25, v31
	s_wait_alu 0xf1ff
	s_delay_alu instid0(VALU_DEP_1) | instskip(SKIP_2) | instid1(VALU_DEP_1)
	v_cndmask_b32_e64 v2, 0, v2, s0
	v_cmp_gt_i32_e64 s0, s25, v28
	s_wait_alu 0xf1ff
	v_cndmask_b32_e64 v42, 0, v42, s0
	v_cmp_gt_i32_e64 s0, s25, v29
	s_wait_alu 0xf1ff
	s_delay_alu instid0(VALU_DEP_1) | instskip(SKIP_2) | instid1(VALU_DEP_1)
	v_cndmask_b32_e64 v44, 0, v44, s0
	v_cmp_gt_i32_e64 s0, s25, v20
	s_wait_alu 0xf1ff
	v_cndmask_b32_e64 v4, 0, v4, s0
	v_cmp_gt_i32_e64 s0, s25, v27
	s_delay_alu instid0(VALU_DEP_2) | instskip(SKIP_1) | instid1(VALU_DEP_2)
	v_or_b32_e32 v4, v44, v4
	s_wait_alu 0xf1ff
	v_cndmask_b32_e64 v3, 0, v3, s0
	v_cmp_gt_i32_e64 s0, s25, v26
	s_wait_alu 0xf1ff
	s_delay_alu instid0(VALU_DEP_1)
	v_cndmask_b32_e64 v41, 0, v41, s0
.LBB103_35:                             ;   in Loop: Header=BB103_33 Depth=1
	s_wait_alu 0xfffe
	s_or_b32 exec_lo, exec_lo, s4
	v_and_b32_e32 v34, 0xffff, v34
	v_and_b32_e32 v39, 0xffff, v39
	v_lshlrev_b32_e32 v43, 16, v43
	v_and_b32_e32 v40, 0xffff, v40
	v_and_b32_e32 v38, 0xffff, v38
	v_lshl_or_b32 v34, v33, 16, v34
	v_lshl_or_b32 v33, v37, 16, v39
	v_lshlrev_b32_e32 v37, 16, v42
	v_lshlrev_b32_e32 v39, 16, v41
	v_and_or_b32 v1, 0xffff, v1, v43
	;;#ASMSTART
	v_pk_mul_f16 v1, v34, v1;

	;;#ASMEND
	v_lshl_or_b32 v35, v35, 16, v40
	v_and_or_b32 v2, 0xffff, v2, v37
	v_and_or_b32 v3, 0xffff, v3, v39
	v_lshl_or_b32 v36, v36, 16, v38
	;;#ASMSTART
	v_pk_mul_f16 v2, v33, v2;

	;;#ASMEND
	;;#ASMSTART
	v_pk_mul_f16 v3, v35, v3;

	;;#ASMEND
	;; [unrolled: 4-line block ×3, first 2 shown]
	;;#ASMSTART
	v_pk_add_f16 v1, v1, v2;

	;;#ASMEND
	;;#ASMSTART
	v_pk_add_f16 v1, v1, v3;

	;;#ASMEND
	;;#ASMSTART
	v_pk_add_f16 v1, v1, v4;

	;;#ASMEND
	v_and_b32_e32 v2, 0xffff, v1
	v_lshrrev_b32_e32 v1, 16, v1
	;;#ASMSTART
	v_cvt_f32_f16 v37, v2;
	;;#ASMEND
	;;#ASMSTART
	v_cvt_f32_f16 v38, v1;
	;;#ASMEND
	global_load_b128 v[1:4], v[7:8], off offset:512
	s_wait_loadcnt 0x0
	v_lshrrev_b32_e32 v41, 16, v1
	v_lshrrev_b32_e32 v40, 16, v2
	v_lshrrev_b32_e32 v39, 16, v3
	s_and_saveexec_b32 s4, vcc_lo
	s_cbranch_execz .LBB103_37
; %bb.36:                               ;   in Loop: Header=BB103_33 Depth=1
	v_cmp_gt_i32_e64 s0, s25, v30
	v_and_b32_e32 v42, 0xffff, v4
	v_and_b32_e32 v4, 0xffff0000, v4
	s_wait_alu 0xf1ff
	s_delay_alu instid0(VALU_DEP_3) | instskip(SKIP_2) | instid1(VALU_DEP_1)
	v_cndmask_b32_e64 v1, 0, v1, s0
	v_cmp_gt_i32_e64 s0, s25, v32
	s_wait_alu 0xf1ff
	v_cndmask_b32_e64 v41, 0, v41, s0
	v_cmp_gt_i32_e64 s0, s25, v31
	s_wait_alu 0xf1ff
	s_delay_alu instid0(VALU_DEP_1) | instskip(SKIP_2) | instid1(VALU_DEP_1)
	v_cndmask_b32_e64 v2, 0, v2, s0
	v_cmp_gt_i32_e64 s0, s25, v28
	s_wait_alu 0xf1ff
	v_cndmask_b32_e64 v40, 0, v40, s0
	v_cmp_gt_i32_e64 s0, s25, v29
	s_wait_alu 0xf1ff
	s_delay_alu instid0(VALU_DEP_1) | instskip(SKIP_2) | instid1(VALU_DEP_1)
	v_cndmask_b32_e64 v42, 0, v42, s0
	v_cmp_gt_i32_e64 s0, s25, v20
	s_wait_alu 0xf1ff
	v_cndmask_b32_e64 v4, 0, v4, s0
	v_cmp_gt_i32_e64 s0, s25, v27
	s_delay_alu instid0(VALU_DEP_2) | instskip(SKIP_1) | instid1(VALU_DEP_2)
	v_or_b32_e32 v4, v42, v4
	s_wait_alu 0xf1ff
	v_cndmask_b32_e64 v3, 0, v3, s0
	v_cmp_gt_i32_e64 s0, s25, v26
	s_wait_alu 0xf1ff
	s_delay_alu instid0(VALU_DEP_1)
	v_cndmask_b32_e64 v39, 0, v39, s0
.LBB103_37:                             ;   in Loop: Header=BB103_33 Depth=1
	s_wait_alu 0xfffe
	s_or_b32 exec_lo, exec_lo, s4
	v_lshlrev_b32_e32 v41, 16, v41
	v_lshlrev_b32_e32 v40, 16, v40
	;; [unrolled: 1-line block ×3, first 2 shown]
	s_delay_alu instid0(VALU_DEP_3) | instskip(NEXT) | instid1(VALU_DEP_3)
	v_and_or_b32 v1, 0xffff, v1, v41
	v_and_or_b32 v2, 0xffff, v2, v40
	s_delay_alu instid0(VALU_DEP_3)
	v_and_or_b32 v3, 0xffff, v3, v39
	;;#ASMSTART
	v_pk_mul_f16 v1, v34, v1;

	;;#ASMEND
	;;#ASMSTART
	v_pk_mul_f16 v2, v33, v2;

	;;#ASMEND
	;; [unrolled: 4-line block ×4, first 2 shown]
	;;#ASMSTART
	v_pk_add_f16 v1, v1, v2;

	;;#ASMEND
	;;#ASMSTART
	v_pk_add_f16 v1, v1, v3;

	;;#ASMEND
	;; [unrolled: 4-line block ×3, first 2 shown]
	v_and_b32_e32 v2, 0xffff, v1
	v_lshrrev_b32_e32 v1, 16, v1
	;;#ASMSTART
	v_cvt_f32_f16 v39, v2;
	;;#ASMEND
	;;#ASMSTART
	v_cvt_f32_f16 v40, v1;
	;;#ASMEND
	global_load_b128 v[1:4], v[7:8], off offset:1024
	s_wait_loadcnt 0x0
	v_lshrrev_b32_e32 v43, 16, v1
	v_lshrrev_b32_e32 v42, 16, v2
	;; [unrolled: 1-line block ×3, first 2 shown]
	s_and_saveexec_b32 s4, vcc_lo
	s_cbranch_execz .LBB103_39
; %bb.38:                               ;   in Loop: Header=BB103_33 Depth=1
	v_cmp_gt_i32_e64 s0, s25, v30
	v_and_b32_e32 v44, 0xffff, v4
	v_and_b32_e32 v4, 0xffff0000, v4
	s_wait_alu 0xf1ff
	s_delay_alu instid0(VALU_DEP_3) | instskip(SKIP_2) | instid1(VALU_DEP_1)
	v_cndmask_b32_e64 v1, 0, v1, s0
	v_cmp_gt_i32_e64 s0, s25, v32
	s_wait_alu 0xf1ff
	v_cndmask_b32_e64 v43, 0, v43, s0
	v_cmp_gt_i32_e64 s0, s25, v31
	s_wait_alu 0xf1ff
	s_delay_alu instid0(VALU_DEP_1) | instskip(SKIP_2) | instid1(VALU_DEP_1)
	v_cndmask_b32_e64 v2, 0, v2, s0
	v_cmp_gt_i32_e64 s0, s25, v28
	s_wait_alu 0xf1ff
	v_cndmask_b32_e64 v42, 0, v42, s0
	v_cmp_gt_i32_e64 s0, s25, v29
	s_wait_alu 0xf1ff
	s_delay_alu instid0(VALU_DEP_1) | instskip(SKIP_2) | instid1(VALU_DEP_1)
	v_cndmask_b32_e64 v44, 0, v44, s0
	v_cmp_gt_i32_e64 s0, s25, v20
	s_wait_alu 0xf1ff
	v_cndmask_b32_e64 v4, 0, v4, s0
	v_cmp_gt_i32_e64 s0, s25, v27
	s_delay_alu instid0(VALU_DEP_2) | instskip(SKIP_1) | instid1(VALU_DEP_2)
	v_or_b32_e32 v4, v44, v4
	s_wait_alu 0xf1ff
	v_cndmask_b32_e64 v3, 0, v3, s0
	v_cmp_gt_i32_e64 s0, s25, v26
	s_wait_alu 0xf1ff
	s_delay_alu instid0(VALU_DEP_1)
	v_cndmask_b32_e64 v41, 0, v41, s0
.LBB103_39:                             ;   in Loop: Header=BB103_33 Depth=1
	s_wait_alu 0xfffe
	s_or_b32 exec_lo, exec_lo, s4
	v_lshlrev_b32_e32 v43, 16, v43
	v_lshlrev_b32_e32 v42, 16, v42
	;; [unrolled: 1-line block ×3, first 2 shown]
	s_delay_alu instid0(VALU_DEP_3) | instskip(NEXT) | instid1(VALU_DEP_3)
	v_and_or_b32 v1, 0xffff, v1, v43
	v_and_or_b32 v2, 0xffff, v2, v42
	s_delay_alu instid0(VALU_DEP_3)
	v_and_or_b32 v3, 0xffff, v3, v41
	;;#ASMSTART
	v_pk_mul_f16 v1, v34, v1;

	;;#ASMEND
	;;#ASMSTART
	v_pk_mul_f16 v2, v33, v2;

	;;#ASMEND
	;; [unrolled: 4-line block ×4, first 2 shown]
	;;#ASMSTART
	v_pk_add_f16 v1, v1, v2;

	;;#ASMEND
	;;#ASMSTART
	v_pk_add_f16 v1, v1, v3;

	;;#ASMEND
	;; [unrolled: 4-line block ×3, first 2 shown]
	v_and_b32_e32 v2, 0xffff, v1
	v_lshrrev_b32_e32 v1, 16, v1
	;;#ASMSTART
	v_cvt_f32_f16 v41, v2;
	;;#ASMEND
	;;#ASMSTART
	v_cvt_f32_f16 v42, v1;
	;;#ASMEND
	global_load_b128 v[1:4], v[7:8], off offset:1536
	s_wait_loadcnt 0x0
	v_lshrrev_b32_e32 v45, 16, v1
	v_lshrrev_b32_e32 v44, 16, v2
	v_lshrrev_b32_e32 v43, 16, v3
	s_and_saveexec_b32 s4, vcc_lo
	s_cbranch_execz .LBB103_41
; %bb.40:                               ;   in Loop: Header=BB103_33 Depth=1
	v_cmp_gt_i32_e64 s0, s25, v30
	v_and_b32_e32 v46, 0xffff, v4
	v_and_b32_e32 v4, 0xffff0000, v4
	s_wait_alu 0xf1ff
	s_delay_alu instid0(VALU_DEP_3) | instskip(SKIP_2) | instid1(VALU_DEP_1)
	v_cndmask_b32_e64 v1, 0, v1, s0
	v_cmp_gt_i32_e64 s0, s25, v32
	s_wait_alu 0xf1ff
	v_cndmask_b32_e64 v45, 0, v45, s0
	v_cmp_gt_i32_e64 s0, s25, v31
	s_wait_alu 0xf1ff
	s_delay_alu instid0(VALU_DEP_1) | instskip(SKIP_2) | instid1(VALU_DEP_1)
	v_cndmask_b32_e64 v2, 0, v2, s0
	v_cmp_gt_i32_e64 s0, s25, v28
	s_wait_alu 0xf1ff
	v_cndmask_b32_e64 v44, 0, v44, s0
	v_cmp_gt_i32_e64 s0, s25, v29
	s_wait_alu 0xf1ff
	s_delay_alu instid0(VALU_DEP_1) | instskip(SKIP_2) | instid1(VALU_DEP_1)
	v_cndmask_b32_e64 v46, 0, v46, s0
	v_cmp_gt_i32_e64 s0, s25, v20
	s_wait_alu 0xf1ff
	v_cndmask_b32_e64 v4, 0, v4, s0
	v_cmp_gt_i32_e64 s0, s25, v27
	s_delay_alu instid0(VALU_DEP_2) | instskip(SKIP_1) | instid1(VALU_DEP_2)
	v_or_b32_e32 v4, v46, v4
	s_wait_alu 0xf1ff
	v_cndmask_b32_e64 v3, 0, v3, s0
	v_cmp_gt_i32_e64 s0, s25, v26
	s_wait_alu 0xf1ff
	s_delay_alu instid0(VALU_DEP_1)
	v_cndmask_b32_e64 v43, 0, v43, s0
.LBB103_41:                             ;   in Loop: Header=BB103_33 Depth=1
	s_wait_alu 0xfffe
	s_or_b32 exec_lo, exec_lo, s4
	v_lshlrev_b32_e32 v45, 16, v45
	v_lshlrev_b32_e32 v44, 16, v44
	;; [unrolled: 1-line block ×3, first 2 shown]
	s_delay_alu instid0(VALU_DEP_3) | instskip(NEXT) | instid1(VALU_DEP_3)
	v_and_or_b32 v1, 0xffff, v1, v45
	v_and_or_b32 v2, 0xffff, v2, v44
	s_delay_alu instid0(VALU_DEP_3)
	v_and_or_b32 v3, 0xffff, v3, v43
	;;#ASMSTART
	v_pk_mul_f16 v1, v34, v1;

	;;#ASMEND
	;;#ASMSTART
	v_pk_mul_f16 v2, v33, v2;

	;;#ASMEND
	;; [unrolled: 4-line block ×4, first 2 shown]
	;;#ASMSTART
	v_pk_add_f16 v1, v1, v2;

	;;#ASMEND
	;;#ASMSTART
	v_pk_add_f16 v1, v1, v3;

	;;#ASMEND
	;; [unrolled: 4-line block ×3, first 2 shown]
	v_and_b32_e32 v2, 0xffff, v1
	v_lshrrev_b32_e32 v1, 16, v1
	;;#ASMSTART
	v_cvt_f32_f16 v43, v2;
	;;#ASMEND
	;;#ASMSTART
	v_cvt_f32_f16 v44, v1;
	;;#ASMEND
	global_load_b128 v[1:4], v[7:8], off offset:2048
	s_wait_loadcnt 0x0
	v_lshrrev_b32_e32 v47, 16, v1
	v_lshrrev_b32_e32 v46, 16, v2
	;; [unrolled: 1-line block ×3, first 2 shown]
	s_and_saveexec_b32 s4, vcc_lo
	s_cbranch_execz .LBB103_43
; %bb.42:                               ;   in Loop: Header=BB103_33 Depth=1
	v_cmp_gt_i32_e64 s0, s25, v30
	v_and_b32_e32 v48, 0xffff, v4
	v_and_b32_e32 v4, 0xffff0000, v4
	s_wait_alu 0xf1ff
	s_delay_alu instid0(VALU_DEP_3) | instskip(SKIP_2) | instid1(VALU_DEP_1)
	v_cndmask_b32_e64 v1, 0, v1, s0
	v_cmp_gt_i32_e64 s0, s25, v32
	s_wait_alu 0xf1ff
	v_cndmask_b32_e64 v47, 0, v47, s0
	v_cmp_gt_i32_e64 s0, s25, v31
	s_wait_alu 0xf1ff
	s_delay_alu instid0(VALU_DEP_1) | instskip(SKIP_2) | instid1(VALU_DEP_1)
	v_cndmask_b32_e64 v2, 0, v2, s0
	v_cmp_gt_i32_e64 s0, s25, v28
	s_wait_alu 0xf1ff
	v_cndmask_b32_e64 v46, 0, v46, s0
	v_cmp_gt_i32_e64 s0, s25, v29
	s_wait_alu 0xf1ff
	s_delay_alu instid0(VALU_DEP_1) | instskip(SKIP_2) | instid1(VALU_DEP_1)
	v_cndmask_b32_e64 v48, 0, v48, s0
	v_cmp_gt_i32_e64 s0, s25, v20
	s_wait_alu 0xf1ff
	v_cndmask_b32_e64 v4, 0, v4, s0
	v_cmp_gt_i32_e64 s0, s25, v27
	s_delay_alu instid0(VALU_DEP_2) | instskip(SKIP_1) | instid1(VALU_DEP_2)
	v_or_b32_e32 v4, v48, v4
	s_wait_alu 0xf1ff
	v_cndmask_b32_e64 v3, 0, v3, s0
	v_cmp_gt_i32_e64 s0, s25, v26
	s_wait_alu 0xf1ff
	s_delay_alu instid0(VALU_DEP_1)
	v_cndmask_b32_e64 v45, 0, v45, s0
.LBB103_43:                             ;   in Loop: Header=BB103_33 Depth=1
	s_wait_alu 0xfffe
	s_or_b32 exec_lo, exec_lo, s4
	v_lshlrev_b32_e32 v47, 16, v47
	v_lshlrev_b32_e32 v46, 16, v46
	;; [unrolled: 1-line block ×3, first 2 shown]
	s_delay_alu instid0(VALU_DEP_3) | instskip(NEXT) | instid1(VALU_DEP_3)
	v_and_or_b32 v1, 0xffff, v1, v47
	v_and_or_b32 v2, 0xffff, v2, v46
	s_delay_alu instid0(VALU_DEP_3)
	v_and_or_b32 v3, 0xffff, v3, v45
	;;#ASMSTART
	v_pk_mul_f16 v1, v34, v1;

	;;#ASMEND
	;;#ASMSTART
	v_pk_mul_f16 v2, v33, v2;

	;;#ASMEND
	;; [unrolled: 4-line block ×4, first 2 shown]
	;;#ASMSTART
	v_pk_add_f16 v1, v1, v2;

	;;#ASMEND
	;;#ASMSTART
	v_pk_add_f16 v1, v1, v3;

	;;#ASMEND
	;;#ASMSTART
	v_pk_add_f16 v1, v1, v4;

	;;#ASMEND
	v_and_b32_e32 v2, 0xffff, v1
	v_lshrrev_b32_e32 v1, 16, v1
	;;#ASMSTART
	v_cvt_f32_f16 v45, v2;
	;;#ASMEND
	;;#ASMSTART
	v_cvt_f32_f16 v46, v1;
	;;#ASMEND
	global_load_b128 v[1:4], v[7:8], off offset:2560
	s_wait_loadcnt 0x0
	v_lshrrev_b32_e32 v49, 16, v1
	v_lshrrev_b32_e32 v48, 16, v2
	;; [unrolled: 1-line block ×3, first 2 shown]
	s_and_saveexec_b32 s4, vcc_lo
	s_cbranch_execz .LBB103_45
; %bb.44:                               ;   in Loop: Header=BB103_33 Depth=1
	v_cmp_gt_i32_e64 s0, s25, v30
	v_and_b32_e32 v50, 0xffff, v4
	v_and_b32_e32 v4, 0xffff0000, v4
	s_wait_alu 0xf1ff
	s_delay_alu instid0(VALU_DEP_3) | instskip(SKIP_2) | instid1(VALU_DEP_1)
	v_cndmask_b32_e64 v1, 0, v1, s0
	v_cmp_gt_i32_e64 s0, s25, v32
	s_wait_alu 0xf1ff
	v_cndmask_b32_e64 v49, 0, v49, s0
	v_cmp_gt_i32_e64 s0, s25, v31
	s_wait_alu 0xf1ff
	s_delay_alu instid0(VALU_DEP_1) | instskip(SKIP_2) | instid1(VALU_DEP_1)
	v_cndmask_b32_e64 v2, 0, v2, s0
	v_cmp_gt_i32_e64 s0, s25, v28
	s_wait_alu 0xf1ff
	v_cndmask_b32_e64 v48, 0, v48, s0
	v_cmp_gt_i32_e64 s0, s25, v29
	s_wait_alu 0xf1ff
	s_delay_alu instid0(VALU_DEP_1) | instskip(SKIP_2) | instid1(VALU_DEP_1)
	v_cndmask_b32_e64 v50, 0, v50, s0
	v_cmp_gt_i32_e64 s0, s25, v20
	s_wait_alu 0xf1ff
	v_cndmask_b32_e64 v4, 0, v4, s0
	v_cmp_gt_i32_e64 s0, s25, v27
	s_delay_alu instid0(VALU_DEP_2) | instskip(SKIP_1) | instid1(VALU_DEP_2)
	v_or_b32_e32 v4, v50, v4
	s_wait_alu 0xf1ff
	v_cndmask_b32_e64 v3, 0, v3, s0
	v_cmp_gt_i32_e64 s0, s25, v26
	s_wait_alu 0xf1ff
	s_delay_alu instid0(VALU_DEP_1)
	v_cndmask_b32_e64 v47, 0, v47, s0
.LBB103_45:                             ;   in Loop: Header=BB103_33 Depth=1
	s_wait_alu 0xfffe
	s_or_b32 exec_lo, exec_lo, s4
	v_lshlrev_b32_e32 v49, 16, v49
	v_lshlrev_b32_e32 v48, 16, v48
	;; [unrolled: 1-line block ×3, first 2 shown]
	s_delay_alu instid0(VALU_DEP_3) | instskip(NEXT) | instid1(VALU_DEP_3)
	v_and_or_b32 v1, 0xffff, v1, v49
	v_and_or_b32 v2, 0xffff, v2, v48
	s_delay_alu instid0(VALU_DEP_3)
	v_and_or_b32 v3, 0xffff, v3, v47
	;;#ASMSTART
	v_pk_mul_f16 v1, v34, v1;

	;;#ASMEND
	;;#ASMSTART
	v_pk_mul_f16 v2, v33, v2;

	;;#ASMEND
	;; [unrolled: 4-line block ×4, first 2 shown]
	;;#ASMSTART
	v_pk_add_f16 v1, v1, v2;

	;;#ASMEND
	;;#ASMSTART
	v_pk_add_f16 v1, v1, v3;

	;;#ASMEND
	;; [unrolled: 4-line block ×3, first 2 shown]
	v_and_b32_e32 v2, 0xffff, v1
	v_lshrrev_b32_e32 v1, 16, v1
	;;#ASMSTART
	v_cvt_f32_f16 v48, v2;
	;;#ASMEND
	;;#ASMSTART
	v_cvt_f32_f16 v49, v1;
	;;#ASMEND
	global_load_b128 v[1:4], v[7:8], off offset:3072
	s_wait_loadcnt 0x0
	v_lshrrev_b32_e32 v47, 16, v1
	v_lshrrev_b32_e32 v8, 16, v2
	;; [unrolled: 1-line block ×3, first 2 shown]
	s_and_saveexec_b32 s0, vcc_lo
	s_cbranch_execz .LBB103_32
; %bb.46:                               ;   in Loop: Header=BB103_33 Depth=1
	v_cmp_gt_i32_e32 vcc_lo, s25, v30
	v_and_b32_e32 v30, 0xffff, v4
	s_wait_alu 0xfffd
	v_dual_cndmask_b32 v1, 0, v1 :: v_dual_and_b32 v4, 0xffff0000, v4
	v_cmp_gt_i32_e32 vcc_lo, s25, v32
	s_wait_alu 0xfffd
	v_cndmask_b32_e32 v47, 0, v47, vcc_lo
	v_cmp_gt_i32_e32 vcc_lo, s25, v31
	s_wait_alu 0xfffd
	v_cndmask_b32_e32 v2, 0, v2, vcc_lo
	;; [unrolled: 3-line block ×5, first 2 shown]
	v_cmp_gt_i32_e32 vcc_lo, s25, v27
	s_delay_alu instid0(VALU_DEP_2)
	v_or_b32_e32 v4, v28, v4
	s_wait_alu 0xfffd
	v_cndmask_b32_e32 v3, 0, v3, vcc_lo
	v_cmp_gt_i32_e32 vcc_lo, s25, v26
	s_wait_alu 0xfffd
	v_cndmask_b32_e32 v7, 0, v7, vcc_lo
	s_branch .LBB103_32
.LBB103_47:
	s_or_b32 exec_lo, exec_lo, s3
.LBB103_48:
	s_wait_alu 0xfffe
	s_or_b32 exec_lo, exec_lo, s1
	ds_bpermute_b32 v1, v10, v16
	ds_bpermute_b32 v2, v10, v17
	;; [unrolled: 1-line block ×7, first 2 shown]
	v_lshrrev_b32_e32 v8, 1, v9
	v_mul_u32_u24_e32 v10, 0x1c0, v23
	v_and_b32_e32 v23, 0x3c1, v0
	s_mov_b32 s0, exec_lo
	s_wait_storecnt 0x0
	s_wait_loadcnt_dscnt 0x0
	v_lshl_add_u32 v9, v8, 2, 0x100
	s_barrier_signal -1
	s_barrier_wait -1
	global_inv scope:SCOPE_SE
	v_dual_add_f32 v7, v16, v1 :: v_dual_add_f32 v6, v17, v2
	v_dual_add_f32 v5, v15, v3 :: v_dual_add_f32 v4, v14, v4
	;; [unrolled: 1-line block ×3, first 2 shown]
	v_add_f32_e32 v1, v11, v20
	v_cmpx_eq_u32_e32 64, v23
	s_cbranch_execz .LBB103_50
; %bb.49:
	v_add_nc_u32_e32 v11, v9, v10
	s_delay_alu instid0(VALU_DEP_1)
	v_add_nc_u32_e32 v12, 0xfffffc80, v11
	v_add_nc_u32_e32 v13, 0xfffffcc0, v11
	;; [unrolled: 1-line block ×7, first 2 shown]
	ds_store_b32 v12, v7
	ds_store_b32 v13, v6
	;; [unrolled: 1-line block ×7, first 2 shown]
.LBB103_50:
	s_wait_alu 0xfffe
	s_or_b32 exec_lo, exec_lo, s0
	v_lshlrev_b32_e32 v8, 2, v8
	s_mov_b32 s1, exec_lo
	v_cmp_eq_u32_e32 vcc_lo, 0, v22
	s_wait_loadcnt_dscnt 0x0
	s_barrier_signal -1
	v_add3_u32 v8, 0x100, v10, v8
	s_barrier_wait -1
	global_inv scope:SCOPE_SE
	v_cmpx_gt_u32_e32 64, v0
	s_cbranch_execz .LBB103_60
; %bb.51:
	s_and_saveexec_b32 s0, vcc_lo
	s_cbranch_execnz .LBB103_75
; %bb.52:
	s_wait_alu 0xfffe
	s_or_b32 exec_lo, exec_lo, s0
	s_and_saveexec_b32 s0, vcc_lo
	s_cbranch_execnz .LBB103_76
.LBB103_53:
	s_wait_alu 0xfffe
	s_or_b32 exec_lo, exec_lo, s0
	s_and_saveexec_b32 s0, vcc_lo
	s_cbranch_execnz .LBB103_77
.LBB103_54:
	s_wait_alu 0xfffe
	s_or_b32 exec_lo, exec_lo, s0
	s_and_saveexec_b32 s0, vcc_lo
	s_cbranch_execnz .LBB103_78
.LBB103_55:
	s_wait_alu 0xfffe
	s_or_b32 exec_lo, exec_lo, s0
	s_and_saveexec_b32 s0, vcc_lo
	s_cbranch_execnz .LBB103_79
.LBB103_56:
	s_wait_alu 0xfffe
	s_or_b32 exec_lo, exec_lo, s0
	s_and_saveexec_b32 s0, vcc_lo
	s_cbranch_execnz .LBB103_80
.LBB103_57:
	s_wait_alu 0xfffe
	s_or_b32 exec_lo, exec_lo, s0
	s_and_saveexec_b32 s0, vcc_lo
	s_cbranch_execz .LBB103_59
.LBB103_58:
	ds_load_b32 v10, v8 offset:384
	s_wait_dscnt 0x0
	v_add_f32_e32 v1, v1, v10
.LBB103_59:
	s_wait_alu 0xfffe
	s_or_b32 exec_lo, exec_lo, s0
.LBB103_60:
	s_wait_alu 0xfffe
	s_or_b32 exec_lo, exec_lo, s1
	v_and_b32_e32 v10, 0x3e1, v0
	s_mov_b32 s1, exec_lo
	s_wait_loadcnt 0x0
	s_barrier_signal -1
	s_barrier_wait -1
	global_inv scope:SCOPE_SE
	v_cmpx_eq_u32_e32 32, v10
	s_cbranch_execz .LBB103_62
; %bb.61:
	ds_store_2addr_b32 v9, v7, v6 offset1:16
	ds_store_2addr_b32 v9, v5, v4 offset0:32 offset1:48
	ds_store_2addr_b32 v9, v3, v2 offset0:64 offset1:80
	ds_store_b32 v9, v1 offset:384
.LBB103_62:
	s_wait_alu 0xfffe
	s_or_b32 exec_lo, exec_lo, s1
	s_delay_alu instid0(SALU_CYCLE_1)
	s_mov_b32 s1, exec_lo
	s_wait_loadcnt_dscnt 0x0
	s_barrier_signal -1
	s_barrier_wait -1
	global_inv scope:SCOPE_SE
	v_cmpx_gt_u32_e32 32, v0
	s_cbranch_execz .LBB103_72
; %bb.63:
	s_and_saveexec_b32 s0, vcc_lo
	s_cbranch_execnz .LBB103_81
; %bb.64:
	s_wait_alu 0xfffe
	s_or_b32 exec_lo, exec_lo, s0
	s_and_saveexec_b32 s0, vcc_lo
	s_cbranch_execnz .LBB103_82
.LBB103_65:
	s_wait_alu 0xfffe
	s_or_b32 exec_lo, exec_lo, s0
	s_and_saveexec_b32 s0, vcc_lo
	s_cbranch_execnz .LBB103_83
.LBB103_66:
	s_wait_alu 0xfffe
	s_or_b32 exec_lo, exec_lo, s0
	s_and_saveexec_b32 s0, vcc_lo
	s_cbranch_execnz .LBB103_84
.LBB103_67:
	s_wait_alu 0xfffe
	s_or_b32 exec_lo, exec_lo, s0
	s_and_saveexec_b32 s0, vcc_lo
	s_cbranch_execnz .LBB103_85
.LBB103_68:
	s_wait_alu 0xfffe
	s_or_b32 exec_lo, exec_lo, s0
	s_and_saveexec_b32 s0, vcc_lo
	s_cbranch_execnz .LBB103_86
.LBB103_69:
	s_wait_alu 0xfffe
	s_or_b32 exec_lo, exec_lo, s0
	s_and_saveexec_b32 s0, vcc_lo
	s_cbranch_execz .LBB103_71
.LBB103_70:
	ds_load_b32 v0, v8 offset:384
	s_wait_dscnt 0x0
	v_add_f32_e32 v1, v1, v0
.LBB103_71:
	s_wait_alu 0xfffe
	s_or_b32 exec_lo, exec_lo, s0
.LBB103_72:
	s_wait_alu 0xfffe
	s_or_b32 exec_lo, exec_lo, s1
	s_mov_b32 s1, 0
	s_wait_loadcnt 0x0
	s_barrier_signal -1
	s_barrier_wait -1
	global_inv scope:SCOPE_SE
	s_mov_b32 s0, exec_lo
	v_cmpx_eq_u32_e32 0, v10
	s_cbranch_execz .LBB103_74
; %bb.73:
	s_mul_i32 s2, s20, 0x70
	s_mul_i32 s4, s8, s12
	s_wait_alu 0xfffe
	s_ashr_i32 s3, s2, 31
	s_ashr_i32 s5, s4, 31
	s_wait_alu 0xfffe
	s_lshl_b64 s[2:3], s[2:3], 1
	s_lshl_b64 s[4:5], s[4:5], 1
	s_wait_alu 0xfffe
	s_add_nc_u64 s[2:3], s[10:11], s[2:3]
	v_lshlrev_b32_e32 v0, 1, v21
	s_mul_i32 s0, s24, 0xe0
	s_wait_alu 0xfffe
	s_add_nc_u64 s[2:3], s[2:3], s[4:5]
	;;#ASMSTART
	v_cvt_f16_f32 v7, v7;

	;;#ASMEND
	s_wait_alu 0xfffe
	s_add_nc_u64 s[0:1], s[2:3], s[0:1]
	global_store_b16 v0, v7, s[0:1]
	;;#ASMSTART
	v_cvt_f16_f32 v6, v6;

	;;#ASMEND
	global_store_b16 v0, v6, s[0:1] offset:32
	;;#ASMSTART
	v_cvt_f16_f32 v5, v5;

	;;#ASMEND
	global_store_b16 v0, v5, s[0:1] offset:64
	;; [unrolled: 5-line block ×6, first 2 shown]
.LBB103_74:
	s_nop 0
	s_sendmsg sendmsg(MSG_DEALLOC_VGPRS)
	s_endpgm
.LBB103_75:
	ds_load_b32 v10, v8
	s_wait_dscnt 0x0
	v_add_f32_e32 v7, v7, v10
	s_wait_alu 0xfffe
	s_or_b32 exec_lo, exec_lo, s0
	s_and_saveexec_b32 s0, vcc_lo
	s_cbranch_execz .LBB103_53
.LBB103_76:
	ds_load_b32 v10, v8 offset:64
	s_wait_dscnt 0x0
	v_add_f32_e32 v6, v6, v10
	s_wait_alu 0xfffe
	s_or_b32 exec_lo, exec_lo, s0
	s_and_saveexec_b32 s0, vcc_lo
	s_cbranch_execz .LBB103_54
.LBB103_77:
	ds_load_b32 v10, v8 offset:128
	s_wait_dscnt 0x0
	v_add_f32_e32 v5, v5, v10
	s_wait_alu 0xfffe
	s_or_b32 exec_lo, exec_lo, s0
	s_and_saveexec_b32 s0, vcc_lo
	s_cbranch_execz .LBB103_55
.LBB103_78:
	ds_load_b32 v10, v8 offset:192
	s_wait_dscnt 0x0
	v_add_f32_e32 v4, v4, v10
	s_wait_alu 0xfffe
	s_or_b32 exec_lo, exec_lo, s0
	s_and_saveexec_b32 s0, vcc_lo
	s_cbranch_execz .LBB103_56
.LBB103_79:
	ds_load_b32 v10, v8 offset:256
	s_wait_dscnt 0x0
	v_add_f32_e32 v3, v3, v10
	s_wait_alu 0xfffe
	s_or_b32 exec_lo, exec_lo, s0
	s_and_saveexec_b32 s0, vcc_lo
	s_cbranch_execz .LBB103_57
.LBB103_80:
	ds_load_b32 v10, v8 offset:320
	s_wait_dscnt 0x0
	v_add_f32_e32 v2, v2, v10
	s_wait_alu 0xfffe
	s_or_b32 exec_lo, exec_lo, s0
	s_and_saveexec_b32 s0, vcc_lo
	s_cbranch_execnz .LBB103_58
	s_branch .LBB103_59
.LBB103_81:
	ds_load_b32 v0, v8
	s_wait_dscnt 0x0
	v_add_f32_e32 v7, v7, v0
	s_wait_alu 0xfffe
	s_or_b32 exec_lo, exec_lo, s0
	s_and_saveexec_b32 s0, vcc_lo
	s_cbranch_execz .LBB103_65
.LBB103_82:
	ds_load_b32 v0, v8 offset:64
	s_wait_dscnt 0x0
	v_add_f32_e32 v6, v6, v0
	s_wait_alu 0xfffe
	s_or_b32 exec_lo, exec_lo, s0
	s_and_saveexec_b32 s0, vcc_lo
	s_cbranch_execz .LBB103_66
.LBB103_83:
	ds_load_b32 v0, v8 offset:128
	s_wait_dscnt 0x0
	v_add_f32_e32 v5, v5, v0
	s_wait_alu 0xfffe
	s_or_b32 exec_lo, exec_lo, s0
	s_and_saveexec_b32 s0, vcc_lo
	s_cbranch_execz .LBB103_67
.LBB103_84:
	ds_load_b32 v0, v8 offset:192
	s_wait_dscnt 0x0
	v_add_f32_e32 v4, v4, v0
	s_wait_alu 0xfffe
	s_or_b32 exec_lo, exec_lo, s0
	s_and_saveexec_b32 s0, vcc_lo
	s_cbranch_execz .LBB103_68
.LBB103_85:
	ds_load_b32 v0, v8 offset:256
	s_wait_dscnt 0x0
	v_add_f32_e32 v3, v3, v0
	s_wait_alu 0xfffe
	s_or_b32 exec_lo, exec_lo, s0
	s_and_saveexec_b32 s0, vcc_lo
	s_cbranch_execz .LBB103_69
.LBB103_86:
	ds_load_b32 v0, v8 offset:320
	s_wait_dscnt 0x0
	v_add_f32_e32 v2, v2, v0
	s_wait_alu 0xfffe
	s_or_b32 exec_lo, exec_lo, s0
	s_and_saveexec_b32 s0, vcc_lo
	s_cbranch_execnz .LBB103_70
	s_branch .LBB103_71
	.section	.rodata,"a",@progbits
	.p2align	6, 0x0
	.amdhsa_kernel _ZN4vllm25paged_attention_v2_kernelIttLi112ELi16ELi128ELNS_18Fp8KVCacheDataTypeE0ELb0ELi512EEEvPfS2_PT_PKS3_PKT0_S9_ifPKiSB_iPKfiiiSD_SD_iiiii
		.amdhsa_group_segment_fixed_size 256
		.amdhsa_private_segment_fixed_size 0
		.amdhsa_kernarg_size 400
		.amdhsa_user_sgpr_count 2
		.amdhsa_user_sgpr_dispatch_ptr 0
		.amdhsa_user_sgpr_queue_ptr 0
		.amdhsa_user_sgpr_kernarg_segment_ptr 1
		.amdhsa_user_sgpr_dispatch_id 0
		.amdhsa_user_sgpr_private_segment_size 0
		.amdhsa_wavefront_size32 1
		.amdhsa_uses_dynamic_stack 0
		.amdhsa_enable_private_segment 0
		.amdhsa_system_sgpr_workgroup_id_x 1
		.amdhsa_system_sgpr_workgroup_id_y 1
		.amdhsa_system_sgpr_workgroup_id_z 1
		.amdhsa_system_sgpr_workgroup_info 0
		.amdhsa_system_vgpr_workitem_id 0
		.amdhsa_next_free_vgpr 118
		.amdhsa_next_free_sgpr 32
		.amdhsa_reserve_vcc 1
		.amdhsa_float_round_mode_32 0
		.amdhsa_float_round_mode_16_64 0
		.amdhsa_float_denorm_mode_32 3
		.amdhsa_float_denorm_mode_16_64 3
		.amdhsa_fp16_overflow 0
		.amdhsa_workgroup_processor_mode 1
		.amdhsa_memory_ordered 1
		.amdhsa_forward_progress 1
		.amdhsa_inst_pref_size 61
		.amdhsa_round_robin_scheduling 0
		.amdhsa_exception_fp_ieee_invalid_op 0
		.amdhsa_exception_fp_denorm_src 0
		.amdhsa_exception_fp_ieee_div_zero 0
		.amdhsa_exception_fp_ieee_overflow 0
		.amdhsa_exception_fp_ieee_underflow 0
		.amdhsa_exception_fp_ieee_inexact 0
		.amdhsa_exception_int_div_zero 0
	.end_amdhsa_kernel
	.section	.text._ZN4vllm25paged_attention_v2_kernelIttLi112ELi16ELi128ELNS_18Fp8KVCacheDataTypeE0ELb0ELi512EEEvPfS2_PT_PKS3_PKT0_S9_ifPKiSB_iPKfiiiSD_SD_iiiii,"axG",@progbits,_ZN4vllm25paged_attention_v2_kernelIttLi112ELi16ELi128ELNS_18Fp8KVCacheDataTypeE0ELb0ELi512EEEvPfS2_PT_PKS3_PKT0_S9_ifPKiSB_iPKfiiiSD_SD_iiiii,comdat
.Lfunc_end103:
	.size	_ZN4vllm25paged_attention_v2_kernelIttLi112ELi16ELi128ELNS_18Fp8KVCacheDataTypeE0ELb0ELi512EEEvPfS2_PT_PKS3_PKT0_S9_ifPKiSB_iPKfiiiSD_SD_iiiii, .Lfunc_end103-_ZN4vllm25paged_attention_v2_kernelIttLi112ELi16ELi128ELNS_18Fp8KVCacheDataTypeE0ELb0ELi512EEEvPfS2_PT_PKS3_PKT0_S9_ifPKiSB_iPKfiiiSD_SD_iiiii
                                        ; -- End function
	.set _ZN4vllm25paged_attention_v2_kernelIttLi112ELi16ELi128ELNS_18Fp8KVCacheDataTypeE0ELb0ELi512EEEvPfS2_PT_PKS3_PKT0_S9_ifPKiSB_iPKfiiiSD_SD_iiiii.num_vgpr, 118
	.set _ZN4vllm25paged_attention_v2_kernelIttLi112ELi16ELi128ELNS_18Fp8KVCacheDataTypeE0ELb0ELi512EEEvPfS2_PT_PKS3_PKT0_S9_ifPKiSB_iPKfiiiSD_SD_iiiii.num_agpr, 0
	.set _ZN4vllm25paged_attention_v2_kernelIttLi112ELi16ELi128ELNS_18Fp8KVCacheDataTypeE0ELb0ELi512EEEvPfS2_PT_PKS3_PKT0_S9_ifPKiSB_iPKfiiiSD_SD_iiiii.numbered_sgpr, 32
	.set _ZN4vllm25paged_attention_v2_kernelIttLi112ELi16ELi128ELNS_18Fp8KVCacheDataTypeE0ELb0ELi512EEEvPfS2_PT_PKS3_PKT0_S9_ifPKiSB_iPKfiiiSD_SD_iiiii.num_named_barrier, 0
	.set _ZN4vllm25paged_attention_v2_kernelIttLi112ELi16ELi128ELNS_18Fp8KVCacheDataTypeE0ELb0ELi512EEEvPfS2_PT_PKS3_PKT0_S9_ifPKiSB_iPKfiiiSD_SD_iiiii.private_seg_size, 0
	.set _ZN4vllm25paged_attention_v2_kernelIttLi112ELi16ELi128ELNS_18Fp8KVCacheDataTypeE0ELb0ELi512EEEvPfS2_PT_PKS3_PKT0_S9_ifPKiSB_iPKfiiiSD_SD_iiiii.uses_vcc, 1
	.set _ZN4vllm25paged_attention_v2_kernelIttLi112ELi16ELi128ELNS_18Fp8KVCacheDataTypeE0ELb0ELi512EEEvPfS2_PT_PKS3_PKT0_S9_ifPKiSB_iPKfiiiSD_SD_iiiii.uses_flat_scratch, 0
	.set _ZN4vllm25paged_attention_v2_kernelIttLi112ELi16ELi128ELNS_18Fp8KVCacheDataTypeE0ELb0ELi512EEEvPfS2_PT_PKS3_PKT0_S9_ifPKiSB_iPKfiiiSD_SD_iiiii.has_dyn_sized_stack, 0
	.set _ZN4vllm25paged_attention_v2_kernelIttLi112ELi16ELi128ELNS_18Fp8KVCacheDataTypeE0ELb0ELi512EEEvPfS2_PT_PKS3_PKT0_S9_ifPKiSB_iPKfiiiSD_SD_iiiii.has_recursion, 0
	.set _ZN4vllm25paged_attention_v2_kernelIttLi112ELi16ELi128ELNS_18Fp8KVCacheDataTypeE0ELb0ELi512EEEvPfS2_PT_PKS3_PKT0_S9_ifPKiSB_iPKfiiiSD_SD_iiiii.has_indirect_call, 0
	.section	.AMDGPU.csdata,"",@progbits
; Kernel info:
; codeLenInByte = 7692
; TotalNumSgprs: 34
; NumVgprs: 118
; ScratchSize: 0
; MemoryBound: 0
; FloatMode: 240
; IeeeMode: 1
; LDSByteSize: 256 bytes/workgroup (compile time only)
; SGPRBlocks: 0
; VGPRBlocks: 14
; NumSGPRsForWavesPerEU: 34
; NumVGPRsForWavesPerEU: 118
; Occupancy: 12
; WaveLimiterHint : 1
; COMPUTE_PGM_RSRC2:SCRATCH_EN: 0
; COMPUTE_PGM_RSRC2:USER_SGPR: 2
; COMPUTE_PGM_RSRC2:TRAP_HANDLER: 0
; COMPUTE_PGM_RSRC2:TGID_X_EN: 1
; COMPUTE_PGM_RSRC2:TGID_Y_EN: 1
; COMPUTE_PGM_RSRC2:TGID_Z_EN: 1
; COMPUTE_PGM_RSRC2:TIDIG_COMP_CNT: 0
	.section	.text._ZN4vllm25paged_attention_v2_kernelIttLi120ELi16ELi128ELNS_18Fp8KVCacheDataTypeE0ELb0ELi512EEEvPfS2_PT_PKS3_PKT0_S9_ifPKiSB_iPKfiiiSD_SD_iiiii,"axG",@progbits,_ZN4vllm25paged_attention_v2_kernelIttLi120ELi16ELi128ELNS_18Fp8KVCacheDataTypeE0ELb0ELi512EEEvPfS2_PT_PKS3_PKT0_S9_ifPKiSB_iPKfiiiSD_SD_iiiii,comdat
	.protected	_ZN4vllm25paged_attention_v2_kernelIttLi120ELi16ELi128ELNS_18Fp8KVCacheDataTypeE0ELb0ELi512EEEvPfS2_PT_PKS3_PKT0_S9_ifPKiSB_iPKfiiiSD_SD_iiiii ; -- Begin function _ZN4vllm25paged_attention_v2_kernelIttLi120ELi16ELi128ELNS_18Fp8KVCacheDataTypeE0ELb0ELi512EEEvPfS2_PT_PKS3_PKT0_S9_ifPKiSB_iPKfiiiSD_SD_iiiii
	.globl	_ZN4vllm25paged_attention_v2_kernelIttLi120ELi16ELi128ELNS_18Fp8KVCacheDataTypeE0ELb0ELi512EEEvPfS2_PT_PKS3_PKT0_S9_ifPKiSB_iPKfiiiSD_SD_iiiii
	.p2align	8
	.type	_ZN4vllm25paged_attention_v2_kernelIttLi120ELi16ELi128ELNS_18Fp8KVCacheDataTypeE0ELb0ELi512EEEvPfS2_PT_PKS3_PKT0_S9_ifPKiSB_iPKfiiiSD_SD_iiiii,@function
_ZN4vllm25paged_attention_v2_kernelIttLi120ELi16ELi128ELNS_18Fp8KVCacheDataTypeE0ELb0ELi512EEEvPfS2_PT_PKS3_PKT0_S9_ifPKiSB_iPKfiiiSD_SD_iiiii: ; @_ZN4vllm25paged_attention_v2_kernelIttLi120ELi16ELi128ELNS_18Fp8KVCacheDataTypeE0ELb0ELi512EEEvPfS2_PT_PKS3_PKT0_S9_ifPKiSB_iPKfiiiSD_SD_iiiii
; %bb.0:
	s_load_b64 s[2:3], s[0:1], 0x40
	s_and_b32 s14, ttmp7, 0xffff
	s_lshr_b32 s24, ttmp7, 16
	s_lshl_b32 s4, s14, 2
	s_lshl_b32 s26, s24, 9
	s_wait_kmcnt 0x0
	s_load_b32 s25, s[2:3], s4 offset:0x0
	s_wait_kmcnt 0x0
	s_cmp_ge_i32 s26, s25
	s_cbranch_scc1 .LBB104_105
; %bb.1:
	s_clause 0x1
	s_load_b32 s15, s[0:1], 0x90
	s_load_b64 s[6:7], s[0:1], 0x30
	s_wait_kmcnt 0x0
	s_abs_i32 s5, s15
	s_abs_i32 s2, s6
	s_delay_alu instid0(SALU_CYCLE_1) | instskip(SKIP_1) | instid1(SALU_CYCLE_2)
	s_cvt_f32_u32 s3, s2
	s_sub_co_i32 s4, 0, s2
	v_rcp_iflag_f32_e32 v1, s3
	s_delay_alu instid0(TRANS32_DEP_1) | instskip(SKIP_2) | instid1(SALU_CYCLE_2)
	v_readfirstlane_b32 s3, v1
	s_mul_f32 s3, s3, 0x4f7ffffe
	s_wait_alu 0xfffe
	s_cvt_u32_f32 s3, s3
	s_wait_alu 0xfffe
	s_delay_alu instid0(SALU_CYCLE_2) | instskip(NEXT) | instid1(SALU_CYCLE_1)
	s_mul_i32 s4, s4, s3
	s_mul_hi_u32 s4, s3, s4
	s_delay_alu instid0(SALU_CYCLE_1)
	s_add_co_i32 s3, s3, s4
	s_xor_b32 s4, s15, s6
	s_wait_alu 0xfffe
	s_mul_hi_u32 s3, s5, s3
	s_ashr_i32 s4, s4, 31
	s_wait_alu 0xfffe
	s_mul_i32 s6, s3, s2
	s_delay_alu instid0(SALU_CYCLE_1)
	s_sub_co_i32 s5, s5, s6
	s_add_co_i32 s6, s3, 1
	s_sub_co_i32 s8, s5, s2
	s_cmp_ge_u32 s5, s2
	s_cselect_b32 s3, s6, s3
	s_cselect_b32 s5, s8, s5
	s_wait_alu 0xfffe
	s_add_co_i32 s6, s3, 1
	s_cmp_ge_u32 s5, s2
	s_load_b64 s[8:9], s[0:1], 0x50
	s_cselect_b32 s2, s6, s3
	s_mov_b32 s3, 0
	s_wait_alu 0xfffe
	s_xor_b32 s2, s2, s4
	s_mov_b32 s6, s3
	s_wait_alu 0xfffe
	s_sub_co_i32 s12, s2, s4
	s_delay_alu instid0(SALU_CYCLE_1) | instskip(NEXT) | instid1(SALU_CYCLE_1)
	s_abs_i32 s11, s12
	s_cvt_f32_u32 s2, s11
	s_wait_alu 0xfffe
	s_delay_alu instid0(SALU_CYCLE_2) | instskip(NEXT) | instid1(TRANS32_DEP_1)
	v_rcp_iflag_f32_e32 v1, s2
	v_readfirstlane_b32 s2, v1
	s_mul_f32 s2, s2, 0x4f7ffffe
	s_wait_alu 0xfffe
	s_delay_alu instid0(SALU_CYCLE_2) | instskip(SKIP_2) | instid1(SALU_CYCLE_1)
	s_cvt_u32_f32 s4, s2
	s_sub_co_i32 s2, 0, s11
	s_wait_alu 0xfffe
	s_mul_i32 s2, s2, s4
	s_wait_alu 0xfffe
	s_mul_hi_u32 s5, s4, s2
	s_abs_i32 s2, ttmp9
	s_add_co_i32 s4, s4, s5
	s_mov_b32 s5, s3
	s_wait_kmcnt 0x0
	s_cmp_eq_u64 s[8:9], 0
	s_cbranch_scc1 .LBB104_3
; %bb.2:
	s_mov_b32 s16, ttmp9
	s_ashr_i32 s17, ttmp9, 31
	s_delay_alu instid0(SALU_CYCLE_1) | instskip(NEXT) | instid1(SALU_CYCLE_1)
	s_lshl_b64 s[16:17], s[16:17], 2
	s_add_nc_u64 s[8:9], s[8:9], s[16:17]
	s_load_b32 s6, s[8:9], 0x0
.LBB104_3:
	s_load_b96 s[8:10], s[0:1], 0x58
	v_lshrrev_b32_e32 v25, 1, v0
	v_and_b32_e32 v26, 1, v0
	v_lshlrev_b32_e32 v29, 3, v0
	s_mul_u64 s[4:5], s[2:3], s[4:5]
	s_ashr_i32 s3, ttmp9, 31
	s_ashr_i32 s4, s12, 31
	s_mul_i32 s12, ttmp9, 0x78
	s_mov_b32 s16, exec_lo
	v_cmpx_gt_u32_e32 30, v0
	s_cbranch_execz .LBB104_5
; %bb.4:
	s_load_b64 s[18:19], s[0:1], 0x18
	s_wait_kmcnt 0x0
	s_mul_i32 s20, s8, s14
	s_ashr_i32 s13, s12, 31
	s_ashr_i32 s21, s20, 31
	v_lshlrev_b32_e32 v3, 3, v25
	s_lshl_b64 s[20:21], s[20:21], 1
	s_delay_alu instid0(VALU_DEP_1) | instskip(SKIP_2) | instid1(SALU_CYCLE_1)
	v_mad_u32_u24 v3, 0x78, v26, v3
	s_add_nc_u64 s[18:19], s[18:19], s[20:21]
	s_lshl_b64 s[20:21], s[12:13], 1
	s_add_nc_u64 s[18:19], s[18:19], s[20:21]
	global_load_b64 v[1:2], v29, s[18:19]
	s_wait_loadcnt 0x0
	ds_store_b64 v3, v[1:2]
.LBB104_5:
	s_or_b32 exec_lo, exec_lo, s16
	s_wait_kmcnt 0x0
	s_add_co_i32 s8, s25, 15
	s_wait_alu 0xfffe
	s_xor_b32 s3, s3, s4
	s_ashr_i32 s13, s8, 31
	s_lshl_b32 s28, s24, 5
	s_lshr_b32 s4, s13, 28
	s_mul_i32 s13, s5, s11
	s_add_co_i32 s8, s8, s4
	s_add_co_i32 s4, s28, 32
	s_ashr_i32 s27, s8, 4
	s_sub_co_i32 s2, s2, s13
	s_min_i32 s13, s4, s27
	s_load_b32 s4, s[0:1], 0x48
	s_add_co_i32 s8, s5, 1
	s_sub_co_i32 s16, s2, s11
	s_cmp_ge_u32 s2, s11
	v_lshrrev_b32_e32 v27, 5, v0
	s_cselect_b32 s5, s8, s5
	s_cselect_b32 s2, s16, s2
	s_add_co_i32 s8, s5, 1
	s_wait_alu 0xfffe
	s_cmp_ge_u32 s2, s11
	v_or_b32_e32 v28, s28, v27
	s_cselect_b32 s2, s8, s5
	v_mbcnt_lo_u32_b32 v31, -1, 0
	s_wait_alu 0xfffe
	s_xor_b32 s2, s2, s3
	s_wait_dscnt 0x0
	s_wait_alu 0xfffe
	s_sub_co_i32 s3, s2, s3
	v_cmp_le_i32_e64 s2, s13, v28
	s_barrier_signal -1
	s_barrier_wait -1
	global_inv scope:SCOPE_SE
                                        ; implicit-def: $vgpr32
                                        ; implicit-def: $vgpr33
	s_wait_kmcnt 0x0
	s_mul_i32 s16, s4, s14
	s_delay_alu instid0(SALU_CYCLE_1) | instskip(SKIP_1) | instid1(SALU_CYCLE_1)
	s_ashr_i32 s17, s16, 31
	s_and_saveexec_b32 s4, s2
	s_xor_b32 s4, exec_lo, s4
; %bb.6:
	v_dual_mov_b32 v32, 0 :: v_dual_mov_b32 v33, 32
	v_mbcnt_lo_u32_b32 v31, -1, 0
; %bb.7:
	s_or_saveexec_b32 s11, s4
	s_clause 0x1
	s_load_b64 s[18:19], s[0:1], 0x38
	s_load_b32 s8, s[0:1], 0x98
	v_mov_b32_e32 v34, 0xff7fffff
	v_lshlrev_b32_e32 v30, 2, v28
	s_mul_i32 s20, s3, s10
	s_xor_b32 exec_lo, exec_lo, s11
	s_cbranch_execz .LBB104_13
; %bb.8:
	s_load_b64 s[4:5], s[0:1], 0x20
	v_bfe_u32 v1, v0, 1, 4
	s_ashr_i32 s21, s20, 31
	v_dual_mov_b32 v32, 0 :: v_dual_lshlrev_b32 v3, 4, v27
	s_lshl_b64 s[22:23], s[20:21], 1
	s_delay_alu instid0(VALU_DEP_2) | instskip(SKIP_4) | instid1(VALU_DEP_3)
	v_dual_mov_b32 v41, v28 :: v_dual_lshlrev_b32 v4, 4, v1
	v_dual_mov_b32 v34, 0xff7fffff :: v_dual_lshlrev_b32 v5, 2, v1
	s_cmp_neq_f32 s6, 0
	v_dual_mov_b32 v33, 32 :: v_dual_and_b32 v2, 8, v29
	v_add3_u32 v36, s26, v3, v1
	v_lshl_or_b32 v1, v27, 6, v5
	s_cselect_b32 s3, -1, 0
	s_lshl_b64 s[30:31], s[16:17], 2
	v_mul_u32_u24_e32 v35, 0x78, v26
	s_wait_kmcnt 0x0
	s_add_nc_u64 s[30:31], s[18:19], s[30:31]
	v_add_nc_u32_e32 v37, 0x110, v1
	s_add_nc_u64 s[4:5], s[4:5], s[22:23]
	v_xor_b32_e32 v40, 1, v31
	v_add_co_u32 v3, s4, s4, v4
	s_wait_alu 0xf1ff
	v_add_co_ci_u32_e64 v4, null, s5, 0, s4
	s_mov_b32 s21, s9
	v_add_co_u32 v38, s4, v3, v2
	s_wait_alu 0xf1ff
	v_add_co_ci_u32_e64 v39, null, 0, v4, s4
	v_add_co_u32 v1, s4, s30, v30
	s_wait_alu 0xf1ff
	v_add_co_ci_u32_e64 v2, null, s31, 0, s4
	s_mov_b32 s10, 0
	s_sub_co_i32 s22, 1, s25
	v_cmp_eq_u32_e32 vcc_lo, 0, v26
	s_branch .LBB104_10
.LBB104_9:                              ;   in Loop: Header=BB104_10 Depth=1
	s_wait_alu 0xfffe
	s_or_b32 exec_lo, exec_lo, s5
	v_add_nc_u32_e32 v41, 4, v41
	v_add_co_u32 v1, s5, v1, 16
	v_add_nc_u32_e32 v36, 64, v36
	v_add_nc_u32_e32 v37, 0x100, v37
	s_delay_alu instid0(VALU_DEP_4) | instskip(SKIP_3) | instid1(SALU_CYCLE_1)
	v_cmp_le_i32_e64 s4, s13, v41
	s_wait_alu 0xf1ff
	v_add_co_ci_u32_e64 v2, null, 0, v2, s5
	s_or_b32 s10, s4, s10
	s_and_not1_b32 exec_lo, exec_lo, s10
	s_cbranch_execz .LBB104_12
.LBB104_10:                             ; =>This Inner Loop Header: Depth=1
	global_load_b32 v3, v[1:2], off
	s_wait_loadcnt_dscnt 0x0
	v_mad_co_i64_i32 v[3:4], null, v3, s21, 0
	s_delay_alu instid0(VALU_DEP_1) | instskip(NEXT) | instid1(VALU_DEP_1)
	v_lshlrev_b64_e32 v[3:4], 1, v[3:4]
	v_add_co_u32 v3, s4, v38, v3
	s_wait_alu 0xf1ff
	s_delay_alu instid0(VALU_DEP_2)
	v_add_co_ci_u32_e64 v4, null, v39, v4, s4
	v_cmp_gt_i32_e64 s4, 32, v40
	s_clause 0x9
	global_load_b64 v[42:43], v[3:4], off
	global_load_b64 v[50:51], v[3:4], off offset:256
	global_load_b64 v[58:59], v[3:4], off offset:512
	;; [unrolled: 1-line block ×9, first 2 shown]
	ds_load_b64 v[5:6], v35
	s_wait_dscnt 0x0
	v_lshrrev_b32_e32 v44, 16, v5
	v_and_b32_e32 v45, 0xffff, v5
	v_lshrrev_b32_e32 v47, 16, v6
	v_and_b32_e32 v48, 0xffff, v6
	s_clause 0x4
	global_load_b64 v[11:12], v[3:4], off offset:2560
	global_load_b64 v[9:10], v[3:4], off offset:2816
	;; [unrolled: 1-line block ×5, first 2 shown]
	;;#ASMSTART
	v_cvt_f32_f16 v46, v45;
	;;#ASMEND
	s_wait_loadcnt 0xe
	v_and_b32_e32 v45, 0xffff, v42
	v_lshrrev_b32_e32 v52, 16, v42
	v_lshrrev_b32_e32 v53, 16, v43
	;;#ASMSTART
	v_cvt_f32_f16 v42, v44;
	;;#ASMEND
	v_and_b32_e32 v54, 0xffff, v43
	;;#ASMSTART
	v_cvt_f32_f16 v49, v45;
	;;#ASMEND
	;;#ASMSTART
	v_cvt_f32_f16 v43, v52;
	;;#ASMEND
	;; [unrolled: 3-line block ×6, first 2 shown]
	ds_load_b64 v[52:53], v35 offset:8
	s_wait_loadcnt 0xd
	v_lshrrev_b32_e32 v54, 16, v50
	v_and_b32_e32 v55, 0xffff, v50
	v_lshrrev_b32_e32 v57, 16, v51
	v_and_b32_e32 v56, 0xffff, v51
	s_wait_loadcnt 0xc
	v_lshrrev_b32_e32 v62, 16, v58
	v_lshrrev_b32_e32 v65, 16, v59
	s_wait_loadcnt 0xb
	v_lshrrev_b32_e32 v70, 16, v66
	v_lshrrev_b32_e32 v73, 16, v67
	;; [unrolled: 3-line block ×5, first 2 shown]
	v_and_b32_e32 v20, 0xffff, v20
	s_wait_loadcnt 0x7
	v_lshrrev_b32_e32 v95, 16, v17
	v_lshrrev_b32_e32 v99, 16, v18
	v_and_b32_e32 v18, 0xffff, v18
	s_wait_loadcnt 0x6
	v_lshrrev_b32_e32 v101, 16, v13
	s_wait_dscnt 0x0
	v_and_b32_e32 v50, 0xffff, v52
	v_lshrrev_b32_e32 v52, 16, v52
	v_lshrrev_b32_e32 v60, 16, v53
	v_and_b32_e32 v61, 0xffff, v53
	;;#ASMSTART
	v_cvt_f32_f16 v50, v50;
	;;#ASMEND
	;;#ASMSTART
	v_cvt_f32_f16 v51, v52;
	;;#ASMEND
	;; [unrolled: 3-line block ×8, first 2 shown]
	ds_load_b64 v[60:61], v35 offset:16
	v_dual_mul_f32 v50, v50, v52 :: v_dual_mul_f32 v51, v51, v53
	v_dual_mul_f32 v52, v54, v56 :: v_dual_mul_f32 v53, v55, v57
	v_lshrrev_b32_e32 v105, 16, v14
	s_delay_alu instid0(VALU_DEP_3) | instskip(NEXT) | instid1(VALU_DEP_4)
	v_fmac_f32_e32 v50, v46, v49
	v_fmac_f32_e32 v51, v42, v43
	s_delay_alu instid0(VALU_DEP_4)
	v_dual_fmac_f32 v52, v44, v47 :: v_dual_and_b32 v63, 0xffff, v58
	v_dual_fmac_f32 v53, v45, v48 :: v_dual_and_b32 v64, 0xffff, v59
	v_and_b32_e32 v14, 0xffff, v14
	s_wait_loadcnt 0x5
	v_lshrrev_b32_e32 v107, 16, v15
	v_and_b32_e32 v106, 0xffff, v15
	v_lshrrev_b32_e32 v111, 16, v16
	v_and_b32_e32 v110, 0xffff, v16
	s_wait_loadcnt 0x4
	v_lshrrev_b32_e32 v113, 16, v11
	v_lshrrev_b32_e32 v117, 16, v12
	v_and_b32_e32 v12, 0xffff, v12
	s_wait_dscnt 0x0
	v_and_b32_e32 v58, 0xffff, v60
	v_lshrrev_b32_e32 v60, 16, v60
	v_lshrrev_b32_e32 v68, 16, v61
	;;#ASMSTART
	v_cvt_f32_f16 v59, v58;
	;;#ASMEND
	;;#ASMSTART
	v_cvt_f32_f16 v58, v60;
	;;#ASMEND
	;; [unrolled: 3-line block ×3, first 2 shown]
	v_dual_fmac_f32 v50, v59, v63 :: v_dual_and_b32 v61, 0xffff, v61
	;;#ASMSTART
	v_cvt_f32_f16 v60, v62;
	;;#ASMEND
	;;#ASMSTART
	v_cvt_f32_f16 v61, v61;
	;;#ASMEND
	;; [unrolled: 3-line block ×3, first 2 shown]
	v_fmac_f32_e32 v51, v58, v60
	;;#ASMSTART
	v_cvt_f32_f16 v64, v64;
	;;#ASMEND
	;;#ASMSTART
	v_cvt_f32_f16 v65, v65;
	;;#ASMEND
	ds_load_b64 v[68:69], v35 offset:24
	v_dual_fmac_f32 v52, v61, v64 :: v_dual_and_b32 v71, 0xffff, v66
	v_dual_fmac_f32 v53, v62, v65 :: v_dual_and_b32 v72, 0xffff, v67
	s_wait_loadcnt 0x2
	v_lshrrev_b32_e32 v120, 16, v7
	v_lshrrev_b32_e32 v118, 16, v9
	;; [unrolled: 1-line block ×3, first 2 shown]
	v_and_b32_e32 v10, 0xffff, v10
	s_wait_loadcnt 0x1
	v_lshrrev_b32_e32 v47, 16, v5
	v_lshrrev_b32_e32 v121, 16, v8
	v_and_b32_e32 v8, 0xffff, v8
	s_wait_dscnt 0x0
	v_and_b32_e32 v66, 0xffff, v68
	v_lshrrev_b32_e32 v68, 16, v68
	v_lshrrev_b32_e32 v74, 16, v69
	;;#ASMSTART
	v_cvt_f32_f16 v67, v66;
	;;#ASMEND
	;;#ASMSTART
	v_cvt_f32_f16 v66, v68;
	;;#ASMEND
	;; [unrolled: 3-line block ×3, first 2 shown]
	v_dual_fmac_f32 v50, v67, v71 :: v_dual_and_b32 v69, 0xffff, v69
	;;#ASMSTART
	v_cvt_f32_f16 v68, v70;
	;;#ASMEND
	;;#ASMSTART
	v_cvt_f32_f16 v69, v69;
	;;#ASMEND
	;; [unrolled: 3-line block ×3, first 2 shown]
	v_fmac_f32_e32 v51, v66, v68
	;;#ASMSTART
	v_cvt_f32_f16 v72, v72;
	;;#ASMEND
	;;#ASMSTART
	v_cvt_f32_f16 v73, v73;
	;;#ASMEND
	ds_load_b64 v[74:75], v35 offset:32
	v_dual_fmac_f32 v53, v70, v73 :: v_dual_fmac_f32 v52, v69, v72
	s_wait_dscnt 0x0
	v_and_b32_e32 v76, 0xffff, v74
	v_lshrrev_b32_e32 v78, 16, v74
	v_lshrrev_b32_e32 v79, 16, v75
	v_and_b32_e32 v80, 0xffff, v75
	;;#ASMSTART
	v_cvt_f32_f16 v74, v76;
	;;#ASMEND
	v_and_b32_e32 v23, 0xffff, v23
	;;#ASMSTART
	v_cvt_f32_f16 v75, v78;
	;;#ASMEND
	;;#ASMSTART
	v_cvt_f32_f16 v76, v23;
	;;#ASMEND
	;; [unrolled: 3-line block ×5, first 2 shown]
	v_and_b32_e32 v24, 0xffff, v24
	;;#ASMSTART
	v_cvt_f32_f16 v80, v24;
	;;#ASMEND
	;;#ASMSTART
	v_cvt_f32_f16 v81, v81;
	;;#ASMEND
	ds_load_b64 v[23:24], v35 offset:40
	v_fmac_f32_e32 v51, v75, v77
	v_dual_fmac_f32 v52, v78, v80 :: v_dual_and_b32 v21, 0xffff, v21
	v_dual_fmac_f32 v53, v79, v81 :: v_dual_fmac_f32 v50, v74, v76
	s_wait_dscnt 0x0
	v_and_b32_e32 v82, 0xffff, v23
	v_lshrrev_b32_e32 v84, 16, v23
	v_lshrrev_b32_e32 v85, 16, v24
	v_and_b32_e32 v86, 0xffff, v24
	;;#ASMSTART
	v_cvt_f32_f16 v23, v82;
	;;#ASMEND
	;;#ASMSTART
	v_cvt_f32_f16 v24, v84;
	;;#ASMEND
	;; [unrolled: 3-line block ×4, first 2 shown]
	v_dual_fmac_f32 v51, v24, v83 :: v_dual_and_b32 v22, 0xffff, v22
	;;#ASMSTART
	v_cvt_f32_f16 v84, v86;
	;;#ASMEND
	;;#ASMSTART
	v_cvt_f32_f16 v85, v85;
	;;#ASMEND
	;; [unrolled: 3-line block ×4, first 2 shown]
	ds_load_b64 v[21:22], v35 offset:48
	v_dual_fmac_f32 v50, v23, v82 :: v_dual_and_b32 v19, 0xffff, v19
	v_dual_fmac_f32 v52, v84, v86 :: v_dual_and_b32 v17, 0xffff, v17
	s_wait_dscnt 0x0
	v_dual_fmac_f32 v53, v85, v87 :: v_dual_and_b32 v88, 0xffff, v21
	v_lshrrev_b32_e32 v90, 16, v21
	v_lshrrev_b32_e32 v91, 16, v22
	v_and_b32_e32 v92, 0xffff, v22
	;;#ASMSTART
	v_cvt_f32_f16 v21, v88;
	;;#ASMEND
	;;#ASMSTART
	v_cvt_f32_f16 v22, v90;
	;;#ASMEND
	;; [unrolled: 3-line block ×8, first 2 shown]
	ds_load_b64 v[19:20], v35 offset:56
	v_dual_fmac_f32 v50, v21, v88 :: v_dual_and_b32 v13, 0xffff, v13
	v_fmac_f32_e32 v52, v90, v92
	v_fmac_f32_e32 v51, v22, v89
	;; [unrolled: 1-line block ×3, first 2 shown]
	v_lshrrev_b32_e32 v21, 16, v6
	v_and_b32_e32 v6, 0xffff, v6
	s_wait_loadcnt 0x0
	v_lshrrev_b32_e32 v22, 16, v3
	s_wait_dscnt 0x0
	v_and_b32_e32 v94, 0xffff, v19
	v_lshrrev_b32_e32 v96, 16, v19
	v_lshrrev_b32_e32 v97, 16, v20
	v_and_b32_e32 v98, 0xffff, v20
	;;#ASMSTART
	v_cvt_f32_f16 v19, v94;
	;;#ASMEND
	;;#ASMSTART
	v_cvt_f32_f16 v20, v96;
	;;#ASMEND
	;;#ASMSTART
	v_cvt_f32_f16 v94, v17;
	;;#ASMEND
	;;#ASMSTART
	v_cvt_f32_f16 v95, v95;
	;;#ASMEND
	;;#ASMSTART
	v_cvt_f32_f16 v96, v98;
	;;#ASMEND
	;;#ASMSTART
	v_cvt_f32_f16 v97, v97;
	;;#ASMEND
	;;#ASMSTART
	v_cvt_f32_f16 v98, v18;
	;;#ASMEND
	;;#ASMSTART
	v_cvt_f32_f16 v99, v99;
	;;#ASMEND
	ds_load_b64 v[17:18], v35 offset:64
	v_dual_fmac_f32 v50, v19, v94 :: v_dual_and_b32 v11, 0xffff, v11
	v_dual_fmac_f32 v52, v96, v98 :: v_dual_and_b32 v9, 0xffff, v9
	v_fmac_f32_e32 v51, v20, v95
	s_wait_dscnt 0x0
	v_dual_fmac_f32 v53, v97, v99 :: v_dual_and_b32 v100, 0xffff, v17
	v_lshrrev_b32_e32 v102, 16, v17
	v_lshrrev_b32_e32 v103, 16, v18
	v_and_b32_e32 v104, 0xffff, v18
	;;#ASMSTART
	v_cvt_f32_f16 v17, v100;
	;;#ASMEND
	;;#ASMSTART
	v_cvt_f32_f16 v18, v102;
	;;#ASMEND
	;; [unrolled: 3-line block ×8, first 2 shown]
	ds_load_b64 v[13:14], v35 offset:72
	v_dual_fmac_f32 v50, v17, v100 :: v_dual_and_b32 v7, 0xffff, v7
	v_dual_fmac_f32 v52, v102, v104 :: v_dual_and_b32 v5, 0xffff, v5
	v_fmac_f32_e32 v51, v18, v101
	v_fmac_f32_e32 v53, v103, v105
	s_wait_dscnt 0x0
	v_and_b32_e32 v15, 0xffff, v13
	v_lshrrev_b32_e32 v13, 16, v13
	v_lshrrev_b32_e32 v109, 16, v14
	v_and_b32_e32 v14, 0xffff, v14
	;;#ASMSTART
	v_cvt_f32_f16 v15, v15;
	;;#ASMEND
	;;#ASMSTART
	v_cvt_f32_f16 v16, v13;
	;;#ASMEND
	;;#ASMSTART
	v_cvt_f32_f16 v106, v106;
	;;#ASMEND
	;;#ASMSTART
	v_cvt_f32_f16 v107, v107;
	;;#ASMEND
	;;#ASMSTART
	v_cvt_f32_f16 v108, v14;
	;;#ASMEND
	;;#ASMSTART
	v_cvt_f32_f16 v109, v109;
	;;#ASMEND
	;;#ASMSTART
	v_cvt_f32_f16 v110, v110;
	;;#ASMEND
	;;#ASMSTART
	v_cvt_f32_f16 v111, v111;
	;;#ASMEND
	ds_load_b64 v[13:14], v35 offset:80
	v_fmac_f32_e32 v50, v15, v106
	v_fmac_f32_e32 v52, v108, v110
	;; [unrolled: 1-line block ×3, first 2 shown]
	s_wait_dscnt 0x0
	v_dual_fmac_f32 v53, v109, v111 :: v_dual_and_b32 v112, 0xffff, v13
	v_lshrrev_b32_e32 v114, 16, v13
	v_lshrrev_b32_e32 v115, 16, v14
	v_and_b32_e32 v116, 0xffff, v14
	;;#ASMSTART
	v_cvt_f32_f16 v13, v112;
	;;#ASMEND
	;;#ASMSTART
	v_cvt_f32_f16 v14, v114;
	;;#ASMEND
	;; [unrolled: 3-line block ×8, first 2 shown]
	ds_load_b64 v[11:12], v35 offset:88
	v_dual_fmac_f32 v50, v13, v112 :: v_dual_fmac_f32 v51, v14, v113
	v_dual_fmac_f32 v52, v114, v116 :: v_dual_and_b32 v13, 0xffff, v3
	s_wait_dscnt 0x0
	v_dual_fmac_f32 v53, v115, v117 :: v_dual_and_b32 v54, 0xffff, v11
	v_lshrrev_b32_e32 v55, 16, v11
	v_lshrrev_b32_e32 v56, 16, v12
	v_and_b32_e32 v57, 0xffff, v12
	;;#ASMSTART
	v_cvt_f32_f16 v11, v54;
	;;#ASMEND
	;;#ASMSTART
	v_cvt_f32_f16 v12, v55;
	;;#ASMEND
	;; [unrolled: 3-line block ×8, first 2 shown]
	ds_load_b64 v[9:10], v35 offset:96
	v_dual_fmac_f32 v50, v11, v46 :: v_dual_fmac_f32 v51, v12, v49
	v_fmac_f32_e32 v53, v55, v57
	v_lshrrev_b32_e32 v11, 16, v4
	s_wait_dscnt 0x0
	v_and_b32_e32 v23, 0xffff, v9
	v_lshrrev_b32_e32 v42, 16, v9
	v_lshrrev_b32_e32 v43, 16, v10
	v_and_b32_e32 v44, 0xffff, v10
	;;#ASMSTART
	v_cvt_f32_f16 v9, v23;
	;;#ASMEND
	;;#ASMSTART
	v_cvt_f32_f16 v10, v42;
	;;#ASMEND
	;;#ASMSTART
	v_cvt_f32_f16 v23, v7;
	;;#ASMEND
	;;#ASMSTART
	v_cvt_f32_f16 v24, v120;
	;;#ASMEND
	;;#ASMSTART
	v_cvt_f32_f16 v42, v44;
	;;#ASMEND
	;;#ASMSTART
	v_cvt_f32_f16 v43, v43;
	;;#ASMEND
	;;#ASMSTART
	v_cvt_f32_f16 v44, v8;
	;;#ASMEND
	;;#ASMSTART
	v_cvt_f32_f16 v45, v121;
	;;#ASMEND
	ds_load_b64 v[7:8], v35 offset:104
	v_dual_fmac_f32 v50, v9, v23 :: v_dual_and_b32 v9, 0xffff, v4
	v_fmac_f32_e32 v51, v10, v24
	v_fmac_f32_e32 v53, v43, v45
	s_wait_dscnt 0x0
	v_and_b32_e32 v15, 0xffff, v7
	v_lshrrev_b32_e32 v16, 16, v7
	v_lshrrev_b32_e32 v18, 16, v8
	v_and_b32_e32 v17, 0xffff, v8
	;;#ASMSTART
	v_cvt_f32_f16 v7, v15;
	;;#ASMEND
	;;#ASMSTART
	v_cvt_f32_f16 v8, v16;
	;;#ASMEND
	;; [unrolled: 3-line block ×8, first 2 shown]
	ds_load_b64 v[5:6], v35 offset:112
	v_fmac_f32_e32 v52, v54, v56
	v_dual_fmac_f32 v50, v7, v15 :: v_dual_fmac_f32 v51, v8, v16
	v_fmac_f32_e32 v53, v18, v20
	s_wait_dscnt 0x0
	s_delay_alu instid0(VALU_DEP_3)
	v_dual_fmac_f32 v52, v42, v44 :: v_dual_and_b32 v3, 0xffff, v5
	v_lshrrev_b32_e32 v4, 16, v5
	v_lshrrev_b32_e32 v7, 16, v6
	v_and_b32_e32 v8, 0xffff, v6
	;;#ASMSTART
	v_cvt_f32_f16 v3, v3;
	;;#ASMEND
	v_fmac_f32_e32 v52, v17, v19
	;;#ASMSTART
	v_cvt_f32_f16 v4, v4;
	;;#ASMEND
	;;#ASMSTART
	v_cvt_f32_f16 v5, v13;
	;;#ASMEND
	;; [unrolled: 3-line block ×3, first 2 shown]
	v_dual_fmac_f32 v50, v3, v5 :: v_dual_fmac_f32 v51, v4, v6
	;;#ASMSTART
	v_cvt_f32_f16 v3, v8;
	;;#ASMEND
	;;#ASMSTART
	v_cvt_f32_f16 v4, v7;
	;;#ASMEND
	;; [unrolled: 3-line block ×3, first 2 shown]
	s_delay_alu instid0(VALU_DEP_1)
	v_dual_fmac_f32 v52, v3, v5 :: v_dual_add_f32 v3, v50, v51
	;;#ASMSTART
	v_cvt_f32_f16 v5, v11;
	;;#ASMEND
	v_fmac_f32_e32 v53, v4, v5
	s_wait_alu 0xf1ff
	v_cndmask_b32_e64 v4, v31, v40, s4
	v_add_f32_e32 v3, v3, v52
	s_delay_alu instid0(VALU_DEP_1)
	v_dual_add_f32 v3, v53, v3 :: v_dual_lshlrev_b32 v4, 2, v4
	ds_bpermute_b32 v4, v4, v3
	s_and_saveexec_b32 s5, vcc_lo
	s_cbranch_execz .LBB104_9
; %bb.11:                               ;   in Loop: Header=BB104_10 Depth=1
	s_wait_dscnt 0x0
	v_add_f32_e32 v3, v3, v4
	v_add_nc_u32_e32 v5, s22, v36
	v_cmp_gt_i32_e64 s4, s25, v36
	s_delay_alu instid0(VALU_DEP_2) | instskip(NEXT) | instid1(VALU_DEP_1)
	v_cvt_f32_i32_e32 v5, v5
	v_mul_f32_e32 v5, s6, v5
	s_wait_alu 0xfffe
	s_delay_alu instid0(VALU_DEP_1) | instskip(NEXT) | instid1(VALU_DEP_1)
	v_cndmask_b32_e64 v4, 0, v5, s3
	v_dual_max_num_f32 v5, v34, v34 :: v_dual_fmac_f32 v4, s7, v3
	s_delay_alu instid0(VALU_DEP_1) | instskip(SKIP_2) | instid1(VALU_DEP_2)
	v_max_num_f32_e32 v3, v5, v4
	s_wait_alu 0xf1ff
	v_cndmask_b32_e64 v4, 0, v4, s4
	v_cndmask_b32_e64 v34, v34, v3, s4
	ds_store_b32 v37, v4
	s_branch .LBB104_9
.LBB104_12:
	s_or_b32 exec_lo, exec_lo, s10
.LBB104_13:
	s_delay_alu instid0(SALU_CYCLE_1)
	s_or_b32 exec_lo, exec_lo, s11
	v_xor_b32_e32 v1, 16, v31
	v_xor_b32_e32 v2, 8, v31
	s_clause 0x2
	s_load_b128 s[4:7], s[0:1], 0x0
	s_load_b64 s[10:11], s[0:1], 0x10
	s_load_b64 s[22:23], s[0:1], 0x28
	v_dual_max_num_f32 v3, v34, v34 :: v_dual_lshlrev_b32 v8, 2, v27
	v_cmp_lt_i32_e32 vcc_lo, v1, v33
	v_cndmask_b32_e32 v1, v31, v1, vcc_lo
	v_cmp_lt_i32_e32 vcc_lo, v2, v33
	s_wait_alu 0xfffd
	v_cndmask_b32_e32 v2, v31, v2, vcc_lo
	s_delay_alu instid0(VALU_DEP_1)
	v_lshlrev_b32_e32 v6, 2, v2
	s_wait_dscnt 0x0
	v_lshlrev_b32_e32 v4, 2, v1
	ds_bpermute_b32 v1, v4, v34
	s_wait_dscnt 0x0
	v_max_num_f32_e32 v1, v1, v1
	s_delay_alu instid0(VALU_DEP_1)
	v_max_num_f32_e32 v1, v3, v1
	v_xor_b32_e32 v3, 4, v31
	ds_bpermute_b32 v2, v6, v1
	v_cmp_lt_i32_e32 vcc_lo, v3, v33
	s_wait_dscnt 0x0
	s_wait_alu 0xfffd
	v_dual_cndmask_b32 v3, v31, v3 :: v_dual_max_num_f32 v2, v2, v2
	s_delay_alu instid0(VALU_DEP_1) | instskip(NEXT) | instid1(VALU_DEP_2)
	v_max_num_f32_e32 v1, v1, v2
	v_lshlrev_b32_e32 v7, 2, v3
	v_xor_b32_e32 v3, 2, v31
	ds_bpermute_b32 v2, v7, v1
	v_cmp_lt_i32_e32 vcc_lo, v3, v33
	s_wait_alu 0xfffd
	v_cndmask_b32_e32 v3, v31, v3, vcc_lo
	s_wait_dscnt 0x0
	s_delay_alu instid0(VALU_DEP_1) | instskip(NEXT) | instid1(VALU_DEP_1)
	v_dual_max_num_f32 v2, v2, v2 :: v_dual_lshlrev_b32 v3, 2, v3
	v_dual_max_num_f32 v2, v1, v2 :: v_dual_and_b32 v1, 31, v0
	ds_bpermute_b32 v5, v3, v2
	v_cmp_eq_u32_e32 vcc_lo, 0, v1
	s_and_saveexec_b32 s0, vcc_lo
	s_cbranch_execz .LBB104_15
; %bb.14:
	s_wait_dscnt 0x0
	v_dual_max_num_f32 v5, v5, v5 :: v_dual_max_num_f32 v2, v2, v2
	s_delay_alu instid0(VALU_DEP_1)
	v_max_num_f32_e32 v2, v2, v5
	ds_store_b32 v8, v2 offset:240
.LBB104_15:
	s_or_b32 exec_lo, exec_lo, s0
	v_cmp_gt_u32_e64 s0, 4, v1
	v_dual_mov_b32 v2, 0xff7fffff :: v_dual_lshlrev_b32 v9, 2, v1
	s_wait_loadcnt_dscnt 0x0
	s_barrier_signal -1
	s_barrier_wait -1
	global_inv scope:SCOPE_SE
	s_and_saveexec_b32 s1, s0
; %bb.16:
	ds_load_b32 v2, v9 offset:240
; %bb.17:
	s_or_b32 exec_lo, exec_lo, s1
	s_wait_dscnt 0x0
	ds_bpermute_b32 v5, v3, v2
	v_xor_b32_e32 v10, 1, v31
	v_dual_max_num_f32 v2, v2, v2 :: v_dual_mov_b32 v11, 0
	s_delay_alu instid0(VALU_DEP_2) | instskip(NEXT) | instid1(VALU_DEP_1)
	v_cmp_lt_i32_e64 s1, v10, v33
	v_cndmask_b32_e64 v10, v31, v10, s1
	s_sub_co_i32 s1, s13, s28
	s_wait_alu 0xfffe
	s_lshl_b32 s1, s1, 4
	s_delay_alu instid0(VALU_DEP_1)
	v_lshlrev_b32_e32 v10, 2, v10
	s_wait_alu 0xfffe
	s_add_co_i32 s1, s1, s26
	s_wait_alu 0xfffe
	s_min_i32 s1, s1, s25
	s_wait_dscnt 0x0
	v_max_num_f32_e32 v5, v5, v5
	s_wait_alu 0xfffe
	s_sub_co_i32 s21, s1, s26
	s_wait_alu 0xfffe
	v_cmp_gt_i32_e64 s1, s21, v0
	v_max_num_f32_e32 v2, v2, v5
	ds_bpermute_b32 v5, v10, v2
	s_wait_dscnt 0x0
	v_max_num_f32_e32 v5, v5, v5
	s_delay_alu instid0(VALU_DEP_1)
	v_dual_max_num_f32 v2, v2, v5 :: v_dual_lshlrev_b32 v5, 2, v32
	ds_bpermute_b32 v2, v5, v2
	v_lshl_add_u32 v5, v0, 2, 0x110
	s_and_saveexec_b32 s28, s1
	s_cbranch_execz .LBB104_21
; %bb.18:
	v_lshl_add_u32 v12, v0, 2, 0x110
	v_mov_b32_e32 v11, 0
	v_mov_b32_e32 v13, v0
	s_mov_b32 s29, 0
.LBB104_19:                             ; =>This Inner Loop Header: Depth=1
	ds_load_b32 v14, v12
	v_add_nc_u32_e32 v13, 0x80, v13
	s_delay_alu instid0(VALU_DEP_1) | instskip(SKIP_4) | instid1(VALU_DEP_1)
	v_cmp_le_i32_e64 s3, s21, v13
	s_wait_alu 0xfffe
	s_or_b32 s29, s3, s29
	s_wait_dscnt 0x0
	v_sub_f32_e32 v14, v14, v2
	v_mul_f32_e32 v14, 0x3fb8aa3b, v14
	s_delay_alu instid0(VALU_DEP_1)
	v_exp_f32_e32 v14, v14
	ds_store_b32 v12, v14
	v_dual_add_f32 v11, v11, v14 :: v_dual_add_nc_u32 v12, 0x200, v12
	s_wait_alu 0xfffe
	s_and_not1_b32 exec_lo, exec_lo, s29
	s_cbranch_execnz .LBB104_19
; %bb.20:
	s_or_b32 exec_lo, exec_lo, s29
.LBB104_21:
	s_wait_alu 0xfffe
	s_or_b32 exec_lo, exec_lo, s28
	ds_bpermute_b32 v4, v4, v11
	s_wait_dscnt 0x0
	v_add_f32_e32 v4, v11, v4
	ds_bpermute_b32 v6, v6, v4
	s_wait_dscnt 0x0
	v_add_f32_e32 v4, v4, v6
	;; [unrolled: 3-line block ×5, first 2 shown]
	s_and_saveexec_b32 s3, vcc_lo
; %bb.22:
	ds_store_b32 v8, v4 offset:256
; %bb.23:
	s_wait_alu 0xfffe
	s_or_b32 exec_lo, exec_lo, s3
	s_wait_loadcnt_dscnt 0x0
	s_barrier_signal -1
	s_barrier_wait -1
	global_inv scope:SCOPE_SE
	s_and_saveexec_b32 s3, s0
; %bb.24:
	ds_load_b32 v4, v9 offset:256
; %bb.25:
	s_wait_alu 0xfffe
	s_or_b32 exec_lo, exec_lo, s3
	s_wait_dscnt 0x0
	ds_bpermute_b32 v3, v3, v4
	v_lshlrev_b32_e32 v6, 2, v31
	s_wait_dscnt 0x0
	v_add_f32_e32 v3, v4, v3
	ds_bpermute_b32 v4, v10, v3
	s_wait_dscnt 0x0
	v_dual_add_f32 v3, v3, v4 :: v_dual_and_b32 v4, 0xffffff80, v6
	ds_bpermute_b32 v3, v4, v3
	s_and_saveexec_b32 s0, s1
	s_cbranch_execz .LBB104_28
; %bb.26:
	s_wait_dscnt 0x0
	v_add_f32_e32 v4, 0x358637bd, v3
	s_mov_b32 s1, 0
	s_delay_alu instid0(VALU_DEP_1) | instskip(SKIP_1) | instid1(VALU_DEP_2)
	v_div_scale_f32 v6, null, v4, v4, 1.0
	v_div_scale_f32 v9, vcc_lo, 1.0, v4, 1.0
	v_rcp_f32_e32 v7, v6
	s_delay_alu instid0(TRANS32_DEP_1) | instskip(NEXT) | instid1(VALU_DEP_1)
	v_fma_f32 v8, -v6, v7, 1.0
	v_fmac_f32_e32 v7, v8, v7
	s_delay_alu instid0(VALU_DEP_1) | instskip(NEXT) | instid1(VALU_DEP_1)
	v_mul_f32_e32 v8, v9, v7
	v_fma_f32 v11, -v6, v8, v9
	s_delay_alu instid0(VALU_DEP_1) | instskip(NEXT) | instid1(VALU_DEP_1)
	v_fmac_f32_e32 v8, v11, v7
	v_fma_f32 v6, -v6, v8, v9
	s_wait_alu 0xfffd
	s_delay_alu instid0(VALU_DEP_1) | instskip(NEXT) | instid1(VALU_DEP_1)
	v_div_fmas_f32 v6, v6, v7, v8
	v_div_fixup_f32 v4, v6, v4, 1.0
	v_mov_b32_e32 v6, v0
.LBB104_27:                             ; =>This Inner Loop Header: Depth=1
	ds_load_b32 v7, v5
	s_wait_dscnt 0x0
	v_dual_mul_f32 v7, v4, v7 :: v_dual_add_nc_u32 v6, 0x80, v6
	s_delay_alu instid0(VALU_DEP_1)
	v_cmp_le_i32_e32 vcc_lo, s21, v6
	ds_store_b32 v5, v7
	v_add_nc_u32_e32 v5, 0x200, v5
	s_wait_alu 0xfffe
	s_or_b32 s1, vcc_lo, s1
	s_wait_alu 0xfffe
	s_and_not1_b32 exec_lo, exec_lo, s1
	s_cbranch_execnz .LBB104_27
.LBB104_28:
	s_wait_alu 0xfffe
	s_or_b32 exec_lo, exec_lo, s0
	s_wait_kmcnt 0x0
	s_mul_i32 s0, s8, s14
	s_wait_loadcnt_dscnt 0x0
	s_wait_alu 0xfffe
	s_mul_i32 s14, s0, s15
	s_mov_b32 s0, exec_lo
	s_barrier_signal -1
	s_barrier_wait -1
	global_inv scope:SCOPE_SE
	v_cmpx_eq_u32_e32 0, v0
	s_cbranch_execz .LBB104_30
; %bb.29:
	s_ashr_i32 s15, s14, 31
	s_wait_alu 0xfffe
	s_mul_i32 s28, s8, ttmp9
	s_lshl_b32 s1, s24, 2
	s_lshl_b64 s[30:31], s[14:15], 2
	s_wait_alu 0xfffe
	s_ashr_i32 s29, s28, 31
	v_mov_b32_e32 v4, s1
	s_add_nc_u64 s[6:7], s[6:7], s[30:31]
	s_wait_alu 0xfffe
	s_lshl_b64 s[28:29], s[28:29], 2
	s_add_nc_u64 s[4:5], s[4:5], s[30:31]
	s_wait_alu 0xfffe
	s_add_nc_u64 s[6:7], s[6:7], s[28:29]
	s_add_nc_u64 s[4:5], s[4:5], s[28:29]
	s_clause 0x1
	global_store_b32 v4, v2, s[6:7]
	global_store_b32 v4, v3, s[4:5]
.LBB104_30:
	s_wait_alu 0xfffe
	s_or_b32 exec_lo, exec_lo, s0
	v_lshrrev_b32_e32 v9, 1, v1
	s_and_saveexec_b32 s0, s2
	s_wait_alu 0xfffe
	s_xor_b32 s0, exec_lo, s0
; %bb.31:
	v_lshrrev_b32_e32 v9, 1, v1
                                        ; implicit-def: $vgpr28
                                        ; implicit-def: $vgpr29
                                        ; implicit-def: $vgpr30
; %bb.32:
	s_wait_alu 0xfffe
	s_or_saveexec_b32 s4, s0
	v_dual_mov_b32 v17, 0 :: v_dual_mov_b32 v18, 0
	v_dual_mov_b32 v16, 0 :: v_dual_mov_b32 v15, 0
	;; [unrolled: 1-line block ×4, first 2 shown]
	s_wait_alu 0xfffe
	s_xor_b32 exec_lo, exec_lo, s4
	s_cbranch_execz .LBB104_54
; %bb.33:
	v_dual_mov_b32 v12, 0 :: v_dual_and_b32 v1, 8, v29
	v_dual_mov_b32 v11, 0 :: v_dual_lshlrev_b32 v2, 5, v26
	v_or_b32_e32 v3, 0x70, v9
	v_lshl_add_u32 v5, v27, 4, s26
	s_lshl_b64 s[2:3], s[16:17], 2
	v_lshl_or_b32 v4, v9, 4, v1
	v_lshl_or_b32 v2, v27, 6, v2
	v_cmp_gt_u32_e32 vcc_lo, 0x78, v3
	v_lshl_or_b32 v3, v3, 4, v1
	s_wait_alu 0xfffe
	s_add_nc_u64 s[2:3], s[18:19], s[2:3]
	v_add3_u32 v19, v5, v1, 7
	s_wait_alu 0xfffe
	v_add_co_u32 v5, s2, s2, v30
	s_ashr_i32 s21, s20, 31
	v_dual_mov_b32 v13, 0 :: v_dual_add_nc_u32 v20, 0x110, v2
	v_add_co_ci_u32_e64 v6, null, s3, 0, s2
	v_dual_mov_b32 v14, 0 :: v_dual_lshlrev_b32 v21, 1, v4
	v_dual_mov_b32 v15, 0 :: v_dual_lshlrev_b32 v22, 1, v3
	v_dual_mov_b32 v16, 0 :: v_dual_mov_b32 v17, 0
	v_mov_b32_e32 v18, 0
	s_wait_alu 0xfffe
	s_lshl_b64 s[0:1], s[20:21], 1
	s_mov_b32 s5, s9
	s_wait_alu 0xfffe
	s_add_nc_u64 s[2:3], s[22:23], s[0:1]
	s_add_co_i32 s27, s27, -1
	s_mov_b32 s6, 0
	s_branch .LBB104_36
.LBB104_34:                             ;   in Loop: Header=BB104_36 Depth=1
	s_wait_alu 0xfffe
	s_or_b32 exec_lo, exec_lo, s1
	v_lshlrev_b32_e32 v23, 16, v46
	v_lshlrev_b32_e32 v31, 16, v31
	;; [unrolled: 1-line block ×3, first 2 shown]
	s_delay_alu instid0(VALU_DEP_3) | instskip(NEXT) | instid1(VALU_DEP_3)
	v_and_or_b32 v1, 0xffff, v1, v23
	v_and_or_b32 v2, 0xffff, v2, v31
	s_delay_alu instid0(VALU_DEP_3)
	v_and_or_b32 v3, 0xffff, v3, v30
	;;#ASMSTART
	v_pk_mul_f16 v1, v33, v1;

	;;#ASMEND
	;;#ASMSTART
	v_pk_mul_f16 v2, v32, v2;

	;;#ASMEND
	;; [unrolled: 4-line block ×4, first 2 shown]
	;;#ASMSTART
	v_pk_add_f16 v1, v1, v2;

	;;#ASMEND
	;;#ASMSTART
	v_pk_add_f16 v1, v1, v3;

	;;#ASMEND
	;; [unrolled: 4-line block ×3, first 2 shown]
	v_and_b32_e32 v2, 0xffff, v1
	v_lshrrev_b32_e32 v3, 16, v1
	;;#ASMSTART
	v_cvt_f32_f16 v1, v2;
	;;#ASMEND
	;;#ASMSTART
	v_cvt_f32_f16 v2, v3;
	;;#ASMEND
	s_delay_alu instid0(VALU_DEP_2) | instskip(NEXT) | instid1(VALU_DEP_1)
	v_add_f32_e32 v1, v1, v2
	v_add_f32_e32 v11, v11, v1
.LBB104_35:                             ;   in Loop: Header=BB104_36 Depth=1
	s_wait_alu 0xfffe
	s_or_b32 exec_lo, exec_lo, s7
	v_dual_add_f32 v3, v42, v43 :: v_dual_add_f32 v4, v40, v41
	v_dual_add_f32 v1, v7, v8 :: v_dual_add_f32 v2, v44, v45
	v_add_co_u32 v5, s1, v5, 16
	s_delay_alu instid0(VALU_DEP_3) | instskip(SKIP_1) | instid1(VALU_DEP_4)
	v_dual_add_f32 v14, v14, v3 :: v_dual_add_f32 v3, v24, v29
	v_add_nc_u32_e32 v28, 4, v28
	v_dual_add_f32 v12, v12, v1 :: v_dual_add_f32 v13, v13, v2
	v_dual_add_f32 v1, v38, v39 :: v_dual_add_f32 v2, v36, v37
	s_delay_alu instid0(VALU_DEP_4) | instskip(NEXT) | instid1(VALU_DEP_4)
	v_add_f32_e32 v17, v17, v3
	v_cmp_le_i32_e64 s0, s13, v28
	s_delay_alu instid0(VALU_DEP_3) | instskip(NEXT) | instid1(VALU_DEP_4)
	v_dual_add_f32 v15, v15, v4 :: v_dual_add_f32 v16, v16, v1
	v_dual_add_f32 v18, v18, v2 :: v_dual_add_nc_u32 v19, 64, v19
	v_add_nc_u32_e32 v20, 0x100, v20
	s_wait_alu 0xf1ff
	v_add_co_ci_u32_e64 v6, null, 0, v6, s1
	s_or_b32 s6, s0, s6
	s_wait_alu 0xfffe
	s_and_not1_b32 exec_lo, exec_lo, s6
	s_cbranch_execz .LBB104_53
.LBB104_36:                             ; =>This Inner Loop Header: Depth=1
	global_load_b32 v7, v[5:6], off
	ds_load_2addr_b64 v[1:4], v20 offset1:1
	ds_load_2addr_b64 v[37:40], v20 offset0:2 offset1:3
	s_wait_dscnt 0x1
	;;#ASMSTART
	v_cvt_f16_f32 v33, v1;

	;;#ASMEND
	;;#ASMSTART
	v_cvt_f16_f32 v24, v2;

	;;#ASMEND
	;; [unrolled: 4-line block ×4, first 2 shown]
	s_wait_dscnt 0x0
	;;#ASMSTART
	v_cvt_f16_f32 v37, v37;

	;;#ASMEND
	;;#ASMSTART
	v_cvt_f16_f32 v34, v38;

	;;#ASMEND
	;; [unrolled: 4-line block ×4, first 2 shown]
	v_add_nc_u32_e32 v23, -7, v19
	s_wait_loadcnt 0x0
	v_mad_co_i64_i32 v[7:8], null, v7, s5, 0
	s_delay_alu instid0(VALU_DEP_1) | instskip(SKIP_1) | instid1(VALU_DEP_1)
	v_lshlrev_b64_e32 v[7:8], 1, v[7:8]
	s_wait_alu 0xfffe
	v_add_co_u32 v30, s0, s2, v7
	s_wait_alu 0xf1ff
	s_delay_alu instid0(VALU_DEP_2) | instskip(NEXT) | instid1(VALU_DEP_2)
	v_add_co_ci_u32_e64 v31, null, s3, v8, s0
	v_add_co_u32 v7, s0, v30, v21
	s_wait_alu 0xf1ff
	s_delay_alu instid0(VALU_DEP_2)
	v_add_co_ci_u32_e64 v8, null, 0, v31, s0
	v_cmp_eq_u32_e64 s0, s27, v28
	global_load_b128 v[1:4], v[7:8], off
	s_wait_loadcnt 0x0
	v_lshrrev_b32_e32 v40, 16, v1
	v_lshrrev_b32_e32 v39, 16, v2
	;; [unrolled: 1-line block ×3, first 2 shown]
	s_and_saveexec_b32 s7, s0
	s_cbranch_execz .LBB104_38
; %bb.37:                               ;   in Loop: Header=BB104_36 Depth=1
	v_add_nc_u32_e32 v41, -6, v19
	v_cmp_gt_i32_e64 s1, s25, v23
	v_add_nc_u32_e32 v42, -5, v19
	v_add_nc_u32_e32 v43, -4, v19
	;; [unrolled: 1-line block ×3, first 2 shown]
	s_wait_alu 0xf1ff
	v_cndmask_b32_e64 v1, 0, v1, s1
	v_cmp_gt_i32_e64 s1, s25, v41
	v_add_nc_u32_e32 v41, -1, v19
	s_wait_alu 0xf1ff
	s_delay_alu instid0(VALU_DEP_2) | instskip(SKIP_4) | instid1(VALU_DEP_3)
	v_cndmask_b32_e64 v40, 0, v40, s1
	v_cmp_gt_i32_e64 s1, s25, v42
	v_and_b32_e32 v42, 0xffff, v4
	v_and_b32_e32 v4, 0xffff0000, v4
	s_wait_alu 0xf1ff
	v_cndmask_b32_e64 v2, 0, v2, s1
	v_cmp_gt_i32_e64 s1, s25, v43
	v_add_nc_u32_e32 v43, -3, v19
	s_wait_alu 0xf1ff
	s_delay_alu instid0(VALU_DEP_2) | instskip(SKIP_2) | instid1(VALU_DEP_1)
	v_cndmask_b32_e64 v39, 0, v39, s1
	v_cmp_gt_i32_e64 s1, s25, v41
	s_wait_alu 0xf1ff
	v_cndmask_b32_e64 v41, 0, v42, s1
	v_cmp_gt_i32_e64 s1, s25, v19
	s_wait_alu 0xf1ff
	s_delay_alu instid0(VALU_DEP_1) | instskip(SKIP_1) | instid1(VALU_DEP_2)
	v_cndmask_b32_e64 v4, 0, v4, s1
	v_cmp_gt_i32_e64 s1, s25, v43
	v_or_b32_e32 v4, v41, v4
	s_wait_alu 0xf1ff
	s_delay_alu instid0(VALU_DEP_2) | instskip(SKIP_2) | instid1(VALU_DEP_1)
	v_cndmask_b32_e64 v3, 0, v3, s1
	v_cmp_gt_i32_e64 s1, s25, v44
	s_wait_alu 0xf1ff
	v_cndmask_b32_e64 v38, 0, v38, s1
.LBB104_38:                             ;   in Loop: Header=BB104_36 Depth=1
	s_wait_alu 0xfffe
	s_or_b32 exec_lo, exec_lo, s7
	v_and_b32_e32 v33, 0xffff, v33
	v_and_b32_e32 v36, 0xffff, v36
	v_lshlrev_b32_e32 v40, 16, v40
	v_and_b32_e32 v37, 0xffff, v37
	v_and_b32_e32 v35, 0xffff, v35
	v_lshl_or_b32 v33, v24, 16, v33
	v_lshl_or_b32 v32, v32, 16, v36
	v_lshlrev_b32_e32 v24, 16, v39
	v_lshlrev_b32_e32 v36, 16, v38
	v_and_or_b32 v1, 0xffff, v1, v40
	;;#ASMSTART
	v_pk_mul_f16 v1, v33, v1;

	;;#ASMEND
	v_lshl_or_b32 v34, v34, 16, v37
	v_and_or_b32 v2, 0xffff, v2, v24
	v_and_or_b32 v3, 0xffff, v3, v36
	v_lshl_or_b32 v35, v29, 16, v35
	;;#ASMSTART
	v_pk_mul_f16 v2, v32, v2;

	;;#ASMEND
	;;#ASMSTART
	v_pk_mul_f16 v3, v34, v3;

	;;#ASMEND
	;; [unrolled: 4-line block ×3, first 2 shown]
	;;#ASMSTART
	v_pk_add_f16 v1, v1, v2;

	;;#ASMEND
	;;#ASMSTART
	v_pk_add_f16 v1, v1, v3;

	;;#ASMEND
	;; [unrolled: 4-line block ×3, first 2 shown]
	v_and_b32_e32 v2, 0xffff, v1
	v_lshrrev_b32_e32 v1, 16, v1
	;;#ASMSTART
	v_cvt_f32_f16 v24, v2;
	;;#ASMEND
	;;#ASMSTART
	v_cvt_f32_f16 v29, v1;
	;;#ASMEND
	global_load_b128 v[1:4], v[7:8], off offset:512
	s_wait_loadcnt 0x0
	v_lshrrev_b32_e32 v38, 16, v1
	v_lshrrev_b32_e32 v37, 16, v2
	;; [unrolled: 1-line block ×3, first 2 shown]
	s_and_saveexec_b32 s7, s0
	s_cbranch_execz .LBB104_40
; %bb.39:                               ;   in Loop: Header=BB104_36 Depth=1
	v_add_nc_u32_e32 v39, -6, v19
	v_cmp_gt_i32_e64 s1, s25, v23
	v_add_nc_u32_e32 v40, -5, v19
	v_add_nc_u32_e32 v41, -4, v19
	;; [unrolled: 1-line block ×3, first 2 shown]
	s_wait_alu 0xf1ff
	v_cndmask_b32_e64 v1, 0, v1, s1
	v_cmp_gt_i32_e64 s1, s25, v39
	v_add_nc_u32_e32 v39, -1, v19
	s_wait_alu 0xf1ff
	s_delay_alu instid0(VALU_DEP_2) | instskip(SKIP_4) | instid1(VALU_DEP_3)
	v_cndmask_b32_e64 v38, 0, v38, s1
	v_cmp_gt_i32_e64 s1, s25, v40
	v_and_b32_e32 v40, 0xffff, v4
	v_and_b32_e32 v4, 0xffff0000, v4
	s_wait_alu 0xf1ff
	v_cndmask_b32_e64 v2, 0, v2, s1
	v_cmp_gt_i32_e64 s1, s25, v41
	v_add_nc_u32_e32 v41, -3, v19
	s_wait_alu 0xf1ff
	s_delay_alu instid0(VALU_DEP_2) | instskip(SKIP_2) | instid1(VALU_DEP_1)
	v_cndmask_b32_e64 v37, 0, v37, s1
	v_cmp_gt_i32_e64 s1, s25, v39
	s_wait_alu 0xf1ff
	v_cndmask_b32_e64 v39, 0, v40, s1
	v_cmp_gt_i32_e64 s1, s25, v19
	s_wait_alu 0xf1ff
	s_delay_alu instid0(VALU_DEP_1) | instskip(SKIP_1) | instid1(VALU_DEP_2)
	v_cndmask_b32_e64 v4, 0, v4, s1
	v_cmp_gt_i32_e64 s1, s25, v41
	v_or_b32_e32 v4, v39, v4
	s_wait_alu 0xf1ff
	s_delay_alu instid0(VALU_DEP_2) | instskip(SKIP_2) | instid1(VALU_DEP_1)
	v_cndmask_b32_e64 v3, 0, v3, s1
	v_cmp_gt_i32_e64 s1, s25, v42
	s_wait_alu 0xf1ff
	v_cndmask_b32_e64 v36, 0, v36, s1
.LBB104_40:                             ;   in Loop: Header=BB104_36 Depth=1
	s_wait_alu 0xfffe
	s_or_b32 exec_lo, exec_lo, s7
	v_lshlrev_b32_e32 v38, 16, v38
	v_lshlrev_b32_e32 v37, 16, v37
	;; [unrolled: 1-line block ×3, first 2 shown]
	s_delay_alu instid0(VALU_DEP_3) | instskip(NEXT) | instid1(VALU_DEP_3)
	v_and_or_b32 v1, 0xffff, v1, v38
	v_and_or_b32 v2, 0xffff, v2, v37
	s_delay_alu instid0(VALU_DEP_3)
	v_and_or_b32 v3, 0xffff, v3, v36
	;;#ASMSTART
	v_pk_mul_f16 v1, v33, v1;

	;;#ASMEND
	;;#ASMSTART
	v_pk_mul_f16 v2, v32, v2;

	;;#ASMEND
	;; [unrolled: 4-line block ×4, first 2 shown]
	;;#ASMSTART
	v_pk_add_f16 v1, v1, v2;

	;;#ASMEND
	;;#ASMSTART
	v_pk_add_f16 v1, v1, v3;

	;;#ASMEND
	;; [unrolled: 4-line block ×3, first 2 shown]
	v_and_b32_e32 v2, 0xffff, v1
	v_lshrrev_b32_e32 v1, 16, v1
	;;#ASMSTART
	v_cvt_f32_f16 v36, v2;
	;;#ASMEND
	;;#ASMSTART
	v_cvt_f32_f16 v37, v1;
	;;#ASMEND
	global_load_b128 v[1:4], v[7:8], off offset:1024
	s_wait_loadcnt 0x0
	v_lshrrev_b32_e32 v40, 16, v1
	v_lshrrev_b32_e32 v39, 16, v2
	;; [unrolled: 1-line block ×3, first 2 shown]
	s_and_saveexec_b32 s7, s0
	s_cbranch_execz .LBB104_42
; %bb.41:                               ;   in Loop: Header=BB104_36 Depth=1
	v_add_nc_u32_e32 v41, -6, v19
	v_cmp_gt_i32_e64 s1, s25, v23
	v_add_nc_u32_e32 v42, -5, v19
	v_add_nc_u32_e32 v43, -4, v19
	;; [unrolled: 1-line block ×3, first 2 shown]
	s_wait_alu 0xf1ff
	v_cndmask_b32_e64 v1, 0, v1, s1
	v_cmp_gt_i32_e64 s1, s25, v41
	v_add_nc_u32_e32 v41, -1, v19
	s_wait_alu 0xf1ff
	s_delay_alu instid0(VALU_DEP_2) | instskip(SKIP_4) | instid1(VALU_DEP_3)
	v_cndmask_b32_e64 v40, 0, v40, s1
	v_cmp_gt_i32_e64 s1, s25, v42
	v_and_b32_e32 v42, 0xffff, v4
	v_and_b32_e32 v4, 0xffff0000, v4
	s_wait_alu 0xf1ff
	v_cndmask_b32_e64 v2, 0, v2, s1
	v_cmp_gt_i32_e64 s1, s25, v43
	v_add_nc_u32_e32 v43, -3, v19
	s_wait_alu 0xf1ff
	s_delay_alu instid0(VALU_DEP_2) | instskip(SKIP_2) | instid1(VALU_DEP_1)
	v_cndmask_b32_e64 v39, 0, v39, s1
	v_cmp_gt_i32_e64 s1, s25, v41
	s_wait_alu 0xf1ff
	v_cndmask_b32_e64 v41, 0, v42, s1
	v_cmp_gt_i32_e64 s1, s25, v19
	s_wait_alu 0xf1ff
	s_delay_alu instid0(VALU_DEP_1) | instskip(SKIP_1) | instid1(VALU_DEP_2)
	v_cndmask_b32_e64 v4, 0, v4, s1
	v_cmp_gt_i32_e64 s1, s25, v43
	v_or_b32_e32 v4, v41, v4
	s_wait_alu 0xf1ff
	s_delay_alu instid0(VALU_DEP_2) | instskip(SKIP_2) | instid1(VALU_DEP_1)
	v_cndmask_b32_e64 v3, 0, v3, s1
	v_cmp_gt_i32_e64 s1, s25, v44
	s_wait_alu 0xf1ff
	v_cndmask_b32_e64 v38, 0, v38, s1
.LBB104_42:                             ;   in Loop: Header=BB104_36 Depth=1
	s_wait_alu 0xfffe
	s_or_b32 exec_lo, exec_lo, s7
	v_lshlrev_b32_e32 v40, 16, v40
	v_lshlrev_b32_e32 v39, 16, v39
	;; [unrolled: 1-line block ×3, first 2 shown]
	s_delay_alu instid0(VALU_DEP_3) | instskip(NEXT) | instid1(VALU_DEP_3)
	v_and_or_b32 v1, 0xffff, v1, v40
	v_and_or_b32 v2, 0xffff, v2, v39
	s_delay_alu instid0(VALU_DEP_3)
	v_and_or_b32 v3, 0xffff, v3, v38
	;;#ASMSTART
	v_pk_mul_f16 v1, v33, v1;

	;;#ASMEND
	;;#ASMSTART
	v_pk_mul_f16 v2, v32, v2;

	;;#ASMEND
	;; [unrolled: 4-line block ×4, first 2 shown]
	;;#ASMSTART
	v_pk_add_f16 v1, v1, v2;

	;;#ASMEND
	;;#ASMSTART
	v_pk_add_f16 v1, v1, v3;

	;;#ASMEND
	;;#ASMSTART
	v_pk_add_f16 v1, v1, v4;

	;;#ASMEND
	v_and_b32_e32 v2, 0xffff, v1
	v_lshrrev_b32_e32 v1, 16, v1
	;;#ASMSTART
	v_cvt_f32_f16 v38, v2;
	;;#ASMEND
	;;#ASMSTART
	v_cvt_f32_f16 v39, v1;
	;;#ASMEND
	global_load_b128 v[1:4], v[7:8], off offset:1536
	s_wait_loadcnt 0x0
	v_lshrrev_b32_e32 v42, 16, v1
	v_lshrrev_b32_e32 v41, 16, v2
	;; [unrolled: 1-line block ×3, first 2 shown]
	s_and_saveexec_b32 s7, s0
	s_cbranch_execz .LBB104_44
; %bb.43:                               ;   in Loop: Header=BB104_36 Depth=1
	v_add_nc_u32_e32 v43, -6, v19
	v_cmp_gt_i32_e64 s1, s25, v23
	v_add_nc_u32_e32 v44, -5, v19
	v_add_nc_u32_e32 v45, -4, v19
	;; [unrolled: 1-line block ×3, first 2 shown]
	s_wait_alu 0xf1ff
	v_cndmask_b32_e64 v1, 0, v1, s1
	v_cmp_gt_i32_e64 s1, s25, v43
	v_add_nc_u32_e32 v43, -1, v19
	s_wait_alu 0xf1ff
	s_delay_alu instid0(VALU_DEP_2) | instskip(SKIP_4) | instid1(VALU_DEP_3)
	v_cndmask_b32_e64 v42, 0, v42, s1
	v_cmp_gt_i32_e64 s1, s25, v44
	v_and_b32_e32 v44, 0xffff, v4
	v_and_b32_e32 v4, 0xffff0000, v4
	s_wait_alu 0xf1ff
	v_cndmask_b32_e64 v2, 0, v2, s1
	v_cmp_gt_i32_e64 s1, s25, v45
	v_add_nc_u32_e32 v45, -3, v19
	s_wait_alu 0xf1ff
	s_delay_alu instid0(VALU_DEP_2) | instskip(SKIP_2) | instid1(VALU_DEP_1)
	v_cndmask_b32_e64 v41, 0, v41, s1
	v_cmp_gt_i32_e64 s1, s25, v43
	s_wait_alu 0xf1ff
	v_cndmask_b32_e64 v43, 0, v44, s1
	v_cmp_gt_i32_e64 s1, s25, v19
	s_wait_alu 0xf1ff
	s_delay_alu instid0(VALU_DEP_1) | instskip(SKIP_1) | instid1(VALU_DEP_2)
	v_cndmask_b32_e64 v4, 0, v4, s1
	v_cmp_gt_i32_e64 s1, s25, v45
	v_or_b32_e32 v4, v43, v4
	s_wait_alu 0xf1ff
	s_delay_alu instid0(VALU_DEP_2) | instskip(SKIP_2) | instid1(VALU_DEP_1)
	v_cndmask_b32_e64 v3, 0, v3, s1
	v_cmp_gt_i32_e64 s1, s25, v46
	s_wait_alu 0xf1ff
	v_cndmask_b32_e64 v40, 0, v40, s1
.LBB104_44:                             ;   in Loop: Header=BB104_36 Depth=1
	s_wait_alu 0xfffe
	s_or_b32 exec_lo, exec_lo, s7
	v_lshlrev_b32_e32 v42, 16, v42
	v_lshlrev_b32_e32 v41, 16, v41
	;; [unrolled: 1-line block ×3, first 2 shown]
	s_delay_alu instid0(VALU_DEP_3) | instskip(NEXT) | instid1(VALU_DEP_3)
	v_and_or_b32 v1, 0xffff, v1, v42
	v_and_or_b32 v2, 0xffff, v2, v41
	s_delay_alu instid0(VALU_DEP_3)
	v_and_or_b32 v3, 0xffff, v3, v40
	;;#ASMSTART
	v_pk_mul_f16 v1, v33, v1;

	;;#ASMEND
	;;#ASMSTART
	v_pk_mul_f16 v2, v32, v2;

	;;#ASMEND
	;; [unrolled: 4-line block ×4, first 2 shown]
	;;#ASMSTART
	v_pk_add_f16 v1, v1, v2;

	;;#ASMEND
	;;#ASMSTART
	v_pk_add_f16 v1, v1, v3;

	;;#ASMEND
	;; [unrolled: 4-line block ×3, first 2 shown]
	v_and_b32_e32 v2, 0xffff, v1
	v_lshrrev_b32_e32 v1, 16, v1
	;;#ASMSTART
	v_cvt_f32_f16 v40, v2;
	;;#ASMEND
	;;#ASMSTART
	v_cvt_f32_f16 v41, v1;
	;;#ASMEND
	global_load_b128 v[1:4], v[7:8], off offset:2048
	s_wait_loadcnt 0x0
	v_lshrrev_b32_e32 v44, 16, v1
	v_lshrrev_b32_e32 v43, 16, v2
	;; [unrolled: 1-line block ×3, first 2 shown]
	s_and_saveexec_b32 s7, s0
	s_cbranch_execz .LBB104_46
; %bb.45:                               ;   in Loop: Header=BB104_36 Depth=1
	v_add_nc_u32_e32 v45, -6, v19
	v_cmp_gt_i32_e64 s1, s25, v23
	v_add_nc_u32_e32 v46, -5, v19
	v_add_nc_u32_e32 v47, -4, v19
	;; [unrolled: 1-line block ×3, first 2 shown]
	s_wait_alu 0xf1ff
	v_cndmask_b32_e64 v1, 0, v1, s1
	v_cmp_gt_i32_e64 s1, s25, v45
	v_add_nc_u32_e32 v45, -1, v19
	s_wait_alu 0xf1ff
	s_delay_alu instid0(VALU_DEP_2) | instskip(SKIP_4) | instid1(VALU_DEP_3)
	v_cndmask_b32_e64 v44, 0, v44, s1
	v_cmp_gt_i32_e64 s1, s25, v46
	v_and_b32_e32 v46, 0xffff, v4
	v_and_b32_e32 v4, 0xffff0000, v4
	s_wait_alu 0xf1ff
	v_cndmask_b32_e64 v2, 0, v2, s1
	v_cmp_gt_i32_e64 s1, s25, v47
	v_add_nc_u32_e32 v47, -3, v19
	s_wait_alu 0xf1ff
	s_delay_alu instid0(VALU_DEP_2) | instskip(SKIP_2) | instid1(VALU_DEP_1)
	v_cndmask_b32_e64 v43, 0, v43, s1
	v_cmp_gt_i32_e64 s1, s25, v45
	s_wait_alu 0xf1ff
	v_cndmask_b32_e64 v45, 0, v46, s1
	v_cmp_gt_i32_e64 s1, s25, v19
	s_wait_alu 0xf1ff
	s_delay_alu instid0(VALU_DEP_1) | instskip(SKIP_1) | instid1(VALU_DEP_2)
	v_cndmask_b32_e64 v4, 0, v4, s1
	v_cmp_gt_i32_e64 s1, s25, v47
	v_or_b32_e32 v4, v45, v4
	s_wait_alu 0xf1ff
	s_delay_alu instid0(VALU_DEP_2) | instskip(SKIP_2) | instid1(VALU_DEP_1)
	v_cndmask_b32_e64 v3, 0, v3, s1
	v_cmp_gt_i32_e64 s1, s25, v48
	s_wait_alu 0xf1ff
	v_cndmask_b32_e64 v42, 0, v42, s1
.LBB104_46:                             ;   in Loop: Header=BB104_36 Depth=1
	s_wait_alu 0xfffe
	s_or_b32 exec_lo, exec_lo, s7
	v_lshlrev_b32_e32 v44, 16, v44
	v_lshlrev_b32_e32 v43, 16, v43
	v_lshlrev_b32_e32 v42, 16, v42
	s_delay_alu instid0(VALU_DEP_3) | instskip(NEXT) | instid1(VALU_DEP_3)
	v_and_or_b32 v1, 0xffff, v1, v44
	v_and_or_b32 v2, 0xffff, v2, v43
	s_delay_alu instid0(VALU_DEP_3)
	v_and_or_b32 v3, 0xffff, v3, v42
	;;#ASMSTART
	v_pk_mul_f16 v1, v33, v1;

	;;#ASMEND
	;;#ASMSTART
	v_pk_mul_f16 v2, v32, v2;

	;;#ASMEND
	;;#ASMSTART
	v_pk_mul_f16 v3, v34, v3;

	;;#ASMEND
	;;#ASMSTART
	v_pk_mul_f16 v4, v35, v4;

	;;#ASMEND
	;;#ASMSTART
	v_pk_add_f16 v1, v1, v2;

	;;#ASMEND
	;;#ASMSTART
	v_pk_add_f16 v1, v1, v3;

	;;#ASMEND
	;; [unrolled: 4-line block ×3, first 2 shown]
	v_and_b32_e32 v2, 0xffff, v1
	v_lshrrev_b32_e32 v1, 16, v1
	;;#ASMSTART
	v_cvt_f32_f16 v42, v2;
	;;#ASMEND
	;;#ASMSTART
	v_cvt_f32_f16 v43, v1;
	;;#ASMEND
	global_load_b128 v[1:4], v[7:8], off offset:2560
	s_wait_loadcnt 0x0
	v_lshrrev_b32_e32 v46, 16, v1
	v_lshrrev_b32_e32 v45, 16, v2
	;; [unrolled: 1-line block ×3, first 2 shown]
	s_and_saveexec_b32 s7, s0
	s_cbranch_execz .LBB104_48
; %bb.47:                               ;   in Loop: Header=BB104_36 Depth=1
	v_add_nc_u32_e32 v47, -6, v19
	v_cmp_gt_i32_e64 s1, s25, v23
	v_add_nc_u32_e32 v48, -5, v19
	v_add_nc_u32_e32 v49, -4, v19
	;; [unrolled: 1-line block ×3, first 2 shown]
	s_wait_alu 0xf1ff
	v_cndmask_b32_e64 v1, 0, v1, s1
	v_cmp_gt_i32_e64 s1, s25, v47
	v_add_nc_u32_e32 v47, -1, v19
	s_wait_alu 0xf1ff
	s_delay_alu instid0(VALU_DEP_2) | instskip(SKIP_4) | instid1(VALU_DEP_3)
	v_cndmask_b32_e64 v46, 0, v46, s1
	v_cmp_gt_i32_e64 s1, s25, v48
	v_and_b32_e32 v48, 0xffff, v4
	v_and_b32_e32 v4, 0xffff0000, v4
	s_wait_alu 0xf1ff
	v_cndmask_b32_e64 v2, 0, v2, s1
	v_cmp_gt_i32_e64 s1, s25, v49
	v_add_nc_u32_e32 v49, -3, v19
	s_wait_alu 0xf1ff
	s_delay_alu instid0(VALU_DEP_2) | instskip(SKIP_2) | instid1(VALU_DEP_1)
	v_cndmask_b32_e64 v45, 0, v45, s1
	v_cmp_gt_i32_e64 s1, s25, v47
	s_wait_alu 0xf1ff
	v_cndmask_b32_e64 v47, 0, v48, s1
	v_cmp_gt_i32_e64 s1, s25, v19
	s_wait_alu 0xf1ff
	s_delay_alu instid0(VALU_DEP_1) | instskip(SKIP_1) | instid1(VALU_DEP_2)
	v_cndmask_b32_e64 v4, 0, v4, s1
	v_cmp_gt_i32_e64 s1, s25, v49
	v_or_b32_e32 v4, v47, v4
	s_wait_alu 0xf1ff
	s_delay_alu instid0(VALU_DEP_2) | instskip(SKIP_2) | instid1(VALU_DEP_1)
	v_cndmask_b32_e64 v3, 0, v3, s1
	v_cmp_gt_i32_e64 s1, s25, v50
	s_wait_alu 0xf1ff
	v_cndmask_b32_e64 v44, 0, v44, s1
.LBB104_48:                             ;   in Loop: Header=BB104_36 Depth=1
	s_wait_alu 0xfffe
	s_or_b32 exec_lo, exec_lo, s7
	v_lshlrev_b32_e32 v46, 16, v46
	v_lshlrev_b32_e32 v45, 16, v45
	;; [unrolled: 1-line block ×3, first 2 shown]
	s_delay_alu instid0(VALU_DEP_3) | instskip(NEXT) | instid1(VALU_DEP_3)
	v_and_or_b32 v1, 0xffff, v1, v46
	v_and_or_b32 v2, 0xffff, v2, v45
	s_delay_alu instid0(VALU_DEP_3)
	v_and_or_b32 v3, 0xffff, v3, v44
	;;#ASMSTART
	v_pk_mul_f16 v1, v33, v1;

	;;#ASMEND
	;;#ASMSTART
	v_pk_mul_f16 v2, v32, v2;

	;;#ASMEND
	;; [unrolled: 4-line block ×4, first 2 shown]
	;;#ASMSTART
	v_pk_add_f16 v1, v1, v2;

	;;#ASMEND
	;;#ASMSTART
	v_pk_add_f16 v1, v1, v3;

	;;#ASMEND
	;;#ASMSTART
	v_pk_add_f16 v1, v1, v4;

	;;#ASMEND
	v_and_b32_e32 v2, 0xffff, v1
	v_lshrrev_b32_e32 v1, 16, v1
	;;#ASMSTART
	v_cvt_f32_f16 v44, v2;
	;;#ASMEND
	;;#ASMSTART
	v_cvt_f32_f16 v45, v1;
	;;#ASMEND
	global_load_b128 v[1:4], v[7:8], off offset:3072
	s_wait_loadcnt 0x0
	v_lshrrev_b32_e32 v46, 16, v1
	v_lshrrev_b32_e32 v8, 16, v2
	;; [unrolled: 1-line block ×3, first 2 shown]
	s_and_saveexec_b32 s7, s0
	s_cbranch_execz .LBB104_50
; %bb.49:                               ;   in Loop: Header=BB104_36 Depth=1
	v_add_nc_u32_e32 v47, -6, v19
	v_cmp_gt_i32_e64 s1, s25, v23
	v_add_nc_u32_e32 v48, -5, v19
	v_add_nc_u32_e32 v49, -4, v19
	;; [unrolled: 1-line block ×3, first 2 shown]
	s_wait_alu 0xf1ff
	v_cndmask_b32_e64 v1, 0, v1, s1
	v_cmp_gt_i32_e64 s1, s25, v47
	v_add_nc_u32_e32 v47, -1, v19
	s_wait_alu 0xf1ff
	s_delay_alu instid0(VALU_DEP_2) | instskip(SKIP_4) | instid1(VALU_DEP_3)
	v_cndmask_b32_e64 v46, 0, v46, s1
	v_cmp_gt_i32_e64 s1, s25, v48
	v_and_b32_e32 v48, 0xffff, v4
	v_and_b32_e32 v4, 0xffff0000, v4
	s_wait_alu 0xf1ff
	v_cndmask_b32_e64 v2, 0, v2, s1
	v_cmp_gt_i32_e64 s1, s25, v49
	v_add_nc_u32_e32 v49, -3, v19
	s_wait_alu 0xf1ff
	s_delay_alu instid0(VALU_DEP_2) | instskip(SKIP_2) | instid1(VALU_DEP_1)
	v_cndmask_b32_e64 v8, 0, v8, s1
	v_cmp_gt_i32_e64 s1, s25, v47
	s_wait_alu 0xf1ff
	v_cndmask_b32_e64 v47, 0, v48, s1
	v_cmp_gt_i32_e64 s1, s25, v19
	s_wait_alu 0xf1ff
	s_delay_alu instid0(VALU_DEP_1) | instskip(SKIP_1) | instid1(VALU_DEP_2)
	v_cndmask_b32_e64 v4, 0, v4, s1
	v_cmp_gt_i32_e64 s1, s25, v49
	v_or_b32_e32 v4, v47, v4
	s_wait_alu 0xf1ff
	s_delay_alu instid0(VALU_DEP_2) | instskip(SKIP_2) | instid1(VALU_DEP_1)
	v_cndmask_b32_e64 v3, 0, v3, s1
	v_cmp_gt_i32_e64 s1, s25, v50
	s_wait_alu 0xf1ff
	v_cndmask_b32_e64 v7, 0, v7, s1
.LBB104_50:                             ;   in Loop: Header=BB104_36 Depth=1
	s_wait_alu 0xfffe
	s_or_b32 exec_lo, exec_lo, s7
	v_lshlrev_b32_e32 v46, 16, v46
	v_lshlrev_b32_e32 v8, 16, v8
	;; [unrolled: 1-line block ×3, first 2 shown]
	s_delay_alu instid0(VALU_DEP_3) | instskip(NEXT) | instid1(VALU_DEP_3)
	v_and_or_b32 v1, 0xffff, v1, v46
	v_and_or_b32 v2, 0xffff, v2, v8
	s_delay_alu instid0(VALU_DEP_3)
	v_and_or_b32 v3, 0xffff, v3, v7
	;;#ASMSTART
	v_pk_mul_f16 v1, v33, v1;

	;;#ASMEND
	;;#ASMSTART
	v_pk_mul_f16 v2, v32, v2;

	;;#ASMEND
	;; [unrolled: 4-line block ×4, first 2 shown]
	;;#ASMSTART
	v_pk_add_f16 v1, v1, v2;

	;;#ASMEND
	;;#ASMSTART
	v_pk_add_f16 v1, v1, v3;

	;;#ASMEND
	;; [unrolled: 4-line block ×3, first 2 shown]
	v_and_b32_e32 v2, 0xffff, v1
	v_lshrrev_b32_e32 v1, 16, v1
	;;#ASMSTART
	v_cvt_f32_f16 v7, v2;
	;;#ASMEND
	;;#ASMSTART
	v_cvt_f32_f16 v8, v1;
	;;#ASMEND
	s_and_saveexec_b32 s7, vcc_lo
	s_cbranch_execz .LBB104_35
; %bb.51:                               ;   in Loop: Header=BB104_36 Depth=1
	v_add_co_u32 v1, s1, v30, v22
	s_wait_alu 0xf1ff
	v_add_co_ci_u32_e64 v2, null, 0, v31, s1
	global_load_b128 v[1:4], v[1:2], off
	s_wait_loadcnt 0x0
	v_lshrrev_b32_e32 v46, 16, v1
	v_lshrrev_b32_e32 v31, 16, v2
	v_lshrrev_b32_e32 v30, 16, v3
	s_and_saveexec_b32 s1, s0
	s_cbranch_execz .LBB104_34
; %bb.52:                               ;   in Loop: Header=BB104_36 Depth=1
	v_add_nc_u32_e32 v47, -6, v19
	v_cmp_gt_i32_e64 s0, s25, v23
	v_add_nc_u32_e32 v48, -5, v19
	v_add_nc_u32_e32 v23, -4, v19
	;; [unrolled: 1-line block ×3, first 2 shown]
	s_wait_alu 0xf1ff
	v_cndmask_b32_e64 v1, 0, v1, s0
	v_cmp_gt_i32_e64 s0, s25, v47
	v_and_b32_e32 v47, 0xffff, v4
	v_and_b32_e32 v4, 0xffff0000, v4
	s_wait_alu 0xf1ff
	s_delay_alu instid0(VALU_DEP_3) | instskip(SKIP_3) | instid1(VALU_DEP_2)
	v_cndmask_b32_e64 v46, 0, v46, s0
	v_cmp_gt_i32_e64 s0, s25, v48
	v_add_nc_u32_e32 v48, -3, v19
	s_wait_alu 0xf1ff
	v_cndmask_b32_e64 v2, 0, v2, s0
	v_cmp_gt_i32_e64 s0, s25, v23
	v_add_nc_u32_e32 v23, -1, v19
	s_wait_alu 0xf1ff
	s_delay_alu instid0(VALU_DEP_2) | instskip(NEXT) | instid1(VALU_DEP_2)
	v_cndmask_b32_e64 v31, 0, v31, s0
	v_cmp_gt_i32_e64 s0, s25, v23
	s_wait_alu 0xf1ff
	s_delay_alu instid0(VALU_DEP_1) | instskip(SKIP_2) | instid1(VALU_DEP_1)
	v_cndmask_b32_e64 v23, 0, v47, s0
	v_cmp_gt_i32_e64 s0, s25, v19
	s_wait_alu 0xf1ff
	v_cndmask_b32_e64 v4, 0, v4, s0
	v_cmp_gt_i32_e64 s0, s25, v48
	s_delay_alu instid0(VALU_DEP_2) | instskip(SKIP_1) | instid1(VALU_DEP_2)
	v_or_b32_e32 v4, v23, v4
	s_wait_alu 0xf1ff
	v_cndmask_b32_e64 v3, 0, v3, s0
	v_cmp_gt_i32_e64 s0, s25, v49
	s_wait_alu 0xf1ff
	s_delay_alu instid0(VALU_DEP_1)
	v_cndmask_b32_e64 v30, 0, v30, s0
	s_branch .LBB104_34
.LBB104_53:
	s_or_b32 exec_lo, exec_lo, s6
.LBB104_54:
	s_delay_alu instid0(SALU_CYCLE_1)
	s_or_b32 exec_lo, exec_lo, s4
	ds_bpermute_b32 v1, v10, v17
	ds_bpermute_b32 v2, v10, v18
	ds_bpermute_b32 v3, v10, v16
	ds_bpermute_b32 v4, v10, v15
	ds_bpermute_b32 v19, v10, v14
	ds_bpermute_b32 v20, v10, v13
	ds_bpermute_b32 v21, v10, v12
	ds_bpermute_b32 v22, v10, v11
	s_movk_i32 s0, 0x1e0
	v_and_b32_e32 v23, 0x3c0, v0
	s_wait_alu 0xfffe
	v_mad_u32_u24 v10, v27, s0, 0x110
	s_mov_b32 s1, exec_lo
	v_cmp_eq_u32_e32 vcc_lo, 0, v26
	s_wait_storecnt 0x0
	s_wait_loadcnt_dscnt 0x0
	s_barrier_signal -1
	s_barrier_wait -1
	global_inv scope:SCOPE_SE
	v_dual_add_f32 v8, v17, v1 :: v_dual_add_f32 v7, v18, v2
	v_dual_add_f32 v6, v16, v3 :: v_dual_add_f32 v5, v15, v4
	;; [unrolled: 1-line block ×4, first 2 shown]
	v_cmpx_eq_u32_e32 64, v23
	s_cbranch_execz .LBB104_59
; %bb.55:
	v_add_nc_u32_e32 v11, 0xfffffc40, v10
	s_and_saveexec_b32 s0, vcc_lo
	s_cbranch_execz .LBB104_57
; %bb.56:
	s_delay_alu instid0(VALU_DEP_1)
	v_lshl_add_u32 v12, v9, 2, v11
	ds_store_2addr_b32 v12, v8, v7 offset1:16
	ds_store_2addr_b32 v12, v6, v5 offset0:32 offset1:48
	ds_store_2addr_b32 v12, v4, v3 offset0:64 offset1:80
	ds_store_b32 v12, v2 offset:384
.LBB104_57:
	s_wait_alu 0xfffe
	s_or_b32 exec_lo, exec_lo, s0
	v_or_b32_e32 v12, 0x70, v9
	s_delay_alu instid0(VALU_DEP_1)
	v_cmp_gt_u32_e64 s0, 0x78, v12
	s_and_b32 s0, vcc_lo, s0
	s_wait_alu 0xfffe
	s_and_b32 exec_lo, exec_lo, s0
; %bb.58:
	v_lshl_add_u32 v11, v12, 2, v11
	ds_store_b32 v11, v1
.LBB104_59:
	s_wait_alu 0xfffe
	s_or_b32 exec_lo, exec_lo, s1
	s_delay_alu instid0(SALU_CYCLE_1)
	s_mov_b32 s1, exec_lo
	s_wait_loadcnt_dscnt 0x0
	s_barrier_signal -1
	s_barrier_wait -1
	global_inv scope:SCOPE_SE
	v_cmpx_gt_u32_e32 64, v0
	s_cbranch_execz .LBB104_71
; %bb.60:
	s_and_saveexec_b32 s0, vcc_lo
	s_cbranch_execnz .LBB104_106
; %bb.61:
	s_wait_alu 0xfffe
	s_or_b32 exec_lo, exec_lo, s0
	s_and_saveexec_b32 s0, vcc_lo
	s_cbranch_execnz .LBB104_107
.LBB104_62:
	s_wait_alu 0xfffe
	s_or_b32 exec_lo, exec_lo, s0
	s_and_saveexec_b32 s0, vcc_lo
	s_cbranch_execnz .LBB104_108
.LBB104_63:
	s_wait_alu 0xfffe
	s_or_b32 exec_lo, exec_lo, s0
	s_and_saveexec_b32 s0, vcc_lo
	s_cbranch_execnz .LBB104_109
.LBB104_64:
	s_wait_alu 0xfffe
	s_or_b32 exec_lo, exec_lo, s0
	s_and_saveexec_b32 s0, vcc_lo
	s_cbranch_execnz .LBB104_110
.LBB104_65:
	s_wait_alu 0xfffe
	s_or_b32 exec_lo, exec_lo, s0
	s_and_saveexec_b32 s0, vcc_lo
	s_cbranch_execnz .LBB104_111
.LBB104_66:
	s_wait_alu 0xfffe
	s_or_b32 exec_lo, exec_lo, s0
	s_and_saveexec_b32 s0, vcc_lo
	s_cbranch_execz .LBB104_68
.LBB104_67:
	v_lshl_add_u32 v11, v9, 2, v10
	ds_load_b32 v11, v11 offset:384
	s_wait_dscnt 0x0
	v_add_f32_e32 v2, v2, v11
.LBB104_68:
	s_wait_alu 0xfffe
	s_or_b32 exec_lo, exec_lo, s0
	v_or_b32_e32 v11, 0x70, v9
	s_delay_alu instid0(VALU_DEP_1)
	v_cmp_gt_u32_e64 s0, 0x78, v11
	s_and_b32 s2, vcc_lo, s0
	s_wait_alu 0xfffe
	s_and_saveexec_b32 s0, s2
	s_cbranch_execz .LBB104_70
; %bb.69:
	v_lshl_add_u32 v11, v9, 2, v10
	ds_load_b32 v11, v11 offset:448
	s_wait_dscnt 0x0
	v_add_f32_e32 v1, v1, v11
.LBB104_70:
	s_wait_alu 0xfffe
	s_or_b32 exec_lo, exec_lo, s0
.LBB104_71:
	s_wait_alu 0xfffe
	s_or_b32 exec_lo, exec_lo, s1
	v_and_b32_e32 v11, 0x3e0, v0
	s_mov_b32 s1, exec_lo
	s_wait_loadcnt 0x0
	s_barrier_signal -1
	s_barrier_wait -1
	global_inv scope:SCOPE_SE
	v_cmpx_eq_u32_e32 32, v11
	s_cbranch_execz .LBB104_76
; %bb.72:
	v_lshl_add_u32 v11, v9, 2, 0x110
	s_and_saveexec_b32 s0, vcc_lo
	s_cbranch_execz .LBB104_74
; %bb.73:
	ds_store_2addr_b32 v11, v8, v7 offset1:16
	ds_store_2addr_b32 v11, v6, v5 offset0:32 offset1:48
	ds_store_2addr_b32 v11, v4, v3 offset0:64 offset1:80
	ds_store_b32 v11, v2 offset:384
.LBB104_74:
	s_wait_alu 0xfffe
	s_or_b32 exec_lo, exec_lo, s0
	v_or_b32_e32 v12, 0x70, v9
	s_delay_alu instid0(VALU_DEP_1)
	v_cmp_gt_u32_e64 s0, 0x78, v12
	s_and_b32 s0, vcc_lo, s0
	s_wait_alu 0xfffe
	s_and_b32 exec_lo, exec_lo, s0
; %bb.75:
	ds_store_b32 v11, v1 offset:448
.LBB104_76:
	s_wait_alu 0xfffe
	s_or_b32 exec_lo, exec_lo, s1
	v_cmp_gt_u32_e64 s0, 32, v0
	s_wait_loadcnt_dscnt 0x0
	s_barrier_signal -1
	s_barrier_wait -1
	global_inv scope:SCOPE_SE
	s_and_saveexec_b32 s2, s0
	s_cbranch_execz .LBB104_88
; %bb.77:
	v_lshl_add_u32 v0, v9, 2, v10
	s_and_saveexec_b32 s1, vcc_lo
	s_cbranch_execnz .LBB104_112
; %bb.78:
	s_wait_alu 0xfffe
	s_or_b32 exec_lo, exec_lo, s1
	s_and_saveexec_b32 s1, vcc_lo
	s_cbranch_execnz .LBB104_113
.LBB104_79:
	s_wait_alu 0xfffe
	s_or_b32 exec_lo, exec_lo, s1
	s_and_saveexec_b32 s1, vcc_lo
	s_cbranch_execnz .LBB104_114
.LBB104_80:
	s_wait_alu 0xfffe
	s_or_b32 exec_lo, exec_lo, s1
	s_and_saveexec_b32 s1, vcc_lo
	s_cbranch_execnz .LBB104_115
.LBB104_81:
	s_wait_alu 0xfffe
	s_or_b32 exec_lo, exec_lo, s1
	s_and_saveexec_b32 s1, vcc_lo
	s_cbranch_execnz .LBB104_116
.LBB104_82:
	s_wait_alu 0xfffe
	s_or_b32 exec_lo, exec_lo, s1
	s_and_saveexec_b32 s1, vcc_lo
	s_cbranch_execnz .LBB104_117
.LBB104_83:
	s_wait_alu 0xfffe
	s_or_b32 exec_lo, exec_lo, s1
	s_and_saveexec_b32 s1, vcc_lo
	s_cbranch_execz .LBB104_85
.LBB104_84:
	ds_load_b32 v10, v0 offset:384
	s_wait_dscnt 0x0
	v_add_f32_e32 v2, v2, v10
.LBB104_85:
	s_wait_alu 0xfffe
	s_or_b32 exec_lo, exec_lo, s1
	v_or_b32_e32 v9, 0x70, v9
	s_delay_alu instid0(VALU_DEP_1)
	v_cmp_gt_u32_e64 s1, 0x78, v9
	s_and_b32 s3, vcc_lo, s1
	s_wait_alu 0xfffe
	s_and_saveexec_b32 s1, s3
	s_cbranch_execz .LBB104_87
; %bb.86:
	ds_load_b32 v0, v0 offset:448
	s_wait_dscnt 0x0
	v_add_f32_e32 v1, v1, v0
.LBB104_87:
	s_wait_alu 0xfffe
	s_or_b32 exec_lo, exec_lo, s1
.LBB104_88:
	s_wait_alu 0xfffe
	s_or_b32 exec_lo, exec_lo, s2
	s_wait_loadcnt 0x0
	s_barrier_signal -1
	s_barrier_wait -1
	global_inv scope:SCOPE_SE
	s_and_saveexec_b32 s1, s0
	s_cbranch_execz .LBB104_105
; %bb.89:
	s_mul_i32 s0, s14, 0x78
	s_mul_i32 s2, s8, s12
	s_wait_alu 0xfffe
	s_ashr_i32 s1, s0, 31
	s_ashr_i32 s3, s2, 31
	s_wait_alu 0xfffe
	s_lshl_b64 s[0:1], s[0:1], 1
	s_lshl_b64 s[2:3], s[2:3], 1
	s_wait_alu 0xfffe
	s_add_nc_u64 s[0:1], s[10:11], s[0:1]
	v_lshlrev_b32_e32 v0, 1, v25
	s_mul_i32 s4, s24, 0xf0
	s_wait_alu 0xfffe
	s_add_nc_u64 s[0:1], s[0:1], s[2:3]
	s_mov_b32 s5, 0
	s_wait_alu 0xfffe
	s_add_nc_u64 s[2:3], s[0:1], s[4:5]
	s_and_saveexec_b32 s0, vcc_lo
	s_cbranch_execz .LBB104_91
; %bb.90:
	;;#ASMSTART
	v_cvt_f16_f32 v8, v8;

	;;#ASMEND
	global_store_b16 v0, v8, s[2:3]
.LBB104_91:
	s_wait_alu 0xfffe
	s_or_b32 exec_lo, exec_lo, s0
	v_or_b32_e32 v8, 16, v25
	s_delay_alu instid0(VALU_DEP_1)
	v_cmp_gt_u32_e64 s0, 0x78, v8
	s_and_b32 s1, vcc_lo, s0
	s_wait_alu 0xfffe
	s_and_saveexec_b32 s0, s1
	s_cbranch_execz .LBB104_93
; %bb.92:
	;;#ASMSTART
	v_cvt_f16_f32 v7, v7;

	;;#ASMEND
	global_store_b16 v0, v7, s[2:3] offset:32
.LBB104_93:
	s_wait_alu 0xfffe
	s_or_b32 exec_lo, exec_lo, s0
	v_or_b32_e32 v7, 32, v25
	s_delay_alu instid0(VALU_DEP_1)
	v_cmp_gt_u32_e64 s0, 0x78, v7
	s_and_b32 s1, vcc_lo, s0
	s_wait_alu 0xfffe
	s_and_saveexec_b32 s0, s1
	s_cbranch_execz .LBB104_95
; %bb.94:
	;;#ASMSTART
	v_cvt_f16_f32 v6, v6;

	;;#ASMEND
	global_store_b16 v0, v6, s[2:3] offset:64
.LBB104_95:
	s_wait_alu 0xfffe
	s_or_b32 exec_lo, exec_lo, s0
	v_or_b32_e32 v6, 48, v25
	s_delay_alu instid0(VALU_DEP_1)
	v_cmp_gt_u32_e64 s0, 0x78, v6
	s_and_b32 s1, vcc_lo, s0
	s_wait_alu 0xfffe
	s_and_saveexec_b32 s0, s1
	s_cbranch_execz .LBB104_97
; %bb.96:
	;;#ASMSTART
	v_cvt_f16_f32 v5, v5;

	;;#ASMEND
	global_store_b16 v0, v5, s[2:3] offset:96
.LBB104_97:
	s_wait_alu 0xfffe
	s_or_b32 exec_lo, exec_lo, s0
	v_or_b32_e32 v5, 64, v25
	s_delay_alu instid0(VALU_DEP_1)
	v_cmp_gt_u32_e64 s0, 0x78, v5
	s_and_b32 s1, vcc_lo, s0
	s_wait_alu 0xfffe
	s_and_saveexec_b32 s0, s1
	s_cbranch_execz .LBB104_99
; %bb.98:
	;;#ASMSTART
	v_cvt_f16_f32 v4, v4;

	;;#ASMEND
	global_store_b16 v0, v4, s[2:3] offset:128
.LBB104_99:
	s_wait_alu 0xfffe
	s_or_b32 exec_lo, exec_lo, s0
	v_or_b32_e32 v4, 0x50, v25
	s_delay_alu instid0(VALU_DEP_1)
	v_cmp_gt_u32_e64 s0, 0x78, v4
	s_and_b32 s1, vcc_lo, s0
	s_wait_alu 0xfffe
	s_and_saveexec_b32 s0, s1
	s_cbranch_execz .LBB104_101
; %bb.100:
	;;#ASMSTART
	v_cvt_f16_f32 v3, v3;

	;;#ASMEND
	global_store_b16 v0, v3, s[2:3] offset:160
.LBB104_101:
	s_wait_alu 0xfffe
	s_or_b32 exec_lo, exec_lo, s0
	v_or_b32_e32 v3, 0x60, v25
	s_delay_alu instid0(VALU_DEP_1)
	v_cmp_gt_u32_e64 s0, 0x78, v3
	s_and_b32 s1, vcc_lo, s0
	s_wait_alu 0xfffe
	s_and_saveexec_b32 s0, s1
	s_cbranch_execz .LBB104_103
; %bb.102:
	;;#ASMSTART
	v_cvt_f16_f32 v2, v2;

	;;#ASMEND
	global_store_b16 v0, v2, s[2:3] offset:192
.LBB104_103:
	s_wait_alu 0xfffe
	s_or_b32 exec_lo, exec_lo, s0
	v_or_b32_e32 v2, 0x70, v25
	s_delay_alu instid0(VALU_DEP_1)
	v_cmp_gt_u32_e64 s0, 0x78, v2
	s_and_b32 s0, vcc_lo, s0
	s_wait_alu 0xfffe
	s_and_b32 exec_lo, exec_lo, s0
	s_cbranch_execz .LBB104_105
; %bb.104:
	;;#ASMSTART
	v_cvt_f16_f32 v1, v1;

	;;#ASMEND
	global_store_b16 v0, v1, s[2:3] offset:224
.LBB104_105:
	s_nop 0
	s_sendmsg sendmsg(MSG_DEALLOC_VGPRS)
	s_endpgm
.LBB104_106:
	v_lshl_add_u32 v11, v9, 2, v10
	ds_load_b32 v11, v11
	s_wait_dscnt 0x0
	v_add_f32_e32 v8, v8, v11
	s_wait_alu 0xfffe
	s_or_b32 exec_lo, exec_lo, s0
	s_and_saveexec_b32 s0, vcc_lo
	s_cbranch_execz .LBB104_62
.LBB104_107:
	v_lshl_add_u32 v11, v9, 2, v10
	ds_load_b32 v11, v11 offset:64
	s_wait_dscnt 0x0
	v_add_f32_e32 v7, v7, v11
	s_wait_alu 0xfffe
	s_or_b32 exec_lo, exec_lo, s0
	s_and_saveexec_b32 s0, vcc_lo
	s_cbranch_execz .LBB104_63
.LBB104_108:
	v_lshl_add_u32 v11, v9, 2, v10
	ds_load_b32 v11, v11 offset:128
	s_wait_dscnt 0x0
	v_add_f32_e32 v6, v6, v11
	s_wait_alu 0xfffe
	s_or_b32 exec_lo, exec_lo, s0
	s_and_saveexec_b32 s0, vcc_lo
	s_cbranch_execz .LBB104_64
.LBB104_109:
	v_lshl_add_u32 v11, v9, 2, v10
	ds_load_b32 v11, v11 offset:192
	s_wait_dscnt 0x0
	v_add_f32_e32 v5, v5, v11
	s_wait_alu 0xfffe
	s_or_b32 exec_lo, exec_lo, s0
	s_and_saveexec_b32 s0, vcc_lo
	s_cbranch_execz .LBB104_65
.LBB104_110:
	v_lshl_add_u32 v11, v9, 2, v10
	ds_load_b32 v11, v11 offset:256
	s_wait_dscnt 0x0
	v_add_f32_e32 v4, v4, v11
	s_wait_alu 0xfffe
	s_or_b32 exec_lo, exec_lo, s0
	s_and_saveexec_b32 s0, vcc_lo
	s_cbranch_execz .LBB104_66
.LBB104_111:
	v_lshl_add_u32 v11, v9, 2, v10
	ds_load_b32 v11, v11 offset:320
	s_wait_dscnt 0x0
	v_add_f32_e32 v3, v3, v11
	s_wait_alu 0xfffe
	s_or_b32 exec_lo, exec_lo, s0
	s_and_saveexec_b32 s0, vcc_lo
	s_cbranch_execnz .LBB104_67
	s_branch .LBB104_68
.LBB104_112:
	ds_load_b32 v10, v0
	s_wait_dscnt 0x0
	v_add_f32_e32 v8, v8, v10
	s_wait_alu 0xfffe
	s_or_b32 exec_lo, exec_lo, s1
	s_and_saveexec_b32 s1, vcc_lo
	s_cbranch_execz .LBB104_79
.LBB104_113:
	ds_load_b32 v10, v0 offset:64
	s_wait_dscnt 0x0
	v_add_f32_e32 v7, v7, v10
	s_wait_alu 0xfffe
	s_or_b32 exec_lo, exec_lo, s1
	s_and_saveexec_b32 s1, vcc_lo
	s_cbranch_execz .LBB104_80
.LBB104_114:
	ds_load_b32 v10, v0 offset:128
	s_wait_dscnt 0x0
	v_add_f32_e32 v6, v6, v10
	s_wait_alu 0xfffe
	s_or_b32 exec_lo, exec_lo, s1
	s_and_saveexec_b32 s1, vcc_lo
	s_cbranch_execz .LBB104_81
.LBB104_115:
	ds_load_b32 v10, v0 offset:192
	s_wait_dscnt 0x0
	v_add_f32_e32 v5, v5, v10
	s_wait_alu 0xfffe
	s_or_b32 exec_lo, exec_lo, s1
	s_and_saveexec_b32 s1, vcc_lo
	s_cbranch_execz .LBB104_82
.LBB104_116:
	ds_load_b32 v10, v0 offset:256
	s_wait_dscnt 0x0
	v_add_f32_e32 v4, v4, v10
	s_wait_alu 0xfffe
	s_or_b32 exec_lo, exec_lo, s1
	s_and_saveexec_b32 s1, vcc_lo
	s_cbranch_execz .LBB104_83
.LBB104_117:
	ds_load_b32 v10, v0 offset:320
	s_wait_dscnt 0x0
	v_add_f32_e32 v3, v3, v10
	s_wait_alu 0xfffe
	s_or_b32 exec_lo, exec_lo, s1
	s_and_saveexec_b32 s1, vcc_lo
	s_cbranch_execnz .LBB104_84
	s_branch .LBB104_85
	.section	.rodata,"a",@progbits
	.p2align	6, 0x0
	.amdhsa_kernel _ZN4vllm25paged_attention_v2_kernelIttLi120ELi16ELi128ELNS_18Fp8KVCacheDataTypeE0ELb0ELi512EEEvPfS2_PT_PKS3_PKT0_S9_ifPKiSB_iPKfiiiSD_SD_iiiii
		.amdhsa_group_segment_fixed_size 272
		.amdhsa_private_segment_fixed_size 0
		.amdhsa_kernarg_size 400
		.amdhsa_user_sgpr_count 2
		.amdhsa_user_sgpr_dispatch_ptr 0
		.amdhsa_user_sgpr_queue_ptr 0
		.amdhsa_user_sgpr_kernarg_segment_ptr 1
		.amdhsa_user_sgpr_dispatch_id 0
		.amdhsa_user_sgpr_private_segment_size 0
		.amdhsa_wavefront_size32 1
		.amdhsa_uses_dynamic_stack 0
		.amdhsa_enable_private_segment 0
		.amdhsa_system_sgpr_workgroup_id_x 1
		.amdhsa_system_sgpr_workgroup_id_y 1
		.amdhsa_system_sgpr_workgroup_id_z 1
		.amdhsa_system_sgpr_workgroup_info 0
		.amdhsa_system_vgpr_workitem_id 0
		.amdhsa_next_free_vgpr 122
		.amdhsa_next_free_sgpr 32
		.amdhsa_reserve_vcc 1
		.amdhsa_float_round_mode_32 0
		.amdhsa_float_round_mode_16_64 0
		.amdhsa_float_denorm_mode_32 3
		.amdhsa_float_denorm_mode_16_64 3
		.amdhsa_fp16_overflow 0
		.amdhsa_workgroup_processor_mode 1
		.amdhsa_memory_ordered 1
		.amdhsa_forward_progress 1
		.amdhsa_inst_pref_size 71
		.amdhsa_round_robin_scheduling 0
		.amdhsa_exception_fp_ieee_invalid_op 0
		.amdhsa_exception_fp_denorm_src 0
		.amdhsa_exception_fp_ieee_div_zero 0
		.amdhsa_exception_fp_ieee_overflow 0
		.amdhsa_exception_fp_ieee_underflow 0
		.amdhsa_exception_fp_ieee_inexact 0
		.amdhsa_exception_int_div_zero 0
	.end_amdhsa_kernel
	.section	.text._ZN4vllm25paged_attention_v2_kernelIttLi120ELi16ELi128ELNS_18Fp8KVCacheDataTypeE0ELb0ELi512EEEvPfS2_PT_PKS3_PKT0_S9_ifPKiSB_iPKfiiiSD_SD_iiiii,"axG",@progbits,_ZN4vllm25paged_attention_v2_kernelIttLi120ELi16ELi128ELNS_18Fp8KVCacheDataTypeE0ELb0ELi512EEEvPfS2_PT_PKS3_PKT0_S9_ifPKiSB_iPKfiiiSD_SD_iiiii,comdat
.Lfunc_end104:
	.size	_ZN4vllm25paged_attention_v2_kernelIttLi120ELi16ELi128ELNS_18Fp8KVCacheDataTypeE0ELb0ELi512EEEvPfS2_PT_PKS3_PKT0_S9_ifPKiSB_iPKfiiiSD_SD_iiiii, .Lfunc_end104-_ZN4vllm25paged_attention_v2_kernelIttLi120ELi16ELi128ELNS_18Fp8KVCacheDataTypeE0ELb0ELi512EEEvPfS2_PT_PKS3_PKT0_S9_ifPKiSB_iPKfiiiSD_SD_iiiii
                                        ; -- End function
	.set _ZN4vllm25paged_attention_v2_kernelIttLi120ELi16ELi128ELNS_18Fp8KVCacheDataTypeE0ELb0ELi512EEEvPfS2_PT_PKS3_PKT0_S9_ifPKiSB_iPKfiiiSD_SD_iiiii.num_vgpr, 122
	.set _ZN4vllm25paged_attention_v2_kernelIttLi120ELi16ELi128ELNS_18Fp8KVCacheDataTypeE0ELb0ELi512EEEvPfS2_PT_PKS3_PKT0_S9_ifPKiSB_iPKfiiiSD_SD_iiiii.num_agpr, 0
	.set _ZN4vllm25paged_attention_v2_kernelIttLi120ELi16ELi128ELNS_18Fp8KVCacheDataTypeE0ELb0ELi512EEEvPfS2_PT_PKS3_PKT0_S9_ifPKiSB_iPKfiiiSD_SD_iiiii.numbered_sgpr, 32
	.set _ZN4vllm25paged_attention_v2_kernelIttLi120ELi16ELi128ELNS_18Fp8KVCacheDataTypeE0ELb0ELi512EEEvPfS2_PT_PKS3_PKT0_S9_ifPKiSB_iPKfiiiSD_SD_iiiii.num_named_barrier, 0
	.set _ZN4vllm25paged_attention_v2_kernelIttLi120ELi16ELi128ELNS_18Fp8KVCacheDataTypeE0ELb0ELi512EEEvPfS2_PT_PKS3_PKT0_S9_ifPKiSB_iPKfiiiSD_SD_iiiii.private_seg_size, 0
	.set _ZN4vllm25paged_attention_v2_kernelIttLi120ELi16ELi128ELNS_18Fp8KVCacheDataTypeE0ELb0ELi512EEEvPfS2_PT_PKS3_PKT0_S9_ifPKiSB_iPKfiiiSD_SD_iiiii.uses_vcc, 1
	.set _ZN4vllm25paged_attention_v2_kernelIttLi120ELi16ELi128ELNS_18Fp8KVCacheDataTypeE0ELb0ELi512EEEvPfS2_PT_PKS3_PKT0_S9_ifPKiSB_iPKfiiiSD_SD_iiiii.uses_flat_scratch, 0
	.set _ZN4vllm25paged_attention_v2_kernelIttLi120ELi16ELi128ELNS_18Fp8KVCacheDataTypeE0ELb0ELi512EEEvPfS2_PT_PKS3_PKT0_S9_ifPKiSB_iPKfiiiSD_SD_iiiii.has_dyn_sized_stack, 0
	.set _ZN4vllm25paged_attention_v2_kernelIttLi120ELi16ELi128ELNS_18Fp8KVCacheDataTypeE0ELb0ELi512EEEvPfS2_PT_PKS3_PKT0_S9_ifPKiSB_iPKfiiiSD_SD_iiiii.has_recursion, 0
	.set _ZN4vllm25paged_attention_v2_kernelIttLi120ELi16ELi128ELNS_18Fp8KVCacheDataTypeE0ELb0ELi512EEEvPfS2_PT_PKS3_PKT0_S9_ifPKiSB_iPKfiiiSD_SD_iiiii.has_indirect_call, 0
	.section	.AMDGPU.csdata,"",@progbits
; Kernel info:
; codeLenInByte = 9020
; TotalNumSgprs: 34
; NumVgprs: 122
; ScratchSize: 0
; MemoryBound: 0
; FloatMode: 240
; IeeeMode: 1
; LDSByteSize: 272 bytes/workgroup (compile time only)
; SGPRBlocks: 0
; VGPRBlocks: 15
; NumSGPRsForWavesPerEU: 34
; NumVGPRsForWavesPerEU: 122
; Occupancy: 10
; WaveLimiterHint : 1
; COMPUTE_PGM_RSRC2:SCRATCH_EN: 0
; COMPUTE_PGM_RSRC2:USER_SGPR: 2
; COMPUTE_PGM_RSRC2:TRAP_HANDLER: 0
; COMPUTE_PGM_RSRC2:TGID_X_EN: 1
; COMPUTE_PGM_RSRC2:TGID_Y_EN: 1
; COMPUTE_PGM_RSRC2:TGID_Z_EN: 1
; COMPUTE_PGM_RSRC2:TIDIG_COMP_CNT: 0
	.section	.text._ZN4vllm25paged_attention_v2_kernelIttLi128ELi16ELi128ELNS_18Fp8KVCacheDataTypeE0ELb0ELi512EEEvPfS2_PT_PKS3_PKT0_S9_ifPKiSB_iPKfiiiSD_SD_iiiii,"axG",@progbits,_ZN4vllm25paged_attention_v2_kernelIttLi128ELi16ELi128ELNS_18Fp8KVCacheDataTypeE0ELb0ELi512EEEvPfS2_PT_PKS3_PKT0_S9_ifPKiSB_iPKfiiiSD_SD_iiiii,comdat
	.protected	_ZN4vllm25paged_attention_v2_kernelIttLi128ELi16ELi128ELNS_18Fp8KVCacheDataTypeE0ELb0ELi512EEEvPfS2_PT_PKS3_PKT0_S9_ifPKiSB_iPKfiiiSD_SD_iiiii ; -- Begin function _ZN4vllm25paged_attention_v2_kernelIttLi128ELi16ELi128ELNS_18Fp8KVCacheDataTypeE0ELb0ELi512EEEvPfS2_PT_PKS3_PKT0_S9_ifPKiSB_iPKfiiiSD_SD_iiiii
	.globl	_ZN4vllm25paged_attention_v2_kernelIttLi128ELi16ELi128ELNS_18Fp8KVCacheDataTypeE0ELb0ELi512EEEvPfS2_PT_PKS3_PKT0_S9_ifPKiSB_iPKfiiiSD_SD_iiiii
	.p2align	8
	.type	_ZN4vllm25paged_attention_v2_kernelIttLi128ELi16ELi128ELNS_18Fp8KVCacheDataTypeE0ELb0ELi512EEEvPfS2_PT_PKS3_PKT0_S9_ifPKiSB_iPKfiiiSD_SD_iiiii,@function
_ZN4vllm25paged_attention_v2_kernelIttLi128ELi16ELi128ELNS_18Fp8KVCacheDataTypeE0ELb0ELi512EEEvPfS2_PT_PKS3_PKT0_S9_ifPKiSB_iPKfiiiSD_SD_iiiii: ; @_ZN4vllm25paged_attention_v2_kernelIttLi128ELi16ELi128ELNS_18Fp8KVCacheDataTypeE0ELb0ELi512EEEvPfS2_PT_PKS3_PKT0_S9_ifPKiSB_iPKfiiiSD_SD_iiiii
; %bb.0:
	s_load_b64 s[2:3], s[0:1], 0x40
	s_and_b32 s27, ttmp7, 0xffff
	s_lshr_b32 s24, ttmp7, 16
	s_lshl_b32 s4, s27, 2
	s_lshl_b32 s26, s24, 9
	s_wait_kmcnt 0x0
	s_load_b32 s25, s[2:3], s4 offset:0x0
	s_wait_kmcnt 0x0
	s_cmp_ge_i32 s26, s25
	s_cbranch_scc1 .LBB105_78
; %bb.1:
	s_clause 0x1
	s_load_b32 s28, s[0:1], 0x90
	s_load_b64 s[6:7], s[0:1], 0x30
	s_wait_kmcnt 0x0
	s_abs_i32 s5, s28
	s_abs_i32 s2, s6
	s_delay_alu instid0(SALU_CYCLE_1) | instskip(SKIP_1) | instid1(SALU_CYCLE_2)
	s_cvt_f32_u32 s3, s2
	s_sub_co_i32 s4, 0, s2
	v_rcp_iflag_f32_e32 v1, s3
	s_delay_alu instid0(TRANS32_DEP_1) | instskip(SKIP_2) | instid1(SALU_CYCLE_2)
	v_readfirstlane_b32 s3, v1
	s_mul_f32 s3, s3, 0x4f7ffffe
	s_wait_alu 0xfffe
	s_cvt_u32_f32 s3, s3
	s_wait_alu 0xfffe
	s_delay_alu instid0(SALU_CYCLE_2) | instskip(NEXT) | instid1(SALU_CYCLE_1)
	s_mul_i32 s4, s4, s3
	s_mul_hi_u32 s4, s3, s4
	s_delay_alu instid0(SALU_CYCLE_1)
	s_add_co_i32 s3, s3, s4
	s_xor_b32 s4, s28, s6
	s_wait_alu 0xfffe
	s_mul_hi_u32 s3, s5, s3
	s_ashr_i32 s4, s4, 31
	s_wait_alu 0xfffe
	s_mul_i32 s6, s3, s2
	s_delay_alu instid0(SALU_CYCLE_1)
	s_sub_co_i32 s5, s5, s6
	s_add_co_i32 s6, s3, 1
	s_sub_co_i32 s8, s5, s2
	s_cmp_ge_u32 s5, s2
	s_cselect_b32 s3, s6, s3
	s_cselect_b32 s5, s8, s5
	s_wait_alu 0xfffe
	s_add_co_i32 s6, s3, 1
	s_cmp_ge_u32 s5, s2
	s_load_b64 s[8:9], s[0:1], 0x50
	s_cselect_b32 s2, s6, s3
	s_mov_b32 s5, 0
	s_wait_alu 0xfffe
	s_xor_b32 s2, s2, s4
	s_mov_b32 s10, s5
	s_wait_alu 0xfffe
	s_sub_co_i32 s11, s2, s4
	s_abs_i32 s4, ttmp9
	s_abs_i32 s6, s11
	s_delay_alu instid0(SALU_CYCLE_1) | instskip(SKIP_2) | instid1(SALU_CYCLE_1)
	s_cvt_f32_u32 s2, s6
	s_sub_co_i32 s3, 0, s6
	s_wait_alu 0xfffe
	v_rcp_iflag_f32_e32 v1, s2
	s_delay_alu instid0(TRANS32_DEP_1) | instskip(SKIP_2) | instid1(SALU_CYCLE_2)
	v_readfirstlane_b32 s2, v1
	s_mul_f32 s2, s2, 0x4f7ffffe
	s_wait_alu 0xfffe
	s_cvt_u32_f32 s2, s2
	s_wait_alu 0xfffe
	s_delay_alu instid0(SALU_CYCLE_2)
	s_mul_i32 s3, s3, s2
	s_wait_alu 0xfffe
	s_mul_hi_u32 s3, s2, s3
	s_wait_alu 0xfffe
	s_add_co_i32 s2, s2, s3
	s_mov_b32 s3, s5
	s_wait_kmcnt 0x0
	s_cmp_eq_u64 s[8:9], 0
	s_cbranch_scc1 .LBB105_3
; %bb.2:
	s_mov_b32 s12, ttmp9
	s_ashr_i32 s13, ttmp9, 31
	s_delay_alu instid0(SALU_CYCLE_1) | instskip(NEXT) | instid1(SALU_CYCLE_1)
	s_lshl_b64 s[12:13], s[12:13], 2
	s_add_nc_u64 s[8:9], s[8:9], s[12:13]
	s_load_b32 s10, s[8:9], 0x0
.LBB105_3:
	s_load_b96 s[12:14], s[0:1], 0x58
	s_mul_u64 s[2:3], s[4:5], s[2:3]
	v_lshrrev_b32_e32 v31, 1, v0
	v_and_b32_e32 v32, 1, v0
	v_cmp_gt_u32_e64 s2, 32, v0
	v_lshlrev_b32_e32 v35, 3, v0
	s_ashr_i32 s5, ttmp9, 31
	s_ashr_i32 s8, s11, 31
	s_lshl_b32 s16, ttmp9, 7
	s_wait_alu 0xfffe
	s_and_saveexec_b32 s9, s2
	s_cbranch_execz .LBB105_5
; %bb.4:
	s_load_b64 s[18:19], s[0:1], 0x18
	s_wait_kmcnt 0x0
	s_mul_i32 s20, s12, s27
	s_ashr_i32 s17, s16, 31
	s_ashr_i32 s21, s20, 31
	v_lshlrev_b32_e32 v3, 3, v31
	s_lshl_b64 s[20:21], s[20:21], 1
	s_delay_alu instid0(VALU_DEP_1) | instskip(SKIP_2) | instid1(SALU_CYCLE_1)
	v_lshl_add_u32 v3, v32, 7, v3
	s_add_nc_u64 s[18:19], s[18:19], s[20:21]
	s_lshl_b64 s[20:21], s[16:17], 1
	s_add_nc_u64 s[18:19], s[18:19], s[20:21]
	global_load_b64 v[1:2], v35, s[18:19]
	s_wait_loadcnt 0x0
	ds_store_b64 v3, v[1:2]
.LBB105_5:
	s_or_b32 exec_lo, exec_lo, s9
	s_add_co_i32 s9, s25, 15
	s_xor_b32 s5, s5, s8
	s_ashr_i32 s11, s9, 31
	s_lshl_b32 s30, s24, 5
	s_lshr_b32 s8, s11, 28
	s_mul_i32 s11, s3, s6
	s_add_co_i32 s9, s9, s8
	s_add_co_i32 s8, s30, 32
	s_ashr_i32 s29, s9, 4
	s_load_b32 s9, s[0:1], 0x48
	s_sub_co_i32 s4, s4, s11
	s_min_i32 s17, s8, s29
	s_add_co_i32 s8, s3, 1
	s_sub_co_i32 s11, s4, s6
	s_cmp_ge_u32 s4, s6
	v_lshrrev_b32_e32 v33, 5, v0
	s_cselect_b32 s3, s8, s3
	s_cselect_b32 s4, s11, s4
	s_wait_alu 0xfffe
	s_add_co_i32 s8, s3, 1
	s_cmp_ge_u32 s4, s6
	v_or_b32_e32 v34, s30, v33
	s_cselect_b32 s3, s8, s3
	v_mbcnt_lo_u32_b32 v37, -1, 0
	s_wait_alu 0xfffe
	s_xor_b32 s3, s3, s5
	s_wait_dscnt 0x0
	s_wait_alu 0xfffe
	s_sub_co_i32 s4, s3, s5
	v_cmp_gt_i32_e64 s3, s17, v34
	s_mov_b32 s5, exec_lo
	s_barrier_signal -1
	s_wait_kmcnt 0x0
	s_mul_i32 s18, s9, s27
	s_barrier_wait -1
	s_ashr_i32 s19, s18, 31
	global_inv scope:SCOPE_SE
                                        ; implicit-def: $vgpr38
                                        ; implicit-def: $vgpr39
	v_cmpx_le_i32_e64 s17, v34
	s_xor_b32 s5, exec_lo, s5
; %bb.6:
	v_dual_mov_b32 v38, 0 :: v_dual_mov_b32 v39, 32
	v_mbcnt_lo_u32_b32 v37, -1, 0
; %bb.7:
	s_or_saveexec_b32 s8, s5
	s_clause 0x1
	s_load_b64 s[20:21], s[0:1], 0x38
	s_load_b32 s12, s[0:1], 0x98
	v_mov_b32_e32 v40, 0xff7fffff
	v_lshlrev_b32_e32 v36, 2, v34
	s_mul_i32 s14, s4, s14
	s_xor_b32 exec_lo, exec_lo, s8
	s_cbranch_execz .LBB105_13
; %bb.8:
	s_load_b64 s[22:23], s[0:1], 0x20
	v_bfe_u32 v1, v0, 1, 4
	s_ashr_i32 s15, s14, 31
	v_dual_mov_b32 v40, 0xff7fffff :: v_dual_lshlrev_b32 v3, 4, v33
	s_lshl_b64 s[34:35], s[14:15], 1
	s_delay_alu instid0(VALU_DEP_2) | instskip(SKIP_4) | instid1(VALU_DEP_3)
	v_dual_mov_b32 v47, v34 :: v_dual_lshlrev_b32 v4, 4, v1
	v_lshlrev_b32_e32 v5, 2, v1
	s_cmp_neq_f32 s10, 0
	v_dual_mov_b32 v39, 32 :: v_dual_and_b32 v2, 8, v35
	v_add3_u32 v42, s26, v3, v1
	v_lshl_or_b32 v1, v33, 6, v5
	s_cselect_b32 s4, -1, 0
	s_lshl_b64 s[36:37], s[18:19], 2
	v_dual_mov_b32 v38, 0 :: v_dual_lshlrev_b32 v41, 7, v32
	s_wait_kmcnt 0x0
	s_add_nc_u64 s[36:37], s[20:21], s[36:37]
	v_add_nc_u32_e32 v43, 0x120, v1
	s_add_nc_u64 s[22:23], s[22:23], s[34:35]
	v_xor_b32_e32 v46, 1, v37
	v_add_co_u32 v3, s5, s22, v4
	s_delay_alu instid0(VALU_DEP_1)
	v_add_co_ci_u32_e64 v4, null, s23, 0, s5
	s_mov_b32 s11, s13
	v_add_co_u32 v44, s5, v3, v2
	s_wait_alu 0xf1ff
	v_add_co_ci_u32_e64 v45, null, 0, v4, s5
	v_add_co_u32 v1, s5, s36, v36
	s_wait_alu 0xf1ff
	v_add_co_ci_u32_e64 v2, null, s37, 0, s5
	s_mov_b32 s9, 0
	s_sub_co_i32 s15, 1, s25
	v_cmp_eq_u32_e32 vcc_lo, 0, v32
	s_branch .LBB105_10
.LBB105_9:                              ;   in Loop: Header=BB105_10 Depth=1
	s_wait_alu 0xfffe
	s_or_b32 exec_lo, exec_lo, s6
	v_add_nc_u32_e32 v47, 4, v47
	v_add_co_u32 v1, s6, v1, 16
	v_add_nc_u32_e32 v42, 64, v42
	v_add_nc_u32_e32 v43, 0x100, v43
	s_delay_alu instid0(VALU_DEP_4) | instskip(SKIP_3) | instid1(SALU_CYCLE_1)
	v_cmp_le_i32_e64 s5, s17, v47
	s_wait_alu 0xf1ff
	v_add_co_ci_u32_e64 v2, null, 0, v2, s6
	s_or_b32 s9, s5, s9
	s_and_not1_b32 exec_lo, exec_lo, s9
	s_cbranch_execz .LBB105_12
.LBB105_10:                             ; =>This Inner Loop Header: Depth=1
	global_load_b32 v3, v[1:2], off
	s_wait_loadcnt_dscnt 0x0
	v_mad_co_i64_i32 v[3:4], null, v3, s11, 0
	s_delay_alu instid0(VALU_DEP_1) | instskip(NEXT) | instid1(VALU_DEP_1)
	v_lshlrev_b64_e32 v[3:4], 1, v[3:4]
	v_add_co_u32 v3, s5, v44, v3
	s_wait_alu 0xf1ff
	s_delay_alu instid0(VALU_DEP_2)
	v_add_co_ci_u32_e64 v4, null, v45, v4, s5
	v_cmp_gt_i32_e64 s5, 32, v46
	s_clause 0x8
	global_load_b64 v[49:50], v[3:4], off
	global_load_b64 v[56:57], v[3:4], off offset:256
	global_load_b64 v[29:30], v[3:4], off offset:512
	;; [unrolled: 1-line block ×8, first 2 shown]
	ds_load_b64 v[5:6], v41
	global_load_b64 v[17:18], v[3:4], off offset:2304
	s_wait_dscnt 0x0
	v_lshrrev_b32_e32 v51, 16, v5
	v_and_b32_e32 v48, 0xffff, v5
	v_lshrrev_b32_e32 v53, 16, v6
	v_and_b32_e32 v52, 0xffff, v6
	s_clause 0x5
	global_load_b64 v[13:14], v[3:4], off offset:2560
	global_load_b64 v[11:12], v[3:4], off offset:2816
	;; [unrolled: 1-line block ×6, first 2 shown]
	;;#ASMSTART
	v_cvt_f32_f16 v48, v48;
	;;#ASMEND
	s_wait_loadcnt 0xf
	v_and_b32_e32 v54, 0xffff, v49
	v_lshrrev_b32_e32 v55, 16, v49
	;;#ASMSTART
	v_cvt_f32_f16 v49, v51;
	;;#ASMEND
	v_lshrrev_b32_e32 v58, 16, v50
	v_and_b32_e32 v59, 0xffff, v50
	;;#ASMSTART
	v_cvt_f32_f16 v50, v54;
	;;#ASMEND
	;;#ASMSTART
	v_cvt_f32_f16 v51, v55;
	;;#ASMEND
	;; [unrolled: 3-line block ×6, first 2 shown]
	ds_load_b64 v[58:59], v41 offset:8
	s_wait_loadcnt 0xe
	v_lshrrev_b32_e32 v60, 16, v56
	v_and_b32_e32 v61, 0xffff, v56
	v_lshrrev_b32_e32 v63, 16, v57
	v_and_b32_e32 v62, 0xffff, v57
	s_wait_loadcnt 0xd
	v_lshrrev_b32_e32 v66, 16, v29
	v_lshrrev_b32_e32 v70, 16, v30
	v_and_b32_e32 v71, 0xffff, v30
	s_wait_loadcnt 0xc
	v_lshrrev_b32_e32 v73, 16, v27
	v_lshrrev_b32_e32 v77, 16, v28
	s_wait_loadcnt 0xb
	v_lshrrev_b32_e32 v79, 16, v25
	v_lshrrev_b32_e32 v83, 16, v26
	;; [unrolled: 3-line block ×4, first 2 shown]
	v_and_b32_e32 v22, 0xffff, v22
	s_wait_loadcnt 0x8
	v_lshrrev_b32_e32 v97, 16, v19
	v_lshrrev_b32_e32 v101, 16, v20
	v_and_b32_e32 v20, 0xffff, v20
	s_wait_dscnt 0x0
	v_and_b32_e32 v56, 0xffff, v58
	v_lshrrev_b32_e32 v58, 16, v58
	v_lshrrev_b32_e32 v64, 16, v59
	v_and_b32_e32 v59, 0xffff, v59
	;;#ASMSTART
	v_cvt_f32_f16 v57, v56;
	;;#ASMEND
	;;#ASMSTART
	v_cvt_f32_f16 v56, v58;
	;;#ASMEND
	;;#ASMSTART
	v_cvt_f32_f16 v61, v61;
	;;#ASMEND
	;;#ASMSTART
	v_cvt_f32_f16 v58, v60;
	;;#ASMEND
	;;#ASMSTART
	v_cvt_f32_f16 v59, v59;
	;;#ASMEND
	;;#ASMSTART
	v_cvt_f32_f16 v60, v64;
	;;#ASMEND
	;;#ASMSTART
	v_cvt_f32_f16 v62, v62;
	;;#ASMEND
	;;#ASMSTART
	v_cvt_f32_f16 v63, v63;
	;;#ASMEND
	ds_load_b64 v[64:65], v41 offset:16
	v_dual_mul_f32 v56, v56, v58 :: v_dual_and_b32 v67, 0xffff, v29
	v_dual_mul_f32 v58, v59, v62 :: v_dual_mul_f32 v57, v57, v61
	v_mul_f32_e32 v59, v60, v63
	s_delay_alu instid0(VALU_DEP_3)
	v_fmac_f32_e32 v56, v49, v51
	s_wait_loadcnt 0x7
	v_lshrrev_b32_e32 v103, 16, v15
	v_fmac_f32_e32 v58, v52, v54
	v_fmac_f32_e32 v57, v48, v50
	;; [unrolled: 1-line block ×3, first 2 shown]
	v_lshrrev_b32_e32 v107, 16, v16
	v_and_b32_e32 v16, 0xffff, v16
	s_wait_loadcnt 0x5
	v_lshrrev_b32_e32 v115, 16, v13
	v_lshrrev_b32_e32 v109, 16, v17
	v_and_b32_e32 v108, 0xffff, v17
	v_lshrrev_b32_e32 v113, 16, v18
	v_and_b32_e32 v112, 0xffff, v18
	;; [unrolled: 2-line block ×3, first 2 shown]
	s_wait_dscnt 0x0
	v_and_b32_e32 v29, 0xffff, v64
	v_lshrrev_b32_e32 v64, 16, v64
	v_lshrrev_b32_e32 v72, 16, v65
	;;#ASMSTART
	v_cvt_f32_f16 v68, v29;
	;;#ASMEND
	;;#ASMSTART
	v_cvt_f32_f16 v29, v64;
	;;#ASMEND
	;; [unrolled: 3-line block ×4, first 2 shown]
	v_dual_fmac_f32 v56, v29, v30 :: v_dual_and_b32 v65, 0xffff, v65
	;;#ASMSTART
	v_cvt_f32_f16 v64, v65;
	;;#ASMEND
	;;#ASMSTART
	v_cvt_f32_f16 v65, v72;
	;;#ASMEND
	;; [unrolled: 3-line block ×4, first 2 shown]
	ds_load_b64 v[70:71], v41 offset:24
	v_fmac_f32_e32 v57, v68, v69
	v_dual_fmac_f32 v59, v65, v67 :: v_dual_fmac_f32 v58, v64, v66
	s_wait_loadcnt 0x4
	v_lshrrev_b32_e32 v121, 16, v11
	v_lshrrev_b32_e32 v125, 16, v12
	v_and_b32_e32 v12, 0xffff, v12
	s_wait_loadcnt 0x3
	v_lshrrev_b32_e32 v126, 16, v9
	v_lshrrev_b32_e32 v127, 16, v10
	v_and_b32_e32 v10, 0xffff, v10
	;; [unrolled: 4-line block ×3, first 2 shown]
	s_wait_loadcnt 0x1
	v_lshrrev_b32_e32 v29, 16, v5
	s_wait_dscnt 0x0
	v_and_b32_e32 v72, 0xffff, v70
	v_lshrrev_b32_e32 v74, 16, v70
	v_lshrrev_b32_e32 v75, 16, v71
	;;#ASMSTART
	v_cvt_f32_f16 v70, v72;
	;;#ASMEND
	v_and_b32_e32 v76, 0xffff, v71
	;;#ASMSTART
	v_cvt_f32_f16 v71, v74;
	;;#ASMEND
	v_and_b32_e32 v27, 0xffff, v27
	;;#ASMSTART
	v_cvt_f32_f16 v72, v27;
	;;#ASMEND
	;;#ASMSTART
	v_cvt_f32_f16 v73, v73;
	;;#ASMEND
	v_fmac_f32_e32 v57, v70, v72
	;;#ASMSTART
	v_cvt_f32_f16 v74, v76;
	;;#ASMEND
	;;#ASMSTART
	v_cvt_f32_f16 v75, v75;
	;;#ASMEND
	v_and_b32_e32 v28, 0xffff, v28
	;;#ASMSTART
	v_cvt_f32_f16 v76, v28;
	;;#ASMEND
	;;#ASMSTART
	v_cvt_f32_f16 v77, v77;
	;;#ASMEND
	ds_load_b64 v[27:28], v41 offset:32
	v_fmac_f32_e32 v56, v71, v73
	v_dual_fmac_f32 v59, v75, v77 :: v_dual_fmac_f32 v58, v74, v76
	s_wait_dscnt 0x0
	v_and_b32_e32 v78, 0xffff, v27
	v_lshrrev_b32_e32 v80, 16, v27
	v_lshrrev_b32_e32 v81, 16, v28
	;;#ASMSTART
	v_cvt_f32_f16 v27, v78;
	;;#ASMEND
	v_and_b32_e32 v82, 0xffff, v28
	;;#ASMSTART
	v_cvt_f32_f16 v28, v80;
	;;#ASMEND
	v_and_b32_e32 v25, 0xffff, v25
	;;#ASMSTART
	v_cvt_f32_f16 v78, v25;
	;;#ASMEND
	;;#ASMSTART
	v_cvt_f32_f16 v79, v79;
	;;#ASMEND
	v_fmac_f32_e32 v57, v27, v78
	;;#ASMSTART
	v_cvt_f32_f16 v80, v82;
	;;#ASMEND
	;;#ASMSTART
	v_cvt_f32_f16 v81, v81;
	;;#ASMEND
	v_and_b32_e32 v26, 0xffff, v26
	;;#ASMSTART
	v_cvt_f32_f16 v82, v26;
	;;#ASMEND
	;;#ASMSTART
	v_cvt_f32_f16 v83, v83;
	;;#ASMEND
	ds_load_b64 v[25:26], v41 offset:40
	v_dual_fmac_f32 v58, v80, v82 :: v_dual_and_b32 v23, 0xffff, v23
	v_fmac_f32_e32 v59, v81, v83
	v_fmac_f32_e32 v56, v28, v79
	s_wait_dscnt 0x0
	v_and_b32_e32 v84, 0xffff, v25
	v_lshrrev_b32_e32 v86, 16, v25
	v_lshrrev_b32_e32 v87, 16, v26
	v_and_b32_e32 v88, 0xffff, v26
	;;#ASMSTART
	v_cvt_f32_f16 v25, v84;
	;;#ASMEND
	;;#ASMSTART
	v_cvt_f32_f16 v26, v86;
	;;#ASMEND
	;; [unrolled: 3-line block ×6, first 2 shown]
	v_and_b32_e32 v24, 0xffff, v24
	;;#ASMSTART
	v_cvt_f32_f16 v88, v24;
	;;#ASMEND
	;;#ASMSTART
	v_cvt_f32_f16 v89, v89;
	;;#ASMEND
	ds_load_b64 v[23:24], v41 offset:48
	v_dual_fmac_f32 v58, v86, v88 :: v_dual_and_b32 v21, 0xffff, v21
	v_dual_fmac_f32 v56, v26, v85 :: v_dual_and_b32 v19, 0xffff, v19
	v_fmac_f32_e32 v57, v25, v84
	s_wait_dscnt 0x0
	v_dual_fmac_f32 v59, v87, v89 :: v_dual_and_b32 v90, 0xffff, v23
	v_lshrrev_b32_e32 v92, 16, v23
	v_lshrrev_b32_e32 v93, 16, v24
	v_and_b32_e32 v94, 0xffff, v24
	;;#ASMSTART
	v_cvt_f32_f16 v23, v90;
	;;#ASMEND
	;;#ASMSTART
	v_cvt_f32_f16 v24, v92;
	;;#ASMEND
	;; [unrolled: 3-line block ×8, first 2 shown]
	ds_load_b64 v[21:22], v41 offset:56
	v_dual_fmac_f32 v58, v92, v94 :: v_dual_and_b32 v15, 0xffff, v15
	v_dual_fmac_f32 v56, v24, v91 :: v_dual_and_b32 v13, 0xffff, v13
	v_fmac_f32_e32 v57, v23, v90
	s_wait_dscnt 0x0
	v_dual_fmac_f32 v59, v93, v95 :: v_dual_and_b32 v96, 0xffff, v21
	v_lshrrev_b32_e32 v98, 16, v21
	v_lshrrev_b32_e32 v99, 16, v22
	v_and_b32_e32 v100, 0xffff, v22
	;;#ASMSTART
	v_cvt_f32_f16 v21, v96;
	;;#ASMEND
	;;#ASMSTART
	v_cvt_f32_f16 v22, v98;
	;;#ASMEND
	;; [unrolled: 3-line block ×8, first 2 shown]
	ds_load_b64 v[19:20], v41 offset:64
	v_dual_fmac_f32 v56, v22, v97 :: v_dual_and_b32 v11, 0xffff, v11
	v_fmac_f32_e32 v58, v98, v100
	v_fmac_f32_e32 v57, v21, v96
	;; [unrolled: 1-line block ×3, first 2 shown]
	v_lshrrev_b32_e32 v21, 16, v6
	v_and_b32_e32 v6, 0xffff, v6
	s_wait_loadcnt 0x0
	v_lshrrev_b32_e32 v22, 16, v3
	s_wait_dscnt 0x0
	v_and_b32_e32 v102, 0xffff, v19
	v_lshrrev_b32_e32 v104, 16, v19
	v_lshrrev_b32_e32 v105, 16, v20
	v_and_b32_e32 v106, 0xffff, v20
	;;#ASMSTART
	v_cvt_f32_f16 v19, v102;
	;;#ASMEND
	;;#ASMSTART
	v_cvt_f32_f16 v20, v104;
	;;#ASMEND
	;; [unrolled: 3-line block ×8, first 2 shown]
	ds_load_b64 v[15:16], v41 offset:72
	v_dual_fmac_f32 v56, v20, v103 :: v_dual_and_b32 v9, 0xffff, v9
	v_dual_fmac_f32 v58, v104, v106 :: v_dual_and_b32 v7, 0xffff, v7
	v_fmac_f32_e32 v57, v19, v102
	v_fmac_f32_e32 v59, v105, v107
	s_wait_dscnt 0x0
	v_and_b32_e32 v17, 0xffff, v15
	v_lshrrev_b32_e32 v15, 16, v15
	v_lshrrev_b32_e32 v111, 16, v16
	v_and_b32_e32 v16, 0xffff, v16
	;;#ASMSTART
	v_cvt_f32_f16 v17, v17;
	;;#ASMEND
	;;#ASMSTART
	v_cvt_f32_f16 v18, v15;
	;;#ASMEND
	;; [unrolled: 3-line block ×8, first 2 shown]
	ds_load_b64 v[15:16], v41 offset:80
	v_dual_fmac_f32 v56, v18, v109 :: v_dual_fmac_f32 v57, v17, v108
	v_dual_fmac_f32 v58, v110, v112 :: v_dual_and_b32 v5, 0xffff, v5
	s_wait_dscnt 0x0
	v_dual_fmac_f32 v59, v111, v113 :: v_dual_and_b32 v114, 0xffff, v15
	v_lshrrev_b32_e32 v116, 16, v15
	v_lshrrev_b32_e32 v117, 16, v16
	v_and_b32_e32 v118, 0xffff, v16
	;;#ASMSTART
	v_cvt_f32_f16 v15, v114;
	;;#ASMEND
	;;#ASMSTART
	v_cvt_f32_f16 v16, v116;
	;;#ASMEND
	;; [unrolled: 3-line block ×8, first 2 shown]
	ds_load_b64 v[13:14], v41 offset:88
	v_dual_fmac_f32 v56, v16, v115 :: v_dual_fmac_f32 v57, v15, v114
	v_dual_fmac_f32 v58, v116, v118 :: v_dual_fmac_f32 v59, v117, v119
	s_wait_dscnt 0x0
	v_and_b32_e32 v120, 0xffff, v13
	v_lshrrev_b32_e32 v122, 16, v13
	v_lshrrev_b32_e32 v123, 16, v14
	v_and_b32_e32 v124, 0xffff, v14
	;;#ASMSTART
	v_cvt_f32_f16 v13, v120;
	;;#ASMEND
	;;#ASMSTART
	v_cvt_f32_f16 v14, v122;
	;;#ASMEND
	;; [unrolled: 3-line block ×8, first 2 shown]
	ds_load_b64 v[11:12], v41 offset:96
	v_dual_fmac_f32 v56, v14, v121 :: v_dual_fmac_f32 v57, v13, v120
	v_dual_fmac_f32 v58, v122, v124 :: v_dual_and_b32 v13, 0xffff, v3
	s_wait_dscnt 0x0
	v_dual_fmac_f32 v59, v123, v125 :: v_dual_and_b32 v48, 0xffff, v11
	v_lshrrev_b32_e32 v49, 16, v11
	v_lshrrev_b32_e32 v51, 16, v12
	v_and_b32_e32 v50, 0xffff, v12
	;;#ASMSTART
	v_cvt_f32_f16 v11, v48;
	;;#ASMEND
	;;#ASMSTART
	v_cvt_f32_f16 v12, v49;
	;;#ASMEND
	;; [unrolled: 3-line block ×8, first 2 shown]
	ds_load_b64 v[9:10], v41 offset:104
	v_dual_fmac_f32 v57, v11, v48 :: v_dual_fmac_f32 v56, v12, v49
	v_fmac_f32_e32 v59, v51, v53
	v_lshrrev_b32_e32 v11, 16, v4
	s_wait_dscnt 0x0
	v_and_b32_e32 v27, 0xffff, v10
	v_and_b32_e32 v23, 0xffff, v9
	v_lshrrev_b32_e32 v25, 16, v9
	v_lshrrev_b32_e32 v26, 16, v10
	;;#ASMSTART
	v_cvt_f32_f16 v9, v23;
	;;#ASMEND
	;;#ASMSTART
	v_cvt_f32_f16 v10, v25;
	;;#ASMEND
	;;#ASMSTART
	v_cvt_f32_f16 v23, v7;
	;;#ASMEND
	;;#ASMSTART
	v_cvt_f32_f16 v24, v128;
	;;#ASMEND
	;;#ASMSTART
	v_cvt_f32_f16 v25, v27;
	;;#ASMEND
	;;#ASMSTART
	v_cvt_f32_f16 v26, v26;
	;;#ASMEND
	;;#ASMSTART
	v_cvt_f32_f16 v27, v8;
	;;#ASMEND
	;;#ASMSTART
	v_cvt_f32_f16 v28, v60;
	;;#ASMEND
	ds_load_b64 v[7:8], v41 offset:112
	v_fmac_f32_e32 v57, v9, v23
	v_and_b32_e32 v9, 0xffff, v4
	v_fmac_f32_e32 v56, v10, v24
	v_fmac_f32_e32 v59, v26, v28
	s_wait_dscnt 0x0
	v_and_b32_e32 v15, 0xffff, v7
	v_lshrrev_b32_e32 v16, 16, v7
	v_lshrrev_b32_e32 v18, 16, v8
	v_and_b32_e32 v17, 0xffff, v8
	;;#ASMSTART
	v_cvt_f32_f16 v7, v15;
	;;#ASMEND
	;;#ASMSTART
	v_cvt_f32_f16 v8, v16;
	;;#ASMEND
	;; [unrolled: 3-line block ×8, first 2 shown]
	ds_load_b64 v[5:6], v41 offset:120
	v_dual_fmac_f32 v58, v50, v52 :: v_dual_fmac_f32 v57, v7, v15
	v_fmac_f32_e32 v56, v8, v16
	v_fmac_f32_e32 v59, v18, v20
	s_wait_dscnt 0x0
	s_delay_alu instid0(VALU_DEP_3)
	v_dual_fmac_f32 v58, v25, v27 :: v_dual_and_b32 v3, 0xffff, v5
	v_lshrrev_b32_e32 v4, 16, v5
	v_lshrrev_b32_e32 v7, 16, v6
	v_and_b32_e32 v8, 0xffff, v6
	;;#ASMSTART
	v_cvt_f32_f16 v3, v3;
	;;#ASMEND
	v_fmac_f32_e32 v58, v17, v19
	;;#ASMSTART
	v_cvt_f32_f16 v4, v4;
	;;#ASMEND
	;;#ASMSTART
	v_cvt_f32_f16 v5, v13;
	;;#ASMEND
	;; [unrolled: 3-line block ×3, first 2 shown]
	v_dual_fmac_f32 v57, v3, v5 :: v_dual_fmac_f32 v56, v4, v6
	;;#ASMSTART
	v_cvt_f32_f16 v3, v8;
	;;#ASMEND
	;;#ASMSTART
	v_cvt_f32_f16 v4, v7;
	;;#ASMEND
	;; [unrolled: 3-line block ×3, first 2 shown]
	s_delay_alu instid0(VALU_DEP_1) | instskip(SKIP_4) | instid1(VALU_DEP_1)
	v_dual_fmac_f32 v58, v3, v5 :: v_dual_add_f32 v3, v57, v56
	;;#ASMSTART
	v_cvt_f32_f16 v5, v11;
	;;#ASMEND
	v_fmac_f32_e32 v59, v4, v5
	s_wait_alu 0xf1ff
	v_cndmask_b32_e64 v4, v37, v46, s5
	v_dual_add_f32 v3, v3, v58 :: v_dual_lshlrev_b32 v4, 2, v4
	s_delay_alu instid0(VALU_DEP_1)
	v_add_f32_e32 v3, v59, v3
	ds_bpermute_b32 v4, v4, v3
	s_and_saveexec_b32 s6, vcc_lo
	s_cbranch_execz .LBB105_9
; %bb.11:                               ;   in Loop: Header=BB105_10 Depth=1
	s_wait_dscnt 0x0
	v_add_f32_e32 v3, v3, v4
	v_add_nc_u32_e32 v5, s15, v42
	v_cmp_gt_i32_e64 s5, s25, v42
	s_delay_alu instid0(VALU_DEP_2) | instskip(NEXT) | instid1(VALU_DEP_1)
	v_cvt_f32_i32_e32 v5, v5
	v_mul_f32_e32 v5, s10, v5
	s_delay_alu instid0(VALU_DEP_1) | instskip(NEXT) | instid1(VALU_DEP_1)
	v_cndmask_b32_e64 v4, 0, v5, s4
	v_dual_max_num_f32 v5, v40, v40 :: v_dual_fmac_f32 v4, s7, v3
	s_delay_alu instid0(VALU_DEP_1) | instskip(SKIP_2) | instid1(VALU_DEP_2)
	v_max_num_f32_e32 v3, v5, v4
	s_wait_alu 0xf1ff
	v_cndmask_b32_e64 v4, 0, v4, s5
	v_cndmask_b32_e64 v40, v40, v3, s5
	ds_store_b32 v43, v4
	s_branch .LBB105_9
.LBB105_12:
	s_or_b32 exec_lo, exec_lo, s9
.LBB105_13:
	s_delay_alu instid0(SALU_CYCLE_1)
	s_or_b32 exec_lo, exec_lo, s8
	v_xor_b32_e32 v1, 16, v37
	v_xor_b32_e32 v2, 8, v37
	s_clause 0x2
	s_load_b128 s[8:11], s[0:1], 0x0
	s_load_b64 s[6:7], s[0:1], 0x10
	s_load_b64 s[22:23], s[0:1], 0x28
	s_wait_dscnt 0x0
	v_dual_max_num_f32 v4, v40, v40 :: v_dual_lshlrev_b32 v7, 2, v33
	v_cmp_lt_i32_e32 vcc_lo, v1, v39
	v_and_b32_e32 v9, 31, v0
	v_cndmask_b32_e32 v1, v37, v1, vcc_lo
	v_cmp_lt_i32_e32 vcc_lo, v2, v39
	s_wait_alu 0xfffd
	s_delay_alu instid0(VALU_DEP_2) | instskip(SKIP_3) | instid1(VALU_DEP_1)
	v_dual_cndmask_b32 v2, v37, v2 :: v_dual_lshlrev_b32 v3, 2, v1
	ds_bpermute_b32 v1, v3, v40
	s_wait_dscnt 0x0
	v_max_num_f32_e32 v1, v1, v1
	v_max_num_f32_e32 v1, v4, v1
	v_xor_b32_e32 v4, 4, v37
	s_delay_alu instid0(VALU_DEP_1) | instskip(SKIP_2) | instid1(VALU_DEP_1)
	v_cmp_lt_i32_e32 vcc_lo, v4, v39
	s_wait_alu 0xfffd
	v_dual_cndmask_b32 v4, v37, v4 :: v_dual_lshlrev_b32 v5, 2, v2
	v_lshlrev_b32_e32 v6, 2, v4
	ds_bpermute_b32 v2, v5, v1
	v_xor_b32_e32 v4, 2, v37
	s_delay_alu instid0(VALU_DEP_1)
	v_cmp_lt_i32_e32 vcc_lo, v4, v39
	s_wait_alu 0xfffd
	v_cndmask_b32_e32 v4, v37, v4, vcc_lo
	v_cmp_eq_u32_e32 vcc_lo, 0, v9
	s_wait_dscnt 0x0
	v_max_num_f32_e32 v2, v2, v2
	s_delay_alu instid0(VALU_DEP_1) | instskip(SKIP_3) | instid1(VALU_DEP_1)
	v_max_num_f32_e32 v1, v1, v2
	ds_bpermute_b32 v2, v6, v1
	s_wait_dscnt 0x0
	v_max_num_f32_e32 v2, v2, v2
	v_dual_max_num_f32 v1, v1, v2 :: v_dual_lshlrev_b32 v2, 2, v4
	ds_bpermute_b32 v4, v2, v1
	s_and_saveexec_b32 s0, vcc_lo
	s_cbranch_execz .LBB105_15
; %bb.14:
	s_wait_dscnt 0x0
	v_dual_max_num_f32 v4, v4, v4 :: v_dual_max_num_f32 v1, v1, v1
	s_delay_alu instid0(VALU_DEP_1)
	v_max_num_f32_e32 v1, v1, v4
	ds_store_b32 v7, v1 offset:256
.LBB105_15:
	s_or_b32 exec_lo, exec_lo, s0
	v_cmp_gt_u32_e64 s0, 4, v9
	v_dual_mov_b32 v1, 0xff7fffff :: v_dual_lshlrev_b32 v8, 2, v9
	s_wait_loadcnt_dscnt 0x0
	s_barrier_signal -1
	s_barrier_wait -1
	global_inv scope:SCOPE_SE
	s_and_saveexec_b32 s1, s0
; %bb.16:
	ds_load_b32 v1, v8 offset:256
; %bb.17:
	s_or_b32 exec_lo, exec_lo, s1
	s_wait_dscnt 0x0
	ds_bpermute_b32 v4, v2, v1
	v_xor_b32_e32 v10, 1, v37
	v_max_num_f32_e32 v1, v1, v1
	v_mov_b32_e32 v11, 0
	s_delay_alu instid0(VALU_DEP_3) | instskip(NEXT) | instid1(VALU_DEP_1)
	v_cmp_lt_i32_e64 s1, v10, v39
	v_cndmask_b32_e64 v10, v37, v10, s1
	s_sub_co_i32 s1, s17, s30
	s_wait_alu 0xfffe
	s_lshl_b32 s1, s1, 4
	s_wait_alu 0xfffe
	s_add_co_i32 s1, s1, s26
	s_wait_alu 0xfffe
	s_min_i32 s1, s1, s25
	s_wait_dscnt 0x0
	v_max_num_f32_e32 v4, v4, v4
	v_lshlrev_b32_e32 v10, 2, v10
	s_wait_alu 0xfffe
	s_sub_co_i32 s5, s1, s26
	s_wait_alu 0xfffe
	v_cmp_gt_i32_e64 s1, s5, v0
	v_max_num_f32_e32 v1, v1, v4
	ds_bpermute_b32 v4, v10, v1
	s_wait_dscnt 0x0
	v_max_num_f32_e32 v4, v4, v4
	s_delay_alu instid0(VALU_DEP_1)
	v_dual_max_num_f32 v1, v1, v4 :: v_dual_lshlrev_b32 v4, 2, v38
	ds_bpermute_b32 v1, v4, v1
	v_lshl_add_u32 v4, v0, 2, 0x120
	s_and_saveexec_b32 s15, s1
	s_cbranch_execz .LBB105_21
; %bb.18:
	v_lshl_add_u32 v12, v0, 2, 0x120
	v_mov_b32_e32 v11, 0
	v_mov_b32_e32 v13, v0
	s_mov_b32 s30, 0
.LBB105_19:                             ; =>This Inner Loop Header: Depth=1
	ds_load_b32 v14, v12
	v_add_nc_u32_e32 v13, 0x80, v13
	s_delay_alu instid0(VALU_DEP_1) | instskip(SKIP_4) | instid1(VALU_DEP_1)
	v_cmp_le_i32_e64 s4, s5, v13
	s_wait_alu 0xfffe
	s_or_b32 s30, s4, s30
	s_wait_dscnt 0x0
	v_sub_f32_e32 v14, v14, v1
	v_mul_f32_e32 v14, 0x3fb8aa3b, v14
	s_delay_alu instid0(VALU_DEP_1)
	v_exp_f32_e32 v14, v14
	ds_store_b32 v12, v14
	v_dual_add_f32 v11, v11, v14 :: v_dual_add_nc_u32 v12, 0x200, v12
	s_wait_alu 0xfffe
	s_and_not1_b32 exec_lo, exec_lo, s30
	s_cbranch_execnz .LBB105_19
; %bb.20:
	s_or_b32 exec_lo, exec_lo, s30
.LBB105_21:
	s_wait_alu 0xfffe
	s_or_b32 exec_lo, exec_lo, s15
	ds_bpermute_b32 v3, v3, v11
	s_wait_dscnt 0x0
	v_add_f32_e32 v3, v11, v3
	ds_bpermute_b32 v5, v5, v3
	s_wait_dscnt 0x0
	v_add_f32_e32 v3, v3, v5
	;; [unrolled: 3-line block ×5, first 2 shown]
	s_and_saveexec_b32 s4, vcc_lo
; %bb.22:
	ds_store_b32 v7, v3 offset:272
; %bb.23:
	s_wait_alu 0xfffe
	s_or_b32 exec_lo, exec_lo, s4
	s_wait_loadcnt_dscnt 0x0
	s_barrier_signal -1
	s_barrier_wait -1
	global_inv scope:SCOPE_SE
	s_and_saveexec_b32 s4, s0
; %bb.24:
	ds_load_b32 v3, v8 offset:272
; %bb.25:
	s_wait_alu 0xfffe
	s_or_b32 exec_lo, exec_lo, s4
	s_wait_dscnt 0x0
	ds_bpermute_b32 v2, v2, v3
	s_wait_dscnt 0x0
	v_dual_add_f32 v2, v3, v2 :: v_dual_lshlrev_b32 v5, 2, v37
	ds_bpermute_b32 v3, v10, v2
	s_wait_dscnt 0x0
	v_dual_add_f32 v2, v2, v3 :: v_dual_and_b32 v3, 0xffffff80, v5
	ds_bpermute_b32 v2, v3, v2
	s_and_saveexec_b32 s0, s1
	s_cbranch_execz .LBB105_28
; %bb.26:
	s_wait_dscnt 0x0
	v_add_f32_e32 v3, 0x358637bd, v2
	s_mov_b32 s1, 0
	s_delay_alu instid0(VALU_DEP_1) | instskip(SKIP_1) | instid1(VALU_DEP_2)
	v_div_scale_f32 v5, null, v3, v3, 1.0
	v_div_scale_f32 v8, vcc_lo, 1.0, v3, 1.0
	v_rcp_f32_e32 v6, v5
	s_delay_alu instid0(TRANS32_DEP_1) | instskip(NEXT) | instid1(VALU_DEP_1)
	v_fma_f32 v7, -v5, v6, 1.0
	v_fmac_f32_e32 v6, v7, v6
	s_delay_alu instid0(VALU_DEP_1) | instskip(NEXT) | instid1(VALU_DEP_1)
	v_mul_f32_e32 v7, v8, v6
	v_fma_f32 v11, -v5, v7, v8
	s_delay_alu instid0(VALU_DEP_1) | instskip(NEXT) | instid1(VALU_DEP_1)
	v_fmac_f32_e32 v7, v11, v6
	v_fma_f32 v5, -v5, v7, v8
	s_wait_alu 0xfffd
	s_delay_alu instid0(VALU_DEP_1) | instskip(NEXT) | instid1(VALU_DEP_1)
	v_div_fmas_f32 v5, v5, v6, v7
	v_div_fixup_f32 v3, v5, v3, 1.0
	v_mov_b32_e32 v5, v0
.LBB105_27:                             ; =>This Inner Loop Header: Depth=1
	ds_load_b32 v6, v4
	s_wait_dscnt 0x0
	v_dual_mul_f32 v6, v3, v6 :: v_dual_add_nc_u32 v5, 0x80, v5
	s_delay_alu instid0(VALU_DEP_1)
	v_cmp_le_i32_e32 vcc_lo, s5, v5
	ds_store_b32 v4, v6
	v_add_nc_u32_e32 v4, 0x200, v4
	s_wait_alu 0xfffe
	s_or_b32 s1, vcc_lo, s1
	s_wait_alu 0xfffe
	s_and_not1_b32 exec_lo, exec_lo, s1
	s_cbranch_execnz .LBB105_27
.LBB105_28:
	s_wait_alu 0xfffe
	s_or_b32 exec_lo, exec_lo, s0
	s_wait_kmcnt 0x0
	s_mul_i32 s0, s12, s27
	s_wait_loadcnt_dscnt 0x0
	s_wait_alu 0xfffe
	s_mul_i32 s4, s0, s28
	s_mov_b32 s0, exec_lo
	s_barrier_signal -1
	s_barrier_wait -1
	global_inv scope:SCOPE_SE
	v_cmpx_eq_u32_e32 0, v0
	s_cbranch_execz .LBB105_30
; %bb.29:
	s_wait_alu 0xfffe
	s_ashr_i32 s5, s4, 31
	s_mul_i32 s30, s12, ttmp9
	s_lshl_b32 s1, s24, 2
	s_wait_alu 0xfffe
	s_lshl_b64 s[34:35], s[4:5], 2
	s_ashr_i32 s31, s30, 31
	v_mov_b32_e32 v3, s1
	s_add_nc_u64 s[10:11], s[10:11], s[34:35]
	s_wait_alu 0xfffe
	s_lshl_b64 s[30:31], s[30:31], 2
	s_add_nc_u64 s[8:9], s[8:9], s[34:35]
	s_wait_alu 0xfffe
	s_add_nc_u64 s[10:11], s[10:11], s[30:31]
	s_add_nc_u64 s[8:9], s[8:9], s[30:31]
	s_clause 0x1
	global_store_b32 v3, v1, s[10:11]
	global_store_b32 v3, v2, s[8:9]
.LBB105_30:
	s_wait_alu 0xfffe
	s_or_b32 exec_lo, exec_lo, s0
	v_dual_mov_b32 v17, 0 :: v_dual_mov_b32 v18, 0
	v_dual_mov_b32 v16, 0 :: v_dual_mov_b32 v15, 0
	;; [unrolled: 1-line block ×4, first 2 shown]
	s_and_saveexec_b32 s1, s3
	s_cbranch_execz .LBB105_50
; %bb.31:
	v_dual_mov_b32 v12, 0 :: v_dual_lshlrev_b32 v1, 4, v0
	s_ashr_i32 s15, s14, 31
	v_dual_mov_b32 v14, 0 :: v_dual_lshlrev_b32 v3, 5, v32
	s_delay_alu instid0(VALU_DEP_2)
	v_dual_mov_b32 v16, 0 :: v_dual_and_b32 v1, 0x1f0, v1
	s_wait_alu 0xfffe
	s_lshl_b64 s[8:9], s[14:15], 1
	v_dual_mov_b32 v11, 0 :: v_dual_and_b32 v2, 8, v35
	s_add_nc_u64 s[8:9], s[22:23], s[8:9]
	v_lshl_add_u32 v4, v33, 4, s26
	v_add_co_u32 v19, s0, s8, v1
	s_wait_alu 0xf1ff
	v_add_co_ci_u32_e64 v20, null, s9, 0, s0
	s_lshl_b64 s[8:9], s[18:19], 2
	v_lshl_or_b32 v3, v33, 6, v3
	s_wait_alu 0xfffe
	s_add_nc_u64 s[8:9], s[20:21], s[8:9]
	v_add3_u32 v21, v4, v2, 7
	s_wait_alu 0xfffe
	v_add_co_u32 v5, s0, s8, v36
	v_dual_mov_b32 v13, 0 :: v_dual_add_nc_u32 v22, 0x120, v3
	s_wait_alu 0xf1ff
	v_add_co_ci_u32_e64 v6, null, s9, 0, s0
	v_dual_mov_b32 v15, 0 :: v_dual_mov_b32 v18, 0
	v_mov_b32_e32 v17, 0
	s_mov_b32 s3, s13
	s_add_co_i32 s29, s29, -1
	s_mov_b32 s5, 0
	s_branch .LBB105_33
.LBB105_32:                             ;   in Loop: Header=BB105_33 Depth=1
	s_wait_alu 0xfffe
	s_or_b32 exec_lo, exec_lo, s0
	v_dual_add_f32 v23, v51, v52 :: v_dual_add_f32 v24, v48, v49
	v_lshlrev_b32_e32 v25, 16, v50
	v_lshlrev_b32_e32 v8, 16, v8
	;; [unrolled: 1-line block ×3, first 2 shown]
	s_delay_alu instid0(VALU_DEP_4)
	v_add_f32_e32 v12, v12, v23
	v_add_f32_e32 v23, v46, v47
	v_and_or_b32 v1, 0xffff, v1, v25
	v_and_or_b32 v2, 0xffff, v2, v8
	;; [unrolled: 1-line block ×3, first 2 shown]
	;;#ASMSTART
	v_pk_mul_f16 v1, v35, v1;

	;;#ASMEND
	;;#ASMSTART
	v_pk_mul_f16 v2, v30, v2;

	;;#ASMEND
	;; [unrolled: 4-line block ×4, first 2 shown]
	;;#ASMSTART
	v_pk_add_f16 v1, v1, v2;

	;;#ASMEND
	;;#ASMSTART
	v_pk_add_f16 v1, v1, v3;

	;;#ASMEND
	;; [unrolled: 4-line block ×3, first 2 shown]
	v_and_b32_e32 v4, 0xffff, v1
	v_lshrrev_b32_e32 v7, 16, v1
	v_add_f32_e32 v1, v42, v43
	;;#ASMSTART
	v_cvt_f32_f16 v4, v4;
	;;#ASMEND
	;;#ASMSTART
	v_cvt_f32_f16 v7, v7;
	;;#ASMEND
	s_delay_alu instid0(VALU_DEP_2) | instskip(SKIP_3) | instid1(VALU_DEP_4)
	v_dual_add_f32 v4, v4, v7 :: v_dual_add_nc_u32 v21, 64, v21
	v_dual_add_f32 v13, v13, v24 :: v_dual_add_nc_u32 v34, 4, v34
	v_add_f32_e32 v24, v44, v45
	v_dual_add_f32 v2, v40, v41 :: v_dual_add_f32 v3, v38, v39
	v_dual_add_f32 v16, v16, v1 :: v_dual_add_f32 v11, v11, v4
	s_delay_alu instid0(VALU_DEP_4)
	v_cmp_le_i32_e32 vcc_lo, s17, v34
	v_add_co_u32 v5, s0, v5, 16
	v_dual_add_f32 v14, v14, v23 :: v_dual_add_f32 v15, v15, v24
	v_dual_add_f32 v18, v18, v2 :: v_dual_add_f32 v17, v17, v3
	v_add_nc_u32_e32 v22, 0x100, v22
	s_wait_alu 0xf1ff
	v_add_co_ci_u32_e64 v6, null, 0, v6, s0
	s_or_b32 s5, vcc_lo, s5
	s_wait_alu 0xfffe
	s_and_not1_b32 exec_lo, exec_lo, s5
	s_cbranch_execz .LBB105_49
.LBB105_33:                             ; =>This Inner Loop Header: Depth=1
	global_load_b32 v7, v[5:6], off
	ds_load_2addr_b64 v[1:4], v22 offset1:1
	ds_load_2addr_b64 v[23:26], v22 offset0:2 offset1:3
	v_add_nc_u32_e32 v27, -7, v21
	v_add_nc_u32_e32 v29, -6, v21
	v_add_nc_u32_e32 v28, -5, v21
	s_wait_dscnt 0x1
	;;#ASMSTART
	v_cvt_f16_f32 v35, v1;

	;;#ASMEND
	;;#ASMSTART
	v_cvt_f16_f32 v30, v2;

	;;#ASMEND
	;; [unrolled: 4-line block ×4, first 2 shown]
	s_wait_dscnt 0x0
	;;#ASMSTART
	v_cvt_f16_f32 v41, v23;

	;;#ASMEND
	;;#ASMSTART
	v_cvt_f16_f32 v36, v24;

	;;#ASMEND
	;; [unrolled: 4-line block ×4, first 2 shown]
	v_add_nc_u32_e32 v25, -4, v21
	v_add_nc_u32_e32 v24, -3, v21
	;; [unrolled: 1-line block ×4, first 2 shown]
	s_wait_loadcnt 0x0
	s_wait_alu 0xfffe
	v_mad_co_i64_i32 v[7:8], null, v7, s3, 0
	s_delay_alu instid0(VALU_DEP_1) | instskip(NEXT) | instid1(VALU_DEP_1)
	v_lshlrev_b64_e32 v[7:8], 1, v[7:8]
	v_add_co_u32 v7, vcc_lo, v19, v7
	s_wait_alu 0xfffd
	s_delay_alu instid0(VALU_DEP_2)
	v_add_co_ci_u32_e64 v8, null, v20, v8, vcc_lo
	v_cmp_eq_u32_e32 vcc_lo, s29, v34
	global_load_b128 v[1:4], v[7:8], off
	s_wait_loadcnt 0x0
	v_lshrrev_b32_e32 v44, 16, v1
	v_lshrrev_b32_e32 v43, 16, v2
	v_lshrrev_b32_e32 v42, 16, v3
	s_and_saveexec_b32 s8, vcc_lo
	s_cbranch_execz .LBB105_35
; %bb.34:                               ;   in Loop: Header=BB105_33 Depth=1
	v_cmp_gt_i32_e64 s0, s25, v27
	v_and_b32_e32 v45, 0xffff, v4
	v_and_b32_e32 v4, 0xffff0000, v4
	s_wait_alu 0xf1ff
	s_delay_alu instid0(VALU_DEP_3) | instskip(SKIP_2) | instid1(VALU_DEP_1)
	v_cndmask_b32_e64 v1, 0, v1, s0
	v_cmp_gt_i32_e64 s0, s25, v29
	s_wait_alu 0xf1ff
	v_cndmask_b32_e64 v44, 0, v44, s0
	v_cmp_gt_i32_e64 s0, s25, v28
	s_wait_alu 0xf1ff
	s_delay_alu instid0(VALU_DEP_1) | instskip(SKIP_2) | instid1(VALU_DEP_1)
	v_cndmask_b32_e64 v2, 0, v2, s0
	v_cmp_gt_i32_e64 s0, s25, v25
	s_wait_alu 0xf1ff
	v_cndmask_b32_e64 v43, 0, v43, s0
	v_cmp_gt_i32_e64 s0, s25, v26
	s_wait_alu 0xf1ff
	s_delay_alu instid0(VALU_DEP_1) | instskip(SKIP_2) | instid1(VALU_DEP_1)
	v_cndmask_b32_e64 v45, 0, v45, s0
	v_cmp_gt_i32_e64 s0, s25, v21
	s_wait_alu 0xf1ff
	v_cndmask_b32_e64 v4, 0, v4, s0
	v_cmp_gt_i32_e64 s0, s25, v24
	s_delay_alu instid0(VALU_DEP_2) | instskip(SKIP_1) | instid1(VALU_DEP_2)
	v_or_b32_e32 v4, v45, v4
	s_wait_alu 0xf1ff
	v_cndmask_b32_e64 v3, 0, v3, s0
	v_cmp_gt_i32_e64 s0, s25, v23
	s_wait_alu 0xf1ff
	s_delay_alu instid0(VALU_DEP_1)
	v_cndmask_b32_e64 v42, 0, v42, s0
.LBB105_35:                             ;   in Loop: Header=BB105_33 Depth=1
	s_wait_alu 0xfffe
	s_or_b32 exec_lo, exec_lo, s8
	v_and_b32_e32 v35, 0xffff, v35
	v_and_b32_e32 v40, 0xffff, v40
	v_lshlrev_b32_e32 v44, 16, v44
	v_and_b32_e32 v41, 0xffff, v41
	v_and_b32_e32 v39, 0xffff, v39
	v_lshl_or_b32 v35, v30, 16, v35
	v_lshl_or_b32 v30, v38, 16, v40
	v_lshlrev_b32_e32 v38, 16, v43
	v_lshlrev_b32_e32 v40, 16, v42
	v_and_or_b32 v1, 0xffff, v1, v44
	;;#ASMSTART
	v_pk_mul_f16 v1, v35, v1;

	;;#ASMEND
	v_lshl_or_b32 v36, v36, 16, v41
	v_and_or_b32 v2, 0xffff, v2, v38
	v_and_or_b32 v3, 0xffff, v3, v40
	v_lshl_or_b32 v37, v37, 16, v39
	;;#ASMSTART
	v_pk_mul_f16 v2, v30, v2;

	;;#ASMEND
	;;#ASMSTART
	v_pk_mul_f16 v3, v36, v3;

	;;#ASMEND
	;; [unrolled: 4-line block ×3, first 2 shown]
	;;#ASMSTART
	v_pk_add_f16 v1, v1, v2;

	;;#ASMEND
	;;#ASMSTART
	v_pk_add_f16 v1, v1, v3;

	;;#ASMEND
	;; [unrolled: 4-line block ×3, first 2 shown]
	v_and_b32_e32 v2, 0xffff, v1
	v_lshrrev_b32_e32 v1, 16, v1
	;;#ASMSTART
	v_cvt_f32_f16 v38, v2;
	;;#ASMEND
	;;#ASMSTART
	v_cvt_f32_f16 v39, v1;
	;;#ASMEND
	global_load_b128 v[1:4], v[7:8], off offset:512
	s_wait_loadcnt 0x0
	v_lshrrev_b32_e32 v42, 16, v1
	v_lshrrev_b32_e32 v41, 16, v2
	;; [unrolled: 1-line block ×3, first 2 shown]
	s_and_saveexec_b32 s8, vcc_lo
	s_cbranch_execz .LBB105_37
; %bb.36:                               ;   in Loop: Header=BB105_33 Depth=1
	v_cmp_gt_i32_e64 s0, s25, v27
	v_and_b32_e32 v43, 0xffff, v4
	v_and_b32_e32 v4, 0xffff0000, v4
	s_wait_alu 0xf1ff
	s_delay_alu instid0(VALU_DEP_3) | instskip(SKIP_2) | instid1(VALU_DEP_1)
	v_cndmask_b32_e64 v1, 0, v1, s0
	v_cmp_gt_i32_e64 s0, s25, v29
	s_wait_alu 0xf1ff
	v_cndmask_b32_e64 v42, 0, v42, s0
	v_cmp_gt_i32_e64 s0, s25, v28
	s_wait_alu 0xf1ff
	s_delay_alu instid0(VALU_DEP_1) | instskip(SKIP_2) | instid1(VALU_DEP_1)
	v_cndmask_b32_e64 v2, 0, v2, s0
	v_cmp_gt_i32_e64 s0, s25, v25
	s_wait_alu 0xf1ff
	v_cndmask_b32_e64 v41, 0, v41, s0
	v_cmp_gt_i32_e64 s0, s25, v26
	s_wait_alu 0xf1ff
	s_delay_alu instid0(VALU_DEP_1) | instskip(SKIP_2) | instid1(VALU_DEP_1)
	v_cndmask_b32_e64 v43, 0, v43, s0
	v_cmp_gt_i32_e64 s0, s25, v21
	s_wait_alu 0xf1ff
	v_cndmask_b32_e64 v4, 0, v4, s0
	v_cmp_gt_i32_e64 s0, s25, v24
	s_delay_alu instid0(VALU_DEP_2) | instskip(SKIP_1) | instid1(VALU_DEP_2)
	v_or_b32_e32 v4, v43, v4
	s_wait_alu 0xf1ff
	v_cndmask_b32_e64 v3, 0, v3, s0
	v_cmp_gt_i32_e64 s0, s25, v23
	s_wait_alu 0xf1ff
	s_delay_alu instid0(VALU_DEP_1)
	v_cndmask_b32_e64 v40, 0, v40, s0
.LBB105_37:                             ;   in Loop: Header=BB105_33 Depth=1
	s_wait_alu 0xfffe
	s_or_b32 exec_lo, exec_lo, s8
	v_lshlrev_b32_e32 v42, 16, v42
	v_lshlrev_b32_e32 v41, 16, v41
	;; [unrolled: 1-line block ×3, first 2 shown]
	s_delay_alu instid0(VALU_DEP_3) | instskip(NEXT) | instid1(VALU_DEP_3)
	v_and_or_b32 v1, 0xffff, v1, v42
	v_and_or_b32 v2, 0xffff, v2, v41
	s_delay_alu instid0(VALU_DEP_3)
	v_and_or_b32 v3, 0xffff, v3, v40
	;;#ASMSTART
	v_pk_mul_f16 v1, v35, v1;

	;;#ASMEND
	;;#ASMSTART
	v_pk_mul_f16 v2, v30, v2;

	;;#ASMEND
	;; [unrolled: 4-line block ×4, first 2 shown]
	;;#ASMSTART
	v_pk_add_f16 v1, v1, v2;

	;;#ASMEND
	;;#ASMSTART
	v_pk_add_f16 v1, v1, v3;

	;;#ASMEND
	;; [unrolled: 4-line block ×3, first 2 shown]
	v_and_b32_e32 v2, 0xffff, v1
	v_lshrrev_b32_e32 v1, 16, v1
	;;#ASMSTART
	v_cvt_f32_f16 v40, v2;
	;;#ASMEND
	;;#ASMSTART
	v_cvt_f32_f16 v41, v1;
	;;#ASMEND
	global_load_b128 v[1:4], v[7:8], off offset:1024
	s_wait_loadcnt 0x0
	v_lshrrev_b32_e32 v44, 16, v1
	v_lshrrev_b32_e32 v43, 16, v2
	;; [unrolled: 1-line block ×3, first 2 shown]
	s_and_saveexec_b32 s8, vcc_lo
	s_cbranch_execz .LBB105_39
; %bb.38:                               ;   in Loop: Header=BB105_33 Depth=1
	v_cmp_gt_i32_e64 s0, s25, v27
	v_and_b32_e32 v45, 0xffff, v4
	v_and_b32_e32 v4, 0xffff0000, v4
	s_wait_alu 0xf1ff
	s_delay_alu instid0(VALU_DEP_3) | instskip(SKIP_2) | instid1(VALU_DEP_1)
	v_cndmask_b32_e64 v1, 0, v1, s0
	v_cmp_gt_i32_e64 s0, s25, v29
	s_wait_alu 0xf1ff
	v_cndmask_b32_e64 v44, 0, v44, s0
	v_cmp_gt_i32_e64 s0, s25, v28
	s_wait_alu 0xf1ff
	s_delay_alu instid0(VALU_DEP_1) | instskip(SKIP_2) | instid1(VALU_DEP_1)
	v_cndmask_b32_e64 v2, 0, v2, s0
	v_cmp_gt_i32_e64 s0, s25, v25
	s_wait_alu 0xf1ff
	v_cndmask_b32_e64 v43, 0, v43, s0
	v_cmp_gt_i32_e64 s0, s25, v26
	s_wait_alu 0xf1ff
	s_delay_alu instid0(VALU_DEP_1) | instskip(SKIP_2) | instid1(VALU_DEP_1)
	v_cndmask_b32_e64 v45, 0, v45, s0
	v_cmp_gt_i32_e64 s0, s25, v21
	s_wait_alu 0xf1ff
	v_cndmask_b32_e64 v4, 0, v4, s0
	v_cmp_gt_i32_e64 s0, s25, v24
	s_delay_alu instid0(VALU_DEP_2) | instskip(SKIP_1) | instid1(VALU_DEP_2)
	v_or_b32_e32 v4, v45, v4
	s_wait_alu 0xf1ff
	v_cndmask_b32_e64 v3, 0, v3, s0
	v_cmp_gt_i32_e64 s0, s25, v23
	s_wait_alu 0xf1ff
	s_delay_alu instid0(VALU_DEP_1)
	v_cndmask_b32_e64 v42, 0, v42, s0
.LBB105_39:                             ;   in Loop: Header=BB105_33 Depth=1
	s_wait_alu 0xfffe
	s_or_b32 exec_lo, exec_lo, s8
	v_lshlrev_b32_e32 v44, 16, v44
	v_lshlrev_b32_e32 v43, 16, v43
	;; [unrolled: 1-line block ×3, first 2 shown]
	s_delay_alu instid0(VALU_DEP_3) | instskip(NEXT) | instid1(VALU_DEP_3)
	v_and_or_b32 v1, 0xffff, v1, v44
	v_and_or_b32 v2, 0xffff, v2, v43
	s_delay_alu instid0(VALU_DEP_3)
	v_and_or_b32 v3, 0xffff, v3, v42
	;;#ASMSTART
	v_pk_mul_f16 v1, v35, v1;

	;;#ASMEND
	;;#ASMSTART
	v_pk_mul_f16 v2, v30, v2;

	;;#ASMEND
	;;#ASMSTART
	v_pk_mul_f16 v3, v36, v3;

	;;#ASMEND
	;;#ASMSTART
	v_pk_mul_f16 v4, v37, v4;

	;;#ASMEND
	;;#ASMSTART
	v_pk_add_f16 v1, v1, v2;

	;;#ASMEND
	;;#ASMSTART
	v_pk_add_f16 v1, v1, v3;

	;;#ASMEND
	;; [unrolled: 4-line block ×3, first 2 shown]
	v_and_b32_e32 v2, 0xffff, v1
	v_lshrrev_b32_e32 v1, 16, v1
	;;#ASMSTART
	v_cvt_f32_f16 v42, v2;
	;;#ASMEND
	;;#ASMSTART
	v_cvt_f32_f16 v43, v1;
	;;#ASMEND
	global_load_b128 v[1:4], v[7:8], off offset:1536
	s_wait_loadcnt 0x0
	v_lshrrev_b32_e32 v46, 16, v1
	v_lshrrev_b32_e32 v45, 16, v2
	;; [unrolled: 1-line block ×3, first 2 shown]
	s_and_saveexec_b32 s8, vcc_lo
	s_cbranch_execz .LBB105_41
; %bb.40:                               ;   in Loop: Header=BB105_33 Depth=1
	v_cmp_gt_i32_e64 s0, s25, v27
	v_and_b32_e32 v47, 0xffff, v4
	v_and_b32_e32 v4, 0xffff0000, v4
	s_wait_alu 0xf1ff
	s_delay_alu instid0(VALU_DEP_3) | instskip(SKIP_2) | instid1(VALU_DEP_1)
	v_cndmask_b32_e64 v1, 0, v1, s0
	v_cmp_gt_i32_e64 s0, s25, v29
	s_wait_alu 0xf1ff
	v_cndmask_b32_e64 v46, 0, v46, s0
	v_cmp_gt_i32_e64 s0, s25, v28
	s_wait_alu 0xf1ff
	s_delay_alu instid0(VALU_DEP_1) | instskip(SKIP_2) | instid1(VALU_DEP_1)
	v_cndmask_b32_e64 v2, 0, v2, s0
	v_cmp_gt_i32_e64 s0, s25, v25
	s_wait_alu 0xf1ff
	v_cndmask_b32_e64 v45, 0, v45, s0
	v_cmp_gt_i32_e64 s0, s25, v26
	s_wait_alu 0xf1ff
	s_delay_alu instid0(VALU_DEP_1) | instskip(SKIP_2) | instid1(VALU_DEP_1)
	v_cndmask_b32_e64 v47, 0, v47, s0
	v_cmp_gt_i32_e64 s0, s25, v21
	s_wait_alu 0xf1ff
	v_cndmask_b32_e64 v4, 0, v4, s0
	v_cmp_gt_i32_e64 s0, s25, v24
	s_delay_alu instid0(VALU_DEP_2) | instskip(SKIP_1) | instid1(VALU_DEP_2)
	v_or_b32_e32 v4, v47, v4
	s_wait_alu 0xf1ff
	v_cndmask_b32_e64 v3, 0, v3, s0
	v_cmp_gt_i32_e64 s0, s25, v23
	s_wait_alu 0xf1ff
	s_delay_alu instid0(VALU_DEP_1)
	v_cndmask_b32_e64 v44, 0, v44, s0
.LBB105_41:                             ;   in Loop: Header=BB105_33 Depth=1
	s_wait_alu 0xfffe
	s_or_b32 exec_lo, exec_lo, s8
	v_lshlrev_b32_e32 v46, 16, v46
	v_lshlrev_b32_e32 v45, 16, v45
	;; [unrolled: 1-line block ×3, first 2 shown]
	s_delay_alu instid0(VALU_DEP_3) | instskip(NEXT) | instid1(VALU_DEP_3)
	v_and_or_b32 v1, 0xffff, v1, v46
	v_and_or_b32 v2, 0xffff, v2, v45
	s_delay_alu instid0(VALU_DEP_3)
	v_and_or_b32 v3, 0xffff, v3, v44
	;;#ASMSTART
	v_pk_mul_f16 v1, v35, v1;

	;;#ASMEND
	;;#ASMSTART
	v_pk_mul_f16 v2, v30, v2;

	;;#ASMEND
	;; [unrolled: 4-line block ×4, first 2 shown]
	;;#ASMSTART
	v_pk_add_f16 v1, v1, v2;

	;;#ASMEND
	;;#ASMSTART
	v_pk_add_f16 v1, v1, v3;

	;;#ASMEND
	;; [unrolled: 4-line block ×3, first 2 shown]
	v_and_b32_e32 v2, 0xffff, v1
	v_lshrrev_b32_e32 v1, 16, v1
	;;#ASMSTART
	v_cvt_f32_f16 v44, v2;
	;;#ASMEND
	;;#ASMSTART
	v_cvt_f32_f16 v45, v1;
	;;#ASMEND
	global_load_b128 v[1:4], v[7:8], off offset:2048
	s_wait_loadcnt 0x0
	v_lshrrev_b32_e32 v48, 16, v1
	v_lshrrev_b32_e32 v47, 16, v2
	;; [unrolled: 1-line block ×3, first 2 shown]
	s_and_saveexec_b32 s8, vcc_lo
	s_cbranch_execz .LBB105_43
; %bb.42:                               ;   in Loop: Header=BB105_33 Depth=1
	v_cmp_gt_i32_e64 s0, s25, v27
	v_and_b32_e32 v49, 0xffff, v4
	v_and_b32_e32 v4, 0xffff0000, v4
	s_wait_alu 0xf1ff
	s_delay_alu instid0(VALU_DEP_3) | instskip(SKIP_2) | instid1(VALU_DEP_1)
	v_cndmask_b32_e64 v1, 0, v1, s0
	v_cmp_gt_i32_e64 s0, s25, v29
	s_wait_alu 0xf1ff
	v_cndmask_b32_e64 v48, 0, v48, s0
	v_cmp_gt_i32_e64 s0, s25, v28
	s_wait_alu 0xf1ff
	s_delay_alu instid0(VALU_DEP_1) | instskip(SKIP_2) | instid1(VALU_DEP_1)
	v_cndmask_b32_e64 v2, 0, v2, s0
	v_cmp_gt_i32_e64 s0, s25, v25
	s_wait_alu 0xf1ff
	v_cndmask_b32_e64 v47, 0, v47, s0
	v_cmp_gt_i32_e64 s0, s25, v26
	s_wait_alu 0xf1ff
	s_delay_alu instid0(VALU_DEP_1) | instskip(SKIP_2) | instid1(VALU_DEP_1)
	v_cndmask_b32_e64 v49, 0, v49, s0
	v_cmp_gt_i32_e64 s0, s25, v21
	s_wait_alu 0xf1ff
	v_cndmask_b32_e64 v4, 0, v4, s0
	v_cmp_gt_i32_e64 s0, s25, v24
	s_delay_alu instid0(VALU_DEP_2) | instskip(SKIP_1) | instid1(VALU_DEP_2)
	v_or_b32_e32 v4, v49, v4
	s_wait_alu 0xf1ff
	v_cndmask_b32_e64 v3, 0, v3, s0
	v_cmp_gt_i32_e64 s0, s25, v23
	s_wait_alu 0xf1ff
	s_delay_alu instid0(VALU_DEP_1)
	v_cndmask_b32_e64 v46, 0, v46, s0
.LBB105_43:                             ;   in Loop: Header=BB105_33 Depth=1
	s_wait_alu 0xfffe
	s_or_b32 exec_lo, exec_lo, s8
	v_lshlrev_b32_e32 v48, 16, v48
	v_lshlrev_b32_e32 v47, 16, v47
	;; [unrolled: 1-line block ×3, first 2 shown]
	s_delay_alu instid0(VALU_DEP_3) | instskip(NEXT) | instid1(VALU_DEP_3)
	v_and_or_b32 v1, 0xffff, v1, v48
	v_and_or_b32 v2, 0xffff, v2, v47
	s_delay_alu instid0(VALU_DEP_3)
	v_and_or_b32 v3, 0xffff, v3, v46
	;;#ASMSTART
	v_pk_mul_f16 v1, v35, v1;

	;;#ASMEND
	;;#ASMSTART
	v_pk_mul_f16 v2, v30, v2;

	;;#ASMEND
	;;#ASMSTART
	v_pk_mul_f16 v3, v36, v3;

	;;#ASMEND
	;;#ASMSTART
	v_pk_mul_f16 v4, v37, v4;

	;;#ASMEND
	;;#ASMSTART
	v_pk_add_f16 v1, v1, v2;

	;;#ASMEND
	;;#ASMSTART
	v_pk_add_f16 v1, v1, v3;

	;;#ASMEND
	;; [unrolled: 4-line block ×3, first 2 shown]
	v_and_b32_e32 v2, 0xffff, v1
	v_lshrrev_b32_e32 v1, 16, v1
	;;#ASMSTART
	v_cvt_f32_f16 v46, v2;
	;;#ASMEND
	;;#ASMSTART
	v_cvt_f32_f16 v47, v1;
	;;#ASMEND
	global_load_b128 v[1:4], v[7:8], off offset:2560
	s_wait_loadcnt 0x0
	v_lshrrev_b32_e32 v50, 16, v1
	v_lshrrev_b32_e32 v49, 16, v2
	;; [unrolled: 1-line block ×3, first 2 shown]
	s_and_saveexec_b32 s8, vcc_lo
	s_cbranch_execz .LBB105_45
; %bb.44:                               ;   in Loop: Header=BB105_33 Depth=1
	v_cmp_gt_i32_e64 s0, s25, v27
	v_and_b32_e32 v51, 0xffff, v4
	v_and_b32_e32 v4, 0xffff0000, v4
	s_wait_alu 0xf1ff
	s_delay_alu instid0(VALU_DEP_3) | instskip(SKIP_2) | instid1(VALU_DEP_1)
	v_cndmask_b32_e64 v1, 0, v1, s0
	v_cmp_gt_i32_e64 s0, s25, v29
	s_wait_alu 0xf1ff
	v_cndmask_b32_e64 v50, 0, v50, s0
	v_cmp_gt_i32_e64 s0, s25, v28
	s_wait_alu 0xf1ff
	s_delay_alu instid0(VALU_DEP_1) | instskip(SKIP_2) | instid1(VALU_DEP_1)
	v_cndmask_b32_e64 v2, 0, v2, s0
	v_cmp_gt_i32_e64 s0, s25, v25
	s_wait_alu 0xf1ff
	v_cndmask_b32_e64 v49, 0, v49, s0
	v_cmp_gt_i32_e64 s0, s25, v26
	s_wait_alu 0xf1ff
	s_delay_alu instid0(VALU_DEP_1) | instskip(SKIP_2) | instid1(VALU_DEP_1)
	v_cndmask_b32_e64 v51, 0, v51, s0
	v_cmp_gt_i32_e64 s0, s25, v21
	s_wait_alu 0xf1ff
	v_cndmask_b32_e64 v4, 0, v4, s0
	v_cmp_gt_i32_e64 s0, s25, v24
	s_delay_alu instid0(VALU_DEP_2) | instskip(SKIP_1) | instid1(VALU_DEP_2)
	v_or_b32_e32 v4, v51, v4
	s_wait_alu 0xf1ff
	v_cndmask_b32_e64 v3, 0, v3, s0
	v_cmp_gt_i32_e64 s0, s25, v23
	s_wait_alu 0xf1ff
	s_delay_alu instid0(VALU_DEP_1)
	v_cndmask_b32_e64 v48, 0, v48, s0
.LBB105_45:                             ;   in Loop: Header=BB105_33 Depth=1
	s_wait_alu 0xfffe
	s_or_b32 exec_lo, exec_lo, s8
	v_lshlrev_b32_e32 v50, 16, v50
	v_lshlrev_b32_e32 v49, 16, v49
	;; [unrolled: 1-line block ×3, first 2 shown]
	s_delay_alu instid0(VALU_DEP_3) | instskip(NEXT) | instid1(VALU_DEP_3)
	v_and_or_b32 v1, 0xffff, v1, v50
	v_and_or_b32 v2, 0xffff, v2, v49
	s_delay_alu instid0(VALU_DEP_3)
	v_and_or_b32 v3, 0xffff, v3, v48
	;;#ASMSTART
	v_pk_mul_f16 v1, v35, v1;

	;;#ASMEND
	;;#ASMSTART
	v_pk_mul_f16 v2, v30, v2;

	;;#ASMEND
	;; [unrolled: 4-line block ×4, first 2 shown]
	;;#ASMSTART
	v_pk_add_f16 v1, v1, v2;

	;;#ASMEND
	;;#ASMSTART
	v_pk_add_f16 v1, v1, v3;

	;;#ASMEND
	;; [unrolled: 4-line block ×3, first 2 shown]
	v_and_b32_e32 v2, 0xffff, v1
	v_lshrrev_b32_e32 v1, 16, v1
	;;#ASMSTART
	v_cvt_f32_f16 v48, v2;
	;;#ASMEND
	;;#ASMSTART
	v_cvt_f32_f16 v49, v1;
	;;#ASMEND
	global_load_b128 v[1:4], v[7:8], off offset:3072
	s_wait_loadcnt 0x0
	v_lshrrev_b32_e32 v52, 16, v1
	v_lshrrev_b32_e32 v51, 16, v2
	;; [unrolled: 1-line block ×3, first 2 shown]
	s_and_saveexec_b32 s8, vcc_lo
	s_cbranch_execz .LBB105_47
; %bb.46:                               ;   in Loop: Header=BB105_33 Depth=1
	v_cmp_gt_i32_e64 s0, s25, v27
	v_and_b32_e32 v53, 0xffff, v4
	v_and_b32_e32 v4, 0xffff0000, v4
	s_wait_alu 0xf1ff
	s_delay_alu instid0(VALU_DEP_3) | instskip(SKIP_2) | instid1(VALU_DEP_1)
	v_cndmask_b32_e64 v1, 0, v1, s0
	v_cmp_gt_i32_e64 s0, s25, v29
	s_wait_alu 0xf1ff
	v_cndmask_b32_e64 v52, 0, v52, s0
	v_cmp_gt_i32_e64 s0, s25, v28
	s_wait_alu 0xf1ff
	s_delay_alu instid0(VALU_DEP_1) | instskip(SKIP_2) | instid1(VALU_DEP_1)
	v_cndmask_b32_e64 v2, 0, v2, s0
	v_cmp_gt_i32_e64 s0, s25, v25
	s_wait_alu 0xf1ff
	v_cndmask_b32_e64 v51, 0, v51, s0
	v_cmp_gt_i32_e64 s0, s25, v26
	s_wait_alu 0xf1ff
	s_delay_alu instid0(VALU_DEP_1) | instskip(SKIP_2) | instid1(VALU_DEP_1)
	v_cndmask_b32_e64 v53, 0, v53, s0
	v_cmp_gt_i32_e64 s0, s25, v21
	s_wait_alu 0xf1ff
	v_cndmask_b32_e64 v4, 0, v4, s0
	v_cmp_gt_i32_e64 s0, s25, v24
	s_delay_alu instid0(VALU_DEP_2) | instskip(SKIP_1) | instid1(VALU_DEP_2)
	v_or_b32_e32 v4, v53, v4
	s_wait_alu 0xf1ff
	v_cndmask_b32_e64 v3, 0, v3, s0
	v_cmp_gt_i32_e64 s0, s25, v23
	s_wait_alu 0xf1ff
	s_delay_alu instid0(VALU_DEP_1)
	v_cndmask_b32_e64 v50, 0, v50, s0
.LBB105_47:                             ;   in Loop: Header=BB105_33 Depth=1
	s_wait_alu 0xfffe
	s_or_b32 exec_lo, exec_lo, s8
	v_lshlrev_b32_e32 v52, 16, v52
	v_lshlrev_b32_e32 v51, 16, v51
	;; [unrolled: 1-line block ×3, first 2 shown]
	s_delay_alu instid0(VALU_DEP_3) | instskip(NEXT) | instid1(VALU_DEP_3)
	v_and_or_b32 v1, 0xffff, v1, v52
	v_and_or_b32 v2, 0xffff, v2, v51
	s_delay_alu instid0(VALU_DEP_3)
	v_and_or_b32 v3, 0xffff, v3, v50
	;;#ASMSTART
	v_pk_mul_f16 v1, v35, v1;

	;;#ASMEND
	;;#ASMSTART
	v_pk_mul_f16 v2, v30, v2;

	;;#ASMEND
	;; [unrolled: 4-line block ×4, first 2 shown]
	;;#ASMSTART
	v_pk_add_f16 v1, v1, v2;

	;;#ASMEND
	;;#ASMSTART
	v_pk_add_f16 v1, v1, v3;

	;;#ASMEND
	;; [unrolled: 4-line block ×3, first 2 shown]
	v_and_b32_e32 v2, 0xffff, v1
	v_lshrrev_b32_e32 v1, 16, v1
	;;#ASMSTART
	v_cvt_f32_f16 v51, v2;
	;;#ASMEND
	;;#ASMSTART
	v_cvt_f32_f16 v52, v1;
	;;#ASMEND
	global_load_b128 v[1:4], v[7:8], off offset:3584
	s_wait_loadcnt 0x0
	v_lshrrev_b32_e32 v50, 16, v1
	v_lshrrev_b32_e32 v8, 16, v2
	;; [unrolled: 1-line block ×3, first 2 shown]
	s_and_saveexec_b32 s0, vcc_lo
	s_cbranch_execz .LBB105_32
; %bb.48:                               ;   in Loop: Header=BB105_33 Depth=1
	v_cmp_gt_i32_e32 vcc_lo, s25, v27
	v_and_b32_e32 v27, 0xffff, v4
	s_wait_alu 0xfffd
	v_cndmask_b32_e32 v1, 0, v1, vcc_lo
	v_cmp_gt_i32_e32 vcc_lo, s25, v29
	s_wait_alu 0xfffd
	v_cndmask_b32_e32 v50, 0, v50, vcc_lo
	v_cmp_gt_i32_e32 vcc_lo, s25, v28
	;; [unrolled: 3-line block ×4, first 2 shown]
	s_wait_alu 0xfffd
	v_dual_cndmask_b32 v25, 0, v27 :: v_dual_and_b32 v4, 0xffff0000, v4
	v_cmp_gt_i32_e32 vcc_lo, s25, v21
	s_wait_alu 0xfffd
	s_delay_alu instid0(VALU_DEP_2)
	v_cndmask_b32_e32 v4, 0, v4, vcc_lo
	v_cmp_gt_i32_e32 vcc_lo, s25, v24
	s_wait_alu 0xfffd
	v_cndmask_b32_e32 v3, 0, v3, vcc_lo
	v_cmp_gt_i32_e32 vcc_lo, s25, v23
	s_wait_alu 0xfffd
	v_cndmask_b32_e32 v7, 0, v7, vcc_lo
	v_or_b32_e32 v4, v25, v4
	s_branch .LBB105_32
.LBB105_49:
	s_or_b32 exec_lo, exec_lo, s5
.LBB105_50:
	s_wait_alu 0xfffe
	s_or_b32 exec_lo, exec_lo, s1
	ds_bpermute_b32 v1, v10, v17
	ds_bpermute_b32 v2, v10, v18
	;; [unrolled: 1-line block ×8, first 2 shown]
	v_lshrrev_b32_e32 v9, 1, v9
	v_lshlrev_b32_e32 v19, 9, v33
	v_and_b32_e32 v24, 0x3c1, v0
	s_mov_b32 s0, exec_lo
	s_wait_storecnt 0x0
	s_wait_loadcnt_dscnt 0x0
	v_lshl_add_u32 v10, v9, 2, 0x120
	s_barrier_signal -1
	s_barrier_wait -1
	global_inv scope:SCOPE_SE
	v_dual_add_f32 v8, v17, v1 :: v_dual_add_f32 v7, v18, v2
	v_dual_add_f32 v6, v16, v3 :: v_dual_add_f32 v5, v15, v4
	;; [unrolled: 1-line block ×4, first 2 shown]
	v_cmpx_eq_u32_e32 64, v24
	s_cbranch_execz .LBB105_52
; %bb.51:
	v_add_nc_u32_e32 v11, v10, v19
	s_delay_alu instid0(VALU_DEP_1)
	v_add_nc_u32_e32 v12, 0xfffffc00, v11
	v_add_nc_u32_e32 v13, 0xfffffc40, v11
	;; [unrolled: 1-line block ×8, first 2 shown]
	ds_store_b32 v12, v8
	ds_store_b32 v13, v7
	ds_store_b32 v14, v6
	ds_store_b32 v15, v5
	ds_store_b32 v16, v4
	ds_store_b32 v17, v3
	ds_store_b32 v18, v2
	ds_store_b32 v11, v1
.LBB105_52:
	s_wait_alu 0xfffe
	s_or_b32 exec_lo, exec_lo, s0
	v_lshlrev_b32_e32 v9, 2, v9
	s_mov_b32 s1, exec_lo
	v_cmp_eq_u32_e32 vcc_lo, 0, v32
	s_wait_loadcnt_dscnt 0x0
	s_barrier_signal -1
	v_add3_u32 v9, 0x120, v19, v9
	s_barrier_wait -1
	global_inv scope:SCOPE_SE
	v_cmpx_gt_u32_e32 64, v0
	s_cbranch_execz .LBB105_63
; %bb.53:
	s_and_saveexec_b32 s0, vcc_lo
	s_cbranch_execnz .LBB105_79
; %bb.54:
	s_wait_alu 0xfffe
	s_or_b32 exec_lo, exec_lo, s0
	s_and_saveexec_b32 s0, vcc_lo
	s_cbranch_execnz .LBB105_80
.LBB105_55:
	s_wait_alu 0xfffe
	s_or_b32 exec_lo, exec_lo, s0
	s_and_saveexec_b32 s0, vcc_lo
	s_cbranch_execnz .LBB105_81
.LBB105_56:
	s_wait_alu 0xfffe
	s_or_b32 exec_lo, exec_lo, s0
	s_and_saveexec_b32 s0, vcc_lo
	s_cbranch_execnz .LBB105_82
.LBB105_57:
	s_wait_alu 0xfffe
	s_or_b32 exec_lo, exec_lo, s0
	s_and_saveexec_b32 s0, vcc_lo
	s_cbranch_execnz .LBB105_83
.LBB105_58:
	s_wait_alu 0xfffe
	s_or_b32 exec_lo, exec_lo, s0
	s_and_saveexec_b32 s0, vcc_lo
	s_cbranch_execnz .LBB105_84
.LBB105_59:
	s_wait_alu 0xfffe
	s_or_b32 exec_lo, exec_lo, s0
	s_and_saveexec_b32 s0, vcc_lo
	s_cbranch_execnz .LBB105_85
.LBB105_60:
	s_wait_alu 0xfffe
	s_or_b32 exec_lo, exec_lo, s0
	s_and_saveexec_b32 s0, vcc_lo
	s_cbranch_execz .LBB105_62
.LBB105_61:
	ds_load_b32 v11, v9 offset:448
	s_wait_dscnt 0x0
	v_add_f32_e32 v1, v1, v11
.LBB105_62:
	s_wait_alu 0xfffe
	s_or_b32 exec_lo, exec_lo, s0
.LBB105_63:
	s_wait_alu 0xfffe
	s_or_b32 exec_lo, exec_lo, s1
	v_and_b32_e32 v0, 0x3e1, v0
	s_mov_b32 s1, exec_lo
	s_wait_loadcnt 0x0
	s_barrier_signal -1
	s_barrier_wait -1
	global_inv scope:SCOPE_SE
	v_cmpx_eq_u32_e32 32, v0
	s_cbranch_execz .LBB105_65
; %bb.64:
	ds_store_2addr_b32 v10, v8, v7 offset1:16
	ds_store_2addr_b32 v10, v6, v5 offset0:32 offset1:48
	ds_store_2addr_b32 v10, v4, v3 offset0:64 offset1:80
	ds_store_2addr_b32 v10, v2, v1 offset0:96 offset1:112
.LBB105_65:
	s_wait_alu 0xfffe
	s_or_b32 exec_lo, exec_lo, s1
	s_wait_loadcnt_dscnt 0x0
	s_barrier_signal -1
	s_barrier_wait -1
	global_inv scope:SCOPE_SE
	s_and_saveexec_b32 s0, s2
	s_cbranch_execz .LBB105_76
; %bb.66:
	s_and_saveexec_b32 s1, vcc_lo
	s_cbranch_execnz .LBB105_86
; %bb.67:
	s_wait_alu 0xfffe
	s_or_b32 exec_lo, exec_lo, s1
	s_and_saveexec_b32 s1, vcc_lo
	s_cbranch_execnz .LBB105_87
.LBB105_68:
	s_wait_alu 0xfffe
	s_or_b32 exec_lo, exec_lo, s1
	s_and_saveexec_b32 s1, vcc_lo
	s_cbranch_execnz .LBB105_88
.LBB105_69:
	s_wait_alu 0xfffe
	s_or_b32 exec_lo, exec_lo, s1
	s_and_saveexec_b32 s1, vcc_lo
	s_cbranch_execnz .LBB105_89
.LBB105_70:
	s_wait_alu 0xfffe
	s_or_b32 exec_lo, exec_lo, s1
	s_and_saveexec_b32 s1, vcc_lo
	s_cbranch_execnz .LBB105_90
.LBB105_71:
	s_wait_alu 0xfffe
	s_or_b32 exec_lo, exec_lo, s1
	s_and_saveexec_b32 s1, vcc_lo
	s_cbranch_execnz .LBB105_91
.LBB105_72:
	s_wait_alu 0xfffe
	s_or_b32 exec_lo, exec_lo, s1
	s_and_saveexec_b32 s1, vcc_lo
	s_cbranch_execnz .LBB105_92
.LBB105_73:
	s_wait_alu 0xfffe
	s_or_b32 exec_lo, exec_lo, s1
	s_and_saveexec_b32 s1, vcc_lo
	s_cbranch_execz .LBB105_75
.LBB105_74:
	ds_load_b32 v9, v9 offset:448
	s_wait_dscnt 0x0
	v_add_f32_e32 v1, v1, v9
.LBB105_75:
	s_wait_alu 0xfffe
	s_or_b32 exec_lo, exec_lo, s1
.LBB105_76:
	s_wait_alu 0xfffe
	s_or_b32 exec_lo, exec_lo, s0
	s_mov_b32 s1, 0
	s_wait_loadcnt 0x0
	s_barrier_signal -1
	s_barrier_wait -1
	global_inv scope:SCOPE_SE
	s_mov_b32 s0, exec_lo
	v_cmpx_eq_u32_e32 0, v0
	s_cbranch_execz .LBB105_78
; %bb.77:
	s_lshl_b32 s2, s4, 7
	s_mul_i32 s4, s12, s16
	s_wait_alu 0xfffe
	s_ashr_i32 s3, s2, 31
	s_ashr_i32 s5, s4, 31
	s_wait_alu 0xfffe
	s_lshl_b64 s[2:3], s[2:3], 1
	s_lshl_b64 s[4:5], s[4:5], 1
	s_wait_alu 0xfffe
	s_add_nc_u64 s[2:3], s[6:7], s[2:3]
	v_lshlrev_b32_e32 v0, 1, v31
	s_lshl_b32 s0, s24, 8
	s_wait_alu 0xfffe
	s_add_nc_u64 s[2:3], s[2:3], s[4:5]
	;;#ASMSTART
	v_cvt_f16_f32 v8, v8;

	;;#ASMEND
	s_wait_alu 0xfffe
	s_add_nc_u64 s[0:1], s[2:3], s[0:1]
	global_store_b16 v0, v8, s[0:1]
	;;#ASMSTART
	v_cvt_f16_f32 v7, v7;

	;;#ASMEND
	global_store_b16 v0, v7, s[0:1] offset:32
	;;#ASMSTART
	v_cvt_f16_f32 v6, v6;

	;;#ASMEND
	global_store_b16 v0, v6, s[0:1] offset:64
	;; [unrolled: 5-line block ×7, first 2 shown]
.LBB105_78:
	s_nop 0
	s_sendmsg sendmsg(MSG_DEALLOC_VGPRS)
	s_endpgm
.LBB105_79:
	ds_load_b32 v11, v9
	s_wait_dscnt 0x0
	v_add_f32_e32 v8, v8, v11
	s_wait_alu 0xfffe
	s_or_b32 exec_lo, exec_lo, s0
	s_and_saveexec_b32 s0, vcc_lo
	s_cbranch_execz .LBB105_55
.LBB105_80:
	ds_load_b32 v11, v9 offset:64
	s_wait_dscnt 0x0
	v_add_f32_e32 v7, v7, v11
	s_wait_alu 0xfffe
	s_or_b32 exec_lo, exec_lo, s0
	s_and_saveexec_b32 s0, vcc_lo
	s_cbranch_execz .LBB105_56
.LBB105_81:
	ds_load_b32 v11, v9 offset:128
	s_wait_dscnt 0x0
	v_add_f32_e32 v6, v6, v11
	s_wait_alu 0xfffe
	s_or_b32 exec_lo, exec_lo, s0
	s_and_saveexec_b32 s0, vcc_lo
	s_cbranch_execz .LBB105_57
.LBB105_82:
	ds_load_b32 v11, v9 offset:192
	s_wait_dscnt 0x0
	v_add_f32_e32 v5, v5, v11
	s_wait_alu 0xfffe
	s_or_b32 exec_lo, exec_lo, s0
	s_and_saveexec_b32 s0, vcc_lo
	s_cbranch_execz .LBB105_58
.LBB105_83:
	ds_load_b32 v11, v9 offset:256
	s_wait_dscnt 0x0
	v_add_f32_e32 v4, v4, v11
	s_wait_alu 0xfffe
	s_or_b32 exec_lo, exec_lo, s0
	s_and_saveexec_b32 s0, vcc_lo
	s_cbranch_execz .LBB105_59
.LBB105_84:
	ds_load_b32 v11, v9 offset:320
	s_wait_dscnt 0x0
	v_add_f32_e32 v3, v3, v11
	s_wait_alu 0xfffe
	s_or_b32 exec_lo, exec_lo, s0
	s_and_saveexec_b32 s0, vcc_lo
	s_cbranch_execz .LBB105_60
.LBB105_85:
	ds_load_b32 v11, v9 offset:384
	s_wait_dscnt 0x0
	v_add_f32_e32 v2, v2, v11
	s_wait_alu 0xfffe
	s_or_b32 exec_lo, exec_lo, s0
	s_and_saveexec_b32 s0, vcc_lo
	s_cbranch_execnz .LBB105_61
	s_branch .LBB105_62
.LBB105_86:
	ds_load_b32 v10, v9
	s_wait_dscnt 0x0
	v_add_f32_e32 v8, v8, v10
	s_wait_alu 0xfffe
	s_or_b32 exec_lo, exec_lo, s1
	s_and_saveexec_b32 s1, vcc_lo
	s_cbranch_execz .LBB105_68
.LBB105_87:
	ds_load_b32 v10, v9 offset:64
	s_wait_dscnt 0x0
	v_add_f32_e32 v7, v7, v10
	s_wait_alu 0xfffe
	s_or_b32 exec_lo, exec_lo, s1
	s_and_saveexec_b32 s1, vcc_lo
	s_cbranch_execz .LBB105_69
.LBB105_88:
	ds_load_b32 v10, v9 offset:128
	s_wait_dscnt 0x0
	v_add_f32_e32 v6, v6, v10
	s_wait_alu 0xfffe
	s_or_b32 exec_lo, exec_lo, s1
	s_and_saveexec_b32 s1, vcc_lo
	s_cbranch_execz .LBB105_70
.LBB105_89:
	ds_load_b32 v10, v9 offset:192
	s_wait_dscnt 0x0
	v_add_f32_e32 v5, v5, v10
	s_wait_alu 0xfffe
	s_or_b32 exec_lo, exec_lo, s1
	s_and_saveexec_b32 s1, vcc_lo
	s_cbranch_execz .LBB105_71
.LBB105_90:
	ds_load_b32 v10, v9 offset:256
	s_wait_dscnt 0x0
	v_add_f32_e32 v4, v4, v10
	s_wait_alu 0xfffe
	s_or_b32 exec_lo, exec_lo, s1
	s_and_saveexec_b32 s1, vcc_lo
	s_cbranch_execz .LBB105_72
.LBB105_91:
	ds_load_b32 v10, v9 offset:320
	s_wait_dscnt 0x0
	v_add_f32_e32 v3, v3, v10
	s_wait_alu 0xfffe
	s_or_b32 exec_lo, exec_lo, s1
	s_and_saveexec_b32 s1, vcc_lo
	s_cbranch_execz .LBB105_73
.LBB105_92:
	ds_load_b32 v10, v9 offset:384
	s_wait_dscnt 0x0
	v_add_f32_e32 v2, v2, v10
	s_wait_alu 0xfffe
	s_or_b32 exec_lo, exec_lo, s1
	s_and_saveexec_b32 s1, vcc_lo
	s_cbranch_execnz .LBB105_74
	s_branch .LBB105_75
	.section	.rodata,"a",@progbits
	.p2align	6, 0x0
	.amdhsa_kernel _ZN4vllm25paged_attention_v2_kernelIttLi128ELi16ELi128ELNS_18Fp8KVCacheDataTypeE0ELb0ELi512EEEvPfS2_PT_PKS3_PKT0_S9_ifPKiSB_iPKfiiiSD_SD_iiiii
		.amdhsa_group_segment_fixed_size 288
		.amdhsa_private_segment_fixed_size 0
		.amdhsa_kernarg_size 400
		.amdhsa_user_sgpr_count 2
		.amdhsa_user_sgpr_dispatch_ptr 0
		.amdhsa_user_sgpr_queue_ptr 0
		.amdhsa_user_sgpr_kernarg_segment_ptr 1
		.amdhsa_user_sgpr_dispatch_id 0
		.amdhsa_user_sgpr_private_segment_size 0
		.amdhsa_wavefront_size32 1
		.amdhsa_uses_dynamic_stack 0
		.amdhsa_enable_private_segment 0
		.amdhsa_system_sgpr_workgroup_id_x 1
		.amdhsa_system_sgpr_workgroup_id_y 1
		.amdhsa_system_sgpr_workgroup_id_z 1
		.amdhsa_system_sgpr_workgroup_info 0
		.amdhsa_system_vgpr_workitem_id 0
		.amdhsa_next_free_vgpr 129
		.amdhsa_next_free_sgpr 38
		.amdhsa_reserve_vcc 1
		.amdhsa_float_round_mode_32 0
		.amdhsa_float_round_mode_16_64 0
		.amdhsa_float_denorm_mode_32 3
		.amdhsa_float_denorm_mode_16_64 3
		.amdhsa_fp16_overflow 0
		.amdhsa_workgroup_processor_mode 1
		.amdhsa_memory_ordered 1
		.amdhsa_forward_progress 1
		.amdhsa_inst_pref_size 65
		.amdhsa_round_robin_scheduling 0
		.amdhsa_exception_fp_ieee_invalid_op 0
		.amdhsa_exception_fp_denorm_src 0
		.amdhsa_exception_fp_ieee_div_zero 0
		.amdhsa_exception_fp_ieee_overflow 0
		.amdhsa_exception_fp_ieee_underflow 0
		.amdhsa_exception_fp_ieee_inexact 0
		.amdhsa_exception_int_div_zero 0
	.end_amdhsa_kernel
	.section	.text._ZN4vllm25paged_attention_v2_kernelIttLi128ELi16ELi128ELNS_18Fp8KVCacheDataTypeE0ELb0ELi512EEEvPfS2_PT_PKS3_PKT0_S9_ifPKiSB_iPKfiiiSD_SD_iiiii,"axG",@progbits,_ZN4vllm25paged_attention_v2_kernelIttLi128ELi16ELi128ELNS_18Fp8KVCacheDataTypeE0ELb0ELi512EEEvPfS2_PT_PKS3_PKT0_S9_ifPKiSB_iPKfiiiSD_SD_iiiii,comdat
.Lfunc_end105:
	.size	_ZN4vllm25paged_attention_v2_kernelIttLi128ELi16ELi128ELNS_18Fp8KVCacheDataTypeE0ELb0ELi512EEEvPfS2_PT_PKS3_PKT0_S9_ifPKiSB_iPKfiiiSD_SD_iiiii, .Lfunc_end105-_ZN4vllm25paged_attention_v2_kernelIttLi128ELi16ELi128ELNS_18Fp8KVCacheDataTypeE0ELb0ELi512EEEvPfS2_PT_PKS3_PKT0_S9_ifPKiSB_iPKfiiiSD_SD_iiiii
                                        ; -- End function
	.set _ZN4vllm25paged_attention_v2_kernelIttLi128ELi16ELi128ELNS_18Fp8KVCacheDataTypeE0ELb0ELi512EEEvPfS2_PT_PKS3_PKT0_S9_ifPKiSB_iPKfiiiSD_SD_iiiii.num_vgpr, 129
	.set _ZN4vllm25paged_attention_v2_kernelIttLi128ELi16ELi128ELNS_18Fp8KVCacheDataTypeE0ELb0ELi512EEEvPfS2_PT_PKS3_PKT0_S9_ifPKiSB_iPKfiiiSD_SD_iiiii.num_agpr, 0
	.set _ZN4vllm25paged_attention_v2_kernelIttLi128ELi16ELi128ELNS_18Fp8KVCacheDataTypeE0ELb0ELi512EEEvPfS2_PT_PKS3_PKT0_S9_ifPKiSB_iPKfiiiSD_SD_iiiii.numbered_sgpr, 38
	.set _ZN4vllm25paged_attention_v2_kernelIttLi128ELi16ELi128ELNS_18Fp8KVCacheDataTypeE0ELb0ELi512EEEvPfS2_PT_PKS3_PKT0_S9_ifPKiSB_iPKfiiiSD_SD_iiiii.num_named_barrier, 0
	.set _ZN4vllm25paged_attention_v2_kernelIttLi128ELi16ELi128ELNS_18Fp8KVCacheDataTypeE0ELb0ELi512EEEvPfS2_PT_PKS3_PKT0_S9_ifPKiSB_iPKfiiiSD_SD_iiiii.private_seg_size, 0
	.set _ZN4vllm25paged_attention_v2_kernelIttLi128ELi16ELi128ELNS_18Fp8KVCacheDataTypeE0ELb0ELi512EEEvPfS2_PT_PKS3_PKT0_S9_ifPKiSB_iPKfiiiSD_SD_iiiii.uses_vcc, 1
	.set _ZN4vllm25paged_attention_v2_kernelIttLi128ELi16ELi128ELNS_18Fp8KVCacheDataTypeE0ELb0ELi512EEEvPfS2_PT_PKS3_PKT0_S9_ifPKiSB_iPKfiiiSD_SD_iiiii.uses_flat_scratch, 0
	.set _ZN4vllm25paged_attention_v2_kernelIttLi128ELi16ELi128ELNS_18Fp8KVCacheDataTypeE0ELb0ELi512EEEvPfS2_PT_PKS3_PKT0_S9_ifPKiSB_iPKfiiiSD_SD_iiiii.has_dyn_sized_stack, 0
	.set _ZN4vllm25paged_attention_v2_kernelIttLi128ELi16ELi128ELNS_18Fp8KVCacheDataTypeE0ELb0ELi512EEEvPfS2_PT_PKS3_PKT0_S9_ifPKiSB_iPKfiiiSD_SD_iiiii.has_recursion, 0
	.set _ZN4vllm25paged_attention_v2_kernelIttLi128ELi16ELi128ELNS_18Fp8KVCacheDataTypeE0ELb0ELi512EEEvPfS2_PT_PKS3_PKT0_S9_ifPKiSB_iPKfiiiSD_SD_iiiii.has_indirect_call, 0
	.section	.AMDGPU.csdata,"",@progbits
; Kernel info:
; codeLenInByte = 8272
; TotalNumSgprs: 40
; NumVgprs: 129
; ScratchSize: 0
; MemoryBound: 0
; FloatMode: 240
; IeeeMode: 1
; LDSByteSize: 288 bytes/workgroup (compile time only)
; SGPRBlocks: 0
; VGPRBlocks: 16
; NumSGPRsForWavesPerEU: 40
; NumVGPRsForWavesPerEU: 129
; Occupancy: 10
; WaveLimiterHint : 1
; COMPUTE_PGM_RSRC2:SCRATCH_EN: 0
; COMPUTE_PGM_RSRC2:USER_SGPR: 2
; COMPUTE_PGM_RSRC2:TRAP_HANDLER: 0
; COMPUTE_PGM_RSRC2:TGID_X_EN: 1
; COMPUTE_PGM_RSRC2:TGID_Y_EN: 1
; COMPUTE_PGM_RSRC2:TGID_Z_EN: 1
; COMPUTE_PGM_RSRC2:TIDIG_COMP_CNT: 0
	.section	.text._ZN4vllm25paged_attention_v2_kernelIttLi192ELi16ELi128ELNS_18Fp8KVCacheDataTypeE0ELb0ELi512EEEvPfS2_PT_PKS3_PKT0_S9_ifPKiSB_iPKfiiiSD_SD_iiiii,"axG",@progbits,_ZN4vllm25paged_attention_v2_kernelIttLi192ELi16ELi128ELNS_18Fp8KVCacheDataTypeE0ELb0ELi512EEEvPfS2_PT_PKS3_PKT0_S9_ifPKiSB_iPKfiiiSD_SD_iiiii,comdat
	.protected	_ZN4vllm25paged_attention_v2_kernelIttLi192ELi16ELi128ELNS_18Fp8KVCacheDataTypeE0ELb0ELi512EEEvPfS2_PT_PKS3_PKT0_S9_ifPKiSB_iPKfiiiSD_SD_iiiii ; -- Begin function _ZN4vllm25paged_attention_v2_kernelIttLi192ELi16ELi128ELNS_18Fp8KVCacheDataTypeE0ELb0ELi512EEEvPfS2_PT_PKS3_PKT0_S9_ifPKiSB_iPKfiiiSD_SD_iiiii
	.globl	_ZN4vllm25paged_attention_v2_kernelIttLi192ELi16ELi128ELNS_18Fp8KVCacheDataTypeE0ELb0ELi512EEEvPfS2_PT_PKS3_PKT0_S9_ifPKiSB_iPKfiiiSD_SD_iiiii
	.p2align	8
	.type	_ZN4vllm25paged_attention_v2_kernelIttLi192ELi16ELi128ELNS_18Fp8KVCacheDataTypeE0ELb0ELi512EEEvPfS2_PT_PKS3_PKT0_S9_ifPKiSB_iPKfiiiSD_SD_iiiii,@function
_ZN4vllm25paged_attention_v2_kernelIttLi192ELi16ELi128ELNS_18Fp8KVCacheDataTypeE0ELb0ELi512EEEvPfS2_PT_PKS3_PKT0_S9_ifPKiSB_iPKfiiiSD_SD_iiiii: ; @_ZN4vllm25paged_attention_v2_kernelIttLi192ELi16ELi128ELNS_18Fp8KVCacheDataTypeE0ELb0ELi512EEEvPfS2_PT_PKS3_PKT0_S9_ifPKiSB_iPKfiiiSD_SD_iiiii
; %bb.0:
	s_load_b64 s[2:3], s[0:1], 0x40
	s_and_b32 s20, ttmp7, 0xffff
	s_lshr_b32 s24, ttmp7, 16
	s_lshl_b32 s4, s20, 2
	s_lshl_b32 s26, s24, 9
	s_wait_kmcnt 0x0
	s_load_b32 s25, s[2:3], s4 offset:0x0
	s_wait_kmcnt 0x0
	s_cmp_ge_i32 s26, s25
	s_cbranch_scc1 .LBB106_94
; %bb.1:
	s_clause 0x1
	s_load_b32 s21, s[0:1], 0x90
	s_load_b64 s[6:7], s[0:1], 0x30
	s_wait_kmcnt 0x0
	s_abs_i32 s5, s21
	s_abs_i32 s2, s6
	s_delay_alu instid0(SALU_CYCLE_1) | instskip(SKIP_1) | instid1(SALU_CYCLE_2)
	s_cvt_f32_u32 s3, s2
	s_sub_co_i32 s4, 0, s2
	v_rcp_iflag_f32_e32 v1, s3
	s_delay_alu instid0(TRANS32_DEP_1) | instskip(SKIP_2) | instid1(SALU_CYCLE_2)
	v_readfirstlane_b32 s3, v1
	s_mul_f32 s3, s3, 0x4f7ffffe
	s_wait_alu 0xfffe
	s_cvt_u32_f32 s3, s3
	s_wait_alu 0xfffe
	s_delay_alu instid0(SALU_CYCLE_2) | instskip(NEXT) | instid1(SALU_CYCLE_1)
	s_mul_i32 s4, s4, s3
	s_mul_hi_u32 s4, s3, s4
	s_delay_alu instid0(SALU_CYCLE_1)
	s_add_co_i32 s3, s3, s4
	s_xor_b32 s4, s21, s6
	s_wait_alu 0xfffe
	s_mul_hi_u32 s3, s5, s3
	s_ashr_i32 s4, s4, 31
	s_wait_alu 0xfffe
	s_mul_i32 s6, s3, s2
	s_delay_alu instid0(SALU_CYCLE_1)
	s_sub_co_i32 s5, s5, s6
	s_add_co_i32 s6, s3, 1
	s_sub_co_i32 s8, s5, s2
	s_cmp_ge_u32 s5, s2
	s_cselect_b32 s3, s6, s3
	s_cselect_b32 s5, s8, s5
	s_wait_alu 0xfffe
	s_add_co_i32 s6, s3, 1
	s_cmp_ge_u32 s5, s2
	s_load_b64 s[8:9], s[0:1], 0x50
	s_cselect_b32 s2, s6, s3
	s_mov_b32 s3, 0
	s_wait_alu 0xfffe
	s_xor_b32 s2, s2, s4
	s_mov_b32 s6, s3
	s_wait_alu 0xfffe
	s_sub_co_i32 s12, s2, s4
	s_delay_alu instid0(SALU_CYCLE_1) | instskip(NEXT) | instid1(SALU_CYCLE_1)
	s_abs_i32 s11, s12
	s_cvt_f32_u32 s2, s11
	s_wait_alu 0xfffe
	s_delay_alu instid0(SALU_CYCLE_2) | instskip(NEXT) | instid1(TRANS32_DEP_1)
	v_rcp_iflag_f32_e32 v1, s2
	v_readfirstlane_b32 s2, v1
	s_mul_f32 s2, s2, 0x4f7ffffe
	s_wait_alu 0xfffe
	s_delay_alu instid0(SALU_CYCLE_2) | instskip(SKIP_2) | instid1(SALU_CYCLE_1)
	s_cvt_u32_f32 s4, s2
	s_sub_co_i32 s2, 0, s11
	s_wait_alu 0xfffe
	s_mul_i32 s2, s2, s4
	s_wait_alu 0xfffe
	s_mul_hi_u32 s5, s4, s2
	s_abs_i32 s2, ttmp9
	s_add_co_i32 s4, s4, s5
	s_mov_b32 s5, s3
	s_wait_kmcnt 0x0
	s_cmp_eq_u64 s[8:9], 0
	s_cbranch_scc1 .LBB106_3
; %bb.2:
	s_mov_b32 s14, ttmp9
	s_ashr_i32 s15, ttmp9, 31
	s_delay_alu instid0(SALU_CYCLE_1) | instskip(NEXT) | instid1(SALU_CYCLE_1)
	s_lshl_b64 s[14:15], s[14:15], 2
	s_add_nc_u64 s[8:9], s[8:9], s[14:15]
	s_load_b32 s6, s[8:9], 0x0
.LBB106_3:
	s_load_b96 s[8:10], s[0:1], 0x58
	v_lshrrev_b32_e32 v49, 1, v0
	v_and_b32_e32 v50, 1, v0
	v_lshlrev_b32_e32 v53, 3, v0
	s_mul_u64 s[4:5], s[2:3], s[4:5]
	s_ashr_i32 s3, ttmp9, 31
	s_ashr_i32 s4, s12, 31
	s_mul_i32 s12, ttmp9, 0xc0
	s_mov_b32 s14, exec_lo
	v_cmpx_gt_u32_e32 48, v0
	s_cbranch_execz .LBB106_5
; %bb.4:
	s_load_b64 s[16:17], s[0:1], 0x18
	s_wait_kmcnt 0x0
	s_mul_i32 s18, s8, s20
	s_ashr_i32 s13, s12, 31
	s_ashr_i32 s19, s18, 31
	v_lshlrev_b32_e32 v3, 3, v49
	s_lshl_b64 s[18:19], s[18:19], 1
	s_delay_alu instid0(VALU_DEP_1) | instskip(SKIP_2) | instid1(SALU_CYCLE_1)
	v_mad_u32_u24 v3, 0xc0, v50, v3
	s_add_nc_u64 s[16:17], s[16:17], s[18:19]
	s_lshl_b64 s[18:19], s[12:13], 1
	s_add_nc_u64 s[16:17], s[16:17], s[18:19]
	global_load_b64 v[1:2], v53, s[16:17]
	s_wait_loadcnt 0x0
	ds_store_b64 v3, v[1:2]
.LBB106_5:
	s_or_b32 exec_lo, exec_lo, s14
	s_wait_kmcnt 0x0
	s_add_co_i32 s8, s25, 15
	s_wait_alu 0xfffe
	s_xor_b32 s3, s3, s4
	s_ashr_i32 s13, s8, 31
	s_lshl_b32 s28, s24, 5
	s_lshr_b32 s4, s13, 28
	s_mul_i32 s13, s5, s11
	s_add_co_i32 s8, s8, s4
	s_add_co_i32 s4, s28, 32
	s_ashr_i32 s27, s8, 4
	s_load_b32 s8, s[0:1], 0x48
	s_sub_co_i32 s2, s2, s13
	s_min_i32 s13, s4, s27
	s_add_co_i32 s4, s5, 1
	s_wait_alu 0xfffe
	s_sub_co_i32 s14, s2, s11
	s_cmp_ge_u32 s2, s11
	v_lshrrev_b32_e32 v51, 5, v0
	s_cselect_b32 s4, s4, s5
	s_cselect_b32 s2, s14, s2
	s_add_co_i32 s5, s4, 1
	s_wait_alu 0xfffe
	s_cmp_ge_u32 s2, s11
	v_or_b32_e32 v52, s28, v51
	s_cselect_b32 s2, s5, s4
	v_mbcnt_lo_u32_b32 v55, -1, 0
	s_wait_alu 0xfffe
	s_xor_b32 s2, s2, s3
	s_mov_b32 s4, exec_lo
	s_wait_alu 0xfffe
	s_sub_co_i32 s3, s2, s3
	v_cmp_gt_i32_e64 s2, s13, v52
	s_wait_dscnt 0x0
	s_barrier_signal -1
	s_wait_kmcnt 0x0
	s_mul_i32 s14, s8, s20
	s_barrier_wait -1
	s_ashr_i32 s15, s14, 31
	global_inv scope:SCOPE_SE
                                        ; implicit-def: $vgpr56
                                        ; implicit-def: $vgpr57
	v_cmpx_le_i32_e64 s13, v52
	s_xor_b32 s4, exec_lo, s4
; %bb.6:
	v_dual_mov_b32 v56, 0 :: v_dual_mov_b32 v57, 32
	v_mbcnt_lo_u32_b32 v55, -1, 0
; %bb.7:
	s_or_saveexec_b32 s11, s4
	s_clause 0x1
	s_load_b64 s[16:17], s[0:1], 0x38
	s_load_b32 s8, s[0:1], 0x98
	v_mov_b32_e32 v58, 0xff7fffff
	v_lshlrev_b32_e32 v54, 2, v52
	s_mul_i32 s18, s3, s10
	s_xor_b32 exec_lo, exec_lo, s11
	s_cbranch_execz .LBB106_13
; %bb.8:
	s_load_b64 s[4:5], s[0:1], 0x20
	v_bfe_u32 v1, v0, 1, 4
	s_ashr_i32 s19, s18, 31
	v_dual_mov_b32 v56, 0 :: v_dual_lshlrev_b32 v3, 4, v51
	s_lshl_b64 s[22:23], s[18:19], 1
	s_delay_alu instid0(VALU_DEP_2) | instskip(SKIP_4) | instid1(VALU_DEP_3)
	v_dual_mov_b32 v65, v52 :: v_dual_lshlrev_b32 v4, 4, v1
	v_dual_mov_b32 v58, 0xff7fffff :: v_dual_lshlrev_b32 v5, 2, v1
	s_cmp_neq_f32 s6, 0
	v_dual_mov_b32 v57, 32 :: v_dual_and_b32 v2, 8, v53
	v_add3_u32 v60, s26, v3, v1
	v_lshl_or_b32 v1, v51, 6, v5
	s_cselect_b32 s3, -1, 0
	s_lshl_b64 s[30:31], s[14:15], 2
	v_mul_u32_u24_e32 v59, 0xc0, v50
	s_wait_kmcnt 0x0
	s_add_nc_u64 s[30:31], s[16:17], s[30:31]
	v_add_nc_u32_e32 v61, 0x1a0, v1
	s_add_nc_u64 s[4:5], s[4:5], s[22:23]
	v_xor_b32_e32 v64, 1, v55
	v_add_co_u32 v3, s4, s4, v4
	s_wait_alu 0xf1ff
	v_add_co_ci_u32_e64 v4, null, s5, 0, s4
	s_mov_b32 s19, s9
	v_add_co_u32 v62, s4, v3, v2
	s_wait_alu 0xf1ff
	v_add_co_ci_u32_e64 v63, null, 0, v4, s4
	v_add_co_u32 v1, s4, s30, v54
	s_wait_alu 0xf1ff
	v_add_co_ci_u32_e64 v2, null, s31, 0, s4
	s_mov_b32 s10, 0
	s_sub_co_i32 s22, 1, s25
	v_cmp_eq_u32_e32 vcc_lo, 0, v50
	s_branch .LBB106_10
.LBB106_9:                              ;   in Loop: Header=BB106_10 Depth=1
	s_wait_alu 0xfffe
	s_or_b32 exec_lo, exec_lo, s5
	v_add_nc_u32_e32 v65, 4, v65
	v_add_co_u32 v1, s5, v1, 16
	v_add_nc_u32_e32 v60, 64, v60
	v_add_nc_u32_e32 v61, 0x100, v61
	s_delay_alu instid0(VALU_DEP_4) | instskip(SKIP_3) | instid1(SALU_CYCLE_1)
	v_cmp_le_i32_e64 s4, s13, v65
	s_wait_alu 0xf1ff
	v_add_co_ci_u32_e64 v2, null, 0, v2, s5
	s_or_b32 s10, s4, s10
	s_and_not1_b32 exec_lo, exec_lo, s10
	s_cbranch_execz .LBB106_12
.LBB106_10:                             ; =>This Inner Loop Header: Depth=1
	global_load_b32 v3, v[1:2], off
	s_wait_loadcnt_dscnt 0x0
	v_mad_co_i64_i32 v[3:4], null, v3, s19, 0
	s_delay_alu instid0(VALU_DEP_1) | instskip(NEXT) | instid1(VALU_DEP_1)
	v_lshlrev_b64_e32 v[3:4], 1, v[3:4]
	v_add_co_u32 v3, s4, v62, v3
	s_wait_alu 0xf1ff
	s_delay_alu instid0(VALU_DEP_2)
	v_add_co_ci_u32_e64 v4, null, v63, v4, s4
	v_cmp_gt_i32_e64 s4, 32, v64
	s_clause 0x8
	global_load_b64 v[67:68], v[3:4], off
	global_load_b64 v[47:48], v[3:4], off offset:256
	global_load_b64 v[45:46], v[3:4], off offset:512
	;; [unrolled: 1-line block ×8, first 2 shown]
	ds_load_b64 v[5:6], v59
	s_clause 0x1
	global_load_b64 v[35:36], v[3:4], off offset:2304
	global_load_b64 v[33:34], v[3:4], off offset:2560
	s_wait_dscnt 0x0
	v_lshrrev_b32_e32 v69, 16, v5
	v_and_b32_e32 v66, 0xffff, v5
	v_lshrrev_b32_e32 v71, 16, v6
	v_and_b32_e32 v70, 0xffff, v6
	s_clause 0xc
	global_load_b64 v[27:28], v[3:4], off offset:2816
	global_load_b64 v[25:26], v[3:4], off offset:3072
	;; [unrolled: 1-line block ×13, first 2 shown]
	;;#ASMSTART
	v_cvt_f32_f16 v66, v66;
	;;#ASMEND
	s_wait_loadcnt 0x17
	v_and_b32_e32 v72, 0xffff, v67
	v_lshrrev_b32_e32 v74, 16, v67
	;;#ASMSTART
	v_cvt_f32_f16 v67, v69;
	;;#ASMEND
	v_lshrrev_b32_e32 v69, 16, v68
	;;#ASMSTART
	v_cvt_f32_f16 v73, v72;
	;;#ASMEND
	v_and_b32_e32 v75, 0xffff, v68
	;;#ASMSTART
	v_cvt_f32_f16 v72, v74;
	;;#ASMEND
	;;#ASMSTART
	v_cvt_f32_f16 v70, v70;
	;;#ASMEND
	;; [unrolled: 3-line block ×5, first 2 shown]
	ds_load_b64 v[74:75], v59 offset:8
	s_wait_loadcnt 0x16
	v_lshrrev_b32_e32 v76, 16, v47
	v_and_b32_e32 v47, 0xffff, v47
	v_lshrrev_b32_e32 v79, 16, v48
	v_and_b32_e32 v78, 0xffff, v48
	s_wait_loadcnt 0x15
	v_lshrrev_b32_e32 v83, 16, v45
	v_and_b32_e32 v82, 0xffff, v45
	v_lshrrev_b32_e32 v86, 16, v46
	v_and_b32_e32 v85, 0xffff, v46
	s_wait_loadcnt 0x14
	v_lshrrev_b32_e32 v89, 16, v43
	v_lshrrev_b32_e32 v93, 16, v44
	s_wait_loadcnt 0x13
	v_lshrrev_b32_e32 v95, 16, v41
	v_and_b32_e32 v41, 0xffff, v41
	v_lshrrev_b32_e32 v99, 16, v42
	s_wait_loadcnt 0x12
	v_lshrrev_b32_e32 v101, 16, v39
	v_lshrrev_b32_e32 v105, 16, v40
	s_wait_loadcnt 0x11
	v_lshrrev_b32_e32 v107, 16, v37
	v_lshrrev_b32_e32 v111, 16, v38
	v_and_b32_e32 v38, 0xffff, v38
	s_wait_loadcnt 0x10
	v_lshrrev_b32_e32 v115, 16, v31
	s_wait_dscnt 0x0
	v_and_b32_e32 v77, 0xffff, v74
	v_lshrrev_b32_e32 v74, 16, v74
	v_and_b32_e32 v80, 0xffff, v75
	v_lshrrev_b32_e32 v81, 16, v75
	;;#ASMSTART
	v_cvt_f32_f16 v48, v77;
	;;#ASMEND
	;;#ASMSTART
	v_cvt_f32_f16 v74, v74;
	;;#ASMEND
	;; [unrolled: 3-line block ×8, first 2 shown]
	ds_load_b64 v[80:81], v59 offset:16
	v_lshrrev_b32_e32 v119, 16, v32
	v_and_b32_e32 v32, 0xffff, v32
	s_wait_loadcnt 0xe
	v_lshrrev_b32_e32 v129, 16, v36
	v_and_b32_e32 v130, 0xffff, v36
	s_wait_loadcnt 0xd
	v_lshrrev_b32_e32 v131, 16, v33
	v_and_b32_e32 v132, 0xffff, v33
	v_and_b32_e32 v128, 0xffff, v35
	v_lshrrev_b32_e32 v133, 16, v34
	v_and_b32_e32 v34, 0xffff, v34
	s_wait_dscnt 0x0
	v_and_b32_e32 v45, 0xffff, v80
	v_lshrrev_b32_e32 v84, 16, v80
	;;#ASMSTART
	v_cvt_f32_f16 v80, v45;
	;;#ASMEND
	;;#ASMSTART
	v_cvt_f32_f16 v45, v84;
	;;#ASMEND
	;; [unrolled: 3-line block ×3, first 2 shown]
	v_and_b32_e32 v87, 0xffff, v81
	v_lshrrev_b32_e32 v81, 16, v81
	;;#ASMSTART
	v_cvt_f32_f16 v46, v83;
	;;#ASMEND
	;;#ASMSTART
	v_cvt_f32_f16 v84, v87;
	;;#ASMEND
	;; [unrolled: 3-line block ×5, first 2 shown]
	ds_load_b64 v[86:87], v59 offset:24
	s_wait_dscnt 0x0
	v_and_b32_e32 v88, 0xffff, v86
	v_lshrrev_b32_e32 v90, 16, v86
	v_and_b32_e32 v91, 0xffff, v87
	v_lshrrev_b32_e32 v92, 16, v87
	;;#ASMSTART
	v_cvt_f32_f16 v86, v88;
	;;#ASMEND
	v_and_b32_e32 v43, 0xffff, v43
	;;#ASMSTART
	v_cvt_f32_f16 v87, v90;
	;;#ASMEND
	;;#ASMSTART
	v_cvt_f32_f16 v88, v43;
	;;#ASMEND
	;; [unrolled: 3-line block ×3, first 2 shown]
	v_and_b32_e32 v44, 0xffff, v44
	;;#ASMSTART
	v_cvt_f32_f16 v90, v91;
	;;#ASMEND
	;;#ASMSTART
	v_cvt_f32_f16 v91, v92;
	;;#ASMEND
	;; [unrolled: 3-line block ×4, first 2 shown]
	ds_load_b64 v[43:44], v59 offset:32
	s_wait_dscnt 0x0
	v_and_b32_e32 v94, 0xffff, v43
	v_lshrrev_b32_e32 v96, 16, v43
	v_and_b32_e32 v97, 0xffff, v44
	v_lshrrev_b32_e32 v98, 16, v44
	;;#ASMSTART
	v_cvt_f32_f16 v43, v94;
	;;#ASMEND
	;;#ASMSTART
	v_cvt_f32_f16 v44, v96;
	;;#ASMEND
	;; [unrolled: 3-line block ×4, first 2 shown]
	v_and_b32_e32 v42, 0xffff, v42
	;;#ASMSTART
	v_cvt_f32_f16 v96, v97;
	;;#ASMEND
	;;#ASMSTART
	v_cvt_f32_f16 v97, v98;
	;;#ASMEND
	;; [unrolled: 3-line block ×4, first 2 shown]
	ds_load_b64 v[41:42], v59 offset:40
	s_wait_dscnt 0x0
	v_and_b32_e32 v100, 0xffff, v41
	v_lshrrev_b32_e32 v102, 16, v41
	v_lshrrev_b32_e32 v103, 16, v42
	v_and_b32_e32 v104, 0xffff, v42
	;;#ASMSTART
	v_cvt_f32_f16 v41, v100;
	;;#ASMEND
	v_and_b32_e32 v39, 0xffff, v39
	;;#ASMSTART
	v_cvt_f32_f16 v42, v102;
	;;#ASMEND
	;;#ASMSTART
	v_cvt_f32_f16 v100, v39;
	;;#ASMEND
	;; [unrolled: 3-line block ×3, first 2 shown]
	v_and_b32_e32 v40, 0xffff, v40
	;;#ASMSTART
	v_cvt_f32_f16 v102, v104;
	;;#ASMEND
	;;#ASMSTART
	v_cvt_f32_f16 v103, v103;
	;;#ASMEND
	;; [unrolled: 3-line block ×4, first 2 shown]
	ds_load_b64 v[39:40], v59 offset:48
	v_and_b32_e32 v31, 0xffff, v31
	s_wait_dscnt 0x0
	v_and_b32_e32 v106, 0xffff, v39
	v_lshrrev_b32_e32 v108, 16, v39
	v_lshrrev_b32_e32 v109, 16, v40
	v_and_b32_e32 v110, 0xffff, v40
	;;#ASMSTART
	v_cvt_f32_f16 v39, v106;
	;;#ASMEND
	v_and_b32_e32 v37, 0xffff, v37
	;;#ASMSTART
	v_cvt_f32_f16 v40, v108;
	;;#ASMEND
	;;#ASMSTART
	v_cvt_f32_f16 v106, v37;
	;;#ASMEND
	;; [unrolled: 3-line block ×7, first 2 shown]
	ds_load_b64 v[37:38], v59 offset:56
	s_wait_dscnt 0x0
	v_and_b32_e32 v112, 0xffff, v37
	v_lshrrev_b32_e32 v117, 16, v38
	v_lshrrev_b32_e32 v37, 16, v37
	v_and_b32_e32 v38, 0xffff, v38
	;;#ASMSTART
	v_cvt_f32_f16 v112, v112;
	;;#ASMEND
	;;#ASMSTART
	v_cvt_f32_f16 v113, v37;
	;;#ASMEND
	;; [unrolled: 3-line block ×8, first 2 shown]
	ds_load_b64 v[31:32], v59 offset:64
	v_lshrrev_b32_e32 v38, 16, v30
	v_and_b32_e32 v30, 0xffff, v30
	v_lshrrev_b32_e32 v37, 16, v29
	v_and_b32_e32 v29, 0xffff, v29
	s_wait_dscnt 0x0
	v_and_b32_e32 v120, 0xffff, v31
	v_lshrrev_b32_e32 v125, 16, v32
	v_lshrrev_b32_e32 v31, 16, v31
	v_and_b32_e32 v32, 0xffff, v32
	;;#ASMSTART
	v_cvt_f32_f16 v120, v120;
	;;#ASMEND
	;;#ASMSTART
	v_cvt_f32_f16 v121, v31;
	;;#ASMEND
	;; [unrolled: 3-line block ×7, first 2 shown]
	v_mul_f32_e32 v30, v48, v75
	;;#ASMSTART
	v_cvt_f32_f16 v127, v38;
	;;#ASMEND
	ds_load_b64 v[37:38], v59 offset:72
	v_lshrrev_b32_e32 v32, 16, v35
	v_mul_f32_e32 v31, v74, v76
	v_dual_fmac_f32 v30, v66, v73 :: v_dual_mul_f32 v29, v77, v78
	s_delay_alu instid0(VALU_DEP_1) | instskip(NEXT) | instid1(VALU_DEP_2)
	v_dual_fmac_f32 v31, v67, v72 :: v_dual_fmac_f32 v30, v80, v82
	v_fmac_f32_e32 v29, v70, v71
	s_wait_loadcnt 0xb
	v_lshrrev_b32_e32 v80, 16, v25
	s_delay_alu instid0(VALU_DEP_3) | instskip(NEXT) | instid1(VALU_DEP_3)
	v_dual_fmac_f32 v31, v45, v46 :: v_dual_fmac_f32 v30, v86, v88
	v_fmac_f32_e32 v29, v84, v85
	s_wait_loadcnt 0xa
	v_lshrrev_b32_e32 v85, 16, v23
	s_delay_alu instid0(VALU_DEP_3) | instskip(NEXT) | instid1(VALU_DEP_3)
	v_fmac_f32_e32 v31, v87, v89
	v_dual_fmac_f32 v30, v43, v94 :: v_dual_fmac_f32 v29, v90, v92
	s_wait_dscnt 0x0
	v_lshrrev_b32_e32 v36, 16, v37
	v_lshrrev_b32_e32 v74, 16, v38
	v_and_b32_e32 v48, 0xffff, v38
	v_fmac_f32_e32 v30, v41, v100
	s_wait_loadcnt 0x9
	v_lshrrev_b32_e32 v90, 16, v21
	v_fmac_f32_e32 v31, v44, v95
	v_fmac_f32_e32 v29, v96, v98
	s_wait_loadcnt 0x8
	v_lshrrev_b32_e32 v98, 16, v20
	v_dual_fmac_f32 v30, v39, v106 :: v_dual_and_b32 v33, 0xffff, v37
	v_dual_fmac_f32 v31, v42, v101 :: v_dual_and_b32 v20, 0xffff, v20
	s_delay_alu instid0(VALU_DEP_2)
	v_dual_fmac_f32 v29, v102, v104 :: v_dual_fmac_f32 v30, v112, v114
	;;#ASMSTART
	v_cvt_f32_f16 v35, v33;
	;;#ASMEND
	;;#ASMSTART
	v_cvt_f32_f16 v36, v36;
	;;#ASMEND
	;; [unrolled: 3-line block ×8, first 2 shown]
	ds_load_b64 v[32:33], v59 offset:80
	v_fmac_f32_e32 v30, v120, v122
	v_lshrrev_b32_e32 v130, 16, v28
	v_and_b32_e32 v28, 0xffff, v28
	s_wait_loadcnt 0x6
	v_lshrrev_b32_e32 v104, 16, v15
	v_dual_fmac_f32 v31, v40, v107 :: v_dual_fmac_f32 v30, v35, v37
	s_wait_loadcnt 0x2
	v_lshrrev_b32_e32 v122, 16, v7
	v_fmac_f32_e32 v29, v108, v110
	v_lshrrev_b32_e32 v110, 16, v13
	v_fmac_f32_e32 v31, v113, v115
	v_lshrrev_b32_e32 v115, 16, v11
	v_lshrrev_b32_e32 v120, 16, v9
	v_fmac_f32_e32 v29, v116, v118
	s_delay_alu instid0(VALU_DEP_4) | instskip(SKIP_2) | instid1(VALU_DEP_4)
	v_fmac_f32_e32 v31, v121, v123
	v_lshrrev_b32_e32 v121, 16, v10
	v_and_b32_e32 v10, 0xffff, v10
	v_fmac_f32_e32 v29, v124, v126
	v_lshrrev_b32_e32 v123, 16, v8
	s_wait_dscnt 0x0
	v_and_b32_e32 v66, 0xffff, v32
	v_lshrrev_b32_e32 v32, 16, v32
	;;#ASMSTART
	v_cvt_f32_f16 v66, v66;
	;;#ASMEND
	;;#ASMSTART
	v_cvt_f32_f16 v67, v32;
	;;#ASMEND
	v_mul_f32_e32 v32, v47, v79
	v_lshrrev_b32_e32 v78, 16, v33
	;;#ASMSTART
	v_cvt_f32_f16 v72, v132;
	;;#ASMEND
	;;#ASMSTART
	v_cvt_f32_f16 v73, v131;
	;;#ASMEND
	v_lshrrev_b32_e32 v79, 16, v27
	v_dual_fmac_f32 v32, v68, v69 :: v_dual_and_b32 v27, 0xffff, v27
	v_dual_fmac_f32 v30, v66, v72 :: v_dual_fmac_f32 v31, v36, v38
	v_fmac_f32_e32 v29, v48, v75
	s_delay_alu instid0(VALU_DEP_3) | instskip(NEXT) | instid1(VALU_DEP_3)
	v_fmac_f32_e32 v32, v81, v83
	v_dual_fmac_f32 v31, v67, v73 :: v_dual_and_b32 v8, 0xffff, v8
	s_delay_alu instid0(VALU_DEP_2) | instskip(SKIP_2) | instid1(VALU_DEP_3)
	v_fmac_f32_e32 v32, v91, v93
	v_lshrrev_b32_e32 v93, 16, v22
	v_and_b32_e32 v22, 0xffff, v22
	v_fmac_f32_e32 v32, v97, v99
	s_delay_alu instid0(VALU_DEP_1) | instskip(NEXT) | instid1(VALU_DEP_1)
	v_fmac_f32_e32 v32, v103, v105
	v_dual_fmac_f32 v32, v109, v111 :: v_dual_and_b32 v33, 0xffff, v33
	s_delay_alu instid0(VALU_DEP_1)
	v_fmac_f32_e32 v32, v117, v119
	;;#ASMSTART
	v_cvt_f32_f16 v77, v33;
	;;#ASMEND
	;;#ASMSTART
	v_cvt_f32_f16 v78, v78;
	;;#ASMEND
	;; [unrolled: 3-line block ×4, first 2 shown]
	ds_load_b64 v[33:34], v59 offset:88
	v_dual_fmac_f32 v32, v125, v127 :: v_dual_and_b32 v25, 0xffff, v25
	v_fmac_f32_e32 v29, v77, v128
	s_delay_alu instid0(VALU_DEP_2) | instskip(NEXT) | instid1(VALU_DEP_1)
	v_dual_fmac_f32 v32, v74, v76 :: v_dual_and_b32 v23, 0xffff, v23
	v_fmac_f32_e32 v32, v78, v129
	s_wait_dscnt 0x0
	v_and_b32_e32 v47, 0xffff, v33
	v_lshrrev_b32_e32 v68, 16, v33
	v_lshrrev_b32_e32 v70, 16, v34
	v_and_b32_e32 v69, 0xffff, v34
	;;#ASMSTART
	v_cvt_f32_f16 v33, v47;
	;;#ASMEND
	;;#ASMSTART
	v_cvt_f32_f16 v34, v68;
	;;#ASMEND
	;; [unrolled: 3-line block ×8, first 2 shown]
	ds_load_b64 v[27:28], v59 offset:96
	v_lshrrev_b32_e32 v130, 16, v26
	v_and_b32_e32 v26, 0xffff, v26
	v_dual_fmac_f32 v30, v33, v47 :: v_dual_and_b32 v21, 0xffff, v21
	v_fmac_f32_e32 v32, v70, v79
	v_fmac_f32_e32 v31, v34, v68
	;; [unrolled: 1-line block ×3, first 2 shown]
	s_wait_loadcnt 0x1
	v_lshrrev_b32_e32 v33, 16, v5
	s_wait_dscnt 0x0
	v_and_b32_e32 v45, 0xffff, v27
	v_lshrrev_b32_e32 v46, 16, v27
	v_lshrrev_b32_e32 v81, 16, v28
	v_and_b32_e32 v82, 0xffff, v28
	;;#ASMSTART
	v_cvt_f32_f16 v27, v45;
	;;#ASMEND
	;;#ASMSTART
	v_cvt_f32_f16 v28, v46;
	;;#ASMEND
	;; [unrolled: 3-line block ×8, first 2 shown]
	ds_load_b64 v[25:26], v59 offset:104
	v_lshrrev_b32_e32 v130, 16, v24
	v_and_b32_e32 v24, 0xffff, v24
	v_fmac_f32_e32 v30, v27, v45
	v_dual_fmac_f32 v32, v81, v83 :: v_dual_fmac_f32 v31, v28, v46
	s_wait_dscnt 0x0
	v_dual_fmac_f32 v29, v80, v82 :: v_dual_and_b32 v84, 0xffff, v25
	v_lshrrev_b32_e32 v86, 16, v25
	v_lshrrev_b32_e32 v87, 16, v26
	v_and_b32_e32 v88, 0xffff, v26
	;;#ASMSTART
	v_cvt_f32_f16 v25, v84;
	;;#ASMEND
	;;#ASMSTART
	v_cvt_f32_f16 v26, v86;
	;;#ASMEND
	;; [unrolled: 3-line block ×8, first 2 shown]
	ds_load_b64 v[23:24], v59 offset:112
	v_fmac_f32_e32 v30, v25, v84
	v_lshrrev_b32_e32 v130, 16, v18
	v_and_b32_e32 v18, 0xffff, v18
	v_dual_fmac_f32 v32, v87, v89 :: v_dual_and_b32 v15, 0xffff, v15
	v_fmac_f32_e32 v31, v26, v85
	v_fmac_f32_e32 v29, v86, v88
	s_wait_dscnt 0x0
	v_and_b32_e32 v43, 0xffff, v23
	v_lshrrev_b32_e32 v91, 16, v23
	v_lshrrev_b32_e32 v92, 16, v24
	v_and_b32_e32 v94, 0xffff, v24
	;;#ASMSTART
	v_cvt_f32_f16 v23, v43;
	;;#ASMEND
	;;#ASMSTART
	v_cvt_f32_f16 v24, v91;
	;;#ASMEND
	;; [unrolled: 3-line block ×8, first 2 shown]
	ds_load_b64 v[21:22], v59 offset:120
	v_lshrrev_b32_e32 v94, 16, v19
	v_and_b32_e32 v19, 0xffff, v19
	v_fmac_f32_e32 v30, v23, v43
	v_dual_fmac_f32 v32, v91, v93 :: v_dual_and_b32 v11, 0xffff, v11
	v_fmac_f32_e32 v31, v24, v44
	v_fmac_f32_e32 v29, v90, v92
	s_wait_dscnt 0x0
	v_and_b32_e32 v95, 0xffff, v21
	v_lshrrev_b32_e32 v96, 16, v21
	v_lshrrev_b32_e32 v97, 16, v22
	v_and_b32_e32 v99, 0xffff, v22
	;;#ASMSTART
	v_cvt_f32_f16 v21, v95;
	;;#ASMEND
	;;#ASMSTART
	v_cvt_f32_f16 v22, v96;
	;;#ASMEND
	;; [unrolled: 3-line block ×8, first 2 shown]
	ds_load_b64 v[19:20], v59 offset:128
	v_lshrrev_b32_e32 v99, 16, v17
	v_dual_fmac_f32 v32, v96, v98 :: v_dual_and_b32 v17, 0xffff, v17
	v_dual_fmac_f32 v30, v21, v41 :: v_dual_and_b32 v7, 0xffff, v7
	v_fmac_f32_e32 v31, v22, v94
	v_fmac_f32_e32 v29, v95, v97
	v_lshrrev_b32_e32 v21, 16, v6
	v_and_b32_e32 v6, 0xffff, v6
	s_wait_loadcnt 0x0
	v_lshrrev_b32_e32 v22, 16, v3
	s_wait_dscnt 0x0
	v_and_b32_e32 v42, 0xffff, v19
	v_lshrrev_b32_e32 v100, 16, v19
	v_lshrrev_b32_e32 v101, 16, v20
	v_and_b32_e32 v102, 0xffff, v20
	;;#ASMSTART
	v_cvt_f32_f16 v19, v42;
	;;#ASMEND
	;;#ASMSTART
	v_cvt_f32_f16 v20, v100;
	;;#ASMEND
	;;#ASMSTART
	v_cvt_f32_f16 v42, v17;
	;;#ASMEND
	;;#ASMSTART
	v_cvt_f32_f16 v99, v99;
	;;#ASMEND
	;;#ASMSTART
	v_cvt_f32_f16 v100, v102;
	;;#ASMEND
	;;#ASMSTART
	v_cvt_f32_f16 v101, v101;
	;;#ASMEND
	;;#ASMSTART
	v_cvt_f32_f16 v102, v18;
	;;#ASMEND
	;;#ASMSTART
	v_cvt_f32_f16 v103, v130;
	;;#ASMEND
	ds_load_b64 v[17:18], v59 offset:136
	v_lshrrev_b32_e32 v130, 16, v16
	v_and_b32_e32 v16, 0xffff, v16
	v_dual_fmac_f32 v30, v19, v42 :: v_dual_and_b32 v13, 0xffff, v13
	v_dual_fmac_f32 v32, v101, v103 :: v_dual_and_b32 v9, 0xffff, v9
	v_fmac_f32_e32 v31, v20, v99
	v_fmac_f32_e32 v29, v100, v102
	s_wait_dscnt 0x0
	v_and_b32_e32 v39, 0xffff, v17
	v_lshrrev_b32_e32 v40, 16, v17
	v_lshrrev_b32_e32 v105, 16, v18
	v_and_b32_e32 v106, 0xffff, v18
	;;#ASMSTART
	v_cvt_f32_f16 v17, v39;
	;;#ASMEND
	;;#ASMSTART
	v_cvt_f32_f16 v18, v40;
	;;#ASMEND
	;; [unrolled: 3-line block ×8, first 2 shown]
	ds_load_b64 v[15:16], v59 offset:144
	v_lshrrev_b32_e32 v130, 16, v14
	v_and_b32_e32 v14, 0xffff, v14
	v_dual_fmac_f32 v30, v17, v39 :: v_dual_and_b32 v5, 0xffff, v5
	v_dual_fmac_f32 v32, v105, v107 :: v_dual_fmac_f32 v31, v18, v40
	s_wait_dscnt 0x0
	v_dual_fmac_f32 v29, v104, v106 :: v_dual_and_b32 v108, 0xffff, v15
	v_lshrrev_b32_e32 v109, 16, v15
	v_lshrrev_b32_e32 v111, 16, v16
	v_and_b32_e32 v112, 0xffff, v16
	;;#ASMSTART
	v_cvt_f32_f16 v15, v108;
	;;#ASMEND
	;;#ASMSTART
	v_cvt_f32_f16 v16, v109;
	;;#ASMEND
	;; [unrolled: 3-line block ×8, first 2 shown]
	ds_load_b64 v[13:14], v59 offset:152
	v_lshrrev_b32_e32 v130, 16, v12
	v_and_b32_e32 v12, 0xffff, v12
	v_fmac_f32_e32 v30, v15, v108
	v_fmac_f32_e32 v32, v111, v113
	;; [unrolled: 1-line block ×3, first 2 shown]
	s_wait_dscnt 0x0
	v_dual_fmac_f32 v29, v110, v112 :: v_dual_and_b32 v114, 0xffff, v13
	v_lshrrev_b32_e32 v116, 16, v13
	v_lshrrev_b32_e32 v117, 16, v14
	v_and_b32_e32 v118, 0xffff, v14
	;;#ASMSTART
	v_cvt_f32_f16 v13, v114;
	;;#ASMEND
	;;#ASMSTART
	v_cvt_f32_f16 v14, v116;
	;;#ASMEND
	;; [unrolled: 3-line block ×8, first 2 shown]
	ds_load_b64 v[11:12], v59 offset:160
	v_fmac_f32_e32 v30, v13, v114
	v_fmac_f32_e32 v32, v117, v119
	;; [unrolled: 1-line block ×4, first 2 shown]
	s_wait_dscnt 0x0
	v_and_b32_e32 v37, 0xffff, v12
	v_and_b32_e32 v35, 0xffff, v11
	v_lshrrev_b32_e32 v36, 16, v11
	v_lshrrev_b32_e32 v38, 16, v12
	;;#ASMSTART
	v_cvt_f32_f16 v11, v35;
	;;#ASMEND
	;;#ASMSTART
	v_cvt_f32_f16 v12, v36;
	;;#ASMEND
	;; [unrolled: 3-line block ×8, first 2 shown]
	ds_load_b64 v[9:10], v59 offset:168
	v_fmac_f32_e32 v32, v38, v66
	v_dual_fmac_f32 v30, v11, v35 :: v_dual_fmac_f32 v31, v12, v36
	v_fmac_f32_e32 v29, v37, v48
	v_lshrrev_b32_e32 v11, 16, v4
	s_wait_dscnt 0x0
	v_and_b32_e32 v23, 0xffff, v9
	v_lshrrev_b32_e32 v25, 16, v9
	v_lshrrev_b32_e32 v26, 16, v10
	v_and_b32_e32 v27, 0xffff, v10
	;;#ASMSTART
	v_cvt_f32_f16 v9, v23;
	;;#ASMEND
	;;#ASMSTART
	v_cvt_f32_f16 v10, v25;
	;;#ASMEND
	;; [unrolled: 3-line block ×8, first 2 shown]
	ds_load_b64 v[7:8], v59 offset:176
	v_fmac_f32_e32 v31, v10, v24
	v_dual_fmac_f32 v32, v26, v28 :: v_dual_and_b32 v13, 0xffff, v3
	v_fmac_f32_e32 v29, v25, v27
	s_wait_dscnt 0x0
	v_and_b32_e32 v17, 0xffff, v8
	v_and_b32_e32 v15, 0xffff, v7
	v_lshrrev_b32_e32 v16, 16, v7
	v_lshrrev_b32_e32 v18, 16, v8
	;;#ASMSTART
	v_cvt_f32_f16 v7, v15;
	;;#ASMEND
	;;#ASMSTART
	v_cvt_f32_f16 v8, v16;
	;;#ASMEND
	;; [unrolled: 3-line block ×8, first 2 shown]
	ds_load_b64 v[5:6], v59 offset:184
	v_dual_fmac_f32 v30, v9, v23 :: v_dual_fmac_f32 v31, v8, v16
	v_and_b32_e32 v9, 0xffff, v4
	v_dual_fmac_f32 v29, v17, v19 :: v_dual_fmac_f32 v32, v18, v20
	s_wait_dscnt 0x0
	s_delay_alu instid0(VALU_DEP_3)
	v_dual_fmac_f32 v30, v7, v15 :: v_dual_and_b32 v3, 0xffff, v5
	v_lshrrev_b32_e32 v4, 16, v5
	v_lshrrev_b32_e32 v7, 16, v6
	v_and_b32_e32 v8, 0xffff, v6
	;;#ASMSTART
	v_cvt_f32_f16 v3, v3;
	;;#ASMEND
	;;#ASMSTART
	v_cvt_f32_f16 v4, v4;
	;;#ASMEND
	;; [unrolled: 3-line block ×4, first 2 shown]
	v_dual_fmac_f32 v30, v3, v5 :: v_dual_fmac_f32 v31, v4, v6
	;;#ASMSTART
	v_cvt_f32_f16 v3, v8;
	;;#ASMEND
	;;#ASMSTART
	v_cvt_f32_f16 v4, v7;
	;;#ASMEND
	;; [unrolled: 3-line block ×3, first 2 shown]
	v_fmac_f32_e32 v29, v3, v5
	v_add_f32_e32 v3, v30, v31
	;;#ASMSTART
	v_cvt_f32_f16 v5, v11;
	;;#ASMEND
	v_fmac_f32_e32 v32, v4, v5
	s_wait_alu 0xf1ff
	v_cndmask_b32_e64 v4, v55, v64, s4
	s_delay_alu instid0(VALU_DEP_1) | instskip(NEXT) | instid1(VALU_DEP_1)
	v_dual_add_f32 v3, v3, v29 :: v_dual_lshlrev_b32 v4, 2, v4
	v_add_f32_e32 v3, v32, v3
	ds_bpermute_b32 v4, v4, v3
	s_and_saveexec_b32 s5, vcc_lo
	s_cbranch_execz .LBB106_9
; %bb.11:                               ;   in Loop: Header=BB106_10 Depth=1
	s_wait_dscnt 0x0
	v_add_f32_e32 v3, v3, v4
	v_add_nc_u32_e32 v5, s22, v60
	v_cmp_gt_i32_e64 s4, s25, v60
	s_delay_alu instid0(VALU_DEP_2) | instskip(NEXT) | instid1(VALU_DEP_1)
	v_cvt_f32_i32_e32 v5, v5
	v_mul_f32_e32 v5, s6, v5
	s_wait_alu 0xfffe
	s_delay_alu instid0(VALU_DEP_1) | instskip(NEXT) | instid1(VALU_DEP_1)
	v_cndmask_b32_e64 v4, 0, v5, s3
	v_dual_max_num_f32 v5, v58, v58 :: v_dual_fmac_f32 v4, s7, v3
	s_delay_alu instid0(VALU_DEP_1) | instskip(SKIP_2) | instid1(VALU_DEP_2)
	v_max_num_f32_e32 v3, v5, v4
	s_wait_alu 0xf1ff
	v_cndmask_b32_e64 v4, 0, v4, s4
	v_cndmask_b32_e64 v58, v58, v3, s4
	ds_store_b32 v61, v4
	s_branch .LBB106_9
.LBB106_12:
	s_or_b32 exec_lo, exec_lo, s10
.LBB106_13:
	s_delay_alu instid0(SALU_CYCLE_1)
	s_or_b32 exec_lo, exec_lo, s11
	v_xor_b32_e32 v1, 16, v55
	v_xor_b32_e32 v2, 8, v55
	s_clause 0x2
	s_load_b128 s[4:7], s[0:1], 0x0
	s_load_b64 s[10:11], s[0:1], 0x10
	s_load_b64 s[22:23], s[0:1], 0x28
	s_wait_dscnt 0x0
	v_dual_max_num_f32 v4, v58, v58 :: v_dual_lshlrev_b32 v7, 2, v51
	v_cmp_lt_i32_e32 vcc_lo, v1, v57
	v_and_b32_e32 v9, 31, v0
	v_cndmask_b32_e32 v1, v55, v1, vcc_lo
	v_cmp_lt_i32_e32 vcc_lo, v2, v57
	s_wait_alu 0xfffd
	s_delay_alu instid0(VALU_DEP_2) | instskip(SKIP_3) | instid1(VALU_DEP_1)
	v_dual_cndmask_b32 v2, v55, v2 :: v_dual_lshlrev_b32 v3, 2, v1
	ds_bpermute_b32 v1, v3, v58
	s_wait_dscnt 0x0
	v_max_num_f32_e32 v1, v1, v1
	v_max_num_f32_e32 v1, v4, v1
	v_xor_b32_e32 v4, 4, v55
	s_delay_alu instid0(VALU_DEP_1) | instskip(SKIP_2) | instid1(VALU_DEP_1)
	v_cmp_lt_i32_e32 vcc_lo, v4, v57
	s_wait_alu 0xfffd
	v_cndmask_b32_e32 v4, v55, v4, vcc_lo
	v_lshlrev_b32_e32 v6, 2, v4
	v_xor_b32_e32 v4, 2, v55
	s_delay_alu instid0(VALU_DEP_1)
	v_cmp_lt_i32_e32 vcc_lo, v4, v57
	s_wait_alu 0xfffd
	v_dual_cndmask_b32 v4, v55, v4 :: v_dual_lshlrev_b32 v5, 2, v2
	ds_bpermute_b32 v2, v5, v1
	v_cmp_eq_u32_e32 vcc_lo, 0, v9
	s_wait_dscnt 0x0
	v_max_num_f32_e32 v2, v2, v2
	s_delay_alu instid0(VALU_DEP_1) | instskip(SKIP_3) | instid1(VALU_DEP_1)
	v_max_num_f32_e32 v1, v1, v2
	ds_bpermute_b32 v2, v6, v1
	s_wait_dscnt 0x0
	v_max_num_f32_e32 v2, v2, v2
	v_dual_max_num_f32 v1, v1, v2 :: v_dual_lshlrev_b32 v2, 2, v4
	ds_bpermute_b32 v4, v2, v1
	s_and_saveexec_b32 s0, vcc_lo
	s_cbranch_execz .LBB106_15
; %bb.14:
	s_wait_dscnt 0x0
	v_dual_max_num_f32 v4, v4, v4 :: v_dual_max_num_f32 v1, v1, v1
	s_delay_alu instid0(VALU_DEP_1)
	v_max_num_f32_e32 v1, v1, v4
	ds_store_b32 v7, v1 offset:384
.LBB106_15:
	s_or_b32 exec_lo, exec_lo, s0
	v_cmp_gt_u32_e64 s0, 4, v9
	v_dual_mov_b32 v1, 0xff7fffff :: v_dual_lshlrev_b32 v8, 2, v9
	s_wait_loadcnt_dscnt 0x0
	s_barrier_signal -1
	s_barrier_wait -1
	global_inv scope:SCOPE_SE
	s_and_saveexec_b32 s1, s0
; %bb.16:
	ds_load_b32 v1, v8 offset:384
; %bb.17:
	s_or_b32 exec_lo, exec_lo, s1
	s_wait_dscnt 0x0
	ds_bpermute_b32 v4, v2, v1
	v_xor_b32_e32 v10, 1, v55
	v_max_num_f32_e32 v1, v1, v1
	v_mov_b32_e32 v11, 0
	s_delay_alu instid0(VALU_DEP_3) | instskip(NEXT) | instid1(VALU_DEP_1)
	v_cmp_lt_i32_e64 s1, v10, v57
	v_cndmask_b32_e64 v10, v55, v10, s1
	s_sub_co_i32 s1, s13, s28
	s_wait_alu 0xfffe
	s_lshl_b32 s1, s1, 4
	s_wait_alu 0xfffe
	s_add_co_i32 s1, s1, s26
	s_wait_alu 0xfffe
	s_min_i32 s1, s1, s25
	s_wait_dscnt 0x0
	v_max_num_f32_e32 v4, v4, v4
	v_lshlrev_b32_e32 v10, 2, v10
	s_wait_alu 0xfffe
	s_sub_co_i32 s19, s1, s26
	s_wait_alu 0xfffe
	v_cmp_gt_i32_e64 s1, s19, v0
	v_max_num_f32_e32 v1, v1, v4
	ds_bpermute_b32 v4, v10, v1
	s_wait_dscnt 0x0
	v_max_num_f32_e32 v4, v4, v4
	s_delay_alu instid0(VALU_DEP_1)
	v_max_num_f32_e32 v1, v1, v4
	v_lshlrev_b32_e32 v4, 2, v56
	ds_bpermute_b32 v1, v4, v1
	v_lshl_add_u32 v4, v0, 2, 0x1a0
	s_and_saveexec_b32 s28, s1
	s_cbranch_execz .LBB106_21
; %bb.18:
	v_lshl_add_u32 v12, v0, 2, 0x1a0
	v_mov_b32_e32 v11, 0
	v_mov_b32_e32 v13, v0
	s_mov_b32 s29, 0
.LBB106_19:                             ; =>This Inner Loop Header: Depth=1
	ds_load_b32 v14, v12
	v_add_nc_u32_e32 v13, 0x80, v13
	s_delay_alu instid0(VALU_DEP_1) | instskip(SKIP_4) | instid1(VALU_DEP_1)
	v_cmp_le_i32_e64 s3, s19, v13
	s_wait_alu 0xfffe
	s_or_b32 s29, s3, s29
	s_wait_dscnt 0x0
	v_sub_f32_e32 v14, v14, v1
	v_mul_f32_e32 v14, 0x3fb8aa3b, v14
	s_delay_alu instid0(VALU_DEP_1)
	v_exp_f32_e32 v14, v14
	ds_store_b32 v12, v14
	v_dual_add_f32 v11, v11, v14 :: v_dual_add_nc_u32 v12, 0x200, v12
	s_wait_alu 0xfffe
	s_and_not1_b32 exec_lo, exec_lo, s29
	s_cbranch_execnz .LBB106_19
; %bb.20:
	s_or_b32 exec_lo, exec_lo, s29
.LBB106_21:
	s_wait_alu 0xfffe
	s_or_b32 exec_lo, exec_lo, s28
	ds_bpermute_b32 v3, v3, v11
	s_wait_dscnt 0x0
	v_add_f32_e32 v3, v11, v3
	ds_bpermute_b32 v5, v5, v3
	s_wait_dscnt 0x0
	v_add_f32_e32 v3, v3, v5
	;; [unrolled: 3-line block ×5, first 2 shown]
	s_and_saveexec_b32 s3, vcc_lo
; %bb.22:
	ds_store_b32 v7, v3 offset:400
; %bb.23:
	s_wait_alu 0xfffe
	s_or_b32 exec_lo, exec_lo, s3
	s_wait_loadcnt_dscnt 0x0
	s_barrier_signal -1
	s_barrier_wait -1
	global_inv scope:SCOPE_SE
	s_and_saveexec_b32 s3, s0
; %bb.24:
	ds_load_b32 v3, v8 offset:400
; %bb.25:
	s_wait_alu 0xfffe
	s_or_b32 exec_lo, exec_lo, s3
	s_wait_dscnt 0x0
	ds_bpermute_b32 v2, v2, v3
	s_wait_dscnt 0x0
	v_dual_add_f32 v2, v3, v2 :: v_dual_lshlrev_b32 v5, 2, v55
	ds_bpermute_b32 v3, v10, v2
	s_wait_dscnt 0x0
	v_dual_add_f32 v2, v2, v3 :: v_dual_and_b32 v3, 0xffffff80, v5
	ds_bpermute_b32 v2, v3, v2
	s_and_saveexec_b32 s0, s1
	s_cbranch_execz .LBB106_28
; %bb.26:
	s_wait_dscnt 0x0
	v_add_f32_e32 v3, 0x358637bd, v2
	s_mov_b32 s1, 0
	s_delay_alu instid0(VALU_DEP_1) | instskip(SKIP_1) | instid1(VALU_DEP_2)
	v_div_scale_f32 v5, null, v3, v3, 1.0
	v_div_scale_f32 v8, vcc_lo, 1.0, v3, 1.0
	v_rcp_f32_e32 v6, v5
	s_delay_alu instid0(TRANS32_DEP_1) | instskip(NEXT) | instid1(VALU_DEP_1)
	v_fma_f32 v7, -v5, v6, 1.0
	v_fmac_f32_e32 v6, v7, v6
	s_delay_alu instid0(VALU_DEP_1) | instskip(NEXT) | instid1(VALU_DEP_1)
	v_mul_f32_e32 v7, v8, v6
	v_fma_f32 v11, -v5, v7, v8
	s_delay_alu instid0(VALU_DEP_1) | instskip(NEXT) | instid1(VALU_DEP_1)
	v_fmac_f32_e32 v7, v11, v6
	v_fma_f32 v5, -v5, v7, v8
	s_wait_alu 0xfffd
	s_delay_alu instid0(VALU_DEP_1) | instskip(NEXT) | instid1(VALU_DEP_1)
	v_div_fmas_f32 v5, v5, v6, v7
	v_div_fixup_f32 v3, v5, v3, 1.0
	v_mov_b32_e32 v5, v0
.LBB106_27:                             ; =>This Inner Loop Header: Depth=1
	ds_load_b32 v6, v4
	s_wait_dscnt 0x0
	v_dual_mul_f32 v6, v3, v6 :: v_dual_add_nc_u32 v5, 0x80, v5
	s_delay_alu instid0(VALU_DEP_1)
	v_cmp_le_i32_e32 vcc_lo, s19, v5
	ds_store_b32 v4, v6
	v_add_nc_u32_e32 v4, 0x200, v4
	s_wait_alu 0xfffe
	s_or_b32 s1, vcc_lo, s1
	s_wait_alu 0xfffe
	s_and_not1_b32 exec_lo, exec_lo, s1
	s_cbranch_execnz .LBB106_27
.LBB106_28:
	s_wait_alu 0xfffe
	s_or_b32 exec_lo, exec_lo, s0
	s_wait_kmcnt 0x0
	s_mul_i32 s0, s8, s20
	s_wait_loadcnt_dscnt 0x0
	s_wait_alu 0xfffe
	s_mul_i32 s20, s0, s21
	s_mov_b32 s0, exec_lo
	s_barrier_signal -1
	s_barrier_wait -1
	global_inv scope:SCOPE_SE
	v_cmpx_eq_u32_e32 0, v0
	s_cbranch_execz .LBB106_30
; %bb.29:
	s_ashr_i32 s21, s20, 31
	s_wait_alu 0xfffe
	s_mul_i32 s28, s8, ttmp9
	s_lshl_b32 s1, s24, 2
	s_lshl_b64 s[30:31], s[20:21], 2
	s_wait_alu 0xfffe
	s_ashr_i32 s29, s28, 31
	v_mov_b32_e32 v3, s1
	s_add_nc_u64 s[6:7], s[6:7], s[30:31]
	s_wait_alu 0xfffe
	s_lshl_b64 s[28:29], s[28:29], 2
	s_add_nc_u64 s[4:5], s[4:5], s[30:31]
	s_wait_alu 0xfffe
	s_add_nc_u64 s[6:7], s[6:7], s[28:29]
	s_add_nc_u64 s[4:5], s[4:5], s[28:29]
	s_clause 0x1
	global_store_b32 v3, v1, s[6:7]
	global_store_b32 v3, v2, s[4:5]
.LBB106_30:
	s_wait_alu 0xfffe
	s_or_b32 exec_lo, exec_lo, s0
	v_dual_mov_b32 v21, 0 :: v_dual_mov_b32 v22, 0
	v_dual_mov_b32 v20, 0 :: v_dual_mov_b32 v19, 0
	;; [unrolled: 1-line block ×6, first 2 shown]
	s_and_saveexec_b32 s1, s2
	s_cbranch_execz .LBB106_58
; %bb.31:
	v_dual_mov_b32 v12, 0 :: v_dual_lshlrev_b32 v1, 4, v0
	s_ashr_i32 s19, s18, 31
	v_dual_mov_b32 v14, 0 :: v_dual_lshlrev_b32 v3, 5, v50
	s_delay_alu instid0(VALU_DEP_2)
	v_dual_mov_b32 v16, 0 :: v_dual_and_b32 v1, 0x1f0, v1
	s_wait_alu 0xfffe
	s_lshl_b64 s[2:3], s[18:19], 1
	v_dual_mov_b32 v11, 0 :: v_dual_and_b32 v2, 8, v53
	s_wait_alu 0xfffe
	s_add_nc_u64 s[2:3], s[22:23], s[2:3]
	v_lshl_add_u32 v4, v51, 4, s26
	s_wait_alu 0xfffe
	v_add_co_u32 v23, s0, s2, v1
	s_wait_alu 0xf1ff
	v_add_co_ci_u32_e64 v24, null, s3, 0, s0
	s_lshl_b64 s[2:3], s[14:15], 2
	v_lshl_or_b32 v3, v51, 6, v3
	s_wait_alu 0xfffe
	s_add_nc_u64 s[2:3], s[16:17], s[2:3]
	v_add3_u32 v25, v4, v2, 7
	s_wait_alu 0xfffe
	v_add_co_u32 v5, s0, s2, v54
	v_dual_mov_b32 v13, 0 :: v_dual_add_nc_u32 v26, 0x1a0, v3
	s_wait_alu 0xf1ff
	v_add_co_ci_u32_e64 v6, null, s3, 0, s0
	v_dual_mov_b32 v15, 0 :: v_dual_mov_b32 v18, 0
	v_dual_mov_b32 v17, 0 :: v_dual_mov_b32 v20, 0
	;; [unrolled: 1-line block ×3, first 2 shown]
	v_mov_b32_e32 v21, 0
	s_mov_b32 s2, s9
	s_add_co_i32 s27, s27, -1
	s_mov_b32 s3, 0
	s_branch .LBB106_33
.LBB106_32:                             ;   in Loop: Header=BB106_33 Depth=1
	s_wait_alu 0xfffe
	s_or_b32 exec_lo, exec_lo, s0
	v_dual_add_f32 v27, v63, v64 :: v_dual_add_f32 v28, v60, v61
	v_add_f32_e32 v32, v54, v55
	v_dual_add_f32 v29, v58, v59 :: v_dual_add_f32 v30, v56, v57
	s_delay_alu instid0(VALU_DEP_3) | instskip(SKIP_1) | instid1(VALU_DEP_4)
	v_dual_add_f32 v12, v12, v27 :: v_dual_add_f32 v13, v13, v28
	v_add_f32_e32 v27, v48, v53
	v_add_f32_e32 v16, v16, v32
	v_lshlrev_b32_e32 v8, 16, v8
	v_add_f32_e32 v28, v46, v47
	v_lshlrev_b32_e32 v7, 16, v7
	v_add_f32_e32 v17, v17, v27
	v_dual_add_f32 v14, v14, v29 :: v_dual_lshlrev_b32 v27, 16, v62
	v_add_f32_e32 v15, v15, v30
	v_add_f32_e32 v29, v44, v45
	v_and_or_b32 v2, 0xffff, v2, v8
	s_delay_alu instid0(VALU_DEP_4)
	v_and_or_b32 v1, 0xffff, v1, v27
	v_add_f32_e32 v18, v18, v28
	v_and_or_b32 v3, 0xffff, v3, v7
	;;#ASMSTART
	v_pk_mul_f16 v1, v33, v1;

	;;#ASMEND
	;;#ASMSTART
	v_pk_mul_f16 v2, v31, v2;

	;;#ASMEND
	;; [unrolled: 4-line block ×4, first 2 shown]
	;;#ASMSTART
	v_pk_add_f16 v1, v1, v2;

	;;#ASMEND
	;;#ASMSTART
	v_pk_add_f16 v1, v1, v3;

	;;#ASMEND
	;; [unrolled: 4-line block ×3, first 2 shown]
	v_and_b32_e32 v4, 0xffff, v1
	v_add_nc_u32_e32 v52, 4, v52
	v_lshrrev_b32_e32 v7, 16, v1
	v_add_f32_e32 v1, v42, v43
	;;#ASMSTART
	v_cvt_f32_f16 v4, v4;
	;;#ASMEND
	v_dual_add_f32 v2, v40, v41 :: v_dual_add_f32 v3, v38, v39
	;;#ASMSTART
	v_cvt_f32_f16 v7, v7;
	;;#ASMEND
	v_dual_add_f32 v19, v19, v29 :: v_dual_add_f32 v4, v4, v7
	v_cmp_le_i32_e32 vcc_lo, s13, v52
	v_add_co_u32 v5, s0, v5, 16
	v_dual_add_f32 v20, v20, v1 :: v_dual_add_f32 v21, v21, v3
	s_delay_alu instid0(VALU_DEP_4)
	v_dual_add_f32 v22, v22, v2 :: v_dual_add_f32 v11, v11, v4
	v_add_nc_u32_e32 v25, 64, v25
	v_add_nc_u32_e32 v26, 0x100, v26
	s_wait_alu 0xf1ff
	v_add_co_ci_u32_e64 v6, null, 0, v6, s0
	s_or_b32 s3, vcc_lo, s3
	s_wait_alu 0xfffe
	s_and_not1_b32 exec_lo, exec_lo, s3
	s_cbranch_execz .LBB106_57
.LBB106_33:                             ; =>This Inner Loop Header: Depth=1
	global_load_b32 v7, v[5:6], off
	ds_load_2addr_b64 v[1:4], v26 offset1:1
	ds_load_2addr_b64 v[27:30], v26 offset0:2 offset1:3
	v_add_nc_u32_e32 v32, -7, v25
	v_add_nc_u32_e32 v37, -6, v25
	;; [unrolled: 1-line block ×3, first 2 shown]
	s_wait_dscnt 0x1
	;;#ASMSTART
	v_cvt_f16_f32 v33, v1;

	;;#ASMEND
	;;#ASMSTART
	v_cvt_f16_f32 v31, v2;

	;;#ASMEND
	;; [unrolled: 4-line block ×4, first 2 shown]
	s_wait_dscnt 0x0
	;;#ASMSTART
	v_cvt_f16_f32 v41, v27;

	;;#ASMEND
	;;#ASMSTART
	v_cvt_f16_f32 v34, v28;

	;;#ASMEND
	;; [unrolled: 4-line block ×4, first 2 shown]
	v_add_nc_u32_e32 v29, -4, v25
	v_add_nc_u32_e32 v28, -3, v25
	;; [unrolled: 1-line block ×4, first 2 shown]
	s_wait_loadcnt 0x0
	s_wait_alu 0xfffe
	v_mad_co_i64_i32 v[7:8], null, v7, s2, 0
	s_delay_alu instid0(VALU_DEP_1) | instskip(NEXT) | instid1(VALU_DEP_1)
	v_lshlrev_b64_e32 v[7:8], 1, v[7:8]
	v_add_co_u32 v7, vcc_lo, v23, v7
	s_wait_alu 0xfffd
	s_delay_alu instid0(VALU_DEP_2)
	v_add_co_ci_u32_e64 v8, null, v24, v8, vcc_lo
	v_cmp_eq_u32_e32 vcc_lo, s27, v52
	global_load_b128 v[1:4], v[7:8], off
	s_wait_loadcnt 0x0
	v_lshrrev_b32_e32 v44, 16, v1
	v_lshrrev_b32_e32 v43, 16, v2
	;; [unrolled: 1-line block ×3, first 2 shown]
	s_and_saveexec_b32 s4, vcc_lo
	s_cbranch_execz .LBB106_35
; %bb.34:                               ;   in Loop: Header=BB106_33 Depth=1
	v_cmp_gt_i32_e64 s0, s25, v32
	v_and_b32_e32 v45, 0xffff, v4
	v_and_b32_e32 v4, 0xffff0000, v4
	s_wait_alu 0xf1ff
	s_delay_alu instid0(VALU_DEP_3) | instskip(SKIP_2) | instid1(VALU_DEP_1)
	v_cndmask_b32_e64 v1, 0, v1, s0
	v_cmp_gt_i32_e64 s0, s25, v37
	s_wait_alu 0xf1ff
	v_cndmask_b32_e64 v44, 0, v44, s0
	v_cmp_gt_i32_e64 s0, s25, v36
	s_wait_alu 0xf1ff
	s_delay_alu instid0(VALU_DEP_1) | instskip(SKIP_2) | instid1(VALU_DEP_1)
	v_cndmask_b32_e64 v2, 0, v2, s0
	v_cmp_gt_i32_e64 s0, s25, v29
	s_wait_alu 0xf1ff
	v_cndmask_b32_e64 v43, 0, v43, s0
	v_cmp_gt_i32_e64 s0, s25, v30
	s_wait_alu 0xf1ff
	s_delay_alu instid0(VALU_DEP_1) | instskip(SKIP_2) | instid1(VALU_DEP_1)
	v_cndmask_b32_e64 v45, 0, v45, s0
	v_cmp_gt_i32_e64 s0, s25, v25
	s_wait_alu 0xf1ff
	v_cndmask_b32_e64 v4, 0, v4, s0
	v_cmp_gt_i32_e64 s0, s25, v28
	s_delay_alu instid0(VALU_DEP_2) | instskip(SKIP_1) | instid1(VALU_DEP_2)
	v_or_b32_e32 v4, v45, v4
	s_wait_alu 0xf1ff
	v_cndmask_b32_e64 v3, 0, v3, s0
	v_cmp_gt_i32_e64 s0, s25, v27
	s_wait_alu 0xf1ff
	s_delay_alu instid0(VALU_DEP_1)
	v_cndmask_b32_e64 v42, 0, v42, s0
.LBB106_35:                             ;   in Loop: Header=BB106_33 Depth=1
	s_wait_alu 0xfffe
	s_or_b32 exec_lo, exec_lo, s4
	v_and_b32_e32 v33, 0xffff, v33
	v_and_b32_e32 v40, 0xffff, v40
	v_lshlrev_b32_e32 v44, 16, v44
	v_and_b32_e32 v41, 0xffff, v41
	v_and_b32_e32 v39, 0xffff, v39
	v_lshl_or_b32 v33, v31, 16, v33
	v_lshl_or_b32 v31, v38, 16, v40
	v_lshlrev_b32_e32 v38, 16, v43
	v_lshlrev_b32_e32 v40, 16, v42
	v_and_or_b32 v1, 0xffff, v1, v44
	;;#ASMSTART
	v_pk_mul_f16 v1, v33, v1;

	;;#ASMEND
	v_lshl_or_b32 v34, v34, 16, v41
	v_and_or_b32 v2, 0xffff, v2, v38
	v_and_or_b32 v3, 0xffff, v3, v40
	v_lshl_or_b32 v35, v35, 16, v39
	;;#ASMSTART
	v_pk_mul_f16 v2, v31, v2;

	;;#ASMEND
	;;#ASMSTART
	v_pk_mul_f16 v3, v34, v3;

	;;#ASMEND
	;; [unrolled: 4-line block ×3, first 2 shown]
	;;#ASMSTART
	v_pk_add_f16 v1, v1, v2;

	;;#ASMEND
	;;#ASMSTART
	v_pk_add_f16 v1, v1, v3;

	;;#ASMEND
	;; [unrolled: 4-line block ×3, first 2 shown]
	v_and_b32_e32 v2, 0xffff, v1
	v_lshrrev_b32_e32 v1, 16, v1
	;;#ASMSTART
	v_cvt_f32_f16 v38, v2;
	;;#ASMEND
	;;#ASMSTART
	v_cvt_f32_f16 v39, v1;
	;;#ASMEND
	global_load_b128 v[1:4], v[7:8], off offset:512
	s_wait_loadcnt 0x0
	v_lshrrev_b32_e32 v42, 16, v1
	v_lshrrev_b32_e32 v41, 16, v2
	;; [unrolled: 1-line block ×3, first 2 shown]
	s_and_saveexec_b32 s4, vcc_lo
	s_cbranch_execz .LBB106_37
; %bb.36:                               ;   in Loop: Header=BB106_33 Depth=1
	v_cmp_gt_i32_e64 s0, s25, v32
	v_and_b32_e32 v43, 0xffff, v4
	v_and_b32_e32 v4, 0xffff0000, v4
	s_wait_alu 0xf1ff
	s_delay_alu instid0(VALU_DEP_3) | instskip(SKIP_2) | instid1(VALU_DEP_1)
	v_cndmask_b32_e64 v1, 0, v1, s0
	v_cmp_gt_i32_e64 s0, s25, v37
	s_wait_alu 0xf1ff
	v_cndmask_b32_e64 v42, 0, v42, s0
	v_cmp_gt_i32_e64 s0, s25, v36
	s_wait_alu 0xf1ff
	s_delay_alu instid0(VALU_DEP_1) | instskip(SKIP_2) | instid1(VALU_DEP_1)
	v_cndmask_b32_e64 v2, 0, v2, s0
	v_cmp_gt_i32_e64 s0, s25, v29
	s_wait_alu 0xf1ff
	v_cndmask_b32_e64 v41, 0, v41, s0
	v_cmp_gt_i32_e64 s0, s25, v30
	s_wait_alu 0xf1ff
	s_delay_alu instid0(VALU_DEP_1) | instskip(SKIP_2) | instid1(VALU_DEP_1)
	v_cndmask_b32_e64 v43, 0, v43, s0
	v_cmp_gt_i32_e64 s0, s25, v25
	s_wait_alu 0xf1ff
	v_cndmask_b32_e64 v4, 0, v4, s0
	v_cmp_gt_i32_e64 s0, s25, v28
	s_delay_alu instid0(VALU_DEP_2) | instskip(SKIP_1) | instid1(VALU_DEP_2)
	v_or_b32_e32 v4, v43, v4
	s_wait_alu 0xf1ff
	v_cndmask_b32_e64 v3, 0, v3, s0
	v_cmp_gt_i32_e64 s0, s25, v27
	s_wait_alu 0xf1ff
	s_delay_alu instid0(VALU_DEP_1)
	v_cndmask_b32_e64 v40, 0, v40, s0
.LBB106_37:                             ;   in Loop: Header=BB106_33 Depth=1
	s_wait_alu 0xfffe
	s_or_b32 exec_lo, exec_lo, s4
	v_lshlrev_b32_e32 v42, 16, v42
	v_lshlrev_b32_e32 v41, 16, v41
	;; [unrolled: 1-line block ×3, first 2 shown]
	s_delay_alu instid0(VALU_DEP_3) | instskip(NEXT) | instid1(VALU_DEP_3)
	v_and_or_b32 v1, 0xffff, v1, v42
	v_and_or_b32 v2, 0xffff, v2, v41
	s_delay_alu instid0(VALU_DEP_3)
	v_and_or_b32 v3, 0xffff, v3, v40
	;;#ASMSTART
	v_pk_mul_f16 v1, v33, v1;

	;;#ASMEND
	;;#ASMSTART
	v_pk_mul_f16 v2, v31, v2;

	;;#ASMEND
	;; [unrolled: 4-line block ×4, first 2 shown]
	;;#ASMSTART
	v_pk_add_f16 v1, v1, v2;

	;;#ASMEND
	;;#ASMSTART
	v_pk_add_f16 v1, v1, v3;

	;;#ASMEND
	;; [unrolled: 4-line block ×3, first 2 shown]
	v_and_b32_e32 v2, 0xffff, v1
	v_lshrrev_b32_e32 v1, 16, v1
	;;#ASMSTART
	v_cvt_f32_f16 v40, v2;
	;;#ASMEND
	;;#ASMSTART
	v_cvt_f32_f16 v41, v1;
	;;#ASMEND
	global_load_b128 v[1:4], v[7:8], off offset:1024
	s_wait_loadcnt 0x0
	v_lshrrev_b32_e32 v44, 16, v1
	v_lshrrev_b32_e32 v43, 16, v2
	;; [unrolled: 1-line block ×3, first 2 shown]
	s_and_saveexec_b32 s4, vcc_lo
	s_cbranch_execz .LBB106_39
; %bb.38:                               ;   in Loop: Header=BB106_33 Depth=1
	v_cmp_gt_i32_e64 s0, s25, v32
	v_and_b32_e32 v45, 0xffff, v4
	v_and_b32_e32 v4, 0xffff0000, v4
	s_wait_alu 0xf1ff
	s_delay_alu instid0(VALU_DEP_3) | instskip(SKIP_2) | instid1(VALU_DEP_1)
	v_cndmask_b32_e64 v1, 0, v1, s0
	v_cmp_gt_i32_e64 s0, s25, v37
	s_wait_alu 0xf1ff
	v_cndmask_b32_e64 v44, 0, v44, s0
	v_cmp_gt_i32_e64 s0, s25, v36
	s_wait_alu 0xf1ff
	s_delay_alu instid0(VALU_DEP_1) | instskip(SKIP_2) | instid1(VALU_DEP_1)
	v_cndmask_b32_e64 v2, 0, v2, s0
	v_cmp_gt_i32_e64 s0, s25, v29
	s_wait_alu 0xf1ff
	v_cndmask_b32_e64 v43, 0, v43, s0
	v_cmp_gt_i32_e64 s0, s25, v30
	s_wait_alu 0xf1ff
	s_delay_alu instid0(VALU_DEP_1) | instskip(SKIP_2) | instid1(VALU_DEP_1)
	v_cndmask_b32_e64 v45, 0, v45, s0
	v_cmp_gt_i32_e64 s0, s25, v25
	s_wait_alu 0xf1ff
	v_cndmask_b32_e64 v4, 0, v4, s0
	v_cmp_gt_i32_e64 s0, s25, v28
	s_delay_alu instid0(VALU_DEP_2) | instskip(SKIP_1) | instid1(VALU_DEP_2)
	v_or_b32_e32 v4, v45, v4
	s_wait_alu 0xf1ff
	v_cndmask_b32_e64 v3, 0, v3, s0
	v_cmp_gt_i32_e64 s0, s25, v27
	s_wait_alu 0xf1ff
	s_delay_alu instid0(VALU_DEP_1)
	v_cndmask_b32_e64 v42, 0, v42, s0
.LBB106_39:                             ;   in Loop: Header=BB106_33 Depth=1
	s_wait_alu 0xfffe
	s_or_b32 exec_lo, exec_lo, s4
	v_lshlrev_b32_e32 v44, 16, v44
	v_lshlrev_b32_e32 v43, 16, v43
	;; [unrolled: 1-line block ×3, first 2 shown]
	s_delay_alu instid0(VALU_DEP_3) | instskip(NEXT) | instid1(VALU_DEP_3)
	v_and_or_b32 v1, 0xffff, v1, v44
	v_and_or_b32 v2, 0xffff, v2, v43
	s_delay_alu instid0(VALU_DEP_3)
	v_and_or_b32 v3, 0xffff, v3, v42
	;;#ASMSTART
	v_pk_mul_f16 v1, v33, v1;

	;;#ASMEND
	;;#ASMSTART
	v_pk_mul_f16 v2, v31, v2;

	;;#ASMEND
	;; [unrolled: 4-line block ×4, first 2 shown]
	;;#ASMSTART
	v_pk_add_f16 v1, v1, v2;

	;;#ASMEND
	;;#ASMSTART
	v_pk_add_f16 v1, v1, v3;

	;;#ASMEND
	;;#ASMSTART
	v_pk_add_f16 v1, v1, v4;

	;;#ASMEND
	v_and_b32_e32 v2, 0xffff, v1
	v_lshrrev_b32_e32 v1, 16, v1
	;;#ASMSTART
	v_cvt_f32_f16 v42, v2;
	;;#ASMEND
	;;#ASMSTART
	v_cvt_f32_f16 v43, v1;
	;;#ASMEND
	global_load_b128 v[1:4], v[7:8], off offset:1536
	s_wait_loadcnt 0x0
	v_lshrrev_b32_e32 v46, 16, v1
	v_lshrrev_b32_e32 v45, 16, v2
	;; [unrolled: 1-line block ×3, first 2 shown]
	s_and_saveexec_b32 s4, vcc_lo
	s_cbranch_execz .LBB106_41
; %bb.40:                               ;   in Loop: Header=BB106_33 Depth=1
	v_cmp_gt_i32_e64 s0, s25, v32
	v_and_b32_e32 v47, 0xffff, v4
	v_and_b32_e32 v4, 0xffff0000, v4
	s_wait_alu 0xf1ff
	s_delay_alu instid0(VALU_DEP_3) | instskip(SKIP_2) | instid1(VALU_DEP_1)
	v_cndmask_b32_e64 v1, 0, v1, s0
	v_cmp_gt_i32_e64 s0, s25, v37
	s_wait_alu 0xf1ff
	v_cndmask_b32_e64 v46, 0, v46, s0
	v_cmp_gt_i32_e64 s0, s25, v36
	s_wait_alu 0xf1ff
	s_delay_alu instid0(VALU_DEP_1) | instskip(SKIP_2) | instid1(VALU_DEP_1)
	v_cndmask_b32_e64 v2, 0, v2, s0
	v_cmp_gt_i32_e64 s0, s25, v29
	s_wait_alu 0xf1ff
	v_cndmask_b32_e64 v45, 0, v45, s0
	v_cmp_gt_i32_e64 s0, s25, v30
	s_wait_alu 0xf1ff
	s_delay_alu instid0(VALU_DEP_1) | instskip(SKIP_2) | instid1(VALU_DEP_1)
	v_cndmask_b32_e64 v47, 0, v47, s0
	v_cmp_gt_i32_e64 s0, s25, v25
	s_wait_alu 0xf1ff
	v_cndmask_b32_e64 v4, 0, v4, s0
	v_cmp_gt_i32_e64 s0, s25, v28
	s_delay_alu instid0(VALU_DEP_2) | instskip(SKIP_1) | instid1(VALU_DEP_2)
	v_or_b32_e32 v4, v47, v4
	s_wait_alu 0xf1ff
	v_cndmask_b32_e64 v3, 0, v3, s0
	v_cmp_gt_i32_e64 s0, s25, v27
	s_wait_alu 0xf1ff
	s_delay_alu instid0(VALU_DEP_1)
	v_cndmask_b32_e64 v44, 0, v44, s0
.LBB106_41:                             ;   in Loop: Header=BB106_33 Depth=1
	s_wait_alu 0xfffe
	s_or_b32 exec_lo, exec_lo, s4
	v_lshlrev_b32_e32 v46, 16, v46
	v_lshlrev_b32_e32 v45, 16, v45
	;; [unrolled: 1-line block ×3, first 2 shown]
	s_delay_alu instid0(VALU_DEP_3) | instskip(NEXT) | instid1(VALU_DEP_3)
	v_and_or_b32 v1, 0xffff, v1, v46
	v_and_or_b32 v2, 0xffff, v2, v45
	s_delay_alu instid0(VALU_DEP_3)
	v_and_or_b32 v3, 0xffff, v3, v44
	;;#ASMSTART
	v_pk_mul_f16 v1, v33, v1;

	;;#ASMEND
	;;#ASMSTART
	v_pk_mul_f16 v2, v31, v2;

	;;#ASMEND
	;; [unrolled: 4-line block ×4, first 2 shown]
	;;#ASMSTART
	v_pk_add_f16 v1, v1, v2;

	;;#ASMEND
	;;#ASMSTART
	v_pk_add_f16 v1, v1, v3;

	;;#ASMEND
	;; [unrolled: 4-line block ×3, first 2 shown]
	v_and_b32_e32 v2, 0xffff, v1
	v_lshrrev_b32_e32 v1, 16, v1
	;;#ASMSTART
	v_cvt_f32_f16 v44, v2;
	;;#ASMEND
	;;#ASMSTART
	v_cvt_f32_f16 v45, v1;
	;;#ASMEND
	global_load_b128 v[1:4], v[7:8], off offset:2048
	s_wait_loadcnt 0x0
	v_lshrrev_b32_e32 v48, 16, v1
	v_lshrrev_b32_e32 v47, 16, v2
	v_lshrrev_b32_e32 v46, 16, v3
	s_and_saveexec_b32 s4, vcc_lo
	s_cbranch_execz .LBB106_43
; %bb.42:                               ;   in Loop: Header=BB106_33 Depth=1
	v_cmp_gt_i32_e64 s0, s25, v32
	v_and_b32_e32 v53, 0xffff, v4
	v_and_b32_e32 v4, 0xffff0000, v4
	s_wait_alu 0xf1ff
	s_delay_alu instid0(VALU_DEP_3) | instskip(SKIP_2) | instid1(VALU_DEP_1)
	v_cndmask_b32_e64 v1, 0, v1, s0
	v_cmp_gt_i32_e64 s0, s25, v37
	s_wait_alu 0xf1ff
	v_cndmask_b32_e64 v48, 0, v48, s0
	v_cmp_gt_i32_e64 s0, s25, v36
	s_wait_alu 0xf1ff
	s_delay_alu instid0(VALU_DEP_1) | instskip(SKIP_2) | instid1(VALU_DEP_1)
	v_cndmask_b32_e64 v2, 0, v2, s0
	v_cmp_gt_i32_e64 s0, s25, v29
	s_wait_alu 0xf1ff
	v_cndmask_b32_e64 v47, 0, v47, s0
	v_cmp_gt_i32_e64 s0, s25, v30
	s_wait_alu 0xf1ff
	s_delay_alu instid0(VALU_DEP_1) | instskip(SKIP_2) | instid1(VALU_DEP_1)
	v_cndmask_b32_e64 v53, 0, v53, s0
	v_cmp_gt_i32_e64 s0, s25, v25
	s_wait_alu 0xf1ff
	v_cndmask_b32_e64 v4, 0, v4, s0
	v_cmp_gt_i32_e64 s0, s25, v28
	s_delay_alu instid0(VALU_DEP_2) | instskip(SKIP_1) | instid1(VALU_DEP_2)
	v_or_b32_e32 v4, v53, v4
	s_wait_alu 0xf1ff
	v_cndmask_b32_e64 v3, 0, v3, s0
	v_cmp_gt_i32_e64 s0, s25, v27
	s_wait_alu 0xf1ff
	s_delay_alu instid0(VALU_DEP_1)
	v_cndmask_b32_e64 v46, 0, v46, s0
.LBB106_43:                             ;   in Loop: Header=BB106_33 Depth=1
	s_wait_alu 0xfffe
	s_or_b32 exec_lo, exec_lo, s4
	v_lshlrev_b32_e32 v48, 16, v48
	v_lshlrev_b32_e32 v47, 16, v47
	;; [unrolled: 1-line block ×3, first 2 shown]
	s_delay_alu instid0(VALU_DEP_3) | instskip(NEXT) | instid1(VALU_DEP_3)
	v_and_or_b32 v1, 0xffff, v1, v48
	v_and_or_b32 v2, 0xffff, v2, v47
	s_delay_alu instid0(VALU_DEP_3)
	v_and_or_b32 v3, 0xffff, v3, v46
	;;#ASMSTART
	v_pk_mul_f16 v1, v33, v1;

	;;#ASMEND
	;;#ASMSTART
	v_pk_mul_f16 v2, v31, v2;

	;;#ASMEND
	;; [unrolled: 4-line block ×4, first 2 shown]
	;;#ASMSTART
	v_pk_add_f16 v1, v1, v2;

	;;#ASMEND
	;;#ASMSTART
	v_pk_add_f16 v1, v1, v3;

	;;#ASMEND
	;; [unrolled: 4-line block ×3, first 2 shown]
	v_and_b32_e32 v2, 0xffff, v1
	v_lshrrev_b32_e32 v1, 16, v1
	;;#ASMSTART
	v_cvt_f32_f16 v46, v2;
	;;#ASMEND
	;;#ASMSTART
	v_cvt_f32_f16 v47, v1;
	;;#ASMEND
	global_load_b128 v[1:4], v[7:8], off offset:2560
	s_wait_loadcnt 0x0
	v_lshrrev_b32_e32 v54, 16, v1
	v_lshrrev_b32_e32 v53, 16, v2
	;; [unrolled: 1-line block ×3, first 2 shown]
	s_and_saveexec_b32 s4, vcc_lo
	s_cbranch_execz .LBB106_45
; %bb.44:                               ;   in Loop: Header=BB106_33 Depth=1
	v_cmp_gt_i32_e64 s0, s25, v32
	v_and_b32_e32 v55, 0xffff, v4
	v_and_b32_e32 v4, 0xffff0000, v4
	s_wait_alu 0xf1ff
	s_delay_alu instid0(VALU_DEP_3) | instskip(SKIP_2) | instid1(VALU_DEP_1)
	v_cndmask_b32_e64 v1, 0, v1, s0
	v_cmp_gt_i32_e64 s0, s25, v37
	s_wait_alu 0xf1ff
	v_cndmask_b32_e64 v54, 0, v54, s0
	v_cmp_gt_i32_e64 s0, s25, v36
	s_wait_alu 0xf1ff
	s_delay_alu instid0(VALU_DEP_1) | instskip(SKIP_2) | instid1(VALU_DEP_1)
	v_cndmask_b32_e64 v2, 0, v2, s0
	v_cmp_gt_i32_e64 s0, s25, v29
	s_wait_alu 0xf1ff
	v_cndmask_b32_e64 v53, 0, v53, s0
	v_cmp_gt_i32_e64 s0, s25, v30
	s_wait_alu 0xf1ff
	s_delay_alu instid0(VALU_DEP_1) | instskip(SKIP_2) | instid1(VALU_DEP_1)
	v_cndmask_b32_e64 v55, 0, v55, s0
	v_cmp_gt_i32_e64 s0, s25, v25
	s_wait_alu 0xf1ff
	v_cndmask_b32_e64 v4, 0, v4, s0
	v_cmp_gt_i32_e64 s0, s25, v28
	s_delay_alu instid0(VALU_DEP_2) | instskip(SKIP_1) | instid1(VALU_DEP_2)
	v_or_b32_e32 v4, v55, v4
	s_wait_alu 0xf1ff
	v_cndmask_b32_e64 v3, 0, v3, s0
	v_cmp_gt_i32_e64 s0, s25, v27
	s_wait_alu 0xf1ff
	s_delay_alu instid0(VALU_DEP_1)
	v_cndmask_b32_e64 v48, 0, v48, s0
.LBB106_45:                             ;   in Loop: Header=BB106_33 Depth=1
	s_wait_alu 0xfffe
	s_or_b32 exec_lo, exec_lo, s4
	v_lshlrev_b32_e32 v54, 16, v54
	v_lshlrev_b32_e32 v53, 16, v53
	;; [unrolled: 1-line block ×3, first 2 shown]
	s_delay_alu instid0(VALU_DEP_3) | instskip(NEXT) | instid1(VALU_DEP_3)
	v_and_or_b32 v1, 0xffff, v1, v54
	v_and_or_b32 v2, 0xffff, v2, v53
	s_delay_alu instid0(VALU_DEP_3)
	v_and_or_b32 v3, 0xffff, v3, v48
	;;#ASMSTART
	v_pk_mul_f16 v1, v33, v1;

	;;#ASMEND
	;;#ASMSTART
	v_pk_mul_f16 v2, v31, v2;

	;;#ASMEND
	;; [unrolled: 4-line block ×4, first 2 shown]
	;;#ASMSTART
	v_pk_add_f16 v1, v1, v2;

	;;#ASMEND
	;;#ASMSTART
	v_pk_add_f16 v1, v1, v3;

	;;#ASMEND
	;; [unrolled: 4-line block ×3, first 2 shown]
	v_and_b32_e32 v2, 0xffff, v1
	v_lshrrev_b32_e32 v1, 16, v1
	;;#ASMSTART
	v_cvt_f32_f16 v48, v2;
	;;#ASMEND
	;;#ASMSTART
	v_cvt_f32_f16 v53, v1;
	;;#ASMEND
	global_load_b128 v[1:4], v[7:8], off offset:3072
	s_wait_loadcnt 0x0
	v_lshrrev_b32_e32 v56, 16, v1
	v_lshrrev_b32_e32 v55, 16, v2
	;; [unrolled: 1-line block ×3, first 2 shown]
	s_and_saveexec_b32 s4, vcc_lo
	s_cbranch_execz .LBB106_47
; %bb.46:                               ;   in Loop: Header=BB106_33 Depth=1
	v_cmp_gt_i32_e64 s0, s25, v32
	v_and_b32_e32 v57, 0xffff, v4
	v_and_b32_e32 v4, 0xffff0000, v4
	s_wait_alu 0xf1ff
	s_delay_alu instid0(VALU_DEP_3) | instskip(SKIP_2) | instid1(VALU_DEP_1)
	v_cndmask_b32_e64 v1, 0, v1, s0
	v_cmp_gt_i32_e64 s0, s25, v37
	s_wait_alu 0xf1ff
	v_cndmask_b32_e64 v56, 0, v56, s0
	v_cmp_gt_i32_e64 s0, s25, v36
	s_wait_alu 0xf1ff
	s_delay_alu instid0(VALU_DEP_1) | instskip(SKIP_2) | instid1(VALU_DEP_1)
	v_cndmask_b32_e64 v2, 0, v2, s0
	v_cmp_gt_i32_e64 s0, s25, v29
	s_wait_alu 0xf1ff
	v_cndmask_b32_e64 v55, 0, v55, s0
	v_cmp_gt_i32_e64 s0, s25, v30
	s_wait_alu 0xf1ff
	s_delay_alu instid0(VALU_DEP_1) | instskip(SKIP_2) | instid1(VALU_DEP_1)
	v_cndmask_b32_e64 v57, 0, v57, s0
	v_cmp_gt_i32_e64 s0, s25, v25
	s_wait_alu 0xf1ff
	v_cndmask_b32_e64 v4, 0, v4, s0
	v_cmp_gt_i32_e64 s0, s25, v28
	s_delay_alu instid0(VALU_DEP_2) | instskip(SKIP_1) | instid1(VALU_DEP_2)
	v_or_b32_e32 v4, v57, v4
	s_wait_alu 0xf1ff
	v_cndmask_b32_e64 v3, 0, v3, s0
	v_cmp_gt_i32_e64 s0, s25, v27
	s_wait_alu 0xf1ff
	s_delay_alu instid0(VALU_DEP_1)
	v_cndmask_b32_e64 v54, 0, v54, s0
.LBB106_47:                             ;   in Loop: Header=BB106_33 Depth=1
	s_wait_alu 0xfffe
	s_or_b32 exec_lo, exec_lo, s4
	v_lshlrev_b32_e32 v56, 16, v56
	v_lshlrev_b32_e32 v55, 16, v55
	;; [unrolled: 1-line block ×3, first 2 shown]
	s_delay_alu instid0(VALU_DEP_3) | instskip(NEXT) | instid1(VALU_DEP_3)
	v_and_or_b32 v1, 0xffff, v1, v56
	v_and_or_b32 v2, 0xffff, v2, v55
	s_delay_alu instid0(VALU_DEP_3)
	v_and_or_b32 v3, 0xffff, v3, v54
	;;#ASMSTART
	v_pk_mul_f16 v1, v33, v1;

	;;#ASMEND
	;;#ASMSTART
	v_pk_mul_f16 v2, v31, v2;

	;;#ASMEND
	;; [unrolled: 4-line block ×4, first 2 shown]
	;;#ASMSTART
	v_pk_add_f16 v1, v1, v2;

	;;#ASMEND
	;;#ASMSTART
	v_pk_add_f16 v1, v1, v3;

	;;#ASMEND
	;;#ASMSTART
	v_pk_add_f16 v1, v1, v4;

	;;#ASMEND
	v_and_b32_e32 v2, 0xffff, v1
	v_lshrrev_b32_e32 v1, 16, v1
	;;#ASMSTART
	v_cvt_f32_f16 v54, v2;
	;;#ASMEND
	;;#ASMSTART
	v_cvt_f32_f16 v55, v1;
	;;#ASMEND
	global_load_b128 v[1:4], v[7:8], off offset:3584
	s_wait_loadcnt 0x0
	v_lshrrev_b32_e32 v58, 16, v1
	v_lshrrev_b32_e32 v57, 16, v2
	;; [unrolled: 1-line block ×3, first 2 shown]
	s_and_saveexec_b32 s4, vcc_lo
	s_cbranch_execz .LBB106_49
; %bb.48:                               ;   in Loop: Header=BB106_33 Depth=1
	v_cmp_gt_i32_e64 s0, s25, v32
	v_and_b32_e32 v59, 0xffff, v4
	v_and_b32_e32 v4, 0xffff0000, v4
	s_wait_alu 0xf1ff
	s_delay_alu instid0(VALU_DEP_3) | instskip(SKIP_2) | instid1(VALU_DEP_1)
	v_cndmask_b32_e64 v1, 0, v1, s0
	v_cmp_gt_i32_e64 s0, s25, v37
	s_wait_alu 0xf1ff
	v_cndmask_b32_e64 v58, 0, v58, s0
	v_cmp_gt_i32_e64 s0, s25, v36
	s_wait_alu 0xf1ff
	s_delay_alu instid0(VALU_DEP_1) | instskip(SKIP_2) | instid1(VALU_DEP_1)
	v_cndmask_b32_e64 v2, 0, v2, s0
	v_cmp_gt_i32_e64 s0, s25, v29
	s_wait_alu 0xf1ff
	v_cndmask_b32_e64 v57, 0, v57, s0
	v_cmp_gt_i32_e64 s0, s25, v30
	s_wait_alu 0xf1ff
	s_delay_alu instid0(VALU_DEP_1) | instskip(SKIP_2) | instid1(VALU_DEP_1)
	v_cndmask_b32_e64 v59, 0, v59, s0
	v_cmp_gt_i32_e64 s0, s25, v25
	s_wait_alu 0xf1ff
	v_cndmask_b32_e64 v4, 0, v4, s0
	v_cmp_gt_i32_e64 s0, s25, v28
	s_delay_alu instid0(VALU_DEP_2) | instskip(SKIP_1) | instid1(VALU_DEP_2)
	v_or_b32_e32 v4, v59, v4
	s_wait_alu 0xf1ff
	v_cndmask_b32_e64 v3, 0, v3, s0
	v_cmp_gt_i32_e64 s0, s25, v27
	s_wait_alu 0xf1ff
	s_delay_alu instid0(VALU_DEP_1)
	v_cndmask_b32_e64 v56, 0, v56, s0
.LBB106_49:                             ;   in Loop: Header=BB106_33 Depth=1
	s_wait_alu 0xfffe
	s_or_b32 exec_lo, exec_lo, s4
	v_lshlrev_b32_e32 v58, 16, v58
	v_lshlrev_b32_e32 v57, 16, v57
	;; [unrolled: 1-line block ×3, first 2 shown]
	s_delay_alu instid0(VALU_DEP_3) | instskip(NEXT) | instid1(VALU_DEP_3)
	v_and_or_b32 v1, 0xffff, v1, v58
	v_and_or_b32 v2, 0xffff, v2, v57
	s_delay_alu instid0(VALU_DEP_3)
	v_and_or_b32 v3, 0xffff, v3, v56
	;;#ASMSTART
	v_pk_mul_f16 v1, v33, v1;

	;;#ASMEND
	;;#ASMSTART
	v_pk_mul_f16 v2, v31, v2;

	;;#ASMEND
	;; [unrolled: 4-line block ×4, first 2 shown]
	;;#ASMSTART
	v_pk_add_f16 v1, v1, v2;

	;;#ASMEND
	;;#ASMSTART
	v_pk_add_f16 v1, v1, v3;

	;;#ASMEND
	;; [unrolled: 4-line block ×3, first 2 shown]
	v_and_b32_e32 v2, 0xffff, v1
	v_lshrrev_b32_e32 v1, 16, v1
	;;#ASMSTART
	v_cvt_f32_f16 v56, v2;
	;;#ASMEND
	;;#ASMSTART
	v_cvt_f32_f16 v57, v1;
	;;#ASMEND
	global_load_b128 v[1:4], v[7:8], off offset:4096
	s_wait_loadcnt 0x0
	v_lshrrev_b32_e32 v60, 16, v1
	v_lshrrev_b32_e32 v59, 16, v2
	;; [unrolled: 1-line block ×3, first 2 shown]
	s_and_saveexec_b32 s4, vcc_lo
	s_cbranch_execz .LBB106_51
; %bb.50:                               ;   in Loop: Header=BB106_33 Depth=1
	v_cmp_gt_i32_e64 s0, s25, v32
	v_and_b32_e32 v61, 0xffff, v4
	v_and_b32_e32 v4, 0xffff0000, v4
	s_wait_alu 0xf1ff
	s_delay_alu instid0(VALU_DEP_3) | instskip(SKIP_2) | instid1(VALU_DEP_1)
	v_cndmask_b32_e64 v1, 0, v1, s0
	v_cmp_gt_i32_e64 s0, s25, v37
	s_wait_alu 0xf1ff
	v_cndmask_b32_e64 v60, 0, v60, s0
	v_cmp_gt_i32_e64 s0, s25, v36
	s_wait_alu 0xf1ff
	s_delay_alu instid0(VALU_DEP_1) | instskip(SKIP_2) | instid1(VALU_DEP_1)
	v_cndmask_b32_e64 v2, 0, v2, s0
	v_cmp_gt_i32_e64 s0, s25, v29
	s_wait_alu 0xf1ff
	v_cndmask_b32_e64 v59, 0, v59, s0
	v_cmp_gt_i32_e64 s0, s25, v30
	s_wait_alu 0xf1ff
	s_delay_alu instid0(VALU_DEP_1) | instskip(SKIP_2) | instid1(VALU_DEP_1)
	v_cndmask_b32_e64 v61, 0, v61, s0
	v_cmp_gt_i32_e64 s0, s25, v25
	s_wait_alu 0xf1ff
	v_cndmask_b32_e64 v4, 0, v4, s0
	v_cmp_gt_i32_e64 s0, s25, v28
	s_delay_alu instid0(VALU_DEP_2) | instskip(SKIP_1) | instid1(VALU_DEP_2)
	v_or_b32_e32 v4, v61, v4
	s_wait_alu 0xf1ff
	v_cndmask_b32_e64 v3, 0, v3, s0
	v_cmp_gt_i32_e64 s0, s25, v27
	s_wait_alu 0xf1ff
	s_delay_alu instid0(VALU_DEP_1)
	v_cndmask_b32_e64 v58, 0, v58, s0
.LBB106_51:                             ;   in Loop: Header=BB106_33 Depth=1
	s_wait_alu 0xfffe
	s_or_b32 exec_lo, exec_lo, s4
	v_lshlrev_b32_e32 v60, 16, v60
	v_lshlrev_b32_e32 v59, 16, v59
	;; [unrolled: 1-line block ×3, first 2 shown]
	s_delay_alu instid0(VALU_DEP_3) | instskip(NEXT) | instid1(VALU_DEP_3)
	v_and_or_b32 v1, 0xffff, v1, v60
	v_and_or_b32 v2, 0xffff, v2, v59
	s_delay_alu instid0(VALU_DEP_3)
	v_and_or_b32 v3, 0xffff, v3, v58
	;;#ASMSTART
	v_pk_mul_f16 v1, v33, v1;

	;;#ASMEND
	;;#ASMSTART
	v_pk_mul_f16 v2, v31, v2;

	;;#ASMEND
	;; [unrolled: 4-line block ×4, first 2 shown]
	;;#ASMSTART
	v_pk_add_f16 v1, v1, v2;

	;;#ASMEND
	;;#ASMSTART
	v_pk_add_f16 v1, v1, v3;

	;;#ASMEND
	;; [unrolled: 4-line block ×3, first 2 shown]
	v_and_b32_e32 v2, 0xffff, v1
	v_lshrrev_b32_e32 v1, 16, v1
	;;#ASMSTART
	v_cvt_f32_f16 v58, v2;
	;;#ASMEND
	;;#ASMSTART
	v_cvt_f32_f16 v59, v1;
	;;#ASMEND
	global_load_b128 v[1:4], v[7:8], off offset:4608
	s_wait_loadcnt 0x0
	v_lshrrev_b32_e32 v62, 16, v1
	v_lshrrev_b32_e32 v61, 16, v2
	;; [unrolled: 1-line block ×3, first 2 shown]
	s_and_saveexec_b32 s4, vcc_lo
	s_cbranch_execz .LBB106_53
; %bb.52:                               ;   in Loop: Header=BB106_33 Depth=1
	v_cmp_gt_i32_e64 s0, s25, v32
	v_and_b32_e32 v63, 0xffff, v4
	v_and_b32_e32 v4, 0xffff0000, v4
	s_wait_alu 0xf1ff
	s_delay_alu instid0(VALU_DEP_3) | instskip(SKIP_2) | instid1(VALU_DEP_1)
	v_cndmask_b32_e64 v1, 0, v1, s0
	v_cmp_gt_i32_e64 s0, s25, v37
	s_wait_alu 0xf1ff
	v_cndmask_b32_e64 v62, 0, v62, s0
	v_cmp_gt_i32_e64 s0, s25, v36
	s_wait_alu 0xf1ff
	s_delay_alu instid0(VALU_DEP_1) | instskip(SKIP_2) | instid1(VALU_DEP_1)
	v_cndmask_b32_e64 v2, 0, v2, s0
	v_cmp_gt_i32_e64 s0, s25, v29
	s_wait_alu 0xf1ff
	v_cndmask_b32_e64 v61, 0, v61, s0
	v_cmp_gt_i32_e64 s0, s25, v30
	s_wait_alu 0xf1ff
	s_delay_alu instid0(VALU_DEP_1) | instskip(SKIP_2) | instid1(VALU_DEP_1)
	v_cndmask_b32_e64 v63, 0, v63, s0
	v_cmp_gt_i32_e64 s0, s25, v25
	s_wait_alu 0xf1ff
	v_cndmask_b32_e64 v4, 0, v4, s0
	v_cmp_gt_i32_e64 s0, s25, v28
	s_delay_alu instid0(VALU_DEP_2) | instskip(SKIP_1) | instid1(VALU_DEP_2)
	v_or_b32_e32 v4, v63, v4
	s_wait_alu 0xf1ff
	v_cndmask_b32_e64 v3, 0, v3, s0
	v_cmp_gt_i32_e64 s0, s25, v27
	s_wait_alu 0xf1ff
	s_delay_alu instid0(VALU_DEP_1)
	v_cndmask_b32_e64 v60, 0, v60, s0
.LBB106_53:                             ;   in Loop: Header=BB106_33 Depth=1
	s_wait_alu 0xfffe
	s_or_b32 exec_lo, exec_lo, s4
	v_lshlrev_b32_e32 v62, 16, v62
	v_lshlrev_b32_e32 v61, 16, v61
	;; [unrolled: 1-line block ×3, first 2 shown]
	s_delay_alu instid0(VALU_DEP_3) | instskip(NEXT) | instid1(VALU_DEP_3)
	v_and_or_b32 v1, 0xffff, v1, v62
	v_and_or_b32 v2, 0xffff, v2, v61
	s_delay_alu instid0(VALU_DEP_3)
	v_and_or_b32 v3, 0xffff, v3, v60
	;;#ASMSTART
	v_pk_mul_f16 v1, v33, v1;

	;;#ASMEND
	;;#ASMSTART
	v_pk_mul_f16 v2, v31, v2;

	;;#ASMEND
	;; [unrolled: 4-line block ×4, first 2 shown]
	;;#ASMSTART
	v_pk_add_f16 v1, v1, v2;

	;;#ASMEND
	;;#ASMSTART
	v_pk_add_f16 v1, v1, v3;

	;;#ASMEND
	;; [unrolled: 4-line block ×3, first 2 shown]
	v_and_b32_e32 v2, 0xffff, v1
	v_lshrrev_b32_e32 v1, 16, v1
	;;#ASMSTART
	v_cvt_f32_f16 v60, v2;
	;;#ASMEND
	;;#ASMSTART
	v_cvt_f32_f16 v61, v1;
	;;#ASMEND
	global_load_b128 v[1:4], v[7:8], off offset:5120
	s_wait_loadcnt 0x0
	v_lshrrev_b32_e32 v64, 16, v1
	v_lshrrev_b32_e32 v63, 16, v2
	;; [unrolled: 1-line block ×3, first 2 shown]
	s_and_saveexec_b32 s4, vcc_lo
	s_cbranch_execz .LBB106_55
; %bb.54:                               ;   in Loop: Header=BB106_33 Depth=1
	v_cmp_gt_i32_e64 s0, s25, v32
	v_and_b32_e32 v65, 0xffff, v4
	v_and_b32_e32 v4, 0xffff0000, v4
	s_wait_alu 0xf1ff
	s_delay_alu instid0(VALU_DEP_3) | instskip(SKIP_2) | instid1(VALU_DEP_1)
	v_cndmask_b32_e64 v1, 0, v1, s0
	v_cmp_gt_i32_e64 s0, s25, v37
	s_wait_alu 0xf1ff
	v_cndmask_b32_e64 v64, 0, v64, s0
	v_cmp_gt_i32_e64 s0, s25, v36
	s_wait_alu 0xf1ff
	s_delay_alu instid0(VALU_DEP_1) | instskip(SKIP_2) | instid1(VALU_DEP_1)
	v_cndmask_b32_e64 v2, 0, v2, s0
	v_cmp_gt_i32_e64 s0, s25, v29
	s_wait_alu 0xf1ff
	v_cndmask_b32_e64 v63, 0, v63, s0
	v_cmp_gt_i32_e64 s0, s25, v30
	s_wait_alu 0xf1ff
	s_delay_alu instid0(VALU_DEP_1) | instskip(SKIP_2) | instid1(VALU_DEP_1)
	v_cndmask_b32_e64 v65, 0, v65, s0
	v_cmp_gt_i32_e64 s0, s25, v25
	s_wait_alu 0xf1ff
	v_cndmask_b32_e64 v4, 0, v4, s0
	v_cmp_gt_i32_e64 s0, s25, v28
	s_delay_alu instid0(VALU_DEP_2) | instskip(SKIP_1) | instid1(VALU_DEP_2)
	v_or_b32_e32 v4, v65, v4
	s_wait_alu 0xf1ff
	v_cndmask_b32_e64 v3, 0, v3, s0
	v_cmp_gt_i32_e64 s0, s25, v27
	s_wait_alu 0xf1ff
	s_delay_alu instid0(VALU_DEP_1)
	v_cndmask_b32_e64 v62, 0, v62, s0
.LBB106_55:                             ;   in Loop: Header=BB106_33 Depth=1
	s_wait_alu 0xfffe
	s_or_b32 exec_lo, exec_lo, s4
	v_lshlrev_b32_e32 v64, 16, v64
	v_lshlrev_b32_e32 v63, 16, v63
	v_lshlrev_b32_e32 v62, 16, v62
	s_delay_alu instid0(VALU_DEP_3) | instskip(NEXT) | instid1(VALU_DEP_3)
	v_and_or_b32 v1, 0xffff, v1, v64
	v_and_or_b32 v2, 0xffff, v2, v63
	s_delay_alu instid0(VALU_DEP_3)
	v_and_or_b32 v3, 0xffff, v3, v62
	;;#ASMSTART
	v_pk_mul_f16 v1, v33, v1;

	;;#ASMEND
	;;#ASMSTART
	v_pk_mul_f16 v2, v31, v2;

	;;#ASMEND
	;; [unrolled: 4-line block ×4, first 2 shown]
	;;#ASMSTART
	v_pk_add_f16 v1, v1, v2;

	;;#ASMEND
	;;#ASMSTART
	v_pk_add_f16 v1, v1, v3;

	;;#ASMEND
	;; [unrolled: 4-line block ×3, first 2 shown]
	v_and_b32_e32 v2, 0xffff, v1
	v_lshrrev_b32_e32 v1, 16, v1
	;;#ASMSTART
	v_cvt_f32_f16 v63, v2;
	;;#ASMEND
	;;#ASMSTART
	v_cvt_f32_f16 v64, v1;
	;;#ASMEND
	global_load_b128 v[1:4], v[7:8], off offset:5632
	s_wait_loadcnt 0x0
	v_lshrrev_b32_e32 v62, 16, v1
	v_lshrrev_b32_e32 v8, 16, v2
	;; [unrolled: 1-line block ×3, first 2 shown]
	s_and_saveexec_b32 s0, vcc_lo
	s_cbranch_execz .LBB106_32
; %bb.56:                               ;   in Loop: Header=BB106_33 Depth=1
	v_cmp_gt_i32_e32 vcc_lo, s25, v32
	v_and_b32_e32 v32, 0xffff, v4
	s_wait_alu 0xfffd
	v_dual_cndmask_b32 v1, 0, v1 :: v_dual_and_b32 v4, 0xffff0000, v4
	v_cmp_gt_i32_e32 vcc_lo, s25, v37
	s_wait_alu 0xfffd
	v_cndmask_b32_e32 v62, 0, v62, vcc_lo
	v_cmp_gt_i32_e32 vcc_lo, s25, v36
	s_wait_alu 0xfffd
	v_cndmask_b32_e32 v2, 0, v2, vcc_lo
	;; [unrolled: 3-line block ×5, first 2 shown]
	v_cmp_gt_i32_e32 vcc_lo, s25, v28
	s_delay_alu instid0(VALU_DEP_2)
	v_or_b32_e32 v4, v29, v4
	s_wait_alu 0xfffd
	v_cndmask_b32_e32 v3, 0, v3, vcc_lo
	v_cmp_gt_i32_e32 vcc_lo, s25, v27
	s_wait_alu 0xfffd
	v_cndmask_b32_e32 v7, 0, v7, vcc_lo
	s_branch .LBB106_32
.LBB106_57:
	s_or_b32 exec_lo, exec_lo, s3
.LBB106_58:
	s_wait_alu 0xfffe
	s_or_b32 exec_lo, exec_lo, s1
	ds_bpermute_b32 v1, v10, v21
	ds_bpermute_b32 v2, v10, v22
	;; [unrolled: 1-line block ×12, first 2 shown]
	v_lshrrev_b32_e32 v9, 1, v9
	s_mov_b32 s0, exec_lo
	s_wait_storecnt 0x0
	s_wait_loadcnt_dscnt 0x0
	s_barrier_signal -1
	s_barrier_wait -1
	global_inv scope:SCOPE_SE
	v_add_f32_e32 v23, v21, v1
	v_dual_add_f32 v21, v22, v2 :: v_dual_add_f32 v20, v20, v3
	v_add_f32_e32 v10, v19, v4
	v_dual_add_f32 v8, v18, v5 :: v_dual_add_f32 v7, v17, v6
	;; [unrolled: 2-line block ×3, first 2 shown]
	v_add_f32_e32 v5, v13, v27
	v_and_b32_e32 v13, 0x3c1, v0
	v_dual_add_f32 v6, v12, v28 :: v_dual_add_f32 v3, v11, v29
	v_lshl_add_u32 v11, v9, 2, 0x1a0
	v_mul_u32_u24_e32 v12, 0x300, v51
	s_delay_alu instid0(VALU_DEP_4)
	v_cmpx_eq_u32_e32 64, v13
	s_cbranch_execz .LBB106_60
; %bb.59:
	s_delay_alu instid0(VALU_DEP_2) | instskip(NEXT) | instid1(VALU_DEP_1)
	v_add_nc_u32_e32 v13, v11, v12
	v_add_nc_u32_e32 v14, 0xfffffa00, v13
	v_add_nc_u32_e32 v15, 0xfffffa40, v13
	v_add_nc_u32_e32 v16, 0xfffffa80, v13
	v_add_nc_u32_e32 v17, 0xfffffac0, v13
	v_add_nc_u32_e32 v18, 0xfffffb00, v13
	v_add_nc_u32_e32 v19, 0xfffffb40, v13
	v_add_nc_u32_e32 v22, 0xfffffb80, v13
	v_add_nc_u32_e32 v24, 0xfffffbc0, v13
	v_add_nc_u32_e32 v25, 0xfffffc00, v13
	v_add_nc_u32_e32 v26, 0xfffffc40, v13
	v_add_nc_u32_e32 v27, 0xfffffc80, v13
	v_add_nc_u32_e32 v13, 0xfffffcc0, v13
	ds_store_b32 v14, v23
	ds_store_b32 v15, v21
	;; [unrolled: 1-line block ×12, first 2 shown]
.LBB106_60:
	s_wait_alu 0xfffe
	s_or_b32 exec_lo, exec_lo, s0
	v_lshlrev_b32_e32 v9, 2, v9
	s_mov_b32 s1, exec_lo
	v_cmp_eq_u32_e32 vcc_lo, 0, v50
	s_wait_loadcnt_dscnt 0x0
	s_barrier_signal -1
	v_add3_u32 v9, 0x1a0, v12, v9
	s_barrier_wait -1
	global_inv scope:SCOPE_SE
	v_cmpx_gt_u32_e32 64, v0
	s_cbranch_execz .LBB106_75
; %bb.61:
	s_and_saveexec_b32 s0, vcc_lo
	s_cbranch_execnz .LBB106_95
; %bb.62:
	s_wait_alu 0xfffe
	s_or_b32 exec_lo, exec_lo, s0
	s_and_saveexec_b32 s0, vcc_lo
	s_cbranch_execnz .LBB106_96
.LBB106_63:
	s_wait_alu 0xfffe
	s_or_b32 exec_lo, exec_lo, s0
	s_and_saveexec_b32 s0, vcc_lo
	s_cbranch_execnz .LBB106_97
.LBB106_64:
	s_wait_alu 0xfffe
	s_or_b32 exec_lo, exec_lo, s0
	s_and_saveexec_b32 s0, vcc_lo
	s_cbranch_execnz .LBB106_98
.LBB106_65:
	s_wait_alu 0xfffe
	s_or_b32 exec_lo, exec_lo, s0
	s_and_saveexec_b32 s0, vcc_lo
	s_cbranch_execnz .LBB106_99
.LBB106_66:
	s_wait_alu 0xfffe
	s_or_b32 exec_lo, exec_lo, s0
	s_and_saveexec_b32 s0, vcc_lo
	s_cbranch_execnz .LBB106_100
.LBB106_67:
	s_wait_alu 0xfffe
	s_or_b32 exec_lo, exec_lo, s0
	s_and_saveexec_b32 s0, vcc_lo
	s_cbranch_execnz .LBB106_101
.LBB106_68:
	s_wait_alu 0xfffe
	s_or_b32 exec_lo, exec_lo, s0
	s_and_saveexec_b32 s0, vcc_lo
	s_cbranch_execnz .LBB106_102
.LBB106_69:
	s_wait_alu 0xfffe
	s_or_b32 exec_lo, exec_lo, s0
	s_and_saveexec_b32 s0, vcc_lo
	s_cbranch_execnz .LBB106_103
.LBB106_70:
	s_wait_alu 0xfffe
	s_or_b32 exec_lo, exec_lo, s0
	s_and_saveexec_b32 s0, vcc_lo
	s_cbranch_execnz .LBB106_104
.LBB106_71:
	s_wait_alu 0xfffe
	s_or_b32 exec_lo, exec_lo, s0
	s_and_saveexec_b32 s0, vcc_lo
	s_cbranch_execnz .LBB106_105
.LBB106_72:
	s_wait_alu 0xfffe
	s_or_b32 exec_lo, exec_lo, s0
	s_and_saveexec_b32 s0, vcc_lo
	s_cbranch_execz .LBB106_74
.LBB106_73:
	ds_load_b32 v12, v9 offset:704
	s_wait_dscnt 0x0
	v_add_f32_e32 v3, v3, v12
.LBB106_74:
	s_wait_alu 0xfffe
	s_or_b32 exec_lo, exec_lo, s0
.LBB106_75:
	s_wait_alu 0xfffe
	s_or_b32 exec_lo, exec_lo, s1
	v_and_b32_e32 v12, 0x3e1, v0
	s_mov_b32 s1, exec_lo
	s_wait_loadcnt 0x0
	s_barrier_signal -1
	s_barrier_wait -1
	global_inv scope:SCOPE_SE
	v_cmpx_eq_u32_e32 32, v12
	s_cbranch_execz .LBB106_77
; %bb.76:
	ds_store_2addr_b32 v11, v23, v21 offset1:16
	ds_store_2addr_b32 v11, v20, v10 offset0:32 offset1:48
	ds_store_2addr_b32 v11, v8, v7 offset0:64 offset1:80
	;; [unrolled: 1-line block ×5, first 2 shown]
.LBB106_77:
	s_wait_alu 0xfffe
	s_or_b32 exec_lo, exec_lo, s1
	s_delay_alu instid0(SALU_CYCLE_1)
	s_mov_b32 s1, exec_lo
	s_wait_loadcnt_dscnt 0x0
	s_barrier_signal -1
	s_barrier_wait -1
	global_inv scope:SCOPE_SE
	v_cmpx_gt_u32_e32 32, v0
	s_cbranch_execz .LBB106_92
; %bb.78:
	s_and_saveexec_b32 s0, vcc_lo
	s_cbranch_execnz .LBB106_106
; %bb.79:
	s_wait_alu 0xfffe
	s_or_b32 exec_lo, exec_lo, s0
	s_and_saveexec_b32 s0, vcc_lo
	s_cbranch_execnz .LBB106_107
.LBB106_80:
	s_wait_alu 0xfffe
	s_or_b32 exec_lo, exec_lo, s0
	s_and_saveexec_b32 s0, vcc_lo
	s_cbranch_execnz .LBB106_108
.LBB106_81:
	s_wait_alu 0xfffe
	s_or_b32 exec_lo, exec_lo, s0
	s_and_saveexec_b32 s0, vcc_lo
	s_cbranch_execnz .LBB106_109
.LBB106_82:
	s_wait_alu 0xfffe
	s_or_b32 exec_lo, exec_lo, s0
	s_and_saveexec_b32 s0, vcc_lo
	s_cbranch_execnz .LBB106_110
.LBB106_83:
	s_wait_alu 0xfffe
	s_or_b32 exec_lo, exec_lo, s0
	s_and_saveexec_b32 s0, vcc_lo
	s_cbranch_execnz .LBB106_111
.LBB106_84:
	s_wait_alu 0xfffe
	s_or_b32 exec_lo, exec_lo, s0
	s_and_saveexec_b32 s0, vcc_lo
	s_cbranch_execnz .LBB106_112
.LBB106_85:
	s_wait_alu 0xfffe
	s_or_b32 exec_lo, exec_lo, s0
	s_and_saveexec_b32 s0, vcc_lo
	s_cbranch_execnz .LBB106_113
.LBB106_86:
	s_wait_alu 0xfffe
	s_or_b32 exec_lo, exec_lo, s0
	s_and_saveexec_b32 s0, vcc_lo
	s_cbranch_execnz .LBB106_114
.LBB106_87:
	s_wait_alu 0xfffe
	s_or_b32 exec_lo, exec_lo, s0
	s_and_saveexec_b32 s0, vcc_lo
	s_cbranch_execnz .LBB106_115
.LBB106_88:
	s_wait_alu 0xfffe
	s_or_b32 exec_lo, exec_lo, s0
	s_and_saveexec_b32 s0, vcc_lo
	s_cbranch_execnz .LBB106_116
.LBB106_89:
	s_wait_alu 0xfffe
	s_or_b32 exec_lo, exec_lo, s0
	s_and_saveexec_b32 s0, vcc_lo
	s_cbranch_execz .LBB106_91
.LBB106_90:
	ds_load_b32 v0, v9 offset:704
	s_wait_dscnt 0x0
	v_add_f32_e32 v3, v3, v0
.LBB106_91:
	s_wait_alu 0xfffe
	s_or_b32 exec_lo, exec_lo, s0
.LBB106_92:
	s_wait_alu 0xfffe
	s_or_b32 exec_lo, exec_lo, s1
	s_mov_b32 s1, 0
	s_wait_loadcnt 0x0
	s_barrier_signal -1
	s_barrier_wait -1
	global_inv scope:SCOPE_SE
	s_mov_b32 s0, exec_lo
	v_cmpx_eq_u32_e32 0, v12
	s_cbranch_execz .LBB106_94
; %bb.93:
	s_mul_i32 s2, s20, 0xc0
	s_mul_i32 s4, s8, s12
	s_wait_alu 0xfffe
	s_ashr_i32 s3, s2, 31
	s_ashr_i32 s5, s4, 31
	s_wait_alu 0xfffe
	s_lshl_b64 s[2:3], s[2:3], 1
	s_lshl_b64 s[4:5], s[4:5], 1
	s_wait_alu 0xfffe
	s_add_nc_u64 s[2:3], s[10:11], s[2:3]
	v_lshlrev_b32_e32 v0, 1, v49
	s_mul_i32 s0, s24, 0x180
	s_wait_alu 0xfffe
	s_add_nc_u64 s[2:3], s[2:3], s[4:5]
	;;#ASMSTART
	v_cvt_f16_f32 v9, v23;

	;;#ASMEND
	s_wait_alu 0xfffe
	s_add_nc_u64 s[0:1], s[2:3], s[0:1]
	global_store_b16 v0, v9, s[0:1]
	;;#ASMSTART
	v_cvt_f16_f32 v9, v21;

	;;#ASMEND
	global_store_b16 v0, v9, s[0:1] offset:32
	;;#ASMSTART
	v_cvt_f16_f32 v9, v20;

	;;#ASMEND
	global_store_b16 v0, v9, s[0:1] offset:64
	;; [unrolled: 5-line block ×11, first 2 shown]
.LBB106_94:
	s_nop 0
	s_sendmsg sendmsg(MSG_DEALLOC_VGPRS)
	s_endpgm
.LBB106_95:
	ds_load_b32 v12, v9
	s_wait_dscnt 0x0
	v_add_f32_e32 v23, v23, v12
	s_wait_alu 0xfffe
	s_or_b32 exec_lo, exec_lo, s0
	s_and_saveexec_b32 s0, vcc_lo
	s_cbranch_execz .LBB106_63
.LBB106_96:
	ds_load_b32 v12, v9 offset:64
	s_wait_dscnt 0x0
	v_add_f32_e32 v21, v21, v12
	s_wait_alu 0xfffe
	s_or_b32 exec_lo, exec_lo, s0
	s_and_saveexec_b32 s0, vcc_lo
	s_cbranch_execz .LBB106_64
.LBB106_97:
	ds_load_b32 v12, v9 offset:128
	s_wait_dscnt 0x0
	v_add_f32_e32 v20, v20, v12
	s_wait_alu 0xfffe
	s_or_b32 exec_lo, exec_lo, s0
	s_and_saveexec_b32 s0, vcc_lo
	s_cbranch_execz .LBB106_65
.LBB106_98:
	ds_load_b32 v12, v9 offset:192
	s_wait_dscnt 0x0
	v_add_f32_e32 v10, v10, v12
	s_wait_alu 0xfffe
	s_or_b32 exec_lo, exec_lo, s0
	s_and_saveexec_b32 s0, vcc_lo
	s_cbranch_execz .LBB106_66
.LBB106_99:
	ds_load_b32 v12, v9 offset:256
	s_wait_dscnt 0x0
	v_add_f32_e32 v8, v8, v12
	s_wait_alu 0xfffe
	s_or_b32 exec_lo, exec_lo, s0
	s_and_saveexec_b32 s0, vcc_lo
	s_cbranch_execz .LBB106_67
.LBB106_100:
	ds_load_b32 v12, v9 offset:320
	s_wait_dscnt 0x0
	v_add_f32_e32 v7, v7, v12
	s_wait_alu 0xfffe
	s_or_b32 exec_lo, exec_lo, s0
	s_and_saveexec_b32 s0, vcc_lo
	s_cbranch_execz .LBB106_68
.LBB106_101:
	ds_load_b32 v12, v9 offset:384
	s_wait_dscnt 0x0
	v_add_f32_e32 v4, v4, v12
	s_wait_alu 0xfffe
	s_or_b32 exec_lo, exec_lo, s0
	s_and_saveexec_b32 s0, vcc_lo
	s_cbranch_execz .LBB106_69
.LBB106_102:
	ds_load_b32 v12, v9 offset:448
	s_wait_dscnt 0x0
	v_add_f32_e32 v2, v2, v12
	s_wait_alu 0xfffe
	s_or_b32 exec_lo, exec_lo, s0
	s_and_saveexec_b32 s0, vcc_lo
	s_cbranch_execz .LBB106_70
.LBB106_103:
	ds_load_b32 v12, v9 offset:512
	s_wait_dscnt 0x0
	v_add_f32_e32 v1, v1, v12
	s_wait_alu 0xfffe
	s_or_b32 exec_lo, exec_lo, s0
	s_and_saveexec_b32 s0, vcc_lo
	s_cbranch_execz .LBB106_71
.LBB106_104:
	ds_load_b32 v12, v9 offset:576
	s_wait_dscnt 0x0
	v_add_f32_e32 v5, v5, v12
	s_wait_alu 0xfffe
	s_or_b32 exec_lo, exec_lo, s0
	s_and_saveexec_b32 s0, vcc_lo
	s_cbranch_execz .LBB106_72
.LBB106_105:
	ds_load_b32 v12, v9 offset:640
	s_wait_dscnt 0x0
	v_add_f32_e32 v6, v6, v12
	s_wait_alu 0xfffe
	s_or_b32 exec_lo, exec_lo, s0
	s_and_saveexec_b32 s0, vcc_lo
	s_cbranch_execnz .LBB106_73
	s_branch .LBB106_74
.LBB106_106:
	ds_load_b32 v0, v9
	s_wait_dscnt 0x0
	v_add_f32_e32 v23, v23, v0
	s_wait_alu 0xfffe
	s_or_b32 exec_lo, exec_lo, s0
	s_and_saveexec_b32 s0, vcc_lo
	s_cbranch_execz .LBB106_80
.LBB106_107:
	ds_load_b32 v0, v9 offset:64
	s_wait_dscnt 0x0
	v_add_f32_e32 v21, v21, v0
	s_wait_alu 0xfffe
	s_or_b32 exec_lo, exec_lo, s0
	s_and_saveexec_b32 s0, vcc_lo
	s_cbranch_execz .LBB106_81
.LBB106_108:
	ds_load_b32 v0, v9 offset:128
	s_wait_dscnt 0x0
	v_add_f32_e32 v20, v20, v0
	s_wait_alu 0xfffe
	s_or_b32 exec_lo, exec_lo, s0
	s_and_saveexec_b32 s0, vcc_lo
	s_cbranch_execz .LBB106_82
.LBB106_109:
	ds_load_b32 v0, v9 offset:192
	s_wait_dscnt 0x0
	v_add_f32_e32 v10, v10, v0
	s_wait_alu 0xfffe
	s_or_b32 exec_lo, exec_lo, s0
	s_and_saveexec_b32 s0, vcc_lo
	s_cbranch_execz .LBB106_83
.LBB106_110:
	ds_load_b32 v0, v9 offset:256
	s_wait_dscnt 0x0
	v_add_f32_e32 v8, v8, v0
	s_wait_alu 0xfffe
	s_or_b32 exec_lo, exec_lo, s0
	s_and_saveexec_b32 s0, vcc_lo
	s_cbranch_execz .LBB106_84
.LBB106_111:
	ds_load_b32 v0, v9 offset:320
	s_wait_dscnt 0x0
	v_add_f32_e32 v7, v7, v0
	s_wait_alu 0xfffe
	s_or_b32 exec_lo, exec_lo, s0
	s_and_saveexec_b32 s0, vcc_lo
	s_cbranch_execz .LBB106_85
.LBB106_112:
	ds_load_b32 v0, v9 offset:384
	s_wait_dscnt 0x0
	v_add_f32_e32 v4, v4, v0
	s_wait_alu 0xfffe
	s_or_b32 exec_lo, exec_lo, s0
	s_and_saveexec_b32 s0, vcc_lo
	s_cbranch_execz .LBB106_86
.LBB106_113:
	ds_load_b32 v0, v9 offset:448
	s_wait_dscnt 0x0
	v_add_f32_e32 v2, v2, v0
	s_wait_alu 0xfffe
	s_or_b32 exec_lo, exec_lo, s0
	s_and_saveexec_b32 s0, vcc_lo
	s_cbranch_execz .LBB106_87
.LBB106_114:
	ds_load_b32 v0, v9 offset:512
	s_wait_dscnt 0x0
	v_add_f32_e32 v1, v1, v0
	s_wait_alu 0xfffe
	s_or_b32 exec_lo, exec_lo, s0
	s_and_saveexec_b32 s0, vcc_lo
	s_cbranch_execz .LBB106_88
.LBB106_115:
	ds_load_b32 v0, v9 offset:576
	s_wait_dscnt 0x0
	v_add_f32_e32 v5, v5, v0
	s_wait_alu 0xfffe
	s_or_b32 exec_lo, exec_lo, s0
	s_and_saveexec_b32 s0, vcc_lo
	s_cbranch_execz .LBB106_89
.LBB106_116:
	ds_load_b32 v0, v9 offset:640
	s_wait_dscnt 0x0
	v_add_f32_e32 v6, v6, v0
	s_wait_alu 0xfffe
	s_or_b32 exec_lo, exec_lo, s0
	s_and_saveexec_b32 s0, vcc_lo
	s_cbranch_execnz .LBB106_90
	s_branch .LBB106_91
	.section	.rodata,"a",@progbits
	.p2align	6, 0x0
	.amdhsa_kernel _ZN4vllm25paged_attention_v2_kernelIttLi192ELi16ELi128ELNS_18Fp8KVCacheDataTypeE0ELb0ELi512EEEvPfS2_PT_PKS3_PKT0_S9_ifPKiSB_iPKfiiiSD_SD_iiiii
		.amdhsa_group_segment_fixed_size 416
		.amdhsa_private_segment_fixed_size 0
		.amdhsa_kernarg_size 400
		.amdhsa_user_sgpr_count 2
		.amdhsa_user_sgpr_dispatch_ptr 0
		.amdhsa_user_sgpr_queue_ptr 0
		.amdhsa_user_sgpr_kernarg_segment_ptr 1
		.amdhsa_user_sgpr_dispatch_id 0
		.amdhsa_user_sgpr_private_segment_size 0
		.amdhsa_wavefront_size32 1
		.amdhsa_uses_dynamic_stack 0
		.amdhsa_enable_private_segment 0
		.amdhsa_system_sgpr_workgroup_id_x 1
		.amdhsa_system_sgpr_workgroup_id_y 1
		.amdhsa_system_sgpr_workgroup_id_z 1
		.amdhsa_system_sgpr_workgroup_info 0
		.amdhsa_system_vgpr_workitem_id 0
		.amdhsa_next_free_vgpr 134
		.amdhsa_next_free_sgpr 32
		.amdhsa_reserve_vcc 1
		.amdhsa_float_round_mode_32 0
		.amdhsa_float_round_mode_16_64 0
		.amdhsa_float_denorm_mode_32 3
		.amdhsa_float_denorm_mode_16_64 3
		.amdhsa_fp16_overflow 0
		.amdhsa_workgroup_processor_mode 1
		.amdhsa_memory_ordered 1
		.amdhsa_forward_progress 1
		.amdhsa_inst_pref_size 86
		.amdhsa_round_robin_scheduling 0
		.amdhsa_exception_fp_ieee_invalid_op 0
		.amdhsa_exception_fp_denorm_src 0
		.amdhsa_exception_fp_ieee_div_zero 0
		.amdhsa_exception_fp_ieee_overflow 0
		.amdhsa_exception_fp_ieee_underflow 0
		.amdhsa_exception_fp_ieee_inexact 0
		.amdhsa_exception_int_div_zero 0
	.end_amdhsa_kernel
	.section	.text._ZN4vllm25paged_attention_v2_kernelIttLi192ELi16ELi128ELNS_18Fp8KVCacheDataTypeE0ELb0ELi512EEEvPfS2_PT_PKS3_PKT0_S9_ifPKiSB_iPKfiiiSD_SD_iiiii,"axG",@progbits,_ZN4vllm25paged_attention_v2_kernelIttLi192ELi16ELi128ELNS_18Fp8KVCacheDataTypeE0ELb0ELi512EEEvPfS2_PT_PKS3_PKT0_S9_ifPKiSB_iPKfiiiSD_SD_iiiii,comdat
.Lfunc_end106:
	.size	_ZN4vllm25paged_attention_v2_kernelIttLi192ELi16ELi128ELNS_18Fp8KVCacheDataTypeE0ELb0ELi512EEEvPfS2_PT_PKS3_PKT0_S9_ifPKiSB_iPKfiiiSD_SD_iiiii, .Lfunc_end106-_ZN4vllm25paged_attention_v2_kernelIttLi192ELi16ELi128ELNS_18Fp8KVCacheDataTypeE0ELb0ELi512EEEvPfS2_PT_PKS3_PKT0_S9_ifPKiSB_iPKfiiiSD_SD_iiiii
                                        ; -- End function
	.set _ZN4vllm25paged_attention_v2_kernelIttLi192ELi16ELi128ELNS_18Fp8KVCacheDataTypeE0ELb0ELi512EEEvPfS2_PT_PKS3_PKT0_S9_ifPKiSB_iPKfiiiSD_SD_iiiii.num_vgpr, 134
	.set _ZN4vllm25paged_attention_v2_kernelIttLi192ELi16ELi128ELNS_18Fp8KVCacheDataTypeE0ELb0ELi512EEEvPfS2_PT_PKS3_PKT0_S9_ifPKiSB_iPKfiiiSD_SD_iiiii.num_agpr, 0
	.set _ZN4vllm25paged_attention_v2_kernelIttLi192ELi16ELi128ELNS_18Fp8KVCacheDataTypeE0ELb0ELi512EEEvPfS2_PT_PKS3_PKT0_S9_ifPKiSB_iPKfiiiSD_SD_iiiii.numbered_sgpr, 32
	.set _ZN4vllm25paged_attention_v2_kernelIttLi192ELi16ELi128ELNS_18Fp8KVCacheDataTypeE0ELb0ELi512EEEvPfS2_PT_PKS3_PKT0_S9_ifPKiSB_iPKfiiiSD_SD_iiiii.num_named_barrier, 0
	.set _ZN4vllm25paged_attention_v2_kernelIttLi192ELi16ELi128ELNS_18Fp8KVCacheDataTypeE0ELb0ELi512EEEvPfS2_PT_PKS3_PKT0_S9_ifPKiSB_iPKfiiiSD_SD_iiiii.private_seg_size, 0
	.set _ZN4vllm25paged_attention_v2_kernelIttLi192ELi16ELi128ELNS_18Fp8KVCacheDataTypeE0ELb0ELi512EEEvPfS2_PT_PKS3_PKT0_S9_ifPKiSB_iPKfiiiSD_SD_iiiii.uses_vcc, 1
	.set _ZN4vllm25paged_attention_v2_kernelIttLi192ELi16ELi128ELNS_18Fp8KVCacheDataTypeE0ELb0ELi512EEEvPfS2_PT_PKS3_PKT0_S9_ifPKiSB_iPKfiiiSD_SD_iiiii.uses_flat_scratch, 0
	.set _ZN4vllm25paged_attention_v2_kernelIttLi192ELi16ELi128ELNS_18Fp8KVCacheDataTypeE0ELb0ELi512EEEvPfS2_PT_PKS3_PKT0_S9_ifPKiSB_iPKfiiiSD_SD_iiiii.has_dyn_sized_stack, 0
	.set _ZN4vllm25paged_attention_v2_kernelIttLi192ELi16ELi128ELNS_18Fp8KVCacheDataTypeE0ELb0ELi512EEEvPfS2_PT_PKS3_PKT0_S9_ifPKiSB_iPKfiiiSD_SD_iiiii.has_recursion, 0
	.set _ZN4vllm25paged_attention_v2_kernelIttLi192ELi16ELi128ELNS_18Fp8KVCacheDataTypeE0ELb0ELi512EEEvPfS2_PT_PKS3_PKT0_S9_ifPKiSB_iPKfiiiSD_SD_iiiii.has_indirect_call, 0
	.section	.AMDGPU.csdata,"",@progbits
; Kernel info:
; codeLenInByte = 10944
; TotalNumSgprs: 34
; NumVgprs: 134
; ScratchSize: 0
; MemoryBound: 0
; FloatMode: 240
; IeeeMode: 1
; LDSByteSize: 416 bytes/workgroup (compile time only)
; SGPRBlocks: 0
; VGPRBlocks: 16
; NumSGPRsForWavesPerEU: 34
; NumVGPRsForWavesPerEU: 134
; Occupancy: 10
; WaveLimiterHint : 1
; COMPUTE_PGM_RSRC2:SCRATCH_EN: 0
; COMPUTE_PGM_RSRC2:USER_SGPR: 2
; COMPUTE_PGM_RSRC2:TRAP_HANDLER: 0
; COMPUTE_PGM_RSRC2:TGID_X_EN: 1
; COMPUTE_PGM_RSRC2:TGID_Y_EN: 1
; COMPUTE_PGM_RSRC2:TGID_Z_EN: 1
; COMPUTE_PGM_RSRC2:TIDIG_COMP_CNT: 0
	.section	.text._ZN4vllm25paged_attention_v2_kernelIttLi256ELi16ELi128ELNS_18Fp8KVCacheDataTypeE0ELb0ELi512EEEvPfS2_PT_PKS3_PKT0_S9_ifPKiSB_iPKfiiiSD_SD_iiiii,"axG",@progbits,_ZN4vllm25paged_attention_v2_kernelIttLi256ELi16ELi128ELNS_18Fp8KVCacheDataTypeE0ELb0ELi512EEEvPfS2_PT_PKS3_PKT0_S9_ifPKiSB_iPKfiiiSD_SD_iiiii,comdat
	.protected	_ZN4vllm25paged_attention_v2_kernelIttLi256ELi16ELi128ELNS_18Fp8KVCacheDataTypeE0ELb0ELi512EEEvPfS2_PT_PKS3_PKT0_S9_ifPKiSB_iPKfiiiSD_SD_iiiii ; -- Begin function _ZN4vllm25paged_attention_v2_kernelIttLi256ELi16ELi128ELNS_18Fp8KVCacheDataTypeE0ELb0ELi512EEEvPfS2_PT_PKS3_PKT0_S9_ifPKiSB_iPKfiiiSD_SD_iiiii
	.globl	_ZN4vllm25paged_attention_v2_kernelIttLi256ELi16ELi128ELNS_18Fp8KVCacheDataTypeE0ELb0ELi512EEEvPfS2_PT_PKS3_PKT0_S9_ifPKiSB_iPKfiiiSD_SD_iiiii
	.p2align	8
	.type	_ZN4vllm25paged_attention_v2_kernelIttLi256ELi16ELi128ELNS_18Fp8KVCacheDataTypeE0ELb0ELi512EEEvPfS2_PT_PKS3_PKT0_S9_ifPKiSB_iPKfiiiSD_SD_iiiii,@function
_ZN4vllm25paged_attention_v2_kernelIttLi256ELi16ELi128ELNS_18Fp8KVCacheDataTypeE0ELb0ELi512EEEvPfS2_PT_PKS3_PKT0_S9_ifPKiSB_iPKfiiiSD_SD_iiiii: ; @_ZN4vllm25paged_attention_v2_kernelIttLi256ELi16ELi128ELNS_18Fp8KVCacheDataTypeE0ELb0ELi512EEEvPfS2_PT_PKS3_PKT0_S9_ifPKiSB_iPKfiiiSD_SD_iiiii
; %bb.0:
	s_load_b64 s[2:3], s[0:1], 0x40
	s_and_b32 s27, ttmp7, 0xffff
	s_lshr_b32 s26, ttmp7, 16
	s_lshl_b32 s4, s27, 2
	s_lshl_b32 s16, s26, 9
	s_wait_kmcnt 0x0
	s_load_b32 s17, s[2:3], s4 offset:0x0
	s_wait_kmcnt 0x0
	s_cmp_ge_i32 s16, s17
	s_cbranch_scc1 .LBB107_110
; %bb.1:
	s_clause 0x1
	s_load_b32 s28, s[0:1], 0x90
	s_load_b64 s[6:7], s[0:1], 0x30
	s_wait_kmcnt 0x0
	s_abs_i32 s5, s28
	s_abs_i32 s2, s6
	s_delay_alu instid0(SALU_CYCLE_1) | instskip(SKIP_1) | instid1(SALU_CYCLE_2)
	s_cvt_f32_u32 s3, s2
	s_sub_co_i32 s4, 0, s2
	v_rcp_iflag_f32_e32 v1, s3
	s_delay_alu instid0(TRANS32_DEP_1) | instskip(SKIP_2) | instid1(SALU_CYCLE_2)
	v_readfirstlane_b32 s3, v1
	s_mul_f32 s3, s3, 0x4f7ffffe
	s_wait_alu 0xfffe
	s_cvt_u32_f32 s3, s3
	s_wait_alu 0xfffe
	s_delay_alu instid0(SALU_CYCLE_2) | instskip(NEXT) | instid1(SALU_CYCLE_1)
	s_mul_i32 s4, s4, s3
	s_mul_hi_u32 s4, s3, s4
	s_delay_alu instid0(SALU_CYCLE_1)
	s_add_co_i32 s3, s3, s4
	s_xor_b32 s4, s28, s6
	s_wait_alu 0xfffe
	s_mul_hi_u32 s3, s5, s3
	s_ashr_i32 s4, s4, 31
	s_wait_alu 0xfffe
	s_mul_i32 s6, s3, s2
	s_delay_alu instid0(SALU_CYCLE_1)
	s_sub_co_i32 s5, s5, s6
	s_add_co_i32 s6, s3, 1
	s_sub_co_i32 s8, s5, s2
	s_cmp_ge_u32 s5, s2
	s_cselect_b32 s3, s6, s3
	s_cselect_b32 s5, s8, s5
	s_wait_alu 0xfffe
	s_add_co_i32 s6, s3, 1
	s_cmp_ge_u32 s5, s2
	s_load_b64 s[8:9], s[0:1], 0x50
	s_cselect_b32 s2, s6, s3
	s_mov_b32 s5, 0
	s_wait_alu 0xfffe
	s_xor_b32 s2, s2, s4
	s_mov_b32 s10, s5
	s_wait_alu 0xfffe
	s_sub_co_i32 s11, s2, s4
	s_abs_i32 s4, ttmp9
	s_abs_i32 s6, s11
	s_delay_alu instid0(SALU_CYCLE_1) | instskip(SKIP_2) | instid1(SALU_CYCLE_1)
	s_cvt_f32_u32 s2, s6
	s_sub_co_i32 s3, 0, s6
	s_wait_alu 0xfffe
	v_rcp_iflag_f32_e32 v1, s2
	s_delay_alu instid0(TRANS32_DEP_1) | instskip(SKIP_2) | instid1(SALU_CYCLE_2)
	v_readfirstlane_b32 s2, v1
	s_mul_f32 s2, s2, 0x4f7ffffe
	s_wait_alu 0xfffe
	s_cvt_u32_f32 s2, s2
	s_wait_alu 0xfffe
	s_delay_alu instid0(SALU_CYCLE_2)
	s_mul_i32 s3, s3, s2
	s_wait_alu 0xfffe
	s_mul_hi_u32 s3, s2, s3
	s_wait_alu 0xfffe
	s_add_co_i32 s2, s2, s3
	s_mov_b32 s3, s5
	s_wait_kmcnt 0x0
	s_cmp_eq_u64 s[8:9], 0
	s_cbranch_scc1 .LBB107_3
; %bb.2:
	s_mov_b32 s12, ttmp9
	s_ashr_i32 s13, ttmp9, 31
	s_delay_alu instid0(SALU_CYCLE_1) | instskip(NEXT) | instid1(SALU_CYCLE_1)
	s_lshl_b64 s[12:13], s[12:13], 2
	s_add_nc_u64 s[8:9], s[8:9], s[12:13]
	s_load_b32 s10, s[8:9], 0x0
.LBB107_3:
	s_load_b96 s[12:14], s[0:1], 0x58
	s_mul_u64 s[2:3], s[4:5], s[2:3]
	v_lshrrev_b32_e32 v63, 1, v0
	v_and_b32_e32 v64, 1, v0
	v_cmp_gt_u32_e64 s2, 64, v0
	v_lshlrev_b32_e32 v67, 3, v0
	s_ashr_i32 s5, ttmp9, 31
	s_ashr_i32 s8, s11, 31
	s_lshl_b32 s18, ttmp9, 8
	s_wait_alu 0xfffe
	s_and_saveexec_b32 s9, s2
	s_cbranch_execz .LBB107_5
; %bb.4:
	s_load_b64 s[20:21], s[0:1], 0x18
	s_wait_kmcnt 0x0
	s_mul_i32 s22, s12, s27
	s_ashr_i32 s19, s18, 31
	s_ashr_i32 s23, s22, 31
	v_lshlrev_b32_e32 v3, 3, v63
	s_lshl_b64 s[22:23], s[22:23], 1
	s_delay_alu instid0(VALU_DEP_1) | instskip(SKIP_2) | instid1(SALU_CYCLE_1)
	v_lshl_add_u32 v3, v64, 8, v3
	s_add_nc_u64 s[20:21], s[20:21], s[22:23]
	s_lshl_b64 s[22:23], s[18:19], 1
	s_add_nc_u64 s[20:21], s[20:21], s[22:23]
	global_load_b64 v[1:2], v67, s[20:21]
	s_wait_loadcnt 0x0
	ds_store_b64 v3, v[1:2]
.LBB107_5:
	s_or_b32 exec_lo, exec_lo, s9
	s_add_co_i32 s9, s17, 15
	s_xor_b32 s5, s5, s8
	s_ashr_i32 s11, s9, 31
	s_lshl_b32 s30, s26, 5
	s_lshr_b32 s8, s11, 28
	s_mul_i32 s11, s3, s6
	s_add_co_i32 s9, s9, s8
	s_add_co_i32 s8, s30, 32
	s_ashr_i32 s29, s9, 4
	s_load_b32 s9, s[0:1], 0x48
	s_sub_co_i32 s4, s4, s11
	s_min_i32 s19, s8, s29
	s_add_co_i32 s8, s3, 1
	s_sub_co_i32 s11, s4, s6
	s_cmp_ge_u32 s4, s6
	v_lshrrev_b32_e32 v65, 5, v0
	s_cselect_b32 s3, s8, s3
	s_cselect_b32 s4, s11, s4
	s_wait_alu 0xfffe
	s_add_co_i32 s8, s3, 1
	s_cmp_ge_u32 s4, s6
	v_or_b32_e32 v66, s30, v65
	s_cselect_b32 s3, s8, s3
	v_mbcnt_lo_u32_b32 v69, -1, 0
	s_wait_alu 0xfffe
	s_xor_b32 s3, s3, s5
	s_wait_dscnt 0x0
	s_wait_alu 0xfffe
	s_sub_co_i32 s4, s3, s5
	v_cmp_gt_i32_e64 s3, s19, v66
	s_mov_b32 s5, exec_lo
	s_barrier_signal -1
	s_wait_kmcnt 0x0
	s_mul_i32 s20, s9, s27
	s_barrier_wait -1
	s_ashr_i32 s21, s20, 31
	global_inv scope:SCOPE_SE
                                        ; implicit-def: $vgpr70
                                        ; implicit-def: $vgpr71
	v_cmpx_le_i32_e64 s19, v66
	s_xor_b32 s5, exec_lo, s5
; %bb.6:
	v_dual_mov_b32 v70, 0 :: v_dual_mov_b32 v71, 32
	v_mbcnt_lo_u32_b32 v69, -1, 0
; %bb.7:
	s_or_saveexec_b32 s8, s5
	s_clause 0x1
	s_load_b64 s[22:23], s[0:1], 0x38
	s_load_b32 s12, s[0:1], 0x98
	v_mov_b32_e32 v72, 0xff7fffff
	v_lshlrev_b32_e32 v68, 2, v66
	s_mul_i32 s14, s4, s14
	s_xor_b32 exec_lo, exec_lo, s8
	s_cbranch_execz .LBB107_13
; %bb.8:
	s_load_b64 s[24:25], s[0:1], 0x20
	v_bfe_u32 v1, v0, 1, 4
	s_ashr_i32 s15, s14, 31
	v_dual_mov_b32 v72, 0xff7fffff :: v_dual_lshlrev_b32 v3, 4, v65
	s_lshl_b64 s[34:35], s[14:15], 1
	s_delay_alu instid0(VALU_DEP_2) | instskip(SKIP_4) | instid1(VALU_DEP_3)
	v_dual_mov_b32 v79, v66 :: v_dual_lshlrev_b32 v4, 4, v1
	v_lshlrev_b32_e32 v5, 2, v1
	s_cmp_neq_f32 s10, 0
	v_dual_mov_b32 v71, 32 :: v_dual_and_b32 v2, 8, v67
	v_add3_u32 v74, s16, v3, v1
	v_lshl_or_b32 v1, v65, 6, v5
	s_cselect_b32 s4, -1, 0
	s_lshl_b64 s[36:37], s[20:21], 2
	v_dual_mov_b32 v70, 0 :: v_dual_lshlrev_b32 v73, 8, v64
	s_wait_kmcnt 0x0
	s_add_nc_u64 s[36:37], s[22:23], s[36:37]
	v_add_nc_u32_e32 v75, 0x220, v1
	s_add_nc_u64 s[24:25], s[24:25], s[34:35]
	v_xor_b32_e32 v78, 1, v69
	v_add_co_u32 v3, s5, s24, v4
	s_delay_alu instid0(VALU_DEP_1)
	v_add_co_ci_u32_e64 v4, null, s25, 0, s5
	s_mov_b32 s11, s13
	v_add_co_u32 v76, s5, v3, v2
	s_wait_alu 0xf1ff
	v_add_co_ci_u32_e64 v77, null, 0, v4, s5
	v_add_co_u32 v1, s5, s36, v68
	s_wait_alu 0xf1ff
	v_add_co_ci_u32_e64 v2, null, s37, 0, s5
	s_mov_b32 s9, 0
	s_sub_co_i32 s15, 1, s17
	v_cmp_eq_u32_e32 vcc_lo, 0, v64
	s_branch .LBB107_10
.LBB107_9:                              ;   in Loop: Header=BB107_10 Depth=1
	s_wait_alu 0xfffe
	s_or_b32 exec_lo, exec_lo, s6
	v_add_nc_u32_e32 v79, 4, v79
	v_add_co_u32 v1, s6, v1, 16
	v_add_nc_u32_e32 v74, 64, v74
	v_add_nc_u32_e32 v75, 0x100, v75
	s_delay_alu instid0(VALU_DEP_4) | instskip(SKIP_3) | instid1(SALU_CYCLE_1)
	v_cmp_le_i32_e64 s5, s19, v79
	s_wait_alu 0xf1ff
	v_add_co_ci_u32_e64 v2, null, 0, v2, s6
	s_or_b32 s9, s5, s9
	s_and_not1_b32 exec_lo, exec_lo, s9
	s_cbranch_execz .LBB107_12
.LBB107_10:                             ; =>This Inner Loop Header: Depth=1
	global_load_b32 v3, v[1:2], off
	s_wait_loadcnt_dscnt 0x0
	v_mad_co_i64_i32 v[3:4], null, v3, s11, 0
	s_delay_alu instid0(VALU_DEP_1) | instskip(NEXT) | instid1(VALU_DEP_1)
	v_lshlrev_b64_e32 v[3:4], 1, v[3:4]
	v_add_co_u32 v3, s5, v76, v3
	s_wait_alu 0xf1ff
	s_delay_alu instid0(VALU_DEP_2)
	v_add_co_ci_u32_e64 v4, null, v77, v4, s5
	v_cmp_gt_i32_e64 s5, 32, v78
	s_clause 0x9
	global_load_b64 v[80:81], v[3:4], off
	global_load_b64 v[88:89], v[3:4], off offset:256
	global_load_b64 v[61:62], v[3:4], off offset:512
	;; [unrolled: 1-line block ×9, first 2 shown]
	ds_load_b64 v[5:6], v73
	s_wait_dscnt 0x0
	v_lshrrev_b32_e32 v82, 16, v5
	v_and_b32_e32 v83, 0xffff, v5
	v_lshrrev_b32_e32 v90, 16, v6
	v_and_b32_e32 v91, 0xffff, v6
	s_clause 0x15
	global_load_b64 v[45:46], v[3:4], off offset:2560
	global_load_b64 v[43:44], v[3:4], off offset:2816
	;; [unrolled: 1-line block ×22, first 2 shown]
	;;#ASMSTART
	v_cvt_f32_f16 v85, v83;
	;;#ASMEND
	;;#ASMSTART
	v_cvt_f32_f16 v84, v82;
	;;#ASMEND
	s_wait_loadcnt 0x1f
	v_and_b32_e32 v83, 0xffff, v80
	v_lshrrev_b32_e32 v80, 16, v80
	v_lshrrev_b32_e32 v82, 16, v81
	v_and_b32_e32 v92, 0xffff, v81
	;;#ASMSTART
	v_cvt_f32_f16 v87, v83;
	;;#ASMEND
	;;#ASMSTART
	v_cvt_f32_f16 v86, v80;
	;;#ASMEND
	;; [unrolled: 3-line block ×6, first 2 shown]
	ds_load_b64 v[90:91], v73 offset:8
	s_wait_loadcnt 0x1e
	v_lshrrev_b32_e32 v92, 16, v88
	v_lshrrev_b32_e32 v93, 16, v89
	v_and_b32_e32 v89, 0xffff, v89
	s_wait_loadcnt 0x1a
	v_lshrrev_b32_e32 v100, 16, v56
	s_wait_loadcnt 0x19
	v_lshrrev_b32_e32 v102, 16, v53
	v_and_b32_e32 v53, 0xffff, v53
	v_lshrrev_b32_e32 v104, 16, v54
	s_wait_loadcnt 0x18
	v_lshrrev_b32_e32 v129, 16, v51
	v_lshrrev_b32_e32 v130, 16, v52
	s_wait_dscnt 0x0
	v_and_b32_e32 v94, 0xffff, v90
	v_lshrrev_b32_e32 v90, 16, v90
	;;#ASMSTART
	v_cvt_f32_f16 v121, v94;
	;;#ASMEND
	;;#ASMSTART
	v_cvt_f32_f16 v120, v90;
	;;#ASMEND
	v_and_b32_e32 v88, 0xffff, v88
	v_and_b32_e32 v95, 0xffff, v91
	v_lshrrev_b32_e32 v91, 16, v91
	;;#ASMSTART
	v_cvt_f32_f16 v123, v88;
	;;#ASMEND
	;;#ASMSTART
	v_cvt_f32_f16 v122, v92;
	;;#ASMEND
	;; [unrolled: 3-line block ×6, first 2 shown]
	ds_load_b64 v[88:89], v73 offset:16
	v_lshrrev_b32_e32 v90, 16, v61
	v_and_b32_e32 v61, 0xffff, v61
	v_lshrrev_b32_e32 v91, 16, v62
	s_wait_dscnt 0x0
	v_and_b32_e32 v92, 0xffff, v88
	v_lshrrev_b32_e32 v88, 16, v88
	;;#ASMSTART
	v_cvt_f32_f16 v118, v92;
	;;#ASMEND
	;;#ASMSTART
	v_cvt_f32_f16 v116, v88;
	;;#ASMEND
	;; [unrolled: 3-line block ×3, first 2 shown]
	v_and_b32_e32 v62, 0xffff, v62
	v_and_b32_e32 v93, 0xffff, v89
	v_lshrrev_b32_e32 v89, 16, v89
	;;#ASMSTART
	v_cvt_f32_f16 v117, v90;
	;;#ASMEND
	;;#ASMSTART
	v_cvt_f32_f16 v124, v93;
	;;#ASMEND
	;; [unrolled: 3-line block ×5, first 2 shown]
	ds_load_b64 v[61:62], v73 offset:24
	v_lshrrev_b32_e32 v88, 16, v59
	v_and_b32_e32 v59, 0xffff, v59
	v_lshrrev_b32_e32 v89, 16, v60
	v_and_b32_e32 v60, 0xffff, v60
	v_and_b32_e32 v56, 0xffff, v56
	s_wait_dscnt 0x0
	v_and_b32_e32 v90, 0xffff, v61
	v_lshrrev_b32_e32 v61, 16, v61
	v_and_b32_e32 v91, 0xffff, v62
	v_lshrrev_b32_e32 v62, 16, v62
	;;#ASMSTART
	v_cvt_f32_f16 v114, v90;
	;;#ASMEND
	;;#ASMSTART
	v_cvt_f32_f16 v112, v61;
	;;#ASMEND
	;;#ASMSTART
	v_cvt_f32_f16 v115, v59;
	;;#ASMEND
	;;#ASMSTART
	v_cvt_f32_f16 v113, v88;
	;;#ASMEND
	;;#ASMSTART
	v_cvt_f32_f16 v96, v91;
	;;#ASMEND
	;;#ASMSTART
	v_cvt_f32_f16 v94, v62;
	;;#ASMEND
	;;#ASMSTART
	v_cvt_f32_f16 v97, v60;
	;;#ASMEND
	;;#ASMSTART
	v_cvt_f32_f16 v95, v89;
	;;#ASMEND
	ds_load_b64 v[59:60], v73 offset:32
	v_lshrrev_b32_e32 v62, 16, v57
	v_and_b32_e32 v57, 0xffff, v57
	v_lshrrev_b32_e32 v88, 16, v58
	v_and_b32_e32 v58, 0xffff, v58
	v_and_b32_e32 v106, 0xffff, v54
	s_wait_dscnt 0x0
	v_and_b32_e32 v61, 0xffff, v59
	v_lshrrev_b32_e32 v59, 16, v59
	v_and_b32_e32 v89, 0xffff, v60
	v_lshrrev_b32_e32 v60, 16, v60
	;;#ASMSTART
	v_cvt_f32_f16 v110, v61;
	;;#ASMEND
	;;#ASMSTART
	v_cvt_f32_f16 v61, v59;
	;;#ASMEND
	;; [unrolled: 3-line block ×8, first 2 shown]
	ds_load_b64 v[57:58], v73 offset:40
	v_lshrrev_b32_e32 v88, 16, v55
	v_and_b32_e32 v55, 0xffff, v55
	s_wait_dscnt 0x0
	v_and_b32_e32 v59, 0xffff, v57
	v_lshrrev_b32_e32 v57, 16, v57
	v_and_b32_e32 v89, 0xffff, v58
	v_lshrrev_b32_e32 v101, 16, v58
	;;#ASMSTART
	v_cvt_f32_f16 v59, v59;
	;;#ASMEND
	;;#ASMSTART
	v_cvt_f32_f16 v57, v57;
	;;#ASMEND
	;; [unrolled: 3-line block ×8, first 2 shown]
	ds_load_b64 v[100:101], v73 offset:48
	s_wait_dscnt 0x0
	v_and_b32_e32 v103, 0xffff, v100
	v_lshrrev_b32_e32 v100, 16, v100
	v_and_b32_e32 v105, 0xffff, v101
	v_lshrrev_b32_e32 v127, 16, v101
	;;#ASMSTART
	v_cvt_f32_f16 v101, v103;
	;;#ASMEND
	;;#ASMSTART
	v_cvt_f32_f16 v54, v100;
	;;#ASMEND
	;; [unrolled: 3-line block ×3, first 2 shown]
	v_mul_f32_e32 v53, v121, v123
	;;#ASMSTART
	v_cvt_f32_f16 v100, v102;
	;;#ASMEND
	;;#ASMSTART
	v_cvt_f32_f16 v105, v105;
	;;#ASMEND
	;; [unrolled: 3-line block ×3, first 2 shown]
	v_and_b32_e32 v121, 0xffff, v51
	v_fmac_f32_e32 v53, v85, v87
	v_mul_f32_e32 v51, v120, v122
	s_delay_alu instid0(VALU_DEP_2) | instskip(NEXT) | instid1(VALU_DEP_2)
	v_fmac_f32_e32 v53, v118, v119
	v_fmac_f32_e32 v51, v84, v86
	s_wait_loadcnt 0x16
	v_lshrrev_b32_e32 v119, 16, v48
	s_delay_alu instid0(VALU_DEP_3)
	v_fmac_f32_e32 v53, v114, v115
	;;#ASMSTART
	v_cvt_f32_f16 v106, v106;
	;;#ASMEND
	;;#ASMSTART
	v_cvt_f32_f16 v104, v104;
	;;#ASMEND
	ds_load_b64 v[127:128], v73 offset:56
	v_dual_fmac_f32 v51, v116, v117 :: v_dual_and_b32 v52, 0xffff, v52
	v_fmac_f32_e32 v53, v110, v111
	s_delay_alu instid0(VALU_DEP_2) | instskip(NEXT) | instid1(VALU_DEP_2)
	v_dual_fmac_f32 v51, v112, v113 :: v_dual_and_b32 v118, 0xffff, v47
	v_fmac_f32_e32 v53, v59, v60
	s_delay_alu instid0(VALU_DEP_2) | instskip(NEXT) | instid1(VALU_DEP_2)
	v_fmac_f32_e32 v51, v61, v62
	v_fmac_f32_e32 v53, v101, v103
	s_delay_alu instid0(VALU_DEP_2)
	v_fmac_f32_e32 v51, v57, v58
	s_wait_dscnt 0x0
	v_and_b32_e32 v85, 0xffff, v127
	v_lshrrev_b32_e32 v87, 16, v127
	v_and_b32_e32 v122, 0xffff, v128
	v_lshrrev_b32_e32 v123, 16, v128
	;;#ASMSTART
	v_cvt_f32_f16 v86, v85;
	;;#ASMEND
	;;#ASMSTART
	v_cvt_f32_f16 v84, v87;
	;;#ASMEND
	;;#ASMSTART
	v_cvt_f32_f16 v120, v121;
	;;#ASMEND
	;;#ASMSTART
	v_cvt_f32_f16 v85, v129;
	;;#ASMEND
	;;#ASMSTART
	v_cvt_f32_f16 v122, v122;
	;;#ASMEND
	;;#ASMSTART
	v_cvt_f32_f16 v87, v123;
	;;#ASMEND
	;;#ASMSTART
	v_cvt_f32_f16 v123, v52;
	;;#ASMEND
	;;#ASMSTART
	v_cvt_f32_f16 v121, v130;
	;;#ASMEND
	ds_load_b64 v[127:128], v73 offset:64
	v_lshrrev_b32_e32 v129, 16, v49
	v_mul_f32_e32 v52, v108, v109
	v_dual_mul_f32 v49, v107, v126 :: v_dual_and_b32 v108, 0xffff, v49
	v_lshrrev_b32_e32 v107, 16, v50
	s_delay_alu instid0(VALU_DEP_3) | instskip(SKIP_1) | instid1(VALU_DEP_4)
	v_dual_fmac_f32 v52, v81, v83 :: v_dual_and_b32 v109, 0xffff, v50
	v_fmac_f32_e32 v51, v54, v100
	v_fmac_f32_e32 v49, v80, v82
	s_delay_alu instid0(VALU_DEP_3) | instskip(NEXT) | instid1(VALU_DEP_3)
	v_dual_fmac_f32 v53, v86, v120 :: v_dual_fmac_f32 v52, v124, v125
	v_fmac_f32_e32 v51, v84, v85
	s_delay_alu instid0(VALU_DEP_3) | instskip(SKIP_2) | instid1(VALU_DEP_2)
	v_fmac_f32_e32 v49, v98, v99
	s_wait_loadcnt 0x15
	v_and_b32_e32 v99, 0xffff, v45
	v_dual_fmac_f32 v52, v96, v97 :: v_dual_fmac_f32 v49, v94, v95
	s_wait_dscnt 0x0
	v_and_b32_e32 v50, 0xffff, v127
	v_lshrrev_b32_e32 v83, 16, v127
	v_and_b32_e32 v82, 0xffff, v128
	v_lshrrev_b32_e32 v126, 16, v128
	;;#ASMSTART
	v_cvt_f32_f16 v81, v50;
	;;#ASMEND
	;;#ASMSTART
	v_cvt_f32_f16 v50, v83;
	;;#ASMEND
	;; [unrolled: 3-line block ×4, first 2 shown]
	v_fmac_f32_e32 v49, v90, v91
	;;#ASMSTART
	v_cvt_f32_f16 v108, v82;
	;;#ASMEND
	;;#ASMSTART
	v_cvt_f32_f16 v82, v126;
	;;#ASMEND
	;; [unrolled: 3-line block ×4, first 2 shown]
	ds_load_b64 v[126:127], v73 offset:72
	v_lshrrev_b32_e32 v128, 16, v47
	v_and_b32_e32 v129, 0xffff, v48
	v_dual_fmac_f32 v49, v55, v56 :: v_dual_and_b32 v130, 0xffff, v46
	v_dual_fmac_f32 v52, v92, v93 :: v_dual_fmac_f32 v53, v81, v83
	v_fmac_f32_e32 v51, v50, v80
	s_delay_alu instid0(VALU_DEP_2) | instskip(NEXT) | instid1(VALU_DEP_1)
	v_dual_fmac_f32 v49, v102, v104 :: v_dual_fmac_f32 v52, v88, v89
	v_dual_fmac_f32 v49, v87, v121 :: v_dual_fmac_f32 v52, v105, v106
	s_delay_alu instid0(VALU_DEP_1)
	v_fmac_f32_e32 v49, v82, v107
	s_wait_dscnt 0x0
	v_and_b32_e32 v47, 0xffff, v126
	v_lshrrev_b32_e32 v48, 16, v126
	v_and_b32_e32 v117, 0xffff, v127
	v_lshrrev_b32_e32 v125, 16, v127
	;;#ASMSTART
	v_cvt_f32_f16 v116, v47;
	;;#ASMEND
	;;#ASMSTART
	v_cvt_f32_f16 v47, v48;
	;;#ASMEND
	;; [unrolled: 3-line block ×8, first 2 shown]
	ds_load_b64 v[126:127], v73 offset:80
	v_lshrrev_b32_e32 v128, 16, v45
	v_lshrrev_b32_e32 v129, 16, v46
	v_dual_fmac_f32 v52, v122, v123 :: v_dual_fmac_f32 v51, v47, v48
	v_fmac_f32_e32 v53, v116, v118
	s_delay_alu instid0(VALU_DEP_2) | instskip(NEXT) | instid1(VALU_DEP_1)
	v_dual_fmac_f32 v49, v117, v119 :: v_dual_fmac_f32 v52, v108, v109
	v_fmac_f32_e32 v52, v124, v125
	s_wait_loadcnt 0xc
	v_lshrrev_b32_e32 v125, 16, v28
	s_wait_dscnt 0x0
	v_and_b32_e32 v45, 0xffff, v126
	v_lshrrev_b32_e32 v46, 16, v126
	v_and_b32_e32 v113, 0xffff, v127
	v_lshrrev_b32_e32 v115, 16, v127
	;;#ASMSTART
	v_cvt_f32_f16 v98, v45;
	;;#ASMEND
	;;#ASMSTART
	v_cvt_f32_f16 v45, v46;
	;;#ASMEND
	;; [unrolled: 3-line block ×8, first 2 shown]
	ds_load_b64 v[126:127], v73 offset:88
	v_lshrrev_b32_e32 v129, 16, v44
	v_and_b32_e32 v44, 0xffff, v44
	v_lshrrev_b32_e32 v128, 16, v43
	v_and_b32_e32 v43, 0xffff, v43
	v_fmac_f32_e32 v52, v114, v115
	v_fmac_f32_e32 v53, v98, v112
	;; [unrolled: 1-line block ×4, first 2 shown]
	s_wait_dscnt 0x0
	v_and_b32_e32 v94, 0xffff, v126
	v_lshrrev_b32_e32 v95, 16, v126
	v_and_b32_e32 v110, 0xffff, v127
	v_lshrrev_b32_e32 v111, 16, v127
	;;#ASMSTART
	v_cvt_f32_f16 v94, v94;
	;;#ASMEND
	;;#ASMSTART
	v_cvt_f32_f16 v95, v95;
	;;#ASMEND
	;; [unrolled: 3-line block ×8, first 2 shown]
	ds_load_b64 v[43:44], v73 offset:96
	v_lshrrev_b32_e32 v128, 16, v41
	v_and_b32_e32 v41, 0xffff, v41
	v_lshrrev_b32_e32 v129, 16, v42
	v_and_b32_e32 v42, 0xffff, v42
	v_dual_fmac_f32 v49, v111, v127 :: v_dual_and_b32 v28, 0xffff, v28
	v_fmac_f32_e32 v52, v110, v126
	s_wait_loadcnt 0x9
	v_lshrrev_b32_e32 v127, 16, v22
	v_fmac_f32_e32 v51, v95, v97
	v_fmac_f32_e32 v53, v94, v96
	s_wait_dscnt 0x0
	v_and_b32_e32 v61, 0xffff, v43
	v_lshrrev_b32_e32 v62, 16, v43
	v_and_b32_e32 v90, 0xffff, v44
	v_lshrrev_b32_e32 v91, 16, v44
	;;#ASMSTART
	v_cvt_f32_f16 v43, v61;
	;;#ASMEND
	;;#ASMSTART
	v_cvt_f32_f16 v44, v62;
	;;#ASMEND
	;; [unrolled: 3-line block ×8, first 2 shown]
	ds_load_b64 v[41:42], v73 offset:104
	v_lshrrev_b32_e32 v128, 16, v39
	v_and_b32_e32 v39, 0xffff, v39
	v_lshrrev_b32_e32 v129, 16, v40
	v_and_b32_e32 v40, 0xffff, v40
	v_dual_fmac_f32 v52, v90, v92 :: v_dual_fmac_f32 v53, v43, v61
	v_fmac_f32_e32 v51, v44, v62
	v_fmac_f32_e32 v49, v91, v93
	s_wait_dscnt 0x0
	v_and_b32_e32 v57, 0xffff, v41
	v_lshrrev_b32_e32 v58, 16, v41
	v_lshrrev_b32_e32 v60, 16, v42
	v_and_b32_e32 v59, 0xffff, v42
	;;#ASMSTART
	v_cvt_f32_f16 v41, v57;
	;;#ASMEND
	;;#ASMSTART
	v_cvt_f32_f16 v42, v58;
	;;#ASMEND
	;; [unrolled: 3-line block ×8, first 2 shown]
	ds_load_b64 v[39:40], v73 offset:112
	v_lshrrev_b32_e32 v128, 16, v37
	v_and_b32_e32 v37, 0xffff, v37
	v_lshrrev_b32_e32 v129, 16, v38
	v_and_b32_e32 v38, 0xffff, v38
	v_dual_fmac_f32 v53, v41, v57 :: v_dual_and_b32 v22, 0xffff, v22
	v_dual_fmac_f32 v52, v59, v88 :: v_dual_fmac_f32 v51, v42, v58
	v_fmac_f32_e32 v49, v60, v89
	s_wait_dscnt 0x0
	v_and_b32_e32 v55, 0xffff, v39
	v_lshrrev_b32_e32 v56, 16, v39
	v_lshrrev_b32_e32 v100, 16, v40
	v_and_b32_e32 v101, 0xffff, v40
	;;#ASMSTART
	v_cvt_f32_f16 v39, v55;
	;;#ASMEND
	;;#ASMSTART
	v_cvt_f32_f16 v40, v56;
	;;#ASMEND
	;; [unrolled: 3-line block ×8, first 2 shown]
	ds_load_b64 v[37:38], v73 offset:120
	v_lshrrev_b32_e32 v128, 16, v35
	v_and_b32_e32 v35, 0xffff, v35
	v_lshrrev_b32_e32 v129, 16, v36
	v_dual_fmac_f32 v53, v39, v54 :: v_dual_and_b32 v36, 0xffff, v36
	v_fmac_f32_e32 v52, v56, v101
	v_fmac_f32_e32 v51, v40, v55
	;; [unrolled: 1-line block ×3, first 2 shown]
	s_wait_loadcnt 0x5
	v_lshrrev_b32_e32 v103, 16, v14
	s_wait_dscnt 0x0
	v_and_b32_e32 v102, 0xffff, v37
	v_lshrrev_b32_e32 v104, 16, v37
	v_lshrrev_b32_e32 v105, 16, v38
	v_and_b32_e32 v106, 0xffff, v38
	;;#ASMSTART
	v_cvt_f32_f16 v37, v102;
	;;#ASMEND
	;;#ASMSTART
	v_cvt_f32_f16 v38, v104;
	;;#ASMEND
	;; [unrolled: 3-line block ×8, first 2 shown]
	ds_load_b64 v[35:36], v73 offset:128
	v_lshrrev_b32_e32 v128, 16, v33
	v_and_b32_e32 v33, 0xffff, v33
	v_lshrrev_b32_e32 v129, 16, v34
	v_and_b32_e32 v34, 0xffff, v34
	v_fmac_f32_e32 v53, v37, v86
	v_dual_fmac_f32 v49, v105, v120 :: v_dual_and_b32 v14, 0xffff, v14
	v_fmac_f32_e32 v52, v104, v106
	s_wait_dscnt 0x0
	v_and_b32_e32 v84, 0xffff, v35
	v_lshrrev_b32_e32 v85, 16, v35
	v_lshrrev_b32_e32 v121, 16, v36
	v_and_b32_e32 v87, 0xffff, v36
	;;#ASMSTART
	v_cvt_f32_f16 v35, v84;
	;;#ASMEND
	;;#ASMSTART
	v_cvt_f32_f16 v36, v85;
	;;#ASMEND
	;; [unrolled: 3-line block ×8, first 2 shown]
	ds_load_b64 v[33:34], v73 offset:136
	v_lshrrev_b32_e32 v128, 16, v31
	v_and_b32_e32 v31, 0xffff, v31
	v_lshrrev_b32_e32 v129, 16, v32
	v_and_b32_e32 v32, 0xffff, v32
	v_fmac_f32_e32 v52, v87, v122
	s_wait_loadcnt 0x2
	v_lshrrev_b32_e32 v87, 16, v8
	v_fmac_f32_e32 v53, v35, v84
	v_dual_fmac_f32 v49, v121, v123 :: v_dual_and_b32 v8, 0xffff, v8
	s_wait_dscnt 0x0
	v_and_b32_e32 v50, 0xffff, v33
	v_lshrrev_b32_e32 v80, 16, v33
	v_lshrrev_b32_e32 v83, 16, v34
	v_and_b32_e32 v81, 0xffff, v34
	;;#ASMSTART
	v_cvt_f32_f16 v33, v50;
	;;#ASMEND
	;;#ASMSTART
	v_cvt_f32_f16 v34, v80;
	;;#ASMEND
	;; [unrolled: 3-line block ×8, first 2 shown]
	ds_load_b64 v[31:32], v73 offset:144
	v_lshrrev_b32_e32 v128, 16, v29
	v_and_b32_e32 v29, 0xffff, v29
	v_lshrrev_b32_e32 v129, 16, v30
	v_and_b32_e32 v30, 0xffff, v30
	v_fmac_f32_e32 v53, v33, v50
	v_dual_fmac_f32 v52, v81, v108 :: v_dual_fmac_f32 v49, v83, v109
	s_wait_dscnt 0x0
	v_and_b32_e32 v82, 0xffff, v31
	v_lshrrev_b32_e32 v107, 16, v31
	v_lshrrev_b32_e32 v116, 16, v32
	v_and_b32_e32 v118, 0xffff, v32
	;;#ASMSTART
	v_cvt_f32_f16 v31, v82;
	;;#ASMEND
	;;#ASMSTART
	v_cvt_f32_f16 v32, v107;
	;;#ASMEND
	;; [unrolled: 3-line block ×8, first 2 shown]
	ds_load_b64 v[29:30], v73 offset:152
	v_lshrrev_b32_e32 v128, 16, v27
	v_and_b32_e32 v27, 0xffff, v27
	v_dual_fmac_f32 v53, v31, v47 :: v_dual_fmac_f32 v52, v82, v116
	s_wait_dscnt 0x0
	v_and_b32_e32 v117, 0xffff, v29
	v_lshrrev_b32_e32 v119, 16, v29
	v_lshrrev_b32_e32 v124, 16, v30
	v_and_b32_e32 v129, 0xffff, v30
	;;#ASMSTART
	v_cvt_f32_f16 v29, v117;
	;;#ASMEND
	;;#ASMSTART
	v_cvt_f32_f16 v30, v119;
	;;#ASMEND
	;; [unrolled: 3-line block ×8, first 2 shown]
	ds_load_b64 v[27:28], v73 offset:160
	v_lshrrev_b32_e32 v128, 16, v25
	v_and_b32_e32 v25, 0xffff, v25
	v_lshrrev_b32_e32 v129, 16, v26
	v_and_b32_e32 v26, 0xffff, v26
	v_fmac_f32_e32 v53, v29, v98
	v_fmac_f32_e32 v52, v117, v124
	s_wait_loadcnt 0x1
	v_lshrrev_b32_e32 v29, 16, v5
	v_and_b32_e32 v5, 0xffff, v5
	s_wait_dscnt 0x0
	v_and_b32_e32 v45, 0xffff, v27
	v_lshrrev_b32_e32 v46, 16, v27
	v_lshrrev_b32_e32 v113, 16, v28
	v_and_b32_e32 v99, 0xffff, v28
	;;#ASMSTART
	v_cvt_f32_f16 v27, v45;
	;;#ASMEND
	;;#ASMSTART
	v_cvt_f32_f16 v28, v46;
	;;#ASMEND
	;; [unrolled: 3-line block ×8, first 2 shown]
	ds_load_b64 v[25:26], v73 offset:168
	v_lshrrev_b32_e32 v128, 16, v23
	v_and_b32_e32 v23, 0xffff, v23
	v_lshrrev_b32_e32 v129, 16, v24
	v_dual_fmac_f32 v53, v27, v45 :: v_dual_and_b32 v24, 0xffff, v24
	v_fmac_f32_e32 v52, v99, v114
	s_wait_dscnt 0x0
	v_and_b32_e32 v94, 0xffff, v25
	v_lshrrev_b32_e32 v95, 16, v25
	v_lshrrev_b32_e32 v97, 16, v26
	v_and_b32_e32 v96, 0xffff, v26
	;;#ASMSTART
	v_cvt_f32_f16 v25, v94;
	;;#ASMEND
	;;#ASMSTART
	v_cvt_f32_f16 v26, v95;
	;;#ASMEND
	;; [unrolled: 3-line block ×8, first 2 shown]
	ds_load_b64 v[23:24], v73 offset:176
	v_lshrrev_b32_e32 v128, 16, v21
	v_and_b32_e32 v21, 0xffff, v21
	v_lshrrev_b32_e32 v129, 16, v20
	v_dual_fmac_f32 v53, v25, v94 :: v_dual_and_b32 v20, 0xffff, v20
	s_wait_dscnt 0x0
	v_dual_fmac_f32 v52, v96, v110 :: v_dual_and_b32 v43, 0xffff, v23
	v_lshrrev_b32_e32 v61, 16, v23
	v_lshrrev_b32_e32 v62, 16, v24
	v_and_b32_e32 v111, 0xffff, v24
	;;#ASMSTART
	v_cvt_f32_f16 v23, v43;
	;;#ASMEND
	;;#ASMSTART
	v_cvt_f32_f16 v24, v61;
	;;#ASMEND
	;; [unrolled: 3-line block ×8, first 2 shown]
	ds_load_b64 v[21:22], v73 offset:184
	v_lshrrev_b32_e32 v128, 16, v19
	v_and_b32_e32 v19, 0xffff, v19
	v_fmac_f32_e32 v53, v23, v43
	v_fmac_f32_e32 v52, v61, v111
	s_wait_dscnt 0x0
	v_and_b32_e32 v90, 0xffff, v21
	v_lshrrev_b32_e32 v91, 16, v21
	v_lshrrev_b32_e32 v92, 16, v22
	v_and_b32_e32 v93, 0xffff, v22
	;;#ASMSTART
	v_cvt_f32_f16 v21, v90;
	;;#ASMEND
	;;#ASMSTART
	v_cvt_f32_f16 v22, v91;
	;;#ASMEND
	;; [unrolled: 3-line block ×8, first 2 shown]
	ds_load_b64 v[19:20], v73 offset:192
	v_lshrrev_b32_e32 v128, 16, v17
	v_and_b32_e32 v17, 0xffff, v17
	v_lshrrev_b32_e32 v129, 16, v18
	v_dual_fmac_f32 v53, v21, v41 :: v_dual_and_b32 v18, 0xffff, v18
	v_lshrrev_b32_e32 v21, 16, v6
	v_and_b32_e32 v6, 0xffff, v6
	v_dual_fmac_f32 v49, v107, v118 :: v_dual_fmac_f32 v52, v90, v92
	s_delay_alu instid0(VALU_DEP_1) | instskip(NEXT) | instid1(VALU_DEP_1)
	v_fmac_f32_e32 v49, v119, v125
	v_fmac_f32_e32 v49, v113, v115
	s_wait_dscnt 0x0
	v_and_b32_e32 v42, 0xffff, v19
	v_lshrrev_b32_e32 v58, 16, v19
	v_lshrrev_b32_e32 v60, 16, v20
	v_and_b32_e32 v59, 0xffff, v20
	;;#ASMSTART
	v_cvt_f32_f16 v19, v42;
	;;#ASMEND
	;;#ASMSTART
	v_cvt_f32_f16 v20, v58;
	;;#ASMEND
	;; [unrolled: 3-line block ×8, first 2 shown]
	ds_load_b64 v[17:18], v73 offset:200
	v_lshrrev_b32_e32 v128, 16, v15
	v_and_b32_e32 v15, 0xffff, v15
	v_lshrrev_b32_e32 v129, 16, v16
	v_dual_fmac_f32 v49, v97, v126 :: v_dual_and_b32 v16, 0xffff, v16
	v_fmac_f32_e32 v53, v19, v42
	s_delay_alu instid0(VALU_DEP_2) | instskip(NEXT) | instid1(VALU_DEP_1)
	v_dual_fmac_f32 v52, v59, v88 :: v_dual_fmac_f32 v49, v62, v127
	v_fmac_f32_e32 v49, v91, v93
	s_wait_dscnt 0x0
	v_and_b32_e32 v39, 0xffff, v17
	v_lshrrev_b32_e32 v40, 16, v17
	v_lshrrev_b32_e32 v55, 16, v18
	v_and_b32_e32 v54, 0xffff, v18
	;;#ASMSTART
	v_cvt_f32_f16 v17, v39;
	;;#ASMEND
	;;#ASMSTART
	v_cvt_f32_f16 v18, v40;
	;;#ASMEND
	;; [unrolled: 3-line block ×8, first 2 shown]
	ds_load_b64 v[15:16], v73 offset:208
	v_lshrrev_b32_e32 v128, 16, v13
	v_and_b32_e32 v13, 0xffff, v13
	v_fmac_f32_e32 v51, v38, v102
	v_lshrrev_b32_e32 v129, 16, v12
	v_fmac_f32_e32 v53, v17, v39
	v_dual_fmac_f32 v49, v60, v89 :: v_dual_fmac_f32 v52, v54, v56
	s_delay_alu instid0(VALU_DEP_1)
	v_fmac_f32_e32 v49, v55, v101
	s_wait_dscnt 0x0
	v_and_b32_e32 v37, 0xffff, v15
	v_lshrrev_b32_e32 v86, 16, v15
	v_lshrrev_b32_e32 v100, 16, v16
	v_and_b32_e32 v102, 0xffff, v16
	;;#ASMSTART
	v_cvt_f32_f16 v15, v37;
	;;#ASMEND
	;;#ASMSTART
	v_cvt_f32_f16 v16, v86;
	;;#ASMEND
	;; [unrolled: 3-line block ×8, first 2 shown]
	ds_load_b64 v[13:14], v73 offset:216
	v_lshrrev_b32_e32 v128, 16, v11
	v_and_b32_e32 v11, 0xffff, v11
	v_dual_fmac_f32 v51, v36, v85 :: v_dual_and_b32 v12, 0xffff, v12
	v_lshrrev_b32_e32 v85, 16, v10
	v_dual_fmac_f32 v53, v15, v37 :: v_dual_and_b32 v10, 0xffff, v10
	v_fmac_f32_e32 v52, v86, v102
	s_delay_alu instid0(VALU_DEP_4) | instskip(SKIP_1) | instid1(VALU_DEP_2)
	v_fmac_f32_e32 v51, v34, v80
	v_fmac_f32_e32 v49, v100, v103
	;; [unrolled: 1-line block ×3, first 2 shown]
	s_wait_dscnt 0x0
	s_delay_alu instid0(VALU_DEP_1)
	v_dual_fmac_f32 v51, v30, v112 :: v_dual_and_b32 v104, 0xffff, v13
	v_lshrrev_b32_e32 v105, 16, v13
	v_lshrrev_b32_e32 v106, 16, v14
	v_and_b32_e32 v120, 0xffff, v14
	;;#ASMSTART
	v_cvt_f32_f16 v13, v104;
	;;#ASMEND
	;;#ASMSTART
	v_cvt_f32_f16 v14, v105;
	;;#ASMEND
	;; [unrolled: 3-line block ×8, first 2 shown]
	ds_load_b64 v[11:12], v73 offset:224
	v_lshrrev_b32_e32 v128, 16, v9
	v_and_b32_e32 v9, 0xffff, v9
	v_fmac_f32_e32 v51, v28, v46
	v_lshrrev_b32_e32 v129, 16, v7
	v_and_b32_e32 v7, 0xffff, v7
	v_dual_fmac_f32 v53, v13, v35 :: v_dual_fmac_f32 v52, v104, v106
	s_delay_alu instid0(VALU_DEP_4) | instskip(SKIP_3) | instid1(VALU_DEP_3)
	v_fmac_f32_e32 v51, v26, v95
	v_fmac_f32_e32 v49, v105, v120
	s_wait_loadcnt 0x0
	v_and_b32_e32 v13, 0xffff, v3
	v_fmac_f32_e32 v51, v24, v44
	s_delay_alu instid0(VALU_DEP_1)
	v_fmac_f32_e32 v51, v22, v57
	v_lshrrev_b32_e32 v22, 16, v3
	s_wait_dscnt 0x0
	v_and_b32_e32 v33, 0xffff, v11
	v_lshrrev_b32_e32 v34, 16, v11
	v_lshrrev_b32_e32 v36, 16, v12
	v_and_b32_e32 v47, 0xffff, v12
	;;#ASMSTART
	v_cvt_f32_f16 v11, v33;
	;;#ASMEND
	;;#ASMSTART
	v_cvt_f32_f16 v12, v34;
	;;#ASMEND
	;; [unrolled: 3-line block ×8, first 2 shown]
	ds_load_b64 v[9:10], v73 offset:232
	v_fmac_f32_e32 v51, v20, v58
	v_fmac_f32_e32 v53, v11, v31
	v_dual_fmac_f32 v52, v34, v47 :: v_dual_fmac_f32 v49, v36, v50
	v_lshrrev_b32_e32 v11, 16, v4
	s_delay_alu instid0(VALU_DEP_4) | instskip(NEXT) | instid1(VALU_DEP_1)
	v_fmac_f32_e32 v51, v18, v40
	v_fmac_f32_e32 v51, v16, v38
	s_delay_alu instid0(VALU_DEP_1)
	v_fmac_f32_e32 v51, v14, v84
	s_wait_dscnt 0x0
	v_and_b32_e32 v23, 0xffff, v9
	v_lshrrev_b32_e32 v25, 16, v9
	v_lshrrev_b32_e32 v26, 16, v10
	v_and_b32_e32 v27, 0xffff, v10
	;;#ASMSTART
	v_cvt_f32_f16 v9, v23;
	;;#ASMEND
	;;#ASMSTART
	v_cvt_f32_f16 v10, v25;
	;;#ASMEND
	;; [unrolled: 3-line block ×8, first 2 shown]
	ds_load_b64 v[7:8], v73 offset:240
	v_fmac_f32_e32 v51, v12, v33
	v_fmac_f32_e32 v53, v9, v23
	v_dual_fmac_f32 v52, v25, v27 :: v_dual_and_b32 v9, 0xffff, v4
	v_fmac_f32_e32 v49, v26, v28
	s_delay_alu instid0(VALU_DEP_4)
	v_fmac_f32_e32 v51, v10, v24
	s_wait_dscnt 0x0
	v_and_b32_e32 v15, 0xffff, v7
	v_lshrrev_b32_e32 v16, 16, v7
	v_lshrrev_b32_e32 v18, 16, v8
	v_and_b32_e32 v17, 0xffff, v8
	;;#ASMSTART
	v_cvt_f32_f16 v7, v15;
	;;#ASMEND
	;;#ASMSTART
	v_cvt_f32_f16 v8, v16;
	;;#ASMEND
	;; [unrolled: 3-line block ×8, first 2 shown]
	ds_load_b64 v[5:6], v73 offset:248
	v_fmac_f32_e32 v53, v7, v15
	v_dual_fmac_f32 v51, v8, v16 :: v_dual_fmac_f32 v52, v17, v19
	v_fmac_f32_e32 v49, v18, v20
	s_wait_dscnt 0x0
	v_and_b32_e32 v3, 0xffff, v5
	v_lshrrev_b32_e32 v4, 16, v5
	v_lshrrev_b32_e32 v7, 16, v6
	v_and_b32_e32 v8, 0xffff, v6
	;;#ASMSTART
	v_cvt_f32_f16 v3, v3;
	;;#ASMEND
	;;#ASMSTART
	v_cvt_f32_f16 v4, v4;
	;;#ASMEND
	;; [unrolled: 3-line block ×4, first 2 shown]
	v_fmac_f32_e32 v53, v3, v5
	v_fmac_f32_e32 v51, v4, v6
	;;#ASMSTART
	v_cvt_f32_f16 v3, v8;
	;;#ASMEND
	;;#ASMSTART
	v_cvt_f32_f16 v4, v7;
	;;#ASMEND
	;; [unrolled: 3-line block ×3, first 2 shown]
	s_delay_alu instid0(VALU_DEP_1)
	v_dual_fmac_f32 v52, v3, v5 :: v_dual_add_f32 v3, v53, v51
	;;#ASMSTART
	v_cvt_f32_f16 v5, v11;
	;;#ASMEND
	v_fmac_f32_e32 v49, v4, v5
	s_wait_alu 0xf1ff
	v_cndmask_b32_e64 v4, v69, v78, s5
	v_add_f32_e32 v3, v3, v52
	s_delay_alu instid0(VALU_DEP_1)
	v_dual_add_f32 v3, v49, v3 :: v_dual_lshlrev_b32 v4, 2, v4
	ds_bpermute_b32 v4, v4, v3
	s_and_saveexec_b32 s6, vcc_lo
	s_cbranch_execz .LBB107_9
; %bb.11:                               ;   in Loop: Header=BB107_10 Depth=1
	s_wait_dscnt 0x0
	v_add_f32_e32 v3, v3, v4
	v_add_nc_u32_e32 v5, s15, v74
	v_cmp_gt_i32_e64 s5, s17, v74
	s_delay_alu instid0(VALU_DEP_2) | instskip(NEXT) | instid1(VALU_DEP_1)
	v_cvt_f32_i32_e32 v5, v5
	v_mul_f32_e32 v5, s10, v5
	s_delay_alu instid0(VALU_DEP_1) | instskip(NEXT) | instid1(VALU_DEP_1)
	v_cndmask_b32_e64 v4, 0, v5, s4
	v_dual_max_num_f32 v5, v72, v72 :: v_dual_fmac_f32 v4, s7, v3
	s_delay_alu instid0(VALU_DEP_1) | instskip(SKIP_2) | instid1(VALU_DEP_2)
	v_max_num_f32_e32 v3, v5, v4
	s_wait_alu 0xf1ff
	v_cndmask_b32_e64 v4, 0, v4, s5
	v_cndmask_b32_e64 v72, v72, v3, s5
	ds_store_b32 v75, v4
	s_branch .LBB107_9
.LBB107_12:
	s_or_b32 exec_lo, exec_lo, s9
.LBB107_13:
	s_delay_alu instid0(SALU_CYCLE_1)
	s_or_b32 exec_lo, exec_lo, s8
	v_xor_b32_e32 v1, 16, v69
	v_xor_b32_e32 v2, 8, v69
	s_clause 0x2
	s_load_b128 s[8:11], s[0:1], 0x0
	s_load_b64 s[6:7], s[0:1], 0x10
	s_load_b64 s[24:25], s[0:1], 0x28
	s_wait_dscnt 0x0
	v_dual_max_num_f32 v4, v72, v72 :: v_dual_lshlrev_b32 v7, 2, v65
	v_cmp_lt_i32_e32 vcc_lo, v1, v71
	v_and_b32_e32 v9, 31, v0
	v_cndmask_b32_e32 v1, v69, v1, vcc_lo
	v_cmp_lt_i32_e32 vcc_lo, v2, v71
	s_wait_alu 0xfffd
	s_delay_alu instid0(VALU_DEP_2) | instskip(SKIP_3) | instid1(VALU_DEP_1)
	v_dual_cndmask_b32 v2, v69, v2 :: v_dual_lshlrev_b32 v3, 2, v1
	ds_bpermute_b32 v1, v3, v72
	s_wait_dscnt 0x0
	v_max_num_f32_e32 v1, v1, v1
	v_max_num_f32_e32 v1, v4, v1
	v_xor_b32_e32 v4, 4, v69
	s_delay_alu instid0(VALU_DEP_1) | instskip(SKIP_2) | instid1(VALU_DEP_1)
	v_cmp_lt_i32_e32 vcc_lo, v4, v71
	s_wait_alu 0xfffd
	v_dual_cndmask_b32 v4, v69, v4 :: v_dual_lshlrev_b32 v5, 2, v2
	v_lshlrev_b32_e32 v6, 2, v4
	ds_bpermute_b32 v2, v5, v1
	v_xor_b32_e32 v4, 2, v69
	s_delay_alu instid0(VALU_DEP_1)
	v_cmp_lt_i32_e32 vcc_lo, v4, v71
	s_wait_alu 0xfffd
	v_cndmask_b32_e32 v4, v69, v4, vcc_lo
	v_cmp_eq_u32_e32 vcc_lo, 0, v9
	s_wait_dscnt 0x0
	v_max_num_f32_e32 v2, v2, v2
	s_delay_alu instid0(VALU_DEP_1) | instskip(SKIP_3) | instid1(VALU_DEP_1)
	v_max_num_f32_e32 v1, v1, v2
	ds_bpermute_b32 v2, v6, v1
	s_wait_dscnt 0x0
	v_max_num_f32_e32 v2, v2, v2
	v_dual_max_num_f32 v1, v1, v2 :: v_dual_lshlrev_b32 v2, 2, v4
	ds_bpermute_b32 v4, v2, v1
	s_and_saveexec_b32 s0, vcc_lo
	s_cbranch_execz .LBB107_15
; %bb.14:
	s_wait_dscnt 0x0
	v_dual_max_num_f32 v4, v4, v4 :: v_dual_max_num_f32 v1, v1, v1
	s_delay_alu instid0(VALU_DEP_1)
	v_max_num_f32_e32 v1, v1, v4
	ds_store_b32 v7, v1 offset:512
.LBB107_15:
	s_or_b32 exec_lo, exec_lo, s0
	v_cmp_gt_u32_e64 s0, 4, v9
	v_dual_mov_b32 v1, 0xff7fffff :: v_dual_lshlrev_b32 v8, 2, v9
	s_wait_loadcnt_dscnt 0x0
	s_barrier_signal -1
	s_barrier_wait -1
	global_inv scope:SCOPE_SE
	s_and_saveexec_b32 s1, s0
; %bb.16:
	ds_load_b32 v1, v8 offset:512
; %bb.17:
	s_or_b32 exec_lo, exec_lo, s1
	s_wait_dscnt 0x0
	ds_bpermute_b32 v4, v2, v1
	v_xor_b32_e32 v10, 1, v69
	v_max_num_f32_e32 v1, v1, v1
	v_mov_b32_e32 v11, 0
	s_delay_alu instid0(VALU_DEP_3) | instskip(NEXT) | instid1(VALU_DEP_1)
	v_cmp_lt_i32_e64 s1, v10, v71
	v_cndmask_b32_e64 v10, v69, v10, s1
	s_sub_co_i32 s1, s19, s30
	s_wait_alu 0xfffe
	s_lshl_b32 s1, s1, 4
	s_wait_alu 0xfffe
	s_add_co_i32 s1, s1, s16
	s_wait_alu 0xfffe
	s_min_i32 s1, s1, s17
	s_wait_dscnt 0x0
	v_max_num_f32_e32 v4, v4, v4
	v_lshlrev_b32_e32 v10, 2, v10
	s_wait_alu 0xfffe
	s_sub_co_i32 s5, s1, s16
	s_wait_alu 0xfffe
	v_cmp_gt_i32_e64 s1, s5, v0
	v_max_num_f32_e32 v1, v1, v4
	ds_bpermute_b32 v4, v10, v1
	s_wait_dscnt 0x0
	v_max_num_f32_e32 v4, v4, v4
	s_delay_alu instid0(VALU_DEP_1)
	v_dual_max_num_f32 v1, v1, v4 :: v_dual_lshlrev_b32 v4, 2, v70
	ds_bpermute_b32 v1, v4, v1
	v_lshl_add_u32 v4, v0, 2, 0x220
	s_and_saveexec_b32 s15, s1
	s_cbranch_execz .LBB107_21
; %bb.18:
	v_lshl_add_u32 v12, v0, 2, 0x220
	v_mov_b32_e32 v11, 0
	v_mov_b32_e32 v13, v0
	s_mov_b32 s30, 0
.LBB107_19:                             ; =>This Inner Loop Header: Depth=1
	ds_load_b32 v14, v12
	v_add_nc_u32_e32 v13, 0x80, v13
	s_delay_alu instid0(VALU_DEP_1) | instskip(SKIP_4) | instid1(VALU_DEP_1)
	v_cmp_le_i32_e64 s4, s5, v13
	s_wait_alu 0xfffe
	s_or_b32 s30, s4, s30
	s_wait_dscnt 0x0
	v_sub_f32_e32 v14, v14, v1
	v_mul_f32_e32 v14, 0x3fb8aa3b, v14
	s_delay_alu instid0(VALU_DEP_1)
	v_exp_f32_e32 v14, v14
	ds_store_b32 v12, v14
	v_dual_add_f32 v11, v11, v14 :: v_dual_add_nc_u32 v12, 0x200, v12
	s_wait_alu 0xfffe
	s_and_not1_b32 exec_lo, exec_lo, s30
	s_cbranch_execnz .LBB107_19
; %bb.20:
	s_or_b32 exec_lo, exec_lo, s30
.LBB107_21:
	s_wait_alu 0xfffe
	s_or_b32 exec_lo, exec_lo, s15
	ds_bpermute_b32 v3, v3, v11
	s_wait_dscnt 0x0
	v_add_f32_e32 v3, v11, v3
	ds_bpermute_b32 v5, v5, v3
	s_wait_dscnt 0x0
	v_add_f32_e32 v3, v3, v5
	;; [unrolled: 3-line block ×5, first 2 shown]
	s_and_saveexec_b32 s4, vcc_lo
; %bb.22:
	ds_store_b32 v7, v3 offset:528
; %bb.23:
	s_wait_alu 0xfffe
	s_or_b32 exec_lo, exec_lo, s4
	s_wait_loadcnt_dscnt 0x0
	s_barrier_signal -1
	s_barrier_wait -1
	global_inv scope:SCOPE_SE
	s_and_saveexec_b32 s4, s0
; %bb.24:
	ds_load_b32 v3, v8 offset:528
; %bb.25:
	s_wait_alu 0xfffe
	s_or_b32 exec_lo, exec_lo, s4
	s_wait_dscnt 0x0
	ds_bpermute_b32 v2, v2, v3
	s_wait_dscnt 0x0
	v_dual_add_f32 v2, v3, v2 :: v_dual_lshlrev_b32 v5, 2, v69
	ds_bpermute_b32 v3, v10, v2
	s_wait_dscnt 0x0
	v_dual_add_f32 v2, v2, v3 :: v_dual_and_b32 v3, 0xffffff80, v5
	ds_bpermute_b32 v2, v3, v2
	s_and_saveexec_b32 s0, s1
	s_cbranch_execz .LBB107_28
; %bb.26:
	s_wait_dscnt 0x0
	v_add_f32_e32 v3, 0x358637bd, v2
	s_mov_b32 s1, 0
	s_delay_alu instid0(VALU_DEP_1) | instskip(SKIP_1) | instid1(VALU_DEP_2)
	v_div_scale_f32 v5, null, v3, v3, 1.0
	v_div_scale_f32 v8, vcc_lo, 1.0, v3, 1.0
	v_rcp_f32_e32 v6, v5
	s_delay_alu instid0(TRANS32_DEP_1) | instskip(NEXT) | instid1(VALU_DEP_1)
	v_fma_f32 v7, -v5, v6, 1.0
	v_fmac_f32_e32 v6, v7, v6
	s_delay_alu instid0(VALU_DEP_1) | instskip(NEXT) | instid1(VALU_DEP_1)
	v_mul_f32_e32 v7, v8, v6
	v_fma_f32 v11, -v5, v7, v8
	s_delay_alu instid0(VALU_DEP_1) | instskip(NEXT) | instid1(VALU_DEP_1)
	v_fmac_f32_e32 v7, v11, v6
	v_fma_f32 v5, -v5, v7, v8
	s_wait_alu 0xfffd
	s_delay_alu instid0(VALU_DEP_1) | instskip(NEXT) | instid1(VALU_DEP_1)
	v_div_fmas_f32 v5, v5, v6, v7
	v_div_fixup_f32 v3, v5, v3, 1.0
	v_mov_b32_e32 v5, v0
.LBB107_27:                             ; =>This Inner Loop Header: Depth=1
	ds_load_b32 v6, v4
	s_wait_dscnt 0x0
	v_dual_mul_f32 v6, v3, v6 :: v_dual_add_nc_u32 v5, 0x80, v5
	s_delay_alu instid0(VALU_DEP_1)
	v_cmp_le_i32_e32 vcc_lo, s5, v5
	ds_store_b32 v4, v6
	v_add_nc_u32_e32 v4, 0x200, v4
	s_wait_alu 0xfffe
	s_or_b32 s1, vcc_lo, s1
	s_wait_alu 0xfffe
	s_and_not1_b32 exec_lo, exec_lo, s1
	s_cbranch_execnz .LBB107_27
.LBB107_28:
	s_wait_alu 0xfffe
	s_or_b32 exec_lo, exec_lo, s0
	s_wait_kmcnt 0x0
	s_mul_i32 s0, s12, s27
	s_wait_loadcnt_dscnt 0x0
	s_wait_alu 0xfffe
	s_mul_i32 s4, s0, s28
	s_mov_b32 s0, exec_lo
	s_barrier_signal -1
	s_barrier_wait -1
	global_inv scope:SCOPE_SE
	v_cmpx_eq_u32_e32 0, v0
	s_cbranch_execz .LBB107_30
; %bb.29:
	s_wait_alu 0xfffe
	s_ashr_i32 s5, s4, 31
	s_mul_i32 s30, s12, ttmp9
	s_lshl_b32 s1, s26, 2
	s_wait_alu 0xfffe
	s_lshl_b64 s[34:35], s[4:5], 2
	s_ashr_i32 s31, s30, 31
	v_mov_b32_e32 v3, s1
	s_add_nc_u64 s[10:11], s[10:11], s[34:35]
	s_wait_alu 0xfffe
	s_lshl_b64 s[26:27], s[30:31], 2
	s_add_nc_u64 s[8:9], s[8:9], s[34:35]
	s_add_nc_u64 s[10:11], s[10:11], s[26:27]
	;; [unrolled: 1-line block ×3, first 2 shown]
	s_clause 0x1
	global_store_b32 v3, v1, s[10:11]
	global_store_b32 v3, v2, s[8:9]
.LBB107_30:
	s_wait_alu 0xfffe
	s_or_b32 exec_lo, exec_lo, s0
	v_dual_mov_b32 v25, 0 :: v_dual_mov_b32 v26, 0
	v_dual_mov_b32 v24, 0 :: v_dual_mov_b32 v23, 0
	;; [unrolled: 1-line block ×8, first 2 shown]
	s_and_saveexec_b32 s1, s3
	s_cbranch_execz .LBB107_66
; %bb.31:
	v_dual_mov_b32 v12, 0 :: v_dual_lshlrev_b32 v1, 4, v0
	s_ashr_i32 s15, s14, 31
	v_dual_mov_b32 v14, 0 :: v_dual_lshlrev_b32 v3, 5, v64
	s_delay_alu instid0(VALU_DEP_2)
	v_dual_mov_b32 v16, 0 :: v_dual_and_b32 v1, 0x1f0, v1
	s_wait_alu 0xfffe
	s_lshl_b64 s[8:9], s[14:15], 1
	v_dual_mov_b32 v11, 0 :: v_dual_and_b32 v2, 8, v67
	s_add_nc_u64 s[8:9], s[24:25], s[8:9]
	v_lshl_add_u32 v4, v65, 4, s16
	v_add_co_u32 v27, s0, s8, v1
	s_wait_alu 0xf1ff
	v_add_co_ci_u32_e64 v28, null, s9, 0, s0
	s_lshl_b64 s[8:9], s[20:21], 2
	v_lshl_or_b32 v3, v65, 6, v3
	s_wait_alu 0xfffe
	s_add_nc_u64 s[8:9], s[22:23], s[8:9]
	v_add3_u32 v29, v4, v2, 7
	s_wait_alu 0xfffe
	v_add_co_u32 v5, s0, s8, v68
	v_dual_mov_b32 v13, 0 :: v_dual_add_nc_u32 v30, 0x220, v3
	s_wait_alu 0xf1ff
	v_add_co_ci_u32_e64 v6, null, s9, 0, s0
	v_dual_mov_b32 v15, 0 :: v_dual_mov_b32 v18, 0
	v_dual_mov_b32 v17, 0 :: v_dual_mov_b32 v20, 0
	;; [unrolled: 1-line block ×5, first 2 shown]
	v_mov_b32_e32 v25, 0
	s_mov_b32 s3, s13
	s_add_co_i32 s29, s29, -1
	s_mov_b32 s5, 0
	s_branch .LBB107_33
.LBB107_32:                             ;   in Loop: Header=BB107_33 Depth=1
	s_wait_alu 0xfffe
	s_or_b32 exec_lo, exec_lo, s0
	v_dual_add_f32 v32, v75, v76 :: v_dual_add_f32 v37, v70, v71
	v_dual_add_f32 v34, v72, v73 :: v_dual_add_f32 v41, v62, v67
	v_add_f32_e32 v39, v68, v69
	s_delay_alu instid0(VALU_DEP_3) | instskip(SKIP_1) | instid1(VALU_DEP_4)
	v_add_f32_e32 v12, v12, v32
	v_dual_add_f32 v32, v60, v61 :: v_dual_lshlrev_b32 v7, 16, v7
	v_dual_add_f32 v13, v13, v34 :: v_dual_add_f32 v34, v58, v59
	s_delay_alu instid0(VALU_DEP_4) | instskip(SKIP_4) | instid1(VALU_DEP_4)
	v_dual_add_f32 v14, v14, v37 :: v_dual_add_f32 v15, v15, v39
	v_add_f32_e32 v37, v56, v57
	v_dual_add_f32 v16, v16, v41 :: v_dual_add_f32 v39, v54, v55
	v_add_f32_e32 v41, v52, v53
	v_dual_add_f32 v17, v17, v32 :: v_dual_lshlrev_b32 v32, 16, v74
	v_dual_add_f32 v18, v18, v34 :: v_dual_add_f32 v19, v19, v37
	s_delay_alu instid0(VALU_DEP_3) | instskip(SKIP_1) | instid1(VALU_DEP_4)
	v_dual_add_f32 v21, v21, v41 :: v_dual_lshlrev_b32 v8, 16, v8
	v_add_f32_e32 v34, v50, v51
	v_and_or_b32 v1, 0xffff, v1, v32
	v_add_f32_e32 v37, v48, v49
	s_delay_alu instid0(VALU_DEP_4)
	v_and_or_b32 v2, 0xffff, v2, v8
	v_and_or_b32 v3, 0xffff, v3, v7
	;;#ASMSTART
	v_pk_mul_f16 v1, v33, v1;

	;;#ASMEND
	;;#ASMSTART
	v_pk_mul_f16 v2, v31, v2;

	;;#ASMEND
	;; [unrolled: 4-line block ×4, first 2 shown]
	;;#ASMSTART
	v_pk_add_f16 v1, v1, v2;

	;;#ASMEND
	;;#ASMSTART
	v_pk_add_f16 v1, v1, v3;

	;;#ASMEND
	;; [unrolled: 4-line block ×3, first 2 shown]
	v_and_b32_e32 v4, 0xffff, v1
	v_add_nc_u32_e32 v66, 4, v66
	v_lshrrev_b32_e32 v7, 16, v1
	v_add_f32_e32 v1, v46, v47
	;;#ASMSTART
	v_cvt_f32_f16 v4, v4;
	;;#ASMEND
	v_add_f32_e32 v22, v22, v34
	v_dual_add_f32 v2, v44, v45 :: v_dual_add_f32 v3, v38, v40
	;;#ASMSTART
	v_cvt_f32_f16 v7, v7;
	;;#ASMEND
	v_dual_add_f32 v23, v23, v37 :: v_dual_add_f32 v4, v4, v7
	v_cmp_le_i32_e32 vcc_lo, s19, v66
	v_add_co_u32 v5, s0, v5, 16
	v_add_f32_e32 v20, v20, v39
	v_dual_add_f32 v24, v24, v1 :: v_dual_add_f32 v25, v25, v3
	v_dual_add_f32 v26, v26, v2 :: v_dual_add_f32 v11, v11, v4
	v_add_nc_u32_e32 v29, 64, v29
	v_add_nc_u32_e32 v30, 0x100, v30
	s_wait_alu 0xf1ff
	v_add_co_ci_u32_e64 v6, null, 0, v6, s0
	s_or_b32 s5, vcc_lo, s5
	s_wait_alu 0xfffe
	s_and_not1_b32 exec_lo, exec_lo, s5
	s_cbranch_execz .LBB107_65
.LBB107_33:                             ; =>This Inner Loop Header: Depth=1
	global_load_b32 v7, v[5:6], off
	ds_load_2addr_b64 v[1:4], v30 offset1:1
	ds_load_2addr_b64 v[34:37], v30 offset0:2 offset1:3
	v_add_nc_u32_e32 v41, -7, v29
	v_add_nc_u32_e32 v43, -6, v29
	;; [unrolled: 1-line block ×5, first 2 shown]
	s_wait_dscnt 0x1
	;;#ASMSTART
	v_cvt_f16_f32 v33, v1;

	;;#ASMEND
	;;#ASMSTART
	v_cvt_f16_f32 v31, v2;

	;;#ASMEND
	;; [unrolled: 4-line block ×4, first 2 shown]
	s_wait_dscnt 0x0
	;;#ASMSTART
	v_cvt_f16_f32 v45, v34;

	;;#ASMEND
	;;#ASMSTART
	v_cvt_f16_f32 v35, v35;

	;;#ASMEND
	;;#ASMSTART
	v_cvt_f16_f32 v40, v36;

	;;#ASMEND
	;;#ASMSTART
	v_cvt_f16_f32 v36, v37;

	;;#ASMEND
	v_add_nc_u32_e32 v37, -4, v29
	v_add_nc_u32_e32 v34, -3, v29
	s_wait_loadcnt 0x0
	s_wait_alu 0xfffe
	v_mad_co_i64_i32 v[7:8], null, v7, s3, 0
	s_delay_alu instid0(VALU_DEP_1) | instskip(NEXT) | instid1(VALU_DEP_1)
	v_lshlrev_b64_e32 v[7:8], 1, v[7:8]
	v_add_co_u32 v7, vcc_lo, v27, v7
	s_wait_alu 0xfffd
	s_delay_alu instid0(VALU_DEP_2)
	v_add_co_ci_u32_e64 v8, null, v28, v8, vcc_lo
	v_cmp_eq_u32_e32 vcc_lo, s29, v66
	global_load_b128 v[1:4], v[7:8], off
	s_wait_loadcnt 0x0
	v_lshrrev_b32_e32 v48, 16, v1
	v_lshrrev_b32_e32 v47, 16, v2
	;; [unrolled: 1-line block ×3, first 2 shown]
	s_and_saveexec_b32 s8, vcc_lo
	s_cbranch_execz .LBB107_35
; %bb.34:                               ;   in Loop: Header=BB107_33 Depth=1
	v_cmp_gt_i32_e64 s0, s17, v41
	v_and_b32_e32 v49, 0xffff, v4
	v_and_b32_e32 v4, 0xffff0000, v4
	s_wait_alu 0xf1ff
	s_delay_alu instid0(VALU_DEP_3) | instskip(SKIP_2) | instid1(VALU_DEP_1)
	v_cndmask_b32_e64 v1, 0, v1, s0
	v_cmp_gt_i32_e64 s0, s17, v43
	s_wait_alu 0xf1ff
	v_cndmask_b32_e64 v48, 0, v48, s0
	v_cmp_gt_i32_e64 s0, s17, v42
	s_wait_alu 0xf1ff
	s_delay_alu instid0(VALU_DEP_1) | instskip(SKIP_2) | instid1(VALU_DEP_1)
	v_cndmask_b32_e64 v2, 0, v2, s0
	v_cmp_gt_i32_e64 s0, s17, v37
	s_wait_alu 0xf1ff
	v_cndmask_b32_e64 v47, 0, v47, s0
	v_cmp_gt_i32_e64 s0, s17, v39
	s_wait_alu 0xf1ff
	s_delay_alu instid0(VALU_DEP_1) | instskip(SKIP_2) | instid1(VALU_DEP_1)
	v_cndmask_b32_e64 v49, 0, v49, s0
	v_cmp_gt_i32_e64 s0, s17, v29
	s_wait_alu 0xf1ff
	v_cndmask_b32_e64 v4, 0, v4, s0
	v_cmp_gt_i32_e64 s0, s17, v34
	s_delay_alu instid0(VALU_DEP_2) | instskip(SKIP_1) | instid1(VALU_DEP_2)
	v_or_b32_e32 v4, v49, v4
	s_wait_alu 0xf1ff
	v_cndmask_b32_e64 v3, 0, v3, s0
	v_cmp_gt_i32_e64 s0, s17, v32
	s_wait_alu 0xf1ff
	s_delay_alu instid0(VALU_DEP_1)
	v_cndmask_b32_e64 v46, 0, v46, s0
.LBB107_35:                             ;   in Loop: Header=BB107_33 Depth=1
	s_wait_alu 0xfffe
	s_or_b32 exec_lo, exec_lo, s8
	v_and_b32_e32 v33, 0xffff, v33
	v_and_b32_e32 v44, 0xffff, v44
	v_lshlrev_b32_e32 v48, 16, v48
	v_and_b32_e32 v45, 0xffff, v45
	v_and_b32_e32 v40, 0xffff, v40
	v_lshl_or_b32 v33, v31, 16, v33
	v_lshl_or_b32 v31, v38, 16, v44
	v_lshlrev_b32_e32 v38, 16, v47
	v_lshlrev_b32_e32 v44, 16, v46
	v_and_or_b32 v1, 0xffff, v1, v48
	;;#ASMSTART
	v_pk_mul_f16 v1, v33, v1;

	;;#ASMEND
	v_lshl_or_b32 v35, v35, 16, v45
	v_and_or_b32 v2, 0xffff, v2, v38
	v_and_or_b32 v3, 0xffff, v3, v44
	v_lshl_or_b32 v36, v36, 16, v40
	;;#ASMSTART
	v_pk_mul_f16 v2, v31, v2;

	;;#ASMEND
	;;#ASMSTART
	v_pk_mul_f16 v3, v35, v3;

	;;#ASMEND
	;; [unrolled: 4-line block ×3, first 2 shown]
	;;#ASMSTART
	v_pk_add_f16 v1, v1, v2;

	;;#ASMEND
	;;#ASMSTART
	v_pk_add_f16 v1, v1, v3;

	;;#ASMEND
	;; [unrolled: 4-line block ×3, first 2 shown]
	v_and_b32_e32 v2, 0xffff, v1
	v_lshrrev_b32_e32 v1, 16, v1
	;;#ASMSTART
	v_cvt_f32_f16 v38, v2;
	;;#ASMEND
	;;#ASMSTART
	v_cvt_f32_f16 v40, v1;
	;;#ASMEND
	global_load_b128 v[1:4], v[7:8], off offset:512
	s_wait_loadcnt 0x0
	v_lshrrev_b32_e32 v46, 16, v1
	v_lshrrev_b32_e32 v45, 16, v2
	;; [unrolled: 1-line block ×3, first 2 shown]
	s_and_saveexec_b32 s8, vcc_lo
	s_cbranch_execz .LBB107_37
; %bb.36:                               ;   in Loop: Header=BB107_33 Depth=1
	v_cmp_gt_i32_e64 s0, s17, v41
	v_and_b32_e32 v47, 0xffff, v4
	v_and_b32_e32 v4, 0xffff0000, v4
	s_wait_alu 0xf1ff
	s_delay_alu instid0(VALU_DEP_3) | instskip(SKIP_2) | instid1(VALU_DEP_1)
	v_cndmask_b32_e64 v1, 0, v1, s0
	v_cmp_gt_i32_e64 s0, s17, v43
	s_wait_alu 0xf1ff
	v_cndmask_b32_e64 v46, 0, v46, s0
	v_cmp_gt_i32_e64 s0, s17, v42
	s_wait_alu 0xf1ff
	s_delay_alu instid0(VALU_DEP_1) | instskip(SKIP_2) | instid1(VALU_DEP_1)
	v_cndmask_b32_e64 v2, 0, v2, s0
	v_cmp_gt_i32_e64 s0, s17, v37
	s_wait_alu 0xf1ff
	v_cndmask_b32_e64 v45, 0, v45, s0
	v_cmp_gt_i32_e64 s0, s17, v39
	s_wait_alu 0xf1ff
	s_delay_alu instid0(VALU_DEP_1) | instskip(SKIP_2) | instid1(VALU_DEP_1)
	v_cndmask_b32_e64 v47, 0, v47, s0
	v_cmp_gt_i32_e64 s0, s17, v29
	s_wait_alu 0xf1ff
	v_cndmask_b32_e64 v4, 0, v4, s0
	v_cmp_gt_i32_e64 s0, s17, v34
	s_delay_alu instid0(VALU_DEP_2) | instskip(SKIP_1) | instid1(VALU_DEP_2)
	v_or_b32_e32 v4, v47, v4
	s_wait_alu 0xf1ff
	v_cndmask_b32_e64 v3, 0, v3, s0
	v_cmp_gt_i32_e64 s0, s17, v32
	s_wait_alu 0xf1ff
	s_delay_alu instid0(VALU_DEP_1)
	v_cndmask_b32_e64 v44, 0, v44, s0
.LBB107_37:                             ;   in Loop: Header=BB107_33 Depth=1
	s_wait_alu 0xfffe
	s_or_b32 exec_lo, exec_lo, s8
	v_lshlrev_b32_e32 v46, 16, v46
	v_lshlrev_b32_e32 v45, 16, v45
	;; [unrolled: 1-line block ×3, first 2 shown]
	s_delay_alu instid0(VALU_DEP_3) | instskip(NEXT) | instid1(VALU_DEP_3)
	v_and_or_b32 v1, 0xffff, v1, v46
	v_and_or_b32 v2, 0xffff, v2, v45
	s_delay_alu instid0(VALU_DEP_3)
	v_and_or_b32 v3, 0xffff, v3, v44
	;;#ASMSTART
	v_pk_mul_f16 v1, v33, v1;

	;;#ASMEND
	;;#ASMSTART
	v_pk_mul_f16 v2, v31, v2;

	;;#ASMEND
	;; [unrolled: 4-line block ×4, first 2 shown]
	;;#ASMSTART
	v_pk_add_f16 v1, v1, v2;

	;;#ASMEND
	;;#ASMSTART
	v_pk_add_f16 v1, v1, v3;

	;;#ASMEND
	;;#ASMSTART
	v_pk_add_f16 v1, v1, v4;

	;;#ASMEND
	v_and_b32_e32 v2, 0xffff, v1
	v_lshrrev_b32_e32 v1, 16, v1
	;;#ASMSTART
	v_cvt_f32_f16 v44, v2;
	;;#ASMEND
	;;#ASMSTART
	v_cvt_f32_f16 v45, v1;
	;;#ASMEND
	global_load_b128 v[1:4], v[7:8], off offset:1024
	s_wait_loadcnt 0x0
	v_lshrrev_b32_e32 v48, 16, v1
	v_lshrrev_b32_e32 v47, 16, v2
	;; [unrolled: 1-line block ×3, first 2 shown]
	s_and_saveexec_b32 s8, vcc_lo
	s_cbranch_execz .LBB107_39
; %bb.38:                               ;   in Loop: Header=BB107_33 Depth=1
	v_cmp_gt_i32_e64 s0, s17, v41
	v_and_b32_e32 v49, 0xffff, v4
	v_and_b32_e32 v4, 0xffff0000, v4
	s_wait_alu 0xf1ff
	s_delay_alu instid0(VALU_DEP_3) | instskip(SKIP_2) | instid1(VALU_DEP_1)
	v_cndmask_b32_e64 v1, 0, v1, s0
	v_cmp_gt_i32_e64 s0, s17, v43
	s_wait_alu 0xf1ff
	v_cndmask_b32_e64 v48, 0, v48, s0
	v_cmp_gt_i32_e64 s0, s17, v42
	s_wait_alu 0xf1ff
	s_delay_alu instid0(VALU_DEP_1) | instskip(SKIP_2) | instid1(VALU_DEP_1)
	v_cndmask_b32_e64 v2, 0, v2, s0
	v_cmp_gt_i32_e64 s0, s17, v37
	s_wait_alu 0xf1ff
	v_cndmask_b32_e64 v47, 0, v47, s0
	v_cmp_gt_i32_e64 s0, s17, v39
	s_wait_alu 0xf1ff
	s_delay_alu instid0(VALU_DEP_1) | instskip(SKIP_2) | instid1(VALU_DEP_1)
	v_cndmask_b32_e64 v49, 0, v49, s0
	v_cmp_gt_i32_e64 s0, s17, v29
	s_wait_alu 0xf1ff
	v_cndmask_b32_e64 v4, 0, v4, s0
	v_cmp_gt_i32_e64 s0, s17, v34
	s_delay_alu instid0(VALU_DEP_2) | instskip(SKIP_1) | instid1(VALU_DEP_2)
	v_or_b32_e32 v4, v49, v4
	s_wait_alu 0xf1ff
	v_cndmask_b32_e64 v3, 0, v3, s0
	v_cmp_gt_i32_e64 s0, s17, v32
	s_wait_alu 0xf1ff
	s_delay_alu instid0(VALU_DEP_1)
	v_cndmask_b32_e64 v46, 0, v46, s0
.LBB107_39:                             ;   in Loop: Header=BB107_33 Depth=1
	s_wait_alu 0xfffe
	s_or_b32 exec_lo, exec_lo, s8
	v_lshlrev_b32_e32 v48, 16, v48
	v_lshlrev_b32_e32 v47, 16, v47
	;; [unrolled: 1-line block ×3, first 2 shown]
	s_delay_alu instid0(VALU_DEP_3) | instskip(NEXT) | instid1(VALU_DEP_3)
	v_and_or_b32 v1, 0xffff, v1, v48
	v_and_or_b32 v2, 0xffff, v2, v47
	s_delay_alu instid0(VALU_DEP_3)
	v_and_or_b32 v3, 0xffff, v3, v46
	;;#ASMSTART
	v_pk_mul_f16 v1, v33, v1;

	;;#ASMEND
	;;#ASMSTART
	v_pk_mul_f16 v2, v31, v2;

	;;#ASMEND
	;; [unrolled: 4-line block ×4, first 2 shown]
	;;#ASMSTART
	v_pk_add_f16 v1, v1, v2;

	;;#ASMEND
	;;#ASMSTART
	v_pk_add_f16 v1, v1, v3;

	;;#ASMEND
	;; [unrolled: 4-line block ×3, first 2 shown]
	v_and_b32_e32 v2, 0xffff, v1
	v_lshrrev_b32_e32 v1, 16, v1
	;;#ASMSTART
	v_cvt_f32_f16 v46, v2;
	;;#ASMEND
	;;#ASMSTART
	v_cvt_f32_f16 v47, v1;
	;;#ASMEND
	global_load_b128 v[1:4], v[7:8], off offset:1536
	s_wait_loadcnt 0x0
	v_lshrrev_b32_e32 v50, 16, v1
	v_lshrrev_b32_e32 v49, 16, v2
	;; [unrolled: 1-line block ×3, first 2 shown]
	s_and_saveexec_b32 s8, vcc_lo
	s_cbranch_execz .LBB107_41
; %bb.40:                               ;   in Loop: Header=BB107_33 Depth=1
	v_cmp_gt_i32_e64 s0, s17, v41
	v_and_b32_e32 v51, 0xffff, v4
	v_and_b32_e32 v4, 0xffff0000, v4
	s_wait_alu 0xf1ff
	s_delay_alu instid0(VALU_DEP_3) | instskip(SKIP_2) | instid1(VALU_DEP_1)
	v_cndmask_b32_e64 v1, 0, v1, s0
	v_cmp_gt_i32_e64 s0, s17, v43
	s_wait_alu 0xf1ff
	v_cndmask_b32_e64 v50, 0, v50, s0
	v_cmp_gt_i32_e64 s0, s17, v42
	s_wait_alu 0xf1ff
	s_delay_alu instid0(VALU_DEP_1) | instskip(SKIP_2) | instid1(VALU_DEP_1)
	v_cndmask_b32_e64 v2, 0, v2, s0
	v_cmp_gt_i32_e64 s0, s17, v37
	s_wait_alu 0xf1ff
	v_cndmask_b32_e64 v49, 0, v49, s0
	v_cmp_gt_i32_e64 s0, s17, v39
	s_wait_alu 0xf1ff
	s_delay_alu instid0(VALU_DEP_1) | instskip(SKIP_2) | instid1(VALU_DEP_1)
	v_cndmask_b32_e64 v51, 0, v51, s0
	v_cmp_gt_i32_e64 s0, s17, v29
	s_wait_alu 0xf1ff
	v_cndmask_b32_e64 v4, 0, v4, s0
	v_cmp_gt_i32_e64 s0, s17, v34
	s_delay_alu instid0(VALU_DEP_2) | instskip(SKIP_1) | instid1(VALU_DEP_2)
	v_or_b32_e32 v4, v51, v4
	s_wait_alu 0xf1ff
	v_cndmask_b32_e64 v3, 0, v3, s0
	v_cmp_gt_i32_e64 s0, s17, v32
	s_wait_alu 0xf1ff
	s_delay_alu instid0(VALU_DEP_1)
	v_cndmask_b32_e64 v48, 0, v48, s0
.LBB107_41:                             ;   in Loop: Header=BB107_33 Depth=1
	s_wait_alu 0xfffe
	s_or_b32 exec_lo, exec_lo, s8
	v_lshlrev_b32_e32 v50, 16, v50
	v_lshlrev_b32_e32 v49, 16, v49
	;; [unrolled: 1-line block ×3, first 2 shown]
	s_delay_alu instid0(VALU_DEP_3) | instskip(NEXT) | instid1(VALU_DEP_3)
	v_and_or_b32 v1, 0xffff, v1, v50
	v_and_or_b32 v2, 0xffff, v2, v49
	s_delay_alu instid0(VALU_DEP_3)
	v_and_or_b32 v3, 0xffff, v3, v48
	;;#ASMSTART
	v_pk_mul_f16 v1, v33, v1;

	;;#ASMEND
	;;#ASMSTART
	v_pk_mul_f16 v2, v31, v2;

	;;#ASMEND
	;; [unrolled: 4-line block ×4, first 2 shown]
	;;#ASMSTART
	v_pk_add_f16 v1, v1, v2;

	;;#ASMEND
	;;#ASMSTART
	v_pk_add_f16 v1, v1, v3;

	;;#ASMEND
	;; [unrolled: 4-line block ×3, first 2 shown]
	v_and_b32_e32 v2, 0xffff, v1
	v_lshrrev_b32_e32 v1, 16, v1
	;;#ASMSTART
	v_cvt_f32_f16 v48, v2;
	;;#ASMEND
	;;#ASMSTART
	v_cvt_f32_f16 v49, v1;
	;;#ASMEND
	global_load_b128 v[1:4], v[7:8], off offset:2048
	s_wait_loadcnt 0x0
	v_lshrrev_b32_e32 v52, 16, v1
	v_lshrrev_b32_e32 v51, 16, v2
	;; [unrolled: 1-line block ×3, first 2 shown]
	s_and_saveexec_b32 s8, vcc_lo
	s_cbranch_execz .LBB107_43
; %bb.42:                               ;   in Loop: Header=BB107_33 Depth=1
	v_cmp_gt_i32_e64 s0, s17, v41
	v_and_b32_e32 v53, 0xffff, v4
	v_and_b32_e32 v4, 0xffff0000, v4
	s_wait_alu 0xf1ff
	s_delay_alu instid0(VALU_DEP_3) | instskip(SKIP_2) | instid1(VALU_DEP_1)
	v_cndmask_b32_e64 v1, 0, v1, s0
	v_cmp_gt_i32_e64 s0, s17, v43
	s_wait_alu 0xf1ff
	v_cndmask_b32_e64 v52, 0, v52, s0
	v_cmp_gt_i32_e64 s0, s17, v42
	s_wait_alu 0xf1ff
	s_delay_alu instid0(VALU_DEP_1) | instskip(SKIP_2) | instid1(VALU_DEP_1)
	v_cndmask_b32_e64 v2, 0, v2, s0
	v_cmp_gt_i32_e64 s0, s17, v37
	s_wait_alu 0xf1ff
	v_cndmask_b32_e64 v51, 0, v51, s0
	v_cmp_gt_i32_e64 s0, s17, v39
	s_wait_alu 0xf1ff
	s_delay_alu instid0(VALU_DEP_1) | instskip(SKIP_2) | instid1(VALU_DEP_1)
	v_cndmask_b32_e64 v53, 0, v53, s0
	v_cmp_gt_i32_e64 s0, s17, v29
	s_wait_alu 0xf1ff
	v_cndmask_b32_e64 v4, 0, v4, s0
	v_cmp_gt_i32_e64 s0, s17, v34
	s_delay_alu instid0(VALU_DEP_2) | instskip(SKIP_1) | instid1(VALU_DEP_2)
	v_or_b32_e32 v4, v53, v4
	s_wait_alu 0xf1ff
	v_cndmask_b32_e64 v3, 0, v3, s0
	v_cmp_gt_i32_e64 s0, s17, v32
	s_wait_alu 0xf1ff
	s_delay_alu instid0(VALU_DEP_1)
	v_cndmask_b32_e64 v50, 0, v50, s0
.LBB107_43:                             ;   in Loop: Header=BB107_33 Depth=1
	s_wait_alu 0xfffe
	s_or_b32 exec_lo, exec_lo, s8
	v_lshlrev_b32_e32 v52, 16, v52
	v_lshlrev_b32_e32 v51, 16, v51
	;; [unrolled: 1-line block ×3, first 2 shown]
	s_delay_alu instid0(VALU_DEP_3) | instskip(NEXT) | instid1(VALU_DEP_3)
	v_and_or_b32 v1, 0xffff, v1, v52
	v_and_or_b32 v2, 0xffff, v2, v51
	s_delay_alu instid0(VALU_DEP_3)
	v_and_or_b32 v3, 0xffff, v3, v50
	;;#ASMSTART
	v_pk_mul_f16 v1, v33, v1;

	;;#ASMEND
	;;#ASMSTART
	v_pk_mul_f16 v2, v31, v2;

	;;#ASMEND
	;;#ASMSTART
	v_pk_mul_f16 v3, v35, v3;

	;;#ASMEND
	;;#ASMSTART
	v_pk_mul_f16 v4, v36, v4;

	;;#ASMEND
	;;#ASMSTART
	v_pk_add_f16 v1, v1, v2;

	;;#ASMEND
	;;#ASMSTART
	v_pk_add_f16 v1, v1, v3;

	;;#ASMEND
	;;#ASMSTART
	v_pk_add_f16 v1, v1, v4;

	;;#ASMEND
	v_and_b32_e32 v2, 0xffff, v1
	v_lshrrev_b32_e32 v1, 16, v1
	;;#ASMSTART
	v_cvt_f32_f16 v50, v2;
	;;#ASMEND
	;;#ASMSTART
	v_cvt_f32_f16 v51, v1;
	;;#ASMEND
	global_load_b128 v[1:4], v[7:8], off offset:2560
	s_wait_loadcnt 0x0
	v_lshrrev_b32_e32 v54, 16, v1
	v_lshrrev_b32_e32 v53, 16, v2
	;; [unrolled: 1-line block ×3, first 2 shown]
	s_and_saveexec_b32 s8, vcc_lo
	s_cbranch_execz .LBB107_45
; %bb.44:                               ;   in Loop: Header=BB107_33 Depth=1
	v_cmp_gt_i32_e64 s0, s17, v41
	v_and_b32_e32 v55, 0xffff, v4
	v_and_b32_e32 v4, 0xffff0000, v4
	s_wait_alu 0xf1ff
	s_delay_alu instid0(VALU_DEP_3) | instskip(SKIP_2) | instid1(VALU_DEP_1)
	v_cndmask_b32_e64 v1, 0, v1, s0
	v_cmp_gt_i32_e64 s0, s17, v43
	s_wait_alu 0xf1ff
	v_cndmask_b32_e64 v54, 0, v54, s0
	v_cmp_gt_i32_e64 s0, s17, v42
	s_wait_alu 0xf1ff
	s_delay_alu instid0(VALU_DEP_1) | instskip(SKIP_2) | instid1(VALU_DEP_1)
	v_cndmask_b32_e64 v2, 0, v2, s0
	v_cmp_gt_i32_e64 s0, s17, v37
	s_wait_alu 0xf1ff
	v_cndmask_b32_e64 v53, 0, v53, s0
	v_cmp_gt_i32_e64 s0, s17, v39
	s_wait_alu 0xf1ff
	s_delay_alu instid0(VALU_DEP_1) | instskip(SKIP_2) | instid1(VALU_DEP_1)
	v_cndmask_b32_e64 v55, 0, v55, s0
	v_cmp_gt_i32_e64 s0, s17, v29
	s_wait_alu 0xf1ff
	v_cndmask_b32_e64 v4, 0, v4, s0
	v_cmp_gt_i32_e64 s0, s17, v34
	s_delay_alu instid0(VALU_DEP_2) | instskip(SKIP_1) | instid1(VALU_DEP_2)
	v_or_b32_e32 v4, v55, v4
	s_wait_alu 0xf1ff
	v_cndmask_b32_e64 v3, 0, v3, s0
	v_cmp_gt_i32_e64 s0, s17, v32
	s_wait_alu 0xf1ff
	s_delay_alu instid0(VALU_DEP_1)
	v_cndmask_b32_e64 v52, 0, v52, s0
.LBB107_45:                             ;   in Loop: Header=BB107_33 Depth=1
	s_wait_alu 0xfffe
	s_or_b32 exec_lo, exec_lo, s8
	v_lshlrev_b32_e32 v54, 16, v54
	v_lshlrev_b32_e32 v53, 16, v53
	;; [unrolled: 1-line block ×3, first 2 shown]
	s_delay_alu instid0(VALU_DEP_3) | instskip(NEXT) | instid1(VALU_DEP_3)
	v_and_or_b32 v1, 0xffff, v1, v54
	v_and_or_b32 v2, 0xffff, v2, v53
	s_delay_alu instid0(VALU_DEP_3)
	v_and_or_b32 v3, 0xffff, v3, v52
	;;#ASMSTART
	v_pk_mul_f16 v1, v33, v1;

	;;#ASMEND
	;;#ASMSTART
	v_pk_mul_f16 v2, v31, v2;

	;;#ASMEND
	;; [unrolled: 4-line block ×4, first 2 shown]
	;;#ASMSTART
	v_pk_add_f16 v1, v1, v2;

	;;#ASMEND
	;;#ASMSTART
	v_pk_add_f16 v1, v1, v3;

	;;#ASMEND
	;; [unrolled: 4-line block ×3, first 2 shown]
	v_and_b32_e32 v2, 0xffff, v1
	v_lshrrev_b32_e32 v1, 16, v1
	;;#ASMSTART
	v_cvt_f32_f16 v52, v2;
	;;#ASMEND
	;;#ASMSTART
	v_cvt_f32_f16 v53, v1;
	;;#ASMEND
	global_load_b128 v[1:4], v[7:8], off offset:3072
	s_wait_loadcnt 0x0
	v_lshrrev_b32_e32 v56, 16, v1
	v_lshrrev_b32_e32 v55, 16, v2
	;; [unrolled: 1-line block ×3, first 2 shown]
	s_and_saveexec_b32 s8, vcc_lo
	s_cbranch_execz .LBB107_47
; %bb.46:                               ;   in Loop: Header=BB107_33 Depth=1
	v_cmp_gt_i32_e64 s0, s17, v41
	v_and_b32_e32 v57, 0xffff, v4
	v_and_b32_e32 v4, 0xffff0000, v4
	s_wait_alu 0xf1ff
	s_delay_alu instid0(VALU_DEP_3) | instskip(SKIP_2) | instid1(VALU_DEP_1)
	v_cndmask_b32_e64 v1, 0, v1, s0
	v_cmp_gt_i32_e64 s0, s17, v43
	s_wait_alu 0xf1ff
	v_cndmask_b32_e64 v56, 0, v56, s0
	v_cmp_gt_i32_e64 s0, s17, v42
	s_wait_alu 0xf1ff
	s_delay_alu instid0(VALU_DEP_1) | instskip(SKIP_2) | instid1(VALU_DEP_1)
	v_cndmask_b32_e64 v2, 0, v2, s0
	v_cmp_gt_i32_e64 s0, s17, v37
	s_wait_alu 0xf1ff
	v_cndmask_b32_e64 v55, 0, v55, s0
	v_cmp_gt_i32_e64 s0, s17, v39
	s_wait_alu 0xf1ff
	s_delay_alu instid0(VALU_DEP_1) | instskip(SKIP_2) | instid1(VALU_DEP_1)
	v_cndmask_b32_e64 v57, 0, v57, s0
	v_cmp_gt_i32_e64 s0, s17, v29
	s_wait_alu 0xf1ff
	v_cndmask_b32_e64 v4, 0, v4, s0
	v_cmp_gt_i32_e64 s0, s17, v34
	s_delay_alu instid0(VALU_DEP_2) | instskip(SKIP_1) | instid1(VALU_DEP_2)
	v_or_b32_e32 v4, v57, v4
	s_wait_alu 0xf1ff
	v_cndmask_b32_e64 v3, 0, v3, s0
	v_cmp_gt_i32_e64 s0, s17, v32
	s_wait_alu 0xf1ff
	s_delay_alu instid0(VALU_DEP_1)
	v_cndmask_b32_e64 v54, 0, v54, s0
.LBB107_47:                             ;   in Loop: Header=BB107_33 Depth=1
	s_wait_alu 0xfffe
	s_or_b32 exec_lo, exec_lo, s8
	v_lshlrev_b32_e32 v56, 16, v56
	v_lshlrev_b32_e32 v55, 16, v55
	v_lshlrev_b32_e32 v54, 16, v54
	s_delay_alu instid0(VALU_DEP_3) | instskip(NEXT) | instid1(VALU_DEP_3)
	v_and_or_b32 v1, 0xffff, v1, v56
	v_and_or_b32 v2, 0xffff, v2, v55
	s_delay_alu instid0(VALU_DEP_3)
	v_and_or_b32 v3, 0xffff, v3, v54
	;;#ASMSTART
	v_pk_mul_f16 v1, v33, v1;

	;;#ASMEND
	;;#ASMSTART
	v_pk_mul_f16 v2, v31, v2;

	;;#ASMEND
	;; [unrolled: 4-line block ×4, first 2 shown]
	;;#ASMSTART
	v_pk_add_f16 v1, v1, v2;

	;;#ASMEND
	;;#ASMSTART
	v_pk_add_f16 v1, v1, v3;

	;;#ASMEND
	;;#ASMSTART
	v_pk_add_f16 v1, v1, v4;

	;;#ASMEND
	v_and_b32_e32 v2, 0xffff, v1
	v_lshrrev_b32_e32 v1, 16, v1
	;;#ASMSTART
	v_cvt_f32_f16 v54, v2;
	;;#ASMEND
	;;#ASMSTART
	v_cvt_f32_f16 v55, v1;
	;;#ASMEND
	global_load_b128 v[1:4], v[7:8], off offset:3584
	s_wait_loadcnt 0x0
	v_lshrrev_b32_e32 v58, 16, v1
	v_lshrrev_b32_e32 v57, 16, v2
	;; [unrolled: 1-line block ×3, first 2 shown]
	s_and_saveexec_b32 s8, vcc_lo
	s_cbranch_execz .LBB107_49
; %bb.48:                               ;   in Loop: Header=BB107_33 Depth=1
	v_cmp_gt_i32_e64 s0, s17, v41
	v_and_b32_e32 v59, 0xffff, v4
	v_and_b32_e32 v4, 0xffff0000, v4
	s_wait_alu 0xf1ff
	s_delay_alu instid0(VALU_DEP_3) | instskip(SKIP_2) | instid1(VALU_DEP_1)
	v_cndmask_b32_e64 v1, 0, v1, s0
	v_cmp_gt_i32_e64 s0, s17, v43
	s_wait_alu 0xf1ff
	v_cndmask_b32_e64 v58, 0, v58, s0
	v_cmp_gt_i32_e64 s0, s17, v42
	s_wait_alu 0xf1ff
	s_delay_alu instid0(VALU_DEP_1) | instskip(SKIP_2) | instid1(VALU_DEP_1)
	v_cndmask_b32_e64 v2, 0, v2, s0
	v_cmp_gt_i32_e64 s0, s17, v37
	s_wait_alu 0xf1ff
	v_cndmask_b32_e64 v57, 0, v57, s0
	v_cmp_gt_i32_e64 s0, s17, v39
	s_wait_alu 0xf1ff
	s_delay_alu instid0(VALU_DEP_1) | instskip(SKIP_2) | instid1(VALU_DEP_1)
	v_cndmask_b32_e64 v59, 0, v59, s0
	v_cmp_gt_i32_e64 s0, s17, v29
	s_wait_alu 0xf1ff
	v_cndmask_b32_e64 v4, 0, v4, s0
	v_cmp_gt_i32_e64 s0, s17, v34
	s_delay_alu instid0(VALU_DEP_2) | instskip(SKIP_1) | instid1(VALU_DEP_2)
	v_or_b32_e32 v4, v59, v4
	s_wait_alu 0xf1ff
	v_cndmask_b32_e64 v3, 0, v3, s0
	v_cmp_gt_i32_e64 s0, s17, v32
	s_wait_alu 0xf1ff
	s_delay_alu instid0(VALU_DEP_1)
	v_cndmask_b32_e64 v56, 0, v56, s0
.LBB107_49:                             ;   in Loop: Header=BB107_33 Depth=1
	s_wait_alu 0xfffe
	s_or_b32 exec_lo, exec_lo, s8
	v_lshlrev_b32_e32 v58, 16, v58
	v_lshlrev_b32_e32 v57, 16, v57
	;; [unrolled: 1-line block ×3, first 2 shown]
	s_delay_alu instid0(VALU_DEP_3) | instskip(NEXT) | instid1(VALU_DEP_3)
	v_and_or_b32 v1, 0xffff, v1, v58
	v_and_or_b32 v2, 0xffff, v2, v57
	s_delay_alu instid0(VALU_DEP_3)
	v_and_or_b32 v3, 0xffff, v3, v56
	;;#ASMSTART
	v_pk_mul_f16 v1, v33, v1;

	;;#ASMEND
	;;#ASMSTART
	v_pk_mul_f16 v2, v31, v2;

	;;#ASMEND
	;;#ASMSTART
	v_pk_mul_f16 v3, v35, v3;

	;;#ASMEND
	;;#ASMSTART
	v_pk_mul_f16 v4, v36, v4;

	;;#ASMEND
	;;#ASMSTART
	v_pk_add_f16 v1, v1, v2;

	;;#ASMEND
	;;#ASMSTART
	v_pk_add_f16 v1, v1, v3;

	;;#ASMEND
	;; [unrolled: 4-line block ×3, first 2 shown]
	v_and_b32_e32 v2, 0xffff, v1
	v_lshrrev_b32_e32 v1, 16, v1
	;;#ASMSTART
	v_cvt_f32_f16 v56, v2;
	;;#ASMEND
	;;#ASMSTART
	v_cvt_f32_f16 v57, v1;
	;;#ASMEND
	global_load_b128 v[1:4], v[7:8], off offset:4096
	s_wait_loadcnt 0x0
	v_lshrrev_b32_e32 v60, 16, v1
	v_lshrrev_b32_e32 v59, 16, v2
	;; [unrolled: 1-line block ×3, first 2 shown]
	s_and_saveexec_b32 s8, vcc_lo
	s_cbranch_execz .LBB107_51
; %bb.50:                               ;   in Loop: Header=BB107_33 Depth=1
	v_cmp_gt_i32_e64 s0, s17, v41
	v_and_b32_e32 v61, 0xffff, v4
	v_and_b32_e32 v4, 0xffff0000, v4
	s_wait_alu 0xf1ff
	s_delay_alu instid0(VALU_DEP_3) | instskip(SKIP_2) | instid1(VALU_DEP_1)
	v_cndmask_b32_e64 v1, 0, v1, s0
	v_cmp_gt_i32_e64 s0, s17, v43
	s_wait_alu 0xf1ff
	v_cndmask_b32_e64 v60, 0, v60, s0
	v_cmp_gt_i32_e64 s0, s17, v42
	s_wait_alu 0xf1ff
	s_delay_alu instid0(VALU_DEP_1) | instskip(SKIP_2) | instid1(VALU_DEP_1)
	v_cndmask_b32_e64 v2, 0, v2, s0
	v_cmp_gt_i32_e64 s0, s17, v37
	s_wait_alu 0xf1ff
	v_cndmask_b32_e64 v59, 0, v59, s0
	v_cmp_gt_i32_e64 s0, s17, v39
	s_wait_alu 0xf1ff
	s_delay_alu instid0(VALU_DEP_1) | instskip(SKIP_2) | instid1(VALU_DEP_1)
	v_cndmask_b32_e64 v61, 0, v61, s0
	v_cmp_gt_i32_e64 s0, s17, v29
	s_wait_alu 0xf1ff
	v_cndmask_b32_e64 v4, 0, v4, s0
	v_cmp_gt_i32_e64 s0, s17, v34
	s_delay_alu instid0(VALU_DEP_2) | instskip(SKIP_1) | instid1(VALU_DEP_2)
	v_or_b32_e32 v4, v61, v4
	s_wait_alu 0xf1ff
	v_cndmask_b32_e64 v3, 0, v3, s0
	v_cmp_gt_i32_e64 s0, s17, v32
	s_wait_alu 0xf1ff
	s_delay_alu instid0(VALU_DEP_1)
	v_cndmask_b32_e64 v58, 0, v58, s0
.LBB107_51:                             ;   in Loop: Header=BB107_33 Depth=1
	s_wait_alu 0xfffe
	s_or_b32 exec_lo, exec_lo, s8
	v_lshlrev_b32_e32 v60, 16, v60
	v_lshlrev_b32_e32 v59, 16, v59
	;; [unrolled: 1-line block ×3, first 2 shown]
	s_delay_alu instid0(VALU_DEP_3) | instskip(NEXT) | instid1(VALU_DEP_3)
	v_and_or_b32 v1, 0xffff, v1, v60
	v_and_or_b32 v2, 0xffff, v2, v59
	s_delay_alu instid0(VALU_DEP_3)
	v_and_or_b32 v3, 0xffff, v3, v58
	;;#ASMSTART
	v_pk_mul_f16 v1, v33, v1;

	;;#ASMEND
	;;#ASMSTART
	v_pk_mul_f16 v2, v31, v2;

	;;#ASMEND
	;; [unrolled: 4-line block ×4, first 2 shown]
	;;#ASMSTART
	v_pk_add_f16 v1, v1, v2;

	;;#ASMEND
	;;#ASMSTART
	v_pk_add_f16 v1, v1, v3;

	;;#ASMEND
	;; [unrolled: 4-line block ×3, first 2 shown]
	v_and_b32_e32 v2, 0xffff, v1
	v_lshrrev_b32_e32 v1, 16, v1
	;;#ASMSTART
	v_cvt_f32_f16 v58, v2;
	;;#ASMEND
	;;#ASMSTART
	v_cvt_f32_f16 v59, v1;
	;;#ASMEND
	global_load_b128 v[1:4], v[7:8], off offset:4608
	s_wait_loadcnt 0x0
	v_lshrrev_b32_e32 v62, 16, v1
	v_lshrrev_b32_e32 v61, 16, v2
	;; [unrolled: 1-line block ×3, first 2 shown]
	s_and_saveexec_b32 s8, vcc_lo
	s_cbranch_execz .LBB107_53
; %bb.52:                               ;   in Loop: Header=BB107_33 Depth=1
	v_cmp_gt_i32_e64 s0, s17, v41
	v_and_b32_e32 v67, 0xffff, v4
	v_and_b32_e32 v4, 0xffff0000, v4
	s_wait_alu 0xf1ff
	s_delay_alu instid0(VALU_DEP_3) | instskip(SKIP_2) | instid1(VALU_DEP_1)
	v_cndmask_b32_e64 v1, 0, v1, s0
	v_cmp_gt_i32_e64 s0, s17, v43
	s_wait_alu 0xf1ff
	v_cndmask_b32_e64 v62, 0, v62, s0
	v_cmp_gt_i32_e64 s0, s17, v42
	s_wait_alu 0xf1ff
	s_delay_alu instid0(VALU_DEP_1) | instskip(SKIP_2) | instid1(VALU_DEP_1)
	v_cndmask_b32_e64 v2, 0, v2, s0
	v_cmp_gt_i32_e64 s0, s17, v37
	s_wait_alu 0xf1ff
	v_cndmask_b32_e64 v61, 0, v61, s0
	v_cmp_gt_i32_e64 s0, s17, v39
	s_wait_alu 0xf1ff
	s_delay_alu instid0(VALU_DEP_1) | instskip(SKIP_2) | instid1(VALU_DEP_1)
	v_cndmask_b32_e64 v67, 0, v67, s0
	v_cmp_gt_i32_e64 s0, s17, v29
	s_wait_alu 0xf1ff
	v_cndmask_b32_e64 v4, 0, v4, s0
	v_cmp_gt_i32_e64 s0, s17, v34
	s_delay_alu instid0(VALU_DEP_2) | instskip(SKIP_1) | instid1(VALU_DEP_2)
	v_or_b32_e32 v4, v67, v4
	s_wait_alu 0xf1ff
	v_cndmask_b32_e64 v3, 0, v3, s0
	v_cmp_gt_i32_e64 s0, s17, v32
	s_wait_alu 0xf1ff
	s_delay_alu instid0(VALU_DEP_1)
	v_cndmask_b32_e64 v60, 0, v60, s0
.LBB107_53:                             ;   in Loop: Header=BB107_33 Depth=1
	s_wait_alu 0xfffe
	s_or_b32 exec_lo, exec_lo, s8
	v_lshlrev_b32_e32 v62, 16, v62
	v_lshlrev_b32_e32 v61, 16, v61
	;; [unrolled: 1-line block ×3, first 2 shown]
	s_delay_alu instid0(VALU_DEP_3) | instskip(NEXT) | instid1(VALU_DEP_3)
	v_and_or_b32 v1, 0xffff, v1, v62
	v_and_or_b32 v2, 0xffff, v2, v61
	s_delay_alu instid0(VALU_DEP_3)
	v_and_or_b32 v3, 0xffff, v3, v60
	;;#ASMSTART
	v_pk_mul_f16 v1, v33, v1;

	;;#ASMEND
	;;#ASMSTART
	v_pk_mul_f16 v2, v31, v2;

	;;#ASMEND
	;; [unrolled: 4-line block ×4, first 2 shown]
	;;#ASMSTART
	v_pk_add_f16 v1, v1, v2;

	;;#ASMEND
	;;#ASMSTART
	v_pk_add_f16 v1, v1, v3;

	;;#ASMEND
	;; [unrolled: 4-line block ×3, first 2 shown]
	v_and_b32_e32 v2, 0xffff, v1
	v_lshrrev_b32_e32 v1, 16, v1
	;;#ASMSTART
	v_cvt_f32_f16 v60, v2;
	;;#ASMEND
	;;#ASMSTART
	v_cvt_f32_f16 v61, v1;
	;;#ASMEND
	global_load_b128 v[1:4], v[7:8], off offset:5120
	s_wait_loadcnt 0x0
	v_lshrrev_b32_e32 v68, 16, v1
	v_lshrrev_b32_e32 v67, 16, v2
	;; [unrolled: 1-line block ×3, first 2 shown]
	s_and_saveexec_b32 s8, vcc_lo
	s_cbranch_execz .LBB107_55
; %bb.54:                               ;   in Loop: Header=BB107_33 Depth=1
	v_cmp_gt_i32_e64 s0, s17, v41
	v_and_b32_e32 v69, 0xffff, v4
	v_and_b32_e32 v4, 0xffff0000, v4
	s_wait_alu 0xf1ff
	s_delay_alu instid0(VALU_DEP_3) | instskip(SKIP_2) | instid1(VALU_DEP_1)
	v_cndmask_b32_e64 v1, 0, v1, s0
	v_cmp_gt_i32_e64 s0, s17, v43
	s_wait_alu 0xf1ff
	v_cndmask_b32_e64 v68, 0, v68, s0
	v_cmp_gt_i32_e64 s0, s17, v42
	s_wait_alu 0xf1ff
	s_delay_alu instid0(VALU_DEP_1) | instskip(SKIP_2) | instid1(VALU_DEP_1)
	v_cndmask_b32_e64 v2, 0, v2, s0
	v_cmp_gt_i32_e64 s0, s17, v37
	s_wait_alu 0xf1ff
	v_cndmask_b32_e64 v67, 0, v67, s0
	v_cmp_gt_i32_e64 s0, s17, v39
	s_wait_alu 0xf1ff
	s_delay_alu instid0(VALU_DEP_1) | instskip(SKIP_2) | instid1(VALU_DEP_1)
	v_cndmask_b32_e64 v69, 0, v69, s0
	v_cmp_gt_i32_e64 s0, s17, v29
	s_wait_alu 0xf1ff
	v_cndmask_b32_e64 v4, 0, v4, s0
	v_cmp_gt_i32_e64 s0, s17, v34
	s_delay_alu instid0(VALU_DEP_2) | instskip(SKIP_1) | instid1(VALU_DEP_2)
	v_or_b32_e32 v4, v69, v4
	s_wait_alu 0xf1ff
	v_cndmask_b32_e64 v3, 0, v3, s0
	v_cmp_gt_i32_e64 s0, s17, v32
	s_wait_alu 0xf1ff
	s_delay_alu instid0(VALU_DEP_1)
	v_cndmask_b32_e64 v62, 0, v62, s0
.LBB107_55:                             ;   in Loop: Header=BB107_33 Depth=1
	s_wait_alu 0xfffe
	s_or_b32 exec_lo, exec_lo, s8
	v_lshlrev_b32_e32 v68, 16, v68
	v_lshlrev_b32_e32 v67, 16, v67
	;; [unrolled: 1-line block ×3, first 2 shown]
	s_delay_alu instid0(VALU_DEP_3) | instskip(NEXT) | instid1(VALU_DEP_3)
	v_and_or_b32 v1, 0xffff, v1, v68
	v_and_or_b32 v2, 0xffff, v2, v67
	s_delay_alu instid0(VALU_DEP_3)
	v_and_or_b32 v3, 0xffff, v3, v62
	;;#ASMSTART
	v_pk_mul_f16 v1, v33, v1;

	;;#ASMEND
	;;#ASMSTART
	v_pk_mul_f16 v2, v31, v2;

	;;#ASMEND
	;; [unrolled: 4-line block ×4, first 2 shown]
	;;#ASMSTART
	v_pk_add_f16 v1, v1, v2;

	;;#ASMEND
	;;#ASMSTART
	v_pk_add_f16 v1, v1, v3;

	;;#ASMEND
	;; [unrolled: 4-line block ×3, first 2 shown]
	v_and_b32_e32 v2, 0xffff, v1
	v_lshrrev_b32_e32 v1, 16, v1
	;;#ASMSTART
	v_cvt_f32_f16 v62, v2;
	;;#ASMEND
	;;#ASMSTART
	v_cvt_f32_f16 v67, v1;
	;;#ASMEND
	global_load_b128 v[1:4], v[7:8], off offset:5632
	s_wait_loadcnt 0x0
	v_lshrrev_b32_e32 v70, 16, v1
	v_lshrrev_b32_e32 v69, 16, v2
	;; [unrolled: 1-line block ×3, first 2 shown]
	s_and_saveexec_b32 s8, vcc_lo
	s_cbranch_execz .LBB107_57
; %bb.56:                               ;   in Loop: Header=BB107_33 Depth=1
	v_cmp_gt_i32_e64 s0, s17, v41
	v_and_b32_e32 v71, 0xffff, v4
	v_and_b32_e32 v4, 0xffff0000, v4
	s_wait_alu 0xf1ff
	s_delay_alu instid0(VALU_DEP_3) | instskip(SKIP_2) | instid1(VALU_DEP_1)
	v_cndmask_b32_e64 v1, 0, v1, s0
	v_cmp_gt_i32_e64 s0, s17, v43
	s_wait_alu 0xf1ff
	v_cndmask_b32_e64 v70, 0, v70, s0
	v_cmp_gt_i32_e64 s0, s17, v42
	s_wait_alu 0xf1ff
	s_delay_alu instid0(VALU_DEP_1) | instskip(SKIP_2) | instid1(VALU_DEP_1)
	v_cndmask_b32_e64 v2, 0, v2, s0
	v_cmp_gt_i32_e64 s0, s17, v37
	s_wait_alu 0xf1ff
	v_cndmask_b32_e64 v69, 0, v69, s0
	v_cmp_gt_i32_e64 s0, s17, v39
	s_wait_alu 0xf1ff
	s_delay_alu instid0(VALU_DEP_1) | instskip(SKIP_2) | instid1(VALU_DEP_1)
	v_cndmask_b32_e64 v71, 0, v71, s0
	v_cmp_gt_i32_e64 s0, s17, v29
	s_wait_alu 0xf1ff
	v_cndmask_b32_e64 v4, 0, v4, s0
	v_cmp_gt_i32_e64 s0, s17, v34
	s_delay_alu instid0(VALU_DEP_2) | instskip(SKIP_1) | instid1(VALU_DEP_2)
	v_or_b32_e32 v4, v71, v4
	s_wait_alu 0xf1ff
	v_cndmask_b32_e64 v3, 0, v3, s0
	v_cmp_gt_i32_e64 s0, s17, v32
	s_wait_alu 0xf1ff
	s_delay_alu instid0(VALU_DEP_1)
	v_cndmask_b32_e64 v68, 0, v68, s0
.LBB107_57:                             ;   in Loop: Header=BB107_33 Depth=1
	s_wait_alu 0xfffe
	s_or_b32 exec_lo, exec_lo, s8
	v_lshlrev_b32_e32 v70, 16, v70
	v_lshlrev_b32_e32 v69, 16, v69
	;; [unrolled: 1-line block ×3, first 2 shown]
	s_delay_alu instid0(VALU_DEP_3) | instskip(NEXT) | instid1(VALU_DEP_3)
	v_and_or_b32 v1, 0xffff, v1, v70
	v_and_or_b32 v2, 0xffff, v2, v69
	s_delay_alu instid0(VALU_DEP_3)
	v_and_or_b32 v3, 0xffff, v3, v68
	;;#ASMSTART
	v_pk_mul_f16 v1, v33, v1;

	;;#ASMEND
	;;#ASMSTART
	v_pk_mul_f16 v2, v31, v2;

	;;#ASMEND
	;; [unrolled: 4-line block ×4, first 2 shown]
	;;#ASMSTART
	v_pk_add_f16 v1, v1, v2;

	;;#ASMEND
	;;#ASMSTART
	v_pk_add_f16 v1, v1, v3;

	;;#ASMEND
	;; [unrolled: 4-line block ×3, first 2 shown]
	v_and_b32_e32 v2, 0xffff, v1
	v_lshrrev_b32_e32 v1, 16, v1
	;;#ASMSTART
	v_cvt_f32_f16 v68, v2;
	;;#ASMEND
	;;#ASMSTART
	v_cvt_f32_f16 v69, v1;
	;;#ASMEND
	global_load_b128 v[1:4], v[7:8], off offset:6144
	s_wait_loadcnt 0x0
	v_lshrrev_b32_e32 v72, 16, v1
	v_lshrrev_b32_e32 v71, 16, v2
	;; [unrolled: 1-line block ×3, first 2 shown]
	s_and_saveexec_b32 s8, vcc_lo
	s_cbranch_execz .LBB107_59
; %bb.58:                               ;   in Loop: Header=BB107_33 Depth=1
	v_cmp_gt_i32_e64 s0, s17, v41
	v_and_b32_e32 v73, 0xffff, v4
	v_and_b32_e32 v4, 0xffff0000, v4
	s_wait_alu 0xf1ff
	s_delay_alu instid0(VALU_DEP_3) | instskip(SKIP_2) | instid1(VALU_DEP_1)
	v_cndmask_b32_e64 v1, 0, v1, s0
	v_cmp_gt_i32_e64 s0, s17, v43
	s_wait_alu 0xf1ff
	v_cndmask_b32_e64 v72, 0, v72, s0
	v_cmp_gt_i32_e64 s0, s17, v42
	s_wait_alu 0xf1ff
	s_delay_alu instid0(VALU_DEP_1) | instskip(SKIP_2) | instid1(VALU_DEP_1)
	v_cndmask_b32_e64 v2, 0, v2, s0
	v_cmp_gt_i32_e64 s0, s17, v37
	s_wait_alu 0xf1ff
	v_cndmask_b32_e64 v71, 0, v71, s0
	v_cmp_gt_i32_e64 s0, s17, v39
	s_wait_alu 0xf1ff
	s_delay_alu instid0(VALU_DEP_1) | instskip(SKIP_2) | instid1(VALU_DEP_1)
	v_cndmask_b32_e64 v73, 0, v73, s0
	v_cmp_gt_i32_e64 s0, s17, v29
	s_wait_alu 0xf1ff
	v_cndmask_b32_e64 v4, 0, v4, s0
	v_cmp_gt_i32_e64 s0, s17, v34
	s_delay_alu instid0(VALU_DEP_2) | instskip(SKIP_1) | instid1(VALU_DEP_2)
	v_or_b32_e32 v4, v73, v4
	s_wait_alu 0xf1ff
	v_cndmask_b32_e64 v3, 0, v3, s0
	v_cmp_gt_i32_e64 s0, s17, v32
	s_wait_alu 0xf1ff
	s_delay_alu instid0(VALU_DEP_1)
	v_cndmask_b32_e64 v70, 0, v70, s0
.LBB107_59:                             ;   in Loop: Header=BB107_33 Depth=1
	s_wait_alu 0xfffe
	s_or_b32 exec_lo, exec_lo, s8
	v_lshlrev_b32_e32 v72, 16, v72
	v_lshlrev_b32_e32 v71, 16, v71
	v_lshlrev_b32_e32 v70, 16, v70
	s_delay_alu instid0(VALU_DEP_3) | instskip(NEXT) | instid1(VALU_DEP_3)
	v_and_or_b32 v1, 0xffff, v1, v72
	v_and_or_b32 v2, 0xffff, v2, v71
	s_delay_alu instid0(VALU_DEP_3)
	v_and_or_b32 v3, 0xffff, v3, v70
	;;#ASMSTART
	v_pk_mul_f16 v1, v33, v1;

	;;#ASMEND
	;;#ASMSTART
	v_pk_mul_f16 v2, v31, v2;

	;;#ASMEND
	;; [unrolled: 4-line block ×4, first 2 shown]
	;;#ASMSTART
	v_pk_add_f16 v1, v1, v2;

	;;#ASMEND
	;;#ASMSTART
	v_pk_add_f16 v1, v1, v3;

	;;#ASMEND
	;; [unrolled: 4-line block ×3, first 2 shown]
	v_and_b32_e32 v2, 0xffff, v1
	v_lshrrev_b32_e32 v1, 16, v1
	;;#ASMSTART
	v_cvt_f32_f16 v70, v2;
	;;#ASMEND
	;;#ASMSTART
	v_cvt_f32_f16 v71, v1;
	;;#ASMEND
	global_load_b128 v[1:4], v[7:8], off offset:6656
	s_wait_loadcnt 0x0
	v_lshrrev_b32_e32 v74, 16, v1
	v_lshrrev_b32_e32 v73, 16, v2
	;; [unrolled: 1-line block ×3, first 2 shown]
	s_and_saveexec_b32 s8, vcc_lo
	s_cbranch_execz .LBB107_61
; %bb.60:                               ;   in Loop: Header=BB107_33 Depth=1
	v_cmp_gt_i32_e64 s0, s17, v41
	v_and_b32_e32 v75, 0xffff, v4
	v_and_b32_e32 v4, 0xffff0000, v4
	s_wait_alu 0xf1ff
	s_delay_alu instid0(VALU_DEP_3) | instskip(SKIP_2) | instid1(VALU_DEP_1)
	v_cndmask_b32_e64 v1, 0, v1, s0
	v_cmp_gt_i32_e64 s0, s17, v43
	s_wait_alu 0xf1ff
	v_cndmask_b32_e64 v74, 0, v74, s0
	v_cmp_gt_i32_e64 s0, s17, v42
	s_wait_alu 0xf1ff
	s_delay_alu instid0(VALU_DEP_1) | instskip(SKIP_2) | instid1(VALU_DEP_1)
	v_cndmask_b32_e64 v2, 0, v2, s0
	v_cmp_gt_i32_e64 s0, s17, v37
	s_wait_alu 0xf1ff
	v_cndmask_b32_e64 v73, 0, v73, s0
	v_cmp_gt_i32_e64 s0, s17, v39
	s_wait_alu 0xf1ff
	s_delay_alu instid0(VALU_DEP_1) | instskip(SKIP_2) | instid1(VALU_DEP_1)
	v_cndmask_b32_e64 v75, 0, v75, s0
	v_cmp_gt_i32_e64 s0, s17, v29
	s_wait_alu 0xf1ff
	v_cndmask_b32_e64 v4, 0, v4, s0
	v_cmp_gt_i32_e64 s0, s17, v34
	s_delay_alu instid0(VALU_DEP_2) | instskip(SKIP_1) | instid1(VALU_DEP_2)
	v_or_b32_e32 v4, v75, v4
	s_wait_alu 0xf1ff
	v_cndmask_b32_e64 v3, 0, v3, s0
	v_cmp_gt_i32_e64 s0, s17, v32
	s_wait_alu 0xf1ff
	s_delay_alu instid0(VALU_DEP_1)
	v_cndmask_b32_e64 v72, 0, v72, s0
.LBB107_61:                             ;   in Loop: Header=BB107_33 Depth=1
	s_wait_alu 0xfffe
	s_or_b32 exec_lo, exec_lo, s8
	v_lshlrev_b32_e32 v74, 16, v74
	v_lshlrev_b32_e32 v73, 16, v73
	;; [unrolled: 1-line block ×3, first 2 shown]
	s_delay_alu instid0(VALU_DEP_3) | instskip(NEXT) | instid1(VALU_DEP_3)
	v_and_or_b32 v1, 0xffff, v1, v74
	v_and_or_b32 v2, 0xffff, v2, v73
	s_delay_alu instid0(VALU_DEP_3)
	v_and_or_b32 v3, 0xffff, v3, v72
	;;#ASMSTART
	v_pk_mul_f16 v1, v33, v1;

	;;#ASMEND
	;;#ASMSTART
	v_pk_mul_f16 v2, v31, v2;

	;;#ASMEND
	;; [unrolled: 4-line block ×4, first 2 shown]
	;;#ASMSTART
	v_pk_add_f16 v1, v1, v2;

	;;#ASMEND
	;;#ASMSTART
	v_pk_add_f16 v1, v1, v3;

	;;#ASMEND
	;; [unrolled: 4-line block ×3, first 2 shown]
	v_and_b32_e32 v2, 0xffff, v1
	v_lshrrev_b32_e32 v1, 16, v1
	;;#ASMSTART
	v_cvt_f32_f16 v72, v2;
	;;#ASMEND
	;;#ASMSTART
	v_cvt_f32_f16 v73, v1;
	;;#ASMEND
	global_load_b128 v[1:4], v[7:8], off offset:7168
	s_wait_loadcnt 0x0
	v_lshrrev_b32_e32 v76, 16, v1
	v_lshrrev_b32_e32 v75, 16, v2
	;; [unrolled: 1-line block ×3, first 2 shown]
	s_and_saveexec_b32 s8, vcc_lo
	s_cbranch_execz .LBB107_63
; %bb.62:                               ;   in Loop: Header=BB107_33 Depth=1
	v_cmp_gt_i32_e64 s0, s17, v41
	v_and_b32_e32 v77, 0xffff, v4
	v_and_b32_e32 v4, 0xffff0000, v4
	s_wait_alu 0xf1ff
	s_delay_alu instid0(VALU_DEP_3) | instskip(SKIP_2) | instid1(VALU_DEP_1)
	v_cndmask_b32_e64 v1, 0, v1, s0
	v_cmp_gt_i32_e64 s0, s17, v43
	s_wait_alu 0xf1ff
	v_cndmask_b32_e64 v76, 0, v76, s0
	v_cmp_gt_i32_e64 s0, s17, v42
	s_wait_alu 0xf1ff
	s_delay_alu instid0(VALU_DEP_1) | instskip(SKIP_2) | instid1(VALU_DEP_1)
	v_cndmask_b32_e64 v2, 0, v2, s0
	v_cmp_gt_i32_e64 s0, s17, v37
	s_wait_alu 0xf1ff
	v_cndmask_b32_e64 v75, 0, v75, s0
	v_cmp_gt_i32_e64 s0, s17, v39
	s_wait_alu 0xf1ff
	s_delay_alu instid0(VALU_DEP_1) | instskip(SKIP_2) | instid1(VALU_DEP_1)
	v_cndmask_b32_e64 v77, 0, v77, s0
	v_cmp_gt_i32_e64 s0, s17, v29
	s_wait_alu 0xf1ff
	v_cndmask_b32_e64 v4, 0, v4, s0
	v_cmp_gt_i32_e64 s0, s17, v34
	s_delay_alu instid0(VALU_DEP_2) | instskip(SKIP_1) | instid1(VALU_DEP_2)
	v_or_b32_e32 v4, v77, v4
	s_wait_alu 0xf1ff
	v_cndmask_b32_e64 v3, 0, v3, s0
	v_cmp_gt_i32_e64 s0, s17, v32
	s_wait_alu 0xf1ff
	s_delay_alu instid0(VALU_DEP_1)
	v_cndmask_b32_e64 v74, 0, v74, s0
.LBB107_63:                             ;   in Loop: Header=BB107_33 Depth=1
	s_wait_alu 0xfffe
	s_or_b32 exec_lo, exec_lo, s8
	v_lshlrev_b32_e32 v76, 16, v76
	v_lshlrev_b32_e32 v75, 16, v75
	;; [unrolled: 1-line block ×3, first 2 shown]
	s_delay_alu instid0(VALU_DEP_3) | instskip(NEXT) | instid1(VALU_DEP_3)
	v_and_or_b32 v1, 0xffff, v1, v76
	v_and_or_b32 v2, 0xffff, v2, v75
	s_delay_alu instid0(VALU_DEP_3)
	v_and_or_b32 v3, 0xffff, v3, v74
	;;#ASMSTART
	v_pk_mul_f16 v1, v33, v1;

	;;#ASMEND
	;;#ASMSTART
	v_pk_mul_f16 v2, v31, v2;

	;;#ASMEND
	;; [unrolled: 4-line block ×4, first 2 shown]
	;;#ASMSTART
	v_pk_add_f16 v1, v1, v2;

	;;#ASMEND
	;;#ASMSTART
	v_pk_add_f16 v1, v1, v3;

	;;#ASMEND
	;; [unrolled: 4-line block ×3, first 2 shown]
	v_and_b32_e32 v2, 0xffff, v1
	v_lshrrev_b32_e32 v1, 16, v1
	;;#ASMSTART
	v_cvt_f32_f16 v75, v2;
	;;#ASMEND
	;;#ASMSTART
	v_cvt_f32_f16 v76, v1;
	;;#ASMEND
	global_load_b128 v[1:4], v[7:8], off offset:7680
	s_wait_loadcnt 0x0
	v_lshrrev_b32_e32 v74, 16, v1
	v_lshrrev_b32_e32 v8, 16, v2
	;; [unrolled: 1-line block ×3, first 2 shown]
	s_and_saveexec_b32 s0, vcc_lo
	s_cbranch_execz .LBB107_32
; %bb.64:                               ;   in Loop: Header=BB107_33 Depth=1
	v_cmp_gt_i32_e32 vcc_lo, s17, v41
	v_and_b32_e32 v41, 0xffff, v4
	s_wait_alu 0xfffd
	v_cndmask_b32_e32 v1, 0, v1, vcc_lo
	v_cmp_gt_i32_e32 vcc_lo, s17, v43
	s_wait_alu 0xfffd
	v_cndmask_b32_e32 v74, 0, v74, vcc_lo
	v_cmp_gt_i32_e32 vcc_lo, s17, v42
	;; [unrolled: 3-line block ×4, first 2 shown]
	s_wait_alu 0xfffd
	v_dual_cndmask_b32 v37, 0, v41 :: v_dual_and_b32 v4, 0xffff0000, v4
	v_cmp_gt_i32_e32 vcc_lo, s17, v29
	s_wait_alu 0xfffd
	s_delay_alu instid0(VALU_DEP_2)
	v_cndmask_b32_e32 v4, 0, v4, vcc_lo
	v_cmp_gt_i32_e32 vcc_lo, s17, v34
	s_wait_alu 0xfffd
	v_cndmask_b32_e32 v3, 0, v3, vcc_lo
	v_cmp_gt_i32_e32 vcc_lo, s17, v32
	s_wait_alu 0xfffd
	v_cndmask_b32_e32 v7, 0, v7, vcc_lo
	v_or_b32_e32 v4, v37, v4
	s_branch .LBB107_32
.LBB107_65:
	s_or_b32 exec_lo, exec_lo, s5
.LBB107_66:
	s_wait_alu 0xfffe
	s_or_b32 exec_lo, exec_lo, s1
	ds_bpermute_b32 v1, v10, v25
	ds_bpermute_b32 v2, v10, v26
	;; [unrolled: 1-line block ×16, first 2 shown]
	v_lshrrev_b32_e32 v9, 1, v9
	s_mov_b32 s0, exec_lo
	s_wait_storecnt 0x0
	s_wait_loadcnt_dscnt 0x0
	s_barrier_signal -1
	v_add_f32_e32 v27, v25, v1
	v_dual_add_f32 v25, v26, v2 :: v_dual_add_f32 v24, v24, v3
	v_dual_add_f32 v23, v23, v4 :: v_dual_add_f32 v22, v22, v5
	;; [unrolled: 1-line block ×3, first 2 shown]
	v_add_f32_e32 v10, v19, v8
	v_dual_add_f32 v8, v18, v28 :: v_dual_add_f32 v7, v17, v29
	v_add_f32_e32 v4, v16, v30
	v_dual_add_f32 v2, v15, v31 :: v_dual_add_f32 v1, v14, v32
	v_add_f32_e32 v5, v13, v33
	v_dual_add_f32 v6, v12, v34 :: v_dual_and_b32 v13, 0x3c1, v0
	v_dual_add_f32 v3, v11, v35 :: v_dual_lshlrev_b32 v12, 10, v65
	v_lshl_add_u32 v11, v9, 2, 0x220
	s_barrier_wait -1
	global_inv scope:SCOPE_SE
	v_cmpx_eq_u32_e32 64, v13
	s_cbranch_execz .LBB107_68
; %bb.67:
	v_add_nc_u32_e32 v13, v11, v12
	s_delay_alu instid0(VALU_DEP_1)
	v_add_nc_u32_e32 v14, 0xfffff800, v13
	v_add_nc_u32_e32 v15, 0xfffff840, v13
	v_add_nc_u32_e32 v16, 0xfffff880, v13
	v_add_nc_u32_e32 v17, 0xfffff8c0, v13
	v_add_nc_u32_e32 v18, 0xfffff900, v13
	v_add_nc_u32_e32 v19, 0xfffff940, v13
	v_add_nc_u32_e32 v26, 0xfffff980, v13
	v_add_nc_u32_e32 v28, 0xfffff9c0, v13
	ds_store_b32 v14, v27
	ds_store_b32 v15, v25
	ds_store_b32 v16, v24
	ds_store_b32 v17, v23
	ds_store_b32 v18, v22
	ds_store_b32 v19, v21
	ds_store_b32 v26, v20
	ds_store_b32 v28, v10
	v_add_nc_u32_e32 v14, 0xfffffa00, v13
	v_add_nc_u32_e32 v15, 0xfffffa40, v13
	;; [unrolled: 1-line block ×8, first 2 shown]
	ds_store_b32 v14, v8
	ds_store_b32 v15, v7
	;; [unrolled: 1-line block ×8, first 2 shown]
.LBB107_68:
	s_wait_alu 0xfffe
	s_or_b32 exec_lo, exec_lo, s0
	v_lshlrev_b32_e32 v9, 2, v9
	v_cmp_eq_u32_e32 vcc_lo, 0, v64
	s_wait_loadcnt_dscnt 0x0
	s_barrier_signal -1
	s_barrier_wait -1
	v_add3_u32 v9, 0x220, v12, v9
	global_inv scope:SCOPE_SE
	s_and_saveexec_b32 s0, s2
	s_cbranch_execz .LBB107_87
; %bb.69:
	s_and_saveexec_b32 s1, vcc_lo
	s_cbranch_execnz .LBB107_111
; %bb.70:
	s_wait_alu 0xfffe
	s_or_b32 exec_lo, exec_lo, s1
	s_and_saveexec_b32 s1, vcc_lo
	s_cbranch_execnz .LBB107_112
.LBB107_71:
	s_wait_alu 0xfffe
	s_or_b32 exec_lo, exec_lo, s1
	s_and_saveexec_b32 s1, vcc_lo
	s_cbranch_execnz .LBB107_113
.LBB107_72:
	s_wait_alu 0xfffe
	s_or_b32 exec_lo, exec_lo, s1
	s_and_saveexec_b32 s1, vcc_lo
	s_cbranch_execnz .LBB107_114
.LBB107_73:
	s_wait_alu 0xfffe
	s_or_b32 exec_lo, exec_lo, s1
	s_and_saveexec_b32 s1, vcc_lo
	s_cbranch_execnz .LBB107_115
.LBB107_74:
	s_wait_alu 0xfffe
	s_or_b32 exec_lo, exec_lo, s1
	s_and_saveexec_b32 s1, vcc_lo
	s_cbranch_execnz .LBB107_116
.LBB107_75:
	s_wait_alu 0xfffe
	s_or_b32 exec_lo, exec_lo, s1
	s_and_saveexec_b32 s1, vcc_lo
	s_cbranch_execnz .LBB107_117
.LBB107_76:
	s_wait_alu 0xfffe
	s_or_b32 exec_lo, exec_lo, s1
	s_and_saveexec_b32 s1, vcc_lo
	s_cbranch_execnz .LBB107_118
.LBB107_77:
	s_wait_alu 0xfffe
	s_or_b32 exec_lo, exec_lo, s1
	s_and_saveexec_b32 s1, vcc_lo
	s_cbranch_execnz .LBB107_119
.LBB107_78:
	s_wait_alu 0xfffe
	s_or_b32 exec_lo, exec_lo, s1
	s_and_saveexec_b32 s1, vcc_lo
	s_cbranch_execnz .LBB107_120
.LBB107_79:
	s_wait_alu 0xfffe
	s_or_b32 exec_lo, exec_lo, s1
	s_and_saveexec_b32 s1, vcc_lo
	s_cbranch_execnz .LBB107_121
.LBB107_80:
	s_wait_alu 0xfffe
	s_or_b32 exec_lo, exec_lo, s1
	s_and_saveexec_b32 s1, vcc_lo
	s_cbranch_execnz .LBB107_122
.LBB107_81:
	s_wait_alu 0xfffe
	s_or_b32 exec_lo, exec_lo, s1
	s_and_saveexec_b32 s1, vcc_lo
	s_cbranch_execnz .LBB107_123
.LBB107_82:
	s_wait_alu 0xfffe
	s_or_b32 exec_lo, exec_lo, s1
	s_and_saveexec_b32 s1, vcc_lo
	s_cbranch_execnz .LBB107_124
.LBB107_83:
	s_wait_alu 0xfffe
	s_or_b32 exec_lo, exec_lo, s1
	s_and_saveexec_b32 s1, vcc_lo
	s_cbranch_execnz .LBB107_125
.LBB107_84:
	s_wait_alu 0xfffe
	s_or_b32 exec_lo, exec_lo, s1
	s_and_saveexec_b32 s1, vcc_lo
	s_cbranch_execz .LBB107_86
.LBB107_85:
	ds_load_b32 v12, v9 offset:960
	s_wait_dscnt 0x0
	v_add_f32_e32 v3, v3, v12
.LBB107_86:
	s_wait_alu 0xfffe
	s_or_b32 exec_lo, exec_lo, s1
.LBB107_87:
	s_wait_alu 0xfffe
	s_or_b32 exec_lo, exec_lo, s0
	v_and_b32_e32 v12, 0x3e1, v0
	s_mov_b32 s1, exec_lo
	s_wait_loadcnt 0x0
	s_barrier_signal -1
	s_barrier_wait -1
	global_inv scope:SCOPE_SE
	v_cmpx_eq_u32_e32 32, v12
	s_cbranch_execz .LBB107_89
; %bb.88:
	ds_store_2addr_b32 v11, v27, v25 offset1:16
	ds_store_2addr_b32 v11, v24, v23 offset0:32 offset1:48
	ds_store_2addr_b32 v11, v22, v21 offset0:64 offset1:80
	;; [unrolled: 1-line block ×7, first 2 shown]
.LBB107_89:
	s_wait_alu 0xfffe
	s_or_b32 exec_lo, exec_lo, s1
	s_delay_alu instid0(SALU_CYCLE_1)
	s_mov_b32 s1, exec_lo
	s_wait_loadcnt_dscnt 0x0
	s_barrier_signal -1
	s_barrier_wait -1
	global_inv scope:SCOPE_SE
	v_cmpx_gt_u32_e32 32, v0
	s_cbranch_execz .LBB107_108
; %bb.90:
	s_and_saveexec_b32 s0, vcc_lo
	s_cbranch_execnz .LBB107_126
; %bb.91:
	s_wait_alu 0xfffe
	s_or_b32 exec_lo, exec_lo, s0
	s_and_saveexec_b32 s0, vcc_lo
	s_cbranch_execnz .LBB107_127
.LBB107_92:
	s_wait_alu 0xfffe
	s_or_b32 exec_lo, exec_lo, s0
	s_and_saveexec_b32 s0, vcc_lo
	s_cbranch_execnz .LBB107_128
.LBB107_93:
	s_wait_alu 0xfffe
	s_or_b32 exec_lo, exec_lo, s0
	s_and_saveexec_b32 s0, vcc_lo
	s_cbranch_execnz .LBB107_129
.LBB107_94:
	s_wait_alu 0xfffe
	s_or_b32 exec_lo, exec_lo, s0
	s_and_saveexec_b32 s0, vcc_lo
	s_cbranch_execnz .LBB107_130
.LBB107_95:
	s_wait_alu 0xfffe
	s_or_b32 exec_lo, exec_lo, s0
	s_and_saveexec_b32 s0, vcc_lo
	s_cbranch_execnz .LBB107_131
.LBB107_96:
	s_wait_alu 0xfffe
	s_or_b32 exec_lo, exec_lo, s0
	s_and_saveexec_b32 s0, vcc_lo
	s_cbranch_execnz .LBB107_132
.LBB107_97:
	s_wait_alu 0xfffe
	s_or_b32 exec_lo, exec_lo, s0
	s_and_saveexec_b32 s0, vcc_lo
	s_cbranch_execnz .LBB107_133
.LBB107_98:
	s_wait_alu 0xfffe
	s_or_b32 exec_lo, exec_lo, s0
	s_and_saveexec_b32 s0, vcc_lo
	s_cbranch_execnz .LBB107_134
.LBB107_99:
	s_wait_alu 0xfffe
	s_or_b32 exec_lo, exec_lo, s0
	s_and_saveexec_b32 s0, vcc_lo
	s_cbranch_execnz .LBB107_135
.LBB107_100:
	s_wait_alu 0xfffe
	s_or_b32 exec_lo, exec_lo, s0
	s_and_saveexec_b32 s0, vcc_lo
	s_cbranch_execnz .LBB107_136
.LBB107_101:
	s_wait_alu 0xfffe
	s_or_b32 exec_lo, exec_lo, s0
	s_and_saveexec_b32 s0, vcc_lo
	s_cbranch_execnz .LBB107_137
.LBB107_102:
	s_wait_alu 0xfffe
	s_or_b32 exec_lo, exec_lo, s0
	s_and_saveexec_b32 s0, vcc_lo
	s_cbranch_execnz .LBB107_138
.LBB107_103:
	s_wait_alu 0xfffe
	s_or_b32 exec_lo, exec_lo, s0
	s_and_saveexec_b32 s0, vcc_lo
	s_cbranch_execnz .LBB107_139
.LBB107_104:
	s_wait_alu 0xfffe
	s_or_b32 exec_lo, exec_lo, s0
	s_and_saveexec_b32 s0, vcc_lo
	s_cbranch_execnz .LBB107_140
.LBB107_105:
	s_wait_alu 0xfffe
	s_or_b32 exec_lo, exec_lo, s0
	s_and_saveexec_b32 s0, vcc_lo
	s_cbranch_execz .LBB107_107
.LBB107_106:
	ds_load_b32 v0, v9 offset:960
	s_wait_dscnt 0x0
	v_add_f32_e32 v3, v3, v0
.LBB107_107:
	s_wait_alu 0xfffe
	s_or_b32 exec_lo, exec_lo, s0
.LBB107_108:
	s_wait_alu 0xfffe
	s_or_b32 exec_lo, exec_lo, s1
	s_mov_b32 s17, 0
	s_wait_loadcnt 0x0
	s_barrier_signal -1
	s_barrier_wait -1
	global_inv scope:SCOPE_SE
	s_mov_b32 s0, exec_lo
	v_cmpx_eq_u32_e32 0, v12
	s_cbranch_execz .LBB107_110
; %bb.109:
	s_lshl_b32 s0, s4, 8
	s_mul_i32 s2, s12, s18
	s_wait_alu 0xfffe
	s_ashr_i32 s1, s0, 31
	s_ashr_i32 s3, s2, 31
	s_wait_alu 0xfffe
	s_lshl_b64 s[0:1], s[0:1], 1
	s_lshl_b64 s[2:3], s[2:3], 1
	s_wait_alu 0xfffe
	s_add_nc_u64 s[0:1], s[6:7], s[0:1]
	v_lshlrev_b32_e32 v0, 1, v63
	s_wait_alu 0xfffe
	s_add_nc_u64 s[0:1], s[0:1], s[2:3]
	;;#ASMSTART
	v_cvt_f16_f32 v9, v27;

	;;#ASMEND
	s_wait_alu 0xfffe
	s_add_nc_u64 s[0:1], s[0:1], s[16:17]
	global_store_b16 v0, v9, s[0:1]
	;;#ASMSTART
	v_cvt_f16_f32 v9, v25;

	;;#ASMEND
	global_store_b16 v0, v9, s[0:1] offset:32
	;;#ASMSTART
	v_cvt_f16_f32 v9, v24;

	;;#ASMEND
	global_store_b16 v0, v9, s[0:1] offset:64
	;;#ASMSTART
	v_cvt_f16_f32 v9, v23;

	;;#ASMEND
	global_store_b16 v0, v9, s[0:1] offset:96
	;;#ASMSTART
	v_cvt_f16_f32 v9, v22;

	;;#ASMEND
	global_store_b16 v0, v9, s[0:1] offset:128
	;;#ASMSTART
	v_cvt_f16_f32 v9, v21;

	;;#ASMEND
	global_store_b16 v0, v9, s[0:1] offset:160
	;;#ASMSTART
	v_cvt_f16_f32 v9, v20;

	;;#ASMEND
	global_store_b16 v0, v9, s[0:1] offset:192
	;;#ASMSTART
	v_cvt_f16_f32 v9, v10;

	;;#ASMEND
	global_store_b16 v0, v9, s[0:1] offset:224
	;;#ASMSTART
	v_cvt_f16_f32 v8, v8;

	;;#ASMEND
	global_store_b16 v0, v8, s[0:1] offset:256
	;;#ASMSTART
	v_cvt_f16_f32 v7, v7;

	;;#ASMEND
	global_store_b16 v0, v7, s[0:1] offset:288
	;;#ASMSTART
	v_cvt_f16_f32 v4, v4;

	;;#ASMEND
	global_store_b16 v0, v4, s[0:1] offset:320
	;;#ASMSTART
	v_cvt_f16_f32 v2, v2;

	;;#ASMEND
	global_store_b16 v0, v2, s[0:1] offset:352
	;;#ASMSTART
	v_cvt_f16_f32 v1, v1;

	;;#ASMEND
	global_store_b16 v0, v1, s[0:1] offset:384
	;;#ASMSTART
	v_cvt_f16_f32 v1, v5;

	;;#ASMEND
	global_store_b16 v0, v1, s[0:1] offset:416
	;;#ASMSTART
	v_cvt_f16_f32 v1, v6;

	;;#ASMEND
	global_store_b16 v0, v1, s[0:1] offset:448
	;;#ASMSTART
	v_cvt_f16_f32 v1, v3;

	;;#ASMEND
	global_store_b16 v0, v1, s[0:1] offset:480
.LBB107_110:
	s_nop 0
	s_sendmsg sendmsg(MSG_DEALLOC_VGPRS)
	s_endpgm
.LBB107_111:
	ds_load_b32 v12, v9
	s_wait_dscnt 0x0
	v_add_f32_e32 v27, v27, v12
	s_wait_alu 0xfffe
	s_or_b32 exec_lo, exec_lo, s1
	s_and_saveexec_b32 s1, vcc_lo
	s_cbranch_execz .LBB107_71
.LBB107_112:
	ds_load_b32 v12, v9 offset:64
	s_wait_dscnt 0x0
	v_add_f32_e32 v25, v25, v12
	s_wait_alu 0xfffe
	s_or_b32 exec_lo, exec_lo, s1
	s_and_saveexec_b32 s1, vcc_lo
	s_cbranch_execz .LBB107_72
.LBB107_113:
	ds_load_b32 v12, v9 offset:128
	s_wait_dscnt 0x0
	v_add_f32_e32 v24, v24, v12
	s_wait_alu 0xfffe
	s_or_b32 exec_lo, exec_lo, s1
	s_and_saveexec_b32 s1, vcc_lo
	s_cbranch_execz .LBB107_73
.LBB107_114:
	ds_load_b32 v12, v9 offset:192
	s_wait_dscnt 0x0
	v_add_f32_e32 v23, v23, v12
	s_wait_alu 0xfffe
	s_or_b32 exec_lo, exec_lo, s1
	s_and_saveexec_b32 s1, vcc_lo
	s_cbranch_execz .LBB107_74
.LBB107_115:
	ds_load_b32 v12, v9 offset:256
	s_wait_dscnt 0x0
	v_add_f32_e32 v22, v22, v12
	s_wait_alu 0xfffe
	s_or_b32 exec_lo, exec_lo, s1
	s_and_saveexec_b32 s1, vcc_lo
	s_cbranch_execz .LBB107_75
.LBB107_116:
	ds_load_b32 v12, v9 offset:320
	s_wait_dscnt 0x0
	v_add_f32_e32 v21, v21, v12
	s_wait_alu 0xfffe
	s_or_b32 exec_lo, exec_lo, s1
	s_and_saveexec_b32 s1, vcc_lo
	s_cbranch_execz .LBB107_76
.LBB107_117:
	ds_load_b32 v12, v9 offset:384
	s_wait_dscnt 0x0
	v_add_f32_e32 v20, v20, v12
	s_wait_alu 0xfffe
	s_or_b32 exec_lo, exec_lo, s1
	s_and_saveexec_b32 s1, vcc_lo
	s_cbranch_execz .LBB107_77
.LBB107_118:
	ds_load_b32 v12, v9 offset:448
	s_wait_dscnt 0x0
	v_add_f32_e32 v10, v10, v12
	s_wait_alu 0xfffe
	s_or_b32 exec_lo, exec_lo, s1
	s_and_saveexec_b32 s1, vcc_lo
	s_cbranch_execz .LBB107_78
.LBB107_119:
	ds_load_b32 v12, v9 offset:512
	s_wait_dscnt 0x0
	v_add_f32_e32 v8, v8, v12
	s_wait_alu 0xfffe
	s_or_b32 exec_lo, exec_lo, s1
	s_and_saveexec_b32 s1, vcc_lo
	s_cbranch_execz .LBB107_79
.LBB107_120:
	ds_load_b32 v12, v9 offset:576
	s_wait_dscnt 0x0
	v_add_f32_e32 v7, v7, v12
	s_wait_alu 0xfffe
	s_or_b32 exec_lo, exec_lo, s1
	s_and_saveexec_b32 s1, vcc_lo
	s_cbranch_execz .LBB107_80
.LBB107_121:
	ds_load_b32 v12, v9 offset:640
	s_wait_dscnt 0x0
	v_add_f32_e32 v4, v4, v12
	s_wait_alu 0xfffe
	s_or_b32 exec_lo, exec_lo, s1
	s_and_saveexec_b32 s1, vcc_lo
	s_cbranch_execz .LBB107_81
.LBB107_122:
	ds_load_b32 v12, v9 offset:704
	s_wait_dscnt 0x0
	v_add_f32_e32 v2, v2, v12
	s_wait_alu 0xfffe
	s_or_b32 exec_lo, exec_lo, s1
	s_and_saveexec_b32 s1, vcc_lo
	s_cbranch_execz .LBB107_82
.LBB107_123:
	ds_load_b32 v12, v9 offset:768
	s_wait_dscnt 0x0
	v_add_f32_e32 v1, v1, v12
	s_wait_alu 0xfffe
	s_or_b32 exec_lo, exec_lo, s1
	s_and_saveexec_b32 s1, vcc_lo
	s_cbranch_execz .LBB107_83
.LBB107_124:
	ds_load_b32 v12, v9 offset:832
	s_wait_dscnt 0x0
	v_add_f32_e32 v5, v5, v12
	s_wait_alu 0xfffe
	s_or_b32 exec_lo, exec_lo, s1
	s_and_saveexec_b32 s1, vcc_lo
	s_cbranch_execz .LBB107_84
.LBB107_125:
	ds_load_b32 v12, v9 offset:896
	s_wait_dscnt 0x0
	v_add_f32_e32 v6, v6, v12
	s_wait_alu 0xfffe
	s_or_b32 exec_lo, exec_lo, s1
	s_and_saveexec_b32 s1, vcc_lo
	s_cbranch_execnz .LBB107_85
	s_branch .LBB107_86
.LBB107_126:
	ds_load_b32 v0, v9
	s_wait_dscnt 0x0
	v_add_f32_e32 v27, v27, v0
	s_wait_alu 0xfffe
	s_or_b32 exec_lo, exec_lo, s0
	s_and_saveexec_b32 s0, vcc_lo
	s_cbranch_execz .LBB107_92
.LBB107_127:
	ds_load_b32 v0, v9 offset:64
	s_wait_dscnt 0x0
	v_add_f32_e32 v25, v25, v0
	s_wait_alu 0xfffe
	s_or_b32 exec_lo, exec_lo, s0
	s_and_saveexec_b32 s0, vcc_lo
	s_cbranch_execz .LBB107_93
.LBB107_128:
	ds_load_b32 v0, v9 offset:128
	s_wait_dscnt 0x0
	v_add_f32_e32 v24, v24, v0
	s_wait_alu 0xfffe
	s_or_b32 exec_lo, exec_lo, s0
	s_and_saveexec_b32 s0, vcc_lo
	s_cbranch_execz .LBB107_94
.LBB107_129:
	ds_load_b32 v0, v9 offset:192
	s_wait_dscnt 0x0
	v_add_f32_e32 v23, v23, v0
	s_wait_alu 0xfffe
	s_or_b32 exec_lo, exec_lo, s0
	s_and_saveexec_b32 s0, vcc_lo
	s_cbranch_execz .LBB107_95
.LBB107_130:
	ds_load_b32 v0, v9 offset:256
	s_wait_dscnt 0x0
	v_add_f32_e32 v22, v22, v0
	s_wait_alu 0xfffe
	s_or_b32 exec_lo, exec_lo, s0
	s_and_saveexec_b32 s0, vcc_lo
	s_cbranch_execz .LBB107_96
.LBB107_131:
	ds_load_b32 v0, v9 offset:320
	s_wait_dscnt 0x0
	v_add_f32_e32 v21, v21, v0
	s_wait_alu 0xfffe
	s_or_b32 exec_lo, exec_lo, s0
	s_and_saveexec_b32 s0, vcc_lo
	s_cbranch_execz .LBB107_97
.LBB107_132:
	ds_load_b32 v0, v9 offset:384
	s_wait_dscnt 0x0
	v_add_f32_e32 v20, v20, v0
	s_wait_alu 0xfffe
	s_or_b32 exec_lo, exec_lo, s0
	s_and_saveexec_b32 s0, vcc_lo
	s_cbranch_execz .LBB107_98
.LBB107_133:
	ds_load_b32 v0, v9 offset:448
	s_wait_dscnt 0x0
	v_add_f32_e32 v10, v10, v0
	s_wait_alu 0xfffe
	s_or_b32 exec_lo, exec_lo, s0
	s_and_saveexec_b32 s0, vcc_lo
	s_cbranch_execz .LBB107_99
.LBB107_134:
	ds_load_b32 v0, v9 offset:512
	s_wait_dscnt 0x0
	v_add_f32_e32 v8, v8, v0
	s_wait_alu 0xfffe
	s_or_b32 exec_lo, exec_lo, s0
	s_and_saveexec_b32 s0, vcc_lo
	s_cbranch_execz .LBB107_100
.LBB107_135:
	ds_load_b32 v0, v9 offset:576
	s_wait_dscnt 0x0
	v_add_f32_e32 v7, v7, v0
	s_wait_alu 0xfffe
	s_or_b32 exec_lo, exec_lo, s0
	s_and_saveexec_b32 s0, vcc_lo
	s_cbranch_execz .LBB107_101
.LBB107_136:
	ds_load_b32 v0, v9 offset:640
	s_wait_dscnt 0x0
	v_add_f32_e32 v4, v4, v0
	s_wait_alu 0xfffe
	s_or_b32 exec_lo, exec_lo, s0
	s_and_saveexec_b32 s0, vcc_lo
	s_cbranch_execz .LBB107_102
.LBB107_137:
	ds_load_b32 v0, v9 offset:704
	s_wait_dscnt 0x0
	v_add_f32_e32 v2, v2, v0
	s_wait_alu 0xfffe
	s_or_b32 exec_lo, exec_lo, s0
	s_and_saveexec_b32 s0, vcc_lo
	s_cbranch_execz .LBB107_103
.LBB107_138:
	ds_load_b32 v0, v9 offset:768
	s_wait_dscnt 0x0
	v_add_f32_e32 v1, v1, v0
	s_wait_alu 0xfffe
	s_or_b32 exec_lo, exec_lo, s0
	s_and_saveexec_b32 s0, vcc_lo
	s_cbranch_execz .LBB107_104
.LBB107_139:
	ds_load_b32 v0, v9 offset:832
	s_wait_dscnt 0x0
	v_add_f32_e32 v5, v5, v0
	s_wait_alu 0xfffe
	s_or_b32 exec_lo, exec_lo, s0
	s_and_saveexec_b32 s0, vcc_lo
	s_cbranch_execz .LBB107_105
.LBB107_140:
	ds_load_b32 v0, v9 offset:896
	s_wait_dscnt 0x0
	v_add_f32_e32 v6, v6, v0
	s_wait_alu 0xfffe
	s_or_b32 exec_lo, exec_lo, s0
	s_and_saveexec_b32 s0, vcc_lo
	s_cbranch_execnz .LBB107_106
	s_branch .LBB107_107
	.section	.rodata,"a",@progbits
	.p2align	6, 0x0
	.amdhsa_kernel _ZN4vllm25paged_attention_v2_kernelIttLi256ELi16ELi128ELNS_18Fp8KVCacheDataTypeE0ELb0ELi512EEEvPfS2_PT_PKS3_PKT0_S9_ifPKiSB_iPKfiiiSD_SD_iiiii
		.amdhsa_group_segment_fixed_size 544
		.amdhsa_private_segment_fixed_size 0
		.amdhsa_kernarg_size 400
		.amdhsa_user_sgpr_count 2
		.amdhsa_user_sgpr_dispatch_ptr 0
		.amdhsa_user_sgpr_queue_ptr 0
		.amdhsa_user_sgpr_kernarg_segment_ptr 1
		.amdhsa_user_sgpr_dispatch_id 0
		.amdhsa_user_sgpr_private_segment_size 0
		.amdhsa_wavefront_size32 1
		.amdhsa_uses_dynamic_stack 0
		.amdhsa_enable_private_segment 0
		.amdhsa_system_sgpr_workgroup_id_x 1
		.amdhsa_system_sgpr_workgroup_id_y 1
		.amdhsa_system_sgpr_workgroup_id_z 1
		.amdhsa_system_sgpr_workgroup_info 0
		.amdhsa_system_vgpr_workitem_id 0
		.amdhsa_next_free_vgpr 131
		.amdhsa_next_free_sgpr 38
		.amdhsa_reserve_vcc 1
		.amdhsa_float_round_mode_32 0
		.amdhsa_float_round_mode_16_64 0
		.amdhsa_float_denorm_mode_32 3
		.amdhsa_float_denorm_mode_16_64 3
		.amdhsa_fp16_overflow 0
		.amdhsa_workgroup_processor_mode 1
		.amdhsa_memory_ordered 1
		.amdhsa_forward_progress 1
		.amdhsa_inst_pref_size 106
		.amdhsa_round_robin_scheduling 0
		.amdhsa_exception_fp_ieee_invalid_op 0
		.amdhsa_exception_fp_denorm_src 0
		.amdhsa_exception_fp_ieee_div_zero 0
		.amdhsa_exception_fp_ieee_overflow 0
		.amdhsa_exception_fp_ieee_underflow 0
		.amdhsa_exception_fp_ieee_inexact 0
		.amdhsa_exception_int_div_zero 0
	.end_amdhsa_kernel
	.section	.text._ZN4vllm25paged_attention_v2_kernelIttLi256ELi16ELi128ELNS_18Fp8KVCacheDataTypeE0ELb0ELi512EEEvPfS2_PT_PKS3_PKT0_S9_ifPKiSB_iPKfiiiSD_SD_iiiii,"axG",@progbits,_ZN4vllm25paged_attention_v2_kernelIttLi256ELi16ELi128ELNS_18Fp8KVCacheDataTypeE0ELb0ELi512EEEvPfS2_PT_PKS3_PKT0_S9_ifPKiSB_iPKfiiiSD_SD_iiiii,comdat
.Lfunc_end107:
	.size	_ZN4vllm25paged_attention_v2_kernelIttLi256ELi16ELi128ELNS_18Fp8KVCacheDataTypeE0ELb0ELi512EEEvPfS2_PT_PKS3_PKT0_S9_ifPKiSB_iPKfiiiSD_SD_iiiii, .Lfunc_end107-_ZN4vllm25paged_attention_v2_kernelIttLi256ELi16ELi128ELNS_18Fp8KVCacheDataTypeE0ELb0ELi512EEEvPfS2_PT_PKS3_PKT0_S9_ifPKiSB_iPKfiiiSD_SD_iiiii
                                        ; -- End function
	.set _ZN4vllm25paged_attention_v2_kernelIttLi256ELi16ELi128ELNS_18Fp8KVCacheDataTypeE0ELb0ELi512EEEvPfS2_PT_PKS3_PKT0_S9_ifPKiSB_iPKfiiiSD_SD_iiiii.num_vgpr, 131
	.set _ZN4vllm25paged_attention_v2_kernelIttLi256ELi16ELi128ELNS_18Fp8KVCacheDataTypeE0ELb0ELi512EEEvPfS2_PT_PKS3_PKT0_S9_ifPKiSB_iPKfiiiSD_SD_iiiii.num_agpr, 0
	.set _ZN4vllm25paged_attention_v2_kernelIttLi256ELi16ELi128ELNS_18Fp8KVCacheDataTypeE0ELb0ELi512EEEvPfS2_PT_PKS3_PKT0_S9_ifPKiSB_iPKfiiiSD_SD_iiiii.numbered_sgpr, 38
	.set _ZN4vllm25paged_attention_v2_kernelIttLi256ELi16ELi128ELNS_18Fp8KVCacheDataTypeE0ELb0ELi512EEEvPfS2_PT_PKS3_PKT0_S9_ifPKiSB_iPKfiiiSD_SD_iiiii.num_named_barrier, 0
	.set _ZN4vllm25paged_attention_v2_kernelIttLi256ELi16ELi128ELNS_18Fp8KVCacheDataTypeE0ELb0ELi512EEEvPfS2_PT_PKS3_PKT0_S9_ifPKiSB_iPKfiiiSD_SD_iiiii.private_seg_size, 0
	.set _ZN4vllm25paged_attention_v2_kernelIttLi256ELi16ELi128ELNS_18Fp8KVCacheDataTypeE0ELb0ELi512EEEvPfS2_PT_PKS3_PKT0_S9_ifPKiSB_iPKfiiiSD_SD_iiiii.uses_vcc, 1
	.set _ZN4vllm25paged_attention_v2_kernelIttLi256ELi16ELi128ELNS_18Fp8KVCacheDataTypeE0ELb0ELi512EEEvPfS2_PT_PKS3_PKT0_S9_ifPKiSB_iPKfiiiSD_SD_iiiii.uses_flat_scratch, 0
	.set _ZN4vllm25paged_attention_v2_kernelIttLi256ELi16ELi128ELNS_18Fp8KVCacheDataTypeE0ELb0ELi512EEEvPfS2_PT_PKS3_PKT0_S9_ifPKiSB_iPKfiiiSD_SD_iiiii.has_dyn_sized_stack, 0
	.set _ZN4vllm25paged_attention_v2_kernelIttLi256ELi16ELi128ELNS_18Fp8KVCacheDataTypeE0ELb0ELi512EEEvPfS2_PT_PKS3_PKT0_S9_ifPKiSB_iPKfiiiSD_SD_iiiii.has_recursion, 0
	.set _ZN4vllm25paged_attention_v2_kernelIttLi256ELi16ELi128ELNS_18Fp8KVCacheDataTypeE0ELb0ELi512EEEvPfS2_PT_PKS3_PKT0_S9_ifPKiSB_iPKfiiiSD_SD_iiiii.has_indirect_call, 0
	.section	.AMDGPU.csdata,"",@progbits
; Kernel info:
; codeLenInByte = 13492
; TotalNumSgprs: 40
; NumVgprs: 131
; ScratchSize: 0
; MemoryBound: 0
; FloatMode: 240
; IeeeMode: 1
; LDSByteSize: 544 bytes/workgroup (compile time only)
; SGPRBlocks: 0
; VGPRBlocks: 16
; NumSGPRsForWavesPerEU: 40
; NumVGPRsForWavesPerEU: 131
; Occupancy: 10
; WaveLimiterHint : 1
; COMPUTE_PGM_RSRC2:SCRATCH_EN: 0
; COMPUTE_PGM_RSRC2:USER_SGPR: 2
; COMPUTE_PGM_RSRC2:TRAP_HANDLER: 0
; COMPUTE_PGM_RSRC2:TGID_X_EN: 1
; COMPUTE_PGM_RSRC2:TGID_Y_EN: 1
; COMPUTE_PGM_RSRC2:TGID_Z_EN: 1
; COMPUTE_PGM_RSRC2:TIDIG_COMP_CNT: 0
	.section	.text._ZN4vllm25paged_attention_v2_kernelIttLi32ELi32ELi128ELNS_18Fp8KVCacheDataTypeE0ELb1ELi512EEEvPfS2_PT_PKS3_PKT0_S9_ifPKiSB_iPKfiiiSD_SD_iiiii,"axG",@progbits,_ZN4vllm25paged_attention_v2_kernelIttLi32ELi32ELi128ELNS_18Fp8KVCacheDataTypeE0ELb1ELi512EEEvPfS2_PT_PKS3_PKT0_S9_ifPKiSB_iPKfiiiSD_SD_iiiii,comdat
	.protected	_ZN4vllm25paged_attention_v2_kernelIttLi32ELi32ELi128ELNS_18Fp8KVCacheDataTypeE0ELb1ELi512EEEvPfS2_PT_PKS3_PKT0_S9_ifPKiSB_iPKfiiiSD_SD_iiiii ; -- Begin function _ZN4vllm25paged_attention_v2_kernelIttLi32ELi32ELi128ELNS_18Fp8KVCacheDataTypeE0ELb1ELi512EEEvPfS2_PT_PKS3_PKT0_S9_ifPKiSB_iPKfiiiSD_SD_iiiii
	.globl	_ZN4vllm25paged_attention_v2_kernelIttLi32ELi32ELi128ELNS_18Fp8KVCacheDataTypeE0ELb1ELi512EEEvPfS2_PT_PKS3_PKT0_S9_ifPKiSB_iPKfiiiSD_SD_iiiii
	.p2align	8
	.type	_ZN4vllm25paged_attention_v2_kernelIttLi32ELi32ELi128ELNS_18Fp8KVCacheDataTypeE0ELb1ELi512EEEvPfS2_PT_PKS3_PKT0_S9_ifPKiSB_iPKfiiiSD_SD_iiiii,@function
_ZN4vllm25paged_attention_v2_kernelIttLi32ELi32ELi128ELNS_18Fp8KVCacheDataTypeE0ELb1ELi512EEEvPfS2_PT_PKS3_PKT0_S9_ifPKiSB_iPKfiiiSD_SD_iiiii: ; @_ZN4vllm25paged_attention_v2_kernelIttLi32ELi32ELi128ELNS_18Fp8KVCacheDataTypeE0ELb1ELi512EEEvPfS2_PT_PKS3_PKT0_S9_ifPKiSB_iPKfiiiSD_SD_iiiii
; %bb.0:
	s_load_b64 s[2:3], s[0:1], 0x40
	s_and_b32 s24, ttmp7, 0xffff
	s_lshr_b32 s30, ttmp7, 16
	s_lshl_b32 s4, s24, 2
	s_lshl_b32 s34, s30, 9
	s_wait_kmcnt 0x0
	s_load_b32 s31, s[2:3], s4 offset:0x0
	s_wait_kmcnt 0x0
	s_cmp_ge_i32 s34, s31
	s_cbranch_scc1 .LBB108_68
; %bb.1:
	s_clause 0x1
	s_load_b32 s25, s[0:1], 0x90
	s_load_b64 s[8:9], s[0:1], 0x30
	s_wait_kmcnt 0x0
	s_abs_i32 s5, s25
	s_abs_i32 s2, s8
	s_delay_alu instid0(SALU_CYCLE_1) | instskip(SKIP_1) | instid1(SALU_CYCLE_2)
	s_cvt_f32_u32 s3, s2
	s_sub_co_i32 s4, 0, s2
	v_rcp_iflag_f32_e32 v1, s3
	s_delay_alu instid0(TRANS32_DEP_1) | instskip(SKIP_2) | instid1(SALU_CYCLE_2)
	v_readfirstlane_b32 s3, v1
	s_mul_f32 s3, s3, 0x4f7ffffe
	s_wait_alu 0xfffe
	s_cvt_u32_f32 s3, s3
	s_wait_alu 0xfffe
	s_delay_alu instid0(SALU_CYCLE_2) | instskip(NEXT) | instid1(SALU_CYCLE_1)
	s_mul_i32 s4, s4, s3
	s_mul_hi_u32 s4, s3, s4
	s_delay_alu instid0(SALU_CYCLE_1)
	s_add_co_i32 s3, s3, s4
	s_xor_b32 s4, s25, s8
	s_wait_alu 0xfffe
	s_mul_hi_u32 s3, s5, s3
	s_ashr_i32 s4, s4, 31
	s_wait_alu 0xfffe
	s_mul_i32 s6, s3, s2
	s_delay_alu instid0(SALU_CYCLE_1)
	s_sub_co_i32 s5, s5, s6
	s_add_co_i32 s6, s3, 1
	s_sub_co_i32 s7, s5, s2
	s_cmp_ge_u32 s5, s2
	s_cselect_b32 s3, s6, s3
	s_cselect_b32 s5, s7, s5
	s_wait_alu 0xfffe
	s_add_co_i32 s6, s3, 1
	s_cmp_ge_u32 s5, s2
	s_cselect_b32 s2, s6, s3
	s_load_b64 s[6:7], s[0:1], 0x50
	s_xor_b32 s2, s2, s4
	s_mov_b32 s3, 0
	s_wait_alu 0xfffe
	s_sub_co_i32 s16, s2, s4
	s_mov_b32 s15, s3
	s_abs_i32 s18, s16
	s_delay_alu instid0(SALU_CYCLE_1) | instskip(SKIP_1) | instid1(SALU_CYCLE_2)
	s_cvt_f32_u32 s2, s18
	s_wait_alu 0xfffe
	v_rcp_iflag_f32_e32 v1, s2
	s_delay_alu instid0(TRANS32_DEP_1) | instskip(SKIP_2) | instid1(SALU_CYCLE_2)
	v_readfirstlane_b32 s2, v1
	s_mul_f32 s2, s2, 0x4f7ffffe
	s_wait_alu 0xfffe
	s_cvt_u32_f32 s4, s2
	s_sub_co_i32 s2, 0, s18
	s_wait_alu 0xfffe
	s_delay_alu instid0(SALU_CYCLE_1)
	s_mul_i32 s2, s2, s4
	s_wait_alu 0xfffe
	s_mul_hi_u32 s5, s4, s2
	s_abs_i32 s2, ttmp9
	s_add_co_i32 s4, s4, s5
	s_mov_b32 s5, s3
	s_wait_kmcnt 0x0
	s_cmp_eq_u64 s[6:7], 0
	s_cbranch_scc1 .LBB108_3
; %bb.2:
	s_mov_b32 s10, ttmp9
	s_ashr_i32 s11, ttmp9, 31
	s_delay_alu instid0(SALU_CYCLE_1) | instskip(NEXT) | instid1(SALU_CYCLE_1)
	s_lshl_b64 s[10:11], s[10:11], 2
	s_add_nc_u64 s[6:7], s[6:7], s[10:11]
	s_load_b32 s15, s[6:7], 0x0
.LBB108_3:
	s_load_b96 s[12:14], s[0:1], 0x58
	v_lshlrev_b32_e32 v3, 4, v0
	s_mul_u64 s[10:11], s[2:3], s[4:5]
	s_ashr_i32 s3, ttmp9, 31
	s_ashr_i32 s10, s16, 31
	s_lshl_b32 s16, ttmp9, 5
	s_mov_b32 s4, exec_lo
	v_cmpx_gt_u32_e32 4, v0
	s_cbranch_execz .LBB108_5
; %bb.4:
	s_load_b64 s[6:7], s[0:1], 0x18
	s_wait_kmcnt 0x0
	s_mul_i32 s20, s12, s24
	s_ashr_i32 s17, s16, 31
	s_ashr_i32 s21, s20, 31
	s_delay_alu instid0(SALU_CYCLE_1) | instskip(NEXT) | instid1(SALU_CYCLE_1)
	s_lshl_b64 s[20:21], s[20:21], 1
	s_add_nc_u64 s[6:7], s[6:7], s[20:21]
	s_lshl_b64 s[20:21], s[16:17], 1
	s_delay_alu instid0(SALU_CYCLE_1)
	s_add_nc_u64 s[6:7], s[6:7], s[20:21]
	global_load_b128 v[4:7], v3, s[6:7]
	s_wait_loadcnt 0x0
	ds_store_b128 v3, v[4:7]
.LBB108_5:
	s_or_b32 exec_lo, exec_lo, s4
	s_clause 0x1
	s_load_b128 s[4:7], s[0:1], 0x78
	s_load_b32 s20, s[0:1], 0x88
	s_wait_kmcnt 0x0
	s_mul_i32 s12, s11, s18
	s_xor_b32 s3, s3, s10
	s_sub_co_i32 s2, s2, s12
	s_add_co_i32 s10, s11, 1
	s_wait_alu 0xfffe
	s_sub_co_i32 s12, s2, s18
	s_cmp_ge_u32 s2, s18
	s_mov_b32 s22, -1
	s_cselect_b32 s10, s10, s11
	s_cselect_b32 s2, s12, s2
	s_add_co_i32 s11, s10, 1
	s_wait_alu 0xfffe
	s_cmp_ge_u32 s2, s18
	s_wait_dscnt 0x0
	s_cselect_b32 s2, s11, s10
	s_add_co_i32 s21, s31, -1
	s_wait_alu 0xfffe
	s_xor_b32 s2, s2, s3
	s_barrier_signal -1
	s_wait_alu 0xfffe
	s_sub_co_i32 s26, s2, s3
	s_barrier_wait -1
	s_abs_i32 s12, s7
	global_inv scope:SCOPE_SE
	s_cvt_f32_u32 s10, s12
                                        ; implicit-def: $sgpr17
	s_delay_alu instid0(SALU_CYCLE_3) | instskip(NEXT) | instid1(TRANS32_DEP_1)
	v_rcp_iflag_f32_e32 v1, s10
	v_readfirstlane_b32 s10, v1
	s_mul_f32 s2, s10, 0x4f7ffffe
	s_wait_alu 0xfffe
	s_delay_alu instid0(SALU_CYCLE_2) | instskip(SKIP_2) | instid1(SALU_CYCLE_1)
	s_cvt_u32_f32 s10, s2
	s_sub_co_i32 s2, 0, s12
	s_wait_alu 0xfffe
	s_mul_i32 s3, s2, s10
	s_abs_i32 s2, s21
	s_wait_alu 0xfffe
	s_mul_hi_u32 s11, s10, s3
	s_mov_b32 s3, 0
	s_wait_alu 0xfffe
	s_add_co_i32 s18, s10, s11
	s_cmp_lt_i32 s20, 0
	s_mov_b32 s19, s3
	s_cbranch_scc0 .LBB108_7
; %bb.6:
	s_mul_i32 s8, s4, s8
	s_mov_b32 s22, s3
	s_add_co_i32 s8, s26, s8
	s_delay_alu instid0(SALU_CYCLE_1) | instskip(NEXT) | instid1(SALU_CYCLE_1)
	s_mul_i32 s8, s8, s20
	s_sub_co_i32 s17, 1, s8
.LBB108_7:
	s_mul_u64 s[10:11], s[2:3], s[18:19]
	s_ashr_i32 s3, s21, 31
	s_and_not1_b32 vcc_lo, exec_lo, s22
	s_ashr_i32 s19, s7, 31
	s_cbranch_vccnz .LBB108_9
; %bb.8:
	s_mul_i32 s4, s25, s4
	s_delay_alu instid0(SALU_CYCLE_1) | instskip(NEXT) | instid1(SALU_CYCLE_1)
	s_add_co_i32 s4, s4, ttmp9
	s_mul_i32 s4, s4, s20
	s_delay_alu instid0(SALU_CYCLE_1)
	s_add_co_i32 s17, s4, 1
.LBB108_9:
	s_clause 0x2
	s_load_b32 s4, s[0:1], 0x48
	s_load_b64 s[20:21], s[0:1], 0x38
	s_load_b32 s7, s[0:1], 0x98
	s_mul_i32 s8, s11, s12
	s_xor_b32 s3, s3, s19
	s_sub_co_i32 s2, s2, s8
	s_add_co_i32 s10, s11, 1
	v_lshrrev_b32_e32 v9, 5, v0
	v_and_b32_e32 v10, 31, v0
	v_mov_b32_e32 v6, 0xff7fffff
	s_mul_i32 s26, s26, s14
	s_delay_alu instid0(VALU_DEP_3) | instskip(NEXT) | instid1(VALU_DEP_3)
	v_lshl_add_u32 v11, v9, 5, s34
	v_lshlrev_b32_e32 v5, 2, v10
	s_wait_kmcnt 0x0
	s_mul_i32 s22, s4, s24
	s_wait_alu 0xfffe
	s_sub_co_i32 s4, s2, s12
	s_ashr_i32 s23, s22, 31
	s_cmp_ge_u32 s2, s12
	s_cselect_b32 s8, s10, s11
	s_cselect_b32 s2, s4, s2
	s_add_co_i32 s4, s8, 1
	s_wait_alu 0xfffe
	s_cmp_ge_u32 s2, s12
	s_cselect_b32 s2, s4, s8
	s_add_co_i32 s4, s31, 31
	s_lshl_b32 s37, s30, 4
	s_ashr_i32 s8, s4, 31
	v_add_nc_u32_e32 v12, s37, v9
	s_lshr_b32 s8, s8, 27
	s_delay_alu instid0(SALU_CYCLE_1)
	s_add_co_i32 s4, s4, s8
	s_add_co_i32 s8, s37, 16
	s_ashr_i32 s35, s4, 5
	s_wait_alu 0xfffe
	s_xor_b32 s4, s2, s3
	s_min_i32 s33, s8, s35
	v_lshlrev_b32_e32 v4, 2, v12
	v_cmp_gt_i32_e64 s2, s33, v12
	s_sub_co_i32 s36, s4, s3
	s_and_saveexec_b32 s8, s2
	s_cbranch_execz .LBB108_17
; %bb.10:
	s_ashr_i32 s27, s26, 31
	s_wait_alu 0xfffe
	s_sub_co_i32 s10, s36, s5
	s_lshl_b64 s[28:29], s[26:27], 1
	s_cmp_neq_f32 s15, 0
	s_load_b64 s[38:39], s[0:1], 0x20
	v_dual_mov_b32 v7, 0 :: v_dual_lshlrev_b32 v6, 4, v10
	s_cselect_b32 vcc_lo, -1, 0
	s_abs_i32 s11, s6
	s_lshl_b64 s[40:41], s[22:23], 2
	s_wait_alu 0xfffe
	s_cvt_f32_u32 s3, s11
	v_subrev_nc_u32_e32 v2, s31, v10
	s_add_nc_u64 s[40:41], s[20:21], s[40:41]
	v_lshl_or_b32 v15, v9, 7, v5
	s_wait_alu 0xfffe
	v_rcp_iflag_f32_e32 v1, s3
	s_sub_co_i32 s4, 0, s11
	v_dual_mov_b32 v13, 0xff7fffff :: v_dual_add_nc_u32 v14, 1, v2
	v_lshl_add_u32 v8, v9, 5, s34
	v_dual_mov_b32 v18, v12 :: v_dual_add_nc_u32 v15, 0x60, v15
	s_mov_b32 s14, s13
	s_wait_kmcnt 0x0
	s_add_nc_u64 s[28:29], s[38:39], s[28:29]
	s_delay_alu instid0(TRANS32_DEP_1) | instskip(SKIP_1) | instid1(VALU_DEP_1)
	v_readfirstlane_b32 s3, v1
	v_add_co_u32 v1, s27, s40, v4
	v_add_co_ci_u32_e64 v2, null, s41, 0, s27
	s_mul_f32 s3, s3, 0x4f7ffffe
	v_add_co_u32 v16, s27, s28, v6
	s_wait_alu 0xf1ff
	v_add_co_ci_u32_e64 v17, null, s29, 0, s27
	s_wait_alu 0xfffe
	s_cvt_u32_f32 s3, s3
	v_mov_b32_e32 v6, 0xff7fffff
	s_mov_b32 s27, 0
	s_wait_alu 0xfffe
	s_mul_i32 s4, s4, s3
	s_delay_alu instid0(SALU_CYCLE_1) | instskip(NEXT) | instid1(SALU_CYCLE_1)
	s_mul_hi_u32 s4, s3, s4
	s_add_co_i32 s28, s3, s4
	s_branch .LBB108_12
.LBB108_11:                             ;   in Loop: Header=BB108_12 Depth=1
	s_wait_alu 0xfffe
	s_or_b32 exec_lo, exec_lo, s4
	v_add_nc_u32_e32 v18, 4, v18
	v_add_co_u32 v1, s4, v1, 16
	s_wait_alu 0xf1ff
	v_add_co_ci_u32_e64 v2, null, 0, v2, s4
	s_delay_alu instid0(VALU_DEP_3)
	v_cmp_le_i32_e64 s3, s33, v18
	v_add_nc_u32_e32 v8, 0x80, v8
	v_add_nc_u32_e32 v15, 0x200, v15
	s_or_b32 s27, s3, s27
	s_wait_alu 0xfffe
	s_and_not1_b32 exec_lo, exec_lo, s27
	s_cbranch_execz .LBB108_16
.LBB108_12:                             ; =>This Inner Loop Header: Depth=1
	v_sub_nc_u32_e32 v19, 0, v8
	s_delay_alu instid0(VALU_DEP_1) | instskip(NEXT) | instid1(VALU_DEP_1)
	v_max_i32_e32 v19, v8, v19
	v_mul_hi_u32 v20, v19, s18
	s_delay_alu instid0(VALU_DEP_1) | instskip(NEXT) | instid1(VALU_DEP_1)
	v_mul_lo_u32 v21, v20, s12
	v_sub_nc_u32_e32 v19, v19, v21
	v_add_nc_u32_e32 v21, 1, v20
	s_delay_alu instid0(VALU_DEP_2) | instskip(SKIP_2) | instid1(VALU_DEP_1)
	v_subrev_nc_u32_e32 v22, s12, v19
	v_cmp_le_u32_e64 s3, s12, v19
	s_wait_alu 0xf1ff
	v_cndmask_b32_e64 v20, v20, v21, s3
	s_delay_alu instid0(VALU_DEP_3) | instskip(SKIP_1) | instid1(VALU_DEP_3)
	v_cndmask_b32_e64 v19, v19, v22, s3
	v_ashrrev_i32_e32 v21, 31, v8
	v_add_nc_u32_e32 v22, 1, v20
	s_delay_alu instid0(VALU_DEP_3) | instskip(NEXT) | instid1(VALU_DEP_3)
	v_cmp_le_u32_e64 s3, s12, v19
	v_xor_b32_e32 v21, s19, v21
	s_wait_alu 0xf1ff
	s_delay_alu instid0(VALU_DEP_2) | instskip(NEXT) | instid1(VALU_DEP_1)
	v_cndmask_b32_e64 v19, v20, v22, s3
	v_xor_b32_e32 v19, v19, v21
	s_delay_alu instid0(VALU_DEP_1) | instskip(NEXT) | instid1(VALU_DEP_1)
	v_sub_nc_u32_e32 v19, v19, v21
	v_add_nc_u32_e32 v20, s17, v19
	v_cmp_ge_i32_e64 s4, s10, v19
	s_delay_alu instid0(VALU_DEP_2) | instskip(NEXT) | instid1(VALU_DEP_1)
	v_sub_nc_u32_e32 v21, 0, v20
	v_max_i32_e32 v21, v20, v21
	v_ashrrev_i32_e32 v20, 31, v20
	s_wait_alu 0xfffe
	s_delay_alu instid0(VALU_DEP_2) | instskip(NEXT) | instid1(VALU_DEP_1)
	v_mul_hi_u32 v22, v21, s28
	v_mul_lo_u32 v22, v22, s11
	s_delay_alu instid0(VALU_DEP_1) | instskip(NEXT) | instid1(VALU_DEP_1)
	v_sub_nc_u32_e32 v21, v21, v22
	v_subrev_nc_u32_e32 v22, s11, v21
	v_cmp_le_u32_e64 s3, s11, v21
	s_wait_alu 0xf1ff
	s_delay_alu instid0(VALU_DEP_1) | instskip(NEXT) | instid1(VALU_DEP_1)
	v_cndmask_b32_e64 v21, v21, v22, s3
	v_subrev_nc_u32_e32 v22, s11, v21
	v_cmp_le_u32_e64 s3, s11, v21
	s_wait_alu 0xf1ff
	s_delay_alu instid0(VALU_DEP_1) | instskip(NEXT) | instid1(VALU_DEP_1)
	v_cndmask_b32_e64 v21, v21, v22, s3
	v_xor_b32_e32 v21, v21, v20
	s_delay_alu instid0(VALU_DEP_1) | instskip(NEXT) | instid1(VALU_DEP_1)
	v_sub_nc_u32_e32 v20, v21, v20
	v_cmp_ne_u32_e64 s3, 0, v20
	s_and_b32 s3, s3, s4
	s_wait_alu 0xfffe
	s_and_saveexec_b32 s4, s3
	s_wait_alu 0xfffe
	s_xor_b32 s3, exec_lo, s4
; %bb.13:                               ;   in Loop: Header=BB108_12 Depth=1
	ds_store_b32 v15, v13
; %bb.14:                               ;   in Loop: Header=BB108_12 Depth=1
	s_wait_alu 0xfffe
	s_and_not1_saveexec_b32 s4, s3
	s_cbranch_execz .LBB108_11
; %bb.15:                               ;   in Loop: Header=BB108_12 Depth=1
	global_load_b32 v19, v[1:2], off
	s_wait_loadcnt 0x0
	v_mad_co_i64_i32 v[19:20], null, v19, s14, 0
	s_delay_alu instid0(VALU_DEP_1) | instskip(NEXT) | instid1(VALU_DEP_1)
	v_lshlrev_b64_e32 v[19:20], 1, v[19:20]
	v_add_co_u32 v31, s3, v16, v19
	s_wait_alu 0xf1ff
	s_delay_alu instid0(VALU_DEP_2)
	v_add_co_ci_u32_e64 v32, null, v17, v20, s3
	s_clause 0x3
	global_load_b128 v[19:22], v[31:32], off
	global_load_b128 v[23:26], v[31:32], off offset:512
	global_load_b128 v[27:30], v[31:32], off offset:1024
	;; [unrolled: 1-line block ×3, first 2 shown]
	ds_load_b128 v[35:38], v7
	s_wait_dscnt 0x0
	v_lshrrev_b32_e32 v39, 16, v35
	v_and_b32_e32 v35, 0xffff, v35
	v_lshrrev_b32_e32 v48, 16, v38
	v_and_b32_e32 v47, 0xffff, v38
	;; [unrolled: 2-line block ×4, first 2 shown]
	;;#ASMSTART
	v_cvt_f32_f16 v35, v35;
	;;#ASMEND
	;;#ASMSTART
	v_cvt_f32_f16 v36, v39;
	;;#ASMEND
	s_wait_loadcnt 0x3
	v_lshrrev_b32_e32 v38, 16, v19
	v_and_b32_e32 v19, 0xffff, v19
	v_lshrrev_b32_e32 v42, 16, v20
	v_and_b32_e32 v20, 0xffff, v20
	v_lshrrev_b32_e32 v46, 16, v21
	v_lshrrev_b32_e32 v50, 16, v22
	v_and_b32_e32 v22, 0xffff, v22
	;;#ASMSTART
	v_cvt_f32_f16 v37, v19;
	;;#ASMEND
	;;#ASMSTART
	v_cvt_f32_f16 v38, v38;
	;;#ASMEND
	v_and_b32_e32 v21, 0xffff, v21
	;;#ASMSTART
	v_cvt_f32_f16 v39, v41;
	;;#ASMEND
	;;#ASMSTART
	v_cvt_f32_f16 v40, v40;
	;;#ASMEND
	;; [unrolled: 3-line block ×12, first 2 shown]
	ds_load_b128 v[19:22], v7 offset:16
	s_wait_loadcnt 0x2
	v_lshrrev_b32_e32 v52, 16, v23
	v_and_b32_e32 v53, 0xffff, v23
	v_lshrrev_b32_e32 v55, 16, v24
	v_and_b32_e32 v54, 0xffff, v24
	;; [unrolled: 2-line block ×3, first 2 shown]
	v_lshrrev_b32_e32 v63, 16, v26
	s_wait_loadcnt 0x1
	v_lshrrev_b32_e32 v66, 16, v28
	s_wait_loadcnt 0x0
	v_lshrrev_b32_e32 v74, 16, v32
	v_and_b32_e32 v75, 0xffff, v32
	v_lshrrev_b32_e32 v64, 16, v27
	v_lshrrev_b32_e32 v68, 16, v29
	v_and_b32_e32 v69, 0xffff, v29
	v_lshrrev_b32_e32 v70, 16, v30
	v_and_b32_e32 v71, 0xffff, v30
	v_lshrrev_b32_e32 v72, 16, v31
	v_and_b32_e32 v73, 0xffff, v31
	v_lshrrev_b32_e32 v76, 16, v33
	v_lshrrev_b32_e32 v78, 16, v34
	s_wait_dscnt 0x0
	v_lshrrev_b32_e32 v24, 16, v19
	v_and_b32_e32 v19, 0xffff, v19
	;;#ASMSTART
	v_cvt_f32_f16 v23, v19;
	;;#ASMEND
	;;#ASMSTART
	v_cvt_f32_f16 v24, v24;
	;;#ASMEND
	;; [unrolled: 3-line block ×3, first 2 shown]
	v_dual_mul_f32 v23, v23, v25 :: v_dual_and_b32 v62, 0xffff, v26
	;;#ASMSTART
	v_cvt_f32_f16 v26, v52;
	;;#ASMEND
	v_lshrrev_b32_e32 v56, 16, v20
	v_and_b32_e32 v20, 0xffff, v20
	;;#ASMSTART
	v_cvt_f32_f16 v52, v20;
	;;#ASMEND
	;;#ASMSTART
	v_cvt_f32_f16 v53, v56;
	;;#ASMEND
	;; [unrolled: 3-line block ×4, first 2 shown]
	v_mul_f32_e32 v24, v24, v26
	v_dual_mul_f32 v26, v53, v55 :: v_dual_add_nc_u32 v51, v14, v8
	v_lshrrev_b32_e32 v57, 16, v21
	v_lshrrev_b32_e32 v61, 16, v22
	v_dual_fmac_f32 v23, v35, v37 :: v_dual_and_b32 v22, 0xffff, v22
	s_delay_alu instid0(VALU_DEP_4)
	v_dual_fmac_f32 v26, v40, v42 :: v_dual_and_b32 v21, 0xffff, v21
	;;#ASMSTART
	v_cvt_f32_f16 v56, v21;
	;;#ASMEND
	;;#ASMSTART
	v_cvt_f32_f16 v57, v57;
	;;#ASMEND
	v_mul_f32_e32 v25, v52, v54
	;;#ASMSTART
	v_cvt_f32_f16 v58, v58;
	;;#ASMEND
	;;#ASMSTART
	v_cvt_f32_f16 v59, v59;
	;;#ASMEND
	;; [unrolled: 3-line block ×6, first 2 shown]
	ds_load_b128 v[19:22], v7 offset:32
	v_mul_f32_e32 v56, v56, v58
	v_dual_mul_f32 v58, v60, v62 :: v_dual_mul_f32 v57, v57, v59
	v_fmac_f32_e32 v25, v39, v41
	v_cvt_f32_i32_e32 v51, v51
	v_and_b32_e32 v77, 0xffff, v33
	s_delay_alu instid0(VALU_DEP_4)
	v_dual_fmac_f32 v58, v47, v49 :: v_dual_and_b32 v67, 0xffff, v28
	v_dual_fmac_f32 v56, v43, v45 :: v_dual_and_b32 v65, 0xffff, v27
	v_fmac_f32_e32 v57, v44, v46
	v_and_b32_e32 v79, 0xffff, v34
	v_dual_fmac_f32 v24, v36, v38 :: v_dual_mul_f32 v59, v61, v63
	s_wait_dscnt 0x0
	v_lshrrev_b32_e32 v28, 16, v19
	v_lshrrev_b32_e32 v32, 16, v20
	v_and_b32_e32 v19, 0xffff, v19
	v_and_b32_e32 v20, 0xffff, v20
	v_lshrrev_b32_e32 v53, 16, v21
	v_and_b32_e32 v21, 0xffff, v21
	v_lshrrev_b32_e32 v80, 16, v22
	;;#ASMSTART
	v_cvt_f32_f16 v27, v19;
	;;#ASMEND
	;;#ASMSTART
	v_cvt_f32_f16 v28, v28;
	;;#ASMEND
	;; [unrolled: 3-line block ×7, first 2 shown]
	v_dual_fmac_f32 v25, v31, v33 :: v_dual_and_b32 v22, 0xffff, v22
	;;#ASMSTART
	v_cvt_f32_f16 v34, v66;
	;;#ASMEND
	;;#ASMSTART
	v_cvt_f32_f16 v52, v21;
	;;#ASMEND
	;; [unrolled: 3-line block ×9, first 2 shown]
	ds_load_b128 v[19:22], v7 offset:48
	v_dual_fmac_f32 v23, v27, v29 :: v_dual_fmac_f32 v24, v28, v30
	v_fmac_f32_e32 v59, v48, v50
	v_fmac_f32_e32 v26, v32, v34
	v_dual_fmac_f32 v56, v52, v54 :: v_dual_fmac_f32 v57, v53, v55
	s_wait_dscnt 0x0
	v_dual_fmac_f32 v58, v64, v66 :: v_dual_and_b32 v27, 0xffff, v19
	v_lshrrev_b32_e32 v28, 16, v19
	v_lshrrev_b32_e32 v29, 16, v20
	v_and_b32_e32 v30, 0xffff, v20
	;;#ASMSTART
	v_cvt_f32_f16 v19, v27;
	;;#ASMEND
	;;#ASMSTART
	v_cvt_f32_f16 v20, v28;
	;;#ASMEND
	;; [unrolled: 3-line block ×4, first 2 shown]
	v_dual_fmac_f32 v23, v19, v27 :: v_dual_fmac_f32 v24, v20, v28
	;;#ASMSTART
	v_cvt_f32_f16 v19, v30;
	;;#ASMEND
	;;#ASMSTART
	v_cvt_f32_f16 v20, v29;
	;;#ASMEND
	;; [unrolled: 3-line block ×3, first 2 shown]
	v_fmac_f32_e32 v25, v19, v27
	v_add_f32_e32 v19, v23, v24
	v_and_b32_e32 v23, 0xffff, v21
	v_lshrrev_b32_e32 v24, 16, v21
	;;#ASMSTART
	v_cvt_f32_f16 v21, v74;
	;;#ASMEND
	v_fmac_f32_e32 v26, v20, v21
	v_add_f32_e32 v19, v19, v25
	;;#ASMSTART
	v_cvt_f32_f16 v20, v23;
	;;#ASMEND
	;;#ASMSTART
	v_cvt_f32_f16 v21, v24;
	;;#ASMEND
	;; [unrolled: 3-line block ×3, first 2 shown]
	v_fmac_f32_e32 v56, v20, v23
	v_add_f32_e32 v19, v26, v19
	;;#ASMSTART
	v_cvt_f32_f16 v20, v76;
	;;#ASMEND
	v_fmac_f32_e32 v57, v21, v20
	v_and_b32_e32 v23, 0xffff, v22
	v_lshrrev_b32_e32 v22, 16, v22
	v_add_f32_e32 v19, v19, v56
	v_fmac_f32_e32 v59, v65, v67
	;;#ASMSTART
	v_cvt_f32_f16 v20, v23;
	;;#ASMEND
	;;#ASMSTART
	v_cvt_f32_f16 v21, v22;
	;;#ASMEND
	;; [unrolled: 3-line block ×3, first 2 shown]
	v_dual_fmac_f32 v58, v20, v22 :: v_dual_add_f32 v19, v57, v19
	v_mul_f32_e32 v20, s15, v51
	;;#ASMSTART
	v_cvt_f32_f16 v22, v78;
	;;#ASMEND
	v_fmac_f32_e32 v59, v21, v22
	v_max_num_f32_e32 v21, v6, v6
	s_delay_alu instid0(VALU_DEP_3) | instskip(NEXT) | instid1(VALU_DEP_1)
	v_dual_add_f32 v19, v19, v58 :: v_dual_cndmask_b32 v20, 0, v20
	v_add_f32_e32 v19, v59, v19
	s_delay_alu instid0(VALU_DEP_1) | instskip(NEXT) | instid1(VALU_DEP_1)
	v_dual_fmac_f32 v20, s9, v19 :: v_dual_add_nc_u32 v19, v10, v8
	v_max_num_f32_e32 v21, v21, v20
	s_delay_alu instid0(VALU_DEP_2) | instskip(SKIP_1) | instid1(VALU_DEP_1)
	v_cmp_gt_i32_e64 s3, s31, v19
	s_wait_alu 0xf1ff
	v_cndmask_b32_e64 v19, 0, v20, s3
	s_delay_alu instid0(VALU_DEP_3)
	v_cndmask_b32_e64 v6, v6, v21, s3
	ds_store_b32 v15, v19
	s_branch .LBB108_11
.LBB108_16:
	s_or_b32 exec_lo, exec_lo, s27
.LBB108_17:
	s_delay_alu instid0(SALU_CYCLE_1)
	s_or_b32 exec_lo, exec_lo, s8
	v_mbcnt_lo_u32_b32 v1, -1, 0
	s_clause 0x2
	s_load_b128 s[8:11], s[0:1], 0x0
	s_load_b64 s[14:15], s[0:1], 0x10
	s_load_b64 s[28:29], s[0:1], 0x28
	v_xor_b32_e32 v2, 16, v1
	v_xor_b32_e32 v8, 8, v1
	s_delay_alu instid0(VALU_DEP_2) | instskip(SKIP_2) | instid1(VALU_DEP_3)
	v_cmp_gt_i32_e32 vcc_lo, 32, v2
	s_wait_alu 0xfffd
	v_cndmask_b32_e32 v2, v1, v2, vcc_lo
	v_cmp_gt_i32_e32 vcc_lo, 32, v8
	v_max_num_f32_e32 v13, v6, v6
	s_delay_alu instid0(VALU_DEP_3) | instskip(SKIP_4) | instid1(VALU_DEP_1)
	v_lshlrev_b32_e32 v2, 2, v2
	ds_bpermute_b32 v7, v2, v6
	s_wait_dscnt 0x0
	s_wait_alu 0xfffd
	v_dual_cndmask_b32 v6, v1, v8 :: v_dual_max_num_f32 v7, v7, v7
	v_max_num_f32_e32 v7, v13, v7
	v_xor_b32_e32 v13, 4, v1
	s_delay_alu instid0(VALU_DEP_1)
	v_cmp_gt_i32_e32 vcc_lo, 32, v13
	s_wait_alu 0xfffd
	v_dual_cndmask_b32 v13, v1, v13 :: v_dual_lshlrev_b32 v6, 2, v6
	ds_bpermute_b32 v8, v6, v7
	s_wait_dscnt 0x0
	v_max_num_f32_e32 v14, v8, v8
	s_delay_alu instid0(VALU_DEP_1)
	v_dual_max_num_f32 v7, v7, v14 :: v_dual_lshlrev_b32 v8, 2, v13
	v_xor_b32_e32 v14, 2, v1
	ds_bpermute_b32 v13, v8, v7
	v_cmp_gt_i32_e32 vcc_lo, 32, v14
	s_wait_dscnt 0x0
	v_max_num_f32_e32 v15, v13, v13
	s_wait_alu 0xfffd
	s_delay_alu instid0(VALU_DEP_1) | instskip(NEXT) | instid1(VALU_DEP_1)
	v_dual_cndmask_b32 v14, v1, v14 :: v_dual_max_num_f32 v7, v7, v15
	v_lshlrev_b32_e32 v13, 2, v14
	v_xor_b32_e32 v15, 1, v1
	ds_bpermute_b32 v14, v13, v7
	v_cmp_gt_i32_e32 vcc_lo, 32, v15
	s_wait_alu 0xfffd
	v_cndmask_b32_e32 v15, v1, v15, vcc_lo
	v_cmp_eq_u32_e32 vcc_lo, 0, v10
	s_wait_dscnt 0x0
	v_max_num_f32_e32 v14, v14, v14
	s_delay_alu instid0(VALU_DEP_1)
	v_dual_max_num_f32 v1, v7, v14 :: v_dual_lshlrev_b32 v14, 2, v15
	v_lshlrev_b32_e32 v15, 2, v9
	ds_bpermute_b32 v7, v14, v1
	s_and_saveexec_b32 s0, vcc_lo
	s_cbranch_execz .LBB108_19
; %bb.18:
	s_wait_dscnt 0x0
	v_max_num_f32_e32 v7, v7, v7
	v_max_num_f32_e32 v1, v1, v1
	s_delay_alu instid0(VALU_DEP_1)
	v_max_num_f32_e32 v1, v1, v7
	ds_store_b32 v15, v1 offset:64
.LBB108_19:
	s_or_b32 exec_lo, exec_lo, s0
	v_cmp_gt_u32_e64 s0, 4, v10
	v_mov_b32_e32 v1, 0xff7fffff
	s_wait_loadcnt_dscnt 0x0
	s_barrier_signal -1
	s_barrier_wait -1
	global_inv scope:SCOPE_SE
	s_and_saveexec_b32 s1, s0
; %bb.20:
	ds_load_b32 v1, v5 offset:64
; %bb.21:
	s_or_b32 exec_lo, exec_lo, s1
	s_wait_dscnt 0x0
	ds_bpermute_b32 v7, v13, v1
	v_dual_max_num_f32 v1, v1, v1 :: v_dual_mov_b32 v16, 0
	s_sub_co_i32 s1, s33, s37
	s_delay_alu instid0(SALU_CYCLE_1) | instskip(NEXT) | instid1(SALU_CYCLE_1)
	s_lshl_b32 s1, s1, 5
	s_add_co_i32 s1, s1, s34
	s_delay_alu instid0(SALU_CYCLE_1) | instskip(NEXT) | instid1(SALU_CYCLE_1)
	s_min_i32 s1, s1, s31
	s_sub_co_i32 s4, s1, s34
	s_wait_alu 0xfffe
	v_cmp_gt_i32_e64 s1, s4, v0
	s_wait_dscnt 0x0
	v_max_num_f32_e32 v7, v7, v7
	s_delay_alu instid0(VALU_DEP_1) | instskip(SKIP_3) | instid1(VALU_DEP_1)
	v_max_num_f32_e32 v1, v1, v7
	ds_bpermute_b32 v7, v14, v1
	s_wait_dscnt 0x0
	v_max_num_f32_e32 v7, v7, v7
	v_max_num_f32_e32 v1, v1, v7
	v_lshl_add_u32 v7, v0, 2, 0x60
	ds_bpermute_b32 v1, v16, v1
	s_and_saveexec_b32 s27, s1
	s_cbranch_execz .LBB108_25
; %bb.22:
	v_lshl_add_u32 v17, v0, 2, 0x60
	v_mov_b32_e32 v16, 0
	v_mov_b32_e32 v18, v0
	s_mov_b32 s34, 0
.LBB108_23:                             ; =>This Inner Loop Header: Depth=1
	ds_load_b32 v19, v17
	v_add_nc_u32_e32 v18, 0x80, v18
	s_delay_alu instid0(VALU_DEP_1) | instskip(SKIP_4) | instid1(VALU_DEP_1)
	v_cmp_le_i32_e64 s3, s4, v18
	s_wait_alu 0xfffe
	s_or_b32 s34, s3, s34
	s_wait_dscnt 0x0
	v_sub_f32_e32 v19, v19, v1
	v_mul_f32_e32 v19, 0x3fb8aa3b, v19
	s_delay_alu instid0(VALU_DEP_1)
	v_exp_f32_e32 v19, v19
	ds_store_b32 v17, v19
	v_dual_add_f32 v16, v16, v19 :: v_dual_add_nc_u32 v17, 0x200, v17
	s_wait_alu 0xfffe
	s_and_not1_b32 exec_lo, exec_lo, s34
	s_cbranch_execnz .LBB108_23
; %bb.24:
	s_or_b32 exec_lo, exec_lo, s34
.LBB108_25:
	s_wait_alu 0xfffe
	s_or_b32 exec_lo, exec_lo, s27
	ds_bpermute_b32 v2, v2, v16
	s_wait_dscnt 0x0
	v_add_f32_e32 v2, v16, v2
	ds_bpermute_b32 v6, v6, v2
	s_wait_dscnt 0x0
	v_add_f32_e32 v2, v2, v6
	;; [unrolled: 3-line block ×5, first 2 shown]
	s_and_saveexec_b32 s3, vcc_lo
; %bb.26:
	ds_store_b32 v15, v2 offset:80
; %bb.27:
	s_wait_alu 0xfffe
	s_or_b32 exec_lo, exec_lo, s3
	s_wait_loadcnt_dscnt 0x0
	s_barrier_signal -1
	s_barrier_wait -1
	global_inv scope:SCOPE_SE
	s_and_saveexec_b32 s3, s0
; %bb.28:
	ds_load_b32 v2, v5 offset:80
; %bb.29:
	s_wait_alu 0xfffe
	s_or_b32 exec_lo, exec_lo, s3
	s_wait_dscnt 0x0
	ds_bpermute_b32 v5, v13, v2
	s_wait_dscnt 0x0
	v_add_f32_e32 v2, v2, v5
	ds_bpermute_b32 v5, v14, v2
	s_wait_dscnt 0x0
	v_dual_add_f32 v2, v2, v5 :: v_dual_mov_b32 v5, 0
	ds_bpermute_b32 v2, v5, v2
	s_and_saveexec_b32 s0, s1
	s_cbranch_execz .LBB108_32
; %bb.30:
	s_wait_dscnt 0x0
	v_add_f32_e32 v5, 0x358637bd, v2
	s_mov_b32 s1, 0
	s_delay_alu instid0(VALU_DEP_1) | instskip(NEXT) | instid1(VALU_DEP_1)
	v_div_scale_f32 v6, null, v5, v5, 1.0
	v_rcp_f32_e32 v8, v6
	s_delay_alu instid0(TRANS32_DEP_1) | instskip(NEXT) | instid1(VALU_DEP_1)
	v_fma_f32 v15, -v6, v8, 1.0
	v_fmac_f32_e32 v8, v15, v8
	v_div_scale_f32 v16, vcc_lo, 1.0, v5, 1.0
	s_delay_alu instid0(VALU_DEP_1) | instskip(NEXT) | instid1(VALU_DEP_1)
	v_mul_f32_e32 v15, v16, v8
	v_fma_f32 v17, -v6, v15, v16
	s_delay_alu instid0(VALU_DEP_1) | instskip(NEXT) | instid1(VALU_DEP_1)
	v_fmac_f32_e32 v15, v17, v8
	v_fma_f32 v6, -v6, v15, v16
	s_wait_alu 0xfffd
	s_delay_alu instid0(VALU_DEP_1) | instskip(NEXT) | instid1(VALU_DEP_1)
	v_div_fmas_f32 v6, v6, v8, v15
	v_div_fixup_f32 v5, v6, v5, 1.0
	v_mov_b32_e32 v6, v0
.LBB108_31:                             ; =>This Inner Loop Header: Depth=1
	ds_load_b32 v8, v7
	v_add_nc_u32_e32 v6, 0x80, v6
	s_delay_alu instid0(VALU_DEP_1)
	v_cmp_le_i32_e32 vcc_lo, s4, v6
	s_or_b32 s1, vcc_lo, s1
	s_wait_dscnt 0x0
	v_mul_f32_e32 v8, v5, v8
	ds_store_b32 v7, v8
	v_add_nc_u32_e32 v7, 0x200, v7
	s_and_not1_b32 exec_lo, exec_lo, s1
	s_cbranch_execnz .LBB108_31
.LBB108_32:
	s_or_b32 exec_lo, exec_lo, s0
	s_mul_i32 s0, s7, s24
	s_wait_loadcnt_dscnt 0x0
	s_mul_i32 s24, s0, s25
	s_mov_b32 s0, exec_lo
	s_barrier_signal -1
	s_barrier_wait -1
	global_inv scope:SCOPE_SE
	v_cmpx_eq_u32_e32 0, v0
	s_cbranch_execz .LBB108_34
; %bb.33:
	s_ashr_i32 s25, s24, 31
	s_mul_i32 s38, s7, ttmp9
	s_lshl_b32 s1, s30, 2
	s_lshl_b64 s[40:41], s[24:25], 2
	s_ashr_i32 s39, s38, 31
	v_mov_b32_e32 v5, s1
	s_wait_kmcnt 0x0
	s_wait_alu 0xfffe
	s_add_nc_u64 s[10:11], s[10:11], s[40:41]
	s_lshl_b64 s[38:39], s[38:39], 2
	s_add_nc_u64 s[8:9], s[8:9], s[40:41]
	s_wait_alu 0xfffe
	s_add_nc_u64 s[10:11], s[10:11], s[38:39]
	s_add_nc_u64 s[8:9], s[8:9], s[38:39]
	s_clause 0x1
	global_store_b32 v5, v1, s[10:11]
	global_store_b32 v5, v2, s[8:9]
.LBB108_34:
	s_or_b32 exec_lo, exec_lo, s0
	v_dual_mov_b32 v18, 0 :: v_dual_and_b32 v15, 3, v0
	v_dual_mov_b32 v19, 0 :: v_dual_mov_b32 v16, 0
	v_mov_b32_e32 v17, 0
	s_and_saveexec_b32 s1, s2
	s_cbranch_execz .LBB108_48
; %bb.35:
	s_abs_i32 s2, s6
	v_dual_mov_b32 v18, 0 :: v_dual_lshlrev_b32 v7, 5, v15
	s_wait_alu 0xfffe
	s_cvt_f32_u32 s0, s2
	s_ashr_i32 s27, s26, 31
	s_wait_kmcnt 0x0
	s_lshl_b64 s[8:9], s[22:23], 2
	v_dual_mov_b32 v16, 0 :: v_dual_and_b32 v3, 0x1f0, v3
	s_wait_alu 0xfffe
	v_rcp_iflag_f32_e32 v1, s0
	s_lshl_b64 s[10:11], s[26:27], 1
	s_add_nc_u64 s[8:9], s[20:21], s[8:9]
	v_dual_mov_b32 v17, 0 :: v_dual_lshlrev_b32 v2, 3, v0
	s_wait_alu 0xfffe
	s_add_nc_u64 s[10:11], s[28:29], s[10:11]
	v_add_co_u32 v5, s6, s8, v4
	s_sub_co_i32 s3, s36, s5
	s_sub_co_i32 s5, 0, s2
	s_delay_alu instid0(TRANS32_DEP_1)
	v_readfirstlane_b32 s0, v1
	v_lshl_or_b32 v1, v9, 7, v7
	v_add_co_ci_u32_e64 v6, null, s9, 0, s6
	s_wait_alu 0xfffe
	v_add_co_u32 v21, s6, s10, v3
	s_mul_f32 s0, s0, 0x4f7ffffe
	v_dual_mov_b32 v19, 0 :: v_dual_and_b32 v20, 24, v2
	v_add_co_ci_u32_e64 v22, null, s11, 0, s6
	s_wait_alu 0xfffe
	s_cvt_u32_f32 s0, s0
	v_add_nc_u32_e32 v23, 0x60, v1
	s_mov_b32 s4, s13
	s_add_co_i32 s35, s35, -1
	s_wait_alu 0xfffe
	s_mul_i32 s5, s5, s0
	s_wait_alu 0xfffe
	s_mul_hi_u32 s6, s0, s5
	s_mov_b32 s5, 0
	s_wait_alu 0xfffe
	s_add_co_i32 s6, s0, s6
	s_branch .LBB108_38
.LBB108_36:                             ;   in Loop: Header=BB108_38 Depth=1
	s_wait_alu 0xfffe
	s_or_b32 exec_lo, exec_lo, s0
	v_lshlrev_b32_e32 v24, 16, v42
	v_lshlrev_b32_e32 v8, 16, v8
	;; [unrolled: 1-line block ×3, first 2 shown]
	s_delay_alu instid0(VALU_DEP_3) | instskip(NEXT) | instid1(VALU_DEP_3)
	v_and_or_b32 v1, 0xffff, v1, v24
	v_and_or_b32 v2, 0xffff, v2, v8
	s_delay_alu instid0(VALU_DEP_3)
	v_and_or_b32 v3, 0xffff, v3, v7
	;;#ASMSTART
	v_pk_mul_f16 v1, v33, v1;

	;;#ASMEND
	;;#ASMSTART
	v_pk_mul_f16 v2, v32, v2;

	;;#ASMEND
	;;#ASMSTART
	v_pk_mul_f16 v3, v36, v3;

	;;#ASMEND
	;;#ASMSTART
	v_pk_mul_f16 v4, v37, v4;

	;;#ASMEND
	;;#ASMSTART
	v_pk_add_f16 v1, v1, v2;

	;;#ASMEND
	;;#ASMSTART
	v_pk_add_f16 v1, v1, v3;

	;;#ASMEND
	;; [unrolled: 4-line block ×3, first 2 shown]
	v_lshrrev_b32_e32 v7, 16, v1
	v_add_f32_e32 v2, v38, v39
	v_and_b32_e32 v4, 0xffff, v1
	v_add_f32_e32 v1, v40, v41
	v_add_f32_e32 v3, v34, v35
	s_delay_alu instid0(VALU_DEP_2)
	v_add_f32_e32 v17, v17, v1
	v_add_f32_e32 v19, v19, v2
	;;#ASMSTART
	v_cvt_f32_f16 v4, v4;
	;;#ASMEND
	;;#ASMSTART
	v_cvt_f32_f16 v7, v7;
	;;#ASMEND
	v_add_f32_e32 v4, v4, v7
	v_add_f32_e32 v18, v18, v3
	s_delay_alu instid0(VALU_DEP_2)
	v_add_f32_e32 v16, v16, v4
.LBB108_37:                             ;   in Loop: Header=BB108_38 Depth=1
	s_wait_alu 0xfffe
	s_or_b32 exec_lo, exec_lo, s8
	v_add_nc_u32_e32 v12, 4, v12
	v_add_co_u32 v5, s0, v5, 16
	s_wait_alu 0xf1ff
	v_add_co_ci_u32_e64 v6, null, 0, v6, s0
	s_delay_alu instid0(VALU_DEP_3)
	v_cmp_le_i32_e32 vcc_lo, s33, v12
	v_add_nc_u32_e32 v11, 0x80, v11
	v_add_nc_u32_e32 v23, 0x200, v23
	s_or_b32 s5, vcc_lo, s5
	s_wait_alu 0xfffe
	s_and_not1_b32 exec_lo, exec_lo, s5
	s_cbranch_execz .LBB108_47
.LBB108_38:                             ; =>This Inner Loop Header: Depth=1
	v_sub_nc_u32_e32 v1, 0, v11
	s_delay_alu instid0(VALU_DEP_1) | instskip(NEXT) | instid1(VALU_DEP_1)
	v_max_i32_e32 v1, v11, v1
	v_mul_hi_u32 v2, v1, s18
	s_delay_alu instid0(VALU_DEP_1) | instskip(NEXT) | instid1(VALU_DEP_1)
	v_mul_lo_u32 v3, v2, s12
	v_sub_nc_u32_e32 v1, v1, v3
	v_add_nc_u32_e32 v3, 1, v2
	s_delay_alu instid0(VALU_DEP_2) | instskip(SKIP_2) | instid1(VALU_DEP_2)
	v_subrev_nc_u32_e32 v4, s12, v1
	v_cmp_le_u32_e32 vcc_lo, s12, v1
	s_wait_alu 0xfffd
	v_dual_cndmask_b32 v2, v2, v3 :: v_dual_cndmask_b32 v1, v1, v4
	v_ashrrev_i32_e32 v3, 31, v11
	s_delay_alu instid0(VALU_DEP_2) | instskip(NEXT) | instid1(VALU_DEP_3)
	v_add_nc_u32_e32 v4, 1, v2
	v_cmp_le_u32_e32 vcc_lo, s12, v1
	s_delay_alu instid0(VALU_DEP_3) | instskip(SKIP_1) | instid1(VALU_DEP_3)
	v_xor_b32_e32 v3, s19, v3
	s_wait_alu 0xfffd
	v_cndmask_b32_e32 v1, v2, v4, vcc_lo
	s_delay_alu instid0(VALU_DEP_1) | instskip(NEXT) | instid1(VALU_DEP_1)
	v_xor_b32_e32 v1, v1, v3
	v_sub_nc_u32_e32 v1, v1, v3
	s_delay_alu instid0(VALU_DEP_1) | instskip(SKIP_1) | instid1(VALU_DEP_2)
	v_add_nc_u32_e32 v2, s17, v1
	v_cmp_lt_i32_e64 s0, s3, v1
	v_sub_nc_u32_e32 v3, 0, v2
	s_delay_alu instid0(VALU_DEP_1) | instskip(SKIP_1) | instid1(VALU_DEP_1)
	v_max_i32_e32 v3, v2, v3
	s_wait_alu 0xfffe
	v_mul_hi_u32 v4, v3, s6
	s_delay_alu instid0(VALU_DEP_1) | instskip(NEXT) | instid1(VALU_DEP_1)
	v_mul_lo_u32 v4, v4, s2
	v_sub_nc_u32_e32 v3, v3, v4
	s_delay_alu instid0(VALU_DEP_1) | instskip(SKIP_2) | instid1(VALU_DEP_2)
	v_subrev_nc_u32_e32 v4, s2, v3
	v_cmp_le_u32_e32 vcc_lo, s2, v3
	s_wait_alu 0xfffd
	v_cndmask_b32_e32 v3, v3, v4, vcc_lo
	v_ashrrev_i32_e32 v2, 31, v2
	s_delay_alu instid0(VALU_DEP_2) | instskip(SKIP_2) | instid1(VALU_DEP_2)
	v_subrev_nc_u32_e32 v4, s2, v3
	v_cmp_le_u32_e32 vcc_lo, s2, v3
	s_wait_alu 0xfffd
	v_cndmask_b32_e32 v3, v3, v4, vcc_lo
	s_delay_alu instid0(VALU_DEP_1) | instskip(NEXT) | instid1(VALU_DEP_1)
	v_xor_b32_e32 v3, v3, v2
	v_sub_nc_u32_e32 v2, v3, v2
	s_delay_alu instid0(VALU_DEP_1)
	v_cmp_eq_u32_e32 vcc_lo, 0, v2
	s_or_b32 s0, vcc_lo, s0
	s_wait_alu 0xfffe
	s_and_saveexec_b32 s8, s0
	s_cbranch_execz .LBB108_37
; %bb.39:                               ;   in Loop: Header=BB108_38 Depth=1
	global_load_b32 v7, v[5:6], off
	ds_load_2addr_b64 v[1:4], v23 offset1:1
	ds_load_2addr_b64 v[24:27], v23 offset0:2 offset1:3
	v_add_nc_u32_e32 v29, v20, v11
	s_wait_dscnt 0x1
	;;#ASMSTART
	v_cvt_f16_f32 v33, v1;

	;;#ASMEND
	;;#ASMSTART
	v_cvt_f16_f32 v32, v2;

	;;#ASMEND
	;; [unrolled: 4-line block ×4, first 2 shown]
	s_wait_dscnt 0x0
	;;#ASMSTART
	v_cvt_f16_f32 v39, v24;

	;;#ASMEND
	;;#ASMSTART
	v_cvt_f16_f32 v35, v25;

	;;#ASMEND
	;; [unrolled: 4-line block ×4, first 2 shown]
	v_add_nc_u32_e32 v31, 1, v29
	v_add_nc_u32_e32 v30, 2, v29
	;; [unrolled: 1-line block ×7, first 2 shown]
	s_wait_loadcnt 0x0
	v_mad_co_i64_i32 v[7:8], null, v7, s4, 0
	s_delay_alu instid0(VALU_DEP_1) | instskip(NEXT) | instid1(VALU_DEP_1)
	v_lshlrev_b64_e32 v[7:8], 1, v[7:8]
	v_add_co_u32 v7, vcc_lo, v21, v7
	s_wait_alu 0xfffd
	s_delay_alu instid0(VALU_DEP_2)
	v_add_co_ci_u32_e64 v8, null, v22, v8, vcc_lo
	v_cmp_eq_u32_e32 vcc_lo, s35, v12
	global_load_b128 v[1:4], v[7:8], off
	s_wait_loadcnt 0x0
	v_lshrrev_b32_e32 v42, 16, v1
	v_lshrrev_b32_e32 v41, 16, v2
	;; [unrolled: 1-line block ×3, first 2 shown]
	s_and_saveexec_b32 s9, vcc_lo
	s_cbranch_execz .LBB108_41
; %bb.40:                               ;   in Loop: Header=BB108_38 Depth=1
	v_cmp_gt_i32_e64 s0, s31, v29
	v_and_b32_e32 v43, 0xffff, v4
	v_and_b32_e32 v4, 0xffff0000, v4
	s_wait_alu 0xf1ff
	s_delay_alu instid0(VALU_DEP_3) | instskip(SKIP_2) | instid1(VALU_DEP_1)
	v_cndmask_b32_e64 v1, 0, v1, s0
	v_cmp_gt_i32_e64 s0, s31, v31
	s_wait_alu 0xf1ff
	v_cndmask_b32_e64 v42, 0, v42, s0
	v_cmp_gt_i32_e64 s0, s31, v30
	s_wait_alu 0xf1ff
	s_delay_alu instid0(VALU_DEP_1) | instskip(SKIP_2) | instid1(VALU_DEP_1)
	v_cndmask_b32_e64 v2, 0, v2, s0
	v_cmp_gt_i32_e64 s0, s31, v26
	s_wait_alu 0xf1ff
	v_cndmask_b32_e64 v41, 0, v41, s0
	v_cmp_gt_i32_e64 s0, s31, v27
	s_wait_alu 0xf1ff
	s_delay_alu instid0(VALU_DEP_1) | instskip(SKIP_2) | instid1(VALU_DEP_1)
	v_cndmask_b32_e64 v43, 0, v43, s0
	v_cmp_gt_i32_e64 s0, s31, v28
	s_wait_alu 0xf1ff
	v_cndmask_b32_e64 v4, 0, v4, s0
	v_cmp_gt_i32_e64 s0, s31, v25
	s_delay_alu instid0(VALU_DEP_2) | instskip(SKIP_1) | instid1(VALU_DEP_2)
	v_or_b32_e32 v4, v43, v4
	s_wait_alu 0xf1ff
	v_cndmask_b32_e64 v3, 0, v3, s0
	v_cmp_gt_i32_e64 s0, s31, v24
	s_wait_alu 0xf1ff
	s_delay_alu instid0(VALU_DEP_1)
	v_cndmask_b32_e64 v40, 0, v40, s0
.LBB108_41:                             ;   in Loop: Header=BB108_38 Depth=1
	s_wait_alu 0xfffe
	s_or_b32 exec_lo, exec_lo, s9
	v_and_b32_e32 v33, 0xffff, v33
	v_and_b32_e32 v38, 0xffff, v38
	v_lshlrev_b32_e32 v42, 16, v42
	v_lshlrev_b32_e32 v40, 16, v40
	v_and_b32_e32 v39, 0xffff, v39
	v_lshl_or_b32 v33, v32, 16, v33
	v_lshl_or_b32 v32, v36, 16, v38
	v_lshlrev_b32_e32 v38, 16, v41
	v_and_b32_e32 v37, 0xffff, v37
	v_and_or_b32 v1, 0xffff, v1, v42
	v_and_or_b32 v3, 0xffff, v3, v40
	;;#ASMSTART
	v_pk_mul_f16 v1, v33, v1;

	;;#ASMEND
	v_and_or_b32 v2, 0xffff, v2, v38
	v_lshl_or_b32 v36, v35, 16, v39
	v_lshl_or_b32 v37, v34, 16, v37
	;;#ASMSTART
	v_pk_mul_f16 v2, v32, v2;

	;;#ASMEND
	;;#ASMSTART
	v_pk_mul_f16 v3, v36, v3;

	;;#ASMEND
	;; [unrolled: 4-line block ×3, first 2 shown]
	;;#ASMSTART
	v_pk_add_f16 v1, v1, v2;

	;;#ASMEND
	;;#ASMSTART
	v_pk_add_f16 v1, v1, v3;

	;;#ASMEND
	;; [unrolled: 4-line block ×3, first 2 shown]
	v_and_b32_e32 v2, 0xffff, v1
	v_lshrrev_b32_e32 v1, 16, v1
	;;#ASMSTART
	v_cvt_f32_f16 v34, v2;
	;;#ASMEND
	;;#ASMSTART
	v_cvt_f32_f16 v35, v1;
	;;#ASMEND
	global_load_b128 v[1:4], v[7:8], off offset:512
	s_wait_loadcnt 0x0
	v_lshrrev_b32_e32 v40, 16, v1
	v_lshrrev_b32_e32 v39, 16, v2
	;; [unrolled: 1-line block ×3, first 2 shown]
	s_and_saveexec_b32 s9, vcc_lo
	s_cbranch_execz .LBB108_43
; %bb.42:                               ;   in Loop: Header=BB108_38 Depth=1
	v_cmp_gt_i32_e64 s0, s31, v29
	v_and_b32_e32 v41, 0xffff, v4
	v_and_b32_e32 v4, 0xffff0000, v4
	s_wait_alu 0xf1ff
	s_delay_alu instid0(VALU_DEP_3) | instskip(SKIP_2) | instid1(VALU_DEP_1)
	v_cndmask_b32_e64 v1, 0, v1, s0
	v_cmp_gt_i32_e64 s0, s31, v31
	s_wait_alu 0xf1ff
	v_cndmask_b32_e64 v40, 0, v40, s0
	v_cmp_gt_i32_e64 s0, s31, v30
	s_wait_alu 0xf1ff
	s_delay_alu instid0(VALU_DEP_1) | instskip(SKIP_2) | instid1(VALU_DEP_1)
	v_cndmask_b32_e64 v2, 0, v2, s0
	v_cmp_gt_i32_e64 s0, s31, v26
	s_wait_alu 0xf1ff
	v_cndmask_b32_e64 v39, 0, v39, s0
	v_cmp_gt_i32_e64 s0, s31, v27
	s_wait_alu 0xf1ff
	s_delay_alu instid0(VALU_DEP_1) | instskip(SKIP_2) | instid1(VALU_DEP_1)
	v_cndmask_b32_e64 v41, 0, v41, s0
	v_cmp_gt_i32_e64 s0, s31, v28
	s_wait_alu 0xf1ff
	v_cndmask_b32_e64 v4, 0, v4, s0
	v_cmp_gt_i32_e64 s0, s31, v25
	s_delay_alu instid0(VALU_DEP_2) | instskip(SKIP_1) | instid1(VALU_DEP_2)
	v_or_b32_e32 v4, v41, v4
	s_wait_alu 0xf1ff
	v_cndmask_b32_e64 v3, 0, v3, s0
	v_cmp_gt_i32_e64 s0, s31, v24
	s_wait_alu 0xf1ff
	s_delay_alu instid0(VALU_DEP_1)
	v_cndmask_b32_e64 v38, 0, v38, s0
.LBB108_43:                             ;   in Loop: Header=BB108_38 Depth=1
	s_wait_alu 0xfffe
	s_or_b32 exec_lo, exec_lo, s9
	v_lshlrev_b32_e32 v40, 16, v40
	v_lshlrev_b32_e32 v39, 16, v39
	;; [unrolled: 1-line block ×3, first 2 shown]
	s_delay_alu instid0(VALU_DEP_3) | instskip(NEXT) | instid1(VALU_DEP_3)
	v_and_or_b32 v1, 0xffff, v1, v40
	v_and_or_b32 v2, 0xffff, v2, v39
	s_delay_alu instid0(VALU_DEP_3)
	v_and_or_b32 v3, 0xffff, v3, v38
	;;#ASMSTART
	v_pk_mul_f16 v1, v33, v1;

	;;#ASMEND
	;;#ASMSTART
	v_pk_mul_f16 v2, v32, v2;

	;;#ASMEND
	;; [unrolled: 4-line block ×4, first 2 shown]
	;;#ASMSTART
	v_pk_add_f16 v1, v1, v2;

	;;#ASMEND
	;;#ASMSTART
	v_pk_add_f16 v1, v1, v3;

	;;#ASMEND
	;; [unrolled: 4-line block ×3, first 2 shown]
	v_and_b32_e32 v2, 0xffff, v1
	v_lshrrev_b32_e32 v1, 16, v1
	;;#ASMSTART
	v_cvt_f32_f16 v38, v2;
	;;#ASMEND
	;;#ASMSTART
	v_cvt_f32_f16 v39, v1;
	;;#ASMEND
	global_load_b128 v[1:4], v[7:8], off offset:1024
	s_wait_loadcnt 0x0
	v_lshrrev_b32_e32 v42, 16, v1
	v_lshrrev_b32_e32 v41, 16, v2
	;; [unrolled: 1-line block ×3, first 2 shown]
	s_and_saveexec_b32 s9, vcc_lo
	s_cbranch_execz .LBB108_45
; %bb.44:                               ;   in Loop: Header=BB108_38 Depth=1
	v_cmp_gt_i32_e64 s0, s31, v29
	v_and_b32_e32 v43, 0xffff, v4
	v_and_b32_e32 v4, 0xffff0000, v4
	s_wait_alu 0xf1ff
	s_delay_alu instid0(VALU_DEP_3) | instskip(SKIP_2) | instid1(VALU_DEP_1)
	v_cndmask_b32_e64 v1, 0, v1, s0
	v_cmp_gt_i32_e64 s0, s31, v31
	s_wait_alu 0xf1ff
	v_cndmask_b32_e64 v42, 0, v42, s0
	v_cmp_gt_i32_e64 s0, s31, v30
	s_wait_alu 0xf1ff
	s_delay_alu instid0(VALU_DEP_1) | instskip(SKIP_2) | instid1(VALU_DEP_1)
	v_cndmask_b32_e64 v2, 0, v2, s0
	v_cmp_gt_i32_e64 s0, s31, v26
	s_wait_alu 0xf1ff
	v_cndmask_b32_e64 v41, 0, v41, s0
	v_cmp_gt_i32_e64 s0, s31, v27
	s_wait_alu 0xf1ff
	s_delay_alu instid0(VALU_DEP_1) | instskip(SKIP_2) | instid1(VALU_DEP_1)
	v_cndmask_b32_e64 v43, 0, v43, s0
	v_cmp_gt_i32_e64 s0, s31, v28
	s_wait_alu 0xf1ff
	v_cndmask_b32_e64 v4, 0, v4, s0
	v_cmp_gt_i32_e64 s0, s31, v25
	s_delay_alu instid0(VALU_DEP_2) | instskip(SKIP_1) | instid1(VALU_DEP_2)
	v_or_b32_e32 v4, v43, v4
	s_wait_alu 0xf1ff
	v_cndmask_b32_e64 v3, 0, v3, s0
	v_cmp_gt_i32_e64 s0, s31, v24
	s_wait_alu 0xf1ff
	s_delay_alu instid0(VALU_DEP_1)
	v_cndmask_b32_e64 v40, 0, v40, s0
.LBB108_45:                             ;   in Loop: Header=BB108_38 Depth=1
	s_wait_alu 0xfffe
	s_or_b32 exec_lo, exec_lo, s9
	v_lshlrev_b32_e32 v42, 16, v42
	v_lshlrev_b32_e32 v41, 16, v41
	;; [unrolled: 1-line block ×3, first 2 shown]
	s_delay_alu instid0(VALU_DEP_3) | instskip(NEXT) | instid1(VALU_DEP_3)
	v_and_or_b32 v1, 0xffff, v1, v42
	v_and_or_b32 v2, 0xffff, v2, v41
	s_delay_alu instid0(VALU_DEP_3)
	v_and_or_b32 v3, 0xffff, v3, v40
	;;#ASMSTART
	v_pk_mul_f16 v1, v33, v1;

	;;#ASMEND
	;;#ASMSTART
	v_pk_mul_f16 v2, v32, v2;

	;;#ASMEND
	;; [unrolled: 4-line block ×4, first 2 shown]
	;;#ASMSTART
	v_pk_add_f16 v1, v1, v2;

	;;#ASMEND
	;;#ASMSTART
	v_pk_add_f16 v1, v1, v3;

	;;#ASMEND
	;; [unrolled: 4-line block ×3, first 2 shown]
	v_and_b32_e32 v2, 0xffff, v1
	v_lshrrev_b32_e32 v1, 16, v1
	;;#ASMSTART
	v_cvt_f32_f16 v40, v2;
	;;#ASMEND
	;;#ASMSTART
	v_cvt_f32_f16 v41, v1;
	;;#ASMEND
	global_load_b128 v[1:4], v[7:8], off offset:1536
	s_wait_loadcnt 0x0
	v_lshrrev_b32_e32 v42, 16, v1
	v_lshrrev_b32_e32 v8, 16, v2
	;; [unrolled: 1-line block ×3, first 2 shown]
	s_and_saveexec_b32 s0, vcc_lo
	s_cbranch_execz .LBB108_36
; %bb.46:                               ;   in Loop: Header=BB108_38 Depth=1
	v_cmp_gt_i32_e32 vcc_lo, s31, v29
	v_and_b32_e32 v29, 0xffff, v4
	s_wait_alu 0xfffd
	v_dual_cndmask_b32 v1, 0, v1 :: v_dual_and_b32 v4, 0xffff0000, v4
	v_cmp_gt_i32_e32 vcc_lo, s31, v31
	s_wait_alu 0xfffd
	v_cndmask_b32_e32 v42, 0, v42, vcc_lo
	v_cmp_gt_i32_e32 vcc_lo, s31, v30
	s_wait_alu 0xfffd
	v_cndmask_b32_e32 v2, 0, v2, vcc_lo
	v_cmp_gt_i32_e32 vcc_lo, s31, v26
	s_wait_alu 0xfffd
	v_cndmask_b32_e32 v8, 0, v8, vcc_lo
	v_cmp_gt_i32_e32 vcc_lo, s31, v27
	s_wait_alu 0xfffd
	v_cndmask_b32_e32 v26, 0, v29, vcc_lo
	v_cmp_gt_i32_e32 vcc_lo, s31, v28
	s_wait_alu 0xfffd
	v_cndmask_b32_e32 v4, 0, v4, vcc_lo
	v_cmp_gt_i32_e32 vcc_lo, s31, v25
	s_delay_alu instid0(VALU_DEP_2)
	v_or_b32_e32 v4, v26, v4
	s_wait_alu 0xfffd
	v_cndmask_b32_e32 v3, 0, v3, vcc_lo
	v_cmp_gt_i32_e32 vcc_lo, s31, v24
	s_wait_alu 0xfffd
	v_cndmask_b32_e32 v7, 0, v7, vcc_lo
	s_branch .LBB108_36
.LBB108_47:
	s_or_b32 exec_lo, exec_lo, s5
.LBB108_48:
	s_wait_alu 0xfffe
	s_or_b32 exec_lo, exec_lo, s1
	ds_bpermute_b32 v1, v13, v18
	ds_bpermute_b32 v2, v13, v19
	;; [unrolled: 1-line block ×4, first 2 shown]
	v_lshrrev_b32_e32 v5, 2, v10
	s_mov_b32 s0, exec_lo
	s_wait_storecnt 0x0
	s_wait_loadcnt_dscnt 0x0
	s_barrier_signal -1
	s_barrier_wait -1
	global_inv scope:SCOPE_SE
	v_dual_add_f32 v1, v18, v1 :: v_dual_add_f32 v2, v19, v2
	v_dual_add_f32 v7, v17, v3 :: v_dual_add_f32 v8, v16, v4
	ds_bpermute_b32 v3, v14, v1
	ds_bpermute_b32 v11, v14, v2
	;; [unrolled: 1-line block ×4, first 2 shown]
	v_and_b32_e32 v4, 28, v10
	v_and_b32_e32 v10, 0x3c3, v0
	s_delay_alu instid0(VALU_DEP_2)
	v_add_nc_u32_e32 v6, 0x60, v4
	s_wait_dscnt 0x3
	v_add_f32_e32 v4, v1, v3
	s_wait_dscnt 0x1
	v_dual_add_f32 v3, v2, v11 :: v_dual_add_f32 v2, v7, v12
	s_wait_dscnt 0x0
	v_add_f32_e32 v1, v8, v13
	v_cmpx_eq_u32_e32 64, v10
	s_cbranch_execz .LBB108_50
; %bb.49:
	v_lshl_add_u32 v7, v9, 7, v6
	s_delay_alu instid0(VALU_DEP_1)
	v_add_nc_u32_e32 v8, 0xffffff00, v7
	v_add_nc_u32_e32 v9, 0xffffff20, v7
	;; [unrolled: 1-line block ×4, first 2 shown]
	ds_store_b32 v8, v4
	ds_store_b32 v9, v3
	;; [unrolled: 1-line block ×4, first 2 shown]
.LBB108_50:
	s_wait_alu 0xfffe
	s_or_b32 exec_lo, exec_lo, s0
	v_and_b32_e32 v7, 0x3e0, v0
	v_lshlrev_b32_e32 v5, 2, v5
	s_mov_b32 s1, exec_lo
	v_cmp_eq_u32_e32 vcc_lo, 0, v15
	s_wait_loadcnt_dscnt 0x0
	v_lshlrev_b32_e32 v7, 2, v7
	s_barrier_signal -1
	s_barrier_wait -1
	global_inv scope:SCOPE_SE
	v_add3_u32 v5, 0x60, v7, v5
	v_cmpx_gt_u32_e32 64, v0
	s_cbranch_execz .LBB108_57
; %bb.51:
	s_and_saveexec_b32 s0, vcc_lo
	s_cbranch_execnz .LBB108_69
; %bb.52:
	s_wait_alu 0xfffe
	s_or_b32 exec_lo, exec_lo, s0
	s_and_saveexec_b32 s0, vcc_lo
	s_cbranch_execnz .LBB108_70
.LBB108_53:
	s_wait_alu 0xfffe
	s_or_b32 exec_lo, exec_lo, s0
	s_and_saveexec_b32 s0, vcc_lo
	s_cbranch_execnz .LBB108_71
.LBB108_54:
	s_wait_alu 0xfffe
	s_or_b32 exec_lo, exec_lo, s0
	s_and_saveexec_b32 s0, vcc_lo
	s_cbranch_execz .LBB108_56
.LBB108_55:
	ds_load_b32 v7, v5 offset:96
	s_wait_dscnt 0x0
	v_add_f32_e32 v1, v1, v7
.LBB108_56:
	s_wait_alu 0xfffe
	s_or_b32 exec_lo, exec_lo, s0
.LBB108_57:
	s_wait_alu 0xfffe
	s_or_b32 exec_lo, exec_lo, s1
	v_and_b32_e32 v7, 0x3e3, v0
	s_mov_b32 s1, exec_lo
	s_wait_loadcnt 0x0
	s_barrier_signal -1
	s_barrier_wait -1
	global_inv scope:SCOPE_SE
	v_cmpx_eq_u32_e32 32, v7
	s_cbranch_execz .LBB108_59
; %bb.58:
	ds_store_2addr_b32 v6, v4, v3 offset1:8
	ds_store_2addr_b32 v6, v2, v1 offset0:16 offset1:24
.LBB108_59:
	s_wait_alu 0xfffe
	s_or_b32 exec_lo, exec_lo, s1
	s_delay_alu instid0(SALU_CYCLE_1)
	s_mov_b32 s1, exec_lo
	s_wait_loadcnt_dscnt 0x0
	s_barrier_signal -1
	s_barrier_wait -1
	global_inv scope:SCOPE_SE
	v_cmpx_gt_u32_e32 32, v0
	s_cbranch_execz .LBB108_66
; %bb.60:
	s_and_saveexec_b32 s0, vcc_lo
	s_cbranch_execnz .LBB108_72
; %bb.61:
	s_wait_alu 0xfffe
	s_or_b32 exec_lo, exec_lo, s0
	s_and_saveexec_b32 s0, vcc_lo
	s_cbranch_execnz .LBB108_73
.LBB108_62:
	s_wait_alu 0xfffe
	s_or_b32 exec_lo, exec_lo, s0
	s_and_saveexec_b32 s0, vcc_lo
	s_cbranch_execnz .LBB108_74
.LBB108_63:
	s_wait_alu 0xfffe
	s_or_b32 exec_lo, exec_lo, s0
	s_and_saveexec_b32 s0, vcc_lo
	s_cbranch_execz .LBB108_65
.LBB108_64:
	ds_load_b32 v5, v5 offset:96
	s_wait_dscnt 0x0
	v_add_f32_e32 v1, v1, v5
.LBB108_65:
	s_wait_alu 0xfffe
	s_or_b32 exec_lo, exec_lo, s0
.LBB108_66:
	s_wait_alu 0xfffe
	s_or_b32 exec_lo, exec_lo, s1
	s_mov_b32 s1, 0
	s_wait_loadcnt 0x0
	s_barrier_signal -1
	s_barrier_wait -1
	global_inv scope:SCOPE_SE
	s_mov_b32 s0, exec_lo
	v_cmpx_eq_u32_e32 0, v7
	s_cbranch_execz .LBB108_68
; %bb.67:
	s_lshl_b32 s2, s24, 5
	s_mul_i32 s4, s7, s16
	s_wait_alu 0xfffe
	s_ashr_i32 s3, s2, 31
	s_ashr_i32 s5, s4, 31
	s_wait_alu 0xfffe
	s_lshl_b64 s[2:3], s[2:3], 1
	s_lshl_b64 s[4:5], s[4:5], 1
	s_wait_kmcnt 0x0
	s_wait_alu 0xfffe
	s_add_nc_u64 s[2:3], s[14:15], s[2:3]
	v_lshrrev_b32_e32 v0, 1, v0
	s_lshl_b32 s0, s30, 6
	s_wait_alu 0xfffe
	s_add_nc_u64 s[2:3], s[2:3], s[4:5]
	;;#ASMSTART
	v_cvt_f16_f32 v4, v4;

	;;#ASMEND
	s_wait_alu 0xfffe
	s_add_nc_u64 s[0:1], s[2:3], s[0:1]
	global_store_b16 v0, v4, s[0:1]
	;;#ASMSTART
	v_cvt_f16_f32 v3, v3;

	;;#ASMEND
	global_store_b16 v0, v3, s[0:1] offset:16
	;;#ASMSTART
	v_cvt_f16_f32 v2, v2;

	;;#ASMEND
	global_store_b16 v0, v2, s[0:1] offset:32
	;; [unrolled: 5-line block ×3, first 2 shown]
.LBB108_68:
	s_endpgm
.LBB108_69:
	ds_load_b32 v7, v5
	s_wait_dscnt 0x0
	v_add_f32_e32 v4, v4, v7
	s_wait_alu 0xfffe
	s_or_b32 exec_lo, exec_lo, s0
	s_and_saveexec_b32 s0, vcc_lo
	s_cbranch_execz .LBB108_53
.LBB108_70:
	ds_load_b32 v7, v5 offset:32
	s_wait_dscnt 0x0
	v_add_f32_e32 v3, v3, v7
	s_wait_alu 0xfffe
	s_or_b32 exec_lo, exec_lo, s0
	s_and_saveexec_b32 s0, vcc_lo
	s_cbranch_execz .LBB108_54
.LBB108_71:
	ds_load_b32 v7, v5 offset:64
	s_wait_dscnt 0x0
	v_add_f32_e32 v2, v2, v7
	s_wait_alu 0xfffe
	s_or_b32 exec_lo, exec_lo, s0
	s_and_saveexec_b32 s0, vcc_lo
	s_cbranch_execnz .LBB108_55
	s_branch .LBB108_56
.LBB108_72:
	ds_load_b32 v6, v5
	s_wait_dscnt 0x0
	v_add_f32_e32 v4, v4, v6
	s_wait_alu 0xfffe
	s_or_b32 exec_lo, exec_lo, s0
	s_and_saveexec_b32 s0, vcc_lo
	s_cbranch_execz .LBB108_62
.LBB108_73:
	ds_load_b32 v6, v5 offset:32
	s_wait_dscnt 0x0
	v_add_f32_e32 v3, v3, v6
	s_wait_alu 0xfffe
	s_or_b32 exec_lo, exec_lo, s0
	s_and_saveexec_b32 s0, vcc_lo
	s_cbranch_execz .LBB108_63
.LBB108_74:
	ds_load_b32 v6, v5 offset:64
	s_wait_dscnt 0x0
	v_add_f32_e32 v2, v2, v6
	s_wait_alu 0xfffe
	s_or_b32 exec_lo, exec_lo, s0
	s_and_saveexec_b32 s0, vcc_lo
	s_cbranch_execnz .LBB108_64
	s_branch .LBB108_65
	.section	.rodata,"a",@progbits
	.p2align	6, 0x0
	.amdhsa_kernel _ZN4vllm25paged_attention_v2_kernelIttLi32ELi32ELi128ELNS_18Fp8KVCacheDataTypeE0ELb1ELi512EEEvPfS2_PT_PKS3_PKT0_S9_ifPKiSB_iPKfiiiSD_SD_iiiii
		.amdhsa_group_segment_fixed_size 96
		.amdhsa_private_segment_fixed_size 0
		.amdhsa_kernarg_size 400
		.amdhsa_user_sgpr_count 2
		.amdhsa_user_sgpr_dispatch_ptr 0
		.amdhsa_user_sgpr_queue_ptr 0
		.amdhsa_user_sgpr_kernarg_segment_ptr 1
		.amdhsa_user_sgpr_dispatch_id 0
		.amdhsa_user_sgpr_private_segment_size 0
		.amdhsa_wavefront_size32 1
		.amdhsa_uses_dynamic_stack 0
		.amdhsa_enable_private_segment 0
		.amdhsa_system_sgpr_workgroup_id_x 1
		.amdhsa_system_sgpr_workgroup_id_y 1
		.amdhsa_system_sgpr_workgroup_id_z 1
		.amdhsa_system_sgpr_workgroup_info 0
		.amdhsa_system_vgpr_workitem_id 0
		.amdhsa_next_free_vgpr 81
		.amdhsa_next_free_sgpr 42
		.amdhsa_reserve_vcc 1
		.amdhsa_float_round_mode_32 0
		.amdhsa_float_round_mode_16_64 0
		.amdhsa_float_denorm_mode_32 3
		.amdhsa_float_denorm_mode_16_64 3
		.amdhsa_fp16_overflow 0
		.amdhsa_workgroup_processor_mode 1
		.amdhsa_memory_ordered 1
		.amdhsa_forward_progress 1
		.amdhsa_inst_pref_size 51
		.amdhsa_round_robin_scheduling 0
		.amdhsa_exception_fp_ieee_invalid_op 0
		.amdhsa_exception_fp_denorm_src 0
		.amdhsa_exception_fp_ieee_div_zero 0
		.amdhsa_exception_fp_ieee_overflow 0
		.amdhsa_exception_fp_ieee_underflow 0
		.amdhsa_exception_fp_ieee_inexact 0
		.amdhsa_exception_int_div_zero 0
	.end_amdhsa_kernel
	.section	.text._ZN4vllm25paged_attention_v2_kernelIttLi32ELi32ELi128ELNS_18Fp8KVCacheDataTypeE0ELb1ELi512EEEvPfS2_PT_PKS3_PKT0_S9_ifPKiSB_iPKfiiiSD_SD_iiiii,"axG",@progbits,_ZN4vllm25paged_attention_v2_kernelIttLi32ELi32ELi128ELNS_18Fp8KVCacheDataTypeE0ELb1ELi512EEEvPfS2_PT_PKS3_PKT0_S9_ifPKiSB_iPKfiiiSD_SD_iiiii,comdat
.Lfunc_end108:
	.size	_ZN4vllm25paged_attention_v2_kernelIttLi32ELi32ELi128ELNS_18Fp8KVCacheDataTypeE0ELb1ELi512EEEvPfS2_PT_PKS3_PKT0_S9_ifPKiSB_iPKfiiiSD_SD_iiiii, .Lfunc_end108-_ZN4vllm25paged_attention_v2_kernelIttLi32ELi32ELi128ELNS_18Fp8KVCacheDataTypeE0ELb1ELi512EEEvPfS2_PT_PKS3_PKT0_S9_ifPKiSB_iPKfiiiSD_SD_iiiii
                                        ; -- End function
	.set _ZN4vllm25paged_attention_v2_kernelIttLi32ELi32ELi128ELNS_18Fp8KVCacheDataTypeE0ELb1ELi512EEEvPfS2_PT_PKS3_PKT0_S9_ifPKiSB_iPKfiiiSD_SD_iiiii.num_vgpr, 81
	.set _ZN4vllm25paged_attention_v2_kernelIttLi32ELi32ELi128ELNS_18Fp8KVCacheDataTypeE0ELb1ELi512EEEvPfS2_PT_PKS3_PKT0_S9_ifPKiSB_iPKfiiiSD_SD_iiiii.num_agpr, 0
	.set _ZN4vllm25paged_attention_v2_kernelIttLi32ELi32ELi128ELNS_18Fp8KVCacheDataTypeE0ELb1ELi512EEEvPfS2_PT_PKS3_PKT0_S9_ifPKiSB_iPKfiiiSD_SD_iiiii.numbered_sgpr, 42
	.set _ZN4vllm25paged_attention_v2_kernelIttLi32ELi32ELi128ELNS_18Fp8KVCacheDataTypeE0ELb1ELi512EEEvPfS2_PT_PKS3_PKT0_S9_ifPKiSB_iPKfiiiSD_SD_iiiii.num_named_barrier, 0
	.set _ZN4vllm25paged_attention_v2_kernelIttLi32ELi32ELi128ELNS_18Fp8KVCacheDataTypeE0ELb1ELi512EEEvPfS2_PT_PKS3_PKT0_S9_ifPKiSB_iPKfiiiSD_SD_iiiii.private_seg_size, 0
	.set _ZN4vllm25paged_attention_v2_kernelIttLi32ELi32ELi128ELNS_18Fp8KVCacheDataTypeE0ELb1ELi512EEEvPfS2_PT_PKS3_PKT0_S9_ifPKiSB_iPKfiiiSD_SD_iiiii.uses_vcc, 1
	.set _ZN4vllm25paged_attention_v2_kernelIttLi32ELi32ELi128ELNS_18Fp8KVCacheDataTypeE0ELb1ELi512EEEvPfS2_PT_PKS3_PKT0_S9_ifPKiSB_iPKfiiiSD_SD_iiiii.uses_flat_scratch, 0
	.set _ZN4vllm25paged_attention_v2_kernelIttLi32ELi32ELi128ELNS_18Fp8KVCacheDataTypeE0ELb1ELi512EEEvPfS2_PT_PKS3_PKT0_S9_ifPKiSB_iPKfiiiSD_SD_iiiii.has_dyn_sized_stack, 0
	.set _ZN4vllm25paged_attention_v2_kernelIttLi32ELi32ELi128ELNS_18Fp8KVCacheDataTypeE0ELb1ELi512EEEvPfS2_PT_PKS3_PKT0_S9_ifPKiSB_iPKfiiiSD_SD_iiiii.has_recursion, 0
	.set _ZN4vllm25paged_attention_v2_kernelIttLi32ELi32ELi128ELNS_18Fp8KVCacheDataTypeE0ELb1ELi512EEEvPfS2_PT_PKS3_PKT0_S9_ifPKiSB_iPKfiiiSD_SD_iiiii.has_indirect_call, 0
	.section	.AMDGPU.csdata,"",@progbits
; Kernel info:
; codeLenInByte = 6428
; TotalNumSgprs: 44
; NumVgprs: 81
; ScratchSize: 0
; MemoryBound: 0
; FloatMode: 240
; IeeeMode: 1
; LDSByteSize: 96 bytes/workgroup (compile time only)
; SGPRBlocks: 0
; VGPRBlocks: 10
; NumSGPRsForWavesPerEU: 44
; NumVGPRsForWavesPerEU: 81
; Occupancy: 16
; WaveLimiterHint : 1
; COMPUTE_PGM_RSRC2:SCRATCH_EN: 0
; COMPUTE_PGM_RSRC2:USER_SGPR: 2
; COMPUTE_PGM_RSRC2:TRAP_HANDLER: 0
; COMPUTE_PGM_RSRC2:TGID_X_EN: 1
; COMPUTE_PGM_RSRC2:TGID_Y_EN: 1
; COMPUTE_PGM_RSRC2:TGID_Z_EN: 1
; COMPUTE_PGM_RSRC2:TIDIG_COMP_CNT: 0
	.section	.text._ZN4vllm25paged_attention_v2_kernelIttLi64ELi32ELi128ELNS_18Fp8KVCacheDataTypeE0ELb1ELi512EEEvPfS2_PT_PKS3_PKT0_S9_ifPKiSB_iPKfiiiSD_SD_iiiii,"axG",@progbits,_ZN4vllm25paged_attention_v2_kernelIttLi64ELi32ELi128ELNS_18Fp8KVCacheDataTypeE0ELb1ELi512EEEvPfS2_PT_PKS3_PKT0_S9_ifPKiSB_iPKfiiiSD_SD_iiiii,comdat
	.protected	_ZN4vllm25paged_attention_v2_kernelIttLi64ELi32ELi128ELNS_18Fp8KVCacheDataTypeE0ELb1ELi512EEEvPfS2_PT_PKS3_PKT0_S9_ifPKiSB_iPKfiiiSD_SD_iiiii ; -- Begin function _ZN4vllm25paged_attention_v2_kernelIttLi64ELi32ELi128ELNS_18Fp8KVCacheDataTypeE0ELb1ELi512EEEvPfS2_PT_PKS3_PKT0_S9_ifPKiSB_iPKfiiiSD_SD_iiiii
	.globl	_ZN4vllm25paged_attention_v2_kernelIttLi64ELi32ELi128ELNS_18Fp8KVCacheDataTypeE0ELb1ELi512EEEvPfS2_PT_PKS3_PKT0_S9_ifPKiSB_iPKfiiiSD_SD_iiiii
	.p2align	8
	.type	_ZN4vllm25paged_attention_v2_kernelIttLi64ELi32ELi128ELNS_18Fp8KVCacheDataTypeE0ELb1ELi512EEEvPfS2_PT_PKS3_PKT0_S9_ifPKiSB_iPKfiiiSD_SD_iiiii,@function
_ZN4vllm25paged_attention_v2_kernelIttLi64ELi32ELi128ELNS_18Fp8KVCacheDataTypeE0ELb1ELi512EEEvPfS2_PT_PKS3_PKT0_S9_ifPKiSB_iPKfiiiSD_SD_iiiii: ; @_ZN4vllm25paged_attention_v2_kernelIttLi64ELi32ELi128ELNS_18Fp8KVCacheDataTypeE0ELb1ELi512EEEvPfS2_PT_PKS3_PKT0_S9_ifPKiSB_iPKfiiiSD_SD_iiiii
; %bb.0:
	s_load_b64 s[2:3], s[0:1], 0x40
	s_and_b32 s26, ttmp7, 0xffff
	s_lshr_b32 s30, ttmp7, 16
	s_lshl_b32 s4, s26, 2
	s_lshl_b32 s34, s30, 9
	s_wait_kmcnt 0x0
	s_load_b32 s31, s[2:3], s4 offset:0x0
	s_wait_kmcnt 0x0
	s_cmp_ge_i32 s34, s31
	s_cbranch_scc1 .LBB109_84
; %bb.1:
	s_clause 0x1
	s_load_b32 s27, s[0:1], 0x90
	s_load_b64 s[8:9], s[0:1], 0x30
	s_wait_kmcnt 0x0
	s_abs_i32 s5, s27
	s_abs_i32 s2, s8
	s_delay_alu instid0(SALU_CYCLE_1) | instskip(SKIP_1) | instid1(SALU_CYCLE_2)
	s_cvt_f32_u32 s3, s2
	s_sub_co_i32 s4, 0, s2
	v_rcp_iflag_f32_e32 v1, s3
	s_delay_alu instid0(TRANS32_DEP_1) | instskip(SKIP_2) | instid1(SALU_CYCLE_2)
	v_readfirstlane_b32 s3, v1
	s_mul_f32 s3, s3, 0x4f7ffffe
	s_wait_alu 0xfffe
	s_cvt_u32_f32 s3, s3
	s_wait_alu 0xfffe
	s_delay_alu instid0(SALU_CYCLE_2) | instskip(NEXT) | instid1(SALU_CYCLE_1)
	s_mul_i32 s4, s4, s3
	s_mul_hi_u32 s4, s3, s4
	s_delay_alu instid0(SALU_CYCLE_1)
	s_add_co_i32 s3, s3, s4
	s_xor_b32 s4, s27, s8
	s_wait_alu 0xfffe
	s_mul_hi_u32 s3, s5, s3
	s_ashr_i32 s4, s4, 31
	s_wait_alu 0xfffe
	s_mul_i32 s6, s3, s2
	s_delay_alu instid0(SALU_CYCLE_1)
	s_sub_co_i32 s5, s5, s6
	s_add_co_i32 s6, s3, 1
	s_sub_co_i32 s7, s5, s2
	s_cmp_ge_u32 s5, s2
	s_cselect_b32 s3, s6, s3
	s_cselect_b32 s5, s7, s5
	s_wait_alu 0xfffe
	s_add_co_i32 s6, s3, 1
	s_cmp_ge_u32 s5, s2
	s_cselect_b32 s2, s6, s3
	s_load_b64 s[6:7], s[0:1], 0x50
	s_xor_b32 s2, s2, s4
	s_mov_b32 s3, 0
	s_wait_alu 0xfffe
	s_sub_co_i32 s16, s2, s4
	s_mov_b32 s15, s3
	s_abs_i32 s18, s16
	s_delay_alu instid0(SALU_CYCLE_1) | instskip(SKIP_1) | instid1(SALU_CYCLE_2)
	s_cvt_f32_u32 s2, s18
	s_wait_alu 0xfffe
	v_rcp_iflag_f32_e32 v1, s2
	s_delay_alu instid0(TRANS32_DEP_1) | instskip(SKIP_2) | instid1(SALU_CYCLE_2)
	v_readfirstlane_b32 s2, v1
	s_mul_f32 s2, s2, 0x4f7ffffe
	s_wait_alu 0xfffe
	s_cvt_u32_f32 s4, s2
	s_sub_co_i32 s2, 0, s18
	s_wait_alu 0xfffe
	s_delay_alu instid0(SALU_CYCLE_1)
	s_mul_i32 s2, s2, s4
	s_wait_alu 0xfffe
	s_mul_hi_u32 s5, s4, s2
	s_abs_i32 s2, ttmp9
	s_add_co_i32 s4, s4, s5
	s_mov_b32 s5, s3
	s_wait_kmcnt 0x0
	s_cmp_eq_u64 s[6:7], 0
	s_cbranch_scc1 .LBB109_3
; %bb.2:
	s_mov_b32 s10, ttmp9
	s_ashr_i32 s11, ttmp9, 31
	s_delay_alu instid0(SALU_CYCLE_1) | instskip(NEXT) | instid1(SALU_CYCLE_1)
	s_lshl_b64 s[10:11], s[10:11], 2
	s_add_nc_u64 s[6:7], s[6:7], s[10:11]
	s_load_b32 s15, s[6:7], 0x0
.LBB109_3:
	s_load_b96 s[12:14], s[0:1], 0x58
	v_lshlrev_b32_e32 v35, 4, v0
	s_mul_u64 s[10:11], s[2:3], s[4:5]
	s_ashr_i32 s3, ttmp9, 31
	s_ashr_i32 s10, s16, 31
	s_lshl_b32 s16, ttmp9, 6
	s_mov_b32 s4, exec_lo
	v_cmpx_gt_u32_e32 8, v0
	s_cbranch_execz .LBB109_5
; %bb.4:
	s_load_b64 s[6:7], s[0:1], 0x18
	s_wait_kmcnt 0x0
	s_mul_i32 s20, s12, s26
	s_ashr_i32 s17, s16, 31
	s_ashr_i32 s21, s20, 31
	s_delay_alu instid0(SALU_CYCLE_1) | instskip(NEXT) | instid1(SALU_CYCLE_1)
	s_lshl_b64 s[20:21], s[20:21], 1
	s_add_nc_u64 s[6:7], s[6:7], s[20:21]
	s_lshl_b64 s[20:21], s[16:17], 1
	s_delay_alu instid0(SALU_CYCLE_1)
	s_add_nc_u64 s[6:7], s[6:7], s[20:21]
	global_load_b128 v[1:4], v35, s[6:7]
	s_wait_loadcnt 0x0
	ds_store_b128 v35, v[1:4]
.LBB109_5:
	s_or_b32 exec_lo, exec_lo, s4
	s_clause 0x1
	s_load_b128 s[4:7], s[0:1], 0x78
	s_load_b32 s20, s[0:1], 0x88
	s_wait_kmcnt 0x0
	s_mul_i32 s12, s11, s18
	s_xor_b32 s3, s3, s10
	s_sub_co_i32 s2, s2, s12
	s_add_co_i32 s10, s11, 1
	s_wait_alu 0xfffe
	s_sub_co_i32 s12, s2, s18
	s_cmp_ge_u32 s2, s18
	s_mov_b32 s22, -1
	s_cselect_b32 s10, s10, s11
	s_cselect_b32 s2, s12, s2
	s_add_co_i32 s11, s10, 1
	s_wait_alu 0xfffe
	s_cmp_ge_u32 s2, s18
	s_wait_dscnt 0x0
	s_cselect_b32 s2, s11, s10
	s_add_co_i32 s21, s31, -1
	s_wait_alu 0xfffe
	s_xor_b32 s2, s2, s3
	s_barrier_signal -1
	s_wait_alu 0xfffe
	s_sub_co_i32 s24, s2, s3
	s_barrier_wait -1
	s_abs_i32 s12, s7
	global_inv scope:SCOPE_SE
	s_cvt_f32_u32 s10, s12
                                        ; implicit-def: $sgpr17
	s_delay_alu instid0(SALU_CYCLE_3) | instskip(NEXT) | instid1(TRANS32_DEP_1)
	v_rcp_iflag_f32_e32 v1, s10
	v_readfirstlane_b32 s10, v1
	s_mul_f32 s2, s10, 0x4f7ffffe
	s_wait_alu 0xfffe
	s_delay_alu instid0(SALU_CYCLE_2) | instskip(SKIP_2) | instid1(SALU_CYCLE_1)
	s_cvt_u32_f32 s10, s2
	s_sub_co_i32 s2, 0, s12
	s_wait_alu 0xfffe
	s_mul_i32 s3, s2, s10
	s_abs_i32 s2, s21
	s_wait_alu 0xfffe
	s_mul_hi_u32 s11, s10, s3
	s_mov_b32 s3, 0
	s_wait_alu 0xfffe
	s_add_co_i32 s18, s10, s11
	s_cmp_lt_i32 s20, 0
	s_mov_b32 s19, s3
	s_cbranch_scc0 .LBB109_7
; %bb.6:
	s_mul_i32 s8, s4, s8
	s_mov_b32 s22, s3
	s_add_co_i32 s8, s24, s8
	s_delay_alu instid0(SALU_CYCLE_1) | instskip(NEXT) | instid1(SALU_CYCLE_1)
	s_mul_i32 s8, s8, s20
	s_sub_co_i32 s17, 1, s8
.LBB109_7:
	s_mul_u64 s[10:11], s[2:3], s[18:19]
	s_ashr_i32 s3, s21, 31
	s_and_not1_b32 vcc_lo, exec_lo, s22
	s_ashr_i32 s19, s7, 31
	s_cbranch_vccnz .LBB109_9
; %bb.8:
	s_mul_i32 s4, s27, s4
	s_delay_alu instid0(SALU_CYCLE_1) | instskip(NEXT) | instid1(SALU_CYCLE_1)
	s_add_co_i32 s4, s4, ttmp9
	s_mul_i32 s4, s4, s20
	s_delay_alu instid0(SALU_CYCLE_1)
	s_add_co_i32 s17, s4, 1
.LBB109_9:
	s_clause 0x2
	s_load_b32 s4, s[0:1], 0x48
	s_load_b64 s[20:21], s[0:1], 0x38
	s_load_b32 s7, s[0:1], 0x98
	s_mul_i32 s8, s11, s12
	s_xor_b32 s3, s3, s19
	s_sub_co_i32 s2, s2, s8
	s_add_co_i32 s10, s11, 1
	v_lshrrev_b32_e32 v31, 5, v0
	v_and_b32_e32 v32, 31, v0
	v_mov_b32_e32 v38, 0xff7fffff
	s_mul_i32 s24, s24, s14
	s_delay_alu instid0(VALU_DEP_3) | instskip(NEXT) | instid1(VALU_DEP_3)
	v_lshl_add_u32 v33, v31, 5, s34
	v_lshlrev_b32_e32 v37, 2, v32
	s_wait_kmcnt 0x0
	s_mul_i32 s22, s4, s26
	s_wait_alu 0xfffe
	s_sub_co_i32 s4, s2, s12
	s_ashr_i32 s23, s22, 31
	s_cmp_ge_u32 s2, s12
	s_cselect_b32 s8, s10, s11
	s_cselect_b32 s2, s4, s2
	s_add_co_i32 s4, s8, 1
	s_wait_alu 0xfffe
	s_cmp_ge_u32 s2, s12
	s_cselect_b32 s2, s4, s8
	s_add_co_i32 s4, s31, 31
	s_lshl_b32 s37, s30, 4
	s_ashr_i32 s8, s4, 31
	v_add_nc_u32_e32 v34, s37, v31
	s_lshr_b32 s8, s8, 27
	s_delay_alu instid0(SALU_CYCLE_1)
	s_add_co_i32 s4, s4, s8
	s_add_co_i32 s8, s37, 16
	s_ashr_i32 s35, s4, 5
	s_wait_alu 0xfffe
	s_xor_b32 s4, s2, s3
	s_min_i32 s33, s8, s35
	v_lshlrev_b32_e32 v36, 2, v34
	v_cmp_gt_i32_e64 s2, s33, v34
	s_sub_co_i32 s36, s4, s3
	s_and_saveexec_b32 s8, s2
	s_cbranch_execz .LBB109_17
; %bb.10:
	s_ashr_i32 s25, s24, 31
	s_wait_alu 0xfffe
	s_sub_co_i32 s10, s36, s5
	s_lshl_b64 s[28:29], s[24:25], 1
	s_cmp_neq_f32 s15, 0
	s_load_b64 s[38:39], s[0:1], 0x20
	v_dual_mov_b32 v39, 0 :: v_dual_lshlrev_b32 v2, 4, v32
	s_cselect_b32 vcc_lo, -1, 0
	s_abs_i32 s11, s6
	s_lshl_b64 s[40:41], s[22:23], 2
	s_wait_alu 0xfffe
	s_cvt_f32_u32 s3, s11
	s_add_nc_u64 s[40:41], s[20:21], s[40:41]
	v_subrev_nc_u32_e32 v3, s31, v32
	v_lshl_or_b32 v4, v31, 7, v37
	s_wait_alu 0xfffe
	v_rcp_iflag_f32_e32 v1, s3
	v_add_co_u32 v29, s25, s40, v36
	s_sub_co_i32 s4, 0, s11
	v_add_co_ci_u32_e64 v30, null, s41, 0, s25
	v_lshl_add_u32 v40, v31, 5, s34
	v_dual_mov_b32 v41, 0xff7fffff :: v_dual_add_nc_u32 v42, 1, v3
	v_dual_mov_b32 v46, v34 :: v_dual_add_nc_u32 v43, 0xa0, v4
	s_delay_alu instid0(TRANS32_DEP_1)
	v_readfirstlane_b32 s3, v1
	s_wait_kmcnt 0x0
	s_add_nc_u64 s[28:29], s[38:39], s[28:29]
	v_mov_b32_e32 v38, 0xff7fffff
	v_add_co_u32 v44, s25, s28, v2
	s_mul_f32 s3, s3, 0x4f7ffffe
	v_add_co_ci_u32_e64 v45, null, s29, 0, s25
	s_mov_b32 s14, s13
	s_wait_alu 0xfffe
	s_cvt_u32_f32 s3, s3
	s_mov_b32 s25, 0
	s_wait_alu 0xfffe
	s_delay_alu instid0(SALU_CYCLE_1) | instskip(NEXT) | instid1(SALU_CYCLE_1)
	s_mul_i32 s4, s4, s3
	s_mul_hi_u32 s4, s3, s4
	s_delay_alu instid0(SALU_CYCLE_1)
	s_add_co_i32 s28, s3, s4
	s_branch .LBB109_12
.LBB109_11:                             ;   in Loop: Header=BB109_12 Depth=1
	s_wait_alu 0xfffe
	s_or_b32 exec_lo, exec_lo, s4
	v_add_nc_u32_e32 v46, 4, v46
	v_add_co_u32 v29, s4, v29, 16
	s_wait_alu 0xf1ff
	v_add_co_ci_u32_e64 v30, null, 0, v30, s4
	s_delay_alu instid0(VALU_DEP_3)
	v_cmp_le_i32_e64 s3, s33, v46
	v_add_nc_u32_e32 v40, 0x80, v40
	v_add_nc_u32_e32 v43, 0x200, v43
	s_or_b32 s25, s3, s25
	s_wait_alu 0xfffe
	s_and_not1_b32 exec_lo, exec_lo, s25
	s_cbranch_execz .LBB109_16
.LBB109_12:                             ; =>This Inner Loop Header: Depth=1
	v_sub_nc_u32_e32 v1, 0, v40
	s_delay_alu instid0(VALU_DEP_1) | instskip(NEXT) | instid1(VALU_DEP_1)
	v_max_i32_e32 v1, v40, v1
	v_mul_hi_u32 v2, v1, s18
	s_delay_alu instid0(VALU_DEP_1) | instskip(NEXT) | instid1(VALU_DEP_1)
	v_mul_lo_u32 v3, v2, s12
	v_sub_nc_u32_e32 v1, v1, v3
	v_add_nc_u32_e32 v3, 1, v2
	s_delay_alu instid0(VALU_DEP_2) | instskip(SKIP_2) | instid1(VALU_DEP_1)
	v_subrev_nc_u32_e32 v4, s12, v1
	v_cmp_le_u32_e64 s3, s12, v1
	s_wait_alu 0xf1ff
	v_cndmask_b32_e64 v2, v2, v3, s3
	s_delay_alu instid0(VALU_DEP_3) | instskip(SKIP_1) | instid1(VALU_DEP_3)
	v_cndmask_b32_e64 v1, v1, v4, s3
	v_ashrrev_i32_e32 v3, 31, v40
	v_add_nc_u32_e32 v4, 1, v2
	s_delay_alu instid0(VALU_DEP_3) | instskip(NEXT) | instid1(VALU_DEP_3)
	v_cmp_le_u32_e64 s3, s12, v1
	v_xor_b32_e32 v3, s19, v3
	s_wait_alu 0xf1ff
	s_delay_alu instid0(VALU_DEP_2) | instskip(NEXT) | instid1(VALU_DEP_1)
	v_cndmask_b32_e64 v1, v2, v4, s3
	v_xor_b32_e32 v1, v1, v3
	s_delay_alu instid0(VALU_DEP_1) | instskip(NEXT) | instid1(VALU_DEP_1)
	v_sub_nc_u32_e32 v1, v1, v3
	v_add_nc_u32_e32 v2, s17, v1
	v_cmp_ge_i32_e64 s4, s10, v1
	s_delay_alu instid0(VALU_DEP_2) | instskip(NEXT) | instid1(VALU_DEP_1)
	v_sub_nc_u32_e32 v3, 0, v2
	v_max_i32_e32 v3, v2, v3
	v_ashrrev_i32_e32 v2, 31, v2
	s_wait_alu 0xfffe
	s_delay_alu instid0(VALU_DEP_2) | instskip(NEXT) | instid1(VALU_DEP_1)
	v_mul_hi_u32 v4, v3, s28
	v_mul_lo_u32 v4, v4, s11
	s_delay_alu instid0(VALU_DEP_1) | instskip(NEXT) | instid1(VALU_DEP_1)
	v_sub_nc_u32_e32 v3, v3, v4
	v_subrev_nc_u32_e32 v4, s11, v3
	v_cmp_le_u32_e64 s3, s11, v3
	s_wait_alu 0xf1ff
	s_delay_alu instid0(VALU_DEP_1) | instskip(NEXT) | instid1(VALU_DEP_1)
	v_cndmask_b32_e64 v3, v3, v4, s3
	v_subrev_nc_u32_e32 v4, s11, v3
	v_cmp_le_u32_e64 s3, s11, v3
	s_wait_alu 0xf1ff
	s_delay_alu instid0(VALU_DEP_1) | instskip(NEXT) | instid1(VALU_DEP_1)
	v_cndmask_b32_e64 v3, v3, v4, s3
	v_xor_b32_e32 v3, v3, v2
	s_delay_alu instid0(VALU_DEP_1) | instskip(NEXT) | instid1(VALU_DEP_1)
	v_sub_nc_u32_e32 v2, v3, v2
	v_cmp_ne_u32_e64 s3, 0, v2
	s_and_b32 s3, s3, s4
	s_wait_alu 0xfffe
	s_and_saveexec_b32 s4, s3
	s_wait_alu 0xfffe
	s_xor_b32 s3, exec_lo, s4
; %bb.13:                               ;   in Loop: Header=BB109_12 Depth=1
	ds_store_b32 v43, v41
; %bb.14:                               ;   in Loop: Header=BB109_12 Depth=1
	s_wait_alu 0xfffe
	s_and_not1_saveexec_b32 s4, s3
	s_cbranch_execz .LBB109_11
; %bb.15:                               ;   in Loop: Header=BB109_12 Depth=1
	global_load_b32 v1, v[29:30], off
	s_wait_loadcnt 0x0
	v_mad_co_i64_i32 v[1:2], null, v1, s14, 0
	s_delay_alu instid0(VALU_DEP_1) | instskip(NEXT) | instid1(VALU_DEP_1)
	v_lshlrev_b64_e32 v[1:2], 1, v[1:2]
	v_add_co_u32 v1, s3, v44, v1
	s_wait_alu 0xf1ff
	s_delay_alu instid0(VALU_DEP_2)
	v_add_co_ci_u32_e64 v2, null, v45, v2, s3
	s_clause 0x7
	global_load_b128 v[61:64], v[1:2], off
	global_load_b128 v[25:28], v[1:2], off offset:512
	global_load_b128 v[21:24], v[1:2], off offset:1024
	;; [unrolled: 1-line block ×7, first 2 shown]
	ds_load_b128 v[47:50], v39
	s_wait_dscnt 0x0
	v_lshrrev_b32_e32 v53, 16, v47
	v_and_b32_e32 v47, 0xffff, v47
	v_lshrrev_b32_e32 v52, 16, v48
	v_and_b32_e32 v51, 0xffff, v48
	v_lshrrev_b32_e32 v56, 16, v49
	v_lshrrev_b32_e32 v60, 16, v50
	v_and_b32_e32 v59, 0xffff, v50
	;;#ASMSTART
	v_cvt_f32_f16 v47, v47;
	;;#ASMEND
	;;#ASMSTART
	v_cvt_f32_f16 v48, v53;
	;;#ASMEND
	v_and_b32_e32 v55, 0xffff, v49
	s_wait_loadcnt 0x7
	v_lshrrev_b32_e32 v50, 16, v61
	v_and_b32_e32 v49, 0xffff, v61
	v_lshrrev_b32_e32 v54, 16, v62
	v_and_b32_e32 v53, 0xffff, v62
	v_and_b32_e32 v57, 0xffff, v63
	v_lshrrev_b32_e32 v58, 16, v63
	v_lshrrev_b32_e32 v62, 16, v64
	;;#ASMSTART
	v_cvt_f32_f16 v49, v49;
	;;#ASMEND
	;;#ASMSTART
	v_cvt_f32_f16 v50, v50;
	;;#ASMEND
	;; [unrolled: 3-line block ×9, first 2 shown]
	v_and_b32_e32 v61, 0xffff, v64
	;;#ASMSTART
	v_cvt_f32_f16 v58, v58;
	;;#ASMEND
	;;#ASMSTART
	v_cvt_f32_f16 v59, v59;
	;;#ASMEND
	;; [unrolled: 3-line block ×5, first 2 shown]
	ds_load_b128 v[63:66], v39 offset:16
	s_wait_loadcnt 0x6
	v_lshrrev_b32_e32 v67, 16, v25
	v_and_b32_e32 v25, 0xffff, v25
	v_lshrrev_b32_e32 v70, 16, v26
	v_lshrrev_b32_e32 v74, 16, v27
	;; [unrolled: 1-line block ×3, first 2 shown]
	s_wait_loadcnt 0x1
	v_lshrrev_b32_e32 v118, 16, v7
	v_and_b32_e32 v119, 0xffff, v7
	v_lshrrev_b32_e32 v80, 16, v21
	v_and_b32_e32 v21, 0xffff, v21
	;; [unrolled: 2-line block ×4, first 2 shown]
	v_lshrrev_b32_e32 v89, 16, v24
	v_lshrrev_b32_e32 v90, 16, v17
	v_and_b32_e32 v91, 0xffff, v17
	v_lshrrev_b32_e32 v92, 16, v18
	v_and_b32_e32 v93, 0xffff, v18
	v_lshrrev_b32_e32 v94, 16, v19
	s_wait_dscnt 0x0
	v_lshrrev_b32_e32 v68, 16, v63
	v_and_b32_e32 v63, 0xffff, v63
	v_lshrrev_b32_e32 v69, 16, v64
	v_and_b32_e32 v71, 0xffff, v64
	v_lshrrev_b32_e32 v72, 16, v65
	v_and_b32_e32 v73, 0xffff, v65
	v_lshrrev_b32_e32 v76, 16, v66
	v_and_b32_e32 v75, 0xffff, v66
	;;#ASMSTART
	v_cvt_f32_f16 v63, v63;
	;;#ASMEND
	;;#ASMSTART
	v_cvt_f32_f16 v64, v68;
	;;#ASMEND
	;; [unrolled: 3-line block ×6, first 2 shown]
	v_and_b32_e32 v26, 0xffff, v26
	;;#ASMSTART
	v_cvt_f32_f16 v69, v26;
	;;#ASMEND
	;;#ASMSTART
	v_cvt_f32_f16 v70, v70;
	;;#ASMEND
	v_mul_f32_e32 v68, v68, v70
	v_dual_mul_f32 v7, v67, v69 :: v_dual_and_b32 v28, 0xffff, v28
	;;#ASMSTART
	v_cvt_f32_f16 v71, v73;
	;;#ASMEND
	;;#ASMSTART
	v_cvt_f32_f16 v72, v72;
	;;#ASMEND
	s_delay_alu instid0(VALU_DEP_2)
	v_dual_fmac_f32 v68, v52, v54 :: v_dual_and_b32 v27, 0xffff, v27
	;;#ASMSTART
	v_cvt_f32_f16 v73, v27;
	;;#ASMEND
	;;#ASMSTART
	v_cvt_f32_f16 v74, v74;
	;;#ASMEND
	;; [unrolled: 3-line block ×6, first 2 shown]
	ds_load_b128 v[25:28], v39 offset:32
	v_and_b32_e32 v24, 0xffff, v24
	v_dual_mul_f32 v70, v71, v73 :: v_dual_mul_f32 v71, v72, v74
	v_mul_f32_e32 v73, v76, v78
	v_fmac_f32_e32 v7, v51, v53
	v_and_b32_e32 v95, 0xffff, v19
	v_lshrrev_b32_e32 v106, 16, v9
	v_and_b32_e32 v107, 0xffff, v9
	v_lshrrev_b32_e32 v108, 16, v10
	;; [unrolled: 2-line block ×7, first 2 shown]
	s_wait_dscnt 0x0
	v_lshrrev_b32_e32 v18, 16, v25
	v_and_b32_e32 v17, 0xffff, v25
	v_lshrrev_b32_e32 v82, 16, v26
	v_and_b32_e32 v83, 0xffff, v26
	;; [unrolled: 2-line block ×4, first 2 shown]
	;;#ASMSTART
	v_cvt_f32_f16 v17, v17;
	;;#ASMEND
	;;#ASMSTART
	v_cvt_f32_f16 v18, v18;
	;;#ASMEND
	;; [unrolled: 3-line block ×16, first 2 shown]
	ds_load_b128 v[21:24], v39 offset:48
	v_and_b32_e32 v101, 0xffff, v14
	v_lshrrev_b32_e32 v102, 16, v15
	v_and_b32_e32 v103, 0xffff, v15
	v_lshrrev_b32_e32 v104, 16, v16
	v_and_b32_e32 v105, 0xffff, v16
	v_fmac_f32_e32 v71, v56, v58
	v_dual_fmac_f32 v73, v60, v62 :: v_dual_fmac_f32 v70, v55, v57
	v_and_b32_e32 v117, 0xffff, v6
	s_wait_loadcnt 0x0
	v_lshrrev_b32_e32 v122, 16, v1
	v_and_b32_e32 v123, 0xffff, v1
	v_lshrrev_b32_e32 v124, 16, v2
	v_dual_fmac_f32 v70, v82, v84 :: v_dual_and_b32 v125, 0xffff, v2
	v_lshrrev_b32_e32 v126, 16, v3
	v_and_b32_e32 v127, 0xffff, v3
	v_lshrrev_b32_e32 v128, 16, v4
	v_and_b32_e32 v129, 0xffff, v4
	v_lshrrev_b32_e32 v120, 16, v8
	s_wait_dscnt 0x0
	v_lshrrev_b32_e32 v9, 16, v21
	v_and_b32_e32 v10, 0xffff, v21
	v_lshrrev_b32_e32 v11, 16, v22
	v_and_b32_e32 v12, 0xffff, v22
	;; [unrolled: 2-line block ×4, first 2 shown]
	;;#ASMSTART
	v_cvt_f32_f16 v13, v10;
	;;#ASMEND
	;;#ASMSTART
	v_cvt_f32_f16 v14, v9;
	;;#ASMEND
	;; [unrolled: 3-line block ×16, first 2 shown]
	ds_load_b128 v[9:12], v39 offset:64
	v_dual_fmac_f32 v70, v23, v90 :: v_dual_add_nc_u32 v79, v42, v40
	v_lshrrev_b32_e32 v116, 16, v6
	v_mul_f32_e32 v6, v64, v66
	v_lshrrev_b32_e32 v114, 16, v5
	v_and_b32_e32 v121, 0xffff, v8
	v_cvt_f32_i32_e32 v79, v79
	v_and_b32_e32 v115, 0xffff, v5
	v_mul_f32_e32 v5, v63, v65
	v_fmac_f32_e32 v7, v27, v80
	v_fmac_f32_e32 v71, v83, v85
	;; [unrolled: 1-line block ×3, first 2 shown]
	v_mul_f32_e32 v72, v75, v77
	v_dual_fmac_f32 v5, v47, v49 :: v_dual_fmac_f32 v6, v48, v50
	v_fmac_f32_e32 v7, v19, v21
	v_fmac_f32_e32 v68, v28, v81
	s_delay_alu instid0(VALU_DEP_4) | instskip(NEXT) | instid1(VALU_DEP_4)
	v_fmac_f32_e32 v72, v59, v61
	v_fmac_f32_e32 v5, v17, v25
	s_wait_dscnt 0x0
	v_lshrrev_b32_e32 v1, 16, v9
	v_and_b32_e32 v2, 0xffff, v9
	v_lshrrev_b32_e32 v3, 16, v10
	v_and_b32_e32 v4, 0xffff, v10
	;; [unrolled: 2-line block ×3, first 2 shown]
	v_and_b32_e32 v97, 0xffff, v12
	v_lshrrev_b32_e32 v130, 16, v12
	;;#ASMSTART
	v_cvt_f32_f16 v8, v2;
	;;#ASMEND
	;;#ASMSTART
	v_cvt_f32_f16 v9, v1;
	;;#ASMEND
	;; [unrolled: 3-line block ×16, first 2 shown]
	ds_load_b128 v[1:4], v39 offset:80
	v_dual_fmac_f32 v5, v13, v15 :: v_dual_fmac_f32 v6, v18, v26
	v_fmac_f32_e32 v68, v20, v22
	v_fmac_f32_e32 v7, v12, v64
	s_delay_alu instid0(VALU_DEP_3) | instskip(NEXT) | instid1(VALU_DEP_4)
	v_dual_fmac_f32 v72, v86, v88 :: v_dual_fmac_f32 v5, v8, v10
	v_fmac_f32_e32 v6, v14, v16
	s_delay_alu instid0(VALU_DEP_4) | instskip(SKIP_1) | instid1(VALU_DEP_4)
	v_fmac_f32_e32 v68, v63, v65
	v_fmac_f32_e32 v70, v66, v69
	;; [unrolled: 1-line block ×3, first 2 shown]
	s_delay_alu instid0(VALU_DEP_4) | instskip(NEXT) | instid1(VALU_DEP_2)
	v_fmac_f32_e32 v6, v9, v11
	v_fmac_f32_e32 v72, v97, v99
	s_wait_dscnt 0x0
	v_lshrrev_b32_e32 v25, 16, v1
	v_and_b32_e32 v1, 0xffff, v1
	v_lshrrev_b32_e32 v50, 16, v2
	v_and_b32_e32 v2, 0xffff, v2
	;; [unrolled: 2-line block ×4, first 2 shown]
	;;#ASMSTART
	v_cvt_f32_f16 v17, v1;
	;;#ASMEND
	;;#ASMSTART
	v_cvt_f32_f16 v25, v25;
	;;#ASMEND
	;; [unrolled: 3-line block ×16, first 2 shown]
	ds_load_b128 v[1:4], v39 offset:96
	v_fmac_f32_e32 v71, v24, v91
	v_fmac_f32_e32 v73, v93, v95
	;; [unrolled: 1-line block ×4, first 2 shown]
	v_dual_fmac_f32 v7, v49, v51 :: v_dual_fmac_f32 v68, v50, v52
	v_fmac_f32_e32 v70, v53, v55
	v_fmac_f32_e32 v72, v57, v59
	s_wait_dscnt 0x0
	v_lshrrev_b32_e32 v9, 16, v1
	v_and_b32_e32 v1, 0xffff, v1
	v_lshrrev_b32_e32 v13, 16, v2
	v_and_b32_e32 v2, 0xffff, v2
	;; [unrolled: 2-line block ×4, first 2 shown]
	;;#ASMSTART
	v_cvt_f32_f16 v8, v1;
	;;#ASMEND
	;;#ASMSTART
	v_cvt_f32_f16 v9, v9;
	;;#ASMEND
	;; [unrolled: 3-line block ×16, first 2 shown]
	ds_load_b128 v[1:4], v39 offset:112
	v_dual_fmac_f32 v5, v8, v10 :: v_dual_fmac_f32 v6, v9, v11
	v_fmac_f32_e32 v7, v12, v14
	v_dual_fmac_f32 v71, v67, v96 :: v_dual_fmac_f32 v68, v13, v15
	v_dual_fmac_f32 v70, v16, v19 :: v_dual_fmac_f32 v73, v98, v100
	s_delay_alu instid0(VALU_DEP_2) | instskip(NEXT) | instid1(VALU_DEP_2)
	v_dual_fmac_f32 v72, v21, v23 :: v_dual_fmac_f32 v71, v54, v56
	v_fmac_f32_e32 v73, v58, v60
	s_delay_alu instid0(VALU_DEP_2) | instskip(SKIP_1) | instid1(VALU_DEP_2)
	v_fmac_f32_e32 v71, v18, v20
	s_wait_dscnt 0x0
	v_dual_fmac_f32 v73, v22, v24 :: v_dual_and_b32 v8, 0xffff, v1
	v_lshrrev_b32_e32 v9, 16, v1
	v_lshrrev_b32_e32 v10, 16, v2
	v_and_b32_e32 v11, 0xffff, v2
	;;#ASMSTART
	v_cvt_f32_f16 v1, v8;
	;;#ASMEND
	;;#ASMSTART
	v_cvt_f32_f16 v2, v9;
	;;#ASMEND
	;; [unrolled: 3-line block ×4, first 2 shown]
	v_dual_fmac_f32 v5, v1, v8 :: v_dual_fmac_f32 v6, v2, v9
	;;#ASMSTART
	v_cvt_f32_f16 v1, v11;
	;;#ASMEND
	;;#ASMSTART
	v_cvt_f32_f16 v2, v10;
	;;#ASMEND
	;; [unrolled: 3-line block ×3, first 2 shown]
	v_fmac_f32_e32 v7, v1, v8
	v_add_f32_e32 v1, v5, v6
	v_and_b32_e32 v5, 0xffff, v3
	v_lshrrev_b32_e32 v6, 16, v3
	;;#ASMSTART
	v_cvt_f32_f16 v3, v124;
	;;#ASMEND
	v_fmac_f32_e32 v68, v2, v3
	v_add_f32_e32 v1, v1, v7
	;;#ASMSTART
	v_cvt_f32_f16 v2, v5;
	;;#ASMEND
	;;#ASMSTART
	v_cvt_f32_f16 v3, v6;
	;;#ASMEND
	;; [unrolled: 3-line block ×3, first 2 shown]
	v_fmac_f32_e32 v70, v2, v5
	v_add_f32_e32 v1, v68, v1
	;;#ASMSTART
	v_cvt_f32_f16 v2, v126;
	;;#ASMEND
	v_fmac_f32_e32 v71, v3, v2
	v_and_b32_e32 v5, 0xffff, v4
	v_lshrrev_b32_e32 v4, 16, v4
	v_add_f32_e32 v1, v1, v70
	;;#ASMSTART
	v_cvt_f32_f16 v2, v5;
	;;#ASMEND
	;;#ASMSTART
	v_cvt_f32_f16 v3, v4;
	;;#ASMEND
	;; [unrolled: 3-line block ×3, first 2 shown]
	s_delay_alu instid0(VALU_DEP_1) | instskip(SKIP_4) | instid1(VALU_DEP_3)
	v_dual_fmac_f32 v72, v2, v4 :: v_dual_add_f32 v1, v71, v1
	v_mul_f32_e32 v2, s15, v79
	;;#ASMSTART
	v_cvt_f32_f16 v4, v128;
	;;#ASMEND
	v_fmac_f32_e32 v73, v3, v4
	v_max_num_f32_e32 v3, v38, v38
	v_dual_add_f32 v1, v1, v72 :: v_dual_cndmask_b32 v2, 0, v2
	s_delay_alu instid0(VALU_DEP_1) | instskip(NEXT) | instid1(VALU_DEP_1)
	v_add_f32_e32 v1, v73, v1
	v_dual_fmac_f32 v2, s9, v1 :: v_dual_add_nc_u32 v1, v32, v40
	s_delay_alu instid0(VALU_DEP_1) | instskip(NEXT) | instid1(VALU_DEP_2)
	v_max_num_f32_e32 v3, v3, v2
	v_cmp_gt_i32_e64 s3, s31, v1
	s_wait_alu 0xf1ff
	s_delay_alu instid0(VALU_DEP_1) | instskip(NEXT) | instid1(VALU_DEP_3)
	v_cndmask_b32_e64 v1, 0, v2, s3
	v_cndmask_b32_e64 v38, v38, v3, s3
	ds_store_b32 v43, v1
	s_branch .LBB109_11
.LBB109_16:
	s_or_b32 exec_lo, exec_lo, s25
.LBB109_17:
	s_delay_alu instid0(SALU_CYCLE_1)
	s_or_b32 exec_lo, exec_lo, s8
	v_mbcnt_lo_u32_b32 v1, -1, 0
	s_clause 0x2
	s_load_b128 s[8:11], s[0:1], 0x0
	s_load_b64 s[14:15], s[0:1], 0x10
	s_load_b64 s[28:29], s[0:1], 0x28
	v_xor_b32_e32 v2, 16, v1
	v_xor_b32_e32 v4, 8, v1
	s_delay_alu instid0(VALU_DEP_2) | instskip(SKIP_2) | instid1(VALU_DEP_3)
	v_cmp_gt_i32_e32 vcc_lo, 32, v2
	s_wait_alu 0xfffd
	v_cndmask_b32_e32 v2, v1, v2, vcc_lo
	v_cmp_gt_i32_e32 vcc_lo, 32, v4
	v_max_num_f32_e32 v5, v38, v38
	s_delay_alu instid0(VALU_DEP_3)
	v_lshlrev_b32_e32 v2, 2, v2
	s_wait_alu 0xfffd
	v_cndmask_b32_e32 v4, v1, v4, vcc_lo
	ds_bpermute_b32 v3, v2, v38
	s_wait_dscnt 0x0
	v_dual_max_num_f32 v6, v3, v3 :: v_dual_lshlrev_b32 v3, 2, v4
	s_delay_alu instid0(VALU_DEP_1)
	v_max_num_f32_e32 v4, v5, v6
	v_xor_b32_e32 v6, 4, v1
	ds_bpermute_b32 v5, v3, v4
	v_cmp_gt_i32_e32 vcc_lo, 32, v6
	s_wait_alu 0xfffd
	v_cndmask_b32_e32 v6, v1, v6, vcc_lo
	s_wait_dscnt 0x0
	v_max_num_f32_e32 v7, v5, v5
	s_delay_alu instid0(VALU_DEP_1)
	v_dual_max_num_f32 v4, v4, v7 :: v_dual_lshlrev_b32 v5, 2, v6
	v_xor_b32_e32 v7, 2, v1
	ds_bpermute_b32 v6, v5, v4
	v_cmp_gt_i32_e32 vcc_lo, 32, v7
	s_wait_dscnt 0x0
	s_wait_alu 0xfffd
	v_dual_cndmask_b32 v7, v1, v7 :: v_dual_max_num_f32 v6, v6, v6
	s_delay_alu instid0(VALU_DEP_1) | instskip(NEXT) | instid1(VALU_DEP_2)
	v_max_num_f32_e32 v4, v4, v6
	v_lshlrev_b32_e32 v10, 2, v7
	v_xor_b32_e32 v7, 1, v1
	s_delay_alu instid0(VALU_DEP_1)
	v_cmp_gt_i32_e32 vcc_lo, 32, v7
	s_wait_alu 0xfffd
	v_cndmask_b32_e32 v7, v1, v7, vcc_lo
	ds_bpermute_b32 v6, v10, v4
	v_cmp_eq_u32_e32 vcc_lo, 0, v32
	s_wait_dscnt 0x0
	v_dual_max_num_f32 v6, v6, v6 :: v_dual_lshlrev_b32 v9, 2, v7
	s_delay_alu instid0(VALU_DEP_1)
	v_dual_max_num_f32 v1, v4, v6 :: v_dual_lshlrev_b32 v6, 2, v31
	ds_bpermute_b32 v4, v9, v1
	s_and_saveexec_b32 s0, vcc_lo
	s_cbranch_execz .LBB109_19
; %bb.18:
	s_wait_dscnt 0x0
	v_dual_max_num_f32 v4, v4, v4 :: v_dual_max_num_f32 v1, v1, v1
	s_delay_alu instid0(VALU_DEP_1)
	v_max_num_f32_e32 v1, v1, v4
	ds_store_b32 v6, v1 offset:128
.LBB109_19:
	s_or_b32 exec_lo, exec_lo, s0
	v_cmp_gt_u32_e64 s0, 4, v32
	v_mov_b32_e32 v1, 0xff7fffff
	s_wait_loadcnt_dscnt 0x0
	s_barrier_signal -1
	s_barrier_wait -1
	global_inv scope:SCOPE_SE
	s_and_saveexec_b32 s1, s0
; %bb.20:
	ds_load_b32 v1, v37 offset:128
; %bb.21:
	s_or_b32 exec_lo, exec_lo, s1
	s_wait_dscnt 0x0
	ds_bpermute_b32 v4, v10, v1
	v_max_num_f32_e32 v1, v1, v1
	s_sub_co_i32 s1, s33, s37
	v_mov_b32_e32 v7, 0
	s_lshl_b32 s1, s1, 5
	s_delay_alu instid0(SALU_CYCLE_1) | instskip(NEXT) | instid1(SALU_CYCLE_1)
	s_add_co_i32 s1, s1, s34
	s_min_i32 s1, s1, s31
	s_delay_alu instid0(SALU_CYCLE_1) | instskip(SKIP_4) | instid1(VALU_DEP_1)
	s_sub_co_i32 s4, s1, s34
	s_wait_alu 0xfffe
	v_cmp_gt_i32_e64 s1, s4, v0
	s_wait_dscnt 0x0
	v_max_num_f32_e32 v4, v4, v4
	v_max_num_f32_e32 v1, v1, v4
	ds_bpermute_b32 v4, v9, v1
	s_wait_dscnt 0x0
	v_max_num_f32_e32 v4, v4, v4
	s_delay_alu instid0(VALU_DEP_1)
	v_max_num_f32_e32 v1, v1, v4
	v_lshl_add_u32 v4, v0, 2, 0xa0
	ds_bpermute_b32 v1, v7, v1
	s_and_saveexec_b32 s25, s1
	s_cbranch_execz .LBB109_25
; %bb.22:
	v_lshl_add_u32 v8, v0, 2, 0xa0
	v_mov_b32_e32 v7, 0
	v_mov_b32_e32 v11, v0
	s_mov_b32 s34, 0
.LBB109_23:                             ; =>This Inner Loop Header: Depth=1
	ds_load_b32 v12, v8
	v_add_nc_u32_e32 v11, 0x80, v11
	s_delay_alu instid0(VALU_DEP_1) | instskip(SKIP_4) | instid1(VALU_DEP_1)
	v_cmp_le_i32_e64 s3, s4, v11
	s_wait_alu 0xfffe
	s_or_b32 s34, s3, s34
	s_wait_dscnt 0x0
	v_sub_f32_e32 v12, v12, v1
	v_mul_f32_e32 v12, 0x3fb8aa3b, v12
	s_delay_alu instid0(VALU_DEP_1)
	v_exp_f32_e32 v12, v12
	ds_store_b32 v8, v12
	v_add_f32_e32 v7, v7, v12
	v_add_nc_u32_e32 v8, 0x200, v8
	s_wait_alu 0xfffe
	s_and_not1_b32 exec_lo, exec_lo, s34
	s_cbranch_execnz .LBB109_23
; %bb.24:
	s_or_b32 exec_lo, exec_lo, s34
.LBB109_25:
	s_wait_alu 0xfffe
	s_or_b32 exec_lo, exec_lo, s25
	ds_bpermute_b32 v2, v2, v7
	s_wait_dscnt 0x0
	v_add_f32_e32 v2, v7, v2
	ds_bpermute_b32 v3, v3, v2
	s_wait_dscnt 0x0
	v_add_f32_e32 v2, v2, v3
	;; [unrolled: 3-line block ×5, first 2 shown]
	s_and_saveexec_b32 s3, vcc_lo
; %bb.26:
	ds_store_b32 v6, v2 offset:144
; %bb.27:
	s_wait_alu 0xfffe
	s_or_b32 exec_lo, exec_lo, s3
	s_wait_loadcnt_dscnt 0x0
	s_barrier_signal -1
	s_barrier_wait -1
	global_inv scope:SCOPE_SE
	s_and_saveexec_b32 s3, s0
; %bb.28:
	ds_load_b32 v2, v37 offset:144
; %bb.29:
	s_wait_alu 0xfffe
	s_or_b32 exec_lo, exec_lo, s3
	s_wait_dscnt 0x0
	ds_bpermute_b32 v3, v10, v2
	s_wait_dscnt 0x0
	v_add_f32_e32 v2, v2, v3
	ds_bpermute_b32 v3, v9, v2
	s_wait_dscnt 0x0
	v_dual_add_f32 v2, v2, v3 :: v_dual_mov_b32 v3, 0
	ds_bpermute_b32 v2, v3, v2
	s_and_saveexec_b32 s0, s1
	s_cbranch_execz .LBB109_32
; %bb.30:
	s_wait_dscnt 0x0
	v_add_f32_e32 v3, 0x358637bd, v2
	s_mov_b32 s1, 0
	s_delay_alu instid0(VALU_DEP_1) | instskip(SKIP_1) | instid1(VALU_DEP_2)
	v_div_scale_f32 v5, null, v3, v3, 1.0
	v_div_scale_f32 v8, vcc_lo, 1.0, v3, 1.0
	v_rcp_f32_e32 v6, v5
	s_delay_alu instid0(TRANS32_DEP_1) | instskip(NEXT) | instid1(VALU_DEP_1)
	v_fma_f32 v7, -v5, v6, 1.0
	v_fmac_f32_e32 v6, v7, v6
	s_delay_alu instid0(VALU_DEP_1) | instskip(NEXT) | instid1(VALU_DEP_1)
	v_mul_f32_e32 v7, v8, v6
	v_fma_f32 v11, -v5, v7, v8
	s_delay_alu instid0(VALU_DEP_1) | instskip(NEXT) | instid1(VALU_DEP_1)
	v_fmac_f32_e32 v7, v11, v6
	v_fma_f32 v5, -v5, v7, v8
	s_wait_alu 0xfffd
	s_delay_alu instid0(VALU_DEP_1) | instskip(NEXT) | instid1(VALU_DEP_1)
	v_div_fmas_f32 v5, v5, v6, v7
	v_div_fixup_f32 v3, v5, v3, 1.0
	v_mov_b32_e32 v5, v0
.LBB109_31:                             ; =>This Inner Loop Header: Depth=1
	ds_load_b32 v6, v4
	s_wait_dscnt 0x0
	v_dual_mul_f32 v6, v3, v6 :: v_dual_add_nc_u32 v5, 0x80, v5
	s_delay_alu instid0(VALU_DEP_1) | instskip(SKIP_3) | instid1(SALU_CYCLE_1)
	v_cmp_le_i32_e32 vcc_lo, s4, v5
	ds_store_b32 v4, v6
	v_add_nc_u32_e32 v4, 0x200, v4
	s_or_b32 s1, vcc_lo, s1
	s_and_not1_b32 exec_lo, exec_lo, s1
	s_cbranch_execnz .LBB109_31
.LBB109_32:
	s_or_b32 exec_lo, exec_lo, s0
	s_mul_i32 s0, s7, s26
	s_wait_loadcnt_dscnt 0x0
	s_mul_i32 s26, s0, s27
	s_mov_b32 s0, exec_lo
	s_barrier_signal -1
	s_barrier_wait -1
	global_inv scope:SCOPE_SE
	v_cmpx_eq_u32_e32 0, v0
	s_cbranch_execz .LBB109_34
; %bb.33:
	s_ashr_i32 s27, s26, 31
	s_mul_i32 s38, s7, ttmp9
	s_lshl_b32 s1, s30, 2
	s_lshl_b64 s[40:41], s[26:27], 2
	s_ashr_i32 s39, s38, 31
	v_mov_b32_e32 v3, s1
	s_wait_kmcnt 0x0
	s_wait_alu 0xfffe
	s_add_nc_u64 s[10:11], s[10:11], s[40:41]
	s_lshl_b64 s[38:39], s[38:39], 2
	s_add_nc_u64 s[8:9], s[8:9], s[40:41]
	s_wait_alu 0xfffe
	s_add_nc_u64 s[10:11], s[10:11], s[38:39]
	s_add_nc_u64 s[8:9], s[8:9], s[38:39]
	s_clause 0x1
	global_store_b32 v3, v1, s[10:11]
	global_store_b32 v3, v2, s[8:9]
.LBB109_34:
	s_or_b32 exec_lo, exec_lo, s0
	v_dual_mov_b32 v18, 0 :: v_dual_and_b32 v11, 3, v0
	v_dual_mov_b32 v19, 0 :: v_dual_mov_b32 v16, 0
	v_dual_mov_b32 v17, 0 :: v_dual_mov_b32 v14, 0
	;; [unrolled: 1-line block ×3, first 2 shown]
	v_mov_b32_e32 v13, 0
	s_and_saveexec_b32 s1, s2
	s_cbranch_execz .LBB109_56
; %bb.35:
	s_abs_i32 s2, s6
	v_dual_mov_b32 v15, 0 :: v_dual_lshlrev_b32 v4, 5, v11
	s_wait_alu 0xfffe
	s_cvt_f32_u32 s0, s2
	s_ashr_i32 s25, s24, 31
	s_wait_kmcnt 0x0
	s_lshl_b64 s[8:9], s[22:23], 2
	v_dual_mov_b32 v12, 0 :: v_dual_and_b32 v3, 0x1f0, v35
	s_wait_alu 0xfffe
	v_rcp_iflag_f32_e32 v1, s0
	s_lshl_b64 s[10:11], s[24:25], 1
	s_add_nc_u64 s[8:9], s[20:21], s[8:9]
	v_dual_mov_b32 v13, 0 :: v_dual_lshlrev_b32 v2, 3, v0
	s_wait_alu 0xfffe
	s_add_nc_u64 s[10:11], s[28:29], s[10:11]
	v_add_co_u32 v5, s6, s8, v36
	s_sub_co_i32 s3, s36, s5
	s_sub_co_i32 s5, 0, s2
	s_delay_alu instid0(TRANS32_DEP_1)
	v_readfirstlane_b32 s0, v1
	v_lshl_or_b32 v1, v31, 7, v4
	v_add_co_ci_u32_e64 v6, null, s9, 0, s6
	s_wait_alu 0xfffe
	v_add_co_u32 v21, s6, s10, v3
	s_mul_f32 s0, s0, 0x4f7ffffe
	v_dual_mov_b32 v17, 0 :: v_dual_and_b32 v20, 24, v2
	v_add_co_ci_u32_e64 v22, null, s11, 0, s6
	s_wait_alu 0xfffe
	s_cvt_u32_f32 s0, s0
	v_dual_mov_b32 v14, 0 :: v_dual_add_nc_u32 v23, 0xa0, v1
	v_dual_mov_b32 v16, 0 :: v_dual_mov_b32 v19, 0
	s_wait_alu 0xfffe
	s_mul_i32 s5, s5, s0
	v_mov_b32_e32 v18, 0
	s_wait_alu 0xfffe
	s_mul_hi_u32 s6, s0, s5
	s_mov_b32 s4, s13
	s_add_co_i32 s35, s35, -1
	s_mov_b32 s5, 0
	s_wait_alu 0xfffe
	s_add_co_i32 s6, s0, s6
	s_branch .LBB109_38
.LBB109_36:                             ;   in Loop: Header=BB109_38 Depth=1
	s_wait_alu 0xfffe
	s_or_b32 exec_lo, exec_lo, s0
	v_dual_add_f32 v24, v53, v54 :: v_dual_add_f32 v25, v50, v51
	v_lshlrev_b32_e32 v26, 16, v52
	v_lshlrev_b32_e32 v7, 16, v7
	;; [unrolled: 1-line block ×3, first 2 shown]
	s_delay_alu instid0(VALU_DEP_4) | instskip(SKIP_1) | instid1(VALU_DEP_4)
	v_dual_add_f32 v13, v13, v24 :: v_dual_add_f32 v14, v14, v25
	v_add_f32_e32 v24, v48, v49
	v_and_or_b32 v3, 0xffff, v3, v7
	v_add_f32_e32 v7, v46, v47
	v_and_or_b32 v1, 0xffff, v1, v26
	v_and_or_b32 v2, 0xffff, v2, v8
	;;#ASMSTART
	v_pk_mul_f16 v1, v37, v1;

	;;#ASMEND
	;;#ASMSTART
	v_pk_mul_f16 v2, v36, v2;

	;;#ASMEND
	;; [unrolled: 4-line block ×4, first 2 shown]
	;;#ASMSTART
	v_pk_add_f16 v1, v1, v2;

	;;#ASMEND
	;;#ASMSTART
	v_pk_add_f16 v1, v1, v3;

	;;#ASMEND
	;; [unrolled: 4-line block ×3, first 2 shown]
	v_dual_add_f32 v15, v15, v24 :: v_dual_and_b32 v4, 0xffff, v1
	v_lshrrev_b32_e32 v8, 16, v1
	;;#ASMSTART
	v_cvt_f32_f16 v4, v4;
	;;#ASMEND
	v_dual_add_f32 v1, v44, v45 :: v_dual_add_f32 v2, v42, v43
	;;#ASMSTART
	v_cvt_f32_f16 v8, v8;
	;;#ASMEND
	s_delay_alu instid0(VALU_DEP_2) | instskip(NEXT) | instid1(VALU_DEP_2)
	v_dual_add_f32 v3, v38, v39 :: v_dual_add_f32 v4, v4, v8
	v_dual_add_f32 v17, v17, v1 :: v_dual_add_f32 v16, v16, v7
	s_delay_alu instid0(VALU_DEP_2) | instskip(NEXT) | instid1(VALU_DEP_3)
	v_dual_add_f32 v19, v19, v2 :: v_dual_add_f32 v18, v18, v3
	v_add_f32_e32 v12, v12, v4
.LBB109_37:                             ;   in Loop: Header=BB109_38 Depth=1
	s_wait_alu 0xfffe
	s_or_b32 exec_lo, exec_lo, s8
	v_add_nc_u32_e32 v34, 4, v34
	v_add_co_u32 v5, s0, v5, 16
	s_wait_alu 0xf1ff
	v_add_co_ci_u32_e64 v6, null, 0, v6, s0
	s_delay_alu instid0(VALU_DEP_3)
	v_cmp_le_i32_e32 vcc_lo, s33, v34
	v_add_nc_u32_e32 v33, 0x80, v33
	v_add_nc_u32_e32 v23, 0x200, v23
	s_or_b32 s5, vcc_lo, s5
	s_wait_alu 0xfffe
	s_and_not1_b32 exec_lo, exec_lo, s5
	s_cbranch_execz .LBB109_55
.LBB109_38:                             ; =>This Inner Loop Header: Depth=1
	v_sub_nc_u32_e32 v1, 0, v33
	s_delay_alu instid0(VALU_DEP_1) | instskip(NEXT) | instid1(VALU_DEP_1)
	v_max_i32_e32 v1, v33, v1
	v_mul_hi_u32 v2, v1, s18
	s_delay_alu instid0(VALU_DEP_1) | instskip(NEXT) | instid1(VALU_DEP_1)
	v_mul_lo_u32 v3, v2, s12
	v_sub_nc_u32_e32 v1, v1, v3
	v_add_nc_u32_e32 v3, 1, v2
	s_delay_alu instid0(VALU_DEP_2) | instskip(SKIP_2) | instid1(VALU_DEP_2)
	v_subrev_nc_u32_e32 v4, s12, v1
	v_cmp_le_u32_e32 vcc_lo, s12, v1
	s_wait_alu 0xfffd
	v_dual_cndmask_b32 v2, v2, v3 :: v_dual_cndmask_b32 v1, v1, v4
	v_ashrrev_i32_e32 v3, 31, v33
	s_delay_alu instid0(VALU_DEP_2) | instskip(NEXT) | instid1(VALU_DEP_3)
	v_add_nc_u32_e32 v4, 1, v2
	v_cmp_le_u32_e32 vcc_lo, s12, v1
	s_delay_alu instid0(VALU_DEP_3) | instskip(SKIP_1) | instid1(VALU_DEP_3)
	v_xor_b32_e32 v3, s19, v3
	s_wait_alu 0xfffd
	v_cndmask_b32_e32 v1, v2, v4, vcc_lo
	s_delay_alu instid0(VALU_DEP_1) | instskip(NEXT) | instid1(VALU_DEP_1)
	v_xor_b32_e32 v1, v1, v3
	v_sub_nc_u32_e32 v1, v1, v3
	s_delay_alu instid0(VALU_DEP_1) | instskip(SKIP_1) | instid1(VALU_DEP_2)
	v_add_nc_u32_e32 v2, s17, v1
	v_cmp_lt_i32_e64 s0, s3, v1
	v_sub_nc_u32_e32 v3, 0, v2
	s_delay_alu instid0(VALU_DEP_1) | instskip(SKIP_1) | instid1(VALU_DEP_1)
	v_max_i32_e32 v3, v2, v3
	s_wait_alu 0xfffe
	v_mul_hi_u32 v4, v3, s6
	s_delay_alu instid0(VALU_DEP_1) | instskip(NEXT) | instid1(VALU_DEP_1)
	v_mul_lo_u32 v4, v4, s2
	v_sub_nc_u32_e32 v3, v3, v4
	s_delay_alu instid0(VALU_DEP_1) | instskip(SKIP_2) | instid1(VALU_DEP_2)
	v_subrev_nc_u32_e32 v4, s2, v3
	v_cmp_le_u32_e32 vcc_lo, s2, v3
	s_wait_alu 0xfffd
	v_cndmask_b32_e32 v3, v3, v4, vcc_lo
	v_ashrrev_i32_e32 v2, 31, v2
	s_delay_alu instid0(VALU_DEP_2) | instskip(SKIP_2) | instid1(VALU_DEP_2)
	v_subrev_nc_u32_e32 v4, s2, v3
	v_cmp_le_u32_e32 vcc_lo, s2, v3
	s_wait_alu 0xfffd
	v_cndmask_b32_e32 v3, v3, v4, vcc_lo
	s_delay_alu instid0(VALU_DEP_1) | instskip(NEXT) | instid1(VALU_DEP_1)
	v_xor_b32_e32 v3, v3, v2
	v_sub_nc_u32_e32 v2, v3, v2
	s_delay_alu instid0(VALU_DEP_1)
	v_cmp_eq_u32_e32 vcc_lo, 0, v2
	s_or_b32 s0, vcc_lo, s0
	s_wait_alu 0xfffe
	s_and_saveexec_b32 s8, s0
	s_cbranch_execz .LBB109_37
; %bb.39:                               ;   in Loop: Header=BB109_38 Depth=1
	global_load_b32 v7, v[5:6], off
	ds_load_2addr_b64 v[1:4], v23 offset1:1
	ds_load_2addr_b64 v[24:27], v23 offset0:2 offset1:3
	v_add_nc_u32_e32 v29, v20, v33
	s_wait_dscnt 0x1
	;;#ASMSTART
	v_cvt_f16_f32 v37, v1;

	;;#ASMEND
	;;#ASMSTART
	v_cvt_f16_f32 v36, v2;

	;;#ASMEND
	;; [unrolled: 4-line block ×4, first 2 shown]
	s_wait_dscnt 0x0
	;;#ASMSTART
	v_cvt_f16_f32 v43, v24;

	;;#ASMEND
	;;#ASMSTART
	v_cvt_f16_f32 v39, v25;

	;;#ASMEND
	;; [unrolled: 4-line block ×4, first 2 shown]
	v_add_nc_u32_e32 v35, 1, v29
	v_add_nc_u32_e32 v30, 2, v29
	;; [unrolled: 1-line block ×7, first 2 shown]
	s_wait_loadcnt 0x0
	v_mad_co_i64_i32 v[7:8], null, v7, s4, 0
	s_delay_alu instid0(VALU_DEP_1) | instskip(NEXT) | instid1(VALU_DEP_1)
	v_lshlrev_b64_e32 v[7:8], 1, v[7:8]
	v_add_co_u32 v7, vcc_lo, v21, v7
	s_wait_alu 0xfffd
	s_delay_alu instid0(VALU_DEP_2)
	v_add_co_ci_u32_e64 v8, null, v22, v8, vcc_lo
	v_cmp_eq_u32_e32 vcc_lo, s35, v34
	global_load_b128 v[1:4], v[7:8], off
	s_wait_loadcnt 0x0
	v_lshrrev_b32_e32 v46, 16, v1
	v_lshrrev_b32_e32 v45, 16, v2
	v_lshrrev_b32_e32 v44, 16, v3
	s_and_saveexec_b32 s9, vcc_lo
	s_cbranch_execz .LBB109_41
; %bb.40:                               ;   in Loop: Header=BB109_38 Depth=1
	v_cmp_gt_i32_e64 s0, s31, v29
	v_and_b32_e32 v47, 0xffff, v4
	v_and_b32_e32 v4, 0xffff0000, v4
	s_wait_alu 0xf1ff
	s_delay_alu instid0(VALU_DEP_3) | instskip(SKIP_2) | instid1(VALU_DEP_1)
	v_cndmask_b32_e64 v1, 0, v1, s0
	v_cmp_gt_i32_e64 s0, s31, v35
	s_wait_alu 0xf1ff
	v_cndmask_b32_e64 v46, 0, v46, s0
	v_cmp_gt_i32_e64 s0, s31, v30
	s_wait_alu 0xf1ff
	s_delay_alu instid0(VALU_DEP_1) | instskip(SKIP_2) | instid1(VALU_DEP_1)
	v_cndmask_b32_e64 v2, 0, v2, s0
	v_cmp_gt_i32_e64 s0, s31, v26
	s_wait_alu 0xf1ff
	v_cndmask_b32_e64 v45, 0, v45, s0
	v_cmp_gt_i32_e64 s0, s31, v27
	s_wait_alu 0xf1ff
	s_delay_alu instid0(VALU_DEP_1) | instskip(SKIP_2) | instid1(VALU_DEP_1)
	v_cndmask_b32_e64 v47, 0, v47, s0
	v_cmp_gt_i32_e64 s0, s31, v28
	s_wait_alu 0xf1ff
	v_cndmask_b32_e64 v4, 0, v4, s0
	v_cmp_gt_i32_e64 s0, s31, v25
	s_delay_alu instid0(VALU_DEP_2) | instskip(SKIP_1) | instid1(VALU_DEP_2)
	v_or_b32_e32 v4, v47, v4
	s_wait_alu 0xf1ff
	v_cndmask_b32_e64 v3, 0, v3, s0
	v_cmp_gt_i32_e64 s0, s31, v24
	s_wait_alu 0xf1ff
	s_delay_alu instid0(VALU_DEP_1)
	v_cndmask_b32_e64 v44, 0, v44, s0
.LBB109_41:                             ;   in Loop: Header=BB109_38 Depth=1
	s_wait_alu 0xfffe
	s_or_b32 exec_lo, exec_lo, s9
	v_and_b32_e32 v37, 0xffff, v37
	v_and_b32_e32 v42, 0xffff, v42
	v_lshlrev_b32_e32 v46, 16, v46
	v_lshlrev_b32_e32 v44, 16, v44
	v_and_b32_e32 v43, 0xffff, v43
	v_lshl_or_b32 v37, v36, 16, v37
	v_lshl_or_b32 v36, v40, 16, v42
	v_lshlrev_b32_e32 v42, 16, v45
	v_and_b32_e32 v41, 0xffff, v41
	v_and_or_b32 v1, 0xffff, v1, v46
	v_and_or_b32 v3, 0xffff, v3, v44
	;;#ASMSTART
	v_pk_mul_f16 v1, v37, v1;

	;;#ASMEND
	v_and_or_b32 v2, 0xffff, v2, v42
	v_lshl_or_b32 v40, v39, 16, v43
	v_lshl_or_b32 v41, v38, 16, v41
	;;#ASMSTART
	v_pk_mul_f16 v2, v36, v2;

	;;#ASMEND
	;;#ASMSTART
	v_pk_mul_f16 v3, v40, v3;

	;;#ASMEND
	;; [unrolled: 4-line block ×3, first 2 shown]
	;;#ASMSTART
	v_pk_add_f16 v1, v1, v2;

	;;#ASMEND
	;;#ASMSTART
	v_pk_add_f16 v1, v1, v3;

	;;#ASMEND
	;; [unrolled: 4-line block ×3, first 2 shown]
	v_and_b32_e32 v2, 0xffff, v1
	v_lshrrev_b32_e32 v1, 16, v1
	;;#ASMSTART
	v_cvt_f32_f16 v38, v2;
	;;#ASMEND
	;;#ASMSTART
	v_cvt_f32_f16 v39, v1;
	;;#ASMEND
	global_load_b128 v[1:4], v[7:8], off offset:512
	s_wait_loadcnt 0x0
	v_lshrrev_b32_e32 v44, 16, v1
	v_lshrrev_b32_e32 v43, 16, v2
	v_lshrrev_b32_e32 v42, 16, v3
	s_and_saveexec_b32 s9, vcc_lo
	s_cbranch_execz .LBB109_43
; %bb.42:                               ;   in Loop: Header=BB109_38 Depth=1
	v_cmp_gt_i32_e64 s0, s31, v29
	v_and_b32_e32 v45, 0xffff, v4
	v_and_b32_e32 v4, 0xffff0000, v4
	s_wait_alu 0xf1ff
	s_delay_alu instid0(VALU_DEP_3) | instskip(SKIP_2) | instid1(VALU_DEP_1)
	v_cndmask_b32_e64 v1, 0, v1, s0
	v_cmp_gt_i32_e64 s0, s31, v35
	s_wait_alu 0xf1ff
	v_cndmask_b32_e64 v44, 0, v44, s0
	v_cmp_gt_i32_e64 s0, s31, v30
	s_wait_alu 0xf1ff
	s_delay_alu instid0(VALU_DEP_1) | instskip(SKIP_2) | instid1(VALU_DEP_1)
	v_cndmask_b32_e64 v2, 0, v2, s0
	v_cmp_gt_i32_e64 s0, s31, v26
	s_wait_alu 0xf1ff
	v_cndmask_b32_e64 v43, 0, v43, s0
	v_cmp_gt_i32_e64 s0, s31, v27
	s_wait_alu 0xf1ff
	s_delay_alu instid0(VALU_DEP_1) | instskip(SKIP_2) | instid1(VALU_DEP_1)
	v_cndmask_b32_e64 v45, 0, v45, s0
	v_cmp_gt_i32_e64 s0, s31, v28
	s_wait_alu 0xf1ff
	v_cndmask_b32_e64 v4, 0, v4, s0
	v_cmp_gt_i32_e64 s0, s31, v25
	s_delay_alu instid0(VALU_DEP_2) | instskip(SKIP_1) | instid1(VALU_DEP_2)
	v_or_b32_e32 v4, v45, v4
	s_wait_alu 0xf1ff
	v_cndmask_b32_e64 v3, 0, v3, s0
	v_cmp_gt_i32_e64 s0, s31, v24
	s_wait_alu 0xf1ff
	s_delay_alu instid0(VALU_DEP_1)
	v_cndmask_b32_e64 v42, 0, v42, s0
.LBB109_43:                             ;   in Loop: Header=BB109_38 Depth=1
	s_wait_alu 0xfffe
	s_or_b32 exec_lo, exec_lo, s9
	v_lshlrev_b32_e32 v44, 16, v44
	v_lshlrev_b32_e32 v43, 16, v43
	;; [unrolled: 1-line block ×3, first 2 shown]
	s_delay_alu instid0(VALU_DEP_3) | instskip(NEXT) | instid1(VALU_DEP_3)
	v_and_or_b32 v1, 0xffff, v1, v44
	v_and_or_b32 v2, 0xffff, v2, v43
	s_delay_alu instid0(VALU_DEP_3)
	v_and_or_b32 v3, 0xffff, v3, v42
	;;#ASMSTART
	v_pk_mul_f16 v1, v37, v1;

	;;#ASMEND
	;;#ASMSTART
	v_pk_mul_f16 v2, v36, v2;

	;;#ASMEND
	;; [unrolled: 4-line block ×4, first 2 shown]
	;;#ASMSTART
	v_pk_add_f16 v1, v1, v2;

	;;#ASMEND
	;;#ASMSTART
	v_pk_add_f16 v1, v1, v3;

	;;#ASMEND
	;; [unrolled: 4-line block ×3, first 2 shown]
	v_and_b32_e32 v2, 0xffff, v1
	v_lshrrev_b32_e32 v1, 16, v1
	;;#ASMSTART
	v_cvt_f32_f16 v42, v2;
	;;#ASMEND
	;;#ASMSTART
	v_cvt_f32_f16 v43, v1;
	;;#ASMEND
	global_load_b128 v[1:4], v[7:8], off offset:1024
	s_wait_loadcnt 0x0
	v_lshrrev_b32_e32 v46, 16, v1
	v_lshrrev_b32_e32 v45, 16, v2
	;; [unrolled: 1-line block ×3, first 2 shown]
	s_and_saveexec_b32 s9, vcc_lo
	s_cbranch_execz .LBB109_45
; %bb.44:                               ;   in Loop: Header=BB109_38 Depth=1
	v_cmp_gt_i32_e64 s0, s31, v29
	v_and_b32_e32 v47, 0xffff, v4
	v_and_b32_e32 v4, 0xffff0000, v4
	s_wait_alu 0xf1ff
	s_delay_alu instid0(VALU_DEP_3) | instskip(SKIP_2) | instid1(VALU_DEP_1)
	v_cndmask_b32_e64 v1, 0, v1, s0
	v_cmp_gt_i32_e64 s0, s31, v35
	s_wait_alu 0xf1ff
	v_cndmask_b32_e64 v46, 0, v46, s0
	v_cmp_gt_i32_e64 s0, s31, v30
	s_wait_alu 0xf1ff
	s_delay_alu instid0(VALU_DEP_1) | instskip(SKIP_2) | instid1(VALU_DEP_1)
	v_cndmask_b32_e64 v2, 0, v2, s0
	v_cmp_gt_i32_e64 s0, s31, v26
	s_wait_alu 0xf1ff
	v_cndmask_b32_e64 v45, 0, v45, s0
	v_cmp_gt_i32_e64 s0, s31, v27
	s_wait_alu 0xf1ff
	s_delay_alu instid0(VALU_DEP_1) | instskip(SKIP_2) | instid1(VALU_DEP_1)
	v_cndmask_b32_e64 v47, 0, v47, s0
	v_cmp_gt_i32_e64 s0, s31, v28
	s_wait_alu 0xf1ff
	v_cndmask_b32_e64 v4, 0, v4, s0
	v_cmp_gt_i32_e64 s0, s31, v25
	s_delay_alu instid0(VALU_DEP_2) | instskip(SKIP_1) | instid1(VALU_DEP_2)
	v_or_b32_e32 v4, v47, v4
	s_wait_alu 0xf1ff
	v_cndmask_b32_e64 v3, 0, v3, s0
	v_cmp_gt_i32_e64 s0, s31, v24
	s_wait_alu 0xf1ff
	s_delay_alu instid0(VALU_DEP_1)
	v_cndmask_b32_e64 v44, 0, v44, s0
.LBB109_45:                             ;   in Loop: Header=BB109_38 Depth=1
	s_wait_alu 0xfffe
	s_or_b32 exec_lo, exec_lo, s9
	v_lshlrev_b32_e32 v46, 16, v46
	v_lshlrev_b32_e32 v45, 16, v45
	;; [unrolled: 1-line block ×3, first 2 shown]
	s_delay_alu instid0(VALU_DEP_3) | instskip(NEXT) | instid1(VALU_DEP_3)
	v_and_or_b32 v1, 0xffff, v1, v46
	v_and_or_b32 v2, 0xffff, v2, v45
	s_delay_alu instid0(VALU_DEP_3)
	v_and_or_b32 v3, 0xffff, v3, v44
	;;#ASMSTART
	v_pk_mul_f16 v1, v37, v1;

	;;#ASMEND
	;;#ASMSTART
	v_pk_mul_f16 v2, v36, v2;

	;;#ASMEND
	;; [unrolled: 4-line block ×4, first 2 shown]
	;;#ASMSTART
	v_pk_add_f16 v1, v1, v2;

	;;#ASMEND
	;;#ASMSTART
	v_pk_add_f16 v1, v1, v3;

	;;#ASMEND
	;; [unrolled: 4-line block ×3, first 2 shown]
	v_and_b32_e32 v2, 0xffff, v1
	v_lshrrev_b32_e32 v1, 16, v1
	;;#ASMSTART
	v_cvt_f32_f16 v44, v2;
	;;#ASMEND
	;;#ASMSTART
	v_cvt_f32_f16 v45, v1;
	;;#ASMEND
	global_load_b128 v[1:4], v[7:8], off offset:1536
	s_wait_loadcnt 0x0
	v_lshrrev_b32_e32 v48, 16, v1
	v_lshrrev_b32_e32 v47, 16, v2
	;; [unrolled: 1-line block ×3, first 2 shown]
	s_and_saveexec_b32 s9, vcc_lo
	s_cbranch_execz .LBB109_47
; %bb.46:                               ;   in Loop: Header=BB109_38 Depth=1
	v_cmp_gt_i32_e64 s0, s31, v29
	v_and_b32_e32 v49, 0xffff, v4
	v_and_b32_e32 v4, 0xffff0000, v4
	s_wait_alu 0xf1ff
	s_delay_alu instid0(VALU_DEP_3) | instskip(SKIP_2) | instid1(VALU_DEP_1)
	v_cndmask_b32_e64 v1, 0, v1, s0
	v_cmp_gt_i32_e64 s0, s31, v35
	s_wait_alu 0xf1ff
	v_cndmask_b32_e64 v48, 0, v48, s0
	v_cmp_gt_i32_e64 s0, s31, v30
	s_wait_alu 0xf1ff
	s_delay_alu instid0(VALU_DEP_1) | instskip(SKIP_2) | instid1(VALU_DEP_1)
	v_cndmask_b32_e64 v2, 0, v2, s0
	v_cmp_gt_i32_e64 s0, s31, v26
	s_wait_alu 0xf1ff
	v_cndmask_b32_e64 v47, 0, v47, s0
	v_cmp_gt_i32_e64 s0, s31, v27
	s_wait_alu 0xf1ff
	s_delay_alu instid0(VALU_DEP_1) | instskip(SKIP_2) | instid1(VALU_DEP_1)
	v_cndmask_b32_e64 v49, 0, v49, s0
	v_cmp_gt_i32_e64 s0, s31, v28
	s_wait_alu 0xf1ff
	v_cndmask_b32_e64 v4, 0, v4, s0
	v_cmp_gt_i32_e64 s0, s31, v25
	s_delay_alu instid0(VALU_DEP_2) | instskip(SKIP_1) | instid1(VALU_DEP_2)
	v_or_b32_e32 v4, v49, v4
	s_wait_alu 0xf1ff
	v_cndmask_b32_e64 v3, 0, v3, s0
	v_cmp_gt_i32_e64 s0, s31, v24
	s_wait_alu 0xf1ff
	s_delay_alu instid0(VALU_DEP_1)
	v_cndmask_b32_e64 v46, 0, v46, s0
.LBB109_47:                             ;   in Loop: Header=BB109_38 Depth=1
	s_wait_alu 0xfffe
	s_or_b32 exec_lo, exec_lo, s9
	v_lshlrev_b32_e32 v48, 16, v48
	v_lshlrev_b32_e32 v47, 16, v47
	;; [unrolled: 1-line block ×3, first 2 shown]
	s_delay_alu instid0(VALU_DEP_3) | instskip(NEXT) | instid1(VALU_DEP_3)
	v_and_or_b32 v1, 0xffff, v1, v48
	v_and_or_b32 v2, 0xffff, v2, v47
	s_delay_alu instid0(VALU_DEP_3)
	v_and_or_b32 v3, 0xffff, v3, v46
	;;#ASMSTART
	v_pk_mul_f16 v1, v37, v1;

	;;#ASMEND
	;;#ASMSTART
	v_pk_mul_f16 v2, v36, v2;

	;;#ASMEND
	;; [unrolled: 4-line block ×4, first 2 shown]
	;;#ASMSTART
	v_pk_add_f16 v1, v1, v2;

	;;#ASMEND
	;;#ASMSTART
	v_pk_add_f16 v1, v1, v3;

	;;#ASMEND
	;; [unrolled: 4-line block ×3, first 2 shown]
	v_and_b32_e32 v2, 0xffff, v1
	v_lshrrev_b32_e32 v1, 16, v1
	;;#ASMSTART
	v_cvt_f32_f16 v46, v2;
	;;#ASMEND
	;;#ASMSTART
	v_cvt_f32_f16 v47, v1;
	;;#ASMEND
	global_load_b128 v[1:4], v[7:8], off offset:2048
	s_wait_loadcnt 0x0
	v_lshrrev_b32_e32 v50, 16, v1
	v_lshrrev_b32_e32 v49, 16, v2
	;; [unrolled: 1-line block ×3, first 2 shown]
	s_and_saveexec_b32 s9, vcc_lo
	s_cbranch_execz .LBB109_49
; %bb.48:                               ;   in Loop: Header=BB109_38 Depth=1
	v_cmp_gt_i32_e64 s0, s31, v29
	v_and_b32_e32 v51, 0xffff, v4
	v_and_b32_e32 v4, 0xffff0000, v4
	s_wait_alu 0xf1ff
	s_delay_alu instid0(VALU_DEP_3) | instskip(SKIP_2) | instid1(VALU_DEP_1)
	v_cndmask_b32_e64 v1, 0, v1, s0
	v_cmp_gt_i32_e64 s0, s31, v35
	s_wait_alu 0xf1ff
	v_cndmask_b32_e64 v50, 0, v50, s0
	v_cmp_gt_i32_e64 s0, s31, v30
	s_wait_alu 0xf1ff
	s_delay_alu instid0(VALU_DEP_1) | instskip(SKIP_2) | instid1(VALU_DEP_1)
	v_cndmask_b32_e64 v2, 0, v2, s0
	v_cmp_gt_i32_e64 s0, s31, v26
	s_wait_alu 0xf1ff
	v_cndmask_b32_e64 v49, 0, v49, s0
	v_cmp_gt_i32_e64 s0, s31, v27
	s_wait_alu 0xf1ff
	s_delay_alu instid0(VALU_DEP_1) | instskip(SKIP_2) | instid1(VALU_DEP_1)
	v_cndmask_b32_e64 v51, 0, v51, s0
	v_cmp_gt_i32_e64 s0, s31, v28
	s_wait_alu 0xf1ff
	v_cndmask_b32_e64 v4, 0, v4, s0
	v_cmp_gt_i32_e64 s0, s31, v25
	s_delay_alu instid0(VALU_DEP_2) | instskip(SKIP_1) | instid1(VALU_DEP_2)
	v_or_b32_e32 v4, v51, v4
	s_wait_alu 0xf1ff
	v_cndmask_b32_e64 v3, 0, v3, s0
	v_cmp_gt_i32_e64 s0, s31, v24
	s_wait_alu 0xf1ff
	s_delay_alu instid0(VALU_DEP_1)
	v_cndmask_b32_e64 v48, 0, v48, s0
.LBB109_49:                             ;   in Loop: Header=BB109_38 Depth=1
	s_wait_alu 0xfffe
	s_or_b32 exec_lo, exec_lo, s9
	v_lshlrev_b32_e32 v50, 16, v50
	v_lshlrev_b32_e32 v49, 16, v49
	;; [unrolled: 1-line block ×3, first 2 shown]
	s_delay_alu instid0(VALU_DEP_3) | instskip(NEXT) | instid1(VALU_DEP_3)
	v_and_or_b32 v1, 0xffff, v1, v50
	v_and_or_b32 v2, 0xffff, v2, v49
	s_delay_alu instid0(VALU_DEP_3)
	v_and_or_b32 v3, 0xffff, v3, v48
	;;#ASMSTART
	v_pk_mul_f16 v1, v37, v1;

	;;#ASMEND
	;;#ASMSTART
	v_pk_mul_f16 v2, v36, v2;

	;;#ASMEND
	;; [unrolled: 4-line block ×4, first 2 shown]
	;;#ASMSTART
	v_pk_add_f16 v1, v1, v2;

	;;#ASMEND
	;;#ASMSTART
	v_pk_add_f16 v1, v1, v3;

	;;#ASMEND
	;; [unrolled: 4-line block ×3, first 2 shown]
	v_and_b32_e32 v2, 0xffff, v1
	v_lshrrev_b32_e32 v1, 16, v1
	;;#ASMSTART
	v_cvt_f32_f16 v48, v2;
	;;#ASMEND
	;;#ASMSTART
	v_cvt_f32_f16 v49, v1;
	;;#ASMEND
	global_load_b128 v[1:4], v[7:8], off offset:2560
	s_wait_loadcnt 0x0
	v_lshrrev_b32_e32 v52, 16, v1
	v_lshrrev_b32_e32 v51, 16, v2
	;; [unrolled: 1-line block ×3, first 2 shown]
	s_and_saveexec_b32 s9, vcc_lo
	s_cbranch_execz .LBB109_51
; %bb.50:                               ;   in Loop: Header=BB109_38 Depth=1
	v_cmp_gt_i32_e64 s0, s31, v29
	v_and_b32_e32 v53, 0xffff, v4
	v_and_b32_e32 v4, 0xffff0000, v4
	s_wait_alu 0xf1ff
	s_delay_alu instid0(VALU_DEP_3) | instskip(SKIP_2) | instid1(VALU_DEP_1)
	v_cndmask_b32_e64 v1, 0, v1, s0
	v_cmp_gt_i32_e64 s0, s31, v35
	s_wait_alu 0xf1ff
	v_cndmask_b32_e64 v52, 0, v52, s0
	v_cmp_gt_i32_e64 s0, s31, v30
	s_wait_alu 0xf1ff
	s_delay_alu instid0(VALU_DEP_1) | instskip(SKIP_2) | instid1(VALU_DEP_1)
	v_cndmask_b32_e64 v2, 0, v2, s0
	v_cmp_gt_i32_e64 s0, s31, v26
	s_wait_alu 0xf1ff
	v_cndmask_b32_e64 v51, 0, v51, s0
	v_cmp_gt_i32_e64 s0, s31, v27
	s_wait_alu 0xf1ff
	s_delay_alu instid0(VALU_DEP_1) | instskip(SKIP_2) | instid1(VALU_DEP_1)
	v_cndmask_b32_e64 v53, 0, v53, s0
	v_cmp_gt_i32_e64 s0, s31, v28
	s_wait_alu 0xf1ff
	v_cndmask_b32_e64 v4, 0, v4, s0
	v_cmp_gt_i32_e64 s0, s31, v25
	s_delay_alu instid0(VALU_DEP_2) | instskip(SKIP_1) | instid1(VALU_DEP_2)
	v_or_b32_e32 v4, v53, v4
	s_wait_alu 0xf1ff
	v_cndmask_b32_e64 v3, 0, v3, s0
	v_cmp_gt_i32_e64 s0, s31, v24
	s_wait_alu 0xf1ff
	s_delay_alu instid0(VALU_DEP_1)
	v_cndmask_b32_e64 v50, 0, v50, s0
.LBB109_51:                             ;   in Loop: Header=BB109_38 Depth=1
	s_wait_alu 0xfffe
	s_or_b32 exec_lo, exec_lo, s9
	v_lshlrev_b32_e32 v52, 16, v52
	v_lshlrev_b32_e32 v51, 16, v51
	;; [unrolled: 1-line block ×3, first 2 shown]
	s_delay_alu instid0(VALU_DEP_3) | instskip(NEXT) | instid1(VALU_DEP_3)
	v_and_or_b32 v1, 0xffff, v1, v52
	v_and_or_b32 v2, 0xffff, v2, v51
	s_delay_alu instid0(VALU_DEP_3)
	v_and_or_b32 v3, 0xffff, v3, v50
	;;#ASMSTART
	v_pk_mul_f16 v1, v37, v1;

	;;#ASMEND
	;;#ASMSTART
	v_pk_mul_f16 v2, v36, v2;

	;;#ASMEND
	;; [unrolled: 4-line block ×4, first 2 shown]
	;;#ASMSTART
	v_pk_add_f16 v1, v1, v2;

	;;#ASMEND
	;;#ASMSTART
	v_pk_add_f16 v1, v1, v3;

	;;#ASMEND
	;; [unrolled: 4-line block ×3, first 2 shown]
	v_and_b32_e32 v2, 0xffff, v1
	v_lshrrev_b32_e32 v1, 16, v1
	;;#ASMSTART
	v_cvt_f32_f16 v50, v2;
	;;#ASMEND
	;;#ASMSTART
	v_cvt_f32_f16 v51, v1;
	;;#ASMEND
	global_load_b128 v[1:4], v[7:8], off offset:3072
	s_wait_loadcnt 0x0
	v_lshrrev_b32_e32 v54, 16, v1
	v_lshrrev_b32_e32 v53, 16, v2
	v_lshrrev_b32_e32 v52, 16, v3
	s_and_saveexec_b32 s9, vcc_lo
	s_cbranch_execz .LBB109_53
; %bb.52:                               ;   in Loop: Header=BB109_38 Depth=1
	v_cmp_gt_i32_e64 s0, s31, v29
	v_and_b32_e32 v55, 0xffff, v4
	v_and_b32_e32 v4, 0xffff0000, v4
	s_wait_alu 0xf1ff
	s_delay_alu instid0(VALU_DEP_3) | instskip(SKIP_2) | instid1(VALU_DEP_1)
	v_cndmask_b32_e64 v1, 0, v1, s0
	v_cmp_gt_i32_e64 s0, s31, v35
	s_wait_alu 0xf1ff
	v_cndmask_b32_e64 v54, 0, v54, s0
	v_cmp_gt_i32_e64 s0, s31, v30
	s_wait_alu 0xf1ff
	s_delay_alu instid0(VALU_DEP_1) | instskip(SKIP_2) | instid1(VALU_DEP_1)
	v_cndmask_b32_e64 v2, 0, v2, s0
	v_cmp_gt_i32_e64 s0, s31, v26
	s_wait_alu 0xf1ff
	v_cndmask_b32_e64 v53, 0, v53, s0
	v_cmp_gt_i32_e64 s0, s31, v27
	s_wait_alu 0xf1ff
	s_delay_alu instid0(VALU_DEP_1) | instskip(SKIP_2) | instid1(VALU_DEP_1)
	v_cndmask_b32_e64 v55, 0, v55, s0
	v_cmp_gt_i32_e64 s0, s31, v28
	s_wait_alu 0xf1ff
	v_cndmask_b32_e64 v4, 0, v4, s0
	v_cmp_gt_i32_e64 s0, s31, v25
	s_delay_alu instid0(VALU_DEP_2) | instskip(SKIP_1) | instid1(VALU_DEP_2)
	v_or_b32_e32 v4, v55, v4
	s_wait_alu 0xf1ff
	v_cndmask_b32_e64 v3, 0, v3, s0
	v_cmp_gt_i32_e64 s0, s31, v24
	s_wait_alu 0xf1ff
	s_delay_alu instid0(VALU_DEP_1)
	v_cndmask_b32_e64 v52, 0, v52, s0
.LBB109_53:                             ;   in Loop: Header=BB109_38 Depth=1
	s_wait_alu 0xfffe
	s_or_b32 exec_lo, exec_lo, s9
	v_lshlrev_b32_e32 v54, 16, v54
	v_lshlrev_b32_e32 v53, 16, v53
	;; [unrolled: 1-line block ×3, first 2 shown]
	s_delay_alu instid0(VALU_DEP_3) | instskip(NEXT) | instid1(VALU_DEP_3)
	v_and_or_b32 v1, 0xffff, v1, v54
	v_and_or_b32 v2, 0xffff, v2, v53
	s_delay_alu instid0(VALU_DEP_3)
	v_and_or_b32 v3, 0xffff, v3, v52
	;;#ASMSTART
	v_pk_mul_f16 v1, v37, v1;

	;;#ASMEND
	;;#ASMSTART
	v_pk_mul_f16 v2, v36, v2;

	;;#ASMEND
	;; [unrolled: 4-line block ×4, first 2 shown]
	;;#ASMSTART
	v_pk_add_f16 v1, v1, v2;

	;;#ASMEND
	;;#ASMSTART
	v_pk_add_f16 v1, v1, v3;

	;;#ASMEND
	;; [unrolled: 4-line block ×3, first 2 shown]
	v_and_b32_e32 v2, 0xffff, v1
	v_lshrrev_b32_e32 v1, 16, v1
	;;#ASMSTART
	v_cvt_f32_f16 v53, v2;
	;;#ASMEND
	;;#ASMSTART
	v_cvt_f32_f16 v54, v1;
	;;#ASMEND
	global_load_b128 v[1:4], v[7:8], off offset:3584
	s_wait_loadcnt 0x0
	v_lshrrev_b32_e32 v52, 16, v1
	v_lshrrev_b32_e32 v8, 16, v2
	;; [unrolled: 1-line block ×3, first 2 shown]
	s_and_saveexec_b32 s0, vcc_lo
	s_cbranch_execz .LBB109_36
; %bb.54:                               ;   in Loop: Header=BB109_38 Depth=1
	v_cmp_gt_i32_e32 vcc_lo, s31, v29
	v_and_b32_e32 v29, 0xffff, v4
	s_wait_alu 0xfffd
	v_dual_cndmask_b32 v1, 0, v1 :: v_dual_and_b32 v4, 0xffff0000, v4
	v_cmp_gt_i32_e32 vcc_lo, s31, v35
	s_wait_alu 0xfffd
	v_cndmask_b32_e32 v52, 0, v52, vcc_lo
	v_cmp_gt_i32_e32 vcc_lo, s31, v30
	s_wait_alu 0xfffd
	v_cndmask_b32_e32 v2, 0, v2, vcc_lo
	;; [unrolled: 3-line block ×5, first 2 shown]
	v_cmp_gt_i32_e32 vcc_lo, s31, v25
	s_delay_alu instid0(VALU_DEP_2)
	v_or_b32_e32 v4, v26, v4
	s_wait_alu 0xfffd
	v_cndmask_b32_e32 v3, 0, v3, vcc_lo
	v_cmp_gt_i32_e32 vcc_lo, s31, v24
	s_wait_alu 0xfffd
	v_cndmask_b32_e32 v7, 0, v7, vcc_lo
	s_branch .LBB109_36
.LBB109_55:
	s_or_b32 exec_lo, exec_lo, s5
.LBB109_56:
	s_wait_alu 0xfffe
	s_or_b32 exec_lo, exec_lo, s1
	ds_bpermute_b32 v1, v10, v18
	ds_bpermute_b32 v2, v10, v19
	ds_bpermute_b32 v3, v10, v17
	ds_bpermute_b32 v4, v10, v16
	ds_bpermute_b32 v5, v10, v15
	ds_bpermute_b32 v6, v10, v14
	ds_bpermute_b32 v7, v10, v13
	ds_bpermute_b32 v8, v10, v12
	s_mov_b32 s0, exec_lo
	s_wait_storecnt 0x0
	s_wait_loadcnt_dscnt 0x0
	s_barrier_signal -1
	s_barrier_wait -1
	global_inv scope:SCOPE_SE
	v_dual_add_f32 v1, v18, v1 :: v_dual_add_f32 v2, v19, v2
	v_dual_add_f32 v3, v17, v3 :: v_dual_add_f32 v4, v16, v4
	;; [unrolled: 1-line block ×4, first 2 shown]
	ds_bpermute_b32 v5, v9, v1
	ds_bpermute_b32 v6, v9, v2
	;; [unrolled: 1-line block ×8, first 2 shown]
	v_and_b32_e32 v7, 28, v32
	v_lshrrev_b32_e32 v9, 2, v32
	v_lshlrev_b32_e32 v12, 8, v31
	s_wait_dscnt 0x7
	v_dual_add_f32 v8, v1, v5 :: v_dual_and_b32 v23, 0x3c3, v0
	s_wait_dscnt 0x6
	v_dual_add_f32 v7, v2, v6 :: v_dual_add_nc_u32 v10, 0xa0, v7
	s_wait_dscnt 0x4
	v_dual_add_f32 v6, v3, v17 :: v_dual_add_f32 v5, v4, v18
	s_wait_dscnt 0x2
	v_dual_add_f32 v4, v15, v19 :: v_dual_add_f32 v3, v14, v20
	;; [unrolled: 2-line block ×3, first 2 shown]
	v_cmpx_eq_u32_e32 64, v23
	s_cbranch_execz .LBB109_58
; %bb.57:
	v_add_nc_u32_e32 v13, v10, v12
	s_delay_alu instid0(VALU_DEP_1)
	v_add_nc_u32_e32 v14, 0xfffffe00, v13
	v_add_nc_u32_e32 v15, 0xfffffe20, v13
	;; [unrolled: 1-line block ×8, first 2 shown]
	ds_store_b32 v14, v8
	ds_store_b32 v15, v7
	;; [unrolled: 1-line block ×8, first 2 shown]
.LBB109_58:
	s_wait_alu 0xfffe
	s_or_b32 exec_lo, exec_lo, s0
	v_lshlrev_b32_e32 v9, 2, v9
	s_mov_b32 s1, exec_lo
	v_cmp_eq_u32_e32 vcc_lo, 0, v11
	s_wait_loadcnt_dscnt 0x0
	s_barrier_signal -1
	v_add3_u32 v9, 0xa0, v12, v9
	s_barrier_wait -1
	global_inv scope:SCOPE_SE
	v_cmpx_gt_u32_e32 64, v0
	s_cbranch_execz .LBB109_69
; %bb.59:
	s_and_saveexec_b32 s0, vcc_lo
	s_cbranch_execnz .LBB109_85
; %bb.60:
	s_wait_alu 0xfffe
	s_or_b32 exec_lo, exec_lo, s0
	s_and_saveexec_b32 s0, vcc_lo
	s_cbranch_execnz .LBB109_86
.LBB109_61:
	s_wait_alu 0xfffe
	s_or_b32 exec_lo, exec_lo, s0
	s_and_saveexec_b32 s0, vcc_lo
	s_cbranch_execnz .LBB109_87
.LBB109_62:
	s_wait_alu 0xfffe
	s_or_b32 exec_lo, exec_lo, s0
	s_and_saveexec_b32 s0, vcc_lo
	s_cbranch_execnz .LBB109_88
.LBB109_63:
	s_wait_alu 0xfffe
	s_or_b32 exec_lo, exec_lo, s0
	s_and_saveexec_b32 s0, vcc_lo
	s_cbranch_execnz .LBB109_89
.LBB109_64:
	s_wait_alu 0xfffe
	s_or_b32 exec_lo, exec_lo, s0
	s_and_saveexec_b32 s0, vcc_lo
	s_cbranch_execnz .LBB109_90
.LBB109_65:
	s_wait_alu 0xfffe
	s_or_b32 exec_lo, exec_lo, s0
	s_and_saveexec_b32 s0, vcc_lo
	s_cbranch_execnz .LBB109_91
.LBB109_66:
	s_wait_alu 0xfffe
	s_or_b32 exec_lo, exec_lo, s0
	s_and_saveexec_b32 s0, vcc_lo
	s_cbranch_execz .LBB109_68
.LBB109_67:
	ds_load_b32 v11, v9 offset:224
	s_wait_dscnt 0x0
	v_add_f32_e32 v1, v1, v11
.LBB109_68:
	s_wait_alu 0xfffe
	s_or_b32 exec_lo, exec_lo, s0
.LBB109_69:
	s_wait_alu 0xfffe
	s_or_b32 exec_lo, exec_lo, s1
	v_and_b32_e32 v11, 0x3e3, v0
	s_mov_b32 s1, exec_lo
	s_wait_loadcnt 0x0
	s_barrier_signal -1
	s_barrier_wait -1
	global_inv scope:SCOPE_SE
	v_cmpx_eq_u32_e32 32, v11
	s_cbranch_execz .LBB109_71
; %bb.70:
	ds_store_2addr_b32 v10, v8, v7 offset1:8
	ds_store_2addr_b32 v10, v6, v5 offset0:16 offset1:24
	ds_store_2addr_b32 v10, v4, v3 offset0:32 offset1:40
	;; [unrolled: 1-line block ×3, first 2 shown]
.LBB109_71:
	s_wait_alu 0xfffe
	s_or_b32 exec_lo, exec_lo, s1
	s_delay_alu instid0(SALU_CYCLE_1)
	s_mov_b32 s1, exec_lo
	s_wait_loadcnt_dscnt 0x0
	s_barrier_signal -1
	s_barrier_wait -1
	global_inv scope:SCOPE_SE
	v_cmpx_gt_u32_e32 32, v0
	s_cbranch_execz .LBB109_82
; %bb.72:
	s_and_saveexec_b32 s0, vcc_lo
	s_cbranch_execnz .LBB109_92
; %bb.73:
	s_wait_alu 0xfffe
	s_or_b32 exec_lo, exec_lo, s0
	s_and_saveexec_b32 s0, vcc_lo
	s_cbranch_execnz .LBB109_93
.LBB109_74:
	s_wait_alu 0xfffe
	s_or_b32 exec_lo, exec_lo, s0
	s_and_saveexec_b32 s0, vcc_lo
	s_cbranch_execnz .LBB109_94
.LBB109_75:
	s_wait_alu 0xfffe
	s_or_b32 exec_lo, exec_lo, s0
	s_and_saveexec_b32 s0, vcc_lo
	s_cbranch_execnz .LBB109_95
.LBB109_76:
	s_wait_alu 0xfffe
	s_or_b32 exec_lo, exec_lo, s0
	s_and_saveexec_b32 s0, vcc_lo
	s_cbranch_execnz .LBB109_96
.LBB109_77:
	s_wait_alu 0xfffe
	s_or_b32 exec_lo, exec_lo, s0
	s_and_saveexec_b32 s0, vcc_lo
	s_cbranch_execnz .LBB109_97
.LBB109_78:
	s_wait_alu 0xfffe
	s_or_b32 exec_lo, exec_lo, s0
	s_and_saveexec_b32 s0, vcc_lo
	s_cbranch_execnz .LBB109_98
.LBB109_79:
	s_wait_alu 0xfffe
	s_or_b32 exec_lo, exec_lo, s0
	s_and_saveexec_b32 s0, vcc_lo
	s_cbranch_execz .LBB109_81
.LBB109_80:
	ds_load_b32 v9, v9 offset:224
	s_wait_dscnt 0x0
	v_add_f32_e32 v1, v1, v9
.LBB109_81:
	s_wait_alu 0xfffe
	s_or_b32 exec_lo, exec_lo, s0
.LBB109_82:
	s_wait_alu 0xfffe
	s_or_b32 exec_lo, exec_lo, s1
	s_mov_b32 s1, 0
	s_wait_loadcnt 0x0
	s_barrier_signal -1
	s_barrier_wait -1
	global_inv scope:SCOPE_SE
	s_mov_b32 s0, exec_lo
	v_cmpx_eq_u32_e32 0, v11
	s_cbranch_execz .LBB109_84
; %bb.83:
	s_lshl_b32 s2, s26, 6
	s_mul_i32 s4, s7, s16
	s_wait_alu 0xfffe
	s_ashr_i32 s3, s2, 31
	s_ashr_i32 s5, s4, 31
	s_wait_alu 0xfffe
	s_lshl_b64 s[2:3], s[2:3], 1
	s_lshl_b64 s[4:5], s[4:5], 1
	s_wait_kmcnt 0x0
	s_wait_alu 0xfffe
	s_add_nc_u64 s[2:3], s[14:15], s[2:3]
	v_lshrrev_b32_e32 v0, 1, v0
	s_lshl_b32 s0, s30, 7
	s_wait_alu 0xfffe
	s_add_nc_u64 s[2:3], s[2:3], s[4:5]
	;;#ASMSTART
	v_cvt_f16_f32 v8, v8;

	;;#ASMEND
	s_wait_alu 0xfffe
	s_add_nc_u64 s[0:1], s[2:3], s[0:1]
	global_store_b16 v0, v8, s[0:1]
	;;#ASMSTART
	v_cvt_f16_f32 v7, v7;

	;;#ASMEND
	global_store_b16 v0, v7, s[0:1] offset:16
	;;#ASMSTART
	v_cvt_f16_f32 v6, v6;

	;;#ASMEND
	global_store_b16 v0, v6, s[0:1] offset:32
	;; [unrolled: 5-line block ×7, first 2 shown]
.LBB109_84:
	s_nop 0
	s_sendmsg sendmsg(MSG_DEALLOC_VGPRS)
	s_endpgm
.LBB109_85:
	ds_load_b32 v11, v9
	s_wait_dscnt 0x0
	v_add_f32_e32 v8, v8, v11
	s_wait_alu 0xfffe
	s_or_b32 exec_lo, exec_lo, s0
	s_and_saveexec_b32 s0, vcc_lo
	s_cbranch_execz .LBB109_61
.LBB109_86:
	ds_load_b32 v11, v9 offset:32
	s_wait_dscnt 0x0
	v_add_f32_e32 v7, v7, v11
	s_wait_alu 0xfffe
	s_or_b32 exec_lo, exec_lo, s0
	s_and_saveexec_b32 s0, vcc_lo
	s_cbranch_execz .LBB109_62
.LBB109_87:
	ds_load_b32 v11, v9 offset:64
	s_wait_dscnt 0x0
	v_add_f32_e32 v6, v6, v11
	s_wait_alu 0xfffe
	s_or_b32 exec_lo, exec_lo, s0
	s_and_saveexec_b32 s0, vcc_lo
	s_cbranch_execz .LBB109_63
.LBB109_88:
	ds_load_b32 v11, v9 offset:96
	s_wait_dscnt 0x0
	v_add_f32_e32 v5, v5, v11
	s_wait_alu 0xfffe
	s_or_b32 exec_lo, exec_lo, s0
	s_and_saveexec_b32 s0, vcc_lo
	s_cbranch_execz .LBB109_64
.LBB109_89:
	ds_load_b32 v11, v9 offset:128
	s_wait_dscnt 0x0
	v_add_f32_e32 v4, v4, v11
	s_wait_alu 0xfffe
	s_or_b32 exec_lo, exec_lo, s0
	s_and_saveexec_b32 s0, vcc_lo
	s_cbranch_execz .LBB109_65
.LBB109_90:
	ds_load_b32 v11, v9 offset:160
	s_wait_dscnt 0x0
	v_add_f32_e32 v3, v3, v11
	s_wait_alu 0xfffe
	s_or_b32 exec_lo, exec_lo, s0
	s_and_saveexec_b32 s0, vcc_lo
	s_cbranch_execz .LBB109_66
.LBB109_91:
	ds_load_b32 v11, v9 offset:192
	s_wait_dscnt 0x0
	v_add_f32_e32 v2, v2, v11
	s_wait_alu 0xfffe
	s_or_b32 exec_lo, exec_lo, s0
	s_and_saveexec_b32 s0, vcc_lo
	s_cbranch_execnz .LBB109_67
	s_branch .LBB109_68
.LBB109_92:
	ds_load_b32 v10, v9
	s_wait_dscnt 0x0
	v_add_f32_e32 v8, v8, v10
	s_wait_alu 0xfffe
	s_or_b32 exec_lo, exec_lo, s0
	s_and_saveexec_b32 s0, vcc_lo
	s_cbranch_execz .LBB109_74
.LBB109_93:
	ds_load_b32 v10, v9 offset:32
	s_wait_dscnt 0x0
	v_add_f32_e32 v7, v7, v10
	s_wait_alu 0xfffe
	s_or_b32 exec_lo, exec_lo, s0
	s_and_saveexec_b32 s0, vcc_lo
	s_cbranch_execz .LBB109_75
.LBB109_94:
	ds_load_b32 v10, v9 offset:64
	s_wait_dscnt 0x0
	v_add_f32_e32 v6, v6, v10
	s_wait_alu 0xfffe
	s_or_b32 exec_lo, exec_lo, s0
	s_and_saveexec_b32 s0, vcc_lo
	s_cbranch_execz .LBB109_76
.LBB109_95:
	ds_load_b32 v10, v9 offset:96
	s_wait_dscnt 0x0
	v_add_f32_e32 v5, v5, v10
	s_wait_alu 0xfffe
	s_or_b32 exec_lo, exec_lo, s0
	s_and_saveexec_b32 s0, vcc_lo
	s_cbranch_execz .LBB109_77
.LBB109_96:
	ds_load_b32 v10, v9 offset:128
	s_wait_dscnt 0x0
	v_add_f32_e32 v4, v4, v10
	s_wait_alu 0xfffe
	s_or_b32 exec_lo, exec_lo, s0
	s_and_saveexec_b32 s0, vcc_lo
	s_cbranch_execz .LBB109_78
.LBB109_97:
	ds_load_b32 v10, v9 offset:160
	s_wait_dscnt 0x0
	v_add_f32_e32 v3, v3, v10
	s_wait_alu 0xfffe
	s_or_b32 exec_lo, exec_lo, s0
	s_and_saveexec_b32 s0, vcc_lo
	s_cbranch_execz .LBB109_79
.LBB109_98:
	ds_load_b32 v10, v9 offset:192
	s_wait_dscnt 0x0
	v_add_f32_e32 v2, v2, v10
	s_wait_alu 0xfffe
	s_or_b32 exec_lo, exec_lo, s0
	s_and_saveexec_b32 s0, vcc_lo
	s_cbranch_execnz .LBB109_80
	s_branch .LBB109_81
	.section	.rodata,"a",@progbits
	.p2align	6, 0x0
	.amdhsa_kernel _ZN4vllm25paged_attention_v2_kernelIttLi64ELi32ELi128ELNS_18Fp8KVCacheDataTypeE0ELb1ELi512EEEvPfS2_PT_PKS3_PKT0_S9_ifPKiSB_iPKfiiiSD_SD_iiiii
		.amdhsa_group_segment_fixed_size 160
		.amdhsa_private_segment_fixed_size 0
		.amdhsa_kernarg_size 400
		.amdhsa_user_sgpr_count 2
		.amdhsa_user_sgpr_dispatch_ptr 0
		.amdhsa_user_sgpr_queue_ptr 0
		.amdhsa_user_sgpr_kernarg_segment_ptr 1
		.amdhsa_user_sgpr_dispatch_id 0
		.amdhsa_user_sgpr_private_segment_size 0
		.amdhsa_wavefront_size32 1
		.amdhsa_uses_dynamic_stack 0
		.amdhsa_enable_private_segment 0
		.amdhsa_system_sgpr_workgroup_id_x 1
		.amdhsa_system_sgpr_workgroup_id_y 1
		.amdhsa_system_sgpr_workgroup_id_z 1
		.amdhsa_system_sgpr_workgroup_info 0
		.amdhsa_system_vgpr_workitem_id 0
		.amdhsa_next_free_vgpr 131
		.amdhsa_next_free_sgpr 42
		.amdhsa_reserve_vcc 1
		.amdhsa_float_round_mode_32 0
		.amdhsa_float_round_mode_16_64 0
		.amdhsa_float_denorm_mode_32 3
		.amdhsa_float_denorm_mode_16_64 3
		.amdhsa_fp16_overflow 0
		.amdhsa_workgroup_processor_mode 1
		.amdhsa_memory_ordered 1
		.amdhsa_forward_progress 1
		.amdhsa_inst_pref_size 71
		.amdhsa_round_robin_scheduling 0
		.amdhsa_exception_fp_ieee_invalid_op 0
		.amdhsa_exception_fp_denorm_src 0
		.amdhsa_exception_fp_ieee_div_zero 0
		.amdhsa_exception_fp_ieee_overflow 0
		.amdhsa_exception_fp_ieee_underflow 0
		.amdhsa_exception_fp_ieee_inexact 0
		.amdhsa_exception_int_div_zero 0
	.end_amdhsa_kernel
	.section	.text._ZN4vllm25paged_attention_v2_kernelIttLi64ELi32ELi128ELNS_18Fp8KVCacheDataTypeE0ELb1ELi512EEEvPfS2_PT_PKS3_PKT0_S9_ifPKiSB_iPKfiiiSD_SD_iiiii,"axG",@progbits,_ZN4vllm25paged_attention_v2_kernelIttLi64ELi32ELi128ELNS_18Fp8KVCacheDataTypeE0ELb1ELi512EEEvPfS2_PT_PKS3_PKT0_S9_ifPKiSB_iPKfiiiSD_SD_iiiii,comdat
.Lfunc_end109:
	.size	_ZN4vllm25paged_attention_v2_kernelIttLi64ELi32ELi128ELNS_18Fp8KVCacheDataTypeE0ELb1ELi512EEEvPfS2_PT_PKS3_PKT0_S9_ifPKiSB_iPKfiiiSD_SD_iiiii, .Lfunc_end109-_ZN4vllm25paged_attention_v2_kernelIttLi64ELi32ELi128ELNS_18Fp8KVCacheDataTypeE0ELb1ELi512EEEvPfS2_PT_PKS3_PKT0_S9_ifPKiSB_iPKfiiiSD_SD_iiiii
                                        ; -- End function
	.set _ZN4vllm25paged_attention_v2_kernelIttLi64ELi32ELi128ELNS_18Fp8KVCacheDataTypeE0ELb1ELi512EEEvPfS2_PT_PKS3_PKT0_S9_ifPKiSB_iPKfiiiSD_SD_iiiii.num_vgpr, 131
	.set _ZN4vllm25paged_attention_v2_kernelIttLi64ELi32ELi128ELNS_18Fp8KVCacheDataTypeE0ELb1ELi512EEEvPfS2_PT_PKS3_PKT0_S9_ifPKiSB_iPKfiiiSD_SD_iiiii.num_agpr, 0
	.set _ZN4vllm25paged_attention_v2_kernelIttLi64ELi32ELi128ELNS_18Fp8KVCacheDataTypeE0ELb1ELi512EEEvPfS2_PT_PKS3_PKT0_S9_ifPKiSB_iPKfiiiSD_SD_iiiii.numbered_sgpr, 42
	.set _ZN4vllm25paged_attention_v2_kernelIttLi64ELi32ELi128ELNS_18Fp8KVCacheDataTypeE0ELb1ELi512EEEvPfS2_PT_PKS3_PKT0_S9_ifPKiSB_iPKfiiiSD_SD_iiiii.num_named_barrier, 0
	.set _ZN4vllm25paged_attention_v2_kernelIttLi64ELi32ELi128ELNS_18Fp8KVCacheDataTypeE0ELb1ELi512EEEvPfS2_PT_PKS3_PKT0_S9_ifPKiSB_iPKfiiiSD_SD_iiiii.private_seg_size, 0
	.set _ZN4vllm25paged_attention_v2_kernelIttLi64ELi32ELi128ELNS_18Fp8KVCacheDataTypeE0ELb1ELi512EEEvPfS2_PT_PKS3_PKT0_S9_ifPKiSB_iPKfiiiSD_SD_iiiii.uses_vcc, 1
	.set _ZN4vllm25paged_attention_v2_kernelIttLi64ELi32ELi128ELNS_18Fp8KVCacheDataTypeE0ELb1ELi512EEEvPfS2_PT_PKS3_PKT0_S9_ifPKiSB_iPKfiiiSD_SD_iiiii.uses_flat_scratch, 0
	.set _ZN4vllm25paged_attention_v2_kernelIttLi64ELi32ELi128ELNS_18Fp8KVCacheDataTypeE0ELb1ELi512EEEvPfS2_PT_PKS3_PKT0_S9_ifPKiSB_iPKfiiiSD_SD_iiiii.has_dyn_sized_stack, 0
	.set _ZN4vllm25paged_attention_v2_kernelIttLi64ELi32ELi128ELNS_18Fp8KVCacheDataTypeE0ELb1ELi512EEEvPfS2_PT_PKS3_PKT0_S9_ifPKiSB_iPKfiiiSD_SD_iiiii.has_recursion, 0
	.set _ZN4vllm25paged_attention_v2_kernelIttLi64ELi32ELi128ELNS_18Fp8KVCacheDataTypeE0ELb1ELi512EEEvPfS2_PT_PKS3_PKT0_S9_ifPKiSB_iPKfiiiSD_SD_iiiii.has_indirect_call, 0
	.section	.AMDGPU.csdata,"",@progbits
; Kernel info:
; codeLenInByte = 8976
; TotalNumSgprs: 44
; NumVgprs: 131
; ScratchSize: 0
; MemoryBound: 0
; FloatMode: 240
; IeeeMode: 1
; LDSByteSize: 160 bytes/workgroup (compile time only)
; SGPRBlocks: 0
; VGPRBlocks: 16
; NumSGPRsForWavesPerEU: 44
; NumVGPRsForWavesPerEU: 131
; Occupancy: 10
; WaveLimiterHint : 1
; COMPUTE_PGM_RSRC2:SCRATCH_EN: 0
; COMPUTE_PGM_RSRC2:USER_SGPR: 2
; COMPUTE_PGM_RSRC2:TRAP_HANDLER: 0
; COMPUTE_PGM_RSRC2:TGID_X_EN: 1
; COMPUTE_PGM_RSRC2:TGID_Y_EN: 1
; COMPUTE_PGM_RSRC2:TGID_Z_EN: 1
; COMPUTE_PGM_RSRC2:TIDIG_COMP_CNT: 0
	.section	.text._ZN4vllm25paged_attention_v2_kernelIttLi80ELi32ELi128ELNS_18Fp8KVCacheDataTypeE0ELb1ELi512EEEvPfS2_PT_PKS3_PKT0_S9_ifPKiSB_iPKfiiiSD_SD_iiiii,"axG",@progbits,_ZN4vllm25paged_attention_v2_kernelIttLi80ELi32ELi128ELNS_18Fp8KVCacheDataTypeE0ELb1ELi512EEEvPfS2_PT_PKS3_PKT0_S9_ifPKiSB_iPKfiiiSD_SD_iiiii,comdat
	.protected	_ZN4vllm25paged_attention_v2_kernelIttLi80ELi32ELi128ELNS_18Fp8KVCacheDataTypeE0ELb1ELi512EEEvPfS2_PT_PKS3_PKT0_S9_ifPKiSB_iPKfiiiSD_SD_iiiii ; -- Begin function _ZN4vllm25paged_attention_v2_kernelIttLi80ELi32ELi128ELNS_18Fp8KVCacheDataTypeE0ELb1ELi512EEEvPfS2_PT_PKS3_PKT0_S9_ifPKiSB_iPKfiiiSD_SD_iiiii
	.globl	_ZN4vllm25paged_attention_v2_kernelIttLi80ELi32ELi128ELNS_18Fp8KVCacheDataTypeE0ELb1ELi512EEEvPfS2_PT_PKS3_PKT0_S9_ifPKiSB_iPKfiiiSD_SD_iiiii
	.p2align	8
	.type	_ZN4vllm25paged_attention_v2_kernelIttLi80ELi32ELi128ELNS_18Fp8KVCacheDataTypeE0ELb1ELi512EEEvPfS2_PT_PKS3_PKT0_S9_ifPKiSB_iPKfiiiSD_SD_iiiii,@function
_ZN4vllm25paged_attention_v2_kernelIttLi80ELi32ELi128ELNS_18Fp8KVCacheDataTypeE0ELb1ELi512EEEvPfS2_PT_PKS3_PKT0_S9_ifPKiSB_iPKfiiiSD_SD_iiiii: ; @_ZN4vllm25paged_attention_v2_kernelIttLi80ELi32ELi128ELNS_18Fp8KVCacheDataTypeE0ELb1ELi512EEEvPfS2_PT_PKS3_PKT0_S9_ifPKiSB_iPKfiiiSD_SD_iiiii
; %bb.0:
	s_load_b64 s[2:3], s[0:1], 0x40
	s_and_b32 s22, ttmp7, 0xffff
	s_lshr_b32 s30, ttmp7, 16
	s_lshl_b32 s4, s22, 2
	s_lshl_b32 s34, s30, 9
	s_wait_kmcnt 0x0
	s_load_b32 s31, s[2:3], s4 offset:0x0
	s_wait_kmcnt 0x0
	s_cmp_ge_i32 s34, s31
	s_cbranch_scc1 .LBB110_92
; %bb.1:
	s_clause 0x1
	s_load_b32 s23, s[0:1], 0x90
	s_load_b64 s[8:9], s[0:1], 0x30
	s_wait_kmcnt 0x0
	s_abs_i32 s5, s23
	s_abs_i32 s2, s8
	s_delay_alu instid0(SALU_CYCLE_1) | instskip(SKIP_1) | instid1(SALU_CYCLE_2)
	s_cvt_f32_u32 s3, s2
	s_sub_co_i32 s4, 0, s2
	v_rcp_iflag_f32_e32 v1, s3
	s_delay_alu instid0(TRANS32_DEP_1) | instskip(SKIP_2) | instid1(SALU_CYCLE_2)
	v_readfirstlane_b32 s3, v1
	s_mul_f32 s3, s3, 0x4f7ffffe
	s_wait_alu 0xfffe
	s_cvt_u32_f32 s3, s3
	s_wait_alu 0xfffe
	s_delay_alu instid0(SALU_CYCLE_2) | instskip(NEXT) | instid1(SALU_CYCLE_1)
	s_mul_i32 s4, s4, s3
	s_mul_hi_u32 s4, s3, s4
	s_delay_alu instid0(SALU_CYCLE_1)
	s_add_co_i32 s3, s3, s4
	s_xor_b32 s4, s23, s8
	s_wait_alu 0xfffe
	s_mul_hi_u32 s3, s5, s3
	s_ashr_i32 s4, s4, 31
	s_wait_alu 0xfffe
	s_mul_i32 s6, s3, s2
	s_delay_alu instid0(SALU_CYCLE_1)
	s_sub_co_i32 s5, s5, s6
	s_add_co_i32 s6, s3, 1
	s_sub_co_i32 s7, s5, s2
	s_cmp_ge_u32 s5, s2
	s_cselect_b32 s3, s6, s3
	s_cselect_b32 s5, s7, s5
	s_wait_alu 0xfffe
	s_add_co_i32 s6, s3, 1
	s_cmp_ge_u32 s5, s2
	s_cselect_b32 s2, s6, s3
	s_load_b64 s[6:7], s[0:1], 0x50
	s_xor_b32 s2, s2, s4
	s_mov_b32 s3, 0
	s_wait_alu 0xfffe
	s_sub_co_i32 s16, s2, s4
	s_mov_b32 s15, s3
	s_abs_i32 s18, s16
	s_delay_alu instid0(SALU_CYCLE_1) | instskip(SKIP_1) | instid1(SALU_CYCLE_2)
	s_cvt_f32_u32 s2, s18
	s_wait_alu 0xfffe
	v_rcp_iflag_f32_e32 v1, s2
	s_delay_alu instid0(TRANS32_DEP_1) | instskip(SKIP_2) | instid1(SALU_CYCLE_2)
	v_readfirstlane_b32 s2, v1
	s_mul_f32 s2, s2, 0x4f7ffffe
	s_wait_alu 0xfffe
	s_cvt_u32_f32 s4, s2
	s_sub_co_i32 s2, 0, s18
	s_wait_alu 0xfffe
	s_delay_alu instid0(SALU_CYCLE_1)
	s_mul_i32 s2, s2, s4
	s_wait_alu 0xfffe
	s_mul_hi_u32 s5, s4, s2
	s_abs_i32 s2, ttmp9
	s_add_co_i32 s4, s4, s5
	s_mov_b32 s5, s3
	s_wait_kmcnt 0x0
	s_cmp_eq_u64 s[6:7], 0
	s_cbranch_scc1 .LBB110_3
; %bb.2:
	s_mov_b32 s10, ttmp9
	s_ashr_i32 s11, ttmp9, 31
	s_delay_alu instid0(SALU_CYCLE_1) | instskip(NEXT) | instid1(SALU_CYCLE_1)
	s_lshl_b64 s[10:11], s[10:11], 2
	s_add_nc_u64 s[6:7], s[6:7], s[10:11]
	s_load_b32 s15, s[6:7], 0x0
.LBB110_3:
	s_load_b96 s[12:14], s[0:1], 0x58
	v_lshlrev_b32_e32 v45, 4, v0
	s_mul_u64 s[10:11], s[2:3], s[4:5]
	s_ashr_i32 s3, ttmp9, 31
	s_ashr_i32 s10, s16, 31
	s_mul_i32 s16, ttmp9, 0x50
	s_mov_b32 s4, exec_lo
	v_cmpx_gt_u32_e32 10, v0
	s_cbranch_execz .LBB110_5
; %bb.4:
	s_load_b64 s[6:7], s[0:1], 0x18
	s_wait_kmcnt 0x0
	s_mul_i32 s20, s12, s22
	s_ashr_i32 s17, s16, 31
	s_ashr_i32 s21, s20, 31
	s_delay_alu instid0(SALU_CYCLE_1) | instskip(NEXT) | instid1(SALU_CYCLE_1)
	s_lshl_b64 s[20:21], s[20:21], 1
	s_add_nc_u64 s[6:7], s[6:7], s[20:21]
	s_lshl_b64 s[20:21], s[16:17], 1
	s_delay_alu instid0(SALU_CYCLE_1)
	s_add_nc_u64 s[6:7], s[6:7], s[20:21]
	global_load_b128 v[1:4], v45, s[6:7]
	s_wait_loadcnt 0x0
	ds_store_b128 v45, v[1:4]
.LBB110_5:
	s_or_b32 exec_lo, exec_lo, s4
	s_clause 0x1
	s_load_b128 s[4:7], s[0:1], 0x78
	s_load_b32 s20, s[0:1], 0x88
	s_wait_kmcnt 0x0
	s_mul_i32 s12, s11, s18
	s_xor_b32 s3, s3, s10
	s_sub_co_i32 s2, s2, s12
	s_add_co_i32 s10, s11, 1
	s_wait_alu 0xfffe
	s_sub_co_i32 s12, s2, s18
	s_cmp_ge_u32 s2, s18
	s_mov_b32 s24, -1
	s_cselect_b32 s10, s10, s11
	s_cselect_b32 s2, s12, s2
	s_add_co_i32 s11, s10, 1
	s_wait_alu 0xfffe
	s_cmp_ge_u32 s2, s18
	s_wait_dscnt 0x0
	s_cselect_b32 s2, s11, s10
	s_add_co_i32 s21, s31, -1
	s_wait_alu 0xfffe
	s_xor_b32 s2, s2, s3
	s_barrier_signal -1
	s_wait_alu 0xfffe
	s_sub_co_i32 s26, s2, s3
	s_barrier_wait -1
	s_abs_i32 s12, s7
	global_inv scope:SCOPE_SE
	s_cvt_f32_u32 s10, s12
                                        ; implicit-def: $sgpr17
	s_delay_alu instid0(SALU_CYCLE_3) | instskip(NEXT) | instid1(TRANS32_DEP_1)
	v_rcp_iflag_f32_e32 v1, s10
	v_readfirstlane_b32 s10, v1
	s_mul_f32 s2, s10, 0x4f7ffffe
	s_wait_alu 0xfffe
	s_delay_alu instid0(SALU_CYCLE_2) | instskip(SKIP_2) | instid1(SALU_CYCLE_1)
	s_cvt_u32_f32 s10, s2
	s_sub_co_i32 s2, 0, s12
	s_wait_alu 0xfffe
	s_mul_i32 s3, s2, s10
	s_abs_i32 s2, s21
	s_wait_alu 0xfffe
	s_mul_hi_u32 s11, s10, s3
	s_mov_b32 s3, 0
	s_wait_alu 0xfffe
	s_add_co_i32 s18, s10, s11
	s_cmp_lt_i32 s20, 0
	s_mov_b32 s19, s3
	s_cbranch_scc0 .LBB110_7
; %bb.6:
	s_mul_i32 s8, s4, s8
	s_mov_b32 s24, s3
	s_add_co_i32 s8, s26, s8
	s_delay_alu instid0(SALU_CYCLE_1) | instskip(NEXT) | instid1(SALU_CYCLE_1)
	s_mul_i32 s8, s8, s20
	s_sub_co_i32 s17, 1, s8
.LBB110_7:
	s_mul_u64 s[10:11], s[2:3], s[18:19]
	s_ashr_i32 s3, s21, 31
	s_and_not1_b32 vcc_lo, exec_lo, s24
	s_ashr_i32 s19, s7, 31
	s_cbranch_vccnz .LBB110_9
; %bb.8:
	s_mul_i32 s4, s23, s4
	s_delay_alu instid0(SALU_CYCLE_1) | instskip(NEXT) | instid1(SALU_CYCLE_1)
	s_add_co_i32 s4, s4, ttmp9
	s_mul_i32 s4, s4, s20
	s_delay_alu instid0(SALU_CYCLE_1)
	s_add_co_i32 s17, s4, 1
.LBB110_9:
	s_clause 0x2
	s_load_b32 s4, s[0:1], 0x48
	s_load_b64 s[20:21], s[0:1], 0x38
	s_load_b32 s7, s[0:1], 0x98
	s_mul_i32 s8, s11, s12
	s_xor_b32 s3, s3, s19
	s_sub_co_i32 s2, s2, s8
	s_add_co_i32 s10, s11, 1
	v_lshrrev_b32_e32 v41, 5, v0
	v_and_b32_e32 v42, 31, v0
	v_mov_b32_e32 v48, 0xff7fffff
	s_mul_i32 s26, s26, s14
	s_delay_alu instid0(VALU_DEP_3) | instskip(NEXT) | instid1(VALU_DEP_3)
	v_lshl_add_u32 v43, v41, 5, s34
	v_lshlrev_b32_e32 v47, 2, v42
	s_wait_kmcnt 0x0
	s_mul_i32 s24, s4, s22
	s_wait_alu 0xfffe
	s_sub_co_i32 s4, s2, s12
	s_ashr_i32 s25, s24, 31
	s_cmp_ge_u32 s2, s12
	s_cselect_b32 s8, s10, s11
	s_cselect_b32 s2, s4, s2
	s_add_co_i32 s4, s8, 1
	s_wait_alu 0xfffe
	s_cmp_ge_u32 s2, s12
	s_cselect_b32 s2, s4, s8
	s_add_co_i32 s4, s31, 31
	s_lshl_b32 s37, s30, 4
	s_ashr_i32 s8, s4, 31
	v_add_nc_u32_e32 v44, s37, v41
	s_lshr_b32 s8, s8, 27
	s_delay_alu instid0(SALU_CYCLE_1)
	s_add_co_i32 s4, s4, s8
	s_add_co_i32 s8, s37, 16
	s_ashr_i32 s35, s4, 5
	s_wait_alu 0xfffe
	s_xor_b32 s4, s2, s3
	s_min_i32 s33, s8, s35
	v_lshlrev_b32_e32 v46, 2, v44
	v_cmp_gt_i32_e64 s2, s33, v44
	s_sub_co_i32 s36, s4, s3
	s_and_saveexec_b32 s8, s2
	s_cbranch_execz .LBB110_17
; %bb.10:
	s_ashr_i32 s27, s26, 31
	s_wait_alu 0xfffe
	s_sub_co_i32 s10, s36, s5
	s_lshl_b64 s[28:29], s[26:27], 1
	s_cmp_neq_f32 s15, 0
	s_load_b64 s[38:39], s[0:1], 0x20
	v_dual_mov_b32 v49, 0 :: v_dual_lshlrev_b32 v2, 4, v42
	s_cselect_b32 vcc_lo, -1, 0
	s_abs_i32 s11, s6
	s_lshl_b64 s[40:41], s[24:25], 2
	s_wait_alu 0xfffe
	s_cvt_f32_u32 s3, s11
	s_add_nc_u64 s[40:41], s[20:21], s[40:41]
	v_subrev_nc_u32_e32 v3, s31, v42
	v_lshl_or_b32 v4, v41, 7, v47
	s_wait_alu 0xfffe
	v_rcp_iflag_f32_e32 v1, s3
	v_add_co_u32 v37, s27, s40, v46
	s_sub_co_i32 s4, 0, s11
	v_add_co_ci_u32_e64 v38, null, s41, 0, s27
	v_lshl_add_u32 v50, v41, 5, s34
	v_dual_mov_b32 v51, 0xff7fffff :: v_dual_add_nc_u32 v52, 1, v3
	v_dual_mov_b32 v56, v44 :: v_dual_add_nc_u32 v53, 0xc0, v4
	s_delay_alu instid0(TRANS32_DEP_1)
	v_readfirstlane_b32 s3, v1
	s_wait_kmcnt 0x0
	s_add_nc_u64 s[28:29], s[38:39], s[28:29]
	v_mov_b32_e32 v48, 0xff7fffff
	v_add_co_u32 v54, s27, s28, v2
	s_mul_f32 s3, s3, 0x4f7ffffe
	v_add_co_ci_u32_e64 v55, null, s29, 0, s27
	s_mov_b32 s14, s13
	s_wait_alu 0xfffe
	s_cvt_u32_f32 s3, s3
	s_mov_b32 s27, 0
	s_wait_alu 0xfffe
	s_delay_alu instid0(SALU_CYCLE_1) | instskip(NEXT) | instid1(SALU_CYCLE_1)
	s_mul_i32 s4, s4, s3
	s_mul_hi_u32 s4, s3, s4
	s_delay_alu instid0(SALU_CYCLE_1)
	s_add_co_i32 s28, s3, s4
	s_branch .LBB110_12
.LBB110_11:                             ;   in Loop: Header=BB110_12 Depth=1
	s_wait_alu 0xfffe
	s_or_b32 exec_lo, exec_lo, s4
	v_add_nc_u32_e32 v56, 4, v56
	v_add_co_u32 v37, s4, v37, 16
	s_wait_alu 0xf1ff
	v_add_co_ci_u32_e64 v38, null, 0, v38, s4
	s_delay_alu instid0(VALU_DEP_3)
	v_cmp_le_i32_e64 s3, s33, v56
	v_add_nc_u32_e32 v50, 0x80, v50
	v_add_nc_u32_e32 v53, 0x200, v53
	s_or_b32 s27, s3, s27
	s_wait_alu 0xfffe
	s_and_not1_b32 exec_lo, exec_lo, s27
	s_cbranch_execz .LBB110_16
.LBB110_12:                             ; =>This Inner Loop Header: Depth=1
	v_sub_nc_u32_e32 v1, 0, v50
	s_delay_alu instid0(VALU_DEP_1) | instskip(NEXT) | instid1(VALU_DEP_1)
	v_max_i32_e32 v1, v50, v1
	v_mul_hi_u32 v2, v1, s18
	s_delay_alu instid0(VALU_DEP_1) | instskip(NEXT) | instid1(VALU_DEP_1)
	v_mul_lo_u32 v3, v2, s12
	v_sub_nc_u32_e32 v1, v1, v3
	v_add_nc_u32_e32 v3, 1, v2
	s_delay_alu instid0(VALU_DEP_2) | instskip(SKIP_2) | instid1(VALU_DEP_1)
	v_subrev_nc_u32_e32 v4, s12, v1
	v_cmp_le_u32_e64 s3, s12, v1
	s_wait_alu 0xf1ff
	v_cndmask_b32_e64 v2, v2, v3, s3
	s_delay_alu instid0(VALU_DEP_3) | instskip(SKIP_1) | instid1(VALU_DEP_3)
	v_cndmask_b32_e64 v1, v1, v4, s3
	v_ashrrev_i32_e32 v3, 31, v50
	v_add_nc_u32_e32 v4, 1, v2
	s_delay_alu instid0(VALU_DEP_3) | instskip(NEXT) | instid1(VALU_DEP_3)
	v_cmp_le_u32_e64 s3, s12, v1
	v_xor_b32_e32 v3, s19, v3
	s_wait_alu 0xf1ff
	s_delay_alu instid0(VALU_DEP_2) | instskip(NEXT) | instid1(VALU_DEP_1)
	v_cndmask_b32_e64 v1, v2, v4, s3
	v_xor_b32_e32 v1, v1, v3
	s_delay_alu instid0(VALU_DEP_1) | instskip(NEXT) | instid1(VALU_DEP_1)
	v_sub_nc_u32_e32 v1, v1, v3
	v_add_nc_u32_e32 v2, s17, v1
	v_cmp_ge_i32_e64 s4, s10, v1
	s_delay_alu instid0(VALU_DEP_2) | instskip(NEXT) | instid1(VALU_DEP_1)
	v_sub_nc_u32_e32 v3, 0, v2
	v_max_i32_e32 v3, v2, v3
	v_ashrrev_i32_e32 v2, 31, v2
	s_wait_alu 0xfffe
	s_delay_alu instid0(VALU_DEP_2) | instskip(NEXT) | instid1(VALU_DEP_1)
	v_mul_hi_u32 v4, v3, s28
	v_mul_lo_u32 v4, v4, s11
	s_delay_alu instid0(VALU_DEP_1) | instskip(NEXT) | instid1(VALU_DEP_1)
	v_sub_nc_u32_e32 v3, v3, v4
	v_subrev_nc_u32_e32 v4, s11, v3
	v_cmp_le_u32_e64 s3, s11, v3
	s_wait_alu 0xf1ff
	s_delay_alu instid0(VALU_DEP_1) | instskip(NEXT) | instid1(VALU_DEP_1)
	v_cndmask_b32_e64 v3, v3, v4, s3
	v_subrev_nc_u32_e32 v4, s11, v3
	v_cmp_le_u32_e64 s3, s11, v3
	s_wait_alu 0xf1ff
	s_delay_alu instid0(VALU_DEP_1) | instskip(NEXT) | instid1(VALU_DEP_1)
	v_cndmask_b32_e64 v3, v3, v4, s3
	v_xor_b32_e32 v3, v3, v2
	s_delay_alu instid0(VALU_DEP_1) | instskip(NEXT) | instid1(VALU_DEP_1)
	v_sub_nc_u32_e32 v2, v3, v2
	v_cmp_ne_u32_e64 s3, 0, v2
	s_and_b32 s3, s3, s4
	s_wait_alu 0xfffe
	s_and_saveexec_b32 s4, s3
	s_wait_alu 0xfffe
	s_xor_b32 s3, exec_lo, s4
; %bb.13:                               ;   in Loop: Header=BB110_12 Depth=1
	ds_store_b32 v53, v51
; %bb.14:                               ;   in Loop: Header=BB110_12 Depth=1
	s_wait_alu 0xfffe
	s_and_not1_saveexec_b32 s4, s3
	s_cbranch_execz .LBB110_11
; %bb.15:                               ;   in Loop: Header=BB110_12 Depth=1
	global_load_b32 v1, v[37:38], off
	s_wait_loadcnt 0x0
	v_mad_co_i64_i32 v[1:2], null, v1, s14, 0
	s_delay_alu instid0(VALU_DEP_1) | instskip(NEXT) | instid1(VALU_DEP_1)
	v_lshlrev_b64_e32 v[1:2], 1, v[1:2]
	v_add_co_u32 v39, s3, v54, v1
	s_wait_alu 0xf1ff
	s_delay_alu instid0(VALU_DEP_2)
	v_add_co_ci_u32_e64 v40, null, v55, v2, s3
	s_clause 0x9
	global_load_b128 v[33:36], v[39:40], off
	global_load_b128 v[29:32], v[39:40], off offset:512
	global_load_b128 v[25:28], v[39:40], off offset:1024
	global_load_b128 v[21:24], v[39:40], off offset:1536
	global_load_b128 v[17:20], v[39:40], off offset:2048
	global_load_b128 v[13:16], v[39:40], off offset:2560
	global_load_b128 v[9:12], v[39:40], off offset:3072
	global_load_b128 v[1:4], v[39:40], off offset:3584
	global_load_b128 v[5:8], v[39:40], off offset:4096
	global_load_b128 v[57:60], v[39:40], off offset:4608
	ds_load_b128 v[61:64], v49
	s_wait_dscnt 0x0
	v_lshrrev_b32_e32 v40, 16, v61
	v_and_b32_e32 v39, 0xffff, v61
	v_lshrrev_b32_e32 v61, 16, v62
	v_and_b32_e32 v62, 0xffff, v62
	;; [unrolled: 2-line block ×4, first 2 shown]
	;;#ASMSTART
	v_cvt_f32_f16 v39, v39;
	;;#ASMEND
	;;#ASMSTART
	v_cvt_f32_f16 v40, v40;
	;;#ASMEND
	s_wait_loadcnt 0x9
	v_lshrrev_b32_e32 v67, 16, v33
	v_and_b32_e32 v33, 0xffff, v33
	v_lshrrev_b32_e32 v68, 16, v34
	v_and_b32_e32 v34, 0xffff, v34
	v_lshrrev_b32_e32 v69, 16, v35
	v_and_b32_e32 v35, 0xffff, v35
	v_lshrrev_b32_e32 v70, 16, v36
	v_and_b32_e32 v36, 0xffff, v36
	s_wait_loadcnt 0x8
	v_lshrrev_b32_e32 v71, 16, v29
	v_lshrrev_b32_e32 v73, 16, v30
	;; [unrolled: 1-line block ×3, first 2 shown]
	v_and_b32_e32 v76, 0xffff, v31
	v_lshrrev_b32_e32 v77, 16, v32
	s_wait_loadcnt 0x7
	v_lshrrev_b32_e32 v79, 16, v25
	v_and_b32_e32 v80, 0xffff, v25
	v_lshrrev_b32_e32 v81, 16, v26
	v_and_b32_e32 v82, 0xffff, v26
	v_lshrrev_b32_e32 v83, 16, v27
	v_and_b32_e32 v84, 0xffff, v27
	v_lshrrev_b32_e32 v85, 16, v28
	v_and_b32_e32 v86, 0xffff, v28
	s_wait_loadcnt 0x6
	v_lshrrev_b32_e32 v87, 16, v21
	v_and_b32_e32 v88, 0xffff, v21
	v_lshrrev_b32_e32 v89, 16, v22
	v_and_b32_e32 v90, 0xffff, v22
	v_lshrrev_b32_e32 v91, 16, v23
	v_and_b32_e32 v92, 0xffff, v23
	v_lshrrev_b32_e32 v93, 16, v24
	v_and_b32_e32 v94, 0xffff, v24
	;; [unrolled: 9-line block ×3, first 2 shown]
	s_wait_loadcnt 0x4
	v_lshrrev_b32_e32 v103, 16, v13
	v_and_b32_e32 v104, 0xffff, v13
	v_lshrrev_b32_e32 v105, 16, v14
	v_and_b32_e32 v106, 0xffff, v14
	;;#ASMSTART
	v_cvt_f32_f16 v13, v33;
	;;#ASMEND
	v_and_b32_e32 v74, 0xffff, v30
	;;#ASMSTART
	v_cvt_f32_f16 v14, v67;
	;;#ASMEND
	;;#ASMSTART
	v_cvt_f32_f16 v21, v62;
	;;#ASMEND
	;;#ASMSTART
	v_cvt_f32_f16 v22, v61;
	;;#ASMEND
	;;#ASMSTART
	v_cvt_f32_f16 v23, v34;
	;;#ASMEND
	v_and_b32_e32 v72, 0xffff, v29
	;;#ASMSTART
	v_cvt_f32_f16 v24, v68;
	;;#ASMEND
	;;#ASMSTART
	v_cvt_f32_f16 v25, v63;
	;;#ASMEND
	;;#ASMSTART
	v_cvt_f32_f16 v26, v65;
	;;#ASMEND
	;; [unrolled: 13-line block ×3, first 2 shown]
	;;#ASMSTART
	v_cvt_f32_f16 v31, v36;
	;;#ASMEND
	;;#ASMSTART
	v_cvt_f32_f16 v32, v70;
	;;#ASMEND
	ds_load_b128 v[17:20], v49 offset:16
	v_lshrrev_b32_e32 v107, 16, v15
	v_and_b32_e32 v108, 0xffff, v15
	s_wait_loadcnt 0x2
	v_lshrrev_b32_e32 v121, 16, v2
	v_and_b32_e32 v122, 0xffff, v2
	v_lshrrev_b32_e32 v109, 16, v16
	v_and_b32_e32 v110, 0xffff, v16
	;; [unrolled: 2-line block ×8, first 2 shown]
	v_lshrrev_b32_e32 v125, 16, v4
	s_wait_dscnt 0x0
	v_and_b32_e32 v2, 0xffff, v17
	;;#ASMSTART
	v_cvt_f32_f16 v15, v2;
	;;#ASMEND
	v_lshrrev_b32_e32 v1, 16, v17
	;;#ASMSTART
	v_cvt_f32_f16 v16, v1;
	;;#ASMEND
	;;#ASMSTART
	v_cvt_f32_f16 v17, v72;
	;;#ASMEND
	v_mul_f32_e32 v15, v15, v17
	v_lshrrev_b32_e32 v3, 16, v18
	v_and_b32_e32 v9, 0xffff, v18
	;;#ASMSTART
	v_cvt_f32_f16 v18, v71;
	;;#ASMEND
	v_mul_f32_e32 v16, v16, v18
	v_lshrrev_b32_e32 v10, 16, v19
	v_and_b32_e32 v11, 0xffff, v19
	v_lshrrev_b32_e32 v12, 16, v20
	v_and_b32_e32 v63, 0xffff, v20
	;;#ASMSTART
	v_cvt_f32_f16 v19, v9;
	;;#ASMEND
	;;#ASMSTART
	v_cvt_f32_f16 v20, v3;
	;;#ASMEND
	v_fmac_f32_e32 v15, v39, v13
	;;#ASMSTART
	v_cvt_f32_f16 v33, v74;
	;;#ASMEND
	;;#ASMSTART
	v_cvt_f32_f16 v34, v73;
	;;#ASMEND
	v_dual_mul_f32 v19, v19, v33 :: v_dual_fmac_f32 v16, v40, v14
	;;#ASMSTART
	v_cvt_f32_f16 v35, v11;
	;;#ASMEND
	;;#ASMSTART
	v_cvt_f32_f16 v36, v10;
	;;#ASMEND
	;;#ASMSTART
	v_cvt_f32_f16 v61, v76;
	;;#ASMEND
	v_mul_f32_e32 v33, v35, v61
	;;#ASMSTART
	v_cvt_f32_f16 v62, v75;
	;;#ASMEND
	;;#ASMSTART
	v_cvt_f32_f16 v63, v63;
	;;#ASMEND
	;; [unrolled: 3-line block ×3, first 2 shown]
	s_delay_alu instid0(VALU_DEP_1)
	v_dual_mul_f32 v20, v20, v34 :: v_dual_fmac_f32 v33, v25, v27
	;;#ASMSTART
	v_cvt_f32_f16 v65, v78;
	;;#ASMEND
	;;#ASMSTART
	v_cvt_f32_f16 v66, v77;
	;;#ASMEND
	ds_load_b128 v[9:12], v49 offset:32
	v_dual_mul_f32 v34, v36, v62 :: v_dual_mul_f32 v35, v63, v65
	v_and_b32_e32 v126, 0xffff, v4
	s_wait_loadcnt 0x1
	v_lshrrev_b32_e32 v127, 16, v5
	v_and_b32_e32 v128, 0xffff, v5
	v_lshrrev_b32_e32 v129, 16, v6
	v_and_b32_e32 v130, 0xffff, v6
	;; [unrolled: 2-line block ×4, first 2 shown]
	s_wait_loadcnt 0x0
	v_lshrrev_b32_e32 v3, 16, v59
	v_and_b32_e32 v4, 0xffff, v59
	v_lshrrev_b32_e32 v1, 16, v60
	v_and_b32_e32 v2, 0xffff, v60
	;; [unrolled: 2-line block ×4, first 2 shown]
	s_wait_dscnt 0x0
	v_lshrrev_b32_e32 v5, 16, v9
	v_and_b32_e32 v6, 0xffff, v9
	v_lshrrev_b32_e32 v7, 16, v10
	v_and_b32_e32 v8, 0xffff, v10
	v_lshrrev_b32_e32 v60, 16, v11
	v_dual_fmac_f32 v34, v26, v28 :: v_dual_and_b32 v59, 0xffff, v11
	v_lshrrev_b32_e32 v70, 16, v12
	v_and_b32_e32 v69, 0xffff, v12
	;;#ASMSTART
	v_cvt_f32_f16 v9, v6;
	;;#ASMEND
	;;#ASMSTART
	v_cvt_f32_f16 v10, v5;
	;;#ASMEND
	v_fmac_f32_e32 v35, v29, v31
	;;#ASMSTART
	v_cvt_f32_f16 v11, v80;
	;;#ASMEND
	;;#ASMSTART
	v_cvt_f32_f16 v12, v79;
	;;#ASMEND
	;; [unrolled: 3-line block ×4, first 2 shown]
	v_fmac_f32_e32 v15, v9, v11
	;;#ASMSTART
	v_cvt_f32_f16 v57, v82;
	;;#ASMEND
	;;#ASMSTART
	v_cvt_f32_f16 v58, v81;
	;;#ASMEND
	;; [unrolled: 3-line block ×8, first 2 shown]
	v_fmac_f32_e32 v33, v59, v67
	;;#ASMSTART
	v_cvt_f32_f16 v71, v86;
	;;#ASMEND
	;;#ASMSTART
	v_cvt_f32_f16 v72, v85;
	;;#ASMEND
	ds_load_b128 v[5:8], v49 offset:48
	v_mul_f32_e32 v36, v64, v66
	v_dual_fmac_f32 v16, v10, v12 :: v_dual_fmac_f32 v35, v69, v71
	v_dual_fmac_f32 v19, v21, v23 :: v_dual_fmac_f32 v20, v22, v24
	s_delay_alu instid0(VALU_DEP_3) | instskip(SKIP_1) | instid1(VALU_DEP_3)
	v_fmac_f32_e32 v36, v30, v32
	v_fmac_f32_e32 v34, v60, v68
	v_dual_fmac_f32 v19, v17, v57 :: v_dual_add_nc_u32 v60, v52, v50
	s_delay_alu instid0(VALU_DEP_4) | instskip(NEXT) | instid1(VALU_DEP_4)
	v_fmac_f32_e32 v20, v18, v58
	v_fmac_f32_e32 v36, v70, v72
	s_delay_alu instid0(VALU_DEP_3)
	v_cvt_f32_i32_e32 v60, v60
	s_wait_dscnt 0x0
	v_lshrrev_b32_e32 v39, 16, v5
	v_and_b32_e32 v5, 0xffff, v5
	v_lshrrev_b32_e32 v64, 16, v6
	v_and_b32_e32 v6, 0xffff, v6
	;; [unrolled: 2-line block ×4, first 2 shown]
	;;#ASMSTART
	v_cvt_f32_f16 v13, v5;
	;;#ASMEND
	;;#ASMSTART
	v_cvt_f32_f16 v39, v39;
	;;#ASMEND
	;;#ASMSTART
	v_cvt_f32_f16 v61, v88;
	;;#ASMEND
	;;#ASMSTART
	v_cvt_f32_f16 v62, v87;
	;;#ASMEND
	;;#ASMSTART
	v_cvt_f32_f16 v63, v6;
	;;#ASMEND
	;;#ASMSTART
	v_cvt_f32_f16 v64, v64;
	;;#ASMEND
	;;#ASMSTART
	v_cvt_f32_f16 v65, v90;
	;;#ASMEND
	;;#ASMSTART
	v_cvt_f32_f16 v66, v89;
	;;#ASMEND
	;;#ASMSTART
	v_cvt_f32_f16 v73, v7;
	;;#ASMEND
	;;#ASMSTART
	v_cvt_f32_f16 v74, v74;
	;;#ASMEND
	;;#ASMSTART
	v_cvt_f32_f16 v75, v92;
	;;#ASMEND
	;;#ASMSTART
	v_cvt_f32_f16 v76, v91;
	;;#ASMEND
	;;#ASMSTART
	v_cvt_f32_f16 v77, v8;
	;;#ASMEND
	;;#ASMSTART
	v_cvt_f32_f16 v78, v78;
	;;#ASMEND
	v_fmac_f32_e32 v33, v73, v75
	;;#ASMSTART
	v_cvt_f32_f16 v79, v94;
	;;#ASMEND
	;;#ASMSTART
	v_cvt_f32_f16 v80, v93;
	;;#ASMEND
	ds_load_b128 v[5:8], v49 offset:64
	v_dual_fmac_f32 v35, v77, v79 :: v_dual_fmac_f32 v20, v64, v66
	v_fmac_f32_e32 v34, v74, v76
	v_dual_fmac_f32 v36, v78, v80 :: v_dual_fmac_f32 v15, v13, v61
	v_fmac_f32_e32 v16, v39, v62
	v_fmac_f32_e32 v19, v63, v65
	s_wait_dscnt 0x0
	v_lshrrev_b32_e32 v21, 16, v5
	v_and_b32_e32 v5, 0xffff, v5
	v_lshrrev_b32_e32 v25, 16, v6
	v_and_b32_e32 v6, 0xffff, v6
	;; [unrolled: 2-line block ×4, first 2 shown]
	;;#ASMSTART
	v_cvt_f32_f16 v14, v5;
	;;#ASMEND
	;;#ASMSTART
	v_cvt_f32_f16 v21, v21;
	;;#ASMEND
	;; [unrolled: 3-line block ×14, first 2 shown]
	v_fmac_f32_e32 v33, v81, v83
	;;#ASMSTART
	v_cvt_f32_f16 v87, v102;
	;;#ASMEND
	;;#ASMSTART
	v_cvt_f32_f16 v88, v101;
	;;#ASMEND
	ds_load_b128 v[5:8], v49 offset:80
	v_fmac_f32_e32 v35, v85, v87
	v_dual_fmac_f32 v20, v25, v40 :: v_dual_fmac_f32 v15, v14, v22
	v_fmac_f32_e32 v16, v21, v23
	v_dual_fmac_f32 v34, v82, v84 :: v_dual_fmac_f32 v19, v24, v27
	s_wait_dscnt 0x0
	v_lshrrev_b32_e32 v11, 16, v5
	v_and_b32_e32 v5, 0xffff, v5
	v_lshrrev_b32_e32 v30, 16, v6
	v_and_b32_e32 v6, 0xffff, v6
	;; [unrolled: 2-line block ×4, first 2 shown]
	;;#ASMSTART
	v_cvt_f32_f16 v9, v5;
	;;#ASMEND
	;;#ASMSTART
	v_cvt_f32_f16 v11, v11;
	;;#ASMEND
	;; [unrolled: 3-line block ×14, first 2 shown]
	v_fmac_f32_e32 v33, v89, v91
	;;#ASMSTART
	v_cvt_f32_f16 v95, v110;
	;;#ASMEND
	;;#ASMSTART
	v_cvt_f32_f16 v96, v109;
	;;#ASMEND
	ds_load_b128 v[5:8], v49 offset:96
	v_fmac_f32_e32 v35, v93, v95
	v_fmac_f32_e32 v15, v9, v26
	v_dual_fmac_f32 v19, v29, v31 :: v_dual_fmac_f32 v20, v30, v32
	s_wait_dscnt 0x0
	v_lshrrev_b32_e32 v12, 16, v5
	v_and_b32_e32 v5, 0xffff, v5
	v_lshrrev_b32_e32 v58, 16, v6
	v_and_b32_e32 v6, 0xffff, v6
	;; [unrolled: 2-line block ×4, first 2 shown]
	;;#ASMSTART
	v_cvt_f32_f16 v10, v5;
	;;#ASMEND
	;;#ASMSTART
	v_cvt_f32_f16 v12, v12;
	;;#ASMEND
	;; [unrolled: 3-line block ×14, first 2 shown]
	v_fmac_f32_e32 v33, v97, v99
	;;#ASMSTART
	v_cvt_f32_f16 v103, v118;
	;;#ASMEND
	;;#ASMSTART
	v_cvt_f32_f16 v104, v117;
	;;#ASMEND
	ds_load_b128 v[5:8], v49 offset:112
	v_fmac_f32_e32 v35, v101, v103
	v_fmac_f32_e32 v15, v10, v17
	;; [unrolled: 1-line block ×3, first 2 shown]
	s_wait_dscnt 0x0
	v_lshrrev_b32_e32 v14, 16, v5
	v_and_b32_e32 v5, 0xffff, v5
	v_lshrrev_b32_e32 v62, 16, v6
	v_and_b32_e32 v6, 0xffff, v6
	;; [unrolled: 2-line block ×4, first 2 shown]
	;;#ASMSTART
	v_cvt_f32_f16 v13, v5;
	;;#ASMEND
	;;#ASMSTART
	v_cvt_f32_f16 v14, v14;
	;;#ASMEND
	;; [unrolled: 3-line block ×16, first 2 shown]
	ds_load_b128 v[5:8], v49 offset:128
	v_fmac_f32_e32 v16, v11, v28
	v_dual_fmac_f32 v36, v86, v88 :: v_dual_fmac_f32 v15, v13, v22
	v_fmac_f32_e32 v19, v61, v63
	v_fmac_f32_e32 v33, v65, v68
	v_fmac_f32_e32 v35, v70, v72
	s_wait_dscnt 0x0
	v_lshrrev_b32_e32 v10, 16, v5
	v_and_b32_e32 v5, 0xffff, v5
	v_lshrrev_b32_e32 v25, 16, v7
	v_dual_fmac_f32 v16, v12, v18 :: v_dual_and_b32 v7, 0xffff, v7
	v_lshrrev_b32_e32 v18, 16, v6
	v_and_b32_e32 v6, 0xffff, v6
	v_lshrrev_b32_e32 v29, 16, v8
	v_and_b32_e32 v8, 0xffff, v8
	;;#ASMSTART
	v_cvt_f32_f16 v9, v5;
	;;#ASMEND
	;;#ASMSTART
	v_cvt_f32_f16 v10, v10;
	;;#ASMEND
	;; [unrolled: 3-line block ×16, first 2 shown]
	ds_load_b128 v[5:8], v49 offset:144
	v_fmac_f32_e32 v16, v14, v39
	v_dual_fmac_f32 v15, v9, v11 :: v_dual_fmac_f32 v34, v90, v92
	v_dual_fmac_f32 v19, v17, v21 :: v_dual_fmac_f32 v36, v94, v96
	s_delay_alu instid0(VALU_DEP_3) | instskip(NEXT) | instid1(VALU_DEP_2)
	v_dual_fmac_f32 v16, v10, v12 :: v_dual_fmac_f32 v33, v24, v26
	v_dual_fmac_f32 v35, v28, v30 :: v_dual_fmac_f32 v36, v102, v104
	s_delay_alu instid0(VALU_DEP_1)
	v_fmac_f32_e32 v36, v71, v73
	s_wait_dscnt 0x0
	v_dual_fmac_f32 v20, v58, v67 :: v_dual_and_b32 v9, 0xffff, v5
	v_lshrrev_b32_e32 v10, 16, v5
	v_lshrrev_b32_e32 v11, 16, v6
	v_and_b32_e32 v12, 0xffff, v6
	;;#ASMSTART
	v_cvt_f32_f16 v5, v9;
	;;#ASMEND
	v_fmac_f32_e32 v20, v62, v64
	;;#ASMSTART
	v_cvt_f32_f16 v6, v10;
	;;#ASMEND
	;;#ASMSTART
	v_cvt_f32_f16 v9, v136;
	;;#ASMEND
	;; [unrolled: 3-line block ×3, first 2 shown]
	v_dual_fmac_f32 v15, v5, v9 :: v_dual_fmac_f32 v16, v6, v10
	;;#ASMSTART
	v_cvt_f32_f16 v5, v12;
	;;#ASMEND
	;;#ASMSTART
	v_cvt_f32_f16 v6, v11;
	;;#ASMEND
	;; [unrolled: 3-line block ×3, first 2 shown]
	v_dual_fmac_f32 v20, v18, v23 :: v_dual_fmac_f32 v19, v5, v9
	v_add_f32_e32 v5, v15, v16
	v_dual_fmac_f32 v34, v98, v100 :: v_dual_and_b32 v9, 0xffff, v7
	v_lshrrev_b32_e32 v10, 16, v7
	;;#ASMSTART
	v_cvt_f32_f16 v7, v137;
	;;#ASMEND
	v_fmac_f32_e32 v20, v6, v7
	s_delay_alu instid0(VALU_DEP_3) | instskip(SKIP_3) | instid1(VALU_DEP_1)
	v_dual_add_f32 v5, v5, v19 :: v_dual_fmac_f32 v34, v66, v69
	;;#ASMSTART
	v_cvt_f32_f16 v6, v9;
	;;#ASMEND
	;;#ASMSTART
	v_cvt_f32_f16 v7, v10;
	;;#ASMEND
	;; [unrolled: 3-line block ×3, first 2 shown]
	v_dual_fmac_f32 v33, v6, v4 :: v_dual_fmac_f32 v34, v25, v27
	v_add_f32_e32 v4, v20, v5
	;;#ASMSTART
	v_cvt_f32_f16 v3, v3;
	;;#ASMEND
	v_and_b32_e32 v5, 0xffff, v8
	v_lshrrev_b32_e32 v6, 16, v8
	s_delay_alu instid0(VALU_DEP_3)
	v_dual_fmac_f32 v34, v7, v3 :: v_dual_add_f32 v3, v4, v33
	;;#ASMSTART
	v_cvt_f32_f16 v4, v5;
	;;#ASMEND
	;;#ASMSTART
	v_cvt_f32_f16 v5, v6;
	;;#ASMEND
	;; [unrolled: 3-line block ×3, first 2 shown]
	v_dual_fmac_f32 v36, v29, v31 :: v_dual_fmac_f32 v35, v4, v2
	v_add_f32_e32 v2, v34, v3
	;;#ASMSTART
	v_cvt_f32_f16 v1, v1;
	;;#ASMEND
	s_delay_alu instid0(VALU_DEP_2) | instskip(NEXT) | instid1(VALU_DEP_2)
	v_dual_mul_f32 v3, s15, v60 :: v_dual_fmac_f32 v36, v5, v1
	v_add_f32_e32 v1, v2, v35
	s_delay_alu instid0(VALU_DEP_2) | instskip(NEXT) | instid1(VALU_DEP_2)
	v_dual_cndmask_b32 v2, 0, v3 :: v_dual_max_num_f32 v3, v48, v48
	v_add_f32_e32 v1, v36, v1
	s_delay_alu instid0(VALU_DEP_1) | instskip(NEXT) | instid1(VALU_DEP_1)
	v_dual_fmac_f32 v2, s9, v1 :: v_dual_add_nc_u32 v1, v42, v50
	v_max_num_f32_e32 v3, v3, v2
	s_delay_alu instid0(VALU_DEP_2) | instskip(SKIP_1) | instid1(VALU_DEP_1)
	v_cmp_gt_i32_e64 s3, s31, v1
	s_wait_alu 0xf1ff
	v_cndmask_b32_e64 v1, 0, v2, s3
	s_delay_alu instid0(VALU_DEP_3)
	v_cndmask_b32_e64 v48, v48, v3, s3
	ds_store_b32 v53, v1
	s_branch .LBB110_11
.LBB110_16:
	s_or_b32 exec_lo, exec_lo, s27
.LBB110_17:
	s_delay_alu instid0(SALU_CYCLE_1)
	s_or_b32 exec_lo, exec_lo, s8
	v_mbcnt_lo_u32_b32 v1, -1, 0
	s_clause 0x2
	s_load_b128 s[8:11], s[0:1], 0x0
	s_load_b64 s[14:15], s[0:1], 0x10
	s_load_b64 s[28:29], s[0:1], 0x28
	v_max_num_f32_e32 v5, v48, v48
	v_xor_b32_e32 v2, 16, v1
	v_xor_b32_e32 v4, 8, v1
	s_delay_alu instid0(VALU_DEP_2) | instskip(SKIP_2) | instid1(VALU_DEP_3)
	v_cmp_gt_i32_e32 vcc_lo, 32, v2
	s_wait_alu 0xfffd
	v_cndmask_b32_e32 v2, v1, v2, vcc_lo
	v_cmp_gt_i32_e32 vcc_lo, 32, v4
	s_delay_alu instid0(VALU_DEP_2)
	v_lshlrev_b32_e32 v2, 2, v2
	s_wait_alu 0xfffd
	v_cndmask_b32_e32 v4, v1, v4, vcc_lo
	ds_bpermute_b32 v3, v2, v48
	s_wait_dscnt 0x0
	v_dual_max_num_f32 v6, v3, v3 :: v_dual_lshlrev_b32 v3, 2, v4
	s_delay_alu instid0(VALU_DEP_1)
	v_max_num_f32_e32 v4, v5, v6
	v_xor_b32_e32 v6, 4, v1
	ds_bpermute_b32 v5, v3, v4
	v_cmp_gt_i32_e32 vcc_lo, 32, v6
	s_wait_alu 0xfffd
	v_cndmask_b32_e32 v6, v1, v6, vcc_lo
	s_wait_dscnt 0x0
	v_max_num_f32_e32 v7, v5, v5
	s_delay_alu instid0(VALU_DEP_1)
	v_dual_max_num_f32 v4, v4, v7 :: v_dual_lshlrev_b32 v5, 2, v6
	v_xor_b32_e32 v7, 2, v1
	ds_bpermute_b32 v6, v5, v4
	v_cmp_gt_i32_e32 vcc_lo, 32, v7
	s_wait_dscnt 0x0
	s_wait_alu 0xfffd
	v_dual_cndmask_b32 v7, v1, v7 :: v_dual_max_num_f32 v6, v6, v6
	s_delay_alu instid0(VALU_DEP_1) | instskip(NEXT) | instid1(VALU_DEP_2)
	v_max_num_f32_e32 v4, v4, v6
	v_lshlrev_b32_e32 v10, 2, v7
	v_xor_b32_e32 v7, 1, v1
	s_delay_alu instid0(VALU_DEP_1)
	v_cmp_gt_i32_e32 vcc_lo, 32, v7
	s_wait_alu 0xfffd
	v_cndmask_b32_e32 v7, v1, v7, vcc_lo
	ds_bpermute_b32 v6, v10, v4
	v_cmp_eq_u32_e32 vcc_lo, 0, v42
	s_wait_dscnt 0x0
	v_dual_max_num_f32 v6, v6, v6 :: v_dual_lshlrev_b32 v9, 2, v7
	s_delay_alu instid0(VALU_DEP_1)
	v_dual_max_num_f32 v1, v4, v6 :: v_dual_lshlrev_b32 v6, 2, v41
	ds_bpermute_b32 v4, v9, v1
	s_and_saveexec_b32 s0, vcc_lo
	s_cbranch_execz .LBB110_19
; %bb.18:
	s_wait_dscnt 0x0
	v_dual_max_num_f32 v4, v4, v4 :: v_dual_max_num_f32 v1, v1, v1
	s_delay_alu instid0(VALU_DEP_1)
	v_max_num_f32_e32 v1, v1, v4
	ds_store_b32 v6, v1 offset:160
.LBB110_19:
	s_or_b32 exec_lo, exec_lo, s0
	v_cmp_gt_u32_e64 s0, 4, v42
	v_mov_b32_e32 v1, 0xff7fffff
	s_wait_loadcnt_dscnt 0x0
	s_barrier_signal -1
	s_barrier_wait -1
	global_inv scope:SCOPE_SE
	s_and_saveexec_b32 s1, s0
; %bb.20:
	ds_load_b32 v1, v47 offset:160
; %bb.21:
	s_or_b32 exec_lo, exec_lo, s1
	s_wait_dscnt 0x0
	ds_bpermute_b32 v4, v10, v1
	v_max_num_f32_e32 v1, v1, v1
	s_sub_co_i32 s1, s33, s37
	v_mov_b32_e32 v7, 0
	s_lshl_b32 s1, s1, 5
	s_delay_alu instid0(SALU_CYCLE_1) | instskip(NEXT) | instid1(SALU_CYCLE_1)
	s_add_co_i32 s1, s1, s34
	s_min_i32 s1, s1, s31
	s_delay_alu instid0(SALU_CYCLE_1) | instskip(SKIP_4) | instid1(VALU_DEP_1)
	s_sub_co_i32 s4, s1, s34
	s_wait_alu 0xfffe
	v_cmp_gt_i32_e64 s1, s4, v0
	s_wait_dscnt 0x0
	v_max_num_f32_e32 v4, v4, v4
	v_max_num_f32_e32 v1, v1, v4
	ds_bpermute_b32 v4, v9, v1
	s_wait_dscnt 0x0
	v_max_num_f32_e32 v4, v4, v4
	s_delay_alu instid0(VALU_DEP_1)
	v_max_num_f32_e32 v1, v1, v4
	v_lshl_add_u32 v4, v0, 2, 0xc0
	ds_bpermute_b32 v1, v7, v1
	s_and_saveexec_b32 s27, s1
	s_cbranch_execz .LBB110_25
; %bb.22:
	v_lshl_add_u32 v8, v0, 2, 0xc0
	v_mov_b32_e32 v7, 0
	v_mov_b32_e32 v11, v0
	s_mov_b32 s34, 0
.LBB110_23:                             ; =>This Inner Loop Header: Depth=1
	ds_load_b32 v12, v8
	v_add_nc_u32_e32 v11, 0x80, v11
	s_delay_alu instid0(VALU_DEP_1) | instskip(SKIP_4) | instid1(VALU_DEP_1)
	v_cmp_le_i32_e64 s3, s4, v11
	s_wait_alu 0xfffe
	s_or_b32 s34, s3, s34
	s_wait_dscnt 0x0
	v_sub_f32_e32 v12, v12, v1
	v_mul_f32_e32 v12, 0x3fb8aa3b, v12
	s_delay_alu instid0(VALU_DEP_1)
	v_exp_f32_e32 v12, v12
	ds_store_b32 v8, v12
	v_add_f32_e32 v7, v7, v12
	v_add_nc_u32_e32 v8, 0x200, v8
	s_wait_alu 0xfffe
	s_and_not1_b32 exec_lo, exec_lo, s34
	s_cbranch_execnz .LBB110_23
; %bb.24:
	s_or_b32 exec_lo, exec_lo, s34
.LBB110_25:
	s_wait_alu 0xfffe
	s_or_b32 exec_lo, exec_lo, s27
	ds_bpermute_b32 v2, v2, v7
	s_wait_dscnt 0x0
	v_add_f32_e32 v2, v7, v2
	ds_bpermute_b32 v3, v3, v2
	s_wait_dscnt 0x0
	v_add_f32_e32 v2, v2, v3
	ds_bpermute_b32 v3, v5, v2
	s_wait_dscnt 0x0
	v_add_f32_e32 v2, v2, v3
	ds_bpermute_b32 v3, v10, v2
	s_wait_dscnt 0x0
	v_add_f32_e32 v2, v2, v3
	ds_bpermute_b32 v3, v9, v2
	s_wait_dscnt 0x0
	v_add_f32_e32 v2, v2, v3
	s_and_saveexec_b32 s3, vcc_lo
; %bb.26:
	ds_store_b32 v6, v2 offset:176
; %bb.27:
	s_wait_alu 0xfffe
	s_or_b32 exec_lo, exec_lo, s3
	s_wait_loadcnt_dscnt 0x0
	s_barrier_signal -1
	s_barrier_wait -1
	global_inv scope:SCOPE_SE
	s_and_saveexec_b32 s3, s0
; %bb.28:
	ds_load_b32 v2, v47 offset:176
; %bb.29:
	s_wait_alu 0xfffe
	s_or_b32 exec_lo, exec_lo, s3
	s_wait_dscnt 0x0
	ds_bpermute_b32 v3, v10, v2
	s_wait_dscnt 0x0
	v_add_f32_e32 v2, v2, v3
	ds_bpermute_b32 v3, v9, v2
	s_wait_dscnt 0x0
	v_dual_add_f32 v2, v2, v3 :: v_dual_mov_b32 v3, 0
	ds_bpermute_b32 v2, v3, v2
	s_and_saveexec_b32 s0, s1
	s_cbranch_execz .LBB110_32
; %bb.30:
	s_wait_dscnt 0x0
	v_add_f32_e32 v3, 0x358637bd, v2
	s_mov_b32 s1, 0
	s_delay_alu instid0(VALU_DEP_1) | instskip(SKIP_1) | instid1(VALU_DEP_2)
	v_div_scale_f32 v5, null, v3, v3, 1.0
	v_div_scale_f32 v8, vcc_lo, 1.0, v3, 1.0
	v_rcp_f32_e32 v6, v5
	s_delay_alu instid0(TRANS32_DEP_1) | instskip(NEXT) | instid1(VALU_DEP_1)
	v_fma_f32 v7, -v5, v6, 1.0
	v_fmac_f32_e32 v6, v7, v6
	s_delay_alu instid0(VALU_DEP_1) | instskip(NEXT) | instid1(VALU_DEP_1)
	v_mul_f32_e32 v7, v8, v6
	v_fma_f32 v11, -v5, v7, v8
	s_delay_alu instid0(VALU_DEP_1) | instskip(NEXT) | instid1(VALU_DEP_1)
	v_fmac_f32_e32 v7, v11, v6
	v_fma_f32 v5, -v5, v7, v8
	s_wait_alu 0xfffd
	s_delay_alu instid0(VALU_DEP_1) | instskip(NEXT) | instid1(VALU_DEP_1)
	v_div_fmas_f32 v5, v5, v6, v7
	v_div_fixup_f32 v3, v5, v3, 1.0
	v_mov_b32_e32 v5, v0
.LBB110_31:                             ; =>This Inner Loop Header: Depth=1
	ds_load_b32 v6, v4
	s_wait_dscnt 0x0
	v_dual_mul_f32 v6, v3, v6 :: v_dual_add_nc_u32 v5, 0x80, v5
	s_delay_alu instid0(VALU_DEP_1) | instskip(SKIP_3) | instid1(SALU_CYCLE_1)
	v_cmp_le_i32_e32 vcc_lo, s4, v5
	ds_store_b32 v4, v6
	v_add_nc_u32_e32 v4, 0x200, v4
	s_or_b32 s1, vcc_lo, s1
	s_and_not1_b32 exec_lo, exec_lo, s1
	s_cbranch_execnz .LBB110_31
.LBB110_32:
	s_or_b32 exec_lo, exec_lo, s0
	s_mul_i32 s0, s7, s22
	s_wait_loadcnt_dscnt 0x0
	s_mul_i32 s22, s0, s23
	s_mov_b32 s0, exec_lo
	s_barrier_signal -1
	s_barrier_wait -1
	global_inv scope:SCOPE_SE
	v_cmpx_eq_u32_e32 0, v0
	s_cbranch_execz .LBB110_34
; %bb.33:
	s_ashr_i32 s23, s22, 31
	s_mul_i32 s38, s7, ttmp9
	s_lshl_b32 s1, s30, 2
	s_lshl_b64 s[40:41], s[22:23], 2
	s_ashr_i32 s39, s38, 31
	v_mov_b32_e32 v3, s1
	s_wait_kmcnt 0x0
	s_wait_alu 0xfffe
	s_add_nc_u64 s[10:11], s[10:11], s[40:41]
	s_lshl_b64 s[38:39], s[38:39], 2
	s_add_nc_u64 s[8:9], s[8:9], s[40:41]
	s_wait_alu 0xfffe
	s_add_nc_u64 s[10:11], s[10:11], s[38:39]
	s_add_nc_u64 s[8:9], s[8:9], s[38:39]
	s_clause 0x1
	global_store_b32 v3, v1, s[10:11]
	global_store_b32 v3, v2, s[8:9]
.LBB110_34:
	s_or_b32 exec_lo, exec_lo, s0
	v_dual_mov_b32 v20, 0 :: v_dual_and_b32 v11, 3, v0
	v_dual_mov_b32 v21, 0 :: v_dual_mov_b32 v18, 0
	v_dual_mov_b32 v19, 0 :: v_dual_mov_b32 v16, 0
	;; [unrolled: 1-line block ×4, first 2 shown]
	v_mov_b32_e32 v13, 0
	s_and_saveexec_b32 s1, s2
	s_cbranch_execz .LBB110_60
; %bb.35:
	s_abs_i32 s2, s6
	v_dual_mov_b32 v15, 0 :: v_dual_lshlrev_b32 v4, 5, v11
	s_wait_alu 0xfffe
	s_cvt_f32_u32 s0, s2
	s_ashr_i32 s27, s26, 31
	s_wait_kmcnt 0x0
	s_lshl_b64 s[8:9], s[24:25], 2
	v_dual_mov_b32 v12, 0 :: v_dual_and_b32 v3, 0x1f0, v45
	s_wait_alu 0xfffe
	v_rcp_iflag_f32_e32 v1, s0
	s_lshl_b64 s[10:11], s[26:27], 1
	s_add_nc_u64 s[8:9], s[20:21], s[8:9]
	v_dual_mov_b32 v13, 0 :: v_dual_lshlrev_b32 v2, 3, v0
	s_wait_alu 0xfffe
	s_add_nc_u64 s[10:11], s[28:29], s[10:11]
	v_add_co_u32 v5, s6, s8, v46
	s_sub_co_i32 s3, s36, s5
	s_sub_co_i32 s5, 0, s2
	s_delay_alu instid0(TRANS32_DEP_1)
	v_readfirstlane_b32 s0, v1
	v_lshl_or_b32 v1, v41, 7, v4
	v_add_co_ci_u32_e64 v6, null, s9, 0, s6
	s_wait_alu 0xfffe
	v_add_co_u32 v23, s6, s10, v3
	s_mul_f32 s0, s0, 0x4f7ffffe
	v_dual_mov_b32 v17, 0 :: v_dual_and_b32 v22, 24, v2
	v_add_co_ci_u32_e64 v24, null, s11, 0, s6
	s_wait_alu 0xfffe
	s_cvt_u32_f32 s0, s0
	v_dual_mov_b32 v14, 0 :: v_dual_add_nc_u32 v25, 0xc0, v1
	v_dual_mov_b32 v16, 0 :: v_dual_mov_b32 v19, 0
	s_wait_alu 0xfffe
	s_mul_i32 s5, s5, s0
	v_dual_mov_b32 v18, 0 :: v_dual_mov_b32 v21, 0
	v_mov_b32_e32 v20, 0
	s_wait_alu 0xfffe
	s_mul_hi_u32 s6, s0, s5
	s_mov_b32 s4, s13
	s_add_co_i32 s35, s35, -1
	s_mov_b32 s5, 0
	s_wait_alu 0xfffe
	s_add_co_i32 s6, s0, s6
	s_branch .LBB110_38
.LBB110_36:                             ;   in Loop: Header=BB110_38 Depth=1
	s_wait_alu 0xfffe
	s_or_b32 exec_lo, exec_lo, s0
	v_dual_add_f32 v26, v59, v60 :: v_dual_add_f32 v27, v56, v57
	v_add_f32_e32 v28, v54, v55
	s_delay_alu instid0(VALU_DEP_2) | instskip(NEXT) | instid1(VALU_DEP_2)
	v_dual_add_f32 v13, v13, v26 :: v_dual_lshlrev_b32 v8, 16, v8
	v_dual_add_f32 v14, v14, v27 :: v_dual_add_f32 v15, v15, v28
	v_dual_add_f32 v26, v52, v53 :: v_dual_lshlrev_b32 v27, 16, v58
	v_lshlrev_b32_e32 v7, 16, v7
	v_add_f32_e32 v28, v50, v51
	s_delay_alu instid0(VALU_DEP_3) | instskip(NEXT) | instid1(VALU_DEP_4)
	v_add_f32_e32 v16, v16, v26
	v_and_or_b32 v1, 0xffff, v1, v27
	s_delay_alu instid0(VALU_DEP_4)
	v_and_or_b32 v3, 0xffff, v3, v7
	v_add_f32_e32 v7, v48, v49
	v_and_or_b32 v2, 0xffff, v2, v8
	;;#ASMSTART
	v_pk_mul_f16 v1, v35, v1;

	;;#ASMEND
	;;#ASMSTART
	v_pk_mul_f16 v2, v34, v2;

	;;#ASMEND
	;; [unrolled: 4-line block ×4, first 2 shown]
	;;#ASMSTART
	v_pk_add_f16 v1, v1, v2;

	;;#ASMEND
	;;#ASMSTART
	v_pk_add_f16 v1, v1, v3;

	;;#ASMEND
	;; [unrolled: 4-line block ×3, first 2 shown]
	v_and_b32_e32 v4, 0xffff, v1
	v_add_f32_e32 v3, v36, v37
	v_add_f32_e32 v17, v17, v28
	v_lshrrev_b32_e32 v8, 16, v1
	;;#ASMSTART
	v_cvt_f32_f16 v4, v4;
	;;#ASMEND
	v_dual_add_f32 v1, v46, v47 :: v_dual_add_f32 v2, v40, v45
	;;#ASMSTART
	v_cvt_f32_f16 v8, v8;
	;;#ASMEND
	s_delay_alu instid0(VALU_DEP_2) | instskip(NEXT) | instid1(VALU_DEP_2)
	v_add_f32_e32 v4, v4, v8
	v_dual_add_f32 v18, v18, v7 :: v_dual_add_f32 v19, v19, v1
	s_delay_alu instid0(VALU_DEP_3) | instskip(NEXT) | instid1(VALU_DEP_3)
	v_dual_add_f32 v21, v21, v2 :: v_dual_add_f32 v20, v20, v3
	v_add_f32_e32 v12, v12, v4
.LBB110_37:                             ;   in Loop: Header=BB110_38 Depth=1
	s_wait_alu 0xfffe
	s_or_b32 exec_lo, exec_lo, s8
	v_add_nc_u32_e32 v44, 4, v44
	v_add_co_u32 v5, s0, v5, 16
	s_wait_alu 0xf1ff
	v_add_co_ci_u32_e64 v6, null, 0, v6, s0
	s_delay_alu instid0(VALU_DEP_3)
	v_cmp_le_i32_e32 vcc_lo, s33, v44
	v_add_nc_u32_e32 v43, 0x80, v43
	v_add_nc_u32_e32 v25, 0x200, v25
	s_or_b32 s5, vcc_lo, s5
	s_wait_alu 0xfffe
	s_and_not1_b32 exec_lo, exec_lo, s5
	s_cbranch_execz .LBB110_59
.LBB110_38:                             ; =>This Inner Loop Header: Depth=1
	v_sub_nc_u32_e32 v1, 0, v43
	s_delay_alu instid0(VALU_DEP_1) | instskip(NEXT) | instid1(VALU_DEP_1)
	v_max_i32_e32 v1, v43, v1
	v_mul_hi_u32 v2, v1, s18
	s_delay_alu instid0(VALU_DEP_1) | instskip(NEXT) | instid1(VALU_DEP_1)
	v_mul_lo_u32 v3, v2, s12
	v_sub_nc_u32_e32 v1, v1, v3
	v_add_nc_u32_e32 v3, 1, v2
	s_delay_alu instid0(VALU_DEP_2) | instskip(SKIP_2) | instid1(VALU_DEP_2)
	v_subrev_nc_u32_e32 v4, s12, v1
	v_cmp_le_u32_e32 vcc_lo, s12, v1
	s_wait_alu 0xfffd
	v_dual_cndmask_b32 v2, v2, v3 :: v_dual_cndmask_b32 v1, v1, v4
	v_ashrrev_i32_e32 v3, 31, v43
	s_delay_alu instid0(VALU_DEP_2) | instskip(NEXT) | instid1(VALU_DEP_3)
	v_add_nc_u32_e32 v4, 1, v2
	v_cmp_le_u32_e32 vcc_lo, s12, v1
	s_delay_alu instid0(VALU_DEP_3) | instskip(SKIP_1) | instid1(VALU_DEP_3)
	v_xor_b32_e32 v3, s19, v3
	s_wait_alu 0xfffd
	v_cndmask_b32_e32 v1, v2, v4, vcc_lo
	s_delay_alu instid0(VALU_DEP_1) | instskip(NEXT) | instid1(VALU_DEP_1)
	v_xor_b32_e32 v1, v1, v3
	v_sub_nc_u32_e32 v1, v1, v3
	s_delay_alu instid0(VALU_DEP_1) | instskip(SKIP_1) | instid1(VALU_DEP_2)
	v_add_nc_u32_e32 v2, s17, v1
	v_cmp_lt_i32_e64 s0, s3, v1
	v_sub_nc_u32_e32 v3, 0, v2
	s_delay_alu instid0(VALU_DEP_1) | instskip(SKIP_1) | instid1(VALU_DEP_1)
	v_max_i32_e32 v3, v2, v3
	s_wait_alu 0xfffe
	v_mul_hi_u32 v4, v3, s6
	s_delay_alu instid0(VALU_DEP_1) | instskip(NEXT) | instid1(VALU_DEP_1)
	v_mul_lo_u32 v4, v4, s2
	v_sub_nc_u32_e32 v3, v3, v4
	s_delay_alu instid0(VALU_DEP_1) | instskip(SKIP_2) | instid1(VALU_DEP_2)
	v_subrev_nc_u32_e32 v4, s2, v3
	v_cmp_le_u32_e32 vcc_lo, s2, v3
	s_wait_alu 0xfffd
	v_cndmask_b32_e32 v3, v3, v4, vcc_lo
	v_ashrrev_i32_e32 v2, 31, v2
	s_delay_alu instid0(VALU_DEP_2) | instskip(SKIP_2) | instid1(VALU_DEP_2)
	v_subrev_nc_u32_e32 v4, s2, v3
	v_cmp_le_u32_e32 vcc_lo, s2, v3
	s_wait_alu 0xfffd
	v_cndmask_b32_e32 v3, v3, v4, vcc_lo
	s_delay_alu instid0(VALU_DEP_1) | instskip(NEXT) | instid1(VALU_DEP_1)
	v_xor_b32_e32 v3, v3, v2
	v_sub_nc_u32_e32 v2, v3, v2
	s_delay_alu instid0(VALU_DEP_1)
	v_cmp_eq_u32_e32 vcc_lo, 0, v2
	s_or_b32 s0, vcc_lo, s0
	s_wait_alu 0xfffe
	s_and_saveexec_b32 s8, s0
	s_cbranch_execz .LBB110_37
; %bb.39:                               ;   in Loop: Header=BB110_38 Depth=1
	global_load_b32 v7, v[5:6], off
	ds_load_2addr_b64 v[1:4], v25 offset1:1
	ds_load_2addr_b64 v[26:29], v25 offset0:2 offset1:3
	v_add_nc_u32_e32 v31, v22, v43
	s_wait_dscnt 0x1
	;;#ASMSTART
	v_cvt_f16_f32 v35, v1;

	;;#ASMEND
	;;#ASMSTART
	v_cvt_f16_f32 v34, v2;

	;;#ASMEND
	;; [unrolled: 4-line block ×4, first 2 shown]
	s_wait_dscnt 0x0
	;;#ASMSTART
	v_cvt_f16_f32 v45, v26;

	;;#ASMEND
	;;#ASMSTART
	v_cvt_f16_f32 v37, v27;

	;;#ASMEND
	;; [unrolled: 4-line block ×4, first 2 shown]
	v_add_nc_u32_e32 v33, 1, v31
	v_add_nc_u32_e32 v32, 2, v31
	;; [unrolled: 1-line block ×7, first 2 shown]
	s_wait_loadcnt 0x0
	v_mad_co_i64_i32 v[7:8], null, v7, s4, 0
	s_delay_alu instid0(VALU_DEP_1) | instskip(NEXT) | instid1(VALU_DEP_1)
	v_lshlrev_b64_e32 v[7:8], 1, v[7:8]
	v_add_co_u32 v7, vcc_lo, v23, v7
	s_wait_alu 0xfffd
	s_delay_alu instid0(VALU_DEP_2)
	v_add_co_ci_u32_e64 v8, null, v24, v8, vcc_lo
	v_cmp_eq_u32_e32 vcc_lo, s35, v44
	global_load_b128 v[1:4], v[7:8], off
	s_wait_loadcnt 0x0
	v_lshrrev_b32_e32 v48, 16, v1
	v_lshrrev_b32_e32 v47, 16, v2
	;; [unrolled: 1-line block ×3, first 2 shown]
	s_and_saveexec_b32 s9, vcc_lo
	s_cbranch_execz .LBB110_41
; %bb.40:                               ;   in Loop: Header=BB110_38 Depth=1
	v_cmp_gt_i32_e64 s0, s31, v31
	v_and_b32_e32 v49, 0xffff, v4
	v_and_b32_e32 v4, 0xffff0000, v4
	s_wait_alu 0xf1ff
	s_delay_alu instid0(VALU_DEP_3) | instskip(SKIP_2) | instid1(VALU_DEP_1)
	v_cndmask_b32_e64 v1, 0, v1, s0
	v_cmp_gt_i32_e64 s0, s31, v33
	s_wait_alu 0xf1ff
	v_cndmask_b32_e64 v48, 0, v48, s0
	v_cmp_gt_i32_e64 s0, s31, v32
	s_wait_alu 0xf1ff
	s_delay_alu instid0(VALU_DEP_1) | instskip(SKIP_2) | instid1(VALU_DEP_1)
	v_cndmask_b32_e64 v2, 0, v2, s0
	v_cmp_gt_i32_e64 s0, s31, v28
	s_wait_alu 0xf1ff
	v_cndmask_b32_e64 v47, 0, v47, s0
	v_cmp_gt_i32_e64 s0, s31, v29
	s_wait_alu 0xf1ff
	s_delay_alu instid0(VALU_DEP_1) | instskip(SKIP_2) | instid1(VALU_DEP_1)
	v_cndmask_b32_e64 v49, 0, v49, s0
	v_cmp_gt_i32_e64 s0, s31, v30
	s_wait_alu 0xf1ff
	v_cndmask_b32_e64 v4, 0, v4, s0
	v_cmp_gt_i32_e64 s0, s31, v27
	s_delay_alu instid0(VALU_DEP_2) | instskip(SKIP_1) | instid1(VALU_DEP_2)
	v_or_b32_e32 v4, v49, v4
	s_wait_alu 0xf1ff
	v_cndmask_b32_e64 v3, 0, v3, s0
	v_cmp_gt_i32_e64 s0, s31, v26
	s_wait_alu 0xf1ff
	s_delay_alu instid0(VALU_DEP_1)
	v_cndmask_b32_e64 v46, 0, v46, s0
.LBB110_41:                             ;   in Loop: Header=BB110_38 Depth=1
	s_wait_alu 0xfffe
	s_or_b32 exec_lo, exec_lo, s9
	v_and_b32_e32 v35, 0xffff, v35
	v_and_b32_e32 v40, 0xffff, v40
	v_lshlrev_b32_e32 v48, 16, v48
	v_lshlrev_b32_e32 v46, 16, v46
	v_and_b32_e32 v45, 0xffff, v45
	v_lshl_or_b32 v35, v34, 16, v35
	v_lshl_or_b32 v34, v38, 16, v40
	v_lshlrev_b32_e32 v40, 16, v47
	v_and_b32_e32 v39, 0xffff, v39
	v_and_or_b32 v1, 0xffff, v1, v48
	v_and_or_b32 v3, 0xffff, v3, v46
	;;#ASMSTART
	v_pk_mul_f16 v1, v35, v1;

	;;#ASMEND
	v_and_or_b32 v2, 0xffff, v2, v40
	v_lshl_or_b32 v38, v37, 16, v45
	v_lshl_or_b32 v39, v36, 16, v39
	;;#ASMSTART
	v_pk_mul_f16 v2, v34, v2;

	;;#ASMEND
	;;#ASMSTART
	v_pk_mul_f16 v3, v38, v3;

	;;#ASMEND
	;; [unrolled: 4-line block ×3, first 2 shown]
	;;#ASMSTART
	v_pk_add_f16 v1, v1, v2;

	;;#ASMEND
	;;#ASMSTART
	v_pk_add_f16 v1, v1, v3;

	;;#ASMEND
	;; [unrolled: 4-line block ×3, first 2 shown]
	v_and_b32_e32 v2, 0xffff, v1
	v_lshrrev_b32_e32 v1, 16, v1
	;;#ASMSTART
	v_cvt_f32_f16 v36, v2;
	;;#ASMEND
	;;#ASMSTART
	v_cvt_f32_f16 v37, v1;
	;;#ASMEND
	global_load_b128 v[1:4], v[7:8], off offset:512
	s_wait_loadcnt 0x0
	v_lshrrev_b32_e32 v46, 16, v1
	v_lshrrev_b32_e32 v45, 16, v2
	;; [unrolled: 1-line block ×3, first 2 shown]
	s_and_saveexec_b32 s9, vcc_lo
	s_cbranch_execz .LBB110_43
; %bb.42:                               ;   in Loop: Header=BB110_38 Depth=1
	v_cmp_gt_i32_e64 s0, s31, v31
	v_and_b32_e32 v47, 0xffff, v4
	v_and_b32_e32 v4, 0xffff0000, v4
	s_wait_alu 0xf1ff
	s_delay_alu instid0(VALU_DEP_3) | instskip(SKIP_2) | instid1(VALU_DEP_1)
	v_cndmask_b32_e64 v1, 0, v1, s0
	v_cmp_gt_i32_e64 s0, s31, v33
	s_wait_alu 0xf1ff
	v_cndmask_b32_e64 v46, 0, v46, s0
	v_cmp_gt_i32_e64 s0, s31, v32
	s_wait_alu 0xf1ff
	s_delay_alu instid0(VALU_DEP_1) | instskip(SKIP_2) | instid1(VALU_DEP_1)
	v_cndmask_b32_e64 v2, 0, v2, s0
	v_cmp_gt_i32_e64 s0, s31, v28
	s_wait_alu 0xf1ff
	v_cndmask_b32_e64 v45, 0, v45, s0
	v_cmp_gt_i32_e64 s0, s31, v29
	s_wait_alu 0xf1ff
	s_delay_alu instid0(VALU_DEP_1) | instskip(SKIP_2) | instid1(VALU_DEP_1)
	v_cndmask_b32_e64 v47, 0, v47, s0
	v_cmp_gt_i32_e64 s0, s31, v30
	s_wait_alu 0xf1ff
	v_cndmask_b32_e64 v4, 0, v4, s0
	v_cmp_gt_i32_e64 s0, s31, v27
	s_delay_alu instid0(VALU_DEP_2) | instskip(SKIP_1) | instid1(VALU_DEP_2)
	v_or_b32_e32 v4, v47, v4
	s_wait_alu 0xf1ff
	v_cndmask_b32_e64 v3, 0, v3, s0
	v_cmp_gt_i32_e64 s0, s31, v26
	s_wait_alu 0xf1ff
	s_delay_alu instid0(VALU_DEP_1)
	v_cndmask_b32_e64 v40, 0, v40, s0
.LBB110_43:                             ;   in Loop: Header=BB110_38 Depth=1
	s_wait_alu 0xfffe
	s_or_b32 exec_lo, exec_lo, s9
	v_lshlrev_b32_e32 v46, 16, v46
	v_lshlrev_b32_e32 v45, 16, v45
	;; [unrolled: 1-line block ×3, first 2 shown]
	s_delay_alu instid0(VALU_DEP_3) | instskip(NEXT) | instid1(VALU_DEP_3)
	v_and_or_b32 v1, 0xffff, v1, v46
	v_and_or_b32 v2, 0xffff, v2, v45
	s_delay_alu instid0(VALU_DEP_3)
	v_and_or_b32 v3, 0xffff, v3, v40
	;;#ASMSTART
	v_pk_mul_f16 v1, v35, v1;

	;;#ASMEND
	;;#ASMSTART
	v_pk_mul_f16 v2, v34, v2;

	;;#ASMEND
	;; [unrolled: 4-line block ×4, first 2 shown]
	;;#ASMSTART
	v_pk_add_f16 v1, v1, v2;

	;;#ASMEND
	;;#ASMSTART
	v_pk_add_f16 v1, v1, v3;

	;;#ASMEND
	;; [unrolled: 4-line block ×3, first 2 shown]
	v_and_b32_e32 v2, 0xffff, v1
	v_lshrrev_b32_e32 v1, 16, v1
	;;#ASMSTART
	v_cvt_f32_f16 v40, v2;
	;;#ASMEND
	;;#ASMSTART
	v_cvt_f32_f16 v45, v1;
	;;#ASMEND
	global_load_b128 v[1:4], v[7:8], off offset:1024
	s_wait_loadcnt 0x0
	v_lshrrev_b32_e32 v48, 16, v1
	v_lshrrev_b32_e32 v47, 16, v2
	;; [unrolled: 1-line block ×3, first 2 shown]
	s_and_saveexec_b32 s9, vcc_lo
	s_cbranch_execz .LBB110_45
; %bb.44:                               ;   in Loop: Header=BB110_38 Depth=1
	v_cmp_gt_i32_e64 s0, s31, v31
	v_and_b32_e32 v49, 0xffff, v4
	v_and_b32_e32 v4, 0xffff0000, v4
	s_wait_alu 0xf1ff
	s_delay_alu instid0(VALU_DEP_3) | instskip(SKIP_2) | instid1(VALU_DEP_1)
	v_cndmask_b32_e64 v1, 0, v1, s0
	v_cmp_gt_i32_e64 s0, s31, v33
	s_wait_alu 0xf1ff
	v_cndmask_b32_e64 v48, 0, v48, s0
	v_cmp_gt_i32_e64 s0, s31, v32
	s_wait_alu 0xf1ff
	s_delay_alu instid0(VALU_DEP_1) | instskip(SKIP_2) | instid1(VALU_DEP_1)
	v_cndmask_b32_e64 v2, 0, v2, s0
	v_cmp_gt_i32_e64 s0, s31, v28
	s_wait_alu 0xf1ff
	v_cndmask_b32_e64 v47, 0, v47, s0
	v_cmp_gt_i32_e64 s0, s31, v29
	s_wait_alu 0xf1ff
	s_delay_alu instid0(VALU_DEP_1) | instskip(SKIP_2) | instid1(VALU_DEP_1)
	v_cndmask_b32_e64 v49, 0, v49, s0
	v_cmp_gt_i32_e64 s0, s31, v30
	s_wait_alu 0xf1ff
	v_cndmask_b32_e64 v4, 0, v4, s0
	v_cmp_gt_i32_e64 s0, s31, v27
	s_delay_alu instid0(VALU_DEP_2) | instskip(SKIP_1) | instid1(VALU_DEP_2)
	v_or_b32_e32 v4, v49, v4
	s_wait_alu 0xf1ff
	v_cndmask_b32_e64 v3, 0, v3, s0
	v_cmp_gt_i32_e64 s0, s31, v26
	s_wait_alu 0xf1ff
	s_delay_alu instid0(VALU_DEP_1)
	v_cndmask_b32_e64 v46, 0, v46, s0
.LBB110_45:                             ;   in Loop: Header=BB110_38 Depth=1
	s_wait_alu 0xfffe
	s_or_b32 exec_lo, exec_lo, s9
	v_lshlrev_b32_e32 v48, 16, v48
	v_lshlrev_b32_e32 v47, 16, v47
	;; [unrolled: 1-line block ×3, first 2 shown]
	s_delay_alu instid0(VALU_DEP_3) | instskip(NEXT) | instid1(VALU_DEP_3)
	v_and_or_b32 v1, 0xffff, v1, v48
	v_and_or_b32 v2, 0xffff, v2, v47
	s_delay_alu instid0(VALU_DEP_3)
	v_and_or_b32 v3, 0xffff, v3, v46
	;;#ASMSTART
	v_pk_mul_f16 v1, v35, v1;

	;;#ASMEND
	;;#ASMSTART
	v_pk_mul_f16 v2, v34, v2;

	;;#ASMEND
	;; [unrolled: 4-line block ×4, first 2 shown]
	;;#ASMSTART
	v_pk_add_f16 v1, v1, v2;

	;;#ASMEND
	;;#ASMSTART
	v_pk_add_f16 v1, v1, v3;

	;;#ASMEND
	;; [unrolled: 4-line block ×3, first 2 shown]
	v_and_b32_e32 v2, 0xffff, v1
	v_lshrrev_b32_e32 v1, 16, v1
	;;#ASMSTART
	v_cvt_f32_f16 v46, v2;
	;;#ASMEND
	;;#ASMSTART
	v_cvt_f32_f16 v47, v1;
	;;#ASMEND
	global_load_b128 v[1:4], v[7:8], off offset:1536
	s_wait_loadcnt 0x0
	v_lshrrev_b32_e32 v50, 16, v1
	v_lshrrev_b32_e32 v49, 16, v2
	;; [unrolled: 1-line block ×3, first 2 shown]
	s_and_saveexec_b32 s9, vcc_lo
	s_cbranch_execz .LBB110_47
; %bb.46:                               ;   in Loop: Header=BB110_38 Depth=1
	v_cmp_gt_i32_e64 s0, s31, v31
	v_and_b32_e32 v51, 0xffff, v4
	v_and_b32_e32 v4, 0xffff0000, v4
	s_wait_alu 0xf1ff
	s_delay_alu instid0(VALU_DEP_3) | instskip(SKIP_2) | instid1(VALU_DEP_1)
	v_cndmask_b32_e64 v1, 0, v1, s0
	v_cmp_gt_i32_e64 s0, s31, v33
	s_wait_alu 0xf1ff
	v_cndmask_b32_e64 v50, 0, v50, s0
	v_cmp_gt_i32_e64 s0, s31, v32
	s_wait_alu 0xf1ff
	s_delay_alu instid0(VALU_DEP_1) | instskip(SKIP_2) | instid1(VALU_DEP_1)
	v_cndmask_b32_e64 v2, 0, v2, s0
	v_cmp_gt_i32_e64 s0, s31, v28
	s_wait_alu 0xf1ff
	v_cndmask_b32_e64 v49, 0, v49, s0
	v_cmp_gt_i32_e64 s0, s31, v29
	s_wait_alu 0xf1ff
	s_delay_alu instid0(VALU_DEP_1) | instskip(SKIP_2) | instid1(VALU_DEP_1)
	v_cndmask_b32_e64 v51, 0, v51, s0
	v_cmp_gt_i32_e64 s0, s31, v30
	s_wait_alu 0xf1ff
	v_cndmask_b32_e64 v4, 0, v4, s0
	v_cmp_gt_i32_e64 s0, s31, v27
	s_delay_alu instid0(VALU_DEP_2) | instskip(SKIP_1) | instid1(VALU_DEP_2)
	v_or_b32_e32 v4, v51, v4
	s_wait_alu 0xf1ff
	v_cndmask_b32_e64 v3, 0, v3, s0
	v_cmp_gt_i32_e64 s0, s31, v26
	s_wait_alu 0xf1ff
	s_delay_alu instid0(VALU_DEP_1)
	v_cndmask_b32_e64 v48, 0, v48, s0
.LBB110_47:                             ;   in Loop: Header=BB110_38 Depth=1
	s_wait_alu 0xfffe
	s_or_b32 exec_lo, exec_lo, s9
	v_lshlrev_b32_e32 v50, 16, v50
	v_lshlrev_b32_e32 v49, 16, v49
	v_lshlrev_b32_e32 v48, 16, v48
	s_delay_alu instid0(VALU_DEP_3) | instskip(NEXT) | instid1(VALU_DEP_3)
	v_and_or_b32 v1, 0xffff, v1, v50
	v_and_or_b32 v2, 0xffff, v2, v49
	s_delay_alu instid0(VALU_DEP_3)
	v_and_or_b32 v3, 0xffff, v3, v48
	;;#ASMSTART
	v_pk_mul_f16 v1, v35, v1;

	;;#ASMEND
	;;#ASMSTART
	v_pk_mul_f16 v2, v34, v2;

	;;#ASMEND
	;; [unrolled: 4-line block ×4, first 2 shown]
	;;#ASMSTART
	v_pk_add_f16 v1, v1, v2;

	;;#ASMEND
	;;#ASMSTART
	v_pk_add_f16 v1, v1, v3;

	;;#ASMEND
	;; [unrolled: 4-line block ×3, first 2 shown]
	v_and_b32_e32 v2, 0xffff, v1
	v_lshrrev_b32_e32 v1, 16, v1
	;;#ASMSTART
	v_cvt_f32_f16 v48, v2;
	;;#ASMEND
	;;#ASMSTART
	v_cvt_f32_f16 v49, v1;
	;;#ASMEND
	global_load_b128 v[1:4], v[7:8], off offset:2048
	s_wait_loadcnt 0x0
	v_lshrrev_b32_e32 v52, 16, v1
	v_lshrrev_b32_e32 v51, 16, v2
	;; [unrolled: 1-line block ×3, first 2 shown]
	s_and_saveexec_b32 s9, vcc_lo
	s_cbranch_execz .LBB110_49
; %bb.48:                               ;   in Loop: Header=BB110_38 Depth=1
	v_cmp_gt_i32_e64 s0, s31, v31
	v_and_b32_e32 v53, 0xffff, v4
	v_and_b32_e32 v4, 0xffff0000, v4
	s_wait_alu 0xf1ff
	s_delay_alu instid0(VALU_DEP_3) | instskip(SKIP_2) | instid1(VALU_DEP_1)
	v_cndmask_b32_e64 v1, 0, v1, s0
	v_cmp_gt_i32_e64 s0, s31, v33
	s_wait_alu 0xf1ff
	v_cndmask_b32_e64 v52, 0, v52, s0
	v_cmp_gt_i32_e64 s0, s31, v32
	s_wait_alu 0xf1ff
	s_delay_alu instid0(VALU_DEP_1) | instskip(SKIP_2) | instid1(VALU_DEP_1)
	v_cndmask_b32_e64 v2, 0, v2, s0
	v_cmp_gt_i32_e64 s0, s31, v28
	s_wait_alu 0xf1ff
	v_cndmask_b32_e64 v51, 0, v51, s0
	v_cmp_gt_i32_e64 s0, s31, v29
	s_wait_alu 0xf1ff
	s_delay_alu instid0(VALU_DEP_1) | instskip(SKIP_2) | instid1(VALU_DEP_1)
	v_cndmask_b32_e64 v53, 0, v53, s0
	v_cmp_gt_i32_e64 s0, s31, v30
	s_wait_alu 0xf1ff
	v_cndmask_b32_e64 v4, 0, v4, s0
	v_cmp_gt_i32_e64 s0, s31, v27
	s_delay_alu instid0(VALU_DEP_2) | instskip(SKIP_1) | instid1(VALU_DEP_2)
	v_or_b32_e32 v4, v53, v4
	s_wait_alu 0xf1ff
	v_cndmask_b32_e64 v3, 0, v3, s0
	v_cmp_gt_i32_e64 s0, s31, v26
	s_wait_alu 0xf1ff
	s_delay_alu instid0(VALU_DEP_1)
	v_cndmask_b32_e64 v50, 0, v50, s0
.LBB110_49:                             ;   in Loop: Header=BB110_38 Depth=1
	s_wait_alu 0xfffe
	s_or_b32 exec_lo, exec_lo, s9
	v_lshlrev_b32_e32 v52, 16, v52
	v_lshlrev_b32_e32 v51, 16, v51
	;; [unrolled: 1-line block ×3, first 2 shown]
	s_delay_alu instid0(VALU_DEP_3) | instskip(NEXT) | instid1(VALU_DEP_3)
	v_and_or_b32 v1, 0xffff, v1, v52
	v_and_or_b32 v2, 0xffff, v2, v51
	s_delay_alu instid0(VALU_DEP_3)
	v_and_or_b32 v3, 0xffff, v3, v50
	;;#ASMSTART
	v_pk_mul_f16 v1, v35, v1;

	;;#ASMEND
	;;#ASMSTART
	v_pk_mul_f16 v2, v34, v2;

	;;#ASMEND
	;;#ASMSTART
	v_pk_mul_f16 v3, v38, v3;

	;;#ASMEND
	;;#ASMSTART
	v_pk_mul_f16 v4, v39, v4;

	;;#ASMEND
	;;#ASMSTART
	v_pk_add_f16 v1, v1, v2;

	;;#ASMEND
	;;#ASMSTART
	v_pk_add_f16 v1, v1, v3;

	;;#ASMEND
	;;#ASMSTART
	v_pk_add_f16 v1, v1, v4;

	;;#ASMEND
	v_and_b32_e32 v2, 0xffff, v1
	v_lshrrev_b32_e32 v1, 16, v1
	;;#ASMSTART
	v_cvt_f32_f16 v50, v2;
	;;#ASMEND
	;;#ASMSTART
	v_cvt_f32_f16 v51, v1;
	;;#ASMEND
	global_load_b128 v[1:4], v[7:8], off offset:2560
	s_wait_loadcnt 0x0
	v_lshrrev_b32_e32 v54, 16, v1
	v_lshrrev_b32_e32 v53, 16, v2
	v_lshrrev_b32_e32 v52, 16, v3
	s_and_saveexec_b32 s9, vcc_lo
	s_cbranch_execz .LBB110_51
; %bb.50:                               ;   in Loop: Header=BB110_38 Depth=1
	v_cmp_gt_i32_e64 s0, s31, v31
	v_and_b32_e32 v55, 0xffff, v4
	v_and_b32_e32 v4, 0xffff0000, v4
	s_wait_alu 0xf1ff
	s_delay_alu instid0(VALU_DEP_3) | instskip(SKIP_2) | instid1(VALU_DEP_1)
	v_cndmask_b32_e64 v1, 0, v1, s0
	v_cmp_gt_i32_e64 s0, s31, v33
	s_wait_alu 0xf1ff
	v_cndmask_b32_e64 v54, 0, v54, s0
	v_cmp_gt_i32_e64 s0, s31, v32
	s_wait_alu 0xf1ff
	s_delay_alu instid0(VALU_DEP_1) | instskip(SKIP_2) | instid1(VALU_DEP_1)
	v_cndmask_b32_e64 v2, 0, v2, s0
	v_cmp_gt_i32_e64 s0, s31, v28
	s_wait_alu 0xf1ff
	v_cndmask_b32_e64 v53, 0, v53, s0
	v_cmp_gt_i32_e64 s0, s31, v29
	s_wait_alu 0xf1ff
	s_delay_alu instid0(VALU_DEP_1) | instskip(SKIP_2) | instid1(VALU_DEP_1)
	v_cndmask_b32_e64 v55, 0, v55, s0
	v_cmp_gt_i32_e64 s0, s31, v30
	s_wait_alu 0xf1ff
	v_cndmask_b32_e64 v4, 0, v4, s0
	v_cmp_gt_i32_e64 s0, s31, v27
	s_delay_alu instid0(VALU_DEP_2) | instskip(SKIP_1) | instid1(VALU_DEP_2)
	v_or_b32_e32 v4, v55, v4
	s_wait_alu 0xf1ff
	v_cndmask_b32_e64 v3, 0, v3, s0
	v_cmp_gt_i32_e64 s0, s31, v26
	s_wait_alu 0xf1ff
	s_delay_alu instid0(VALU_DEP_1)
	v_cndmask_b32_e64 v52, 0, v52, s0
.LBB110_51:                             ;   in Loop: Header=BB110_38 Depth=1
	s_wait_alu 0xfffe
	s_or_b32 exec_lo, exec_lo, s9
	v_lshlrev_b32_e32 v54, 16, v54
	v_lshlrev_b32_e32 v53, 16, v53
	;; [unrolled: 1-line block ×3, first 2 shown]
	s_delay_alu instid0(VALU_DEP_3) | instskip(NEXT) | instid1(VALU_DEP_3)
	v_and_or_b32 v1, 0xffff, v1, v54
	v_and_or_b32 v2, 0xffff, v2, v53
	s_delay_alu instid0(VALU_DEP_3)
	v_and_or_b32 v3, 0xffff, v3, v52
	;;#ASMSTART
	v_pk_mul_f16 v1, v35, v1;

	;;#ASMEND
	;;#ASMSTART
	v_pk_mul_f16 v2, v34, v2;

	;;#ASMEND
	;;#ASMSTART
	v_pk_mul_f16 v3, v38, v3;

	;;#ASMEND
	;;#ASMSTART
	v_pk_mul_f16 v4, v39, v4;

	;;#ASMEND
	;;#ASMSTART
	v_pk_add_f16 v1, v1, v2;

	;;#ASMEND
	;;#ASMSTART
	v_pk_add_f16 v1, v1, v3;

	;;#ASMEND
	;; [unrolled: 4-line block ×3, first 2 shown]
	v_and_b32_e32 v2, 0xffff, v1
	v_lshrrev_b32_e32 v1, 16, v1
	;;#ASMSTART
	v_cvt_f32_f16 v52, v2;
	;;#ASMEND
	;;#ASMSTART
	v_cvt_f32_f16 v53, v1;
	;;#ASMEND
	global_load_b128 v[1:4], v[7:8], off offset:3072
	s_wait_loadcnt 0x0
	v_lshrrev_b32_e32 v56, 16, v1
	v_lshrrev_b32_e32 v55, 16, v2
	;; [unrolled: 1-line block ×3, first 2 shown]
	s_and_saveexec_b32 s9, vcc_lo
	s_cbranch_execz .LBB110_53
; %bb.52:                               ;   in Loop: Header=BB110_38 Depth=1
	v_cmp_gt_i32_e64 s0, s31, v31
	v_and_b32_e32 v57, 0xffff, v4
	v_and_b32_e32 v4, 0xffff0000, v4
	s_wait_alu 0xf1ff
	s_delay_alu instid0(VALU_DEP_3) | instskip(SKIP_2) | instid1(VALU_DEP_1)
	v_cndmask_b32_e64 v1, 0, v1, s0
	v_cmp_gt_i32_e64 s0, s31, v33
	s_wait_alu 0xf1ff
	v_cndmask_b32_e64 v56, 0, v56, s0
	v_cmp_gt_i32_e64 s0, s31, v32
	s_wait_alu 0xf1ff
	s_delay_alu instid0(VALU_DEP_1) | instskip(SKIP_2) | instid1(VALU_DEP_1)
	v_cndmask_b32_e64 v2, 0, v2, s0
	v_cmp_gt_i32_e64 s0, s31, v28
	s_wait_alu 0xf1ff
	v_cndmask_b32_e64 v55, 0, v55, s0
	v_cmp_gt_i32_e64 s0, s31, v29
	s_wait_alu 0xf1ff
	s_delay_alu instid0(VALU_DEP_1) | instskip(SKIP_2) | instid1(VALU_DEP_1)
	v_cndmask_b32_e64 v57, 0, v57, s0
	v_cmp_gt_i32_e64 s0, s31, v30
	s_wait_alu 0xf1ff
	v_cndmask_b32_e64 v4, 0, v4, s0
	v_cmp_gt_i32_e64 s0, s31, v27
	s_delay_alu instid0(VALU_DEP_2) | instskip(SKIP_1) | instid1(VALU_DEP_2)
	v_or_b32_e32 v4, v57, v4
	s_wait_alu 0xf1ff
	v_cndmask_b32_e64 v3, 0, v3, s0
	v_cmp_gt_i32_e64 s0, s31, v26
	s_wait_alu 0xf1ff
	s_delay_alu instid0(VALU_DEP_1)
	v_cndmask_b32_e64 v54, 0, v54, s0
.LBB110_53:                             ;   in Loop: Header=BB110_38 Depth=1
	s_wait_alu 0xfffe
	s_or_b32 exec_lo, exec_lo, s9
	v_lshlrev_b32_e32 v56, 16, v56
	v_lshlrev_b32_e32 v55, 16, v55
	v_lshlrev_b32_e32 v54, 16, v54
	s_delay_alu instid0(VALU_DEP_3) | instskip(NEXT) | instid1(VALU_DEP_3)
	v_and_or_b32 v1, 0xffff, v1, v56
	v_and_or_b32 v2, 0xffff, v2, v55
	s_delay_alu instid0(VALU_DEP_3)
	v_and_or_b32 v3, 0xffff, v3, v54
	;;#ASMSTART
	v_pk_mul_f16 v1, v35, v1;

	;;#ASMEND
	;;#ASMSTART
	v_pk_mul_f16 v2, v34, v2;

	;;#ASMEND
	;; [unrolled: 4-line block ×4, first 2 shown]
	;;#ASMSTART
	v_pk_add_f16 v1, v1, v2;

	;;#ASMEND
	;;#ASMSTART
	v_pk_add_f16 v1, v1, v3;

	;;#ASMEND
	;;#ASMSTART
	v_pk_add_f16 v1, v1, v4;

	;;#ASMEND
	v_and_b32_e32 v2, 0xffff, v1
	v_lshrrev_b32_e32 v1, 16, v1
	;;#ASMSTART
	v_cvt_f32_f16 v54, v2;
	;;#ASMEND
	;;#ASMSTART
	v_cvt_f32_f16 v55, v1;
	;;#ASMEND
	global_load_b128 v[1:4], v[7:8], off offset:3584
	s_wait_loadcnt 0x0
	v_lshrrev_b32_e32 v58, 16, v1
	v_lshrrev_b32_e32 v57, 16, v2
	;; [unrolled: 1-line block ×3, first 2 shown]
	s_and_saveexec_b32 s9, vcc_lo
	s_cbranch_execz .LBB110_55
; %bb.54:                               ;   in Loop: Header=BB110_38 Depth=1
	v_cmp_gt_i32_e64 s0, s31, v31
	v_and_b32_e32 v59, 0xffff, v4
	v_and_b32_e32 v4, 0xffff0000, v4
	s_wait_alu 0xf1ff
	s_delay_alu instid0(VALU_DEP_3) | instskip(SKIP_2) | instid1(VALU_DEP_1)
	v_cndmask_b32_e64 v1, 0, v1, s0
	v_cmp_gt_i32_e64 s0, s31, v33
	s_wait_alu 0xf1ff
	v_cndmask_b32_e64 v58, 0, v58, s0
	v_cmp_gt_i32_e64 s0, s31, v32
	s_wait_alu 0xf1ff
	s_delay_alu instid0(VALU_DEP_1) | instskip(SKIP_2) | instid1(VALU_DEP_1)
	v_cndmask_b32_e64 v2, 0, v2, s0
	v_cmp_gt_i32_e64 s0, s31, v28
	s_wait_alu 0xf1ff
	v_cndmask_b32_e64 v57, 0, v57, s0
	v_cmp_gt_i32_e64 s0, s31, v29
	s_wait_alu 0xf1ff
	s_delay_alu instid0(VALU_DEP_1) | instskip(SKIP_2) | instid1(VALU_DEP_1)
	v_cndmask_b32_e64 v59, 0, v59, s0
	v_cmp_gt_i32_e64 s0, s31, v30
	s_wait_alu 0xf1ff
	v_cndmask_b32_e64 v4, 0, v4, s0
	v_cmp_gt_i32_e64 s0, s31, v27
	s_delay_alu instid0(VALU_DEP_2) | instskip(SKIP_1) | instid1(VALU_DEP_2)
	v_or_b32_e32 v4, v59, v4
	s_wait_alu 0xf1ff
	v_cndmask_b32_e64 v3, 0, v3, s0
	v_cmp_gt_i32_e64 s0, s31, v26
	s_wait_alu 0xf1ff
	s_delay_alu instid0(VALU_DEP_1)
	v_cndmask_b32_e64 v56, 0, v56, s0
.LBB110_55:                             ;   in Loop: Header=BB110_38 Depth=1
	s_wait_alu 0xfffe
	s_or_b32 exec_lo, exec_lo, s9
	v_lshlrev_b32_e32 v58, 16, v58
	v_lshlrev_b32_e32 v57, 16, v57
	;; [unrolled: 1-line block ×3, first 2 shown]
	s_delay_alu instid0(VALU_DEP_3) | instskip(NEXT) | instid1(VALU_DEP_3)
	v_and_or_b32 v1, 0xffff, v1, v58
	v_and_or_b32 v2, 0xffff, v2, v57
	s_delay_alu instid0(VALU_DEP_3)
	v_and_or_b32 v3, 0xffff, v3, v56
	;;#ASMSTART
	v_pk_mul_f16 v1, v35, v1;

	;;#ASMEND
	;;#ASMSTART
	v_pk_mul_f16 v2, v34, v2;

	;;#ASMEND
	;; [unrolled: 4-line block ×4, first 2 shown]
	;;#ASMSTART
	v_pk_add_f16 v1, v1, v2;

	;;#ASMEND
	;;#ASMSTART
	v_pk_add_f16 v1, v1, v3;

	;;#ASMEND
	;; [unrolled: 4-line block ×3, first 2 shown]
	v_and_b32_e32 v2, 0xffff, v1
	v_lshrrev_b32_e32 v1, 16, v1
	;;#ASMSTART
	v_cvt_f32_f16 v56, v2;
	;;#ASMEND
	;;#ASMSTART
	v_cvt_f32_f16 v57, v1;
	;;#ASMEND
	global_load_b128 v[1:4], v[7:8], off offset:4096
	s_wait_loadcnt 0x0
	v_lshrrev_b32_e32 v60, 16, v1
	v_lshrrev_b32_e32 v59, 16, v2
	;; [unrolled: 1-line block ×3, first 2 shown]
	s_and_saveexec_b32 s9, vcc_lo
	s_cbranch_execz .LBB110_57
; %bb.56:                               ;   in Loop: Header=BB110_38 Depth=1
	v_cmp_gt_i32_e64 s0, s31, v31
	v_and_b32_e32 v61, 0xffff, v4
	v_and_b32_e32 v4, 0xffff0000, v4
	s_wait_alu 0xf1ff
	s_delay_alu instid0(VALU_DEP_3) | instskip(SKIP_2) | instid1(VALU_DEP_1)
	v_cndmask_b32_e64 v1, 0, v1, s0
	v_cmp_gt_i32_e64 s0, s31, v33
	s_wait_alu 0xf1ff
	v_cndmask_b32_e64 v60, 0, v60, s0
	v_cmp_gt_i32_e64 s0, s31, v32
	s_wait_alu 0xf1ff
	s_delay_alu instid0(VALU_DEP_1) | instskip(SKIP_2) | instid1(VALU_DEP_1)
	v_cndmask_b32_e64 v2, 0, v2, s0
	v_cmp_gt_i32_e64 s0, s31, v28
	s_wait_alu 0xf1ff
	v_cndmask_b32_e64 v59, 0, v59, s0
	v_cmp_gt_i32_e64 s0, s31, v29
	s_wait_alu 0xf1ff
	s_delay_alu instid0(VALU_DEP_1) | instskip(SKIP_2) | instid1(VALU_DEP_1)
	v_cndmask_b32_e64 v61, 0, v61, s0
	v_cmp_gt_i32_e64 s0, s31, v30
	s_wait_alu 0xf1ff
	v_cndmask_b32_e64 v4, 0, v4, s0
	v_cmp_gt_i32_e64 s0, s31, v27
	s_delay_alu instid0(VALU_DEP_2) | instskip(SKIP_1) | instid1(VALU_DEP_2)
	v_or_b32_e32 v4, v61, v4
	s_wait_alu 0xf1ff
	v_cndmask_b32_e64 v3, 0, v3, s0
	v_cmp_gt_i32_e64 s0, s31, v26
	s_wait_alu 0xf1ff
	s_delay_alu instid0(VALU_DEP_1)
	v_cndmask_b32_e64 v58, 0, v58, s0
.LBB110_57:                             ;   in Loop: Header=BB110_38 Depth=1
	s_wait_alu 0xfffe
	s_or_b32 exec_lo, exec_lo, s9
	v_lshlrev_b32_e32 v60, 16, v60
	v_lshlrev_b32_e32 v59, 16, v59
	;; [unrolled: 1-line block ×3, first 2 shown]
	s_delay_alu instid0(VALU_DEP_3) | instskip(NEXT) | instid1(VALU_DEP_3)
	v_and_or_b32 v1, 0xffff, v1, v60
	v_and_or_b32 v2, 0xffff, v2, v59
	s_delay_alu instid0(VALU_DEP_3)
	v_and_or_b32 v3, 0xffff, v3, v58
	;;#ASMSTART
	v_pk_mul_f16 v1, v35, v1;

	;;#ASMEND
	;;#ASMSTART
	v_pk_mul_f16 v2, v34, v2;

	;;#ASMEND
	;; [unrolled: 4-line block ×4, first 2 shown]
	;;#ASMSTART
	v_pk_add_f16 v1, v1, v2;

	;;#ASMEND
	;;#ASMSTART
	v_pk_add_f16 v1, v1, v3;

	;;#ASMEND
	;; [unrolled: 4-line block ×3, first 2 shown]
	v_and_b32_e32 v2, 0xffff, v1
	v_lshrrev_b32_e32 v1, 16, v1
	;;#ASMSTART
	v_cvt_f32_f16 v59, v2;
	;;#ASMEND
	;;#ASMSTART
	v_cvt_f32_f16 v60, v1;
	;;#ASMEND
	global_load_b128 v[1:4], v[7:8], off offset:4608
	s_wait_loadcnt 0x0
	v_lshrrev_b32_e32 v58, 16, v1
	v_lshrrev_b32_e32 v8, 16, v2
	;; [unrolled: 1-line block ×3, first 2 shown]
	s_and_saveexec_b32 s0, vcc_lo
	s_cbranch_execz .LBB110_36
; %bb.58:                               ;   in Loop: Header=BB110_38 Depth=1
	v_cmp_gt_i32_e32 vcc_lo, s31, v31
	v_and_b32_e32 v31, 0xffff, v4
	s_wait_alu 0xfffd
	v_dual_cndmask_b32 v1, 0, v1 :: v_dual_and_b32 v4, 0xffff0000, v4
	v_cmp_gt_i32_e32 vcc_lo, s31, v33
	s_wait_alu 0xfffd
	v_cndmask_b32_e32 v58, 0, v58, vcc_lo
	v_cmp_gt_i32_e32 vcc_lo, s31, v32
	s_wait_alu 0xfffd
	v_cndmask_b32_e32 v2, 0, v2, vcc_lo
	;; [unrolled: 3-line block ×5, first 2 shown]
	v_cmp_gt_i32_e32 vcc_lo, s31, v27
	s_delay_alu instid0(VALU_DEP_2)
	v_or_b32_e32 v4, v28, v4
	s_wait_alu 0xfffd
	v_cndmask_b32_e32 v3, 0, v3, vcc_lo
	v_cmp_gt_i32_e32 vcc_lo, s31, v26
	s_wait_alu 0xfffd
	v_cndmask_b32_e32 v7, 0, v7, vcc_lo
	s_branch .LBB110_36
.LBB110_59:
	s_or_b32 exec_lo, exec_lo, s5
.LBB110_60:
	s_wait_alu 0xfffe
	s_or_b32 exec_lo, exec_lo, s1
	ds_bpermute_b32 v3, v10, v19
	ds_bpermute_b32 v4, v10, v18
	;; [unrolled: 1-line block ×10, first 2 shown]
	s_mov_b32 s0, exec_lo
	s_wait_storecnt 0x0
	s_wait_loadcnt_dscnt 0x0
	s_barrier_signal -1
	s_barrier_wait -1
	global_inv scope:SCOPE_SE
	v_dual_add_f32 v3, v19, v3 :: v_dual_add_f32 v4, v18, v4
	v_add_f32_e32 v5, v17, v5
	v_add_f32_e32 v17, v14, v8
	v_dual_add_f32 v1, v20, v1 :: v_dual_add_f32 v2, v21, v2
	ds_bpermute_b32 v8, v9, v3
	v_dual_add_f32 v16, v16, v6 :: v_dual_add_f32 v15, v15, v7
	v_add_f32_e32 v18, v13, v22
	v_add_f32_e32 v19, v12, v10
	ds_bpermute_b32 v6, v9, v1
	ds_bpermute_b32 v7, v9, v2
	;; [unrolled: 1-line block ×8, first 2 shown]
	v_lshrrev_b32_e32 v13, 2, v42
	v_mul_u32_u24_e32 v14, 0x140, v41
	v_and_b32_e32 v27, 0x3c3, v0
	s_wait_dscnt 0x8
	v_add_f32_e32 v8, v3, v8
	ds_bpermute_b32 v26, v9, v19
	v_and_b32_e32 v9, 28, v42
	s_wait_dscnt 0x8
	v_add_f32_e32 v10, v1, v6
	s_wait_dscnt 0x5
	v_add_f32_e32 v6, v5, v21
	v_dual_add_f32 v9, v2, v7 :: v_dual_add_nc_u32 v12, 0xc0, v9
	s_wait_dscnt 0x3
	v_dual_add_f32 v7, v4, v20 :: v_dual_add_f32 v4, v15, v23
	s_wait_dscnt 0x1
	v_dual_add_f32 v5, v16, v22 :: v_dual_add_f32 v2, v18, v25
	v_add_f32_e32 v3, v17, v24
	s_wait_dscnt 0x0
	v_add_f32_e32 v1, v19, v26
	v_cmpx_eq_u32_e32 64, v27
	s_cbranch_execz .LBB110_62
; %bb.61:
	v_add_nc_u32_e32 v15, v12, v14
	s_delay_alu instid0(VALU_DEP_1)
	v_add_nc_u32_e32 v16, 0xfffffd80, v15
	v_add_nc_u32_e32 v17, 0xfffffda0, v15
	;; [unrolled: 1-line block ×10, first 2 shown]
	ds_store_b32 v16, v10
	ds_store_b32 v17, v9
	;; [unrolled: 1-line block ×10, first 2 shown]
.LBB110_62:
	s_wait_alu 0xfffe
	s_or_b32 exec_lo, exec_lo, s0
	v_lshlrev_b32_e32 v13, 2, v13
	v_cmp_eq_u32_e32 vcc_lo, 0, v11
	s_mov_b32 s1, exec_lo
	s_wait_loadcnt_dscnt 0x0
	s_barrier_signal -1
	v_add3_u32 v11, 0xc0, v14, v13
	s_barrier_wait -1
	global_inv scope:SCOPE_SE
	v_cmpx_gt_u32_e32 64, v0
	s_cbranch_execz .LBB110_75
; %bb.63:
	s_and_saveexec_b32 s0, vcc_lo
	s_cbranch_execnz .LBB110_93
; %bb.64:
	s_wait_alu 0xfffe
	s_or_b32 exec_lo, exec_lo, s0
	s_and_saveexec_b32 s0, vcc_lo
	s_cbranch_execnz .LBB110_94
.LBB110_65:
	s_wait_alu 0xfffe
	s_or_b32 exec_lo, exec_lo, s0
	s_and_saveexec_b32 s0, vcc_lo
	s_cbranch_execnz .LBB110_95
.LBB110_66:
	s_wait_alu 0xfffe
	s_or_b32 exec_lo, exec_lo, s0
	s_and_saveexec_b32 s0, vcc_lo
	s_cbranch_execnz .LBB110_96
.LBB110_67:
	s_wait_alu 0xfffe
	s_or_b32 exec_lo, exec_lo, s0
	s_and_saveexec_b32 s0, vcc_lo
	s_cbranch_execnz .LBB110_97
.LBB110_68:
	s_wait_alu 0xfffe
	s_or_b32 exec_lo, exec_lo, s0
	s_and_saveexec_b32 s0, vcc_lo
	s_cbranch_execnz .LBB110_98
.LBB110_69:
	s_wait_alu 0xfffe
	s_or_b32 exec_lo, exec_lo, s0
	s_and_saveexec_b32 s0, vcc_lo
	s_cbranch_execnz .LBB110_99
.LBB110_70:
	s_wait_alu 0xfffe
	s_or_b32 exec_lo, exec_lo, s0
	s_and_saveexec_b32 s0, vcc_lo
	s_cbranch_execnz .LBB110_100
.LBB110_71:
	s_wait_alu 0xfffe
	s_or_b32 exec_lo, exec_lo, s0
	s_and_saveexec_b32 s0, vcc_lo
	s_cbranch_execnz .LBB110_101
.LBB110_72:
	s_wait_alu 0xfffe
	s_or_b32 exec_lo, exec_lo, s0
	s_and_saveexec_b32 s0, vcc_lo
	s_cbranch_execz .LBB110_74
.LBB110_73:
	ds_load_b32 v13, v11 offset:288
	s_wait_dscnt 0x0
	v_add_f32_e32 v1, v1, v13
.LBB110_74:
	s_wait_alu 0xfffe
	s_or_b32 exec_lo, exec_lo, s0
.LBB110_75:
	s_wait_alu 0xfffe
	s_or_b32 exec_lo, exec_lo, s1
	v_and_b32_e32 v13, 0x3e3, v0
	s_mov_b32 s1, exec_lo
	s_wait_loadcnt 0x0
	s_barrier_signal -1
	s_barrier_wait -1
	global_inv scope:SCOPE_SE
	v_cmpx_eq_u32_e32 32, v13
	s_cbranch_execz .LBB110_77
; %bb.76:
	ds_store_2addr_b32 v12, v10, v9 offset1:8
	ds_store_2addr_b32 v12, v8, v7 offset0:16 offset1:24
	ds_store_2addr_b32 v12, v6, v5 offset0:32 offset1:40
	ds_store_2addr_b32 v12, v4, v3 offset0:48 offset1:56
	ds_store_2addr_b32 v12, v2, v1 offset0:64 offset1:72
.LBB110_77:
	s_wait_alu 0xfffe
	s_or_b32 exec_lo, exec_lo, s1
	s_delay_alu instid0(SALU_CYCLE_1)
	s_mov_b32 s1, exec_lo
	s_wait_loadcnt_dscnt 0x0
	s_barrier_signal -1
	s_barrier_wait -1
	global_inv scope:SCOPE_SE
	v_cmpx_gt_u32_e32 32, v0
	s_cbranch_execz .LBB110_90
; %bb.78:
	s_and_saveexec_b32 s0, vcc_lo
	s_cbranch_execnz .LBB110_102
; %bb.79:
	s_wait_alu 0xfffe
	s_or_b32 exec_lo, exec_lo, s0
	s_and_saveexec_b32 s0, vcc_lo
	s_cbranch_execnz .LBB110_103
.LBB110_80:
	s_wait_alu 0xfffe
	s_or_b32 exec_lo, exec_lo, s0
	s_and_saveexec_b32 s0, vcc_lo
	s_cbranch_execnz .LBB110_104
.LBB110_81:
	s_wait_alu 0xfffe
	s_or_b32 exec_lo, exec_lo, s0
	s_and_saveexec_b32 s0, vcc_lo
	s_cbranch_execnz .LBB110_105
.LBB110_82:
	s_wait_alu 0xfffe
	s_or_b32 exec_lo, exec_lo, s0
	s_and_saveexec_b32 s0, vcc_lo
	s_cbranch_execnz .LBB110_106
.LBB110_83:
	s_wait_alu 0xfffe
	s_or_b32 exec_lo, exec_lo, s0
	s_and_saveexec_b32 s0, vcc_lo
	s_cbranch_execnz .LBB110_107
.LBB110_84:
	s_wait_alu 0xfffe
	s_or_b32 exec_lo, exec_lo, s0
	s_and_saveexec_b32 s0, vcc_lo
	s_cbranch_execnz .LBB110_108
.LBB110_85:
	s_wait_alu 0xfffe
	s_or_b32 exec_lo, exec_lo, s0
	s_and_saveexec_b32 s0, vcc_lo
	s_cbranch_execnz .LBB110_109
.LBB110_86:
	s_wait_alu 0xfffe
	s_or_b32 exec_lo, exec_lo, s0
	s_and_saveexec_b32 s0, vcc_lo
	s_cbranch_execnz .LBB110_110
.LBB110_87:
	s_wait_alu 0xfffe
	s_or_b32 exec_lo, exec_lo, s0
	s_and_saveexec_b32 s0, vcc_lo
	s_cbranch_execz .LBB110_89
.LBB110_88:
	ds_load_b32 v11, v11 offset:288
	s_wait_dscnt 0x0
	v_add_f32_e32 v1, v1, v11
.LBB110_89:
	s_wait_alu 0xfffe
	s_or_b32 exec_lo, exec_lo, s0
.LBB110_90:
	s_wait_alu 0xfffe
	s_or_b32 exec_lo, exec_lo, s1
	s_mov_b32 s1, 0
	s_wait_loadcnt 0x0
	s_barrier_signal -1
	s_barrier_wait -1
	global_inv scope:SCOPE_SE
	s_mov_b32 s0, exec_lo
	v_cmpx_eq_u32_e32 0, v13
	s_cbranch_execz .LBB110_92
; %bb.91:
	s_mul_i32 s2, s22, 0x50
	s_mul_i32 s4, s7, s16
	s_wait_alu 0xfffe
	s_ashr_i32 s3, s2, 31
	s_ashr_i32 s5, s4, 31
	s_wait_alu 0xfffe
	s_lshl_b64 s[2:3], s[2:3], 1
	s_lshl_b64 s[4:5], s[4:5], 1
	s_wait_kmcnt 0x0
	s_wait_alu 0xfffe
	s_add_nc_u64 s[2:3], s[14:15], s[2:3]
	v_lshrrev_b32_e32 v0, 1, v0
	s_mul_i32 s0, s30, 0xa0
	s_wait_alu 0xfffe
	s_add_nc_u64 s[2:3], s[2:3], s[4:5]
	;;#ASMSTART
	v_cvt_f16_f32 v10, v10;

	;;#ASMEND
	s_wait_alu 0xfffe
	s_add_nc_u64 s[0:1], s[2:3], s[0:1]
	global_store_b16 v0, v10, s[0:1]
	;;#ASMSTART
	v_cvt_f16_f32 v9, v9;

	;;#ASMEND
	global_store_b16 v0, v9, s[0:1] offset:16
	;;#ASMSTART
	v_cvt_f16_f32 v8, v8;

	;;#ASMEND
	global_store_b16 v0, v8, s[0:1] offset:32
	;; [unrolled: 5-line block ×9, first 2 shown]
.LBB110_92:
	s_nop 0
	s_sendmsg sendmsg(MSG_DEALLOC_VGPRS)
	s_endpgm
.LBB110_93:
	ds_load_b32 v13, v11
	s_wait_dscnt 0x0
	v_add_f32_e32 v10, v10, v13
	s_wait_alu 0xfffe
	s_or_b32 exec_lo, exec_lo, s0
	s_and_saveexec_b32 s0, vcc_lo
	s_cbranch_execz .LBB110_65
.LBB110_94:
	ds_load_b32 v13, v11 offset:32
	s_wait_dscnt 0x0
	v_add_f32_e32 v9, v9, v13
	s_wait_alu 0xfffe
	s_or_b32 exec_lo, exec_lo, s0
	s_and_saveexec_b32 s0, vcc_lo
	s_cbranch_execz .LBB110_66
.LBB110_95:
	ds_load_b32 v13, v11 offset:64
	s_wait_dscnt 0x0
	v_add_f32_e32 v8, v8, v13
	s_wait_alu 0xfffe
	s_or_b32 exec_lo, exec_lo, s0
	s_and_saveexec_b32 s0, vcc_lo
	s_cbranch_execz .LBB110_67
.LBB110_96:
	ds_load_b32 v13, v11 offset:96
	s_wait_dscnt 0x0
	v_add_f32_e32 v7, v7, v13
	s_wait_alu 0xfffe
	s_or_b32 exec_lo, exec_lo, s0
	s_and_saveexec_b32 s0, vcc_lo
	s_cbranch_execz .LBB110_68
.LBB110_97:
	ds_load_b32 v13, v11 offset:128
	s_wait_dscnt 0x0
	v_add_f32_e32 v6, v6, v13
	s_wait_alu 0xfffe
	s_or_b32 exec_lo, exec_lo, s0
	s_and_saveexec_b32 s0, vcc_lo
	s_cbranch_execz .LBB110_69
.LBB110_98:
	ds_load_b32 v13, v11 offset:160
	s_wait_dscnt 0x0
	v_add_f32_e32 v5, v5, v13
	s_wait_alu 0xfffe
	s_or_b32 exec_lo, exec_lo, s0
	s_and_saveexec_b32 s0, vcc_lo
	s_cbranch_execz .LBB110_70
.LBB110_99:
	ds_load_b32 v13, v11 offset:192
	s_wait_dscnt 0x0
	v_add_f32_e32 v4, v4, v13
	s_wait_alu 0xfffe
	s_or_b32 exec_lo, exec_lo, s0
	s_and_saveexec_b32 s0, vcc_lo
	s_cbranch_execz .LBB110_71
.LBB110_100:
	ds_load_b32 v13, v11 offset:224
	s_wait_dscnt 0x0
	v_add_f32_e32 v3, v3, v13
	s_wait_alu 0xfffe
	s_or_b32 exec_lo, exec_lo, s0
	s_and_saveexec_b32 s0, vcc_lo
	s_cbranch_execz .LBB110_72
.LBB110_101:
	ds_load_b32 v13, v11 offset:256
	s_wait_dscnt 0x0
	v_add_f32_e32 v2, v2, v13
	s_wait_alu 0xfffe
	s_or_b32 exec_lo, exec_lo, s0
	s_and_saveexec_b32 s0, vcc_lo
	s_cbranch_execnz .LBB110_73
	s_branch .LBB110_74
.LBB110_102:
	ds_load_b32 v12, v11
	s_wait_dscnt 0x0
	v_add_f32_e32 v10, v10, v12
	s_wait_alu 0xfffe
	s_or_b32 exec_lo, exec_lo, s0
	s_and_saveexec_b32 s0, vcc_lo
	s_cbranch_execz .LBB110_80
.LBB110_103:
	ds_load_b32 v12, v11 offset:32
	s_wait_dscnt 0x0
	v_add_f32_e32 v9, v9, v12
	s_wait_alu 0xfffe
	s_or_b32 exec_lo, exec_lo, s0
	s_and_saveexec_b32 s0, vcc_lo
	s_cbranch_execz .LBB110_81
.LBB110_104:
	ds_load_b32 v12, v11 offset:64
	s_wait_dscnt 0x0
	v_add_f32_e32 v8, v8, v12
	s_wait_alu 0xfffe
	s_or_b32 exec_lo, exec_lo, s0
	s_and_saveexec_b32 s0, vcc_lo
	s_cbranch_execz .LBB110_82
.LBB110_105:
	ds_load_b32 v12, v11 offset:96
	s_wait_dscnt 0x0
	v_add_f32_e32 v7, v7, v12
	s_wait_alu 0xfffe
	s_or_b32 exec_lo, exec_lo, s0
	s_and_saveexec_b32 s0, vcc_lo
	s_cbranch_execz .LBB110_83
.LBB110_106:
	ds_load_b32 v12, v11 offset:128
	s_wait_dscnt 0x0
	v_add_f32_e32 v6, v6, v12
	s_wait_alu 0xfffe
	s_or_b32 exec_lo, exec_lo, s0
	s_and_saveexec_b32 s0, vcc_lo
	s_cbranch_execz .LBB110_84
.LBB110_107:
	ds_load_b32 v12, v11 offset:160
	s_wait_dscnt 0x0
	v_add_f32_e32 v5, v5, v12
	s_wait_alu 0xfffe
	s_or_b32 exec_lo, exec_lo, s0
	s_and_saveexec_b32 s0, vcc_lo
	s_cbranch_execz .LBB110_85
.LBB110_108:
	ds_load_b32 v12, v11 offset:192
	s_wait_dscnt 0x0
	v_add_f32_e32 v4, v4, v12
	s_wait_alu 0xfffe
	s_or_b32 exec_lo, exec_lo, s0
	s_and_saveexec_b32 s0, vcc_lo
	s_cbranch_execz .LBB110_86
.LBB110_109:
	ds_load_b32 v12, v11 offset:224
	s_wait_dscnt 0x0
	v_add_f32_e32 v3, v3, v12
	s_wait_alu 0xfffe
	s_or_b32 exec_lo, exec_lo, s0
	s_and_saveexec_b32 s0, vcc_lo
	s_cbranch_execz .LBB110_87
.LBB110_110:
	ds_load_b32 v12, v11 offset:256
	s_wait_dscnt 0x0
	v_add_f32_e32 v2, v2, v12
	s_wait_alu 0xfffe
	s_or_b32 exec_lo, exec_lo, s0
	s_and_saveexec_b32 s0, vcc_lo
	s_cbranch_execnz .LBB110_88
	s_branch .LBB110_89
	.section	.rodata,"a",@progbits
	.p2align	6, 0x0
	.amdhsa_kernel _ZN4vllm25paged_attention_v2_kernelIttLi80ELi32ELi128ELNS_18Fp8KVCacheDataTypeE0ELb1ELi512EEEvPfS2_PT_PKS3_PKT0_S9_ifPKiSB_iPKfiiiSD_SD_iiiii
		.amdhsa_group_segment_fixed_size 192
		.amdhsa_private_segment_fixed_size 0
		.amdhsa_kernarg_size 400
		.amdhsa_user_sgpr_count 2
		.amdhsa_user_sgpr_dispatch_ptr 0
		.amdhsa_user_sgpr_queue_ptr 0
		.amdhsa_user_sgpr_kernarg_segment_ptr 1
		.amdhsa_user_sgpr_dispatch_id 0
		.amdhsa_user_sgpr_private_segment_size 0
		.amdhsa_wavefront_size32 1
		.amdhsa_uses_dynamic_stack 0
		.amdhsa_enable_private_segment 0
		.amdhsa_system_sgpr_workgroup_id_x 1
		.amdhsa_system_sgpr_workgroup_id_y 1
		.amdhsa_system_sgpr_workgroup_id_z 1
		.amdhsa_system_sgpr_workgroup_info 0
		.amdhsa_system_vgpr_workitem_id 0
		.amdhsa_next_free_vgpr 139
		.amdhsa_next_free_sgpr 42
		.amdhsa_reserve_vcc 1
		.amdhsa_float_round_mode_32 0
		.amdhsa_float_round_mode_16_64 0
		.amdhsa_float_denorm_mode_32 3
		.amdhsa_float_denorm_mode_16_64 3
		.amdhsa_fp16_overflow 0
		.amdhsa_workgroup_processor_mode 1
		.amdhsa_memory_ordered 1
		.amdhsa_forward_progress 1
		.amdhsa_inst_pref_size 81
		.amdhsa_round_robin_scheduling 0
		.amdhsa_exception_fp_ieee_invalid_op 0
		.amdhsa_exception_fp_denorm_src 0
		.amdhsa_exception_fp_ieee_div_zero 0
		.amdhsa_exception_fp_ieee_overflow 0
		.amdhsa_exception_fp_ieee_underflow 0
		.amdhsa_exception_fp_ieee_inexact 0
		.amdhsa_exception_int_div_zero 0
	.end_amdhsa_kernel
	.section	.text._ZN4vllm25paged_attention_v2_kernelIttLi80ELi32ELi128ELNS_18Fp8KVCacheDataTypeE0ELb1ELi512EEEvPfS2_PT_PKS3_PKT0_S9_ifPKiSB_iPKfiiiSD_SD_iiiii,"axG",@progbits,_ZN4vllm25paged_attention_v2_kernelIttLi80ELi32ELi128ELNS_18Fp8KVCacheDataTypeE0ELb1ELi512EEEvPfS2_PT_PKS3_PKT0_S9_ifPKiSB_iPKfiiiSD_SD_iiiii,comdat
.Lfunc_end110:
	.size	_ZN4vllm25paged_attention_v2_kernelIttLi80ELi32ELi128ELNS_18Fp8KVCacheDataTypeE0ELb1ELi512EEEvPfS2_PT_PKS3_PKT0_S9_ifPKiSB_iPKfiiiSD_SD_iiiii, .Lfunc_end110-_ZN4vllm25paged_attention_v2_kernelIttLi80ELi32ELi128ELNS_18Fp8KVCacheDataTypeE0ELb1ELi512EEEvPfS2_PT_PKS3_PKT0_S9_ifPKiSB_iPKfiiiSD_SD_iiiii
                                        ; -- End function
	.set _ZN4vllm25paged_attention_v2_kernelIttLi80ELi32ELi128ELNS_18Fp8KVCacheDataTypeE0ELb1ELi512EEEvPfS2_PT_PKS3_PKT0_S9_ifPKiSB_iPKfiiiSD_SD_iiiii.num_vgpr, 139
	.set _ZN4vllm25paged_attention_v2_kernelIttLi80ELi32ELi128ELNS_18Fp8KVCacheDataTypeE0ELb1ELi512EEEvPfS2_PT_PKS3_PKT0_S9_ifPKiSB_iPKfiiiSD_SD_iiiii.num_agpr, 0
	.set _ZN4vllm25paged_attention_v2_kernelIttLi80ELi32ELi128ELNS_18Fp8KVCacheDataTypeE0ELb1ELi512EEEvPfS2_PT_PKS3_PKT0_S9_ifPKiSB_iPKfiiiSD_SD_iiiii.numbered_sgpr, 42
	.set _ZN4vllm25paged_attention_v2_kernelIttLi80ELi32ELi128ELNS_18Fp8KVCacheDataTypeE0ELb1ELi512EEEvPfS2_PT_PKS3_PKT0_S9_ifPKiSB_iPKfiiiSD_SD_iiiii.num_named_barrier, 0
	.set _ZN4vllm25paged_attention_v2_kernelIttLi80ELi32ELi128ELNS_18Fp8KVCacheDataTypeE0ELb1ELi512EEEvPfS2_PT_PKS3_PKT0_S9_ifPKiSB_iPKfiiiSD_SD_iiiii.private_seg_size, 0
	.set _ZN4vllm25paged_attention_v2_kernelIttLi80ELi32ELi128ELNS_18Fp8KVCacheDataTypeE0ELb1ELi512EEEvPfS2_PT_PKS3_PKT0_S9_ifPKiSB_iPKfiiiSD_SD_iiiii.uses_vcc, 1
	.set _ZN4vllm25paged_attention_v2_kernelIttLi80ELi32ELi128ELNS_18Fp8KVCacheDataTypeE0ELb1ELi512EEEvPfS2_PT_PKS3_PKT0_S9_ifPKiSB_iPKfiiiSD_SD_iiiii.uses_flat_scratch, 0
	.set _ZN4vllm25paged_attention_v2_kernelIttLi80ELi32ELi128ELNS_18Fp8KVCacheDataTypeE0ELb1ELi512EEEvPfS2_PT_PKS3_PKT0_S9_ifPKiSB_iPKfiiiSD_SD_iiiii.has_dyn_sized_stack, 0
	.set _ZN4vllm25paged_attention_v2_kernelIttLi80ELi32ELi128ELNS_18Fp8KVCacheDataTypeE0ELb1ELi512EEEvPfS2_PT_PKS3_PKT0_S9_ifPKiSB_iPKfiiiSD_SD_iiiii.has_recursion, 0
	.set _ZN4vllm25paged_attention_v2_kernelIttLi80ELi32ELi128ELNS_18Fp8KVCacheDataTypeE0ELb1ELi512EEEvPfS2_PT_PKS3_PKT0_S9_ifPKiSB_iPKfiiiSD_SD_iiiii.has_indirect_call, 0
	.section	.AMDGPU.csdata,"",@progbits
; Kernel info:
; codeLenInByte = 10296
; TotalNumSgprs: 44
; NumVgprs: 139
; ScratchSize: 0
; MemoryBound: 0
; FloatMode: 240
; IeeeMode: 1
; LDSByteSize: 192 bytes/workgroup (compile time only)
; SGPRBlocks: 0
; VGPRBlocks: 17
; NumSGPRsForWavesPerEU: 44
; NumVGPRsForWavesPerEU: 139
; Occupancy: 10
; WaveLimiterHint : 1
; COMPUTE_PGM_RSRC2:SCRATCH_EN: 0
; COMPUTE_PGM_RSRC2:USER_SGPR: 2
; COMPUTE_PGM_RSRC2:TRAP_HANDLER: 0
; COMPUTE_PGM_RSRC2:TGID_X_EN: 1
; COMPUTE_PGM_RSRC2:TGID_Y_EN: 1
; COMPUTE_PGM_RSRC2:TGID_Z_EN: 1
; COMPUTE_PGM_RSRC2:TIDIG_COMP_CNT: 0
	.section	.text._ZN4vllm25paged_attention_v2_kernelIttLi96ELi32ELi128ELNS_18Fp8KVCacheDataTypeE0ELb1ELi512EEEvPfS2_PT_PKS3_PKT0_S9_ifPKiSB_iPKfiiiSD_SD_iiiii,"axG",@progbits,_ZN4vllm25paged_attention_v2_kernelIttLi96ELi32ELi128ELNS_18Fp8KVCacheDataTypeE0ELb1ELi512EEEvPfS2_PT_PKS3_PKT0_S9_ifPKiSB_iPKfiiiSD_SD_iiiii,comdat
	.protected	_ZN4vllm25paged_attention_v2_kernelIttLi96ELi32ELi128ELNS_18Fp8KVCacheDataTypeE0ELb1ELi512EEEvPfS2_PT_PKS3_PKT0_S9_ifPKiSB_iPKfiiiSD_SD_iiiii ; -- Begin function _ZN4vllm25paged_attention_v2_kernelIttLi96ELi32ELi128ELNS_18Fp8KVCacheDataTypeE0ELb1ELi512EEEvPfS2_PT_PKS3_PKT0_S9_ifPKiSB_iPKfiiiSD_SD_iiiii
	.globl	_ZN4vllm25paged_attention_v2_kernelIttLi96ELi32ELi128ELNS_18Fp8KVCacheDataTypeE0ELb1ELi512EEEvPfS2_PT_PKS3_PKT0_S9_ifPKiSB_iPKfiiiSD_SD_iiiii
	.p2align	8
	.type	_ZN4vllm25paged_attention_v2_kernelIttLi96ELi32ELi128ELNS_18Fp8KVCacheDataTypeE0ELb1ELi512EEEvPfS2_PT_PKS3_PKT0_S9_ifPKiSB_iPKfiiiSD_SD_iiiii,@function
_ZN4vllm25paged_attention_v2_kernelIttLi96ELi32ELi128ELNS_18Fp8KVCacheDataTypeE0ELb1ELi512EEEvPfS2_PT_PKS3_PKT0_S9_ifPKiSB_iPKfiiiSD_SD_iiiii: ; @_ZN4vllm25paged_attention_v2_kernelIttLi96ELi32ELi128ELNS_18Fp8KVCacheDataTypeE0ELb1ELi512EEEvPfS2_PT_PKS3_PKT0_S9_ifPKiSB_iPKfiiiSD_SD_iiiii
; %bb.0:
	s_load_b64 s[2:3], s[0:1], 0x40
	s_and_b32 s26, ttmp7, 0xffff
	s_lshr_b32 s30, ttmp7, 16
	s_lshl_b32 s4, s26, 2
	s_lshl_b32 s34, s30, 9
	s_wait_kmcnt 0x0
	s_load_b32 s31, s[2:3], s4 offset:0x0
	s_wait_kmcnt 0x0
	s_cmp_ge_i32 s34, s31
	s_cbranch_scc1 .LBB111_100
; %bb.1:
	s_clause 0x1
	s_load_b32 s27, s[0:1], 0x90
	s_load_b64 s[8:9], s[0:1], 0x30
	s_wait_kmcnt 0x0
	s_abs_i32 s5, s27
	s_abs_i32 s2, s8
	s_delay_alu instid0(SALU_CYCLE_1) | instskip(SKIP_1) | instid1(SALU_CYCLE_2)
	s_cvt_f32_u32 s3, s2
	s_sub_co_i32 s4, 0, s2
	v_rcp_iflag_f32_e32 v1, s3
	s_delay_alu instid0(TRANS32_DEP_1) | instskip(SKIP_2) | instid1(SALU_CYCLE_2)
	v_readfirstlane_b32 s3, v1
	s_mul_f32 s3, s3, 0x4f7ffffe
	s_wait_alu 0xfffe
	s_cvt_u32_f32 s3, s3
	s_wait_alu 0xfffe
	s_delay_alu instid0(SALU_CYCLE_2) | instskip(NEXT) | instid1(SALU_CYCLE_1)
	s_mul_i32 s4, s4, s3
	s_mul_hi_u32 s4, s3, s4
	s_delay_alu instid0(SALU_CYCLE_1)
	s_add_co_i32 s3, s3, s4
	s_xor_b32 s4, s27, s8
	s_wait_alu 0xfffe
	s_mul_hi_u32 s3, s5, s3
	s_ashr_i32 s4, s4, 31
	s_wait_alu 0xfffe
	s_mul_i32 s6, s3, s2
	s_delay_alu instid0(SALU_CYCLE_1)
	s_sub_co_i32 s5, s5, s6
	s_add_co_i32 s6, s3, 1
	s_sub_co_i32 s7, s5, s2
	s_cmp_ge_u32 s5, s2
	s_cselect_b32 s3, s6, s3
	s_cselect_b32 s5, s7, s5
	s_wait_alu 0xfffe
	s_add_co_i32 s6, s3, 1
	s_cmp_ge_u32 s5, s2
	s_cselect_b32 s2, s6, s3
	s_load_b64 s[6:7], s[0:1], 0x50
	s_xor_b32 s2, s2, s4
	s_mov_b32 s3, 0
	s_wait_alu 0xfffe
	s_sub_co_i32 s16, s2, s4
	s_mov_b32 s15, s3
	s_abs_i32 s18, s16
	s_delay_alu instid0(SALU_CYCLE_1) | instskip(SKIP_1) | instid1(SALU_CYCLE_2)
	s_cvt_f32_u32 s2, s18
	s_wait_alu 0xfffe
	v_rcp_iflag_f32_e32 v1, s2
	s_delay_alu instid0(TRANS32_DEP_1) | instskip(SKIP_2) | instid1(SALU_CYCLE_2)
	v_readfirstlane_b32 s2, v1
	s_mul_f32 s2, s2, 0x4f7ffffe
	s_wait_alu 0xfffe
	s_cvt_u32_f32 s4, s2
	s_sub_co_i32 s2, 0, s18
	s_wait_alu 0xfffe
	s_delay_alu instid0(SALU_CYCLE_1)
	s_mul_i32 s2, s2, s4
	s_wait_alu 0xfffe
	s_mul_hi_u32 s5, s4, s2
	s_abs_i32 s2, ttmp9
	s_add_co_i32 s4, s4, s5
	s_mov_b32 s5, s3
	s_wait_kmcnt 0x0
	s_cmp_eq_u64 s[6:7], 0
	s_cbranch_scc1 .LBB111_3
; %bb.2:
	s_mov_b32 s10, ttmp9
	s_ashr_i32 s11, ttmp9, 31
	s_delay_alu instid0(SALU_CYCLE_1) | instskip(NEXT) | instid1(SALU_CYCLE_1)
	s_lshl_b64 s[10:11], s[10:11], 2
	s_add_nc_u64 s[6:7], s[6:7], s[10:11]
	s_load_b32 s15, s[6:7], 0x0
.LBB111_3:
	s_load_b96 s[12:14], s[0:1], 0x58
	v_lshlrev_b32_e32 v55, 4, v0
	s_mul_u64 s[10:11], s[2:3], s[4:5]
	s_ashr_i32 s3, ttmp9, 31
	s_ashr_i32 s10, s16, 31
	s_mul_i32 s16, ttmp9, 0x60
	s_mov_b32 s4, exec_lo
	v_cmpx_gt_u32_e32 12, v0
	s_cbranch_execz .LBB111_5
; %bb.4:
	s_load_b64 s[6:7], s[0:1], 0x18
	s_wait_kmcnt 0x0
	s_mul_i32 s20, s12, s26
	s_ashr_i32 s17, s16, 31
	s_ashr_i32 s21, s20, 31
	s_delay_alu instid0(SALU_CYCLE_1) | instskip(NEXT) | instid1(SALU_CYCLE_1)
	s_lshl_b64 s[20:21], s[20:21], 1
	s_add_nc_u64 s[6:7], s[6:7], s[20:21]
	s_lshl_b64 s[20:21], s[16:17], 1
	s_delay_alu instid0(SALU_CYCLE_1)
	s_add_nc_u64 s[6:7], s[6:7], s[20:21]
	global_load_b128 v[1:4], v55, s[6:7]
	s_wait_loadcnt 0x0
	ds_store_b128 v55, v[1:4]
.LBB111_5:
	s_or_b32 exec_lo, exec_lo, s4
	s_clause 0x1
	s_load_b128 s[4:7], s[0:1], 0x78
	s_load_b32 s20, s[0:1], 0x88
	s_wait_kmcnt 0x0
	s_mul_i32 s12, s11, s18
	s_xor_b32 s3, s3, s10
	s_sub_co_i32 s2, s2, s12
	s_add_co_i32 s10, s11, 1
	s_wait_alu 0xfffe
	s_sub_co_i32 s12, s2, s18
	s_cmp_ge_u32 s2, s18
	s_mov_b32 s22, -1
	s_cselect_b32 s10, s10, s11
	s_cselect_b32 s2, s12, s2
	s_add_co_i32 s11, s10, 1
	s_wait_alu 0xfffe
	s_cmp_ge_u32 s2, s18
	s_wait_dscnt 0x0
	s_cselect_b32 s2, s11, s10
	s_add_co_i32 s21, s31, -1
	s_wait_alu 0xfffe
	s_xor_b32 s2, s2, s3
	s_barrier_signal -1
	s_wait_alu 0xfffe
	s_sub_co_i32 s24, s2, s3
	s_barrier_wait -1
	s_abs_i32 s12, s7
	global_inv scope:SCOPE_SE
	s_cvt_f32_u32 s10, s12
                                        ; implicit-def: $sgpr17
	s_delay_alu instid0(SALU_CYCLE_3) | instskip(NEXT) | instid1(TRANS32_DEP_1)
	v_rcp_iflag_f32_e32 v1, s10
	v_readfirstlane_b32 s10, v1
	s_mul_f32 s2, s10, 0x4f7ffffe
	s_wait_alu 0xfffe
	s_delay_alu instid0(SALU_CYCLE_2) | instskip(SKIP_2) | instid1(SALU_CYCLE_1)
	s_cvt_u32_f32 s10, s2
	s_sub_co_i32 s2, 0, s12
	s_wait_alu 0xfffe
	s_mul_i32 s3, s2, s10
	s_abs_i32 s2, s21
	s_wait_alu 0xfffe
	s_mul_hi_u32 s11, s10, s3
	s_mov_b32 s3, 0
	s_wait_alu 0xfffe
	s_add_co_i32 s18, s10, s11
	s_cmp_lt_i32 s20, 0
	s_mov_b32 s19, s3
	s_cbranch_scc0 .LBB111_7
; %bb.6:
	s_mul_i32 s8, s4, s8
	s_mov_b32 s22, s3
	s_add_co_i32 s8, s24, s8
	s_delay_alu instid0(SALU_CYCLE_1) | instskip(NEXT) | instid1(SALU_CYCLE_1)
	s_mul_i32 s8, s8, s20
	s_sub_co_i32 s17, 1, s8
.LBB111_7:
	s_mul_u64 s[10:11], s[2:3], s[18:19]
	s_ashr_i32 s3, s21, 31
	s_and_not1_b32 vcc_lo, exec_lo, s22
	s_ashr_i32 s19, s7, 31
	s_cbranch_vccnz .LBB111_9
; %bb.8:
	s_mul_i32 s4, s27, s4
	s_delay_alu instid0(SALU_CYCLE_1) | instskip(NEXT) | instid1(SALU_CYCLE_1)
	s_add_co_i32 s4, s4, ttmp9
	s_mul_i32 s4, s4, s20
	s_delay_alu instid0(SALU_CYCLE_1)
	s_add_co_i32 s17, s4, 1
.LBB111_9:
	s_clause 0x2
	s_load_b32 s4, s[0:1], 0x48
	s_load_b64 s[20:21], s[0:1], 0x38
	s_load_b32 s7, s[0:1], 0x98
	s_mul_i32 s8, s11, s12
	s_xor_b32 s3, s3, s19
	s_sub_co_i32 s2, s2, s8
	s_add_co_i32 s10, s11, 1
	v_lshrrev_b32_e32 v51, 5, v0
	v_and_b32_e32 v52, 31, v0
	v_mov_b32_e32 v58, 0xff7fffff
	s_mul_i32 s24, s24, s14
	s_delay_alu instid0(VALU_DEP_3) | instskip(NEXT) | instid1(VALU_DEP_3)
	v_lshl_add_u32 v53, v51, 5, s34
	v_lshlrev_b32_e32 v57, 2, v52
	s_wait_kmcnt 0x0
	s_mul_i32 s22, s4, s26
	s_wait_alu 0xfffe
	s_sub_co_i32 s4, s2, s12
	s_ashr_i32 s23, s22, 31
	s_cmp_ge_u32 s2, s12
	s_cselect_b32 s8, s10, s11
	s_cselect_b32 s2, s4, s2
	s_add_co_i32 s4, s8, 1
	s_wait_alu 0xfffe
	s_cmp_ge_u32 s2, s12
	s_cselect_b32 s2, s4, s8
	s_add_co_i32 s4, s31, 31
	s_lshl_b32 s37, s30, 4
	s_ashr_i32 s8, s4, 31
	v_add_nc_u32_e32 v54, s37, v51
	s_lshr_b32 s8, s8, 27
	s_delay_alu instid0(SALU_CYCLE_1)
	s_add_co_i32 s4, s4, s8
	s_add_co_i32 s8, s37, 16
	s_ashr_i32 s35, s4, 5
	s_wait_alu 0xfffe
	s_xor_b32 s4, s2, s3
	s_min_i32 s33, s8, s35
	v_lshlrev_b32_e32 v56, 2, v54
	v_cmp_gt_i32_e64 s2, s33, v54
	s_sub_co_i32 s36, s4, s3
	s_and_saveexec_b32 s8, s2
	s_cbranch_execz .LBB111_17
; %bb.10:
	s_ashr_i32 s25, s24, 31
	s_wait_alu 0xfffe
	s_sub_co_i32 s10, s36, s5
	s_lshl_b64 s[28:29], s[24:25], 1
	s_cmp_neq_f32 s15, 0
	s_load_b64 s[38:39], s[0:1], 0x20
	v_dual_mov_b32 v59, 0 :: v_dual_lshlrev_b32 v2, 4, v52
	s_cselect_b32 vcc_lo, -1, 0
	s_abs_i32 s11, s6
	s_lshl_b64 s[40:41], s[22:23], 2
	s_wait_alu 0xfffe
	s_cvt_f32_u32 s3, s11
	s_add_nc_u64 s[40:41], s[20:21], s[40:41]
	v_subrev_nc_u32_e32 v3, s31, v52
	v_lshl_or_b32 v4, v51, 7, v57
	s_wait_alu 0xfffe
	v_rcp_iflag_f32_e32 v1, s3
	v_add_co_u32 v49, s25, s40, v56
	s_sub_co_i32 s4, 0, s11
	v_add_co_ci_u32_e64 v50, null, s41, 0, s25
	v_lshl_add_u32 v60, v51, 5, s34
	v_dual_mov_b32 v61, 0xff7fffff :: v_dual_add_nc_u32 v62, 1, v3
	v_dual_mov_b32 v66, v54 :: v_dual_add_nc_u32 v63, 0xe0, v4
	s_delay_alu instid0(TRANS32_DEP_1)
	v_readfirstlane_b32 s3, v1
	s_wait_kmcnt 0x0
	s_add_nc_u64 s[28:29], s[38:39], s[28:29]
	v_mov_b32_e32 v58, 0xff7fffff
	v_add_co_u32 v64, s25, s28, v2
	s_mul_f32 s3, s3, 0x4f7ffffe
	v_add_co_ci_u32_e64 v65, null, s29, 0, s25
	s_mov_b32 s14, s13
	s_wait_alu 0xfffe
	s_cvt_u32_f32 s3, s3
	s_mov_b32 s25, 0
	s_wait_alu 0xfffe
	s_delay_alu instid0(SALU_CYCLE_1) | instskip(NEXT) | instid1(SALU_CYCLE_1)
	s_mul_i32 s4, s4, s3
	s_mul_hi_u32 s4, s3, s4
	s_delay_alu instid0(SALU_CYCLE_1)
	s_add_co_i32 s28, s3, s4
	s_branch .LBB111_12
.LBB111_11:                             ;   in Loop: Header=BB111_12 Depth=1
	s_wait_alu 0xfffe
	s_or_b32 exec_lo, exec_lo, s4
	v_add_nc_u32_e32 v66, 4, v66
	v_add_co_u32 v49, s4, v49, 16
	s_wait_alu 0xf1ff
	v_add_co_ci_u32_e64 v50, null, 0, v50, s4
	s_delay_alu instid0(VALU_DEP_3)
	v_cmp_le_i32_e64 s3, s33, v66
	v_add_nc_u32_e32 v60, 0x80, v60
	v_add_nc_u32_e32 v63, 0x200, v63
	s_or_b32 s25, s3, s25
	s_wait_alu 0xfffe
	s_and_not1_b32 exec_lo, exec_lo, s25
	s_cbranch_execz .LBB111_16
.LBB111_12:                             ; =>This Inner Loop Header: Depth=1
	v_sub_nc_u32_e32 v1, 0, v60
	s_delay_alu instid0(VALU_DEP_1) | instskip(NEXT) | instid1(VALU_DEP_1)
	v_max_i32_e32 v1, v60, v1
	v_mul_hi_u32 v2, v1, s18
	s_delay_alu instid0(VALU_DEP_1) | instskip(NEXT) | instid1(VALU_DEP_1)
	v_mul_lo_u32 v3, v2, s12
	v_sub_nc_u32_e32 v1, v1, v3
	v_add_nc_u32_e32 v3, 1, v2
	s_delay_alu instid0(VALU_DEP_2) | instskip(SKIP_2) | instid1(VALU_DEP_1)
	v_subrev_nc_u32_e32 v4, s12, v1
	v_cmp_le_u32_e64 s3, s12, v1
	s_wait_alu 0xf1ff
	v_cndmask_b32_e64 v2, v2, v3, s3
	s_delay_alu instid0(VALU_DEP_3) | instskip(SKIP_1) | instid1(VALU_DEP_3)
	v_cndmask_b32_e64 v1, v1, v4, s3
	v_ashrrev_i32_e32 v3, 31, v60
	v_add_nc_u32_e32 v4, 1, v2
	s_delay_alu instid0(VALU_DEP_3) | instskip(NEXT) | instid1(VALU_DEP_3)
	v_cmp_le_u32_e64 s3, s12, v1
	v_xor_b32_e32 v3, s19, v3
	s_wait_alu 0xf1ff
	s_delay_alu instid0(VALU_DEP_2) | instskip(NEXT) | instid1(VALU_DEP_1)
	v_cndmask_b32_e64 v1, v2, v4, s3
	v_xor_b32_e32 v1, v1, v3
	s_delay_alu instid0(VALU_DEP_1) | instskip(NEXT) | instid1(VALU_DEP_1)
	v_sub_nc_u32_e32 v1, v1, v3
	v_add_nc_u32_e32 v2, s17, v1
	v_cmp_ge_i32_e64 s4, s10, v1
	s_delay_alu instid0(VALU_DEP_2) | instskip(NEXT) | instid1(VALU_DEP_1)
	v_sub_nc_u32_e32 v3, 0, v2
	v_max_i32_e32 v3, v2, v3
	v_ashrrev_i32_e32 v2, 31, v2
	s_wait_alu 0xfffe
	s_delay_alu instid0(VALU_DEP_2) | instskip(NEXT) | instid1(VALU_DEP_1)
	v_mul_hi_u32 v4, v3, s28
	v_mul_lo_u32 v4, v4, s11
	s_delay_alu instid0(VALU_DEP_1) | instskip(NEXT) | instid1(VALU_DEP_1)
	v_sub_nc_u32_e32 v3, v3, v4
	v_subrev_nc_u32_e32 v4, s11, v3
	v_cmp_le_u32_e64 s3, s11, v3
	s_wait_alu 0xf1ff
	s_delay_alu instid0(VALU_DEP_1) | instskip(NEXT) | instid1(VALU_DEP_1)
	v_cndmask_b32_e64 v3, v3, v4, s3
	v_subrev_nc_u32_e32 v4, s11, v3
	v_cmp_le_u32_e64 s3, s11, v3
	s_wait_alu 0xf1ff
	s_delay_alu instid0(VALU_DEP_1) | instskip(NEXT) | instid1(VALU_DEP_1)
	v_cndmask_b32_e64 v3, v3, v4, s3
	v_xor_b32_e32 v3, v3, v2
	s_delay_alu instid0(VALU_DEP_1) | instskip(NEXT) | instid1(VALU_DEP_1)
	v_sub_nc_u32_e32 v2, v3, v2
	v_cmp_ne_u32_e64 s3, 0, v2
	s_and_b32 s3, s3, s4
	s_wait_alu 0xfffe
	s_and_saveexec_b32 s4, s3
	s_wait_alu 0xfffe
	s_xor_b32 s3, exec_lo, s4
; %bb.13:                               ;   in Loop: Header=BB111_12 Depth=1
	ds_store_b32 v63, v61
; %bb.14:                               ;   in Loop: Header=BB111_12 Depth=1
	s_wait_alu 0xfffe
	s_and_not1_saveexec_b32 s4, s3
	s_cbranch_execz .LBB111_11
; %bb.15:                               ;   in Loop: Header=BB111_12 Depth=1
	global_load_b32 v1, v[49:50], off
	s_wait_loadcnt 0x0
	v_mad_co_i64_i32 v[1:2], null, v1, s14, 0
	s_delay_alu instid0(VALU_DEP_1) | instskip(NEXT) | instid1(VALU_DEP_1)
	v_lshlrev_b64_e32 v[1:2], 1, v[1:2]
	v_add_co_u32 v41, s3, v64, v1
	s_wait_alu 0xf1ff
	s_delay_alu instid0(VALU_DEP_2)
	v_add_co_ci_u32_e64 v42, null, v65, v2, s3
	s_clause 0xb
	global_load_b128 v[33:36], v[41:42], off
	global_load_b128 v[29:32], v[41:42], off offset:512
	global_load_b128 v[25:28], v[41:42], off offset:1024
	;; [unrolled: 1-line block ×11, first 2 shown]
	ds_load_b128 v[67:70], v59
	s_wait_dscnt 0x0
	v_lshrrev_b32_e32 v71, 16, v67
	v_and_b32_e32 v67, 0xffff, v67
	v_lshrrev_b32_e32 v76, 16, v68
	v_lshrrev_b32_e32 v80, 16, v69
	;; [unrolled: 1-line block ×3, first 2 shown]
	v_and_b32_e32 v68, 0xffff, v68
	v_and_b32_e32 v69, 0xffff, v69
	;; [unrolled: 1-line block ×3, first 2 shown]
	;;#ASMSTART
	v_cvt_f32_f16 v72, v67;
	;;#ASMEND
	;;#ASMSTART
	v_cvt_f32_f16 v67, v71;
	;;#ASMEND
	s_wait_loadcnt 0xb
	v_lshrrev_b32_e32 v78, 16, v34
	v_lshrrev_b32_e32 v82, 16, v35
	v_lshrrev_b32_e32 v86, 16, v36
	v_lshrrev_b32_e32 v71, 16, v33
	v_and_b32_e32 v33, 0xffff, v33
	v_and_b32_e32 v34, 0xffff, v34
	;; [unrolled: 1-line block ×4, first 2 shown]
	s_wait_loadcnt 0x7
	v_lshrrev_b32_e32 v126, 16, v17
	v_and_b32_e32 v127, 0xffff, v17
	v_lshrrev_b32_e32 v128, 16, v18
	v_and_b32_e32 v129, 0xffff, v18
	;; [unrolled: 2-line block ×4, first 2 shown]
	;;#ASMSTART
	v_cvt_f32_f16 v73, v33;
	;;#ASMEND
	;;#ASMSTART
	v_cvt_f32_f16 v74, v71;
	;;#ASMEND
	;; [unrolled: 3-line block ×14, first 2 shown]
	ds_load_b128 v[17:20], v59 offset:16
	s_wait_loadcnt 0x4
	v_lshrrev_b32_e32 v69, 16, v1
	v_and_b32_e32 v71, 0xffff, v1
	v_lshrrev_b32_e32 v68, 16, v2
	v_and_b32_e32 v70, 0xffff, v2
	;; [unrolled: 2-line block ×3, first 2 shown]
	v_lshrrev_b32_e32 v92, 16, v30
	v_lshrrev_b32_e32 v96, 16, v31
	;; [unrolled: 1-line block ×3, first 2 shown]
	v_and_b32_e32 v31, 0xffff, v31
	v_and_b32_e32 v32, 0xffff, v32
	v_lshrrev_b32_e32 v134, 16, v13
	v_and_b32_e32 v135, 0xffff, v13
	v_lshrrev_b32_e32 v136, 16, v14
	;; [unrolled: 2-line block ×4, first 2 shown]
	v_and_b32_e32 v145, 0xffff, v10
	s_wait_dscnt 0x0
	v_and_b32_e32 v1, 0xffff, v17
	v_lshrrev_b32_e32 v2, 16, v17
	;;#ASMSTART
	v_cvt_f32_f16 v1, v1;
	;;#ASMEND
	;;#ASMSTART
	v_cvt_f32_f16 v2, v2;
	;;#ASMEND
	;; [unrolled: 3-line block ×3, first 2 shown]
	v_dual_mul_f32 v1, v1, v87 :: v_dual_and_b32 v30, 0xffff, v30
	v_lshrrev_b32_e32 v146, 16, v11
	v_and_b32_e32 v147, 0xffff, v11
	v_lshrrev_b32_e32 v148, 16, v12
	v_and_b32_e32 v149, 0xffff, v12
	;; [unrolled: 2-line block ×5, first 2 shown]
	;;#ASMSTART
	v_cvt_f32_f16 v88, v88;
	;;#ASMEND
	;;#ASMSTART
	v_cvt_f32_f16 v89, v10;
	;;#ASMEND
	;; [unrolled: 3-line block ×3, first 2 shown]
	v_fmac_f32_e32 v1, v72, v73
	;;#ASMSTART
	v_cvt_f32_f16 v91, v30;
	;;#ASMEND
	;;#ASMSTART
	v_cvt_f32_f16 v92, v92;
	;;#ASMEND
	;; [unrolled: 3-line block ×10, first 2 shown]
	ds_load_b128 v[17:20], v59 offset:32
	v_mul_f32_e32 v2, v2, v88
	v_lshrrev_b32_e32 v104, 16, v25
	v_and_b32_e32 v25, 0xffff, v25
	v_lshrrev_b32_e32 v108, 16, v26
	v_lshrrev_b32_e32 v112, 16, v27
	v_dual_fmac_f32 v2, v67, v74 :: v_dual_and_b32 v111, 0xffff, v27
	v_lshrrev_b32_e32 v116, 16, v28
	v_lshrrev_b32_e32 v150, 16, v3
	v_and_b32_e32 v151, 0xffff, v3
	v_lshrrev_b32_e32 v152, 16, v4
	v_and_b32_e32 v153, 0xffff, v4
	s_wait_loadcnt 0x3
	v_lshrrev_b32_e32 v29, 16, v5
	v_and_b32_e32 v31, 0xffff, v5
	v_and_b32_e32 v30, 0xffff, v6
	;; [unrolled: 1-line block ×3, first 2 shown]
	v_lshrrev_b32_e32 v117, 16, v21
	v_lshrrev_b32_e32 v121, 16, v23
	;; [unrolled: 1-line block ×3, first 2 shown]
	s_wait_dscnt 0x0
	v_lshrrev_b32_e32 v3, 16, v17
	v_and_b32_e32 v4, 0xffff, v17
	v_lshrrev_b32_e32 v5, 16, v18
	;;#ASMSTART
	v_cvt_f32_f16 v101, v4;
	;;#ASMEND
	;;#ASMSTART
	v_cvt_f32_f16 v102, v3;
	;;#ASMEND
	;; [unrolled: 3-line block ×4, first 2 shown]
	v_dual_fmac_f32 v2, v102, v104 :: v_dual_and_b32 v107, 0xffff, v26
	v_lshrrev_b32_e32 v26, 16, v6
	v_and_b32_e32 v6, 0xffff, v18
	v_dual_fmac_f32 v1, v101, v103 :: v_dual_and_b32 v118, 0xffff, v21
	v_and_b32_e32 v122, 0xffff, v23
	v_lshrrev_b32_e32 v138, 16, v15
	v_and_b32_e32 v139, 0xffff, v15
	v_lshrrev_b32_e32 v23, 16, v7
	v_and_b32_e32 v27, 0xffff, v7
	v_lshrrev_b32_e32 v21, 16, v8
	v_lshrrev_b32_e32 v7, 16, v19
	v_lshrrev_b32_e32 v15, 16, v20
	v_and_b32_e32 v17, 0xffff, v20
	;;#ASMSTART
	v_cvt_f32_f16 v105, v6;
	;;#ASMEND
	;;#ASMSTART
	v_cvt_f32_f16 v106, v5;
	;;#ASMEND
	;; [unrolled: 3-line block ×3, first 2 shown]
	v_and_b32_e32 v124, 0xffff, v24
	v_and_b32_e32 v24, 0xffff, v8
	;; [unrolled: 1-line block ×3, first 2 shown]
	;;#ASMSTART
	v_cvt_f32_f16 v108, v108;
	;;#ASMEND
	;;#ASMSTART
	v_cvt_f32_f16 v109, v8;
	;;#ASMEND
	;; [unrolled: 3-line block ×9, first 2 shown]
	ds_load_b128 v[3:6], v59 offset:48
	s_wait_loadcnt 0x0
	v_lshrrev_b32_e32 v15, 16, v44
	v_and_b32_e32 v17, 0xffff, v44
	v_lshrrev_b32_e32 v140, 16, v16
	v_and_b32_e32 v141, 0xffff, v16
	v_lshrrev_b32_e32 v13, 16, v37
	v_lshrrev_b32_e32 v10, 16, v39
	v_and_b32_e32 v12, 0xffff, v39
	v_and_b32_e32 v39, 0xffff, v45
	v_lshrrev_b32_e32 v119, 16, v22
	v_lshrrev_b32_e32 v9, 16, v40
	v_and_b32_e32 v154, 0xffff, v40
	v_lshrrev_b32_e32 v25, 16, v41
	v_and_b32_e32 v28, 0xffff, v41
	;; [unrolled: 2-line block ×5, first 2 shown]
	s_wait_dscnt 0x0
	v_lshrrev_b32_e32 v7, 16, v3
	v_and_b32_e32 v3, 0xffff, v3
	;;#ASMSTART
	v_cvt_f32_f16 v44, v3;
	;;#ASMEND
	v_dual_mul_f32 v3, v97, v99 :: v_dual_and_b32 v120, 0xffff, v22
	v_lshrrev_b32_e32 v40, 16, v5
	v_lshrrev_b32_e32 v41, 16, v6
	;; [unrolled: 1-line block ×3, first 2 shown]
	s_delay_alu instid0(VALU_DEP_4) | instskip(SKIP_3) | instid1(VALU_DEP_4)
	v_dual_fmac_f32 v3, v83, v85 :: v_dual_and_b32 v34, 0xffff, v48
	v_lshrrev_b32_e32 v20, 16, v42
	v_and_b32_e32 v22, 0xffff, v42
	v_lshrrev_b32_e32 v18, 16, v43
	v_dual_fmac_f32 v3, v113, v115 :: v_dual_and_b32 v16, 0xffff, v37
	v_lshrrev_b32_e32 v37, 16, v45
	;;#ASMSTART
	v_cvt_f32_f16 v45, v7;
	;;#ASMEND
	v_mul_f32_e32 v7, v89, v91
	v_and_b32_e32 v19, 0xffff, v43
	v_lshrrev_b32_e32 v8, 16, v4
	v_and_b32_e32 v4, 0xffff, v4
	v_and_b32_e32 v5, 0xffff, v5
	v_dual_fmac_f32 v7, v75, v77 :: v_dual_and_b32 v6, 0xffff, v6
	;;#ASMSTART
	v_cvt_f32_f16 v46, v118;
	;;#ASMEND
	;;#ASMSTART
	v_cvt_f32_f16 v47, v117;
	;;#ASMEND
	;; [unrolled: 3-line block ×8, first 2 shown]
	v_fmac_f32_e32 v7, v105, v107
	v_fmac_f32_e32 v1, v44, v46
	;;#ASMSTART
	v_cvt_f32_f16 v120, v122;
	;;#ASMEND
	;;#ASMSTART
	v_cvt_f32_f16 v121, v121;
	;;#ASMEND
	;;#ASMSTART
	v_cvt_f32_f16 v122, v6;
	;;#ASMEND
	;;#ASMSTART
	v_cvt_f32_f16 v123, v41;
	;;#ASMEND
	;;#ASMSTART
	v_cvt_f32_f16 v124, v124;
	;;#ASMEND
	;;#ASMSTART
	v_cvt_f32_f16 v125, v125;
	;;#ASMEND
	ds_load_b128 v[40:43], v59 offset:64
	v_mul_f32_e32 v6, v90, v92
	v_mul_f32_e32 v4, v94, v96
	v_dual_mul_f32 v8, v98, v100 :: v_dual_mul_f32 v5, v93, v95
	v_fmac_f32_e32 v2, v45, v47
	s_delay_alu instid0(VALU_DEP_4) | instskip(NEXT) | instid1(VALU_DEP_4)
	v_fmac_f32_e32 v6, v76, v78
	v_fmac_f32_e32 v4, v80, v82
	s_delay_alu instid0(VALU_DEP_4) | instskip(SKIP_1) | instid1(VALU_DEP_4)
	v_dual_fmac_f32 v8, v84, v86 :: v_dual_fmac_f32 v5, v79, v81
	v_fmac_f32_e32 v7, v48, v88
	v_fmac_f32_e32 v6, v106, v108
	s_delay_alu instid0(VALU_DEP_4) | instskip(NEXT) | instid1(VALU_DEP_4)
	v_fmac_f32_e32 v4, v110, v112
	v_dual_fmac_f32 v8, v114, v116 :: v_dual_fmac_f32 v5, v109, v111
	s_delay_alu instid0(VALU_DEP_3) | instskip(NEXT) | instid1(VALU_DEP_3)
	v_dual_fmac_f32 v3, v122, v124 :: v_dual_fmac_f32 v6, v87, v117
	v_fmac_f32_e32 v4, v119, v121
	s_delay_alu instid0(VALU_DEP_3)
	v_dual_fmac_f32 v8, v123, v125 :: v_dual_fmac_f32 v5, v118, v120
	s_wait_dscnt 0x0
	v_lshrrev_b32_e32 v73, 16, v40
	v_and_b32_e32 v40, 0xffff, v40
	v_lshrrev_b32_e32 v92, 16, v41
	v_and_b32_e32 v41, 0xffff, v41
	;; [unrolled: 2-line block ×4, first 2 shown]
	;;#ASMSTART
	v_cvt_f32_f16 v72, v40;
	;;#ASMEND
	;;#ASMSTART
	v_cvt_f32_f16 v73, v73;
	;;#ASMEND
	;; [unrolled: 3-line block ×16, first 2 shown]
	ds_load_b128 v[40:43], v59 offset:80
	v_fmac_f32_e32 v2, v73, v90
	v_fmac_f32_e32 v6, v92, v94
	;; [unrolled: 1-line block ×3, first 2 shown]
	v_dual_fmac_f32 v8, v100, v127 :: v_dual_fmac_f32 v7, v91, v93
	v_fmac_f32_e32 v1, v72, v89
	v_fmac_f32_e32 v3, v99, v126
	;; [unrolled: 1-line block ×3, first 2 shown]
	s_wait_dscnt 0x0
	v_lshrrev_b32_e32 v74, 16, v40
	v_and_b32_e32 v40, 0xffff, v40
	v_lshrrev_b32_e32 v78, 16, v41
	v_and_b32_e32 v41, 0xffff, v41
	;; [unrolled: 2-line block ×4, first 2 shown]
	;;#ASMSTART
	v_cvt_f32_f16 v67, v40;
	;;#ASMEND
	;;#ASMSTART
	v_cvt_f32_f16 v74, v74;
	;;#ASMEND
	;; [unrolled: 3-line block ×16, first 2 shown]
	ds_load_b128 v[40:43], v59 offset:96
	v_fmac_f32_e32 v6, v78, v81
	v_fmac_f32_e32 v2, v74, v76
	;; [unrolled: 1-line block ×6, first 2 shown]
	v_dual_fmac_f32 v5, v128, v130 :: v_dual_fmac_f32 v4, v129, v131
	s_wait_dscnt 0x0
	v_lshrrev_b32_e32 v82, 16, v40
	v_and_b32_e32 v40, 0xffff, v40
	v_lshrrev_b32_e32 v86, 16, v41
	v_and_b32_e32 v41, 0xffff, v41
	;; [unrolled: 2-line block ×4, first 2 shown]
	;;#ASMSTART
	v_cvt_f32_f16 v80, v40;
	;;#ASMEND
	;;#ASMSTART
	v_cvt_f32_f16 v82, v82;
	;;#ASMEND
	;; [unrolled: 3-line block ×16, first 2 shown]
	ds_load_b128 v[40:43], v59 offset:112
	v_fmac_f32_e32 v2, v82, v84
	v_fmac_f32_e32 v6, v86, v103
	;; [unrolled: 1-line block ×4, first 2 shown]
	v_dual_fmac_f32 v8, v141, v143 :: v_dual_fmac_f32 v5, v136, v138
	v_dual_fmac_f32 v3, v140, v142 :: v_dual_fmac_f32 v4, v137, v139
	s_wait_dscnt 0x0
	v_lshrrev_b32_e32 v104, 16, v40
	v_and_b32_e32 v40, 0xffff, v40
	v_lshrrev_b32_e32 v106, 16, v41
	v_and_b32_e32 v41, 0xffff, v41
	;; [unrolled: 2-line block ×4, first 2 shown]
	;;#ASMSTART
	v_cvt_f32_f16 v102, v40;
	;;#ASMEND
	;;#ASMSTART
	v_cvt_f32_f16 v104, v104;
	;;#ASMEND
	;; [unrolled: 3-line block ×16, first 2 shown]
	ds_load_b128 v[40:43], v59 offset:128
	v_dual_fmac_f32 v2, v104, v69 :: v_dual_fmac_f32 v1, v102, v71
	v_dual_fmac_f32 v7, v105, v70 :: v_dual_fmac_f32 v6, v106, v68
	;; [unrolled: 1-line block ×4, first 2 shown]
	s_wait_dscnt 0x0
	v_lshrrev_b32_e32 v45, 16, v40
	v_and_b32_e32 v40, 0xffff, v40
	v_lshrrev_b32_e32 v47, 16, v41
	v_and_b32_e32 v41, 0xffff, v41
	;; [unrolled: 2-line block ×4, first 2 shown]
	;;#ASMSTART
	v_cvt_f32_f16 v44, v40;
	;;#ASMEND
	;;#ASMSTART
	v_cvt_f32_f16 v45, v45;
	;;#ASMEND
	;; [unrolled: 3-line block ×16, first 2 shown]
	ds_load_b128 v[40:43], v59 offset:144
	v_fmac_f32_e32 v1, v44, v31
	v_dual_fmac_f32 v7, v46, v30 :: v_dual_fmac_f32 v2, v45, v29
	v_fmac_f32_e32 v6, v47, v26
	v_fmac_f32_e32 v8, v112, v21
	;; [unrolled: 1-line block ×5, first 2 shown]
	s_wait_dscnt 0x0
	v_lshrrev_b32_e32 v67, 16, v40
	v_and_b32_e32 v40, 0xffff, v40
	v_lshrrev_b32_e32 v72, 16, v41
	v_and_b32_e32 v73, 0xffff, v41
	;; [unrolled: 2-line block ×4, first 2 shown]
	;;#ASMSTART
	v_cvt_f32_f16 v40, v40;
	;;#ASMEND
	;;#ASMSTART
	v_cvt_f32_f16 v41, v67;
	;;#ASMEND
	;; [unrolled: 3-line block ×16, first 2 shown]
	ds_load_b128 v[9:12], v59 offset:160
	v_fmac_f32_e32 v1, v40, v16
	v_dual_fmac_f32 v7, v42, v14 :: v_dual_fmac_f32 v2, v41, v13
	v_dual_fmac_f32 v3, v76, v78 :: v_dual_add_nc_u32 v110, v62, v60
	v_fmac_f32_e32 v8, v77, v79
	v_dual_fmac_f32 v6, v43, v67 :: v_dual_fmac_f32 v5, v72, v74
	s_delay_alu instid0(VALU_DEP_3)
	v_cvt_f32_i32_e32 v110, v110
	v_fmac_f32_e32 v4, v73, v75
	s_wait_dscnt 0x0
	v_lshrrev_b32_e32 v29, 16, v9
	v_and_b32_e32 v9, 0xffff, v9
	v_lshrrev_b32_e32 v44, 16, v10
	v_lshrrev_b32_e32 v45, 16, v11
	v_and_b32_e32 v11, 0xffff, v11
	v_lshrrev_b32_e32 v47, 16, v12
	;;#ASMSTART
	v_cvt_f32_f16 v26, v9;
	;;#ASMEND
	;;#ASMSTART
	v_cvt_f32_f16 v29, v29;
	;;#ASMEND
	;; [unrolled: 3-line block ×4, first 2 shown]
	v_fmac_f32_e32 v1, v26, v30
	v_and_b32_e32 v10, 0xffff, v10
	;;#ASMSTART
	v_cvt_f32_f16 v37, v10;
	;;#ASMEND
	;;#ASMSTART
	v_cvt_f32_f16 v39, v44;
	;;#ASMEND
	;; [unrolled: 3-line block ×3, first 2 shown]
	v_dual_fmac_f32 v7, v37, v38 :: v_dual_and_b32 v12, 0xffff, v12
	;;#ASMSTART
	v_cvt_f32_f16 v35, v35;
	;;#ASMEND
	;;#ASMSTART
	v_cvt_f32_f16 v44, v11;
	;;#ASMEND
	;; [unrolled: 3-line block ×9, first 2 shown]
	ds_load_b128 v[9:12], v59 offset:176
	v_fmac_f32_e32 v2, v29, v31
	v_fmac_f32_e32 v8, v47, v32
	v_dual_fmac_f32 v6, v39, v35 :: v_dual_fmac_f32 v5, v44, v36
	v_dual_fmac_f32 v4, v45, v33 :: v_dual_fmac_f32 v3, v46, v34
	s_wait_dscnt 0x0
	v_and_b32_e32 v13, 0xffff, v9
	v_lshrrev_b32_e32 v14, 16, v9
	v_lshrrev_b32_e32 v16, 16, v10
	v_and_b32_e32 v21, 0xffff, v10
	;;#ASMSTART
	v_cvt_f32_f16 v9, v13;
	;;#ASMEND
	;;#ASMSTART
	v_cvt_f32_f16 v10, v14;
	;;#ASMEND
	;; [unrolled: 3-line block ×4, first 2 shown]
	v_dual_fmac_f32 v1, v9, v13 :: v_dual_fmac_f32 v2, v10, v14
	;;#ASMSTART
	v_cvt_f32_f16 v9, v21;
	;;#ASMEND
	;;#ASMSTART
	v_cvt_f32_f16 v10, v16;
	;;#ASMEND
	;; [unrolled: 3-line block ×3, first 2 shown]
	v_fmac_f32_e32 v7, v9, v13
	v_add_f32_e32 v1, v1, v2
	;;#ASMSTART
	v_cvt_f32_f16 v2, v20;
	;;#ASMEND
	v_dual_fmac_f32 v6, v10, v2 :: v_dual_and_b32 v9, 0xffff, v11
	v_lshrrev_b32_e32 v11, 16, v11
	s_delay_alu instid0(VALU_DEP_3)
	v_add_f32_e32 v1, v1, v7
	;;#ASMSTART
	v_cvt_f32_f16 v2, v9;
	;;#ASMEND
	;;#ASMSTART
	v_cvt_f32_f16 v7, v11;
	;;#ASMEND
	;; [unrolled: 3-line block ×3, first 2 shown]
	v_fmac_f32_e32 v5, v2, v9
	v_add_f32_e32 v1, v6, v1
	;;#ASMSTART
	v_cvt_f32_f16 v2, v18;
	;;#ASMEND
	v_fmac_f32_e32 v4, v7, v2
	v_and_b32_e32 v6, 0xffff, v12
	v_lshrrev_b32_e32 v9, 16, v12
	v_add_f32_e32 v1, v1, v5
	;;#ASMSTART
	v_cvt_f32_f16 v2, v6;
	;;#ASMEND
	;;#ASMSTART
	v_cvt_f32_f16 v5, v9;
	;;#ASMEND
	;; [unrolled: 3-line block ×3, first 2 shown]
	v_fmac_f32_e32 v3, v2, v6
	v_dual_add_f32 v1, v4, v1 :: v_dual_mul_f32 v2, s15, v110
	;;#ASMSTART
	v_cvt_f32_f16 v4, v15;
	;;#ASMEND
	v_fmac_f32_e32 v8, v5, v4
	s_delay_alu instid0(VALU_DEP_2) | instskip(SKIP_1) | instid1(VALU_DEP_2)
	v_dual_add_f32 v1, v1, v3 :: v_dual_cndmask_b32 v2, 0, v2
	v_max_num_f32_e32 v3, v58, v58
	v_add_f32_e32 v1, v8, v1
	s_delay_alu instid0(VALU_DEP_1) | instskip(NEXT) | instid1(VALU_DEP_1)
	v_dual_fmac_f32 v2, s9, v1 :: v_dual_add_nc_u32 v1, v52, v60
	v_max_num_f32_e32 v3, v3, v2
	s_delay_alu instid0(VALU_DEP_2) | instskip(SKIP_1) | instid1(VALU_DEP_1)
	v_cmp_gt_i32_e64 s3, s31, v1
	s_wait_alu 0xf1ff
	v_cndmask_b32_e64 v1, 0, v2, s3
	s_delay_alu instid0(VALU_DEP_3)
	v_cndmask_b32_e64 v58, v58, v3, s3
	ds_store_b32 v63, v1
	s_branch .LBB111_11
.LBB111_16:
	s_or_b32 exec_lo, exec_lo, s25
.LBB111_17:
	s_delay_alu instid0(SALU_CYCLE_1)
	s_or_b32 exec_lo, exec_lo, s8
	v_mbcnt_lo_u32_b32 v1, -1, 0
	s_clause 0x2
	s_load_b128 s[8:11], s[0:1], 0x0
	s_load_b64 s[14:15], s[0:1], 0x10
	s_load_b64 s[28:29], s[0:1], 0x28
	v_xor_b32_e32 v2, 16, v1
	v_xor_b32_e32 v4, 8, v1
	s_delay_alu instid0(VALU_DEP_2) | instskip(SKIP_2) | instid1(VALU_DEP_3)
	v_cmp_gt_i32_e32 vcc_lo, 32, v2
	s_wait_alu 0xfffd
	v_cndmask_b32_e32 v2, v1, v2, vcc_lo
	v_cmp_gt_i32_e32 vcc_lo, 32, v4
	v_max_num_f32_e32 v5, v58, v58
	s_delay_alu instid0(VALU_DEP_3)
	v_lshlrev_b32_e32 v2, 2, v2
	s_wait_alu 0xfffd
	v_cndmask_b32_e32 v4, v1, v4, vcc_lo
	ds_bpermute_b32 v3, v2, v58
	s_wait_dscnt 0x0
	v_dual_max_num_f32 v6, v3, v3 :: v_dual_lshlrev_b32 v3, 2, v4
	s_delay_alu instid0(VALU_DEP_1)
	v_max_num_f32_e32 v4, v5, v6
	v_xor_b32_e32 v6, 4, v1
	ds_bpermute_b32 v5, v3, v4
	v_cmp_gt_i32_e32 vcc_lo, 32, v6
	s_wait_alu 0xfffd
	v_cndmask_b32_e32 v6, v1, v6, vcc_lo
	s_wait_dscnt 0x0
	v_max_num_f32_e32 v7, v5, v5
	s_delay_alu instid0(VALU_DEP_1)
	v_dual_max_num_f32 v4, v4, v7 :: v_dual_lshlrev_b32 v5, 2, v6
	v_xor_b32_e32 v7, 2, v1
	ds_bpermute_b32 v6, v5, v4
	v_cmp_gt_i32_e32 vcc_lo, 32, v7
	s_wait_dscnt 0x0
	s_wait_alu 0xfffd
	v_dual_cndmask_b32 v7, v1, v7 :: v_dual_max_num_f32 v6, v6, v6
	s_delay_alu instid0(VALU_DEP_1) | instskip(NEXT) | instid1(VALU_DEP_2)
	v_max_num_f32_e32 v4, v4, v6
	v_lshlrev_b32_e32 v10, 2, v7
	v_xor_b32_e32 v7, 1, v1
	s_delay_alu instid0(VALU_DEP_1)
	v_cmp_gt_i32_e32 vcc_lo, 32, v7
	s_wait_alu 0xfffd
	v_cndmask_b32_e32 v7, v1, v7, vcc_lo
	ds_bpermute_b32 v6, v10, v4
	v_cmp_eq_u32_e32 vcc_lo, 0, v52
	s_wait_dscnt 0x0
	v_dual_max_num_f32 v6, v6, v6 :: v_dual_lshlrev_b32 v9, 2, v7
	s_delay_alu instid0(VALU_DEP_1)
	v_dual_max_num_f32 v1, v4, v6 :: v_dual_lshlrev_b32 v6, 2, v51
	ds_bpermute_b32 v4, v9, v1
	s_and_saveexec_b32 s0, vcc_lo
	s_cbranch_execz .LBB111_19
; %bb.18:
	s_wait_dscnt 0x0
	v_dual_max_num_f32 v4, v4, v4 :: v_dual_max_num_f32 v1, v1, v1
	s_delay_alu instid0(VALU_DEP_1)
	v_max_num_f32_e32 v1, v1, v4
	ds_store_b32 v6, v1 offset:192
.LBB111_19:
	s_or_b32 exec_lo, exec_lo, s0
	v_cmp_gt_u32_e64 s0, 4, v52
	v_mov_b32_e32 v1, 0xff7fffff
	s_wait_loadcnt_dscnt 0x0
	s_barrier_signal -1
	s_barrier_wait -1
	global_inv scope:SCOPE_SE
	s_and_saveexec_b32 s1, s0
; %bb.20:
	ds_load_b32 v1, v57 offset:192
; %bb.21:
	s_or_b32 exec_lo, exec_lo, s1
	s_wait_dscnt 0x0
	ds_bpermute_b32 v4, v10, v1
	v_max_num_f32_e32 v1, v1, v1
	s_sub_co_i32 s1, s33, s37
	v_mov_b32_e32 v7, 0
	s_lshl_b32 s1, s1, 5
	s_delay_alu instid0(SALU_CYCLE_1) | instskip(NEXT) | instid1(SALU_CYCLE_1)
	s_add_co_i32 s1, s1, s34
	s_min_i32 s1, s1, s31
	s_delay_alu instid0(SALU_CYCLE_1) | instskip(SKIP_4) | instid1(VALU_DEP_1)
	s_sub_co_i32 s4, s1, s34
	s_wait_alu 0xfffe
	v_cmp_gt_i32_e64 s1, s4, v0
	s_wait_dscnt 0x0
	v_max_num_f32_e32 v4, v4, v4
	v_max_num_f32_e32 v1, v1, v4
	ds_bpermute_b32 v4, v9, v1
	s_wait_dscnt 0x0
	v_max_num_f32_e32 v4, v4, v4
	s_delay_alu instid0(VALU_DEP_1)
	v_max_num_f32_e32 v1, v1, v4
	v_lshl_add_u32 v4, v0, 2, 0xe0
	ds_bpermute_b32 v1, v7, v1
	s_and_saveexec_b32 s25, s1
	s_cbranch_execz .LBB111_25
; %bb.22:
	v_lshl_add_u32 v8, v0, 2, 0xe0
	v_mov_b32_e32 v7, 0
	v_mov_b32_e32 v11, v0
	s_mov_b32 s34, 0
.LBB111_23:                             ; =>This Inner Loop Header: Depth=1
	ds_load_b32 v12, v8
	v_add_nc_u32_e32 v11, 0x80, v11
	s_delay_alu instid0(VALU_DEP_1) | instskip(SKIP_4) | instid1(VALU_DEP_1)
	v_cmp_le_i32_e64 s3, s4, v11
	s_wait_alu 0xfffe
	s_or_b32 s34, s3, s34
	s_wait_dscnt 0x0
	v_sub_f32_e32 v12, v12, v1
	v_mul_f32_e32 v12, 0x3fb8aa3b, v12
	s_delay_alu instid0(VALU_DEP_1)
	v_exp_f32_e32 v12, v12
	ds_store_b32 v8, v12
	v_add_f32_e32 v7, v7, v12
	v_add_nc_u32_e32 v8, 0x200, v8
	s_wait_alu 0xfffe
	s_and_not1_b32 exec_lo, exec_lo, s34
	s_cbranch_execnz .LBB111_23
; %bb.24:
	s_or_b32 exec_lo, exec_lo, s34
.LBB111_25:
	s_wait_alu 0xfffe
	s_or_b32 exec_lo, exec_lo, s25
	ds_bpermute_b32 v2, v2, v7
	s_wait_dscnt 0x0
	v_add_f32_e32 v2, v7, v2
	ds_bpermute_b32 v3, v3, v2
	s_wait_dscnt 0x0
	v_add_f32_e32 v2, v2, v3
	;; [unrolled: 3-line block ×5, first 2 shown]
	s_and_saveexec_b32 s3, vcc_lo
; %bb.26:
	ds_store_b32 v6, v2 offset:208
; %bb.27:
	s_wait_alu 0xfffe
	s_or_b32 exec_lo, exec_lo, s3
	s_wait_loadcnt_dscnt 0x0
	s_barrier_signal -1
	s_barrier_wait -1
	global_inv scope:SCOPE_SE
	s_and_saveexec_b32 s3, s0
; %bb.28:
	ds_load_b32 v2, v57 offset:208
; %bb.29:
	s_wait_alu 0xfffe
	s_or_b32 exec_lo, exec_lo, s3
	s_wait_dscnt 0x0
	ds_bpermute_b32 v3, v10, v2
	s_wait_dscnt 0x0
	v_add_f32_e32 v2, v2, v3
	ds_bpermute_b32 v3, v9, v2
	s_wait_dscnt 0x0
	v_dual_add_f32 v2, v2, v3 :: v_dual_mov_b32 v3, 0
	ds_bpermute_b32 v2, v3, v2
	s_and_saveexec_b32 s0, s1
	s_cbranch_execz .LBB111_32
; %bb.30:
	s_wait_dscnt 0x0
	v_add_f32_e32 v3, 0x358637bd, v2
	s_mov_b32 s1, 0
	s_delay_alu instid0(VALU_DEP_1) | instskip(SKIP_1) | instid1(VALU_DEP_2)
	v_div_scale_f32 v5, null, v3, v3, 1.0
	v_div_scale_f32 v8, vcc_lo, 1.0, v3, 1.0
	v_rcp_f32_e32 v6, v5
	s_delay_alu instid0(TRANS32_DEP_1) | instskip(NEXT) | instid1(VALU_DEP_1)
	v_fma_f32 v7, -v5, v6, 1.0
	v_fmac_f32_e32 v6, v7, v6
	s_delay_alu instid0(VALU_DEP_1) | instskip(NEXT) | instid1(VALU_DEP_1)
	v_mul_f32_e32 v7, v8, v6
	v_fma_f32 v11, -v5, v7, v8
	s_delay_alu instid0(VALU_DEP_1) | instskip(NEXT) | instid1(VALU_DEP_1)
	v_fmac_f32_e32 v7, v11, v6
	v_fma_f32 v5, -v5, v7, v8
	s_wait_alu 0xfffd
	s_delay_alu instid0(VALU_DEP_1) | instskip(NEXT) | instid1(VALU_DEP_1)
	v_div_fmas_f32 v5, v5, v6, v7
	v_div_fixup_f32 v3, v5, v3, 1.0
	v_mov_b32_e32 v5, v0
.LBB111_31:                             ; =>This Inner Loop Header: Depth=1
	ds_load_b32 v6, v4
	s_wait_dscnt 0x0
	v_dual_mul_f32 v6, v3, v6 :: v_dual_add_nc_u32 v5, 0x80, v5
	s_delay_alu instid0(VALU_DEP_1) | instskip(SKIP_3) | instid1(SALU_CYCLE_1)
	v_cmp_le_i32_e32 vcc_lo, s4, v5
	ds_store_b32 v4, v6
	v_add_nc_u32_e32 v4, 0x200, v4
	s_or_b32 s1, vcc_lo, s1
	s_and_not1_b32 exec_lo, exec_lo, s1
	s_cbranch_execnz .LBB111_31
.LBB111_32:
	s_or_b32 exec_lo, exec_lo, s0
	s_mul_i32 s0, s7, s26
	s_wait_loadcnt_dscnt 0x0
	s_mul_i32 s26, s0, s27
	s_mov_b32 s0, exec_lo
	s_barrier_signal -1
	s_barrier_wait -1
	global_inv scope:SCOPE_SE
	v_cmpx_eq_u32_e32 0, v0
	s_cbranch_execz .LBB111_34
; %bb.33:
	s_ashr_i32 s27, s26, 31
	s_mul_i32 s38, s7, ttmp9
	s_lshl_b32 s1, s30, 2
	s_lshl_b64 s[40:41], s[26:27], 2
	s_ashr_i32 s39, s38, 31
	v_mov_b32_e32 v3, s1
	s_wait_kmcnt 0x0
	s_wait_alu 0xfffe
	s_add_nc_u64 s[10:11], s[10:11], s[40:41]
	s_lshl_b64 s[38:39], s[38:39], 2
	s_add_nc_u64 s[8:9], s[8:9], s[40:41]
	s_wait_alu 0xfffe
	s_add_nc_u64 s[10:11], s[10:11], s[38:39]
	s_add_nc_u64 s[8:9], s[8:9], s[38:39]
	s_clause 0x1
	global_store_b32 v3, v1, s[10:11]
	global_store_b32 v3, v2, s[8:9]
.LBB111_34:
	s_or_b32 exec_lo, exec_lo, s0
	v_dual_mov_b32 v22, 0 :: v_dual_and_b32 v11, 3, v0
	v_dual_mov_b32 v23, 0 :: v_dual_mov_b32 v20, 0
	v_dual_mov_b32 v21, 0 :: v_dual_mov_b32 v18, 0
	;; [unrolled: 1-line block ×5, first 2 shown]
	v_mov_b32_e32 v13, 0
	s_and_saveexec_b32 s1, s2
	s_cbranch_execz .LBB111_64
; %bb.35:
	s_abs_i32 s2, s6
	v_dual_mov_b32 v15, 0 :: v_dual_lshlrev_b32 v4, 5, v11
	s_wait_alu 0xfffe
	s_cvt_f32_u32 s0, s2
	s_ashr_i32 s25, s24, 31
	s_wait_kmcnt 0x0
	s_lshl_b64 s[8:9], s[22:23], 2
	v_dual_mov_b32 v12, 0 :: v_dual_and_b32 v3, 0x1f0, v55
	s_wait_alu 0xfffe
	v_rcp_iflag_f32_e32 v1, s0
	s_lshl_b64 s[10:11], s[24:25], 1
	s_add_nc_u64 s[8:9], s[20:21], s[8:9]
	v_dual_mov_b32 v13, 0 :: v_dual_lshlrev_b32 v2, 3, v0
	s_wait_alu 0xfffe
	s_add_nc_u64 s[10:11], s[28:29], s[10:11]
	v_add_co_u32 v5, s6, s8, v56
	s_sub_co_i32 s3, s36, s5
	s_sub_co_i32 s5, 0, s2
	s_delay_alu instid0(TRANS32_DEP_1)
	v_readfirstlane_b32 s0, v1
	v_lshl_or_b32 v1, v51, 7, v4
	v_add_co_ci_u32_e64 v6, null, s9, 0, s6
	s_wait_alu 0xfffe
	v_add_co_u32 v25, s6, s10, v3
	s_mul_f32 s0, s0, 0x4f7ffffe
	v_dual_mov_b32 v17, 0 :: v_dual_and_b32 v24, 24, v2
	v_add_co_ci_u32_e64 v26, null, s11, 0, s6
	s_wait_alu 0xfffe
	s_cvt_u32_f32 s0, s0
	v_dual_mov_b32 v14, 0 :: v_dual_add_nc_u32 v27, 0xe0, v1
	v_dual_mov_b32 v16, 0 :: v_dual_mov_b32 v19, 0
	s_wait_alu 0xfffe
	s_mul_i32 s5, s5, s0
	v_dual_mov_b32 v18, 0 :: v_dual_mov_b32 v21, 0
	v_dual_mov_b32 v20, 0 :: v_dual_mov_b32 v23, 0
	v_mov_b32_e32 v22, 0
	s_wait_alu 0xfffe
	s_mul_hi_u32 s6, s0, s5
	s_mov_b32 s4, s13
	s_add_co_i32 s35, s35, -1
	s_mov_b32 s5, 0
	s_wait_alu 0xfffe
	s_add_co_i32 s6, s0, s6
	s_branch .LBB111_38
.LBB111_36:                             ;   in Loop: Header=BB111_38 Depth=1
	s_wait_alu 0xfffe
	s_or_b32 exec_lo, exec_lo, s0
	v_dual_add_f32 v28, v65, v66 :: v_dual_add_f32 v29, v62, v63
	v_dual_add_f32 v30, v60, v61 :: v_dual_add_f32 v31, v58, v59
	s_delay_alu instid0(VALU_DEP_2) | instskip(NEXT) | instid1(VALU_DEP_2)
	v_dual_add_f32 v32, v56, v57 :: v_dual_add_f32 v13, v13, v28
	v_dual_add_f32 v14, v14, v29 :: v_dual_add_f32 v15, v15, v30
	v_dual_add_f32 v28, v50, v55 :: v_dual_lshlrev_b32 v29, 16, v64
	v_dual_add_f32 v30, v48, v49 :: v_dual_lshlrev_b32 v7, 16, v7
	v_lshlrev_b32_e32 v8, 16, v8
	s_delay_alu instid0(VALU_DEP_3) | instskip(NEXT) | instid1(VALU_DEP_4)
	v_add_f32_e32 v18, v18, v28
	v_and_or_b32 v1, 0xffff, v1, v29
	s_delay_alu instid0(VALU_DEP_4)
	v_and_or_b32 v3, 0xffff, v3, v7
	v_add_f32_e32 v19, v19, v30
	v_and_or_b32 v2, 0xffff, v2, v8
	;;#ASMSTART
	v_pk_mul_f16 v1, v35, v1;

	;;#ASMEND
	;;#ASMSTART
	v_pk_mul_f16 v2, v34, v2;

	;;#ASMEND
	;; [unrolled: 4-line block ×4, first 2 shown]
	;;#ASMSTART
	v_pk_add_f16 v1, v1, v2;

	;;#ASMEND
	;;#ASMSTART
	v_pk_add_f16 v1, v1, v3;

	;;#ASMEND
	;; [unrolled: 4-line block ×3, first 2 shown]
	v_dual_add_f32 v7, v46, v47 :: v_dual_and_b32 v4, 0xffff, v1
	v_lshrrev_b32_e32 v8, 16, v1
	;;#ASMSTART
	v_cvt_f32_f16 v4, v4;
	;;#ASMEND
	v_dual_add_f32 v1, v44, v45 :: v_dual_add_f32 v2, v42, v43
	v_add_f32_e32 v3, v36, v37
	;;#ASMSTART
	v_cvt_f32_f16 v8, v8;
	;;#ASMEND
	s_delay_alu instid0(VALU_DEP_2) | instskip(SKIP_3) | instid1(VALU_DEP_4)
	v_dual_add_f32 v4, v4, v8 :: v_dual_add_f32 v21, v21, v1
	v_dual_add_f32 v16, v16, v31 :: v_dual_add_f32 v17, v17, v32
	v_dual_add_f32 v20, v20, v7 :: v_dual_add_f32 v23, v23, v2
	v_add_f32_e32 v22, v22, v3
	v_add_f32_e32 v12, v12, v4
.LBB111_37:                             ;   in Loop: Header=BB111_38 Depth=1
	s_wait_alu 0xfffe
	s_or_b32 exec_lo, exec_lo, s8
	v_add_nc_u32_e32 v54, 4, v54
	v_add_co_u32 v5, s0, v5, 16
	s_wait_alu 0xf1ff
	v_add_co_ci_u32_e64 v6, null, 0, v6, s0
	s_delay_alu instid0(VALU_DEP_3)
	v_cmp_le_i32_e32 vcc_lo, s33, v54
	v_add_nc_u32_e32 v53, 0x80, v53
	v_add_nc_u32_e32 v27, 0x200, v27
	s_or_b32 s5, vcc_lo, s5
	s_wait_alu 0xfffe
	s_and_not1_b32 exec_lo, exec_lo, s5
	s_cbranch_execz .LBB111_63
.LBB111_38:                             ; =>This Inner Loop Header: Depth=1
	v_sub_nc_u32_e32 v1, 0, v53
	s_delay_alu instid0(VALU_DEP_1) | instskip(NEXT) | instid1(VALU_DEP_1)
	v_max_i32_e32 v1, v53, v1
	v_mul_hi_u32 v2, v1, s18
	s_delay_alu instid0(VALU_DEP_1) | instskip(NEXT) | instid1(VALU_DEP_1)
	v_mul_lo_u32 v3, v2, s12
	v_sub_nc_u32_e32 v1, v1, v3
	v_add_nc_u32_e32 v3, 1, v2
	s_delay_alu instid0(VALU_DEP_2) | instskip(SKIP_2) | instid1(VALU_DEP_2)
	v_subrev_nc_u32_e32 v4, s12, v1
	v_cmp_le_u32_e32 vcc_lo, s12, v1
	s_wait_alu 0xfffd
	v_dual_cndmask_b32 v2, v2, v3 :: v_dual_cndmask_b32 v1, v1, v4
	v_ashrrev_i32_e32 v3, 31, v53
	s_delay_alu instid0(VALU_DEP_2) | instskip(NEXT) | instid1(VALU_DEP_3)
	v_add_nc_u32_e32 v4, 1, v2
	v_cmp_le_u32_e32 vcc_lo, s12, v1
	s_delay_alu instid0(VALU_DEP_3) | instskip(SKIP_1) | instid1(VALU_DEP_3)
	v_xor_b32_e32 v3, s19, v3
	s_wait_alu 0xfffd
	v_cndmask_b32_e32 v1, v2, v4, vcc_lo
	s_delay_alu instid0(VALU_DEP_1) | instskip(NEXT) | instid1(VALU_DEP_1)
	v_xor_b32_e32 v1, v1, v3
	v_sub_nc_u32_e32 v1, v1, v3
	s_delay_alu instid0(VALU_DEP_1) | instskip(SKIP_1) | instid1(VALU_DEP_2)
	v_add_nc_u32_e32 v2, s17, v1
	v_cmp_lt_i32_e64 s0, s3, v1
	v_sub_nc_u32_e32 v3, 0, v2
	s_delay_alu instid0(VALU_DEP_1) | instskip(SKIP_1) | instid1(VALU_DEP_1)
	v_max_i32_e32 v3, v2, v3
	s_wait_alu 0xfffe
	v_mul_hi_u32 v4, v3, s6
	s_delay_alu instid0(VALU_DEP_1) | instskip(NEXT) | instid1(VALU_DEP_1)
	v_mul_lo_u32 v4, v4, s2
	v_sub_nc_u32_e32 v3, v3, v4
	s_delay_alu instid0(VALU_DEP_1) | instskip(SKIP_2) | instid1(VALU_DEP_2)
	v_subrev_nc_u32_e32 v4, s2, v3
	v_cmp_le_u32_e32 vcc_lo, s2, v3
	s_wait_alu 0xfffd
	v_cndmask_b32_e32 v3, v3, v4, vcc_lo
	v_ashrrev_i32_e32 v2, 31, v2
	s_delay_alu instid0(VALU_DEP_2) | instskip(SKIP_2) | instid1(VALU_DEP_2)
	v_subrev_nc_u32_e32 v4, s2, v3
	v_cmp_le_u32_e32 vcc_lo, s2, v3
	s_wait_alu 0xfffd
	v_cndmask_b32_e32 v3, v3, v4, vcc_lo
	s_delay_alu instid0(VALU_DEP_1) | instskip(NEXT) | instid1(VALU_DEP_1)
	v_xor_b32_e32 v3, v3, v2
	v_sub_nc_u32_e32 v2, v3, v2
	s_delay_alu instid0(VALU_DEP_1)
	v_cmp_eq_u32_e32 vcc_lo, 0, v2
	s_or_b32 s0, vcc_lo, s0
	s_wait_alu 0xfffe
	s_and_saveexec_b32 s8, s0
	s_cbranch_execz .LBB111_37
; %bb.39:                               ;   in Loop: Header=BB111_38 Depth=1
	global_load_b32 v7, v[5:6], off
	ds_load_2addr_b64 v[1:4], v27 offset1:1
	ds_load_2addr_b64 v[28:31], v27 offset0:2 offset1:3
	v_add_nc_u32_e32 v33, v24, v53
	s_wait_dscnt 0x1
	;;#ASMSTART
	v_cvt_f16_f32 v35, v1;

	;;#ASMEND
	;;#ASMSTART
	v_cvt_f16_f32 v34, v2;

	;;#ASMEND
	;; [unrolled: 4-line block ×4, first 2 shown]
	s_wait_dscnt 0x0
	;;#ASMSTART
	v_cvt_f16_f32 v43, v28;

	;;#ASMEND
	;;#ASMSTART
	v_cvt_f16_f32 v37, v29;

	;;#ASMEND
	;; [unrolled: 4-line block ×4, first 2 shown]
	v_add_nc_u32_e32 v41, 1, v33
	v_add_nc_u32_e32 v39, 2, v33
	;; [unrolled: 1-line block ×7, first 2 shown]
	s_wait_loadcnt 0x0
	v_mad_co_i64_i32 v[7:8], null, v7, s4, 0
	s_delay_alu instid0(VALU_DEP_1) | instskip(NEXT) | instid1(VALU_DEP_1)
	v_lshlrev_b64_e32 v[7:8], 1, v[7:8]
	v_add_co_u32 v7, vcc_lo, v25, v7
	s_wait_alu 0xfffd
	s_delay_alu instid0(VALU_DEP_2)
	v_add_co_ci_u32_e64 v8, null, v26, v8, vcc_lo
	v_cmp_eq_u32_e32 vcc_lo, s35, v54
	global_load_b128 v[1:4], v[7:8], off
	s_wait_loadcnt 0x0
	v_lshrrev_b32_e32 v46, 16, v1
	v_lshrrev_b32_e32 v45, 16, v2
	;; [unrolled: 1-line block ×3, first 2 shown]
	s_and_saveexec_b32 s9, vcc_lo
	s_cbranch_execz .LBB111_41
; %bb.40:                               ;   in Loop: Header=BB111_38 Depth=1
	v_cmp_gt_i32_e64 s0, s31, v33
	v_and_b32_e32 v47, 0xffff, v4
	v_and_b32_e32 v4, 0xffff0000, v4
	s_wait_alu 0xf1ff
	s_delay_alu instid0(VALU_DEP_3) | instskip(SKIP_2) | instid1(VALU_DEP_1)
	v_cndmask_b32_e64 v1, 0, v1, s0
	v_cmp_gt_i32_e64 s0, s31, v41
	s_wait_alu 0xf1ff
	v_cndmask_b32_e64 v46, 0, v46, s0
	v_cmp_gt_i32_e64 s0, s31, v39
	s_wait_alu 0xf1ff
	s_delay_alu instid0(VALU_DEP_1) | instskip(SKIP_2) | instid1(VALU_DEP_1)
	v_cndmask_b32_e64 v2, 0, v2, s0
	v_cmp_gt_i32_e64 s0, s31, v30
	s_wait_alu 0xf1ff
	v_cndmask_b32_e64 v45, 0, v45, s0
	v_cmp_gt_i32_e64 s0, s31, v31
	s_wait_alu 0xf1ff
	s_delay_alu instid0(VALU_DEP_1) | instskip(SKIP_2) | instid1(VALU_DEP_1)
	v_cndmask_b32_e64 v47, 0, v47, s0
	v_cmp_gt_i32_e64 s0, s31, v32
	s_wait_alu 0xf1ff
	v_cndmask_b32_e64 v4, 0, v4, s0
	v_cmp_gt_i32_e64 s0, s31, v29
	s_delay_alu instid0(VALU_DEP_2) | instskip(SKIP_1) | instid1(VALU_DEP_2)
	v_or_b32_e32 v4, v47, v4
	s_wait_alu 0xf1ff
	v_cndmask_b32_e64 v3, 0, v3, s0
	v_cmp_gt_i32_e64 s0, s31, v28
	s_wait_alu 0xf1ff
	s_delay_alu instid0(VALU_DEP_1)
	v_cndmask_b32_e64 v44, 0, v44, s0
.LBB111_41:                             ;   in Loop: Header=BB111_38 Depth=1
	s_wait_alu 0xfffe
	s_or_b32 exec_lo, exec_lo, s9
	v_and_b32_e32 v35, 0xffff, v35
	v_and_b32_e32 v42, 0xffff, v42
	v_lshlrev_b32_e32 v46, 16, v46
	v_lshlrev_b32_e32 v44, 16, v44
	v_and_b32_e32 v43, 0xffff, v43
	v_lshl_or_b32 v35, v34, 16, v35
	v_lshl_or_b32 v34, v38, 16, v42
	v_lshlrev_b32_e32 v42, 16, v45
	v_and_b32_e32 v40, 0xffff, v40
	v_and_or_b32 v1, 0xffff, v1, v46
	v_and_or_b32 v3, 0xffff, v3, v44
	;;#ASMSTART
	v_pk_mul_f16 v1, v35, v1;

	;;#ASMEND
	v_and_or_b32 v2, 0xffff, v2, v42
	v_lshl_or_b32 v38, v37, 16, v43
	v_lshl_or_b32 v40, v36, 16, v40
	;;#ASMSTART
	v_pk_mul_f16 v2, v34, v2;

	;;#ASMEND
	;;#ASMSTART
	v_pk_mul_f16 v3, v38, v3;

	;;#ASMEND
	;; [unrolled: 4-line block ×3, first 2 shown]
	;;#ASMSTART
	v_pk_add_f16 v1, v1, v2;

	;;#ASMEND
	;;#ASMSTART
	v_pk_add_f16 v1, v1, v3;

	;;#ASMEND
	;; [unrolled: 4-line block ×3, first 2 shown]
	v_and_b32_e32 v2, 0xffff, v1
	v_lshrrev_b32_e32 v1, 16, v1
	;;#ASMSTART
	v_cvt_f32_f16 v36, v2;
	;;#ASMEND
	;;#ASMSTART
	v_cvt_f32_f16 v37, v1;
	;;#ASMEND
	global_load_b128 v[1:4], v[7:8], off offset:512
	s_wait_loadcnt 0x0
	v_lshrrev_b32_e32 v44, 16, v1
	v_lshrrev_b32_e32 v43, 16, v2
	;; [unrolled: 1-line block ×3, first 2 shown]
	s_and_saveexec_b32 s9, vcc_lo
	s_cbranch_execz .LBB111_43
; %bb.42:                               ;   in Loop: Header=BB111_38 Depth=1
	v_cmp_gt_i32_e64 s0, s31, v33
	v_and_b32_e32 v45, 0xffff, v4
	v_and_b32_e32 v4, 0xffff0000, v4
	s_wait_alu 0xf1ff
	s_delay_alu instid0(VALU_DEP_3) | instskip(SKIP_2) | instid1(VALU_DEP_1)
	v_cndmask_b32_e64 v1, 0, v1, s0
	v_cmp_gt_i32_e64 s0, s31, v41
	s_wait_alu 0xf1ff
	v_cndmask_b32_e64 v44, 0, v44, s0
	v_cmp_gt_i32_e64 s0, s31, v39
	s_wait_alu 0xf1ff
	s_delay_alu instid0(VALU_DEP_1) | instskip(SKIP_2) | instid1(VALU_DEP_1)
	v_cndmask_b32_e64 v2, 0, v2, s0
	v_cmp_gt_i32_e64 s0, s31, v30
	s_wait_alu 0xf1ff
	v_cndmask_b32_e64 v43, 0, v43, s0
	v_cmp_gt_i32_e64 s0, s31, v31
	s_wait_alu 0xf1ff
	s_delay_alu instid0(VALU_DEP_1) | instskip(SKIP_2) | instid1(VALU_DEP_1)
	v_cndmask_b32_e64 v45, 0, v45, s0
	v_cmp_gt_i32_e64 s0, s31, v32
	s_wait_alu 0xf1ff
	v_cndmask_b32_e64 v4, 0, v4, s0
	v_cmp_gt_i32_e64 s0, s31, v29
	s_delay_alu instid0(VALU_DEP_2) | instskip(SKIP_1) | instid1(VALU_DEP_2)
	v_or_b32_e32 v4, v45, v4
	s_wait_alu 0xf1ff
	v_cndmask_b32_e64 v3, 0, v3, s0
	v_cmp_gt_i32_e64 s0, s31, v28
	s_wait_alu 0xf1ff
	s_delay_alu instid0(VALU_DEP_1)
	v_cndmask_b32_e64 v42, 0, v42, s0
.LBB111_43:                             ;   in Loop: Header=BB111_38 Depth=1
	s_wait_alu 0xfffe
	s_or_b32 exec_lo, exec_lo, s9
	v_lshlrev_b32_e32 v44, 16, v44
	v_lshlrev_b32_e32 v43, 16, v43
	;; [unrolled: 1-line block ×3, first 2 shown]
	s_delay_alu instid0(VALU_DEP_3) | instskip(NEXT) | instid1(VALU_DEP_3)
	v_and_or_b32 v1, 0xffff, v1, v44
	v_and_or_b32 v2, 0xffff, v2, v43
	s_delay_alu instid0(VALU_DEP_3)
	v_and_or_b32 v3, 0xffff, v3, v42
	;;#ASMSTART
	v_pk_mul_f16 v1, v35, v1;

	;;#ASMEND
	;;#ASMSTART
	v_pk_mul_f16 v2, v34, v2;

	;;#ASMEND
	;; [unrolled: 4-line block ×4, first 2 shown]
	;;#ASMSTART
	v_pk_add_f16 v1, v1, v2;

	;;#ASMEND
	;;#ASMSTART
	v_pk_add_f16 v1, v1, v3;

	;;#ASMEND
	;; [unrolled: 4-line block ×3, first 2 shown]
	v_and_b32_e32 v2, 0xffff, v1
	v_lshrrev_b32_e32 v1, 16, v1
	;;#ASMSTART
	v_cvt_f32_f16 v42, v2;
	;;#ASMEND
	;;#ASMSTART
	v_cvt_f32_f16 v43, v1;
	;;#ASMEND
	global_load_b128 v[1:4], v[7:8], off offset:1024
	s_wait_loadcnt 0x0
	v_lshrrev_b32_e32 v46, 16, v1
	v_lshrrev_b32_e32 v45, 16, v2
	;; [unrolled: 1-line block ×3, first 2 shown]
	s_and_saveexec_b32 s9, vcc_lo
	s_cbranch_execz .LBB111_45
; %bb.44:                               ;   in Loop: Header=BB111_38 Depth=1
	v_cmp_gt_i32_e64 s0, s31, v33
	v_and_b32_e32 v47, 0xffff, v4
	v_and_b32_e32 v4, 0xffff0000, v4
	s_wait_alu 0xf1ff
	s_delay_alu instid0(VALU_DEP_3) | instskip(SKIP_2) | instid1(VALU_DEP_1)
	v_cndmask_b32_e64 v1, 0, v1, s0
	v_cmp_gt_i32_e64 s0, s31, v41
	s_wait_alu 0xf1ff
	v_cndmask_b32_e64 v46, 0, v46, s0
	v_cmp_gt_i32_e64 s0, s31, v39
	s_wait_alu 0xf1ff
	s_delay_alu instid0(VALU_DEP_1) | instskip(SKIP_2) | instid1(VALU_DEP_1)
	v_cndmask_b32_e64 v2, 0, v2, s0
	v_cmp_gt_i32_e64 s0, s31, v30
	s_wait_alu 0xf1ff
	v_cndmask_b32_e64 v45, 0, v45, s0
	v_cmp_gt_i32_e64 s0, s31, v31
	s_wait_alu 0xf1ff
	s_delay_alu instid0(VALU_DEP_1) | instskip(SKIP_2) | instid1(VALU_DEP_1)
	v_cndmask_b32_e64 v47, 0, v47, s0
	v_cmp_gt_i32_e64 s0, s31, v32
	s_wait_alu 0xf1ff
	v_cndmask_b32_e64 v4, 0, v4, s0
	v_cmp_gt_i32_e64 s0, s31, v29
	s_delay_alu instid0(VALU_DEP_2) | instskip(SKIP_1) | instid1(VALU_DEP_2)
	v_or_b32_e32 v4, v47, v4
	s_wait_alu 0xf1ff
	v_cndmask_b32_e64 v3, 0, v3, s0
	v_cmp_gt_i32_e64 s0, s31, v28
	s_wait_alu 0xf1ff
	s_delay_alu instid0(VALU_DEP_1)
	v_cndmask_b32_e64 v44, 0, v44, s0
.LBB111_45:                             ;   in Loop: Header=BB111_38 Depth=1
	s_wait_alu 0xfffe
	s_or_b32 exec_lo, exec_lo, s9
	v_lshlrev_b32_e32 v46, 16, v46
	v_lshlrev_b32_e32 v45, 16, v45
	v_lshlrev_b32_e32 v44, 16, v44
	s_delay_alu instid0(VALU_DEP_3) | instskip(NEXT) | instid1(VALU_DEP_3)
	v_and_or_b32 v1, 0xffff, v1, v46
	v_and_or_b32 v2, 0xffff, v2, v45
	s_delay_alu instid0(VALU_DEP_3)
	v_and_or_b32 v3, 0xffff, v3, v44
	;;#ASMSTART
	v_pk_mul_f16 v1, v35, v1;

	;;#ASMEND
	;;#ASMSTART
	v_pk_mul_f16 v2, v34, v2;

	;;#ASMEND
	;;#ASMSTART
	v_pk_mul_f16 v3, v38, v3;

	;;#ASMEND
	;;#ASMSTART
	v_pk_mul_f16 v4, v40, v4;

	;;#ASMEND
	;;#ASMSTART
	v_pk_add_f16 v1, v1, v2;

	;;#ASMEND
	;;#ASMSTART
	v_pk_add_f16 v1, v1, v3;

	;;#ASMEND
	;; [unrolled: 4-line block ×3, first 2 shown]
	v_and_b32_e32 v2, 0xffff, v1
	v_lshrrev_b32_e32 v1, 16, v1
	;;#ASMSTART
	v_cvt_f32_f16 v44, v2;
	;;#ASMEND
	;;#ASMSTART
	v_cvt_f32_f16 v45, v1;
	;;#ASMEND
	global_load_b128 v[1:4], v[7:8], off offset:1536
	s_wait_loadcnt 0x0
	v_lshrrev_b32_e32 v48, 16, v1
	v_lshrrev_b32_e32 v47, 16, v2
	;; [unrolled: 1-line block ×3, first 2 shown]
	s_and_saveexec_b32 s9, vcc_lo
	s_cbranch_execz .LBB111_47
; %bb.46:                               ;   in Loop: Header=BB111_38 Depth=1
	v_cmp_gt_i32_e64 s0, s31, v33
	v_and_b32_e32 v49, 0xffff, v4
	v_and_b32_e32 v4, 0xffff0000, v4
	s_wait_alu 0xf1ff
	s_delay_alu instid0(VALU_DEP_3) | instskip(SKIP_2) | instid1(VALU_DEP_1)
	v_cndmask_b32_e64 v1, 0, v1, s0
	v_cmp_gt_i32_e64 s0, s31, v41
	s_wait_alu 0xf1ff
	v_cndmask_b32_e64 v48, 0, v48, s0
	v_cmp_gt_i32_e64 s0, s31, v39
	s_wait_alu 0xf1ff
	s_delay_alu instid0(VALU_DEP_1) | instskip(SKIP_2) | instid1(VALU_DEP_1)
	v_cndmask_b32_e64 v2, 0, v2, s0
	v_cmp_gt_i32_e64 s0, s31, v30
	s_wait_alu 0xf1ff
	v_cndmask_b32_e64 v47, 0, v47, s0
	v_cmp_gt_i32_e64 s0, s31, v31
	s_wait_alu 0xf1ff
	s_delay_alu instid0(VALU_DEP_1) | instskip(SKIP_2) | instid1(VALU_DEP_1)
	v_cndmask_b32_e64 v49, 0, v49, s0
	v_cmp_gt_i32_e64 s0, s31, v32
	s_wait_alu 0xf1ff
	v_cndmask_b32_e64 v4, 0, v4, s0
	v_cmp_gt_i32_e64 s0, s31, v29
	s_delay_alu instid0(VALU_DEP_2) | instskip(SKIP_1) | instid1(VALU_DEP_2)
	v_or_b32_e32 v4, v49, v4
	s_wait_alu 0xf1ff
	v_cndmask_b32_e64 v3, 0, v3, s0
	v_cmp_gt_i32_e64 s0, s31, v28
	s_wait_alu 0xf1ff
	s_delay_alu instid0(VALU_DEP_1)
	v_cndmask_b32_e64 v46, 0, v46, s0
.LBB111_47:                             ;   in Loop: Header=BB111_38 Depth=1
	s_wait_alu 0xfffe
	s_or_b32 exec_lo, exec_lo, s9
	v_lshlrev_b32_e32 v48, 16, v48
	v_lshlrev_b32_e32 v47, 16, v47
	;; [unrolled: 1-line block ×3, first 2 shown]
	s_delay_alu instid0(VALU_DEP_3) | instskip(NEXT) | instid1(VALU_DEP_3)
	v_and_or_b32 v1, 0xffff, v1, v48
	v_and_or_b32 v2, 0xffff, v2, v47
	s_delay_alu instid0(VALU_DEP_3)
	v_and_or_b32 v3, 0xffff, v3, v46
	;;#ASMSTART
	v_pk_mul_f16 v1, v35, v1;

	;;#ASMEND
	;;#ASMSTART
	v_pk_mul_f16 v2, v34, v2;

	;;#ASMEND
	;; [unrolled: 4-line block ×4, first 2 shown]
	;;#ASMSTART
	v_pk_add_f16 v1, v1, v2;

	;;#ASMEND
	;;#ASMSTART
	v_pk_add_f16 v1, v1, v3;

	;;#ASMEND
	;; [unrolled: 4-line block ×3, first 2 shown]
	v_and_b32_e32 v2, 0xffff, v1
	v_lshrrev_b32_e32 v1, 16, v1
	;;#ASMSTART
	v_cvt_f32_f16 v46, v2;
	;;#ASMEND
	;;#ASMSTART
	v_cvt_f32_f16 v47, v1;
	;;#ASMEND
	global_load_b128 v[1:4], v[7:8], off offset:2048
	s_wait_loadcnt 0x0
	v_lshrrev_b32_e32 v50, 16, v1
	v_lshrrev_b32_e32 v49, 16, v2
	;; [unrolled: 1-line block ×3, first 2 shown]
	s_and_saveexec_b32 s9, vcc_lo
	s_cbranch_execz .LBB111_49
; %bb.48:                               ;   in Loop: Header=BB111_38 Depth=1
	v_cmp_gt_i32_e64 s0, s31, v33
	v_and_b32_e32 v55, 0xffff, v4
	v_and_b32_e32 v4, 0xffff0000, v4
	s_wait_alu 0xf1ff
	s_delay_alu instid0(VALU_DEP_3) | instskip(SKIP_2) | instid1(VALU_DEP_1)
	v_cndmask_b32_e64 v1, 0, v1, s0
	v_cmp_gt_i32_e64 s0, s31, v41
	s_wait_alu 0xf1ff
	v_cndmask_b32_e64 v50, 0, v50, s0
	v_cmp_gt_i32_e64 s0, s31, v39
	s_wait_alu 0xf1ff
	s_delay_alu instid0(VALU_DEP_1) | instskip(SKIP_2) | instid1(VALU_DEP_1)
	v_cndmask_b32_e64 v2, 0, v2, s0
	v_cmp_gt_i32_e64 s0, s31, v30
	s_wait_alu 0xf1ff
	v_cndmask_b32_e64 v49, 0, v49, s0
	v_cmp_gt_i32_e64 s0, s31, v31
	s_wait_alu 0xf1ff
	s_delay_alu instid0(VALU_DEP_1) | instskip(SKIP_2) | instid1(VALU_DEP_1)
	v_cndmask_b32_e64 v55, 0, v55, s0
	v_cmp_gt_i32_e64 s0, s31, v32
	s_wait_alu 0xf1ff
	v_cndmask_b32_e64 v4, 0, v4, s0
	v_cmp_gt_i32_e64 s0, s31, v29
	s_delay_alu instid0(VALU_DEP_2) | instskip(SKIP_1) | instid1(VALU_DEP_2)
	v_or_b32_e32 v4, v55, v4
	s_wait_alu 0xf1ff
	v_cndmask_b32_e64 v3, 0, v3, s0
	v_cmp_gt_i32_e64 s0, s31, v28
	s_wait_alu 0xf1ff
	s_delay_alu instid0(VALU_DEP_1)
	v_cndmask_b32_e64 v48, 0, v48, s0
.LBB111_49:                             ;   in Loop: Header=BB111_38 Depth=1
	s_wait_alu 0xfffe
	s_or_b32 exec_lo, exec_lo, s9
	v_lshlrev_b32_e32 v50, 16, v50
	v_lshlrev_b32_e32 v49, 16, v49
	;; [unrolled: 1-line block ×3, first 2 shown]
	s_delay_alu instid0(VALU_DEP_3) | instskip(NEXT) | instid1(VALU_DEP_3)
	v_and_or_b32 v1, 0xffff, v1, v50
	v_and_or_b32 v2, 0xffff, v2, v49
	s_delay_alu instid0(VALU_DEP_3)
	v_and_or_b32 v3, 0xffff, v3, v48
	;;#ASMSTART
	v_pk_mul_f16 v1, v35, v1;

	;;#ASMEND
	;;#ASMSTART
	v_pk_mul_f16 v2, v34, v2;

	;;#ASMEND
	;; [unrolled: 4-line block ×4, first 2 shown]
	;;#ASMSTART
	v_pk_add_f16 v1, v1, v2;

	;;#ASMEND
	;;#ASMSTART
	v_pk_add_f16 v1, v1, v3;

	;;#ASMEND
	;; [unrolled: 4-line block ×3, first 2 shown]
	v_and_b32_e32 v2, 0xffff, v1
	v_lshrrev_b32_e32 v1, 16, v1
	;;#ASMSTART
	v_cvt_f32_f16 v48, v2;
	;;#ASMEND
	;;#ASMSTART
	v_cvt_f32_f16 v49, v1;
	;;#ASMEND
	global_load_b128 v[1:4], v[7:8], off offset:2560
	s_wait_loadcnt 0x0
	v_lshrrev_b32_e32 v56, 16, v1
	v_lshrrev_b32_e32 v55, 16, v2
	;; [unrolled: 1-line block ×3, first 2 shown]
	s_and_saveexec_b32 s9, vcc_lo
	s_cbranch_execz .LBB111_51
; %bb.50:                               ;   in Loop: Header=BB111_38 Depth=1
	v_cmp_gt_i32_e64 s0, s31, v33
	v_and_b32_e32 v57, 0xffff, v4
	v_and_b32_e32 v4, 0xffff0000, v4
	s_wait_alu 0xf1ff
	s_delay_alu instid0(VALU_DEP_3) | instskip(SKIP_2) | instid1(VALU_DEP_1)
	v_cndmask_b32_e64 v1, 0, v1, s0
	v_cmp_gt_i32_e64 s0, s31, v41
	s_wait_alu 0xf1ff
	v_cndmask_b32_e64 v56, 0, v56, s0
	v_cmp_gt_i32_e64 s0, s31, v39
	s_wait_alu 0xf1ff
	s_delay_alu instid0(VALU_DEP_1) | instskip(SKIP_2) | instid1(VALU_DEP_1)
	v_cndmask_b32_e64 v2, 0, v2, s0
	v_cmp_gt_i32_e64 s0, s31, v30
	s_wait_alu 0xf1ff
	v_cndmask_b32_e64 v55, 0, v55, s0
	v_cmp_gt_i32_e64 s0, s31, v31
	s_wait_alu 0xf1ff
	s_delay_alu instid0(VALU_DEP_1) | instskip(SKIP_2) | instid1(VALU_DEP_1)
	v_cndmask_b32_e64 v57, 0, v57, s0
	v_cmp_gt_i32_e64 s0, s31, v32
	s_wait_alu 0xf1ff
	v_cndmask_b32_e64 v4, 0, v4, s0
	v_cmp_gt_i32_e64 s0, s31, v29
	s_delay_alu instid0(VALU_DEP_2) | instskip(SKIP_1) | instid1(VALU_DEP_2)
	v_or_b32_e32 v4, v57, v4
	s_wait_alu 0xf1ff
	v_cndmask_b32_e64 v3, 0, v3, s0
	v_cmp_gt_i32_e64 s0, s31, v28
	s_wait_alu 0xf1ff
	s_delay_alu instid0(VALU_DEP_1)
	v_cndmask_b32_e64 v50, 0, v50, s0
.LBB111_51:                             ;   in Loop: Header=BB111_38 Depth=1
	s_wait_alu 0xfffe
	s_or_b32 exec_lo, exec_lo, s9
	v_lshlrev_b32_e32 v56, 16, v56
	v_lshlrev_b32_e32 v55, 16, v55
	;; [unrolled: 1-line block ×3, first 2 shown]
	s_delay_alu instid0(VALU_DEP_3) | instskip(NEXT) | instid1(VALU_DEP_3)
	v_and_or_b32 v1, 0xffff, v1, v56
	v_and_or_b32 v2, 0xffff, v2, v55
	s_delay_alu instid0(VALU_DEP_3)
	v_and_or_b32 v3, 0xffff, v3, v50
	;;#ASMSTART
	v_pk_mul_f16 v1, v35, v1;

	;;#ASMEND
	;;#ASMSTART
	v_pk_mul_f16 v2, v34, v2;

	;;#ASMEND
	;; [unrolled: 4-line block ×4, first 2 shown]
	;;#ASMSTART
	v_pk_add_f16 v1, v1, v2;

	;;#ASMEND
	;;#ASMSTART
	v_pk_add_f16 v1, v1, v3;

	;;#ASMEND
	;; [unrolled: 4-line block ×3, first 2 shown]
	v_and_b32_e32 v2, 0xffff, v1
	v_lshrrev_b32_e32 v1, 16, v1
	;;#ASMSTART
	v_cvt_f32_f16 v50, v2;
	;;#ASMEND
	;;#ASMSTART
	v_cvt_f32_f16 v55, v1;
	;;#ASMEND
	global_load_b128 v[1:4], v[7:8], off offset:3072
	s_wait_loadcnt 0x0
	v_lshrrev_b32_e32 v58, 16, v1
	v_lshrrev_b32_e32 v57, 16, v2
	;; [unrolled: 1-line block ×3, first 2 shown]
	s_and_saveexec_b32 s9, vcc_lo
	s_cbranch_execz .LBB111_53
; %bb.52:                               ;   in Loop: Header=BB111_38 Depth=1
	v_cmp_gt_i32_e64 s0, s31, v33
	v_and_b32_e32 v59, 0xffff, v4
	v_and_b32_e32 v4, 0xffff0000, v4
	s_wait_alu 0xf1ff
	s_delay_alu instid0(VALU_DEP_3) | instskip(SKIP_2) | instid1(VALU_DEP_1)
	v_cndmask_b32_e64 v1, 0, v1, s0
	v_cmp_gt_i32_e64 s0, s31, v41
	s_wait_alu 0xf1ff
	v_cndmask_b32_e64 v58, 0, v58, s0
	v_cmp_gt_i32_e64 s0, s31, v39
	s_wait_alu 0xf1ff
	s_delay_alu instid0(VALU_DEP_1) | instskip(SKIP_2) | instid1(VALU_DEP_1)
	v_cndmask_b32_e64 v2, 0, v2, s0
	v_cmp_gt_i32_e64 s0, s31, v30
	s_wait_alu 0xf1ff
	v_cndmask_b32_e64 v57, 0, v57, s0
	v_cmp_gt_i32_e64 s0, s31, v31
	s_wait_alu 0xf1ff
	s_delay_alu instid0(VALU_DEP_1) | instskip(SKIP_2) | instid1(VALU_DEP_1)
	v_cndmask_b32_e64 v59, 0, v59, s0
	v_cmp_gt_i32_e64 s0, s31, v32
	s_wait_alu 0xf1ff
	v_cndmask_b32_e64 v4, 0, v4, s0
	v_cmp_gt_i32_e64 s0, s31, v29
	s_delay_alu instid0(VALU_DEP_2) | instskip(SKIP_1) | instid1(VALU_DEP_2)
	v_or_b32_e32 v4, v59, v4
	s_wait_alu 0xf1ff
	v_cndmask_b32_e64 v3, 0, v3, s0
	v_cmp_gt_i32_e64 s0, s31, v28
	s_wait_alu 0xf1ff
	s_delay_alu instid0(VALU_DEP_1)
	v_cndmask_b32_e64 v56, 0, v56, s0
.LBB111_53:                             ;   in Loop: Header=BB111_38 Depth=1
	s_wait_alu 0xfffe
	s_or_b32 exec_lo, exec_lo, s9
	v_lshlrev_b32_e32 v58, 16, v58
	v_lshlrev_b32_e32 v57, 16, v57
	;; [unrolled: 1-line block ×3, first 2 shown]
	s_delay_alu instid0(VALU_DEP_3) | instskip(NEXT) | instid1(VALU_DEP_3)
	v_and_or_b32 v1, 0xffff, v1, v58
	v_and_or_b32 v2, 0xffff, v2, v57
	s_delay_alu instid0(VALU_DEP_3)
	v_and_or_b32 v3, 0xffff, v3, v56
	;;#ASMSTART
	v_pk_mul_f16 v1, v35, v1;

	;;#ASMEND
	;;#ASMSTART
	v_pk_mul_f16 v2, v34, v2;

	;;#ASMEND
	;; [unrolled: 4-line block ×4, first 2 shown]
	;;#ASMSTART
	v_pk_add_f16 v1, v1, v2;

	;;#ASMEND
	;;#ASMSTART
	v_pk_add_f16 v1, v1, v3;

	;;#ASMEND
	;; [unrolled: 4-line block ×3, first 2 shown]
	v_and_b32_e32 v2, 0xffff, v1
	v_lshrrev_b32_e32 v1, 16, v1
	;;#ASMSTART
	v_cvt_f32_f16 v56, v2;
	;;#ASMEND
	;;#ASMSTART
	v_cvt_f32_f16 v57, v1;
	;;#ASMEND
	global_load_b128 v[1:4], v[7:8], off offset:3584
	s_wait_loadcnt 0x0
	v_lshrrev_b32_e32 v60, 16, v1
	v_lshrrev_b32_e32 v59, 16, v2
	;; [unrolled: 1-line block ×3, first 2 shown]
	s_and_saveexec_b32 s9, vcc_lo
	s_cbranch_execz .LBB111_55
; %bb.54:                               ;   in Loop: Header=BB111_38 Depth=1
	v_cmp_gt_i32_e64 s0, s31, v33
	v_and_b32_e32 v61, 0xffff, v4
	v_and_b32_e32 v4, 0xffff0000, v4
	s_wait_alu 0xf1ff
	s_delay_alu instid0(VALU_DEP_3) | instskip(SKIP_2) | instid1(VALU_DEP_1)
	v_cndmask_b32_e64 v1, 0, v1, s0
	v_cmp_gt_i32_e64 s0, s31, v41
	s_wait_alu 0xf1ff
	v_cndmask_b32_e64 v60, 0, v60, s0
	v_cmp_gt_i32_e64 s0, s31, v39
	s_wait_alu 0xf1ff
	s_delay_alu instid0(VALU_DEP_1) | instskip(SKIP_2) | instid1(VALU_DEP_1)
	v_cndmask_b32_e64 v2, 0, v2, s0
	v_cmp_gt_i32_e64 s0, s31, v30
	s_wait_alu 0xf1ff
	v_cndmask_b32_e64 v59, 0, v59, s0
	v_cmp_gt_i32_e64 s0, s31, v31
	s_wait_alu 0xf1ff
	s_delay_alu instid0(VALU_DEP_1) | instskip(SKIP_2) | instid1(VALU_DEP_1)
	v_cndmask_b32_e64 v61, 0, v61, s0
	v_cmp_gt_i32_e64 s0, s31, v32
	s_wait_alu 0xf1ff
	v_cndmask_b32_e64 v4, 0, v4, s0
	v_cmp_gt_i32_e64 s0, s31, v29
	s_delay_alu instid0(VALU_DEP_2) | instskip(SKIP_1) | instid1(VALU_DEP_2)
	v_or_b32_e32 v4, v61, v4
	s_wait_alu 0xf1ff
	v_cndmask_b32_e64 v3, 0, v3, s0
	v_cmp_gt_i32_e64 s0, s31, v28
	s_wait_alu 0xf1ff
	s_delay_alu instid0(VALU_DEP_1)
	v_cndmask_b32_e64 v58, 0, v58, s0
.LBB111_55:                             ;   in Loop: Header=BB111_38 Depth=1
	s_wait_alu 0xfffe
	s_or_b32 exec_lo, exec_lo, s9
	v_lshlrev_b32_e32 v60, 16, v60
	v_lshlrev_b32_e32 v59, 16, v59
	;; [unrolled: 1-line block ×3, first 2 shown]
	s_delay_alu instid0(VALU_DEP_3) | instskip(NEXT) | instid1(VALU_DEP_3)
	v_and_or_b32 v1, 0xffff, v1, v60
	v_and_or_b32 v2, 0xffff, v2, v59
	s_delay_alu instid0(VALU_DEP_3)
	v_and_or_b32 v3, 0xffff, v3, v58
	;;#ASMSTART
	v_pk_mul_f16 v1, v35, v1;

	;;#ASMEND
	;;#ASMSTART
	v_pk_mul_f16 v2, v34, v2;

	;;#ASMEND
	;;#ASMSTART
	v_pk_mul_f16 v3, v38, v3;

	;;#ASMEND
	;;#ASMSTART
	v_pk_mul_f16 v4, v40, v4;

	;;#ASMEND
	;;#ASMSTART
	v_pk_add_f16 v1, v1, v2;

	;;#ASMEND
	;;#ASMSTART
	v_pk_add_f16 v1, v1, v3;

	;;#ASMEND
	;; [unrolled: 4-line block ×3, first 2 shown]
	v_and_b32_e32 v2, 0xffff, v1
	v_lshrrev_b32_e32 v1, 16, v1
	;;#ASMSTART
	v_cvt_f32_f16 v58, v2;
	;;#ASMEND
	;;#ASMSTART
	v_cvt_f32_f16 v59, v1;
	;;#ASMEND
	global_load_b128 v[1:4], v[7:8], off offset:4096
	s_wait_loadcnt 0x0
	v_lshrrev_b32_e32 v62, 16, v1
	v_lshrrev_b32_e32 v61, 16, v2
	;; [unrolled: 1-line block ×3, first 2 shown]
	s_and_saveexec_b32 s9, vcc_lo
	s_cbranch_execz .LBB111_57
; %bb.56:                               ;   in Loop: Header=BB111_38 Depth=1
	v_cmp_gt_i32_e64 s0, s31, v33
	v_and_b32_e32 v63, 0xffff, v4
	v_and_b32_e32 v4, 0xffff0000, v4
	s_wait_alu 0xf1ff
	s_delay_alu instid0(VALU_DEP_3) | instskip(SKIP_2) | instid1(VALU_DEP_1)
	v_cndmask_b32_e64 v1, 0, v1, s0
	v_cmp_gt_i32_e64 s0, s31, v41
	s_wait_alu 0xf1ff
	v_cndmask_b32_e64 v62, 0, v62, s0
	v_cmp_gt_i32_e64 s0, s31, v39
	s_wait_alu 0xf1ff
	s_delay_alu instid0(VALU_DEP_1) | instskip(SKIP_2) | instid1(VALU_DEP_1)
	v_cndmask_b32_e64 v2, 0, v2, s0
	v_cmp_gt_i32_e64 s0, s31, v30
	s_wait_alu 0xf1ff
	v_cndmask_b32_e64 v61, 0, v61, s0
	v_cmp_gt_i32_e64 s0, s31, v31
	s_wait_alu 0xf1ff
	s_delay_alu instid0(VALU_DEP_1) | instskip(SKIP_2) | instid1(VALU_DEP_1)
	v_cndmask_b32_e64 v63, 0, v63, s0
	v_cmp_gt_i32_e64 s0, s31, v32
	s_wait_alu 0xf1ff
	v_cndmask_b32_e64 v4, 0, v4, s0
	v_cmp_gt_i32_e64 s0, s31, v29
	s_delay_alu instid0(VALU_DEP_2) | instskip(SKIP_1) | instid1(VALU_DEP_2)
	v_or_b32_e32 v4, v63, v4
	s_wait_alu 0xf1ff
	v_cndmask_b32_e64 v3, 0, v3, s0
	v_cmp_gt_i32_e64 s0, s31, v28
	s_wait_alu 0xf1ff
	s_delay_alu instid0(VALU_DEP_1)
	v_cndmask_b32_e64 v60, 0, v60, s0
.LBB111_57:                             ;   in Loop: Header=BB111_38 Depth=1
	s_wait_alu 0xfffe
	s_or_b32 exec_lo, exec_lo, s9
	v_lshlrev_b32_e32 v62, 16, v62
	v_lshlrev_b32_e32 v61, 16, v61
	;; [unrolled: 1-line block ×3, first 2 shown]
	s_delay_alu instid0(VALU_DEP_3) | instskip(NEXT) | instid1(VALU_DEP_3)
	v_and_or_b32 v1, 0xffff, v1, v62
	v_and_or_b32 v2, 0xffff, v2, v61
	s_delay_alu instid0(VALU_DEP_3)
	v_and_or_b32 v3, 0xffff, v3, v60
	;;#ASMSTART
	v_pk_mul_f16 v1, v35, v1;

	;;#ASMEND
	;;#ASMSTART
	v_pk_mul_f16 v2, v34, v2;

	;;#ASMEND
	;; [unrolled: 4-line block ×4, first 2 shown]
	;;#ASMSTART
	v_pk_add_f16 v1, v1, v2;

	;;#ASMEND
	;;#ASMSTART
	v_pk_add_f16 v1, v1, v3;

	;;#ASMEND
	;; [unrolled: 4-line block ×3, first 2 shown]
	v_and_b32_e32 v2, 0xffff, v1
	v_lshrrev_b32_e32 v1, 16, v1
	;;#ASMSTART
	v_cvt_f32_f16 v60, v2;
	;;#ASMEND
	;;#ASMSTART
	v_cvt_f32_f16 v61, v1;
	;;#ASMEND
	global_load_b128 v[1:4], v[7:8], off offset:4608
	s_wait_loadcnt 0x0
	v_lshrrev_b32_e32 v64, 16, v1
	v_lshrrev_b32_e32 v63, 16, v2
	;; [unrolled: 1-line block ×3, first 2 shown]
	s_and_saveexec_b32 s9, vcc_lo
	s_cbranch_execz .LBB111_59
; %bb.58:                               ;   in Loop: Header=BB111_38 Depth=1
	v_cmp_gt_i32_e64 s0, s31, v33
	v_and_b32_e32 v65, 0xffff, v4
	v_and_b32_e32 v4, 0xffff0000, v4
	s_wait_alu 0xf1ff
	s_delay_alu instid0(VALU_DEP_3) | instskip(SKIP_2) | instid1(VALU_DEP_1)
	v_cndmask_b32_e64 v1, 0, v1, s0
	v_cmp_gt_i32_e64 s0, s31, v41
	s_wait_alu 0xf1ff
	v_cndmask_b32_e64 v64, 0, v64, s0
	v_cmp_gt_i32_e64 s0, s31, v39
	s_wait_alu 0xf1ff
	s_delay_alu instid0(VALU_DEP_1) | instskip(SKIP_2) | instid1(VALU_DEP_1)
	v_cndmask_b32_e64 v2, 0, v2, s0
	v_cmp_gt_i32_e64 s0, s31, v30
	s_wait_alu 0xf1ff
	v_cndmask_b32_e64 v63, 0, v63, s0
	v_cmp_gt_i32_e64 s0, s31, v31
	s_wait_alu 0xf1ff
	s_delay_alu instid0(VALU_DEP_1) | instskip(SKIP_2) | instid1(VALU_DEP_1)
	v_cndmask_b32_e64 v65, 0, v65, s0
	v_cmp_gt_i32_e64 s0, s31, v32
	s_wait_alu 0xf1ff
	v_cndmask_b32_e64 v4, 0, v4, s0
	v_cmp_gt_i32_e64 s0, s31, v29
	s_delay_alu instid0(VALU_DEP_2) | instskip(SKIP_1) | instid1(VALU_DEP_2)
	v_or_b32_e32 v4, v65, v4
	s_wait_alu 0xf1ff
	v_cndmask_b32_e64 v3, 0, v3, s0
	v_cmp_gt_i32_e64 s0, s31, v28
	s_wait_alu 0xf1ff
	s_delay_alu instid0(VALU_DEP_1)
	v_cndmask_b32_e64 v62, 0, v62, s0
.LBB111_59:                             ;   in Loop: Header=BB111_38 Depth=1
	s_wait_alu 0xfffe
	s_or_b32 exec_lo, exec_lo, s9
	v_lshlrev_b32_e32 v64, 16, v64
	v_lshlrev_b32_e32 v63, 16, v63
	;; [unrolled: 1-line block ×3, first 2 shown]
	s_delay_alu instid0(VALU_DEP_3) | instskip(NEXT) | instid1(VALU_DEP_3)
	v_and_or_b32 v1, 0xffff, v1, v64
	v_and_or_b32 v2, 0xffff, v2, v63
	s_delay_alu instid0(VALU_DEP_3)
	v_and_or_b32 v3, 0xffff, v3, v62
	;;#ASMSTART
	v_pk_mul_f16 v1, v35, v1;

	;;#ASMEND
	;;#ASMSTART
	v_pk_mul_f16 v2, v34, v2;

	;;#ASMEND
	;;#ASMSTART
	v_pk_mul_f16 v3, v38, v3;

	;;#ASMEND
	;;#ASMSTART
	v_pk_mul_f16 v4, v40, v4;

	;;#ASMEND
	;;#ASMSTART
	v_pk_add_f16 v1, v1, v2;

	;;#ASMEND
	;;#ASMSTART
	v_pk_add_f16 v1, v1, v3;

	;;#ASMEND
	;;#ASMSTART
	v_pk_add_f16 v1, v1, v4;

	;;#ASMEND
	v_and_b32_e32 v2, 0xffff, v1
	v_lshrrev_b32_e32 v1, 16, v1
	;;#ASMSTART
	v_cvt_f32_f16 v62, v2;
	;;#ASMEND
	;;#ASMSTART
	v_cvt_f32_f16 v63, v1;
	;;#ASMEND
	global_load_b128 v[1:4], v[7:8], off offset:5120
	s_wait_loadcnt 0x0
	v_lshrrev_b32_e32 v66, 16, v1
	v_lshrrev_b32_e32 v65, 16, v2
	;; [unrolled: 1-line block ×3, first 2 shown]
	s_and_saveexec_b32 s9, vcc_lo
	s_cbranch_execz .LBB111_61
; %bb.60:                               ;   in Loop: Header=BB111_38 Depth=1
	v_cmp_gt_i32_e64 s0, s31, v33
	v_and_b32_e32 v67, 0xffff, v4
	v_and_b32_e32 v4, 0xffff0000, v4
	s_wait_alu 0xf1ff
	s_delay_alu instid0(VALU_DEP_3) | instskip(SKIP_2) | instid1(VALU_DEP_1)
	v_cndmask_b32_e64 v1, 0, v1, s0
	v_cmp_gt_i32_e64 s0, s31, v41
	s_wait_alu 0xf1ff
	v_cndmask_b32_e64 v66, 0, v66, s0
	v_cmp_gt_i32_e64 s0, s31, v39
	s_wait_alu 0xf1ff
	s_delay_alu instid0(VALU_DEP_1) | instskip(SKIP_2) | instid1(VALU_DEP_1)
	v_cndmask_b32_e64 v2, 0, v2, s0
	v_cmp_gt_i32_e64 s0, s31, v30
	s_wait_alu 0xf1ff
	v_cndmask_b32_e64 v65, 0, v65, s0
	v_cmp_gt_i32_e64 s0, s31, v31
	s_wait_alu 0xf1ff
	s_delay_alu instid0(VALU_DEP_1) | instskip(SKIP_2) | instid1(VALU_DEP_1)
	v_cndmask_b32_e64 v67, 0, v67, s0
	v_cmp_gt_i32_e64 s0, s31, v32
	s_wait_alu 0xf1ff
	v_cndmask_b32_e64 v4, 0, v4, s0
	v_cmp_gt_i32_e64 s0, s31, v29
	s_delay_alu instid0(VALU_DEP_2) | instskip(SKIP_1) | instid1(VALU_DEP_2)
	v_or_b32_e32 v4, v67, v4
	s_wait_alu 0xf1ff
	v_cndmask_b32_e64 v3, 0, v3, s0
	v_cmp_gt_i32_e64 s0, s31, v28
	s_wait_alu 0xf1ff
	s_delay_alu instid0(VALU_DEP_1)
	v_cndmask_b32_e64 v64, 0, v64, s0
.LBB111_61:                             ;   in Loop: Header=BB111_38 Depth=1
	s_wait_alu 0xfffe
	s_or_b32 exec_lo, exec_lo, s9
	v_lshlrev_b32_e32 v66, 16, v66
	v_lshlrev_b32_e32 v65, 16, v65
	v_lshlrev_b32_e32 v64, 16, v64
	s_delay_alu instid0(VALU_DEP_3) | instskip(NEXT) | instid1(VALU_DEP_3)
	v_and_or_b32 v1, 0xffff, v1, v66
	v_and_or_b32 v2, 0xffff, v2, v65
	s_delay_alu instid0(VALU_DEP_3)
	v_and_or_b32 v3, 0xffff, v3, v64
	;;#ASMSTART
	v_pk_mul_f16 v1, v35, v1;

	;;#ASMEND
	;;#ASMSTART
	v_pk_mul_f16 v2, v34, v2;

	;;#ASMEND
	;; [unrolled: 4-line block ×4, first 2 shown]
	;;#ASMSTART
	v_pk_add_f16 v1, v1, v2;

	;;#ASMEND
	;;#ASMSTART
	v_pk_add_f16 v1, v1, v3;

	;;#ASMEND
	;; [unrolled: 4-line block ×3, first 2 shown]
	v_and_b32_e32 v2, 0xffff, v1
	v_lshrrev_b32_e32 v1, 16, v1
	;;#ASMSTART
	v_cvt_f32_f16 v65, v2;
	;;#ASMEND
	;;#ASMSTART
	v_cvt_f32_f16 v66, v1;
	;;#ASMEND
	global_load_b128 v[1:4], v[7:8], off offset:5632
	s_wait_loadcnt 0x0
	v_lshrrev_b32_e32 v64, 16, v1
	v_lshrrev_b32_e32 v8, 16, v2
	;; [unrolled: 1-line block ×3, first 2 shown]
	s_and_saveexec_b32 s0, vcc_lo
	s_cbranch_execz .LBB111_36
; %bb.62:                               ;   in Loop: Header=BB111_38 Depth=1
	v_cmp_gt_i32_e32 vcc_lo, s31, v33
	v_and_b32_e32 v33, 0xffff, v4
	s_wait_alu 0xfffd
	v_dual_cndmask_b32 v1, 0, v1 :: v_dual_and_b32 v4, 0xffff0000, v4
	v_cmp_gt_i32_e32 vcc_lo, s31, v41
	s_wait_alu 0xfffd
	v_cndmask_b32_e32 v64, 0, v64, vcc_lo
	v_cmp_gt_i32_e32 vcc_lo, s31, v39
	s_wait_alu 0xfffd
	v_cndmask_b32_e32 v2, 0, v2, vcc_lo
	;; [unrolled: 3-line block ×5, first 2 shown]
	v_cmp_gt_i32_e32 vcc_lo, s31, v29
	s_delay_alu instid0(VALU_DEP_2)
	v_or_b32_e32 v4, v30, v4
	s_wait_alu 0xfffd
	v_cndmask_b32_e32 v3, 0, v3, vcc_lo
	v_cmp_gt_i32_e32 vcc_lo, s31, v28
	s_wait_alu 0xfffd
	v_cndmask_b32_e32 v7, 0, v7, vcc_lo
	s_branch .LBB111_36
.LBB111_63:
	s_or_b32 exec_lo, exec_lo, s5
.LBB111_64:
	s_wait_alu 0xfffe
	s_or_b32 exec_lo, exec_lo, s1
	ds_bpermute_b32 v1, v10, v22
	ds_bpermute_b32 v2, v10, v23
	;; [unrolled: 1-line block ×12, first 2 shown]
	s_mov_b32 s0, exec_lo
	s_wait_storecnt 0x0
	s_wait_loadcnt_dscnt 0x0
	s_barrier_signal -1
	s_barrier_wait -1
	global_inv scope:SCOPE_SE
	v_dual_add_f32 v1, v22, v1 :: v_dual_add_f32 v2, v23, v2
	v_dual_add_f32 v17, v17, v7 :: v_dual_add_f32 v16, v16, v8
	;; [unrolled: 1-line block ×3, first 2 shown]
	ds_bpermute_b32 v8, v9, v2
	v_dual_add_f32 v15, v15, v24 :: v_dual_add_f32 v14, v14, v25
	v_dual_add_f32 v5, v19, v5 :: v_dual_add_f32 v6, v18, v6
	v_add_f32_e32 v19, v12, v10
	ds_bpermute_b32 v7, v9, v1
	ds_bpermute_b32 v20, v9, v4
	v_add_f32_e32 v18, v13, v26
	ds_bpermute_b32 v26, v9, v14
	ds_bpermute_b32 v10, v9, v3
	;; [unrolled: 1-line block ×8, first 2 shown]
	s_wait_dscnt 0xa
	v_add_f32_e32 v12, v2, v8
	ds_bpermute_b32 v28, v9, v19
	s_wait_dscnt 0xa
	v_add_f32_e32 v13, v1, v7
	s_wait_dscnt 0x9
	v_add_f32_e32 v9, v4, v20
	s_wait_dscnt 0x8
	v_dual_add_f32 v1, v14, v26 :: v_dual_and_b32 v14, 28, v52
	s_wait_dscnt 0x7
	v_add_f32_e32 v10, v3, v10
	s_wait_dscnt 0x5
	v_dual_add_f32 v8, v5, v21 :: v_dual_add_f32 v7, v6, v22
	s_wait_dscnt 0x2
	v_dual_add_f32 v5, v17, v23 :: v_dual_add_f32 v2, v15, v25
	;; [unrolled: 2-line block ×3, first 2 shown]
	v_and_b32_e32 v17, 0x3c3, v0
	v_lshrrev_b32_e32 v15, 2, v52
	v_add_nc_u32_e32 v14, 0xe0, v14
	s_wait_dscnt 0x0
	v_add_f32_e32 v6, v19, v28
	v_mul_u32_u24_e32 v16, 0x180, v51
	v_cmpx_eq_u32_e32 64, v17
	s_cbranch_execz .LBB111_66
; %bb.65:
	s_delay_alu instid0(VALU_DEP_2) | instskip(NEXT) | instid1(VALU_DEP_1)
	v_add_nc_u32_e32 v17, v14, v16
	v_add_nc_u32_e32 v18, 0xfffffd00, v17
	;; [unrolled: 1-line block ×13, first 2 shown]
	ds_store_b32 v18, v13
	ds_store_b32 v19, v12
	ds_store_b32 v20, v10
	ds_store_b32 v21, v9
	ds_store_b32 v22, v8
	ds_store_b32 v23, v7
	ds_store_b32 v24, v5
	ds_store_b32 v25, v3
	ds_store_b32 v26, v2
	ds_store_b32 v27, v1
	ds_store_b32 v28, v4
	ds_store_b32 v17, v6
.LBB111_66:
	s_wait_alu 0xfffe
	s_or_b32 exec_lo, exec_lo, s0
	v_lshlrev_b32_e32 v15, 2, v15
	v_cmp_eq_u32_e32 vcc_lo, 0, v11
	s_mov_b32 s1, exec_lo
	s_wait_loadcnt_dscnt 0x0
	s_barrier_signal -1
	v_add3_u32 v11, 0xe0, v16, v15
	s_barrier_wait -1
	global_inv scope:SCOPE_SE
	v_cmpx_gt_u32_e32 64, v0
	s_cbranch_execz .LBB111_81
; %bb.67:
	s_and_saveexec_b32 s0, vcc_lo
	s_cbranch_execnz .LBB111_101
; %bb.68:
	s_wait_alu 0xfffe
	s_or_b32 exec_lo, exec_lo, s0
	s_and_saveexec_b32 s0, vcc_lo
	s_cbranch_execnz .LBB111_102
.LBB111_69:
	s_wait_alu 0xfffe
	s_or_b32 exec_lo, exec_lo, s0
	s_and_saveexec_b32 s0, vcc_lo
	s_cbranch_execnz .LBB111_103
.LBB111_70:
	s_wait_alu 0xfffe
	s_or_b32 exec_lo, exec_lo, s0
	s_and_saveexec_b32 s0, vcc_lo
	s_cbranch_execnz .LBB111_104
.LBB111_71:
	s_wait_alu 0xfffe
	s_or_b32 exec_lo, exec_lo, s0
	s_and_saveexec_b32 s0, vcc_lo
	s_cbranch_execnz .LBB111_105
.LBB111_72:
	s_wait_alu 0xfffe
	s_or_b32 exec_lo, exec_lo, s0
	s_and_saveexec_b32 s0, vcc_lo
	s_cbranch_execnz .LBB111_106
.LBB111_73:
	s_wait_alu 0xfffe
	s_or_b32 exec_lo, exec_lo, s0
	s_and_saveexec_b32 s0, vcc_lo
	s_cbranch_execnz .LBB111_107
.LBB111_74:
	s_wait_alu 0xfffe
	s_or_b32 exec_lo, exec_lo, s0
	s_and_saveexec_b32 s0, vcc_lo
	s_cbranch_execnz .LBB111_108
.LBB111_75:
	s_wait_alu 0xfffe
	s_or_b32 exec_lo, exec_lo, s0
	s_and_saveexec_b32 s0, vcc_lo
	s_cbranch_execnz .LBB111_109
.LBB111_76:
	s_wait_alu 0xfffe
	s_or_b32 exec_lo, exec_lo, s0
	s_and_saveexec_b32 s0, vcc_lo
	s_cbranch_execnz .LBB111_110
.LBB111_77:
	s_wait_alu 0xfffe
	s_or_b32 exec_lo, exec_lo, s0
	s_and_saveexec_b32 s0, vcc_lo
	s_cbranch_execnz .LBB111_111
.LBB111_78:
	s_wait_alu 0xfffe
	s_or_b32 exec_lo, exec_lo, s0
	s_and_saveexec_b32 s0, vcc_lo
	s_cbranch_execz .LBB111_80
.LBB111_79:
	ds_load_b32 v15, v11 offset:352
	s_wait_dscnt 0x0
	v_add_f32_e32 v6, v6, v15
.LBB111_80:
	s_wait_alu 0xfffe
	s_or_b32 exec_lo, exec_lo, s0
.LBB111_81:
	s_wait_alu 0xfffe
	s_or_b32 exec_lo, exec_lo, s1
	v_and_b32_e32 v15, 0x3e3, v0
	s_mov_b32 s1, exec_lo
	s_wait_loadcnt 0x0
	s_barrier_signal -1
	s_barrier_wait -1
	global_inv scope:SCOPE_SE
	v_cmpx_eq_u32_e32 32, v15
	s_cbranch_execz .LBB111_83
; %bb.82:
	ds_store_2addr_b32 v14, v13, v12 offset1:8
	ds_store_2addr_b32 v14, v10, v9 offset0:16 offset1:24
	ds_store_2addr_b32 v14, v8, v7 offset0:32 offset1:40
	;; [unrolled: 1-line block ×5, first 2 shown]
.LBB111_83:
	s_wait_alu 0xfffe
	s_or_b32 exec_lo, exec_lo, s1
	s_delay_alu instid0(SALU_CYCLE_1)
	s_mov_b32 s1, exec_lo
	s_wait_loadcnt_dscnt 0x0
	s_barrier_signal -1
	s_barrier_wait -1
	global_inv scope:SCOPE_SE
	v_cmpx_gt_u32_e32 32, v0
	s_cbranch_execz .LBB111_98
; %bb.84:
	s_and_saveexec_b32 s0, vcc_lo
	s_cbranch_execnz .LBB111_112
; %bb.85:
	s_wait_alu 0xfffe
	s_or_b32 exec_lo, exec_lo, s0
	s_and_saveexec_b32 s0, vcc_lo
	s_cbranch_execnz .LBB111_113
.LBB111_86:
	s_wait_alu 0xfffe
	s_or_b32 exec_lo, exec_lo, s0
	s_and_saveexec_b32 s0, vcc_lo
	s_cbranch_execnz .LBB111_114
.LBB111_87:
	s_wait_alu 0xfffe
	s_or_b32 exec_lo, exec_lo, s0
	s_and_saveexec_b32 s0, vcc_lo
	s_cbranch_execnz .LBB111_115
.LBB111_88:
	s_wait_alu 0xfffe
	s_or_b32 exec_lo, exec_lo, s0
	s_and_saveexec_b32 s0, vcc_lo
	s_cbranch_execnz .LBB111_116
.LBB111_89:
	s_wait_alu 0xfffe
	s_or_b32 exec_lo, exec_lo, s0
	s_and_saveexec_b32 s0, vcc_lo
	s_cbranch_execnz .LBB111_117
.LBB111_90:
	s_wait_alu 0xfffe
	s_or_b32 exec_lo, exec_lo, s0
	s_and_saveexec_b32 s0, vcc_lo
	s_cbranch_execnz .LBB111_118
.LBB111_91:
	s_wait_alu 0xfffe
	s_or_b32 exec_lo, exec_lo, s0
	s_and_saveexec_b32 s0, vcc_lo
	s_cbranch_execnz .LBB111_119
.LBB111_92:
	s_wait_alu 0xfffe
	s_or_b32 exec_lo, exec_lo, s0
	s_and_saveexec_b32 s0, vcc_lo
	s_cbranch_execnz .LBB111_120
.LBB111_93:
	s_wait_alu 0xfffe
	s_or_b32 exec_lo, exec_lo, s0
	s_and_saveexec_b32 s0, vcc_lo
	s_cbranch_execnz .LBB111_121
.LBB111_94:
	s_wait_alu 0xfffe
	s_or_b32 exec_lo, exec_lo, s0
	s_and_saveexec_b32 s0, vcc_lo
	s_cbranch_execnz .LBB111_122
.LBB111_95:
	s_wait_alu 0xfffe
	s_or_b32 exec_lo, exec_lo, s0
	s_and_saveexec_b32 s0, vcc_lo
	s_cbranch_execz .LBB111_97
.LBB111_96:
	ds_load_b32 v11, v11 offset:352
	s_wait_dscnt 0x0
	v_add_f32_e32 v6, v6, v11
.LBB111_97:
	s_wait_alu 0xfffe
	s_or_b32 exec_lo, exec_lo, s0
.LBB111_98:
	s_wait_alu 0xfffe
	s_or_b32 exec_lo, exec_lo, s1
	s_mov_b32 s1, 0
	s_wait_loadcnt 0x0
	s_barrier_signal -1
	s_barrier_wait -1
	global_inv scope:SCOPE_SE
	s_mov_b32 s0, exec_lo
	v_cmpx_eq_u32_e32 0, v15
	s_cbranch_execz .LBB111_100
; %bb.99:
	s_mul_i32 s2, s26, 0x60
	s_mul_i32 s4, s7, s16
	s_wait_alu 0xfffe
	s_ashr_i32 s3, s2, 31
	s_ashr_i32 s5, s4, 31
	s_wait_alu 0xfffe
	s_lshl_b64 s[2:3], s[2:3], 1
	s_lshl_b64 s[4:5], s[4:5], 1
	s_wait_kmcnt 0x0
	s_wait_alu 0xfffe
	s_add_nc_u64 s[2:3], s[14:15], s[2:3]
	v_lshrrev_b32_e32 v0, 1, v0
	s_mul_i32 s0, s30, 0xc0
	s_wait_alu 0xfffe
	s_add_nc_u64 s[2:3], s[2:3], s[4:5]
	;;#ASMSTART
	v_cvt_f16_f32 v11, v13;

	;;#ASMEND
	s_wait_alu 0xfffe
	s_add_nc_u64 s[0:1], s[2:3], s[0:1]
	global_store_b16 v0, v11, s[0:1]
	;;#ASMSTART
	v_cvt_f16_f32 v11, v12;

	;;#ASMEND
	global_store_b16 v0, v11, s[0:1] offset:16
	;;#ASMSTART
	v_cvt_f16_f32 v10, v10;

	;;#ASMEND
	global_store_b16 v0, v10, s[0:1] offset:32
	;; [unrolled: 5-line block ×11, first 2 shown]
.LBB111_100:
	s_nop 0
	s_sendmsg sendmsg(MSG_DEALLOC_VGPRS)
	s_endpgm
.LBB111_101:
	ds_load_b32 v15, v11
	s_wait_dscnt 0x0
	v_add_f32_e32 v13, v13, v15
	s_wait_alu 0xfffe
	s_or_b32 exec_lo, exec_lo, s0
	s_and_saveexec_b32 s0, vcc_lo
	s_cbranch_execz .LBB111_69
.LBB111_102:
	ds_load_b32 v15, v11 offset:32
	s_wait_dscnt 0x0
	v_add_f32_e32 v12, v12, v15
	s_wait_alu 0xfffe
	s_or_b32 exec_lo, exec_lo, s0
	s_and_saveexec_b32 s0, vcc_lo
	s_cbranch_execz .LBB111_70
.LBB111_103:
	ds_load_b32 v15, v11 offset:64
	s_wait_dscnt 0x0
	v_add_f32_e32 v10, v10, v15
	s_wait_alu 0xfffe
	s_or_b32 exec_lo, exec_lo, s0
	s_and_saveexec_b32 s0, vcc_lo
	s_cbranch_execz .LBB111_71
.LBB111_104:
	ds_load_b32 v15, v11 offset:96
	s_wait_dscnt 0x0
	v_add_f32_e32 v9, v9, v15
	s_wait_alu 0xfffe
	s_or_b32 exec_lo, exec_lo, s0
	s_and_saveexec_b32 s0, vcc_lo
	s_cbranch_execz .LBB111_72
.LBB111_105:
	ds_load_b32 v15, v11 offset:128
	s_wait_dscnt 0x0
	v_add_f32_e32 v8, v8, v15
	s_wait_alu 0xfffe
	s_or_b32 exec_lo, exec_lo, s0
	s_and_saveexec_b32 s0, vcc_lo
	s_cbranch_execz .LBB111_73
.LBB111_106:
	ds_load_b32 v15, v11 offset:160
	s_wait_dscnt 0x0
	v_add_f32_e32 v7, v7, v15
	s_wait_alu 0xfffe
	s_or_b32 exec_lo, exec_lo, s0
	s_and_saveexec_b32 s0, vcc_lo
	s_cbranch_execz .LBB111_74
.LBB111_107:
	ds_load_b32 v15, v11 offset:192
	s_wait_dscnt 0x0
	v_add_f32_e32 v5, v5, v15
	s_wait_alu 0xfffe
	s_or_b32 exec_lo, exec_lo, s0
	s_and_saveexec_b32 s0, vcc_lo
	s_cbranch_execz .LBB111_75
.LBB111_108:
	ds_load_b32 v15, v11 offset:224
	s_wait_dscnt 0x0
	v_add_f32_e32 v3, v3, v15
	s_wait_alu 0xfffe
	s_or_b32 exec_lo, exec_lo, s0
	s_and_saveexec_b32 s0, vcc_lo
	s_cbranch_execz .LBB111_76
.LBB111_109:
	ds_load_b32 v15, v11 offset:256
	s_wait_dscnt 0x0
	v_add_f32_e32 v2, v2, v15
	s_wait_alu 0xfffe
	s_or_b32 exec_lo, exec_lo, s0
	s_and_saveexec_b32 s0, vcc_lo
	s_cbranch_execz .LBB111_77
.LBB111_110:
	ds_load_b32 v15, v11 offset:288
	s_wait_dscnt 0x0
	v_add_f32_e32 v1, v1, v15
	s_wait_alu 0xfffe
	s_or_b32 exec_lo, exec_lo, s0
	s_and_saveexec_b32 s0, vcc_lo
	s_cbranch_execz .LBB111_78
.LBB111_111:
	ds_load_b32 v15, v11 offset:320
	s_wait_dscnt 0x0
	v_add_f32_e32 v4, v4, v15
	s_wait_alu 0xfffe
	s_or_b32 exec_lo, exec_lo, s0
	s_and_saveexec_b32 s0, vcc_lo
	s_cbranch_execnz .LBB111_79
	s_branch .LBB111_80
.LBB111_112:
	ds_load_b32 v14, v11
	s_wait_dscnt 0x0
	v_add_f32_e32 v13, v13, v14
	s_wait_alu 0xfffe
	s_or_b32 exec_lo, exec_lo, s0
	s_and_saveexec_b32 s0, vcc_lo
	s_cbranch_execz .LBB111_86
.LBB111_113:
	ds_load_b32 v14, v11 offset:32
	s_wait_dscnt 0x0
	v_add_f32_e32 v12, v12, v14
	s_wait_alu 0xfffe
	s_or_b32 exec_lo, exec_lo, s0
	s_and_saveexec_b32 s0, vcc_lo
	s_cbranch_execz .LBB111_87
.LBB111_114:
	ds_load_b32 v14, v11 offset:64
	s_wait_dscnt 0x0
	v_add_f32_e32 v10, v10, v14
	s_wait_alu 0xfffe
	s_or_b32 exec_lo, exec_lo, s0
	s_and_saveexec_b32 s0, vcc_lo
	s_cbranch_execz .LBB111_88
.LBB111_115:
	ds_load_b32 v14, v11 offset:96
	s_wait_dscnt 0x0
	v_add_f32_e32 v9, v9, v14
	s_wait_alu 0xfffe
	s_or_b32 exec_lo, exec_lo, s0
	s_and_saveexec_b32 s0, vcc_lo
	s_cbranch_execz .LBB111_89
.LBB111_116:
	ds_load_b32 v14, v11 offset:128
	s_wait_dscnt 0x0
	v_add_f32_e32 v8, v8, v14
	s_wait_alu 0xfffe
	s_or_b32 exec_lo, exec_lo, s0
	s_and_saveexec_b32 s0, vcc_lo
	s_cbranch_execz .LBB111_90
.LBB111_117:
	ds_load_b32 v14, v11 offset:160
	s_wait_dscnt 0x0
	v_add_f32_e32 v7, v7, v14
	s_wait_alu 0xfffe
	s_or_b32 exec_lo, exec_lo, s0
	s_and_saveexec_b32 s0, vcc_lo
	s_cbranch_execz .LBB111_91
.LBB111_118:
	ds_load_b32 v14, v11 offset:192
	s_wait_dscnt 0x0
	v_add_f32_e32 v5, v5, v14
	s_wait_alu 0xfffe
	s_or_b32 exec_lo, exec_lo, s0
	s_and_saveexec_b32 s0, vcc_lo
	s_cbranch_execz .LBB111_92
.LBB111_119:
	ds_load_b32 v14, v11 offset:224
	s_wait_dscnt 0x0
	v_add_f32_e32 v3, v3, v14
	s_wait_alu 0xfffe
	s_or_b32 exec_lo, exec_lo, s0
	s_and_saveexec_b32 s0, vcc_lo
	s_cbranch_execz .LBB111_93
.LBB111_120:
	ds_load_b32 v14, v11 offset:256
	s_wait_dscnt 0x0
	v_add_f32_e32 v2, v2, v14
	s_wait_alu 0xfffe
	s_or_b32 exec_lo, exec_lo, s0
	s_and_saveexec_b32 s0, vcc_lo
	s_cbranch_execz .LBB111_94
.LBB111_121:
	ds_load_b32 v14, v11 offset:288
	s_wait_dscnt 0x0
	v_add_f32_e32 v1, v1, v14
	s_wait_alu 0xfffe
	s_or_b32 exec_lo, exec_lo, s0
	s_and_saveexec_b32 s0, vcc_lo
	s_cbranch_execz .LBB111_95
.LBB111_122:
	ds_load_b32 v14, v11 offset:320
	s_wait_dscnt 0x0
	v_add_f32_e32 v4, v4, v14
	s_wait_alu 0xfffe
	s_or_b32 exec_lo, exec_lo, s0
	s_and_saveexec_b32 s0, vcc_lo
	s_cbranch_execnz .LBB111_96
	s_branch .LBB111_97
	.section	.rodata,"a",@progbits
	.p2align	6, 0x0
	.amdhsa_kernel _ZN4vllm25paged_attention_v2_kernelIttLi96ELi32ELi128ELNS_18Fp8KVCacheDataTypeE0ELb1ELi512EEEvPfS2_PT_PKS3_PKT0_S9_ifPKiSB_iPKfiiiSD_SD_iiiii
		.amdhsa_group_segment_fixed_size 224
		.amdhsa_private_segment_fixed_size 0
		.amdhsa_kernarg_size 400
		.amdhsa_user_sgpr_count 2
		.amdhsa_user_sgpr_dispatch_ptr 0
		.amdhsa_user_sgpr_queue_ptr 0
		.amdhsa_user_sgpr_kernarg_segment_ptr 1
		.amdhsa_user_sgpr_dispatch_id 0
		.amdhsa_user_sgpr_private_segment_size 0
		.amdhsa_wavefront_size32 1
		.amdhsa_uses_dynamic_stack 0
		.amdhsa_enable_private_segment 0
		.amdhsa_system_sgpr_workgroup_id_x 1
		.amdhsa_system_sgpr_workgroup_id_y 1
		.amdhsa_system_sgpr_workgroup_id_z 1
		.amdhsa_system_sgpr_workgroup_info 0
		.amdhsa_system_vgpr_workitem_id 0
		.amdhsa_next_free_vgpr 155
		.amdhsa_next_free_sgpr 42
		.amdhsa_reserve_vcc 1
		.amdhsa_float_round_mode_32 0
		.amdhsa_float_round_mode_16_64 0
		.amdhsa_float_denorm_mode_32 3
		.amdhsa_float_denorm_mode_16_64 3
		.amdhsa_fp16_overflow 0
		.amdhsa_workgroup_processor_mode 1
		.amdhsa_memory_ordered 1
		.amdhsa_forward_progress 1
		.amdhsa_inst_pref_size 91
		.amdhsa_round_robin_scheduling 0
		.amdhsa_exception_fp_ieee_invalid_op 0
		.amdhsa_exception_fp_denorm_src 0
		.amdhsa_exception_fp_ieee_div_zero 0
		.amdhsa_exception_fp_ieee_overflow 0
		.amdhsa_exception_fp_ieee_underflow 0
		.amdhsa_exception_fp_ieee_inexact 0
		.amdhsa_exception_int_div_zero 0
	.end_amdhsa_kernel
	.section	.text._ZN4vllm25paged_attention_v2_kernelIttLi96ELi32ELi128ELNS_18Fp8KVCacheDataTypeE0ELb1ELi512EEEvPfS2_PT_PKS3_PKT0_S9_ifPKiSB_iPKfiiiSD_SD_iiiii,"axG",@progbits,_ZN4vllm25paged_attention_v2_kernelIttLi96ELi32ELi128ELNS_18Fp8KVCacheDataTypeE0ELb1ELi512EEEvPfS2_PT_PKS3_PKT0_S9_ifPKiSB_iPKfiiiSD_SD_iiiii,comdat
.Lfunc_end111:
	.size	_ZN4vllm25paged_attention_v2_kernelIttLi96ELi32ELi128ELNS_18Fp8KVCacheDataTypeE0ELb1ELi512EEEvPfS2_PT_PKS3_PKT0_S9_ifPKiSB_iPKfiiiSD_SD_iiiii, .Lfunc_end111-_ZN4vllm25paged_attention_v2_kernelIttLi96ELi32ELi128ELNS_18Fp8KVCacheDataTypeE0ELb1ELi512EEEvPfS2_PT_PKS3_PKT0_S9_ifPKiSB_iPKfiiiSD_SD_iiiii
                                        ; -- End function
	.set _ZN4vllm25paged_attention_v2_kernelIttLi96ELi32ELi128ELNS_18Fp8KVCacheDataTypeE0ELb1ELi512EEEvPfS2_PT_PKS3_PKT0_S9_ifPKiSB_iPKfiiiSD_SD_iiiii.num_vgpr, 155
	.set _ZN4vllm25paged_attention_v2_kernelIttLi96ELi32ELi128ELNS_18Fp8KVCacheDataTypeE0ELb1ELi512EEEvPfS2_PT_PKS3_PKT0_S9_ifPKiSB_iPKfiiiSD_SD_iiiii.num_agpr, 0
	.set _ZN4vllm25paged_attention_v2_kernelIttLi96ELi32ELi128ELNS_18Fp8KVCacheDataTypeE0ELb1ELi512EEEvPfS2_PT_PKS3_PKT0_S9_ifPKiSB_iPKfiiiSD_SD_iiiii.numbered_sgpr, 42
	.set _ZN4vllm25paged_attention_v2_kernelIttLi96ELi32ELi128ELNS_18Fp8KVCacheDataTypeE0ELb1ELi512EEEvPfS2_PT_PKS3_PKT0_S9_ifPKiSB_iPKfiiiSD_SD_iiiii.num_named_barrier, 0
	.set _ZN4vllm25paged_attention_v2_kernelIttLi96ELi32ELi128ELNS_18Fp8KVCacheDataTypeE0ELb1ELi512EEEvPfS2_PT_PKS3_PKT0_S9_ifPKiSB_iPKfiiiSD_SD_iiiii.private_seg_size, 0
	.set _ZN4vllm25paged_attention_v2_kernelIttLi96ELi32ELi128ELNS_18Fp8KVCacheDataTypeE0ELb1ELi512EEEvPfS2_PT_PKS3_PKT0_S9_ifPKiSB_iPKfiiiSD_SD_iiiii.uses_vcc, 1
	.set _ZN4vllm25paged_attention_v2_kernelIttLi96ELi32ELi128ELNS_18Fp8KVCacheDataTypeE0ELb1ELi512EEEvPfS2_PT_PKS3_PKT0_S9_ifPKiSB_iPKfiiiSD_SD_iiiii.uses_flat_scratch, 0
	.set _ZN4vllm25paged_attention_v2_kernelIttLi96ELi32ELi128ELNS_18Fp8KVCacheDataTypeE0ELb1ELi512EEEvPfS2_PT_PKS3_PKT0_S9_ifPKiSB_iPKfiiiSD_SD_iiiii.has_dyn_sized_stack, 0
	.set _ZN4vllm25paged_attention_v2_kernelIttLi96ELi32ELi128ELNS_18Fp8KVCacheDataTypeE0ELb1ELi512EEEvPfS2_PT_PKS3_PKT0_S9_ifPKiSB_iPKfiiiSD_SD_iiiii.has_recursion, 0
	.set _ZN4vllm25paged_attention_v2_kernelIttLi96ELi32ELi128ELNS_18Fp8KVCacheDataTypeE0ELb1ELi512EEEvPfS2_PT_PKS3_PKT0_S9_ifPKiSB_iPKfiiiSD_SD_iiiii.has_indirect_call, 0
	.section	.AMDGPU.csdata,"",@progbits
; Kernel info:
; codeLenInByte = 11548
; TotalNumSgprs: 44
; NumVgprs: 155
; ScratchSize: 0
; MemoryBound: 0
; FloatMode: 240
; IeeeMode: 1
; LDSByteSize: 224 bytes/workgroup (compile time only)
; SGPRBlocks: 0
; VGPRBlocks: 19
; NumSGPRsForWavesPerEU: 44
; NumVGPRsForWavesPerEU: 155
; Occupancy: 9
; WaveLimiterHint : 1
; COMPUTE_PGM_RSRC2:SCRATCH_EN: 0
; COMPUTE_PGM_RSRC2:USER_SGPR: 2
; COMPUTE_PGM_RSRC2:TRAP_HANDLER: 0
; COMPUTE_PGM_RSRC2:TGID_X_EN: 1
; COMPUTE_PGM_RSRC2:TGID_Y_EN: 1
; COMPUTE_PGM_RSRC2:TGID_Z_EN: 1
; COMPUTE_PGM_RSRC2:TIDIG_COMP_CNT: 0
	.section	.text._ZN4vllm25paged_attention_v2_kernelIttLi112ELi32ELi128ELNS_18Fp8KVCacheDataTypeE0ELb1ELi512EEEvPfS2_PT_PKS3_PKT0_S9_ifPKiSB_iPKfiiiSD_SD_iiiii,"axG",@progbits,_ZN4vllm25paged_attention_v2_kernelIttLi112ELi32ELi128ELNS_18Fp8KVCacheDataTypeE0ELb1ELi512EEEvPfS2_PT_PKS3_PKT0_S9_ifPKiSB_iPKfiiiSD_SD_iiiii,comdat
	.protected	_ZN4vllm25paged_attention_v2_kernelIttLi112ELi32ELi128ELNS_18Fp8KVCacheDataTypeE0ELb1ELi512EEEvPfS2_PT_PKS3_PKT0_S9_ifPKiSB_iPKfiiiSD_SD_iiiii ; -- Begin function _ZN4vllm25paged_attention_v2_kernelIttLi112ELi32ELi128ELNS_18Fp8KVCacheDataTypeE0ELb1ELi512EEEvPfS2_PT_PKS3_PKT0_S9_ifPKiSB_iPKfiiiSD_SD_iiiii
	.globl	_ZN4vllm25paged_attention_v2_kernelIttLi112ELi32ELi128ELNS_18Fp8KVCacheDataTypeE0ELb1ELi512EEEvPfS2_PT_PKS3_PKT0_S9_ifPKiSB_iPKfiiiSD_SD_iiiii
	.p2align	8
	.type	_ZN4vllm25paged_attention_v2_kernelIttLi112ELi32ELi128ELNS_18Fp8KVCacheDataTypeE0ELb1ELi512EEEvPfS2_PT_PKS3_PKT0_S9_ifPKiSB_iPKfiiiSD_SD_iiiii,@function
_ZN4vllm25paged_attention_v2_kernelIttLi112ELi32ELi128ELNS_18Fp8KVCacheDataTypeE0ELb1ELi512EEEvPfS2_PT_PKS3_PKT0_S9_ifPKiSB_iPKfiiiSD_SD_iiiii: ; @_ZN4vllm25paged_attention_v2_kernelIttLi112ELi32ELi128ELNS_18Fp8KVCacheDataTypeE0ELb1ELi512EEEvPfS2_PT_PKS3_PKT0_S9_ifPKiSB_iPKfiiiSD_SD_iiiii
; %bb.0:
	s_load_b64 s[2:3], s[0:1], 0x40
	s_and_b32 s26, ttmp7, 0xffff
	s_lshr_b32 s30, ttmp7, 16
	s_lshl_b32 s4, s26, 2
	s_lshl_b32 s34, s30, 9
	s_wait_kmcnt 0x0
	s_load_b32 s31, s[2:3], s4 offset:0x0
	s_wait_kmcnt 0x0
	s_cmp_ge_i32 s34, s31
	s_cbranch_scc1 .LBB112_108
; %bb.1:
	s_clause 0x1
	s_load_b32 s27, s[0:1], 0x90
	s_load_b64 s[8:9], s[0:1], 0x30
	s_wait_kmcnt 0x0
	s_abs_i32 s5, s27
	s_abs_i32 s2, s8
	s_delay_alu instid0(SALU_CYCLE_1) | instskip(SKIP_1) | instid1(SALU_CYCLE_2)
	s_cvt_f32_u32 s3, s2
	s_sub_co_i32 s4, 0, s2
	v_rcp_iflag_f32_e32 v1, s3
	s_delay_alu instid0(TRANS32_DEP_1) | instskip(SKIP_2) | instid1(SALU_CYCLE_2)
	v_readfirstlane_b32 s3, v1
	s_mul_f32 s3, s3, 0x4f7ffffe
	s_wait_alu 0xfffe
	s_cvt_u32_f32 s3, s3
	s_wait_alu 0xfffe
	s_delay_alu instid0(SALU_CYCLE_2) | instskip(NEXT) | instid1(SALU_CYCLE_1)
	s_mul_i32 s4, s4, s3
	s_mul_hi_u32 s4, s3, s4
	s_delay_alu instid0(SALU_CYCLE_1)
	s_add_co_i32 s3, s3, s4
	s_xor_b32 s4, s27, s8
	s_wait_alu 0xfffe
	s_mul_hi_u32 s3, s5, s3
	s_ashr_i32 s4, s4, 31
	s_wait_alu 0xfffe
	s_mul_i32 s6, s3, s2
	s_delay_alu instid0(SALU_CYCLE_1)
	s_sub_co_i32 s5, s5, s6
	s_add_co_i32 s6, s3, 1
	s_sub_co_i32 s7, s5, s2
	s_cmp_ge_u32 s5, s2
	s_cselect_b32 s3, s6, s3
	s_cselect_b32 s5, s7, s5
	s_wait_alu 0xfffe
	s_add_co_i32 s6, s3, 1
	s_cmp_ge_u32 s5, s2
	s_cselect_b32 s2, s6, s3
	s_load_b64 s[6:7], s[0:1], 0x50
	s_xor_b32 s2, s2, s4
	s_mov_b32 s3, 0
	s_wait_alu 0xfffe
	s_sub_co_i32 s16, s2, s4
	s_mov_b32 s15, s3
	s_abs_i32 s18, s16
	s_delay_alu instid0(SALU_CYCLE_1) | instskip(SKIP_1) | instid1(SALU_CYCLE_2)
	s_cvt_f32_u32 s2, s18
	s_wait_alu 0xfffe
	v_rcp_iflag_f32_e32 v1, s2
	s_delay_alu instid0(TRANS32_DEP_1) | instskip(SKIP_2) | instid1(SALU_CYCLE_2)
	v_readfirstlane_b32 s2, v1
	s_mul_f32 s2, s2, 0x4f7ffffe
	s_wait_alu 0xfffe
	s_cvt_u32_f32 s4, s2
	s_sub_co_i32 s2, 0, s18
	s_wait_alu 0xfffe
	s_delay_alu instid0(SALU_CYCLE_1)
	s_mul_i32 s2, s2, s4
	s_wait_alu 0xfffe
	s_mul_hi_u32 s5, s4, s2
	s_abs_i32 s2, ttmp9
	s_add_co_i32 s4, s4, s5
	s_mov_b32 s5, s3
	s_wait_kmcnt 0x0
	s_cmp_eq_u64 s[6:7], 0
	s_cbranch_scc1 .LBB112_3
; %bb.2:
	s_mov_b32 s10, ttmp9
	s_ashr_i32 s11, ttmp9, 31
	s_delay_alu instid0(SALU_CYCLE_1) | instskip(NEXT) | instid1(SALU_CYCLE_1)
	s_lshl_b64 s[10:11], s[10:11], 2
	s_add_nc_u64 s[6:7], s[6:7], s[10:11]
	s_load_b32 s15, s[6:7], 0x0
.LBB112_3:
	s_load_b96 s[12:14], s[0:1], 0x58
	v_lshlrev_b32_e32 v63, 4, v0
	s_mul_u64 s[10:11], s[2:3], s[4:5]
	s_ashr_i32 s3, ttmp9, 31
	s_ashr_i32 s10, s16, 31
	s_mul_i32 s16, ttmp9, 0x70
	s_mov_b32 s4, exec_lo
	v_cmpx_gt_u32_e32 14, v0
	s_cbranch_execz .LBB112_5
; %bb.4:
	s_load_b64 s[6:7], s[0:1], 0x18
	s_wait_kmcnt 0x0
	s_mul_i32 s20, s12, s26
	s_ashr_i32 s17, s16, 31
	s_ashr_i32 s21, s20, 31
	s_delay_alu instid0(SALU_CYCLE_1) | instskip(NEXT) | instid1(SALU_CYCLE_1)
	s_lshl_b64 s[20:21], s[20:21], 1
	s_add_nc_u64 s[6:7], s[6:7], s[20:21]
	s_lshl_b64 s[20:21], s[16:17], 1
	s_delay_alu instid0(SALU_CYCLE_1)
	s_add_nc_u64 s[6:7], s[6:7], s[20:21]
	global_load_b128 v[1:4], v63, s[6:7]
	s_wait_loadcnt 0x0
	ds_store_b128 v63, v[1:4]
.LBB112_5:
	s_or_b32 exec_lo, exec_lo, s4
	s_clause 0x1
	s_load_b128 s[4:7], s[0:1], 0x78
	s_load_b32 s20, s[0:1], 0x88
	s_wait_kmcnt 0x0
	s_mul_i32 s12, s11, s18
	s_xor_b32 s3, s3, s10
	s_sub_co_i32 s2, s2, s12
	s_add_co_i32 s10, s11, 1
	s_wait_alu 0xfffe
	s_sub_co_i32 s12, s2, s18
	s_cmp_ge_u32 s2, s18
	s_mov_b32 s22, -1
	s_cselect_b32 s10, s10, s11
	s_cselect_b32 s2, s12, s2
	s_add_co_i32 s11, s10, 1
	s_wait_alu 0xfffe
	s_cmp_ge_u32 s2, s18
	s_wait_dscnt 0x0
	s_cselect_b32 s2, s11, s10
	s_add_co_i32 s21, s31, -1
	s_wait_alu 0xfffe
	s_xor_b32 s2, s2, s3
	s_barrier_signal -1
	s_wait_alu 0xfffe
	s_sub_co_i32 s24, s2, s3
	s_barrier_wait -1
	s_abs_i32 s12, s7
	global_inv scope:SCOPE_SE
	s_cvt_f32_u32 s10, s12
                                        ; implicit-def: $sgpr17
	s_delay_alu instid0(SALU_CYCLE_3) | instskip(NEXT) | instid1(TRANS32_DEP_1)
	v_rcp_iflag_f32_e32 v1, s10
	v_readfirstlane_b32 s10, v1
	s_mul_f32 s2, s10, 0x4f7ffffe
	s_wait_alu 0xfffe
	s_delay_alu instid0(SALU_CYCLE_2) | instskip(SKIP_2) | instid1(SALU_CYCLE_1)
	s_cvt_u32_f32 s10, s2
	s_sub_co_i32 s2, 0, s12
	s_wait_alu 0xfffe
	s_mul_i32 s3, s2, s10
	s_abs_i32 s2, s21
	s_wait_alu 0xfffe
	s_mul_hi_u32 s11, s10, s3
	s_mov_b32 s3, 0
	s_wait_alu 0xfffe
	s_add_co_i32 s18, s10, s11
	s_cmp_lt_i32 s20, 0
	s_mov_b32 s19, s3
	s_cbranch_scc0 .LBB112_7
; %bb.6:
	s_mul_i32 s8, s4, s8
	s_mov_b32 s22, s3
	s_add_co_i32 s8, s24, s8
	s_delay_alu instid0(SALU_CYCLE_1) | instskip(NEXT) | instid1(SALU_CYCLE_1)
	s_mul_i32 s8, s8, s20
	s_sub_co_i32 s17, 1, s8
.LBB112_7:
	s_mul_u64 s[10:11], s[2:3], s[18:19]
	s_ashr_i32 s3, s21, 31
	s_and_not1_b32 vcc_lo, exec_lo, s22
	s_ashr_i32 s19, s7, 31
	s_cbranch_vccnz .LBB112_9
; %bb.8:
	s_mul_i32 s4, s27, s4
	s_delay_alu instid0(SALU_CYCLE_1) | instskip(NEXT) | instid1(SALU_CYCLE_1)
	s_add_co_i32 s4, s4, ttmp9
	s_mul_i32 s4, s4, s20
	s_delay_alu instid0(SALU_CYCLE_1)
	s_add_co_i32 s17, s4, 1
.LBB112_9:
	s_clause 0x2
	s_load_b32 s4, s[0:1], 0x48
	s_load_b64 s[20:21], s[0:1], 0x38
	s_load_b32 s7, s[0:1], 0x98
	s_mul_i32 s8, s11, s12
	s_xor_b32 s3, s3, s19
	s_sub_co_i32 s2, s2, s8
	s_add_co_i32 s10, s11, 1
	v_lshrrev_b32_e32 v59, 5, v0
	v_and_b32_e32 v60, 31, v0
	v_mov_b32_e32 v66, 0xff7fffff
	s_mul_i32 s24, s24, s14
	s_delay_alu instid0(VALU_DEP_3) | instskip(NEXT) | instid1(VALU_DEP_3)
	v_lshl_add_u32 v61, v59, 5, s34
	v_lshlrev_b32_e32 v65, 2, v60
	s_wait_kmcnt 0x0
	s_mul_i32 s22, s4, s26
	s_wait_alu 0xfffe
	s_sub_co_i32 s4, s2, s12
	s_ashr_i32 s23, s22, 31
	s_cmp_ge_u32 s2, s12
	s_cselect_b32 s8, s10, s11
	s_cselect_b32 s2, s4, s2
	s_add_co_i32 s4, s8, 1
	s_wait_alu 0xfffe
	s_cmp_ge_u32 s2, s12
	s_cselect_b32 s2, s4, s8
	s_add_co_i32 s4, s31, 31
	s_lshl_b32 s37, s30, 4
	s_ashr_i32 s8, s4, 31
	v_add_nc_u32_e32 v62, s37, v59
	s_lshr_b32 s8, s8, 27
	s_delay_alu instid0(SALU_CYCLE_1)
	s_add_co_i32 s4, s4, s8
	s_add_co_i32 s8, s37, 16
	s_ashr_i32 s35, s4, 5
	s_wait_alu 0xfffe
	s_xor_b32 s4, s2, s3
	s_min_i32 s33, s8, s35
	v_lshlrev_b32_e32 v64, 2, v62
	v_cmp_gt_i32_e64 s2, s33, v62
	s_sub_co_i32 s36, s4, s3
	s_and_saveexec_b32 s8, s2
	s_cbranch_execz .LBB112_17
; %bb.10:
	s_ashr_i32 s25, s24, 31
	s_wait_alu 0xfffe
	s_sub_co_i32 s10, s36, s5
	s_lshl_b64 s[28:29], s[24:25], 1
	s_cmp_neq_f32 s15, 0
	s_load_b64 s[38:39], s[0:1], 0x20
	v_dual_mov_b32 v67, 0 :: v_dual_lshlrev_b32 v2, 4, v60
	s_cselect_b32 vcc_lo, -1, 0
	s_abs_i32 s11, s6
	s_lshl_b64 s[40:41], s[22:23], 2
	s_wait_alu 0xfffe
	s_cvt_f32_u32 s3, s11
	s_add_nc_u64 s[40:41], s[20:21], s[40:41]
	v_subrev_nc_u32_e32 v3, s31, v60
	v_lshl_or_b32 v4, v59, 7, v65
	s_wait_alu 0xfffe
	v_rcp_iflag_f32_e32 v1, s3
	v_add_co_u32 v57, s25, s40, v64
	s_sub_co_i32 s4, 0, s11
	v_add_co_ci_u32_e64 v58, null, s41, 0, s25
	v_lshl_add_u32 v68, v59, 5, s34
	v_dual_mov_b32 v69, 0xff7fffff :: v_dual_add_nc_u32 v70, 1, v3
	v_dual_mov_b32 v74, v62 :: v_dual_add_nc_u32 v71, 0x100, v4
	s_delay_alu instid0(TRANS32_DEP_1)
	v_readfirstlane_b32 s3, v1
	s_wait_kmcnt 0x0
	s_add_nc_u64 s[28:29], s[38:39], s[28:29]
	v_mov_b32_e32 v66, 0xff7fffff
	v_add_co_u32 v72, s25, s28, v2
	s_mul_f32 s3, s3, 0x4f7ffffe
	v_add_co_ci_u32_e64 v73, null, s29, 0, s25
	s_mov_b32 s14, s13
	s_wait_alu 0xfffe
	s_cvt_u32_f32 s3, s3
	s_mov_b32 s25, 0
	s_wait_alu 0xfffe
	s_delay_alu instid0(SALU_CYCLE_1) | instskip(NEXT) | instid1(SALU_CYCLE_1)
	s_mul_i32 s4, s4, s3
	s_mul_hi_u32 s4, s3, s4
	s_delay_alu instid0(SALU_CYCLE_1)
	s_add_co_i32 s28, s3, s4
	s_branch .LBB112_12
.LBB112_11:                             ;   in Loop: Header=BB112_12 Depth=1
	s_wait_alu 0xfffe
	s_or_b32 exec_lo, exec_lo, s4
	v_add_nc_u32_e32 v74, 4, v74
	v_add_co_u32 v57, s4, v57, 16
	s_wait_alu 0xf1ff
	v_add_co_ci_u32_e64 v58, null, 0, v58, s4
	s_delay_alu instid0(VALU_DEP_3)
	v_cmp_le_i32_e64 s3, s33, v74
	v_add_nc_u32_e32 v68, 0x80, v68
	v_add_nc_u32_e32 v71, 0x200, v71
	s_or_b32 s25, s3, s25
	s_wait_alu 0xfffe
	s_and_not1_b32 exec_lo, exec_lo, s25
	s_cbranch_execz .LBB112_16
.LBB112_12:                             ; =>This Inner Loop Header: Depth=1
	v_sub_nc_u32_e32 v1, 0, v68
	s_delay_alu instid0(VALU_DEP_1) | instskip(NEXT) | instid1(VALU_DEP_1)
	v_max_i32_e32 v1, v68, v1
	v_mul_hi_u32 v2, v1, s18
	s_delay_alu instid0(VALU_DEP_1) | instskip(NEXT) | instid1(VALU_DEP_1)
	v_mul_lo_u32 v3, v2, s12
	v_sub_nc_u32_e32 v1, v1, v3
	v_add_nc_u32_e32 v3, 1, v2
	s_delay_alu instid0(VALU_DEP_2) | instskip(SKIP_2) | instid1(VALU_DEP_1)
	v_subrev_nc_u32_e32 v4, s12, v1
	v_cmp_le_u32_e64 s3, s12, v1
	s_wait_alu 0xf1ff
	v_cndmask_b32_e64 v2, v2, v3, s3
	s_delay_alu instid0(VALU_DEP_3) | instskip(SKIP_1) | instid1(VALU_DEP_3)
	v_cndmask_b32_e64 v1, v1, v4, s3
	v_ashrrev_i32_e32 v3, 31, v68
	v_add_nc_u32_e32 v4, 1, v2
	s_delay_alu instid0(VALU_DEP_3) | instskip(NEXT) | instid1(VALU_DEP_3)
	v_cmp_le_u32_e64 s3, s12, v1
	v_xor_b32_e32 v3, s19, v3
	s_wait_alu 0xf1ff
	s_delay_alu instid0(VALU_DEP_2) | instskip(NEXT) | instid1(VALU_DEP_1)
	v_cndmask_b32_e64 v1, v2, v4, s3
	v_xor_b32_e32 v1, v1, v3
	s_delay_alu instid0(VALU_DEP_1) | instskip(NEXT) | instid1(VALU_DEP_1)
	v_sub_nc_u32_e32 v1, v1, v3
	v_add_nc_u32_e32 v2, s17, v1
	v_cmp_ge_i32_e64 s4, s10, v1
	s_delay_alu instid0(VALU_DEP_2) | instskip(NEXT) | instid1(VALU_DEP_1)
	v_sub_nc_u32_e32 v3, 0, v2
	v_max_i32_e32 v3, v2, v3
	v_ashrrev_i32_e32 v2, 31, v2
	s_wait_alu 0xfffe
	s_delay_alu instid0(VALU_DEP_2) | instskip(NEXT) | instid1(VALU_DEP_1)
	v_mul_hi_u32 v4, v3, s28
	v_mul_lo_u32 v4, v4, s11
	s_delay_alu instid0(VALU_DEP_1) | instskip(NEXT) | instid1(VALU_DEP_1)
	v_sub_nc_u32_e32 v3, v3, v4
	v_subrev_nc_u32_e32 v4, s11, v3
	v_cmp_le_u32_e64 s3, s11, v3
	s_wait_alu 0xf1ff
	s_delay_alu instid0(VALU_DEP_1) | instskip(NEXT) | instid1(VALU_DEP_1)
	v_cndmask_b32_e64 v3, v3, v4, s3
	v_subrev_nc_u32_e32 v4, s11, v3
	v_cmp_le_u32_e64 s3, s11, v3
	s_wait_alu 0xf1ff
	s_delay_alu instid0(VALU_DEP_1) | instskip(NEXT) | instid1(VALU_DEP_1)
	v_cndmask_b32_e64 v3, v3, v4, s3
	v_xor_b32_e32 v3, v3, v2
	s_delay_alu instid0(VALU_DEP_1) | instskip(NEXT) | instid1(VALU_DEP_1)
	v_sub_nc_u32_e32 v2, v3, v2
	v_cmp_ne_u32_e64 s3, 0, v2
	s_and_b32 s3, s3, s4
	s_wait_alu 0xfffe
	s_and_saveexec_b32 s4, s3
	s_wait_alu 0xfffe
	s_xor_b32 s3, exec_lo, s4
; %bb.13:                               ;   in Loop: Header=BB112_12 Depth=1
	ds_store_b32 v71, v69
; %bb.14:                               ;   in Loop: Header=BB112_12 Depth=1
	s_wait_alu 0xfffe
	s_and_not1_saveexec_b32 s4, s3
	s_cbranch_execz .LBB112_11
; %bb.15:                               ;   in Loop: Header=BB112_12 Depth=1
	global_load_b32 v1, v[57:58], off
	s_wait_loadcnt 0x0
	v_mad_co_i64_i32 v[1:2], null, v1, s14, 0
	s_delay_alu instid0(VALU_DEP_1) | instskip(NEXT) | instid1(VALU_DEP_1)
	v_lshlrev_b64_e32 v[1:2], 1, v[1:2]
	v_add_co_u32 v45, s3, v72, v1
	s_wait_alu 0xf1ff
	s_delay_alu instid0(VALU_DEP_2)
	v_add_co_ci_u32_e64 v46, null, v73, v2, s3
	s_clause 0xd
	global_load_b128 v[33:36], v[45:46], off
	global_load_b128 v[29:32], v[45:46], off offset:512
	global_load_b128 v[25:28], v[45:46], off offset:1024
	;; [unrolled: 1-line block ×13, first 2 shown]
	ds_load_b128 v[75:78], v67
	s_wait_dscnt 0x0
	v_lshrrev_b32_e32 v79, 16, v75
	v_and_b32_e32 v75, 0xffff, v75
	v_lshrrev_b32_e32 v80, 16, v76
	v_and_b32_e32 v81, 0xffff, v76
	v_lshrrev_b32_e32 v82, 16, v77
	;;#ASMSTART
	v_cvt_f32_f16 v76, v75;
	;;#ASMEND
	;;#ASMSTART
	v_cvt_f32_f16 v75, v79;
	;;#ASMEND
	v_lshrrev_b32_e32 v83, 16, v78
	v_and_b32_e32 v78, 0xffff, v78
	s_wait_loadcnt 0xd
	v_lshrrev_b32_e32 v79, 16, v33
	v_and_b32_e32 v33, 0xffff, v33
	v_lshrrev_b32_e32 v84, 16, v34
	v_and_b32_e32 v34, 0xffff, v34
	s_wait_loadcnt 0xc
	v_lshrrev_b32_e32 v91, 16, v31
	v_and_b32_e32 v92, 0xffff, v31
	;;#ASMSTART
	v_cvt_f32_f16 v133, v33;
	;;#ASMEND
	;;#ASMSTART
	v_cvt_f32_f16 v31, v79;
	;;#ASMEND
	v_and_b32_e32 v77, 0xffff, v77
	v_lshrrev_b32_e32 v85, 16, v35
	v_and_b32_e32 v86, 0xffff, v35
	v_lshrrev_b32_e32 v87, 16, v36
	;; [unrolled: 2-line block ×3, first 2 shown]
	v_and_b32_e32 v94, 0xffff, v32
	s_wait_loadcnt 0xb
	v_lshrrev_b32_e32 v95, 16, v25
	v_lshrrev_b32_e32 v97, 16, v26
	v_and_b32_e32 v98, 0xffff, v26
	v_lshrrev_b32_e32 v99, 16, v27
	v_and_b32_e32 v100, 0xffff, v27
	s_wait_loadcnt 0xa
	v_lshrrev_b32_e32 v102, 16, v21
	v_and_b32_e32 v103, 0xffff, v21
	v_lshrrev_b32_e32 v104, 16, v22
	v_and_b32_e32 v156, 0xffff, v22
	;; [unrolled: 2-line block ×4, first 2 shown]
	s_wait_loadcnt 0x9
	v_lshrrev_b32_e32 v161, 16, v17
	v_and_b32_e32 v162, 0xffff, v17
	v_lshrrev_b32_e32 v163, 16, v18
	v_and_b32_e32 v164, 0xffff, v18
	;; [unrolled: 2-line block ×3, first 2 shown]
	;;#ASMSTART
	v_cvt_f32_f16 v32, v81;
	;;#ASMEND
	;;#ASMSTART
	v_cvt_f32_f16 v33, v80;
	;;#ASMEND
	;; [unrolled: 3-line block ×11, first 2 shown]
	v_and_b32_e32 v96, 0xffff, v25
	;;#ASMSTART
	v_cvt_f32_f16 v23, v87;
	;;#ASMEND
	ds_load_b128 v[24:27], v67 offset:16
	s_wait_loadcnt 0x7
	v_lshrrev_b32_e32 v119, 16, v9
	v_and_b32_e32 v121, 0xffff, v9
	v_lshrrev_b32_e32 v117, 16, v10
	v_and_b32_e32 v120, 0xffff, v10
	;; [unrolled: 2-line block ×9, first 2 shown]
	v_lshrrev_b32_e32 v177, 16, v16
	s_wait_dscnt 0x0
	v_lshrrev_b32_e32 v9, 16, v24
	v_and_b32_e32 v10, 0xffff, v24
	v_lshrrev_b32_e32 v11, 16, v25
	v_and_b32_e32 v12, 0xffff, v25
	v_and_b32_e32 v178, 0xffff, v16
	v_lshrrev_b32_e32 v13, 16, v26
	v_and_b32_e32 v14, 0xffff, v26
	v_lshrrev_b32_e32 v15, 16, v27
	v_and_b32_e32 v16, 0xffff, v27
	;;#ASMSTART
	v_cvt_f32_f16 v129, v10;
	;;#ASMEND
	;;#ASMSTART
	v_cvt_f32_f16 v130, v9;
	;;#ASMEND
	;; [unrolled: 3-line block ×16, first 2 shown]
	ds_load_b128 v[9:12], v67 offset:32
	s_wait_loadcnt 0x6
	v_lshrrev_b32_e32 v105, 16, v1
	v_and_b32_e32 v128, 0xffff, v1
	v_lshrrev_b32_e32 v125, 16, v2
	v_and_b32_e32 v127, 0xffff, v2
	;; [unrolled: 2-line block ×4, first 2 shown]
	s_wait_loadcnt 0x5
	v_lshrrev_b32_e32 v106, 16, v8
	v_and_b32_e32 v108, 0xffff, v8
	v_lshrrev_b32_e32 v101, 16, v28
	v_lshrrev_b32_e32 v111, 16, v5
	v_and_b32_e32 v113, 0xffff, v5
	v_lshrrev_b32_e32 v109, 16, v6
	v_and_b32_e32 v112, 0xffff, v6
	;; [unrolled: 2-line block ×3, first 2 shown]
	s_wait_loadcnt 0x4
	v_lshrrev_b32_e32 v81, 16, v41
	v_and_b32_e32 v84, 0xffff, v41
	s_wait_dscnt 0x0
	v_lshrrev_b32_e32 v1, 16, v9
	v_and_b32_e32 v2, 0xffff, v9
	v_lshrrev_b32_e32 v3, 16, v10
	v_and_b32_e32 v4, 0xffff, v10
	v_and_b32_e32 v8, 0xffff, v12
	v_lshrrev_b32_e32 v5, 16, v11
	v_and_b32_e32 v6, 0xffff, v11
	v_lshrrev_b32_e32 v7, 16, v12
	;;#ASMSTART
	v_cvt_f32_f16 v146, v2;
	;;#ASMEND
	;;#ASMSTART
	v_cvt_f32_f16 v147, v1;
	;;#ASMEND
	;; [unrolled: 3-line block ×11, first 2 shown]
	v_and_b32_e32 v28, 0xffff, v28
	;;#ASMSTART
	v_cvt_f32_f16 v30, v99;
	;;#ASMEND
	;;#ASMSTART
	v_cvt_f32_f16 v8, v8;
	;;#ASMEND
	;; [unrolled: 3-line block ×5, first 2 shown]
	ds_load_b128 v[1:4], v67 offset:48
	v_lshrrev_b32_e32 v80, 16, v42
	v_and_b32_e32 v82, 0xffff, v42
	s_wait_loadcnt 0x3
	v_lshrrev_b32_e32 v89, 16, v53
	v_and_b32_e32 v91, 0xffff, v53
	v_lshrrev_b32_e32 v87, 16, v54
	v_and_b32_e32 v90, 0xffff, v54
	;; [unrolled: 2-line block ×4, first 2 shown]
	s_wait_loadcnt 0x2
	v_lshrrev_b32_e32 v56, 16, v37
	v_and_b32_e32 v79, 0xffff, v37
	v_lshrrev_b32_e32 v54, 16, v38
	v_and_b32_e32 v78, 0xffff, v38
	v_lshrrev_b32_e32 v53, 16, v39
	v_lshrrev_b32_e32 v170, 16, v20
	v_and_b32_e32 v169, 0xffff, v20
	v_lshrrev_b32_e32 v93, 16, v43
	v_and_b32_e32 v95, 0xffff, v43
	s_wait_dscnt 0x0
	v_lshrrev_b32_e32 v6, 16, v2
	v_and_b32_e32 v2, 0xffff, v2
	v_lshrrev_b32_e32 v5, 16, v1
	v_and_b32_e32 v1, 0xffff, v1
	;;#ASMSTART
	v_cvt_f32_f16 v37, v1;
	;;#ASMEND
	;;#ASMSTART
	v_cvt_f32_f16 v38, v5;
	;;#ASMEND
	v_and_b32_e32 v55, 0xffff, v39
	;;#ASMSTART
	v_cvt_f32_f16 v39, v103;
	;;#ASMEND
	;;#ASMSTART
	v_cvt_f32_f16 v41, v102;
	;;#ASMEND
	;; [unrolled: 3-line block ×3, first 2 shown]
	v_dual_mul_f32 v2, v130, v132 :: v_dual_mul_f32 v1, v129, v131
	v_lshrrev_b32_e32 v7, 16, v3
	v_lshrrev_b32_e32 v12, 16, v4
	v_and_b32_e32 v4, 0xffff, v4
	s_delay_alu instid0(VALU_DEP_4) | instskip(SKIP_3) | instid1(VALU_DEP_3)
	v_dual_fmac_f32 v2, v75, v31 :: v_dual_fmac_f32 v1, v76, v133
	;;#ASMSTART
	v_cvt_f32_f16 v13, v6;
	;;#ASMEND
	v_lshrrev_b32_e32 v92, 16, v44
	v_and_b32_e32 v94, 0xffff, v44
	v_dual_fmac_f32 v2, v147, v149 :: v_dual_fmac_f32 v1, v146, v148
	v_lshrrev_b32_e32 v44, 16, v40
	s_wait_loadcnt 0x1
	v_lshrrev_b32_e32 v97, 16, v51
	v_and_b32_e32 v100, 0xffff, v51
	v_dual_fmac_f32 v2, v38, v41 :: v_dual_and_b32 v3, 0xffff, v3
	v_fmac_f32_e32 v1, v37, v39
	;;#ASMSTART
	v_cvt_f32_f16 v43, v156;
	;;#ASMEND
	;;#ASMSTART
	v_cvt_f32_f16 v14, v104;
	;;#ASMEND
	;; [unrolled: 3-line block ×10, first 2 shown]
	ds_load_b128 v[3:6], v67 offset:64
	v_and_b32_e32 v104, 0xffff, v40
	v_lshrrev_b32_e32 v96, 16, v52
	v_and_b32_e32 v98, 0xffff, v52
	s_wait_loadcnt 0x0
	v_lshrrev_b32_e32 v51, 16, v45
	v_and_b32_e32 v52, 0xffff, v45
	v_lshrrev_b32_e32 v40, 16, v48
	v_and_b32_e32 v45, 0xffff, v48
	v_lshrrev_b32_e32 v101, 16, v49
	v_lshrrev_b32_e32 v99, 16, v50
	s_wait_dscnt 0x0
	v_lshrrev_b32_e32 v7, 16, v3
	v_and_b32_e32 v3, 0xffff, v3
	;;#ASMSTART
	v_cvt_f32_f16 v48, v3;
	;;#ASMEND
	v_mul_f32_e32 v3, v142, v144
	v_lshrrev_b32_e32 v12, 16, v4
	v_and_b32_e32 v4, 0xffff, v4
	v_lshrrev_b32_e32 v129, 16, v5
	v_lshrrev_b32_e32 v130, 16, v6
	v_fmac_f32_e32 v3, v19, v22
	v_and_b32_e32 v6, 0xffff, v6
	;;#ASMSTART
	v_cvt_f32_f16 v156, v7;
	;;#ASMEND
	;;#ASMSTART
	v_cvt_f32_f16 v157, v162;
	;;#ASMEND
	;; [unrolled: 3-line block ×3, first 2 shown]
	v_fmac_f32_e32 v3, v8, v10
	;;#ASMSTART
	v_cvt_f32_f16 v159, v4;
	;;#ASMEND
	;;#ASMSTART
	v_cvt_f32_f16 v160, v12;
	;;#ASMEND
	v_mul_f32_e32 v4, v139, v141
	s_delay_alu instid0(VALU_DEP_2)
	v_dual_mul_f32 v12, v143, v145 :: v_dual_fmac_f32 v3, v25, v27
	;;#ASMSTART
	v_cvt_f32_f16 v161, v164;
	;;#ASMEND
	;;#ASMSTART
	v_cvt_f32_f16 v162, v163;
	;;#ASMEND
	v_dual_fmac_f32 v2, v156, v158 :: v_dual_and_b32 v5, 0xffff, v5
	;;#ASMSTART
	v_cvt_f32_f16 v163, v5;
	;;#ASMEND
	;;#ASMSTART
	v_cvt_f32_f16 v164, v129;
	;;#ASMEND
	;; [unrolled: 3-line block ×8, first 2 shown]
	ds_load_b128 v[129:132], v67 offset:80
	v_mul_f32_e32 v7, v134, v136
	v_dual_mul_f32 v5, v138, v140 :: v_dual_mul_f32 v6, v135, v137
	v_dual_fmac_f32 v1, v48, v157 :: v_dual_fmac_f32 v4, v17, v18
	s_delay_alu instid0(VALU_DEP_3) | instskip(NEXT) | instid1(VALU_DEP_3)
	v_fmac_f32_e32 v7, v32, v34
	v_dual_fmac_f32 v5, v36, v77 :: v_dual_fmac_f32 v6, v33, v35
	v_fmac_f32_e32 v12, v21, v23
	s_delay_alu instid0(VALU_DEP_3) | instskip(NEXT) | instid1(VALU_DEP_3)
	v_dual_fmac_f32 v4, v29, v30 :: v_dual_fmac_f32 v7, v150, v152
	v_dual_fmac_f32 v5, v154, v155 :: v_dual_fmac_f32 v6, v151, v153
	s_delay_alu instid0(VALU_DEP_3) | instskip(NEXT) | instid1(VALU_DEP_3)
	v_dual_fmac_f32 v3, v167, v169 :: v_dual_fmac_f32 v12, v9, v11
	v_fmac_f32_e32 v7, v42, v43
	s_delay_alu instid0(VALU_DEP_3)
	v_dual_fmac_f32 v5, v15, v20 :: v_dual_fmac_f32 v6, v13, v14
	v_and_b32_e32 v103, 0xffff, v49
	s_wait_dscnt 0x0
	v_lshrrev_b32_e32 v133, 16, v129
	v_and_b32_e32 v76, 0xffff, v129
	v_lshrrev_b32_e32 v129, 16, v130
	v_and_b32_e32 v130, 0xffff, v130
	v_lshrrev_b32_e32 v141, 16, v131
	v_lshrrev_b32_e32 v145, 16, v132
	v_and_b32_e32 v132, 0xffff, v132
	;;#ASMSTART
	v_cvt_f32_f16 v76, v76;
	;;#ASMEND
	;;#ASMSTART
	v_cvt_f32_f16 v133, v133;
	;;#ASMEND
	;; [unrolled: 3-line block ×4, first 2 shown]
	v_fmac_f32_e32 v2, v133, v135
	v_and_b32_e32 v131, 0xffff, v131
	;;#ASMSTART
	v_cvt_f32_f16 v136, v130;
	;;#ASMEND
	;;#ASMSTART
	v_cvt_f32_f16 v137, v129;
	;;#ASMEND
	;; [unrolled: 3-line block ×6, first 2 shown]
	v_fmac_f32_e32 v7, v159, v161
	;;#ASMSTART
	v_cvt_f32_f16 v142, v176;
	;;#ASMEND
	;;#ASMSTART
	v_cvt_f32_f16 v143, v175;
	;;#ASMEND
	;; [unrolled: 3-line block ×4, first 2 shown]
	v_fmac_f32_e32 v5, v163, v165
	;;#ASMSTART
	v_cvt_f32_f16 v171, v178;
	;;#ASMEND
	;;#ASMSTART
	v_cvt_f32_f16 v172, v177;
	;;#ASMEND
	ds_load_b128 v[129:132], v67 offset:96
	v_dual_fmac_f32 v6, v160, v162 :: v_dual_add_nc_u32 v29, v70, v68
	v_fmac_f32_e32 v7, v136, v138
	v_dual_fmac_f32 v5, v140, v142 :: v_dual_fmac_f32 v12, v26, v28
	s_delay_alu instid0(VALU_DEP_3) | instskip(SKIP_2) | instid1(VALU_DEP_4)
	v_dual_fmac_f32 v6, v137, v139 :: v_dual_fmac_f32 v1, v76, v134
	v_fmac_f32_e32 v3, v144, v171
	v_fmac_f32_e32 v4, v16, v24
	;; [unrolled: 1-line block ×3, first 2 shown]
	v_lshrrev_b32_e32 v49, 16, v46
	v_cvt_f32_i32_e32 v29, v29
	s_delay_alu instid0(VALU_DEP_4) | instskip(NEXT) | instid1(VALU_DEP_4)
	v_fmac_f32_e32 v4, v164, v166
	v_fmac_f32_e32 v12, v145, v172
	s_delay_alu instid0(VALU_DEP_2)
	v_fmac_f32_e32 v4, v141, v143
	s_wait_dscnt 0x0
	v_lshrrev_b32_e32 v31, 16, v129
	v_and_b32_e32 v32, 0xffff, v129
	v_lshrrev_b32_e32 v33, 16, v130
	v_and_b32_e32 v34, 0xffff, v130
	v_lshrrev_b32_e32 v130, 16, v131
	;;#ASMSTART
	v_cvt_f32_f16 v35, v32;
	;;#ASMEND
	;;#ASMSTART
	v_cvt_f32_f16 v36, v31;
	;;#ASMEND
	;;#ASMSTART
	v_cvt_f32_f16 v75, v121;
	;;#ASMEND
	;;#ASMSTART
	v_cvt_f32_f16 v77, v119;
	;;#ASMEND
	;;#ASMSTART
	v_cvt_f32_f16 v119, v34;
	;;#ASMEND
	;;#ASMSTART
	v_cvt_f32_f16 v121, v33;
	;;#ASMEND
	;;#ASMSTART
	v_cvt_f32_f16 v120, v120;
	;;#ASMEND
	;;#ASMSTART
	v_cvt_f32_f16 v117, v117;
	;;#ASMEND
	v_dual_fmac_f32 v6, v121, v117 :: v_dual_and_b32 v129, 0xffff, v131
	v_and_b32_e32 v131, 0xffff, v132
	v_lshrrev_b32_e32 v173, 16, v132
	;;#ASMSTART
	v_cvt_f32_f16 v129, v129;
	;;#ASMEND
	;;#ASMSTART
	v_cvt_f32_f16 v130, v130;
	;;#ASMEND
	;; [unrolled: 3-line block ×8, first 2 shown]
	ds_load_b128 v[31:34], v67 offset:112
	v_fmac_f32_e32 v1, v35, v75
	v_fmac_f32_e32 v7, v119, v120
	v_dual_fmac_f32 v3, v131, v116 :: v_dual_fmac_f32 v12, v132, v114
	v_dual_fmac_f32 v2, v36, v77 :: v_dual_fmac_f32 v5, v129, v118
	v_fmac_f32_e32 v4, v130, v115
	s_wait_dscnt 0x0
	v_lshrrev_b32_e32 v18, 16, v31
	v_and_b32_e32 v17, 0xffff, v31
	v_lshrrev_b32_e32 v23, 16, v32
	v_and_b32_e32 v22, 0xffff, v32
	;; [unrolled: 2-line block ×4, first 2 shown]
	;;#ASMSTART
	v_cvt_f32_f16 v17, v17;
	;;#ASMEND
	;;#ASMSTART
	v_cvt_f32_f16 v18, v18;
	;;#ASMEND
	;; [unrolled: 3-line block ×10, first 2 shown]
	v_fmac_f32_e32 v1, v17, v19
	v_fmac_f32_e32 v7, v22, v105
	;;#ASMSTART
	v_cvt_f32_f16 v126, v126;
	;;#ASMEND
	;;#ASMSTART
	v_cvt_f32_f16 v123, v123;
	;;#ASMEND
	;; [unrolled: 3-line block ×6, first 2 shown]
	ds_load_b128 v[31:34], v67 offset:128
	v_dual_fmac_f32 v2, v18, v21 :: v_dual_fmac_f32 v5, v127, v126
	v_dual_fmac_f32 v3, v146, v124 :: v_dual_fmac_f32 v6, v23, v125
	v_fmac_f32_e32 v12, v148, v122
	v_fmac_f32_e32 v4, v128, v123
	s_wait_dscnt 0x0
	v_lshrrev_b32_e32 v149, 16, v31
	v_and_b32_e32 v31, 0xffff, v31
	v_lshrrev_b32_e32 v151, 16, v32
	v_and_b32_e32 v32, 0xffff, v32
	;; [unrolled: 2-line block ×4, first 2 shown]
	;;#ASMSTART
	v_cvt_f32_f16 v147, v31;
	;;#ASMEND
	;;#ASMSTART
	v_cvt_f32_f16 v149, v149;
	;;#ASMEND
	;; [unrolled: 3-line block ×14, first 2 shown]
	v_fmac_f32_e32 v1, v147, v113
	;;#ASMSTART
	v_cvt_f32_f16 v108, v108;
	;;#ASMEND
	;;#ASMSTART
	v_cvt_f32_f16 v106, v106;
	;;#ASMEND
	ds_load_b128 v[31:34], v67 offset:144
	v_fmac_f32_e32 v7, v150, v112
	v_dual_fmac_f32 v3, v154, v108 :: v_dual_fmac_f32 v2, v149, v111
	v_dual_fmac_f32 v6, v151, v109 :: v_dual_fmac_f32 v5, v152, v110
	v_fmac_f32_e32 v12, v155, v106
	v_fmac_f32_e32 v4, v153, v107
	s_wait_dscnt 0x0
	v_lshrrev_b32_e32 v8, 16, v31
	v_and_b32_e32 v9, 0xffff, v31
	v_lshrrev_b32_e32 v10, 16, v32
	v_and_b32_e32 v11, 0xffff, v32
	;; [unrolled: 2-line block ×4, first 2 shown]
	;;#ASMSTART
	v_cvt_f32_f16 v30, v9;
	;;#ASMEND
	;;#ASMSTART
	v_cvt_f32_f16 v31, v8;
	;;#ASMEND
	;; [unrolled: 3-line block ×16, first 2 shown]
	ds_load_b128 v[8:11], v67 offset:160
	v_fmac_f32_e32 v7, v34, v38
	v_fmac_f32_e32 v3, v81, v84
	;; [unrolled: 1-line block ×6, first 2 shown]
	s_wait_dscnt 0x0
	v_lshrrev_b32_e32 v14, 16, v8
	v_and_b32_e32 v8, 0xffff, v8
	v_lshrrev_b32_e32 v24, 16, v9
	v_and_b32_e32 v9, 0xffff, v9
	;; [unrolled: 2-line block ×4, first 2 shown]
	;;#ASMSTART
	v_cvt_f32_f16 v13, v8;
	;;#ASMEND
	;;#ASMSTART
	v_cvt_f32_f16 v14, v14;
	;;#ASMEND
	;; [unrolled: 3-line block ×10, first 2 shown]
	v_fmac_f32_e32 v7, v20, v25
	;;#ASMSTART
	v_cvt_f32_f16 v48, v88;
	;;#ASMEND
	;;#ASMSTART
	v_cvt_f32_f16 v76, v85;
	;;#ASMEND
	;; [unrolled: 3-line block ×6, first 2 shown]
	ds_load_b128 v[8:11], v67 offset:176
	v_fmac_f32_e32 v5, v27, v48
	v_fmac_f32_e32 v1, v13, v15
	v_dual_fmac_f32 v3, v85, v86 :: v_dual_fmac_f32 v4, v28, v76
	v_fmac_f32_e32 v12, v87, v83
	s_wait_dscnt 0x0
	v_lshrrev_b32_e32 v18, 16, v8
	v_and_b32_e32 v8, 0xffff, v8
	v_lshrrev_b32_e32 v23, 16, v9
	v_and_b32_e32 v9, 0xffff, v9
	;; [unrolled: 2-line block ×4, first 2 shown]
	;;#ASMSTART
	v_cvt_f32_f16 v17, v8;
	;;#ASMEND
	;;#ASMSTART
	v_cvt_f32_f16 v18, v18;
	;;#ASMEND
	;; [unrolled: 3-line block ×14, first 2 shown]
	v_fmac_f32_e32 v5, v54, v55
	;;#ASMSTART
	v_cvt_f32_f16 v78, v104;
	;;#ASMEND
	;;#ASMSTART
	v_cvt_f32_f16 v44, v44;
	;;#ASMEND
	ds_load_b128 v[8:11], v67 offset:192
	v_fmac_f32_e32 v2, v31, v33
	v_fmac_f32_e32 v6, v37, v39
	;; [unrolled: 1-line block ×4, first 2 shown]
	v_dual_fmac_f32 v3, v75, v78 :: v_dual_fmac_f32 v4, v56, v53
	s_delay_alu instid0(VALU_DEP_4)
	v_fmac_f32_e32 v6, v24, v26
	v_fmac_f32_e32 v12, v77, v44
	s_wait_dscnt 0x0
	v_lshrrev_b32_e32 v24, 16, v9
	v_and_b32_e32 v9, 0xffff, v9
	v_lshrrev_b32_e32 v31, 16, v10
	v_and_b32_e32 v10, 0xffff, v10
	v_lshrrev_b32_e32 v37, 16, v11
	v_dual_fmac_f32 v2, v14, v16 :: v_dual_and_b32 v11, 0xffff, v11
	v_lshrrev_b32_e32 v14, 16, v8
	v_and_b32_e32 v8, 0xffff, v8
	;;#ASMSTART
	v_cvt_f32_f16 v13, v8;
	;;#ASMEND
	;;#ASMSTART
	v_cvt_f32_f16 v14, v14;
	;;#ASMEND
	;; [unrolled: 3-line block ×3, first 2 shown]
	v_dual_fmac_f32 v1, v13, v15 :: v_dual_and_b32 v102, 0xffff, v50
	;;#ASMSTART
	v_cvt_f32_f16 v16, v101;
	;;#ASMEND
	;;#ASMSTART
	v_cvt_f32_f16 v20, v9;
	;;#ASMEND
	;; [unrolled: 3-line block ×11, first 2 shown]
	v_fmac_f32_e32 v7, v20, v25
	;;#ASMSTART
	v_cvt_f32_f16 v38, v98;
	;;#ASMEND
	;;#ASMSTART
	v_cvt_f32_f16 v39, v96;
	;;#ASMEND
	ds_load_b128 v[8:11], v67 offset:208
	v_fmac_f32_e32 v2, v18, v21
	v_dual_fmac_f32 v5, v30, v32 :: v_dual_fmac_f32 v4, v31, v33
	v_dual_fmac_f32 v3, v34, v38 :: v_dual_fmac_f32 v12, v37, v39
	s_delay_alu instid0(VALU_DEP_3)
	v_fmac_f32_e32 v2, v14, v16
	s_wait_dscnt 0x0
	v_and_b32_e32 v13, 0xffff, v8
	v_lshrrev_b32_e32 v14, 16, v8
	v_lshrrev_b32_e32 v15, 16, v9
	v_and_b32_e32 v16, 0xffff, v9
	;;#ASMSTART
	v_cvt_f32_f16 v8, v13;
	;;#ASMEND
	;;#ASMSTART
	v_cvt_f32_f16 v9, v14;
	;;#ASMEND
	;; [unrolled: 3-line block ×3, first 2 shown]
	v_dual_fmac_f32 v1, v8, v13 :: v_dual_and_b32 v50, 0xffff, v46
	v_lshrrev_b32_e32 v46, 16, v47
	v_dual_fmac_f32 v6, v23, v36 :: v_dual_and_b32 v47, 0xffff, v47
	;;#ASMSTART
	v_cvt_f32_f16 v14, v51;
	;;#ASMEND
	v_fmac_f32_e32 v2, v9, v14
	;;#ASMSTART
	v_cvt_f32_f16 v8, v16;
	;;#ASMEND
	;;#ASMSTART
	v_cvt_f32_f16 v9, v15;
	;;#ASMEND
	v_fmac_f32_e32 v6, v24, v26
	;;#ASMSTART
	v_cvt_f32_f16 v13, v50;
	;;#ASMEND
	v_fmac_f32_e32 v7, v8, v13
	v_add_f32_e32 v1, v1, v2
	;;#ASMSTART
	v_cvt_f32_f16 v2, v49;
	;;#ASMEND
	v_fmac_f32_e32 v6, v9, v2
	v_and_b32_e32 v8, 0xffff, v10
	v_lshrrev_b32_e32 v10, 16, v10
	v_add_f32_e32 v1, v1, v7
	;;#ASMSTART
	v_cvt_f32_f16 v2, v8;
	;;#ASMEND
	;;#ASMSTART
	v_cvt_f32_f16 v7, v10;
	;;#ASMEND
	;; [unrolled: 3-line block ×3, first 2 shown]
	v_fmac_f32_e32 v5, v2, v8
	v_add_f32_e32 v1, v6, v1
	;;#ASMSTART
	v_cvt_f32_f16 v2, v46;
	;;#ASMEND
	v_fmac_f32_e32 v4, v7, v2
	v_and_b32_e32 v6, 0xffff, v11
	v_lshrrev_b32_e32 v8, 16, v11
	v_add_f32_e32 v1, v1, v5
	;;#ASMSTART
	v_cvt_f32_f16 v2, v6;
	;;#ASMEND
	;;#ASMSTART
	v_cvt_f32_f16 v5, v8;
	;;#ASMEND
	;; [unrolled: 3-line block ×3, first 2 shown]
	v_fmac_f32_e32 v3, v2, v6
	v_add_f32_e32 v1, v4, v1
	v_mul_f32_e32 v2, s15, v29
	;;#ASMSTART
	v_cvt_f32_f16 v4, v40;
	;;#ASMEND
	v_fmac_f32_e32 v12, v5, v4
	s_delay_alu instid0(VALU_DEP_2) | instskip(SKIP_1) | instid1(VALU_DEP_2)
	v_dual_add_f32 v1, v1, v3 :: v_dual_cndmask_b32 v2, 0, v2
	v_max_num_f32_e32 v3, v66, v66
	v_add_f32_e32 v1, v12, v1
	s_delay_alu instid0(VALU_DEP_1) | instskip(NEXT) | instid1(VALU_DEP_1)
	v_dual_fmac_f32 v2, s9, v1 :: v_dual_add_nc_u32 v1, v60, v68
	v_max_num_f32_e32 v3, v3, v2
	s_delay_alu instid0(VALU_DEP_2) | instskip(SKIP_1) | instid1(VALU_DEP_1)
	v_cmp_gt_i32_e64 s3, s31, v1
	s_wait_alu 0xf1ff
	v_cndmask_b32_e64 v1, 0, v2, s3
	s_delay_alu instid0(VALU_DEP_3)
	v_cndmask_b32_e64 v66, v66, v3, s3
	ds_store_b32 v71, v1
	s_branch .LBB112_11
.LBB112_16:
	s_or_b32 exec_lo, exec_lo, s25
.LBB112_17:
	s_delay_alu instid0(SALU_CYCLE_1)
	s_or_b32 exec_lo, exec_lo, s8
	v_mbcnt_lo_u32_b32 v1, -1, 0
	s_clause 0x2
	s_load_b128 s[8:11], s[0:1], 0x0
	s_load_b64 s[14:15], s[0:1], 0x10
	s_load_b64 s[28:29], s[0:1], 0x28
	v_xor_b32_e32 v2, 16, v1
	v_xor_b32_e32 v4, 8, v1
	s_delay_alu instid0(VALU_DEP_2) | instskip(SKIP_2) | instid1(VALU_DEP_3)
	v_cmp_gt_i32_e32 vcc_lo, 32, v2
	s_wait_alu 0xfffd
	v_cndmask_b32_e32 v2, v1, v2, vcc_lo
	v_cmp_gt_i32_e32 vcc_lo, 32, v4
	v_max_num_f32_e32 v5, v66, v66
	s_delay_alu instid0(VALU_DEP_3)
	v_lshlrev_b32_e32 v2, 2, v2
	s_wait_alu 0xfffd
	v_cndmask_b32_e32 v4, v1, v4, vcc_lo
	ds_bpermute_b32 v3, v2, v66
	s_wait_dscnt 0x0
	v_dual_max_num_f32 v6, v3, v3 :: v_dual_lshlrev_b32 v3, 2, v4
	s_delay_alu instid0(VALU_DEP_1)
	v_max_num_f32_e32 v4, v5, v6
	v_xor_b32_e32 v6, 4, v1
	ds_bpermute_b32 v5, v3, v4
	v_cmp_gt_i32_e32 vcc_lo, 32, v6
	s_wait_alu 0xfffd
	v_cndmask_b32_e32 v6, v1, v6, vcc_lo
	s_wait_dscnt 0x0
	v_max_num_f32_e32 v7, v5, v5
	s_delay_alu instid0(VALU_DEP_1)
	v_dual_max_num_f32 v4, v4, v7 :: v_dual_lshlrev_b32 v5, 2, v6
	v_xor_b32_e32 v7, 2, v1
	ds_bpermute_b32 v6, v5, v4
	v_cmp_gt_i32_e32 vcc_lo, 32, v7
	s_wait_dscnt 0x0
	s_wait_alu 0xfffd
	v_dual_cndmask_b32 v7, v1, v7 :: v_dual_max_num_f32 v6, v6, v6
	s_delay_alu instid0(VALU_DEP_1) | instskip(NEXT) | instid1(VALU_DEP_2)
	v_max_num_f32_e32 v4, v4, v6
	v_lshlrev_b32_e32 v10, 2, v7
	v_xor_b32_e32 v7, 1, v1
	s_delay_alu instid0(VALU_DEP_1)
	v_cmp_gt_i32_e32 vcc_lo, 32, v7
	s_wait_alu 0xfffd
	v_cndmask_b32_e32 v7, v1, v7, vcc_lo
	ds_bpermute_b32 v6, v10, v4
	v_cmp_eq_u32_e32 vcc_lo, 0, v60
	s_wait_dscnt 0x0
	v_dual_max_num_f32 v6, v6, v6 :: v_dual_lshlrev_b32 v9, 2, v7
	s_delay_alu instid0(VALU_DEP_1)
	v_dual_max_num_f32 v1, v4, v6 :: v_dual_lshlrev_b32 v6, 2, v59
	ds_bpermute_b32 v4, v9, v1
	s_and_saveexec_b32 s0, vcc_lo
	s_cbranch_execz .LBB112_19
; %bb.18:
	s_wait_dscnt 0x0
	v_dual_max_num_f32 v4, v4, v4 :: v_dual_max_num_f32 v1, v1, v1
	s_delay_alu instid0(VALU_DEP_1)
	v_max_num_f32_e32 v1, v1, v4
	ds_store_b32 v6, v1 offset:224
.LBB112_19:
	s_or_b32 exec_lo, exec_lo, s0
	v_cmp_gt_u32_e64 s0, 4, v60
	v_mov_b32_e32 v1, 0xff7fffff
	s_wait_loadcnt_dscnt 0x0
	s_barrier_signal -1
	s_barrier_wait -1
	global_inv scope:SCOPE_SE
	s_and_saveexec_b32 s1, s0
; %bb.20:
	ds_load_b32 v1, v65 offset:224
; %bb.21:
	s_or_b32 exec_lo, exec_lo, s1
	s_wait_dscnt 0x0
	ds_bpermute_b32 v4, v10, v1
	v_max_num_f32_e32 v1, v1, v1
	s_sub_co_i32 s1, s33, s37
	v_mov_b32_e32 v7, 0
	s_lshl_b32 s1, s1, 5
	s_delay_alu instid0(SALU_CYCLE_1) | instskip(NEXT) | instid1(SALU_CYCLE_1)
	s_add_co_i32 s1, s1, s34
	s_min_i32 s1, s1, s31
	s_delay_alu instid0(SALU_CYCLE_1) | instskip(SKIP_4) | instid1(VALU_DEP_1)
	s_sub_co_i32 s4, s1, s34
	s_wait_alu 0xfffe
	v_cmp_gt_i32_e64 s1, s4, v0
	s_wait_dscnt 0x0
	v_max_num_f32_e32 v4, v4, v4
	v_max_num_f32_e32 v1, v1, v4
	ds_bpermute_b32 v4, v9, v1
	s_wait_dscnt 0x0
	v_max_num_f32_e32 v4, v4, v4
	s_delay_alu instid0(VALU_DEP_1)
	v_max_num_f32_e32 v1, v1, v4
	v_lshl_add_u32 v4, v0, 2, 0x100
	ds_bpermute_b32 v1, v7, v1
	s_and_saveexec_b32 s25, s1
	s_cbranch_execz .LBB112_25
; %bb.22:
	v_lshl_add_u32 v8, v0, 2, 0x100
	v_mov_b32_e32 v7, 0
	v_mov_b32_e32 v11, v0
	s_mov_b32 s34, 0
.LBB112_23:                             ; =>This Inner Loop Header: Depth=1
	ds_load_b32 v12, v8
	v_add_nc_u32_e32 v11, 0x80, v11
	s_delay_alu instid0(VALU_DEP_1) | instskip(SKIP_4) | instid1(VALU_DEP_1)
	v_cmp_le_i32_e64 s3, s4, v11
	s_wait_alu 0xfffe
	s_or_b32 s34, s3, s34
	s_wait_dscnt 0x0
	v_sub_f32_e32 v12, v12, v1
	v_mul_f32_e32 v12, 0x3fb8aa3b, v12
	s_delay_alu instid0(VALU_DEP_1)
	v_exp_f32_e32 v12, v12
	ds_store_b32 v8, v12
	v_add_f32_e32 v7, v7, v12
	v_add_nc_u32_e32 v8, 0x200, v8
	s_wait_alu 0xfffe
	s_and_not1_b32 exec_lo, exec_lo, s34
	s_cbranch_execnz .LBB112_23
; %bb.24:
	s_or_b32 exec_lo, exec_lo, s34
.LBB112_25:
	s_wait_alu 0xfffe
	s_or_b32 exec_lo, exec_lo, s25
	ds_bpermute_b32 v2, v2, v7
	s_wait_dscnt 0x0
	v_add_f32_e32 v2, v7, v2
	ds_bpermute_b32 v3, v3, v2
	s_wait_dscnt 0x0
	v_add_f32_e32 v2, v2, v3
	;; [unrolled: 3-line block ×5, first 2 shown]
	s_and_saveexec_b32 s3, vcc_lo
; %bb.26:
	ds_store_b32 v6, v2 offset:240
; %bb.27:
	s_wait_alu 0xfffe
	s_or_b32 exec_lo, exec_lo, s3
	s_wait_loadcnt_dscnt 0x0
	s_barrier_signal -1
	s_barrier_wait -1
	global_inv scope:SCOPE_SE
	s_and_saveexec_b32 s3, s0
; %bb.28:
	ds_load_b32 v2, v65 offset:240
; %bb.29:
	s_wait_alu 0xfffe
	s_or_b32 exec_lo, exec_lo, s3
	s_wait_dscnt 0x0
	ds_bpermute_b32 v3, v10, v2
	s_wait_dscnt 0x0
	v_add_f32_e32 v2, v2, v3
	ds_bpermute_b32 v3, v9, v2
	s_wait_dscnt 0x0
	v_dual_add_f32 v2, v2, v3 :: v_dual_mov_b32 v3, 0
	ds_bpermute_b32 v2, v3, v2
	s_and_saveexec_b32 s0, s1
	s_cbranch_execz .LBB112_32
; %bb.30:
	s_wait_dscnt 0x0
	v_add_f32_e32 v3, 0x358637bd, v2
	s_mov_b32 s1, 0
	s_delay_alu instid0(VALU_DEP_1) | instskip(SKIP_1) | instid1(VALU_DEP_2)
	v_div_scale_f32 v5, null, v3, v3, 1.0
	v_div_scale_f32 v8, vcc_lo, 1.0, v3, 1.0
	v_rcp_f32_e32 v6, v5
	s_delay_alu instid0(TRANS32_DEP_1) | instskip(NEXT) | instid1(VALU_DEP_1)
	v_fma_f32 v7, -v5, v6, 1.0
	v_fmac_f32_e32 v6, v7, v6
	s_delay_alu instid0(VALU_DEP_1) | instskip(NEXT) | instid1(VALU_DEP_1)
	v_mul_f32_e32 v7, v8, v6
	v_fma_f32 v11, -v5, v7, v8
	s_delay_alu instid0(VALU_DEP_1) | instskip(NEXT) | instid1(VALU_DEP_1)
	v_fmac_f32_e32 v7, v11, v6
	v_fma_f32 v5, -v5, v7, v8
	s_wait_alu 0xfffd
	s_delay_alu instid0(VALU_DEP_1) | instskip(NEXT) | instid1(VALU_DEP_1)
	v_div_fmas_f32 v5, v5, v6, v7
	v_div_fixup_f32 v3, v5, v3, 1.0
	v_mov_b32_e32 v5, v0
.LBB112_31:                             ; =>This Inner Loop Header: Depth=1
	ds_load_b32 v6, v4
	s_wait_dscnt 0x0
	v_dual_mul_f32 v6, v3, v6 :: v_dual_add_nc_u32 v5, 0x80, v5
	s_delay_alu instid0(VALU_DEP_1) | instskip(SKIP_3) | instid1(SALU_CYCLE_1)
	v_cmp_le_i32_e32 vcc_lo, s4, v5
	ds_store_b32 v4, v6
	v_add_nc_u32_e32 v4, 0x200, v4
	s_or_b32 s1, vcc_lo, s1
	s_and_not1_b32 exec_lo, exec_lo, s1
	s_cbranch_execnz .LBB112_31
.LBB112_32:
	s_or_b32 exec_lo, exec_lo, s0
	s_mul_i32 s0, s7, s26
	s_wait_loadcnt_dscnt 0x0
	s_mul_i32 s26, s0, s27
	s_mov_b32 s0, exec_lo
	s_barrier_signal -1
	s_barrier_wait -1
	global_inv scope:SCOPE_SE
	v_cmpx_eq_u32_e32 0, v0
	s_cbranch_execz .LBB112_34
; %bb.33:
	s_ashr_i32 s27, s26, 31
	s_mul_i32 s38, s7, ttmp9
	s_lshl_b32 s1, s30, 2
	s_lshl_b64 s[40:41], s[26:27], 2
	s_ashr_i32 s39, s38, 31
	v_mov_b32_e32 v3, s1
	s_wait_kmcnt 0x0
	s_wait_alu 0xfffe
	s_add_nc_u64 s[10:11], s[10:11], s[40:41]
	s_lshl_b64 s[38:39], s[38:39], 2
	s_add_nc_u64 s[8:9], s[8:9], s[40:41]
	s_wait_alu 0xfffe
	s_add_nc_u64 s[10:11], s[10:11], s[38:39]
	s_add_nc_u64 s[8:9], s[8:9], s[38:39]
	s_clause 0x1
	global_store_b32 v3, v1, s[10:11]
	global_store_b32 v3, v2, s[8:9]
.LBB112_34:
	s_or_b32 exec_lo, exec_lo, s0
	v_dual_mov_b32 v24, 0 :: v_dual_and_b32 v11, 3, v0
	v_dual_mov_b32 v25, 0 :: v_dual_mov_b32 v22, 0
	v_dual_mov_b32 v23, 0 :: v_dual_mov_b32 v20, 0
	;; [unrolled: 1-line block ×6, first 2 shown]
	v_mov_b32_e32 v13, 0
	s_and_saveexec_b32 s1, s2
	s_cbranch_execz .LBB112_68
; %bb.35:
	s_abs_i32 s2, s6
	v_dual_mov_b32 v15, 0 :: v_dual_lshlrev_b32 v4, 5, v11
	s_wait_alu 0xfffe
	s_cvt_f32_u32 s0, s2
	s_ashr_i32 s25, s24, 31
	s_wait_kmcnt 0x0
	s_lshl_b64 s[8:9], s[22:23], 2
	v_dual_mov_b32 v12, 0 :: v_dual_and_b32 v3, 0x1f0, v63
	s_wait_alu 0xfffe
	v_rcp_iflag_f32_e32 v1, s0
	s_lshl_b64 s[10:11], s[24:25], 1
	s_add_nc_u64 s[8:9], s[20:21], s[8:9]
	v_dual_mov_b32 v13, 0 :: v_dual_lshlrev_b32 v2, 3, v0
	s_wait_alu 0xfffe
	s_add_nc_u64 s[10:11], s[28:29], s[10:11]
	v_add_co_u32 v5, s6, s8, v64
	s_sub_co_i32 s3, s36, s5
	s_sub_co_i32 s5, 0, s2
	s_delay_alu instid0(TRANS32_DEP_1)
	v_readfirstlane_b32 s0, v1
	v_lshl_or_b32 v1, v59, 7, v4
	v_add_co_ci_u32_e64 v6, null, s9, 0, s6
	s_wait_alu 0xfffe
	v_add_co_u32 v27, s6, s10, v3
	s_mul_f32 s0, s0, 0x4f7ffffe
	v_dual_mov_b32 v17, 0 :: v_dual_and_b32 v26, 24, v2
	v_add_co_ci_u32_e64 v28, null, s11, 0, s6
	s_wait_alu 0xfffe
	s_cvt_u32_f32 s0, s0
	v_dual_mov_b32 v14, 0 :: v_dual_add_nc_u32 v29, 0x100, v1
	v_dual_mov_b32 v16, 0 :: v_dual_mov_b32 v19, 0
	s_wait_alu 0xfffe
	s_mul_i32 s5, s5, s0
	v_dual_mov_b32 v18, 0 :: v_dual_mov_b32 v21, 0
	v_dual_mov_b32 v20, 0 :: v_dual_mov_b32 v23, 0
	;; [unrolled: 1-line block ×3, first 2 shown]
	v_mov_b32_e32 v24, 0
	s_wait_alu 0xfffe
	s_mul_hi_u32 s6, s0, s5
	s_mov_b32 s4, s13
	s_add_co_i32 s35, s35, -1
	s_mov_b32 s5, 0
	s_wait_alu 0xfffe
	s_add_co_i32 s6, s0, s6
	s_branch .LBB112_38
.LBB112_36:                             ;   in Loop: Header=BB112_38 Depth=1
	s_wait_alu 0xfffe
	s_or_b32 exec_lo, exec_lo, s0
	v_dual_add_f32 v30, v71, v72 :: v_dual_add_f32 v31, v68, v69
	v_dual_add_f32 v32, v66, v67 :: v_dual_add_f32 v33, v64, v65
	s_delay_alu instid0(VALU_DEP_2) | instskip(NEXT) | instid1(VALU_DEP_3)
	v_dual_add_f32 v36, v54, v55 :: v_dual_add_f32 v13, v13, v30
	v_add_f32_e32 v14, v14, v31
	v_dual_add_f32 v30, v58, v63 :: v_dual_add_f32 v31, v56, v57
	s_delay_alu instid0(VALU_DEP_4) | instskip(NEXT) | instid1(VALU_DEP_2)
	v_dual_add_f32 v15, v15, v32 :: v_dual_add_f32 v16, v16, v33
	v_dual_add_f32 v17, v17, v30 :: v_dual_lshlrev_b32 v8, 16, v8
	s_delay_alu instid0(VALU_DEP_3) | instskip(SKIP_1) | instid1(VALU_DEP_1)
	v_dual_add_f32 v18, v18, v31 :: v_dual_add_f32 v19, v19, v36
	v_dual_add_f32 v30, v52, v53 :: v_dual_lshlrev_b32 v31, 16, v70
	v_dual_add_f32 v20, v20, v30 :: v_dual_lshlrev_b32 v7, 16, v7
	s_delay_alu instid0(VALU_DEP_2) | instskip(NEXT) | instid1(VALU_DEP_2)
	v_and_or_b32 v1, 0xffff, v1, v31
	v_and_or_b32 v3, 0xffff, v3, v7
	v_add_f32_e32 v7, v48, v49
	v_and_or_b32 v2, 0xffff, v2, v8
	;;#ASMSTART
	v_pk_mul_f16 v1, v35, v1;

	;;#ASMEND
	;;#ASMSTART
	v_pk_mul_f16 v2, v34, v2;

	;;#ASMEND
	;; [unrolled: 4-line block ×4, first 2 shown]
	;;#ASMSTART
	v_pk_add_f16 v1, v1, v2;

	;;#ASMEND
	;;#ASMSTART
	v_pk_add_f16 v1, v1, v3;

	;;#ASMEND
	;; [unrolled: 4-line block ×3, first 2 shown]
	v_and_b32_e32 v4, 0xffff, v1
	v_lshrrev_b32_e32 v8, 16, v1
	v_add_f32_e32 v1, v46, v47
	v_add_f32_e32 v32, v50, v51
	;;#ASMSTART
	v_cvt_f32_f16 v4, v4;
	;;#ASMEND
	v_add_f32_e32 v2, v44, v45
	;;#ASMSTART
	v_cvt_f32_f16 v8, v8;
	;;#ASMEND
	v_dual_add_f32 v3, v37, v39 :: v_dual_add_f32 v4, v4, v8
	v_add_f32_e32 v23, v23, v1
	v_dual_add_f32 v21, v21, v32 :: v_dual_add_f32 v22, v22, v7
	s_delay_alu instid0(VALU_DEP_3) | instskip(NEXT) | instid1(VALU_DEP_4)
	v_dual_add_f32 v25, v25, v2 :: v_dual_add_f32 v24, v24, v3
	v_add_f32_e32 v12, v12, v4
.LBB112_37:                             ;   in Loop: Header=BB112_38 Depth=1
	s_wait_alu 0xfffe
	s_or_b32 exec_lo, exec_lo, s8
	v_add_nc_u32_e32 v62, 4, v62
	v_add_co_u32 v5, s0, v5, 16
	s_wait_alu 0xf1ff
	v_add_co_ci_u32_e64 v6, null, 0, v6, s0
	s_delay_alu instid0(VALU_DEP_3)
	v_cmp_le_i32_e32 vcc_lo, s33, v62
	v_add_nc_u32_e32 v61, 0x80, v61
	v_add_nc_u32_e32 v29, 0x200, v29
	s_or_b32 s5, vcc_lo, s5
	s_wait_alu 0xfffe
	s_and_not1_b32 exec_lo, exec_lo, s5
	s_cbranch_execz .LBB112_67
.LBB112_38:                             ; =>This Inner Loop Header: Depth=1
	v_sub_nc_u32_e32 v1, 0, v61
	s_delay_alu instid0(VALU_DEP_1) | instskip(NEXT) | instid1(VALU_DEP_1)
	v_max_i32_e32 v1, v61, v1
	v_mul_hi_u32 v2, v1, s18
	s_delay_alu instid0(VALU_DEP_1) | instskip(NEXT) | instid1(VALU_DEP_1)
	v_mul_lo_u32 v3, v2, s12
	v_sub_nc_u32_e32 v1, v1, v3
	v_add_nc_u32_e32 v3, 1, v2
	s_delay_alu instid0(VALU_DEP_2) | instskip(SKIP_2) | instid1(VALU_DEP_2)
	v_subrev_nc_u32_e32 v4, s12, v1
	v_cmp_le_u32_e32 vcc_lo, s12, v1
	s_wait_alu 0xfffd
	v_dual_cndmask_b32 v2, v2, v3 :: v_dual_cndmask_b32 v1, v1, v4
	v_ashrrev_i32_e32 v3, 31, v61
	s_delay_alu instid0(VALU_DEP_2) | instskip(NEXT) | instid1(VALU_DEP_3)
	v_add_nc_u32_e32 v4, 1, v2
	v_cmp_le_u32_e32 vcc_lo, s12, v1
	s_delay_alu instid0(VALU_DEP_3) | instskip(SKIP_1) | instid1(VALU_DEP_3)
	v_xor_b32_e32 v3, s19, v3
	s_wait_alu 0xfffd
	v_cndmask_b32_e32 v1, v2, v4, vcc_lo
	s_delay_alu instid0(VALU_DEP_1) | instskip(NEXT) | instid1(VALU_DEP_1)
	v_xor_b32_e32 v1, v1, v3
	v_sub_nc_u32_e32 v1, v1, v3
	s_delay_alu instid0(VALU_DEP_1) | instskip(SKIP_1) | instid1(VALU_DEP_2)
	v_add_nc_u32_e32 v2, s17, v1
	v_cmp_lt_i32_e64 s0, s3, v1
	v_sub_nc_u32_e32 v3, 0, v2
	s_delay_alu instid0(VALU_DEP_1) | instskip(SKIP_1) | instid1(VALU_DEP_1)
	v_max_i32_e32 v3, v2, v3
	s_wait_alu 0xfffe
	v_mul_hi_u32 v4, v3, s6
	s_delay_alu instid0(VALU_DEP_1) | instskip(NEXT) | instid1(VALU_DEP_1)
	v_mul_lo_u32 v4, v4, s2
	v_sub_nc_u32_e32 v3, v3, v4
	s_delay_alu instid0(VALU_DEP_1) | instskip(SKIP_2) | instid1(VALU_DEP_2)
	v_subrev_nc_u32_e32 v4, s2, v3
	v_cmp_le_u32_e32 vcc_lo, s2, v3
	s_wait_alu 0xfffd
	v_cndmask_b32_e32 v3, v3, v4, vcc_lo
	v_ashrrev_i32_e32 v2, 31, v2
	s_delay_alu instid0(VALU_DEP_2) | instskip(SKIP_2) | instid1(VALU_DEP_2)
	v_subrev_nc_u32_e32 v4, s2, v3
	v_cmp_le_u32_e32 vcc_lo, s2, v3
	s_wait_alu 0xfffd
	v_cndmask_b32_e32 v3, v3, v4, vcc_lo
	s_delay_alu instid0(VALU_DEP_1) | instskip(NEXT) | instid1(VALU_DEP_1)
	v_xor_b32_e32 v3, v3, v2
	v_sub_nc_u32_e32 v2, v3, v2
	s_delay_alu instid0(VALU_DEP_1)
	v_cmp_eq_u32_e32 vcc_lo, 0, v2
	s_or_b32 s0, vcc_lo, s0
	s_wait_alu 0xfffe
	s_and_saveexec_b32 s8, s0
	s_cbranch_execz .LBB112_37
; %bb.39:                               ;   in Loop: Header=BB112_38 Depth=1
	global_load_b32 v7, v[5:6], off
	ds_load_2addr_b64 v[1:4], v29 offset1:1
	ds_load_2addr_b64 v[30:33], v29 offset0:2 offset1:3
	v_add_nc_u32_e32 v38, v26, v61
	s_wait_dscnt 0x1
	;;#ASMSTART
	v_cvt_f16_f32 v35, v1;

	;;#ASMEND
	;;#ASMSTART
	v_cvt_f16_f32 v34, v2;

	;;#ASMEND
	;; [unrolled: 4-line block ×4, first 2 shown]
	s_wait_dscnt 0x0
	;;#ASMSTART
	v_cvt_f16_f32 v45, v30;

	;;#ASMEND
	;;#ASMSTART
	v_cvt_f16_f32 v39, v31;

	;;#ASMEND
	;; [unrolled: 4-line block ×4, first 2 shown]
	v_add_nc_u32_e32 v43, 1, v38
	v_add_nc_u32_e32 v42, 2, v38
	;; [unrolled: 1-line block ×7, first 2 shown]
	s_wait_loadcnt 0x0
	v_mad_co_i64_i32 v[7:8], null, v7, s4, 0
	s_delay_alu instid0(VALU_DEP_1) | instskip(NEXT) | instid1(VALU_DEP_1)
	v_lshlrev_b64_e32 v[7:8], 1, v[7:8]
	v_add_co_u32 v7, vcc_lo, v27, v7
	s_wait_alu 0xfffd
	s_delay_alu instid0(VALU_DEP_2)
	v_add_co_ci_u32_e64 v8, null, v28, v8, vcc_lo
	v_cmp_eq_u32_e32 vcc_lo, s35, v62
	global_load_b128 v[1:4], v[7:8], off
	s_wait_loadcnt 0x0
	v_lshrrev_b32_e32 v48, 16, v1
	v_lshrrev_b32_e32 v47, 16, v2
	;; [unrolled: 1-line block ×3, first 2 shown]
	s_and_saveexec_b32 s9, vcc_lo
	s_cbranch_execz .LBB112_41
; %bb.40:                               ;   in Loop: Header=BB112_38 Depth=1
	v_cmp_gt_i32_e64 s0, s31, v38
	v_and_b32_e32 v49, 0xffff, v4
	v_and_b32_e32 v4, 0xffff0000, v4
	s_wait_alu 0xf1ff
	s_delay_alu instid0(VALU_DEP_3) | instskip(SKIP_2) | instid1(VALU_DEP_1)
	v_cndmask_b32_e64 v1, 0, v1, s0
	v_cmp_gt_i32_e64 s0, s31, v43
	s_wait_alu 0xf1ff
	v_cndmask_b32_e64 v48, 0, v48, s0
	v_cmp_gt_i32_e64 s0, s31, v42
	s_wait_alu 0xf1ff
	s_delay_alu instid0(VALU_DEP_1) | instskip(SKIP_2) | instid1(VALU_DEP_1)
	v_cndmask_b32_e64 v2, 0, v2, s0
	v_cmp_gt_i32_e64 s0, s31, v32
	s_wait_alu 0xf1ff
	v_cndmask_b32_e64 v47, 0, v47, s0
	v_cmp_gt_i32_e64 s0, s31, v33
	s_wait_alu 0xf1ff
	s_delay_alu instid0(VALU_DEP_1) | instskip(SKIP_2) | instid1(VALU_DEP_1)
	v_cndmask_b32_e64 v49, 0, v49, s0
	v_cmp_gt_i32_e64 s0, s31, v36
	s_wait_alu 0xf1ff
	v_cndmask_b32_e64 v4, 0, v4, s0
	v_cmp_gt_i32_e64 s0, s31, v31
	s_delay_alu instid0(VALU_DEP_2) | instskip(SKIP_1) | instid1(VALU_DEP_2)
	v_or_b32_e32 v4, v49, v4
	s_wait_alu 0xf1ff
	v_cndmask_b32_e64 v3, 0, v3, s0
	v_cmp_gt_i32_e64 s0, s31, v30
	s_wait_alu 0xf1ff
	s_delay_alu instid0(VALU_DEP_1)
	v_cndmask_b32_e64 v46, 0, v46, s0
.LBB112_41:                             ;   in Loop: Header=BB112_38 Depth=1
	s_wait_alu 0xfffe
	s_or_b32 exec_lo, exec_lo, s9
	v_and_b32_e32 v35, 0xffff, v35
	v_and_b32_e32 v44, 0xffff, v44
	v_lshlrev_b32_e32 v48, 16, v48
	v_lshlrev_b32_e32 v46, 16, v46
	v_and_b32_e32 v45, 0xffff, v45
	v_lshl_or_b32 v35, v34, 16, v35
	v_lshl_or_b32 v34, v40, 16, v44
	v_lshlrev_b32_e32 v44, 16, v47
	v_and_b32_e32 v41, 0xffff, v41
	v_and_or_b32 v1, 0xffff, v1, v48
	v_and_or_b32 v3, 0xffff, v3, v46
	;;#ASMSTART
	v_pk_mul_f16 v1, v35, v1;

	;;#ASMEND
	v_and_or_b32 v2, 0xffff, v2, v44
	v_lshl_or_b32 v40, v39, 16, v45
	v_lshl_or_b32 v41, v37, 16, v41
	;;#ASMSTART
	v_pk_mul_f16 v2, v34, v2;

	;;#ASMEND
	;;#ASMSTART
	v_pk_mul_f16 v3, v40, v3;

	;;#ASMEND
	;; [unrolled: 4-line block ×3, first 2 shown]
	;;#ASMSTART
	v_pk_add_f16 v1, v1, v2;

	;;#ASMEND
	;;#ASMSTART
	v_pk_add_f16 v1, v1, v3;

	;;#ASMEND
	;; [unrolled: 4-line block ×3, first 2 shown]
	v_and_b32_e32 v2, 0xffff, v1
	v_lshrrev_b32_e32 v1, 16, v1
	;;#ASMSTART
	v_cvt_f32_f16 v37, v2;
	;;#ASMEND
	;;#ASMSTART
	v_cvt_f32_f16 v39, v1;
	;;#ASMEND
	global_load_b128 v[1:4], v[7:8], off offset:512
	s_wait_loadcnt 0x0
	v_lshrrev_b32_e32 v46, 16, v1
	v_lshrrev_b32_e32 v45, 16, v2
	;; [unrolled: 1-line block ×3, first 2 shown]
	s_and_saveexec_b32 s9, vcc_lo
	s_cbranch_execz .LBB112_43
; %bb.42:                               ;   in Loop: Header=BB112_38 Depth=1
	v_cmp_gt_i32_e64 s0, s31, v38
	v_and_b32_e32 v47, 0xffff, v4
	v_and_b32_e32 v4, 0xffff0000, v4
	s_wait_alu 0xf1ff
	s_delay_alu instid0(VALU_DEP_3) | instskip(SKIP_2) | instid1(VALU_DEP_1)
	v_cndmask_b32_e64 v1, 0, v1, s0
	v_cmp_gt_i32_e64 s0, s31, v43
	s_wait_alu 0xf1ff
	v_cndmask_b32_e64 v46, 0, v46, s0
	v_cmp_gt_i32_e64 s0, s31, v42
	s_wait_alu 0xf1ff
	s_delay_alu instid0(VALU_DEP_1) | instskip(SKIP_2) | instid1(VALU_DEP_1)
	v_cndmask_b32_e64 v2, 0, v2, s0
	v_cmp_gt_i32_e64 s0, s31, v32
	s_wait_alu 0xf1ff
	v_cndmask_b32_e64 v45, 0, v45, s0
	v_cmp_gt_i32_e64 s0, s31, v33
	s_wait_alu 0xf1ff
	s_delay_alu instid0(VALU_DEP_1) | instskip(SKIP_2) | instid1(VALU_DEP_1)
	v_cndmask_b32_e64 v47, 0, v47, s0
	v_cmp_gt_i32_e64 s0, s31, v36
	s_wait_alu 0xf1ff
	v_cndmask_b32_e64 v4, 0, v4, s0
	v_cmp_gt_i32_e64 s0, s31, v31
	s_delay_alu instid0(VALU_DEP_2) | instskip(SKIP_1) | instid1(VALU_DEP_2)
	v_or_b32_e32 v4, v47, v4
	s_wait_alu 0xf1ff
	v_cndmask_b32_e64 v3, 0, v3, s0
	v_cmp_gt_i32_e64 s0, s31, v30
	s_wait_alu 0xf1ff
	s_delay_alu instid0(VALU_DEP_1)
	v_cndmask_b32_e64 v44, 0, v44, s0
.LBB112_43:                             ;   in Loop: Header=BB112_38 Depth=1
	s_wait_alu 0xfffe
	s_or_b32 exec_lo, exec_lo, s9
	v_lshlrev_b32_e32 v46, 16, v46
	v_lshlrev_b32_e32 v45, 16, v45
	;; [unrolled: 1-line block ×3, first 2 shown]
	s_delay_alu instid0(VALU_DEP_3) | instskip(NEXT) | instid1(VALU_DEP_3)
	v_and_or_b32 v1, 0xffff, v1, v46
	v_and_or_b32 v2, 0xffff, v2, v45
	s_delay_alu instid0(VALU_DEP_3)
	v_and_or_b32 v3, 0xffff, v3, v44
	;;#ASMSTART
	v_pk_mul_f16 v1, v35, v1;

	;;#ASMEND
	;;#ASMSTART
	v_pk_mul_f16 v2, v34, v2;

	;;#ASMEND
	;; [unrolled: 4-line block ×4, first 2 shown]
	;;#ASMSTART
	v_pk_add_f16 v1, v1, v2;

	;;#ASMEND
	;;#ASMSTART
	v_pk_add_f16 v1, v1, v3;

	;;#ASMEND
	;; [unrolled: 4-line block ×3, first 2 shown]
	v_and_b32_e32 v2, 0xffff, v1
	v_lshrrev_b32_e32 v1, 16, v1
	;;#ASMSTART
	v_cvt_f32_f16 v44, v2;
	;;#ASMEND
	;;#ASMSTART
	v_cvt_f32_f16 v45, v1;
	;;#ASMEND
	global_load_b128 v[1:4], v[7:8], off offset:1024
	s_wait_loadcnt 0x0
	v_lshrrev_b32_e32 v48, 16, v1
	v_lshrrev_b32_e32 v47, 16, v2
	v_lshrrev_b32_e32 v46, 16, v3
	s_and_saveexec_b32 s9, vcc_lo
	s_cbranch_execz .LBB112_45
; %bb.44:                               ;   in Loop: Header=BB112_38 Depth=1
	v_cmp_gt_i32_e64 s0, s31, v38
	v_and_b32_e32 v49, 0xffff, v4
	v_and_b32_e32 v4, 0xffff0000, v4
	s_wait_alu 0xf1ff
	s_delay_alu instid0(VALU_DEP_3) | instskip(SKIP_2) | instid1(VALU_DEP_1)
	v_cndmask_b32_e64 v1, 0, v1, s0
	v_cmp_gt_i32_e64 s0, s31, v43
	s_wait_alu 0xf1ff
	v_cndmask_b32_e64 v48, 0, v48, s0
	v_cmp_gt_i32_e64 s0, s31, v42
	s_wait_alu 0xf1ff
	s_delay_alu instid0(VALU_DEP_1) | instskip(SKIP_2) | instid1(VALU_DEP_1)
	v_cndmask_b32_e64 v2, 0, v2, s0
	v_cmp_gt_i32_e64 s0, s31, v32
	s_wait_alu 0xf1ff
	v_cndmask_b32_e64 v47, 0, v47, s0
	v_cmp_gt_i32_e64 s0, s31, v33
	s_wait_alu 0xf1ff
	s_delay_alu instid0(VALU_DEP_1) | instskip(SKIP_2) | instid1(VALU_DEP_1)
	v_cndmask_b32_e64 v49, 0, v49, s0
	v_cmp_gt_i32_e64 s0, s31, v36
	s_wait_alu 0xf1ff
	v_cndmask_b32_e64 v4, 0, v4, s0
	v_cmp_gt_i32_e64 s0, s31, v31
	s_delay_alu instid0(VALU_DEP_2) | instskip(SKIP_1) | instid1(VALU_DEP_2)
	v_or_b32_e32 v4, v49, v4
	s_wait_alu 0xf1ff
	v_cndmask_b32_e64 v3, 0, v3, s0
	v_cmp_gt_i32_e64 s0, s31, v30
	s_wait_alu 0xf1ff
	s_delay_alu instid0(VALU_DEP_1)
	v_cndmask_b32_e64 v46, 0, v46, s0
.LBB112_45:                             ;   in Loop: Header=BB112_38 Depth=1
	s_wait_alu 0xfffe
	s_or_b32 exec_lo, exec_lo, s9
	v_lshlrev_b32_e32 v48, 16, v48
	v_lshlrev_b32_e32 v47, 16, v47
	;; [unrolled: 1-line block ×3, first 2 shown]
	s_delay_alu instid0(VALU_DEP_3) | instskip(NEXT) | instid1(VALU_DEP_3)
	v_and_or_b32 v1, 0xffff, v1, v48
	v_and_or_b32 v2, 0xffff, v2, v47
	s_delay_alu instid0(VALU_DEP_3)
	v_and_or_b32 v3, 0xffff, v3, v46
	;;#ASMSTART
	v_pk_mul_f16 v1, v35, v1;

	;;#ASMEND
	;;#ASMSTART
	v_pk_mul_f16 v2, v34, v2;

	;;#ASMEND
	;; [unrolled: 4-line block ×4, first 2 shown]
	;;#ASMSTART
	v_pk_add_f16 v1, v1, v2;

	;;#ASMEND
	;;#ASMSTART
	v_pk_add_f16 v1, v1, v3;

	;;#ASMEND
	;; [unrolled: 4-line block ×3, first 2 shown]
	v_and_b32_e32 v2, 0xffff, v1
	v_lshrrev_b32_e32 v1, 16, v1
	;;#ASMSTART
	v_cvt_f32_f16 v46, v2;
	;;#ASMEND
	;;#ASMSTART
	v_cvt_f32_f16 v47, v1;
	;;#ASMEND
	global_load_b128 v[1:4], v[7:8], off offset:1536
	s_wait_loadcnt 0x0
	v_lshrrev_b32_e32 v50, 16, v1
	v_lshrrev_b32_e32 v49, 16, v2
	;; [unrolled: 1-line block ×3, first 2 shown]
	s_and_saveexec_b32 s9, vcc_lo
	s_cbranch_execz .LBB112_47
; %bb.46:                               ;   in Loop: Header=BB112_38 Depth=1
	v_cmp_gt_i32_e64 s0, s31, v38
	v_and_b32_e32 v51, 0xffff, v4
	v_and_b32_e32 v4, 0xffff0000, v4
	s_wait_alu 0xf1ff
	s_delay_alu instid0(VALU_DEP_3) | instskip(SKIP_2) | instid1(VALU_DEP_1)
	v_cndmask_b32_e64 v1, 0, v1, s0
	v_cmp_gt_i32_e64 s0, s31, v43
	s_wait_alu 0xf1ff
	v_cndmask_b32_e64 v50, 0, v50, s0
	v_cmp_gt_i32_e64 s0, s31, v42
	s_wait_alu 0xf1ff
	s_delay_alu instid0(VALU_DEP_1) | instskip(SKIP_2) | instid1(VALU_DEP_1)
	v_cndmask_b32_e64 v2, 0, v2, s0
	v_cmp_gt_i32_e64 s0, s31, v32
	s_wait_alu 0xf1ff
	v_cndmask_b32_e64 v49, 0, v49, s0
	v_cmp_gt_i32_e64 s0, s31, v33
	s_wait_alu 0xf1ff
	s_delay_alu instid0(VALU_DEP_1) | instskip(SKIP_2) | instid1(VALU_DEP_1)
	v_cndmask_b32_e64 v51, 0, v51, s0
	v_cmp_gt_i32_e64 s0, s31, v36
	s_wait_alu 0xf1ff
	v_cndmask_b32_e64 v4, 0, v4, s0
	v_cmp_gt_i32_e64 s0, s31, v31
	s_delay_alu instid0(VALU_DEP_2) | instskip(SKIP_1) | instid1(VALU_DEP_2)
	v_or_b32_e32 v4, v51, v4
	s_wait_alu 0xf1ff
	v_cndmask_b32_e64 v3, 0, v3, s0
	v_cmp_gt_i32_e64 s0, s31, v30
	s_wait_alu 0xf1ff
	s_delay_alu instid0(VALU_DEP_1)
	v_cndmask_b32_e64 v48, 0, v48, s0
.LBB112_47:                             ;   in Loop: Header=BB112_38 Depth=1
	s_wait_alu 0xfffe
	s_or_b32 exec_lo, exec_lo, s9
	v_lshlrev_b32_e32 v50, 16, v50
	v_lshlrev_b32_e32 v49, 16, v49
	v_lshlrev_b32_e32 v48, 16, v48
	s_delay_alu instid0(VALU_DEP_3) | instskip(NEXT) | instid1(VALU_DEP_3)
	v_and_or_b32 v1, 0xffff, v1, v50
	v_and_or_b32 v2, 0xffff, v2, v49
	s_delay_alu instid0(VALU_DEP_3)
	v_and_or_b32 v3, 0xffff, v3, v48
	;;#ASMSTART
	v_pk_mul_f16 v1, v35, v1;

	;;#ASMEND
	;;#ASMSTART
	v_pk_mul_f16 v2, v34, v2;

	;;#ASMEND
	;; [unrolled: 4-line block ×4, first 2 shown]
	;;#ASMSTART
	v_pk_add_f16 v1, v1, v2;

	;;#ASMEND
	;;#ASMSTART
	v_pk_add_f16 v1, v1, v3;

	;;#ASMEND
	;; [unrolled: 4-line block ×3, first 2 shown]
	v_and_b32_e32 v2, 0xffff, v1
	v_lshrrev_b32_e32 v1, 16, v1
	;;#ASMSTART
	v_cvt_f32_f16 v48, v2;
	;;#ASMEND
	;;#ASMSTART
	v_cvt_f32_f16 v49, v1;
	;;#ASMEND
	global_load_b128 v[1:4], v[7:8], off offset:2048
	s_wait_loadcnt 0x0
	v_lshrrev_b32_e32 v52, 16, v1
	v_lshrrev_b32_e32 v51, 16, v2
	;; [unrolled: 1-line block ×3, first 2 shown]
	s_and_saveexec_b32 s9, vcc_lo
	s_cbranch_execz .LBB112_49
; %bb.48:                               ;   in Loop: Header=BB112_38 Depth=1
	v_cmp_gt_i32_e64 s0, s31, v38
	v_and_b32_e32 v53, 0xffff, v4
	v_and_b32_e32 v4, 0xffff0000, v4
	s_wait_alu 0xf1ff
	s_delay_alu instid0(VALU_DEP_3) | instskip(SKIP_2) | instid1(VALU_DEP_1)
	v_cndmask_b32_e64 v1, 0, v1, s0
	v_cmp_gt_i32_e64 s0, s31, v43
	s_wait_alu 0xf1ff
	v_cndmask_b32_e64 v52, 0, v52, s0
	v_cmp_gt_i32_e64 s0, s31, v42
	s_wait_alu 0xf1ff
	s_delay_alu instid0(VALU_DEP_1) | instskip(SKIP_2) | instid1(VALU_DEP_1)
	v_cndmask_b32_e64 v2, 0, v2, s0
	v_cmp_gt_i32_e64 s0, s31, v32
	s_wait_alu 0xf1ff
	v_cndmask_b32_e64 v51, 0, v51, s0
	v_cmp_gt_i32_e64 s0, s31, v33
	s_wait_alu 0xf1ff
	s_delay_alu instid0(VALU_DEP_1) | instskip(SKIP_2) | instid1(VALU_DEP_1)
	v_cndmask_b32_e64 v53, 0, v53, s0
	v_cmp_gt_i32_e64 s0, s31, v36
	s_wait_alu 0xf1ff
	v_cndmask_b32_e64 v4, 0, v4, s0
	v_cmp_gt_i32_e64 s0, s31, v31
	s_delay_alu instid0(VALU_DEP_2) | instskip(SKIP_1) | instid1(VALU_DEP_2)
	v_or_b32_e32 v4, v53, v4
	s_wait_alu 0xf1ff
	v_cndmask_b32_e64 v3, 0, v3, s0
	v_cmp_gt_i32_e64 s0, s31, v30
	s_wait_alu 0xf1ff
	s_delay_alu instid0(VALU_DEP_1)
	v_cndmask_b32_e64 v50, 0, v50, s0
.LBB112_49:                             ;   in Loop: Header=BB112_38 Depth=1
	s_wait_alu 0xfffe
	s_or_b32 exec_lo, exec_lo, s9
	v_lshlrev_b32_e32 v52, 16, v52
	v_lshlrev_b32_e32 v51, 16, v51
	;; [unrolled: 1-line block ×3, first 2 shown]
	s_delay_alu instid0(VALU_DEP_3) | instskip(NEXT) | instid1(VALU_DEP_3)
	v_and_or_b32 v1, 0xffff, v1, v52
	v_and_or_b32 v2, 0xffff, v2, v51
	s_delay_alu instid0(VALU_DEP_3)
	v_and_or_b32 v3, 0xffff, v3, v50
	;;#ASMSTART
	v_pk_mul_f16 v1, v35, v1;

	;;#ASMEND
	;;#ASMSTART
	v_pk_mul_f16 v2, v34, v2;

	;;#ASMEND
	;; [unrolled: 4-line block ×4, first 2 shown]
	;;#ASMSTART
	v_pk_add_f16 v1, v1, v2;

	;;#ASMEND
	;;#ASMSTART
	v_pk_add_f16 v1, v1, v3;

	;;#ASMEND
	;; [unrolled: 4-line block ×3, first 2 shown]
	v_and_b32_e32 v2, 0xffff, v1
	v_lshrrev_b32_e32 v1, 16, v1
	;;#ASMSTART
	v_cvt_f32_f16 v50, v2;
	;;#ASMEND
	;;#ASMSTART
	v_cvt_f32_f16 v51, v1;
	;;#ASMEND
	global_load_b128 v[1:4], v[7:8], off offset:2560
	s_wait_loadcnt 0x0
	v_lshrrev_b32_e32 v54, 16, v1
	v_lshrrev_b32_e32 v53, 16, v2
	;; [unrolled: 1-line block ×3, first 2 shown]
	s_and_saveexec_b32 s9, vcc_lo
	s_cbranch_execz .LBB112_51
; %bb.50:                               ;   in Loop: Header=BB112_38 Depth=1
	v_cmp_gt_i32_e64 s0, s31, v38
	v_and_b32_e32 v55, 0xffff, v4
	v_and_b32_e32 v4, 0xffff0000, v4
	s_wait_alu 0xf1ff
	s_delay_alu instid0(VALU_DEP_3) | instskip(SKIP_2) | instid1(VALU_DEP_1)
	v_cndmask_b32_e64 v1, 0, v1, s0
	v_cmp_gt_i32_e64 s0, s31, v43
	s_wait_alu 0xf1ff
	v_cndmask_b32_e64 v54, 0, v54, s0
	v_cmp_gt_i32_e64 s0, s31, v42
	s_wait_alu 0xf1ff
	s_delay_alu instid0(VALU_DEP_1) | instskip(SKIP_2) | instid1(VALU_DEP_1)
	v_cndmask_b32_e64 v2, 0, v2, s0
	v_cmp_gt_i32_e64 s0, s31, v32
	s_wait_alu 0xf1ff
	v_cndmask_b32_e64 v53, 0, v53, s0
	v_cmp_gt_i32_e64 s0, s31, v33
	s_wait_alu 0xf1ff
	s_delay_alu instid0(VALU_DEP_1) | instskip(SKIP_2) | instid1(VALU_DEP_1)
	v_cndmask_b32_e64 v55, 0, v55, s0
	v_cmp_gt_i32_e64 s0, s31, v36
	s_wait_alu 0xf1ff
	v_cndmask_b32_e64 v4, 0, v4, s0
	v_cmp_gt_i32_e64 s0, s31, v31
	s_delay_alu instid0(VALU_DEP_2) | instskip(SKIP_1) | instid1(VALU_DEP_2)
	v_or_b32_e32 v4, v55, v4
	s_wait_alu 0xf1ff
	v_cndmask_b32_e64 v3, 0, v3, s0
	v_cmp_gt_i32_e64 s0, s31, v30
	s_wait_alu 0xf1ff
	s_delay_alu instid0(VALU_DEP_1)
	v_cndmask_b32_e64 v52, 0, v52, s0
.LBB112_51:                             ;   in Loop: Header=BB112_38 Depth=1
	s_wait_alu 0xfffe
	s_or_b32 exec_lo, exec_lo, s9
	v_lshlrev_b32_e32 v54, 16, v54
	v_lshlrev_b32_e32 v53, 16, v53
	;; [unrolled: 1-line block ×3, first 2 shown]
	s_delay_alu instid0(VALU_DEP_3) | instskip(NEXT) | instid1(VALU_DEP_3)
	v_and_or_b32 v1, 0xffff, v1, v54
	v_and_or_b32 v2, 0xffff, v2, v53
	s_delay_alu instid0(VALU_DEP_3)
	v_and_or_b32 v3, 0xffff, v3, v52
	;;#ASMSTART
	v_pk_mul_f16 v1, v35, v1;

	;;#ASMEND
	;;#ASMSTART
	v_pk_mul_f16 v2, v34, v2;

	;;#ASMEND
	;; [unrolled: 4-line block ×4, first 2 shown]
	;;#ASMSTART
	v_pk_add_f16 v1, v1, v2;

	;;#ASMEND
	;;#ASMSTART
	v_pk_add_f16 v1, v1, v3;

	;;#ASMEND
	;; [unrolled: 4-line block ×3, first 2 shown]
	v_and_b32_e32 v2, 0xffff, v1
	v_lshrrev_b32_e32 v1, 16, v1
	;;#ASMSTART
	v_cvt_f32_f16 v52, v2;
	;;#ASMEND
	;;#ASMSTART
	v_cvt_f32_f16 v53, v1;
	;;#ASMEND
	global_load_b128 v[1:4], v[7:8], off offset:3072
	s_wait_loadcnt 0x0
	v_lshrrev_b32_e32 v56, 16, v1
	v_lshrrev_b32_e32 v55, 16, v2
	;; [unrolled: 1-line block ×3, first 2 shown]
	s_and_saveexec_b32 s9, vcc_lo
	s_cbranch_execz .LBB112_53
; %bb.52:                               ;   in Loop: Header=BB112_38 Depth=1
	v_cmp_gt_i32_e64 s0, s31, v38
	v_and_b32_e32 v57, 0xffff, v4
	v_and_b32_e32 v4, 0xffff0000, v4
	s_wait_alu 0xf1ff
	s_delay_alu instid0(VALU_DEP_3) | instskip(SKIP_2) | instid1(VALU_DEP_1)
	v_cndmask_b32_e64 v1, 0, v1, s0
	v_cmp_gt_i32_e64 s0, s31, v43
	s_wait_alu 0xf1ff
	v_cndmask_b32_e64 v56, 0, v56, s0
	v_cmp_gt_i32_e64 s0, s31, v42
	s_wait_alu 0xf1ff
	s_delay_alu instid0(VALU_DEP_1) | instskip(SKIP_2) | instid1(VALU_DEP_1)
	v_cndmask_b32_e64 v2, 0, v2, s0
	v_cmp_gt_i32_e64 s0, s31, v32
	s_wait_alu 0xf1ff
	v_cndmask_b32_e64 v55, 0, v55, s0
	v_cmp_gt_i32_e64 s0, s31, v33
	s_wait_alu 0xf1ff
	s_delay_alu instid0(VALU_DEP_1) | instskip(SKIP_2) | instid1(VALU_DEP_1)
	v_cndmask_b32_e64 v57, 0, v57, s0
	v_cmp_gt_i32_e64 s0, s31, v36
	s_wait_alu 0xf1ff
	v_cndmask_b32_e64 v4, 0, v4, s0
	v_cmp_gt_i32_e64 s0, s31, v31
	s_delay_alu instid0(VALU_DEP_2) | instskip(SKIP_1) | instid1(VALU_DEP_2)
	v_or_b32_e32 v4, v57, v4
	s_wait_alu 0xf1ff
	v_cndmask_b32_e64 v3, 0, v3, s0
	v_cmp_gt_i32_e64 s0, s31, v30
	s_wait_alu 0xf1ff
	s_delay_alu instid0(VALU_DEP_1)
	v_cndmask_b32_e64 v54, 0, v54, s0
.LBB112_53:                             ;   in Loop: Header=BB112_38 Depth=1
	s_wait_alu 0xfffe
	s_or_b32 exec_lo, exec_lo, s9
	v_lshlrev_b32_e32 v56, 16, v56
	v_lshlrev_b32_e32 v55, 16, v55
	;; [unrolled: 1-line block ×3, first 2 shown]
	s_delay_alu instid0(VALU_DEP_3) | instskip(NEXT) | instid1(VALU_DEP_3)
	v_and_or_b32 v1, 0xffff, v1, v56
	v_and_or_b32 v2, 0xffff, v2, v55
	s_delay_alu instid0(VALU_DEP_3)
	v_and_or_b32 v3, 0xffff, v3, v54
	;;#ASMSTART
	v_pk_mul_f16 v1, v35, v1;

	;;#ASMEND
	;;#ASMSTART
	v_pk_mul_f16 v2, v34, v2;

	;;#ASMEND
	;; [unrolled: 4-line block ×4, first 2 shown]
	;;#ASMSTART
	v_pk_add_f16 v1, v1, v2;

	;;#ASMEND
	;;#ASMSTART
	v_pk_add_f16 v1, v1, v3;

	;;#ASMEND
	;; [unrolled: 4-line block ×3, first 2 shown]
	v_and_b32_e32 v2, 0xffff, v1
	v_lshrrev_b32_e32 v1, 16, v1
	;;#ASMSTART
	v_cvt_f32_f16 v54, v2;
	;;#ASMEND
	;;#ASMSTART
	v_cvt_f32_f16 v55, v1;
	;;#ASMEND
	global_load_b128 v[1:4], v[7:8], off offset:3584
	s_wait_loadcnt 0x0
	v_lshrrev_b32_e32 v58, 16, v1
	v_lshrrev_b32_e32 v57, 16, v2
	;; [unrolled: 1-line block ×3, first 2 shown]
	s_and_saveexec_b32 s9, vcc_lo
	s_cbranch_execz .LBB112_55
; %bb.54:                               ;   in Loop: Header=BB112_38 Depth=1
	v_cmp_gt_i32_e64 s0, s31, v38
	v_and_b32_e32 v63, 0xffff, v4
	v_and_b32_e32 v4, 0xffff0000, v4
	s_wait_alu 0xf1ff
	s_delay_alu instid0(VALU_DEP_3) | instskip(SKIP_2) | instid1(VALU_DEP_1)
	v_cndmask_b32_e64 v1, 0, v1, s0
	v_cmp_gt_i32_e64 s0, s31, v43
	s_wait_alu 0xf1ff
	v_cndmask_b32_e64 v58, 0, v58, s0
	v_cmp_gt_i32_e64 s0, s31, v42
	s_wait_alu 0xf1ff
	s_delay_alu instid0(VALU_DEP_1) | instskip(SKIP_2) | instid1(VALU_DEP_1)
	v_cndmask_b32_e64 v2, 0, v2, s0
	v_cmp_gt_i32_e64 s0, s31, v32
	s_wait_alu 0xf1ff
	v_cndmask_b32_e64 v57, 0, v57, s0
	v_cmp_gt_i32_e64 s0, s31, v33
	s_wait_alu 0xf1ff
	s_delay_alu instid0(VALU_DEP_1) | instskip(SKIP_2) | instid1(VALU_DEP_1)
	v_cndmask_b32_e64 v63, 0, v63, s0
	v_cmp_gt_i32_e64 s0, s31, v36
	s_wait_alu 0xf1ff
	v_cndmask_b32_e64 v4, 0, v4, s0
	v_cmp_gt_i32_e64 s0, s31, v31
	s_delay_alu instid0(VALU_DEP_2) | instskip(SKIP_1) | instid1(VALU_DEP_2)
	v_or_b32_e32 v4, v63, v4
	s_wait_alu 0xf1ff
	v_cndmask_b32_e64 v3, 0, v3, s0
	v_cmp_gt_i32_e64 s0, s31, v30
	s_wait_alu 0xf1ff
	s_delay_alu instid0(VALU_DEP_1)
	v_cndmask_b32_e64 v56, 0, v56, s0
.LBB112_55:                             ;   in Loop: Header=BB112_38 Depth=1
	s_wait_alu 0xfffe
	s_or_b32 exec_lo, exec_lo, s9
	v_lshlrev_b32_e32 v58, 16, v58
	v_lshlrev_b32_e32 v57, 16, v57
	;; [unrolled: 1-line block ×3, first 2 shown]
	s_delay_alu instid0(VALU_DEP_3) | instskip(NEXT) | instid1(VALU_DEP_3)
	v_and_or_b32 v1, 0xffff, v1, v58
	v_and_or_b32 v2, 0xffff, v2, v57
	s_delay_alu instid0(VALU_DEP_3)
	v_and_or_b32 v3, 0xffff, v3, v56
	;;#ASMSTART
	v_pk_mul_f16 v1, v35, v1;

	;;#ASMEND
	;;#ASMSTART
	v_pk_mul_f16 v2, v34, v2;

	;;#ASMEND
	;; [unrolled: 4-line block ×4, first 2 shown]
	;;#ASMSTART
	v_pk_add_f16 v1, v1, v2;

	;;#ASMEND
	;;#ASMSTART
	v_pk_add_f16 v1, v1, v3;

	;;#ASMEND
	;; [unrolled: 4-line block ×3, first 2 shown]
	v_and_b32_e32 v2, 0xffff, v1
	v_lshrrev_b32_e32 v1, 16, v1
	;;#ASMSTART
	v_cvt_f32_f16 v56, v2;
	;;#ASMEND
	;;#ASMSTART
	v_cvt_f32_f16 v57, v1;
	;;#ASMEND
	global_load_b128 v[1:4], v[7:8], off offset:4096
	s_wait_loadcnt 0x0
	v_lshrrev_b32_e32 v64, 16, v1
	v_lshrrev_b32_e32 v63, 16, v2
	v_lshrrev_b32_e32 v58, 16, v3
	s_and_saveexec_b32 s9, vcc_lo
	s_cbranch_execz .LBB112_57
; %bb.56:                               ;   in Loop: Header=BB112_38 Depth=1
	v_cmp_gt_i32_e64 s0, s31, v38
	v_and_b32_e32 v65, 0xffff, v4
	v_and_b32_e32 v4, 0xffff0000, v4
	s_wait_alu 0xf1ff
	s_delay_alu instid0(VALU_DEP_3) | instskip(SKIP_2) | instid1(VALU_DEP_1)
	v_cndmask_b32_e64 v1, 0, v1, s0
	v_cmp_gt_i32_e64 s0, s31, v43
	s_wait_alu 0xf1ff
	v_cndmask_b32_e64 v64, 0, v64, s0
	v_cmp_gt_i32_e64 s0, s31, v42
	s_wait_alu 0xf1ff
	s_delay_alu instid0(VALU_DEP_1) | instskip(SKIP_2) | instid1(VALU_DEP_1)
	v_cndmask_b32_e64 v2, 0, v2, s0
	v_cmp_gt_i32_e64 s0, s31, v32
	s_wait_alu 0xf1ff
	v_cndmask_b32_e64 v63, 0, v63, s0
	v_cmp_gt_i32_e64 s0, s31, v33
	s_wait_alu 0xf1ff
	s_delay_alu instid0(VALU_DEP_1) | instskip(SKIP_2) | instid1(VALU_DEP_1)
	v_cndmask_b32_e64 v65, 0, v65, s0
	v_cmp_gt_i32_e64 s0, s31, v36
	s_wait_alu 0xf1ff
	v_cndmask_b32_e64 v4, 0, v4, s0
	v_cmp_gt_i32_e64 s0, s31, v31
	s_delay_alu instid0(VALU_DEP_2) | instskip(SKIP_1) | instid1(VALU_DEP_2)
	v_or_b32_e32 v4, v65, v4
	s_wait_alu 0xf1ff
	v_cndmask_b32_e64 v3, 0, v3, s0
	v_cmp_gt_i32_e64 s0, s31, v30
	s_wait_alu 0xf1ff
	s_delay_alu instid0(VALU_DEP_1)
	v_cndmask_b32_e64 v58, 0, v58, s0
.LBB112_57:                             ;   in Loop: Header=BB112_38 Depth=1
	s_wait_alu 0xfffe
	s_or_b32 exec_lo, exec_lo, s9
	v_lshlrev_b32_e32 v64, 16, v64
	v_lshlrev_b32_e32 v63, 16, v63
	;; [unrolled: 1-line block ×3, first 2 shown]
	s_delay_alu instid0(VALU_DEP_3) | instskip(NEXT) | instid1(VALU_DEP_3)
	v_and_or_b32 v1, 0xffff, v1, v64
	v_and_or_b32 v2, 0xffff, v2, v63
	s_delay_alu instid0(VALU_DEP_3)
	v_and_or_b32 v3, 0xffff, v3, v58
	;;#ASMSTART
	v_pk_mul_f16 v1, v35, v1;

	;;#ASMEND
	;;#ASMSTART
	v_pk_mul_f16 v2, v34, v2;

	;;#ASMEND
	;; [unrolled: 4-line block ×4, first 2 shown]
	;;#ASMSTART
	v_pk_add_f16 v1, v1, v2;

	;;#ASMEND
	;;#ASMSTART
	v_pk_add_f16 v1, v1, v3;

	;;#ASMEND
	;; [unrolled: 4-line block ×3, first 2 shown]
	v_and_b32_e32 v2, 0xffff, v1
	v_lshrrev_b32_e32 v1, 16, v1
	;;#ASMSTART
	v_cvt_f32_f16 v58, v2;
	;;#ASMEND
	;;#ASMSTART
	v_cvt_f32_f16 v63, v1;
	;;#ASMEND
	global_load_b128 v[1:4], v[7:8], off offset:4608
	s_wait_loadcnt 0x0
	v_lshrrev_b32_e32 v66, 16, v1
	v_lshrrev_b32_e32 v65, 16, v2
	;; [unrolled: 1-line block ×3, first 2 shown]
	s_and_saveexec_b32 s9, vcc_lo
	s_cbranch_execz .LBB112_59
; %bb.58:                               ;   in Loop: Header=BB112_38 Depth=1
	v_cmp_gt_i32_e64 s0, s31, v38
	v_and_b32_e32 v67, 0xffff, v4
	v_and_b32_e32 v4, 0xffff0000, v4
	s_wait_alu 0xf1ff
	s_delay_alu instid0(VALU_DEP_3) | instskip(SKIP_2) | instid1(VALU_DEP_1)
	v_cndmask_b32_e64 v1, 0, v1, s0
	v_cmp_gt_i32_e64 s0, s31, v43
	s_wait_alu 0xf1ff
	v_cndmask_b32_e64 v66, 0, v66, s0
	v_cmp_gt_i32_e64 s0, s31, v42
	s_wait_alu 0xf1ff
	s_delay_alu instid0(VALU_DEP_1) | instskip(SKIP_2) | instid1(VALU_DEP_1)
	v_cndmask_b32_e64 v2, 0, v2, s0
	v_cmp_gt_i32_e64 s0, s31, v32
	s_wait_alu 0xf1ff
	v_cndmask_b32_e64 v65, 0, v65, s0
	v_cmp_gt_i32_e64 s0, s31, v33
	s_wait_alu 0xf1ff
	s_delay_alu instid0(VALU_DEP_1) | instskip(SKIP_2) | instid1(VALU_DEP_1)
	v_cndmask_b32_e64 v67, 0, v67, s0
	v_cmp_gt_i32_e64 s0, s31, v36
	s_wait_alu 0xf1ff
	v_cndmask_b32_e64 v4, 0, v4, s0
	v_cmp_gt_i32_e64 s0, s31, v31
	s_delay_alu instid0(VALU_DEP_2) | instskip(SKIP_1) | instid1(VALU_DEP_2)
	v_or_b32_e32 v4, v67, v4
	s_wait_alu 0xf1ff
	v_cndmask_b32_e64 v3, 0, v3, s0
	v_cmp_gt_i32_e64 s0, s31, v30
	s_wait_alu 0xf1ff
	s_delay_alu instid0(VALU_DEP_1)
	v_cndmask_b32_e64 v64, 0, v64, s0
.LBB112_59:                             ;   in Loop: Header=BB112_38 Depth=1
	s_wait_alu 0xfffe
	s_or_b32 exec_lo, exec_lo, s9
	v_lshlrev_b32_e32 v66, 16, v66
	v_lshlrev_b32_e32 v65, 16, v65
	;; [unrolled: 1-line block ×3, first 2 shown]
	s_delay_alu instid0(VALU_DEP_3) | instskip(NEXT) | instid1(VALU_DEP_3)
	v_and_or_b32 v1, 0xffff, v1, v66
	v_and_or_b32 v2, 0xffff, v2, v65
	s_delay_alu instid0(VALU_DEP_3)
	v_and_or_b32 v3, 0xffff, v3, v64
	;;#ASMSTART
	v_pk_mul_f16 v1, v35, v1;

	;;#ASMEND
	;;#ASMSTART
	v_pk_mul_f16 v2, v34, v2;

	;;#ASMEND
	;; [unrolled: 4-line block ×4, first 2 shown]
	;;#ASMSTART
	v_pk_add_f16 v1, v1, v2;

	;;#ASMEND
	;;#ASMSTART
	v_pk_add_f16 v1, v1, v3;

	;;#ASMEND
	;;#ASMSTART
	v_pk_add_f16 v1, v1, v4;

	;;#ASMEND
	v_and_b32_e32 v2, 0xffff, v1
	v_lshrrev_b32_e32 v1, 16, v1
	;;#ASMSTART
	v_cvt_f32_f16 v64, v2;
	;;#ASMEND
	;;#ASMSTART
	v_cvt_f32_f16 v65, v1;
	;;#ASMEND
	global_load_b128 v[1:4], v[7:8], off offset:5120
	s_wait_loadcnt 0x0
	v_lshrrev_b32_e32 v68, 16, v1
	v_lshrrev_b32_e32 v67, 16, v2
	;; [unrolled: 1-line block ×3, first 2 shown]
	s_and_saveexec_b32 s9, vcc_lo
	s_cbranch_execz .LBB112_61
; %bb.60:                               ;   in Loop: Header=BB112_38 Depth=1
	v_cmp_gt_i32_e64 s0, s31, v38
	v_and_b32_e32 v69, 0xffff, v4
	v_and_b32_e32 v4, 0xffff0000, v4
	s_wait_alu 0xf1ff
	s_delay_alu instid0(VALU_DEP_3) | instskip(SKIP_2) | instid1(VALU_DEP_1)
	v_cndmask_b32_e64 v1, 0, v1, s0
	v_cmp_gt_i32_e64 s0, s31, v43
	s_wait_alu 0xf1ff
	v_cndmask_b32_e64 v68, 0, v68, s0
	v_cmp_gt_i32_e64 s0, s31, v42
	s_wait_alu 0xf1ff
	s_delay_alu instid0(VALU_DEP_1) | instskip(SKIP_2) | instid1(VALU_DEP_1)
	v_cndmask_b32_e64 v2, 0, v2, s0
	v_cmp_gt_i32_e64 s0, s31, v32
	s_wait_alu 0xf1ff
	v_cndmask_b32_e64 v67, 0, v67, s0
	v_cmp_gt_i32_e64 s0, s31, v33
	s_wait_alu 0xf1ff
	s_delay_alu instid0(VALU_DEP_1) | instskip(SKIP_2) | instid1(VALU_DEP_1)
	v_cndmask_b32_e64 v69, 0, v69, s0
	v_cmp_gt_i32_e64 s0, s31, v36
	s_wait_alu 0xf1ff
	v_cndmask_b32_e64 v4, 0, v4, s0
	v_cmp_gt_i32_e64 s0, s31, v31
	s_delay_alu instid0(VALU_DEP_2) | instskip(SKIP_1) | instid1(VALU_DEP_2)
	v_or_b32_e32 v4, v69, v4
	s_wait_alu 0xf1ff
	v_cndmask_b32_e64 v3, 0, v3, s0
	v_cmp_gt_i32_e64 s0, s31, v30
	s_wait_alu 0xf1ff
	s_delay_alu instid0(VALU_DEP_1)
	v_cndmask_b32_e64 v66, 0, v66, s0
.LBB112_61:                             ;   in Loop: Header=BB112_38 Depth=1
	s_wait_alu 0xfffe
	s_or_b32 exec_lo, exec_lo, s9
	v_lshlrev_b32_e32 v68, 16, v68
	v_lshlrev_b32_e32 v67, 16, v67
	v_lshlrev_b32_e32 v66, 16, v66
	s_delay_alu instid0(VALU_DEP_3) | instskip(NEXT) | instid1(VALU_DEP_3)
	v_and_or_b32 v1, 0xffff, v1, v68
	v_and_or_b32 v2, 0xffff, v2, v67
	s_delay_alu instid0(VALU_DEP_3)
	v_and_or_b32 v3, 0xffff, v3, v66
	;;#ASMSTART
	v_pk_mul_f16 v1, v35, v1;

	;;#ASMEND
	;;#ASMSTART
	v_pk_mul_f16 v2, v34, v2;

	;;#ASMEND
	;; [unrolled: 4-line block ×4, first 2 shown]
	;;#ASMSTART
	v_pk_add_f16 v1, v1, v2;

	;;#ASMEND
	;;#ASMSTART
	v_pk_add_f16 v1, v1, v3;

	;;#ASMEND
	;; [unrolled: 4-line block ×3, first 2 shown]
	v_and_b32_e32 v2, 0xffff, v1
	v_lshrrev_b32_e32 v1, 16, v1
	;;#ASMSTART
	v_cvt_f32_f16 v66, v2;
	;;#ASMEND
	;;#ASMSTART
	v_cvt_f32_f16 v67, v1;
	;;#ASMEND
	global_load_b128 v[1:4], v[7:8], off offset:5632
	s_wait_loadcnt 0x0
	v_lshrrev_b32_e32 v70, 16, v1
	v_lshrrev_b32_e32 v69, 16, v2
	;; [unrolled: 1-line block ×3, first 2 shown]
	s_and_saveexec_b32 s9, vcc_lo
	s_cbranch_execz .LBB112_63
; %bb.62:                               ;   in Loop: Header=BB112_38 Depth=1
	v_cmp_gt_i32_e64 s0, s31, v38
	v_and_b32_e32 v71, 0xffff, v4
	v_and_b32_e32 v4, 0xffff0000, v4
	s_wait_alu 0xf1ff
	s_delay_alu instid0(VALU_DEP_3) | instskip(SKIP_2) | instid1(VALU_DEP_1)
	v_cndmask_b32_e64 v1, 0, v1, s0
	v_cmp_gt_i32_e64 s0, s31, v43
	s_wait_alu 0xf1ff
	v_cndmask_b32_e64 v70, 0, v70, s0
	v_cmp_gt_i32_e64 s0, s31, v42
	s_wait_alu 0xf1ff
	s_delay_alu instid0(VALU_DEP_1) | instskip(SKIP_2) | instid1(VALU_DEP_1)
	v_cndmask_b32_e64 v2, 0, v2, s0
	v_cmp_gt_i32_e64 s0, s31, v32
	s_wait_alu 0xf1ff
	v_cndmask_b32_e64 v69, 0, v69, s0
	v_cmp_gt_i32_e64 s0, s31, v33
	s_wait_alu 0xf1ff
	s_delay_alu instid0(VALU_DEP_1) | instskip(SKIP_2) | instid1(VALU_DEP_1)
	v_cndmask_b32_e64 v71, 0, v71, s0
	v_cmp_gt_i32_e64 s0, s31, v36
	s_wait_alu 0xf1ff
	v_cndmask_b32_e64 v4, 0, v4, s0
	v_cmp_gt_i32_e64 s0, s31, v31
	s_delay_alu instid0(VALU_DEP_2) | instskip(SKIP_1) | instid1(VALU_DEP_2)
	v_or_b32_e32 v4, v71, v4
	s_wait_alu 0xf1ff
	v_cndmask_b32_e64 v3, 0, v3, s0
	v_cmp_gt_i32_e64 s0, s31, v30
	s_wait_alu 0xf1ff
	s_delay_alu instid0(VALU_DEP_1)
	v_cndmask_b32_e64 v68, 0, v68, s0
.LBB112_63:                             ;   in Loop: Header=BB112_38 Depth=1
	s_wait_alu 0xfffe
	s_or_b32 exec_lo, exec_lo, s9
	v_lshlrev_b32_e32 v70, 16, v70
	v_lshlrev_b32_e32 v69, 16, v69
	;; [unrolled: 1-line block ×3, first 2 shown]
	s_delay_alu instid0(VALU_DEP_3) | instskip(NEXT) | instid1(VALU_DEP_3)
	v_and_or_b32 v1, 0xffff, v1, v70
	v_and_or_b32 v2, 0xffff, v2, v69
	s_delay_alu instid0(VALU_DEP_3)
	v_and_or_b32 v3, 0xffff, v3, v68
	;;#ASMSTART
	v_pk_mul_f16 v1, v35, v1;

	;;#ASMEND
	;;#ASMSTART
	v_pk_mul_f16 v2, v34, v2;

	;;#ASMEND
	;; [unrolled: 4-line block ×4, first 2 shown]
	;;#ASMSTART
	v_pk_add_f16 v1, v1, v2;

	;;#ASMEND
	;;#ASMSTART
	v_pk_add_f16 v1, v1, v3;

	;;#ASMEND
	;; [unrolled: 4-line block ×3, first 2 shown]
	v_and_b32_e32 v2, 0xffff, v1
	v_lshrrev_b32_e32 v1, 16, v1
	;;#ASMSTART
	v_cvt_f32_f16 v68, v2;
	;;#ASMEND
	;;#ASMSTART
	v_cvt_f32_f16 v69, v1;
	;;#ASMEND
	global_load_b128 v[1:4], v[7:8], off offset:6144
	s_wait_loadcnt 0x0
	v_lshrrev_b32_e32 v72, 16, v1
	v_lshrrev_b32_e32 v71, 16, v2
	v_lshrrev_b32_e32 v70, 16, v3
	s_and_saveexec_b32 s9, vcc_lo
	s_cbranch_execz .LBB112_65
; %bb.64:                               ;   in Loop: Header=BB112_38 Depth=1
	v_cmp_gt_i32_e64 s0, s31, v38
	v_and_b32_e32 v73, 0xffff, v4
	v_and_b32_e32 v4, 0xffff0000, v4
	s_wait_alu 0xf1ff
	s_delay_alu instid0(VALU_DEP_3) | instskip(SKIP_2) | instid1(VALU_DEP_1)
	v_cndmask_b32_e64 v1, 0, v1, s0
	v_cmp_gt_i32_e64 s0, s31, v43
	s_wait_alu 0xf1ff
	v_cndmask_b32_e64 v72, 0, v72, s0
	v_cmp_gt_i32_e64 s0, s31, v42
	s_wait_alu 0xf1ff
	s_delay_alu instid0(VALU_DEP_1) | instskip(SKIP_2) | instid1(VALU_DEP_1)
	v_cndmask_b32_e64 v2, 0, v2, s0
	v_cmp_gt_i32_e64 s0, s31, v32
	s_wait_alu 0xf1ff
	v_cndmask_b32_e64 v71, 0, v71, s0
	v_cmp_gt_i32_e64 s0, s31, v33
	s_wait_alu 0xf1ff
	s_delay_alu instid0(VALU_DEP_1) | instskip(SKIP_2) | instid1(VALU_DEP_1)
	v_cndmask_b32_e64 v73, 0, v73, s0
	v_cmp_gt_i32_e64 s0, s31, v36
	s_wait_alu 0xf1ff
	v_cndmask_b32_e64 v4, 0, v4, s0
	v_cmp_gt_i32_e64 s0, s31, v31
	s_delay_alu instid0(VALU_DEP_2) | instskip(SKIP_1) | instid1(VALU_DEP_2)
	v_or_b32_e32 v4, v73, v4
	s_wait_alu 0xf1ff
	v_cndmask_b32_e64 v3, 0, v3, s0
	v_cmp_gt_i32_e64 s0, s31, v30
	s_wait_alu 0xf1ff
	s_delay_alu instid0(VALU_DEP_1)
	v_cndmask_b32_e64 v70, 0, v70, s0
.LBB112_65:                             ;   in Loop: Header=BB112_38 Depth=1
	s_wait_alu 0xfffe
	s_or_b32 exec_lo, exec_lo, s9
	v_lshlrev_b32_e32 v72, 16, v72
	v_lshlrev_b32_e32 v71, 16, v71
	;; [unrolled: 1-line block ×3, first 2 shown]
	s_delay_alu instid0(VALU_DEP_3) | instskip(NEXT) | instid1(VALU_DEP_3)
	v_and_or_b32 v1, 0xffff, v1, v72
	v_and_or_b32 v2, 0xffff, v2, v71
	s_delay_alu instid0(VALU_DEP_3)
	v_and_or_b32 v3, 0xffff, v3, v70
	;;#ASMSTART
	v_pk_mul_f16 v1, v35, v1;

	;;#ASMEND
	;;#ASMSTART
	v_pk_mul_f16 v2, v34, v2;

	;;#ASMEND
	;; [unrolled: 4-line block ×4, first 2 shown]
	;;#ASMSTART
	v_pk_add_f16 v1, v1, v2;

	;;#ASMEND
	;;#ASMSTART
	v_pk_add_f16 v1, v1, v3;

	;;#ASMEND
	;; [unrolled: 4-line block ×3, first 2 shown]
	v_and_b32_e32 v2, 0xffff, v1
	v_lshrrev_b32_e32 v1, 16, v1
	;;#ASMSTART
	v_cvt_f32_f16 v71, v2;
	;;#ASMEND
	;;#ASMSTART
	v_cvt_f32_f16 v72, v1;
	;;#ASMEND
	global_load_b128 v[1:4], v[7:8], off offset:6656
	s_wait_loadcnt 0x0
	v_lshrrev_b32_e32 v70, 16, v1
	v_lshrrev_b32_e32 v8, 16, v2
	;; [unrolled: 1-line block ×3, first 2 shown]
	s_and_saveexec_b32 s0, vcc_lo
	s_cbranch_execz .LBB112_36
; %bb.66:                               ;   in Loop: Header=BB112_38 Depth=1
	v_cmp_gt_i32_e32 vcc_lo, s31, v38
	v_and_b32_e32 v38, 0xffff, v4
	s_wait_alu 0xfffd
	v_dual_cndmask_b32 v1, 0, v1 :: v_dual_and_b32 v4, 0xffff0000, v4
	v_cmp_gt_i32_e32 vcc_lo, s31, v43
	s_wait_alu 0xfffd
	v_cndmask_b32_e32 v70, 0, v70, vcc_lo
	v_cmp_gt_i32_e32 vcc_lo, s31, v42
	s_wait_alu 0xfffd
	v_cndmask_b32_e32 v2, 0, v2, vcc_lo
	;; [unrolled: 3-line block ×5, first 2 shown]
	v_cmp_gt_i32_e32 vcc_lo, s31, v31
	s_delay_alu instid0(VALU_DEP_2)
	v_or_b32_e32 v4, v32, v4
	s_wait_alu 0xfffd
	v_cndmask_b32_e32 v3, 0, v3, vcc_lo
	v_cmp_gt_i32_e32 vcc_lo, s31, v30
	s_wait_alu 0xfffd
	v_cndmask_b32_e32 v7, 0, v7, vcc_lo
	s_branch .LBB112_36
.LBB112_67:
	s_or_b32 exec_lo, exec_lo, s5
.LBB112_68:
	s_wait_alu 0xfffe
	s_or_b32 exec_lo, exec_lo, s1
	ds_bpermute_b32 v1, v10, v24
	ds_bpermute_b32 v3, v10, v23
	;; [unrolled: 1-line block ×14, first 2 shown]
	s_mov_b32 s0, exec_lo
	s_wait_storecnt 0x0
	s_wait_loadcnt_dscnt 0x0
	s_barrier_signal -1
	s_barrier_wait -1
	global_inv scope:SCOPE_SE
	v_add_f32_e32 v1, v24, v1
	v_add_f32_e32 v3, v23, v3
	;; [unrolled: 1-line block ×6, first 2 shown]
	v_dual_add_f32 v6, v20, v6 :: v_dual_add_f32 v7, v19, v7
	ds_bpermute_b32 v19, v9, v1
	ds_bpermute_b32 v21, v9, v3
	;; [unrolled: 1-line block ×3, first 2 shown]
	v_add_f32_e32 v16, v16, v27
	ds_bpermute_b32 v27, v9, v17
	ds_bpermute_b32 v20, v9, v2
	v_add_f32_e32 v18, v18, v8
	ds_bpermute_b32 v8, v9, v6
	v_add_f32_e32 v26, v15, v28
	v_add_f32_e32 v28, v14, v29
	ds_bpermute_b32 v29, v9, v16
	v_add_f32_e32 v30, v13, v30
	v_add_f32_e32 v32, v12, v10
	ds_bpermute_b32 v22, v9, v4
	ds_bpermute_b32 v24, v9, v7
	;; [unrolled: 1-line block ×4, first 2 shown]
	s_wait_dscnt 0xa
	v_add_f32_e32 v15, v1, v19
	ds_bpermute_b32 v31, v9, v26
	s_wait_dscnt 0xa
	v_add_f32_e32 v13, v3, v21
	ds_bpermute_b32 v34, v9, v30
	s_wait_dscnt 0xa
	v_add_f32_e32 v10, v5, v23
	s_wait_dscnt 0x9
	v_add_f32_e32 v5, v17, v27
	ds_bpermute_b32 v33, v9, v28
	s_wait_dscnt 0x9
	v_add_f32_e32 v14, v2, v20
	s_wait_dscnt 0x8
	v_add_f32_e32 v9, v6, v8
	v_lshrrev_b32_e32 v17, 2, v60
	s_wait_dscnt 0x7
	v_dual_add_f32 v3, v16, v29 :: v_dual_and_b32 v16, 28, v60
	s_wait_dscnt 0x6
	v_dual_add_f32 v12, v4, v22 :: v_dual_and_b32 v19, 0x3c3, v0
	s_wait_dscnt 0x4
	v_dual_add_f32 v8, v7, v24 :: v_dual_add_f32 v7, v18, v25
	v_add_nc_u32_e32 v16, 0x100, v16
	s_wait_dscnt 0x3
	v_add_f32_e32 v6, v32, v35
	v_mul_u32_u24_e32 v18, 0x1c0, v59
	s_wait_dscnt 0x2
	v_add_f32_e32 v2, v26, v31
	s_wait_dscnt 0x0
	v_dual_add_f32 v4, v30, v34 :: v_dual_add_f32 v1, v28, v33
	v_cmpx_eq_u32_e32 64, v19
	s_cbranch_execz .LBB112_70
; %bb.69:
	v_add_nc_u32_e32 v19, v16, v18
	s_delay_alu instid0(VALU_DEP_1)
	v_add_nc_u32_e32 v20, 0xfffffc80, v19
	v_add_nc_u32_e32 v21, 0xfffffca0, v19
	;; [unrolled: 1-line block ×8, first 2 shown]
	ds_store_b32 v20, v15
	ds_store_b32 v21, v14
	;; [unrolled: 1-line block ×8, first 2 shown]
	v_add_nc_u32_e32 v20, 0xfffffd80, v19
	v_add_nc_u32_e32 v21, 0xfffffda0, v19
	;; [unrolled: 1-line block ×6, first 2 shown]
	ds_store_b32 v20, v5
	ds_store_b32 v21, v3
	;; [unrolled: 1-line block ×6, first 2 shown]
.LBB112_70:
	s_wait_alu 0xfffe
	s_or_b32 exec_lo, exec_lo, s0
	v_lshlrev_b32_e32 v17, 2, v17
	v_cmp_eq_u32_e32 vcc_lo, 0, v11
	s_mov_b32 s1, exec_lo
	s_wait_loadcnt_dscnt 0x0
	s_barrier_signal -1
	v_add3_u32 v11, 0x100, v18, v17
	s_barrier_wait -1
	global_inv scope:SCOPE_SE
	v_cmpx_gt_u32_e32 64, v0
	s_cbranch_execz .LBB112_87
; %bb.71:
	s_and_saveexec_b32 s0, vcc_lo
	s_cbranch_execnz .LBB112_109
; %bb.72:
	s_wait_alu 0xfffe
	s_or_b32 exec_lo, exec_lo, s0
	s_and_saveexec_b32 s0, vcc_lo
	s_cbranch_execnz .LBB112_110
.LBB112_73:
	s_wait_alu 0xfffe
	s_or_b32 exec_lo, exec_lo, s0
	s_and_saveexec_b32 s0, vcc_lo
	s_cbranch_execnz .LBB112_111
.LBB112_74:
	s_wait_alu 0xfffe
	s_or_b32 exec_lo, exec_lo, s0
	s_and_saveexec_b32 s0, vcc_lo
	s_cbranch_execnz .LBB112_112
.LBB112_75:
	s_wait_alu 0xfffe
	s_or_b32 exec_lo, exec_lo, s0
	s_and_saveexec_b32 s0, vcc_lo
	s_cbranch_execnz .LBB112_113
.LBB112_76:
	s_wait_alu 0xfffe
	s_or_b32 exec_lo, exec_lo, s0
	s_and_saveexec_b32 s0, vcc_lo
	s_cbranch_execnz .LBB112_114
.LBB112_77:
	s_wait_alu 0xfffe
	s_or_b32 exec_lo, exec_lo, s0
	s_and_saveexec_b32 s0, vcc_lo
	s_cbranch_execnz .LBB112_115
.LBB112_78:
	s_wait_alu 0xfffe
	s_or_b32 exec_lo, exec_lo, s0
	s_and_saveexec_b32 s0, vcc_lo
	s_cbranch_execnz .LBB112_116
.LBB112_79:
	s_wait_alu 0xfffe
	s_or_b32 exec_lo, exec_lo, s0
	s_and_saveexec_b32 s0, vcc_lo
	s_cbranch_execnz .LBB112_117
.LBB112_80:
	s_wait_alu 0xfffe
	s_or_b32 exec_lo, exec_lo, s0
	s_and_saveexec_b32 s0, vcc_lo
	s_cbranch_execnz .LBB112_118
.LBB112_81:
	s_wait_alu 0xfffe
	s_or_b32 exec_lo, exec_lo, s0
	s_and_saveexec_b32 s0, vcc_lo
	s_cbranch_execnz .LBB112_119
.LBB112_82:
	s_wait_alu 0xfffe
	s_or_b32 exec_lo, exec_lo, s0
	s_and_saveexec_b32 s0, vcc_lo
	s_cbranch_execnz .LBB112_120
.LBB112_83:
	s_wait_alu 0xfffe
	s_or_b32 exec_lo, exec_lo, s0
	s_and_saveexec_b32 s0, vcc_lo
	s_cbranch_execnz .LBB112_121
.LBB112_84:
	s_wait_alu 0xfffe
	s_or_b32 exec_lo, exec_lo, s0
	s_and_saveexec_b32 s0, vcc_lo
	s_cbranch_execz .LBB112_86
.LBB112_85:
	ds_load_b32 v17, v11 offset:416
	s_wait_dscnt 0x0
	v_add_f32_e32 v6, v6, v17
.LBB112_86:
	s_wait_alu 0xfffe
	s_or_b32 exec_lo, exec_lo, s0
.LBB112_87:
	s_wait_alu 0xfffe
	s_or_b32 exec_lo, exec_lo, s1
	v_and_b32_e32 v17, 0x3e3, v0
	s_mov_b32 s1, exec_lo
	s_wait_loadcnt 0x0
	s_barrier_signal -1
	s_barrier_wait -1
	global_inv scope:SCOPE_SE
	v_cmpx_eq_u32_e32 32, v17
	s_cbranch_execz .LBB112_89
; %bb.88:
	ds_store_2addr_b32 v16, v15, v14 offset1:8
	ds_store_2addr_b32 v16, v13, v12 offset0:16 offset1:24
	ds_store_2addr_b32 v16, v10, v9 offset0:32 offset1:40
	;; [unrolled: 1-line block ×6, first 2 shown]
.LBB112_89:
	s_wait_alu 0xfffe
	s_or_b32 exec_lo, exec_lo, s1
	s_delay_alu instid0(SALU_CYCLE_1)
	s_mov_b32 s1, exec_lo
	s_wait_loadcnt_dscnt 0x0
	s_barrier_signal -1
	s_barrier_wait -1
	global_inv scope:SCOPE_SE
	v_cmpx_gt_u32_e32 32, v0
	s_cbranch_execz .LBB112_106
; %bb.90:
	s_and_saveexec_b32 s0, vcc_lo
	s_cbranch_execnz .LBB112_122
; %bb.91:
	s_wait_alu 0xfffe
	s_or_b32 exec_lo, exec_lo, s0
	s_and_saveexec_b32 s0, vcc_lo
	s_cbranch_execnz .LBB112_123
.LBB112_92:
	s_wait_alu 0xfffe
	s_or_b32 exec_lo, exec_lo, s0
	s_and_saveexec_b32 s0, vcc_lo
	s_cbranch_execnz .LBB112_124
.LBB112_93:
	s_wait_alu 0xfffe
	s_or_b32 exec_lo, exec_lo, s0
	s_and_saveexec_b32 s0, vcc_lo
	s_cbranch_execnz .LBB112_125
.LBB112_94:
	s_wait_alu 0xfffe
	s_or_b32 exec_lo, exec_lo, s0
	s_and_saveexec_b32 s0, vcc_lo
	s_cbranch_execnz .LBB112_126
.LBB112_95:
	s_wait_alu 0xfffe
	s_or_b32 exec_lo, exec_lo, s0
	s_and_saveexec_b32 s0, vcc_lo
	s_cbranch_execnz .LBB112_127
.LBB112_96:
	s_wait_alu 0xfffe
	s_or_b32 exec_lo, exec_lo, s0
	s_and_saveexec_b32 s0, vcc_lo
	s_cbranch_execnz .LBB112_128
.LBB112_97:
	s_wait_alu 0xfffe
	s_or_b32 exec_lo, exec_lo, s0
	s_and_saveexec_b32 s0, vcc_lo
	s_cbranch_execnz .LBB112_129
.LBB112_98:
	s_wait_alu 0xfffe
	s_or_b32 exec_lo, exec_lo, s0
	s_and_saveexec_b32 s0, vcc_lo
	s_cbranch_execnz .LBB112_130
.LBB112_99:
	s_wait_alu 0xfffe
	s_or_b32 exec_lo, exec_lo, s0
	s_and_saveexec_b32 s0, vcc_lo
	s_cbranch_execnz .LBB112_131
.LBB112_100:
	s_wait_alu 0xfffe
	s_or_b32 exec_lo, exec_lo, s0
	s_and_saveexec_b32 s0, vcc_lo
	s_cbranch_execnz .LBB112_132
.LBB112_101:
	s_wait_alu 0xfffe
	s_or_b32 exec_lo, exec_lo, s0
	s_and_saveexec_b32 s0, vcc_lo
	s_cbranch_execnz .LBB112_133
.LBB112_102:
	s_wait_alu 0xfffe
	s_or_b32 exec_lo, exec_lo, s0
	s_and_saveexec_b32 s0, vcc_lo
	s_cbranch_execnz .LBB112_134
.LBB112_103:
	s_wait_alu 0xfffe
	s_or_b32 exec_lo, exec_lo, s0
	s_and_saveexec_b32 s0, vcc_lo
	s_cbranch_execz .LBB112_105
.LBB112_104:
	ds_load_b32 v11, v11 offset:416
	s_wait_dscnt 0x0
	v_add_f32_e32 v6, v6, v11
.LBB112_105:
	s_wait_alu 0xfffe
	s_or_b32 exec_lo, exec_lo, s0
.LBB112_106:
	s_wait_alu 0xfffe
	s_or_b32 exec_lo, exec_lo, s1
	s_mov_b32 s1, 0
	s_wait_loadcnt 0x0
	s_barrier_signal -1
	s_barrier_wait -1
	global_inv scope:SCOPE_SE
	s_mov_b32 s0, exec_lo
	v_cmpx_eq_u32_e32 0, v17
	s_cbranch_execz .LBB112_108
; %bb.107:
	s_mul_i32 s2, s26, 0x70
	s_mul_i32 s4, s7, s16
	s_wait_alu 0xfffe
	s_ashr_i32 s3, s2, 31
	s_ashr_i32 s5, s4, 31
	s_wait_alu 0xfffe
	s_lshl_b64 s[2:3], s[2:3], 1
	s_lshl_b64 s[4:5], s[4:5], 1
	s_wait_kmcnt 0x0
	s_wait_alu 0xfffe
	s_add_nc_u64 s[2:3], s[14:15], s[2:3]
	v_lshrrev_b32_e32 v0, 1, v0
	s_mul_i32 s0, s30, 0xe0
	s_wait_alu 0xfffe
	s_add_nc_u64 s[2:3], s[2:3], s[4:5]
	;;#ASMSTART
	v_cvt_f16_f32 v11, v15;

	;;#ASMEND
	s_wait_alu 0xfffe
	s_add_nc_u64 s[0:1], s[2:3], s[0:1]
	global_store_b16 v0, v11, s[0:1]
	;;#ASMSTART
	v_cvt_f16_f32 v11, v14;

	;;#ASMEND
	global_store_b16 v0, v11, s[0:1] offset:16
	;;#ASMSTART
	v_cvt_f16_f32 v11, v13;

	;;#ASMEND
	global_store_b16 v0, v11, s[0:1] offset:32
	;;#ASMSTART
	v_cvt_f16_f32 v11, v12;

	;;#ASMEND
	global_store_b16 v0, v11, s[0:1] offset:48
	;;#ASMSTART
	v_cvt_f16_f32 v10, v10;

	;;#ASMEND
	global_store_b16 v0, v10, s[0:1] offset:64
	;;#ASMSTART
	v_cvt_f16_f32 v9, v9;

	;;#ASMEND
	global_store_b16 v0, v9, s[0:1] offset:80
	;;#ASMSTART
	v_cvt_f16_f32 v8, v8;

	;;#ASMEND
	global_store_b16 v0, v8, s[0:1] offset:96
	;;#ASMSTART
	v_cvt_f16_f32 v7, v7;

	;;#ASMEND
	global_store_b16 v0, v7, s[0:1] offset:112
	;;#ASMSTART
	v_cvt_f16_f32 v5, v5;

	;;#ASMEND
	global_store_b16 v0, v5, s[0:1] offset:128
	;;#ASMSTART
	v_cvt_f16_f32 v3, v3;

	;;#ASMEND
	global_store_b16 v0, v3, s[0:1] offset:144
	;;#ASMSTART
	v_cvt_f16_f32 v2, v2;

	;;#ASMEND
	global_store_b16 v0, v2, s[0:1] offset:160
	;;#ASMSTART
	v_cvt_f16_f32 v1, v1;

	;;#ASMEND
	global_store_b16 v0, v1, s[0:1] offset:176
	;;#ASMSTART
	v_cvt_f16_f32 v1, v4;

	;;#ASMEND
	global_store_b16 v0, v1, s[0:1] offset:192
	;;#ASMSTART
	v_cvt_f16_f32 v1, v6;

	;;#ASMEND
	global_store_b16 v0, v1, s[0:1] offset:208
.LBB112_108:
	s_nop 0
	s_sendmsg sendmsg(MSG_DEALLOC_VGPRS)
	s_endpgm
.LBB112_109:
	ds_load_b32 v17, v11
	s_wait_dscnt 0x0
	v_add_f32_e32 v15, v15, v17
	s_wait_alu 0xfffe
	s_or_b32 exec_lo, exec_lo, s0
	s_and_saveexec_b32 s0, vcc_lo
	s_cbranch_execz .LBB112_73
.LBB112_110:
	ds_load_b32 v17, v11 offset:32
	s_wait_dscnt 0x0
	v_add_f32_e32 v14, v14, v17
	s_wait_alu 0xfffe
	s_or_b32 exec_lo, exec_lo, s0
	s_and_saveexec_b32 s0, vcc_lo
	s_cbranch_execz .LBB112_74
.LBB112_111:
	ds_load_b32 v17, v11 offset:64
	s_wait_dscnt 0x0
	v_add_f32_e32 v13, v13, v17
	s_wait_alu 0xfffe
	s_or_b32 exec_lo, exec_lo, s0
	s_and_saveexec_b32 s0, vcc_lo
	s_cbranch_execz .LBB112_75
.LBB112_112:
	ds_load_b32 v17, v11 offset:96
	s_wait_dscnt 0x0
	v_add_f32_e32 v12, v12, v17
	s_wait_alu 0xfffe
	s_or_b32 exec_lo, exec_lo, s0
	s_and_saveexec_b32 s0, vcc_lo
	s_cbranch_execz .LBB112_76
.LBB112_113:
	ds_load_b32 v17, v11 offset:128
	s_wait_dscnt 0x0
	v_add_f32_e32 v10, v10, v17
	s_wait_alu 0xfffe
	s_or_b32 exec_lo, exec_lo, s0
	s_and_saveexec_b32 s0, vcc_lo
	s_cbranch_execz .LBB112_77
.LBB112_114:
	ds_load_b32 v17, v11 offset:160
	s_wait_dscnt 0x0
	v_add_f32_e32 v9, v9, v17
	s_wait_alu 0xfffe
	s_or_b32 exec_lo, exec_lo, s0
	s_and_saveexec_b32 s0, vcc_lo
	s_cbranch_execz .LBB112_78
.LBB112_115:
	ds_load_b32 v17, v11 offset:192
	s_wait_dscnt 0x0
	v_add_f32_e32 v8, v8, v17
	s_wait_alu 0xfffe
	s_or_b32 exec_lo, exec_lo, s0
	s_and_saveexec_b32 s0, vcc_lo
	s_cbranch_execz .LBB112_79
.LBB112_116:
	ds_load_b32 v17, v11 offset:224
	s_wait_dscnt 0x0
	v_add_f32_e32 v7, v7, v17
	s_wait_alu 0xfffe
	s_or_b32 exec_lo, exec_lo, s0
	s_and_saveexec_b32 s0, vcc_lo
	s_cbranch_execz .LBB112_80
.LBB112_117:
	ds_load_b32 v17, v11 offset:256
	s_wait_dscnt 0x0
	v_add_f32_e32 v5, v5, v17
	s_wait_alu 0xfffe
	s_or_b32 exec_lo, exec_lo, s0
	s_and_saveexec_b32 s0, vcc_lo
	s_cbranch_execz .LBB112_81
.LBB112_118:
	ds_load_b32 v17, v11 offset:288
	s_wait_dscnt 0x0
	v_add_f32_e32 v3, v3, v17
	s_wait_alu 0xfffe
	s_or_b32 exec_lo, exec_lo, s0
	s_and_saveexec_b32 s0, vcc_lo
	s_cbranch_execz .LBB112_82
.LBB112_119:
	ds_load_b32 v17, v11 offset:320
	s_wait_dscnt 0x0
	v_add_f32_e32 v2, v2, v17
	s_wait_alu 0xfffe
	s_or_b32 exec_lo, exec_lo, s0
	s_and_saveexec_b32 s0, vcc_lo
	s_cbranch_execz .LBB112_83
.LBB112_120:
	ds_load_b32 v17, v11 offset:352
	s_wait_dscnt 0x0
	v_add_f32_e32 v1, v1, v17
	s_wait_alu 0xfffe
	s_or_b32 exec_lo, exec_lo, s0
	s_and_saveexec_b32 s0, vcc_lo
	s_cbranch_execz .LBB112_84
.LBB112_121:
	ds_load_b32 v17, v11 offset:384
	s_wait_dscnt 0x0
	v_add_f32_e32 v4, v4, v17
	s_wait_alu 0xfffe
	s_or_b32 exec_lo, exec_lo, s0
	s_and_saveexec_b32 s0, vcc_lo
	s_cbranch_execnz .LBB112_85
	s_branch .LBB112_86
.LBB112_122:
	ds_load_b32 v16, v11
	s_wait_dscnt 0x0
	v_add_f32_e32 v15, v15, v16
	s_wait_alu 0xfffe
	s_or_b32 exec_lo, exec_lo, s0
	s_and_saveexec_b32 s0, vcc_lo
	s_cbranch_execz .LBB112_92
.LBB112_123:
	ds_load_b32 v16, v11 offset:32
	s_wait_dscnt 0x0
	v_add_f32_e32 v14, v14, v16
	s_wait_alu 0xfffe
	s_or_b32 exec_lo, exec_lo, s0
	s_and_saveexec_b32 s0, vcc_lo
	s_cbranch_execz .LBB112_93
.LBB112_124:
	ds_load_b32 v16, v11 offset:64
	s_wait_dscnt 0x0
	v_add_f32_e32 v13, v13, v16
	s_wait_alu 0xfffe
	s_or_b32 exec_lo, exec_lo, s0
	s_and_saveexec_b32 s0, vcc_lo
	s_cbranch_execz .LBB112_94
.LBB112_125:
	ds_load_b32 v16, v11 offset:96
	s_wait_dscnt 0x0
	v_add_f32_e32 v12, v12, v16
	s_wait_alu 0xfffe
	s_or_b32 exec_lo, exec_lo, s0
	s_and_saveexec_b32 s0, vcc_lo
	s_cbranch_execz .LBB112_95
.LBB112_126:
	ds_load_b32 v16, v11 offset:128
	s_wait_dscnt 0x0
	v_add_f32_e32 v10, v10, v16
	s_wait_alu 0xfffe
	s_or_b32 exec_lo, exec_lo, s0
	s_and_saveexec_b32 s0, vcc_lo
	s_cbranch_execz .LBB112_96
.LBB112_127:
	ds_load_b32 v16, v11 offset:160
	s_wait_dscnt 0x0
	v_add_f32_e32 v9, v9, v16
	s_wait_alu 0xfffe
	s_or_b32 exec_lo, exec_lo, s0
	s_and_saveexec_b32 s0, vcc_lo
	s_cbranch_execz .LBB112_97
.LBB112_128:
	ds_load_b32 v16, v11 offset:192
	s_wait_dscnt 0x0
	v_add_f32_e32 v8, v8, v16
	s_wait_alu 0xfffe
	s_or_b32 exec_lo, exec_lo, s0
	s_and_saveexec_b32 s0, vcc_lo
	s_cbranch_execz .LBB112_98
.LBB112_129:
	ds_load_b32 v16, v11 offset:224
	s_wait_dscnt 0x0
	v_add_f32_e32 v7, v7, v16
	s_wait_alu 0xfffe
	s_or_b32 exec_lo, exec_lo, s0
	s_and_saveexec_b32 s0, vcc_lo
	s_cbranch_execz .LBB112_99
.LBB112_130:
	ds_load_b32 v16, v11 offset:256
	s_wait_dscnt 0x0
	v_add_f32_e32 v5, v5, v16
	s_wait_alu 0xfffe
	s_or_b32 exec_lo, exec_lo, s0
	s_and_saveexec_b32 s0, vcc_lo
	s_cbranch_execz .LBB112_100
.LBB112_131:
	ds_load_b32 v16, v11 offset:288
	s_wait_dscnt 0x0
	v_add_f32_e32 v3, v3, v16
	s_wait_alu 0xfffe
	s_or_b32 exec_lo, exec_lo, s0
	s_and_saveexec_b32 s0, vcc_lo
	s_cbranch_execz .LBB112_101
.LBB112_132:
	ds_load_b32 v16, v11 offset:320
	s_wait_dscnt 0x0
	v_add_f32_e32 v2, v2, v16
	s_wait_alu 0xfffe
	s_or_b32 exec_lo, exec_lo, s0
	s_and_saveexec_b32 s0, vcc_lo
	s_cbranch_execz .LBB112_102
.LBB112_133:
	ds_load_b32 v16, v11 offset:352
	s_wait_dscnt 0x0
	v_add_f32_e32 v1, v1, v16
	s_wait_alu 0xfffe
	s_or_b32 exec_lo, exec_lo, s0
	s_and_saveexec_b32 s0, vcc_lo
	s_cbranch_execz .LBB112_103
.LBB112_134:
	ds_load_b32 v16, v11 offset:384
	s_wait_dscnt 0x0
	v_add_f32_e32 v4, v4, v16
	s_wait_alu 0xfffe
	s_or_b32 exec_lo, exec_lo, s0
	s_and_saveexec_b32 s0, vcc_lo
	s_cbranch_execnz .LBB112_104
	s_branch .LBB112_105
	.section	.rodata,"a",@progbits
	.p2align	6, 0x0
	.amdhsa_kernel _ZN4vllm25paged_attention_v2_kernelIttLi112ELi32ELi128ELNS_18Fp8KVCacheDataTypeE0ELb1ELi512EEEvPfS2_PT_PKS3_PKT0_S9_ifPKiSB_iPKfiiiSD_SD_iiiii
		.amdhsa_group_segment_fixed_size 256
		.amdhsa_private_segment_fixed_size 0
		.amdhsa_kernarg_size 400
		.amdhsa_user_sgpr_count 2
		.amdhsa_user_sgpr_dispatch_ptr 0
		.amdhsa_user_sgpr_queue_ptr 0
		.amdhsa_user_sgpr_kernarg_segment_ptr 1
		.amdhsa_user_sgpr_dispatch_id 0
		.amdhsa_user_sgpr_private_segment_size 0
		.amdhsa_wavefront_size32 1
		.amdhsa_uses_dynamic_stack 0
		.amdhsa_enable_private_segment 0
		.amdhsa_system_sgpr_workgroup_id_x 1
		.amdhsa_system_sgpr_workgroup_id_y 1
		.amdhsa_system_sgpr_workgroup_id_z 1
		.amdhsa_system_sgpr_workgroup_info 0
		.amdhsa_system_vgpr_workitem_id 0
		.amdhsa_next_free_vgpr 179
		.amdhsa_next_free_sgpr 42
		.amdhsa_reserve_vcc 1
		.amdhsa_float_round_mode_32 0
		.amdhsa_float_round_mode_16_64 0
		.amdhsa_float_denorm_mode_32 3
		.amdhsa_float_denorm_mode_16_64 3
		.amdhsa_fp16_overflow 0
		.amdhsa_workgroup_processor_mode 1
		.amdhsa_memory_ordered 1
		.amdhsa_forward_progress 1
		.amdhsa_inst_pref_size 101
		.amdhsa_round_robin_scheduling 0
		.amdhsa_exception_fp_ieee_invalid_op 0
		.amdhsa_exception_fp_denorm_src 0
		.amdhsa_exception_fp_ieee_div_zero 0
		.amdhsa_exception_fp_ieee_overflow 0
		.amdhsa_exception_fp_ieee_underflow 0
		.amdhsa_exception_fp_ieee_inexact 0
		.amdhsa_exception_int_div_zero 0
	.end_amdhsa_kernel
	.section	.text._ZN4vllm25paged_attention_v2_kernelIttLi112ELi32ELi128ELNS_18Fp8KVCacheDataTypeE0ELb1ELi512EEEvPfS2_PT_PKS3_PKT0_S9_ifPKiSB_iPKfiiiSD_SD_iiiii,"axG",@progbits,_ZN4vllm25paged_attention_v2_kernelIttLi112ELi32ELi128ELNS_18Fp8KVCacheDataTypeE0ELb1ELi512EEEvPfS2_PT_PKS3_PKT0_S9_ifPKiSB_iPKfiiiSD_SD_iiiii,comdat
.Lfunc_end112:
	.size	_ZN4vllm25paged_attention_v2_kernelIttLi112ELi32ELi128ELNS_18Fp8KVCacheDataTypeE0ELb1ELi512EEEvPfS2_PT_PKS3_PKT0_S9_ifPKiSB_iPKfiiiSD_SD_iiiii, .Lfunc_end112-_ZN4vllm25paged_attention_v2_kernelIttLi112ELi32ELi128ELNS_18Fp8KVCacheDataTypeE0ELb1ELi512EEEvPfS2_PT_PKS3_PKT0_S9_ifPKiSB_iPKfiiiSD_SD_iiiii
                                        ; -- End function
	.set _ZN4vllm25paged_attention_v2_kernelIttLi112ELi32ELi128ELNS_18Fp8KVCacheDataTypeE0ELb1ELi512EEEvPfS2_PT_PKS3_PKT0_S9_ifPKiSB_iPKfiiiSD_SD_iiiii.num_vgpr, 179
	.set _ZN4vllm25paged_attention_v2_kernelIttLi112ELi32ELi128ELNS_18Fp8KVCacheDataTypeE0ELb1ELi512EEEvPfS2_PT_PKS3_PKT0_S9_ifPKiSB_iPKfiiiSD_SD_iiiii.num_agpr, 0
	.set _ZN4vllm25paged_attention_v2_kernelIttLi112ELi32ELi128ELNS_18Fp8KVCacheDataTypeE0ELb1ELi512EEEvPfS2_PT_PKS3_PKT0_S9_ifPKiSB_iPKfiiiSD_SD_iiiii.numbered_sgpr, 42
	.set _ZN4vllm25paged_attention_v2_kernelIttLi112ELi32ELi128ELNS_18Fp8KVCacheDataTypeE0ELb1ELi512EEEvPfS2_PT_PKS3_PKT0_S9_ifPKiSB_iPKfiiiSD_SD_iiiii.num_named_barrier, 0
	.set _ZN4vllm25paged_attention_v2_kernelIttLi112ELi32ELi128ELNS_18Fp8KVCacheDataTypeE0ELb1ELi512EEEvPfS2_PT_PKS3_PKT0_S9_ifPKiSB_iPKfiiiSD_SD_iiiii.private_seg_size, 0
	.set _ZN4vllm25paged_attention_v2_kernelIttLi112ELi32ELi128ELNS_18Fp8KVCacheDataTypeE0ELb1ELi512EEEvPfS2_PT_PKS3_PKT0_S9_ifPKiSB_iPKfiiiSD_SD_iiiii.uses_vcc, 1
	.set _ZN4vllm25paged_attention_v2_kernelIttLi112ELi32ELi128ELNS_18Fp8KVCacheDataTypeE0ELb1ELi512EEEvPfS2_PT_PKS3_PKT0_S9_ifPKiSB_iPKfiiiSD_SD_iiiii.uses_flat_scratch, 0
	.set _ZN4vllm25paged_attention_v2_kernelIttLi112ELi32ELi128ELNS_18Fp8KVCacheDataTypeE0ELb1ELi512EEEvPfS2_PT_PKS3_PKT0_S9_ifPKiSB_iPKfiiiSD_SD_iiiii.has_dyn_sized_stack, 0
	.set _ZN4vllm25paged_attention_v2_kernelIttLi112ELi32ELi128ELNS_18Fp8KVCacheDataTypeE0ELb1ELi512EEEvPfS2_PT_PKS3_PKT0_S9_ifPKiSB_iPKfiiiSD_SD_iiiii.has_recursion, 0
	.set _ZN4vllm25paged_attention_v2_kernelIttLi112ELi32ELi128ELNS_18Fp8KVCacheDataTypeE0ELb1ELi512EEEvPfS2_PT_PKS3_PKT0_S9_ifPKiSB_iPKfiiiSD_SD_iiiii.has_indirect_call, 0
	.section	.AMDGPU.csdata,"",@progbits
; Kernel info:
; codeLenInByte = 12872
; TotalNumSgprs: 44
; NumVgprs: 179
; ScratchSize: 0
; MemoryBound: 0
; FloatMode: 240
; IeeeMode: 1
; LDSByteSize: 256 bytes/workgroup (compile time only)
; SGPRBlocks: 0
; VGPRBlocks: 22
; NumSGPRsForWavesPerEU: 44
; NumVGPRsForWavesPerEU: 179
; Occupancy: 8
; WaveLimiterHint : 1
; COMPUTE_PGM_RSRC2:SCRATCH_EN: 0
; COMPUTE_PGM_RSRC2:USER_SGPR: 2
; COMPUTE_PGM_RSRC2:TRAP_HANDLER: 0
; COMPUTE_PGM_RSRC2:TGID_X_EN: 1
; COMPUTE_PGM_RSRC2:TGID_Y_EN: 1
; COMPUTE_PGM_RSRC2:TGID_Z_EN: 1
; COMPUTE_PGM_RSRC2:TIDIG_COMP_CNT: 0
	.section	.text._ZN4vllm25paged_attention_v2_kernelIttLi120ELi32ELi128ELNS_18Fp8KVCacheDataTypeE0ELb1ELi512EEEvPfS2_PT_PKS3_PKT0_S9_ifPKiSB_iPKfiiiSD_SD_iiiii,"axG",@progbits,_ZN4vllm25paged_attention_v2_kernelIttLi120ELi32ELi128ELNS_18Fp8KVCacheDataTypeE0ELb1ELi512EEEvPfS2_PT_PKS3_PKT0_S9_ifPKiSB_iPKfiiiSD_SD_iiiii,comdat
	.protected	_ZN4vllm25paged_attention_v2_kernelIttLi120ELi32ELi128ELNS_18Fp8KVCacheDataTypeE0ELb1ELi512EEEvPfS2_PT_PKS3_PKT0_S9_ifPKiSB_iPKfiiiSD_SD_iiiii ; -- Begin function _ZN4vllm25paged_attention_v2_kernelIttLi120ELi32ELi128ELNS_18Fp8KVCacheDataTypeE0ELb1ELi512EEEvPfS2_PT_PKS3_PKT0_S9_ifPKiSB_iPKfiiiSD_SD_iiiii
	.globl	_ZN4vllm25paged_attention_v2_kernelIttLi120ELi32ELi128ELNS_18Fp8KVCacheDataTypeE0ELb1ELi512EEEvPfS2_PT_PKS3_PKT0_S9_ifPKiSB_iPKfiiiSD_SD_iiiii
	.p2align	8
	.type	_ZN4vllm25paged_attention_v2_kernelIttLi120ELi32ELi128ELNS_18Fp8KVCacheDataTypeE0ELb1ELi512EEEvPfS2_PT_PKS3_PKT0_S9_ifPKiSB_iPKfiiiSD_SD_iiiii,@function
_ZN4vllm25paged_attention_v2_kernelIttLi120ELi32ELi128ELNS_18Fp8KVCacheDataTypeE0ELb1ELi512EEEvPfS2_PT_PKS3_PKT0_S9_ifPKiSB_iPKfiiiSD_SD_iiiii: ; @_ZN4vllm25paged_attention_v2_kernelIttLi120ELi32ELi128ELNS_18Fp8KVCacheDataTypeE0ELb1ELi512EEEvPfS2_PT_PKS3_PKT0_S9_ifPKiSB_iPKfiiiSD_SD_iiiii
; %bb.0:
	s_load_b64 s[2:3], s[0:1], 0x40
	s_and_b32 s26, ttmp7, 0xffff
	s_lshr_b32 s30, ttmp7, 16
	s_lshl_b32 s4, s26, 2
	s_lshl_b32 s34, s30, 9
	s_wait_kmcnt 0x0
	s_load_b32 s31, s[2:3], s4 offset:0x0
	s_wait_kmcnt 0x0
	s_cmp_ge_i32 s34, s31
	s_cbranch_scc1 .LBB113_112
; %bb.1:
	s_clause 0x1
	s_load_b32 s27, s[0:1], 0x90
	s_load_b64 s[8:9], s[0:1], 0x30
	s_wait_kmcnt 0x0
	s_abs_i32 s5, s27
	s_abs_i32 s2, s8
	s_delay_alu instid0(SALU_CYCLE_1) | instskip(SKIP_1) | instid1(SALU_CYCLE_2)
	s_cvt_f32_u32 s3, s2
	s_sub_co_i32 s4, 0, s2
	v_rcp_iflag_f32_e32 v1, s3
	s_delay_alu instid0(TRANS32_DEP_1) | instskip(SKIP_2) | instid1(SALU_CYCLE_2)
	v_readfirstlane_b32 s3, v1
	s_mul_f32 s3, s3, 0x4f7ffffe
	s_wait_alu 0xfffe
	s_cvt_u32_f32 s3, s3
	s_wait_alu 0xfffe
	s_delay_alu instid0(SALU_CYCLE_2) | instskip(NEXT) | instid1(SALU_CYCLE_1)
	s_mul_i32 s4, s4, s3
	s_mul_hi_u32 s4, s3, s4
	s_delay_alu instid0(SALU_CYCLE_1)
	s_add_co_i32 s3, s3, s4
	s_xor_b32 s4, s27, s8
	s_wait_alu 0xfffe
	s_mul_hi_u32 s3, s5, s3
	s_ashr_i32 s4, s4, 31
	s_wait_alu 0xfffe
	s_mul_i32 s6, s3, s2
	s_delay_alu instid0(SALU_CYCLE_1)
	s_sub_co_i32 s5, s5, s6
	s_add_co_i32 s6, s3, 1
	s_sub_co_i32 s7, s5, s2
	s_cmp_ge_u32 s5, s2
	s_cselect_b32 s3, s6, s3
	s_cselect_b32 s5, s7, s5
	s_wait_alu 0xfffe
	s_add_co_i32 s6, s3, 1
	s_cmp_ge_u32 s5, s2
	s_cselect_b32 s2, s6, s3
	s_load_b64 s[6:7], s[0:1], 0x50
	s_xor_b32 s2, s2, s4
	s_mov_b32 s3, 0
	s_wait_alu 0xfffe
	s_sub_co_i32 s16, s2, s4
	s_mov_b32 s24, s3
	s_abs_i32 s15, s16
	s_delay_alu instid0(SALU_CYCLE_1) | instskip(SKIP_1) | instid1(SALU_CYCLE_2)
	s_cvt_f32_u32 s2, s15
	s_wait_alu 0xfffe
	v_rcp_iflag_f32_e32 v1, s2
	s_delay_alu instid0(TRANS32_DEP_1) | instskip(SKIP_2) | instid1(SALU_CYCLE_2)
	v_readfirstlane_b32 s2, v1
	s_mul_f32 s2, s2, 0x4f7ffffe
	s_wait_alu 0xfffe
	s_cvt_u32_f32 s4, s2
	s_sub_co_i32 s2, 0, s15
	s_wait_alu 0xfffe
	s_delay_alu instid0(SALU_CYCLE_1)
	s_mul_i32 s2, s2, s4
	s_wait_alu 0xfffe
	s_mul_hi_u32 s5, s4, s2
	s_abs_i32 s2, ttmp9
	s_add_co_i32 s4, s4, s5
	s_mov_b32 s5, s3
	s_wait_kmcnt 0x0
	s_cmp_eq_u64 s[6:7], 0
	s_cbranch_scc1 .LBB113_3
; %bb.2:
	s_mov_b32 s10, ttmp9
	s_ashr_i32 s11, ttmp9, 31
	s_delay_alu instid0(SALU_CYCLE_1) | instskip(NEXT) | instid1(SALU_CYCLE_1)
	s_lshl_b64 s[10:11], s[10:11], 2
	s_add_nc_u64 s[6:7], s[6:7], s[10:11]
	s_load_b32 s24, s[6:7], 0x0
.LBB113_3:
	s_load_b96 s[12:14], s[0:1], 0x58
	v_lshlrev_b32_e32 v63, 4, v0
	s_mul_u64 s[10:11], s[2:3], s[4:5]
	s_ashr_i32 s3, ttmp9, 31
	s_ashr_i32 s10, s16, 31
	s_mul_i32 s16, ttmp9, 0x78
	s_mov_b32 s4, exec_lo
	v_cmpx_gt_u32_e32 15, v0
	s_cbranch_execz .LBB113_5
; %bb.4:
	s_load_b64 s[6:7], s[0:1], 0x18
	s_wait_kmcnt 0x0
	s_mul_i32 s18, s12, s26
	s_ashr_i32 s17, s16, 31
	s_ashr_i32 s19, s18, 31
	s_delay_alu instid0(SALU_CYCLE_1) | instskip(NEXT) | instid1(SALU_CYCLE_1)
	s_lshl_b64 s[18:19], s[18:19], 1
	s_add_nc_u64 s[6:7], s[6:7], s[18:19]
	s_lshl_b64 s[18:19], s[16:17], 1
	s_delay_alu instid0(SALU_CYCLE_1)
	s_add_nc_u64 s[6:7], s[6:7], s[18:19]
	global_load_b128 v[1:4], v63, s[6:7]
	s_wait_loadcnt 0x0
	ds_store_b128 v63, v[1:4]
.LBB113_5:
	s_or_b32 exec_lo, exec_lo, s4
	s_clause 0x1
	s_load_b128 s[4:7], s[0:1], 0x78
	s_load_b32 s20, s[0:1], 0x88
	s_wait_kmcnt 0x0
	s_mul_i32 s12, s11, s15
	s_xor_b32 s3, s3, s10
	s_sub_co_i32 s2, s2, s12
	s_add_co_i32 s10, s11, 1
	s_wait_alu 0xfffe
	s_sub_co_i32 s12, s2, s15
	s_cmp_ge_u32 s2, s15
	s_mov_b32 s22, -1
	s_cselect_b32 s10, s10, s11
	s_cselect_b32 s2, s12, s2
	s_add_co_i32 s11, s10, 1
	s_wait_alu 0xfffe
	s_cmp_ge_u32 s2, s15
	s_wait_dscnt 0x0
	s_cselect_b32 s2, s11, s10
	s_add_co_i32 s21, s31, -1
	s_wait_alu 0xfffe
	s_xor_b32 s2, s2, s3
	s_barrier_signal -1
	s_wait_alu 0xfffe
	s_sub_co_i32 s15, s2, s3
	s_barrier_wait -1
	s_abs_i32 s12, s7
	global_inv scope:SCOPE_SE
	s_cvt_f32_u32 s10, s12
                                        ; implicit-def: $sgpr17
	s_delay_alu instid0(SALU_CYCLE_3) | instskip(NEXT) | instid1(TRANS32_DEP_1)
	v_rcp_iflag_f32_e32 v1, s10
	v_readfirstlane_b32 s10, v1
	s_mul_f32 s2, s10, 0x4f7ffffe
	s_wait_alu 0xfffe
	s_delay_alu instid0(SALU_CYCLE_2) | instskip(SKIP_2) | instid1(SALU_CYCLE_1)
	s_cvt_u32_f32 s10, s2
	s_sub_co_i32 s2, 0, s12
	s_wait_alu 0xfffe
	s_mul_i32 s3, s2, s10
	s_abs_i32 s2, s21
	s_wait_alu 0xfffe
	s_mul_hi_u32 s11, s10, s3
	s_mov_b32 s3, 0
	s_wait_alu 0xfffe
	s_add_co_i32 s18, s10, s11
	s_cmp_lt_i32 s20, 0
	s_mov_b32 s19, s3
	s_cbranch_scc0 .LBB113_7
; %bb.6:
	s_mul_i32 s8, s4, s8
	s_mov_b32 s22, s3
	s_add_co_i32 s8, s15, s8
	s_delay_alu instid0(SALU_CYCLE_1) | instskip(NEXT) | instid1(SALU_CYCLE_1)
	s_mul_i32 s8, s8, s20
	s_sub_co_i32 s17, 1, s8
.LBB113_7:
	s_mul_u64 s[10:11], s[2:3], s[18:19]
	s_ashr_i32 s3, s21, 31
	s_and_not1_b32 vcc_lo, exec_lo, s22
	s_ashr_i32 s19, s7, 31
	s_cbranch_vccnz .LBB113_9
; %bb.8:
	s_mul_i32 s4, s27, s4
	s_delay_alu instid0(SALU_CYCLE_1) | instskip(NEXT) | instid1(SALU_CYCLE_1)
	s_add_co_i32 s4, s4, ttmp9
	s_mul_i32 s4, s4, s20
	s_delay_alu instid0(SALU_CYCLE_1)
	s_add_co_i32 s17, s4, 1
.LBB113_9:
	s_clause 0x2
	s_load_b32 s4, s[0:1], 0x48
	s_load_b64 s[20:21], s[0:1], 0x38
	s_load_b32 s7, s[0:1], 0x98
	s_mul_i32 s8, s11, s12
	s_xor_b32 s3, s3, s19
	s_sub_co_i32 s2, s2, s8
	s_add_co_i32 s10, s11, 1
	v_lshrrev_b32_e32 v59, 5, v0
	v_and_b32_e32 v60, 31, v0
	v_mov_b32_e32 v66, 0xff7fffff
	s_mul_i32 s14, s15, s14
	s_delay_alu instid0(VALU_DEP_3) | instskip(NEXT) | instid1(VALU_DEP_3)
	v_lshl_add_u32 v61, v59, 5, s34
	v_lshlrev_b32_e32 v65, 2, v60
	s_wait_kmcnt 0x0
	s_mul_i32 s22, s4, s26
	s_wait_alu 0xfffe
	s_sub_co_i32 s4, s2, s12
	s_ashr_i32 s23, s22, 31
	s_cmp_ge_u32 s2, s12
	s_cselect_b32 s8, s10, s11
	s_cselect_b32 s2, s4, s2
	s_add_co_i32 s4, s8, 1
	s_wait_alu 0xfffe
	s_cmp_ge_u32 s2, s12
	s_cselect_b32 s2, s4, s8
	s_add_co_i32 s4, s31, 31
	s_lshl_b32 s37, s30, 4
	s_ashr_i32 s8, s4, 31
	v_add_nc_u32_e32 v62, s37, v59
	s_lshr_b32 s8, s8, 27
	s_delay_alu instid0(SALU_CYCLE_1)
	s_add_co_i32 s4, s4, s8
	s_add_co_i32 s8, s37, 16
	s_ashr_i32 s35, s4, 5
	s_wait_alu 0xfffe
	s_xor_b32 s4, s2, s3
	s_min_i32 s33, s8, s35
	v_lshlrev_b32_e32 v64, 2, v62
	v_cmp_gt_i32_e64 s2, s33, v62
	s_sub_co_i32 s36, s4, s3
	s_and_saveexec_b32 s8, s2
	s_cbranch_execz .LBB113_17
; %bb.10:
	s_ashr_i32 s15, s14, 31
	s_wait_alu 0xfffe
	s_sub_co_i32 s10, s36, s5
	s_lshl_b64 s[28:29], s[14:15], 1
	s_cmp_neq_f32 s24, 0
	s_load_b64 s[38:39], s[0:1], 0x20
	v_dual_mov_b32 v67, 0 :: v_dual_lshlrev_b32 v2, 4, v60
	s_cselect_b32 vcc_lo, -1, 0
	s_abs_i32 s11, s6
	s_lshl_b64 s[40:41], s[22:23], 2
	s_wait_alu 0xfffe
	s_cvt_f32_u32 s3, s11
	s_add_nc_u64 s[40:41], s[20:21], s[40:41]
	v_subrev_nc_u32_e32 v3, s31, v60
	v_lshl_or_b32 v4, v59, 7, v65
	s_wait_alu 0xfffe
	v_rcp_iflag_f32_e32 v1, s3
	v_add_co_u32 v57, s25, s40, v64
	s_sub_co_i32 s4, 0, s11
	v_add_co_ci_u32_e64 v58, null, s41, 0, s25
	v_lshl_add_u32 v68, v59, 5, s34
	v_dual_mov_b32 v69, 0xff7fffff :: v_dual_add_nc_u32 v70, 1, v3
	v_dual_mov_b32 v74, v62 :: v_dual_add_nc_u32 v71, 0x110, v4
	s_delay_alu instid0(TRANS32_DEP_1)
	v_readfirstlane_b32 s3, v1
	s_wait_kmcnt 0x0
	s_add_nc_u64 s[28:29], s[38:39], s[28:29]
	v_mov_b32_e32 v66, 0xff7fffff
	v_add_co_u32 v72, s25, s28, v2
	s_mul_f32 s3, s3, 0x4f7ffffe
	v_add_co_ci_u32_e64 v73, null, s29, 0, s25
	s_mov_b32 s15, s13
	s_wait_alu 0xfffe
	s_cvt_u32_f32 s3, s3
	s_mov_b32 s25, 0
	s_wait_alu 0xfffe
	s_delay_alu instid0(SALU_CYCLE_1) | instskip(NEXT) | instid1(SALU_CYCLE_1)
	s_mul_i32 s4, s4, s3
	s_mul_hi_u32 s4, s3, s4
	s_delay_alu instid0(SALU_CYCLE_1)
	s_add_co_i32 s28, s3, s4
	s_branch .LBB113_12
.LBB113_11:                             ;   in Loop: Header=BB113_12 Depth=1
	s_wait_alu 0xfffe
	s_or_b32 exec_lo, exec_lo, s4
	v_add_nc_u32_e32 v74, 4, v74
	v_add_co_u32 v57, s4, v57, 16
	s_wait_alu 0xf1ff
	v_add_co_ci_u32_e64 v58, null, 0, v58, s4
	s_delay_alu instid0(VALU_DEP_3)
	v_cmp_le_i32_e64 s3, s33, v74
	v_add_nc_u32_e32 v68, 0x80, v68
	v_add_nc_u32_e32 v71, 0x200, v71
	s_or_b32 s25, s3, s25
	s_wait_alu 0xfffe
	s_and_not1_b32 exec_lo, exec_lo, s25
	s_cbranch_execz .LBB113_16
.LBB113_12:                             ; =>This Inner Loop Header: Depth=1
	v_sub_nc_u32_e32 v1, 0, v68
	s_delay_alu instid0(VALU_DEP_1) | instskip(NEXT) | instid1(VALU_DEP_1)
	v_max_i32_e32 v1, v68, v1
	v_mul_hi_u32 v2, v1, s18
	s_delay_alu instid0(VALU_DEP_1) | instskip(NEXT) | instid1(VALU_DEP_1)
	v_mul_lo_u32 v3, v2, s12
	v_sub_nc_u32_e32 v1, v1, v3
	v_add_nc_u32_e32 v3, 1, v2
	s_delay_alu instid0(VALU_DEP_2) | instskip(SKIP_2) | instid1(VALU_DEP_1)
	v_subrev_nc_u32_e32 v4, s12, v1
	v_cmp_le_u32_e64 s3, s12, v1
	s_wait_alu 0xf1ff
	v_cndmask_b32_e64 v2, v2, v3, s3
	s_delay_alu instid0(VALU_DEP_3) | instskip(SKIP_1) | instid1(VALU_DEP_3)
	v_cndmask_b32_e64 v1, v1, v4, s3
	v_ashrrev_i32_e32 v3, 31, v68
	v_add_nc_u32_e32 v4, 1, v2
	s_delay_alu instid0(VALU_DEP_3) | instskip(NEXT) | instid1(VALU_DEP_3)
	v_cmp_le_u32_e64 s3, s12, v1
	v_xor_b32_e32 v3, s19, v3
	s_wait_alu 0xf1ff
	s_delay_alu instid0(VALU_DEP_2) | instskip(NEXT) | instid1(VALU_DEP_1)
	v_cndmask_b32_e64 v1, v2, v4, s3
	v_xor_b32_e32 v1, v1, v3
	s_delay_alu instid0(VALU_DEP_1) | instskip(NEXT) | instid1(VALU_DEP_1)
	v_sub_nc_u32_e32 v1, v1, v3
	v_add_nc_u32_e32 v2, s17, v1
	v_cmp_ge_i32_e64 s4, s10, v1
	s_delay_alu instid0(VALU_DEP_2) | instskip(NEXT) | instid1(VALU_DEP_1)
	v_sub_nc_u32_e32 v3, 0, v2
	v_max_i32_e32 v3, v2, v3
	v_ashrrev_i32_e32 v2, 31, v2
	s_wait_alu 0xfffe
	s_delay_alu instid0(VALU_DEP_2) | instskip(NEXT) | instid1(VALU_DEP_1)
	v_mul_hi_u32 v4, v3, s28
	v_mul_lo_u32 v4, v4, s11
	s_delay_alu instid0(VALU_DEP_1) | instskip(NEXT) | instid1(VALU_DEP_1)
	v_sub_nc_u32_e32 v3, v3, v4
	v_subrev_nc_u32_e32 v4, s11, v3
	v_cmp_le_u32_e64 s3, s11, v3
	s_wait_alu 0xf1ff
	s_delay_alu instid0(VALU_DEP_1) | instskip(NEXT) | instid1(VALU_DEP_1)
	v_cndmask_b32_e64 v3, v3, v4, s3
	v_subrev_nc_u32_e32 v4, s11, v3
	v_cmp_le_u32_e64 s3, s11, v3
	s_wait_alu 0xf1ff
	s_delay_alu instid0(VALU_DEP_1) | instskip(NEXT) | instid1(VALU_DEP_1)
	v_cndmask_b32_e64 v3, v3, v4, s3
	v_xor_b32_e32 v3, v3, v2
	s_delay_alu instid0(VALU_DEP_1) | instskip(NEXT) | instid1(VALU_DEP_1)
	v_sub_nc_u32_e32 v2, v3, v2
	v_cmp_ne_u32_e64 s3, 0, v2
	s_and_b32 s3, s3, s4
	s_wait_alu 0xfffe
	s_and_saveexec_b32 s4, s3
	s_wait_alu 0xfffe
	s_xor_b32 s3, exec_lo, s4
; %bb.13:                               ;   in Loop: Header=BB113_12 Depth=1
	ds_store_b32 v71, v69
; %bb.14:                               ;   in Loop: Header=BB113_12 Depth=1
	s_wait_alu 0xfffe
	s_and_not1_saveexec_b32 s4, s3
	s_cbranch_execz .LBB113_11
; %bb.15:                               ;   in Loop: Header=BB113_12 Depth=1
	global_load_b32 v1, v[57:58], off
	v_add_nc_u32_e32 v3, v70, v68
	s_delay_alu instid0(VALU_DEP_1) | instskip(NEXT) | instid1(VALU_DEP_1)
	v_cvt_f32_i32_e32 v3, v3
	v_dual_mul_f32 v3, s24, v3 :: v_dual_add_nc_u32 v80, v60, v68
	s_delay_alu instid0(VALU_DEP_1) | instskip(SKIP_2) | instid1(VALU_DEP_1)
	v_cndmask_b32_e32 v75, 0, v3, vcc_lo
	s_wait_loadcnt 0x0
	v_mad_co_i64_i32 v[1:2], null, v1, s15, 0
	v_lshlrev_b64_e32 v[1:2], 1, v[1:2]
	s_delay_alu instid0(VALU_DEP_1) | instskip(SKIP_1) | instid1(VALU_DEP_2)
	v_add_co_u32 v1, s3, v72, v1
	s_wait_alu 0xf1ff
	v_add_co_ci_u32_e64 v2, null, v73, v2, s3
	v_cmp_gt_i32_e64 s3, s31, v80
	s_clause 0xe
	global_load_b128 v[76:79], v[1:2], off
	global_load_b128 v[53:56], v[1:2], off offset:512
	global_load_b128 v[49:52], v[1:2], off offset:1024
	;; [unrolled: 1-line block ×14, first 2 shown]
	ds_load_b128 v[80:83], v67
	s_wait_dscnt 0x0
	v_lshrrev_b32_e32 v84, 16, v80
	v_and_b32_e32 v80, 0xffff, v80
	;;#ASMSTART
	v_cvt_f32_f16 v80, v80;
	;;#ASMEND
	;;#ASMSTART
	v_cvt_f32_f16 v84, v84;
	;;#ASMEND
	s_wait_loadcnt 0xe
	v_lshrrev_b32_e32 v86, 16, v76
	v_and_b32_e32 v76, 0xffff, v76
	;;#ASMSTART
	v_cvt_f32_f16 v85, v76;
	;;#ASMEND
	;;#ASMSTART
	v_cvt_f32_f16 v86, v86;
	;;#ASMEND
	v_lshrrev_b32_e32 v76, 16, v81
	v_and_b32_e32 v81, 0xffff, v81
	;;#ASMSTART
	v_cvt_f32_f16 v81, v81;
	;;#ASMEND
	;;#ASMSTART
	v_cvt_f32_f16 v87, v76;
	;;#ASMEND
	;; [unrolled: 8-line block ×7, first 2 shown]
	ds_load_b128 v[76:79], v67 offset:16
	s_wait_loadcnt 0xd
	v_lshrrev_b32_e32 v97, 16, v53
	v_and_b32_e32 v53, 0xffff, v53
	s_wait_dscnt 0x0
	v_lshrrev_b32_e32 v96, 16, v76
	v_and_b32_e32 v76, 0xffff, v76
	;;#ASMSTART
	v_cvt_f32_f16 v76, v76;
	;;#ASMEND
	;;#ASMSTART
	v_cvt_f32_f16 v96, v96;
	;;#ASMEND
	;; [unrolled: 3-line block ×4, first 2 shown]
	v_mul_f32_e32 v53, v76, v53
	v_mul_f32_e32 v76, v96, v97
	s_delay_alu instid0(VALU_DEP_1) | instskip(SKIP_1) | instid1(VALU_DEP_4)
	v_fmac_f32_e32 v76, v84, v86
	v_lshrrev_b32_e32 v84, 16, v54
	v_dual_fmac_f32 v53, v80, v85 :: v_dual_and_b32 v54, 0xffff, v54
	v_lshrrev_b32_e32 v80, 16, v77
	v_and_b32_e32 v77, 0xffff, v77
	;;#ASMSTART
	v_cvt_f32_f16 v77, v77;
	;;#ASMEND
	;;#ASMSTART
	v_cvt_f32_f16 v80, v80;
	;;#ASMEND
	;; [unrolled: 3-line block ×3, first 2 shown]
	s_delay_alu instid0(VALU_DEP_1) | instskip(SKIP_3) | instid1(VALU_DEP_3)
	v_mul_f32_e32 v77, v77, v54
	;;#ASMSTART
	v_cvt_f32_f16 v84, v84;
	;;#ASMEND
	v_mul_f32_e32 v54, v80, v84
	v_lshrrev_b32_e32 v80, 16, v78
	v_dual_fmac_f32 v77, v81, v88 :: v_dual_and_b32 v78, 0xffff, v78
	;;#ASMSTART
	v_cvt_f32_f16 v78, v78;
	;;#ASMEND
	s_delay_alu instid0(VALU_DEP_3) | instskip(SKIP_4) | instid1(VALU_DEP_1)
	v_fmac_f32_e32 v54, v87, v89
	v_lshrrev_b32_e32 v81, 16, v55
	v_and_b32_e32 v55, 0xffff, v55
	;;#ASMSTART
	v_cvt_f32_f16 v80, v80;
	;;#ASMEND
	;;#ASMSTART
	v_cvt_f32_f16 v55, v55;
	;;#ASMEND
	v_mul_f32_e32 v78, v78, v55
	;;#ASMSTART
	v_cvt_f32_f16 v81, v81;
	;;#ASMEND
	v_mul_f32_e32 v55, v80, v81
	v_lshrrev_b32_e32 v80, 16, v79
	v_and_b32_e32 v79, 0xffff, v79
	;;#ASMSTART
	v_cvt_f32_f16 v79, v79;
	;;#ASMEND
	v_lshrrev_b32_e32 v81, 16, v56
	v_and_b32_e32 v56, 0xffff, v56
	v_fmac_f32_e32 v78, v82, v91
	;;#ASMSTART
	v_cvt_f32_f16 v80, v80;
	;;#ASMEND
	;;#ASMSTART
	v_cvt_f32_f16 v56, v56;
	;;#ASMEND
	s_delay_alu instid0(VALU_DEP_2)
	v_mul_f32_e32 v79, v79, v56
	;;#ASMSTART
	v_cvt_f32_f16 v81, v81;
	;;#ASMEND
	v_mul_f32_e32 v56, v80, v81
	s_wait_loadcnt 0xc
	v_lshrrev_b32_e32 v85, 16, v49
	v_and_b32_e32 v49, 0xffff, v49
	v_fmac_f32_e32 v79, v83, v94
	ds_load_b128 v[80:83], v67 offset:32
	v_dual_fmac_f32 v55, v90, v92 :: v_dual_fmac_f32 v56, v93, v95
	s_wait_dscnt 0x0
	v_lshrrev_b32_e32 v84, 16, v80
	v_and_b32_e32 v80, 0xffff, v80
	;;#ASMSTART
	v_cvt_f32_f16 v80, v80;
	;;#ASMEND
	;;#ASMSTART
	v_cvt_f32_f16 v84, v84;
	;;#ASMEND
	;; [unrolled: 3-line block ×3, first 2 shown]
	s_delay_alu instid0(VALU_DEP_1)
	v_fmac_f32_e32 v53, v80, v49
	v_lshrrev_b32_e32 v80, 16, v81
	v_and_b32_e32 v49, 0xffff, v81
	v_lshrrev_b32_e32 v81, 16, v50
	v_and_b32_e32 v50, 0xffff, v50
	;;#ASMSTART
	v_cvt_f32_f16 v85, v85;
	;;#ASMEND
	;;#ASMSTART
	v_cvt_f32_f16 v49, v49;
	;;#ASMEND
	;; [unrolled: 3-line block ×4, first 2 shown]
	v_fmac_f32_e32 v76, v84, v85
	;;#ASMSTART
	v_cvt_f32_f16 v81, v81;
	;;#ASMEND
	v_dual_fmac_f32 v77, v49, v50 :: v_dual_fmac_f32 v54, v80, v81
	v_lshrrev_b32_e32 v50, 16, v82
	v_and_b32_e32 v49, 0xffff, v82
	v_lshrrev_b32_e32 v80, 16, v51
	v_and_b32_e32 v51, 0xffff, v51
	;;#ASMSTART
	v_cvt_f32_f16 v49, v49;
	;;#ASMEND
	;;#ASMSTART
	v_cvt_f32_f16 v50, v50;
	;;#ASMEND
	;; [unrolled: 3-line block ×4, first 2 shown]
	v_dual_fmac_f32 v78, v49, v51 :: v_dual_fmac_f32 v55, v50, v80
	v_lshrrev_b32_e32 v50, 16, v83
	v_and_b32_e32 v49, 0xffff, v83
	v_and_b32_e32 v51, 0xffff, v52
	;;#ASMSTART
	v_cvt_f32_f16 v49, v49;
	;;#ASMEND
	;;#ASMSTART
	v_cvt_f32_f16 v50, v50;
	;;#ASMEND
	v_lshrrev_b32_e32 v80, 16, v52
	;;#ASMSTART
	v_cvt_f32_f16 v51, v51;
	;;#ASMEND
	;;#ASMSTART
	v_cvt_f32_f16 v52, v80;
	;;#ASMEND
	v_dual_fmac_f32 v79, v49, v51 :: v_dual_fmac_f32 v56, v50, v52
	ds_load_b128 v[49:52], v67 offset:48
	s_wait_loadcnt 0xb
	v_lshrrev_b32_e32 v81, 16, v45
	v_and_b32_e32 v45, 0xffff, v45
	s_wait_dscnt 0x0
	v_lshrrev_b32_e32 v80, 16, v49
	v_and_b32_e32 v49, 0xffff, v49
	;;#ASMSTART
	v_cvt_f32_f16 v49, v49;
	;;#ASMEND
	;;#ASMSTART
	v_cvt_f32_f16 v80, v80;
	;;#ASMEND
	;; [unrolled: 3-line block ×3, first 2 shown]
	s_delay_alu instid0(VALU_DEP_1)
	v_fmac_f32_e32 v53, v49, v45
	v_lshrrev_b32_e32 v49, 16, v50
	v_and_b32_e32 v45, 0xffff, v50
	v_lshrrev_b32_e32 v50, 16, v46
	v_and_b32_e32 v46, 0xffff, v46
	;;#ASMSTART
	v_cvt_f32_f16 v81, v81;
	;;#ASMEND
	;;#ASMSTART
	v_cvt_f32_f16 v45, v45;
	;;#ASMEND
	;; [unrolled: 3-line block ×4, first 2 shown]
	v_fmac_f32_e32 v76, v80, v81
	;;#ASMSTART
	v_cvt_f32_f16 v50, v50;
	;;#ASMEND
	v_fmac_f32_e32 v77, v45, v46
	v_fmac_f32_e32 v54, v49, v50
	v_lshrrev_b32_e32 v46, 16, v51
	v_and_b32_e32 v45, 0xffff, v51
	v_lshrrev_b32_e32 v49, 16, v47
	v_and_b32_e32 v47, 0xffff, v47
	;;#ASMSTART
	v_cvt_f32_f16 v45, v45;
	;;#ASMEND
	;;#ASMSTART
	v_cvt_f32_f16 v46, v46;
	;;#ASMEND
	;;#ASMSTART
	v_cvt_f32_f16 v47, v47;
	;;#ASMEND
	;;#ASMSTART
	v_cvt_f32_f16 v49, v49;
	;;#ASMEND
	v_dual_fmac_f32 v78, v45, v47 :: v_dual_fmac_f32 v55, v46, v49
	v_lshrrev_b32_e32 v46, 16, v52
	v_and_b32_e32 v45, 0xffff, v52
	v_and_b32_e32 v47, 0xffff, v48
	;;#ASMSTART
	v_cvt_f32_f16 v45, v45;
	;;#ASMEND
	;;#ASMSTART
	v_cvt_f32_f16 v46, v46;
	;;#ASMEND
	v_lshrrev_b32_e32 v49, 16, v48
	;;#ASMSTART
	v_cvt_f32_f16 v47, v47;
	;;#ASMEND
	;;#ASMSTART
	v_cvt_f32_f16 v48, v49;
	;;#ASMEND
	v_dual_fmac_f32 v79, v45, v47 :: v_dual_fmac_f32 v56, v46, v48
	ds_load_b128 v[45:48], v67 offset:64
	s_wait_loadcnt 0xa
	v_lshrrev_b32_e32 v50, 16, v41
	v_and_b32_e32 v41, 0xffff, v41
	s_wait_dscnt 0x0
	v_lshrrev_b32_e32 v49, 16, v45
	v_and_b32_e32 v45, 0xffff, v45
	;;#ASMSTART
	v_cvt_f32_f16 v45, v45;
	;;#ASMEND
	;;#ASMSTART
	v_cvt_f32_f16 v49, v49;
	;;#ASMEND
	;; [unrolled: 3-line block ×3, first 2 shown]
	s_delay_alu instid0(VALU_DEP_1)
	v_fmac_f32_e32 v53, v45, v41
	v_lshrrev_b32_e32 v45, 16, v46
	v_and_b32_e32 v41, 0xffff, v46
	v_lshrrev_b32_e32 v46, 16, v42
	v_and_b32_e32 v42, 0xffff, v42
	;;#ASMSTART
	v_cvt_f32_f16 v50, v50;
	;;#ASMEND
	;;#ASMSTART
	v_cvt_f32_f16 v41, v41;
	;;#ASMEND
	;; [unrolled: 3-line block ×5, first 2 shown]
	v_fmac_f32_e32 v77, v41, v42
	v_fmac_f32_e32 v54, v45, v46
	v_lshrrev_b32_e32 v42, 16, v47
	v_and_b32_e32 v41, 0xffff, v47
	v_lshrrev_b32_e32 v45, 16, v43
	v_and_b32_e32 v43, 0xffff, v43
	;;#ASMSTART
	v_cvt_f32_f16 v41, v41;
	;;#ASMEND
	;;#ASMSTART
	v_cvt_f32_f16 v42, v42;
	;;#ASMEND
	;; [unrolled: 3-line block ×4, first 2 shown]
	v_dual_fmac_f32 v78, v41, v43 :: v_dual_fmac_f32 v55, v42, v45
	v_lshrrev_b32_e32 v42, 16, v48
	v_and_b32_e32 v41, 0xffff, v48
	v_and_b32_e32 v43, 0xffff, v44
	;;#ASMSTART
	v_cvt_f32_f16 v41, v41;
	;;#ASMEND
	;;#ASMSTART
	v_cvt_f32_f16 v42, v42;
	;;#ASMEND
	v_lshrrev_b32_e32 v45, 16, v44
	;;#ASMSTART
	v_cvt_f32_f16 v43, v43;
	;;#ASMEND
	;;#ASMSTART
	v_cvt_f32_f16 v44, v45;
	;;#ASMEND
	v_dual_fmac_f32 v79, v41, v43 :: v_dual_fmac_f32 v56, v42, v44
	ds_load_b128 v[41:44], v67 offset:80
	s_wait_loadcnt 0x9
	v_lshrrev_b32_e32 v46, 16, v37
	v_dual_fmac_f32 v76, v49, v50 :: v_dual_and_b32 v37, 0xffff, v37
	s_wait_dscnt 0x0
	v_lshrrev_b32_e32 v45, 16, v41
	v_and_b32_e32 v41, 0xffff, v41
	;;#ASMSTART
	v_cvt_f32_f16 v41, v41;
	;;#ASMEND
	;;#ASMSTART
	v_cvt_f32_f16 v45, v45;
	;;#ASMEND
	;; [unrolled: 3-line block ×3, first 2 shown]
	s_delay_alu instid0(VALU_DEP_1)
	v_fmac_f32_e32 v53, v41, v37
	v_lshrrev_b32_e32 v41, 16, v42
	v_and_b32_e32 v37, 0xffff, v42
	v_lshrrev_b32_e32 v42, 16, v38
	v_and_b32_e32 v38, 0xffff, v38
	;;#ASMSTART
	v_cvt_f32_f16 v46, v46;
	;;#ASMEND
	;;#ASMSTART
	v_cvt_f32_f16 v37, v37;
	;;#ASMEND
	;; [unrolled: 3-line block ×5, first 2 shown]
	v_fmac_f32_e32 v77, v37, v38
	v_fmac_f32_e32 v54, v41, v42
	v_lshrrev_b32_e32 v38, 16, v43
	v_and_b32_e32 v37, 0xffff, v43
	v_lshrrev_b32_e32 v41, 16, v39
	v_and_b32_e32 v39, 0xffff, v39
	;;#ASMSTART
	v_cvt_f32_f16 v37, v37;
	;;#ASMEND
	;;#ASMSTART
	v_cvt_f32_f16 v38, v38;
	;;#ASMEND
	;; [unrolled: 3-line block ×4, first 2 shown]
	v_dual_fmac_f32 v78, v37, v39 :: v_dual_fmac_f32 v55, v38, v41
	v_lshrrev_b32_e32 v38, 16, v44
	v_and_b32_e32 v37, 0xffff, v44
	v_and_b32_e32 v39, 0xffff, v40
	;;#ASMSTART
	v_cvt_f32_f16 v37, v37;
	;;#ASMEND
	;;#ASMSTART
	v_cvt_f32_f16 v38, v38;
	;;#ASMEND
	v_lshrrev_b32_e32 v41, 16, v40
	;;#ASMSTART
	v_cvt_f32_f16 v39, v39;
	;;#ASMEND
	;;#ASMSTART
	v_cvt_f32_f16 v40, v41;
	;;#ASMEND
	v_dual_fmac_f32 v79, v37, v39 :: v_dual_fmac_f32 v56, v38, v40
	ds_load_b128 v[37:40], v67 offset:96
	s_wait_loadcnt 0x8
	v_lshrrev_b32_e32 v42, 16, v33
	v_dual_fmac_f32 v76, v45, v46 :: v_dual_and_b32 v33, 0xffff, v33
	s_wait_dscnt 0x0
	v_lshrrev_b32_e32 v41, 16, v37
	v_and_b32_e32 v37, 0xffff, v37
	;;#ASMSTART
	v_cvt_f32_f16 v37, v37;
	;;#ASMEND
	;;#ASMSTART
	v_cvt_f32_f16 v41, v41;
	;;#ASMEND
	;; [unrolled: 3-line block ×3, first 2 shown]
	s_delay_alu instid0(VALU_DEP_1)
	v_fmac_f32_e32 v53, v37, v33
	v_lshrrev_b32_e32 v37, 16, v38
	v_and_b32_e32 v33, 0xffff, v38
	v_lshrrev_b32_e32 v38, 16, v34
	v_and_b32_e32 v34, 0xffff, v34
	;;#ASMSTART
	v_cvt_f32_f16 v42, v42;
	;;#ASMEND
	;;#ASMSTART
	v_cvt_f32_f16 v33, v33;
	;;#ASMEND
	;; [unrolled: 3-line block ×5, first 2 shown]
	v_fmac_f32_e32 v77, v33, v34
	v_fmac_f32_e32 v54, v37, v38
	v_lshrrev_b32_e32 v34, 16, v39
	v_and_b32_e32 v33, 0xffff, v39
	v_lshrrev_b32_e32 v37, 16, v35
	v_and_b32_e32 v35, 0xffff, v35
	;;#ASMSTART
	v_cvt_f32_f16 v33, v33;
	;;#ASMEND
	;;#ASMSTART
	v_cvt_f32_f16 v34, v34;
	;;#ASMEND
	;; [unrolled: 3-line block ×4, first 2 shown]
	v_dual_fmac_f32 v78, v33, v35 :: v_dual_fmac_f32 v55, v34, v37
	v_lshrrev_b32_e32 v34, 16, v40
	v_and_b32_e32 v33, 0xffff, v40
	v_and_b32_e32 v35, 0xffff, v36
	;;#ASMSTART
	v_cvt_f32_f16 v33, v33;
	;;#ASMEND
	;;#ASMSTART
	v_cvt_f32_f16 v34, v34;
	;;#ASMEND
	v_lshrrev_b32_e32 v37, 16, v36
	;;#ASMSTART
	v_cvt_f32_f16 v35, v35;
	;;#ASMEND
	;;#ASMSTART
	v_cvt_f32_f16 v36, v37;
	;;#ASMEND
	v_dual_fmac_f32 v79, v33, v35 :: v_dual_fmac_f32 v56, v34, v36
	ds_load_b128 v[33:36], v67 offset:112
	s_wait_loadcnt 0x7
	v_lshrrev_b32_e32 v38, 16, v29
	v_dual_fmac_f32 v76, v41, v42 :: v_dual_and_b32 v29, 0xffff, v29
	s_wait_dscnt 0x0
	v_lshrrev_b32_e32 v37, 16, v33
	v_and_b32_e32 v33, 0xffff, v33
	;;#ASMSTART
	v_cvt_f32_f16 v33, v33;
	;;#ASMEND
	;;#ASMSTART
	v_cvt_f32_f16 v37, v37;
	;;#ASMEND
	;; [unrolled: 3-line block ×3, first 2 shown]
	s_delay_alu instid0(VALU_DEP_1)
	v_fmac_f32_e32 v53, v33, v29
	v_lshrrev_b32_e32 v33, 16, v34
	v_and_b32_e32 v29, 0xffff, v34
	v_lshrrev_b32_e32 v34, 16, v30
	v_and_b32_e32 v30, 0xffff, v30
	;;#ASMSTART
	v_cvt_f32_f16 v38, v38;
	;;#ASMEND
	;;#ASMSTART
	v_cvt_f32_f16 v29, v29;
	;;#ASMEND
	;; [unrolled: 3-line block ×5, first 2 shown]
	v_fmac_f32_e32 v77, v29, v30
	v_fmac_f32_e32 v54, v33, v34
	v_lshrrev_b32_e32 v30, 16, v35
	v_and_b32_e32 v29, 0xffff, v35
	v_lshrrev_b32_e32 v33, 16, v31
	v_and_b32_e32 v31, 0xffff, v31
	;;#ASMSTART
	v_cvt_f32_f16 v29, v29;
	;;#ASMEND
	;;#ASMSTART
	v_cvt_f32_f16 v30, v30;
	;;#ASMEND
	;; [unrolled: 3-line block ×4, first 2 shown]
	v_dual_fmac_f32 v78, v29, v31 :: v_dual_fmac_f32 v55, v30, v33
	v_lshrrev_b32_e32 v30, 16, v36
	v_and_b32_e32 v29, 0xffff, v36
	v_and_b32_e32 v31, 0xffff, v32
	;;#ASMSTART
	v_cvt_f32_f16 v29, v29;
	;;#ASMEND
	;;#ASMSTART
	v_cvt_f32_f16 v30, v30;
	;;#ASMEND
	v_lshrrev_b32_e32 v33, 16, v32
	;;#ASMSTART
	v_cvt_f32_f16 v31, v31;
	;;#ASMEND
	;;#ASMSTART
	v_cvt_f32_f16 v32, v33;
	;;#ASMEND
	v_dual_fmac_f32 v79, v29, v31 :: v_dual_fmac_f32 v56, v30, v32
	ds_load_b128 v[29:32], v67 offset:128
	s_wait_loadcnt 0x6
	v_lshrrev_b32_e32 v34, 16, v25
	v_dual_fmac_f32 v76, v37, v38 :: v_dual_and_b32 v25, 0xffff, v25
	s_wait_dscnt 0x0
	v_lshrrev_b32_e32 v33, 16, v29
	v_and_b32_e32 v29, 0xffff, v29
	;;#ASMSTART
	v_cvt_f32_f16 v29, v29;
	;;#ASMEND
	;;#ASMSTART
	v_cvt_f32_f16 v33, v33;
	;;#ASMEND
	;; [unrolled: 3-line block ×3, first 2 shown]
	s_delay_alu instid0(VALU_DEP_1)
	v_fmac_f32_e32 v53, v29, v25
	v_lshrrev_b32_e32 v29, 16, v30
	v_and_b32_e32 v25, 0xffff, v30
	v_lshrrev_b32_e32 v30, 16, v26
	v_and_b32_e32 v26, 0xffff, v26
	;;#ASMSTART
	v_cvt_f32_f16 v34, v34;
	;;#ASMEND
	;;#ASMSTART
	v_cvt_f32_f16 v25, v25;
	;;#ASMEND
	;; [unrolled: 3-line block ×5, first 2 shown]
	v_fmac_f32_e32 v77, v25, v26
	v_fmac_f32_e32 v54, v29, v30
	v_lshrrev_b32_e32 v26, 16, v31
	v_and_b32_e32 v25, 0xffff, v31
	v_lshrrev_b32_e32 v29, 16, v27
	v_and_b32_e32 v27, 0xffff, v27
	;;#ASMSTART
	v_cvt_f32_f16 v25, v25;
	;;#ASMEND
	;;#ASMSTART
	v_cvt_f32_f16 v26, v26;
	;;#ASMEND
	;; [unrolled: 3-line block ×4, first 2 shown]
	v_dual_fmac_f32 v78, v25, v27 :: v_dual_fmac_f32 v55, v26, v29
	v_lshrrev_b32_e32 v26, 16, v32
	v_and_b32_e32 v25, 0xffff, v32
	v_and_b32_e32 v27, 0xffff, v28
	;;#ASMSTART
	v_cvt_f32_f16 v25, v25;
	;;#ASMEND
	;;#ASMSTART
	v_cvt_f32_f16 v26, v26;
	;;#ASMEND
	v_lshrrev_b32_e32 v29, 16, v28
	;;#ASMSTART
	v_cvt_f32_f16 v27, v27;
	;;#ASMEND
	;;#ASMSTART
	v_cvt_f32_f16 v28, v29;
	;;#ASMEND
	v_dual_fmac_f32 v79, v25, v27 :: v_dual_fmac_f32 v56, v26, v28
	ds_load_b128 v[25:28], v67 offset:144
	s_wait_loadcnt 0x5
	v_lshrrev_b32_e32 v30, 16, v21
	v_dual_fmac_f32 v76, v33, v34 :: v_dual_and_b32 v21, 0xffff, v21
	s_wait_dscnt 0x0
	v_lshrrev_b32_e32 v29, 16, v25
	v_and_b32_e32 v25, 0xffff, v25
	;;#ASMSTART
	v_cvt_f32_f16 v25, v25;
	;;#ASMEND
	;;#ASMSTART
	v_cvt_f32_f16 v29, v29;
	;;#ASMEND
	;; [unrolled: 3-line block ×3, first 2 shown]
	s_delay_alu instid0(VALU_DEP_1)
	v_fmac_f32_e32 v53, v25, v21
	v_lshrrev_b32_e32 v25, 16, v26
	v_and_b32_e32 v21, 0xffff, v26
	v_lshrrev_b32_e32 v26, 16, v22
	v_and_b32_e32 v22, 0xffff, v22
	;;#ASMSTART
	v_cvt_f32_f16 v30, v30;
	;;#ASMEND
	;;#ASMSTART
	v_cvt_f32_f16 v21, v21;
	;;#ASMEND
	;; [unrolled: 3-line block ×5, first 2 shown]
	v_fmac_f32_e32 v77, v21, v22
	v_fmac_f32_e32 v54, v25, v26
	v_lshrrev_b32_e32 v22, 16, v27
	v_and_b32_e32 v21, 0xffff, v27
	v_lshrrev_b32_e32 v25, 16, v23
	v_and_b32_e32 v23, 0xffff, v23
	;;#ASMSTART
	v_cvt_f32_f16 v21, v21;
	;;#ASMEND
	;;#ASMSTART
	v_cvt_f32_f16 v22, v22;
	;;#ASMEND
	;; [unrolled: 3-line block ×4, first 2 shown]
	v_dual_fmac_f32 v78, v21, v23 :: v_dual_fmac_f32 v55, v22, v25
	v_lshrrev_b32_e32 v22, 16, v28
	v_and_b32_e32 v21, 0xffff, v28
	v_and_b32_e32 v23, 0xffff, v24
	;;#ASMSTART
	v_cvt_f32_f16 v21, v21;
	;;#ASMEND
	;;#ASMSTART
	v_cvt_f32_f16 v22, v22;
	;;#ASMEND
	v_lshrrev_b32_e32 v25, 16, v24
	;;#ASMSTART
	v_cvt_f32_f16 v23, v23;
	;;#ASMEND
	;;#ASMSTART
	v_cvt_f32_f16 v24, v25;
	;;#ASMEND
	v_dual_fmac_f32 v79, v21, v23 :: v_dual_fmac_f32 v56, v22, v24
	ds_load_b128 v[21:24], v67 offset:160
	s_wait_loadcnt 0x4
	v_lshrrev_b32_e32 v26, 16, v17
	v_dual_fmac_f32 v76, v29, v30 :: v_dual_and_b32 v17, 0xffff, v17
	s_wait_dscnt 0x0
	v_lshrrev_b32_e32 v25, 16, v21
	v_and_b32_e32 v21, 0xffff, v21
	;;#ASMSTART
	v_cvt_f32_f16 v21, v21;
	;;#ASMEND
	;;#ASMSTART
	v_cvt_f32_f16 v25, v25;
	;;#ASMEND
	;; [unrolled: 3-line block ×3, first 2 shown]
	s_delay_alu instid0(VALU_DEP_1)
	v_fmac_f32_e32 v53, v21, v17
	v_lshrrev_b32_e32 v21, 16, v22
	v_and_b32_e32 v17, 0xffff, v22
	v_lshrrev_b32_e32 v22, 16, v18
	v_and_b32_e32 v18, 0xffff, v18
	;;#ASMSTART
	v_cvt_f32_f16 v26, v26;
	;;#ASMEND
	;;#ASMSTART
	v_cvt_f32_f16 v17, v17;
	;;#ASMEND
	;; [unrolled: 3-line block ×5, first 2 shown]
	v_fmac_f32_e32 v77, v17, v18
	v_fmac_f32_e32 v54, v21, v22
	v_lshrrev_b32_e32 v18, 16, v23
	v_and_b32_e32 v17, 0xffff, v23
	v_lshrrev_b32_e32 v21, 16, v19
	v_and_b32_e32 v19, 0xffff, v19
	;;#ASMSTART
	v_cvt_f32_f16 v17, v17;
	;;#ASMEND
	;;#ASMSTART
	v_cvt_f32_f16 v18, v18;
	;;#ASMEND
	;; [unrolled: 3-line block ×4, first 2 shown]
	v_dual_fmac_f32 v78, v17, v19 :: v_dual_fmac_f32 v55, v18, v21
	v_lshrrev_b32_e32 v18, 16, v24
	v_and_b32_e32 v17, 0xffff, v24
	v_and_b32_e32 v19, 0xffff, v20
	;;#ASMSTART
	v_cvt_f32_f16 v17, v17;
	;;#ASMEND
	;;#ASMSTART
	v_cvt_f32_f16 v18, v18;
	;;#ASMEND
	v_lshrrev_b32_e32 v21, 16, v20
	;;#ASMSTART
	v_cvt_f32_f16 v19, v19;
	;;#ASMEND
	;;#ASMSTART
	v_cvt_f32_f16 v20, v21;
	;;#ASMEND
	v_dual_fmac_f32 v79, v17, v19 :: v_dual_fmac_f32 v56, v18, v20
	ds_load_b128 v[17:20], v67 offset:176
	s_wait_loadcnt 0x3
	v_lshrrev_b32_e32 v22, 16, v13
	v_dual_fmac_f32 v76, v25, v26 :: v_dual_and_b32 v13, 0xffff, v13
	s_wait_dscnt 0x0
	v_lshrrev_b32_e32 v21, 16, v17
	v_and_b32_e32 v17, 0xffff, v17
	;;#ASMSTART
	v_cvt_f32_f16 v17, v17;
	;;#ASMEND
	;;#ASMSTART
	v_cvt_f32_f16 v21, v21;
	;;#ASMEND
	;; [unrolled: 3-line block ×3, first 2 shown]
	s_delay_alu instid0(VALU_DEP_1)
	v_fmac_f32_e32 v53, v17, v13
	v_lshrrev_b32_e32 v17, 16, v18
	v_and_b32_e32 v13, 0xffff, v18
	v_lshrrev_b32_e32 v18, 16, v14
	v_and_b32_e32 v14, 0xffff, v14
	;;#ASMSTART
	v_cvt_f32_f16 v22, v22;
	;;#ASMEND
	;;#ASMSTART
	v_cvt_f32_f16 v13, v13;
	;;#ASMEND
	;; [unrolled: 3-line block ×5, first 2 shown]
	v_fmac_f32_e32 v77, v13, v14
	v_fmac_f32_e32 v54, v17, v18
	v_lshrrev_b32_e32 v14, 16, v19
	v_and_b32_e32 v13, 0xffff, v19
	v_lshrrev_b32_e32 v17, 16, v15
	v_and_b32_e32 v15, 0xffff, v15
	;;#ASMSTART
	v_cvt_f32_f16 v13, v13;
	;;#ASMEND
	;;#ASMSTART
	v_cvt_f32_f16 v14, v14;
	;;#ASMEND
	;; [unrolled: 3-line block ×4, first 2 shown]
	v_dual_fmac_f32 v78, v13, v15 :: v_dual_fmac_f32 v55, v14, v17
	v_lshrrev_b32_e32 v14, 16, v20
	v_and_b32_e32 v13, 0xffff, v20
	v_and_b32_e32 v15, 0xffff, v16
	;;#ASMSTART
	v_cvt_f32_f16 v13, v13;
	;;#ASMEND
	;;#ASMSTART
	v_cvt_f32_f16 v14, v14;
	;;#ASMEND
	v_lshrrev_b32_e32 v17, 16, v16
	;;#ASMSTART
	v_cvt_f32_f16 v15, v15;
	;;#ASMEND
	;;#ASMSTART
	v_cvt_f32_f16 v16, v17;
	;;#ASMEND
	v_dual_fmac_f32 v79, v13, v15 :: v_dual_fmac_f32 v56, v14, v16
	ds_load_b128 v[13:16], v67 offset:192
	s_wait_loadcnt 0x2
	v_lshrrev_b32_e32 v18, 16, v9
	v_dual_fmac_f32 v76, v21, v22 :: v_dual_and_b32 v9, 0xffff, v9
	s_wait_dscnt 0x0
	v_lshrrev_b32_e32 v17, 16, v13
	v_and_b32_e32 v13, 0xffff, v13
	;;#ASMSTART
	v_cvt_f32_f16 v13, v13;
	;;#ASMEND
	;;#ASMSTART
	v_cvt_f32_f16 v17, v17;
	;;#ASMEND
	;;#ASMSTART
	v_cvt_f32_f16 v9, v9;
	;;#ASMEND
	s_delay_alu instid0(VALU_DEP_1)
	v_fmac_f32_e32 v53, v13, v9
	v_lshrrev_b32_e32 v13, 16, v14
	v_and_b32_e32 v9, 0xffff, v14
	v_lshrrev_b32_e32 v14, 16, v10
	v_and_b32_e32 v10, 0xffff, v10
	;;#ASMSTART
	v_cvt_f32_f16 v18, v18;
	;;#ASMEND
	;;#ASMSTART
	v_cvt_f32_f16 v9, v9;
	;;#ASMEND
	;; [unrolled: 3-line block ×5, first 2 shown]
	v_fmac_f32_e32 v77, v9, v10
	v_fmac_f32_e32 v54, v13, v14
	v_lshrrev_b32_e32 v10, 16, v15
	v_and_b32_e32 v9, 0xffff, v15
	v_lshrrev_b32_e32 v13, 16, v11
	v_and_b32_e32 v11, 0xffff, v11
	;;#ASMSTART
	v_cvt_f32_f16 v9, v9;
	;;#ASMEND
	;;#ASMSTART
	v_cvt_f32_f16 v10, v10;
	;;#ASMEND
	;; [unrolled: 3-line block ×4, first 2 shown]
	v_dual_fmac_f32 v78, v9, v11 :: v_dual_fmac_f32 v55, v10, v13
	v_lshrrev_b32_e32 v10, 16, v16
	v_and_b32_e32 v9, 0xffff, v16
	v_and_b32_e32 v11, 0xffff, v12
	;;#ASMSTART
	v_cvt_f32_f16 v9, v9;
	;;#ASMEND
	;;#ASMSTART
	v_cvt_f32_f16 v10, v10;
	;;#ASMEND
	v_lshrrev_b32_e32 v13, 16, v12
	;;#ASMSTART
	v_cvt_f32_f16 v11, v11;
	;;#ASMEND
	;;#ASMSTART
	v_cvt_f32_f16 v12, v13;
	;;#ASMEND
	v_dual_fmac_f32 v79, v9, v11 :: v_dual_fmac_f32 v56, v10, v12
	ds_load_b128 v[9:12], v67 offset:208
	s_wait_loadcnt 0x1
	v_lshrrev_b32_e32 v14, 16, v5
	v_dual_fmac_f32 v76, v17, v18 :: v_dual_and_b32 v5, 0xffff, v5
	s_wait_dscnt 0x0
	v_lshrrev_b32_e32 v13, 16, v9
	v_and_b32_e32 v9, 0xffff, v9
	;;#ASMSTART
	v_cvt_f32_f16 v9, v9;
	;;#ASMEND
	;;#ASMSTART
	v_cvt_f32_f16 v13, v13;
	;;#ASMEND
	;; [unrolled: 3-line block ×3, first 2 shown]
	s_delay_alu instid0(VALU_DEP_1)
	v_fmac_f32_e32 v53, v9, v5
	v_lshrrev_b32_e32 v9, 16, v10
	v_and_b32_e32 v5, 0xffff, v10
	v_lshrrev_b32_e32 v10, 16, v6
	v_and_b32_e32 v6, 0xffff, v6
	;;#ASMSTART
	v_cvt_f32_f16 v14, v14;
	;;#ASMEND
	;;#ASMSTART
	v_cvt_f32_f16 v5, v5;
	;;#ASMEND
	;; [unrolled: 3-line block ×5, first 2 shown]
	v_fmac_f32_e32 v77, v5, v6
	v_fmac_f32_e32 v54, v9, v10
	v_lshrrev_b32_e32 v6, 16, v11
	v_and_b32_e32 v5, 0xffff, v11
	v_lshrrev_b32_e32 v9, 16, v7
	v_and_b32_e32 v7, 0xffff, v7
	;;#ASMSTART
	v_cvt_f32_f16 v5, v5;
	;;#ASMEND
	;;#ASMSTART
	v_cvt_f32_f16 v6, v6;
	;;#ASMEND
	;; [unrolled: 3-line block ×4, first 2 shown]
	v_dual_fmac_f32 v78, v5, v7 :: v_dual_fmac_f32 v55, v6, v9
	v_lshrrev_b32_e32 v6, 16, v12
	v_and_b32_e32 v5, 0xffff, v12
	v_and_b32_e32 v7, 0xffff, v8
	;;#ASMSTART
	v_cvt_f32_f16 v5, v5;
	;;#ASMEND
	;;#ASMSTART
	v_cvt_f32_f16 v6, v6;
	;;#ASMEND
	v_lshrrev_b32_e32 v9, 16, v8
	;;#ASMSTART
	v_cvt_f32_f16 v7, v7;
	;;#ASMEND
	;;#ASMSTART
	v_cvt_f32_f16 v8, v9;
	;;#ASMEND
	v_dual_fmac_f32 v79, v5, v7 :: v_dual_fmac_f32 v56, v6, v8
	ds_load_b128 v[5:8], v67 offset:224
	v_fmac_f32_e32 v76, v13, v14
	s_wait_loadcnt 0x0
	v_lshrrev_b32_e32 v10, 16, v1
	v_and_b32_e32 v1, 0xffff, v1
	s_wait_dscnt 0x0
	v_lshrrev_b32_e32 v9, 16, v5
	v_and_b32_e32 v5, 0xffff, v5
	;;#ASMSTART
	v_cvt_f32_f16 v5, v5;
	;;#ASMEND
	;;#ASMSTART
	v_cvt_f32_f16 v9, v9;
	;;#ASMEND
	;; [unrolled: 3-line block ×3, first 2 shown]
	s_delay_alu instid0(VALU_DEP_1)
	v_fmac_f32_e32 v53, v5, v1
	v_and_b32_e32 v1, 0xffff, v6
	;;#ASMSTART
	v_cvt_f32_f16 v10, v10;
	;;#ASMEND
	v_fmac_f32_e32 v76, v9, v10
	v_lshrrev_b32_e32 v5, 16, v6
	;;#ASMSTART
	v_cvt_f32_f16 v1, v1;
	;;#ASMEND
	v_lshrrev_b32_e32 v6, 16, v2
	v_and_b32_e32 v2, 0xffff, v2
	;;#ASMSTART
	v_cvt_f32_f16 v5, v5;
	;;#ASMEND
	;;#ASMSTART
	v_cvt_f32_f16 v2, v2;
	;;#ASMEND
	s_delay_alu instid0(VALU_DEP_1)
	v_fmac_f32_e32 v77, v1, v2
	v_and_b32_e32 v1, 0xffff, v7
	;;#ASMSTART
	v_cvt_f32_f16 v6, v6;
	;;#ASMEND
	v_fmac_f32_e32 v54, v5, v6
	v_lshrrev_b32_e32 v2, 16, v7
	;;#ASMSTART
	v_cvt_f32_f16 v1, v1;
	;;#ASMEND
	v_lshrrev_b32_e32 v5, 16, v3
	v_and_b32_e32 v3, 0xffff, v3
	;;#ASMSTART
	v_cvt_f32_f16 v2, v2;
	;;#ASMEND
	;;#ASMSTART
	v_cvt_f32_f16 v3, v3;
	;;#ASMEND
	s_delay_alu instid0(VALU_DEP_1)
	v_dual_fmac_f32 v78, v1, v3 :: v_dual_and_b32 v1, 0xffff, v8
	;;#ASMSTART
	v_cvt_f32_f16 v5, v5;
	;;#ASMEND
	v_fmac_f32_e32 v55, v2, v5
	v_lshrrev_b32_e32 v2, 16, v8
	;;#ASMSTART
	v_cvt_f32_f16 v1, v1;
	;;#ASMEND
	v_and_b32_e32 v3, 0xffff, v4
	;;#ASMSTART
	v_cvt_f32_f16 v2, v2;
	;;#ASMEND
	;;#ASMSTART
	v_cvt_f32_f16 v3, v3;
	;;#ASMEND
	s_delay_alu instid0(VALU_DEP_1) | instskip(SKIP_3) | instid1(VALU_DEP_2)
	v_fmac_f32_e32 v79, v1, v3
	v_add_f32_e32 v1, v53, v76
	v_lshrrev_b32_e32 v5, 16, v4
	;;#ASMSTART
	v_cvt_f32_f16 v4, v5;
	;;#ASMEND
	v_dual_fmac_f32 v56, v2, v4 :: v_dual_add_f32 v1, v1, v77
	s_delay_alu instid0(VALU_DEP_1) | instskip(NEXT) | instid1(VALU_DEP_1)
	v_add_f32_e32 v1, v54, v1
	v_add_f32_e32 v1, v1, v78
	s_delay_alu instid0(VALU_DEP_1) | instskip(NEXT) | instid1(VALU_DEP_1)
	v_add_f32_e32 v1, v55, v1
	v_add_f32_e32 v1, v1, v79
	s_delay_alu instid0(VALU_DEP_1) | instskip(NEXT) | instid1(VALU_DEP_1)
	v_add_f32_e32 v1, v56, v1
	v_fmac_f32_e32 v75, s9, v1
	s_wait_alu 0xf1ff
	s_delay_alu instid0(VALU_DEP_1) | instskip(SKIP_2) | instid1(VALU_DEP_1)
	v_cndmask_b32_e64 v1, 0, v75, s3
	ds_store_b32 v71, v1
	v_max_num_f32_e32 v1, v66, v66
	v_max_num_f32_e32 v1, v1, v75
	s_delay_alu instid0(VALU_DEP_1)
	v_cndmask_b32_e64 v66, v66, v1, s3
	s_branch .LBB113_11
.LBB113_16:
	s_or_b32 exec_lo, exec_lo, s25
.LBB113_17:
	s_delay_alu instid0(SALU_CYCLE_1)
	s_or_b32 exec_lo, exec_lo, s8
	v_mbcnt_lo_u32_b32 v1, -1, 0
	s_clause 0x2
	s_load_b128 s[8:11], s[0:1], 0x0
	s_load_b64 s[24:25], s[0:1], 0x10
	s_load_b64 s[28:29], s[0:1], 0x28
	v_xor_b32_e32 v2, 16, v1
	v_xor_b32_e32 v4, 8, v1
	s_delay_alu instid0(VALU_DEP_2) | instskip(SKIP_2) | instid1(VALU_DEP_3)
	v_cmp_gt_i32_e32 vcc_lo, 32, v2
	s_wait_alu 0xfffd
	v_cndmask_b32_e32 v2, v1, v2, vcc_lo
	v_cmp_gt_i32_e32 vcc_lo, 32, v4
	v_max_num_f32_e32 v5, v66, v66
	s_delay_alu instid0(VALU_DEP_3)
	v_lshlrev_b32_e32 v2, 2, v2
	s_wait_alu 0xfffd
	v_cndmask_b32_e32 v4, v1, v4, vcc_lo
	ds_bpermute_b32 v3, v2, v66
	s_wait_dscnt 0x0
	v_dual_max_num_f32 v6, v3, v3 :: v_dual_lshlrev_b32 v3, 2, v4
	s_delay_alu instid0(VALU_DEP_1)
	v_max_num_f32_e32 v4, v5, v6
	v_xor_b32_e32 v6, 4, v1
	ds_bpermute_b32 v5, v3, v4
	v_cmp_gt_i32_e32 vcc_lo, 32, v6
	s_wait_alu 0xfffd
	v_cndmask_b32_e32 v6, v1, v6, vcc_lo
	s_wait_dscnt 0x0
	v_max_num_f32_e32 v7, v5, v5
	s_delay_alu instid0(VALU_DEP_1)
	v_dual_max_num_f32 v4, v4, v7 :: v_dual_lshlrev_b32 v5, 2, v6
	v_xor_b32_e32 v7, 2, v1
	ds_bpermute_b32 v6, v5, v4
	v_cmp_gt_i32_e32 vcc_lo, 32, v7
	s_wait_dscnt 0x0
	s_wait_alu 0xfffd
	v_dual_cndmask_b32 v7, v1, v7 :: v_dual_max_num_f32 v6, v6, v6
	s_delay_alu instid0(VALU_DEP_1) | instskip(NEXT) | instid1(VALU_DEP_2)
	v_max_num_f32_e32 v4, v4, v6
	v_lshlrev_b32_e32 v10, 2, v7
	v_xor_b32_e32 v7, 1, v1
	s_delay_alu instid0(VALU_DEP_1)
	v_cmp_gt_i32_e32 vcc_lo, 32, v7
	s_wait_alu 0xfffd
	v_cndmask_b32_e32 v7, v1, v7, vcc_lo
	ds_bpermute_b32 v6, v10, v4
	v_cmp_eq_u32_e32 vcc_lo, 0, v60
	s_wait_dscnt 0x0
	v_dual_max_num_f32 v6, v6, v6 :: v_dual_lshlrev_b32 v9, 2, v7
	s_delay_alu instid0(VALU_DEP_1)
	v_dual_max_num_f32 v1, v4, v6 :: v_dual_lshlrev_b32 v6, 2, v59
	ds_bpermute_b32 v4, v9, v1
	s_and_saveexec_b32 s0, vcc_lo
	s_cbranch_execz .LBB113_19
; %bb.18:
	s_wait_dscnt 0x0
	v_dual_max_num_f32 v4, v4, v4 :: v_dual_max_num_f32 v1, v1, v1
	s_delay_alu instid0(VALU_DEP_1)
	v_max_num_f32_e32 v1, v1, v4
	ds_store_b32 v6, v1 offset:240
.LBB113_19:
	s_or_b32 exec_lo, exec_lo, s0
	v_cmp_gt_u32_e64 s0, 4, v60
	v_mov_b32_e32 v1, 0xff7fffff
	s_wait_loadcnt_dscnt 0x0
	s_barrier_signal -1
	s_barrier_wait -1
	global_inv scope:SCOPE_SE
	s_and_saveexec_b32 s1, s0
; %bb.20:
	ds_load_b32 v1, v65 offset:240
; %bb.21:
	s_or_b32 exec_lo, exec_lo, s1
	s_wait_dscnt 0x0
	ds_bpermute_b32 v4, v10, v1
	v_max_num_f32_e32 v1, v1, v1
	s_sub_co_i32 s1, s33, s37
	v_mov_b32_e32 v7, 0
	s_lshl_b32 s1, s1, 5
	s_delay_alu instid0(SALU_CYCLE_1) | instskip(NEXT) | instid1(SALU_CYCLE_1)
	s_add_co_i32 s1, s1, s34
	s_min_i32 s1, s1, s31
	s_delay_alu instid0(SALU_CYCLE_1) | instskip(SKIP_4) | instid1(VALU_DEP_1)
	s_sub_co_i32 s4, s1, s34
	s_wait_alu 0xfffe
	v_cmp_gt_i32_e64 s1, s4, v0
	s_wait_dscnt 0x0
	v_max_num_f32_e32 v4, v4, v4
	v_max_num_f32_e32 v1, v1, v4
	ds_bpermute_b32 v4, v9, v1
	s_wait_dscnt 0x0
	v_max_num_f32_e32 v4, v4, v4
	s_delay_alu instid0(VALU_DEP_1)
	v_max_num_f32_e32 v1, v1, v4
	v_lshl_add_u32 v4, v0, 2, 0x110
	ds_bpermute_b32 v1, v7, v1
	s_and_saveexec_b32 s15, s1
	s_cbranch_execz .LBB113_25
; %bb.22:
	v_lshl_add_u32 v8, v0, 2, 0x110
	v_mov_b32_e32 v7, 0
	v_mov_b32_e32 v11, v0
	s_mov_b32 s34, 0
.LBB113_23:                             ; =>This Inner Loop Header: Depth=1
	ds_load_b32 v12, v8
	v_add_nc_u32_e32 v11, 0x80, v11
	s_delay_alu instid0(VALU_DEP_1) | instskip(SKIP_4) | instid1(VALU_DEP_1)
	v_cmp_le_i32_e64 s3, s4, v11
	s_wait_alu 0xfffe
	s_or_b32 s34, s3, s34
	s_wait_dscnt 0x0
	v_sub_f32_e32 v12, v12, v1
	v_mul_f32_e32 v12, 0x3fb8aa3b, v12
	s_delay_alu instid0(VALU_DEP_1)
	v_exp_f32_e32 v12, v12
	ds_store_b32 v8, v12
	v_add_f32_e32 v7, v7, v12
	v_add_nc_u32_e32 v8, 0x200, v8
	s_wait_alu 0xfffe
	s_and_not1_b32 exec_lo, exec_lo, s34
	s_cbranch_execnz .LBB113_23
; %bb.24:
	s_or_b32 exec_lo, exec_lo, s34
.LBB113_25:
	s_wait_alu 0xfffe
	s_or_b32 exec_lo, exec_lo, s15
	ds_bpermute_b32 v2, v2, v7
	s_wait_dscnt 0x0
	v_add_f32_e32 v2, v7, v2
	ds_bpermute_b32 v3, v3, v2
	s_wait_dscnt 0x0
	v_add_f32_e32 v2, v2, v3
	;; [unrolled: 3-line block ×5, first 2 shown]
	s_and_saveexec_b32 s3, vcc_lo
; %bb.26:
	ds_store_b32 v6, v2 offset:256
; %bb.27:
	s_wait_alu 0xfffe
	s_or_b32 exec_lo, exec_lo, s3
	s_wait_loadcnt_dscnt 0x0
	s_barrier_signal -1
	s_barrier_wait -1
	global_inv scope:SCOPE_SE
	s_and_saveexec_b32 s3, s0
; %bb.28:
	ds_load_b32 v2, v65 offset:256
; %bb.29:
	s_wait_alu 0xfffe
	s_or_b32 exec_lo, exec_lo, s3
	s_wait_dscnt 0x0
	ds_bpermute_b32 v3, v10, v2
	s_wait_dscnt 0x0
	v_add_f32_e32 v2, v2, v3
	ds_bpermute_b32 v3, v9, v2
	s_wait_dscnt 0x0
	v_dual_add_f32 v2, v2, v3 :: v_dual_mov_b32 v3, 0
	ds_bpermute_b32 v2, v3, v2
	s_and_saveexec_b32 s0, s1
	s_cbranch_execz .LBB113_32
; %bb.30:
	s_wait_dscnt 0x0
	v_add_f32_e32 v3, 0x358637bd, v2
	s_mov_b32 s1, 0
	s_delay_alu instid0(VALU_DEP_1) | instskip(SKIP_1) | instid1(VALU_DEP_2)
	v_div_scale_f32 v5, null, v3, v3, 1.0
	v_div_scale_f32 v8, vcc_lo, 1.0, v3, 1.0
	v_rcp_f32_e32 v6, v5
	s_delay_alu instid0(TRANS32_DEP_1) | instskip(NEXT) | instid1(VALU_DEP_1)
	v_fma_f32 v7, -v5, v6, 1.0
	v_fmac_f32_e32 v6, v7, v6
	s_delay_alu instid0(VALU_DEP_1) | instskip(NEXT) | instid1(VALU_DEP_1)
	v_mul_f32_e32 v7, v8, v6
	v_fma_f32 v11, -v5, v7, v8
	s_delay_alu instid0(VALU_DEP_1) | instskip(NEXT) | instid1(VALU_DEP_1)
	v_fmac_f32_e32 v7, v11, v6
	v_fma_f32 v5, -v5, v7, v8
	s_wait_alu 0xfffd
	s_delay_alu instid0(VALU_DEP_1) | instskip(NEXT) | instid1(VALU_DEP_1)
	v_div_fmas_f32 v5, v5, v6, v7
	v_div_fixup_f32 v3, v5, v3, 1.0
	v_mov_b32_e32 v5, v0
.LBB113_31:                             ; =>This Inner Loop Header: Depth=1
	ds_load_b32 v6, v4
	s_wait_dscnt 0x0
	v_dual_mul_f32 v6, v3, v6 :: v_dual_add_nc_u32 v5, 0x80, v5
	s_delay_alu instid0(VALU_DEP_1) | instskip(SKIP_3) | instid1(SALU_CYCLE_1)
	v_cmp_le_i32_e32 vcc_lo, s4, v5
	ds_store_b32 v4, v6
	v_add_nc_u32_e32 v4, 0x200, v4
	s_or_b32 s1, vcc_lo, s1
	s_and_not1_b32 exec_lo, exec_lo, s1
	s_cbranch_execnz .LBB113_31
.LBB113_32:
	s_or_b32 exec_lo, exec_lo, s0
	s_mul_i32 s0, s7, s26
	s_wait_loadcnt_dscnt 0x0
	s_mul_i32 s26, s0, s27
	s_mov_b32 s0, exec_lo
	s_barrier_signal -1
	s_barrier_wait -1
	global_inv scope:SCOPE_SE
	v_cmpx_eq_u32_e32 0, v0
	s_cbranch_execz .LBB113_34
; %bb.33:
	s_ashr_i32 s27, s26, 31
	s_mul_i32 s38, s7, ttmp9
	s_lshl_b32 s1, s30, 2
	s_lshl_b64 s[40:41], s[26:27], 2
	s_ashr_i32 s39, s38, 31
	v_mov_b32_e32 v3, s1
	s_wait_kmcnt 0x0
	s_wait_alu 0xfffe
	s_add_nc_u64 s[10:11], s[10:11], s[40:41]
	s_lshl_b64 s[38:39], s[38:39], 2
	s_add_nc_u64 s[8:9], s[8:9], s[40:41]
	s_wait_alu 0xfffe
	s_add_nc_u64 s[10:11], s[10:11], s[38:39]
	s_add_nc_u64 s[8:9], s[8:9], s[38:39]
	s_clause 0x1
	global_store_b32 v3, v1, s[10:11]
	global_store_b32 v3, v2, s[8:9]
.LBB113_34:
	s_or_b32 exec_lo, exec_lo, s0
	v_dual_mov_b32 v25, 0 :: v_dual_mov_b32 v26, 0
	v_dual_mov_b32 v24, 0 :: v_dual_and_b32 v11, 3, v0
	v_dual_mov_b32 v23, 0 :: v_dual_mov_b32 v22, 0
	v_dual_mov_b32 v21, 0 :: v_dual_mov_b32 v20, 0
	;; [unrolled: 1-line block ×6, first 2 shown]
	s_and_saveexec_b32 s1, s2
	s_cbranch_execz .LBB113_70
; %bb.35:
	s_abs_i32 s2, s6
	v_dual_mov_b32 v15, 0 :: v_dual_lshlrev_b32 v4, 5, v11
	s_wait_alu 0xfffe
	s_cvt_f32_u32 s0, s2
	s_ashr_i32 s15, s14, 31
	s_wait_kmcnt 0x0
	s_lshl_b64 s[8:9], s[22:23], 2
	v_dual_mov_b32 v12, 0 :: v_dual_and_b32 v3, 0x1f0, v63
	s_wait_alu 0xfffe
	v_rcp_iflag_f32_e32 v1, s0
	s_lshl_b64 s[10:11], s[14:15], 1
	s_add_nc_u64 s[8:9], s[20:21], s[8:9]
	v_dual_mov_b32 v13, 0 :: v_dual_lshlrev_b32 v2, 3, v0
	s_wait_alu 0xfffe
	s_add_nc_u64 s[10:11], s[28:29], s[10:11]
	v_add_co_u32 v5, s6, s8, v64
	s_sub_co_i32 s3, s36, s5
	s_sub_co_i32 s5, 0, s2
	s_delay_alu instid0(TRANS32_DEP_1)
	v_readfirstlane_b32 s0, v1
	v_lshl_or_b32 v1, v59, 7, v4
	v_add_co_ci_u32_e64 v6, null, s9, 0, s6
	s_wait_alu 0xfffe
	v_add_co_u32 v28, s6, s10, v3
	s_mul_f32 s0, s0, 0x4f7ffffe
	v_dual_mov_b32 v14, 0 :: v_dual_and_b32 v27, 24, v2
	v_add_co_ci_u32_e64 v29, null, s11, 0, s6
	s_wait_alu 0xfffe
	s_cvt_u32_f32 s0, s0
	v_dual_mov_b32 v17, 0 :: v_dual_add_nc_u32 v30, 0x110, v1
	v_dual_mov_b32 v16, 0 :: v_dual_mov_b32 v19, 0
	s_wait_alu 0xfffe
	s_mul_i32 s5, s5, s0
	v_dual_mov_b32 v18, 0 :: v_dual_mov_b32 v21, 0
	v_dual_mov_b32 v20, 0 :: v_dual_mov_b32 v23, 0
	v_dual_mov_b32 v22, 0 :: v_dual_mov_b32 v25, 0
	v_mov_b32_e32 v24, 0
	v_mov_b32_e32 v26, 0
	s_wait_alu 0xfffe
	s_mul_hi_u32 s6, s0, s5
	s_mov_b32 s4, s13
	s_add_co_i32 s35, s35, -1
	s_mov_b32 s5, 0
	s_wait_alu 0xfffe
	s_add_co_i32 s6, s0, s6
	s_branch .LBB113_38
.LBB113_36:                             ;   in Loop: Header=BB113_38 Depth=1
	s_wait_alu 0xfffe
	s_or_b32 exec_lo, exec_lo, s0
	v_dual_add_f32 v31, v74, v75 :: v_dual_add_f32 v32, v71, v72
	v_add_f32_e32 v34, v69, v70
	v_dual_add_f32 v36, v57, v58 :: v_dual_lshlrev_b32 v7, 16, v7
	s_delay_alu instid0(VALU_DEP_3) | instskip(SKIP_1) | instid1(VALU_DEP_3)
	v_dual_add_f32 v13, v13, v31 :: v_dual_add_f32 v14, v14, v32
	v_dual_add_f32 v31, v67, v68 :: v_dual_add_f32 v32, v65, v66
	v_add_f32_e32 v19, v19, v36
	v_add_f32_e32 v15, v15, v34
	;; [unrolled: 1-line block ×3, first 2 shown]
	s_delay_alu instid0(VALU_DEP_4)
	v_dual_add_f32 v16, v16, v31 :: v_dual_add_f32 v31, v53, v54
	v_dual_add_f32 v17, v17, v32 :: v_dual_lshlrev_b32 v32, 16, v73
	v_lshlrev_b32_e32 v8, 16, v8
	v_and_or_b32 v3, 0xffff, v3, v7
	v_dual_add_f32 v7, v49, v50 :: v_dual_add_f32 v38, v55, v56
	v_add_f32_e32 v21, v21, v31
	v_and_or_b32 v1, 0xffff, v1, v32
	v_and_or_b32 v2, 0xffff, v2, v8
	;;#ASMSTART
	v_pk_mul_f16 v1, v35, v1;

	;;#ASMEND
	;;#ASMSTART
	v_pk_mul_f16 v2, v33, v2;

	;;#ASMEND
	;; [unrolled: 4-line block ×4, first 2 shown]
	;;#ASMSTART
	v_pk_add_f16 v1, v1, v2;

	;;#ASMEND
	;;#ASMSTART
	v_pk_add_f16 v1, v1, v3;

	;;#ASMEND
	;; [unrolled: 4-line block ×3, first 2 shown]
	v_and_b32_e32 v4, 0xffff, v1
	v_lshrrev_b32_e32 v8, 16, v1
	;;#ASMSTART
	v_cvt_f32_f16 v4, v4;
	;;#ASMEND
	v_add_f32_e32 v18, v18, v34
	v_dual_add_f32 v20, v20, v38 :: v_dual_add_f32 v1, v47, v48
	v_add_f32_e32 v2, v45, v46
	v_dual_add_f32 v3, v37, v39 :: v_dual_add_f32 v34, v51, v52
	;;#ASMSTART
	v_cvt_f32_f16 v8, v8;
	;;#ASMEND
	v_dual_add_f32 v4, v4, v8 :: v_dual_add_f32 v23, v23, v7
	v_add_f32_e32 v24, v24, v1
	s_delay_alu instid0(VALU_DEP_3) | instskip(SKIP_1) | instid1(VALU_DEP_4)
	v_dual_add_f32 v26, v26, v2 :: v_dual_add_f32 v25, v25, v3
	v_add_f32_e32 v22, v22, v34
	v_add_f32_e32 v12, v12, v4
.LBB113_37:                             ;   in Loop: Header=BB113_38 Depth=1
	s_wait_alu 0xfffe
	s_or_b32 exec_lo, exec_lo, s8
	v_add_nc_u32_e32 v62, 4, v62
	v_add_co_u32 v5, s0, v5, 16
	s_wait_alu 0xf1ff
	v_add_co_ci_u32_e64 v6, null, 0, v6, s0
	s_delay_alu instid0(VALU_DEP_3)
	v_cmp_le_i32_e32 vcc_lo, s33, v62
	v_add_nc_u32_e32 v61, 0x80, v61
	v_add_nc_u32_e32 v30, 0x200, v30
	s_or_b32 s5, vcc_lo, s5
	s_wait_alu 0xfffe
	s_and_not1_b32 exec_lo, exec_lo, s5
	s_cbranch_execz .LBB113_69
.LBB113_38:                             ; =>This Inner Loop Header: Depth=1
	v_sub_nc_u32_e32 v1, 0, v61
	s_delay_alu instid0(VALU_DEP_1) | instskip(NEXT) | instid1(VALU_DEP_1)
	v_max_i32_e32 v1, v61, v1
	v_mul_hi_u32 v2, v1, s18
	s_delay_alu instid0(VALU_DEP_1) | instskip(NEXT) | instid1(VALU_DEP_1)
	v_mul_lo_u32 v3, v2, s12
	v_sub_nc_u32_e32 v1, v1, v3
	v_add_nc_u32_e32 v3, 1, v2
	s_delay_alu instid0(VALU_DEP_2) | instskip(SKIP_2) | instid1(VALU_DEP_2)
	v_subrev_nc_u32_e32 v4, s12, v1
	v_cmp_le_u32_e32 vcc_lo, s12, v1
	s_wait_alu 0xfffd
	v_dual_cndmask_b32 v2, v2, v3 :: v_dual_cndmask_b32 v1, v1, v4
	v_ashrrev_i32_e32 v3, 31, v61
	s_delay_alu instid0(VALU_DEP_2) | instskip(NEXT) | instid1(VALU_DEP_3)
	v_add_nc_u32_e32 v4, 1, v2
	v_cmp_le_u32_e32 vcc_lo, s12, v1
	s_delay_alu instid0(VALU_DEP_3) | instskip(SKIP_1) | instid1(VALU_DEP_3)
	v_xor_b32_e32 v3, s19, v3
	s_wait_alu 0xfffd
	v_cndmask_b32_e32 v1, v2, v4, vcc_lo
	s_delay_alu instid0(VALU_DEP_1) | instskip(NEXT) | instid1(VALU_DEP_1)
	v_xor_b32_e32 v1, v1, v3
	v_sub_nc_u32_e32 v1, v1, v3
	s_delay_alu instid0(VALU_DEP_1) | instskip(SKIP_1) | instid1(VALU_DEP_2)
	v_add_nc_u32_e32 v2, s17, v1
	v_cmp_lt_i32_e64 s0, s3, v1
	v_sub_nc_u32_e32 v3, 0, v2
	s_delay_alu instid0(VALU_DEP_1) | instskip(SKIP_1) | instid1(VALU_DEP_1)
	v_max_i32_e32 v3, v2, v3
	s_wait_alu 0xfffe
	v_mul_hi_u32 v4, v3, s6
	s_delay_alu instid0(VALU_DEP_1) | instskip(NEXT) | instid1(VALU_DEP_1)
	v_mul_lo_u32 v4, v4, s2
	v_sub_nc_u32_e32 v3, v3, v4
	s_delay_alu instid0(VALU_DEP_1) | instskip(SKIP_2) | instid1(VALU_DEP_2)
	v_subrev_nc_u32_e32 v4, s2, v3
	v_cmp_le_u32_e32 vcc_lo, s2, v3
	s_wait_alu 0xfffd
	v_cndmask_b32_e32 v3, v3, v4, vcc_lo
	v_ashrrev_i32_e32 v2, 31, v2
	s_delay_alu instid0(VALU_DEP_2) | instskip(SKIP_2) | instid1(VALU_DEP_2)
	v_subrev_nc_u32_e32 v4, s2, v3
	v_cmp_le_u32_e32 vcc_lo, s2, v3
	s_wait_alu 0xfffd
	v_cndmask_b32_e32 v3, v3, v4, vcc_lo
	s_delay_alu instid0(VALU_DEP_1) | instskip(NEXT) | instid1(VALU_DEP_1)
	v_xor_b32_e32 v3, v3, v2
	v_sub_nc_u32_e32 v2, v3, v2
	s_delay_alu instid0(VALU_DEP_1)
	v_cmp_eq_u32_e32 vcc_lo, 0, v2
	s_or_b32 s0, vcc_lo, s0
	s_wait_alu 0xfffe
	s_and_saveexec_b32 s8, s0
	s_cbranch_execz .LBB113_37
; %bb.39:                               ;   in Loop: Header=BB113_38 Depth=1
	global_load_b32 v7, v[5:6], off
	ds_load_2addr_b64 v[1:4], v30 offset1:1
	ds_load_2addr_b64 v[41:44], v30 offset0:2 offset1:3
	s_wait_dscnt 0x1
	;;#ASMSTART
	v_cvt_f16_f32 v35, v1;

	;;#ASMEND
	;;#ASMSTART
	v_cvt_f16_f32 v33, v2;

	;;#ASMEND
	;; [unrolled: 4-line block ×4, first 2 shown]
	s_wait_dscnt 0x0
	;;#ASMSTART
	v_cvt_f16_f32 v46, v41;

	;;#ASMEND
	;;#ASMSTART
	v_cvt_f16_f32 v39, v42;

	;;#ASMEND
	;; [unrolled: 4-line block ×4, first 2 shown]
	v_add_nc_u32_e32 v42, v27, v61
	s_delay_alu instid0(VALU_DEP_1)
	v_add_nc_u32_e32 v44, 1, v42
	v_add_nc_u32_e32 v43, 2, v42
	;; [unrolled: 1-line block ×7, first 2 shown]
	s_wait_loadcnt 0x0
	v_mad_co_i64_i32 v[7:8], null, v7, s4, 0
	s_delay_alu instid0(VALU_DEP_1) | instskip(NEXT) | instid1(VALU_DEP_1)
	v_lshlrev_b64_e32 v[7:8], 1, v[7:8]
	v_add_co_u32 v7, vcc_lo, v28, v7
	s_wait_alu 0xfffd
	s_delay_alu instid0(VALU_DEP_2)
	v_add_co_ci_u32_e64 v8, null, v29, v8, vcc_lo
	v_cmp_eq_u32_e32 vcc_lo, s35, v62
	global_load_b128 v[1:4], v[7:8], off
	s_wait_loadcnt 0x0
	v_lshrrev_b32_e32 v49, 16, v1
	v_lshrrev_b32_e32 v48, 16, v2
	;; [unrolled: 1-line block ×3, first 2 shown]
	s_and_saveexec_b32 s9, vcc_lo
	s_cbranch_execz .LBB113_41
; %bb.40:                               ;   in Loop: Header=BB113_38 Depth=1
	v_cmp_gt_i32_e64 s0, s31, v42
	v_and_b32_e32 v50, 0xffff, v4
	v_and_b32_e32 v4, 0xffff0000, v4
	s_wait_alu 0xf1ff
	s_delay_alu instid0(VALU_DEP_3) | instskip(SKIP_2) | instid1(VALU_DEP_1)
	v_cndmask_b32_e64 v1, 0, v1, s0
	v_cmp_gt_i32_e64 s0, s31, v44
	s_wait_alu 0xf1ff
	v_cndmask_b32_e64 v49, 0, v49, s0
	v_cmp_gt_i32_e64 s0, s31, v43
	s_wait_alu 0xf1ff
	s_delay_alu instid0(VALU_DEP_1) | instskip(SKIP_2) | instid1(VALU_DEP_1)
	v_cndmask_b32_e64 v2, 0, v2, s0
	v_cmp_gt_i32_e64 s0, s31, v34
	s_wait_alu 0xf1ff
	v_cndmask_b32_e64 v48, 0, v48, s0
	v_cmp_gt_i32_e64 s0, s31, v36
	s_wait_alu 0xf1ff
	s_delay_alu instid0(VALU_DEP_1) | instskip(SKIP_2) | instid1(VALU_DEP_1)
	v_cndmask_b32_e64 v50, 0, v50, s0
	v_cmp_gt_i32_e64 s0, s31, v38
	s_wait_alu 0xf1ff
	v_cndmask_b32_e64 v4, 0, v4, s0
	v_cmp_gt_i32_e64 s0, s31, v32
	s_delay_alu instid0(VALU_DEP_2) | instskip(SKIP_1) | instid1(VALU_DEP_2)
	v_or_b32_e32 v4, v50, v4
	s_wait_alu 0xf1ff
	v_cndmask_b32_e64 v3, 0, v3, s0
	v_cmp_gt_i32_e64 s0, s31, v31
	s_wait_alu 0xf1ff
	s_delay_alu instid0(VALU_DEP_1)
	v_cndmask_b32_e64 v47, 0, v47, s0
.LBB113_41:                             ;   in Loop: Header=BB113_38 Depth=1
	s_wait_alu 0xfffe
	s_or_b32 exec_lo, exec_lo, s9
	v_and_b32_e32 v35, 0xffff, v35
	v_and_b32_e32 v45, 0xffff, v45
	v_lshlrev_b32_e32 v49, 16, v49
	v_lshlrev_b32_e32 v47, 16, v47
	v_and_b32_e32 v46, 0xffff, v46
	v_lshl_or_b32 v35, v33, 16, v35
	v_lshl_or_b32 v33, v40, 16, v45
	v_lshlrev_b32_e32 v45, 16, v48
	v_and_b32_e32 v41, 0xffff, v41
	v_and_or_b32 v1, 0xffff, v1, v49
	v_and_or_b32 v3, 0xffff, v3, v47
	;;#ASMSTART
	v_pk_mul_f16 v1, v35, v1;

	;;#ASMEND
	v_and_or_b32 v2, 0xffff, v2, v45
	v_lshl_or_b32 v40, v39, 16, v46
	v_lshl_or_b32 v41, v37, 16, v41
	;;#ASMSTART
	v_pk_mul_f16 v2, v33, v2;

	;;#ASMEND
	;;#ASMSTART
	v_pk_mul_f16 v3, v40, v3;

	;;#ASMEND
	;; [unrolled: 4-line block ×3, first 2 shown]
	;;#ASMSTART
	v_pk_add_f16 v1, v1, v2;

	;;#ASMEND
	;;#ASMSTART
	v_pk_add_f16 v1, v1, v3;

	;;#ASMEND
	;; [unrolled: 4-line block ×3, first 2 shown]
	v_and_b32_e32 v2, 0xffff, v1
	v_lshrrev_b32_e32 v1, 16, v1
	;;#ASMSTART
	v_cvt_f32_f16 v37, v2;
	;;#ASMEND
	;;#ASMSTART
	v_cvt_f32_f16 v39, v1;
	;;#ASMEND
	global_load_b128 v[1:4], v[7:8], off offset:512
	s_wait_loadcnt 0x0
	v_lshrrev_b32_e32 v47, 16, v1
	v_lshrrev_b32_e32 v46, 16, v2
	;; [unrolled: 1-line block ×3, first 2 shown]
	s_and_saveexec_b32 s9, vcc_lo
	s_cbranch_execz .LBB113_43
; %bb.42:                               ;   in Loop: Header=BB113_38 Depth=1
	v_cmp_gt_i32_e64 s0, s31, v42
	v_and_b32_e32 v48, 0xffff, v4
	v_and_b32_e32 v4, 0xffff0000, v4
	s_wait_alu 0xf1ff
	s_delay_alu instid0(VALU_DEP_3) | instskip(SKIP_2) | instid1(VALU_DEP_1)
	v_cndmask_b32_e64 v1, 0, v1, s0
	v_cmp_gt_i32_e64 s0, s31, v44
	s_wait_alu 0xf1ff
	v_cndmask_b32_e64 v47, 0, v47, s0
	v_cmp_gt_i32_e64 s0, s31, v43
	s_wait_alu 0xf1ff
	s_delay_alu instid0(VALU_DEP_1) | instskip(SKIP_2) | instid1(VALU_DEP_1)
	v_cndmask_b32_e64 v2, 0, v2, s0
	v_cmp_gt_i32_e64 s0, s31, v34
	s_wait_alu 0xf1ff
	v_cndmask_b32_e64 v46, 0, v46, s0
	v_cmp_gt_i32_e64 s0, s31, v36
	s_wait_alu 0xf1ff
	s_delay_alu instid0(VALU_DEP_1) | instskip(SKIP_2) | instid1(VALU_DEP_1)
	v_cndmask_b32_e64 v48, 0, v48, s0
	v_cmp_gt_i32_e64 s0, s31, v38
	s_wait_alu 0xf1ff
	v_cndmask_b32_e64 v4, 0, v4, s0
	v_cmp_gt_i32_e64 s0, s31, v32
	s_delay_alu instid0(VALU_DEP_2) | instskip(SKIP_1) | instid1(VALU_DEP_2)
	v_or_b32_e32 v4, v48, v4
	s_wait_alu 0xf1ff
	v_cndmask_b32_e64 v3, 0, v3, s0
	v_cmp_gt_i32_e64 s0, s31, v31
	s_wait_alu 0xf1ff
	s_delay_alu instid0(VALU_DEP_1)
	v_cndmask_b32_e64 v45, 0, v45, s0
.LBB113_43:                             ;   in Loop: Header=BB113_38 Depth=1
	s_wait_alu 0xfffe
	s_or_b32 exec_lo, exec_lo, s9
	v_lshlrev_b32_e32 v47, 16, v47
	v_lshlrev_b32_e32 v46, 16, v46
	;; [unrolled: 1-line block ×3, first 2 shown]
	s_delay_alu instid0(VALU_DEP_3) | instskip(NEXT) | instid1(VALU_DEP_3)
	v_and_or_b32 v1, 0xffff, v1, v47
	v_and_or_b32 v2, 0xffff, v2, v46
	s_delay_alu instid0(VALU_DEP_3)
	v_and_or_b32 v3, 0xffff, v3, v45
	;;#ASMSTART
	v_pk_mul_f16 v1, v35, v1;

	;;#ASMEND
	;;#ASMSTART
	v_pk_mul_f16 v2, v33, v2;

	;;#ASMEND
	;; [unrolled: 4-line block ×4, first 2 shown]
	;;#ASMSTART
	v_pk_add_f16 v1, v1, v2;

	;;#ASMEND
	;;#ASMSTART
	v_pk_add_f16 v1, v1, v3;

	;;#ASMEND
	;; [unrolled: 4-line block ×3, first 2 shown]
	v_and_b32_e32 v2, 0xffff, v1
	v_lshrrev_b32_e32 v1, 16, v1
	;;#ASMSTART
	v_cvt_f32_f16 v45, v2;
	;;#ASMEND
	;;#ASMSTART
	v_cvt_f32_f16 v46, v1;
	;;#ASMEND
	global_load_b128 v[1:4], v[7:8], off offset:1024
	s_wait_loadcnt 0x0
	v_lshrrev_b32_e32 v49, 16, v1
	v_lshrrev_b32_e32 v48, 16, v2
	;; [unrolled: 1-line block ×3, first 2 shown]
	s_and_saveexec_b32 s9, vcc_lo
	s_cbranch_execz .LBB113_45
; %bb.44:                               ;   in Loop: Header=BB113_38 Depth=1
	v_cmp_gt_i32_e64 s0, s31, v42
	v_and_b32_e32 v50, 0xffff, v4
	v_and_b32_e32 v4, 0xffff0000, v4
	s_wait_alu 0xf1ff
	s_delay_alu instid0(VALU_DEP_3) | instskip(SKIP_2) | instid1(VALU_DEP_1)
	v_cndmask_b32_e64 v1, 0, v1, s0
	v_cmp_gt_i32_e64 s0, s31, v44
	s_wait_alu 0xf1ff
	v_cndmask_b32_e64 v49, 0, v49, s0
	v_cmp_gt_i32_e64 s0, s31, v43
	s_wait_alu 0xf1ff
	s_delay_alu instid0(VALU_DEP_1) | instskip(SKIP_2) | instid1(VALU_DEP_1)
	v_cndmask_b32_e64 v2, 0, v2, s0
	v_cmp_gt_i32_e64 s0, s31, v34
	s_wait_alu 0xf1ff
	v_cndmask_b32_e64 v48, 0, v48, s0
	v_cmp_gt_i32_e64 s0, s31, v36
	s_wait_alu 0xf1ff
	s_delay_alu instid0(VALU_DEP_1) | instskip(SKIP_2) | instid1(VALU_DEP_1)
	v_cndmask_b32_e64 v50, 0, v50, s0
	v_cmp_gt_i32_e64 s0, s31, v38
	s_wait_alu 0xf1ff
	v_cndmask_b32_e64 v4, 0, v4, s0
	v_cmp_gt_i32_e64 s0, s31, v32
	s_delay_alu instid0(VALU_DEP_2) | instskip(SKIP_1) | instid1(VALU_DEP_2)
	v_or_b32_e32 v4, v50, v4
	s_wait_alu 0xf1ff
	v_cndmask_b32_e64 v3, 0, v3, s0
	v_cmp_gt_i32_e64 s0, s31, v31
	s_wait_alu 0xf1ff
	s_delay_alu instid0(VALU_DEP_1)
	v_cndmask_b32_e64 v47, 0, v47, s0
.LBB113_45:                             ;   in Loop: Header=BB113_38 Depth=1
	s_wait_alu 0xfffe
	s_or_b32 exec_lo, exec_lo, s9
	v_lshlrev_b32_e32 v49, 16, v49
	v_lshlrev_b32_e32 v48, 16, v48
	v_lshlrev_b32_e32 v47, 16, v47
	s_delay_alu instid0(VALU_DEP_3) | instskip(NEXT) | instid1(VALU_DEP_3)
	v_and_or_b32 v1, 0xffff, v1, v49
	v_and_or_b32 v2, 0xffff, v2, v48
	s_delay_alu instid0(VALU_DEP_3)
	v_and_or_b32 v3, 0xffff, v3, v47
	;;#ASMSTART
	v_pk_mul_f16 v1, v35, v1;

	;;#ASMEND
	;;#ASMSTART
	v_pk_mul_f16 v2, v33, v2;

	;;#ASMEND
	;; [unrolled: 4-line block ×4, first 2 shown]
	;;#ASMSTART
	v_pk_add_f16 v1, v1, v2;

	;;#ASMEND
	;;#ASMSTART
	v_pk_add_f16 v1, v1, v3;

	;;#ASMEND
	;; [unrolled: 4-line block ×3, first 2 shown]
	v_and_b32_e32 v2, 0xffff, v1
	v_lshrrev_b32_e32 v1, 16, v1
	;;#ASMSTART
	v_cvt_f32_f16 v47, v2;
	;;#ASMEND
	;;#ASMSTART
	v_cvt_f32_f16 v48, v1;
	;;#ASMEND
	global_load_b128 v[1:4], v[7:8], off offset:1536
	s_wait_loadcnt 0x0
	v_lshrrev_b32_e32 v51, 16, v1
	v_lshrrev_b32_e32 v50, 16, v2
	;; [unrolled: 1-line block ×3, first 2 shown]
	s_and_saveexec_b32 s9, vcc_lo
	s_cbranch_execz .LBB113_47
; %bb.46:                               ;   in Loop: Header=BB113_38 Depth=1
	v_cmp_gt_i32_e64 s0, s31, v42
	v_and_b32_e32 v52, 0xffff, v4
	v_and_b32_e32 v4, 0xffff0000, v4
	s_wait_alu 0xf1ff
	s_delay_alu instid0(VALU_DEP_3) | instskip(SKIP_2) | instid1(VALU_DEP_1)
	v_cndmask_b32_e64 v1, 0, v1, s0
	v_cmp_gt_i32_e64 s0, s31, v44
	s_wait_alu 0xf1ff
	v_cndmask_b32_e64 v51, 0, v51, s0
	v_cmp_gt_i32_e64 s0, s31, v43
	s_wait_alu 0xf1ff
	s_delay_alu instid0(VALU_DEP_1) | instskip(SKIP_2) | instid1(VALU_DEP_1)
	v_cndmask_b32_e64 v2, 0, v2, s0
	v_cmp_gt_i32_e64 s0, s31, v34
	s_wait_alu 0xf1ff
	v_cndmask_b32_e64 v50, 0, v50, s0
	v_cmp_gt_i32_e64 s0, s31, v36
	s_wait_alu 0xf1ff
	s_delay_alu instid0(VALU_DEP_1) | instskip(SKIP_2) | instid1(VALU_DEP_1)
	v_cndmask_b32_e64 v52, 0, v52, s0
	v_cmp_gt_i32_e64 s0, s31, v38
	s_wait_alu 0xf1ff
	v_cndmask_b32_e64 v4, 0, v4, s0
	v_cmp_gt_i32_e64 s0, s31, v32
	s_delay_alu instid0(VALU_DEP_2) | instskip(SKIP_1) | instid1(VALU_DEP_2)
	v_or_b32_e32 v4, v52, v4
	s_wait_alu 0xf1ff
	v_cndmask_b32_e64 v3, 0, v3, s0
	v_cmp_gt_i32_e64 s0, s31, v31
	s_wait_alu 0xf1ff
	s_delay_alu instid0(VALU_DEP_1)
	v_cndmask_b32_e64 v49, 0, v49, s0
.LBB113_47:                             ;   in Loop: Header=BB113_38 Depth=1
	s_wait_alu 0xfffe
	s_or_b32 exec_lo, exec_lo, s9
	v_lshlrev_b32_e32 v51, 16, v51
	v_lshlrev_b32_e32 v50, 16, v50
	;; [unrolled: 1-line block ×3, first 2 shown]
	s_delay_alu instid0(VALU_DEP_3) | instskip(NEXT) | instid1(VALU_DEP_3)
	v_and_or_b32 v1, 0xffff, v1, v51
	v_and_or_b32 v2, 0xffff, v2, v50
	s_delay_alu instid0(VALU_DEP_3)
	v_and_or_b32 v3, 0xffff, v3, v49
	;;#ASMSTART
	v_pk_mul_f16 v1, v35, v1;

	;;#ASMEND
	;;#ASMSTART
	v_pk_mul_f16 v2, v33, v2;

	;;#ASMEND
	;; [unrolled: 4-line block ×4, first 2 shown]
	;;#ASMSTART
	v_pk_add_f16 v1, v1, v2;

	;;#ASMEND
	;;#ASMSTART
	v_pk_add_f16 v1, v1, v3;

	;;#ASMEND
	;;#ASMSTART
	v_pk_add_f16 v1, v1, v4;

	;;#ASMEND
	v_and_b32_e32 v2, 0xffff, v1
	v_lshrrev_b32_e32 v1, 16, v1
	;;#ASMSTART
	v_cvt_f32_f16 v49, v2;
	;;#ASMEND
	;;#ASMSTART
	v_cvt_f32_f16 v50, v1;
	;;#ASMEND
	global_load_b128 v[1:4], v[7:8], off offset:2048
	s_wait_loadcnt 0x0
	v_lshrrev_b32_e32 v53, 16, v1
	v_lshrrev_b32_e32 v52, 16, v2
	;; [unrolled: 1-line block ×3, first 2 shown]
	s_and_saveexec_b32 s9, vcc_lo
	s_cbranch_execz .LBB113_49
; %bb.48:                               ;   in Loop: Header=BB113_38 Depth=1
	v_cmp_gt_i32_e64 s0, s31, v42
	v_and_b32_e32 v54, 0xffff, v4
	v_and_b32_e32 v4, 0xffff0000, v4
	s_wait_alu 0xf1ff
	s_delay_alu instid0(VALU_DEP_3) | instskip(SKIP_2) | instid1(VALU_DEP_1)
	v_cndmask_b32_e64 v1, 0, v1, s0
	v_cmp_gt_i32_e64 s0, s31, v44
	s_wait_alu 0xf1ff
	v_cndmask_b32_e64 v53, 0, v53, s0
	v_cmp_gt_i32_e64 s0, s31, v43
	s_wait_alu 0xf1ff
	s_delay_alu instid0(VALU_DEP_1) | instskip(SKIP_2) | instid1(VALU_DEP_1)
	v_cndmask_b32_e64 v2, 0, v2, s0
	v_cmp_gt_i32_e64 s0, s31, v34
	s_wait_alu 0xf1ff
	v_cndmask_b32_e64 v52, 0, v52, s0
	v_cmp_gt_i32_e64 s0, s31, v36
	s_wait_alu 0xf1ff
	s_delay_alu instid0(VALU_DEP_1) | instskip(SKIP_2) | instid1(VALU_DEP_1)
	v_cndmask_b32_e64 v54, 0, v54, s0
	v_cmp_gt_i32_e64 s0, s31, v38
	s_wait_alu 0xf1ff
	v_cndmask_b32_e64 v4, 0, v4, s0
	v_cmp_gt_i32_e64 s0, s31, v32
	s_delay_alu instid0(VALU_DEP_2) | instskip(SKIP_1) | instid1(VALU_DEP_2)
	v_or_b32_e32 v4, v54, v4
	s_wait_alu 0xf1ff
	v_cndmask_b32_e64 v3, 0, v3, s0
	v_cmp_gt_i32_e64 s0, s31, v31
	s_wait_alu 0xf1ff
	s_delay_alu instid0(VALU_DEP_1)
	v_cndmask_b32_e64 v51, 0, v51, s0
.LBB113_49:                             ;   in Loop: Header=BB113_38 Depth=1
	s_wait_alu 0xfffe
	s_or_b32 exec_lo, exec_lo, s9
	v_lshlrev_b32_e32 v53, 16, v53
	v_lshlrev_b32_e32 v52, 16, v52
	;; [unrolled: 1-line block ×3, first 2 shown]
	s_delay_alu instid0(VALU_DEP_3) | instskip(NEXT) | instid1(VALU_DEP_3)
	v_and_or_b32 v1, 0xffff, v1, v53
	v_and_or_b32 v2, 0xffff, v2, v52
	s_delay_alu instid0(VALU_DEP_3)
	v_and_or_b32 v3, 0xffff, v3, v51
	;;#ASMSTART
	v_pk_mul_f16 v1, v35, v1;

	;;#ASMEND
	;;#ASMSTART
	v_pk_mul_f16 v2, v33, v2;

	;;#ASMEND
	;; [unrolled: 4-line block ×4, first 2 shown]
	;;#ASMSTART
	v_pk_add_f16 v1, v1, v2;

	;;#ASMEND
	;;#ASMSTART
	v_pk_add_f16 v1, v1, v3;

	;;#ASMEND
	;; [unrolled: 4-line block ×3, first 2 shown]
	v_and_b32_e32 v2, 0xffff, v1
	v_lshrrev_b32_e32 v1, 16, v1
	;;#ASMSTART
	v_cvt_f32_f16 v51, v2;
	;;#ASMEND
	;;#ASMSTART
	v_cvt_f32_f16 v52, v1;
	;;#ASMEND
	global_load_b128 v[1:4], v[7:8], off offset:2560
	s_wait_loadcnt 0x0
	v_lshrrev_b32_e32 v55, 16, v1
	v_lshrrev_b32_e32 v54, 16, v2
	;; [unrolled: 1-line block ×3, first 2 shown]
	s_and_saveexec_b32 s9, vcc_lo
	s_cbranch_execz .LBB113_51
; %bb.50:                               ;   in Loop: Header=BB113_38 Depth=1
	v_cmp_gt_i32_e64 s0, s31, v42
	v_and_b32_e32 v56, 0xffff, v4
	v_and_b32_e32 v4, 0xffff0000, v4
	s_wait_alu 0xf1ff
	s_delay_alu instid0(VALU_DEP_3) | instskip(SKIP_2) | instid1(VALU_DEP_1)
	v_cndmask_b32_e64 v1, 0, v1, s0
	v_cmp_gt_i32_e64 s0, s31, v44
	s_wait_alu 0xf1ff
	v_cndmask_b32_e64 v55, 0, v55, s0
	v_cmp_gt_i32_e64 s0, s31, v43
	s_wait_alu 0xf1ff
	s_delay_alu instid0(VALU_DEP_1) | instskip(SKIP_2) | instid1(VALU_DEP_1)
	v_cndmask_b32_e64 v2, 0, v2, s0
	v_cmp_gt_i32_e64 s0, s31, v34
	s_wait_alu 0xf1ff
	v_cndmask_b32_e64 v54, 0, v54, s0
	v_cmp_gt_i32_e64 s0, s31, v36
	s_wait_alu 0xf1ff
	s_delay_alu instid0(VALU_DEP_1) | instskip(SKIP_2) | instid1(VALU_DEP_1)
	v_cndmask_b32_e64 v56, 0, v56, s0
	v_cmp_gt_i32_e64 s0, s31, v38
	s_wait_alu 0xf1ff
	v_cndmask_b32_e64 v4, 0, v4, s0
	v_cmp_gt_i32_e64 s0, s31, v32
	s_delay_alu instid0(VALU_DEP_2) | instskip(SKIP_1) | instid1(VALU_DEP_2)
	v_or_b32_e32 v4, v56, v4
	s_wait_alu 0xf1ff
	v_cndmask_b32_e64 v3, 0, v3, s0
	v_cmp_gt_i32_e64 s0, s31, v31
	s_wait_alu 0xf1ff
	s_delay_alu instid0(VALU_DEP_1)
	v_cndmask_b32_e64 v53, 0, v53, s0
.LBB113_51:                             ;   in Loop: Header=BB113_38 Depth=1
	s_wait_alu 0xfffe
	s_or_b32 exec_lo, exec_lo, s9
	v_lshlrev_b32_e32 v55, 16, v55
	v_lshlrev_b32_e32 v54, 16, v54
	;; [unrolled: 1-line block ×3, first 2 shown]
	s_delay_alu instid0(VALU_DEP_3) | instskip(NEXT) | instid1(VALU_DEP_3)
	v_and_or_b32 v1, 0xffff, v1, v55
	v_and_or_b32 v2, 0xffff, v2, v54
	s_delay_alu instid0(VALU_DEP_3)
	v_and_or_b32 v3, 0xffff, v3, v53
	;;#ASMSTART
	v_pk_mul_f16 v1, v35, v1;

	;;#ASMEND
	;;#ASMSTART
	v_pk_mul_f16 v2, v33, v2;

	;;#ASMEND
	;; [unrolled: 4-line block ×4, first 2 shown]
	;;#ASMSTART
	v_pk_add_f16 v1, v1, v2;

	;;#ASMEND
	;;#ASMSTART
	v_pk_add_f16 v1, v1, v3;

	;;#ASMEND
	;; [unrolled: 4-line block ×3, first 2 shown]
	v_and_b32_e32 v2, 0xffff, v1
	v_lshrrev_b32_e32 v1, 16, v1
	;;#ASMSTART
	v_cvt_f32_f16 v53, v2;
	;;#ASMEND
	;;#ASMSTART
	v_cvt_f32_f16 v54, v1;
	;;#ASMEND
	global_load_b128 v[1:4], v[7:8], off offset:3072
	s_wait_loadcnt 0x0
	v_lshrrev_b32_e32 v57, 16, v1
	v_lshrrev_b32_e32 v56, 16, v2
	;; [unrolled: 1-line block ×3, first 2 shown]
	s_and_saveexec_b32 s9, vcc_lo
	s_cbranch_execz .LBB113_53
; %bb.52:                               ;   in Loop: Header=BB113_38 Depth=1
	v_cmp_gt_i32_e64 s0, s31, v42
	v_and_b32_e32 v58, 0xffff, v4
	v_and_b32_e32 v4, 0xffff0000, v4
	s_wait_alu 0xf1ff
	s_delay_alu instid0(VALU_DEP_3) | instskip(SKIP_2) | instid1(VALU_DEP_1)
	v_cndmask_b32_e64 v1, 0, v1, s0
	v_cmp_gt_i32_e64 s0, s31, v44
	s_wait_alu 0xf1ff
	v_cndmask_b32_e64 v57, 0, v57, s0
	v_cmp_gt_i32_e64 s0, s31, v43
	s_wait_alu 0xf1ff
	s_delay_alu instid0(VALU_DEP_1) | instskip(SKIP_2) | instid1(VALU_DEP_1)
	v_cndmask_b32_e64 v2, 0, v2, s0
	v_cmp_gt_i32_e64 s0, s31, v34
	s_wait_alu 0xf1ff
	v_cndmask_b32_e64 v56, 0, v56, s0
	v_cmp_gt_i32_e64 s0, s31, v36
	s_wait_alu 0xf1ff
	s_delay_alu instid0(VALU_DEP_1) | instskip(SKIP_2) | instid1(VALU_DEP_1)
	v_cndmask_b32_e64 v58, 0, v58, s0
	v_cmp_gt_i32_e64 s0, s31, v38
	s_wait_alu 0xf1ff
	v_cndmask_b32_e64 v4, 0, v4, s0
	v_cmp_gt_i32_e64 s0, s31, v32
	s_delay_alu instid0(VALU_DEP_2) | instskip(SKIP_1) | instid1(VALU_DEP_2)
	v_or_b32_e32 v4, v58, v4
	s_wait_alu 0xf1ff
	v_cndmask_b32_e64 v3, 0, v3, s0
	v_cmp_gt_i32_e64 s0, s31, v31
	s_wait_alu 0xf1ff
	s_delay_alu instid0(VALU_DEP_1)
	v_cndmask_b32_e64 v55, 0, v55, s0
.LBB113_53:                             ;   in Loop: Header=BB113_38 Depth=1
	s_wait_alu 0xfffe
	s_or_b32 exec_lo, exec_lo, s9
	v_lshlrev_b32_e32 v57, 16, v57
	v_lshlrev_b32_e32 v56, 16, v56
	;; [unrolled: 1-line block ×3, first 2 shown]
	s_delay_alu instid0(VALU_DEP_3) | instskip(NEXT) | instid1(VALU_DEP_3)
	v_and_or_b32 v1, 0xffff, v1, v57
	v_and_or_b32 v2, 0xffff, v2, v56
	s_delay_alu instid0(VALU_DEP_3)
	v_and_or_b32 v3, 0xffff, v3, v55
	;;#ASMSTART
	v_pk_mul_f16 v1, v35, v1;

	;;#ASMEND
	;;#ASMSTART
	v_pk_mul_f16 v2, v33, v2;

	;;#ASMEND
	;; [unrolled: 4-line block ×4, first 2 shown]
	;;#ASMSTART
	v_pk_add_f16 v1, v1, v2;

	;;#ASMEND
	;;#ASMSTART
	v_pk_add_f16 v1, v1, v3;

	;;#ASMEND
	;; [unrolled: 4-line block ×3, first 2 shown]
	v_and_b32_e32 v2, 0xffff, v1
	v_lshrrev_b32_e32 v1, 16, v1
	;;#ASMSTART
	v_cvt_f32_f16 v55, v2;
	;;#ASMEND
	;;#ASMSTART
	v_cvt_f32_f16 v56, v1;
	;;#ASMEND
	global_load_b128 v[1:4], v[7:8], off offset:3584
	s_wait_loadcnt 0x0
	v_lshrrev_b32_e32 v63, 16, v1
	v_lshrrev_b32_e32 v58, 16, v2
	;; [unrolled: 1-line block ×3, first 2 shown]
	s_and_saveexec_b32 s9, vcc_lo
	s_cbranch_execz .LBB113_55
; %bb.54:                               ;   in Loop: Header=BB113_38 Depth=1
	v_cmp_gt_i32_e64 s0, s31, v42
	v_and_b32_e32 v64, 0xffff, v4
	v_and_b32_e32 v4, 0xffff0000, v4
	s_wait_alu 0xf1ff
	s_delay_alu instid0(VALU_DEP_3) | instskip(SKIP_2) | instid1(VALU_DEP_1)
	v_cndmask_b32_e64 v1, 0, v1, s0
	v_cmp_gt_i32_e64 s0, s31, v44
	s_wait_alu 0xf1ff
	v_cndmask_b32_e64 v63, 0, v63, s0
	v_cmp_gt_i32_e64 s0, s31, v43
	s_wait_alu 0xf1ff
	s_delay_alu instid0(VALU_DEP_1) | instskip(SKIP_2) | instid1(VALU_DEP_1)
	v_cndmask_b32_e64 v2, 0, v2, s0
	v_cmp_gt_i32_e64 s0, s31, v34
	s_wait_alu 0xf1ff
	v_cndmask_b32_e64 v58, 0, v58, s0
	v_cmp_gt_i32_e64 s0, s31, v36
	s_wait_alu 0xf1ff
	s_delay_alu instid0(VALU_DEP_1) | instskip(SKIP_2) | instid1(VALU_DEP_1)
	v_cndmask_b32_e64 v64, 0, v64, s0
	v_cmp_gt_i32_e64 s0, s31, v38
	s_wait_alu 0xf1ff
	v_cndmask_b32_e64 v4, 0, v4, s0
	v_cmp_gt_i32_e64 s0, s31, v32
	s_delay_alu instid0(VALU_DEP_2) | instskip(SKIP_1) | instid1(VALU_DEP_2)
	v_or_b32_e32 v4, v64, v4
	s_wait_alu 0xf1ff
	v_cndmask_b32_e64 v3, 0, v3, s0
	v_cmp_gt_i32_e64 s0, s31, v31
	s_wait_alu 0xf1ff
	s_delay_alu instid0(VALU_DEP_1)
	v_cndmask_b32_e64 v57, 0, v57, s0
.LBB113_55:                             ;   in Loop: Header=BB113_38 Depth=1
	s_wait_alu 0xfffe
	s_or_b32 exec_lo, exec_lo, s9
	v_lshlrev_b32_e32 v63, 16, v63
	v_lshlrev_b32_e32 v58, 16, v58
	;; [unrolled: 1-line block ×3, first 2 shown]
	s_delay_alu instid0(VALU_DEP_3) | instskip(NEXT) | instid1(VALU_DEP_3)
	v_and_or_b32 v1, 0xffff, v1, v63
	v_and_or_b32 v2, 0xffff, v2, v58
	s_delay_alu instid0(VALU_DEP_3)
	v_and_or_b32 v3, 0xffff, v3, v57
	;;#ASMSTART
	v_pk_mul_f16 v1, v35, v1;

	;;#ASMEND
	;;#ASMSTART
	v_pk_mul_f16 v2, v33, v2;

	;;#ASMEND
	;; [unrolled: 4-line block ×4, first 2 shown]
	;;#ASMSTART
	v_pk_add_f16 v1, v1, v2;

	;;#ASMEND
	;;#ASMSTART
	v_pk_add_f16 v1, v1, v3;

	;;#ASMEND
	;; [unrolled: 4-line block ×3, first 2 shown]
	v_and_b32_e32 v2, 0xffff, v1
	v_lshrrev_b32_e32 v1, 16, v1
	;;#ASMSTART
	v_cvt_f32_f16 v57, v2;
	;;#ASMEND
	;;#ASMSTART
	v_cvt_f32_f16 v58, v1;
	;;#ASMEND
	global_load_b128 v[1:4], v[7:8], off offset:4096
	s_wait_loadcnt 0x0
	v_lshrrev_b32_e32 v65, 16, v1
	v_lshrrev_b32_e32 v64, 16, v2
	;; [unrolled: 1-line block ×3, first 2 shown]
	s_and_saveexec_b32 s9, vcc_lo
	s_cbranch_execz .LBB113_57
; %bb.56:                               ;   in Loop: Header=BB113_38 Depth=1
	v_cmp_gt_i32_e64 s0, s31, v42
	v_and_b32_e32 v66, 0xffff, v4
	v_and_b32_e32 v4, 0xffff0000, v4
	s_wait_alu 0xf1ff
	s_delay_alu instid0(VALU_DEP_3) | instskip(SKIP_2) | instid1(VALU_DEP_1)
	v_cndmask_b32_e64 v1, 0, v1, s0
	v_cmp_gt_i32_e64 s0, s31, v44
	s_wait_alu 0xf1ff
	v_cndmask_b32_e64 v65, 0, v65, s0
	v_cmp_gt_i32_e64 s0, s31, v43
	s_wait_alu 0xf1ff
	s_delay_alu instid0(VALU_DEP_1) | instskip(SKIP_2) | instid1(VALU_DEP_1)
	v_cndmask_b32_e64 v2, 0, v2, s0
	v_cmp_gt_i32_e64 s0, s31, v34
	s_wait_alu 0xf1ff
	v_cndmask_b32_e64 v64, 0, v64, s0
	v_cmp_gt_i32_e64 s0, s31, v36
	s_wait_alu 0xf1ff
	s_delay_alu instid0(VALU_DEP_1) | instskip(SKIP_2) | instid1(VALU_DEP_1)
	v_cndmask_b32_e64 v66, 0, v66, s0
	v_cmp_gt_i32_e64 s0, s31, v38
	s_wait_alu 0xf1ff
	v_cndmask_b32_e64 v4, 0, v4, s0
	v_cmp_gt_i32_e64 s0, s31, v32
	s_delay_alu instid0(VALU_DEP_2) | instskip(SKIP_1) | instid1(VALU_DEP_2)
	v_or_b32_e32 v4, v66, v4
	s_wait_alu 0xf1ff
	v_cndmask_b32_e64 v3, 0, v3, s0
	v_cmp_gt_i32_e64 s0, s31, v31
	s_wait_alu 0xf1ff
	s_delay_alu instid0(VALU_DEP_1)
	v_cndmask_b32_e64 v63, 0, v63, s0
.LBB113_57:                             ;   in Loop: Header=BB113_38 Depth=1
	s_wait_alu 0xfffe
	s_or_b32 exec_lo, exec_lo, s9
	v_lshlrev_b32_e32 v65, 16, v65
	v_lshlrev_b32_e32 v64, 16, v64
	;; [unrolled: 1-line block ×3, first 2 shown]
	s_delay_alu instid0(VALU_DEP_3) | instskip(NEXT) | instid1(VALU_DEP_3)
	v_and_or_b32 v1, 0xffff, v1, v65
	v_and_or_b32 v2, 0xffff, v2, v64
	s_delay_alu instid0(VALU_DEP_3)
	v_and_or_b32 v3, 0xffff, v3, v63
	;;#ASMSTART
	v_pk_mul_f16 v1, v35, v1;

	;;#ASMEND
	;;#ASMSTART
	v_pk_mul_f16 v2, v33, v2;

	;;#ASMEND
	;;#ASMSTART
	v_pk_mul_f16 v3, v40, v3;

	;;#ASMEND
	;;#ASMSTART
	v_pk_mul_f16 v4, v41, v4;

	;;#ASMEND
	;;#ASMSTART
	v_pk_add_f16 v1, v1, v2;

	;;#ASMEND
	;;#ASMSTART
	v_pk_add_f16 v1, v1, v3;

	;;#ASMEND
	;; [unrolled: 4-line block ×3, first 2 shown]
	v_and_b32_e32 v2, 0xffff, v1
	v_lshrrev_b32_e32 v1, 16, v1
	;;#ASMSTART
	v_cvt_f32_f16 v63, v2;
	;;#ASMEND
	;;#ASMSTART
	v_cvt_f32_f16 v64, v1;
	;;#ASMEND
	global_load_b128 v[1:4], v[7:8], off offset:4608
	s_wait_loadcnt 0x0
	v_lshrrev_b32_e32 v67, 16, v1
	v_lshrrev_b32_e32 v66, 16, v2
	;; [unrolled: 1-line block ×3, first 2 shown]
	s_and_saveexec_b32 s9, vcc_lo
	s_cbranch_execz .LBB113_59
; %bb.58:                               ;   in Loop: Header=BB113_38 Depth=1
	v_cmp_gt_i32_e64 s0, s31, v42
	v_and_b32_e32 v68, 0xffff, v4
	v_and_b32_e32 v4, 0xffff0000, v4
	s_wait_alu 0xf1ff
	s_delay_alu instid0(VALU_DEP_3) | instskip(SKIP_2) | instid1(VALU_DEP_1)
	v_cndmask_b32_e64 v1, 0, v1, s0
	v_cmp_gt_i32_e64 s0, s31, v44
	s_wait_alu 0xf1ff
	v_cndmask_b32_e64 v67, 0, v67, s0
	v_cmp_gt_i32_e64 s0, s31, v43
	s_wait_alu 0xf1ff
	s_delay_alu instid0(VALU_DEP_1) | instskip(SKIP_2) | instid1(VALU_DEP_1)
	v_cndmask_b32_e64 v2, 0, v2, s0
	v_cmp_gt_i32_e64 s0, s31, v34
	s_wait_alu 0xf1ff
	v_cndmask_b32_e64 v66, 0, v66, s0
	v_cmp_gt_i32_e64 s0, s31, v36
	s_wait_alu 0xf1ff
	s_delay_alu instid0(VALU_DEP_1) | instskip(SKIP_2) | instid1(VALU_DEP_1)
	v_cndmask_b32_e64 v68, 0, v68, s0
	v_cmp_gt_i32_e64 s0, s31, v38
	s_wait_alu 0xf1ff
	v_cndmask_b32_e64 v4, 0, v4, s0
	v_cmp_gt_i32_e64 s0, s31, v32
	s_delay_alu instid0(VALU_DEP_2) | instskip(SKIP_1) | instid1(VALU_DEP_2)
	v_or_b32_e32 v4, v68, v4
	s_wait_alu 0xf1ff
	v_cndmask_b32_e64 v3, 0, v3, s0
	v_cmp_gt_i32_e64 s0, s31, v31
	s_wait_alu 0xf1ff
	s_delay_alu instid0(VALU_DEP_1)
	v_cndmask_b32_e64 v65, 0, v65, s0
.LBB113_59:                             ;   in Loop: Header=BB113_38 Depth=1
	s_wait_alu 0xfffe
	s_or_b32 exec_lo, exec_lo, s9
	v_lshlrev_b32_e32 v67, 16, v67
	v_lshlrev_b32_e32 v66, 16, v66
	;; [unrolled: 1-line block ×3, first 2 shown]
	s_delay_alu instid0(VALU_DEP_3) | instskip(NEXT) | instid1(VALU_DEP_3)
	v_and_or_b32 v1, 0xffff, v1, v67
	v_and_or_b32 v2, 0xffff, v2, v66
	s_delay_alu instid0(VALU_DEP_3)
	v_and_or_b32 v3, 0xffff, v3, v65
	;;#ASMSTART
	v_pk_mul_f16 v1, v35, v1;

	;;#ASMEND
	;;#ASMSTART
	v_pk_mul_f16 v2, v33, v2;

	;;#ASMEND
	;; [unrolled: 4-line block ×4, first 2 shown]
	;;#ASMSTART
	v_pk_add_f16 v1, v1, v2;

	;;#ASMEND
	;;#ASMSTART
	v_pk_add_f16 v1, v1, v3;

	;;#ASMEND
	;; [unrolled: 4-line block ×3, first 2 shown]
	v_and_b32_e32 v2, 0xffff, v1
	v_lshrrev_b32_e32 v1, 16, v1
	;;#ASMSTART
	v_cvt_f32_f16 v65, v2;
	;;#ASMEND
	;;#ASMSTART
	v_cvt_f32_f16 v66, v1;
	;;#ASMEND
	global_load_b128 v[1:4], v[7:8], off offset:5120
	s_wait_loadcnt 0x0
	v_lshrrev_b32_e32 v69, 16, v1
	v_lshrrev_b32_e32 v68, 16, v2
	;; [unrolled: 1-line block ×3, first 2 shown]
	s_and_saveexec_b32 s9, vcc_lo
	s_cbranch_execz .LBB113_61
; %bb.60:                               ;   in Loop: Header=BB113_38 Depth=1
	v_cmp_gt_i32_e64 s0, s31, v42
	v_and_b32_e32 v70, 0xffff, v4
	v_and_b32_e32 v4, 0xffff0000, v4
	s_wait_alu 0xf1ff
	s_delay_alu instid0(VALU_DEP_3) | instskip(SKIP_2) | instid1(VALU_DEP_1)
	v_cndmask_b32_e64 v1, 0, v1, s0
	v_cmp_gt_i32_e64 s0, s31, v44
	s_wait_alu 0xf1ff
	v_cndmask_b32_e64 v69, 0, v69, s0
	v_cmp_gt_i32_e64 s0, s31, v43
	s_wait_alu 0xf1ff
	s_delay_alu instid0(VALU_DEP_1) | instskip(SKIP_2) | instid1(VALU_DEP_1)
	v_cndmask_b32_e64 v2, 0, v2, s0
	v_cmp_gt_i32_e64 s0, s31, v34
	s_wait_alu 0xf1ff
	v_cndmask_b32_e64 v68, 0, v68, s0
	v_cmp_gt_i32_e64 s0, s31, v36
	s_wait_alu 0xf1ff
	s_delay_alu instid0(VALU_DEP_1) | instskip(SKIP_2) | instid1(VALU_DEP_1)
	v_cndmask_b32_e64 v70, 0, v70, s0
	v_cmp_gt_i32_e64 s0, s31, v38
	s_wait_alu 0xf1ff
	v_cndmask_b32_e64 v4, 0, v4, s0
	v_cmp_gt_i32_e64 s0, s31, v32
	s_delay_alu instid0(VALU_DEP_2) | instskip(SKIP_1) | instid1(VALU_DEP_2)
	v_or_b32_e32 v4, v70, v4
	s_wait_alu 0xf1ff
	v_cndmask_b32_e64 v3, 0, v3, s0
	v_cmp_gt_i32_e64 s0, s31, v31
	s_wait_alu 0xf1ff
	s_delay_alu instid0(VALU_DEP_1)
	v_cndmask_b32_e64 v67, 0, v67, s0
.LBB113_61:                             ;   in Loop: Header=BB113_38 Depth=1
	s_wait_alu 0xfffe
	s_or_b32 exec_lo, exec_lo, s9
	v_lshlrev_b32_e32 v69, 16, v69
	v_lshlrev_b32_e32 v68, 16, v68
	;; [unrolled: 1-line block ×3, first 2 shown]
	s_delay_alu instid0(VALU_DEP_3) | instskip(NEXT) | instid1(VALU_DEP_3)
	v_and_or_b32 v1, 0xffff, v1, v69
	v_and_or_b32 v2, 0xffff, v2, v68
	s_delay_alu instid0(VALU_DEP_3)
	v_and_or_b32 v3, 0xffff, v3, v67
	;;#ASMSTART
	v_pk_mul_f16 v1, v35, v1;

	;;#ASMEND
	;;#ASMSTART
	v_pk_mul_f16 v2, v33, v2;

	;;#ASMEND
	;; [unrolled: 4-line block ×4, first 2 shown]
	;;#ASMSTART
	v_pk_add_f16 v1, v1, v2;

	;;#ASMEND
	;;#ASMSTART
	v_pk_add_f16 v1, v1, v3;

	;;#ASMEND
	;; [unrolled: 4-line block ×3, first 2 shown]
	v_and_b32_e32 v2, 0xffff, v1
	v_lshrrev_b32_e32 v1, 16, v1
	;;#ASMSTART
	v_cvt_f32_f16 v67, v2;
	;;#ASMEND
	;;#ASMSTART
	v_cvt_f32_f16 v68, v1;
	;;#ASMEND
	global_load_b128 v[1:4], v[7:8], off offset:5632
	s_wait_loadcnt 0x0
	v_lshrrev_b32_e32 v71, 16, v1
	v_lshrrev_b32_e32 v70, 16, v2
	;; [unrolled: 1-line block ×3, first 2 shown]
	s_and_saveexec_b32 s9, vcc_lo
	s_cbranch_execz .LBB113_63
; %bb.62:                               ;   in Loop: Header=BB113_38 Depth=1
	v_cmp_gt_i32_e64 s0, s31, v42
	v_and_b32_e32 v72, 0xffff, v4
	v_and_b32_e32 v4, 0xffff0000, v4
	s_wait_alu 0xf1ff
	s_delay_alu instid0(VALU_DEP_3) | instskip(SKIP_2) | instid1(VALU_DEP_1)
	v_cndmask_b32_e64 v1, 0, v1, s0
	v_cmp_gt_i32_e64 s0, s31, v44
	s_wait_alu 0xf1ff
	v_cndmask_b32_e64 v71, 0, v71, s0
	v_cmp_gt_i32_e64 s0, s31, v43
	s_wait_alu 0xf1ff
	s_delay_alu instid0(VALU_DEP_1) | instskip(SKIP_2) | instid1(VALU_DEP_1)
	v_cndmask_b32_e64 v2, 0, v2, s0
	v_cmp_gt_i32_e64 s0, s31, v34
	s_wait_alu 0xf1ff
	v_cndmask_b32_e64 v70, 0, v70, s0
	v_cmp_gt_i32_e64 s0, s31, v36
	s_wait_alu 0xf1ff
	s_delay_alu instid0(VALU_DEP_1) | instskip(SKIP_2) | instid1(VALU_DEP_1)
	v_cndmask_b32_e64 v72, 0, v72, s0
	v_cmp_gt_i32_e64 s0, s31, v38
	s_wait_alu 0xf1ff
	v_cndmask_b32_e64 v4, 0, v4, s0
	v_cmp_gt_i32_e64 s0, s31, v32
	s_delay_alu instid0(VALU_DEP_2) | instskip(SKIP_1) | instid1(VALU_DEP_2)
	v_or_b32_e32 v4, v72, v4
	s_wait_alu 0xf1ff
	v_cndmask_b32_e64 v3, 0, v3, s0
	v_cmp_gt_i32_e64 s0, s31, v31
	s_wait_alu 0xf1ff
	s_delay_alu instid0(VALU_DEP_1)
	v_cndmask_b32_e64 v69, 0, v69, s0
.LBB113_63:                             ;   in Loop: Header=BB113_38 Depth=1
	s_wait_alu 0xfffe
	s_or_b32 exec_lo, exec_lo, s9
	v_lshlrev_b32_e32 v71, 16, v71
	v_lshlrev_b32_e32 v70, 16, v70
	;; [unrolled: 1-line block ×3, first 2 shown]
	s_delay_alu instid0(VALU_DEP_3) | instskip(NEXT) | instid1(VALU_DEP_3)
	v_and_or_b32 v1, 0xffff, v1, v71
	v_and_or_b32 v2, 0xffff, v2, v70
	s_delay_alu instid0(VALU_DEP_3)
	v_and_or_b32 v3, 0xffff, v3, v69
	;;#ASMSTART
	v_pk_mul_f16 v1, v35, v1;

	;;#ASMEND
	;;#ASMSTART
	v_pk_mul_f16 v2, v33, v2;

	;;#ASMEND
	;; [unrolled: 4-line block ×4, first 2 shown]
	;;#ASMSTART
	v_pk_add_f16 v1, v1, v2;

	;;#ASMEND
	;;#ASMSTART
	v_pk_add_f16 v1, v1, v3;

	;;#ASMEND
	;;#ASMSTART
	v_pk_add_f16 v1, v1, v4;

	;;#ASMEND
	v_and_b32_e32 v2, 0xffff, v1
	v_lshrrev_b32_e32 v1, 16, v1
	;;#ASMSTART
	v_cvt_f32_f16 v69, v2;
	;;#ASMEND
	;;#ASMSTART
	v_cvt_f32_f16 v70, v1;
	;;#ASMEND
	global_load_b128 v[1:4], v[7:8], off offset:6144
	s_wait_loadcnt 0x0
	v_lshrrev_b32_e32 v73, 16, v1
	v_lshrrev_b32_e32 v72, 16, v2
	;; [unrolled: 1-line block ×3, first 2 shown]
	s_and_saveexec_b32 s9, vcc_lo
	s_cbranch_execz .LBB113_65
; %bb.64:                               ;   in Loop: Header=BB113_38 Depth=1
	v_cmp_gt_i32_e64 s0, s31, v42
	v_and_b32_e32 v74, 0xffff, v4
	v_and_b32_e32 v4, 0xffff0000, v4
	s_wait_alu 0xf1ff
	s_delay_alu instid0(VALU_DEP_3) | instskip(SKIP_2) | instid1(VALU_DEP_1)
	v_cndmask_b32_e64 v1, 0, v1, s0
	v_cmp_gt_i32_e64 s0, s31, v44
	s_wait_alu 0xf1ff
	v_cndmask_b32_e64 v73, 0, v73, s0
	v_cmp_gt_i32_e64 s0, s31, v43
	s_wait_alu 0xf1ff
	s_delay_alu instid0(VALU_DEP_1) | instskip(SKIP_2) | instid1(VALU_DEP_1)
	v_cndmask_b32_e64 v2, 0, v2, s0
	v_cmp_gt_i32_e64 s0, s31, v34
	s_wait_alu 0xf1ff
	v_cndmask_b32_e64 v72, 0, v72, s0
	v_cmp_gt_i32_e64 s0, s31, v36
	s_wait_alu 0xf1ff
	s_delay_alu instid0(VALU_DEP_1) | instskip(SKIP_2) | instid1(VALU_DEP_1)
	v_cndmask_b32_e64 v74, 0, v74, s0
	v_cmp_gt_i32_e64 s0, s31, v38
	s_wait_alu 0xf1ff
	v_cndmask_b32_e64 v4, 0, v4, s0
	v_cmp_gt_i32_e64 s0, s31, v32
	s_delay_alu instid0(VALU_DEP_2) | instskip(SKIP_1) | instid1(VALU_DEP_2)
	v_or_b32_e32 v4, v74, v4
	s_wait_alu 0xf1ff
	v_cndmask_b32_e64 v3, 0, v3, s0
	v_cmp_gt_i32_e64 s0, s31, v31
	s_wait_alu 0xf1ff
	s_delay_alu instid0(VALU_DEP_1)
	v_cndmask_b32_e64 v71, 0, v71, s0
.LBB113_65:                             ;   in Loop: Header=BB113_38 Depth=1
	s_wait_alu 0xfffe
	s_or_b32 exec_lo, exec_lo, s9
	v_lshlrev_b32_e32 v73, 16, v73
	v_lshlrev_b32_e32 v72, 16, v72
	v_lshlrev_b32_e32 v71, 16, v71
	s_delay_alu instid0(VALU_DEP_3) | instskip(NEXT) | instid1(VALU_DEP_3)
	v_and_or_b32 v1, 0xffff, v1, v73
	v_and_or_b32 v2, 0xffff, v2, v72
	s_delay_alu instid0(VALU_DEP_3)
	v_and_or_b32 v3, 0xffff, v3, v71
	;;#ASMSTART
	v_pk_mul_f16 v1, v35, v1;

	;;#ASMEND
	;;#ASMSTART
	v_pk_mul_f16 v2, v33, v2;

	;;#ASMEND
	;; [unrolled: 4-line block ×4, first 2 shown]
	;;#ASMSTART
	v_pk_add_f16 v1, v1, v2;

	;;#ASMEND
	;;#ASMSTART
	v_pk_add_f16 v1, v1, v3;

	;;#ASMEND
	;;#ASMSTART
	v_pk_add_f16 v1, v1, v4;

	;;#ASMEND
	v_and_b32_e32 v2, 0xffff, v1
	v_lshrrev_b32_e32 v1, 16, v1
	;;#ASMSTART
	v_cvt_f32_f16 v71, v2;
	;;#ASMEND
	;;#ASMSTART
	v_cvt_f32_f16 v72, v1;
	;;#ASMEND
	global_load_b128 v[1:4], v[7:8], off offset:6656
	s_wait_loadcnt 0x0
	v_lshrrev_b32_e32 v75, 16, v1
	v_lshrrev_b32_e32 v74, 16, v2
	;; [unrolled: 1-line block ×3, first 2 shown]
	s_and_saveexec_b32 s9, vcc_lo
	s_cbranch_execz .LBB113_67
; %bb.66:                               ;   in Loop: Header=BB113_38 Depth=1
	v_cmp_gt_i32_e64 s0, s31, v42
	v_and_b32_e32 v76, 0xffff, v4
	v_and_b32_e32 v4, 0xffff0000, v4
	s_wait_alu 0xf1ff
	s_delay_alu instid0(VALU_DEP_3) | instskip(SKIP_2) | instid1(VALU_DEP_1)
	v_cndmask_b32_e64 v1, 0, v1, s0
	v_cmp_gt_i32_e64 s0, s31, v44
	s_wait_alu 0xf1ff
	v_cndmask_b32_e64 v75, 0, v75, s0
	v_cmp_gt_i32_e64 s0, s31, v43
	s_wait_alu 0xf1ff
	s_delay_alu instid0(VALU_DEP_1) | instskip(SKIP_2) | instid1(VALU_DEP_1)
	v_cndmask_b32_e64 v2, 0, v2, s0
	v_cmp_gt_i32_e64 s0, s31, v34
	s_wait_alu 0xf1ff
	v_cndmask_b32_e64 v74, 0, v74, s0
	v_cmp_gt_i32_e64 s0, s31, v36
	s_wait_alu 0xf1ff
	s_delay_alu instid0(VALU_DEP_1) | instskip(SKIP_2) | instid1(VALU_DEP_1)
	v_cndmask_b32_e64 v76, 0, v76, s0
	v_cmp_gt_i32_e64 s0, s31, v38
	s_wait_alu 0xf1ff
	v_cndmask_b32_e64 v4, 0, v4, s0
	v_cmp_gt_i32_e64 s0, s31, v32
	s_delay_alu instid0(VALU_DEP_2) | instskip(SKIP_1) | instid1(VALU_DEP_2)
	v_or_b32_e32 v4, v76, v4
	s_wait_alu 0xf1ff
	v_cndmask_b32_e64 v3, 0, v3, s0
	v_cmp_gt_i32_e64 s0, s31, v31
	s_wait_alu 0xf1ff
	s_delay_alu instid0(VALU_DEP_1)
	v_cndmask_b32_e64 v73, 0, v73, s0
.LBB113_67:                             ;   in Loop: Header=BB113_38 Depth=1
	s_wait_alu 0xfffe
	s_or_b32 exec_lo, exec_lo, s9
	v_lshlrev_b32_e32 v75, 16, v75
	v_lshlrev_b32_e32 v74, 16, v74
	;; [unrolled: 1-line block ×3, first 2 shown]
	s_delay_alu instid0(VALU_DEP_3) | instskip(NEXT) | instid1(VALU_DEP_3)
	v_and_or_b32 v1, 0xffff, v1, v75
	v_and_or_b32 v2, 0xffff, v2, v74
	s_delay_alu instid0(VALU_DEP_3)
	v_and_or_b32 v3, 0xffff, v3, v73
	;;#ASMSTART
	v_pk_mul_f16 v1, v35, v1;

	;;#ASMEND
	;;#ASMSTART
	v_pk_mul_f16 v2, v33, v2;

	;;#ASMEND
	;; [unrolled: 4-line block ×4, first 2 shown]
	;;#ASMSTART
	v_pk_add_f16 v1, v1, v2;

	;;#ASMEND
	;;#ASMSTART
	v_pk_add_f16 v1, v1, v3;

	;;#ASMEND
	;; [unrolled: 4-line block ×3, first 2 shown]
	v_and_b32_e32 v2, 0xffff, v1
	v_lshrrev_b32_e32 v1, 16, v1
	;;#ASMSTART
	v_cvt_f32_f16 v74, v2;
	;;#ASMEND
	;;#ASMSTART
	v_cvt_f32_f16 v75, v1;
	;;#ASMEND
	global_load_b128 v[1:4], v[7:8], off offset:7168
	s_wait_loadcnt 0x0
	v_lshrrev_b32_e32 v73, 16, v1
	v_lshrrev_b32_e32 v8, 16, v2
	;; [unrolled: 1-line block ×3, first 2 shown]
	s_and_saveexec_b32 s0, vcc_lo
	s_cbranch_execz .LBB113_36
; %bb.68:                               ;   in Loop: Header=BB113_38 Depth=1
	v_cmp_gt_i32_e32 vcc_lo, s31, v42
	v_and_b32_e32 v42, 0xffff, v4
	s_wait_alu 0xfffd
	v_dual_cndmask_b32 v1, 0, v1 :: v_dual_and_b32 v4, 0xffff0000, v4
	v_cmp_gt_i32_e32 vcc_lo, s31, v44
	s_wait_alu 0xfffd
	v_cndmask_b32_e32 v73, 0, v73, vcc_lo
	v_cmp_gt_i32_e32 vcc_lo, s31, v43
	s_wait_alu 0xfffd
	v_cndmask_b32_e32 v2, 0, v2, vcc_lo
	v_cmp_gt_i32_e32 vcc_lo, s31, v34
	s_wait_alu 0xfffd
	v_cndmask_b32_e32 v8, 0, v8, vcc_lo
	v_cmp_gt_i32_e32 vcc_lo, s31, v36
	s_wait_alu 0xfffd
	v_cndmask_b32_e32 v34, 0, v42, vcc_lo
	v_cmp_gt_i32_e32 vcc_lo, s31, v38
	s_wait_alu 0xfffd
	v_cndmask_b32_e32 v4, 0, v4, vcc_lo
	v_cmp_gt_i32_e32 vcc_lo, s31, v32
	s_delay_alu instid0(VALU_DEP_2)
	v_or_b32_e32 v4, v34, v4
	s_wait_alu 0xfffd
	v_cndmask_b32_e32 v3, 0, v3, vcc_lo
	v_cmp_gt_i32_e32 vcc_lo, s31, v31
	s_wait_alu 0xfffd
	v_cndmask_b32_e32 v7, 0, v7, vcc_lo
	s_branch .LBB113_36
.LBB113_69:
	s_or_b32 exec_lo, exec_lo, s5
.LBB113_70:
	s_wait_alu 0xfffe
	s_or_b32 exec_lo, exec_lo, s1
	ds_bpermute_b32 v1, v10, v25
	ds_bpermute_b32 v3, v10, v24
	;; [unrolled: 1-line block ×15, first 2 shown]
	s_mov_b32 s0, exec_lo
	s_wait_storecnt 0x0
	s_wait_loadcnt_dscnt 0x0
	s_barrier_signal -1
	s_barrier_wait -1
	global_inv scope:SCOPE_SE
	v_add_f32_e32 v1, v25, v1
	v_add_f32_e32 v3, v24, v3
	;; [unrolled: 1-line block ×5, first 2 shown]
	v_dual_add_f32 v6, v21, v6 :: v_dual_add_f32 v7, v20, v7
	ds_bpermute_b32 v20, v9, v1
	ds_bpermute_b32 v22, v9, v3
	;; [unrolled: 1-line block ×3, first 2 shown]
	v_dual_add_f32 v18, v18, v27 :: v_dual_add_f32 v17, v17, v28
	v_dual_add_f32 v8, v19, v8 :: v_dual_add_f32 v27, v16, v29
	v_dual_add_f32 v32, v13, v32 :: v_dual_add_f32 v29, v15, v30
	ds_bpermute_b32 v30, v9, v17
	v_add_f32_e32 v31, v14, v31
	v_add_f32_e32 v35, v12, v10
	ds_bpermute_b32 v21, v9, v2
	ds_bpermute_b32 v23, v9, v4
	;; [unrolled: 1-line block ×8, first 2 shown]
	s_wait_dscnt 0xb
	v_add_f32_e32 v16, v1, v20
	ds_bpermute_b32 v34, v9, v29
	s_wait_dscnt 0xb
	v_add_f32_e32 v14, v3, v22
	ds_bpermute_b32 v36, v9, v31
	;; [unrolled: 3-line block ×3, first 2 shown]
	s_wait_dscnt 0xb
	v_dual_add_f32 v5, v17, v30 :: v_dual_and_b32 v20, 0x3c3, v0
	v_and_b32_e32 v17, 28, v60
	s_wait_dscnt 0xa
	v_add_f32_e32 v15, v2, v21
	s_wait_dscnt 0x9
	v_add_f32_e32 v13, v4, v23
	s_wait_dscnt 0x7
	v_dual_add_f32 v10, v6, v19 :: v_dual_add_f32 v9, v7, v25
	s_wait_dscnt 0x5
	v_dual_add_f32 v8, v8, v26 :: v_dual_add_f32 v7, v18, v28
	s_wait_dscnt 0x4
	v_add_f32_e32 v3, v27, v33
	s_wait_dscnt 0x3
	v_add_f32_e32 v4, v32, v37
	v_lshrrev_b32_e32 v18, 2, v60
	s_wait_dscnt 0x2
	v_add_f32_e32 v2, v29, v34
	v_mul_u32_u24_e32 v19, 0x1e0, v59
	s_wait_dscnt 0x1
	v_add_f32_e32 v1, v31, v36
	s_wait_dscnt 0x0
	v_dual_add_f32 v6, v35, v38 :: v_dual_add_nc_u32 v17, 0x110, v17
	v_cmpx_eq_u32_e32 64, v20
	s_cbranch_execz .LBB113_72
; %bb.71:
	s_delay_alu instid0(VALU_DEP_2) | instskip(NEXT) | instid1(VALU_DEP_1)
	v_add_nc_u32_e32 v20, v17, v19
	v_add_nc_u32_e32 v21, 0xfffffc40, v20
	;; [unrolled: 1-line block ×9, first 2 shown]
	ds_store_b32 v21, v16
	ds_store_b32 v22, v15
	;; [unrolled: 1-line block ×8, first 2 shown]
	v_add_nc_u32_e32 v21, 0xfffffd40, v20
	v_add_nc_u32_e32 v22, 0xfffffd60, v20
	;; [unrolled: 1-line block ×7, first 2 shown]
	ds_store_b32 v21, v7
	ds_store_b32 v22, v5
	;; [unrolled: 1-line block ×7, first 2 shown]
.LBB113_72:
	s_wait_alu 0xfffe
	s_or_b32 exec_lo, exec_lo, s0
	v_lshlrev_b32_e32 v18, 2, v18
	v_cmp_eq_u32_e32 vcc_lo, 0, v11
	s_mov_b32 s1, exec_lo
	s_wait_loadcnt_dscnt 0x0
	s_barrier_signal -1
	v_add3_u32 v11, 0x110, v19, v18
	s_barrier_wait -1
	global_inv scope:SCOPE_SE
	v_cmpx_gt_u32_e32 64, v0
	s_cbranch_execz .LBB113_90
; %bb.73:
	s_and_saveexec_b32 s0, vcc_lo
	s_cbranch_execnz .LBB113_113
; %bb.74:
	s_wait_alu 0xfffe
	s_or_b32 exec_lo, exec_lo, s0
	s_and_saveexec_b32 s0, vcc_lo
	s_cbranch_execnz .LBB113_114
.LBB113_75:
	s_wait_alu 0xfffe
	s_or_b32 exec_lo, exec_lo, s0
	s_and_saveexec_b32 s0, vcc_lo
	s_cbranch_execnz .LBB113_115
.LBB113_76:
	s_wait_alu 0xfffe
	s_or_b32 exec_lo, exec_lo, s0
	s_and_saveexec_b32 s0, vcc_lo
	s_cbranch_execnz .LBB113_116
.LBB113_77:
	s_wait_alu 0xfffe
	s_or_b32 exec_lo, exec_lo, s0
	s_and_saveexec_b32 s0, vcc_lo
	s_cbranch_execnz .LBB113_117
.LBB113_78:
	s_wait_alu 0xfffe
	s_or_b32 exec_lo, exec_lo, s0
	s_and_saveexec_b32 s0, vcc_lo
	s_cbranch_execnz .LBB113_118
.LBB113_79:
	s_wait_alu 0xfffe
	s_or_b32 exec_lo, exec_lo, s0
	s_and_saveexec_b32 s0, vcc_lo
	s_cbranch_execnz .LBB113_119
.LBB113_80:
	s_wait_alu 0xfffe
	s_or_b32 exec_lo, exec_lo, s0
	s_and_saveexec_b32 s0, vcc_lo
	s_cbranch_execnz .LBB113_120
.LBB113_81:
	s_wait_alu 0xfffe
	s_or_b32 exec_lo, exec_lo, s0
	s_and_saveexec_b32 s0, vcc_lo
	s_cbranch_execnz .LBB113_121
.LBB113_82:
	s_wait_alu 0xfffe
	s_or_b32 exec_lo, exec_lo, s0
	s_and_saveexec_b32 s0, vcc_lo
	s_cbranch_execnz .LBB113_122
.LBB113_83:
	s_wait_alu 0xfffe
	s_or_b32 exec_lo, exec_lo, s0
	s_and_saveexec_b32 s0, vcc_lo
	s_cbranch_execnz .LBB113_123
.LBB113_84:
	s_wait_alu 0xfffe
	s_or_b32 exec_lo, exec_lo, s0
	s_and_saveexec_b32 s0, vcc_lo
	s_cbranch_execnz .LBB113_124
.LBB113_85:
	s_wait_alu 0xfffe
	s_or_b32 exec_lo, exec_lo, s0
	s_and_saveexec_b32 s0, vcc_lo
	s_cbranch_execnz .LBB113_125
.LBB113_86:
	s_wait_alu 0xfffe
	s_or_b32 exec_lo, exec_lo, s0
	s_and_saveexec_b32 s0, vcc_lo
	s_cbranch_execnz .LBB113_126
.LBB113_87:
	s_wait_alu 0xfffe
	s_or_b32 exec_lo, exec_lo, s0
	s_and_saveexec_b32 s0, vcc_lo
	s_cbranch_execz .LBB113_89
.LBB113_88:
	ds_load_b32 v18, v11 offset:448
	s_wait_dscnt 0x0
	v_add_f32_e32 v6, v6, v18
.LBB113_89:
	s_wait_alu 0xfffe
	s_or_b32 exec_lo, exec_lo, s0
.LBB113_90:
	s_wait_alu 0xfffe
	s_or_b32 exec_lo, exec_lo, s1
	v_and_b32_e32 v18, 0x3e3, v0
	s_mov_b32 s1, exec_lo
	s_wait_loadcnt 0x0
	s_barrier_signal -1
	s_barrier_wait -1
	global_inv scope:SCOPE_SE
	v_cmpx_eq_u32_e32 32, v18
	s_cbranch_execz .LBB113_92
; %bb.91:
	ds_store_2addr_b32 v17, v16, v15 offset1:8
	ds_store_2addr_b32 v17, v14, v13 offset0:16 offset1:24
	ds_store_2addr_b32 v17, v12, v10 offset0:32 offset1:40
	;; [unrolled: 1-line block ×6, first 2 shown]
	ds_store_b32 v17, v6 offset:448
.LBB113_92:
	s_wait_alu 0xfffe
	s_or_b32 exec_lo, exec_lo, s1
	s_delay_alu instid0(SALU_CYCLE_1)
	s_mov_b32 s1, exec_lo
	s_wait_loadcnt_dscnt 0x0
	s_barrier_signal -1
	s_barrier_wait -1
	global_inv scope:SCOPE_SE
	v_cmpx_gt_u32_e32 32, v0
	s_cbranch_execz .LBB113_110
; %bb.93:
	s_and_saveexec_b32 s0, vcc_lo
	s_cbranch_execnz .LBB113_127
; %bb.94:
	s_wait_alu 0xfffe
	s_or_b32 exec_lo, exec_lo, s0
	s_and_saveexec_b32 s0, vcc_lo
	s_cbranch_execnz .LBB113_128
.LBB113_95:
	s_wait_alu 0xfffe
	s_or_b32 exec_lo, exec_lo, s0
	s_and_saveexec_b32 s0, vcc_lo
	s_cbranch_execnz .LBB113_129
.LBB113_96:
	s_wait_alu 0xfffe
	s_or_b32 exec_lo, exec_lo, s0
	s_and_saveexec_b32 s0, vcc_lo
	s_cbranch_execnz .LBB113_130
.LBB113_97:
	s_wait_alu 0xfffe
	s_or_b32 exec_lo, exec_lo, s0
	s_and_saveexec_b32 s0, vcc_lo
	s_cbranch_execnz .LBB113_131
.LBB113_98:
	s_wait_alu 0xfffe
	s_or_b32 exec_lo, exec_lo, s0
	s_and_saveexec_b32 s0, vcc_lo
	s_cbranch_execnz .LBB113_132
.LBB113_99:
	s_wait_alu 0xfffe
	s_or_b32 exec_lo, exec_lo, s0
	s_and_saveexec_b32 s0, vcc_lo
	s_cbranch_execnz .LBB113_133
.LBB113_100:
	s_wait_alu 0xfffe
	s_or_b32 exec_lo, exec_lo, s0
	s_and_saveexec_b32 s0, vcc_lo
	s_cbranch_execnz .LBB113_134
.LBB113_101:
	s_wait_alu 0xfffe
	s_or_b32 exec_lo, exec_lo, s0
	s_and_saveexec_b32 s0, vcc_lo
	s_cbranch_execnz .LBB113_135
.LBB113_102:
	s_wait_alu 0xfffe
	s_or_b32 exec_lo, exec_lo, s0
	s_and_saveexec_b32 s0, vcc_lo
	s_cbranch_execnz .LBB113_136
.LBB113_103:
	s_wait_alu 0xfffe
	s_or_b32 exec_lo, exec_lo, s0
	s_and_saveexec_b32 s0, vcc_lo
	s_cbranch_execnz .LBB113_137
.LBB113_104:
	s_wait_alu 0xfffe
	s_or_b32 exec_lo, exec_lo, s0
	s_and_saveexec_b32 s0, vcc_lo
	s_cbranch_execnz .LBB113_138
.LBB113_105:
	s_wait_alu 0xfffe
	s_or_b32 exec_lo, exec_lo, s0
	s_and_saveexec_b32 s0, vcc_lo
	s_cbranch_execnz .LBB113_139
.LBB113_106:
	s_wait_alu 0xfffe
	s_or_b32 exec_lo, exec_lo, s0
	s_and_saveexec_b32 s0, vcc_lo
	s_cbranch_execnz .LBB113_140
.LBB113_107:
	s_wait_alu 0xfffe
	s_or_b32 exec_lo, exec_lo, s0
	s_and_saveexec_b32 s0, vcc_lo
	s_cbranch_execz .LBB113_109
.LBB113_108:
	ds_load_b32 v11, v11 offset:448
	s_wait_dscnt 0x0
	v_add_f32_e32 v6, v6, v11
.LBB113_109:
	s_wait_alu 0xfffe
	s_or_b32 exec_lo, exec_lo, s0
.LBB113_110:
	s_wait_alu 0xfffe
	s_or_b32 exec_lo, exec_lo, s1
	s_mov_b32 s1, 0
	s_wait_loadcnt 0x0
	s_barrier_signal -1
	s_barrier_wait -1
	global_inv scope:SCOPE_SE
	s_mov_b32 s0, exec_lo
	v_cmpx_eq_u32_e32 0, v18
	s_cbranch_execz .LBB113_112
; %bb.111:
	s_mul_i32 s2, s26, 0x78
	s_mul_i32 s4, s7, s16
	s_wait_alu 0xfffe
	s_ashr_i32 s3, s2, 31
	s_ashr_i32 s5, s4, 31
	s_wait_alu 0xfffe
	s_lshl_b64 s[2:3], s[2:3], 1
	s_lshl_b64 s[4:5], s[4:5], 1
	s_wait_kmcnt 0x0
	s_wait_alu 0xfffe
	s_add_nc_u64 s[2:3], s[24:25], s[2:3]
	v_lshrrev_b32_e32 v0, 1, v0
	s_mul_i32 s0, s30, 0xf0
	s_wait_alu 0xfffe
	s_add_nc_u64 s[2:3], s[2:3], s[4:5]
	;;#ASMSTART
	v_cvt_f16_f32 v11, v16;

	;;#ASMEND
	s_wait_alu 0xfffe
	s_add_nc_u64 s[0:1], s[2:3], s[0:1]
	global_store_b16 v0, v11, s[0:1]
	;;#ASMSTART
	v_cvt_f16_f32 v11, v15;

	;;#ASMEND
	global_store_b16 v0, v11, s[0:1] offset:16
	;;#ASMSTART
	v_cvt_f16_f32 v11, v14;

	;;#ASMEND
	global_store_b16 v0, v11, s[0:1] offset:32
	;; [unrolled: 5-line block ×14, first 2 shown]
.LBB113_112:
	s_nop 0
	s_sendmsg sendmsg(MSG_DEALLOC_VGPRS)
	s_endpgm
.LBB113_113:
	ds_load_b32 v18, v11
	s_wait_dscnt 0x0
	v_add_f32_e32 v16, v16, v18
	s_wait_alu 0xfffe
	s_or_b32 exec_lo, exec_lo, s0
	s_and_saveexec_b32 s0, vcc_lo
	s_cbranch_execz .LBB113_75
.LBB113_114:
	ds_load_b32 v18, v11 offset:32
	s_wait_dscnt 0x0
	v_add_f32_e32 v15, v15, v18
	s_wait_alu 0xfffe
	s_or_b32 exec_lo, exec_lo, s0
	s_and_saveexec_b32 s0, vcc_lo
	s_cbranch_execz .LBB113_76
.LBB113_115:
	ds_load_b32 v18, v11 offset:64
	s_wait_dscnt 0x0
	v_add_f32_e32 v14, v14, v18
	s_wait_alu 0xfffe
	s_or_b32 exec_lo, exec_lo, s0
	s_and_saveexec_b32 s0, vcc_lo
	s_cbranch_execz .LBB113_77
.LBB113_116:
	ds_load_b32 v18, v11 offset:96
	s_wait_dscnt 0x0
	v_add_f32_e32 v13, v13, v18
	s_wait_alu 0xfffe
	s_or_b32 exec_lo, exec_lo, s0
	s_and_saveexec_b32 s0, vcc_lo
	s_cbranch_execz .LBB113_78
.LBB113_117:
	ds_load_b32 v18, v11 offset:128
	s_wait_dscnt 0x0
	v_add_f32_e32 v12, v12, v18
	s_wait_alu 0xfffe
	s_or_b32 exec_lo, exec_lo, s0
	s_and_saveexec_b32 s0, vcc_lo
	s_cbranch_execz .LBB113_79
.LBB113_118:
	ds_load_b32 v18, v11 offset:160
	s_wait_dscnt 0x0
	v_add_f32_e32 v10, v10, v18
	s_wait_alu 0xfffe
	s_or_b32 exec_lo, exec_lo, s0
	s_and_saveexec_b32 s0, vcc_lo
	s_cbranch_execz .LBB113_80
.LBB113_119:
	ds_load_b32 v18, v11 offset:192
	s_wait_dscnt 0x0
	v_add_f32_e32 v9, v9, v18
	s_wait_alu 0xfffe
	s_or_b32 exec_lo, exec_lo, s0
	s_and_saveexec_b32 s0, vcc_lo
	s_cbranch_execz .LBB113_81
.LBB113_120:
	ds_load_b32 v18, v11 offset:224
	s_wait_dscnt 0x0
	v_add_f32_e32 v8, v8, v18
	s_wait_alu 0xfffe
	s_or_b32 exec_lo, exec_lo, s0
	s_and_saveexec_b32 s0, vcc_lo
	s_cbranch_execz .LBB113_82
.LBB113_121:
	ds_load_b32 v18, v11 offset:256
	s_wait_dscnt 0x0
	v_add_f32_e32 v7, v7, v18
	s_wait_alu 0xfffe
	s_or_b32 exec_lo, exec_lo, s0
	s_and_saveexec_b32 s0, vcc_lo
	s_cbranch_execz .LBB113_83
.LBB113_122:
	ds_load_b32 v18, v11 offset:288
	s_wait_dscnt 0x0
	v_add_f32_e32 v5, v5, v18
	s_wait_alu 0xfffe
	s_or_b32 exec_lo, exec_lo, s0
	s_and_saveexec_b32 s0, vcc_lo
	s_cbranch_execz .LBB113_84
.LBB113_123:
	ds_load_b32 v18, v11 offset:320
	s_wait_dscnt 0x0
	v_add_f32_e32 v3, v3, v18
	s_wait_alu 0xfffe
	s_or_b32 exec_lo, exec_lo, s0
	s_and_saveexec_b32 s0, vcc_lo
	s_cbranch_execz .LBB113_85
.LBB113_124:
	ds_load_b32 v18, v11 offset:352
	s_wait_dscnt 0x0
	v_add_f32_e32 v2, v2, v18
	s_wait_alu 0xfffe
	s_or_b32 exec_lo, exec_lo, s0
	s_and_saveexec_b32 s0, vcc_lo
	s_cbranch_execz .LBB113_86
.LBB113_125:
	ds_load_b32 v18, v11 offset:384
	s_wait_dscnt 0x0
	v_add_f32_e32 v1, v1, v18
	s_wait_alu 0xfffe
	s_or_b32 exec_lo, exec_lo, s0
	s_and_saveexec_b32 s0, vcc_lo
	s_cbranch_execz .LBB113_87
.LBB113_126:
	ds_load_b32 v18, v11 offset:416
	s_wait_dscnt 0x0
	v_add_f32_e32 v4, v4, v18
	s_wait_alu 0xfffe
	s_or_b32 exec_lo, exec_lo, s0
	s_and_saveexec_b32 s0, vcc_lo
	s_cbranch_execnz .LBB113_88
	s_branch .LBB113_89
.LBB113_127:
	ds_load_b32 v17, v11
	s_wait_dscnt 0x0
	v_add_f32_e32 v16, v16, v17
	s_wait_alu 0xfffe
	s_or_b32 exec_lo, exec_lo, s0
	s_and_saveexec_b32 s0, vcc_lo
	s_cbranch_execz .LBB113_95
.LBB113_128:
	ds_load_b32 v17, v11 offset:32
	s_wait_dscnt 0x0
	v_add_f32_e32 v15, v15, v17
	s_wait_alu 0xfffe
	s_or_b32 exec_lo, exec_lo, s0
	s_and_saveexec_b32 s0, vcc_lo
	s_cbranch_execz .LBB113_96
.LBB113_129:
	ds_load_b32 v17, v11 offset:64
	s_wait_dscnt 0x0
	v_add_f32_e32 v14, v14, v17
	s_wait_alu 0xfffe
	s_or_b32 exec_lo, exec_lo, s0
	s_and_saveexec_b32 s0, vcc_lo
	s_cbranch_execz .LBB113_97
.LBB113_130:
	ds_load_b32 v17, v11 offset:96
	s_wait_dscnt 0x0
	v_add_f32_e32 v13, v13, v17
	s_wait_alu 0xfffe
	s_or_b32 exec_lo, exec_lo, s0
	s_and_saveexec_b32 s0, vcc_lo
	s_cbranch_execz .LBB113_98
.LBB113_131:
	ds_load_b32 v17, v11 offset:128
	s_wait_dscnt 0x0
	v_add_f32_e32 v12, v12, v17
	s_wait_alu 0xfffe
	s_or_b32 exec_lo, exec_lo, s0
	s_and_saveexec_b32 s0, vcc_lo
	s_cbranch_execz .LBB113_99
.LBB113_132:
	ds_load_b32 v17, v11 offset:160
	s_wait_dscnt 0x0
	v_add_f32_e32 v10, v10, v17
	s_wait_alu 0xfffe
	s_or_b32 exec_lo, exec_lo, s0
	s_and_saveexec_b32 s0, vcc_lo
	s_cbranch_execz .LBB113_100
.LBB113_133:
	ds_load_b32 v17, v11 offset:192
	s_wait_dscnt 0x0
	v_add_f32_e32 v9, v9, v17
	s_wait_alu 0xfffe
	s_or_b32 exec_lo, exec_lo, s0
	s_and_saveexec_b32 s0, vcc_lo
	s_cbranch_execz .LBB113_101
.LBB113_134:
	ds_load_b32 v17, v11 offset:224
	s_wait_dscnt 0x0
	v_add_f32_e32 v8, v8, v17
	s_wait_alu 0xfffe
	s_or_b32 exec_lo, exec_lo, s0
	s_and_saveexec_b32 s0, vcc_lo
	s_cbranch_execz .LBB113_102
.LBB113_135:
	ds_load_b32 v17, v11 offset:256
	s_wait_dscnt 0x0
	v_add_f32_e32 v7, v7, v17
	s_wait_alu 0xfffe
	s_or_b32 exec_lo, exec_lo, s0
	s_and_saveexec_b32 s0, vcc_lo
	s_cbranch_execz .LBB113_103
.LBB113_136:
	ds_load_b32 v17, v11 offset:288
	s_wait_dscnt 0x0
	v_add_f32_e32 v5, v5, v17
	s_wait_alu 0xfffe
	s_or_b32 exec_lo, exec_lo, s0
	s_and_saveexec_b32 s0, vcc_lo
	s_cbranch_execz .LBB113_104
.LBB113_137:
	ds_load_b32 v17, v11 offset:320
	s_wait_dscnt 0x0
	v_add_f32_e32 v3, v3, v17
	s_wait_alu 0xfffe
	s_or_b32 exec_lo, exec_lo, s0
	s_and_saveexec_b32 s0, vcc_lo
	s_cbranch_execz .LBB113_105
.LBB113_138:
	ds_load_b32 v17, v11 offset:352
	s_wait_dscnt 0x0
	v_add_f32_e32 v2, v2, v17
	s_wait_alu 0xfffe
	s_or_b32 exec_lo, exec_lo, s0
	s_and_saveexec_b32 s0, vcc_lo
	s_cbranch_execz .LBB113_106
.LBB113_139:
	ds_load_b32 v17, v11 offset:384
	s_wait_dscnt 0x0
	v_add_f32_e32 v1, v1, v17
	s_wait_alu 0xfffe
	s_or_b32 exec_lo, exec_lo, s0
	s_and_saveexec_b32 s0, vcc_lo
	s_cbranch_execz .LBB113_107
.LBB113_140:
	ds_load_b32 v17, v11 offset:416
	s_wait_dscnt 0x0
	v_add_f32_e32 v4, v4, v17
	s_wait_alu 0xfffe
	s_or_b32 exec_lo, exec_lo, s0
	s_and_saveexec_b32 s0, vcc_lo
	s_cbranch_execnz .LBB113_108
	s_branch .LBB113_109
	.section	.rodata,"a",@progbits
	.p2align	6, 0x0
	.amdhsa_kernel _ZN4vllm25paged_attention_v2_kernelIttLi120ELi32ELi128ELNS_18Fp8KVCacheDataTypeE0ELb1ELi512EEEvPfS2_PT_PKS3_PKT0_S9_ifPKiSB_iPKfiiiSD_SD_iiiii
		.amdhsa_group_segment_fixed_size 272
		.amdhsa_private_segment_fixed_size 0
		.amdhsa_kernarg_size 400
		.amdhsa_user_sgpr_count 2
		.amdhsa_user_sgpr_dispatch_ptr 0
		.amdhsa_user_sgpr_queue_ptr 0
		.amdhsa_user_sgpr_kernarg_segment_ptr 1
		.amdhsa_user_sgpr_dispatch_id 0
		.amdhsa_user_sgpr_private_segment_size 0
		.amdhsa_wavefront_size32 1
		.amdhsa_uses_dynamic_stack 0
		.amdhsa_enable_private_segment 0
		.amdhsa_system_sgpr_workgroup_id_x 1
		.amdhsa_system_sgpr_workgroup_id_y 1
		.amdhsa_system_sgpr_workgroup_id_z 1
		.amdhsa_system_sgpr_workgroup_info 0
		.amdhsa_system_vgpr_workitem_id 0
		.amdhsa_next_free_vgpr 98
		.amdhsa_next_free_sgpr 42
		.amdhsa_reserve_vcc 1
		.amdhsa_float_round_mode_32 0
		.amdhsa_float_round_mode_16_64 0
		.amdhsa_float_denorm_mode_32 3
		.amdhsa_float_denorm_mode_16_64 3
		.amdhsa_fp16_overflow 0
		.amdhsa_workgroup_processor_mode 1
		.amdhsa_memory_ordered 1
		.amdhsa_forward_progress 1
		.amdhsa_inst_pref_size 106
		.amdhsa_round_robin_scheduling 0
		.amdhsa_exception_fp_ieee_invalid_op 0
		.amdhsa_exception_fp_denorm_src 0
		.amdhsa_exception_fp_ieee_div_zero 0
		.amdhsa_exception_fp_ieee_overflow 0
		.amdhsa_exception_fp_ieee_underflow 0
		.amdhsa_exception_fp_ieee_inexact 0
		.amdhsa_exception_int_div_zero 0
	.end_amdhsa_kernel
	.section	.text._ZN4vllm25paged_attention_v2_kernelIttLi120ELi32ELi128ELNS_18Fp8KVCacheDataTypeE0ELb1ELi512EEEvPfS2_PT_PKS3_PKT0_S9_ifPKiSB_iPKfiiiSD_SD_iiiii,"axG",@progbits,_ZN4vllm25paged_attention_v2_kernelIttLi120ELi32ELi128ELNS_18Fp8KVCacheDataTypeE0ELb1ELi512EEEvPfS2_PT_PKS3_PKT0_S9_ifPKiSB_iPKfiiiSD_SD_iiiii,comdat
.Lfunc_end113:
	.size	_ZN4vllm25paged_attention_v2_kernelIttLi120ELi32ELi128ELNS_18Fp8KVCacheDataTypeE0ELb1ELi512EEEvPfS2_PT_PKS3_PKT0_S9_ifPKiSB_iPKfiiiSD_SD_iiiii, .Lfunc_end113-_ZN4vllm25paged_attention_v2_kernelIttLi120ELi32ELi128ELNS_18Fp8KVCacheDataTypeE0ELb1ELi512EEEvPfS2_PT_PKS3_PKT0_S9_ifPKiSB_iPKfiiiSD_SD_iiiii
                                        ; -- End function
	.set _ZN4vllm25paged_attention_v2_kernelIttLi120ELi32ELi128ELNS_18Fp8KVCacheDataTypeE0ELb1ELi512EEEvPfS2_PT_PKS3_PKT0_S9_ifPKiSB_iPKfiiiSD_SD_iiiii.num_vgpr, 98
	.set _ZN4vllm25paged_attention_v2_kernelIttLi120ELi32ELi128ELNS_18Fp8KVCacheDataTypeE0ELb1ELi512EEEvPfS2_PT_PKS3_PKT0_S9_ifPKiSB_iPKfiiiSD_SD_iiiii.num_agpr, 0
	.set _ZN4vllm25paged_attention_v2_kernelIttLi120ELi32ELi128ELNS_18Fp8KVCacheDataTypeE0ELb1ELi512EEEvPfS2_PT_PKS3_PKT0_S9_ifPKiSB_iPKfiiiSD_SD_iiiii.numbered_sgpr, 42
	.set _ZN4vllm25paged_attention_v2_kernelIttLi120ELi32ELi128ELNS_18Fp8KVCacheDataTypeE0ELb1ELi512EEEvPfS2_PT_PKS3_PKT0_S9_ifPKiSB_iPKfiiiSD_SD_iiiii.num_named_barrier, 0
	.set _ZN4vllm25paged_attention_v2_kernelIttLi120ELi32ELi128ELNS_18Fp8KVCacheDataTypeE0ELb1ELi512EEEvPfS2_PT_PKS3_PKT0_S9_ifPKiSB_iPKfiiiSD_SD_iiiii.private_seg_size, 0
	.set _ZN4vllm25paged_attention_v2_kernelIttLi120ELi32ELi128ELNS_18Fp8KVCacheDataTypeE0ELb1ELi512EEEvPfS2_PT_PKS3_PKT0_S9_ifPKiSB_iPKfiiiSD_SD_iiiii.uses_vcc, 1
	.set _ZN4vllm25paged_attention_v2_kernelIttLi120ELi32ELi128ELNS_18Fp8KVCacheDataTypeE0ELb1ELi512EEEvPfS2_PT_PKS3_PKT0_S9_ifPKiSB_iPKfiiiSD_SD_iiiii.uses_flat_scratch, 0
	.set _ZN4vllm25paged_attention_v2_kernelIttLi120ELi32ELi128ELNS_18Fp8KVCacheDataTypeE0ELb1ELi512EEEvPfS2_PT_PKS3_PKT0_S9_ifPKiSB_iPKfiiiSD_SD_iiiii.has_dyn_sized_stack, 0
	.set _ZN4vllm25paged_attention_v2_kernelIttLi120ELi32ELi128ELNS_18Fp8KVCacheDataTypeE0ELb1ELi512EEEvPfS2_PT_PKS3_PKT0_S9_ifPKiSB_iPKfiiiSD_SD_iiiii.has_recursion, 0
	.set _ZN4vllm25paged_attention_v2_kernelIttLi120ELi32ELi128ELNS_18Fp8KVCacheDataTypeE0ELb1ELi512EEEvPfS2_PT_PKS3_PKT0_S9_ifPKiSB_iPKfiiiSD_SD_iiiii.has_indirect_call, 0
	.section	.AMDGPU.csdata,"",@progbits
; Kernel info:
; codeLenInByte = 13560
; TotalNumSgprs: 44
; NumVgprs: 98
; ScratchSize: 0
; MemoryBound: 0
; FloatMode: 240
; IeeeMode: 1
; LDSByteSize: 272 bytes/workgroup (compile time only)
; SGPRBlocks: 0
; VGPRBlocks: 12
; NumSGPRsForWavesPerEU: 44
; NumVGPRsForWavesPerEU: 98
; Occupancy: 12
; WaveLimiterHint : 1
; COMPUTE_PGM_RSRC2:SCRATCH_EN: 0
; COMPUTE_PGM_RSRC2:USER_SGPR: 2
; COMPUTE_PGM_RSRC2:TRAP_HANDLER: 0
; COMPUTE_PGM_RSRC2:TGID_X_EN: 1
; COMPUTE_PGM_RSRC2:TGID_Y_EN: 1
; COMPUTE_PGM_RSRC2:TGID_Z_EN: 1
; COMPUTE_PGM_RSRC2:TIDIG_COMP_CNT: 0
	.section	.text._ZN4vllm25paged_attention_v2_kernelIttLi128ELi32ELi128ELNS_18Fp8KVCacheDataTypeE0ELb1ELi512EEEvPfS2_PT_PKS3_PKT0_S9_ifPKiSB_iPKfiiiSD_SD_iiiii,"axG",@progbits,_ZN4vllm25paged_attention_v2_kernelIttLi128ELi32ELi128ELNS_18Fp8KVCacheDataTypeE0ELb1ELi512EEEvPfS2_PT_PKS3_PKT0_S9_ifPKiSB_iPKfiiiSD_SD_iiiii,comdat
	.protected	_ZN4vllm25paged_attention_v2_kernelIttLi128ELi32ELi128ELNS_18Fp8KVCacheDataTypeE0ELb1ELi512EEEvPfS2_PT_PKS3_PKT0_S9_ifPKiSB_iPKfiiiSD_SD_iiiii ; -- Begin function _ZN4vllm25paged_attention_v2_kernelIttLi128ELi32ELi128ELNS_18Fp8KVCacheDataTypeE0ELb1ELi512EEEvPfS2_PT_PKS3_PKT0_S9_ifPKiSB_iPKfiiiSD_SD_iiiii
	.globl	_ZN4vllm25paged_attention_v2_kernelIttLi128ELi32ELi128ELNS_18Fp8KVCacheDataTypeE0ELb1ELi512EEEvPfS2_PT_PKS3_PKT0_S9_ifPKiSB_iPKfiiiSD_SD_iiiii
	.p2align	8
	.type	_ZN4vllm25paged_attention_v2_kernelIttLi128ELi32ELi128ELNS_18Fp8KVCacheDataTypeE0ELb1ELi512EEEvPfS2_PT_PKS3_PKT0_S9_ifPKiSB_iPKfiiiSD_SD_iiiii,@function
_ZN4vllm25paged_attention_v2_kernelIttLi128ELi32ELi128ELNS_18Fp8KVCacheDataTypeE0ELb1ELi512EEEvPfS2_PT_PKS3_PKT0_S9_ifPKiSB_iPKfiiiSD_SD_iiiii: ; @_ZN4vllm25paged_attention_v2_kernelIttLi128ELi32ELi128ELNS_18Fp8KVCacheDataTypeE0ELb1ELi512EEEvPfS2_PT_PKS3_PKT0_S9_ifPKiSB_iPKfiiiSD_SD_iiiii
; %bb.0:
	s_load_b64 s[2:3], s[0:1], 0x40
	s_and_b32 s26, ttmp7, 0xffff
	s_lshr_b32 s30, ttmp7, 16
	s_lshl_b32 s4, s26, 2
	s_lshl_b32 s34, s30, 9
	s_wait_kmcnt 0x0
	s_load_b32 s31, s[2:3], s4 offset:0x0
	s_wait_kmcnt 0x0
	s_cmp_ge_i32 s34, s31
	s_cbranch_scc1 .LBB114_116
; %bb.1:
	s_clause 0x1
	s_load_b32 s27, s[0:1], 0x90
	s_load_b64 s[8:9], s[0:1], 0x30
	s_wait_kmcnt 0x0
	s_abs_i32 s5, s27
	s_abs_i32 s2, s8
	s_delay_alu instid0(SALU_CYCLE_1) | instskip(SKIP_1) | instid1(SALU_CYCLE_2)
	s_cvt_f32_u32 s3, s2
	s_sub_co_i32 s4, 0, s2
	v_rcp_iflag_f32_e32 v1, s3
	s_delay_alu instid0(TRANS32_DEP_1) | instskip(SKIP_2) | instid1(SALU_CYCLE_2)
	v_readfirstlane_b32 s3, v1
	s_mul_f32 s3, s3, 0x4f7ffffe
	s_wait_alu 0xfffe
	s_cvt_u32_f32 s3, s3
	s_wait_alu 0xfffe
	s_delay_alu instid0(SALU_CYCLE_2) | instskip(NEXT) | instid1(SALU_CYCLE_1)
	s_mul_i32 s4, s4, s3
	s_mul_hi_u32 s4, s3, s4
	s_delay_alu instid0(SALU_CYCLE_1)
	s_add_co_i32 s3, s3, s4
	s_xor_b32 s4, s27, s8
	s_wait_alu 0xfffe
	s_mul_hi_u32 s3, s5, s3
	s_ashr_i32 s4, s4, 31
	s_wait_alu 0xfffe
	s_mul_i32 s6, s3, s2
	s_delay_alu instid0(SALU_CYCLE_1)
	s_sub_co_i32 s5, s5, s6
	s_add_co_i32 s6, s3, 1
	s_sub_co_i32 s7, s5, s2
	s_cmp_ge_u32 s5, s2
	s_cselect_b32 s3, s6, s3
	s_cselect_b32 s5, s7, s5
	s_wait_alu 0xfffe
	s_add_co_i32 s6, s3, 1
	s_cmp_ge_u32 s5, s2
	s_cselect_b32 s2, s6, s3
	s_load_b64 s[6:7], s[0:1], 0x50
	s_xor_b32 s2, s2, s4
	s_mov_b32 s3, 0
	s_wait_alu 0xfffe
	s_sub_co_i32 s16, s2, s4
	s_mov_b32 s24, s3
	s_abs_i32 s15, s16
	s_delay_alu instid0(SALU_CYCLE_1) | instskip(SKIP_1) | instid1(SALU_CYCLE_2)
	s_cvt_f32_u32 s2, s15
	s_wait_alu 0xfffe
	v_rcp_iflag_f32_e32 v1, s2
	s_delay_alu instid0(TRANS32_DEP_1) | instskip(SKIP_2) | instid1(SALU_CYCLE_2)
	v_readfirstlane_b32 s2, v1
	s_mul_f32 s2, s2, 0x4f7ffffe
	s_wait_alu 0xfffe
	s_cvt_u32_f32 s4, s2
	s_sub_co_i32 s2, 0, s15
	s_wait_alu 0xfffe
	s_delay_alu instid0(SALU_CYCLE_1)
	s_mul_i32 s2, s2, s4
	s_wait_alu 0xfffe
	s_mul_hi_u32 s5, s4, s2
	s_abs_i32 s2, ttmp9
	s_add_co_i32 s4, s4, s5
	s_mov_b32 s5, s3
	s_wait_kmcnt 0x0
	s_cmp_eq_u64 s[6:7], 0
	s_cbranch_scc1 .LBB114_3
; %bb.2:
	s_mov_b32 s10, ttmp9
	s_ashr_i32 s11, ttmp9, 31
	s_delay_alu instid0(SALU_CYCLE_1) | instskip(NEXT) | instid1(SALU_CYCLE_1)
	s_lshl_b64 s[10:11], s[10:11], 2
	s_add_nc_u64 s[6:7], s[6:7], s[10:11]
	s_load_b32 s24, s[6:7], 0x0
.LBB114_3:
	s_load_b96 s[12:14], s[0:1], 0x58
	v_lshlrev_b32_e32 v67, 4, v0
	s_mul_u64 s[10:11], s[2:3], s[4:5]
	s_ashr_i32 s3, ttmp9, 31
	s_ashr_i32 s10, s16, 31
	s_lshl_b32 s16, ttmp9, 7
	s_mov_b32 s4, exec_lo
	v_cmpx_gt_u32_e32 16, v0
	s_cbranch_execz .LBB114_5
; %bb.4:
	s_load_b64 s[6:7], s[0:1], 0x18
	s_wait_kmcnt 0x0
	s_mul_i32 s18, s12, s26
	s_ashr_i32 s17, s16, 31
	s_ashr_i32 s19, s18, 31
	s_delay_alu instid0(SALU_CYCLE_1) | instskip(NEXT) | instid1(SALU_CYCLE_1)
	s_lshl_b64 s[18:19], s[18:19], 1
	s_add_nc_u64 s[6:7], s[6:7], s[18:19]
	s_lshl_b64 s[18:19], s[16:17], 1
	s_delay_alu instid0(SALU_CYCLE_1)
	s_add_nc_u64 s[6:7], s[6:7], s[18:19]
	global_load_b128 v[1:4], v67, s[6:7]
	s_wait_loadcnt 0x0
	ds_store_b128 v67, v[1:4]
.LBB114_5:
	s_or_b32 exec_lo, exec_lo, s4
	s_clause 0x1
	s_load_b128 s[4:7], s[0:1], 0x78
	s_load_b32 s20, s[0:1], 0x88
	s_wait_kmcnt 0x0
	s_mul_i32 s12, s11, s15
	s_xor_b32 s3, s3, s10
	s_sub_co_i32 s2, s2, s12
	s_add_co_i32 s10, s11, 1
	s_wait_alu 0xfffe
	s_sub_co_i32 s12, s2, s15
	s_cmp_ge_u32 s2, s15
	s_mov_b32 s22, -1
	s_cselect_b32 s10, s10, s11
	s_cselect_b32 s2, s12, s2
	s_add_co_i32 s11, s10, 1
	s_wait_alu 0xfffe
	s_cmp_ge_u32 s2, s15
	s_wait_dscnt 0x0
	s_cselect_b32 s2, s11, s10
	s_add_co_i32 s21, s31, -1
	s_wait_alu 0xfffe
	s_xor_b32 s2, s2, s3
	s_barrier_signal -1
	s_wait_alu 0xfffe
	s_sub_co_i32 s15, s2, s3
	s_barrier_wait -1
	s_abs_i32 s12, s7
	global_inv scope:SCOPE_SE
	s_cvt_f32_u32 s10, s12
                                        ; implicit-def: $sgpr17
	s_delay_alu instid0(SALU_CYCLE_3) | instskip(NEXT) | instid1(TRANS32_DEP_1)
	v_rcp_iflag_f32_e32 v1, s10
	v_readfirstlane_b32 s10, v1
	s_mul_f32 s2, s10, 0x4f7ffffe
	s_wait_alu 0xfffe
	s_delay_alu instid0(SALU_CYCLE_2) | instskip(SKIP_2) | instid1(SALU_CYCLE_1)
	s_cvt_u32_f32 s10, s2
	s_sub_co_i32 s2, 0, s12
	s_wait_alu 0xfffe
	s_mul_i32 s3, s2, s10
	s_abs_i32 s2, s21
	s_wait_alu 0xfffe
	s_mul_hi_u32 s11, s10, s3
	s_mov_b32 s3, 0
	s_wait_alu 0xfffe
	s_add_co_i32 s18, s10, s11
	s_cmp_lt_i32 s20, 0
	s_mov_b32 s19, s3
	s_cbranch_scc0 .LBB114_7
; %bb.6:
	s_mul_i32 s8, s4, s8
	s_mov_b32 s22, s3
	s_add_co_i32 s8, s15, s8
	s_delay_alu instid0(SALU_CYCLE_1) | instskip(NEXT) | instid1(SALU_CYCLE_1)
	s_mul_i32 s8, s8, s20
	s_sub_co_i32 s17, 1, s8
.LBB114_7:
	s_mul_u64 s[10:11], s[2:3], s[18:19]
	s_ashr_i32 s3, s21, 31
	s_and_not1_b32 vcc_lo, exec_lo, s22
	s_ashr_i32 s19, s7, 31
	s_cbranch_vccnz .LBB114_9
; %bb.8:
	s_mul_i32 s4, s27, s4
	s_delay_alu instid0(SALU_CYCLE_1) | instskip(NEXT) | instid1(SALU_CYCLE_1)
	s_add_co_i32 s4, s4, ttmp9
	s_mul_i32 s4, s4, s20
	s_delay_alu instid0(SALU_CYCLE_1)
	s_add_co_i32 s17, s4, 1
.LBB114_9:
	s_clause 0x2
	s_load_b32 s4, s[0:1], 0x48
	s_load_b64 s[20:21], s[0:1], 0x38
	s_load_b32 s7, s[0:1], 0x98
	s_mul_i32 s8, s11, s12
	s_xor_b32 s3, s3, s19
	s_sub_co_i32 s2, s2, s8
	s_add_co_i32 s10, s11, 1
	v_lshrrev_b32_e32 v63, 5, v0
	v_and_b32_e32 v64, 31, v0
	v_mov_b32_e32 v70, 0xff7fffff
	s_mul_i32 s14, s15, s14
	s_delay_alu instid0(VALU_DEP_3) | instskip(NEXT) | instid1(VALU_DEP_3)
	v_lshl_add_u32 v65, v63, 5, s34
	v_lshlrev_b32_e32 v69, 2, v64
	s_wait_kmcnt 0x0
	s_mul_i32 s22, s4, s26
	s_wait_alu 0xfffe
	s_sub_co_i32 s4, s2, s12
	s_ashr_i32 s23, s22, 31
	s_cmp_ge_u32 s2, s12
	s_cselect_b32 s8, s10, s11
	s_cselect_b32 s2, s4, s2
	s_add_co_i32 s4, s8, 1
	s_wait_alu 0xfffe
	s_cmp_ge_u32 s2, s12
	s_cselect_b32 s2, s4, s8
	s_add_co_i32 s4, s31, 31
	s_lshl_b32 s37, s30, 4
	s_ashr_i32 s8, s4, 31
	v_add_nc_u32_e32 v66, s37, v63
	s_lshr_b32 s8, s8, 27
	s_delay_alu instid0(SALU_CYCLE_1)
	s_add_co_i32 s4, s4, s8
	s_add_co_i32 s8, s37, 16
	s_ashr_i32 s35, s4, 5
	s_wait_alu 0xfffe
	s_xor_b32 s4, s2, s3
	s_min_i32 s33, s8, s35
	v_lshlrev_b32_e32 v68, 2, v66
	v_cmp_gt_i32_e64 s2, s33, v66
	s_sub_co_i32 s36, s4, s3
	s_and_saveexec_b32 s8, s2
	s_cbranch_execz .LBB114_17
; %bb.10:
	s_ashr_i32 s15, s14, 31
	s_wait_alu 0xfffe
	s_sub_co_i32 s10, s36, s5
	s_lshl_b64 s[28:29], s[14:15], 1
	s_cmp_neq_f32 s24, 0
	s_load_b64 s[38:39], s[0:1], 0x20
	v_dual_mov_b32 v71, 0 :: v_dual_lshlrev_b32 v2, 4, v64
	s_cselect_b32 vcc_lo, -1, 0
	s_abs_i32 s11, s6
	s_lshl_b64 s[40:41], s[22:23], 2
	s_wait_alu 0xfffe
	s_cvt_f32_u32 s3, s11
	s_add_nc_u64 s[40:41], s[20:21], s[40:41]
	v_subrev_nc_u32_e32 v3, s31, v64
	v_lshl_or_b32 v4, v63, 7, v69
	s_wait_alu 0xfffe
	v_rcp_iflag_f32_e32 v1, s3
	v_add_co_u32 v61, s25, s40, v68
	s_sub_co_i32 s4, 0, s11
	v_add_co_ci_u32_e64 v62, null, s41, 0, s25
	v_lshl_add_u32 v72, v63, 5, s34
	v_dual_mov_b32 v73, 0xff7fffff :: v_dual_add_nc_u32 v74, 1, v3
	v_dual_mov_b32 v78, v66 :: v_dual_add_nc_u32 v75, 0x120, v4
	s_delay_alu instid0(TRANS32_DEP_1)
	v_readfirstlane_b32 s3, v1
	s_wait_kmcnt 0x0
	s_add_nc_u64 s[28:29], s[38:39], s[28:29]
	v_mov_b32_e32 v70, 0xff7fffff
	v_add_co_u32 v76, s25, s28, v2
	s_mul_f32 s3, s3, 0x4f7ffffe
	v_add_co_ci_u32_e64 v77, null, s29, 0, s25
	s_mov_b32 s15, s13
	s_wait_alu 0xfffe
	s_cvt_u32_f32 s3, s3
	s_mov_b32 s25, 0
	s_wait_alu 0xfffe
	s_delay_alu instid0(SALU_CYCLE_1) | instskip(NEXT) | instid1(SALU_CYCLE_1)
	s_mul_i32 s4, s4, s3
	s_mul_hi_u32 s4, s3, s4
	s_delay_alu instid0(SALU_CYCLE_1)
	s_add_co_i32 s28, s3, s4
	s_branch .LBB114_12
.LBB114_11:                             ;   in Loop: Header=BB114_12 Depth=1
	s_wait_alu 0xfffe
	s_or_b32 exec_lo, exec_lo, s4
	v_add_nc_u32_e32 v78, 4, v78
	v_add_co_u32 v61, s4, v61, 16
	s_wait_alu 0xf1ff
	v_add_co_ci_u32_e64 v62, null, 0, v62, s4
	s_delay_alu instid0(VALU_DEP_3)
	v_cmp_le_i32_e64 s3, s33, v78
	v_add_nc_u32_e32 v72, 0x80, v72
	v_add_nc_u32_e32 v75, 0x200, v75
	s_or_b32 s25, s3, s25
	s_wait_alu 0xfffe
	s_and_not1_b32 exec_lo, exec_lo, s25
	s_cbranch_execz .LBB114_16
.LBB114_12:                             ; =>This Inner Loop Header: Depth=1
	v_sub_nc_u32_e32 v1, 0, v72
	s_delay_alu instid0(VALU_DEP_1) | instskip(NEXT) | instid1(VALU_DEP_1)
	v_max_i32_e32 v1, v72, v1
	v_mul_hi_u32 v2, v1, s18
	s_delay_alu instid0(VALU_DEP_1) | instskip(NEXT) | instid1(VALU_DEP_1)
	v_mul_lo_u32 v3, v2, s12
	v_sub_nc_u32_e32 v1, v1, v3
	v_add_nc_u32_e32 v3, 1, v2
	s_delay_alu instid0(VALU_DEP_2) | instskip(SKIP_2) | instid1(VALU_DEP_1)
	v_subrev_nc_u32_e32 v4, s12, v1
	v_cmp_le_u32_e64 s3, s12, v1
	s_wait_alu 0xf1ff
	v_cndmask_b32_e64 v2, v2, v3, s3
	s_delay_alu instid0(VALU_DEP_3) | instskip(SKIP_1) | instid1(VALU_DEP_3)
	v_cndmask_b32_e64 v1, v1, v4, s3
	v_ashrrev_i32_e32 v3, 31, v72
	v_add_nc_u32_e32 v4, 1, v2
	s_delay_alu instid0(VALU_DEP_3) | instskip(NEXT) | instid1(VALU_DEP_3)
	v_cmp_le_u32_e64 s3, s12, v1
	v_xor_b32_e32 v3, s19, v3
	s_wait_alu 0xf1ff
	s_delay_alu instid0(VALU_DEP_2) | instskip(NEXT) | instid1(VALU_DEP_1)
	v_cndmask_b32_e64 v1, v2, v4, s3
	v_xor_b32_e32 v1, v1, v3
	s_delay_alu instid0(VALU_DEP_1) | instskip(NEXT) | instid1(VALU_DEP_1)
	v_sub_nc_u32_e32 v1, v1, v3
	v_add_nc_u32_e32 v2, s17, v1
	v_cmp_ge_i32_e64 s4, s10, v1
	s_delay_alu instid0(VALU_DEP_2) | instskip(NEXT) | instid1(VALU_DEP_1)
	v_sub_nc_u32_e32 v3, 0, v2
	v_max_i32_e32 v3, v2, v3
	v_ashrrev_i32_e32 v2, 31, v2
	s_wait_alu 0xfffe
	s_delay_alu instid0(VALU_DEP_2) | instskip(NEXT) | instid1(VALU_DEP_1)
	v_mul_hi_u32 v4, v3, s28
	v_mul_lo_u32 v4, v4, s11
	s_delay_alu instid0(VALU_DEP_1) | instskip(NEXT) | instid1(VALU_DEP_1)
	v_sub_nc_u32_e32 v3, v3, v4
	v_subrev_nc_u32_e32 v4, s11, v3
	v_cmp_le_u32_e64 s3, s11, v3
	s_wait_alu 0xf1ff
	s_delay_alu instid0(VALU_DEP_1) | instskip(NEXT) | instid1(VALU_DEP_1)
	v_cndmask_b32_e64 v3, v3, v4, s3
	v_subrev_nc_u32_e32 v4, s11, v3
	v_cmp_le_u32_e64 s3, s11, v3
	s_wait_alu 0xf1ff
	s_delay_alu instid0(VALU_DEP_1) | instskip(NEXT) | instid1(VALU_DEP_1)
	v_cndmask_b32_e64 v3, v3, v4, s3
	v_xor_b32_e32 v3, v3, v2
	s_delay_alu instid0(VALU_DEP_1) | instskip(NEXT) | instid1(VALU_DEP_1)
	v_sub_nc_u32_e32 v2, v3, v2
	v_cmp_ne_u32_e64 s3, 0, v2
	s_and_b32 s3, s3, s4
	s_wait_alu 0xfffe
	s_and_saveexec_b32 s4, s3
	s_wait_alu 0xfffe
	s_xor_b32 s3, exec_lo, s4
; %bb.13:                               ;   in Loop: Header=BB114_12 Depth=1
	ds_store_b32 v75, v73
; %bb.14:                               ;   in Loop: Header=BB114_12 Depth=1
	s_wait_alu 0xfffe
	s_and_not1_saveexec_b32 s4, s3
	s_cbranch_execz .LBB114_11
; %bb.15:                               ;   in Loop: Header=BB114_12 Depth=1
	global_load_b32 v1, v[61:62], off
	v_add_nc_u32_e32 v3, v74, v72
	s_delay_alu instid0(VALU_DEP_1) | instskip(NEXT) | instid1(VALU_DEP_1)
	v_cvt_f32_i32_e32 v3, v3
	v_dual_mul_f32 v3, s24, v3 :: v_dual_add_nc_u32 v84, v64, v72
	s_delay_alu instid0(VALU_DEP_1) | instskip(SKIP_2) | instid1(VALU_DEP_1)
	v_cndmask_b32_e32 v79, 0, v3, vcc_lo
	s_wait_loadcnt 0x0
	v_mad_co_i64_i32 v[1:2], null, v1, s15, 0
	v_lshlrev_b64_e32 v[1:2], 1, v[1:2]
	s_delay_alu instid0(VALU_DEP_1) | instskip(SKIP_1) | instid1(VALU_DEP_2)
	v_add_co_u32 v1, s3, v76, v1
	s_wait_alu 0xf1ff
	v_add_co_ci_u32_e64 v2, null, v77, v2, s3
	v_cmp_gt_i32_e64 s3, s31, v84
	s_clause 0xf
	global_load_b128 v[80:83], v[1:2], off
	global_load_b128 v[57:60], v[1:2], off offset:512
	global_load_b128 v[53:56], v[1:2], off offset:1024
	;; [unrolled: 1-line block ×15, first 2 shown]
	ds_load_b128 v[84:87], v71
	s_wait_dscnt 0x0
	v_lshrrev_b32_e32 v88, 16, v84
	v_and_b32_e32 v84, 0xffff, v84
	;;#ASMSTART
	v_cvt_f32_f16 v84, v84;
	;;#ASMEND
	;;#ASMSTART
	v_cvt_f32_f16 v88, v88;
	;;#ASMEND
	s_wait_loadcnt 0xf
	v_lshrrev_b32_e32 v90, 16, v80
	v_and_b32_e32 v80, 0xffff, v80
	;;#ASMSTART
	v_cvt_f32_f16 v89, v80;
	;;#ASMEND
	;;#ASMSTART
	v_cvt_f32_f16 v90, v90;
	;;#ASMEND
	v_lshrrev_b32_e32 v80, 16, v85
	v_and_b32_e32 v85, 0xffff, v85
	;;#ASMSTART
	v_cvt_f32_f16 v85, v85;
	;;#ASMEND
	;;#ASMSTART
	v_cvt_f32_f16 v91, v80;
	;;#ASMEND
	;; [unrolled: 8-line block ×7, first 2 shown]
	ds_load_b128 v[80:83], v71 offset:16
	s_wait_loadcnt 0xe
	v_lshrrev_b32_e32 v101, 16, v57
	v_and_b32_e32 v57, 0xffff, v57
	s_wait_dscnt 0x0
	v_lshrrev_b32_e32 v100, 16, v80
	v_and_b32_e32 v80, 0xffff, v80
	;;#ASMSTART
	v_cvt_f32_f16 v80, v80;
	;;#ASMEND
	;;#ASMSTART
	v_cvt_f32_f16 v100, v100;
	;;#ASMEND
	;; [unrolled: 3-line block ×4, first 2 shown]
	v_mul_f32_e32 v57, v80, v57
	v_mul_f32_e32 v80, v100, v101
	s_delay_alu instid0(VALU_DEP_1) | instskip(SKIP_1) | instid1(VALU_DEP_4)
	v_fmac_f32_e32 v80, v88, v90
	v_lshrrev_b32_e32 v88, 16, v58
	v_dual_fmac_f32 v57, v84, v89 :: v_dual_and_b32 v58, 0xffff, v58
	v_lshrrev_b32_e32 v84, 16, v81
	v_and_b32_e32 v81, 0xffff, v81
	;;#ASMSTART
	v_cvt_f32_f16 v81, v81;
	;;#ASMEND
	;;#ASMSTART
	v_cvt_f32_f16 v84, v84;
	;;#ASMEND
	;; [unrolled: 3-line block ×3, first 2 shown]
	s_delay_alu instid0(VALU_DEP_1) | instskip(SKIP_3) | instid1(VALU_DEP_3)
	v_mul_f32_e32 v81, v81, v58
	;;#ASMSTART
	v_cvt_f32_f16 v88, v88;
	;;#ASMEND
	v_mul_f32_e32 v58, v84, v88
	v_lshrrev_b32_e32 v84, 16, v82
	v_dual_fmac_f32 v81, v85, v92 :: v_dual_and_b32 v82, 0xffff, v82
	;;#ASMSTART
	v_cvt_f32_f16 v82, v82;
	;;#ASMEND
	s_delay_alu instid0(VALU_DEP_3) | instskip(SKIP_4) | instid1(VALU_DEP_1)
	v_fmac_f32_e32 v58, v91, v93
	v_lshrrev_b32_e32 v85, 16, v59
	v_and_b32_e32 v59, 0xffff, v59
	;;#ASMSTART
	v_cvt_f32_f16 v84, v84;
	;;#ASMEND
	;;#ASMSTART
	v_cvt_f32_f16 v59, v59;
	;;#ASMEND
	v_mul_f32_e32 v82, v82, v59
	;;#ASMSTART
	v_cvt_f32_f16 v85, v85;
	;;#ASMEND
	v_mul_f32_e32 v59, v84, v85
	v_lshrrev_b32_e32 v84, 16, v83
	v_and_b32_e32 v83, 0xffff, v83
	;;#ASMSTART
	v_cvt_f32_f16 v83, v83;
	;;#ASMEND
	v_lshrrev_b32_e32 v85, 16, v60
	v_and_b32_e32 v60, 0xffff, v60
	v_fmac_f32_e32 v82, v86, v95
	;;#ASMSTART
	v_cvt_f32_f16 v84, v84;
	;;#ASMEND
	;;#ASMSTART
	v_cvt_f32_f16 v60, v60;
	;;#ASMEND
	s_delay_alu instid0(VALU_DEP_2)
	v_mul_f32_e32 v83, v83, v60
	;;#ASMSTART
	v_cvt_f32_f16 v85, v85;
	;;#ASMEND
	v_mul_f32_e32 v60, v84, v85
	s_wait_loadcnt 0xd
	v_lshrrev_b32_e32 v89, 16, v53
	v_and_b32_e32 v53, 0xffff, v53
	v_fmac_f32_e32 v83, v87, v98
	ds_load_b128 v[84:87], v71 offset:32
	v_dual_fmac_f32 v59, v94, v96 :: v_dual_fmac_f32 v60, v97, v99
	s_wait_dscnt 0x0
	v_lshrrev_b32_e32 v88, 16, v84
	v_and_b32_e32 v84, 0xffff, v84
	;;#ASMSTART
	v_cvt_f32_f16 v84, v84;
	;;#ASMEND
	;;#ASMSTART
	v_cvt_f32_f16 v88, v88;
	;;#ASMEND
	;; [unrolled: 3-line block ×3, first 2 shown]
	s_delay_alu instid0(VALU_DEP_1)
	v_fmac_f32_e32 v57, v84, v53
	v_lshrrev_b32_e32 v84, 16, v85
	v_and_b32_e32 v53, 0xffff, v85
	v_lshrrev_b32_e32 v85, 16, v54
	v_and_b32_e32 v54, 0xffff, v54
	;;#ASMSTART
	v_cvt_f32_f16 v89, v89;
	;;#ASMEND
	;;#ASMSTART
	v_cvt_f32_f16 v53, v53;
	;;#ASMEND
	;; [unrolled: 3-line block ×4, first 2 shown]
	v_fmac_f32_e32 v80, v88, v89
	;;#ASMSTART
	v_cvt_f32_f16 v85, v85;
	;;#ASMEND
	v_dual_fmac_f32 v81, v53, v54 :: v_dual_fmac_f32 v58, v84, v85
	v_lshrrev_b32_e32 v54, 16, v86
	v_and_b32_e32 v53, 0xffff, v86
	v_lshrrev_b32_e32 v84, 16, v55
	v_and_b32_e32 v55, 0xffff, v55
	;;#ASMSTART
	v_cvt_f32_f16 v53, v53;
	;;#ASMEND
	;;#ASMSTART
	v_cvt_f32_f16 v54, v54;
	;;#ASMEND
	;; [unrolled: 3-line block ×4, first 2 shown]
	v_dual_fmac_f32 v82, v53, v55 :: v_dual_fmac_f32 v59, v54, v84
	v_lshrrev_b32_e32 v54, 16, v87
	v_and_b32_e32 v53, 0xffff, v87
	v_and_b32_e32 v55, 0xffff, v56
	;;#ASMSTART
	v_cvt_f32_f16 v53, v53;
	;;#ASMEND
	;;#ASMSTART
	v_cvt_f32_f16 v54, v54;
	;;#ASMEND
	v_lshrrev_b32_e32 v84, 16, v56
	;;#ASMSTART
	v_cvt_f32_f16 v55, v55;
	;;#ASMEND
	;;#ASMSTART
	v_cvt_f32_f16 v56, v84;
	;;#ASMEND
	v_dual_fmac_f32 v83, v53, v55 :: v_dual_fmac_f32 v60, v54, v56
	ds_load_b128 v[53:56], v71 offset:48
	s_wait_loadcnt 0xc
	v_lshrrev_b32_e32 v85, 16, v49
	v_and_b32_e32 v49, 0xffff, v49
	s_wait_dscnt 0x0
	v_lshrrev_b32_e32 v84, 16, v53
	v_and_b32_e32 v53, 0xffff, v53
	;;#ASMSTART
	v_cvt_f32_f16 v53, v53;
	;;#ASMEND
	;;#ASMSTART
	v_cvt_f32_f16 v84, v84;
	;;#ASMEND
	;; [unrolled: 3-line block ×3, first 2 shown]
	s_delay_alu instid0(VALU_DEP_1)
	v_fmac_f32_e32 v57, v53, v49
	v_lshrrev_b32_e32 v53, 16, v54
	v_and_b32_e32 v49, 0xffff, v54
	v_lshrrev_b32_e32 v54, 16, v50
	v_and_b32_e32 v50, 0xffff, v50
	;;#ASMSTART
	v_cvt_f32_f16 v85, v85;
	;;#ASMEND
	;;#ASMSTART
	v_cvt_f32_f16 v49, v49;
	;;#ASMEND
	;; [unrolled: 3-line block ×4, first 2 shown]
	v_fmac_f32_e32 v80, v84, v85
	;;#ASMSTART
	v_cvt_f32_f16 v54, v54;
	;;#ASMEND
	v_fmac_f32_e32 v81, v49, v50
	v_fmac_f32_e32 v58, v53, v54
	v_lshrrev_b32_e32 v50, 16, v55
	v_and_b32_e32 v49, 0xffff, v55
	v_lshrrev_b32_e32 v53, 16, v51
	v_and_b32_e32 v51, 0xffff, v51
	;;#ASMSTART
	v_cvt_f32_f16 v49, v49;
	;;#ASMEND
	;;#ASMSTART
	v_cvt_f32_f16 v50, v50;
	;;#ASMEND
	;; [unrolled: 3-line block ×4, first 2 shown]
	v_dual_fmac_f32 v82, v49, v51 :: v_dual_fmac_f32 v59, v50, v53
	v_lshrrev_b32_e32 v50, 16, v56
	v_and_b32_e32 v49, 0xffff, v56
	v_and_b32_e32 v51, 0xffff, v52
	;;#ASMSTART
	v_cvt_f32_f16 v49, v49;
	;;#ASMEND
	;;#ASMSTART
	v_cvt_f32_f16 v50, v50;
	;;#ASMEND
	v_lshrrev_b32_e32 v53, 16, v52
	;;#ASMSTART
	v_cvt_f32_f16 v51, v51;
	;;#ASMEND
	;;#ASMSTART
	v_cvt_f32_f16 v52, v53;
	;;#ASMEND
	v_dual_fmac_f32 v83, v49, v51 :: v_dual_fmac_f32 v60, v50, v52
	ds_load_b128 v[49:52], v71 offset:64
	s_wait_loadcnt 0xb
	v_lshrrev_b32_e32 v54, 16, v45
	v_and_b32_e32 v45, 0xffff, v45
	s_wait_dscnt 0x0
	v_lshrrev_b32_e32 v53, 16, v49
	v_and_b32_e32 v49, 0xffff, v49
	;;#ASMSTART
	v_cvt_f32_f16 v49, v49;
	;;#ASMEND
	;;#ASMSTART
	v_cvt_f32_f16 v53, v53;
	;;#ASMEND
	;; [unrolled: 3-line block ×3, first 2 shown]
	s_delay_alu instid0(VALU_DEP_1)
	v_fmac_f32_e32 v57, v49, v45
	v_lshrrev_b32_e32 v49, 16, v50
	v_and_b32_e32 v45, 0xffff, v50
	v_lshrrev_b32_e32 v50, 16, v46
	v_and_b32_e32 v46, 0xffff, v46
	;;#ASMSTART
	v_cvt_f32_f16 v54, v54;
	;;#ASMEND
	;;#ASMSTART
	v_cvt_f32_f16 v45, v45;
	;;#ASMEND
	;; [unrolled: 3-line block ×5, first 2 shown]
	v_fmac_f32_e32 v81, v45, v46
	v_fmac_f32_e32 v58, v49, v50
	v_lshrrev_b32_e32 v46, 16, v51
	v_and_b32_e32 v45, 0xffff, v51
	v_lshrrev_b32_e32 v49, 16, v47
	v_and_b32_e32 v47, 0xffff, v47
	;;#ASMSTART
	v_cvt_f32_f16 v45, v45;
	;;#ASMEND
	;;#ASMSTART
	v_cvt_f32_f16 v46, v46;
	;;#ASMEND
	;; [unrolled: 3-line block ×4, first 2 shown]
	v_dual_fmac_f32 v82, v45, v47 :: v_dual_fmac_f32 v59, v46, v49
	v_lshrrev_b32_e32 v46, 16, v52
	v_and_b32_e32 v45, 0xffff, v52
	v_and_b32_e32 v47, 0xffff, v48
	;;#ASMSTART
	v_cvt_f32_f16 v45, v45;
	;;#ASMEND
	;;#ASMSTART
	v_cvt_f32_f16 v46, v46;
	;;#ASMEND
	v_lshrrev_b32_e32 v49, 16, v48
	;;#ASMSTART
	v_cvt_f32_f16 v47, v47;
	;;#ASMEND
	;;#ASMSTART
	v_cvt_f32_f16 v48, v49;
	;;#ASMEND
	v_dual_fmac_f32 v83, v45, v47 :: v_dual_fmac_f32 v60, v46, v48
	ds_load_b128 v[45:48], v71 offset:80
	s_wait_loadcnt 0xa
	v_lshrrev_b32_e32 v50, 16, v41
	v_dual_fmac_f32 v80, v53, v54 :: v_dual_and_b32 v41, 0xffff, v41
	s_wait_dscnt 0x0
	v_lshrrev_b32_e32 v49, 16, v45
	v_and_b32_e32 v45, 0xffff, v45
	;;#ASMSTART
	v_cvt_f32_f16 v45, v45;
	;;#ASMEND
	;;#ASMSTART
	v_cvt_f32_f16 v49, v49;
	;;#ASMEND
	;; [unrolled: 3-line block ×3, first 2 shown]
	s_delay_alu instid0(VALU_DEP_1)
	v_fmac_f32_e32 v57, v45, v41
	v_lshrrev_b32_e32 v45, 16, v46
	v_and_b32_e32 v41, 0xffff, v46
	v_lshrrev_b32_e32 v46, 16, v42
	v_and_b32_e32 v42, 0xffff, v42
	;;#ASMSTART
	v_cvt_f32_f16 v50, v50;
	;;#ASMEND
	;;#ASMSTART
	v_cvt_f32_f16 v41, v41;
	;;#ASMEND
	;; [unrolled: 3-line block ×5, first 2 shown]
	v_fmac_f32_e32 v81, v41, v42
	v_fmac_f32_e32 v58, v45, v46
	v_lshrrev_b32_e32 v42, 16, v47
	v_and_b32_e32 v41, 0xffff, v47
	v_lshrrev_b32_e32 v45, 16, v43
	v_and_b32_e32 v43, 0xffff, v43
	;;#ASMSTART
	v_cvt_f32_f16 v41, v41;
	;;#ASMEND
	;;#ASMSTART
	v_cvt_f32_f16 v42, v42;
	;;#ASMEND
	;; [unrolled: 3-line block ×4, first 2 shown]
	v_dual_fmac_f32 v82, v41, v43 :: v_dual_fmac_f32 v59, v42, v45
	v_lshrrev_b32_e32 v42, 16, v48
	v_and_b32_e32 v41, 0xffff, v48
	v_and_b32_e32 v43, 0xffff, v44
	;;#ASMSTART
	v_cvt_f32_f16 v41, v41;
	;;#ASMEND
	;;#ASMSTART
	v_cvt_f32_f16 v42, v42;
	;;#ASMEND
	v_lshrrev_b32_e32 v45, 16, v44
	;;#ASMSTART
	v_cvt_f32_f16 v43, v43;
	;;#ASMEND
	;;#ASMSTART
	v_cvt_f32_f16 v44, v45;
	;;#ASMEND
	v_dual_fmac_f32 v83, v41, v43 :: v_dual_fmac_f32 v60, v42, v44
	ds_load_b128 v[41:44], v71 offset:96
	s_wait_loadcnt 0x9
	v_lshrrev_b32_e32 v46, 16, v37
	v_dual_fmac_f32 v80, v49, v50 :: v_dual_and_b32 v37, 0xffff, v37
	s_wait_dscnt 0x0
	v_lshrrev_b32_e32 v45, 16, v41
	v_and_b32_e32 v41, 0xffff, v41
	;;#ASMSTART
	v_cvt_f32_f16 v41, v41;
	;;#ASMEND
	;;#ASMSTART
	v_cvt_f32_f16 v45, v45;
	;;#ASMEND
	;; [unrolled: 3-line block ×3, first 2 shown]
	s_delay_alu instid0(VALU_DEP_1)
	v_fmac_f32_e32 v57, v41, v37
	v_lshrrev_b32_e32 v41, 16, v42
	v_and_b32_e32 v37, 0xffff, v42
	v_lshrrev_b32_e32 v42, 16, v38
	v_and_b32_e32 v38, 0xffff, v38
	;;#ASMSTART
	v_cvt_f32_f16 v46, v46;
	;;#ASMEND
	;;#ASMSTART
	v_cvt_f32_f16 v37, v37;
	;;#ASMEND
	;; [unrolled: 3-line block ×5, first 2 shown]
	v_fmac_f32_e32 v81, v37, v38
	v_fmac_f32_e32 v58, v41, v42
	v_lshrrev_b32_e32 v38, 16, v43
	v_and_b32_e32 v37, 0xffff, v43
	v_lshrrev_b32_e32 v41, 16, v39
	v_and_b32_e32 v39, 0xffff, v39
	;;#ASMSTART
	v_cvt_f32_f16 v37, v37;
	;;#ASMEND
	;;#ASMSTART
	v_cvt_f32_f16 v38, v38;
	;;#ASMEND
	;; [unrolled: 3-line block ×4, first 2 shown]
	v_dual_fmac_f32 v82, v37, v39 :: v_dual_fmac_f32 v59, v38, v41
	v_lshrrev_b32_e32 v38, 16, v44
	v_and_b32_e32 v37, 0xffff, v44
	v_and_b32_e32 v39, 0xffff, v40
	;;#ASMSTART
	v_cvt_f32_f16 v37, v37;
	;;#ASMEND
	;;#ASMSTART
	v_cvt_f32_f16 v38, v38;
	;;#ASMEND
	v_lshrrev_b32_e32 v41, 16, v40
	;;#ASMSTART
	v_cvt_f32_f16 v39, v39;
	;;#ASMEND
	;;#ASMSTART
	v_cvt_f32_f16 v40, v41;
	;;#ASMEND
	v_dual_fmac_f32 v83, v37, v39 :: v_dual_fmac_f32 v60, v38, v40
	ds_load_b128 v[37:40], v71 offset:112
	s_wait_loadcnt 0x8
	v_lshrrev_b32_e32 v42, 16, v33
	v_dual_fmac_f32 v80, v45, v46 :: v_dual_and_b32 v33, 0xffff, v33
	s_wait_dscnt 0x0
	v_lshrrev_b32_e32 v41, 16, v37
	v_and_b32_e32 v37, 0xffff, v37
	;;#ASMSTART
	v_cvt_f32_f16 v37, v37;
	;;#ASMEND
	;;#ASMSTART
	v_cvt_f32_f16 v41, v41;
	;;#ASMEND
	;; [unrolled: 3-line block ×3, first 2 shown]
	s_delay_alu instid0(VALU_DEP_1)
	v_fmac_f32_e32 v57, v37, v33
	v_lshrrev_b32_e32 v37, 16, v38
	v_and_b32_e32 v33, 0xffff, v38
	v_lshrrev_b32_e32 v38, 16, v34
	v_and_b32_e32 v34, 0xffff, v34
	;;#ASMSTART
	v_cvt_f32_f16 v42, v42;
	;;#ASMEND
	;;#ASMSTART
	v_cvt_f32_f16 v33, v33;
	;;#ASMEND
	;; [unrolled: 3-line block ×5, first 2 shown]
	v_fmac_f32_e32 v81, v33, v34
	v_fmac_f32_e32 v58, v37, v38
	v_lshrrev_b32_e32 v34, 16, v39
	v_and_b32_e32 v33, 0xffff, v39
	v_lshrrev_b32_e32 v37, 16, v35
	v_and_b32_e32 v35, 0xffff, v35
	;;#ASMSTART
	v_cvt_f32_f16 v33, v33;
	;;#ASMEND
	;;#ASMSTART
	v_cvt_f32_f16 v34, v34;
	;;#ASMEND
	;; [unrolled: 3-line block ×4, first 2 shown]
	v_dual_fmac_f32 v82, v33, v35 :: v_dual_fmac_f32 v59, v34, v37
	v_lshrrev_b32_e32 v34, 16, v40
	v_and_b32_e32 v33, 0xffff, v40
	v_and_b32_e32 v35, 0xffff, v36
	;;#ASMSTART
	v_cvt_f32_f16 v33, v33;
	;;#ASMEND
	;;#ASMSTART
	v_cvt_f32_f16 v34, v34;
	;;#ASMEND
	v_lshrrev_b32_e32 v37, 16, v36
	;;#ASMSTART
	v_cvt_f32_f16 v35, v35;
	;;#ASMEND
	;;#ASMSTART
	v_cvt_f32_f16 v36, v37;
	;;#ASMEND
	v_dual_fmac_f32 v83, v33, v35 :: v_dual_fmac_f32 v60, v34, v36
	ds_load_b128 v[33:36], v71 offset:128
	s_wait_loadcnt 0x7
	v_lshrrev_b32_e32 v38, 16, v29
	v_dual_fmac_f32 v80, v41, v42 :: v_dual_and_b32 v29, 0xffff, v29
	s_wait_dscnt 0x0
	v_lshrrev_b32_e32 v37, 16, v33
	v_and_b32_e32 v33, 0xffff, v33
	;;#ASMSTART
	v_cvt_f32_f16 v33, v33;
	;;#ASMEND
	;;#ASMSTART
	v_cvt_f32_f16 v37, v37;
	;;#ASMEND
	;; [unrolled: 3-line block ×3, first 2 shown]
	s_delay_alu instid0(VALU_DEP_1)
	v_fmac_f32_e32 v57, v33, v29
	v_lshrrev_b32_e32 v33, 16, v34
	v_and_b32_e32 v29, 0xffff, v34
	v_lshrrev_b32_e32 v34, 16, v30
	v_and_b32_e32 v30, 0xffff, v30
	;;#ASMSTART
	v_cvt_f32_f16 v38, v38;
	;;#ASMEND
	;;#ASMSTART
	v_cvt_f32_f16 v29, v29;
	;;#ASMEND
	;; [unrolled: 3-line block ×5, first 2 shown]
	v_fmac_f32_e32 v81, v29, v30
	v_fmac_f32_e32 v58, v33, v34
	v_lshrrev_b32_e32 v30, 16, v35
	v_and_b32_e32 v29, 0xffff, v35
	v_lshrrev_b32_e32 v33, 16, v31
	v_and_b32_e32 v31, 0xffff, v31
	;;#ASMSTART
	v_cvt_f32_f16 v29, v29;
	;;#ASMEND
	;;#ASMSTART
	v_cvt_f32_f16 v30, v30;
	;;#ASMEND
	;; [unrolled: 3-line block ×4, first 2 shown]
	v_dual_fmac_f32 v82, v29, v31 :: v_dual_fmac_f32 v59, v30, v33
	v_lshrrev_b32_e32 v30, 16, v36
	v_and_b32_e32 v29, 0xffff, v36
	v_and_b32_e32 v31, 0xffff, v32
	;;#ASMSTART
	v_cvt_f32_f16 v29, v29;
	;;#ASMEND
	;;#ASMSTART
	v_cvt_f32_f16 v30, v30;
	;;#ASMEND
	v_lshrrev_b32_e32 v33, 16, v32
	;;#ASMSTART
	v_cvt_f32_f16 v31, v31;
	;;#ASMEND
	;;#ASMSTART
	v_cvt_f32_f16 v32, v33;
	;;#ASMEND
	v_dual_fmac_f32 v83, v29, v31 :: v_dual_fmac_f32 v60, v30, v32
	ds_load_b128 v[29:32], v71 offset:144
	s_wait_loadcnt 0x6
	v_lshrrev_b32_e32 v34, 16, v25
	v_dual_fmac_f32 v80, v37, v38 :: v_dual_and_b32 v25, 0xffff, v25
	s_wait_dscnt 0x0
	v_lshrrev_b32_e32 v33, 16, v29
	v_and_b32_e32 v29, 0xffff, v29
	;;#ASMSTART
	v_cvt_f32_f16 v29, v29;
	;;#ASMEND
	;;#ASMSTART
	v_cvt_f32_f16 v33, v33;
	;;#ASMEND
	;; [unrolled: 3-line block ×3, first 2 shown]
	s_delay_alu instid0(VALU_DEP_1)
	v_fmac_f32_e32 v57, v29, v25
	v_lshrrev_b32_e32 v29, 16, v30
	v_and_b32_e32 v25, 0xffff, v30
	v_lshrrev_b32_e32 v30, 16, v26
	v_and_b32_e32 v26, 0xffff, v26
	;;#ASMSTART
	v_cvt_f32_f16 v34, v34;
	;;#ASMEND
	;;#ASMSTART
	v_cvt_f32_f16 v25, v25;
	;;#ASMEND
	;;#ASMSTART
	v_cvt_f32_f16 v29, v29;
	;;#ASMEND
	;;#ASMSTART
	v_cvt_f32_f16 v26, v26;
	;;#ASMEND
	;;#ASMSTART
	v_cvt_f32_f16 v30, v30;
	;;#ASMEND
	v_fmac_f32_e32 v81, v25, v26
	v_fmac_f32_e32 v58, v29, v30
	v_lshrrev_b32_e32 v26, 16, v31
	v_and_b32_e32 v25, 0xffff, v31
	v_lshrrev_b32_e32 v29, 16, v27
	v_and_b32_e32 v27, 0xffff, v27
	;;#ASMSTART
	v_cvt_f32_f16 v25, v25;
	;;#ASMEND
	;;#ASMSTART
	v_cvt_f32_f16 v26, v26;
	;;#ASMEND
	;; [unrolled: 3-line block ×4, first 2 shown]
	v_dual_fmac_f32 v82, v25, v27 :: v_dual_fmac_f32 v59, v26, v29
	v_lshrrev_b32_e32 v26, 16, v32
	v_and_b32_e32 v25, 0xffff, v32
	v_and_b32_e32 v27, 0xffff, v28
	;;#ASMSTART
	v_cvt_f32_f16 v25, v25;
	;;#ASMEND
	;;#ASMSTART
	v_cvt_f32_f16 v26, v26;
	;;#ASMEND
	v_lshrrev_b32_e32 v29, 16, v28
	;;#ASMSTART
	v_cvt_f32_f16 v27, v27;
	;;#ASMEND
	;;#ASMSTART
	v_cvt_f32_f16 v28, v29;
	;;#ASMEND
	v_dual_fmac_f32 v83, v25, v27 :: v_dual_fmac_f32 v60, v26, v28
	ds_load_b128 v[25:28], v71 offset:160
	s_wait_loadcnt 0x5
	v_lshrrev_b32_e32 v30, 16, v21
	v_dual_fmac_f32 v80, v33, v34 :: v_dual_and_b32 v21, 0xffff, v21
	s_wait_dscnt 0x0
	v_lshrrev_b32_e32 v29, 16, v25
	v_and_b32_e32 v25, 0xffff, v25
	;;#ASMSTART
	v_cvt_f32_f16 v25, v25;
	;;#ASMEND
	;;#ASMSTART
	v_cvt_f32_f16 v29, v29;
	;;#ASMEND
	;; [unrolled: 3-line block ×3, first 2 shown]
	s_delay_alu instid0(VALU_DEP_1)
	v_fmac_f32_e32 v57, v25, v21
	v_lshrrev_b32_e32 v25, 16, v26
	v_and_b32_e32 v21, 0xffff, v26
	v_lshrrev_b32_e32 v26, 16, v22
	v_and_b32_e32 v22, 0xffff, v22
	;;#ASMSTART
	v_cvt_f32_f16 v30, v30;
	;;#ASMEND
	;;#ASMSTART
	v_cvt_f32_f16 v21, v21;
	;;#ASMEND
	;; [unrolled: 3-line block ×5, first 2 shown]
	v_fmac_f32_e32 v81, v21, v22
	v_fmac_f32_e32 v58, v25, v26
	v_lshrrev_b32_e32 v22, 16, v27
	v_and_b32_e32 v21, 0xffff, v27
	v_lshrrev_b32_e32 v25, 16, v23
	v_and_b32_e32 v23, 0xffff, v23
	;;#ASMSTART
	v_cvt_f32_f16 v21, v21;
	;;#ASMEND
	;;#ASMSTART
	v_cvt_f32_f16 v22, v22;
	;;#ASMEND
	;; [unrolled: 3-line block ×4, first 2 shown]
	v_dual_fmac_f32 v82, v21, v23 :: v_dual_fmac_f32 v59, v22, v25
	v_lshrrev_b32_e32 v22, 16, v28
	v_and_b32_e32 v21, 0xffff, v28
	v_and_b32_e32 v23, 0xffff, v24
	;;#ASMSTART
	v_cvt_f32_f16 v21, v21;
	;;#ASMEND
	;;#ASMSTART
	v_cvt_f32_f16 v22, v22;
	;;#ASMEND
	v_lshrrev_b32_e32 v25, 16, v24
	;;#ASMSTART
	v_cvt_f32_f16 v23, v23;
	;;#ASMEND
	;;#ASMSTART
	v_cvt_f32_f16 v24, v25;
	;;#ASMEND
	v_dual_fmac_f32 v83, v21, v23 :: v_dual_fmac_f32 v60, v22, v24
	ds_load_b128 v[21:24], v71 offset:176
	s_wait_loadcnt 0x4
	v_lshrrev_b32_e32 v26, 16, v17
	v_dual_fmac_f32 v80, v29, v30 :: v_dual_and_b32 v17, 0xffff, v17
	s_wait_dscnt 0x0
	v_lshrrev_b32_e32 v25, 16, v21
	v_and_b32_e32 v21, 0xffff, v21
	;;#ASMSTART
	v_cvt_f32_f16 v21, v21;
	;;#ASMEND
	;;#ASMSTART
	v_cvt_f32_f16 v25, v25;
	;;#ASMEND
	;; [unrolled: 3-line block ×3, first 2 shown]
	s_delay_alu instid0(VALU_DEP_1)
	v_fmac_f32_e32 v57, v21, v17
	v_lshrrev_b32_e32 v21, 16, v22
	v_and_b32_e32 v17, 0xffff, v22
	v_lshrrev_b32_e32 v22, 16, v18
	v_and_b32_e32 v18, 0xffff, v18
	;;#ASMSTART
	v_cvt_f32_f16 v26, v26;
	;;#ASMEND
	;;#ASMSTART
	v_cvt_f32_f16 v17, v17;
	;;#ASMEND
	;;#ASMSTART
	v_cvt_f32_f16 v21, v21;
	;;#ASMEND
	;;#ASMSTART
	v_cvt_f32_f16 v18, v18;
	;;#ASMEND
	;;#ASMSTART
	v_cvt_f32_f16 v22, v22;
	;;#ASMEND
	v_fmac_f32_e32 v81, v17, v18
	v_fmac_f32_e32 v58, v21, v22
	v_lshrrev_b32_e32 v18, 16, v23
	v_and_b32_e32 v17, 0xffff, v23
	v_lshrrev_b32_e32 v21, 16, v19
	v_and_b32_e32 v19, 0xffff, v19
	;;#ASMSTART
	v_cvt_f32_f16 v17, v17;
	;;#ASMEND
	;;#ASMSTART
	v_cvt_f32_f16 v18, v18;
	;;#ASMEND
	;; [unrolled: 3-line block ×4, first 2 shown]
	v_dual_fmac_f32 v82, v17, v19 :: v_dual_fmac_f32 v59, v18, v21
	v_lshrrev_b32_e32 v18, 16, v24
	v_and_b32_e32 v17, 0xffff, v24
	v_and_b32_e32 v19, 0xffff, v20
	;;#ASMSTART
	v_cvt_f32_f16 v17, v17;
	;;#ASMEND
	;;#ASMSTART
	v_cvt_f32_f16 v18, v18;
	;;#ASMEND
	v_lshrrev_b32_e32 v21, 16, v20
	;;#ASMSTART
	v_cvt_f32_f16 v19, v19;
	;;#ASMEND
	;;#ASMSTART
	v_cvt_f32_f16 v20, v21;
	;;#ASMEND
	v_dual_fmac_f32 v83, v17, v19 :: v_dual_fmac_f32 v60, v18, v20
	ds_load_b128 v[17:20], v71 offset:192
	s_wait_loadcnt 0x3
	v_lshrrev_b32_e32 v22, 16, v13
	v_dual_fmac_f32 v80, v25, v26 :: v_dual_and_b32 v13, 0xffff, v13
	s_wait_dscnt 0x0
	v_lshrrev_b32_e32 v21, 16, v17
	v_and_b32_e32 v17, 0xffff, v17
	;;#ASMSTART
	v_cvt_f32_f16 v17, v17;
	;;#ASMEND
	;;#ASMSTART
	v_cvt_f32_f16 v21, v21;
	;;#ASMEND
	;; [unrolled: 3-line block ×3, first 2 shown]
	s_delay_alu instid0(VALU_DEP_1)
	v_fmac_f32_e32 v57, v17, v13
	v_lshrrev_b32_e32 v17, 16, v18
	v_and_b32_e32 v13, 0xffff, v18
	v_lshrrev_b32_e32 v18, 16, v14
	v_and_b32_e32 v14, 0xffff, v14
	;;#ASMSTART
	v_cvt_f32_f16 v22, v22;
	;;#ASMEND
	;;#ASMSTART
	v_cvt_f32_f16 v13, v13;
	;;#ASMEND
	;; [unrolled: 3-line block ×5, first 2 shown]
	v_fmac_f32_e32 v81, v13, v14
	v_fmac_f32_e32 v58, v17, v18
	v_lshrrev_b32_e32 v14, 16, v19
	v_and_b32_e32 v13, 0xffff, v19
	v_lshrrev_b32_e32 v17, 16, v15
	v_and_b32_e32 v15, 0xffff, v15
	;;#ASMSTART
	v_cvt_f32_f16 v13, v13;
	;;#ASMEND
	;;#ASMSTART
	v_cvt_f32_f16 v14, v14;
	;;#ASMEND
	;; [unrolled: 3-line block ×4, first 2 shown]
	v_dual_fmac_f32 v82, v13, v15 :: v_dual_fmac_f32 v59, v14, v17
	v_lshrrev_b32_e32 v14, 16, v20
	v_and_b32_e32 v13, 0xffff, v20
	v_and_b32_e32 v15, 0xffff, v16
	;;#ASMSTART
	v_cvt_f32_f16 v13, v13;
	;;#ASMEND
	;;#ASMSTART
	v_cvt_f32_f16 v14, v14;
	;;#ASMEND
	v_lshrrev_b32_e32 v17, 16, v16
	;;#ASMSTART
	v_cvt_f32_f16 v15, v15;
	;;#ASMEND
	;;#ASMSTART
	v_cvt_f32_f16 v16, v17;
	;;#ASMEND
	v_dual_fmac_f32 v83, v13, v15 :: v_dual_fmac_f32 v60, v14, v16
	ds_load_b128 v[13:16], v71 offset:208
	s_wait_loadcnt 0x2
	v_lshrrev_b32_e32 v18, 16, v9
	v_dual_fmac_f32 v80, v21, v22 :: v_dual_and_b32 v9, 0xffff, v9
	s_wait_dscnt 0x0
	v_lshrrev_b32_e32 v17, 16, v13
	v_and_b32_e32 v13, 0xffff, v13
	;;#ASMSTART
	v_cvt_f32_f16 v13, v13;
	;;#ASMEND
	;;#ASMSTART
	v_cvt_f32_f16 v17, v17;
	;;#ASMEND
	;; [unrolled: 3-line block ×3, first 2 shown]
	s_delay_alu instid0(VALU_DEP_1)
	v_fmac_f32_e32 v57, v13, v9
	v_lshrrev_b32_e32 v13, 16, v14
	v_and_b32_e32 v9, 0xffff, v14
	v_lshrrev_b32_e32 v14, 16, v10
	v_and_b32_e32 v10, 0xffff, v10
	;;#ASMSTART
	v_cvt_f32_f16 v18, v18;
	;;#ASMEND
	;;#ASMSTART
	v_cvt_f32_f16 v9, v9;
	;;#ASMEND
	;; [unrolled: 3-line block ×5, first 2 shown]
	v_fmac_f32_e32 v81, v9, v10
	v_fmac_f32_e32 v58, v13, v14
	v_lshrrev_b32_e32 v10, 16, v15
	v_and_b32_e32 v9, 0xffff, v15
	v_lshrrev_b32_e32 v13, 16, v11
	v_and_b32_e32 v11, 0xffff, v11
	;;#ASMSTART
	v_cvt_f32_f16 v9, v9;
	;;#ASMEND
	;;#ASMSTART
	v_cvt_f32_f16 v10, v10;
	;;#ASMEND
	;; [unrolled: 3-line block ×4, first 2 shown]
	v_dual_fmac_f32 v82, v9, v11 :: v_dual_fmac_f32 v59, v10, v13
	v_lshrrev_b32_e32 v10, 16, v16
	v_and_b32_e32 v9, 0xffff, v16
	v_and_b32_e32 v11, 0xffff, v12
	;;#ASMSTART
	v_cvt_f32_f16 v9, v9;
	;;#ASMEND
	;;#ASMSTART
	v_cvt_f32_f16 v10, v10;
	;;#ASMEND
	v_lshrrev_b32_e32 v13, 16, v12
	;;#ASMSTART
	v_cvt_f32_f16 v11, v11;
	;;#ASMEND
	;;#ASMSTART
	v_cvt_f32_f16 v12, v13;
	;;#ASMEND
	v_dual_fmac_f32 v83, v9, v11 :: v_dual_fmac_f32 v60, v10, v12
	ds_load_b128 v[9:12], v71 offset:224
	s_wait_loadcnt 0x1
	v_lshrrev_b32_e32 v14, 16, v5
	v_dual_fmac_f32 v80, v17, v18 :: v_dual_and_b32 v5, 0xffff, v5
	s_wait_dscnt 0x0
	v_lshrrev_b32_e32 v13, 16, v9
	v_and_b32_e32 v9, 0xffff, v9
	;;#ASMSTART
	v_cvt_f32_f16 v9, v9;
	;;#ASMEND
	;;#ASMSTART
	v_cvt_f32_f16 v13, v13;
	;;#ASMEND
	;; [unrolled: 3-line block ×3, first 2 shown]
	s_delay_alu instid0(VALU_DEP_1)
	v_fmac_f32_e32 v57, v9, v5
	v_lshrrev_b32_e32 v9, 16, v10
	v_and_b32_e32 v5, 0xffff, v10
	v_lshrrev_b32_e32 v10, 16, v6
	v_and_b32_e32 v6, 0xffff, v6
	;;#ASMSTART
	v_cvt_f32_f16 v14, v14;
	;;#ASMEND
	;;#ASMSTART
	v_cvt_f32_f16 v5, v5;
	;;#ASMEND
	;; [unrolled: 3-line block ×5, first 2 shown]
	v_fmac_f32_e32 v81, v5, v6
	v_fmac_f32_e32 v58, v9, v10
	v_lshrrev_b32_e32 v6, 16, v11
	v_and_b32_e32 v5, 0xffff, v11
	v_lshrrev_b32_e32 v9, 16, v7
	v_and_b32_e32 v7, 0xffff, v7
	;;#ASMSTART
	v_cvt_f32_f16 v5, v5;
	;;#ASMEND
	;;#ASMSTART
	v_cvt_f32_f16 v6, v6;
	;;#ASMEND
	;; [unrolled: 3-line block ×4, first 2 shown]
	v_dual_fmac_f32 v82, v5, v7 :: v_dual_fmac_f32 v59, v6, v9
	v_lshrrev_b32_e32 v6, 16, v12
	v_and_b32_e32 v5, 0xffff, v12
	v_and_b32_e32 v7, 0xffff, v8
	;;#ASMSTART
	v_cvt_f32_f16 v5, v5;
	;;#ASMEND
	;;#ASMSTART
	v_cvt_f32_f16 v6, v6;
	;;#ASMEND
	v_lshrrev_b32_e32 v9, 16, v8
	;;#ASMSTART
	v_cvt_f32_f16 v7, v7;
	;;#ASMEND
	;;#ASMSTART
	v_cvt_f32_f16 v8, v9;
	;;#ASMEND
	v_dual_fmac_f32 v83, v5, v7 :: v_dual_fmac_f32 v60, v6, v8
	ds_load_b128 v[5:8], v71 offset:240
	v_fmac_f32_e32 v80, v13, v14
	s_wait_loadcnt 0x0
	v_lshrrev_b32_e32 v10, 16, v1
	v_and_b32_e32 v1, 0xffff, v1
	s_wait_dscnt 0x0
	v_lshrrev_b32_e32 v9, 16, v5
	v_and_b32_e32 v5, 0xffff, v5
	;;#ASMSTART
	v_cvt_f32_f16 v5, v5;
	;;#ASMEND
	;;#ASMSTART
	v_cvt_f32_f16 v9, v9;
	;;#ASMEND
	;; [unrolled: 3-line block ×3, first 2 shown]
	s_delay_alu instid0(VALU_DEP_1)
	v_fmac_f32_e32 v57, v5, v1
	v_and_b32_e32 v1, 0xffff, v6
	;;#ASMSTART
	v_cvt_f32_f16 v10, v10;
	;;#ASMEND
	v_fmac_f32_e32 v80, v9, v10
	v_lshrrev_b32_e32 v5, 16, v6
	;;#ASMSTART
	v_cvt_f32_f16 v1, v1;
	;;#ASMEND
	v_lshrrev_b32_e32 v6, 16, v2
	v_and_b32_e32 v2, 0xffff, v2
	;;#ASMSTART
	v_cvt_f32_f16 v5, v5;
	;;#ASMEND
	;;#ASMSTART
	v_cvt_f32_f16 v2, v2;
	;;#ASMEND
	s_delay_alu instid0(VALU_DEP_1)
	v_fmac_f32_e32 v81, v1, v2
	v_and_b32_e32 v1, 0xffff, v7
	;;#ASMSTART
	v_cvt_f32_f16 v6, v6;
	;;#ASMEND
	v_fmac_f32_e32 v58, v5, v6
	v_lshrrev_b32_e32 v2, 16, v7
	;;#ASMSTART
	v_cvt_f32_f16 v1, v1;
	;;#ASMEND
	v_lshrrev_b32_e32 v5, 16, v3
	v_and_b32_e32 v3, 0xffff, v3
	;;#ASMSTART
	v_cvt_f32_f16 v2, v2;
	;;#ASMEND
	;;#ASMSTART
	v_cvt_f32_f16 v3, v3;
	;;#ASMEND
	s_delay_alu instid0(VALU_DEP_1)
	v_dual_fmac_f32 v82, v1, v3 :: v_dual_and_b32 v1, 0xffff, v8
	;;#ASMSTART
	v_cvt_f32_f16 v5, v5;
	;;#ASMEND
	v_fmac_f32_e32 v59, v2, v5
	v_lshrrev_b32_e32 v2, 16, v8
	;;#ASMSTART
	v_cvt_f32_f16 v1, v1;
	;;#ASMEND
	v_and_b32_e32 v3, 0xffff, v4
	;;#ASMSTART
	v_cvt_f32_f16 v2, v2;
	;;#ASMEND
	;;#ASMSTART
	v_cvt_f32_f16 v3, v3;
	;;#ASMEND
	s_delay_alu instid0(VALU_DEP_1) | instskip(SKIP_3) | instid1(VALU_DEP_2)
	v_fmac_f32_e32 v83, v1, v3
	v_add_f32_e32 v1, v57, v80
	v_lshrrev_b32_e32 v5, 16, v4
	;;#ASMSTART
	v_cvt_f32_f16 v4, v5;
	;;#ASMEND
	v_dual_fmac_f32 v60, v2, v4 :: v_dual_add_f32 v1, v1, v81
	s_delay_alu instid0(VALU_DEP_1) | instskip(NEXT) | instid1(VALU_DEP_1)
	v_add_f32_e32 v1, v58, v1
	v_add_f32_e32 v1, v1, v82
	s_delay_alu instid0(VALU_DEP_1) | instskip(NEXT) | instid1(VALU_DEP_1)
	v_add_f32_e32 v1, v59, v1
	v_add_f32_e32 v1, v1, v83
	s_delay_alu instid0(VALU_DEP_1) | instskip(NEXT) | instid1(VALU_DEP_1)
	v_add_f32_e32 v1, v60, v1
	v_fmac_f32_e32 v79, s9, v1
	s_wait_alu 0xf1ff
	s_delay_alu instid0(VALU_DEP_1) | instskip(SKIP_2) | instid1(VALU_DEP_1)
	v_cndmask_b32_e64 v1, 0, v79, s3
	ds_store_b32 v75, v1
	v_max_num_f32_e32 v1, v70, v70
	v_max_num_f32_e32 v1, v1, v79
	s_delay_alu instid0(VALU_DEP_1)
	v_cndmask_b32_e64 v70, v70, v1, s3
	s_branch .LBB114_11
.LBB114_16:
	s_or_b32 exec_lo, exec_lo, s25
.LBB114_17:
	s_delay_alu instid0(SALU_CYCLE_1)
	s_or_b32 exec_lo, exec_lo, s8
	v_mbcnt_lo_u32_b32 v1, -1, 0
	s_clause 0x2
	s_load_b128 s[8:11], s[0:1], 0x0
	s_load_b64 s[24:25], s[0:1], 0x10
	s_load_b64 s[28:29], s[0:1], 0x28
	v_xor_b32_e32 v2, 16, v1
	v_xor_b32_e32 v4, 8, v1
	s_delay_alu instid0(VALU_DEP_2) | instskip(SKIP_2) | instid1(VALU_DEP_3)
	v_cmp_gt_i32_e32 vcc_lo, 32, v2
	s_wait_alu 0xfffd
	v_cndmask_b32_e32 v2, v1, v2, vcc_lo
	v_cmp_gt_i32_e32 vcc_lo, 32, v4
	v_max_num_f32_e32 v5, v70, v70
	s_delay_alu instid0(VALU_DEP_3)
	v_lshlrev_b32_e32 v2, 2, v2
	s_wait_alu 0xfffd
	v_cndmask_b32_e32 v4, v1, v4, vcc_lo
	ds_bpermute_b32 v3, v2, v70
	s_wait_dscnt 0x0
	v_dual_max_num_f32 v6, v3, v3 :: v_dual_lshlrev_b32 v3, 2, v4
	s_delay_alu instid0(VALU_DEP_1)
	v_max_num_f32_e32 v4, v5, v6
	v_xor_b32_e32 v6, 4, v1
	ds_bpermute_b32 v5, v3, v4
	v_cmp_gt_i32_e32 vcc_lo, 32, v6
	s_wait_alu 0xfffd
	v_cndmask_b32_e32 v6, v1, v6, vcc_lo
	s_wait_dscnt 0x0
	v_max_num_f32_e32 v7, v5, v5
	s_delay_alu instid0(VALU_DEP_1)
	v_dual_max_num_f32 v4, v4, v7 :: v_dual_lshlrev_b32 v5, 2, v6
	v_xor_b32_e32 v7, 2, v1
	ds_bpermute_b32 v6, v5, v4
	v_cmp_gt_i32_e32 vcc_lo, 32, v7
	s_wait_dscnt 0x0
	s_wait_alu 0xfffd
	v_dual_cndmask_b32 v7, v1, v7 :: v_dual_max_num_f32 v6, v6, v6
	s_delay_alu instid0(VALU_DEP_1) | instskip(NEXT) | instid1(VALU_DEP_2)
	v_max_num_f32_e32 v4, v4, v6
	v_lshlrev_b32_e32 v10, 2, v7
	v_xor_b32_e32 v7, 1, v1
	s_delay_alu instid0(VALU_DEP_1)
	v_cmp_gt_i32_e32 vcc_lo, 32, v7
	s_wait_alu 0xfffd
	v_cndmask_b32_e32 v7, v1, v7, vcc_lo
	ds_bpermute_b32 v6, v10, v4
	v_cmp_eq_u32_e32 vcc_lo, 0, v64
	s_wait_dscnt 0x0
	v_dual_max_num_f32 v6, v6, v6 :: v_dual_lshlrev_b32 v9, 2, v7
	s_delay_alu instid0(VALU_DEP_1)
	v_dual_max_num_f32 v1, v4, v6 :: v_dual_lshlrev_b32 v6, 2, v63
	ds_bpermute_b32 v4, v9, v1
	s_and_saveexec_b32 s0, vcc_lo
	s_cbranch_execz .LBB114_19
; %bb.18:
	s_wait_dscnt 0x0
	v_dual_max_num_f32 v4, v4, v4 :: v_dual_max_num_f32 v1, v1, v1
	s_delay_alu instid0(VALU_DEP_1)
	v_max_num_f32_e32 v1, v1, v4
	ds_store_b32 v6, v1 offset:256
.LBB114_19:
	s_or_b32 exec_lo, exec_lo, s0
	v_cmp_gt_u32_e64 s0, 4, v64
	v_mov_b32_e32 v1, 0xff7fffff
	s_wait_loadcnt_dscnt 0x0
	s_barrier_signal -1
	s_barrier_wait -1
	global_inv scope:SCOPE_SE
	s_and_saveexec_b32 s1, s0
; %bb.20:
	ds_load_b32 v1, v69 offset:256
; %bb.21:
	s_or_b32 exec_lo, exec_lo, s1
	s_wait_dscnt 0x0
	ds_bpermute_b32 v4, v10, v1
	v_max_num_f32_e32 v1, v1, v1
	s_sub_co_i32 s1, s33, s37
	v_mov_b32_e32 v7, 0
	s_lshl_b32 s1, s1, 5
	s_delay_alu instid0(SALU_CYCLE_1) | instskip(NEXT) | instid1(SALU_CYCLE_1)
	s_add_co_i32 s1, s1, s34
	s_min_i32 s1, s1, s31
	s_delay_alu instid0(SALU_CYCLE_1) | instskip(SKIP_4) | instid1(VALU_DEP_1)
	s_sub_co_i32 s4, s1, s34
	s_wait_alu 0xfffe
	v_cmp_gt_i32_e64 s1, s4, v0
	s_wait_dscnt 0x0
	v_max_num_f32_e32 v4, v4, v4
	v_max_num_f32_e32 v1, v1, v4
	ds_bpermute_b32 v4, v9, v1
	s_wait_dscnt 0x0
	v_max_num_f32_e32 v4, v4, v4
	s_delay_alu instid0(VALU_DEP_1)
	v_max_num_f32_e32 v1, v1, v4
	v_lshl_add_u32 v4, v0, 2, 0x120
	ds_bpermute_b32 v1, v7, v1
	s_and_saveexec_b32 s15, s1
	s_cbranch_execz .LBB114_25
; %bb.22:
	v_lshl_add_u32 v8, v0, 2, 0x120
	v_mov_b32_e32 v7, 0
	v_mov_b32_e32 v11, v0
	s_mov_b32 s34, 0
.LBB114_23:                             ; =>This Inner Loop Header: Depth=1
	ds_load_b32 v12, v8
	v_add_nc_u32_e32 v11, 0x80, v11
	s_delay_alu instid0(VALU_DEP_1) | instskip(SKIP_4) | instid1(VALU_DEP_1)
	v_cmp_le_i32_e64 s3, s4, v11
	s_wait_alu 0xfffe
	s_or_b32 s34, s3, s34
	s_wait_dscnt 0x0
	v_sub_f32_e32 v12, v12, v1
	v_mul_f32_e32 v12, 0x3fb8aa3b, v12
	s_delay_alu instid0(VALU_DEP_1)
	v_exp_f32_e32 v12, v12
	ds_store_b32 v8, v12
	v_add_f32_e32 v7, v7, v12
	v_add_nc_u32_e32 v8, 0x200, v8
	s_wait_alu 0xfffe
	s_and_not1_b32 exec_lo, exec_lo, s34
	s_cbranch_execnz .LBB114_23
; %bb.24:
	s_or_b32 exec_lo, exec_lo, s34
.LBB114_25:
	s_wait_alu 0xfffe
	s_or_b32 exec_lo, exec_lo, s15
	ds_bpermute_b32 v2, v2, v7
	s_wait_dscnt 0x0
	v_add_f32_e32 v2, v7, v2
	ds_bpermute_b32 v3, v3, v2
	s_wait_dscnt 0x0
	v_add_f32_e32 v2, v2, v3
	ds_bpermute_b32 v3, v5, v2
	s_wait_dscnt 0x0
	v_add_f32_e32 v2, v2, v3
	ds_bpermute_b32 v3, v10, v2
	s_wait_dscnt 0x0
	v_add_f32_e32 v2, v2, v3
	ds_bpermute_b32 v3, v9, v2
	s_wait_dscnt 0x0
	v_add_f32_e32 v2, v2, v3
	s_and_saveexec_b32 s3, vcc_lo
; %bb.26:
	ds_store_b32 v6, v2 offset:272
; %bb.27:
	s_wait_alu 0xfffe
	s_or_b32 exec_lo, exec_lo, s3
	s_wait_loadcnt_dscnt 0x0
	s_barrier_signal -1
	s_barrier_wait -1
	global_inv scope:SCOPE_SE
	s_and_saveexec_b32 s3, s0
; %bb.28:
	ds_load_b32 v2, v69 offset:272
; %bb.29:
	s_wait_alu 0xfffe
	s_or_b32 exec_lo, exec_lo, s3
	s_wait_dscnt 0x0
	ds_bpermute_b32 v3, v10, v2
	s_wait_dscnt 0x0
	v_add_f32_e32 v2, v2, v3
	ds_bpermute_b32 v3, v9, v2
	s_wait_dscnt 0x0
	v_dual_add_f32 v2, v2, v3 :: v_dual_mov_b32 v3, 0
	ds_bpermute_b32 v2, v3, v2
	s_and_saveexec_b32 s0, s1
	s_cbranch_execz .LBB114_32
; %bb.30:
	s_wait_dscnt 0x0
	v_add_f32_e32 v3, 0x358637bd, v2
	s_mov_b32 s1, 0
	s_delay_alu instid0(VALU_DEP_1) | instskip(SKIP_1) | instid1(VALU_DEP_2)
	v_div_scale_f32 v5, null, v3, v3, 1.0
	v_div_scale_f32 v8, vcc_lo, 1.0, v3, 1.0
	v_rcp_f32_e32 v6, v5
	s_delay_alu instid0(TRANS32_DEP_1) | instskip(NEXT) | instid1(VALU_DEP_1)
	v_fma_f32 v7, -v5, v6, 1.0
	v_fmac_f32_e32 v6, v7, v6
	s_delay_alu instid0(VALU_DEP_1) | instskip(NEXT) | instid1(VALU_DEP_1)
	v_mul_f32_e32 v7, v8, v6
	v_fma_f32 v11, -v5, v7, v8
	s_delay_alu instid0(VALU_DEP_1) | instskip(NEXT) | instid1(VALU_DEP_1)
	v_fmac_f32_e32 v7, v11, v6
	v_fma_f32 v5, -v5, v7, v8
	s_wait_alu 0xfffd
	s_delay_alu instid0(VALU_DEP_1) | instskip(NEXT) | instid1(VALU_DEP_1)
	v_div_fmas_f32 v5, v5, v6, v7
	v_div_fixup_f32 v3, v5, v3, 1.0
	v_mov_b32_e32 v5, v0
.LBB114_31:                             ; =>This Inner Loop Header: Depth=1
	ds_load_b32 v6, v4
	s_wait_dscnt 0x0
	v_dual_mul_f32 v6, v3, v6 :: v_dual_add_nc_u32 v5, 0x80, v5
	s_delay_alu instid0(VALU_DEP_1) | instskip(SKIP_3) | instid1(SALU_CYCLE_1)
	v_cmp_le_i32_e32 vcc_lo, s4, v5
	ds_store_b32 v4, v6
	v_add_nc_u32_e32 v4, 0x200, v4
	s_or_b32 s1, vcc_lo, s1
	s_and_not1_b32 exec_lo, exec_lo, s1
	s_cbranch_execnz .LBB114_31
.LBB114_32:
	s_or_b32 exec_lo, exec_lo, s0
	s_mul_i32 s0, s7, s26
	s_wait_loadcnt_dscnt 0x0
	s_mul_i32 s26, s0, s27
	s_mov_b32 s0, exec_lo
	s_barrier_signal -1
	s_barrier_wait -1
	global_inv scope:SCOPE_SE
	v_cmpx_eq_u32_e32 0, v0
	s_cbranch_execz .LBB114_34
; %bb.33:
	s_ashr_i32 s27, s26, 31
	s_mul_i32 s38, s7, ttmp9
	s_lshl_b32 s1, s30, 2
	s_lshl_b64 s[40:41], s[26:27], 2
	s_ashr_i32 s39, s38, 31
	v_mov_b32_e32 v3, s1
	s_wait_kmcnt 0x0
	s_wait_alu 0xfffe
	s_add_nc_u64 s[10:11], s[10:11], s[40:41]
	s_lshl_b64 s[38:39], s[38:39], 2
	s_add_nc_u64 s[8:9], s[8:9], s[40:41]
	s_wait_alu 0xfffe
	s_add_nc_u64 s[10:11], s[10:11], s[38:39]
	s_add_nc_u64 s[8:9], s[8:9], s[38:39]
	s_clause 0x1
	global_store_b32 v3, v1, s[10:11]
	global_store_b32 v3, v2, s[8:9]
.LBB114_34:
	s_or_b32 exec_lo, exec_lo, s0
	v_dual_mov_b32 v26, 0 :: v_dual_and_b32 v11, 3, v0
	v_dual_mov_b32 v27, 0 :: v_dual_mov_b32 v24, 0
	v_dual_mov_b32 v25, 0 :: v_dual_mov_b32 v22, 0
	;; [unrolled: 1-line block ×7, first 2 shown]
	v_mov_b32_e32 v13, 0
	s_and_saveexec_b32 s1, s2
	s_cbranch_execz .LBB114_72
; %bb.35:
	s_abs_i32 s2, s6
	v_dual_mov_b32 v15, 0 :: v_dual_lshlrev_b32 v4, 5, v11
	s_wait_alu 0xfffe
	s_cvt_f32_u32 s0, s2
	s_ashr_i32 s15, s14, 31
	s_wait_kmcnt 0x0
	s_lshl_b64 s[8:9], s[22:23], 2
	v_dual_mov_b32 v12, 0 :: v_dual_and_b32 v3, 0x1f0, v67
	s_wait_alu 0xfffe
	v_rcp_iflag_f32_e32 v1, s0
	s_lshl_b64 s[10:11], s[14:15], 1
	s_add_nc_u64 s[8:9], s[20:21], s[8:9]
	v_dual_mov_b32 v13, 0 :: v_dual_lshlrev_b32 v2, 3, v0
	s_wait_alu 0xfffe
	s_add_nc_u64 s[10:11], s[28:29], s[10:11]
	v_add_co_u32 v5, s6, s8, v68
	s_sub_co_i32 s3, s36, s5
	s_sub_co_i32 s5, 0, s2
	s_delay_alu instid0(TRANS32_DEP_1)
	v_readfirstlane_b32 s0, v1
	v_lshl_or_b32 v1, v63, 7, v4
	v_add_co_ci_u32_e64 v6, null, s9, 0, s6
	s_wait_alu 0xfffe
	v_add_co_u32 v29, s6, s10, v3
	s_mul_f32 s0, s0, 0x4f7ffffe
	v_dual_mov_b32 v17, 0 :: v_dual_and_b32 v28, 24, v2
	v_add_co_ci_u32_e64 v30, null, s11, 0, s6
	s_wait_alu 0xfffe
	s_cvt_u32_f32 s0, s0
	v_dual_mov_b32 v14, 0 :: v_dual_add_nc_u32 v31, 0x120, v1
	v_dual_mov_b32 v16, 0 :: v_dual_mov_b32 v19, 0
	s_wait_alu 0xfffe
	s_mul_i32 s5, s5, s0
	v_dual_mov_b32 v18, 0 :: v_dual_mov_b32 v21, 0
	v_dual_mov_b32 v20, 0 :: v_dual_mov_b32 v23, 0
	;; [unrolled: 1-line block ×4, first 2 shown]
	v_mov_b32_e32 v26, 0
	s_wait_alu 0xfffe
	s_mul_hi_u32 s6, s0, s5
	s_mov_b32 s4, s13
	s_add_co_i32 s35, s35, -1
	s_mov_b32 s5, 0
	s_wait_alu 0xfffe
	s_add_co_i32 s6, s0, s6
	s_branch .LBB114_38
.LBB114_36:                             ;   in Loop: Header=BB114_38 Depth=1
	s_wait_alu 0xfffe
	s_or_b32 exec_lo, exec_lo, s0
	v_dual_add_f32 v32, v77, v78 :: v_dual_add_f32 v33, v74, v75
	v_dual_add_f32 v37, v72, v73 :: v_dual_add_f32 v40, v70, v71
	v_lshlrev_b32_e32 v8, 16, v8
	s_delay_alu instid0(VALU_DEP_3) | instskip(SKIP_3) | instid1(VALU_DEP_3)
	v_dual_add_f32 v13, v13, v32 :: v_dual_add_f32 v14, v14, v33
	v_dual_add_f32 v32, v68, v69 :: v_dual_add_f32 v33, v62, v67
	v_add_f32_e32 v42, v56, v57
	v_dual_add_f32 v15, v15, v37 :: v_dual_add_f32 v16, v16, v40
	v_dual_add_f32 v17, v17, v32 :: v_dual_add_f32 v18, v18, v33
	s_delay_alu instid0(VALU_DEP_3) | instskip(SKIP_2) | instid1(VALU_DEP_3)
	v_dual_add_f32 v21, v21, v42 :: v_dual_add_f32 v32, v54, v55
	v_lshlrev_b32_e32 v33, 16, v76
	v_dual_add_f32 v37, v60, v61 :: v_dual_add_f32 v40, v58, v59
	v_dual_add_f32 v22, v22, v32 :: v_dual_lshlrev_b32 v7, 16, v7
	s_delay_alu instid0(VALU_DEP_3) | instskip(NEXT) | instid1(VALU_DEP_3)
	v_and_or_b32 v1, 0xffff, v1, v33
	v_dual_add_f32 v19, v19, v37 :: v_dual_add_f32 v20, v20, v40
	v_add_f32_e32 v37, v52, v53
	v_and_or_b32 v2, 0xffff, v2, v8
	v_and_or_b32 v3, 0xffff, v3, v7
	;;#ASMSTART
	v_pk_mul_f16 v1, v35, v1;

	;;#ASMEND
	;;#ASMSTART
	v_pk_mul_f16 v2, v34, v2;

	;;#ASMEND
	;; [unrolled: 4-line block ×4, first 2 shown]
	;;#ASMSTART
	v_pk_add_f16 v1, v1, v2;

	;;#ASMEND
	;;#ASMSTART
	v_pk_add_f16 v1, v1, v3;

	;;#ASMEND
	v_add_f32_e32 v3, v36, v38
	;;#ASMSTART
	v_pk_add_f16 v1, v1, v4;

	;;#ASMEND
	v_dual_add_f32 v7, v50, v51 :: v_dual_and_b32 v4, 0xffff, v1
	v_lshrrev_b32_e32 v8, 16, v1
	;;#ASMSTART
	v_cvt_f32_f16 v4, v4;
	;;#ASMEND
	v_dual_add_f32 v23, v23, v37 :: v_dual_add_f32 v2, v46, v47
	v_dual_add_f32 v1, v48, v49 :: v_dual_add_f32 v26, v26, v3
	;;#ASMSTART
	v_cvt_f32_f16 v8, v8;
	;;#ASMEND
	v_add_f32_e32 v4, v4, v8
	s_delay_alu instid0(VALU_DEP_3) | instskip(NEXT) | instid1(VALU_DEP_2)
	v_dual_add_f32 v24, v24, v7 :: v_dual_add_f32 v27, v27, v2
	v_dual_add_f32 v25, v25, v1 :: v_dual_add_f32 v12, v12, v4
.LBB114_37:                             ;   in Loop: Header=BB114_38 Depth=1
	s_wait_alu 0xfffe
	s_or_b32 exec_lo, exec_lo, s8
	v_add_nc_u32_e32 v66, 4, v66
	v_add_co_u32 v5, s0, v5, 16
	s_wait_alu 0xf1ff
	v_add_co_ci_u32_e64 v6, null, 0, v6, s0
	s_delay_alu instid0(VALU_DEP_3)
	v_cmp_le_i32_e32 vcc_lo, s33, v66
	v_add_nc_u32_e32 v65, 0x80, v65
	v_add_nc_u32_e32 v31, 0x200, v31
	s_or_b32 s5, vcc_lo, s5
	s_wait_alu 0xfffe
	s_and_not1_b32 exec_lo, exec_lo, s5
	s_cbranch_execz .LBB114_71
.LBB114_38:                             ; =>This Inner Loop Header: Depth=1
	v_sub_nc_u32_e32 v1, 0, v65
	s_delay_alu instid0(VALU_DEP_1) | instskip(NEXT) | instid1(VALU_DEP_1)
	v_max_i32_e32 v1, v65, v1
	v_mul_hi_u32 v2, v1, s18
	s_delay_alu instid0(VALU_DEP_1) | instskip(NEXT) | instid1(VALU_DEP_1)
	v_mul_lo_u32 v3, v2, s12
	v_sub_nc_u32_e32 v1, v1, v3
	v_add_nc_u32_e32 v3, 1, v2
	s_delay_alu instid0(VALU_DEP_2) | instskip(SKIP_2) | instid1(VALU_DEP_2)
	v_subrev_nc_u32_e32 v4, s12, v1
	v_cmp_le_u32_e32 vcc_lo, s12, v1
	s_wait_alu 0xfffd
	v_dual_cndmask_b32 v2, v2, v3 :: v_dual_cndmask_b32 v1, v1, v4
	v_ashrrev_i32_e32 v3, 31, v65
	s_delay_alu instid0(VALU_DEP_2) | instskip(NEXT) | instid1(VALU_DEP_3)
	v_add_nc_u32_e32 v4, 1, v2
	v_cmp_le_u32_e32 vcc_lo, s12, v1
	s_delay_alu instid0(VALU_DEP_3) | instskip(SKIP_1) | instid1(VALU_DEP_3)
	v_xor_b32_e32 v3, s19, v3
	s_wait_alu 0xfffd
	v_cndmask_b32_e32 v1, v2, v4, vcc_lo
	s_delay_alu instid0(VALU_DEP_1) | instskip(NEXT) | instid1(VALU_DEP_1)
	v_xor_b32_e32 v1, v1, v3
	v_sub_nc_u32_e32 v1, v1, v3
	s_delay_alu instid0(VALU_DEP_1) | instskip(SKIP_1) | instid1(VALU_DEP_2)
	v_add_nc_u32_e32 v2, s17, v1
	v_cmp_lt_i32_e64 s0, s3, v1
	v_sub_nc_u32_e32 v3, 0, v2
	s_delay_alu instid0(VALU_DEP_1) | instskip(SKIP_1) | instid1(VALU_DEP_1)
	v_max_i32_e32 v3, v2, v3
	s_wait_alu 0xfffe
	v_mul_hi_u32 v4, v3, s6
	s_delay_alu instid0(VALU_DEP_1) | instskip(NEXT) | instid1(VALU_DEP_1)
	v_mul_lo_u32 v4, v4, s2
	v_sub_nc_u32_e32 v3, v3, v4
	s_delay_alu instid0(VALU_DEP_1) | instskip(SKIP_2) | instid1(VALU_DEP_2)
	v_subrev_nc_u32_e32 v4, s2, v3
	v_cmp_le_u32_e32 vcc_lo, s2, v3
	s_wait_alu 0xfffd
	v_cndmask_b32_e32 v3, v3, v4, vcc_lo
	v_ashrrev_i32_e32 v2, 31, v2
	s_delay_alu instid0(VALU_DEP_2) | instskip(SKIP_2) | instid1(VALU_DEP_2)
	v_subrev_nc_u32_e32 v4, s2, v3
	v_cmp_le_u32_e32 vcc_lo, s2, v3
	s_wait_alu 0xfffd
	v_cndmask_b32_e32 v3, v3, v4, vcc_lo
	s_delay_alu instid0(VALU_DEP_1) | instskip(NEXT) | instid1(VALU_DEP_1)
	v_xor_b32_e32 v3, v3, v2
	v_sub_nc_u32_e32 v2, v3, v2
	s_delay_alu instid0(VALU_DEP_1)
	v_cmp_eq_u32_e32 vcc_lo, 0, v2
	s_or_b32 s0, vcc_lo, s0
	s_wait_alu 0xfffe
	s_and_saveexec_b32 s8, s0
	s_cbranch_execz .LBB114_37
; %bb.39:                               ;   in Loop: Header=BB114_38 Depth=1
	global_load_b32 v7, v[5:6], off
	ds_load_2addr_b64 v[1:4], v31 offset1:1
	ds_load_2addr_b64 v[40:43], v31 offset0:2 offset1:3
	s_wait_dscnt 0x1
	;;#ASMSTART
	v_cvt_f16_f32 v35, v1;

	;;#ASMEND
	;;#ASMSTART
	v_cvt_f16_f32 v34, v2;

	;;#ASMEND
	;; [unrolled: 4-line block ×4, first 2 shown]
	s_wait_dscnt 0x0
	;;#ASMSTART
	v_cvt_f16_f32 v47, v40;

	;;#ASMEND
	;;#ASMSTART
	v_cvt_f16_f32 v38, v41;

	;;#ASMEND
	;; [unrolled: 4-line block ×4, first 2 shown]
	v_add_nc_u32_e32 v43, v28, v65
	s_delay_alu instid0(VALU_DEP_1)
	v_add_nc_u32_e32 v45, 1, v43
	v_add_nc_u32_e32 v44, 2, v43
	;; [unrolled: 1-line block ×7, first 2 shown]
	s_wait_loadcnt 0x0
	v_mad_co_i64_i32 v[7:8], null, v7, s4, 0
	s_delay_alu instid0(VALU_DEP_1) | instskip(NEXT) | instid1(VALU_DEP_1)
	v_lshlrev_b64_e32 v[7:8], 1, v[7:8]
	v_add_co_u32 v7, vcc_lo, v29, v7
	s_wait_alu 0xfffd
	s_delay_alu instid0(VALU_DEP_2)
	v_add_co_ci_u32_e64 v8, null, v30, v8, vcc_lo
	v_cmp_eq_u32_e32 vcc_lo, s35, v66
	global_load_b128 v[1:4], v[7:8], off
	s_wait_loadcnt 0x0
	v_lshrrev_b32_e32 v50, 16, v1
	v_lshrrev_b32_e32 v49, 16, v2
	;; [unrolled: 1-line block ×3, first 2 shown]
	s_and_saveexec_b32 s9, vcc_lo
	s_cbranch_execz .LBB114_41
; %bb.40:                               ;   in Loop: Header=BB114_38 Depth=1
	v_cmp_gt_i32_e64 s0, s31, v43
	v_and_b32_e32 v51, 0xffff, v4
	v_and_b32_e32 v4, 0xffff0000, v4
	s_wait_alu 0xf1ff
	s_delay_alu instid0(VALU_DEP_3) | instskip(SKIP_2) | instid1(VALU_DEP_1)
	v_cndmask_b32_e64 v1, 0, v1, s0
	v_cmp_gt_i32_e64 s0, s31, v45
	s_wait_alu 0xf1ff
	v_cndmask_b32_e64 v50, 0, v50, s0
	v_cmp_gt_i32_e64 s0, s31, v44
	s_wait_alu 0xf1ff
	s_delay_alu instid0(VALU_DEP_1) | instskip(SKIP_2) | instid1(VALU_DEP_1)
	v_cndmask_b32_e64 v2, 0, v2, s0
	v_cmp_gt_i32_e64 s0, s31, v37
	s_wait_alu 0xf1ff
	v_cndmask_b32_e64 v49, 0, v49, s0
	v_cmp_gt_i32_e64 s0, s31, v40
	s_wait_alu 0xf1ff
	s_delay_alu instid0(VALU_DEP_1) | instskip(SKIP_2) | instid1(VALU_DEP_1)
	v_cndmask_b32_e64 v51, 0, v51, s0
	v_cmp_gt_i32_e64 s0, s31, v42
	s_wait_alu 0xf1ff
	v_cndmask_b32_e64 v4, 0, v4, s0
	v_cmp_gt_i32_e64 s0, s31, v33
	s_delay_alu instid0(VALU_DEP_2) | instskip(SKIP_1) | instid1(VALU_DEP_2)
	v_or_b32_e32 v4, v51, v4
	s_wait_alu 0xf1ff
	v_cndmask_b32_e64 v3, 0, v3, s0
	v_cmp_gt_i32_e64 s0, s31, v32
	s_wait_alu 0xf1ff
	s_delay_alu instid0(VALU_DEP_1)
	v_cndmask_b32_e64 v48, 0, v48, s0
.LBB114_41:                             ;   in Loop: Header=BB114_38 Depth=1
	s_wait_alu 0xfffe
	s_or_b32 exec_lo, exec_lo, s9
	v_and_b32_e32 v35, 0xffff, v35
	v_and_b32_e32 v46, 0xffff, v46
	v_lshlrev_b32_e32 v50, 16, v50
	v_lshlrev_b32_e32 v48, 16, v48
	v_and_b32_e32 v47, 0xffff, v47
	v_lshl_or_b32 v35, v34, 16, v35
	v_lshl_or_b32 v34, v39, 16, v46
	v_lshlrev_b32_e32 v46, 16, v49
	v_and_b32_e32 v41, 0xffff, v41
	v_and_or_b32 v1, 0xffff, v1, v50
	v_and_or_b32 v3, 0xffff, v3, v48
	;;#ASMSTART
	v_pk_mul_f16 v1, v35, v1;

	;;#ASMEND
	v_and_or_b32 v2, 0xffff, v2, v46
	v_lshl_or_b32 v39, v38, 16, v47
	v_lshl_or_b32 v41, v36, 16, v41
	;;#ASMSTART
	v_pk_mul_f16 v2, v34, v2;

	;;#ASMEND
	;;#ASMSTART
	v_pk_mul_f16 v3, v39, v3;

	;;#ASMEND
	;; [unrolled: 4-line block ×3, first 2 shown]
	;;#ASMSTART
	v_pk_add_f16 v1, v1, v2;

	;;#ASMEND
	;;#ASMSTART
	v_pk_add_f16 v1, v1, v3;

	;;#ASMEND
	;; [unrolled: 4-line block ×3, first 2 shown]
	v_and_b32_e32 v2, 0xffff, v1
	v_lshrrev_b32_e32 v1, 16, v1
	;;#ASMSTART
	v_cvt_f32_f16 v36, v2;
	;;#ASMEND
	;;#ASMSTART
	v_cvt_f32_f16 v38, v1;
	;;#ASMEND
	global_load_b128 v[1:4], v[7:8], off offset:512
	s_wait_loadcnt 0x0
	v_lshrrev_b32_e32 v48, 16, v1
	v_lshrrev_b32_e32 v47, 16, v2
	v_lshrrev_b32_e32 v46, 16, v3
	s_and_saveexec_b32 s9, vcc_lo
	s_cbranch_execz .LBB114_43
; %bb.42:                               ;   in Loop: Header=BB114_38 Depth=1
	v_cmp_gt_i32_e64 s0, s31, v43
	v_and_b32_e32 v49, 0xffff, v4
	v_and_b32_e32 v4, 0xffff0000, v4
	s_wait_alu 0xf1ff
	s_delay_alu instid0(VALU_DEP_3) | instskip(SKIP_2) | instid1(VALU_DEP_1)
	v_cndmask_b32_e64 v1, 0, v1, s0
	v_cmp_gt_i32_e64 s0, s31, v45
	s_wait_alu 0xf1ff
	v_cndmask_b32_e64 v48, 0, v48, s0
	v_cmp_gt_i32_e64 s0, s31, v44
	s_wait_alu 0xf1ff
	s_delay_alu instid0(VALU_DEP_1) | instskip(SKIP_2) | instid1(VALU_DEP_1)
	v_cndmask_b32_e64 v2, 0, v2, s0
	v_cmp_gt_i32_e64 s0, s31, v37
	s_wait_alu 0xf1ff
	v_cndmask_b32_e64 v47, 0, v47, s0
	v_cmp_gt_i32_e64 s0, s31, v40
	s_wait_alu 0xf1ff
	s_delay_alu instid0(VALU_DEP_1) | instskip(SKIP_2) | instid1(VALU_DEP_1)
	v_cndmask_b32_e64 v49, 0, v49, s0
	v_cmp_gt_i32_e64 s0, s31, v42
	s_wait_alu 0xf1ff
	v_cndmask_b32_e64 v4, 0, v4, s0
	v_cmp_gt_i32_e64 s0, s31, v33
	s_delay_alu instid0(VALU_DEP_2) | instskip(SKIP_1) | instid1(VALU_DEP_2)
	v_or_b32_e32 v4, v49, v4
	s_wait_alu 0xf1ff
	v_cndmask_b32_e64 v3, 0, v3, s0
	v_cmp_gt_i32_e64 s0, s31, v32
	s_wait_alu 0xf1ff
	s_delay_alu instid0(VALU_DEP_1)
	v_cndmask_b32_e64 v46, 0, v46, s0
.LBB114_43:                             ;   in Loop: Header=BB114_38 Depth=1
	s_wait_alu 0xfffe
	s_or_b32 exec_lo, exec_lo, s9
	v_lshlrev_b32_e32 v48, 16, v48
	v_lshlrev_b32_e32 v47, 16, v47
	;; [unrolled: 1-line block ×3, first 2 shown]
	s_delay_alu instid0(VALU_DEP_3) | instskip(NEXT) | instid1(VALU_DEP_3)
	v_and_or_b32 v1, 0xffff, v1, v48
	v_and_or_b32 v2, 0xffff, v2, v47
	s_delay_alu instid0(VALU_DEP_3)
	v_and_or_b32 v3, 0xffff, v3, v46
	;;#ASMSTART
	v_pk_mul_f16 v1, v35, v1;

	;;#ASMEND
	;;#ASMSTART
	v_pk_mul_f16 v2, v34, v2;

	;;#ASMEND
	;; [unrolled: 4-line block ×4, first 2 shown]
	;;#ASMSTART
	v_pk_add_f16 v1, v1, v2;

	;;#ASMEND
	;;#ASMSTART
	v_pk_add_f16 v1, v1, v3;

	;;#ASMEND
	;; [unrolled: 4-line block ×3, first 2 shown]
	v_and_b32_e32 v2, 0xffff, v1
	v_lshrrev_b32_e32 v1, 16, v1
	;;#ASMSTART
	v_cvt_f32_f16 v46, v2;
	;;#ASMEND
	;;#ASMSTART
	v_cvt_f32_f16 v47, v1;
	;;#ASMEND
	global_load_b128 v[1:4], v[7:8], off offset:1024
	s_wait_loadcnt 0x0
	v_lshrrev_b32_e32 v50, 16, v1
	v_lshrrev_b32_e32 v49, 16, v2
	;; [unrolled: 1-line block ×3, first 2 shown]
	s_and_saveexec_b32 s9, vcc_lo
	s_cbranch_execz .LBB114_45
; %bb.44:                               ;   in Loop: Header=BB114_38 Depth=1
	v_cmp_gt_i32_e64 s0, s31, v43
	v_and_b32_e32 v51, 0xffff, v4
	v_and_b32_e32 v4, 0xffff0000, v4
	s_wait_alu 0xf1ff
	s_delay_alu instid0(VALU_DEP_3) | instskip(SKIP_2) | instid1(VALU_DEP_1)
	v_cndmask_b32_e64 v1, 0, v1, s0
	v_cmp_gt_i32_e64 s0, s31, v45
	s_wait_alu 0xf1ff
	v_cndmask_b32_e64 v50, 0, v50, s0
	v_cmp_gt_i32_e64 s0, s31, v44
	s_wait_alu 0xf1ff
	s_delay_alu instid0(VALU_DEP_1) | instskip(SKIP_2) | instid1(VALU_DEP_1)
	v_cndmask_b32_e64 v2, 0, v2, s0
	v_cmp_gt_i32_e64 s0, s31, v37
	s_wait_alu 0xf1ff
	v_cndmask_b32_e64 v49, 0, v49, s0
	v_cmp_gt_i32_e64 s0, s31, v40
	s_wait_alu 0xf1ff
	s_delay_alu instid0(VALU_DEP_1) | instskip(SKIP_2) | instid1(VALU_DEP_1)
	v_cndmask_b32_e64 v51, 0, v51, s0
	v_cmp_gt_i32_e64 s0, s31, v42
	s_wait_alu 0xf1ff
	v_cndmask_b32_e64 v4, 0, v4, s0
	v_cmp_gt_i32_e64 s0, s31, v33
	s_delay_alu instid0(VALU_DEP_2) | instskip(SKIP_1) | instid1(VALU_DEP_2)
	v_or_b32_e32 v4, v51, v4
	s_wait_alu 0xf1ff
	v_cndmask_b32_e64 v3, 0, v3, s0
	v_cmp_gt_i32_e64 s0, s31, v32
	s_wait_alu 0xf1ff
	s_delay_alu instid0(VALU_DEP_1)
	v_cndmask_b32_e64 v48, 0, v48, s0
.LBB114_45:                             ;   in Loop: Header=BB114_38 Depth=1
	s_wait_alu 0xfffe
	s_or_b32 exec_lo, exec_lo, s9
	v_lshlrev_b32_e32 v50, 16, v50
	v_lshlrev_b32_e32 v49, 16, v49
	;; [unrolled: 1-line block ×3, first 2 shown]
	s_delay_alu instid0(VALU_DEP_3) | instskip(NEXT) | instid1(VALU_DEP_3)
	v_and_or_b32 v1, 0xffff, v1, v50
	v_and_or_b32 v2, 0xffff, v2, v49
	s_delay_alu instid0(VALU_DEP_3)
	v_and_or_b32 v3, 0xffff, v3, v48
	;;#ASMSTART
	v_pk_mul_f16 v1, v35, v1;

	;;#ASMEND
	;;#ASMSTART
	v_pk_mul_f16 v2, v34, v2;

	;;#ASMEND
	;; [unrolled: 4-line block ×4, first 2 shown]
	;;#ASMSTART
	v_pk_add_f16 v1, v1, v2;

	;;#ASMEND
	;;#ASMSTART
	v_pk_add_f16 v1, v1, v3;

	;;#ASMEND
	;; [unrolled: 4-line block ×3, first 2 shown]
	v_and_b32_e32 v2, 0xffff, v1
	v_lshrrev_b32_e32 v1, 16, v1
	;;#ASMSTART
	v_cvt_f32_f16 v48, v2;
	;;#ASMEND
	;;#ASMSTART
	v_cvt_f32_f16 v49, v1;
	;;#ASMEND
	global_load_b128 v[1:4], v[7:8], off offset:1536
	s_wait_loadcnt 0x0
	v_lshrrev_b32_e32 v52, 16, v1
	v_lshrrev_b32_e32 v51, 16, v2
	v_lshrrev_b32_e32 v50, 16, v3
	s_and_saveexec_b32 s9, vcc_lo
	s_cbranch_execz .LBB114_47
; %bb.46:                               ;   in Loop: Header=BB114_38 Depth=1
	v_cmp_gt_i32_e64 s0, s31, v43
	v_and_b32_e32 v53, 0xffff, v4
	v_and_b32_e32 v4, 0xffff0000, v4
	s_wait_alu 0xf1ff
	s_delay_alu instid0(VALU_DEP_3) | instskip(SKIP_2) | instid1(VALU_DEP_1)
	v_cndmask_b32_e64 v1, 0, v1, s0
	v_cmp_gt_i32_e64 s0, s31, v45
	s_wait_alu 0xf1ff
	v_cndmask_b32_e64 v52, 0, v52, s0
	v_cmp_gt_i32_e64 s0, s31, v44
	s_wait_alu 0xf1ff
	s_delay_alu instid0(VALU_DEP_1) | instskip(SKIP_2) | instid1(VALU_DEP_1)
	v_cndmask_b32_e64 v2, 0, v2, s0
	v_cmp_gt_i32_e64 s0, s31, v37
	s_wait_alu 0xf1ff
	v_cndmask_b32_e64 v51, 0, v51, s0
	v_cmp_gt_i32_e64 s0, s31, v40
	s_wait_alu 0xf1ff
	s_delay_alu instid0(VALU_DEP_1) | instskip(SKIP_2) | instid1(VALU_DEP_1)
	v_cndmask_b32_e64 v53, 0, v53, s0
	v_cmp_gt_i32_e64 s0, s31, v42
	s_wait_alu 0xf1ff
	v_cndmask_b32_e64 v4, 0, v4, s0
	v_cmp_gt_i32_e64 s0, s31, v33
	s_delay_alu instid0(VALU_DEP_2) | instskip(SKIP_1) | instid1(VALU_DEP_2)
	v_or_b32_e32 v4, v53, v4
	s_wait_alu 0xf1ff
	v_cndmask_b32_e64 v3, 0, v3, s0
	v_cmp_gt_i32_e64 s0, s31, v32
	s_wait_alu 0xf1ff
	s_delay_alu instid0(VALU_DEP_1)
	v_cndmask_b32_e64 v50, 0, v50, s0
.LBB114_47:                             ;   in Loop: Header=BB114_38 Depth=1
	s_wait_alu 0xfffe
	s_or_b32 exec_lo, exec_lo, s9
	v_lshlrev_b32_e32 v52, 16, v52
	v_lshlrev_b32_e32 v51, 16, v51
	v_lshlrev_b32_e32 v50, 16, v50
	s_delay_alu instid0(VALU_DEP_3) | instskip(NEXT) | instid1(VALU_DEP_3)
	v_and_or_b32 v1, 0xffff, v1, v52
	v_and_or_b32 v2, 0xffff, v2, v51
	s_delay_alu instid0(VALU_DEP_3)
	v_and_or_b32 v3, 0xffff, v3, v50
	;;#ASMSTART
	v_pk_mul_f16 v1, v35, v1;

	;;#ASMEND
	;;#ASMSTART
	v_pk_mul_f16 v2, v34, v2;

	;;#ASMEND
	;; [unrolled: 4-line block ×4, first 2 shown]
	;;#ASMSTART
	v_pk_add_f16 v1, v1, v2;

	;;#ASMEND
	;;#ASMSTART
	v_pk_add_f16 v1, v1, v3;

	;;#ASMEND
	;; [unrolled: 4-line block ×3, first 2 shown]
	v_and_b32_e32 v2, 0xffff, v1
	v_lshrrev_b32_e32 v1, 16, v1
	;;#ASMSTART
	v_cvt_f32_f16 v50, v2;
	;;#ASMEND
	;;#ASMSTART
	v_cvt_f32_f16 v51, v1;
	;;#ASMEND
	global_load_b128 v[1:4], v[7:8], off offset:2048
	s_wait_loadcnt 0x0
	v_lshrrev_b32_e32 v54, 16, v1
	v_lshrrev_b32_e32 v53, 16, v2
	;; [unrolled: 1-line block ×3, first 2 shown]
	s_and_saveexec_b32 s9, vcc_lo
	s_cbranch_execz .LBB114_49
; %bb.48:                               ;   in Loop: Header=BB114_38 Depth=1
	v_cmp_gt_i32_e64 s0, s31, v43
	v_and_b32_e32 v55, 0xffff, v4
	v_and_b32_e32 v4, 0xffff0000, v4
	s_wait_alu 0xf1ff
	s_delay_alu instid0(VALU_DEP_3) | instskip(SKIP_2) | instid1(VALU_DEP_1)
	v_cndmask_b32_e64 v1, 0, v1, s0
	v_cmp_gt_i32_e64 s0, s31, v45
	s_wait_alu 0xf1ff
	v_cndmask_b32_e64 v54, 0, v54, s0
	v_cmp_gt_i32_e64 s0, s31, v44
	s_wait_alu 0xf1ff
	s_delay_alu instid0(VALU_DEP_1) | instskip(SKIP_2) | instid1(VALU_DEP_1)
	v_cndmask_b32_e64 v2, 0, v2, s0
	v_cmp_gt_i32_e64 s0, s31, v37
	s_wait_alu 0xf1ff
	v_cndmask_b32_e64 v53, 0, v53, s0
	v_cmp_gt_i32_e64 s0, s31, v40
	s_wait_alu 0xf1ff
	s_delay_alu instid0(VALU_DEP_1) | instskip(SKIP_2) | instid1(VALU_DEP_1)
	v_cndmask_b32_e64 v55, 0, v55, s0
	v_cmp_gt_i32_e64 s0, s31, v42
	s_wait_alu 0xf1ff
	v_cndmask_b32_e64 v4, 0, v4, s0
	v_cmp_gt_i32_e64 s0, s31, v33
	s_delay_alu instid0(VALU_DEP_2) | instskip(SKIP_1) | instid1(VALU_DEP_2)
	v_or_b32_e32 v4, v55, v4
	s_wait_alu 0xf1ff
	v_cndmask_b32_e64 v3, 0, v3, s0
	v_cmp_gt_i32_e64 s0, s31, v32
	s_wait_alu 0xf1ff
	s_delay_alu instid0(VALU_DEP_1)
	v_cndmask_b32_e64 v52, 0, v52, s0
.LBB114_49:                             ;   in Loop: Header=BB114_38 Depth=1
	s_wait_alu 0xfffe
	s_or_b32 exec_lo, exec_lo, s9
	v_lshlrev_b32_e32 v54, 16, v54
	v_lshlrev_b32_e32 v53, 16, v53
	;; [unrolled: 1-line block ×3, first 2 shown]
	s_delay_alu instid0(VALU_DEP_3) | instskip(NEXT) | instid1(VALU_DEP_3)
	v_and_or_b32 v1, 0xffff, v1, v54
	v_and_or_b32 v2, 0xffff, v2, v53
	s_delay_alu instid0(VALU_DEP_3)
	v_and_or_b32 v3, 0xffff, v3, v52
	;;#ASMSTART
	v_pk_mul_f16 v1, v35, v1;

	;;#ASMEND
	;;#ASMSTART
	v_pk_mul_f16 v2, v34, v2;

	;;#ASMEND
	;; [unrolled: 4-line block ×4, first 2 shown]
	;;#ASMSTART
	v_pk_add_f16 v1, v1, v2;

	;;#ASMEND
	;;#ASMSTART
	v_pk_add_f16 v1, v1, v3;

	;;#ASMEND
	;; [unrolled: 4-line block ×3, first 2 shown]
	v_and_b32_e32 v2, 0xffff, v1
	v_lshrrev_b32_e32 v1, 16, v1
	;;#ASMSTART
	v_cvt_f32_f16 v52, v2;
	;;#ASMEND
	;;#ASMSTART
	v_cvt_f32_f16 v53, v1;
	;;#ASMEND
	global_load_b128 v[1:4], v[7:8], off offset:2560
	s_wait_loadcnt 0x0
	v_lshrrev_b32_e32 v56, 16, v1
	v_lshrrev_b32_e32 v55, 16, v2
	;; [unrolled: 1-line block ×3, first 2 shown]
	s_and_saveexec_b32 s9, vcc_lo
	s_cbranch_execz .LBB114_51
; %bb.50:                               ;   in Loop: Header=BB114_38 Depth=1
	v_cmp_gt_i32_e64 s0, s31, v43
	v_and_b32_e32 v57, 0xffff, v4
	v_and_b32_e32 v4, 0xffff0000, v4
	s_wait_alu 0xf1ff
	s_delay_alu instid0(VALU_DEP_3) | instskip(SKIP_2) | instid1(VALU_DEP_1)
	v_cndmask_b32_e64 v1, 0, v1, s0
	v_cmp_gt_i32_e64 s0, s31, v45
	s_wait_alu 0xf1ff
	v_cndmask_b32_e64 v56, 0, v56, s0
	v_cmp_gt_i32_e64 s0, s31, v44
	s_wait_alu 0xf1ff
	s_delay_alu instid0(VALU_DEP_1) | instskip(SKIP_2) | instid1(VALU_DEP_1)
	v_cndmask_b32_e64 v2, 0, v2, s0
	v_cmp_gt_i32_e64 s0, s31, v37
	s_wait_alu 0xf1ff
	v_cndmask_b32_e64 v55, 0, v55, s0
	v_cmp_gt_i32_e64 s0, s31, v40
	s_wait_alu 0xf1ff
	s_delay_alu instid0(VALU_DEP_1) | instskip(SKIP_2) | instid1(VALU_DEP_1)
	v_cndmask_b32_e64 v57, 0, v57, s0
	v_cmp_gt_i32_e64 s0, s31, v42
	s_wait_alu 0xf1ff
	v_cndmask_b32_e64 v4, 0, v4, s0
	v_cmp_gt_i32_e64 s0, s31, v33
	s_delay_alu instid0(VALU_DEP_2) | instskip(SKIP_1) | instid1(VALU_DEP_2)
	v_or_b32_e32 v4, v57, v4
	s_wait_alu 0xf1ff
	v_cndmask_b32_e64 v3, 0, v3, s0
	v_cmp_gt_i32_e64 s0, s31, v32
	s_wait_alu 0xf1ff
	s_delay_alu instid0(VALU_DEP_1)
	v_cndmask_b32_e64 v54, 0, v54, s0
.LBB114_51:                             ;   in Loop: Header=BB114_38 Depth=1
	s_wait_alu 0xfffe
	s_or_b32 exec_lo, exec_lo, s9
	v_lshlrev_b32_e32 v56, 16, v56
	v_lshlrev_b32_e32 v55, 16, v55
	v_lshlrev_b32_e32 v54, 16, v54
	s_delay_alu instid0(VALU_DEP_3) | instskip(NEXT) | instid1(VALU_DEP_3)
	v_and_or_b32 v1, 0xffff, v1, v56
	v_and_or_b32 v2, 0xffff, v2, v55
	s_delay_alu instid0(VALU_DEP_3)
	v_and_or_b32 v3, 0xffff, v3, v54
	;;#ASMSTART
	v_pk_mul_f16 v1, v35, v1;

	;;#ASMEND
	;;#ASMSTART
	v_pk_mul_f16 v2, v34, v2;

	;;#ASMEND
	;; [unrolled: 4-line block ×4, first 2 shown]
	;;#ASMSTART
	v_pk_add_f16 v1, v1, v2;

	;;#ASMEND
	;;#ASMSTART
	v_pk_add_f16 v1, v1, v3;

	;;#ASMEND
	;; [unrolled: 4-line block ×3, first 2 shown]
	v_and_b32_e32 v2, 0xffff, v1
	v_lshrrev_b32_e32 v1, 16, v1
	;;#ASMSTART
	v_cvt_f32_f16 v54, v2;
	;;#ASMEND
	;;#ASMSTART
	v_cvt_f32_f16 v55, v1;
	;;#ASMEND
	global_load_b128 v[1:4], v[7:8], off offset:3072
	s_wait_loadcnt 0x0
	v_lshrrev_b32_e32 v58, 16, v1
	v_lshrrev_b32_e32 v57, 16, v2
	;; [unrolled: 1-line block ×3, first 2 shown]
	s_and_saveexec_b32 s9, vcc_lo
	s_cbranch_execz .LBB114_53
; %bb.52:                               ;   in Loop: Header=BB114_38 Depth=1
	v_cmp_gt_i32_e64 s0, s31, v43
	v_and_b32_e32 v59, 0xffff, v4
	v_and_b32_e32 v4, 0xffff0000, v4
	s_wait_alu 0xf1ff
	s_delay_alu instid0(VALU_DEP_3) | instskip(SKIP_2) | instid1(VALU_DEP_1)
	v_cndmask_b32_e64 v1, 0, v1, s0
	v_cmp_gt_i32_e64 s0, s31, v45
	s_wait_alu 0xf1ff
	v_cndmask_b32_e64 v58, 0, v58, s0
	v_cmp_gt_i32_e64 s0, s31, v44
	s_wait_alu 0xf1ff
	s_delay_alu instid0(VALU_DEP_1) | instskip(SKIP_2) | instid1(VALU_DEP_1)
	v_cndmask_b32_e64 v2, 0, v2, s0
	v_cmp_gt_i32_e64 s0, s31, v37
	s_wait_alu 0xf1ff
	v_cndmask_b32_e64 v57, 0, v57, s0
	v_cmp_gt_i32_e64 s0, s31, v40
	s_wait_alu 0xf1ff
	s_delay_alu instid0(VALU_DEP_1) | instskip(SKIP_2) | instid1(VALU_DEP_1)
	v_cndmask_b32_e64 v59, 0, v59, s0
	v_cmp_gt_i32_e64 s0, s31, v42
	s_wait_alu 0xf1ff
	v_cndmask_b32_e64 v4, 0, v4, s0
	v_cmp_gt_i32_e64 s0, s31, v33
	s_delay_alu instid0(VALU_DEP_2) | instskip(SKIP_1) | instid1(VALU_DEP_2)
	v_or_b32_e32 v4, v59, v4
	s_wait_alu 0xf1ff
	v_cndmask_b32_e64 v3, 0, v3, s0
	v_cmp_gt_i32_e64 s0, s31, v32
	s_wait_alu 0xf1ff
	s_delay_alu instid0(VALU_DEP_1)
	v_cndmask_b32_e64 v56, 0, v56, s0
.LBB114_53:                             ;   in Loop: Header=BB114_38 Depth=1
	s_wait_alu 0xfffe
	s_or_b32 exec_lo, exec_lo, s9
	v_lshlrev_b32_e32 v58, 16, v58
	v_lshlrev_b32_e32 v57, 16, v57
	;; [unrolled: 1-line block ×3, first 2 shown]
	s_delay_alu instid0(VALU_DEP_3) | instskip(NEXT) | instid1(VALU_DEP_3)
	v_and_or_b32 v1, 0xffff, v1, v58
	v_and_or_b32 v2, 0xffff, v2, v57
	s_delay_alu instid0(VALU_DEP_3)
	v_and_or_b32 v3, 0xffff, v3, v56
	;;#ASMSTART
	v_pk_mul_f16 v1, v35, v1;

	;;#ASMEND
	;;#ASMSTART
	v_pk_mul_f16 v2, v34, v2;

	;;#ASMEND
	;;#ASMSTART
	v_pk_mul_f16 v3, v39, v3;

	;;#ASMEND
	;;#ASMSTART
	v_pk_mul_f16 v4, v41, v4;

	;;#ASMEND
	;;#ASMSTART
	v_pk_add_f16 v1, v1, v2;

	;;#ASMEND
	;;#ASMSTART
	v_pk_add_f16 v1, v1, v3;

	;;#ASMEND
	;; [unrolled: 4-line block ×3, first 2 shown]
	v_and_b32_e32 v2, 0xffff, v1
	v_lshrrev_b32_e32 v1, 16, v1
	;;#ASMSTART
	v_cvt_f32_f16 v56, v2;
	;;#ASMEND
	;;#ASMSTART
	v_cvt_f32_f16 v57, v1;
	;;#ASMEND
	global_load_b128 v[1:4], v[7:8], off offset:3584
	s_wait_loadcnt 0x0
	v_lshrrev_b32_e32 v60, 16, v1
	v_lshrrev_b32_e32 v59, 16, v2
	;; [unrolled: 1-line block ×3, first 2 shown]
	s_and_saveexec_b32 s9, vcc_lo
	s_cbranch_execz .LBB114_55
; %bb.54:                               ;   in Loop: Header=BB114_38 Depth=1
	v_cmp_gt_i32_e64 s0, s31, v43
	v_and_b32_e32 v61, 0xffff, v4
	v_and_b32_e32 v4, 0xffff0000, v4
	s_wait_alu 0xf1ff
	s_delay_alu instid0(VALU_DEP_3) | instskip(SKIP_2) | instid1(VALU_DEP_1)
	v_cndmask_b32_e64 v1, 0, v1, s0
	v_cmp_gt_i32_e64 s0, s31, v45
	s_wait_alu 0xf1ff
	v_cndmask_b32_e64 v60, 0, v60, s0
	v_cmp_gt_i32_e64 s0, s31, v44
	s_wait_alu 0xf1ff
	s_delay_alu instid0(VALU_DEP_1) | instskip(SKIP_2) | instid1(VALU_DEP_1)
	v_cndmask_b32_e64 v2, 0, v2, s0
	v_cmp_gt_i32_e64 s0, s31, v37
	s_wait_alu 0xf1ff
	v_cndmask_b32_e64 v59, 0, v59, s0
	v_cmp_gt_i32_e64 s0, s31, v40
	s_wait_alu 0xf1ff
	s_delay_alu instid0(VALU_DEP_1) | instskip(SKIP_2) | instid1(VALU_DEP_1)
	v_cndmask_b32_e64 v61, 0, v61, s0
	v_cmp_gt_i32_e64 s0, s31, v42
	s_wait_alu 0xf1ff
	v_cndmask_b32_e64 v4, 0, v4, s0
	v_cmp_gt_i32_e64 s0, s31, v33
	s_delay_alu instid0(VALU_DEP_2) | instskip(SKIP_1) | instid1(VALU_DEP_2)
	v_or_b32_e32 v4, v61, v4
	s_wait_alu 0xf1ff
	v_cndmask_b32_e64 v3, 0, v3, s0
	v_cmp_gt_i32_e64 s0, s31, v32
	s_wait_alu 0xf1ff
	s_delay_alu instid0(VALU_DEP_1)
	v_cndmask_b32_e64 v58, 0, v58, s0
.LBB114_55:                             ;   in Loop: Header=BB114_38 Depth=1
	s_wait_alu 0xfffe
	s_or_b32 exec_lo, exec_lo, s9
	v_lshlrev_b32_e32 v60, 16, v60
	v_lshlrev_b32_e32 v59, 16, v59
	;; [unrolled: 1-line block ×3, first 2 shown]
	s_delay_alu instid0(VALU_DEP_3) | instskip(NEXT) | instid1(VALU_DEP_3)
	v_and_or_b32 v1, 0xffff, v1, v60
	v_and_or_b32 v2, 0xffff, v2, v59
	s_delay_alu instid0(VALU_DEP_3)
	v_and_or_b32 v3, 0xffff, v3, v58
	;;#ASMSTART
	v_pk_mul_f16 v1, v35, v1;

	;;#ASMEND
	;;#ASMSTART
	v_pk_mul_f16 v2, v34, v2;

	;;#ASMEND
	;; [unrolled: 4-line block ×4, first 2 shown]
	;;#ASMSTART
	v_pk_add_f16 v1, v1, v2;

	;;#ASMEND
	;;#ASMSTART
	v_pk_add_f16 v1, v1, v3;

	;;#ASMEND
	;; [unrolled: 4-line block ×3, first 2 shown]
	v_and_b32_e32 v2, 0xffff, v1
	v_lshrrev_b32_e32 v1, 16, v1
	;;#ASMSTART
	v_cvt_f32_f16 v58, v2;
	;;#ASMEND
	;;#ASMSTART
	v_cvt_f32_f16 v59, v1;
	;;#ASMEND
	global_load_b128 v[1:4], v[7:8], off offset:4096
	s_wait_loadcnt 0x0
	v_lshrrev_b32_e32 v62, 16, v1
	v_lshrrev_b32_e32 v61, 16, v2
	;; [unrolled: 1-line block ×3, first 2 shown]
	s_and_saveexec_b32 s9, vcc_lo
	s_cbranch_execz .LBB114_57
; %bb.56:                               ;   in Loop: Header=BB114_38 Depth=1
	v_cmp_gt_i32_e64 s0, s31, v43
	v_and_b32_e32 v67, 0xffff, v4
	v_and_b32_e32 v4, 0xffff0000, v4
	s_wait_alu 0xf1ff
	s_delay_alu instid0(VALU_DEP_3) | instskip(SKIP_2) | instid1(VALU_DEP_1)
	v_cndmask_b32_e64 v1, 0, v1, s0
	v_cmp_gt_i32_e64 s0, s31, v45
	s_wait_alu 0xf1ff
	v_cndmask_b32_e64 v62, 0, v62, s0
	v_cmp_gt_i32_e64 s0, s31, v44
	s_wait_alu 0xf1ff
	s_delay_alu instid0(VALU_DEP_1) | instskip(SKIP_2) | instid1(VALU_DEP_1)
	v_cndmask_b32_e64 v2, 0, v2, s0
	v_cmp_gt_i32_e64 s0, s31, v37
	s_wait_alu 0xf1ff
	v_cndmask_b32_e64 v61, 0, v61, s0
	v_cmp_gt_i32_e64 s0, s31, v40
	s_wait_alu 0xf1ff
	s_delay_alu instid0(VALU_DEP_1) | instskip(SKIP_2) | instid1(VALU_DEP_1)
	v_cndmask_b32_e64 v67, 0, v67, s0
	v_cmp_gt_i32_e64 s0, s31, v42
	s_wait_alu 0xf1ff
	v_cndmask_b32_e64 v4, 0, v4, s0
	v_cmp_gt_i32_e64 s0, s31, v33
	s_delay_alu instid0(VALU_DEP_2) | instskip(SKIP_1) | instid1(VALU_DEP_2)
	v_or_b32_e32 v4, v67, v4
	s_wait_alu 0xf1ff
	v_cndmask_b32_e64 v3, 0, v3, s0
	v_cmp_gt_i32_e64 s0, s31, v32
	s_wait_alu 0xf1ff
	s_delay_alu instid0(VALU_DEP_1)
	v_cndmask_b32_e64 v60, 0, v60, s0
.LBB114_57:                             ;   in Loop: Header=BB114_38 Depth=1
	s_wait_alu 0xfffe
	s_or_b32 exec_lo, exec_lo, s9
	v_lshlrev_b32_e32 v62, 16, v62
	v_lshlrev_b32_e32 v61, 16, v61
	;; [unrolled: 1-line block ×3, first 2 shown]
	s_delay_alu instid0(VALU_DEP_3) | instskip(NEXT) | instid1(VALU_DEP_3)
	v_and_or_b32 v1, 0xffff, v1, v62
	v_and_or_b32 v2, 0xffff, v2, v61
	s_delay_alu instid0(VALU_DEP_3)
	v_and_or_b32 v3, 0xffff, v3, v60
	;;#ASMSTART
	v_pk_mul_f16 v1, v35, v1;

	;;#ASMEND
	;;#ASMSTART
	v_pk_mul_f16 v2, v34, v2;

	;;#ASMEND
	;; [unrolled: 4-line block ×4, first 2 shown]
	;;#ASMSTART
	v_pk_add_f16 v1, v1, v2;

	;;#ASMEND
	;;#ASMSTART
	v_pk_add_f16 v1, v1, v3;

	;;#ASMEND
	;; [unrolled: 4-line block ×3, first 2 shown]
	v_and_b32_e32 v2, 0xffff, v1
	v_lshrrev_b32_e32 v1, 16, v1
	;;#ASMSTART
	v_cvt_f32_f16 v60, v2;
	;;#ASMEND
	;;#ASMSTART
	v_cvt_f32_f16 v61, v1;
	;;#ASMEND
	global_load_b128 v[1:4], v[7:8], off offset:4608
	s_wait_loadcnt 0x0
	v_lshrrev_b32_e32 v68, 16, v1
	v_lshrrev_b32_e32 v67, 16, v2
	;; [unrolled: 1-line block ×3, first 2 shown]
	s_and_saveexec_b32 s9, vcc_lo
	s_cbranch_execz .LBB114_59
; %bb.58:                               ;   in Loop: Header=BB114_38 Depth=1
	v_cmp_gt_i32_e64 s0, s31, v43
	v_and_b32_e32 v69, 0xffff, v4
	v_and_b32_e32 v4, 0xffff0000, v4
	s_wait_alu 0xf1ff
	s_delay_alu instid0(VALU_DEP_3) | instskip(SKIP_2) | instid1(VALU_DEP_1)
	v_cndmask_b32_e64 v1, 0, v1, s0
	v_cmp_gt_i32_e64 s0, s31, v45
	s_wait_alu 0xf1ff
	v_cndmask_b32_e64 v68, 0, v68, s0
	v_cmp_gt_i32_e64 s0, s31, v44
	s_wait_alu 0xf1ff
	s_delay_alu instid0(VALU_DEP_1) | instskip(SKIP_2) | instid1(VALU_DEP_1)
	v_cndmask_b32_e64 v2, 0, v2, s0
	v_cmp_gt_i32_e64 s0, s31, v37
	s_wait_alu 0xf1ff
	v_cndmask_b32_e64 v67, 0, v67, s0
	v_cmp_gt_i32_e64 s0, s31, v40
	s_wait_alu 0xf1ff
	s_delay_alu instid0(VALU_DEP_1) | instskip(SKIP_2) | instid1(VALU_DEP_1)
	v_cndmask_b32_e64 v69, 0, v69, s0
	v_cmp_gt_i32_e64 s0, s31, v42
	s_wait_alu 0xf1ff
	v_cndmask_b32_e64 v4, 0, v4, s0
	v_cmp_gt_i32_e64 s0, s31, v33
	s_delay_alu instid0(VALU_DEP_2) | instskip(SKIP_1) | instid1(VALU_DEP_2)
	v_or_b32_e32 v4, v69, v4
	s_wait_alu 0xf1ff
	v_cndmask_b32_e64 v3, 0, v3, s0
	v_cmp_gt_i32_e64 s0, s31, v32
	s_wait_alu 0xf1ff
	s_delay_alu instid0(VALU_DEP_1)
	v_cndmask_b32_e64 v62, 0, v62, s0
.LBB114_59:                             ;   in Loop: Header=BB114_38 Depth=1
	s_wait_alu 0xfffe
	s_or_b32 exec_lo, exec_lo, s9
	v_lshlrev_b32_e32 v68, 16, v68
	v_lshlrev_b32_e32 v67, 16, v67
	;; [unrolled: 1-line block ×3, first 2 shown]
	s_delay_alu instid0(VALU_DEP_3) | instskip(NEXT) | instid1(VALU_DEP_3)
	v_and_or_b32 v1, 0xffff, v1, v68
	v_and_or_b32 v2, 0xffff, v2, v67
	s_delay_alu instid0(VALU_DEP_3)
	v_and_or_b32 v3, 0xffff, v3, v62
	;;#ASMSTART
	v_pk_mul_f16 v1, v35, v1;

	;;#ASMEND
	;;#ASMSTART
	v_pk_mul_f16 v2, v34, v2;

	;;#ASMEND
	;; [unrolled: 4-line block ×4, first 2 shown]
	;;#ASMSTART
	v_pk_add_f16 v1, v1, v2;

	;;#ASMEND
	;;#ASMSTART
	v_pk_add_f16 v1, v1, v3;

	;;#ASMEND
	;; [unrolled: 4-line block ×3, first 2 shown]
	v_and_b32_e32 v2, 0xffff, v1
	v_lshrrev_b32_e32 v1, 16, v1
	;;#ASMSTART
	v_cvt_f32_f16 v62, v2;
	;;#ASMEND
	;;#ASMSTART
	v_cvt_f32_f16 v67, v1;
	;;#ASMEND
	global_load_b128 v[1:4], v[7:8], off offset:5120
	s_wait_loadcnt 0x0
	v_lshrrev_b32_e32 v70, 16, v1
	v_lshrrev_b32_e32 v69, 16, v2
	;; [unrolled: 1-line block ×3, first 2 shown]
	s_and_saveexec_b32 s9, vcc_lo
	s_cbranch_execz .LBB114_61
; %bb.60:                               ;   in Loop: Header=BB114_38 Depth=1
	v_cmp_gt_i32_e64 s0, s31, v43
	v_and_b32_e32 v71, 0xffff, v4
	v_and_b32_e32 v4, 0xffff0000, v4
	s_wait_alu 0xf1ff
	s_delay_alu instid0(VALU_DEP_3) | instskip(SKIP_2) | instid1(VALU_DEP_1)
	v_cndmask_b32_e64 v1, 0, v1, s0
	v_cmp_gt_i32_e64 s0, s31, v45
	s_wait_alu 0xf1ff
	v_cndmask_b32_e64 v70, 0, v70, s0
	v_cmp_gt_i32_e64 s0, s31, v44
	s_wait_alu 0xf1ff
	s_delay_alu instid0(VALU_DEP_1) | instskip(SKIP_2) | instid1(VALU_DEP_1)
	v_cndmask_b32_e64 v2, 0, v2, s0
	v_cmp_gt_i32_e64 s0, s31, v37
	s_wait_alu 0xf1ff
	v_cndmask_b32_e64 v69, 0, v69, s0
	v_cmp_gt_i32_e64 s0, s31, v40
	s_wait_alu 0xf1ff
	s_delay_alu instid0(VALU_DEP_1) | instskip(SKIP_2) | instid1(VALU_DEP_1)
	v_cndmask_b32_e64 v71, 0, v71, s0
	v_cmp_gt_i32_e64 s0, s31, v42
	s_wait_alu 0xf1ff
	v_cndmask_b32_e64 v4, 0, v4, s0
	v_cmp_gt_i32_e64 s0, s31, v33
	s_delay_alu instid0(VALU_DEP_2) | instskip(SKIP_1) | instid1(VALU_DEP_2)
	v_or_b32_e32 v4, v71, v4
	s_wait_alu 0xf1ff
	v_cndmask_b32_e64 v3, 0, v3, s0
	v_cmp_gt_i32_e64 s0, s31, v32
	s_wait_alu 0xf1ff
	s_delay_alu instid0(VALU_DEP_1)
	v_cndmask_b32_e64 v68, 0, v68, s0
.LBB114_61:                             ;   in Loop: Header=BB114_38 Depth=1
	s_wait_alu 0xfffe
	s_or_b32 exec_lo, exec_lo, s9
	v_lshlrev_b32_e32 v70, 16, v70
	v_lshlrev_b32_e32 v69, 16, v69
	;; [unrolled: 1-line block ×3, first 2 shown]
	s_delay_alu instid0(VALU_DEP_3) | instskip(NEXT) | instid1(VALU_DEP_3)
	v_and_or_b32 v1, 0xffff, v1, v70
	v_and_or_b32 v2, 0xffff, v2, v69
	s_delay_alu instid0(VALU_DEP_3)
	v_and_or_b32 v3, 0xffff, v3, v68
	;;#ASMSTART
	v_pk_mul_f16 v1, v35, v1;

	;;#ASMEND
	;;#ASMSTART
	v_pk_mul_f16 v2, v34, v2;

	;;#ASMEND
	;; [unrolled: 4-line block ×4, first 2 shown]
	;;#ASMSTART
	v_pk_add_f16 v1, v1, v2;

	;;#ASMEND
	;;#ASMSTART
	v_pk_add_f16 v1, v1, v3;

	;;#ASMEND
	;; [unrolled: 4-line block ×3, first 2 shown]
	v_and_b32_e32 v2, 0xffff, v1
	v_lshrrev_b32_e32 v1, 16, v1
	;;#ASMSTART
	v_cvt_f32_f16 v68, v2;
	;;#ASMEND
	;;#ASMSTART
	v_cvt_f32_f16 v69, v1;
	;;#ASMEND
	global_load_b128 v[1:4], v[7:8], off offset:5632
	s_wait_loadcnt 0x0
	v_lshrrev_b32_e32 v72, 16, v1
	v_lshrrev_b32_e32 v71, 16, v2
	;; [unrolled: 1-line block ×3, first 2 shown]
	s_and_saveexec_b32 s9, vcc_lo
	s_cbranch_execz .LBB114_63
; %bb.62:                               ;   in Loop: Header=BB114_38 Depth=1
	v_cmp_gt_i32_e64 s0, s31, v43
	v_and_b32_e32 v73, 0xffff, v4
	v_and_b32_e32 v4, 0xffff0000, v4
	s_wait_alu 0xf1ff
	s_delay_alu instid0(VALU_DEP_3) | instskip(SKIP_2) | instid1(VALU_DEP_1)
	v_cndmask_b32_e64 v1, 0, v1, s0
	v_cmp_gt_i32_e64 s0, s31, v45
	s_wait_alu 0xf1ff
	v_cndmask_b32_e64 v72, 0, v72, s0
	v_cmp_gt_i32_e64 s0, s31, v44
	s_wait_alu 0xf1ff
	s_delay_alu instid0(VALU_DEP_1) | instskip(SKIP_2) | instid1(VALU_DEP_1)
	v_cndmask_b32_e64 v2, 0, v2, s0
	v_cmp_gt_i32_e64 s0, s31, v37
	s_wait_alu 0xf1ff
	v_cndmask_b32_e64 v71, 0, v71, s0
	v_cmp_gt_i32_e64 s0, s31, v40
	s_wait_alu 0xf1ff
	s_delay_alu instid0(VALU_DEP_1) | instskip(SKIP_2) | instid1(VALU_DEP_1)
	v_cndmask_b32_e64 v73, 0, v73, s0
	v_cmp_gt_i32_e64 s0, s31, v42
	s_wait_alu 0xf1ff
	v_cndmask_b32_e64 v4, 0, v4, s0
	v_cmp_gt_i32_e64 s0, s31, v33
	s_delay_alu instid0(VALU_DEP_2) | instskip(SKIP_1) | instid1(VALU_DEP_2)
	v_or_b32_e32 v4, v73, v4
	s_wait_alu 0xf1ff
	v_cndmask_b32_e64 v3, 0, v3, s0
	v_cmp_gt_i32_e64 s0, s31, v32
	s_wait_alu 0xf1ff
	s_delay_alu instid0(VALU_DEP_1)
	v_cndmask_b32_e64 v70, 0, v70, s0
.LBB114_63:                             ;   in Loop: Header=BB114_38 Depth=1
	s_wait_alu 0xfffe
	s_or_b32 exec_lo, exec_lo, s9
	v_lshlrev_b32_e32 v72, 16, v72
	v_lshlrev_b32_e32 v71, 16, v71
	;; [unrolled: 1-line block ×3, first 2 shown]
	s_delay_alu instid0(VALU_DEP_3) | instskip(NEXT) | instid1(VALU_DEP_3)
	v_and_or_b32 v1, 0xffff, v1, v72
	v_and_or_b32 v2, 0xffff, v2, v71
	s_delay_alu instid0(VALU_DEP_3)
	v_and_or_b32 v3, 0xffff, v3, v70
	;;#ASMSTART
	v_pk_mul_f16 v1, v35, v1;

	;;#ASMEND
	;;#ASMSTART
	v_pk_mul_f16 v2, v34, v2;

	;;#ASMEND
	;; [unrolled: 4-line block ×4, first 2 shown]
	;;#ASMSTART
	v_pk_add_f16 v1, v1, v2;

	;;#ASMEND
	;;#ASMSTART
	v_pk_add_f16 v1, v1, v3;

	;;#ASMEND
	;;#ASMSTART
	v_pk_add_f16 v1, v1, v4;

	;;#ASMEND
	v_and_b32_e32 v2, 0xffff, v1
	v_lshrrev_b32_e32 v1, 16, v1
	;;#ASMSTART
	v_cvt_f32_f16 v70, v2;
	;;#ASMEND
	;;#ASMSTART
	v_cvt_f32_f16 v71, v1;
	;;#ASMEND
	global_load_b128 v[1:4], v[7:8], off offset:6144
	s_wait_loadcnt 0x0
	v_lshrrev_b32_e32 v74, 16, v1
	v_lshrrev_b32_e32 v73, 16, v2
	;; [unrolled: 1-line block ×3, first 2 shown]
	s_and_saveexec_b32 s9, vcc_lo
	s_cbranch_execz .LBB114_65
; %bb.64:                               ;   in Loop: Header=BB114_38 Depth=1
	v_cmp_gt_i32_e64 s0, s31, v43
	v_and_b32_e32 v75, 0xffff, v4
	v_and_b32_e32 v4, 0xffff0000, v4
	s_wait_alu 0xf1ff
	s_delay_alu instid0(VALU_DEP_3) | instskip(SKIP_2) | instid1(VALU_DEP_1)
	v_cndmask_b32_e64 v1, 0, v1, s0
	v_cmp_gt_i32_e64 s0, s31, v45
	s_wait_alu 0xf1ff
	v_cndmask_b32_e64 v74, 0, v74, s0
	v_cmp_gt_i32_e64 s0, s31, v44
	s_wait_alu 0xf1ff
	s_delay_alu instid0(VALU_DEP_1) | instskip(SKIP_2) | instid1(VALU_DEP_1)
	v_cndmask_b32_e64 v2, 0, v2, s0
	v_cmp_gt_i32_e64 s0, s31, v37
	s_wait_alu 0xf1ff
	v_cndmask_b32_e64 v73, 0, v73, s0
	v_cmp_gt_i32_e64 s0, s31, v40
	s_wait_alu 0xf1ff
	s_delay_alu instid0(VALU_DEP_1) | instskip(SKIP_2) | instid1(VALU_DEP_1)
	v_cndmask_b32_e64 v75, 0, v75, s0
	v_cmp_gt_i32_e64 s0, s31, v42
	s_wait_alu 0xf1ff
	v_cndmask_b32_e64 v4, 0, v4, s0
	v_cmp_gt_i32_e64 s0, s31, v33
	s_delay_alu instid0(VALU_DEP_2) | instskip(SKIP_1) | instid1(VALU_DEP_2)
	v_or_b32_e32 v4, v75, v4
	s_wait_alu 0xf1ff
	v_cndmask_b32_e64 v3, 0, v3, s0
	v_cmp_gt_i32_e64 s0, s31, v32
	s_wait_alu 0xf1ff
	s_delay_alu instid0(VALU_DEP_1)
	v_cndmask_b32_e64 v72, 0, v72, s0
.LBB114_65:                             ;   in Loop: Header=BB114_38 Depth=1
	s_wait_alu 0xfffe
	s_or_b32 exec_lo, exec_lo, s9
	v_lshlrev_b32_e32 v74, 16, v74
	v_lshlrev_b32_e32 v73, 16, v73
	;; [unrolled: 1-line block ×3, first 2 shown]
	s_delay_alu instid0(VALU_DEP_3) | instskip(NEXT) | instid1(VALU_DEP_3)
	v_and_or_b32 v1, 0xffff, v1, v74
	v_and_or_b32 v2, 0xffff, v2, v73
	s_delay_alu instid0(VALU_DEP_3)
	v_and_or_b32 v3, 0xffff, v3, v72
	;;#ASMSTART
	v_pk_mul_f16 v1, v35, v1;

	;;#ASMEND
	;;#ASMSTART
	v_pk_mul_f16 v2, v34, v2;

	;;#ASMEND
	;; [unrolled: 4-line block ×4, first 2 shown]
	;;#ASMSTART
	v_pk_add_f16 v1, v1, v2;

	;;#ASMEND
	;;#ASMSTART
	v_pk_add_f16 v1, v1, v3;

	;;#ASMEND
	;; [unrolled: 4-line block ×3, first 2 shown]
	v_and_b32_e32 v2, 0xffff, v1
	v_lshrrev_b32_e32 v1, 16, v1
	;;#ASMSTART
	v_cvt_f32_f16 v72, v2;
	;;#ASMEND
	;;#ASMSTART
	v_cvt_f32_f16 v73, v1;
	;;#ASMEND
	global_load_b128 v[1:4], v[7:8], off offset:6656
	s_wait_loadcnt 0x0
	v_lshrrev_b32_e32 v76, 16, v1
	v_lshrrev_b32_e32 v75, 16, v2
	;; [unrolled: 1-line block ×3, first 2 shown]
	s_and_saveexec_b32 s9, vcc_lo
	s_cbranch_execz .LBB114_67
; %bb.66:                               ;   in Loop: Header=BB114_38 Depth=1
	v_cmp_gt_i32_e64 s0, s31, v43
	v_and_b32_e32 v77, 0xffff, v4
	v_and_b32_e32 v4, 0xffff0000, v4
	s_wait_alu 0xf1ff
	s_delay_alu instid0(VALU_DEP_3) | instskip(SKIP_2) | instid1(VALU_DEP_1)
	v_cndmask_b32_e64 v1, 0, v1, s0
	v_cmp_gt_i32_e64 s0, s31, v45
	s_wait_alu 0xf1ff
	v_cndmask_b32_e64 v76, 0, v76, s0
	v_cmp_gt_i32_e64 s0, s31, v44
	s_wait_alu 0xf1ff
	s_delay_alu instid0(VALU_DEP_1) | instskip(SKIP_2) | instid1(VALU_DEP_1)
	v_cndmask_b32_e64 v2, 0, v2, s0
	v_cmp_gt_i32_e64 s0, s31, v37
	s_wait_alu 0xf1ff
	v_cndmask_b32_e64 v75, 0, v75, s0
	v_cmp_gt_i32_e64 s0, s31, v40
	s_wait_alu 0xf1ff
	s_delay_alu instid0(VALU_DEP_1) | instskip(SKIP_2) | instid1(VALU_DEP_1)
	v_cndmask_b32_e64 v77, 0, v77, s0
	v_cmp_gt_i32_e64 s0, s31, v42
	s_wait_alu 0xf1ff
	v_cndmask_b32_e64 v4, 0, v4, s0
	v_cmp_gt_i32_e64 s0, s31, v33
	s_delay_alu instid0(VALU_DEP_2) | instskip(SKIP_1) | instid1(VALU_DEP_2)
	v_or_b32_e32 v4, v77, v4
	s_wait_alu 0xf1ff
	v_cndmask_b32_e64 v3, 0, v3, s0
	v_cmp_gt_i32_e64 s0, s31, v32
	s_wait_alu 0xf1ff
	s_delay_alu instid0(VALU_DEP_1)
	v_cndmask_b32_e64 v74, 0, v74, s0
.LBB114_67:                             ;   in Loop: Header=BB114_38 Depth=1
	s_wait_alu 0xfffe
	s_or_b32 exec_lo, exec_lo, s9
	v_lshlrev_b32_e32 v76, 16, v76
	v_lshlrev_b32_e32 v75, 16, v75
	v_lshlrev_b32_e32 v74, 16, v74
	s_delay_alu instid0(VALU_DEP_3) | instskip(NEXT) | instid1(VALU_DEP_3)
	v_and_or_b32 v1, 0xffff, v1, v76
	v_and_or_b32 v2, 0xffff, v2, v75
	s_delay_alu instid0(VALU_DEP_3)
	v_and_or_b32 v3, 0xffff, v3, v74
	;;#ASMSTART
	v_pk_mul_f16 v1, v35, v1;

	;;#ASMEND
	;;#ASMSTART
	v_pk_mul_f16 v2, v34, v2;

	;;#ASMEND
	;; [unrolled: 4-line block ×4, first 2 shown]
	;;#ASMSTART
	v_pk_add_f16 v1, v1, v2;

	;;#ASMEND
	;;#ASMSTART
	v_pk_add_f16 v1, v1, v3;

	;;#ASMEND
	;; [unrolled: 4-line block ×3, first 2 shown]
	v_and_b32_e32 v2, 0xffff, v1
	v_lshrrev_b32_e32 v1, 16, v1
	;;#ASMSTART
	v_cvt_f32_f16 v74, v2;
	;;#ASMEND
	;;#ASMSTART
	v_cvt_f32_f16 v75, v1;
	;;#ASMEND
	global_load_b128 v[1:4], v[7:8], off offset:7168
	s_wait_loadcnt 0x0
	v_lshrrev_b32_e32 v78, 16, v1
	v_lshrrev_b32_e32 v77, 16, v2
	;; [unrolled: 1-line block ×3, first 2 shown]
	s_and_saveexec_b32 s9, vcc_lo
	s_cbranch_execz .LBB114_69
; %bb.68:                               ;   in Loop: Header=BB114_38 Depth=1
	v_cmp_gt_i32_e64 s0, s31, v43
	v_and_b32_e32 v79, 0xffff, v4
	v_and_b32_e32 v4, 0xffff0000, v4
	s_wait_alu 0xf1ff
	s_delay_alu instid0(VALU_DEP_3) | instskip(SKIP_2) | instid1(VALU_DEP_1)
	v_cndmask_b32_e64 v1, 0, v1, s0
	v_cmp_gt_i32_e64 s0, s31, v45
	s_wait_alu 0xf1ff
	v_cndmask_b32_e64 v78, 0, v78, s0
	v_cmp_gt_i32_e64 s0, s31, v44
	s_wait_alu 0xf1ff
	s_delay_alu instid0(VALU_DEP_1) | instskip(SKIP_2) | instid1(VALU_DEP_1)
	v_cndmask_b32_e64 v2, 0, v2, s0
	v_cmp_gt_i32_e64 s0, s31, v37
	s_wait_alu 0xf1ff
	v_cndmask_b32_e64 v77, 0, v77, s0
	v_cmp_gt_i32_e64 s0, s31, v40
	s_wait_alu 0xf1ff
	s_delay_alu instid0(VALU_DEP_1) | instskip(SKIP_2) | instid1(VALU_DEP_1)
	v_cndmask_b32_e64 v79, 0, v79, s0
	v_cmp_gt_i32_e64 s0, s31, v42
	s_wait_alu 0xf1ff
	v_cndmask_b32_e64 v4, 0, v4, s0
	v_cmp_gt_i32_e64 s0, s31, v33
	s_delay_alu instid0(VALU_DEP_2) | instskip(SKIP_1) | instid1(VALU_DEP_2)
	v_or_b32_e32 v4, v79, v4
	s_wait_alu 0xf1ff
	v_cndmask_b32_e64 v3, 0, v3, s0
	v_cmp_gt_i32_e64 s0, s31, v32
	s_wait_alu 0xf1ff
	s_delay_alu instid0(VALU_DEP_1)
	v_cndmask_b32_e64 v76, 0, v76, s0
.LBB114_69:                             ;   in Loop: Header=BB114_38 Depth=1
	s_wait_alu 0xfffe
	s_or_b32 exec_lo, exec_lo, s9
	v_lshlrev_b32_e32 v78, 16, v78
	v_lshlrev_b32_e32 v77, 16, v77
	;; [unrolled: 1-line block ×3, first 2 shown]
	s_delay_alu instid0(VALU_DEP_3) | instskip(NEXT) | instid1(VALU_DEP_3)
	v_and_or_b32 v1, 0xffff, v1, v78
	v_and_or_b32 v2, 0xffff, v2, v77
	s_delay_alu instid0(VALU_DEP_3)
	v_and_or_b32 v3, 0xffff, v3, v76
	;;#ASMSTART
	v_pk_mul_f16 v1, v35, v1;

	;;#ASMEND
	;;#ASMSTART
	v_pk_mul_f16 v2, v34, v2;

	;;#ASMEND
	;; [unrolled: 4-line block ×4, first 2 shown]
	;;#ASMSTART
	v_pk_add_f16 v1, v1, v2;

	;;#ASMEND
	;;#ASMSTART
	v_pk_add_f16 v1, v1, v3;

	;;#ASMEND
	;; [unrolled: 4-line block ×3, first 2 shown]
	v_and_b32_e32 v2, 0xffff, v1
	v_lshrrev_b32_e32 v1, 16, v1
	;;#ASMSTART
	v_cvt_f32_f16 v77, v2;
	;;#ASMEND
	;;#ASMSTART
	v_cvt_f32_f16 v78, v1;
	;;#ASMEND
	global_load_b128 v[1:4], v[7:8], off offset:7680
	s_wait_loadcnt 0x0
	v_lshrrev_b32_e32 v76, 16, v1
	v_lshrrev_b32_e32 v8, 16, v2
	;; [unrolled: 1-line block ×3, first 2 shown]
	s_and_saveexec_b32 s0, vcc_lo
	s_cbranch_execz .LBB114_36
; %bb.70:                               ;   in Loop: Header=BB114_38 Depth=1
	v_cmp_gt_i32_e32 vcc_lo, s31, v43
	v_and_b32_e32 v43, 0xffff, v4
	s_wait_alu 0xfffd
	v_cndmask_b32_e32 v1, 0, v1, vcc_lo
	v_cmp_gt_i32_e32 vcc_lo, s31, v45
	s_wait_alu 0xfffd
	v_cndmask_b32_e32 v76, 0, v76, vcc_lo
	v_cmp_gt_i32_e32 vcc_lo, s31, v44
	;; [unrolled: 3-line block ×4, first 2 shown]
	s_wait_alu 0xfffd
	v_dual_cndmask_b32 v37, 0, v43 :: v_dual_and_b32 v4, 0xffff0000, v4
	v_cmp_gt_i32_e32 vcc_lo, s31, v42
	s_wait_alu 0xfffd
	s_delay_alu instid0(VALU_DEP_2)
	v_cndmask_b32_e32 v4, 0, v4, vcc_lo
	v_cmp_gt_i32_e32 vcc_lo, s31, v33
	s_wait_alu 0xfffd
	v_cndmask_b32_e32 v3, 0, v3, vcc_lo
	v_cmp_gt_i32_e32 vcc_lo, s31, v32
	s_wait_alu 0xfffd
	v_cndmask_b32_e32 v7, 0, v7, vcc_lo
	v_or_b32_e32 v4, v37, v4
	s_branch .LBB114_36
.LBB114_71:
	s_or_b32 exec_lo, exec_lo, s5
.LBB114_72:
	s_wait_alu 0xfffe
	s_or_b32 exec_lo, exec_lo, s1
	ds_bpermute_b32 v1, v10, v26
	ds_bpermute_b32 v3, v10, v25
	;; [unrolled: 1-line block ×16, first 2 shown]
	s_mov_b32 s0, exec_lo
	s_wait_storecnt 0x0
	s_wait_loadcnt_dscnt 0x0
	s_barrier_signal -1
	s_barrier_wait -1
	v_add_f32_e32 v1, v26, v1
	v_add_f32_e32 v3, v25, v3
	;; [unrolled: 1-line block ×4, first 2 shown]
	v_dual_add_f32 v19, v19, v28 :: v_dual_add_f32 v18, v18, v29
	v_add_f32_e32 v2, v27, v2
	v_add_f32_e32 v4, v24, v4
	;; [unrolled: 1-line block ×3, first 2 shown]
	ds_bpermute_b32 v22, v9, v1
	ds_bpermute_b32 v24, v9, v3
	;; [unrolled: 1-line block ×3, first 2 shown]
	v_add_f32_e32 v8, v20, v8
	ds_bpermute_b32 v26, v9, v7
	v_dual_add_f32 v28, v17, v30 :: v_dual_add_f32 v33, v14, v33
	v_add_f32_e32 v30, v16, v31
	ds_bpermute_b32 v31, v9, v18
	v_add_f32_e32 v32, v15, v32
	v_add_f32_e32 v34, v13, v34
	;; [unrolled: 1-line block ×3, first 2 shown]
	ds_bpermute_b32 v23, v9, v2
	ds_bpermute_b32 v25, v9, v4
	;; [unrolled: 1-line block ×7, first 2 shown]
	s_wait_dscnt 0x0
	global_inv scope:SCOPE_SE
	v_add_f32_e32 v17, v1, v22
	ds_bpermute_b32 v36, v9, v30
	v_add_f32_e32 v15, v3, v24
	ds_bpermute_b32 v40, v9, v34
	;; [unrolled: 2-line block ×3, first 2 shown]
	v_dual_add_f32 v10, v7, v26 :: v_dual_and_b32 v21, 0x3c3, v0
	v_add_f32_e32 v7, v18, v31
	ds_bpermute_b32 v41, v9, v38
	v_and_b32_e32 v18, 28, v64
	v_add_f32_e32 v16, v2, v23
	v_add_f32_e32 v14, v4, v25
	v_dual_add_f32 v12, v6, v20 :: v_dual_add_f32 v9, v8, v27
	v_dual_add_f32 v8, v19, v29 :: v_dual_add_f32 v5, v28, v35
	v_add_f32_e32 v1, v33, v39
	v_lshrrev_b32_e32 v19, 2, v64
	s_wait_dscnt 0x3
	v_dual_add_f32 v3, v30, v36 :: v_dual_add_nc_u32 v18, 0x120, v18
	v_lshlrev_b32_e32 v20, 9, v63
	s_wait_dscnt 0x2
	v_add_f32_e32 v4, v34, v40
	s_wait_dscnt 0x1
	v_add_f32_e32 v2, v32, v37
	;; [unrolled: 2-line block ×3, first 2 shown]
	v_cmpx_eq_u32_e32 64, v21
	s_cbranch_execz .LBB114_74
; %bb.73:
	v_add_nc_u32_e32 v21, v18, v20
	s_delay_alu instid0(VALU_DEP_1)
	v_add_nc_u32_e32 v22, 0xfffffc00, v21
	v_add_nc_u32_e32 v23, 0xfffffc20, v21
	;; [unrolled: 1-line block ×8, first 2 shown]
	ds_store_b32 v22, v17
	ds_store_b32 v23, v16
	;; [unrolled: 1-line block ×8, first 2 shown]
	v_add_nc_u32_e32 v22, 0xfffffd00, v21
	v_add_nc_u32_e32 v23, 0xfffffd20, v21
	;; [unrolled: 1-line block ×8, first 2 shown]
	ds_store_b32 v22, v8
	ds_store_b32 v23, v7
	;; [unrolled: 1-line block ×8, first 2 shown]
.LBB114_74:
	s_wait_alu 0xfffe
	s_or_b32 exec_lo, exec_lo, s0
	v_lshlrev_b32_e32 v19, 2, v19
	v_cmp_eq_u32_e32 vcc_lo, 0, v11
	s_mov_b32 s1, exec_lo
	s_wait_loadcnt_dscnt 0x0
	s_barrier_signal -1
	v_add3_u32 v11, 0x120, v20, v19
	s_barrier_wait -1
	global_inv scope:SCOPE_SE
	v_cmpx_gt_u32_e32 64, v0
	s_cbranch_execz .LBB114_93
; %bb.75:
	s_and_saveexec_b32 s0, vcc_lo
	s_cbranch_execnz .LBB114_117
; %bb.76:
	s_wait_alu 0xfffe
	s_or_b32 exec_lo, exec_lo, s0
	s_and_saveexec_b32 s0, vcc_lo
	s_cbranch_execnz .LBB114_118
.LBB114_77:
	s_wait_alu 0xfffe
	s_or_b32 exec_lo, exec_lo, s0
	s_and_saveexec_b32 s0, vcc_lo
	s_cbranch_execnz .LBB114_119
.LBB114_78:
	s_wait_alu 0xfffe
	s_or_b32 exec_lo, exec_lo, s0
	s_and_saveexec_b32 s0, vcc_lo
	s_cbranch_execnz .LBB114_120
.LBB114_79:
	s_wait_alu 0xfffe
	s_or_b32 exec_lo, exec_lo, s0
	s_and_saveexec_b32 s0, vcc_lo
	s_cbranch_execnz .LBB114_121
.LBB114_80:
	s_wait_alu 0xfffe
	s_or_b32 exec_lo, exec_lo, s0
	s_and_saveexec_b32 s0, vcc_lo
	s_cbranch_execnz .LBB114_122
.LBB114_81:
	s_wait_alu 0xfffe
	s_or_b32 exec_lo, exec_lo, s0
	s_and_saveexec_b32 s0, vcc_lo
	s_cbranch_execnz .LBB114_123
.LBB114_82:
	s_wait_alu 0xfffe
	s_or_b32 exec_lo, exec_lo, s0
	s_and_saveexec_b32 s0, vcc_lo
	s_cbranch_execnz .LBB114_124
.LBB114_83:
	s_wait_alu 0xfffe
	s_or_b32 exec_lo, exec_lo, s0
	s_and_saveexec_b32 s0, vcc_lo
	s_cbranch_execnz .LBB114_125
.LBB114_84:
	s_wait_alu 0xfffe
	s_or_b32 exec_lo, exec_lo, s0
	s_and_saveexec_b32 s0, vcc_lo
	s_cbranch_execnz .LBB114_126
.LBB114_85:
	s_wait_alu 0xfffe
	s_or_b32 exec_lo, exec_lo, s0
	s_and_saveexec_b32 s0, vcc_lo
	s_cbranch_execnz .LBB114_127
.LBB114_86:
	s_wait_alu 0xfffe
	s_or_b32 exec_lo, exec_lo, s0
	s_and_saveexec_b32 s0, vcc_lo
	s_cbranch_execnz .LBB114_128
.LBB114_87:
	s_wait_alu 0xfffe
	s_or_b32 exec_lo, exec_lo, s0
	s_and_saveexec_b32 s0, vcc_lo
	s_cbranch_execnz .LBB114_129
.LBB114_88:
	s_wait_alu 0xfffe
	s_or_b32 exec_lo, exec_lo, s0
	s_and_saveexec_b32 s0, vcc_lo
	s_cbranch_execnz .LBB114_130
.LBB114_89:
	s_wait_alu 0xfffe
	s_or_b32 exec_lo, exec_lo, s0
	s_and_saveexec_b32 s0, vcc_lo
	s_cbranch_execnz .LBB114_131
.LBB114_90:
	s_wait_alu 0xfffe
	s_or_b32 exec_lo, exec_lo, s0
	s_and_saveexec_b32 s0, vcc_lo
	s_cbranch_execz .LBB114_92
.LBB114_91:
	ds_load_b32 v19, v11 offset:480
	s_wait_dscnt 0x0
	v_add_f32_e32 v6, v6, v19
.LBB114_92:
	s_wait_alu 0xfffe
	s_or_b32 exec_lo, exec_lo, s0
.LBB114_93:
	s_wait_alu 0xfffe
	s_or_b32 exec_lo, exec_lo, s1
	v_and_b32_e32 v19, 0x3e3, v0
	s_mov_b32 s1, exec_lo
	s_wait_loadcnt 0x0
	s_barrier_signal -1
	s_barrier_wait -1
	global_inv scope:SCOPE_SE
	v_cmpx_eq_u32_e32 32, v19
	s_cbranch_execz .LBB114_95
; %bb.94:
	ds_store_2addr_b32 v18, v17, v16 offset1:8
	ds_store_2addr_b32 v18, v15, v14 offset0:16 offset1:24
	ds_store_2addr_b32 v18, v13, v12 offset0:32 offset1:40
	;; [unrolled: 1-line block ×7, first 2 shown]
.LBB114_95:
	s_wait_alu 0xfffe
	s_or_b32 exec_lo, exec_lo, s1
	s_delay_alu instid0(SALU_CYCLE_1)
	s_mov_b32 s1, exec_lo
	s_wait_loadcnt_dscnt 0x0
	s_barrier_signal -1
	s_barrier_wait -1
	global_inv scope:SCOPE_SE
	v_cmpx_gt_u32_e32 32, v0
	s_cbranch_execz .LBB114_114
; %bb.96:
	s_and_saveexec_b32 s0, vcc_lo
	s_cbranch_execnz .LBB114_132
; %bb.97:
	s_wait_alu 0xfffe
	s_or_b32 exec_lo, exec_lo, s0
	s_and_saveexec_b32 s0, vcc_lo
	s_cbranch_execnz .LBB114_133
.LBB114_98:
	s_wait_alu 0xfffe
	s_or_b32 exec_lo, exec_lo, s0
	s_and_saveexec_b32 s0, vcc_lo
	s_cbranch_execnz .LBB114_134
.LBB114_99:
	s_wait_alu 0xfffe
	s_or_b32 exec_lo, exec_lo, s0
	s_and_saveexec_b32 s0, vcc_lo
	s_cbranch_execnz .LBB114_135
.LBB114_100:
	s_wait_alu 0xfffe
	s_or_b32 exec_lo, exec_lo, s0
	s_and_saveexec_b32 s0, vcc_lo
	s_cbranch_execnz .LBB114_136
.LBB114_101:
	s_wait_alu 0xfffe
	s_or_b32 exec_lo, exec_lo, s0
	s_and_saveexec_b32 s0, vcc_lo
	s_cbranch_execnz .LBB114_137
.LBB114_102:
	s_wait_alu 0xfffe
	s_or_b32 exec_lo, exec_lo, s0
	s_and_saveexec_b32 s0, vcc_lo
	s_cbranch_execnz .LBB114_138
.LBB114_103:
	s_wait_alu 0xfffe
	s_or_b32 exec_lo, exec_lo, s0
	s_and_saveexec_b32 s0, vcc_lo
	s_cbranch_execnz .LBB114_139
.LBB114_104:
	s_wait_alu 0xfffe
	s_or_b32 exec_lo, exec_lo, s0
	s_and_saveexec_b32 s0, vcc_lo
	s_cbranch_execnz .LBB114_140
.LBB114_105:
	s_wait_alu 0xfffe
	s_or_b32 exec_lo, exec_lo, s0
	s_and_saveexec_b32 s0, vcc_lo
	s_cbranch_execnz .LBB114_141
.LBB114_106:
	s_wait_alu 0xfffe
	s_or_b32 exec_lo, exec_lo, s0
	s_and_saveexec_b32 s0, vcc_lo
	s_cbranch_execnz .LBB114_142
.LBB114_107:
	s_wait_alu 0xfffe
	s_or_b32 exec_lo, exec_lo, s0
	s_and_saveexec_b32 s0, vcc_lo
	s_cbranch_execnz .LBB114_143
.LBB114_108:
	s_wait_alu 0xfffe
	s_or_b32 exec_lo, exec_lo, s0
	s_and_saveexec_b32 s0, vcc_lo
	s_cbranch_execnz .LBB114_144
.LBB114_109:
	s_wait_alu 0xfffe
	s_or_b32 exec_lo, exec_lo, s0
	s_and_saveexec_b32 s0, vcc_lo
	s_cbranch_execnz .LBB114_145
.LBB114_110:
	s_wait_alu 0xfffe
	s_or_b32 exec_lo, exec_lo, s0
	s_and_saveexec_b32 s0, vcc_lo
	s_cbranch_execnz .LBB114_146
.LBB114_111:
	s_wait_alu 0xfffe
	s_or_b32 exec_lo, exec_lo, s0
	s_and_saveexec_b32 s0, vcc_lo
	s_cbranch_execz .LBB114_113
.LBB114_112:
	ds_load_b32 v11, v11 offset:480
	s_wait_dscnt 0x0
	v_add_f32_e32 v6, v6, v11
.LBB114_113:
	s_wait_alu 0xfffe
	s_or_b32 exec_lo, exec_lo, s0
.LBB114_114:
	s_wait_alu 0xfffe
	s_or_b32 exec_lo, exec_lo, s1
	s_mov_b32 s1, 0
	s_wait_loadcnt 0x0
	s_barrier_signal -1
	s_barrier_wait -1
	global_inv scope:SCOPE_SE
	s_mov_b32 s0, exec_lo
	v_cmpx_eq_u32_e32 0, v19
	s_cbranch_execz .LBB114_116
; %bb.115:
	s_lshl_b32 s2, s26, 7
	s_mul_i32 s4, s7, s16
	s_wait_alu 0xfffe
	s_ashr_i32 s3, s2, 31
	s_ashr_i32 s5, s4, 31
	s_wait_alu 0xfffe
	s_lshl_b64 s[2:3], s[2:3], 1
	s_lshl_b64 s[4:5], s[4:5], 1
	s_wait_kmcnt 0x0
	s_wait_alu 0xfffe
	s_add_nc_u64 s[2:3], s[24:25], s[2:3]
	v_lshrrev_b32_e32 v0, 1, v0
	s_lshl_b32 s0, s30, 8
	s_wait_alu 0xfffe
	s_add_nc_u64 s[2:3], s[2:3], s[4:5]
	;;#ASMSTART
	v_cvt_f16_f32 v11, v17;

	;;#ASMEND
	s_wait_alu 0xfffe
	s_add_nc_u64 s[0:1], s[2:3], s[0:1]
	global_store_b16 v0, v11, s[0:1]
	;;#ASMSTART
	v_cvt_f16_f32 v11, v16;

	;;#ASMEND
	global_store_b16 v0, v11, s[0:1] offset:16
	;;#ASMSTART
	v_cvt_f16_f32 v11, v15;

	;;#ASMEND
	global_store_b16 v0, v11, s[0:1] offset:32
	;; [unrolled: 5-line block ×15, first 2 shown]
.LBB114_116:
	s_nop 0
	s_sendmsg sendmsg(MSG_DEALLOC_VGPRS)
	s_endpgm
.LBB114_117:
	ds_load_b32 v19, v11
	s_wait_dscnt 0x0
	v_add_f32_e32 v17, v17, v19
	s_wait_alu 0xfffe
	s_or_b32 exec_lo, exec_lo, s0
	s_and_saveexec_b32 s0, vcc_lo
	s_cbranch_execz .LBB114_77
.LBB114_118:
	ds_load_b32 v19, v11 offset:32
	s_wait_dscnt 0x0
	v_add_f32_e32 v16, v16, v19
	s_wait_alu 0xfffe
	s_or_b32 exec_lo, exec_lo, s0
	s_and_saveexec_b32 s0, vcc_lo
	s_cbranch_execz .LBB114_78
.LBB114_119:
	ds_load_b32 v19, v11 offset:64
	s_wait_dscnt 0x0
	v_add_f32_e32 v15, v15, v19
	s_wait_alu 0xfffe
	s_or_b32 exec_lo, exec_lo, s0
	s_and_saveexec_b32 s0, vcc_lo
	s_cbranch_execz .LBB114_79
.LBB114_120:
	ds_load_b32 v19, v11 offset:96
	s_wait_dscnt 0x0
	v_add_f32_e32 v14, v14, v19
	s_wait_alu 0xfffe
	s_or_b32 exec_lo, exec_lo, s0
	s_and_saveexec_b32 s0, vcc_lo
	s_cbranch_execz .LBB114_80
.LBB114_121:
	ds_load_b32 v19, v11 offset:128
	s_wait_dscnt 0x0
	v_add_f32_e32 v13, v13, v19
	s_wait_alu 0xfffe
	s_or_b32 exec_lo, exec_lo, s0
	s_and_saveexec_b32 s0, vcc_lo
	s_cbranch_execz .LBB114_81
.LBB114_122:
	ds_load_b32 v19, v11 offset:160
	s_wait_dscnt 0x0
	v_add_f32_e32 v12, v12, v19
	s_wait_alu 0xfffe
	s_or_b32 exec_lo, exec_lo, s0
	s_and_saveexec_b32 s0, vcc_lo
	s_cbranch_execz .LBB114_82
.LBB114_123:
	ds_load_b32 v19, v11 offset:192
	s_wait_dscnt 0x0
	v_add_f32_e32 v10, v10, v19
	s_wait_alu 0xfffe
	s_or_b32 exec_lo, exec_lo, s0
	s_and_saveexec_b32 s0, vcc_lo
	s_cbranch_execz .LBB114_83
.LBB114_124:
	ds_load_b32 v19, v11 offset:224
	s_wait_dscnt 0x0
	v_add_f32_e32 v9, v9, v19
	s_wait_alu 0xfffe
	s_or_b32 exec_lo, exec_lo, s0
	s_and_saveexec_b32 s0, vcc_lo
	s_cbranch_execz .LBB114_84
.LBB114_125:
	ds_load_b32 v19, v11 offset:256
	s_wait_dscnt 0x0
	v_add_f32_e32 v8, v8, v19
	s_wait_alu 0xfffe
	s_or_b32 exec_lo, exec_lo, s0
	s_and_saveexec_b32 s0, vcc_lo
	s_cbranch_execz .LBB114_85
.LBB114_126:
	ds_load_b32 v19, v11 offset:288
	s_wait_dscnt 0x0
	v_add_f32_e32 v7, v7, v19
	s_wait_alu 0xfffe
	s_or_b32 exec_lo, exec_lo, s0
	s_and_saveexec_b32 s0, vcc_lo
	s_cbranch_execz .LBB114_86
.LBB114_127:
	ds_load_b32 v19, v11 offset:320
	s_wait_dscnt 0x0
	v_add_f32_e32 v5, v5, v19
	s_wait_alu 0xfffe
	s_or_b32 exec_lo, exec_lo, s0
	s_and_saveexec_b32 s0, vcc_lo
	s_cbranch_execz .LBB114_87
.LBB114_128:
	ds_load_b32 v19, v11 offset:352
	s_wait_dscnt 0x0
	v_add_f32_e32 v3, v3, v19
	s_wait_alu 0xfffe
	s_or_b32 exec_lo, exec_lo, s0
	s_and_saveexec_b32 s0, vcc_lo
	s_cbranch_execz .LBB114_88
.LBB114_129:
	ds_load_b32 v19, v11 offset:384
	s_wait_dscnt 0x0
	v_add_f32_e32 v2, v2, v19
	s_wait_alu 0xfffe
	s_or_b32 exec_lo, exec_lo, s0
	s_and_saveexec_b32 s0, vcc_lo
	s_cbranch_execz .LBB114_89
.LBB114_130:
	ds_load_b32 v19, v11 offset:416
	s_wait_dscnt 0x0
	v_add_f32_e32 v1, v1, v19
	s_wait_alu 0xfffe
	s_or_b32 exec_lo, exec_lo, s0
	s_and_saveexec_b32 s0, vcc_lo
	s_cbranch_execz .LBB114_90
.LBB114_131:
	ds_load_b32 v19, v11 offset:448
	s_wait_dscnt 0x0
	v_add_f32_e32 v4, v4, v19
	s_wait_alu 0xfffe
	s_or_b32 exec_lo, exec_lo, s0
	s_and_saveexec_b32 s0, vcc_lo
	s_cbranch_execnz .LBB114_91
	s_branch .LBB114_92
.LBB114_132:
	ds_load_b32 v18, v11
	s_wait_dscnt 0x0
	v_add_f32_e32 v17, v17, v18
	s_wait_alu 0xfffe
	s_or_b32 exec_lo, exec_lo, s0
	s_and_saveexec_b32 s0, vcc_lo
	s_cbranch_execz .LBB114_98
.LBB114_133:
	ds_load_b32 v18, v11 offset:32
	s_wait_dscnt 0x0
	v_add_f32_e32 v16, v16, v18
	s_wait_alu 0xfffe
	s_or_b32 exec_lo, exec_lo, s0
	s_and_saveexec_b32 s0, vcc_lo
	s_cbranch_execz .LBB114_99
.LBB114_134:
	ds_load_b32 v18, v11 offset:64
	s_wait_dscnt 0x0
	v_add_f32_e32 v15, v15, v18
	s_wait_alu 0xfffe
	s_or_b32 exec_lo, exec_lo, s0
	s_and_saveexec_b32 s0, vcc_lo
	s_cbranch_execz .LBB114_100
.LBB114_135:
	ds_load_b32 v18, v11 offset:96
	s_wait_dscnt 0x0
	v_add_f32_e32 v14, v14, v18
	s_wait_alu 0xfffe
	s_or_b32 exec_lo, exec_lo, s0
	s_and_saveexec_b32 s0, vcc_lo
	s_cbranch_execz .LBB114_101
.LBB114_136:
	ds_load_b32 v18, v11 offset:128
	s_wait_dscnt 0x0
	v_add_f32_e32 v13, v13, v18
	s_wait_alu 0xfffe
	s_or_b32 exec_lo, exec_lo, s0
	s_and_saveexec_b32 s0, vcc_lo
	s_cbranch_execz .LBB114_102
.LBB114_137:
	ds_load_b32 v18, v11 offset:160
	s_wait_dscnt 0x0
	v_add_f32_e32 v12, v12, v18
	s_wait_alu 0xfffe
	s_or_b32 exec_lo, exec_lo, s0
	s_and_saveexec_b32 s0, vcc_lo
	s_cbranch_execz .LBB114_103
.LBB114_138:
	ds_load_b32 v18, v11 offset:192
	s_wait_dscnt 0x0
	v_add_f32_e32 v10, v10, v18
	s_wait_alu 0xfffe
	s_or_b32 exec_lo, exec_lo, s0
	s_and_saveexec_b32 s0, vcc_lo
	s_cbranch_execz .LBB114_104
.LBB114_139:
	ds_load_b32 v18, v11 offset:224
	s_wait_dscnt 0x0
	v_add_f32_e32 v9, v9, v18
	s_wait_alu 0xfffe
	s_or_b32 exec_lo, exec_lo, s0
	s_and_saveexec_b32 s0, vcc_lo
	s_cbranch_execz .LBB114_105
.LBB114_140:
	ds_load_b32 v18, v11 offset:256
	s_wait_dscnt 0x0
	v_add_f32_e32 v8, v8, v18
	s_wait_alu 0xfffe
	s_or_b32 exec_lo, exec_lo, s0
	s_and_saveexec_b32 s0, vcc_lo
	s_cbranch_execz .LBB114_106
.LBB114_141:
	ds_load_b32 v18, v11 offset:288
	s_wait_dscnt 0x0
	v_add_f32_e32 v7, v7, v18
	s_wait_alu 0xfffe
	s_or_b32 exec_lo, exec_lo, s0
	s_and_saveexec_b32 s0, vcc_lo
	s_cbranch_execz .LBB114_107
.LBB114_142:
	ds_load_b32 v18, v11 offset:320
	s_wait_dscnt 0x0
	v_add_f32_e32 v5, v5, v18
	s_wait_alu 0xfffe
	s_or_b32 exec_lo, exec_lo, s0
	s_and_saveexec_b32 s0, vcc_lo
	s_cbranch_execz .LBB114_108
.LBB114_143:
	ds_load_b32 v18, v11 offset:352
	s_wait_dscnt 0x0
	v_add_f32_e32 v3, v3, v18
	s_wait_alu 0xfffe
	s_or_b32 exec_lo, exec_lo, s0
	s_and_saveexec_b32 s0, vcc_lo
	s_cbranch_execz .LBB114_109
.LBB114_144:
	ds_load_b32 v18, v11 offset:384
	s_wait_dscnt 0x0
	v_add_f32_e32 v2, v2, v18
	s_wait_alu 0xfffe
	s_or_b32 exec_lo, exec_lo, s0
	s_and_saveexec_b32 s0, vcc_lo
	s_cbranch_execz .LBB114_110
.LBB114_145:
	ds_load_b32 v18, v11 offset:416
	s_wait_dscnt 0x0
	v_add_f32_e32 v1, v1, v18
	s_wait_alu 0xfffe
	s_or_b32 exec_lo, exec_lo, s0
	s_and_saveexec_b32 s0, vcc_lo
	s_cbranch_execz .LBB114_111
.LBB114_146:
	ds_load_b32 v18, v11 offset:448
	s_wait_dscnt 0x0
	v_add_f32_e32 v4, v4, v18
	s_wait_alu 0xfffe
	s_or_b32 exec_lo, exec_lo, s0
	s_and_saveexec_b32 s0, vcc_lo
	s_cbranch_execnz .LBB114_112
	s_branch .LBB114_113
	.section	.rodata,"a",@progbits
	.p2align	6, 0x0
	.amdhsa_kernel _ZN4vllm25paged_attention_v2_kernelIttLi128ELi32ELi128ELNS_18Fp8KVCacheDataTypeE0ELb1ELi512EEEvPfS2_PT_PKS3_PKT0_S9_ifPKiSB_iPKfiiiSD_SD_iiiii
		.amdhsa_group_segment_fixed_size 288
		.amdhsa_private_segment_fixed_size 0
		.amdhsa_kernarg_size 400
		.amdhsa_user_sgpr_count 2
		.amdhsa_user_sgpr_dispatch_ptr 0
		.amdhsa_user_sgpr_queue_ptr 0
		.amdhsa_user_sgpr_kernarg_segment_ptr 1
		.amdhsa_user_sgpr_dispatch_id 0
		.amdhsa_user_sgpr_private_segment_size 0
		.amdhsa_wavefront_size32 1
		.amdhsa_uses_dynamic_stack 0
		.amdhsa_enable_private_segment 0
		.amdhsa_system_sgpr_workgroup_id_x 1
		.amdhsa_system_sgpr_workgroup_id_y 1
		.amdhsa_system_sgpr_workgroup_id_z 1
		.amdhsa_system_sgpr_workgroup_info 0
		.amdhsa_system_vgpr_workitem_id 0
		.amdhsa_next_free_vgpr 102
		.amdhsa_next_free_sgpr 42
		.amdhsa_reserve_vcc 1
		.amdhsa_float_round_mode_32 0
		.amdhsa_float_round_mode_16_64 0
		.amdhsa_float_denorm_mode_32 3
		.amdhsa_float_denorm_mode_16_64 3
		.amdhsa_fp16_overflow 0
		.amdhsa_workgroup_processor_mode 1
		.amdhsa_memory_ordered 1
		.amdhsa_forward_progress 1
		.amdhsa_inst_pref_size 111
		.amdhsa_round_robin_scheduling 0
		.amdhsa_exception_fp_ieee_invalid_op 0
		.amdhsa_exception_fp_denorm_src 0
		.amdhsa_exception_fp_ieee_div_zero 0
		.amdhsa_exception_fp_ieee_overflow 0
		.amdhsa_exception_fp_ieee_underflow 0
		.amdhsa_exception_fp_ieee_inexact 0
		.amdhsa_exception_int_div_zero 0
	.end_amdhsa_kernel
	.section	.text._ZN4vllm25paged_attention_v2_kernelIttLi128ELi32ELi128ELNS_18Fp8KVCacheDataTypeE0ELb1ELi512EEEvPfS2_PT_PKS3_PKT0_S9_ifPKiSB_iPKfiiiSD_SD_iiiii,"axG",@progbits,_ZN4vllm25paged_attention_v2_kernelIttLi128ELi32ELi128ELNS_18Fp8KVCacheDataTypeE0ELb1ELi512EEEvPfS2_PT_PKS3_PKT0_S9_ifPKiSB_iPKfiiiSD_SD_iiiii,comdat
.Lfunc_end114:
	.size	_ZN4vllm25paged_attention_v2_kernelIttLi128ELi32ELi128ELNS_18Fp8KVCacheDataTypeE0ELb1ELi512EEEvPfS2_PT_PKS3_PKT0_S9_ifPKiSB_iPKfiiiSD_SD_iiiii, .Lfunc_end114-_ZN4vllm25paged_attention_v2_kernelIttLi128ELi32ELi128ELNS_18Fp8KVCacheDataTypeE0ELb1ELi512EEEvPfS2_PT_PKS3_PKT0_S9_ifPKiSB_iPKfiiiSD_SD_iiiii
                                        ; -- End function
	.set _ZN4vllm25paged_attention_v2_kernelIttLi128ELi32ELi128ELNS_18Fp8KVCacheDataTypeE0ELb1ELi512EEEvPfS2_PT_PKS3_PKT0_S9_ifPKiSB_iPKfiiiSD_SD_iiiii.num_vgpr, 102
	.set _ZN4vllm25paged_attention_v2_kernelIttLi128ELi32ELi128ELNS_18Fp8KVCacheDataTypeE0ELb1ELi512EEEvPfS2_PT_PKS3_PKT0_S9_ifPKiSB_iPKfiiiSD_SD_iiiii.num_agpr, 0
	.set _ZN4vllm25paged_attention_v2_kernelIttLi128ELi32ELi128ELNS_18Fp8KVCacheDataTypeE0ELb1ELi512EEEvPfS2_PT_PKS3_PKT0_S9_ifPKiSB_iPKfiiiSD_SD_iiiii.numbered_sgpr, 42
	.set _ZN4vllm25paged_attention_v2_kernelIttLi128ELi32ELi128ELNS_18Fp8KVCacheDataTypeE0ELb1ELi512EEEvPfS2_PT_PKS3_PKT0_S9_ifPKiSB_iPKfiiiSD_SD_iiiii.num_named_barrier, 0
	.set _ZN4vllm25paged_attention_v2_kernelIttLi128ELi32ELi128ELNS_18Fp8KVCacheDataTypeE0ELb1ELi512EEEvPfS2_PT_PKS3_PKT0_S9_ifPKiSB_iPKfiiiSD_SD_iiiii.private_seg_size, 0
	.set _ZN4vllm25paged_attention_v2_kernelIttLi128ELi32ELi128ELNS_18Fp8KVCacheDataTypeE0ELb1ELi512EEEvPfS2_PT_PKS3_PKT0_S9_ifPKiSB_iPKfiiiSD_SD_iiiii.uses_vcc, 1
	.set _ZN4vllm25paged_attention_v2_kernelIttLi128ELi32ELi128ELNS_18Fp8KVCacheDataTypeE0ELb1ELi512EEEvPfS2_PT_PKS3_PKT0_S9_ifPKiSB_iPKfiiiSD_SD_iiiii.uses_flat_scratch, 0
	.set _ZN4vllm25paged_attention_v2_kernelIttLi128ELi32ELi128ELNS_18Fp8KVCacheDataTypeE0ELb1ELi512EEEvPfS2_PT_PKS3_PKT0_S9_ifPKiSB_iPKfiiiSD_SD_iiiii.has_dyn_sized_stack, 0
	.set _ZN4vllm25paged_attention_v2_kernelIttLi128ELi32ELi128ELNS_18Fp8KVCacheDataTypeE0ELb1ELi512EEEvPfS2_PT_PKS3_PKT0_S9_ifPKiSB_iPKfiiiSD_SD_iiiii.has_recursion, 0
	.set _ZN4vllm25paged_attention_v2_kernelIttLi128ELi32ELi128ELNS_18Fp8KVCacheDataTypeE0ELb1ELi512EEEvPfS2_PT_PKS3_PKT0_S9_ifPKiSB_iPKfiiiSD_SD_iiiii.has_indirect_call, 0
	.section	.AMDGPU.csdata,"",@progbits
; Kernel info:
; codeLenInByte = 14152
; TotalNumSgprs: 44
; NumVgprs: 102
; ScratchSize: 0
; MemoryBound: 0
; FloatMode: 240
; IeeeMode: 1
; LDSByteSize: 288 bytes/workgroup (compile time only)
; SGPRBlocks: 0
; VGPRBlocks: 12
; NumSGPRsForWavesPerEU: 44
; NumVGPRsForWavesPerEU: 102
; Occupancy: 12
; WaveLimiterHint : 1
; COMPUTE_PGM_RSRC2:SCRATCH_EN: 0
; COMPUTE_PGM_RSRC2:USER_SGPR: 2
; COMPUTE_PGM_RSRC2:TRAP_HANDLER: 0
; COMPUTE_PGM_RSRC2:TGID_X_EN: 1
; COMPUTE_PGM_RSRC2:TGID_Y_EN: 1
; COMPUTE_PGM_RSRC2:TGID_Z_EN: 1
; COMPUTE_PGM_RSRC2:TIDIG_COMP_CNT: 0
	.section	.text._ZN4vllm25paged_attention_v2_kernelIttLi192ELi32ELi128ELNS_18Fp8KVCacheDataTypeE0ELb1ELi512EEEvPfS2_PT_PKS3_PKT0_S9_ifPKiSB_iPKfiiiSD_SD_iiiii,"axG",@progbits,_ZN4vllm25paged_attention_v2_kernelIttLi192ELi32ELi128ELNS_18Fp8KVCacheDataTypeE0ELb1ELi512EEEvPfS2_PT_PKS3_PKT0_S9_ifPKiSB_iPKfiiiSD_SD_iiiii,comdat
	.protected	_ZN4vllm25paged_attention_v2_kernelIttLi192ELi32ELi128ELNS_18Fp8KVCacheDataTypeE0ELb1ELi512EEEvPfS2_PT_PKS3_PKT0_S9_ifPKiSB_iPKfiiiSD_SD_iiiii ; -- Begin function _ZN4vllm25paged_attention_v2_kernelIttLi192ELi32ELi128ELNS_18Fp8KVCacheDataTypeE0ELb1ELi512EEEvPfS2_PT_PKS3_PKT0_S9_ifPKiSB_iPKfiiiSD_SD_iiiii
	.globl	_ZN4vllm25paged_attention_v2_kernelIttLi192ELi32ELi128ELNS_18Fp8KVCacheDataTypeE0ELb1ELi512EEEvPfS2_PT_PKS3_PKT0_S9_ifPKiSB_iPKfiiiSD_SD_iiiii
	.p2align	8
	.type	_ZN4vllm25paged_attention_v2_kernelIttLi192ELi32ELi128ELNS_18Fp8KVCacheDataTypeE0ELb1ELi512EEEvPfS2_PT_PKS3_PKT0_S9_ifPKiSB_iPKfiiiSD_SD_iiiii,@function
_ZN4vllm25paged_attention_v2_kernelIttLi192ELi32ELi128ELNS_18Fp8KVCacheDataTypeE0ELb1ELi512EEEvPfS2_PT_PKS3_PKT0_S9_ifPKiSB_iPKfiiiSD_SD_iiiii: ; @_ZN4vllm25paged_attention_v2_kernelIttLi192ELi32ELi128ELNS_18Fp8KVCacheDataTypeE0ELb1ELi512EEEvPfS2_PT_PKS3_PKT0_S9_ifPKiSB_iPKfiiiSD_SD_iiiii
; %bb.0:
	s_load_b64 s[2:3], s[0:1], 0x40
	s_and_b32 s26, ttmp7, 0xffff
	s_lshr_b32 s30, ttmp7, 16
	s_lshl_b32 s4, s26, 2
	s_lshl_b32 s34, s30, 9
	s_wait_kmcnt 0x0
	s_load_b32 s31, s[2:3], s4 offset:0x0
	s_wait_kmcnt 0x0
	s_cmp_ge_i32 s34, s31
	s_cbranch_scc1 .LBB115_148
; %bb.1:
	s_clause 0x1
	s_load_b32 s27, s[0:1], 0x90
	s_load_b64 s[8:9], s[0:1], 0x30
	s_wait_kmcnt 0x0
	s_abs_i32 s5, s27
	s_abs_i32 s2, s8
	s_delay_alu instid0(SALU_CYCLE_1) | instskip(SKIP_1) | instid1(SALU_CYCLE_2)
	s_cvt_f32_u32 s3, s2
	s_sub_co_i32 s4, 0, s2
	v_rcp_iflag_f32_e32 v1, s3
	s_delay_alu instid0(TRANS32_DEP_1) | instskip(SKIP_2) | instid1(SALU_CYCLE_2)
	v_readfirstlane_b32 s3, v1
	s_mul_f32 s3, s3, 0x4f7ffffe
	s_wait_alu 0xfffe
	s_cvt_u32_f32 s3, s3
	s_wait_alu 0xfffe
	s_delay_alu instid0(SALU_CYCLE_2) | instskip(NEXT) | instid1(SALU_CYCLE_1)
	s_mul_i32 s4, s4, s3
	s_mul_hi_u32 s4, s3, s4
	s_delay_alu instid0(SALU_CYCLE_1)
	s_add_co_i32 s3, s3, s4
	s_xor_b32 s4, s27, s8
	s_wait_alu 0xfffe
	s_mul_hi_u32 s3, s5, s3
	s_ashr_i32 s4, s4, 31
	s_wait_alu 0xfffe
	s_mul_i32 s6, s3, s2
	s_delay_alu instid0(SALU_CYCLE_1)
	s_sub_co_i32 s5, s5, s6
	s_add_co_i32 s6, s3, 1
	s_sub_co_i32 s7, s5, s2
	s_cmp_ge_u32 s5, s2
	s_cselect_b32 s3, s6, s3
	s_cselect_b32 s5, s7, s5
	s_wait_alu 0xfffe
	s_add_co_i32 s6, s3, 1
	s_cmp_ge_u32 s5, s2
	s_cselect_b32 s2, s6, s3
	s_load_b64 s[6:7], s[0:1], 0x50
	s_xor_b32 s2, s2, s4
	s_mov_b32 s3, 0
	s_wait_alu 0xfffe
	s_sub_co_i32 s16, s2, s4
	s_mov_b32 s24, s3
	s_abs_i32 s15, s16
	s_delay_alu instid0(SALU_CYCLE_1) | instskip(SKIP_1) | instid1(SALU_CYCLE_2)
	s_cvt_f32_u32 s2, s15
	s_wait_alu 0xfffe
	v_rcp_iflag_f32_e32 v1, s2
	s_delay_alu instid0(TRANS32_DEP_1) | instskip(SKIP_2) | instid1(SALU_CYCLE_2)
	v_readfirstlane_b32 s2, v1
	s_mul_f32 s2, s2, 0x4f7ffffe
	s_wait_alu 0xfffe
	s_cvt_u32_f32 s4, s2
	s_sub_co_i32 s2, 0, s15
	s_wait_alu 0xfffe
	s_delay_alu instid0(SALU_CYCLE_1)
	s_mul_i32 s2, s2, s4
	s_wait_alu 0xfffe
	s_mul_hi_u32 s5, s4, s2
	s_abs_i32 s2, ttmp9
	s_add_co_i32 s4, s4, s5
	s_mov_b32 s5, s3
	s_wait_kmcnt 0x0
	s_cmp_eq_u64 s[6:7], 0
	s_cbranch_scc1 .LBB115_3
; %bb.2:
	s_mov_b32 s10, ttmp9
	s_ashr_i32 s11, ttmp9, 31
	s_delay_alu instid0(SALU_CYCLE_1) | instskip(NEXT) | instid1(SALU_CYCLE_1)
	s_lshl_b64 s[10:11], s[10:11], 2
	s_add_nc_u64 s[6:7], s[6:7], s[10:11]
	s_load_b32 s24, s[6:7], 0x0
.LBB115_3:
	s_load_b96 s[12:14], s[0:1], 0x58
	v_lshlrev_b32_e32 v98, 4, v0
	s_mul_u64 s[10:11], s[2:3], s[4:5]
	s_ashr_i32 s3, ttmp9, 31
	s_ashr_i32 s10, s16, 31
	s_mul_i32 s16, ttmp9, 0xc0
	s_mov_b32 s4, exec_lo
	v_cmpx_gt_u32_e32 24, v0
	s_cbranch_execz .LBB115_5
; %bb.4:
	s_load_b64 s[6:7], s[0:1], 0x18
	s_wait_kmcnt 0x0
	s_mul_i32 s18, s12, s26
	s_ashr_i32 s17, s16, 31
	s_ashr_i32 s19, s18, 31
	s_delay_alu instid0(SALU_CYCLE_1) | instskip(NEXT) | instid1(SALU_CYCLE_1)
	s_lshl_b64 s[18:19], s[18:19], 1
	s_add_nc_u64 s[6:7], s[6:7], s[18:19]
	s_lshl_b64 s[18:19], s[16:17], 1
	s_delay_alu instid0(SALU_CYCLE_1)
	s_add_nc_u64 s[6:7], s[6:7], s[18:19]
	global_load_b128 v[1:4], v98, s[6:7]
	s_wait_loadcnt 0x0
	ds_store_b128 v98, v[1:4]
.LBB115_5:
	s_or_b32 exec_lo, exec_lo, s4
	s_clause 0x1
	s_load_b128 s[4:7], s[0:1], 0x78
	s_load_b32 s20, s[0:1], 0x88
	s_wait_kmcnt 0x0
	s_mul_i32 s12, s11, s15
	s_xor_b32 s3, s3, s10
	s_sub_co_i32 s2, s2, s12
	s_add_co_i32 s10, s11, 1
	s_wait_alu 0xfffe
	s_sub_co_i32 s12, s2, s15
	s_cmp_ge_u32 s2, s15
	s_mov_b32 s22, -1
	s_cselect_b32 s10, s10, s11
	s_cselect_b32 s2, s12, s2
	s_add_co_i32 s11, s10, 1
	s_wait_alu 0xfffe
	s_cmp_ge_u32 s2, s15
	s_wait_dscnt 0x0
	s_cselect_b32 s2, s11, s10
	s_add_co_i32 s21, s31, -1
	s_wait_alu 0xfffe
	s_xor_b32 s2, s2, s3
	s_barrier_signal -1
	s_wait_alu 0xfffe
	s_sub_co_i32 s15, s2, s3
	s_barrier_wait -1
	s_abs_i32 s12, s7
	global_inv scope:SCOPE_SE
	s_cvt_f32_u32 s10, s12
                                        ; implicit-def: $sgpr17
	s_delay_alu instid0(SALU_CYCLE_3) | instskip(NEXT) | instid1(TRANS32_DEP_1)
	v_rcp_iflag_f32_e32 v1, s10
	v_readfirstlane_b32 s10, v1
	s_mul_f32 s2, s10, 0x4f7ffffe
	s_wait_alu 0xfffe
	s_delay_alu instid0(SALU_CYCLE_2) | instskip(SKIP_2) | instid1(SALU_CYCLE_1)
	s_cvt_u32_f32 s10, s2
	s_sub_co_i32 s2, 0, s12
	s_wait_alu 0xfffe
	s_mul_i32 s3, s2, s10
	s_abs_i32 s2, s21
	s_wait_alu 0xfffe
	s_mul_hi_u32 s11, s10, s3
	s_mov_b32 s3, 0
	s_wait_alu 0xfffe
	s_add_co_i32 s18, s10, s11
	s_cmp_lt_i32 s20, 0
	s_mov_b32 s19, s3
	s_cbranch_scc0 .LBB115_7
; %bb.6:
	s_mul_i32 s8, s4, s8
	s_mov_b32 s22, s3
	s_add_co_i32 s8, s15, s8
	s_delay_alu instid0(SALU_CYCLE_1) | instskip(NEXT) | instid1(SALU_CYCLE_1)
	s_mul_i32 s8, s8, s20
	s_sub_co_i32 s17, 1, s8
.LBB115_7:
	s_mul_u64 s[10:11], s[2:3], s[18:19]
	s_ashr_i32 s3, s21, 31
	s_and_not1_b32 vcc_lo, exec_lo, s22
	s_ashr_i32 s19, s7, 31
	s_cbranch_vccnz .LBB115_9
; %bb.8:
	s_mul_i32 s4, s27, s4
	s_delay_alu instid0(SALU_CYCLE_1) | instskip(NEXT) | instid1(SALU_CYCLE_1)
	s_add_co_i32 s4, s4, ttmp9
	s_mul_i32 s4, s4, s20
	s_delay_alu instid0(SALU_CYCLE_1)
	s_add_co_i32 s17, s4, 1
.LBB115_9:
	s_load_b32 s4, s[0:1], 0x48
	s_mul_i32 s7, s11, s12
	s_xor_b32 s3, s3, s19
	s_sub_co_i32 s2, s2, s7
	s_add_co_i32 s8, s11, 1
	s_clause 0x1
	s_load_b64 s[20:21], s[0:1], 0x38
	s_load_b32 s7, s[0:1], 0x98
	v_lshrrev_b32_e32 v96, 5, v0
	v_and_b32_e32 v97, 31, v0
	v_mov_b32_e32 v101, 0xff7fffff
	s_mul_i32 s14, s15, s14
	s_delay_alu instid0(VALU_DEP_2)
	v_lshlrev_b32_e32 v99, 2, v97
	s_wait_kmcnt 0x0
	s_mul_i32 s22, s4, s26
	s_sub_co_i32 s4, s2, s12
	s_ashr_i32 s23, s22, 31
	s_cmp_ge_u32 s2, s12
	s_cselect_b32 s8, s8, s11
	s_cselect_b32 s2, s4, s2
	s_add_co_i32 s4, s8, 1
	s_wait_alu 0xfffe
	s_cmp_ge_u32 s2, s12
	s_cselect_b32 s2, s4, s8
	s_add_co_i32 s4, s31, 31
	s_lshl_b32 s37, s30, 4
	s_ashr_i32 s8, s4, 31
	v_add_nc_u32_e32 v93, s37, v96
	s_lshr_b32 s8, s8, 27
	s_add_co_i32 s10, s37, 16
	s_add_co_i32 s4, s4, s8
	s_delay_alu instid0(SALU_CYCLE_1)
	s_ashr_i32 s35, s4, 5
	s_wait_alu 0xfffe
	s_xor_b32 s4, s2, s3
	s_min_i32 s33, s10, s35
	s_sub_co_i32 s36, s4, s3
	v_cmp_gt_i32_e64 s2, s33, v93
	s_and_saveexec_b32 s8, s2
	s_cbranch_execz .LBB115_17
; %bb.10:
	s_ashr_i32 s15, s14, 31
	s_wait_alu 0xfffe
	s_sub_co_i32 s10, s36, s5
	s_lshl_b64 s[28:29], s[14:15], 1
	s_cmp_neq_f32 s24, 0
	s_load_b64 s[38:39], s[0:1], 0x20
	v_dual_mov_b32 v101, 0xff7fffff :: v_dual_lshlrev_b32 v4, 2, v93
	s_cselect_b32 vcc_lo, -1, 0
	s_abs_i32 s11, s6
	s_lshl_b64 s[40:41], s[22:23], 2
	s_wait_alu 0xfffe
	s_cvt_f32_u32 s3, s11
	v_dual_mov_b32 v103, 0xff7fffff :: v_dual_lshlrev_b32 v2, 4, v97
	s_add_nc_u64 s[40:41], s[20:21], s[40:41]
	s_wait_alu 0xfffe
	v_rcp_iflag_f32_e32 v1, s3
	v_subrev_nc_u32_e32 v3, s31, v97
	v_lshl_or_b32 v5, v96, 7, v99
	v_add_co_u32 v94, s25, s40, v4
	s_sub_co_i32 s4, 0, s11
	v_add_co_ci_u32_e64 v95, null, s41, 0, s25
	v_dual_mov_b32 v100, 0 :: v_dual_add_nc_u32 v105, 0x1a0, v5
	s_delay_alu instid0(TRANS32_DEP_1)
	v_readfirstlane_b32 s3, v1
	s_wait_kmcnt 0x0
	s_add_nc_u64 s[28:29], s[38:39], s[28:29]
	v_lshl_add_u32 v102, v96, 5, s34
	v_add_co_u32 v106, s25, s28, v2
	s_mul_f32 s3, s3, 0x4f7ffffe
	v_add_nc_u32_e32 v104, 1, v3
	v_add_co_ci_u32_e64 v107, null, s29, 0, s25
	s_wait_alu 0xfffe
	s_cvt_u32_f32 s3, s3
	v_mov_b32_e32 v108, v93
	s_mov_b32 s15, s13
	s_mov_b32 s25, 0
	s_wait_alu 0xfffe
	s_mul_i32 s4, s4, s3
	s_delay_alu instid0(SALU_CYCLE_1) | instskip(NEXT) | instid1(SALU_CYCLE_1)
	s_mul_hi_u32 s4, s3, s4
	s_add_co_i32 s28, s3, s4
	s_branch .LBB115_12
.LBB115_11:                             ;   in Loop: Header=BB115_12 Depth=1
	s_wait_alu 0xfffe
	s_or_b32 exec_lo, exec_lo, s4
	v_add_nc_u32_e32 v108, 4, v108
	v_add_co_u32 v94, s4, v94, 16
	s_wait_alu 0xf1ff
	v_add_co_ci_u32_e64 v95, null, 0, v95, s4
	s_delay_alu instid0(VALU_DEP_3)
	v_cmp_le_i32_e64 s3, s33, v108
	v_add_nc_u32_e32 v102, 0x80, v102
	v_add_nc_u32_e32 v105, 0x200, v105
	s_or_b32 s25, s3, s25
	s_wait_alu 0xfffe
	s_and_not1_b32 exec_lo, exec_lo, s25
	s_cbranch_execz .LBB115_16
.LBB115_12:                             ; =>This Inner Loop Header: Depth=1
	v_sub_nc_u32_e32 v1, 0, v102
	s_delay_alu instid0(VALU_DEP_1) | instskip(NEXT) | instid1(VALU_DEP_1)
	v_max_i32_e32 v1, v102, v1
	v_mul_hi_u32 v2, v1, s18
	s_delay_alu instid0(VALU_DEP_1) | instskip(NEXT) | instid1(VALU_DEP_1)
	v_mul_lo_u32 v3, v2, s12
	v_sub_nc_u32_e32 v1, v1, v3
	v_add_nc_u32_e32 v3, 1, v2
	s_delay_alu instid0(VALU_DEP_2) | instskip(SKIP_2) | instid1(VALU_DEP_1)
	v_subrev_nc_u32_e32 v4, s12, v1
	v_cmp_le_u32_e64 s3, s12, v1
	s_wait_alu 0xf1ff
	v_cndmask_b32_e64 v2, v2, v3, s3
	s_delay_alu instid0(VALU_DEP_3) | instskip(SKIP_1) | instid1(VALU_DEP_3)
	v_cndmask_b32_e64 v1, v1, v4, s3
	v_ashrrev_i32_e32 v3, 31, v102
	v_add_nc_u32_e32 v4, 1, v2
	s_delay_alu instid0(VALU_DEP_3) | instskip(NEXT) | instid1(VALU_DEP_3)
	v_cmp_le_u32_e64 s3, s12, v1
	v_xor_b32_e32 v3, s19, v3
	s_wait_alu 0xf1ff
	s_delay_alu instid0(VALU_DEP_2) | instskip(NEXT) | instid1(VALU_DEP_1)
	v_cndmask_b32_e64 v1, v2, v4, s3
	v_xor_b32_e32 v1, v1, v3
	s_delay_alu instid0(VALU_DEP_1) | instskip(NEXT) | instid1(VALU_DEP_1)
	v_sub_nc_u32_e32 v1, v1, v3
	v_add_nc_u32_e32 v2, s17, v1
	v_cmp_ge_i32_e64 s4, s10, v1
	s_delay_alu instid0(VALU_DEP_2) | instskip(NEXT) | instid1(VALU_DEP_1)
	v_sub_nc_u32_e32 v3, 0, v2
	v_max_i32_e32 v3, v2, v3
	v_ashrrev_i32_e32 v2, 31, v2
	s_wait_alu 0xfffe
	s_delay_alu instid0(VALU_DEP_2) | instskip(NEXT) | instid1(VALU_DEP_1)
	v_mul_hi_u32 v4, v3, s28
	v_mul_lo_u32 v4, v4, s11
	s_delay_alu instid0(VALU_DEP_1) | instskip(NEXT) | instid1(VALU_DEP_1)
	v_sub_nc_u32_e32 v3, v3, v4
	v_subrev_nc_u32_e32 v4, s11, v3
	v_cmp_le_u32_e64 s3, s11, v3
	s_wait_alu 0xf1ff
	s_delay_alu instid0(VALU_DEP_1) | instskip(NEXT) | instid1(VALU_DEP_1)
	v_cndmask_b32_e64 v3, v3, v4, s3
	v_subrev_nc_u32_e32 v4, s11, v3
	v_cmp_le_u32_e64 s3, s11, v3
	s_wait_alu 0xf1ff
	s_delay_alu instid0(VALU_DEP_1) | instskip(NEXT) | instid1(VALU_DEP_1)
	v_cndmask_b32_e64 v3, v3, v4, s3
	v_xor_b32_e32 v3, v3, v2
	s_delay_alu instid0(VALU_DEP_1) | instskip(NEXT) | instid1(VALU_DEP_1)
	v_sub_nc_u32_e32 v2, v3, v2
	v_cmp_ne_u32_e64 s3, 0, v2
	s_and_b32 s3, s3, s4
	s_wait_alu 0xfffe
	s_and_saveexec_b32 s4, s3
	s_wait_alu 0xfffe
	s_xor_b32 s3, exec_lo, s4
; %bb.13:                               ;   in Loop: Header=BB115_12 Depth=1
	ds_store_b32 v105, v103
; %bb.14:                               ;   in Loop: Header=BB115_12 Depth=1
	s_wait_alu 0xfffe
	s_and_not1_saveexec_b32 s4, s3
	s_cbranch_execz .LBB115_11
; %bb.15:                               ;   in Loop: Header=BB115_12 Depth=1
	global_load_b32 v1, v[94:95], off
	v_add_nc_u32_e32 v3, v104, v102
	s_delay_alu instid0(VALU_DEP_1) | instskip(NEXT) | instid1(VALU_DEP_1)
	v_cvt_f32_i32_e32 v3, v3
	v_dual_mul_f32 v3, s24, v3 :: v_dual_add_nc_u32 v114, v97, v102
	s_delay_alu instid0(VALU_DEP_1) | instskip(SKIP_2) | instid1(VALU_DEP_1)
	v_cndmask_b32_e32 v109, 0, v3, vcc_lo
	s_wait_loadcnt 0x0
	v_mad_co_i64_i32 v[1:2], null, v1, s15, 0
	v_lshlrev_b64_e32 v[1:2], 1, v[1:2]
	s_delay_alu instid0(VALU_DEP_1) | instskip(SKIP_1) | instid1(VALU_DEP_2)
	v_add_co_u32 v1, s3, v106, v1
	s_wait_alu 0xf1ff
	v_add_co_ci_u32_e64 v2, null, v107, v2, s3
	v_cmp_gt_i32_e64 s3, s31, v114
	s_clause 0x17
	global_load_b128 v[110:113], v[1:2], off
	global_load_b128 v[89:92], v[1:2], off offset:512
	global_load_b128 v[85:88], v[1:2], off offset:1024
	;; [unrolled: 1-line block ×23, first 2 shown]
	ds_load_b128 v[114:117], v100
	s_wait_dscnt 0x0
	v_lshrrev_b32_e32 v118, 16, v114
	v_and_b32_e32 v114, 0xffff, v114
	;;#ASMSTART
	v_cvt_f32_f16 v114, v114;
	;;#ASMEND
	;;#ASMSTART
	v_cvt_f32_f16 v118, v118;
	;;#ASMEND
	s_wait_loadcnt 0x17
	v_lshrrev_b32_e32 v120, 16, v110
	v_and_b32_e32 v110, 0xffff, v110
	;;#ASMSTART
	v_cvt_f32_f16 v119, v110;
	;;#ASMEND
	;;#ASMSTART
	v_cvt_f32_f16 v120, v120;
	;;#ASMEND
	v_lshrrev_b32_e32 v110, 16, v115
	v_and_b32_e32 v115, 0xffff, v115
	;;#ASMSTART
	v_cvt_f32_f16 v115, v115;
	;;#ASMEND
	;;#ASMSTART
	v_cvt_f32_f16 v121, v110;
	;;#ASMEND
	;; [unrolled: 8-line block ×7, first 2 shown]
	ds_load_b128 v[110:113], v100 offset:16
	s_wait_loadcnt 0x16
	v_lshrrev_b32_e32 v131, 16, v89
	v_and_b32_e32 v89, 0xffff, v89
	s_wait_dscnt 0x0
	v_lshrrev_b32_e32 v130, 16, v110
	v_and_b32_e32 v110, 0xffff, v110
	;;#ASMSTART
	v_cvt_f32_f16 v110, v110;
	;;#ASMEND
	;;#ASMSTART
	v_cvt_f32_f16 v130, v130;
	;;#ASMEND
	;; [unrolled: 3-line block ×4, first 2 shown]
	v_mul_f32_e32 v89, v110, v89
	v_mul_f32_e32 v110, v130, v131
	s_delay_alu instid0(VALU_DEP_1) | instskip(SKIP_1) | instid1(VALU_DEP_4)
	v_fmac_f32_e32 v110, v118, v120
	v_lshrrev_b32_e32 v118, 16, v90
	v_dual_fmac_f32 v89, v114, v119 :: v_dual_and_b32 v90, 0xffff, v90
	v_lshrrev_b32_e32 v114, 16, v111
	v_and_b32_e32 v111, 0xffff, v111
	;;#ASMSTART
	v_cvt_f32_f16 v111, v111;
	;;#ASMEND
	;;#ASMSTART
	v_cvt_f32_f16 v114, v114;
	;;#ASMEND
	;; [unrolled: 3-line block ×3, first 2 shown]
	s_delay_alu instid0(VALU_DEP_1) | instskip(SKIP_3) | instid1(VALU_DEP_3)
	v_mul_f32_e32 v111, v111, v90
	;;#ASMSTART
	v_cvt_f32_f16 v118, v118;
	;;#ASMEND
	v_mul_f32_e32 v90, v114, v118
	v_lshrrev_b32_e32 v114, 16, v112
	v_dual_fmac_f32 v111, v115, v122 :: v_dual_and_b32 v112, 0xffff, v112
	v_lshrrev_b32_e32 v115, 16, v91
	v_and_b32_e32 v91, 0xffff, v91
	;;#ASMSTART
	v_cvt_f32_f16 v112, v112;
	;;#ASMEND
	;;#ASMSTART
	v_cvt_f32_f16 v114, v114;
	;;#ASMEND
	;; [unrolled: 3-line block ×4, first 2 shown]
	v_mul_f32_e32 v112, v112, v91
	v_mul_f32_e32 v91, v114, v115
	v_lshrrev_b32_e32 v114, 16, v113
	v_and_b32_e32 v113, 0xffff, v113
	;;#ASMSTART
	v_cvt_f32_f16 v113, v113;
	;;#ASMEND
	v_lshrrev_b32_e32 v115, 16, v92
	v_and_b32_e32 v92, 0xffff, v92
	;;#ASMSTART
	v_cvt_f32_f16 v114, v114;
	;;#ASMEND
	;;#ASMSTART
	v_cvt_f32_f16 v92, v92;
	;;#ASMEND
	s_delay_alu instid0(VALU_DEP_1)
	v_mul_f32_e32 v113, v113, v92
	;;#ASMSTART
	v_cvt_f32_f16 v115, v115;
	;;#ASMEND
	v_fmac_f32_e32 v112, v116, v125
	v_mul_f32_e32 v92, v114, v115
	v_fmac_f32_e32 v90, v121, v123
	v_fmac_f32_e32 v113, v117, v128
	ds_load_b128 v[114:117], v100 offset:32
	s_wait_loadcnt 0x15
	v_lshrrev_b32_e32 v119, 16, v85
	v_and_b32_e32 v85, 0xffff, v85
	v_fmac_f32_e32 v92, v127, v129
	s_wait_dscnt 0x0
	v_lshrrev_b32_e32 v118, 16, v114
	v_and_b32_e32 v114, 0xffff, v114
	;;#ASMSTART
	v_cvt_f32_f16 v114, v114;
	;;#ASMEND
	;;#ASMSTART
	v_cvt_f32_f16 v118, v118;
	;;#ASMEND
	;; [unrolled: 3-line block ×3, first 2 shown]
	s_delay_alu instid0(VALU_DEP_1)
	v_fmac_f32_e32 v89, v114, v85
	v_lshrrev_b32_e32 v114, 16, v115
	v_and_b32_e32 v85, 0xffff, v115
	v_lshrrev_b32_e32 v115, 16, v86
	v_and_b32_e32 v86, 0xffff, v86
	;;#ASMSTART
	v_cvt_f32_f16 v119, v119;
	;;#ASMEND
	;;#ASMSTART
	v_cvt_f32_f16 v85, v85;
	;;#ASMEND
	;; [unrolled: 3-line block ×5, first 2 shown]
	v_dual_fmac_f32 v111, v85, v86 :: v_dual_fmac_f32 v90, v114, v115
	v_lshrrev_b32_e32 v86, 16, v116
	v_and_b32_e32 v85, 0xffff, v116
	v_lshrrev_b32_e32 v114, 16, v87
	v_and_b32_e32 v87, 0xffff, v87
	;;#ASMSTART
	v_cvt_f32_f16 v85, v85;
	;;#ASMEND
	;;#ASMSTART
	v_cvt_f32_f16 v86, v86;
	;;#ASMEND
	;; [unrolled: 3-line block ×3, first 2 shown]
	s_delay_alu instid0(VALU_DEP_1) | instskip(SKIP_3) | instid1(VALU_DEP_3)
	v_dual_fmac_f32 v91, v124, v126 :: v_dual_fmac_f32 v112, v85, v87
	;;#ASMSTART
	v_cvt_f32_f16 v114, v114;
	;;#ASMEND
	v_and_b32_e32 v85, 0xffff, v117
	v_and_b32_e32 v87, 0xffff, v88
	v_fmac_f32_e32 v91, v86, v114
	v_lshrrev_b32_e32 v86, 16, v117
	;;#ASMSTART
	v_cvt_f32_f16 v85, v85;
	;;#ASMEND
	;;#ASMSTART
	v_cvt_f32_f16 v86, v86;
	;;#ASMEND
	v_lshrrev_b32_e32 v114, 16, v88
	;;#ASMSTART
	v_cvt_f32_f16 v87, v87;
	;;#ASMEND
	;;#ASMSTART
	v_cvt_f32_f16 v88, v114;
	;;#ASMEND
	v_dual_fmac_f32 v113, v85, v87 :: v_dual_fmac_f32 v92, v86, v88
	ds_load_b128 v[85:88], v100 offset:48
	s_wait_loadcnt 0x14
	v_lshrrev_b32_e32 v115, 16, v81
	v_dual_fmac_f32 v110, v118, v119 :: v_dual_and_b32 v81, 0xffff, v81
	s_wait_dscnt 0x0
	v_lshrrev_b32_e32 v114, 16, v85
	v_and_b32_e32 v85, 0xffff, v85
	;;#ASMSTART
	v_cvt_f32_f16 v85, v85;
	;;#ASMEND
	;;#ASMSTART
	v_cvt_f32_f16 v114, v114;
	;;#ASMEND
	;; [unrolled: 3-line block ×3, first 2 shown]
	s_delay_alu instid0(VALU_DEP_1)
	v_fmac_f32_e32 v89, v85, v81
	v_lshrrev_b32_e32 v85, 16, v86
	v_and_b32_e32 v81, 0xffff, v86
	v_lshrrev_b32_e32 v86, 16, v82
	v_and_b32_e32 v82, 0xffff, v82
	;;#ASMSTART
	v_cvt_f32_f16 v115, v115;
	;;#ASMEND
	;;#ASMSTART
	v_cvt_f32_f16 v81, v81;
	;;#ASMEND
	;; [unrolled: 3-line block ×5, first 2 shown]
	v_fmac_f32_e32 v111, v81, v82
	v_fmac_f32_e32 v90, v85, v86
	v_lshrrev_b32_e32 v82, 16, v87
	v_and_b32_e32 v81, 0xffff, v87
	v_lshrrev_b32_e32 v85, 16, v83
	v_and_b32_e32 v83, 0xffff, v83
	;;#ASMSTART
	v_cvt_f32_f16 v81, v81;
	;;#ASMEND
	;;#ASMSTART
	v_cvt_f32_f16 v82, v82;
	;;#ASMEND
	;;#ASMSTART
	v_cvt_f32_f16 v83, v83;
	;;#ASMEND
	;;#ASMSTART
	v_cvt_f32_f16 v85, v85;
	;;#ASMEND
	v_dual_fmac_f32 v112, v81, v83 :: v_dual_fmac_f32 v91, v82, v85
	v_lshrrev_b32_e32 v82, 16, v88
	v_and_b32_e32 v81, 0xffff, v88
	v_and_b32_e32 v83, 0xffff, v84
	;;#ASMSTART
	v_cvt_f32_f16 v81, v81;
	;;#ASMEND
	;;#ASMSTART
	v_cvt_f32_f16 v82, v82;
	;;#ASMEND
	v_lshrrev_b32_e32 v85, 16, v84
	;;#ASMSTART
	v_cvt_f32_f16 v83, v83;
	;;#ASMEND
	;;#ASMSTART
	v_cvt_f32_f16 v84, v85;
	;;#ASMEND
	v_dual_fmac_f32 v113, v81, v83 :: v_dual_fmac_f32 v92, v82, v84
	ds_load_b128 v[81:84], v100 offset:64
	s_wait_loadcnt 0x13
	v_lshrrev_b32_e32 v86, 16, v77
	v_dual_fmac_f32 v110, v114, v115 :: v_dual_and_b32 v77, 0xffff, v77
	s_wait_dscnt 0x0
	v_lshrrev_b32_e32 v85, 16, v81
	v_and_b32_e32 v81, 0xffff, v81
	;;#ASMSTART
	v_cvt_f32_f16 v81, v81;
	;;#ASMEND
	;;#ASMSTART
	v_cvt_f32_f16 v85, v85;
	;;#ASMEND
	;; [unrolled: 3-line block ×3, first 2 shown]
	s_delay_alu instid0(VALU_DEP_1)
	v_fmac_f32_e32 v89, v81, v77
	v_lshrrev_b32_e32 v81, 16, v82
	v_and_b32_e32 v77, 0xffff, v82
	v_lshrrev_b32_e32 v82, 16, v78
	v_and_b32_e32 v78, 0xffff, v78
	;;#ASMSTART
	v_cvt_f32_f16 v86, v86;
	;;#ASMEND
	;;#ASMSTART
	v_cvt_f32_f16 v77, v77;
	;;#ASMEND
	;; [unrolled: 3-line block ×5, first 2 shown]
	v_fmac_f32_e32 v111, v77, v78
	v_fmac_f32_e32 v90, v81, v82
	v_lshrrev_b32_e32 v78, 16, v83
	v_and_b32_e32 v77, 0xffff, v83
	v_lshrrev_b32_e32 v81, 16, v79
	v_and_b32_e32 v79, 0xffff, v79
	;;#ASMSTART
	v_cvt_f32_f16 v77, v77;
	;;#ASMEND
	;;#ASMSTART
	v_cvt_f32_f16 v78, v78;
	;;#ASMEND
	;; [unrolled: 3-line block ×4, first 2 shown]
	v_dual_fmac_f32 v112, v77, v79 :: v_dual_fmac_f32 v91, v78, v81
	v_lshrrev_b32_e32 v78, 16, v84
	v_and_b32_e32 v77, 0xffff, v84
	v_and_b32_e32 v79, 0xffff, v80
	;;#ASMSTART
	v_cvt_f32_f16 v77, v77;
	;;#ASMEND
	;;#ASMSTART
	v_cvt_f32_f16 v78, v78;
	;;#ASMEND
	v_lshrrev_b32_e32 v81, 16, v80
	;;#ASMSTART
	v_cvt_f32_f16 v79, v79;
	;;#ASMEND
	;;#ASMSTART
	v_cvt_f32_f16 v80, v81;
	;;#ASMEND
	v_dual_fmac_f32 v113, v77, v79 :: v_dual_fmac_f32 v92, v78, v80
	ds_load_b128 v[77:80], v100 offset:80
	s_wait_loadcnt 0x12
	v_lshrrev_b32_e32 v82, 16, v73
	v_dual_fmac_f32 v110, v85, v86 :: v_dual_and_b32 v73, 0xffff, v73
	s_wait_dscnt 0x0
	v_lshrrev_b32_e32 v81, 16, v77
	v_and_b32_e32 v77, 0xffff, v77
	;;#ASMSTART
	v_cvt_f32_f16 v77, v77;
	;;#ASMEND
	;;#ASMSTART
	v_cvt_f32_f16 v81, v81;
	;;#ASMEND
	;; [unrolled: 3-line block ×3, first 2 shown]
	s_delay_alu instid0(VALU_DEP_1)
	v_fmac_f32_e32 v89, v77, v73
	v_lshrrev_b32_e32 v77, 16, v78
	v_and_b32_e32 v73, 0xffff, v78
	v_lshrrev_b32_e32 v78, 16, v74
	v_and_b32_e32 v74, 0xffff, v74
	;;#ASMSTART
	v_cvt_f32_f16 v82, v82;
	;;#ASMEND
	;;#ASMSTART
	v_cvt_f32_f16 v73, v73;
	;;#ASMEND
	;; [unrolled: 3-line block ×5, first 2 shown]
	v_fmac_f32_e32 v111, v73, v74
	v_fmac_f32_e32 v90, v77, v78
	v_lshrrev_b32_e32 v74, 16, v79
	v_and_b32_e32 v73, 0xffff, v79
	v_lshrrev_b32_e32 v77, 16, v75
	v_and_b32_e32 v75, 0xffff, v75
	;;#ASMSTART
	v_cvt_f32_f16 v73, v73;
	;;#ASMEND
	;;#ASMSTART
	v_cvt_f32_f16 v74, v74;
	;;#ASMEND
	;; [unrolled: 3-line block ×4, first 2 shown]
	v_dual_fmac_f32 v112, v73, v75 :: v_dual_fmac_f32 v91, v74, v77
	v_lshrrev_b32_e32 v74, 16, v80
	v_and_b32_e32 v73, 0xffff, v80
	v_and_b32_e32 v75, 0xffff, v76
	;;#ASMSTART
	v_cvt_f32_f16 v73, v73;
	;;#ASMEND
	;;#ASMSTART
	v_cvt_f32_f16 v74, v74;
	;;#ASMEND
	v_lshrrev_b32_e32 v77, 16, v76
	;;#ASMSTART
	v_cvt_f32_f16 v75, v75;
	;;#ASMEND
	;;#ASMSTART
	v_cvt_f32_f16 v76, v77;
	;;#ASMEND
	v_dual_fmac_f32 v113, v73, v75 :: v_dual_fmac_f32 v92, v74, v76
	ds_load_b128 v[73:76], v100 offset:96
	s_wait_loadcnt 0x11
	v_lshrrev_b32_e32 v78, 16, v69
	v_dual_fmac_f32 v110, v81, v82 :: v_dual_and_b32 v69, 0xffff, v69
	s_wait_dscnt 0x0
	v_lshrrev_b32_e32 v77, 16, v73
	v_and_b32_e32 v73, 0xffff, v73
	;;#ASMSTART
	v_cvt_f32_f16 v73, v73;
	;;#ASMEND
	;;#ASMSTART
	v_cvt_f32_f16 v77, v77;
	;;#ASMEND
	;;#ASMSTART
	v_cvt_f32_f16 v69, v69;
	;;#ASMEND
	s_delay_alu instid0(VALU_DEP_1)
	v_fmac_f32_e32 v89, v73, v69
	v_lshrrev_b32_e32 v73, 16, v74
	v_and_b32_e32 v69, 0xffff, v74
	v_lshrrev_b32_e32 v74, 16, v70
	v_and_b32_e32 v70, 0xffff, v70
	;;#ASMSTART
	v_cvt_f32_f16 v78, v78;
	;;#ASMEND
	;;#ASMSTART
	v_cvt_f32_f16 v69, v69;
	;;#ASMEND
	;;#ASMSTART
	v_cvt_f32_f16 v73, v73;
	;;#ASMEND
	;;#ASMSTART
	v_cvt_f32_f16 v70, v70;
	;;#ASMEND
	;;#ASMSTART
	v_cvt_f32_f16 v74, v74;
	;;#ASMEND
	v_fmac_f32_e32 v111, v69, v70
	v_fmac_f32_e32 v90, v73, v74
	v_lshrrev_b32_e32 v70, 16, v75
	v_and_b32_e32 v69, 0xffff, v75
	v_lshrrev_b32_e32 v73, 16, v71
	v_and_b32_e32 v71, 0xffff, v71
	;;#ASMSTART
	v_cvt_f32_f16 v69, v69;
	;;#ASMEND
	;;#ASMSTART
	v_cvt_f32_f16 v70, v70;
	;;#ASMEND
	;; [unrolled: 3-line block ×4, first 2 shown]
	v_dual_fmac_f32 v112, v69, v71 :: v_dual_fmac_f32 v91, v70, v73
	v_lshrrev_b32_e32 v70, 16, v76
	v_and_b32_e32 v69, 0xffff, v76
	v_and_b32_e32 v71, 0xffff, v72
	;;#ASMSTART
	v_cvt_f32_f16 v69, v69;
	;;#ASMEND
	;;#ASMSTART
	v_cvt_f32_f16 v70, v70;
	;;#ASMEND
	v_lshrrev_b32_e32 v73, 16, v72
	;;#ASMSTART
	v_cvt_f32_f16 v71, v71;
	;;#ASMEND
	;;#ASMSTART
	v_cvt_f32_f16 v72, v73;
	;;#ASMEND
	v_dual_fmac_f32 v113, v69, v71 :: v_dual_fmac_f32 v92, v70, v72
	ds_load_b128 v[69:72], v100 offset:112
	s_wait_loadcnt 0x10
	v_lshrrev_b32_e32 v74, 16, v65
	v_dual_fmac_f32 v110, v77, v78 :: v_dual_and_b32 v65, 0xffff, v65
	s_wait_dscnt 0x0
	v_lshrrev_b32_e32 v73, 16, v69
	v_and_b32_e32 v69, 0xffff, v69
	;;#ASMSTART
	v_cvt_f32_f16 v69, v69;
	;;#ASMEND
	;;#ASMSTART
	v_cvt_f32_f16 v73, v73;
	;;#ASMEND
	;; [unrolled: 3-line block ×3, first 2 shown]
	s_delay_alu instid0(VALU_DEP_1)
	v_fmac_f32_e32 v89, v69, v65
	v_lshrrev_b32_e32 v69, 16, v70
	v_and_b32_e32 v65, 0xffff, v70
	v_lshrrev_b32_e32 v70, 16, v66
	v_and_b32_e32 v66, 0xffff, v66
	;;#ASMSTART
	v_cvt_f32_f16 v74, v74;
	;;#ASMEND
	;;#ASMSTART
	v_cvt_f32_f16 v65, v65;
	;;#ASMEND
	;; [unrolled: 3-line block ×5, first 2 shown]
	v_fmac_f32_e32 v111, v65, v66
	v_fmac_f32_e32 v90, v69, v70
	v_lshrrev_b32_e32 v66, 16, v71
	v_and_b32_e32 v65, 0xffff, v71
	v_lshrrev_b32_e32 v69, 16, v67
	v_and_b32_e32 v67, 0xffff, v67
	;;#ASMSTART
	v_cvt_f32_f16 v65, v65;
	;;#ASMEND
	;;#ASMSTART
	v_cvt_f32_f16 v66, v66;
	;;#ASMEND
	;; [unrolled: 3-line block ×4, first 2 shown]
	v_dual_fmac_f32 v112, v65, v67 :: v_dual_fmac_f32 v91, v66, v69
	v_lshrrev_b32_e32 v66, 16, v72
	v_and_b32_e32 v65, 0xffff, v72
	v_and_b32_e32 v67, 0xffff, v68
	;;#ASMSTART
	v_cvt_f32_f16 v65, v65;
	;;#ASMEND
	;;#ASMSTART
	v_cvt_f32_f16 v66, v66;
	;;#ASMEND
	v_lshrrev_b32_e32 v69, 16, v68
	;;#ASMSTART
	v_cvt_f32_f16 v67, v67;
	;;#ASMEND
	;;#ASMSTART
	v_cvt_f32_f16 v68, v69;
	;;#ASMEND
	v_dual_fmac_f32 v113, v65, v67 :: v_dual_fmac_f32 v92, v66, v68
	ds_load_b128 v[65:68], v100 offset:128
	s_wait_loadcnt 0xf
	v_lshrrev_b32_e32 v70, 16, v61
	v_dual_fmac_f32 v110, v73, v74 :: v_dual_and_b32 v61, 0xffff, v61
	s_wait_dscnt 0x0
	v_lshrrev_b32_e32 v69, 16, v65
	v_and_b32_e32 v65, 0xffff, v65
	;;#ASMSTART
	v_cvt_f32_f16 v65, v65;
	;;#ASMEND
	;;#ASMSTART
	v_cvt_f32_f16 v69, v69;
	;;#ASMEND
	;; [unrolled: 3-line block ×3, first 2 shown]
	s_delay_alu instid0(VALU_DEP_1)
	v_fmac_f32_e32 v89, v65, v61
	v_lshrrev_b32_e32 v65, 16, v66
	v_and_b32_e32 v61, 0xffff, v66
	v_lshrrev_b32_e32 v66, 16, v62
	v_and_b32_e32 v62, 0xffff, v62
	;;#ASMSTART
	v_cvt_f32_f16 v70, v70;
	;;#ASMEND
	;;#ASMSTART
	v_cvt_f32_f16 v61, v61;
	;;#ASMEND
	;; [unrolled: 3-line block ×5, first 2 shown]
	v_fmac_f32_e32 v111, v61, v62
	v_fmac_f32_e32 v90, v65, v66
	v_lshrrev_b32_e32 v62, 16, v67
	v_and_b32_e32 v61, 0xffff, v67
	v_lshrrev_b32_e32 v65, 16, v63
	v_and_b32_e32 v63, 0xffff, v63
	;;#ASMSTART
	v_cvt_f32_f16 v61, v61;
	;;#ASMEND
	;;#ASMSTART
	v_cvt_f32_f16 v62, v62;
	;;#ASMEND
	;; [unrolled: 3-line block ×4, first 2 shown]
	v_dual_fmac_f32 v112, v61, v63 :: v_dual_fmac_f32 v91, v62, v65
	v_lshrrev_b32_e32 v62, 16, v68
	v_and_b32_e32 v61, 0xffff, v68
	v_and_b32_e32 v63, 0xffff, v64
	;;#ASMSTART
	v_cvt_f32_f16 v61, v61;
	;;#ASMEND
	;;#ASMSTART
	v_cvt_f32_f16 v62, v62;
	;;#ASMEND
	v_lshrrev_b32_e32 v65, 16, v64
	;;#ASMSTART
	v_cvt_f32_f16 v63, v63;
	;;#ASMEND
	;;#ASMSTART
	v_cvt_f32_f16 v64, v65;
	;;#ASMEND
	v_dual_fmac_f32 v113, v61, v63 :: v_dual_fmac_f32 v92, v62, v64
	ds_load_b128 v[61:64], v100 offset:144
	s_wait_loadcnt 0xe
	v_lshrrev_b32_e32 v66, 16, v57
	v_dual_fmac_f32 v110, v69, v70 :: v_dual_and_b32 v57, 0xffff, v57
	s_wait_dscnt 0x0
	v_lshrrev_b32_e32 v65, 16, v61
	v_and_b32_e32 v61, 0xffff, v61
	;;#ASMSTART
	v_cvt_f32_f16 v61, v61;
	;;#ASMEND
	;;#ASMSTART
	v_cvt_f32_f16 v65, v65;
	;;#ASMEND
	;; [unrolled: 3-line block ×3, first 2 shown]
	s_delay_alu instid0(VALU_DEP_1)
	v_fmac_f32_e32 v89, v61, v57
	v_lshrrev_b32_e32 v61, 16, v62
	v_and_b32_e32 v57, 0xffff, v62
	v_lshrrev_b32_e32 v62, 16, v58
	v_and_b32_e32 v58, 0xffff, v58
	;;#ASMSTART
	v_cvt_f32_f16 v66, v66;
	;;#ASMEND
	;;#ASMSTART
	v_cvt_f32_f16 v57, v57;
	;;#ASMEND
	;;#ASMSTART
	v_cvt_f32_f16 v61, v61;
	;;#ASMEND
	;;#ASMSTART
	v_cvt_f32_f16 v58, v58;
	;;#ASMEND
	;;#ASMSTART
	v_cvt_f32_f16 v62, v62;
	;;#ASMEND
	v_fmac_f32_e32 v111, v57, v58
	v_fmac_f32_e32 v90, v61, v62
	v_lshrrev_b32_e32 v58, 16, v63
	v_and_b32_e32 v57, 0xffff, v63
	v_lshrrev_b32_e32 v61, 16, v59
	v_and_b32_e32 v59, 0xffff, v59
	;;#ASMSTART
	v_cvt_f32_f16 v57, v57;
	;;#ASMEND
	;;#ASMSTART
	v_cvt_f32_f16 v58, v58;
	;;#ASMEND
	;; [unrolled: 3-line block ×4, first 2 shown]
	v_dual_fmac_f32 v112, v57, v59 :: v_dual_fmac_f32 v91, v58, v61
	v_lshrrev_b32_e32 v58, 16, v64
	v_and_b32_e32 v57, 0xffff, v64
	v_and_b32_e32 v59, 0xffff, v60
	;;#ASMSTART
	v_cvt_f32_f16 v57, v57;
	;;#ASMEND
	;;#ASMSTART
	v_cvt_f32_f16 v58, v58;
	;;#ASMEND
	v_lshrrev_b32_e32 v61, 16, v60
	;;#ASMSTART
	v_cvt_f32_f16 v59, v59;
	;;#ASMEND
	;;#ASMSTART
	v_cvt_f32_f16 v60, v61;
	;;#ASMEND
	v_dual_fmac_f32 v113, v57, v59 :: v_dual_fmac_f32 v92, v58, v60
	ds_load_b128 v[57:60], v100 offset:160
	s_wait_loadcnt 0xd
	v_lshrrev_b32_e32 v62, 16, v53
	v_dual_fmac_f32 v110, v65, v66 :: v_dual_and_b32 v53, 0xffff, v53
	s_wait_dscnt 0x0
	v_lshrrev_b32_e32 v61, 16, v57
	v_and_b32_e32 v57, 0xffff, v57
	;;#ASMSTART
	v_cvt_f32_f16 v57, v57;
	;;#ASMEND
	;;#ASMSTART
	v_cvt_f32_f16 v61, v61;
	;;#ASMEND
	;; [unrolled: 3-line block ×3, first 2 shown]
	s_delay_alu instid0(VALU_DEP_1)
	v_fmac_f32_e32 v89, v57, v53
	v_lshrrev_b32_e32 v57, 16, v58
	v_and_b32_e32 v53, 0xffff, v58
	v_lshrrev_b32_e32 v58, 16, v54
	v_and_b32_e32 v54, 0xffff, v54
	;;#ASMSTART
	v_cvt_f32_f16 v62, v62;
	;;#ASMEND
	;;#ASMSTART
	v_cvt_f32_f16 v53, v53;
	;;#ASMEND
	;; [unrolled: 3-line block ×5, first 2 shown]
	v_fmac_f32_e32 v111, v53, v54
	v_fmac_f32_e32 v90, v57, v58
	v_lshrrev_b32_e32 v54, 16, v59
	v_and_b32_e32 v53, 0xffff, v59
	v_lshrrev_b32_e32 v57, 16, v55
	v_and_b32_e32 v55, 0xffff, v55
	;;#ASMSTART
	v_cvt_f32_f16 v53, v53;
	;;#ASMEND
	;;#ASMSTART
	v_cvt_f32_f16 v54, v54;
	;;#ASMEND
	;; [unrolled: 3-line block ×4, first 2 shown]
	v_dual_fmac_f32 v112, v53, v55 :: v_dual_fmac_f32 v91, v54, v57
	v_lshrrev_b32_e32 v54, 16, v60
	v_and_b32_e32 v53, 0xffff, v60
	v_and_b32_e32 v55, 0xffff, v56
	;;#ASMSTART
	v_cvt_f32_f16 v53, v53;
	;;#ASMEND
	;;#ASMSTART
	v_cvt_f32_f16 v54, v54;
	;;#ASMEND
	v_lshrrev_b32_e32 v57, 16, v56
	;;#ASMSTART
	v_cvt_f32_f16 v55, v55;
	;;#ASMEND
	;;#ASMSTART
	v_cvt_f32_f16 v56, v57;
	;;#ASMEND
	v_dual_fmac_f32 v113, v53, v55 :: v_dual_fmac_f32 v92, v54, v56
	ds_load_b128 v[53:56], v100 offset:176
	s_wait_loadcnt 0xc
	v_lshrrev_b32_e32 v58, 16, v49
	v_dual_fmac_f32 v110, v61, v62 :: v_dual_and_b32 v49, 0xffff, v49
	s_wait_dscnt 0x0
	v_lshrrev_b32_e32 v57, 16, v53
	v_and_b32_e32 v53, 0xffff, v53
	;;#ASMSTART
	v_cvt_f32_f16 v53, v53;
	;;#ASMEND
	;;#ASMSTART
	v_cvt_f32_f16 v57, v57;
	;;#ASMEND
	;;#ASMSTART
	v_cvt_f32_f16 v49, v49;
	;;#ASMEND
	s_delay_alu instid0(VALU_DEP_1)
	v_fmac_f32_e32 v89, v53, v49
	v_lshrrev_b32_e32 v53, 16, v54
	v_and_b32_e32 v49, 0xffff, v54
	v_lshrrev_b32_e32 v54, 16, v50
	v_and_b32_e32 v50, 0xffff, v50
	;;#ASMSTART
	v_cvt_f32_f16 v58, v58;
	;;#ASMEND
	;;#ASMSTART
	v_cvt_f32_f16 v49, v49;
	;;#ASMEND
	;; [unrolled: 3-line block ×5, first 2 shown]
	v_fmac_f32_e32 v111, v49, v50
	v_fmac_f32_e32 v90, v53, v54
	v_lshrrev_b32_e32 v50, 16, v55
	v_and_b32_e32 v49, 0xffff, v55
	v_lshrrev_b32_e32 v53, 16, v51
	v_and_b32_e32 v51, 0xffff, v51
	;;#ASMSTART
	v_cvt_f32_f16 v49, v49;
	;;#ASMEND
	;;#ASMSTART
	v_cvt_f32_f16 v50, v50;
	;;#ASMEND
	;; [unrolled: 3-line block ×4, first 2 shown]
	v_dual_fmac_f32 v112, v49, v51 :: v_dual_fmac_f32 v91, v50, v53
	v_lshrrev_b32_e32 v50, 16, v56
	v_and_b32_e32 v49, 0xffff, v56
	v_and_b32_e32 v51, 0xffff, v52
	;;#ASMSTART
	v_cvt_f32_f16 v49, v49;
	;;#ASMEND
	;;#ASMSTART
	v_cvt_f32_f16 v50, v50;
	;;#ASMEND
	v_lshrrev_b32_e32 v53, 16, v52
	;;#ASMSTART
	v_cvt_f32_f16 v51, v51;
	;;#ASMEND
	;;#ASMSTART
	v_cvt_f32_f16 v52, v53;
	;;#ASMEND
	v_dual_fmac_f32 v113, v49, v51 :: v_dual_fmac_f32 v92, v50, v52
	ds_load_b128 v[49:52], v100 offset:192
	s_wait_loadcnt 0xb
	v_lshrrev_b32_e32 v54, 16, v45
	v_dual_fmac_f32 v110, v57, v58 :: v_dual_and_b32 v45, 0xffff, v45
	s_wait_dscnt 0x0
	v_lshrrev_b32_e32 v53, 16, v49
	v_and_b32_e32 v49, 0xffff, v49
	;;#ASMSTART
	v_cvt_f32_f16 v49, v49;
	;;#ASMEND
	;;#ASMSTART
	v_cvt_f32_f16 v53, v53;
	;;#ASMEND
	;; [unrolled: 3-line block ×3, first 2 shown]
	s_delay_alu instid0(VALU_DEP_1)
	v_fmac_f32_e32 v89, v49, v45
	v_lshrrev_b32_e32 v49, 16, v50
	v_and_b32_e32 v45, 0xffff, v50
	v_lshrrev_b32_e32 v50, 16, v46
	v_and_b32_e32 v46, 0xffff, v46
	;;#ASMSTART
	v_cvt_f32_f16 v54, v54;
	;;#ASMEND
	;;#ASMSTART
	v_cvt_f32_f16 v45, v45;
	;;#ASMEND
	;; [unrolled: 3-line block ×5, first 2 shown]
	v_fmac_f32_e32 v111, v45, v46
	v_fmac_f32_e32 v90, v49, v50
	v_lshrrev_b32_e32 v46, 16, v51
	v_and_b32_e32 v45, 0xffff, v51
	v_lshrrev_b32_e32 v49, 16, v47
	v_and_b32_e32 v47, 0xffff, v47
	;;#ASMSTART
	v_cvt_f32_f16 v45, v45;
	;;#ASMEND
	;;#ASMSTART
	v_cvt_f32_f16 v46, v46;
	;;#ASMEND
	;;#ASMSTART
	v_cvt_f32_f16 v47, v47;
	;;#ASMEND
	;;#ASMSTART
	v_cvt_f32_f16 v49, v49;
	;;#ASMEND
	v_dual_fmac_f32 v112, v45, v47 :: v_dual_fmac_f32 v91, v46, v49
	v_lshrrev_b32_e32 v46, 16, v52
	v_and_b32_e32 v45, 0xffff, v52
	v_and_b32_e32 v47, 0xffff, v48
	;;#ASMSTART
	v_cvt_f32_f16 v45, v45;
	;;#ASMEND
	;;#ASMSTART
	v_cvt_f32_f16 v46, v46;
	;;#ASMEND
	v_lshrrev_b32_e32 v49, 16, v48
	;;#ASMSTART
	v_cvt_f32_f16 v47, v47;
	;;#ASMEND
	;;#ASMSTART
	v_cvt_f32_f16 v48, v49;
	;;#ASMEND
	v_dual_fmac_f32 v113, v45, v47 :: v_dual_fmac_f32 v92, v46, v48
	ds_load_b128 v[45:48], v100 offset:208
	s_wait_loadcnt 0xa
	v_lshrrev_b32_e32 v50, 16, v41
	v_dual_fmac_f32 v110, v53, v54 :: v_dual_and_b32 v41, 0xffff, v41
	s_wait_dscnt 0x0
	v_lshrrev_b32_e32 v49, 16, v45
	v_and_b32_e32 v45, 0xffff, v45
	;;#ASMSTART
	v_cvt_f32_f16 v45, v45;
	;;#ASMEND
	;;#ASMSTART
	v_cvt_f32_f16 v49, v49;
	;;#ASMEND
	;;#ASMSTART
	v_cvt_f32_f16 v41, v41;
	;;#ASMEND
	s_delay_alu instid0(VALU_DEP_1)
	v_fmac_f32_e32 v89, v45, v41
	v_lshrrev_b32_e32 v45, 16, v46
	v_and_b32_e32 v41, 0xffff, v46
	v_lshrrev_b32_e32 v46, 16, v42
	v_and_b32_e32 v42, 0xffff, v42
	;;#ASMSTART
	v_cvt_f32_f16 v50, v50;
	;;#ASMEND
	;;#ASMSTART
	v_cvt_f32_f16 v41, v41;
	;;#ASMEND
	;; [unrolled: 3-line block ×5, first 2 shown]
	v_fmac_f32_e32 v111, v41, v42
	v_fmac_f32_e32 v90, v45, v46
	v_lshrrev_b32_e32 v42, 16, v47
	v_and_b32_e32 v41, 0xffff, v47
	v_lshrrev_b32_e32 v45, 16, v43
	v_and_b32_e32 v43, 0xffff, v43
	;;#ASMSTART
	v_cvt_f32_f16 v41, v41;
	;;#ASMEND
	;;#ASMSTART
	v_cvt_f32_f16 v42, v42;
	;;#ASMEND
	;; [unrolled: 3-line block ×4, first 2 shown]
	v_dual_fmac_f32 v112, v41, v43 :: v_dual_fmac_f32 v91, v42, v45
	v_lshrrev_b32_e32 v42, 16, v48
	v_and_b32_e32 v41, 0xffff, v48
	v_and_b32_e32 v43, 0xffff, v44
	;;#ASMSTART
	v_cvt_f32_f16 v41, v41;
	;;#ASMEND
	;;#ASMSTART
	v_cvt_f32_f16 v42, v42;
	;;#ASMEND
	v_lshrrev_b32_e32 v45, 16, v44
	;;#ASMSTART
	v_cvt_f32_f16 v43, v43;
	;;#ASMEND
	;;#ASMSTART
	v_cvt_f32_f16 v44, v45;
	;;#ASMEND
	v_dual_fmac_f32 v113, v41, v43 :: v_dual_fmac_f32 v92, v42, v44
	ds_load_b128 v[41:44], v100 offset:224
	s_wait_loadcnt 0x9
	v_lshrrev_b32_e32 v46, 16, v37
	v_dual_fmac_f32 v110, v49, v50 :: v_dual_and_b32 v37, 0xffff, v37
	s_wait_dscnt 0x0
	v_lshrrev_b32_e32 v45, 16, v41
	v_and_b32_e32 v41, 0xffff, v41
	;;#ASMSTART
	v_cvt_f32_f16 v41, v41;
	;;#ASMEND
	;;#ASMSTART
	v_cvt_f32_f16 v45, v45;
	;;#ASMEND
	;; [unrolled: 3-line block ×3, first 2 shown]
	s_delay_alu instid0(VALU_DEP_1)
	v_fmac_f32_e32 v89, v41, v37
	v_lshrrev_b32_e32 v41, 16, v42
	v_and_b32_e32 v37, 0xffff, v42
	v_lshrrev_b32_e32 v42, 16, v38
	v_and_b32_e32 v38, 0xffff, v38
	;;#ASMSTART
	v_cvt_f32_f16 v46, v46;
	;;#ASMEND
	;;#ASMSTART
	v_cvt_f32_f16 v37, v37;
	;;#ASMEND
	;; [unrolled: 3-line block ×5, first 2 shown]
	v_fmac_f32_e32 v111, v37, v38
	v_fmac_f32_e32 v90, v41, v42
	v_lshrrev_b32_e32 v38, 16, v43
	v_and_b32_e32 v37, 0xffff, v43
	v_lshrrev_b32_e32 v41, 16, v39
	v_and_b32_e32 v39, 0xffff, v39
	;;#ASMSTART
	v_cvt_f32_f16 v37, v37;
	;;#ASMEND
	;;#ASMSTART
	v_cvt_f32_f16 v38, v38;
	;;#ASMEND
	;; [unrolled: 3-line block ×4, first 2 shown]
	v_dual_fmac_f32 v112, v37, v39 :: v_dual_fmac_f32 v91, v38, v41
	v_lshrrev_b32_e32 v38, 16, v44
	v_and_b32_e32 v37, 0xffff, v44
	v_and_b32_e32 v39, 0xffff, v40
	;;#ASMSTART
	v_cvt_f32_f16 v37, v37;
	;;#ASMEND
	;;#ASMSTART
	v_cvt_f32_f16 v38, v38;
	;;#ASMEND
	v_lshrrev_b32_e32 v41, 16, v40
	;;#ASMSTART
	v_cvt_f32_f16 v39, v39;
	;;#ASMEND
	;;#ASMSTART
	v_cvt_f32_f16 v40, v41;
	;;#ASMEND
	v_dual_fmac_f32 v113, v37, v39 :: v_dual_fmac_f32 v92, v38, v40
	ds_load_b128 v[37:40], v100 offset:240
	s_wait_loadcnt 0x8
	v_lshrrev_b32_e32 v42, 16, v33
	v_dual_fmac_f32 v110, v45, v46 :: v_dual_and_b32 v33, 0xffff, v33
	s_wait_dscnt 0x0
	v_lshrrev_b32_e32 v41, 16, v37
	v_and_b32_e32 v37, 0xffff, v37
	;;#ASMSTART
	v_cvt_f32_f16 v37, v37;
	;;#ASMEND
	;;#ASMSTART
	v_cvt_f32_f16 v41, v41;
	;;#ASMEND
	;; [unrolled: 3-line block ×3, first 2 shown]
	s_delay_alu instid0(VALU_DEP_1)
	v_fmac_f32_e32 v89, v37, v33
	v_lshrrev_b32_e32 v37, 16, v38
	v_and_b32_e32 v33, 0xffff, v38
	v_lshrrev_b32_e32 v38, 16, v34
	v_and_b32_e32 v34, 0xffff, v34
	;;#ASMSTART
	v_cvt_f32_f16 v42, v42;
	;;#ASMEND
	;;#ASMSTART
	v_cvt_f32_f16 v33, v33;
	;;#ASMEND
	;; [unrolled: 3-line block ×5, first 2 shown]
	v_fmac_f32_e32 v111, v33, v34
	v_fmac_f32_e32 v90, v37, v38
	v_lshrrev_b32_e32 v34, 16, v39
	v_and_b32_e32 v33, 0xffff, v39
	v_lshrrev_b32_e32 v37, 16, v35
	v_and_b32_e32 v35, 0xffff, v35
	;;#ASMSTART
	v_cvt_f32_f16 v33, v33;
	;;#ASMEND
	;;#ASMSTART
	v_cvt_f32_f16 v34, v34;
	;;#ASMEND
	;; [unrolled: 3-line block ×4, first 2 shown]
	v_dual_fmac_f32 v112, v33, v35 :: v_dual_fmac_f32 v91, v34, v37
	v_lshrrev_b32_e32 v34, 16, v40
	v_and_b32_e32 v33, 0xffff, v40
	v_and_b32_e32 v35, 0xffff, v36
	;;#ASMSTART
	v_cvt_f32_f16 v33, v33;
	;;#ASMEND
	;;#ASMSTART
	v_cvt_f32_f16 v34, v34;
	;;#ASMEND
	v_lshrrev_b32_e32 v37, 16, v36
	;;#ASMSTART
	v_cvt_f32_f16 v35, v35;
	;;#ASMEND
	;;#ASMSTART
	v_cvt_f32_f16 v36, v37;
	;;#ASMEND
	v_dual_fmac_f32 v113, v33, v35 :: v_dual_fmac_f32 v92, v34, v36
	ds_load_b128 v[33:36], v100 offset:256
	s_wait_loadcnt 0x7
	v_lshrrev_b32_e32 v38, 16, v29
	v_dual_fmac_f32 v110, v41, v42 :: v_dual_and_b32 v29, 0xffff, v29
	s_wait_dscnt 0x0
	v_lshrrev_b32_e32 v37, 16, v33
	v_and_b32_e32 v33, 0xffff, v33
	;;#ASMSTART
	v_cvt_f32_f16 v33, v33;
	;;#ASMEND
	;;#ASMSTART
	v_cvt_f32_f16 v37, v37;
	;;#ASMEND
	;; [unrolled: 3-line block ×3, first 2 shown]
	s_delay_alu instid0(VALU_DEP_1)
	v_fmac_f32_e32 v89, v33, v29
	v_lshrrev_b32_e32 v33, 16, v34
	v_and_b32_e32 v29, 0xffff, v34
	v_lshrrev_b32_e32 v34, 16, v30
	v_and_b32_e32 v30, 0xffff, v30
	;;#ASMSTART
	v_cvt_f32_f16 v38, v38;
	;;#ASMEND
	;;#ASMSTART
	v_cvt_f32_f16 v29, v29;
	;;#ASMEND
	;; [unrolled: 3-line block ×5, first 2 shown]
	v_fmac_f32_e32 v111, v29, v30
	v_fmac_f32_e32 v90, v33, v34
	v_lshrrev_b32_e32 v30, 16, v35
	v_and_b32_e32 v29, 0xffff, v35
	v_lshrrev_b32_e32 v33, 16, v31
	v_and_b32_e32 v31, 0xffff, v31
	;;#ASMSTART
	v_cvt_f32_f16 v29, v29;
	;;#ASMEND
	;;#ASMSTART
	v_cvt_f32_f16 v30, v30;
	;;#ASMEND
	;; [unrolled: 3-line block ×4, first 2 shown]
	v_dual_fmac_f32 v112, v29, v31 :: v_dual_fmac_f32 v91, v30, v33
	v_lshrrev_b32_e32 v30, 16, v36
	v_and_b32_e32 v29, 0xffff, v36
	v_and_b32_e32 v31, 0xffff, v32
	;;#ASMSTART
	v_cvt_f32_f16 v29, v29;
	;;#ASMEND
	;;#ASMSTART
	v_cvt_f32_f16 v30, v30;
	;;#ASMEND
	v_lshrrev_b32_e32 v33, 16, v32
	;;#ASMSTART
	v_cvt_f32_f16 v31, v31;
	;;#ASMEND
	;;#ASMSTART
	v_cvt_f32_f16 v32, v33;
	;;#ASMEND
	v_dual_fmac_f32 v113, v29, v31 :: v_dual_fmac_f32 v92, v30, v32
	ds_load_b128 v[29:32], v100 offset:272
	s_wait_loadcnt 0x6
	v_lshrrev_b32_e32 v34, 16, v25
	v_dual_fmac_f32 v110, v37, v38 :: v_dual_and_b32 v25, 0xffff, v25
	s_wait_dscnt 0x0
	v_lshrrev_b32_e32 v33, 16, v29
	v_and_b32_e32 v29, 0xffff, v29
	;;#ASMSTART
	v_cvt_f32_f16 v29, v29;
	;;#ASMEND
	;;#ASMSTART
	v_cvt_f32_f16 v33, v33;
	;;#ASMEND
	;;#ASMSTART
	v_cvt_f32_f16 v25, v25;
	;;#ASMEND
	s_delay_alu instid0(VALU_DEP_1)
	v_fmac_f32_e32 v89, v29, v25
	v_lshrrev_b32_e32 v29, 16, v30
	v_and_b32_e32 v25, 0xffff, v30
	v_lshrrev_b32_e32 v30, 16, v26
	v_and_b32_e32 v26, 0xffff, v26
	;;#ASMSTART
	v_cvt_f32_f16 v34, v34;
	;;#ASMEND
	;;#ASMSTART
	v_cvt_f32_f16 v25, v25;
	;;#ASMEND
	;; [unrolled: 3-line block ×5, first 2 shown]
	v_fmac_f32_e32 v111, v25, v26
	v_fmac_f32_e32 v90, v29, v30
	v_lshrrev_b32_e32 v26, 16, v31
	v_and_b32_e32 v25, 0xffff, v31
	v_lshrrev_b32_e32 v29, 16, v27
	v_and_b32_e32 v27, 0xffff, v27
	;;#ASMSTART
	v_cvt_f32_f16 v25, v25;
	;;#ASMEND
	;;#ASMSTART
	v_cvt_f32_f16 v26, v26;
	;;#ASMEND
	;; [unrolled: 3-line block ×4, first 2 shown]
	v_dual_fmac_f32 v112, v25, v27 :: v_dual_fmac_f32 v91, v26, v29
	v_lshrrev_b32_e32 v26, 16, v32
	v_and_b32_e32 v25, 0xffff, v32
	v_and_b32_e32 v27, 0xffff, v28
	;;#ASMSTART
	v_cvt_f32_f16 v25, v25;
	;;#ASMEND
	;;#ASMSTART
	v_cvt_f32_f16 v26, v26;
	;;#ASMEND
	v_lshrrev_b32_e32 v29, 16, v28
	;;#ASMSTART
	v_cvt_f32_f16 v27, v27;
	;;#ASMEND
	;;#ASMSTART
	v_cvt_f32_f16 v28, v29;
	;;#ASMEND
	v_dual_fmac_f32 v113, v25, v27 :: v_dual_fmac_f32 v92, v26, v28
	ds_load_b128 v[25:28], v100 offset:288
	s_wait_loadcnt 0x5
	v_lshrrev_b32_e32 v30, 16, v21
	v_dual_fmac_f32 v110, v33, v34 :: v_dual_and_b32 v21, 0xffff, v21
	s_wait_dscnt 0x0
	v_lshrrev_b32_e32 v29, 16, v25
	v_and_b32_e32 v25, 0xffff, v25
	;;#ASMSTART
	v_cvt_f32_f16 v25, v25;
	;;#ASMEND
	;;#ASMSTART
	v_cvt_f32_f16 v29, v29;
	;;#ASMEND
	;; [unrolled: 3-line block ×3, first 2 shown]
	s_delay_alu instid0(VALU_DEP_1)
	v_fmac_f32_e32 v89, v25, v21
	v_lshrrev_b32_e32 v25, 16, v26
	v_and_b32_e32 v21, 0xffff, v26
	v_lshrrev_b32_e32 v26, 16, v22
	v_and_b32_e32 v22, 0xffff, v22
	;;#ASMSTART
	v_cvt_f32_f16 v30, v30;
	;;#ASMEND
	;;#ASMSTART
	v_cvt_f32_f16 v21, v21;
	;;#ASMEND
	;; [unrolled: 3-line block ×5, first 2 shown]
	v_fmac_f32_e32 v111, v21, v22
	v_fmac_f32_e32 v90, v25, v26
	v_lshrrev_b32_e32 v22, 16, v27
	v_and_b32_e32 v21, 0xffff, v27
	v_lshrrev_b32_e32 v25, 16, v23
	v_and_b32_e32 v23, 0xffff, v23
	;;#ASMSTART
	v_cvt_f32_f16 v21, v21;
	;;#ASMEND
	;;#ASMSTART
	v_cvt_f32_f16 v22, v22;
	;;#ASMEND
	;; [unrolled: 3-line block ×4, first 2 shown]
	v_dual_fmac_f32 v112, v21, v23 :: v_dual_fmac_f32 v91, v22, v25
	v_lshrrev_b32_e32 v22, 16, v28
	v_and_b32_e32 v21, 0xffff, v28
	v_and_b32_e32 v23, 0xffff, v24
	;;#ASMSTART
	v_cvt_f32_f16 v21, v21;
	;;#ASMEND
	;;#ASMSTART
	v_cvt_f32_f16 v22, v22;
	;;#ASMEND
	v_lshrrev_b32_e32 v25, 16, v24
	;;#ASMSTART
	v_cvt_f32_f16 v23, v23;
	;;#ASMEND
	;;#ASMSTART
	v_cvt_f32_f16 v24, v25;
	;;#ASMEND
	v_dual_fmac_f32 v113, v21, v23 :: v_dual_fmac_f32 v92, v22, v24
	ds_load_b128 v[21:24], v100 offset:304
	s_wait_loadcnt 0x4
	v_lshrrev_b32_e32 v26, 16, v17
	v_dual_fmac_f32 v110, v29, v30 :: v_dual_and_b32 v17, 0xffff, v17
	s_wait_dscnt 0x0
	v_lshrrev_b32_e32 v25, 16, v21
	v_and_b32_e32 v21, 0xffff, v21
	;;#ASMSTART
	v_cvt_f32_f16 v21, v21;
	;;#ASMEND
	;;#ASMSTART
	v_cvt_f32_f16 v25, v25;
	;;#ASMEND
	;; [unrolled: 3-line block ×3, first 2 shown]
	s_delay_alu instid0(VALU_DEP_1)
	v_fmac_f32_e32 v89, v21, v17
	v_lshrrev_b32_e32 v21, 16, v22
	v_and_b32_e32 v17, 0xffff, v22
	v_lshrrev_b32_e32 v22, 16, v18
	v_and_b32_e32 v18, 0xffff, v18
	;;#ASMSTART
	v_cvt_f32_f16 v26, v26;
	;;#ASMEND
	;;#ASMSTART
	v_cvt_f32_f16 v17, v17;
	;;#ASMEND
	;; [unrolled: 3-line block ×5, first 2 shown]
	v_fmac_f32_e32 v111, v17, v18
	v_fmac_f32_e32 v90, v21, v22
	v_lshrrev_b32_e32 v18, 16, v23
	v_and_b32_e32 v17, 0xffff, v23
	v_lshrrev_b32_e32 v21, 16, v19
	v_and_b32_e32 v19, 0xffff, v19
	;;#ASMSTART
	v_cvt_f32_f16 v17, v17;
	;;#ASMEND
	;;#ASMSTART
	v_cvt_f32_f16 v18, v18;
	;;#ASMEND
	;; [unrolled: 3-line block ×4, first 2 shown]
	v_dual_fmac_f32 v112, v17, v19 :: v_dual_fmac_f32 v91, v18, v21
	v_lshrrev_b32_e32 v18, 16, v24
	v_and_b32_e32 v17, 0xffff, v24
	v_and_b32_e32 v19, 0xffff, v20
	;;#ASMSTART
	v_cvt_f32_f16 v17, v17;
	;;#ASMEND
	;;#ASMSTART
	v_cvt_f32_f16 v18, v18;
	;;#ASMEND
	v_lshrrev_b32_e32 v21, 16, v20
	;;#ASMSTART
	v_cvt_f32_f16 v19, v19;
	;;#ASMEND
	;;#ASMSTART
	v_cvt_f32_f16 v20, v21;
	;;#ASMEND
	v_dual_fmac_f32 v113, v17, v19 :: v_dual_fmac_f32 v92, v18, v20
	ds_load_b128 v[17:20], v100 offset:320
	s_wait_loadcnt 0x3
	v_lshrrev_b32_e32 v22, 16, v13
	v_dual_fmac_f32 v110, v25, v26 :: v_dual_and_b32 v13, 0xffff, v13
	s_wait_dscnt 0x0
	v_lshrrev_b32_e32 v21, 16, v17
	v_and_b32_e32 v17, 0xffff, v17
	;;#ASMSTART
	v_cvt_f32_f16 v17, v17;
	;;#ASMEND
	;;#ASMSTART
	v_cvt_f32_f16 v21, v21;
	;;#ASMEND
	;; [unrolled: 3-line block ×3, first 2 shown]
	s_delay_alu instid0(VALU_DEP_1)
	v_fmac_f32_e32 v89, v17, v13
	v_lshrrev_b32_e32 v17, 16, v18
	v_and_b32_e32 v13, 0xffff, v18
	v_lshrrev_b32_e32 v18, 16, v14
	v_and_b32_e32 v14, 0xffff, v14
	;;#ASMSTART
	v_cvt_f32_f16 v22, v22;
	;;#ASMEND
	;;#ASMSTART
	v_cvt_f32_f16 v13, v13;
	;;#ASMEND
	;; [unrolled: 3-line block ×5, first 2 shown]
	v_fmac_f32_e32 v111, v13, v14
	v_fmac_f32_e32 v90, v17, v18
	v_lshrrev_b32_e32 v14, 16, v19
	v_and_b32_e32 v13, 0xffff, v19
	v_lshrrev_b32_e32 v17, 16, v15
	v_and_b32_e32 v15, 0xffff, v15
	;;#ASMSTART
	v_cvt_f32_f16 v13, v13;
	;;#ASMEND
	;;#ASMSTART
	v_cvt_f32_f16 v14, v14;
	;;#ASMEND
	;; [unrolled: 3-line block ×4, first 2 shown]
	v_dual_fmac_f32 v112, v13, v15 :: v_dual_fmac_f32 v91, v14, v17
	v_lshrrev_b32_e32 v14, 16, v20
	v_and_b32_e32 v13, 0xffff, v20
	v_and_b32_e32 v15, 0xffff, v16
	;;#ASMSTART
	v_cvt_f32_f16 v13, v13;
	;;#ASMEND
	;;#ASMSTART
	v_cvt_f32_f16 v14, v14;
	;;#ASMEND
	v_lshrrev_b32_e32 v17, 16, v16
	;;#ASMSTART
	v_cvt_f32_f16 v15, v15;
	;;#ASMEND
	;;#ASMSTART
	v_cvt_f32_f16 v16, v17;
	;;#ASMEND
	v_dual_fmac_f32 v113, v13, v15 :: v_dual_fmac_f32 v92, v14, v16
	ds_load_b128 v[13:16], v100 offset:336
	s_wait_loadcnt 0x2
	v_lshrrev_b32_e32 v18, 16, v9
	v_dual_fmac_f32 v110, v21, v22 :: v_dual_and_b32 v9, 0xffff, v9
	s_wait_dscnt 0x0
	v_lshrrev_b32_e32 v17, 16, v13
	v_and_b32_e32 v13, 0xffff, v13
	;;#ASMSTART
	v_cvt_f32_f16 v13, v13;
	;;#ASMEND
	;;#ASMSTART
	v_cvt_f32_f16 v17, v17;
	;;#ASMEND
	;; [unrolled: 3-line block ×3, first 2 shown]
	s_delay_alu instid0(VALU_DEP_1)
	v_fmac_f32_e32 v89, v13, v9
	v_lshrrev_b32_e32 v13, 16, v14
	v_and_b32_e32 v9, 0xffff, v14
	v_lshrrev_b32_e32 v14, 16, v10
	v_and_b32_e32 v10, 0xffff, v10
	;;#ASMSTART
	v_cvt_f32_f16 v18, v18;
	;;#ASMEND
	;;#ASMSTART
	v_cvt_f32_f16 v9, v9;
	;;#ASMEND
	;;#ASMSTART
	v_cvt_f32_f16 v13, v13;
	;;#ASMEND
	;;#ASMSTART
	v_cvt_f32_f16 v10, v10;
	;;#ASMEND
	;;#ASMSTART
	v_cvt_f32_f16 v14, v14;
	;;#ASMEND
	v_fmac_f32_e32 v111, v9, v10
	v_fmac_f32_e32 v90, v13, v14
	v_lshrrev_b32_e32 v10, 16, v15
	v_and_b32_e32 v9, 0xffff, v15
	v_lshrrev_b32_e32 v13, 16, v11
	v_and_b32_e32 v11, 0xffff, v11
	;;#ASMSTART
	v_cvt_f32_f16 v9, v9;
	;;#ASMEND
	;;#ASMSTART
	v_cvt_f32_f16 v10, v10;
	;;#ASMEND
	;; [unrolled: 3-line block ×4, first 2 shown]
	v_dual_fmac_f32 v112, v9, v11 :: v_dual_fmac_f32 v91, v10, v13
	v_lshrrev_b32_e32 v10, 16, v16
	v_and_b32_e32 v9, 0xffff, v16
	v_and_b32_e32 v11, 0xffff, v12
	;;#ASMSTART
	v_cvt_f32_f16 v9, v9;
	;;#ASMEND
	;;#ASMSTART
	v_cvt_f32_f16 v10, v10;
	;;#ASMEND
	v_lshrrev_b32_e32 v13, 16, v12
	;;#ASMSTART
	v_cvt_f32_f16 v11, v11;
	;;#ASMEND
	;;#ASMSTART
	v_cvt_f32_f16 v12, v13;
	;;#ASMEND
	v_dual_fmac_f32 v113, v9, v11 :: v_dual_fmac_f32 v92, v10, v12
	ds_load_b128 v[9:12], v100 offset:352
	s_wait_loadcnt 0x1
	v_lshrrev_b32_e32 v14, 16, v5
	v_dual_fmac_f32 v110, v17, v18 :: v_dual_and_b32 v5, 0xffff, v5
	s_wait_dscnt 0x0
	v_lshrrev_b32_e32 v13, 16, v9
	v_and_b32_e32 v9, 0xffff, v9
	;;#ASMSTART
	v_cvt_f32_f16 v9, v9;
	;;#ASMEND
	;;#ASMSTART
	v_cvt_f32_f16 v13, v13;
	;;#ASMEND
	;; [unrolled: 3-line block ×3, first 2 shown]
	s_delay_alu instid0(VALU_DEP_1)
	v_fmac_f32_e32 v89, v9, v5
	v_lshrrev_b32_e32 v9, 16, v10
	v_and_b32_e32 v5, 0xffff, v10
	v_lshrrev_b32_e32 v10, 16, v6
	v_and_b32_e32 v6, 0xffff, v6
	;;#ASMSTART
	v_cvt_f32_f16 v14, v14;
	;;#ASMEND
	;;#ASMSTART
	v_cvt_f32_f16 v5, v5;
	;;#ASMEND
	;; [unrolled: 3-line block ×5, first 2 shown]
	v_fmac_f32_e32 v111, v5, v6
	v_fmac_f32_e32 v90, v9, v10
	v_lshrrev_b32_e32 v6, 16, v11
	v_and_b32_e32 v5, 0xffff, v11
	v_lshrrev_b32_e32 v9, 16, v7
	v_and_b32_e32 v7, 0xffff, v7
	;;#ASMSTART
	v_cvt_f32_f16 v5, v5;
	;;#ASMEND
	;;#ASMSTART
	v_cvt_f32_f16 v6, v6;
	;;#ASMEND
	;;#ASMSTART
	v_cvt_f32_f16 v7, v7;
	;;#ASMEND
	;;#ASMSTART
	v_cvt_f32_f16 v9, v9;
	;;#ASMEND
	v_dual_fmac_f32 v112, v5, v7 :: v_dual_fmac_f32 v91, v6, v9
	v_lshrrev_b32_e32 v6, 16, v12
	v_and_b32_e32 v5, 0xffff, v12
	v_and_b32_e32 v7, 0xffff, v8
	;;#ASMSTART
	v_cvt_f32_f16 v5, v5;
	;;#ASMEND
	;;#ASMSTART
	v_cvt_f32_f16 v6, v6;
	;;#ASMEND
	v_lshrrev_b32_e32 v9, 16, v8
	;;#ASMSTART
	v_cvt_f32_f16 v7, v7;
	;;#ASMEND
	;;#ASMSTART
	v_cvt_f32_f16 v8, v9;
	;;#ASMEND
	v_dual_fmac_f32 v113, v5, v7 :: v_dual_fmac_f32 v92, v6, v8
	ds_load_b128 v[5:8], v100 offset:368
	v_fmac_f32_e32 v110, v13, v14
	s_wait_loadcnt 0x0
	v_lshrrev_b32_e32 v10, 16, v1
	v_and_b32_e32 v1, 0xffff, v1
	s_wait_dscnt 0x0
	v_lshrrev_b32_e32 v9, 16, v5
	v_and_b32_e32 v5, 0xffff, v5
	;;#ASMSTART
	v_cvt_f32_f16 v5, v5;
	;;#ASMEND
	;;#ASMSTART
	v_cvt_f32_f16 v9, v9;
	;;#ASMEND
	;; [unrolled: 3-line block ×3, first 2 shown]
	s_delay_alu instid0(VALU_DEP_1)
	v_fmac_f32_e32 v89, v5, v1
	v_and_b32_e32 v1, 0xffff, v6
	;;#ASMSTART
	v_cvt_f32_f16 v10, v10;
	;;#ASMEND
	v_fmac_f32_e32 v110, v9, v10
	v_lshrrev_b32_e32 v5, 16, v6
	;;#ASMSTART
	v_cvt_f32_f16 v1, v1;
	;;#ASMEND
	v_lshrrev_b32_e32 v6, 16, v2
	v_and_b32_e32 v2, 0xffff, v2
	;;#ASMSTART
	v_cvt_f32_f16 v5, v5;
	;;#ASMEND
	;;#ASMSTART
	v_cvt_f32_f16 v2, v2;
	;;#ASMEND
	s_delay_alu instid0(VALU_DEP_1)
	v_fmac_f32_e32 v111, v1, v2
	v_and_b32_e32 v1, 0xffff, v7
	;;#ASMSTART
	v_cvt_f32_f16 v6, v6;
	;;#ASMEND
	v_fmac_f32_e32 v90, v5, v6
	v_lshrrev_b32_e32 v2, 16, v7
	;;#ASMSTART
	v_cvt_f32_f16 v1, v1;
	;;#ASMEND
	v_lshrrev_b32_e32 v5, 16, v3
	v_and_b32_e32 v3, 0xffff, v3
	;;#ASMSTART
	v_cvt_f32_f16 v2, v2;
	;;#ASMEND
	;;#ASMSTART
	v_cvt_f32_f16 v3, v3;
	;;#ASMEND
	s_delay_alu instid0(VALU_DEP_1)
	v_dual_fmac_f32 v112, v1, v3 :: v_dual_and_b32 v1, 0xffff, v8
	;;#ASMSTART
	v_cvt_f32_f16 v5, v5;
	;;#ASMEND
	v_fmac_f32_e32 v91, v2, v5
	v_lshrrev_b32_e32 v2, 16, v8
	;;#ASMSTART
	v_cvt_f32_f16 v1, v1;
	;;#ASMEND
	v_and_b32_e32 v3, 0xffff, v4
	;;#ASMSTART
	v_cvt_f32_f16 v2, v2;
	;;#ASMEND
	;;#ASMSTART
	v_cvt_f32_f16 v3, v3;
	;;#ASMEND
	s_delay_alu instid0(VALU_DEP_1) | instskip(SKIP_3) | instid1(VALU_DEP_2)
	v_fmac_f32_e32 v113, v1, v3
	v_add_f32_e32 v1, v89, v110
	v_lshrrev_b32_e32 v5, 16, v4
	;;#ASMSTART
	v_cvt_f32_f16 v4, v5;
	;;#ASMEND
	v_dual_fmac_f32 v92, v2, v4 :: v_dual_add_f32 v1, v1, v111
	s_delay_alu instid0(VALU_DEP_1) | instskip(NEXT) | instid1(VALU_DEP_1)
	v_add_f32_e32 v1, v90, v1
	v_add_f32_e32 v1, v1, v112
	s_delay_alu instid0(VALU_DEP_1) | instskip(NEXT) | instid1(VALU_DEP_1)
	v_add_f32_e32 v1, v91, v1
	v_add_f32_e32 v1, v1, v113
	s_delay_alu instid0(VALU_DEP_1) | instskip(NEXT) | instid1(VALU_DEP_1)
	v_add_f32_e32 v1, v92, v1
	v_fmac_f32_e32 v109, s9, v1
	s_wait_alu 0xf1ff
	s_delay_alu instid0(VALU_DEP_1) | instskip(SKIP_2) | instid1(VALU_DEP_1)
	v_cndmask_b32_e64 v1, 0, v109, s3
	ds_store_b32 v105, v1
	v_max_num_f32_e32 v1, v101, v101
	v_max_num_f32_e32 v1, v1, v109
	s_delay_alu instid0(VALU_DEP_1)
	v_cndmask_b32_e64 v101, v101, v1, s3
	s_branch .LBB115_11
.LBB115_16:
	s_or_b32 exec_lo, exec_lo, s25
.LBB115_17:
	s_delay_alu instid0(SALU_CYCLE_1)
	s_or_b32 exec_lo, exec_lo, s8
	v_mbcnt_lo_u32_b32 v1, -1, 0
	s_clause 0x2
	s_load_b128 s[8:11], s[0:1], 0x0
	s_load_b64 s[24:25], s[0:1], 0x10
	s_load_b64 s[28:29], s[0:1], 0x28
	v_max_num_f32_e32 v5, v101, v101
	v_xor_b32_e32 v2, 16, v1
	v_xor_b32_e32 v4, 8, v1
	s_delay_alu instid0(VALU_DEP_2) | instskip(SKIP_2) | instid1(VALU_DEP_3)
	v_cmp_gt_i32_e32 vcc_lo, 32, v2
	s_wait_alu 0xfffd
	v_cndmask_b32_e32 v2, v1, v2, vcc_lo
	v_cmp_gt_i32_e32 vcc_lo, 32, v4
	s_delay_alu instid0(VALU_DEP_2)
	v_lshlrev_b32_e32 v2, 2, v2
	s_wait_alu 0xfffd
	v_cndmask_b32_e32 v4, v1, v4, vcc_lo
	ds_bpermute_b32 v3, v2, v101
	s_wait_dscnt 0x0
	v_dual_max_num_f32 v6, v3, v3 :: v_dual_lshlrev_b32 v3, 2, v4
	s_delay_alu instid0(VALU_DEP_1)
	v_max_num_f32_e32 v4, v5, v6
	v_xor_b32_e32 v6, 4, v1
	ds_bpermute_b32 v5, v3, v4
	v_cmp_gt_i32_e32 vcc_lo, 32, v6
	s_wait_alu 0xfffd
	v_cndmask_b32_e32 v6, v1, v6, vcc_lo
	s_wait_dscnt 0x0
	v_max_num_f32_e32 v7, v5, v5
	s_delay_alu instid0(VALU_DEP_1)
	v_dual_max_num_f32 v4, v4, v7 :: v_dual_lshlrev_b32 v5, 2, v6
	v_xor_b32_e32 v7, 2, v1
	ds_bpermute_b32 v6, v5, v4
	v_cmp_gt_i32_e32 vcc_lo, 32, v7
	s_wait_dscnt 0x0
	s_wait_alu 0xfffd
	v_dual_cndmask_b32 v7, v1, v7 :: v_dual_max_num_f32 v6, v6, v6
	s_delay_alu instid0(VALU_DEP_1) | instskip(NEXT) | instid1(VALU_DEP_2)
	v_max_num_f32_e32 v4, v4, v6
	v_lshlrev_b32_e32 v8, 2, v7
	v_xor_b32_e32 v7, 1, v1
	s_delay_alu instid0(VALU_DEP_1)
	v_cmp_gt_i32_e32 vcc_lo, 32, v7
	s_wait_alu 0xfffd
	v_cndmask_b32_e32 v7, v1, v7, vcc_lo
	ds_bpermute_b32 v6, v8, v4
	v_cmp_eq_u32_e32 vcc_lo, 0, v97
	s_wait_dscnt 0x0
	v_dual_max_num_f32 v6, v6, v6 :: v_dual_lshlrev_b32 v7, 2, v7
	s_delay_alu instid0(VALU_DEP_1)
	v_dual_max_num_f32 v1, v4, v6 :: v_dual_lshlrev_b32 v6, 2, v96
	ds_bpermute_b32 v4, v7, v1
	s_and_saveexec_b32 s0, vcc_lo
	s_cbranch_execz .LBB115_19
; %bb.18:
	s_wait_dscnt 0x0
	v_dual_max_num_f32 v4, v4, v4 :: v_dual_max_num_f32 v1, v1, v1
	s_delay_alu instid0(VALU_DEP_1)
	v_max_num_f32_e32 v1, v1, v4
	ds_store_b32 v6, v1 offset:384
.LBB115_19:
	s_or_b32 exec_lo, exec_lo, s0
	v_cmp_gt_u32_e64 s0, 4, v97
	v_mov_b32_e32 v1, 0xff7fffff
	s_wait_loadcnt_dscnt 0x0
	s_barrier_signal -1
	s_barrier_wait -1
	global_inv scope:SCOPE_SE
	s_and_saveexec_b32 s1, s0
; %bb.20:
	ds_load_b32 v1, v99 offset:384
; %bb.21:
	s_or_b32 exec_lo, exec_lo, s1
	s_wait_dscnt 0x0
	ds_bpermute_b32 v4, v8, v1
	v_max_num_f32_e32 v1, v1, v1
	s_sub_co_i32 s1, s33, s37
	v_mov_b32_e32 v9, 0
	s_lshl_b32 s1, s1, 5
	s_delay_alu instid0(SALU_CYCLE_1) | instskip(NEXT) | instid1(SALU_CYCLE_1)
	s_add_co_i32 s1, s1, s34
	s_min_i32 s1, s1, s31
	s_delay_alu instid0(SALU_CYCLE_1) | instskip(SKIP_4) | instid1(VALU_DEP_1)
	s_sub_co_i32 s4, s1, s34
	s_wait_alu 0xfffe
	v_cmp_gt_i32_e64 s1, s4, v0
	s_wait_dscnt 0x0
	v_max_num_f32_e32 v4, v4, v4
	v_max_num_f32_e32 v1, v1, v4
	ds_bpermute_b32 v4, v7, v1
	s_wait_dscnt 0x0
	v_max_num_f32_e32 v4, v4, v4
	s_delay_alu instid0(VALU_DEP_1)
	v_max_num_f32_e32 v1, v1, v4
	v_lshl_add_u32 v4, v0, 2, 0x1a0
	ds_bpermute_b32 v1, v9, v1
	s_and_saveexec_b32 s15, s1
	s_cbranch_execz .LBB115_25
; %bb.22:
	v_lshl_add_u32 v10, v0, 2, 0x1a0
	v_mov_b32_e32 v9, 0
	v_mov_b32_e32 v11, v0
	s_mov_b32 s37, 0
.LBB115_23:                             ; =>This Inner Loop Header: Depth=1
	ds_load_b32 v12, v10
	v_add_nc_u32_e32 v11, 0x80, v11
	s_delay_alu instid0(VALU_DEP_1) | instskip(SKIP_4) | instid1(VALU_DEP_1)
	v_cmp_le_i32_e64 s3, s4, v11
	s_wait_alu 0xfffe
	s_or_b32 s37, s3, s37
	s_wait_dscnt 0x0
	v_sub_f32_e32 v12, v12, v1
	v_mul_f32_e32 v12, 0x3fb8aa3b, v12
	s_delay_alu instid0(VALU_DEP_1)
	v_exp_f32_e32 v12, v12
	ds_store_b32 v10, v12
	v_dual_add_f32 v9, v9, v12 :: v_dual_add_nc_u32 v10, 0x200, v10
	s_wait_alu 0xfffe
	s_and_not1_b32 exec_lo, exec_lo, s37
	s_cbranch_execnz .LBB115_23
; %bb.24:
	s_or_b32 exec_lo, exec_lo, s37
.LBB115_25:
	s_wait_alu 0xfffe
	s_or_b32 exec_lo, exec_lo, s15
	ds_bpermute_b32 v2, v2, v9
	s_wait_dscnt 0x0
	v_add_f32_e32 v2, v9, v2
	ds_bpermute_b32 v3, v3, v2
	s_wait_dscnt 0x0
	v_add_f32_e32 v2, v2, v3
	;; [unrolled: 3-line block ×5, first 2 shown]
	s_and_saveexec_b32 s3, vcc_lo
; %bb.26:
	ds_store_b32 v6, v2 offset:400
; %bb.27:
	s_wait_alu 0xfffe
	s_or_b32 exec_lo, exec_lo, s3
	s_wait_loadcnt_dscnt 0x0
	s_barrier_signal -1
	s_barrier_wait -1
	global_inv scope:SCOPE_SE
	s_and_saveexec_b32 s3, s0
; %bb.28:
	ds_load_b32 v2, v99 offset:400
; %bb.29:
	s_wait_alu 0xfffe
	s_or_b32 exec_lo, exec_lo, s3
	s_wait_dscnt 0x0
	ds_bpermute_b32 v3, v8, v2
	s_wait_dscnt 0x0
	v_add_f32_e32 v2, v2, v3
	ds_bpermute_b32 v3, v7, v2
	s_wait_dscnt 0x0
	v_dual_add_f32 v2, v2, v3 :: v_dual_mov_b32 v3, 0
	ds_bpermute_b32 v2, v3, v2
	s_and_saveexec_b32 s0, s1
	s_cbranch_execz .LBB115_32
; %bb.30:
	s_wait_dscnt 0x0
	v_add_f32_e32 v3, 0x358637bd, v2
	s_mov_b32 s1, 0
	s_delay_alu instid0(VALU_DEP_1) | instskip(SKIP_1) | instid1(VALU_DEP_2)
	v_div_scale_f32 v5, null, v3, v3, 1.0
	v_div_scale_f32 v10, vcc_lo, 1.0, v3, 1.0
	v_rcp_f32_e32 v6, v5
	s_delay_alu instid0(TRANS32_DEP_1) | instskip(NEXT) | instid1(VALU_DEP_1)
	v_fma_f32 v9, -v5, v6, 1.0
	v_fmac_f32_e32 v6, v9, v6
	s_delay_alu instid0(VALU_DEP_1) | instskip(NEXT) | instid1(VALU_DEP_1)
	v_mul_f32_e32 v9, v10, v6
	v_fma_f32 v11, -v5, v9, v10
	s_delay_alu instid0(VALU_DEP_1) | instskip(NEXT) | instid1(VALU_DEP_1)
	v_fmac_f32_e32 v9, v11, v6
	v_fma_f32 v5, -v5, v9, v10
	s_wait_alu 0xfffd
	s_delay_alu instid0(VALU_DEP_1) | instskip(NEXT) | instid1(VALU_DEP_1)
	v_div_fmas_f32 v5, v5, v6, v9
	v_div_fixup_f32 v3, v5, v3, 1.0
	v_mov_b32_e32 v5, v0
.LBB115_31:                             ; =>This Inner Loop Header: Depth=1
	ds_load_b32 v6, v4
	s_wait_dscnt 0x0
	v_dual_mul_f32 v6, v3, v6 :: v_dual_add_nc_u32 v5, 0x80, v5
	s_delay_alu instid0(VALU_DEP_1) | instskip(SKIP_3) | instid1(SALU_CYCLE_1)
	v_cmp_le_i32_e32 vcc_lo, s4, v5
	ds_store_b32 v4, v6
	v_add_nc_u32_e32 v4, 0x200, v4
	s_or_b32 s1, vcc_lo, s1
	s_and_not1_b32 exec_lo, exec_lo, s1
	s_cbranch_execnz .LBB115_31
.LBB115_32:
	s_or_b32 exec_lo, exec_lo, s0
	s_mul_i32 s0, s7, s26
	s_wait_loadcnt_dscnt 0x0
	s_mul_i32 s26, s0, s27
	s_mov_b32 s0, exec_lo
	s_barrier_signal -1
	s_barrier_wait -1
	global_inv scope:SCOPE_SE
	v_cmpx_eq_u32_e32 0, v0
	s_cbranch_execz .LBB115_34
; %bb.33:
	s_ashr_i32 s27, s26, 31
	s_mul_i32 s38, s7, ttmp9
	s_lshl_b32 s1, s30, 2
	s_lshl_b64 s[40:41], s[26:27], 2
	s_ashr_i32 s39, s38, 31
	v_mov_b32_e32 v3, s1
	s_wait_kmcnt 0x0
	s_wait_alu 0xfffe
	s_add_nc_u64 s[10:11], s[10:11], s[40:41]
	s_lshl_b64 s[38:39], s[38:39], 2
	s_add_nc_u64 s[8:9], s[8:9], s[40:41]
	s_wait_alu 0xfffe
	s_add_nc_u64 s[10:11], s[10:11], s[38:39]
	s_add_nc_u64 s[8:9], s[8:9], s[38:39]
	s_clause 0x1
	global_store_b32 v3, v1, s[10:11]
	global_store_b32 v3, v2, s[8:9]
.LBB115_34:
	s_or_b32 exec_lo, exec_lo, s0
	v_dual_mov_b32 v32, 0 :: v_dual_mov_b32 v31, 0
	v_dual_mov_b32 v30, 0 :: v_dual_mov_b32 v29, 0
	v_dual_mov_b32 v28, 0 :: v_dual_mov_b32 v27, 0
	v_dual_mov_b32 v26, 0 :: v_dual_mov_b32 v25, 0
	v_dual_mov_b32 v24, 0 :: v_dual_mov_b32 v23, 0
	v_dual_mov_b32 v22, 0 :: v_dual_mov_b32 v21, 0
	v_dual_mov_b32 v20, 0 :: v_dual_mov_b32 v19, 0
	v_dual_mov_b32 v18, 0 :: v_dual_mov_b32 v17, 0
	v_dual_mov_b32 v16, 0 :: v_dual_mov_b32 v15, 0
	v_dual_mov_b32 v14, 0 :: v_dual_mov_b32 v13, 0
	v_dual_mov_b32 v12, 0 :: v_dual_mov_b32 v11, 0
	v_dual_mov_b32 v10, 0 :: v_dual_mov_b32 v9, 0
	s_and_saveexec_b32 s1, s2
	s_cbranch_execz .LBB115_88
; %bb.35:
	s_abs_i32 s4, s6
	s_ashr_i32 s15, s14, 31
	s_wait_alu 0xfffe
	s_cvt_f32_u32 s0, s4
	v_dual_mov_b32 v10, 0 :: v_dual_and_b32 v3, 0x1f0, v98
	s_wait_kmcnt 0x0
	s_lshl_b64 s[10:11], s[14:15], 1
	s_wait_alu 0xfffe
	v_rcp_iflag_f32_e32 v1, s0
	v_dual_mov_b32 v9, 0 :: v_dual_lshlrev_b32 v2, 3, v0
	s_add_nc_u64 s[10:11], s[28:29], s[10:11]
	s_sub_co_i32 s9, 0, s4
	s_wait_alu 0xfffe
	v_add_co_u32 v34, s10, s10, v3
	v_dual_mov_b32 v11, 0 :: v_dual_mov_b32 v12, 0
	v_dual_mov_b32 v13, 0 :: v_dual_mov_b32 v14, 0
	s_delay_alu instid0(TRANS32_DEP_1)
	v_readfirstlane_b32 s0, v1
	v_dual_mov_b32 v16, 0 :: v_dual_and_b32 v33, 24, v2
	s_wait_alu 0xf1ff
	v_add_co_ci_u32_e64 v35, null, s11, 0, s10
	s_mul_f32 s0, s0, 0x4f7ffffe
	v_dual_mov_b32 v15, 0 :: v_dual_mov_b32 v18, 0
	v_dual_mov_b32 v17, 0 :: v_dual_mov_b32 v20, 0
	s_wait_alu 0xfffe
	s_cvt_u32_f32 s0, s0
	v_dual_mov_b32 v19, 0 :: v_dual_mov_b32 v22, 0
	v_dual_mov_b32 v21, 0 :: v_dual_mov_b32 v24, 0
	s_wait_alu 0xfffe
	s_mul_i32 s9, s9, s0
	v_dual_mov_b32 v23, 0 :: v_dual_mov_b32 v26, 0
	v_dual_mov_b32 v25, 0 :: v_dual_mov_b32 v28, 0
	;; [unrolled: 1-line block ×4, first 2 shown]
	v_mov_b32_e32 v31, 0
	s_lshl_b32 s8, s34, 2
	s_lshl_b64 s[2:3], s[22:23], 2
	s_wait_alu 0xfffe
	s_mul_hi_u32 s10, s0, s9
	s_sub_co_i32 s5, s36, s5
	s_mov_b32 s6, s13
	s_add_co_i32 s35, s35, -1
	s_sub_co_i32 s8, 0x1a0, s8
	s_add_nc_u64 s[2:3], s[20:21], s[2:3]
	s_mov_b32 s9, 0
	s_wait_alu 0xfffe
	s_add_co_i32 s10, s0, s10
	s_branch .LBB115_38
.LBB115_36:                             ;   in Loop: Header=BB115_38 Depth=1
	s_wait_alu 0xfffe
	s_or_b32 exec_lo, exec_lo, s0
	v_dual_add_f32 v43, v90, v91 :: v_dual_add_f32 v44, v88, v89
	v_add_f32_e32 v45, v86, v87
	v_add_f32_e32 v36, v94, v95
	s_delay_alu instid0(VALU_DEP_3) | instskip(SKIP_1) | instid1(VALU_DEP_3)
	v_dual_add_f32 v11, v11, v43 :: v_dual_lshlrev_b32 v6, 16, v6
	v_dual_add_f32 v43, v82, v83 :: v_dual_add_f32 v46, v80, v81
	v_dual_add_f32 v13, v13, v45 :: v_dual_add_f32 v10, v10, v36
	v_add_f32_e32 v36, v84, v85
	s_delay_alu instid0(VALU_DEP_3) | instskip(SKIP_1) | instid1(VALU_DEP_3)
	v_dual_add_f32 v12, v12, v44 :: v_dual_add_f32 v15, v15, v43
	v_add_f32_e32 v43, v76, v77
	v_dual_add_f32 v45, v72, v73 :: v_dual_add_f32 v14, v14, v36
	v_add_f32_e32 v36, v78, v79
	v_add_f32_e32 v16, v16, v46
	;; [unrolled: 1-line block ×4, first 2 shown]
	s_delay_alu instid0(VALU_DEP_4)
	v_dual_add_f32 v20, v20, v45 :: v_dual_add_f32 v17, v17, v36
	v_dual_add_f32 v36, v68, v69 :: v_dual_add_f32 v45, v62, v63
	v_add_f32_e32 v18, v18, v43
	v_add_f32_e32 v43, v66, v67
	;; [unrolled: 1-line block ×3, first 2 shown]
	v_dual_add_f32 v19, v19, v44 :: v_dual_add_f32 v44, v64, v65
	s_delay_alu instid0(VALU_DEP_3) | instskip(SKIP_4) | instid1(VALU_DEP_4)
	v_dual_add_f32 v46, v60, v61 :: v_dual_add_f32 v23, v23, v43
	v_lshlrev_b32_e32 v43, 16, v92
	v_dual_add_f32 v22, v22, v36 :: v_dual_lshlrev_b32 v5, 16, v5
	v_and_or_b32 v2, 0xffff, v2, v6
	v_add_f32_e32 v24, v24, v44
	v_and_or_b32 v1, 0xffff, v1, v43
	;;#ASMSTART
	v_pk_mul_f16 v1, v38, v1;

	;;#ASMEND
	v_and_or_b32 v3, 0xffff, v3, v5
	;;#ASMSTART
	v_pk_mul_f16 v2, v37, v2;

	;;#ASMEND
	;;#ASMSTART
	v_pk_mul_f16 v3, v41, v3;

	;;#ASMEND
	;; [unrolled: 4-line block ×3, first 2 shown]
	;;#ASMSTART
	v_pk_add_f16 v1, v1, v2;

	;;#ASMEND
	;;#ASMSTART
	v_pk_add_f16 v1, v1, v3;

	;;#ASMEND
	;; [unrolled: 4-line block ×3, first 2 shown]
	v_and_b32_e32 v4, 0xffff, v1
	v_lshrrev_b32_e32 v6, 16, v1
	;;#ASMSTART
	v_cvt_f32_f16 v4, v4;
	;;#ASMEND
	;;#ASMSTART
	v_cvt_f32_f16 v6, v6;
	;;#ASMEND
	s_delay_alu instid0(VALU_DEP_1) | instskip(SKIP_2) | instid1(VALU_DEP_3)
	v_add_f32_e32 v4, v4, v6
	v_dual_add_f32 v36, v58, v59 :: v_dual_add_f32 v1, v52, v53
	v_add_f32_e32 v5, v54, v55
	v_dual_add_f32 v2, v50, v51 :: v_dual_add_f32 v9, v9, v4
	v_dual_add_f32 v44, v56, v57 :: v_dual_add_f32 v3, v39, v40
	;; [unrolled: 1-line block ×3, first 2 shown]
	v_add_f32_e32 v27, v27, v36
	v_add_f32_e32 v29, v29, v5
	v_dual_add_f32 v30, v30, v1 :: v_dual_add_f32 v31, v31, v2
	v_add_f32_e32 v28, v28, v44
	v_add_f32_e32 v32, v32, v3
.LBB115_37:                             ;   in Loop: Header=BB115_38 Depth=1
	s_wait_alu 0xfffe
	s_or_b32 exec_lo, exec_lo, s11
	v_add_nc_u32_e32 v93, 4, v93
	s_delay_alu instid0(VALU_DEP_1)
	v_cmp_le_i32_e32 vcc_lo, s33, v93
	s_or_b32 s9, vcc_lo, s9
	s_wait_alu 0xfffe
	s_and_not1_b32 exec_lo, exec_lo, s9
	s_cbranch_execz .LBB115_87
.LBB115_38:                             ; =>This Inner Loop Header: Depth=1
	v_lshlrev_b32_e32 v1, 5, v93
	s_delay_alu instid0(VALU_DEP_1) | instskip(NEXT) | instid1(VALU_DEP_1)
	v_sub_nc_u32_e32 v2, 0, v1
	v_max_i32_e32 v2, v1, v2
	s_delay_alu instid0(VALU_DEP_1) | instskip(NEXT) | instid1(VALU_DEP_1)
	v_mul_hi_u32 v3, v2, s18
	v_mul_lo_u32 v4, v3, s12
	s_delay_alu instid0(VALU_DEP_1) | instskip(SKIP_1) | instid1(VALU_DEP_2)
	v_sub_nc_u32_e32 v2, v2, v4
	v_add_nc_u32_e32 v4, 1, v3
	v_subrev_nc_u32_e32 v5, s12, v2
	v_cmp_le_u32_e32 vcc_lo, s12, v2
	s_wait_alu 0xfffd
	s_delay_alu instid0(VALU_DEP_2) | instskip(SKIP_1) | instid1(VALU_DEP_2)
	v_dual_cndmask_b32 v3, v3, v4 :: v_dual_cndmask_b32 v2, v2, v5
	v_ashrrev_i32_e32 v4, 31, v1
	v_add_nc_u32_e32 v5, 1, v3
	s_delay_alu instid0(VALU_DEP_3) | instskip(NEXT) | instid1(VALU_DEP_3)
	v_cmp_le_u32_e32 vcc_lo, s12, v2
	v_xor_b32_e32 v4, s19, v4
	s_wait_alu 0xfffd
	s_delay_alu instid0(VALU_DEP_3) | instskip(NEXT) | instid1(VALU_DEP_1)
	v_cndmask_b32_e32 v2, v3, v5, vcc_lo
	v_xor_b32_e32 v2, v2, v4
	s_delay_alu instid0(VALU_DEP_1) | instskip(NEXT) | instid1(VALU_DEP_1)
	v_sub_nc_u32_e32 v2, v2, v4
	v_add_nc_u32_e32 v3, s17, v2
	v_cmp_lt_i32_e64 s0, s5, v2
	s_delay_alu instid0(VALU_DEP_2) | instskip(NEXT) | instid1(VALU_DEP_1)
	v_sub_nc_u32_e32 v4, 0, v3
	v_max_i32_e32 v4, v3, v4
	s_wait_alu 0xfffe
	s_delay_alu instid0(VALU_DEP_1) | instskip(NEXT) | instid1(VALU_DEP_1)
	v_mul_hi_u32 v5, v4, s10
	v_mul_lo_u32 v5, v5, s4
	s_delay_alu instid0(VALU_DEP_1) | instskip(NEXT) | instid1(VALU_DEP_1)
	v_sub_nc_u32_e32 v4, v4, v5
	v_subrev_nc_u32_e32 v5, s4, v4
	v_cmp_le_u32_e32 vcc_lo, s4, v4
	s_wait_alu 0xfffd
	s_delay_alu instid0(VALU_DEP_2) | instskip(SKIP_1) | instid1(VALU_DEP_2)
	v_cndmask_b32_e32 v4, v4, v5, vcc_lo
	v_ashrrev_i32_e32 v3, 31, v3
	v_subrev_nc_u32_e32 v5, s4, v4
	v_cmp_le_u32_e32 vcc_lo, s4, v4
	s_wait_alu 0xfffd
	s_delay_alu instid0(VALU_DEP_2) | instskip(NEXT) | instid1(VALU_DEP_1)
	v_cndmask_b32_e32 v4, v4, v5, vcc_lo
	v_xor_b32_e32 v4, v4, v3
	s_delay_alu instid0(VALU_DEP_1) | instskip(NEXT) | instid1(VALU_DEP_1)
	v_sub_nc_u32_e32 v3, v4, v3
	v_cmp_eq_u32_e32 vcc_lo, 0, v3
	s_or_b32 s0, vcc_lo, s0
	s_wait_alu 0xfffe
	s_and_saveexec_b32 s11, s0
	s_cbranch_execz .LBB115_37
; %bb.39:                               ;   in Loop: Header=BB115_38 Depth=1
	v_ashrrev_i32_e32 v94, 31, v93
	v_or_b32_e32 v36, v1, v33
	s_delay_alu instid0(VALU_DEP_2) | instskip(NEXT) | instid1(VALU_DEP_2)
	v_lshlrev_b64_e32 v[2:3], 2, v[93:94]
	v_lshl_add_u32 v6, v36, 2, s8
	v_or_b32_e32 v49, 1, v36
	v_or_b32_e32 v48, 2, v36
	;; [unrolled: 1-line block ×4, first 2 shown]
	v_add_co_u32 v2, vcc_lo, s2, v2
	s_wait_alu 0xfffd
	v_add_co_ci_u32_e64 v3, null, s3, v3, vcc_lo
	global_load_b32 v5, v[2:3], off
	ds_load_2addr_b64 v[1:4], v6 offset1:1
	ds_load_2addr_b64 v[42:45], v6 offset0:2 offset1:3
	s_wait_dscnt 0x1
	;;#ASMSTART
	v_cvt_f16_f32 v38, v1;

	;;#ASMEND
	;;#ASMSTART
	v_cvt_f16_f32 v37, v2;

	;;#ASMEND
	;; [unrolled: 4-line block ×4, first 2 shown]
	s_wait_dscnt 0x0
	;;#ASMSTART
	v_cvt_f16_f32 v51, v42;

	;;#ASMEND
	;;#ASMSTART
	v_cvt_f16_f32 v40, v43;

	;;#ASMEND
	;; [unrolled: 4-line block ×4, first 2 shown]
	v_or_b32_e32 v45, 3, v36
	v_or_b32_e32 v44, 4, v36
	;; [unrolled: 1-line block ×3, first 2 shown]
	s_wait_loadcnt 0x0
	v_mad_co_i64_i32 v[5:6], null, v5, s6, 0
	s_delay_alu instid0(VALU_DEP_1) | instskip(NEXT) | instid1(VALU_DEP_1)
	v_lshlrev_b64_e32 v[5:6], 1, v[5:6]
	v_add_co_u32 v5, vcc_lo, v34, v5
	s_wait_alu 0xfffd
	s_delay_alu instid0(VALU_DEP_2)
	v_add_co_ci_u32_e64 v6, null, v35, v6, vcc_lo
	v_cmp_eq_u32_e32 vcc_lo, s35, v93
	global_load_b128 v[1:4], v[5:6], off
	s_wait_loadcnt 0x0
	v_lshrrev_b32_e32 v54, 16, v1
	v_lshrrev_b32_e32 v53, 16, v2
	;; [unrolled: 1-line block ×3, first 2 shown]
	s_and_saveexec_b32 s13, vcc_lo
	s_cbranch_execz .LBB115_41
; %bb.40:                               ;   in Loop: Header=BB115_38 Depth=1
	v_cmp_gt_i32_e64 s0, s31, v36
	v_and_b32_e32 v55, 0xffff, v4
	v_and_b32_e32 v4, 0xffff0000, v4
	s_wait_alu 0xf1ff
	s_delay_alu instid0(VALU_DEP_3) | instskip(SKIP_2) | instid1(VALU_DEP_1)
	v_cndmask_b32_e64 v1, 0, v1, s0
	v_cmp_gt_i32_e64 s0, s31, v49
	s_wait_alu 0xf1ff
	v_cndmask_b32_e64 v54, 0, v54, s0
	v_cmp_gt_i32_e64 s0, s31, v48
	s_wait_alu 0xf1ff
	s_delay_alu instid0(VALU_DEP_1) | instskip(SKIP_2) | instid1(VALU_DEP_1)
	v_cndmask_b32_e64 v2, 0, v2, s0
	v_cmp_gt_i32_e64 s0, s31, v45
	s_wait_alu 0xf1ff
	v_cndmask_b32_e64 v53, 0, v53, s0
	v_cmp_gt_i32_e64 s0, s31, v46
	s_wait_alu 0xf1ff
	s_delay_alu instid0(VALU_DEP_1) | instskip(SKIP_2) | instid1(VALU_DEP_1)
	v_cndmask_b32_e64 v55, 0, v55, s0
	v_cmp_gt_i32_e64 s0, s31, v47
	s_wait_alu 0xf1ff
	v_cndmask_b32_e64 v4, 0, v4, s0
	v_cmp_gt_i32_e64 s0, s31, v44
	s_delay_alu instid0(VALU_DEP_2) | instskip(SKIP_1) | instid1(VALU_DEP_2)
	v_or_b32_e32 v4, v55, v4
	s_wait_alu 0xf1ff
	v_cndmask_b32_e64 v3, 0, v3, s0
	v_cmp_gt_i32_e64 s0, s31, v43
	s_wait_alu 0xf1ff
	s_delay_alu instid0(VALU_DEP_1)
	v_cndmask_b32_e64 v52, 0, v52, s0
.LBB115_41:                             ;   in Loop: Header=BB115_38 Depth=1
	s_wait_alu 0xfffe
	s_or_b32 exec_lo, exec_lo, s13
	v_and_b32_e32 v38, 0xffff, v38
	v_and_b32_e32 v50, 0xffff, v50
	v_lshlrev_b32_e32 v54, 16, v54
	v_lshlrev_b32_e32 v52, 16, v52
	v_and_b32_e32 v51, 0xffff, v51
	v_lshl_or_b32 v38, v37, 16, v38
	v_lshl_or_b32 v37, v41, 16, v50
	v_lshlrev_b32_e32 v50, 16, v53
	v_and_b32_e32 v42, 0xffff, v42
	v_and_or_b32 v1, 0xffff, v1, v54
	v_and_or_b32 v3, 0xffff, v3, v52
	;;#ASMSTART
	v_pk_mul_f16 v1, v38, v1;

	;;#ASMEND
	v_and_or_b32 v2, 0xffff, v2, v50
	v_lshl_or_b32 v41, v40, 16, v51
	v_lshl_or_b32 v42, v39, 16, v42
	;;#ASMSTART
	v_pk_mul_f16 v2, v37, v2;

	;;#ASMEND
	;;#ASMSTART
	v_pk_mul_f16 v3, v41, v3;

	;;#ASMEND
	;; [unrolled: 4-line block ×3, first 2 shown]
	;;#ASMSTART
	v_pk_add_f16 v1, v1, v2;

	;;#ASMEND
	;;#ASMSTART
	v_pk_add_f16 v1, v1, v3;

	;;#ASMEND
	;; [unrolled: 4-line block ×3, first 2 shown]
	v_and_b32_e32 v2, 0xffff, v1
	v_lshrrev_b32_e32 v1, 16, v1
	;;#ASMSTART
	v_cvt_f32_f16 v39, v2;
	;;#ASMEND
	;;#ASMSTART
	v_cvt_f32_f16 v40, v1;
	;;#ASMEND
	global_load_b128 v[1:4], v[5:6], off offset:512
	s_wait_loadcnt 0x0
	v_lshrrev_b32_e32 v52, 16, v1
	v_lshrrev_b32_e32 v51, 16, v2
	;; [unrolled: 1-line block ×3, first 2 shown]
	s_and_saveexec_b32 s13, vcc_lo
	s_cbranch_execz .LBB115_43
; %bb.42:                               ;   in Loop: Header=BB115_38 Depth=1
	v_cmp_gt_i32_e64 s0, s31, v36
	v_and_b32_e32 v53, 0xffff, v4
	v_and_b32_e32 v4, 0xffff0000, v4
	s_wait_alu 0xf1ff
	s_delay_alu instid0(VALU_DEP_3) | instskip(SKIP_2) | instid1(VALU_DEP_1)
	v_cndmask_b32_e64 v1, 0, v1, s0
	v_cmp_gt_i32_e64 s0, s31, v49
	s_wait_alu 0xf1ff
	v_cndmask_b32_e64 v52, 0, v52, s0
	v_cmp_gt_i32_e64 s0, s31, v48
	s_wait_alu 0xf1ff
	s_delay_alu instid0(VALU_DEP_1) | instskip(SKIP_2) | instid1(VALU_DEP_1)
	v_cndmask_b32_e64 v2, 0, v2, s0
	v_cmp_gt_i32_e64 s0, s31, v45
	s_wait_alu 0xf1ff
	v_cndmask_b32_e64 v51, 0, v51, s0
	v_cmp_gt_i32_e64 s0, s31, v46
	s_wait_alu 0xf1ff
	s_delay_alu instid0(VALU_DEP_1) | instskip(SKIP_2) | instid1(VALU_DEP_1)
	v_cndmask_b32_e64 v53, 0, v53, s0
	v_cmp_gt_i32_e64 s0, s31, v47
	s_wait_alu 0xf1ff
	v_cndmask_b32_e64 v4, 0, v4, s0
	v_cmp_gt_i32_e64 s0, s31, v44
	s_delay_alu instid0(VALU_DEP_2) | instskip(SKIP_1) | instid1(VALU_DEP_2)
	v_or_b32_e32 v4, v53, v4
	s_wait_alu 0xf1ff
	v_cndmask_b32_e64 v3, 0, v3, s0
	v_cmp_gt_i32_e64 s0, s31, v43
	s_wait_alu 0xf1ff
	s_delay_alu instid0(VALU_DEP_1)
	v_cndmask_b32_e64 v50, 0, v50, s0
.LBB115_43:                             ;   in Loop: Header=BB115_38 Depth=1
	s_wait_alu 0xfffe
	s_or_b32 exec_lo, exec_lo, s13
	v_lshlrev_b32_e32 v52, 16, v52
	v_lshlrev_b32_e32 v51, 16, v51
	;; [unrolled: 1-line block ×3, first 2 shown]
	s_delay_alu instid0(VALU_DEP_3) | instskip(NEXT) | instid1(VALU_DEP_3)
	v_and_or_b32 v1, 0xffff, v1, v52
	v_and_or_b32 v2, 0xffff, v2, v51
	s_delay_alu instid0(VALU_DEP_3)
	v_and_or_b32 v3, 0xffff, v3, v50
	;;#ASMSTART
	v_pk_mul_f16 v1, v38, v1;

	;;#ASMEND
	;;#ASMSTART
	v_pk_mul_f16 v2, v37, v2;

	;;#ASMEND
	;; [unrolled: 4-line block ×4, first 2 shown]
	;;#ASMSTART
	v_pk_add_f16 v1, v1, v2;

	;;#ASMEND
	;;#ASMSTART
	v_pk_add_f16 v1, v1, v3;

	;;#ASMEND
	;; [unrolled: 4-line block ×3, first 2 shown]
	v_and_b32_e32 v2, 0xffff, v1
	v_lshrrev_b32_e32 v1, 16, v1
	;;#ASMSTART
	v_cvt_f32_f16 v50, v2;
	;;#ASMEND
	;;#ASMSTART
	v_cvt_f32_f16 v51, v1;
	;;#ASMEND
	global_load_b128 v[1:4], v[5:6], off offset:1024
	s_wait_loadcnt 0x0
	v_lshrrev_b32_e32 v54, 16, v1
	v_lshrrev_b32_e32 v53, 16, v2
	;; [unrolled: 1-line block ×3, first 2 shown]
	s_and_saveexec_b32 s13, vcc_lo
	s_cbranch_execz .LBB115_45
; %bb.44:                               ;   in Loop: Header=BB115_38 Depth=1
	v_cmp_gt_i32_e64 s0, s31, v36
	v_and_b32_e32 v55, 0xffff, v4
	v_and_b32_e32 v4, 0xffff0000, v4
	s_wait_alu 0xf1ff
	s_delay_alu instid0(VALU_DEP_3) | instskip(SKIP_2) | instid1(VALU_DEP_1)
	v_cndmask_b32_e64 v1, 0, v1, s0
	v_cmp_gt_i32_e64 s0, s31, v49
	s_wait_alu 0xf1ff
	v_cndmask_b32_e64 v54, 0, v54, s0
	v_cmp_gt_i32_e64 s0, s31, v48
	s_wait_alu 0xf1ff
	s_delay_alu instid0(VALU_DEP_1) | instskip(SKIP_2) | instid1(VALU_DEP_1)
	v_cndmask_b32_e64 v2, 0, v2, s0
	v_cmp_gt_i32_e64 s0, s31, v45
	s_wait_alu 0xf1ff
	v_cndmask_b32_e64 v53, 0, v53, s0
	v_cmp_gt_i32_e64 s0, s31, v46
	s_wait_alu 0xf1ff
	s_delay_alu instid0(VALU_DEP_1) | instskip(SKIP_2) | instid1(VALU_DEP_1)
	v_cndmask_b32_e64 v55, 0, v55, s0
	v_cmp_gt_i32_e64 s0, s31, v47
	s_wait_alu 0xf1ff
	v_cndmask_b32_e64 v4, 0, v4, s0
	v_cmp_gt_i32_e64 s0, s31, v44
	s_delay_alu instid0(VALU_DEP_2) | instskip(SKIP_1) | instid1(VALU_DEP_2)
	v_or_b32_e32 v4, v55, v4
	s_wait_alu 0xf1ff
	v_cndmask_b32_e64 v3, 0, v3, s0
	v_cmp_gt_i32_e64 s0, s31, v43
	s_wait_alu 0xf1ff
	s_delay_alu instid0(VALU_DEP_1)
	v_cndmask_b32_e64 v52, 0, v52, s0
.LBB115_45:                             ;   in Loop: Header=BB115_38 Depth=1
	s_wait_alu 0xfffe
	s_or_b32 exec_lo, exec_lo, s13
	v_lshlrev_b32_e32 v54, 16, v54
	v_lshlrev_b32_e32 v53, 16, v53
	;; [unrolled: 1-line block ×3, first 2 shown]
	s_delay_alu instid0(VALU_DEP_3) | instskip(NEXT) | instid1(VALU_DEP_3)
	v_and_or_b32 v1, 0xffff, v1, v54
	v_and_or_b32 v2, 0xffff, v2, v53
	s_delay_alu instid0(VALU_DEP_3)
	v_and_or_b32 v3, 0xffff, v3, v52
	;;#ASMSTART
	v_pk_mul_f16 v1, v38, v1;

	;;#ASMEND
	;;#ASMSTART
	v_pk_mul_f16 v2, v37, v2;

	;;#ASMEND
	;; [unrolled: 4-line block ×4, first 2 shown]
	;;#ASMSTART
	v_pk_add_f16 v1, v1, v2;

	;;#ASMEND
	;;#ASMSTART
	v_pk_add_f16 v1, v1, v3;

	;;#ASMEND
	;; [unrolled: 4-line block ×3, first 2 shown]
	v_and_b32_e32 v2, 0xffff, v1
	v_lshrrev_b32_e32 v1, 16, v1
	;;#ASMSTART
	v_cvt_f32_f16 v52, v2;
	;;#ASMEND
	;;#ASMSTART
	v_cvt_f32_f16 v53, v1;
	;;#ASMEND
	global_load_b128 v[1:4], v[5:6], off offset:1536
	s_wait_loadcnt 0x0
	v_lshrrev_b32_e32 v56, 16, v1
	v_lshrrev_b32_e32 v55, 16, v2
	;; [unrolled: 1-line block ×3, first 2 shown]
	s_and_saveexec_b32 s13, vcc_lo
	s_cbranch_execz .LBB115_47
; %bb.46:                               ;   in Loop: Header=BB115_38 Depth=1
	v_cmp_gt_i32_e64 s0, s31, v36
	v_and_b32_e32 v57, 0xffff, v4
	v_and_b32_e32 v4, 0xffff0000, v4
	s_wait_alu 0xf1ff
	s_delay_alu instid0(VALU_DEP_3) | instskip(SKIP_2) | instid1(VALU_DEP_1)
	v_cndmask_b32_e64 v1, 0, v1, s0
	v_cmp_gt_i32_e64 s0, s31, v49
	s_wait_alu 0xf1ff
	v_cndmask_b32_e64 v56, 0, v56, s0
	v_cmp_gt_i32_e64 s0, s31, v48
	s_wait_alu 0xf1ff
	s_delay_alu instid0(VALU_DEP_1) | instskip(SKIP_2) | instid1(VALU_DEP_1)
	v_cndmask_b32_e64 v2, 0, v2, s0
	v_cmp_gt_i32_e64 s0, s31, v45
	s_wait_alu 0xf1ff
	v_cndmask_b32_e64 v55, 0, v55, s0
	v_cmp_gt_i32_e64 s0, s31, v46
	s_wait_alu 0xf1ff
	s_delay_alu instid0(VALU_DEP_1) | instskip(SKIP_2) | instid1(VALU_DEP_1)
	v_cndmask_b32_e64 v57, 0, v57, s0
	v_cmp_gt_i32_e64 s0, s31, v47
	s_wait_alu 0xf1ff
	v_cndmask_b32_e64 v4, 0, v4, s0
	v_cmp_gt_i32_e64 s0, s31, v44
	s_delay_alu instid0(VALU_DEP_2) | instskip(SKIP_1) | instid1(VALU_DEP_2)
	v_or_b32_e32 v4, v57, v4
	s_wait_alu 0xf1ff
	v_cndmask_b32_e64 v3, 0, v3, s0
	v_cmp_gt_i32_e64 s0, s31, v43
	s_wait_alu 0xf1ff
	s_delay_alu instid0(VALU_DEP_1)
	v_cndmask_b32_e64 v54, 0, v54, s0
.LBB115_47:                             ;   in Loop: Header=BB115_38 Depth=1
	s_wait_alu 0xfffe
	s_or_b32 exec_lo, exec_lo, s13
	v_lshlrev_b32_e32 v56, 16, v56
	v_lshlrev_b32_e32 v55, 16, v55
	;; [unrolled: 1-line block ×3, first 2 shown]
	s_delay_alu instid0(VALU_DEP_3) | instskip(NEXT) | instid1(VALU_DEP_3)
	v_and_or_b32 v1, 0xffff, v1, v56
	v_and_or_b32 v2, 0xffff, v2, v55
	s_delay_alu instid0(VALU_DEP_3)
	v_and_or_b32 v3, 0xffff, v3, v54
	;;#ASMSTART
	v_pk_mul_f16 v1, v38, v1;

	;;#ASMEND
	;;#ASMSTART
	v_pk_mul_f16 v2, v37, v2;

	;;#ASMEND
	;;#ASMSTART
	v_pk_mul_f16 v3, v41, v3;

	;;#ASMEND
	;;#ASMSTART
	v_pk_mul_f16 v4, v42, v4;

	;;#ASMEND
	;;#ASMSTART
	v_pk_add_f16 v1, v1, v2;

	;;#ASMEND
	;;#ASMSTART
	v_pk_add_f16 v1, v1, v3;

	;;#ASMEND
	;; [unrolled: 4-line block ×3, first 2 shown]
	v_and_b32_e32 v2, 0xffff, v1
	v_lshrrev_b32_e32 v1, 16, v1
	;;#ASMSTART
	v_cvt_f32_f16 v54, v2;
	;;#ASMEND
	;;#ASMSTART
	v_cvt_f32_f16 v55, v1;
	;;#ASMEND
	global_load_b128 v[1:4], v[5:6], off offset:2048
	s_wait_loadcnt 0x0
	v_lshrrev_b32_e32 v58, 16, v1
	v_lshrrev_b32_e32 v57, 16, v2
	;; [unrolled: 1-line block ×3, first 2 shown]
	s_and_saveexec_b32 s13, vcc_lo
	s_cbranch_execz .LBB115_49
; %bb.48:                               ;   in Loop: Header=BB115_38 Depth=1
	v_cmp_gt_i32_e64 s0, s31, v36
	v_and_b32_e32 v59, 0xffff, v4
	v_and_b32_e32 v4, 0xffff0000, v4
	s_wait_alu 0xf1ff
	s_delay_alu instid0(VALU_DEP_3) | instskip(SKIP_2) | instid1(VALU_DEP_1)
	v_cndmask_b32_e64 v1, 0, v1, s0
	v_cmp_gt_i32_e64 s0, s31, v49
	s_wait_alu 0xf1ff
	v_cndmask_b32_e64 v58, 0, v58, s0
	v_cmp_gt_i32_e64 s0, s31, v48
	s_wait_alu 0xf1ff
	s_delay_alu instid0(VALU_DEP_1) | instskip(SKIP_2) | instid1(VALU_DEP_1)
	v_cndmask_b32_e64 v2, 0, v2, s0
	v_cmp_gt_i32_e64 s0, s31, v45
	s_wait_alu 0xf1ff
	v_cndmask_b32_e64 v57, 0, v57, s0
	v_cmp_gt_i32_e64 s0, s31, v46
	s_wait_alu 0xf1ff
	s_delay_alu instid0(VALU_DEP_1) | instskip(SKIP_2) | instid1(VALU_DEP_1)
	v_cndmask_b32_e64 v59, 0, v59, s0
	v_cmp_gt_i32_e64 s0, s31, v47
	s_wait_alu 0xf1ff
	v_cndmask_b32_e64 v4, 0, v4, s0
	v_cmp_gt_i32_e64 s0, s31, v44
	s_delay_alu instid0(VALU_DEP_2) | instskip(SKIP_1) | instid1(VALU_DEP_2)
	v_or_b32_e32 v4, v59, v4
	s_wait_alu 0xf1ff
	v_cndmask_b32_e64 v3, 0, v3, s0
	v_cmp_gt_i32_e64 s0, s31, v43
	s_wait_alu 0xf1ff
	s_delay_alu instid0(VALU_DEP_1)
	v_cndmask_b32_e64 v56, 0, v56, s0
.LBB115_49:                             ;   in Loop: Header=BB115_38 Depth=1
	s_wait_alu 0xfffe
	s_or_b32 exec_lo, exec_lo, s13
	v_lshlrev_b32_e32 v58, 16, v58
	v_lshlrev_b32_e32 v57, 16, v57
	;; [unrolled: 1-line block ×3, first 2 shown]
	s_delay_alu instid0(VALU_DEP_3) | instskip(NEXT) | instid1(VALU_DEP_3)
	v_and_or_b32 v1, 0xffff, v1, v58
	v_and_or_b32 v2, 0xffff, v2, v57
	s_delay_alu instid0(VALU_DEP_3)
	v_and_or_b32 v3, 0xffff, v3, v56
	;;#ASMSTART
	v_pk_mul_f16 v1, v38, v1;

	;;#ASMEND
	;;#ASMSTART
	v_pk_mul_f16 v2, v37, v2;

	;;#ASMEND
	;;#ASMSTART
	v_pk_mul_f16 v3, v41, v3;

	;;#ASMEND
	;;#ASMSTART
	v_pk_mul_f16 v4, v42, v4;

	;;#ASMEND
	;;#ASMSTART
	v_pk_add_f16 v1, v1, v2;

	;;#ASMEND
	;;#ASMSTART
	v_pk_add_f16 v1, v1, v3;

	;;#ASMEND
	;; [unrolled: 4-line block ×3, first 2 shown]
	v_and_b32_e32 v2, 0xffff, v1
	v_lshrrev_b32_e32 v1, 16, v1
	;;#ASMSTART
	v_cvt_f32_f16 v56, v2;
	;;#ASMEND
	;;#ASMSTART
	v_cvt_f32_f16 v57, v1;
	;;#ASMEND
	global_load_b128 v[1:4], v[5:6], off offset:2560
	s_wait_loadcnt 0x0
	v_lshrrev_b32_e32 v60, 16, v1
	v_lshrrev_b32_e32 v59, 16, v2
	;; [unrolled: 1-line block ×3, first 2 shown]
	s_and_saveexec_b32 s13, vcc_lo
	s_cbranch_execz .LBB115_51
; %bb.50:                               ;   in Loop: Header=BB115_38 Depth=1
	v_cmp_gt_i32_e64 s0, s31, v36
	v_and_b32_e32 v61, 0xffff, v4
	v_and_b32_e32 v4, 0xffff0000, v4
	s_wait_alu 0xf1ff
	s_delay_alu instid0(VALU_DEP_3) | instskip(SKIP_2) | instid1(VALU_DEP_1)
	v_cndmask_b32_e64 v1, 0, v1, s0
	v_cmp_gt_i32_e64 s0, s31, v49
	s_wait_alu 0xf1ff
	v_cndmask_b32_e64 v60, 0, v60, s0
	v_cmp_gt_i32_e64 s0, s31, v48
	s_wait_alu 0xf1ff
	s_delay_alu instid0(VALU_DEP_1) | instskip(SKIP_2) | instid1(VALU_DEP_1)
	v_cndmask_b32_e64 v2, 0, v2, s0
	v_cmp_gt_i32_e64 s0, s31, v45
	s_wait_alu 0xf1ff
	v_cndmask_b32_e64 v59, 0, v59, s0
	v_cmp_gt_i32_e64 s0, s31, v46
	s_wait_alu 0xf1ff
	s_delay_alu instid0(VALU_DEP_1) | instskip(SKIP_2) | instid1(VALU_DEP_1)
	v_cndmask_b32_e64 v61, 0, v61, s0
	v_cmp_gt_i32_e64 s0, s31, v47
	s_wait_alu 0xf1ff
	v_cndmask_b32_e64 v4, 0, v4, s0
	v_cmp_gt_i32_e64 s0, s31, v44
	s_delay_alu instid0(VALU_DEP_2) | instskip(SKIP_1) | instid1(VALU_DEP_2)
	v_or_b32_e32 v4, v61, v4
	s_wait_alu 0xf1ff
	v_cndmask_b32_e64 v3, 0, v3, s0
	v_cmp_gt_i32_e64 s0, s31, v43
	s_wait_alu 0xf1ff
	s_delay_alu instid0(VALU_DEP_1)
	v_cndmask_b32_e64 v58, 0, v58, s0
.LBB115_51:                             ;   in Loop: Header=BB115_38 Depth=1
	s_wait_alu 0xfffe
	s_or_b32 exec_lo, exec_lo, s13
	v_lshlrev_b32_e32 v60, 16, v60
	v_lshlrev_b32_e32 v59, 16, v59
	;; [unrolled: 1-line block ×3, first 2 shown]
	s_delay_alu instid0(VALU_DEP_3) | instskip(NEXT) | instid1(VALU_DEP_3)
	v_and_or_b32 v1, 0xffff, v1, v60
	v_and_or_b32 v2, 0xffff, v2, v59
	s_delay_alu instid0(VALU_DEP_3)
	v_and_or_b32 v3, 0xffff, v3, v58
	;;#ASMSTART
	v_pk_mul_f16 v1, v38, v1;

	;;#ASMEND
	;;#ASMSTART
	v_pk_mul_f16 v2, v37, v2;

	;;#ASMEND
	;; [unrolled: 4-line block ×4, first 2 shown]
	;;#ASMSTART
	v_pk_add_f16 v1, v1, v2;

	;;#ASMEND
	;;#ASMSTART
	v_pk_add_f16 v1, v1, v3;

	;;#ASMEND
	;; [unrolled: 4-line block ×3, first 2 shown]
	v_and_b32_e32 v2, 0xffff, v1
	v_lshrrev_b32_e32 v1, 16, v1
	;;#ASMSTART
	v_cvt_f32_f16 v58, v2;
	;;#ASMEND
	;;#ASMSTART
	v_cvt_f32_f16 v59, v1;
	;;#ASMEND
	global_load_b128 v[1:4], v[5:6], off offset:3072
	s_wait_loadcnt 0x0
	v_lshrrev_b32_e32 v62, 16, v1
	v_lshrrev_b32_e32 v61, 16, v2
	;; [unrolled: 1-line block ×3, first 2 shown]
	s_and_saveexec_b32 s13, vcc_lo
	s_cbranch_execz .LBB115_53
; %bb.52:                               ;   in Loop: Header=BB115_38 Depth=1
	v_cmp_gt_i32_e64 s0, s31, v36
	v_and_b32_e32 v63, 0xffff, v4
	v_and_b32_e32 v4, 0xffff0000, v4
	s_wait_alu 0xf1ff
	s_delay_alu instid0(VALU_DEP_3) | instskip(SKIP_2) | instid1(VALU_DEP_1)
	v_cndmask_b32_e64 v1, 0, v1, s0
	v_cmp_gt_i32_e64 s0, s31, v49
	s_wait_alu 0xf1ff
	v_cndmask_b32_e64 v62, 0, v62, s0
	v_cmp_gt_i32_e64 s0, s31, v48
	s_wait_alu 0xf1ff
	s_delay_alu instid0(VALU_DEP_1) | instskip(SKIP_2) | instid1(VALU_DEP_1)
	v_cndmask_b32_e64 v2, 0, v2, s0
	v_cmp_gt_i32_e64 s0, s31, v45
	s_wait_alu 0xf1ff
	v_cndmask_b32_e64 v61, 0, v61, s0
	v_cmp_gt_i32_e64 s0, s31, v46
	s_wait_alu 0xf1ff
	s_delay_alu instid0(VALU_DEP_1) | instskip(SKIP_2) | instid1(VALU_DEP_1)
	v_cndmask_b32_e64 v63, 0, v63, s0
	v_cmp_gt_i32_e64 s0, s31, v47
	s_wait_alu 0xf1ff
	v_cndmask_b32_e64 v4, 0, v4, s0
	v_cmp_gt_i32_e64 s0, s31, v44
	s_delay_alu instid0(VALU_DEP_2) | instskip(SKIP_1) | instid1(VALU_DEP_2)
	v_or_b32_e32 v4, v63, v4
	s_wait_alu 0xf1ff
	v_cndmask_b32_e64 v3, 0, v3, s0
	v_cmp_gt_i32_e64 s0, s31, v43
	s_wait_alu 0xf1ff
	s_delay_alu instid0(VALU_DEP_1)
	v_cndmask_b32_e64 v60, 0, v60, s0
.LBB115_53:                             ;   in Loop: Header=BB115_38 Depth=1
	s_wait_alu 0xfffe
	s_or_b32 exec_lo, exec_lo, s13
	v_lshlrev_b32_e32 v62, 16, v62
	v_lshlrev_b32_e32 v61, 16, v61
	;; [unrolled: 1-line block ×3, first 2 shown]
	s_delay_alu instid0(VALU_DEP_3) | instskip(NEXT) | instid1(VALU_DEP_3)
	v_and_or_b32 v1, 0xffff, v1, v62
	v_and_or_b32 v2, 0xffff, v2, v61
	s_delay_alu instid0(VALU_DEP_3)
	v_and_or_b32 v3, 0xffff, v3, v60
	;;#ASMSTART
	v_pk_mul_f16 v1, v38, v1;

	;;#ASMEND
	;;#ASMSTART
	v_pk_mul_f16 v2, v37, v2;

	;;#ASMEND
	;; [unrolled: 4-line block ×4, first 2 shown]
	;;#ASMSTART
	v_pk_add_f16 v1, v1, v2;

	;;#ASMEND
	;;#ASMSTART
	v_pk_add_f16 v1, v1, v3;

	;;#ASMEND
	;; [unrolled: 4-line block ×3, first 2 shown]
	v_and_b32_e32 v2, 0xffff, v1
	v_lshrrev_b32_e32 v1, 16, v1
	;;#ASMSTART
	v_cvt_f32_f16 v60, v2;
	;;#ASMEND
	;;#ASMSTART
	v_cvt_f32_f16 v61, v1;
	;;#ASMEND
	global_load_b128 v[1:4], v[5:6], off offset:3584
	s_wait_loadcnt 0x0
	v_lshrrev_b32_e32 v64, 16, v1
	v_lshrrev_b32_e32 v63, 16, v2
	;; [unrolled: 1-line block ×3, first 2 shown]
	s_and_saveexec_b32 s13, vcc_lo
	s_cbranch_execz .LBB115_55
; %bb.54:                               ;   in Loop: Header=BB115_38 Depth=1
	v_cmp_gt_i32_e64 s0, s31, v36
	v_and_b32_e32 v65, 0xffff, v4
	v_and_b32_e32 v4, 0xffff0000, v4
	s_wait_alu 0xf1ff
	s_delay_alu instid0(VALU_DEP_3) | instskip(SKIP_2) | instid1(VALU_DEP_1)
	v_cndmask_b32_e64 v1, 0, v1, s0
	v_cmp_gt_i32_e64 s0, s31, v49
	s_wait_alu 0xf1ff
	v_cndmask_b32_e64 v64, 0, v64, s0
	v_cmp_gt_i32_e64 s0, s31, v48
	s_wait_alu 0xf1ff
	s_delay_alu instid0(VALU_DEP_1) | instskip(SKIP_2) | instid1(VALU_DEP_1)
	v_cndmask_b32_e64 v2, 0, v2, s0
	v_cmp_gt_i32_e64 s0, s31, v45
	s_wait_alu 0xf1ff
	v_cndmask_b32_e64 v63, 0, v63, s0
	v_cmp_gt_i32_e64 s0, s31, v46
	s_wait_alu 0xf1ff
	s_delay_alu instid0(VALU_DEP_1) | instskip(SKIP_2) | instid1(VALU_DEP_1)
	v_cndmask_b32_e64 v65, 0, v65, s0
	v_cmp_gt_i32_e64 s0, s31, v47
	s_wait_alu 0xf1ff
	v_cndmask_b32_e64 v4, 0, v4, s0
	v_cmp_gt_i32_e64 s0, s31, v44
	s_delay_alu instid0(VALU_DEP_2) | instskip(SKIP_1) | instid1(VALU_DEP_2)
	v_or_b32_e32 v4, v65, v4
	s_wait_alu 0xf1ff
	v_cndmask_b32_e64 v3, 0, v3, s0
	v_cmp_gt_i32_e64 s0, s31, v43
	s_wait_alu 0xf1ff
	s_delay_alu instid0(VALU_DEP_1)
	v_cndmask_b32_e64 v62, 0, v62, s0
.LBB115_55:                             ;   in Loop: Header=BB115_38 Depth=1
	s_wait_alu 0xfffe
	s_or_b32 exec_lo, exec_lo, s13
	v_lshlrev_b32_e32 v64, 16, v64
	v_lshlrev_b32_e32 v63, 16, v63
	;; [unrolled: 1-line block ×3, first 2 shown]
	s_delay_alu instid0(VALU_DEP_3) | instskip(NEXT) | instid1(VALU_DEP_3)
	v_and_or_b32 v1, 0xffff, v1, v64
	v_and_or_b32 v2, 0xffff, v2, v63
	s_delay_alu instid0(VALU_DEP_3)
	v_and_or_b32 v3, 0xffff, v3, v62
	;;#ASMSTART
	v_pk_mul_f16 v1, v38, v1;

	;;#ASMEND
	;;#ASMSTART
	v_pk_mul_f16 v2, v37, v2;

	;;#ASMEND
	;; [unrolled: 4-line block ×4, first 2 shown]
	;;#ASMSTART
	v_pk_add_f16 v1, v1, v2;

	;;#ASMEND
	;;#ASMSTART
	v_pk_add_f16 v1, v1, v3;

	;;#ASMEND
	;; [unrolled: 4-line block ×3, first 2 shown]
	v_and_b32_e32 v2, 0xffff, v1
	v_lshrrev_b32_e32 v1, 16, v1
	;;#ASMSTART
	v_cvt_f32_f16 v62, v2;
	;;#ASMEND
	;;#ASMSTART
	v_cvt_f32_f16 v63, v1;
	;;#ASMEND
	global_load_b128 v[1:4], v[5:6], off offset:4096
	s_wait_loadcnt 0x0
	v_lshrrev_b32_e32 v66, 16, v1
	v_lshrrev_b32_e32 v65, 16, v2
	;; [unrolled: 1-line block ×3, first 2 shown]
	s_and_saveexec_b32 s13, vcc_lo
	s_cbranch_execz .LBB115_57
; %bb.56:                               ;   in Loop: Header=BB115_38 Depth=1
	v_cmp_gt_i32_e64 s0, s31, v36
	v_and_b32_e32 v67, 0xffff, v4
	v_and_b32_e32 v4, 0xffff0000, v4
	s_wait_alu 0xf1ff
	s_delay_alu instid0(VALU_DEP_3) | instskip(SKIP_2) | instid1(VALU_DEP_1)
	v_cndmask_b32_e64 v1, 0, v1, s0
	v_cmp_gt_i32_e64 s0, s31, v49
	s_wait_alu 0xf1ff
	v_cndmask_b32_e64 v66, 0, v66, s0
	v_cmp_gt_i32_e64 s0, s31, v48
	s_wait_alu 0xf1ff
	s_delay_alu instid0(VALU_DEP_1) | instskip(SKIP_2) | instid1(VALU_DEP_1)
	v_cndmask_b32_e64 v2, 0, v2, s0
	v_cmp_gt_i32_e64 s0, s31, v45
	s_wait_alu 0xf1ff
	v_cndmask_b32_e64 v65, 0, v65, s0
	v_cmp_gt_i32_e64 s0, s31, v46
	s_wait_alu 0xf1ff
	s_delay_alu instid0(VALU_DEP_1) | instskip(SKIP_2) | instid1(VALU_DEP_1)
	v_cndmask_b32_e64 v67, 0, v67, s0
	v_cmp_gt_i32_e64 s0, s31, v47
	s_wait_alu 0xf1ff
	v_cndmask_b32_e64 v4, 0, v4, s0
	v_cmp_gt_i32_e64 s0, s31, v44
	s_delay_alu instid0(VALU_DEP_2) | instskip(SKIP_1) | instid1(VALU_DEP_2)
	v_or_b32_e32 v4, v67, v4
	s_wait_alu 0xf1ff
	v_cndmask_b32_e64 v3, 0, v3, s0
	v_cmp_gt_i32_e64 s0, s31, v43
	s_wait_alu 0xf1ff
	s_delay_alu instid0(VALU_DEP_1)
	v_cndmask_b32_e64 v64, 0, v64, s0
.LBB115_57:                             ;   in Loop: Header=BB115_38 Depth=1
	s_wait_alu 0xfffe
	s_or_b32 exec_lo, exec_lo, s13
	v_lshlrev_b32_e32 v66, 16, v66
	v_lshlrev_b32_e32 v65, 16, v65
	v_lshlrev_b32_e32 v64, 16, v64
	s_delay_alu instid0(VALU_DEP_3) | instskip(NEXT) | instid1(VALU_DEP_3)
	v_and_or_b32 v1, 0xffff, v1, v66
	v_and_or_b32 v2, 0xffff, v2, v65
	s_delay_alu instid0(VALU_DEP_3)
	v_and_or_b32 v3, 0xffff, v3, v64
	;;#ASMSTART
	v_pk_mul_f16 v1, v38, v1;

	;;#ASMEND
	;;#ASMSTART
	v_pk_mul_f16 v2, v37, v2;

	;;#ASMEND
	;; [unrolled: 4-line block ×4, first 2 shown]
	;;#ASMSTART
	v_pk_add_f16 v1, v1, v2;

	;;#ASMEND
	;;#ASMSTART
	v_pk_add_f16 v1, v1, v3;

	;;#ASMEND
	;; [unrolled: 4-line block ×3, first 2 shown]
	v_and_b32_e32 v2, 0xffff, v1
	v_lshrrev_b32_e32 v1, 16, v1
	;;#ASMSTART
	v_cvt_f32_f16 v64, v2;
	;;#ASMEND
	;;#ASMSTART
	v_cvt_f32_f16 v65, v1;
	;;#ASMEND
	global_load_b128 v[1:4], v[5:6], off offset:4608
	s_wait_loadcnt 0x0
	v_lshrrev_b32_e32 v68, 16, v1
	v_lshrrev_b32_e32 v67, 16, v2
	;; [unrolled: 1-line block ×3, first 2 shown]
	s_and_saveexec_b32 s13, vcc_lo
	s_cbranch_execz .LBB115_59
; %bb.58:                               ;   in Loop: Header=BB115_38 Depth=1
	v_cmp_gt_i32_e64 s0, s31, v36
	v_and_b32_e32 v69, 0xffff, v4
	v_and_b32_e32 v4, 0xffff0000, v4
	s_wait_alu 0xf1ff
	s_delay_alu instid0(VALU_DEP_3) | instskip(SKIP_2) | instid1(VALU_DEP_1)
	v_cndmask_b32_e64 v1, 0, v1, s0
	v_cmp_gt_i32_e64 s0, s31, v49
	s_wait_alu 0xf1ff
	v_cndmask_b32_e64 v68, 0, v68, s0
	v_cmp_gt_i32_e64 s0, s31, v48
	s_wait_alu 0xf1ff
	s_delay_alu instid0(VALU_DEP_1) | instskip(SKIP_2) | instid1(VALU_DEP_1)
	v_cndmask_b32_e64 v2, 0, v2, s0
	v_cmp_gt_i32_e64 s0, s31, v45
	s_wait_alu 0xf1ff
	v_cndmask_b32_e64 v67, 0, v67, s0
	v_cmp_gt_i32_e64 s0, s31, v46
	s_wait_alu 0xf1ff
	s_delay_alu instid0(VALU_DEP_1) | instskip(SKIP_2) | instid1(VALU_DEP_1)
	v_cndmask_b32_e64 v69, 0, v69, s0
	v_cmp_gt_i32_e64 s0, s31, v47
	s_wait_alu 0xf1ff
	v_cndmask_b32_e64 v4, 0, v4, s0
	v_cmp_gt_i32_e64 s0, s31, v44
	s_delay_alu instid0(VALU_DEP_2) | instskip(SKIP_1) | instid1(VALU_DEP_2)
	v_or_b32_e32 v4, v69, v4
	s_wait_alu 0xf1ff
	v_cndmask_b32_e64 v3, 0, v3, s0
	v_cmp_gt_i32_e64 s0, s31, v43
	s_wait_alu 0xf1ff
	s_delay_alu instid0(VALU_DEP_1)
	v_cndmask_b32_e64 v66, 0, v66, s0
.LBB115_59:                             ;   in Loop: Header=BB115_38 Depth=1
	s_wait_alu 0xfffe
	s_or_b32 exec_lo, exec_lo, s13
	v_lshlrev_b32_e32 v68, 16, v68
	v_lshlrev_b32_e32 v67, 16, v67
	;; [unrolled: 1-line block ×3, first 2 shown]
	s_delay_alu instid0(VALU_DEP_3) | instskip(NEXT) | instid1(VALU_DEP_3)
	v_and_or_b32 v1, 0xffff, v1, v68
	v_and_or_b32 v2, 0xffff, v2, v67
	s_delay_alu instid0(VALU_DEP_3)
	v_and_or_b32 v3, 0xffff, v3, v66
	;;#ASMSTART
	v_pk_mul_f16 v1, v38, v1;

	;;#ASMEND
	;;#ASMSTART
	v_pk_mul_f16 v2, v37, v2;

	;;#ASMEND
	;; [unrolled: 4-line block ×4, first 2 shown]
	;;#ASMSTART
	v_pk_add_f16 v1, v1, v2;

	;;#ASMEND
	;;#ASMSTART
	v_pk_add_f16 v1, v1, v3;

	;;#ASMEND
	;; [unrolled: 4-line block ×3, first 2 shown]
	v_and_b32_e32 v2, 0xffff, v1
	v_lshrrev_b32_e32 v1, 16, v1
	;;#ASMSTART
	v_cvt_f32_f16 v66, v2;
	;;#ASMEND
	;;#ASMSTART
	v_cvt_f32_f16 v67, v1;
	;;#ASMEND
	global_load_b128 v[1:4], v[5:6], off offset:5120
	s_wait_loadcnt 0x0
	v_lshrrev_b32_e32 v70, 16, v1
	v_lshrrev_b32_e32 v69, 16, v2
	;; [unrolled: 1-line block ×3, first 2 shown]
	s_and_saveexec_b32 s13, vcc_lo
	s_cbranch_execz .LBB115_61
; %bb.60:                               ;   in Loop: Header=BB115_38 Depth=1
	v_cmp_gt_i32_e64 s0, s31, v36
	v_and_b32_e32 v71, 0xffff, v4
	v_and_b32_e32 v4, 0xffff0000, v4
	s_wait_alu 0xf1ff
	s_delay_alu instid0(VALU_DEP_3) | instskip(SKIP_2) | instid1(VALU_DEP_1)
	v_cndmask_b32_e64 v1, 0, v1, s0
	v_cmp_gt_i32_e64 s0, s31, v49
	s_wait_alu 0xf1ff
	v_cndmask_b32_e64 v70, 0, v70, s0
	v_cmp_gt_i32_e64 s0, s31, v48
	s_wait_alu 0xf1ff
	s_delay_alu instid0(VALU_DEP_1) | instskip(SKIP_2) | instid1(VALU_DEP_1)
	v_cndmask_b32_e64 v2, 0, v2, s0
	v_cmp_gt_i32_e64 s0, s31, v45
	s_wait_alu 0xf1ff
	v_cndmask_b32_e64 v69, 0, v69, s0
	v_cmp_gt_i32_e64 s0, s31, v46
	s_wait_alu 0xf1ff
	s_delay_alu instid0(VALU_DEP_1) | instskip(SKIP_2) | instid1(VALU_DEP_1)
	v_cndmask_b32_e64 v71, 0, v71, s0
	v_cmp_gt_i32_e64 s0, s31, v47
	s_wait_alu 0xf1ff
	v_cndmask_b32_e64 v4, 0, v4, s0
	v_cmp_gt_i32_e64 s0, s31, v44
	s_delay_alu instid0(VALU_DEP_2) | instskip(SKIP_1) | instid1(VALU_DEP_2)
	v_or_b32_e32 v4, v71, v4
	s_wait_alu 0xf1ff
	v_cndmask_b32_e64 v3, 0, v3, s0
	v_cmp_gt_i32_e64 s0, s31, v43
	s_wait_alu 0xf1ff
	s_delay_alu instid0(VALU_DEP_1)
	v_cndmask_b32_e64 v68, 0, v68, s0
.LBB115_61:                             ;   in Loop: Header=BB115_38 Depth=1
	s_wait_alu 0xfffe
	s_or_b32 exec_lo, exec_lo, s13
	v_lshlrev_b32_e32 v70, 16, v70
	v_lshlrev_b32_e32 v69, 16, v69
	;; [unrolled: 1-line block ×3, first 2 shown]
	s_delay_alu instid0(VALU_DEP_3) | instskip(NEXT) | instid1(VALU_DEP_3)
	v_and_or_b32 v1, 0xffff, v1, v70
	v_and_or_b32 v2, 0xffff, v2, v69
	s_delay_alu instid0(VALU_DEP_3)
	v_and_or_b32 v3, 0xffff, v3, v68
	;;#ASMSTART
	v_pk_mul_f16 v1, v38, v1;

	;;#ASMEND
	;;#ASMSTART
	v_pk_mul_f16 v2, v37, v2;

	;;#ASMEND
	;;#ASMSTART
	v_pk_mul_f16 v3, v41, v3;

	;;#ASMEND
	;;#ASMSTART
	v_pk_mul_f16 v4, v42, v4;

	;;#ASMEND
	;;#ASMSTART
	v_pk_add_f16 v1, v1, v2;

	;;#ASMEND
	;;#ASMSTART
	v_pk_add_f16 v1, v1, v3;

	;;#ASMEND
	;; [unrolled: 4-line block ×3, first 2 shown]
	v_and_b32_e32 v2, 0xffff, v1
	v_lshrrev_b32_e32 v1, 16, v1
	;;#ASMSTART
	v_cvt_f32_f16 v68, v2;
	;;#ASMEND
	;;#ASMSTART
	v_cvt_f32_f16 v69, v1;
	;;#ASMEND
	global_load_b128 v[1:4], v[5:6], off offset:5632
	s_wait_loadcnt 0x0
	v_lshrrev_b32_e32 v72, 16, v1
	v_lshrrev_b32_e32 v71, 16, v2
	v_lshrrev_b32_e32 v70, 16, v3
	s_and_saveexec_b32 s13, vcc_lo
	s_cbranch_execz .LBB115_63
; %bb.62:                               ;   in Loop: Header=BB115_38 Depth=1
	v_cmp_gt_i32_e64 s0, s31, v36
	v_and_b32_e32 v73, 0xffff, v4
	v_and_b32_e32 v4, 0xffff0000, v4
	s_wait_alu 0xf1ff
	s_delay_alu instid0(VALU_DEP_3) | instskip(SKIP_2) | instid1(VALU_DEP_1)
	v_cndmask_b32_e64 v1, 0, v1, s0
	v_cmp_gt_i32_e64 s0, s31, v49
	s_wait_alu 0xf1ff
	v_cndmask_b32_e64 v72, 0, v72, s0
	v_cmp_gt_i32_e64 s0, s31, v48
	s_wait_alu 0xf1ff
	s_delay_alu instid0(VALU_DEP_1) | instskip(SKIP_2) | instid1(VALU_DEP_1)
	v_cndmask_b32_e64 v2, 0, v2, s0
	v_cmp_gt_i32_e64 s0, s31, v45
	s_wait_alu 0xf1ff
	v_cndmask_b32_e64 v71, 0, v71, s0
	v_cmp_gt_i32_e64 s0, s31, v46
	s_wait_alu 0xf1ff
	s_delay_alu instid0(VALU_DEP_1) | instskip(SKIP_2) | instid1(VALU_DEP_1)
	v_cndmask_b32_e64 v73, 0, v73, s0
	v_cmp_gt_i32_e64 s0, s31, v47
	s_wait_alu 0xf1ff
	v_cndmask_b32_e64 v4, 0, v4, s0
	v_cmp_gt_i32_e64 s0, s31, v44
	s_delay_alu instid0(VALU_DEP_2) | instskip(SKIP_1) | instid1(VALU_DEP_2)
	v_or_b32_e32 v4, v73, v4
	s_wait_alu 0xf1ff
	v_cndmask_b32_e64 v3, 0, v3, s0
	v_cmp_gt_i32_e64 s0, s31, v43
	s_wait_alu 0xf1ff
	s_delay_alu instid0(VALU_DEP_1)
	v_cndmask_b32_e64 v70, 0, v70, s0
.LBB115_63:                             ;   in Loop: Header=BB115_38 Depth=1
	s_wait_alu 0xfffe
	s_or_b32 exec_lo, exec_lo, s13
	v_lshlrev_b32_e32 v72, 16, v72
	v_lshlrev_b32_e32 v71, 16, v71
	;; [unrolled: 1-line block ×3, first 2 shown]
	s_delay_alu instid0(VALU_DEP_3) | instskip(NEXT) | instid1(VALU_DEP_3)
	v_and_or_b32 v1, 0xffff, v1, v72
	v_and_or_b32 v2, 0xffff, v2, v71
	s_delay_alu instid0(VALU_DEP_3)
	v_and_or_b32 v3, 0xffff, v3, v70
	;;#ASMSTART
	v_pk_mul_f16 v1, v38, v1;

	;;#ASMEND
	;;#ASMSTART
	v_pk_mul_f16 v2, v37, v2;

	;;#ASMEND
	;; [unrolled: 4-line block ×4, first 2 shown]
	;;#ASMSTART
	v_pk_add_f16 v1, v1, v2;

	;;#ASMEND
	;;#ASMSTART
	v_pk_add_f16 v1, v1, v3;

	;;#ASMEND
	;; [unrolled: 4-line block ×3, first 2 shown]
	v_and_b32_e32 v2, 0xffff, v1
	v_lshrrev_b32_e32 v1, 16, v1
	;;#ASMSTART
	v_cvt_f32_f16 v70, v2;
	;;#ASMEND
	;;#ASMSTART
	v_cvt_f32_f16 v71, v1;
	;;#ASMEND
	global_load_b128 v[1:4], v[5:6], off offset:6144
	s_wait_loadcnt 0x0
	v_lshrrev_b32_e32 v74, 16, v1
	v_lshrrev_b32_e32 v73, 16, v2
	;; [unrolled: 1-line block ×3, first 2 shown]
	s_and_saveexec_b32 s13, vcc_lo
	s_cbranch_execz .LBB115_65
; %bb.64:                               ;   in Loop: Header=BB115_38 Depth=1
	v_cmp_gt_i32_e64 s0, s31, v36
	v_and_b32_e32 v75, 0xffff, v4
	v_and_b32_e32 v4, 0xffff0000, v4
	s_wait_alu 0xf1ff
	s_delay_alu instid0(VALU_DEP_3) | instskip(SKIP_2) | instid1(VALU_DEP_1)
	v_cndmask_b32_e64 v1, 0, v1, s0
	v_cmp_gt_i32_e64 s0, s31, v49
	s_wait_alu 0xf1ff
	v_cndmask_b32_e64 v74, 0, v74, s0
	v_cmp_gt_i32_e64 s0, s31, v48
	s_wait_alu 0xf1ff
	s_delay_alu instid0(VALU_DEP_1) | instskip(SKIP_2) | instid1(VALU_DEP_1)
	v_cndmask_b32_e64 v2, 0, v2, s0
	v_cmp_gt_i32_e64 s0, s31, v45
	s_wait_alu 0xf1ff
	v_cndmask_b32_e64 v73, 0, v73, s0
	v_cmp_gt_i32_e64 s0, s31, v46
	s_wait_alu 0xf1ff
	s_delay_alu instid0(VALU_DEP_1) | instskip(SKIP_2) | instid1(VALU_DEP_1)
	v_cndmask_b32_e64 v75, 0, v75, s0
	v_cmp_gt_i32_e64 s0, s31, v47
	s_wait_alu 0xf1ff
	v_cndmask_b32_e64 v4, 0, v4, s0
	v_cmp_gt_i32_e64 s0, s31, v44
	s_delay_alu instid0(VALU_DEP_2) | instskip(SKIP_1) | instid1(VALU_DEP_2)
	v_or_b32_e32 v4, v75, v4
	s_wait_alu 0xf1ff
	v_cndmask_b32_e64 v3, 0, v3, s0
	v_cmp_gt_i32_e64 s0, s31, v43
	s_wait_alu 0xf1ff
	s_delay_alu instid0(VALU_DEP_1)
	v_cndmask_b32_e64 v72, 0, v72, s0
.LBB115_65:                             ;   in Loop: Header=BB115_38 Depth=1
	s_wait_alu 0xfffe
	s_or_b32 exec_lo, exec_lo, s13
	v_lshlrev_b32_e32 v74, 16, v74
	v_lshlrev_b32_e32 v73, 16, v73
	v_lshlrev_b32_e32 v72, 16, v72
	s_delay_alu instid0(VALU_DEP_3) | instskip(NEXT) | instid1(VALU_DEP_3)
	v_and_or_b32 v1, 0xffff, v1, v74
	v_and_or_b32 v2, 0xffff, v2, v73
	s_delay_alu instid0(VALU_DEP_3)
	v_and_or_b32 v3, 0xffff, v3, v72
	;;#ASMSTART
	v_pk_mul_f16 v1, v38, v1;

	;;#ASMEND
	;;#ASMSTART
	v_pk_mul_f16 v2, v37, v2;

	;;#ASMEND
	;; [unrolled: 4-line block ×4, first 2 shown]
	;;#ASMSTART
	v_pk_add_f16 v1, v1, v2;

	;;#ASMEND
	;;#ASMSTART
	v_pk_add_f16 v1, v1, v3;

	;;#ASMEND
	;;#ASMSTART
	v_pk_add_f16 v1, v1, v4;

	;;#ASMEND
	v_and_b32_e32 v2, 0xffff, v1
	v_lshrrev_b32_e32 v1, 16, v1
	;;#ASMSTART
	v_cvt_f32_f16 v72, v2;
	;;#ASMEND
	;;#ASMSTART
	v_cvt_f32_f16 v73, v1;
	;;#ASMEND
	global_load_b128 v[1:4], v[5:6], off offset:6656
	s_wait_loadcnt 0x0
	v_lshrrev_b32_e32 v76, 16, v1
	v_lshrrev_b32_e32 v75, 16, v2
	;; [unrolled: 1-line block ×3, first 2 shown]
	s_and_saveexec_b32 s13, vcc_lo
	s_cbranch_execz .LBB115_67
; %bb.66:                               ;   in Loop: Header=BB115_38 Depth=1
	v_cmp_gt_i32_e64 s0, s31, v36
	v_and_b32_e32 v77, 0xffff, v4
	v_and_b32_e32 v4, 0xffff0000, v4
	s_wait_alu 0xf1ff
	s_delay_alu instid0(VALU_DEP_3) | instskip(SKIP_2) | instid1(VALU_DEP_1)
	v_cndmask_b32_e64 v1, 0, v1, s0
	v_cmp_gt_i32_e64 s0, s31, v49
	s_wait_alu 0xf1ff
	v_cndmask_b32_e64 v76, 0, v76, s0
	v_cmp_gt_i32_e64 s0, s31, v48
	s_wait_alu 0xf1ff
	s_delay_alu instid0(VALU_DEP_1) | instskip(SKIP_2) | instid1(VALU_DEP_1)
	v_cndmask_b32_e64 v2, 0, v2, s0
	v_cmp_gt_i32_e64 s0, s31, v45
	s_wait_alu 0xf1ff
	v_cndmask_b32_e64 v75, 0, v75, s0
	v_cmp_gt_i32_e64 s0, s31, v46
	s_wait_alu 0xf1ff
	s_delay_alu instid0(VALU_DEP_1) | instskip(SKIP_2) | instid1(VALU_DEP_1)
	v_cndmask_b32_e64 v77, 0, v77, s0
	v_cmp_gt_i32_e64 s0, s31, v47
	s_wait_alu 0xf1ff
	v_cndmask_b32_e64 v4, 0, v4, s0
	v_cmp_gt_i32_e64 s0, s31, v44
	s_delay_alu instid0(VALU_DEP_2) | instskip(SKIP_1) | instid1(VALU_DEP_2)
	v_or_b32_e32 v4, v77, v4
	s_wait_alu 0xf1ff
	v_cndmask_b32_e64 v3, 0, v3, s0
	v_cmp_gt_i32_e64 s0, s31, v43
	s_wait_alu 0xf1ff
	s_delay_alu instid0(VALU_DEP_1)
	v_cndmask_b32_e64 v74, 0, v74, s0
.LBB115_67:                             ;   in Loop: Header=BB115_38 Depth=1
	s_wait_alu 0xfffe
	s_or_b32 exec_lo, exec_lo, s13
	v_lshlrev_b32_e32 v76, 16, v76
	v_lshlrev_b32_e32 v75, 16, v75
	;; [unrolled: 1-line block ×3, first 2 shown]
	s_delay_alu instid0(VALU_DEP_3) | instskip(NEXT) | instid1(VALU_DEP_3)
	v_and_or_b32 v1, 0xffff, v1, v76
	v_and_or_b32 v2, 0xffff, v2, v75
	s_delay_alu instid0(VALU_DEP_3)
	v_and_or_b32 v3, 0xffff, v3, v74
	;;#ASMSTART
	v_pk_mul_f16 v1, v38, v1;

	;;#ASMEND
	;;#ASMSTART
	v_pk_mul_f16 v2, v37, v2;

	;;#ASMEND
	;;#ASMSTART
	v_pk_mul_f16 v3, v41, v3;

	;;#ASMEND
	;;#ASMSTART
	v_pk_mul_f16 v4, v42, v4;

	;;#ASMEND
	;;#ASMSTART
	v_pk_add_f16 v1, v1, v2;

	;;#ASMEND
	;;#ASMSTART
	v_pk_add_f16 v1, v1, v3;

	;;#ASMEND
	;; [unrolled: 4-line block ×3, first 2 shown]
	v_and_b32_e32 v2, 0xffff, v1
	v_lshrrev_b32_e32 v1, 16, v1
	;;#ASMSTART
	v_cvt_f32_f16 v74, v2;
	;;#ASMEND
	;;#ASMSTART
	v_cvt_f32_f16 v75, v1;
	;;#ASMEND
	global_load_b128 v[1:4], v[5:6], off offset:7168
	s_wait_loadcnt 0x0
	v_lshrrev_b32_e32 v78, 16, v1
	v_lshrrev_b32_e32 v77, 16, v2
	;; [unrolled: 1-line block ×3, first 2 shown]
	s_and_saveexec_b32 s13, vcc_lo
	s_cbranch_execz .LBB115_69
; %bb.68:                               ;   in Loop: Header=BB115_38 Depth=1
	v_cmp_gt_i32_e64 s0, s31, v36
	v_and_b32_e32 v79, 0xffff, v4
	v_and_b32_e32 v4, 0xffff0000, v4
	s_wait_alu 0xf1ff
	s_delay_alu instid0(VALU_DEP_3) | instskip(SKIP_2) | instid1(VALU_DEP_1)
	v_cndmask_b32_e64 v1, 0, v1, s0
	v_cmp_gt_i32_e64 s0, s31, v49
	s_wait_alu 0xf1ff
	v_cndmask_b32_e64 v78, 0, v78, s0
	v_cmp_gt_i32_e64 s0, s31, v48
	s_wait_alu 0xf1ff
	s_delay_alu instid0(VALU_DEP_1) | instskip(SKIP_2) | instid1(VALU_DEP_1)
	v_cndmask_b32_e64 v2, 0, v2, s0
	v_cmp_gt_i32_e64 s0, s31, v45
	s_wait_alu 0xf1ff
	v_cndmask_b32_e64 v77, 0, v77, s0
	v_cmp_gt_i32_e64 s0, s31, v46
	s_wait_alu 0xf1ff
	s_delay_alu instid0(VALU_DEP_1) | instskip(SKIP_2) | instid1(VALU_DEP_1)
	v_cndmask_b32_e64 v79, 0, v79, s0
	v_cmp_gt_i32_e64 s0, s31, v47
	s_wait_alu 0xf1ff
	v_cndmask_b32_e64 v4, 0, v4, s0
	v_cmp_gt_i32_e64 s0, s31, v44
	s_delay_alu instid0(VALU_DEP_2) | instskip(SKIP_1) | instid1(VALU_DEP_2)
	v_or_b32_e32 v4, v79, v4
	s_wait_alu 0xf1ff
	v_cndmask_b32_e64 v3, 0, v3, s0
	v_cmp_gt_i32_e64 s0, s31, v43
	s_wait_alu 0xf1ff
	s_delay_alu instid0(VALU_DEP_1)
	v_cndmask_b32_e64 v76, 0, v76, s0
.LBB115_69:                             ;   in Loop: Header=BB115_38 Depth=1
	s_wait_alu 0xfffe
	s_or_b32 exec_lo, exec_lo, s13
	v_lshlrev_b32_e32 v78, 16, v78
	v_lshlrev_b32_e32 v77, 16, v77
	;; [unrolled: 1-line block ×3, first 2 shown]
	s_delay_alu instid0(VALU_DEP_3) | instskip(NEXT) | instid1(VALU_DEP_3)
	v_and_or_b32 v1, 0xffff, v1, v78
	v_and_or_b32 v2, 0xffff, v2, v77
	s_delay_alu instid0(VALU_DEP_3)
	v_and_or_b32 v3, 0xffff, v3, v76
	;;#ASMSTART
	v_pk_mul_f16 v1, v38, v1;

	;;#ASMEND
	;;#ASMSTART
	v_pk_mul_f16 v2, v37, v2;

	;;#ASMEND
	;; [unrolled: 4-line block ×4, first 2 shown]
	;;#ASMSTART
	v_pk_add_f16 v1, v1, v2;

	;;#ASMEND
	;;#ASMSTART
	v_pk_add_f16 v1, v1, v3;

	;;#ASMEND
	;; [unrolled: 4-line block ×3, first 2 shown]
	v_and_b32_e32 v2, 0xffff, v1
	v_lshrrev_b32_e32 v1, 16, v1
	;;#ASMSTART
	v_cvt_f32_f16 v76, v2;
	;;#ASMEND
	;;#ASMSTART
	v_cvt_f32_f16 v77, v1;
	;;#ASMEND
	global_load_b128 v[1:4], v[5:6], off offset:7680
	s_wait_loadcnt 0x0
	v_lshrrev_b32_e32 v80, 16, v1
	v_lshrrev_b32_e32 v79, 16, v2
	;; [unrolled: 1-line block ×3, first 2 shown]
	s_and_saveexec_b32 s13, vcc_lo
	s_cbranch_execz .LBB115_71
; %bb.70:                               ;   in Loop: Header=BB115_38 Depth=1
	v_cmp_gt_i32_e64 s0, s31, v36
	v_and_b32_e32 v81, 0xffff, v4
	v_and_b32_e32 v4, 0xffff0000, v4
	s_wait_alu 0xf1ff
	s_delay_alu instid0(VALU_DEP_3) | instskip(SKIP_2) | instid1(VALU_DEP_1)
	v_cndmask_b32_e64 v1, 0, v1, s0
	v_cmp_gt_i32_e64 s0, s31, v49
	s_wait_alu 0xf1ff
	v_cndmask_b32_e64 v80, 0, v80, s0
	v_cmp_gt_i32_e64 s0, s31, v48
	s_wait_alu 0xf1ff
	s_delay_alu instid0(VALU_DEP_1) | instskip(SKIP_2) | instid1(VALU_DEP_1)
	v_cndmask_b32_e64 v2, 0, v2, s0
	v_cmp_gt_i32_e64 s0, s31, v45
	s_wait_alu 0xf1ff
	v_cndmask_b32_e64 v79, 0, v79, s0
	v_cmp_gt_i32_e64 s0, s31, v46
	s_wait_alu 0xf1ff
	s_delay_alu instid0(VALU_DEP_1) | instskip(SKIP_2) | instid1(VALU_DEP_1)
	v_cndmask_b32_e64 v81, 0, v81, s0
	v_cmp_gt_i32_e64 s0, s31, v47
	s_wait_alu 0xf1ff
	v_cndmask_b32_e64 v4, 0, v4, s0
	v_cmp_gt_i32_e64 s0, s31, v44
	s_delay_alu instid0(VALU_DEP_2) | instskip(SKIP_1) | instid1(VALU_DEP_2)
	v_or_b32_e32 v4, v81, v4
	s_wait_alu 0xf1ff
	v_cndmask_b32_e64 v3, 0, v3, s0
	v_cmp_gt_i32_e64 s0, s31, v43
	s_wait_alu 0xf1ff
	s_delay_alu instid0(VALU_DEP_1)
	v_cndmask_b32_e64 v78, 0, v78, s0
.LBB115_71:                             ;   in Loop: Header=BB115_38 Depth=1
	s_wait_alu 0xfffe
	s_or_b32 exec_lo, exec_lo, s13
	v_lshlrev_b32_e32 v80, 16, v80
	v_lshlrev_b32_e32 v79, 16, v79
	;; [unrolled: 1-line block ×3, first 2 shown]
	s_delay_alu instid0(VALU_DEP_3) | instskip(NEXT) | instid1(VALU_DEP_3)
	v_and_or_b32 v1, 0xffff, v1, v80
	v_and_or_b32 v2, 0xffff, v2, v79
	s_delay_alu instid0(VALU_DEP_3)
	v_and_or_b32 v3, 0xffff, v3, v78
	;;#ASMSTART
	v_pk_mul_f16 v1, v38, v1;

	;;#ASMEND
	;;#ASMSTART
	v_pk_mul_f16 v2, v37, v2;

	;;#ASMEND
	;; [unrolled: 4-line block ×4, first 2 shown]
	;;#ASMSTART
	v_pk_add_f16 v1, v1, v2;

	;;#ASMEND
	;;#ASMSTART
	v_pk_add_f16 v1, v1, v3;

	;;#ASMEND
	;; [unrolled: 4-line block ×3, first 2 shown]
	v_and_b32_e32 v2, 0xffff, v1
	v_lshrrev_b32_e32 v1, 16, v1
	;;#ASMSTART
	v_cvt_f32_f16 v78, v2;
	;;#ASMEND
	;;#ASMSTART
	v_cvt_f32_f16 v79, v1;
	;;#ASMEND
	global_load_b128 v[1:4], v[5:6], off offset:8192
	s_wait_loadcnt 0x0
	v_lshrrev_b32_e32 v82, 16, v1
	v_lshrrev_b32_e32 v81, 16, v2
	v_lshrrev_b32_e32 v80, 16, v3
	s_and_saveexec_b32 s13, vcc_lo
	s_cbranch_execz .LBB115_73
; %bb.72:                               ;   in Loop: Header=BB115_38 Depth=1
	v_cmp_gt_i32_e64 s0, s31, v36
	v_and_b32_e32 v83, 0xffff, v4
	v_and_b32_e32 v4, 0xffff0000, v4
	s_wait_alu 0xf1ff
	s_delay_alu instid0(VALU_DEP_3) | instskip(SKIP_2) | instid1(VALU_DEP_1)
	v_cndmask_b32_e64 v1, 0, v1, s0
	v_cmp_gt_i32_e64 s0, s31, v49
	s_wait_alu 0xf1ff
	v_cndmask_b32_e64 v82, 0, v82, s0
	v_cmp_gt_i32_e64 s0, s31, v48
	s_wait_alu 0xf1ff
	s_delay_alu instid0(VALU_DEP_1) | instskip(SKIP_2) | instid1(VALU_DEP_1)
	v_cndmask_b32_e64 v2, 0, v2, s0
	v_cmp_gt_i32_e64 s0, s31, v45
	s_wait_alu 0xf1ff
	v_cndmask_b32_e64 v81, 0, v81, s0
	v_cmp_gt_i32_e64 s0, s31, v46
	s_wait_alu 0xf1ff
	s_delay_alu instid0(VALU_DEP_1) | instskip(SKIP_2) | instid1(VALU_DEP_1)
	v_cndmask_b32_e64 v83, 0, v83, s0
	v_cmp_gt_i32_e64 s0, s31, v47
	s_wait_alu 0xf1ff
	v_cndmask_b32_e64 v4, 0, v4, s0
	v_cmp_gt_i32_e64 s0, s31, v44
	s_delay_alu instid0(VALU_DEP_2) | instskip(SKIP_1) | instid1(VALU_DEP_2)
	v_or_b32_e32 v4, v83, v4
	s_wait_alu 0xf1ff
	v_cndmask_b32_e64 v3, 0, v3, s0
	v_cmp_gt_i32_e64 s0, s31, v43
	s_wait_alu 0xf1ff
	s_delay_alu instid0(VALU_DEP_1)
	v_cndmask_b32_e64 v80, 0, v80, s0
.LBB115_73:                             ;   in Loop: Header=BB115_38 Depth=1
	s_wait_alu 0xfffe
	s_or_b32 exec_lo, exec_lo, s13
	v_lshlrev_b32_e32 v82, 16, v82
	v_lshlrev_b32_e32 v81, 16, v81
	;; [unrolled: 1-line block ×3, first 2 shown]
	s_delay_alu instid0(VALU_DEP_3) | instskip(NEXT) | instid1(VALU_DEP_3)
	v_and_or_b32 v1, 0xffff, v1, v82
	v_and_or_b32 v2, 0xffff, v2, v81
	s_delay_alu instid0(VALU_DEP_3)
	v_and_or_b32 v3, 0xffff, v3, v80
	;;#ASMSTART
	v_pk_mul_f16 v1, v38, v1;

	;;#ASMEND
	;;#ASMSTART
	v_pk_mul_f16 v2, v37, v2;

	;;#ASMEND
	;; [unrolled: 4-line block ×4, first 2 shown]
	;;#ASMSTART
	v_pk_add_f16 v1, v1, v2;

	;;#ASMEND
	;;#ASMSTART
	v_pk_add_f16 v1, v1, v3;

	;;#ASMEND
	;; [unrolled: 4-line block ×3, first 2 shown]
	v_and_b32_e32 v2, 0xffff, v1
	v_lshrrev_b32_e32 v1, 16, v1
	;;#ASMSTART
	v_cvt_f32_f16 v80, v2;
	;;#ASMEND
	;;#ASMSTART
	v_cvt_f32_f16 v81, v1;
	;;#ASMEND
	global_load_b128 v[1:4], v[5:6], off offset:8704
	s_wait_loadcnt 0x0
	v_lshrrev_b32_e32 v84, 16, v1
	v_lshrrev_b32_e32 v83, 16, v2
	;; [unrolled: 1-line block ×3, first 2 shown]
	s_and_saveexec_b32 s13, vcc_lo
	s_cbranch_execz .LBB115_75
; %bb.74:                               ;   in Loop: Header=BB115_38 Depth=1
	v_cmp_gt_i32_e64 s0, s31, v36
	v_and_b32_e32 v85, 0xffff, v4
	v_and_b32_e32 v4, 0xffff0000, v4
	s_wait_alu 0xf1ff
	s_delay_alu instid0(VALU_DEP_3) | instskip(SKIP_2) | instid1(VALU_DEP_1)
	v_cndmask_b32_e64 v1, 0, v1, s0
	v_cmp_gt_i32_e64 s0, s31, v49
	s_wait_alu 0xf1ff
	v_cndmask_b32_e64 v84, 0, v84, s0
	v_cmp_gt_i32_e64 s0, s31, v48
	s_wait_alu 0xf1ff
	s_delay_alu instid0(VALU_DEP_1) | instskip(SKIP_2) | instid1(VALU_DEP_1)
	v_cndmask_b32_e64 v2, 0, v2, s0
	v_cmp_gt_i32_e64 s0, s31, v45
	s_wait_alu 0xf1ff
	v_cndmask_b32_e64 v83, 0, v83, s0
	v_cmp_gt_i32_e64 s0, s31, v46
	s_wait_alu 0xf1ff
	s_delay_alu instid0(VALU_DEP_1) | instskip(SKIP_2) | instid1(VALU_DEP_1)
	v_cndmask_b32_e64 v85, 0, v85, s0
	v_cmp_gt_i32_e64 s0, s31, v47
	s_wait_alu 0xf1ff
	v_cndmask_b32_e64 v4, 0, v4, s0
	v_cmp_gt_i32_e64 s0, s31, v44
	s_delay_alu instid0(VALU_DEP_2) | instskip(SKIP_1) | instid1(VALU_DEP_2)
	v_or_b32_e32 v4, v85, v4
	s_wait_alu 0xf1ff
	v_cndmask_b32_e64 v3, 0, v3, s0
	v_cmp_gt_i32_e64 s0, s31, v43
	s_wait_alu 0xf1ff
	s_delay_alu instid0(VALU_DEP_1)
	v_cndmask_b32_e64 v82, 0, v82, s0
.LBB115_75:                             ;   in Loop: Header=BB115_38 Depth=1
	s_wait_alu 0xfffe
	s_or_b32 exec_lo, exec_lo, s13
	v_lshlrev_b32_e32 v84, 16, v84
	v_lshlrev_b32_e32 v83, 16, v83
	;; [unrolled: 1-line block ×3, first 2 shown]
	s_delay_alu instid0(VALU_DEP_3) | instskip(NEXT) | instid1(VALU_DEP_3)
	v_and_or_b32 v1, 0xffff, v1, v84
	v_and_or_b32 v2, 0xffff, v2, v83
	s_delay_alu instid0(VALU_DEP_3)
	v_and_or_b32 v3, 0xffff, v3, v82
	;;#ASMSTART
	v_pk_mul_f16 v1, v38, v1;

	;;#ASMEND
	;;#ASMSTART
	v_pk_mul_f16 v2, v37, v2;

	;;#ASMEND
	;; [unrolled: 4-line block ×4, first 2 shown]
	;;#ASMSTART
	v_pk_add_f16 v1, v1, v2;

	;;#ASMEND
	;;#ASMSTART
	v_pk_add_f16 v1, v1, v3;

	;;#ASMEND
	;; [unrolled: 4-line block ×3, first 2 shown]
	v_and_b32_e32 v2, 0xffff, v1
	v_lshrrev_b32_e32 v1, 16, v1
	;;#ASMSTART
	v_cvt_f32_f16 v82, v2;
	;;#ASMEND
	;;#ASMSTART
	v_cvt_f32_f16 v83, v1;
	;;#ASMEND
	global_load_b128 v[1:4], v[5:6], off offset:9216
	s_wait_loadcnt 0x0
	v_lshrrev_b32_e32 v86, 16, v1
	v_lshrrev_b32_e32 v85, 16, v2
	;; [unrolled: 1-line block ×3, first 2 shown]
	s_and_saveexec_b32 s13, vcc_lo
	s_cbranch_execz .LBB115_77
; %bb.76:                               ;   in Loop: Header=BB115_38 Depth=1
	v_cmp_gt_i32_e64 s0, s31, v36
	v_and_b32_e32 v87, 0xffff, v4
	v_and_b32_e32 v4, 0xffff0000, v4
	s_wait_alu 0xf1ff
	s_delay_alu instid0(VALU_DEP_3) | instskip(SKIP_2) | instid1(VALU_DEP_1)
	v_cndmask_b32_e64 v1, 0, v1, s0
	v_cmp_gt_i32_e64 s0, s31, v49
	s_wait_alu 0xf1ff
	v_cndmask_b32_e64 v86, 0, v86, s0
	v_cmp_gt_i32_e64 s0, s31, v48
	s_wait_alu 0xf1ff
	s_delay_alu instid0(VALU_DEP_1) | instskip(SKIP_2) | instid1(VALU_DEP_1)
	v_cndmask_b32_e64 v2, 0, v2, s0
	v_cmp_gt_i32_e64 s0, s31, v45
	s_wait_alu 0xf1ff
	v_cndmask_b32_e64 v85, 0, v85, s0
	v_cmp_gt_i32_e64 s0, s31, v46
	s_wait_alu 0xf1ff
	s_delay_alu instid0(VALU_DEP_1) | instskip(SKIP_2) | instid1(VALU_DEP_1)
	v_cndmask_b32_e64 v87, 0, v87, s0
	v_cmp_gt_i32_e64 s0, s31, v47
	s_wait_alu 0xf1ff
	v_cndmask_b32_e64 v4, 0, v4, s0
	v_cmp_gt_i32_e64 s0, s31, v44
	s_delay_alu instid0(VALU_DEP_2) | instskip(SKIP_1) | instid1(VALU_DEP_2)
	v_or_b32_e32 v4, v87, v4
	s_wait_alu 0xf1ff
	v_cndmask_b32_e64 v3, 0, v3, s0
	v_cmp_gt_i32_e64 s0, s31, v43
	s_wait_alu 0xf1ff
	s_delay_alu instid0(VALU_DEP_1)
	v_cndmask_b32_e64 v84, 0, v84, s0
.LBB115_77:                             ;   in Loop: Header=BB115_38 Depth=1
	s_wait_alu 0xfffe
	s_or_b32 exec_lo, exec_lo, s13
	v_lshlrev_b32_e32 v86, 16, v86
	v_lshlrev_b32_e32 v85, 16, v85
	;; [unrolled: 1-line block ×3, first 2 shown]
	s_delay_alu instid0(VALU_DEP_3) | instskip(NEXT) | instid1(VALU_DEP_3)
	v_and_or_b32 v1, 0xffff, v1, v86
	v_and_or_b32 v2, 0xffff, v2, v85
	s_delay_alu instid0(VALU_DEP_3)
	v_and_or_b32 v3, 0xffff, v3, v84
	;;#ASMSTART
	v_pk_mul_f16 v1, v38, v1;

	;;#ASMEND
	;;#ASMSTART
	v_pk_mul_f16 v2, v37, v2;

	;;#ASMEND
	;; [unrolled: 4-line block ×4, first 2 shown]
	;;#ASMSTART
	v_pk_add_f16 v1, v1, v2;

	;;#ASMEND
	;;#ASMSTART
	v_pk_add_f16 v1, v1, v3;

	;;#ASMEND
	;; [unrolled: 4-line block ×3, first 2 shown]
	v_and_b32_e32 v2, 0xffff, v1
	v_lshrrev_b32_e32 v1, 16, v1
	;;#ASMSTART
	v_cvt_f32_f16 v84, v2;
	;;#ASMEND
	;;#ASMSTART
	v_cvt_f32_f16 v85, v1;
	;;#ASMEND
	global_load_b128 v[1:4], v[5:6], off offset:9728
	s_wait_loadcnt 0x0
	v_lshrrev_b32_e32 v88, 16, v1
	v_lshrrev_b32_e32 v87, 16, v2
	;; [unrolled: 1-line block ×3, first 2 shown]
	s_and_saveexec_b32 s13, vcc_lo
	s_cbranch_execz .LBB115_79
; %bb.78:                               ;   in Loop: Header=BB115_38 Depth=1
	v_cmp_gt_i32_e64 s0, s31, v36
	v_and_b32_e32 v89, 0xffff, v4
	v_and_b32_e32 v4, 0xffff0000, v4
	s_wait_alu 0xf1ff
	s_delay_alu instid0(VALU_DEP_3) | instskip(SKIP_2) | instid1(VALU_DEP_1)
	v_cndmask_b32_e64 v1, 0, v1, s0
	v_cmp_gt_i32_e64 s0, s31, v49
	s_wait_alu 0xf1ff
	v_cndmask_b32_e64 v88, 0, v88, s0
	v_cmp_gt_i32_e64 s0, s31, v48
	s_wait_alu 0xf1ff
	s_delay_alu instid0(VALU_DEP_1) | instskip(SKIP_2) | instid1(VALU_DEP_1)
	v_cndmask_b32_e64 v2, 0, v2, s0
	v_cmp_gt_i32_e64 s0, s31, v45
	s_wait_alu 0xf1ff
	v_cndmask_b32_e64 v87, 0, v87, s0
	v_cmp_gt_i32_e64 s0, s31, v46
	s_wait_alu 0xf1ff
	s_delay_alu instid0(VALU_DEP_1) | instskip(SKIP_2) | instid1(VALU_DEP_1)
	v_cndmask_b32_e64 v89, 0, v89, s0
	v_cmp_gt_i32_e64 s0, s31, v47
	s_wait_alu 0xf1ff
	v_cndmask_b32_e64 v4, 0, v4, s0
	v_cmp_gt_i32_e64 s0, s31, v44
	s_delay_alu instid0(VALU_DEP_2) | instskip(SKIP_1) | instid1(VALU_DEP_2)
	v_or_b32_e32 v4, v89, v4
	s_wait_alu 0xf1ff
	v_cndmask_b32_e64 v3, 0, v3, s0
	v_cmp_gt_i32_e64 s0, s31, v43
	s_wait_alu 0xf1ff
	s_delay_alu instid0(VALU_DEP_1)
	v_cndmask_b32_e64 v86, 0, v86, s0
.LBB115_79:                             ;   in Loop: Header=BB115_38 Depth=1
	s_wait_alu 0xfffe
	s_or_b32 exec_lo, exec_lo, s13
	v_lshlrev_b32_e32 v88, 16, v88
	v_lshlrev_b32_e32 v87, 16, v87
	;; [unrolled: 1-line block ×3, first 2 shown]
	s_delay_alu instid0(VALU_DEP_3) | instskip(NEXT) | instid1(VALU_DEP_3)
	v_and_or_b32 v1, 0xffff, v1, v88
	v_and_or_b32 v2, 0xffff, v2, v87
	s_delay_alu instid0(VALU_DEP_3)
	v_and_or_b32 v3, 0xffff, v3, v86
	;;#ASMSTART
	v_pk_mul_f16 v1, v38, v1;

	;;#ASMEND
	;;#ASMSTART
	v_pk_mul_f16 v2, v37, v2;

	;;#ASMEND
	;;#ASMSTART
	v_pk_mul_f16 v3, v41, v3;

	;;#ASMEND
	;;#ASMSTART
	v_pk_mul_f16 v4, v42, v4;

	;;#ASMEND
	;;#ASMSTART
	v_pk_add_f16 v1, v1, v2;

	;;#ASMEND
	;;#ASMSTART
	v_pk_add_f16 v1, v1, v3;

	;;#ASMEND
	;; [unrolled: 4-line block ×3, first 2 shown]
	v_and_b32_e32 v2, 0xffff, v1
	v_lshrrev_b32_e32 v1, 16, v1
	;;#ASMSTART
	v_cvt_f32_f16 v86, v2;
	;;#ASMEND
	;;#ASMSTART
	v_cvt_f32_f16 v87, v1;
	;;#ASMEND
	global_load_b128 v[1:4], v[5:6], off offset:10240
	s_wait_loadcnt 0x0
	v_lshrrev_b32_e32 v90, 16, v1
	v_lshrrev_b32_e32 v89, 16, v2
	;; [unrolled: 1-line block ×3, first 2 shown]
	s_and_saveexec_b32 s13, vcc_lo
	s_cbranch_execz .LBB115_81
; %bb.80:                               ;   in Loop: Header=BB115_38 Depth=1
	v_cmp_gt_i32_e64 s0, s31, v36
	v_and_b32_e32 v91, 0xffff, v4
	v_and_b32_e32 v4, 0xffff0000, v4
	s_wait_alu 0xf1ff
	s_delay_alu instid0(VALU_DEP_3) | instskip(SKIP_2) | instid1(VALU_DEP_1)
	v_cndmask_b32_e64 v1, 0, v1, s0
	v_cmp_gt_i32_e64 s0, s31, v49
	s_wait_alu 0xf1ff
	v_cndmask_b32_e64 v90, 0, v90, s0
	v_cmp_gt_i32_e64 s0, s31, v48
	s_wait_alu 0xf1ff
	s_delay_alu instid0(VALU_DEP_1) | instskip(SKIP_2) | instid1(VALU_DEP_1)
	v_cndmask_b32_e64 v2, 0, v2, s0
	v_cmp_gt_i32_e64 s0, s31, v45
	s_wait_alu 0xf1ff
	v_cndmask_b32_e64 v89, 0, v89, s0
	v_cmp_gt_i32_e64 s0, s31, v46
	s_wait_alu 0xf1ff
	s_delay_alu instid0(VALU_DEP_1) | instskip(SKIP_2) | instid1(VALU_DEP_1)
	v_cndmask_b32_e64 v91, 0, v91, s0
	v_cmp_gt_i32_e64 s0, s31, v47
	s_wait_alu 0xf1ff
	v_cndmask_b32_e64 v4, 0, v4, s0
	v_cmp_gt_i32_e64 s0, s31, v44
	s_delay_alu instid0(VALU_DEP_2) | instskip(SKIP_1) | instid1(VALU_DEP_2)
	v_or_b32_e32 v4, v91, v4
	s_wait_alu 0xf1ff
	v_cndmask_b32_e64 v3, 0, v3, s0
	v_cmp_gt_i32_e64 s0, s31, v43
	s_wait_alu 0xf1ff
	s_delay_alu instid0(VALU_DEP_1)
	v_cndmask_b32_e64 v88, 0, v88, s0
.LBB115_81:                             ;   in Loop: Header=BB115_38 Depth=1
	s_wait_alu 0xfffe
	s_or_b32 exec_lo, exec_lo, s13
	v_lshlrev_b32_e32 v90, 16, v90
	v_lshlrev_b32_e32 v89, 16, v89
	;; [unrolled: 1-line block ×3, first 2 shown]
	s_delay_alu instid0(VALU_DEP_3) | instskip(NEXT) | instid1(VALU_DEP_3)
	v_and_or_b32 v1, 0xffff, v1, v90
	v_and_or_b32 v2, 0xffff, v2, v89
	s_delay_alu instid0(VALU_DEP_3)
	v_and_or_b32 v3, 0xffff, v3, v88
	;;#ASMSTART
	v_pk_mul_f16 v1, v38, v1;

	;;#ASMEND
	;;#ASMSTART
	v_pk_mul_f16 v2, v37, v2;

	;;#ASMEND
	;; [unrolled: 4-line block ×4, first 2 shown]
	;;#ASMSTART
	v_pk_add_f16 v1, v1, v2;

	;;#ASMEND
	;;#ASMSTART
	v_pk_add_f16 v1, v1, v3;

	;;#ASMEND
	;; [unrolled: 4-line block ×3, first 2 shown]
	v_and_b32_e32 v2, 0xffff, v1
	v_lshrrev_b32_e32 v1, 16, v1
	;;#ASMSTART
	v_cvt_f32_f16 v88, v2;
	;;#ASMEND
	;;#ASMSTART
	v_cvt_f32_f16 v89, v1;
	;;#ASMEND
	global_load_b128 v[1:4], v[5:6], off offset:10752
	s_wait_loadcnt 0x0
	v_lshrrev_b32_e32 v92, 16, v1
	v_lshrrev_b32_e32 v91, 16, v2
	;; [unrolled: 1-line block ×3, first 2 shown]
	s_and_saveexec_b32 s13, vcc_lo
	s_cbranch_execz .LBB115_83
; %bb.82:                               ;   in Loop: Header=BB115_38 Depth=1
	v_cmp_gt_i32_e64 s0, s31, v36
	v_and_b32_e32 v94, 0xffff, v4
	v_and_b32_e32 v4, 0xffff0000, v4
	s_wait_alu 0xf1ff
	s_delay_alu instid0(VALU_DEP_3) | instskip(SKIP_2) | instid1(VALU_DEP_1)
	v_cndmask_b32_e64 v1, 0, v1, s0
	v_cmp_gt_i32_e64 s0, s31, v49
	s_wait_alu 0xf1ff
	v_cndmask_b32_e64 v92, 0, v92, s0
	v_cmp_gt_i32_e64 s0, s31, v48
	s_wait_alu 0xf1ff
	s_delay_alu instid0(VALU_DEP_1) | instskip(SKIP_2) | instid1(VALU_DEP_1)
	v_cndmask_b32_e64 v2, 0, v2, s0
	v_cmp_gt_i32_e64 s0, s31, v45
	s_wait_alu 0xf1ff
	v_cndmask_b32_e64 v91, 0, v91, s0
	v_cmp_gt_i32_e64 s0, s31, v46
	s_wait_alu 0xf1ff
	s_delay_alu instid0(VALU_DEP_1) | instskip(SKIP_2) | instid1(VALU_DEP_1)
	v_cndmask_b32_e64 v94, 0, v94, s0
	v_cmp_gt_i32_e64 s0, s31, v47
	s_wait_alu 0xf1ff
	v_cndmask_b32_e64 v4, 0, v4, s0
	v_cmp_gt_i32_e64 s0, s31, v44
	s_delay_alu instid0(VALU_DEP_2) | instskip(SKIP_1) | instid1(VALU_DEP_2)
	v_or_b32_e32 v4, v94, v4
	s_wait_alu 0xf1ff
	v_cndmask_b32_e64 v3, 0, v3, s0
	v_cmp_gt_i32_e64 s0, s31, v43
	s_wait_alu 0xf1ff
	s_delay_alu instid0(VALU_DEP_1)
	v_cndmask_b32_e64 v90, 0, v90, s0
.LBB115_83:                             ;   in Loop: Header=BB115_38 Depth=1
	s_wait_alu 0xfffe
	s_or_b32 exec_lo, exec_lo, s13
	v_lshlrev_b32_e32 v92, 16, v92
	v_lshlrev_b32_e32 v91, 16, v91
	;; [unrolled: 1-line block ×3, first 2 shown]
	s_delay_alu instid0(VALU_DEP_3) | instskip(NEXT) | instid1(VALU_DEP_3)
	v_and_or_b32 v1, 0xffff, v1, v92
	v_and_or_b32 v2, 0xffff, v2, v91
	s_delay_alu instid0(VALU_DEP_3)
	v_and_or_b32 v3, 0xffff, v3, v90
	;;#ASMSTART
	v_pk_mul_f16 v1, v38, v1;

	;;#ASMEND
	;;#ASMSTART
	v_pk_mul_f16 v2, v37, v2;

	;;#ASMEND
	;; [unrolled: 4-line block ×4, first 2 shown]
	;;#ASMSTART
	v_pk_add_f16 v1, v1, v2;

	;;#ASMEND
	;;#ASMSTART
	v_pk_add_f16 v1, v1, v3;

	;;#ASMEND
	;; [unrolled: 4-line block ×3, first 2 shown]
	v_and_b32_e32 v2, 0xffff, v1
	v_lshrrev_b32_e32 v1, 16, v1
	;;#ASMSTART
	v_cvt_f32_f16 v90, v2;
	;;#ASMEND
	;;#ASMSTART
	v_cvt_f32_f16 v91, v1;
	;;#ASMEND
	global_load_b128 v[1:4], v[5:6], off offset:11264
	s_wait_loadcnt 0x0
	v_lshrrev_b32_e32 v95, 16, v1
	v_lshrrev_b32_e32 v94, 16, v2
	v_lshrrev_b32_e32 v92, 16, v3
	s_and_saveexec_b32 s13, vcc_lo
	s_cbranch_execz .LBB115_85
; %bb.84:                               ;   in Loop: Header=BB115_38 Depth=1
	v_cmp_gt_i32_e64 s0, s31, v36
	v_and_b32_e32 v98, 0xffff, v4
	v_and_b32_e32 v4, 0xffff0000, v4
	s_wait_alu 0xf1ff
	s_delay_alu instid0(VALU_DEP_3) | instskip(SKIP_2) | instid1(VALU_DEP_1)
	v_cndmask_b32_e64 v1, 0, v1, s0
	v_cmp_gt_i32_e64 s0, s31, v49
	s_wait_alu 0xf1ff
	v_cndmask_b32_e64 v95, 0, v95, s0
	v_cmp_gt_i32_e64 s0, s31, v48
	s_wait_alu 0xf1ff
	s_delay_alu instid0(VALU_DEP_1) | instskip(SKIP_2) | instid1(VALU_DEP_1)
	v_cndmask_b32_e64 v2, 0, v2, s0
	v_cmp_gt_i32_e64 s0, s31, v45
	s_wait_alu 0xf1ff
	v_cndmask_b32_e64 v94, 0, v94, s0
	v_cmp_gt_i32_e64 s0, s31, v46
	s_wait_alu 0xf1ff
	s_delay_alu instid0(VALU_DEP_1) | instskip(SKIP_2) | instid1(VALU_DEP_1)
	v_cndmask_b32_e64 v98, 0, v98, s0
	v_cmp_gt_i32_e64 s0, s31, v47
	s_wait_alu 0xf1ff
	v_cndmask_b32_e64 v4, 0, v4, s0
	v_cmp_gt_i32_e64 s0, s31, v44
	s_delay_alu instid0(VALU_DEP_2) | instskip(SKIP_1) | instid1(VALU_DEP_2)
	v_or_b32_e32 v4, v98, v4
	s_wait_alu 0xf1ff
	v_cndmask_b32_e64 v3, 0, v3, s0
	v_cmp_gt_i32_e64 s0, s31, v43
	s_wait_alu 0xf1ff
	s_delay_alu instid0(VALU_DEP_1)
	v_cndmask_b32_e64 v92, 0, v92, s0
.LBB115_85:                             ;   in Loop: Header=BB115_38 Depth=1
	s_wait_alu 0xfffe
	s_or_b32 exec_lo, exec_lo, s13
	v_lshlrev_b32_e32 v95, 16, v95
	v_lshlrev_b32_e32 v94, 16, v94
	;; [unrolled: 1-line block ×3, first 2 shown]
	s_delay_alu instid0(VALU_DEP_3) | instskip(NEXT) | instid1(VALU_DEP_3)
	v_and_or_b32 v1, 0xffff, v1, v95
	v_and_or_b32 v2, 0xffff, v2, v94
	s_delay_alu instid0(VALU_DEP_3)
	v_and_or_b32 v3, 0xffff, v3, v92
	;;#ASMSTART
	v_pk_mul_f16 v1, v38, v1;

	;;#ASMEND
	;;#ASMSTART
	v_pk_mul_f16 v2, v37, v2;

	;;#ASMEND
	;; [unrolled: 4-line block ×4, first 2 shown]
	;;#ASMSTART
	v_pk_add_f16 v1, v1, v2;

	;;#ASMEND
	;;#ASMSTART
	v_pk_add_f16 v1, v1, v3;

	;;#ASMEND
	;; [unrolled: 4-line block ×3, first 2 shown]
	v_and_b32_e32 v2, 0xffff, v1
	v_lshrrev_b32_e32 v1, 16, v1
	;;#ASMSTART
	v_cvt_f32_f16 v94, v2;
	;;#ASMEND
	;;#ASMSTART
	v_cvt_f32_f16 v95, v1;
	;;#ASMEND
	global_load_b128 v[1:4], v[5:6], off offset:11776
	s_wait_loadcnt 0x0
	v_lshrrev_b32_e32 v92, 16, v1
	v_lshrrev_b32_e32 v6, 16, v2
	;; [unrolled: 1-line block ×3, first 2 shown]
	s_and_saveexec_b32 s0, vcc_lo
	s_cbranch_execz .LBB115_36
; %bb.86:                               ;   in Loop: Header=BB115_38 Depth=1
	v_cmp_gt_i32_e32 vcc_lo, s31, v36
	v_and_b32_e32 v36, 0xffff, v4
	s_wait_alu 0xfffd
	v_dual_cndmask_b32 v1, 0, v1 :: v_dual_and_b32 v4, 0xffff0000, v4
	v_cmp_gt_i32_e32 vcc_lo, s31, v49
	s_wait_alu 0xfffd
	v_cndmask_b32_e32 v92, 0, v92, vcc_lo
	v_cmp_gt_i32_e32 vcc_lo, s31, v48
	s_wait_alu 0xfffd
	v_cndmask_b32_e32 v2, 0, v2, vcc_lo
	;; [unrolled: 3-line block ×5, first 2 shown]
	v_cmp_gt_i32_e32 vcc_lo, s31, v44
	s_delay_alu instid0(VALU_DEP_2)
	v_or_b32_e32 v4, v36, v4
	s_wait_alu 0xfffd
	v_cndmask_b32_e32 v3, 0, v3, vcc_lo
	v_cmp_gt_i32_e32 vcc_lo, s31, v43
	s_wait_alu 0xfffd
	v_cndmask_b32_e32 v5, 0, v5, vcc_lo
	s_branch .LBB115_36
.LBB115_87:
	s_or_b32 exec_lo, exec_lo, s9
.LBB115_88:
	s_wait_alu 0xfffe
	s_or_b32 exec_lo, exec_lo, s1
	ds_bpermute_b32 v1, v8, v32
	ds_bpermute_b32 v2, v8, v31
	;; [unrolled: 1-line block ×19, first 2 shown]
	s_mov_b32 s0, exec_lo
	s_wait_dscnt 0x11
	v_dual_add_f32 v1, v32, v1 :: v_dual_add_f32 v2, v31, v2
	s_wait_dscnt 0xf
	v_dual_add_f32 v30, v30, v3 :: v_dual_add_f32 v29, v29, v4
	ds_bpermute_b32 v31, v8, v15
	ds_bpermute_b32 v3, v7, v1
	;; [unrolled: 1-line block ×5, first 2 shown]
	s_wait_dscnt 0x12
	v_dual_add_f32 v5, v28, v5 :: v_dual_add_f32 v6, v27, v6
	s_wait_dscnt 0xb
	v_dual_add_f32 v26, v26, v33 :: v_dual_add_f32 v25, v25, v34
	v_add_f32_e32 v27, v24, v35
	v_add_f32_e32 v33, v22, v37
	ds_bpermute_b32 v24, v8, v12
	s_wait_dscnt 0xb
	v_dual_add_f32 v43, v16, v43 :: v_dual_add_f32 v46, v14, v46
	ds_bpermute_b32 v22, v7, v5
	ds_bpermute_b32 v34, v7, v26
	s_wait_dscnt 0xb
	v_add_f32_e32 v28, v23, v36
	ds_bpermute_b32 v49, v7, v43
	s_wait_dscnt 0x9
	v_add_f32_e32 v47, v13, v47
	;; [unrolled: 3-line block ×3, first 2 shown]
	s_wait_dscnt 0x7
	v_dual_add_f32 v4, v1, v3 :: v_dual_add_f32 v3, v2, v32
	s_wait_dscnt 0x5
	v_dual_add_f32 v2, v30, v44 :: v_dual_add_f32 v1, v29, v45
	v_dual_add_f32 v29, v21, v38 :: v_dual_add_f32 v32, v19, v40
	ds_bpermute_b32 v21, v8, v11
	v_add_f32_e32 v30, v20, v39
	ds_bpermute_b32 v20, v8, v10
	ds_bpermute_b32 v8, v8, v9
	;; [unrolled: 1-line block ×3, first 2 shown]
	v_add_f32_e32 v39, v18, v41
	v_add_f32_e32 v41, v17, v42
	ds_bpermute_b32 v42, v7, v32
	s_wait_dscnt 0x9
	v_add_f32_e32 v51, v12, v24
	ds_bpermute_b32 v35, v7, v25
	ds_bpermute_b32 v36, v7, v27
	;; [unrolled: 1-line block ×6, first 2 shown]
	s_wait_dscnt 0xe
	v_add_f32_e32 v24, v5, v22
	ds_bpermute_b32 v50, v7, v31
	s_wait_dscnt 0xe
	v_add_f32_e32 v22, v26, v34
	ds_bpermute_b32 v54, v7, v47
	s_wait_dscnt 0xe
	v_add_f32_e32 v12, v43, v49
	s_wait_dscnt 0xc
	v_add_f32_e32 v53, v11, v21
	ds_bpermute_b32 v55, v7, v51
	s_wait_dscnt 0xc
	v_add_f32_e32 v10, v10, v20
	s_wait_dscnt 0xb
	v_add_f32_e32 v56, v9, v8
	ds_bpermute_b32 v44, v7, v39
	ds_bpermute_b32 v45, v7, v41
	s_wait_dscnt 0xc
	v_add_f32_e32 v18, v33, v48
	ds_bpermute_b32 v8, v7, v53
	ds_bpermute_b32 v57, v7, v10
	;; [unrolled: 1-line block ×3, first 2 shown]
	s_wait_dscnt 0xe
	v_dual_add_f32 v15, v32, v42 :: v_dual_and_b32 v26, 28, v97
	s_wait_dscnt 0xc
	v_dual_add_f32 v23, v6, v23 :: v_dual_add_f32 v20, v27, v36
	s_wait_dscnt 0x9
	v_dual_add_f32 v21, v25, v35 :: v_dual_add_f32 v16, v30, v40
	v_add_f32_e32 v19, v28, v37
	v_add_f32_e32 v17, v29, v38
	s_wait_dscnt 0x7
	v_add_f32_e32 v11, v31, v50
	v_add_f32_e32 v9, v46, v52
	s_wait_dscnt 0x6
	v_add_f32_e32 v7, v47, v54
	s_wait_dscnt 0x5
	v_add_f32_e32 v6, v51, v55
	v_and_b32_e32 v28, 0x3c3, v0
	v_lshrrev_b32_e32 v25, 2, v97
	s_wait_dscnt 0x3
	v_dual_add_f32 v14, v39, v44 :: v_dual_add_f32 v13, v41, v45
	s_wait_dscnt 0x2
	v_dual_add_f32 v5, v53, v8 :: v_dual_add_nc_u32 v26, 0x1a0, v26
	s_wait_dscnt 0x1
	v_add_f32_e32 v8, v10, v57
	s_wait_dscnt 0x0
	v_add_f32_e32 v10, v56, v58
	v_mul_u32_u24_e32 v27, 0x300, v96
	s_wait_loadcnt 0x0
	s_wait_storecnt 0x0
	s_barrier_signal -1
	s_barrier_wait -1
	global_inv scope:SCOPE_SE
	v_cmpx_eq_u32_e32 64, v28
	s_cbranch_execz .LBB115_90
; %bb.89:
	v_add_nc_u32_e32 v28, v26, v27
	s_delay_alu instid0(VALU_DEP_1)
	v_add_nc_u32_e32 v29, 0xfffffa00, v28
	v_add_nc_u32_e32 v30, 0xfffffa20, v28
	v_add_nc_u32_e32 v31, 0xfffffa40, v28
	v_add_nc_u32_e32 v32, 0xfffffa60, v28
	v_add_nc_u32_e32 v33, 0xfffffa80, v28
	v_add_nc_u32_e32 v34, 0xfffffaa0, v28
	v_add_nc_u32_e32 v35, 0xfffffac0, v28
	v_add_nc_u32_e32 v36, 0xfffffae0, v28
	ds_store_b32 v29, v4
	ds_store_b32 v30, v3
	ds_store_b32 v31, v2
	ds_store_b32 v32, v1
	ds_store_b32 v33, v24
	ds_store_b32 v34, v23
	ds_store_b32 v35, v22
	ds_store_b32 v36, v21
	v_add_nc_u32_e32 v29, 0xfffffb00, v28
	v_add_nc_u32_e32 v30, 0xfffffb20, v28
	v_add_nc_u32_e32 v31, 0xfffffb40, v28
	v_add_nc_u32_e32 v32, 0xfffffb60, v28
	v_add_nc_u32_e32 v33, 0xfffffb80, v28
	v_add_nc_u32_e32 v34, 0xfffffba0, v28
	v_add_nc_u32_e32 v35, 0xfffffbc0, v28
	v_add_nc_u32_e32 v36, 0xfffffbe0, v28
	ds_store_b32 v29, v20
	ds_store_b32 v30, v19
	ds_store_b32 v31, v18
	ds_store_b32 v32, v17
	ds_store_b32 v33, v16
	ds_store_b32 v34, v15
	ds_store_b32 v35, v14
	ds_store_b32 v36, v13
	;; [unrolled: 16-line block ×3, first 2 shown]
.LBB115_90:
	s_wait_alu 0xfffe
	s_or_b32 exec_lo, exec_lo, s0
	v_lshlrev_b32_e32 v25, 2, v25
	v_and_b32_e32 v28, 3, v0
	s_mov_b32 s1, exec_lo
	s_wait_loadcnt_dscnt 0x0
	s_barrier_signal -1
	v_add3_u32 v25, 0x1a0, v27, v25
	v_cmp_eq_u32_e32 vcc_lo, 0, v28
	s_barrier_wait -1
	global_inv scope:SCOPE_SE
	v_cmpx_gt_u32_e32 64, v0
	s_cbranch_execz .LBB115_117
; %bb.91:
	s_and_saveexec_b32 s0, vcc_lo
	s_cbranch_execnz .LBB115_149
; %bb.92:
	s_wait_alu 0xfffe
	s_or_b32 exec_lo, exec_lo, s0
	s_and_saveexec_b32 s0, vcc_lo
	s_cbranch_execnz .LBB115_150
.LBB115_93:
	s_wait_alu 0xfffe
	s_or_b32 exec_lo, exec_lo, s0
	s_and_saveexec_b32 s0, vcc_lo
	s_cbranch_execnz .LBB115_151
.LBB115_94:
	s_wait_alu 0xfffe
	s_or_b32 exec_lo, exec_lo, s0
	s_and_saveexec_b32 s0, vcc_lo
	s_cbranch_execnz .LBB115_152
.LBB115_95:
	s_wait_alu 0xfffe
	s_or_b32 exec_lo, exec_lo, s0
	s_and_saveexec_b32 s0, vcc_lo
	s_cbranch_execnz .LBB115_153
.LBB115_96:
	s_wait_alu 0xfffe
	s_or_b32 exec_lo, exec_lo, s0
	s_and_saveexec_b32 s0, vcc_lo
	s_cbranch_execnz .LBB115_154
.LBB115_97:
	s_wait_alu 0xfffe
	s_or_b32 exec_lo, exec_lo, s0
	s_and_saveexec_b32 s0, vcc_lo
	s_cbranch_execnz .LBB115_155
.LBB115_98:
	s_wait_alu 0xfffe
	s_or_b32 exec_lo, exec_lo, s0
	s_and_saveexec_b32 s0, vcc_lo
	s_cbranch_execnz .LBB115_156
.LBB115_99:
	s_wait_alu 0xfffe
	s_or_b32 exec_lo, exec_lo, s0
	s_and_saveexec_b32 s0, vcc_lo
	s_cbranch_execnz .LBB115_157
.LBB115_100:
	s_wait_alu 0xfffe
	s_or_b32 exec_lo, exec_lo, s0
	s_and_saveexec_b32 s0, vcc_lo
	s_cbranch_execnz .LBB115_158
.LBB115_101:
	s_wait_alu 0xfffe
	s_or_b32 exec_lo, exec_lo, s0
	s_and_saveexec_b32 s0, vcc_lo
	s_cbranch_execnz .LBB115_159
.LBB115_102:
	s_wait_alu 0xfffe
	s_or_b32 exec_lo, exec_lo, s0
	s_and_saveexec_b32 s0, vcc_lo
	s_cbranch_execnz .LBB115_160
.LBB115_103:
	s_wait_alu 0xfffe
	s_or_b32 exec_lo, exec_lo, s0
	s_and_saveexec_b32 s0, vcc_lo
	s_cbranch_execnz .LBB115_161
.LBB115_104:
	s_wait_alu 0xfffe
	s_or_b32 exec_lo, exec_lo, s0
	s_and_saveexec_b32 s0, vcc_lo
	s_cbranch_execnz .LBB115_162
.LBB115_105:
	s_wait_alu 0xfffe
	s_or_b32 exec_lo, exec_lo, s0
	s_and_saveexec_b32 s0, vcc_lo
	s_cbranch_execnz .LBB115_163
.LBB115_106:
	s_wait_alu 0xfffe
	s_or_b32 exec_lo, exec_lo, s0
	s_and_saveexec_b32 s0, vcc_lo
	s_cbranch_execnz .LBB115_164
.LBB115_107:
	s_wait_alu 0xfffe
	s_or_b32 exec_lo, exec_lo, s0
	s_and_saveexec_b32 s0, vcc_lo
	s_cbranch_execnz .LBB115_165
.LBB115_108:
	s_wait_alu 0xfffe
	s_or_b32 exec_lo, exec_lo, s0
	s_and_saveexec_b32 s0, vcc_lo
	s_cbranch_execnz .LBB115_166
.LBB115_109:
	s_wait_alu 0xfffe
	s_or_b32 exec_lo, exec_lo, s0
	s_and_saveexec_b32 s0, vcc_lo
	s_cbranch_execnz .LBB115_167
.LBB115_110:
	s_wait_alu 0xfffe
	s_or_b32 exec_lo, exec_lo, s0
	s_and_saveexec_b32 s0, vcc_lo
	s_cbranch_execnz .LBB115_168
.LBB115_111:
	s_wait_alu 0xfffe
	s_or_b32 exec_lo, exec_lo, s0
	s_and_saveexec_b32 s0, vcc_lo
	s_cbranch_execnz .LBB115_169
.LBB115_112:
	s_wait_alu 0xfffe
	s_or_b32 exec_lo, exec_lo, s0
	s_and_saveexec_b32 s0, vcc_lo
	s_cbranch_execnz .LBB115_170
.LBB115_113:
	s_wait_alu 0xfffe
	s_or_b32 exec_lo, exec_lo, s0
	s_and_saveexec_b32 s0, vcc_lo
	s_cbranch_execnz .LBB115_171
.LBB115_114:
	s_wait_alu 0xfffe
	s_or_b32 exec_lo, exec_lo, s0
	s_and_saveexec_b32 s0, vcc_lo
	s_cbranch_execz .LBB115_116
.LBB115_115:
	ds_load_b32 v27, v25 offset:736
	s_wait_dscnt 0x0
	v_add_f32_e32 v10, v10, v27
.LBB115_116:
	s_wait_alu 0xfffe
	s_or_b32 exec_lo, exec_lo, s0
.LBB115_117:
	s_wait_alu 0xfffe
	s_or_b32 exec_lo, exec_lo, s1
	v_and_b32_e32 v27, 0x3e3, v0
	s_mov_b32 s1, exec_lo
	s_wait_loadcnt 0x0
	s_barrier_signal -1
	s_barrier_wait -1
	global_inv scope:SCOPE_SE
	v_cmpx_eq_u32_e32 32, v27
	s_cbranch_execz .LBB115_119
; %bb.118:
	ds_store_2addr_b32 v26, v4, v3 offset1:8
	ds_store_2addr_b32 v26, v2, v1 offset0:16 offset1:24
	ds_store_2addr_b32 v26, v24, v23 offset0:32 offset1:40
	;; [unrolled: 1-line block ×11, first 2 shown]
.LBB115_119:
	s_wait_alu 0xfffe
	s_or_b32 exec_lo, exec_lo, s1
	s_delay_alu instid0(SALU_CYCLE_1)
	s_mov_b32 s1, exec_lo
	s_wait_loadcnt_dscnt 0x0
	s_barrier_signal -1
	s_barrier_wait -1
	global_inv scope:SCOPE_SE
	v_cmpx_gt_u32_e32 32, v0
	s_cbranch_execz .LBB115_146
; %bb.120:
	s_and_saveexec_b32 s0, vcc_lo
	s_cbranch_execnz .LBB115_172
; %bb.121:
	s_wait_alu 0xfffe
	s_or_b32 exec_lo, exec_lo, s0
	s_and_saveexec_b32 s0, vcc_lo
	s_cbranch_execnz .LBB115_173
.LBB115_122:
	s_wait_alu 0xfffe
	s_or_b32 exec_lo, exec_lo, s0
	s_and_saveexec_b32 s0, vcc_lo
	s_cbranch_execnz .LBB115_174
.LBB115_123:
	s_wait_alu 0xfffe
	s_or_b32 exec_lo, exec_lo, s0
	s_and_saveexec_b32 s0, vcc_lo
	s_cbranch_execnz .LBB115_175
.LBB115_124:
	s_wait_alu 0xfffe
	s_or_b32 exec_lo, exec_lo, s0
	s_and_saveexec_b32 s0, vcc_lo
	s_cbranch_execnz .LBB115_176
.LBB115_125:
	s_wait_alu 0xfffe
	s_or_b32 exec_lo, exec_lo, s0
	s_and_saveexec_b32 s0, vcc_lo
	s_cbranch_execnz .LBB115_177
.LBB115_126:
	s_wait_alu 0xfffe
	s_or_b32 exec_lo, exec_lo, s0
	s_and_saveexec_b32 s0, vcc_lo
	s_cbranch_execnz .LBB115_178
.LBB115_127:
	s_wait_alu 0xfffe
	s_or_b32 exec_lo, exec_lo, s0
	s_and_saveexec_b32 s0, vcc_lo
	s_cbranch_execnz .LBB115_179
.LBB115_128:
	s_wait_alu 0xfffe
	s_or_b32 exec_lo, exec_lo, s0
	s_and_saveexec_b32 s0, vcc_lo
	s_cbranch_execnz .LBB115_180
.LBB115_129:
	s_wait_alu 0xfffe
	s_or_b32 exec_lo, exec_lo, s0
	s_and_saveexec_b32 s0, vcc_lo
	s_cbranch_execnz .LBB115_181
.LBB115_130:
	s_wait_alu 0xfffe
	s_or_b32 exec_lo, exec_lo, s0
	s_and_saveexec_b32 s0, vcc_lo
	s_cbranch_execnz .LBB115_182
.LBB115_131:
	s_wait_alu 0xfffe
	s_or_b32 exec_lo, exec_lo, s0
	s_and_saveexec_b32 s0, vcc_lo
	s_cbranch_execnz .LBB115_183
.LBB115_132:
	s_wait_alu 0xfffe
	s_or_b32 exec_lo, exec_lo, s0
	s_and_saveexec_b32 s0, vcc_lo
	s_cbranch_execnz .LBB115_184
.LBB115_133:
	s_wait_alu 0xfffe
	s_or_b32 exec_lo, exec_lo, s0
	s_and_saveexec_b32 s0, vcc_lo
	s_cbranch_execnz .LBB115_185
.LBB115_134:
	s_wait_alu 0xfffe
	s_or_b32 exec_lo, exec_lo, s0
	s_and_saveexec_b32 s0, vcc_lo
	s_cbranch_execnz .LBB115_186
.LBB115_135:
	s_wait_alu 0xfffe
	s_or_b32 exec_lo, exec_lo, s0
	s_and_saveexec_b32 s0, vcc_lo
	s_cbranch_execnz .LBB115_187
.LBB115_136:
	s_wait_alu 0xfffe
	s_or_b32 exec_lo, exec_lo, s0
	s_and_saveexec_b32 s0, vcc_lo
	s_cbranch_execnz .LBB115_188
.LBB115_137:
	s_wait_alu 0xfffe
	s_or_b32 exec_lo, exec_lo, s0
	s_and_saveexec_b32 s0, vcc_lo
	s_cbranch_execnz .LBB115_189
.LBB115_138:
	s_wait_alu 0xfffe
	s_or_b32 exec_lo, exec_lo, s0
	s_and_saveexec_b32 s0, vcc_lo
	s_cbranch_execnz .LBB115_190
.LBB115_139:
	s_wait_alu 0xfffe
	s_or_b32 exec_lo, exec_lo, s0
	s_and_saveexec_b32 s0, vcc_lo
	s_cbranch_execnz .LBB115_191
.LBB115_140:
	s_wait_alu 0xfffe
	s_or_b32 exec_lo, exec_lo, s0
	s_and_saveexec_b32 s0, vcc_lo
	s_cbranch_execnz .LBB115_192
.LBB115_141:
	s_wait_alu 0xfffe
	s_or_b32 exec_lo, exec_lo, s0
	s_and_saveexec_b32 s0, vcc_lo
	s_cbranch_execnz .LBB115_193
.LBB115_142:
	s_wait_alu 0xfffe
	s_or_b32 exec_lo, exec_lo, s0
	s_and_saveexec_b32 s0, vcc_lo
	s_cbranch_execnz .LBB115_194
.LBB115_143:
	s_wait_alu 0xfffe
	s_or_b32 exec_lo, exec_lo, s0
	s_and_saveexec_b32 s0, vcc_lo
	s_cbranch_execz .LBB115_145
.LBB115_144:
	ds_load_b32 v25, v25 offset:736
	s_wait_dscnt 0x0
	v_add_f32_e32 v10, v10, v25
.LBB115_145:
	s_wait_alu 0xfffe
	s_or_b32 exec_lo, exec_lo, s0
.LBB115_146:
	s_wait_alu 0xfffe
	s_or_b32 exec_lo, exec_lo, s1
	s_mov_b32 s1, 0
	s_wait_loadcnt 0x0
	s_barrier_signal -1
	s_barrier_wait -1
	global_inv scope:SCOPE_SE
	s_mov_b32 s0, exec_lo
	v_cmpx_eq_u32_e32 0, v27
	s_cbranch_execz .LBB115_148
; %bb.147:
	s_mul_i32 s2, s26, 0xc0
	s_mul_i32 s4, s7, s16
	s_wait_alu 0xfffe
	s_ashr_i32 s3, s2, 31
	s_ashr_i32 s5, s4, 31
	s_wait_alu 0xfffe
	s_lshl_b64 s[2:3], s[2:3], 1
	s_lshl_b64 s[4:5], s[4:5], 1
	s_wait_kmcnt 0x0
	s_wait_alu 0xfffe
	s_add_nc_u64 s[2:3], s[24:25], s[2:3]
	v_lshrrev_b32_e32 v0, 1, v0
	s_mul_i32 s0, s30, 0x180
	s_wait_alu 0xfffe
	s_add_nc_u64 s[2:3], s[2:3], s[4:5]
	;;#ASMSTART
	v_cvt_f16_f32 v4, v4;

	;;#ASMEND
	s_wait_alu 0xfffe
	s_add_nc_u64 s[0:1], s[2:3], s[0:1]
	global_store_b16 v0, v4, s[0:1]
	;;#ASMSTART
	v_cvt_f16_f32 v3, v3;

	;;#ASMEND
	global_store_b16 v0, v3, s[0:1] offset:16
	;;#ASMSTART
	v_cvt_f16_f32 v2, v2;

	;;#ASMEND
	global_store_b16 v0, v2, s[0:1] offset:32
	;; [unrolled: 5-line block ×23, first 2 shown]
.LBB115_148:
	s_nop 0
	s_sendmsg sendmsg(MSG_DEALLOC_VGPRS)
	s_endpgm
.LBB115_149:
	ds_load_b32 v27, v25
	s_wait_dscnt 0x0
	v_add_f32_e32 v4, v4, v27
	s_wait_alu 0xfffe
	s_or_b32 exec_lo, exec_lo, s0
	s_and_saveexec_b32 s0, vcc_lo
	s_cbranch_execz .LBB115_93
.LBB115_150:
	ds_load_b32 v27, v25 offset:32
	s_wait_dscnt 0x0
	v_add_f32_e32 v3, v3, v27
	s_wait_alu 0xfffe
	s_or_b32 exec_lo, exec_lo, s0
	s_and_saveexec_b32 s0, vcc_lo
	s_cbranch_execz .LBB115_94
.LBB115_151:
	ds_load_b32 v27, v25 offset:64
	s_wait_dscnt 0x0
	v_add_f32_e32 v2, v2, v27
	s_wait_alu 0xfffe
	s_or_b32 exec_lo, exec_lo, s0
	s_and_saveexec_b32 s0, vcc_lo
	s_cbranch_execz .LBB115_95
.LBB115_152:
	ds_load_b32 v27, v25 offset:96
	s_wait_dscnt 0x0
	v_add_f32_e32 v1, v1, v27
	s_wait_alu 0xfffe
	s_or_b32 exec_lo, exec_lo, s0
	s_and_saveexec_b32 s0, vcc_lo
	s_cbranch_execz .LBB115_96
.LBB115_153:
	ds_load_b32 v27, v25 offset:128
	s_wait_dscnt 0x0
	v_add_f32_e32 v24, v24, v27
	s_wait_alu 0xfffe
	s_or_b32 exec_lo, exec_lo, s0
	s_and_saveexec_b32 s0, vcc_lo
	s_cbranch_execz .LBB115_97
.LBB115_154:
	ds_load_b32 v27, v25 offset:160
	s_wait_dscnt 0x0
	v_add_f32_e32 v23, v23, v27
	s_wait_alu 0xfffe
	s_or_b32 exec_lo, exec_lo, s0
	s_and_saveexec_b32 s0, vcc_lo
	s_cbranch_execz .LBB115_98
.LBB115_155:
	ds_load_b32 v27, v25 offset:192
	s_wait_dscnt 0x0
	v_add_f32_e32 v22, v22, v27
	s_wait_alu 0xfffe
	s_or_b32 exec_lo, exec_lo, s0
	s_and_saveexec_b32 s0, vcc_lo
	s_cbranch_execz .LBB115_99
.LBB115_156:
	ds_load_b32 v27, v25 offset:224
	s_wait_dscnt 0x0
	v_add_f32_e32 v21, v21, v27
	s_wait_alu 0xfffe
	s_or_b32 exec_lo, exec_lo, s0
	s_and_saveexec_b32 s0, vcc_lo
	s_cbranch_execz .LBB115_100
.LBB115_157:
	ds_load_b32 v27, v25 offset:256
	s_wait_dscnt 0x0
	v_add_f32_e32 v20, v20, v27
	s_wait_alu 0xfffe
	s_or_b32 exec_lo, exec_lo, s0
	s_and_saveexec_b32 s0, vcc_lo
	s_cbranch_execz .LBB115_101
.LBB115_158:
	ds_load_b32 v27, v25 offset:288
	s_wait_dscnt 0x0
	v_add_f32_e32 v19, v19, v27
	s_wait_alu 0xfffe
	s_or_b32 exec_lo, exec_lo, s0
	s_and_saveexec_b32 s0, vcc_lo
	s_cbranch_execz .LBB115_102
.LBB115_159:
	ds_load_b32 v27, v25 offset:320
	s_wait_dscnt 0x0
	v_add_f32_e32 v18, v18, v27
	s_wait_alu 0xfffe
	s_or_b32 exec_lo, exec_lo, s0
	s_and_saveexec_b32 s0, vcc_lo
	s_cbranch_execz .LBB115_103
.LBB115_160:
	ds_load_b32 v27, v25 offset:352
	s_wait_dscnt 0x0
	v_add_f32_e32 v17, v17, v27
	s_wait_alu 0xfffe
	s_or_b32 exec_lo, exec_lo, s0
	s_and_saveexec_b32 s0, vcc_lo
	s_cbranch_execz .LBB115_104
.LBB115_161:
	ds_load_b32 v27, v25 offset:384
	s_wait_dscnt 0x0
	v_add_f32_e32 v16, v16, v27
	s_wait_alu 0xfffe
	s_or_b32 exec_lo, exec_lo, s0
	s_and_saveexec_b32 s0, vcc_lo
	s_cbranch_execz .LBB115_105
.LBB115_162:
	ds_load_b32 v27, v25 offset:416
	s_wait_dscnt 0x0
	v_add_f32_e32 v15, v15, v27
	s_wait_alu 0xfffe
	s_or_b32 exec_lo, exec_lo, s0
	s_and_saveexec_b32 s0, vcc_lo
	s_cbranch_execz .LBB115_106
.LBB115_163:
	ds_load_b32 v27, v25 offset:448
	s_wait_dscnt 0x0
	v_add_f32_e32 v14, v14, v27
	s_wait_alu 0xfffe
	s_or_b32 exec_lo, exec_lo, s0
	s_and_saveexec_b32 s0, vcc_lo
	s_cbranch_execz .LBB115_107
.LBB115_164:
	ds_load_b32 v27, v25 offset:480
	s_wait_dscnt 0x0
	v_add_f32_e32 v13, v13, v27
	s_wait_alu 0xfffe
	s_or_b32 exec_lo, exec_lo, s0
	s_and_saveexec_b32 s0, vcc_lo
	s_cbranch_execz .LBB115_108
.LBB115_165:
	ds_load_b32 v27, v25 offset:512
	s_wait_dscnt 0x0
	v_add_f32_e32 v12, v12, v27
	s_wait_alu 0xfffe
	s_or_b32 exec_lo, exec_lo, s0
	s_and_saveexec_b32 s0, vcc_lo
	s_cbranch_execz .LBB115_109
.LBB115_166:
	ds_load_b32 v27, v25 offset:544
	s_wait_dscnt 0x0
	v_add_f32_e32 v11, v11, v27
	s_wait_alu 0xfffe
	s_or_b32 exec_lo, exec_lo, s0
	s_and_saveexec_b32 s0, vcc_lo
	s_cbranch_execz .LBB115_110
.LBB115_167:
	ds_load_b32 v27, v25 offset:576
	s_wait_dscnt 0x0
	v_add_f32_e32 v9, v9, v27
	s_wait_alu 0xfffe
	s_or_b32 exec_lo, exec_lo, s0
	s_and_saveexec_b32 s0, vcc_lo
	s_cbranch_execz .LBB115_111
.LBB115_168:
	ds_load_b32 v27, v25 offset:608
	s_wait_dscnt 0x0
	v_add_f32_e32 v7, v7, v27
	s_wait_alu 0xfffe
	s_or_b32 exec_lo, exec_lo, s0
	s_and_saveexec_b32 s0, vcc_lo
	s_cbranch_execz .LBB115_112
.LBB115_169:
	ds_load_b32 v27, v25 offset:640
	s_wait_dscnt 0x0
	v_add_f32_e32 v6, v6, v27
	s_wait_alu 0xfffe
	s_or_b32 exec_lo, exec_lo, s0
	s_and_saveexec_b32 s0, vcc_lo
	s_cbranch_execz .LBB115_113
.LBB115_170:
	ds_load_b32 v27, v25 offset:672
	s_wait_dscnt 0x0
	v_add_f32_e32 v5, v5, v27
	s_wait_alu 0xfffe
	s_or_b32 exec_lo, exec_lo, s0
	s_and_saveexec_b32 s0, vcc_lo
	s_cbranch_execz .LBB115_114
.LBB115_171:
	ds_load_b32 v27, v25 offset:704
	s_wait_dscnt 0x0
	v_add_f32_e32 v8, v8, v27
	s_wait_alu 0xfffe
	s_or_b32 exec_lo, exec_lo, s0
	s_and_saveexec_b32 s0, vcc_lo
	s_cbranch_execnz .LBB115_115
	s_branch .LBB115_116
.LBB115_172:
	ds_load_b32 v26, v25
	s_wait_dscnt 0x0
	v_add_f32_e32 v4, v4, v26
	s_wait_alu 0xfffe
	s_or_b32 exec_lo, exec_lo, s0
	s_and_saveexec_b32 s0, vcc_lo
	s_cbranch_execz .LBB115_122
.LBB115_173:
	ds_load_b32 v26, v25 offset:32
	s_wait_dscnt 0x0
	v_add_f32_e32 v3, v3, v26
	s_wait_alu 0xfffe
	s_or_b32 exec_lo, exec_lo, s0
	s_and_saveexec_b32 s0, vcc_lo
	s_cbranch_execz .LBB115_123
.LBB115_174:
	ds_load_b32 v26, v25 offset:64
	s_wait_dscnt 0x0
	v_add_f32_e32 v2, v2, v26
	s_wait_alu 0xfffe
	s_or_b32 exec_lo, exec_lo, s0
	s_and_saveexec_b32 s0, vcc_lo
	s_cbranch_execz .LBB115_124
.LBB115_175:
	ds_load_b32 v26, v25 offset:96
	s_wait_dscnt 0x0
	v_add_f32_e32 v1, v1, v26
	s_wait_alu 0xfffe
	s_or_b32 exec_lo, exec_lo, s0
	s_and_saveexec_b32 s0, vcc_lo
	s_cbranch_execz .LBB115_125
.LBB115_176:
	ds_load_b32 v26, v25 offset:128
	s_wait_dscnt 0x0
	v_add_f32_e32 v24, v24, v26
	s_wait_alu 0xfffe
	s_or_b32 exec_lo, exec_lo, s0
	s_and_saveexec_b32 s0, vcc_lo
	s_cbranch_execz .LBB115_126
.LBB115_177:
	ds_load_b32 v26, v25 offset:160
	s_wait_dscnt 0x0
	v_add_f32_e32 v23, v23, v26
	s_wait_alu 0xfffe
	s_or_b32 exec_lo, exec_lo, s0
	s_and_saveexec_b32 s0, vcc_lo
	s_cbranch_execz .LBB115_127
.LBB115_178:
	ds_load_b32 v26, v25 offset:192
	s_wait_dscnt 0x0
	v_add_f32_e32 v22, v22, v26
	s_wait_alu 0xfffe
	s_or_b32 exec_lo, exec_lo, s0
	s_and_saveexec_b32 s0, vcc_lo
	s_cbranch_execz .LBB115_128
.LBB115_179:
	ds_load_b32 v26, v25 offset:224
	s_wait_dscnt 0x0
	v_add_f32_e32 v21, v21, v26
	s_wait_alu 0xfffe
	s_or_b32 exec_lo, exec_lo, s0
	s_and_saveexec_b32 s0, vcc_lo
	s_cbranch_execz .LBB115_129
.LBB115_180:
	ds_load_b32 v26, v25 offset:256
	s_wait_dscnt 0x0
	v_add_f32_e32 v20, v20, v26
	s_wait_alu 0xfffe
	s_or_b32 exec_lo, exec_lo, s0
	s_and_saveexec_b32 s0, vcc_lo
	s_cbranch_execz .LBB115_130
.LBB115_181:
	ds_load_b32 v26, v25 offset:288
	s_wait_dscnt 0x0
	v_add_f32_e32 v19, v19, v26
	s_wait_alu 0xfffe
	s_or_b32 exec_lo, exec_lo, s0
	s_and_saveexec_b32 s0, vcc_lo
	s_cbranch_execz .LBB115_131
.LBB115_182:
	ds_load_b32 v26, v25 offset:320
	s_wait_dscnt 0x0
	v_add_f32_e32 v18, v18, v26
	s_wait_alu 0xfffe
	s_or_b32 exec_lo, exec_lo, s0
	s_and_saveexec_b32 s0, vcc_lo
	s_cbranch_execz .LBB115_132
.LBB115_183:
	ds_load_b32 v26, v25 offset:352
	s_wait_dscnt 0x0
	v_add_f32_e32 v17, v17, v26
	s_wait_alu 0xfffe
	s_or_b32 exec_lo, exec_lo, s0
	s_and_saveexec_b32 s0, vcc_lo
	s_cbranch_execz .LBB115_133
.LBB115_184:
	ds_load_b32 v26, v25 offset:384
	s_wait_dscnt 0x0
	v_add_f32_e32 v16, v16, v26
	s_wait_alu 0xfffe
	s_or_b32 exec_lo, exec_lo, s0
	s_and_saveexec_b32 s0, vcc_lo
	s_cbranch_execz .LBB115_134
.LBB115_185:
	ds_load_b32 v26, v25 offset:416
	s_wait_dscnt 0x0
	v_add_f32_e32 v15, v15, v26
	s_wait_alu 0xfffe
	s_or_b32 exec_lo, exec_lo, s0
	s_and_saveexec_b32 s0, vcc_lo
	s_cbranch_execz .LBB115_135
.LBB115_186:
	ds_load_b32 v26, v25 offset:448
	s_wait_dscnt 0x0
	v_add_f32_e32 v14, v14, v26
	s_wait_alu 0xfffe
	s_or_b32 exec_lo, exec_lo, s0
	s_and_saveexec_b32 s0, vcc_lo
	s_cbranch_execz .LBB115_136
.LBB115_187:
	ds_load_b32 v26, v25 offset:480
	s_wait_dscnt 0x0
	v_add_f32_e32 v13, v13, v26
	s_wait_alu 0xfffe
	s_or_b32 exec_lo, exec_lo, s0
	s_and_saveexec_b32 s0, vcc_lo
	s_cbranch_execz .LBB115_137
.LBB115_188:
	ds_load_b32 v26, v25 offset:512
	s_wait_dscnt 0x0
	v_add_f32_e32 v12, v12, v26
	s_wait_alu 0xfffe
	s_or_b32 exec_lo, exec_lo, s0
	s_and_saveexec_b32 s0, vcc_lo
	s_cbranch_execz .LBB115_138
.LBB115_189:
	ds_load_b32 v26, v25 offset:544
	s_wait_dscnt 0x0
	v_add_f32_e32 v11, v11, v26
	s_wait_alu 0xfffe
	s_or_b32 exec_lo, exec_lo, s0
	s_and_saveexec_b32 s0, vcc_lo
	s_cbranch_execz .LBB115_139
.LBB115_190:
	ds_load_b32 v26, v25 offset:576
	s_wait_dscnt 0x0
	v_add_f32_e32 v9, v9, v26
	s_wait_alu 0xfffe
	s_or_b32 exec_lo, exec_lo, s0
	s_and_saveexec_b32 s0, vcc_lo
	s_cbranch_execz .LBB115_140
.LBB115_191:
	ds_load_b32 v26, v25 offset:608
	s_wait_dscnt 0x0
	v_add_f32_e32 v7, v7, v26
	s_wait_alu 0xfffe
	s_or_b32 exec_lo, exec_lo, s0
	s_and_saveexec_b32 s0, vcc_lo
	s_cbranch_execz .LBB115_141
.LBB115_192:
	ds_load_b32 v26, v25 offset:640
	s_wait_dscnt 0x0
	v_add_f32_e32 v6, v6, v26
	s_wait_alu 0xfffe
	s_or_b32 exec_lo, exec_lo, s0
	s_and_saveexec_b32 s0, vcc_lo
	s_cbranch_execz .LBB115_142
.LBB115_193:
	ds_load_b32 v26, v25 offset:672
	s_wait_dscnt 0x0
	v_add_f32_e32 v5, v5, v26
	s_wait_alu 0xfffe
	s_or_b32 exec_lo, exec_lo, s0
	s_and_saveexec_b32 s0, vcc_lo
	s_cbranch_execz .LBB115_143
.LBB115_194:
	ds_load_b32 v26, v25 offset:704
	s_wait_dscnt 0x0
	v_add_f32_e32 v8, v8, v26
	s_wait_alu 0xfffe
	s_or_b32 exec_lo, exec_lo, s0
	s_and_saveexec_b32 s0, vcc_lo
	s_cbranch_execnz .LBB115_144
	s_branch .LBB115_145
	.section	.rodata,"a",@progbits
	.p2align	6, 0x0
	.amdhsa_kernel _ZN4vllm25paged_attention_v2_kernelIttLi192ELi32ELi128ELNS_18Fp8KVCacheDataTypeE0ELb1ELi512EEEvPfS2_PT_PKS3_PKT0_S9_ifPKiSB_iPKfiiiSD_SD_iiiii
		.amdhsa_group_segment_fixed_size 416
		.amdhsa_private_segment_fixed_size 0
		.amdhsa_kernarg_size 400
		.amdhsa_user_sgpr_count 2
		.amdhsa_user_sgpr_dispatch_ptr 0
		.amdhsa_user_sgpr_queue_ptr 0
		.amdhsa_user_sgpr_kernarg_segment_ptr 1
		.amdhsa_user_sgpr_dispatch_id 0
		.amdhsa_user_sgpr_private_segment_size 0
		.amdhsa_wavefront_size32 1
		.amdhsa_uses_dynamic_stack 0
		.amdhsa_enable_private_segment 0
		.amdhsa_system_sgpr_workgroup_id_x 1
		.amdhsa_system_sgpr_workgroup_id_y 1
		.amdhsa_system_sgpr_workgroup_id_z 1
		.amdhsa_system_sgpr_workgroup_info 0
		.amdhsa_system_vgpr_workitem_id 0
		.amdhsa_next_free_vgpr 132
		.amdhsa_next_free_sgpr 42
		.amdhsa_reserve_vcc 1
		.amdhsa_float_round_mode_32 0
		.amdhsa_float_round_mode_16_64 0
		.amdhsa_float_denorm_mode_32 3
		.amdhsa_float_denorm_mode_16_64 3
		.amdhsa_fp16_overflow 0
		.amdhsa_workgroup_processor_mode 1
		.amdhsa_memory_ordered 1
		.amdhsa_forward_progress 1
		.amdhsa_inst_pref_size 152
		.amdhsa_round_robin_scheduling 0
		.amdhsa_exception_fp_ieee_invalid_op 0
		.amdhsa_exception_fp_denorm_src 0
		.amdhsa_exception_fp_ieee_div_zero 0
		.amdhsa_exception_fp_ieee_overflow 0
		.amdhsa_exception_fp_ieee_underflow 0
		.amdhsa_exception_fp_ieee_inexact 0
		.amdhsa_exception_int_div_zero 0
	.end_amdhsa_kernel
	.section	.text._ZN4vllm25paged_attention_v2_kernelIttLi192ELi32ELi128ELNS_18Fp8KVCacheDataTypeE0ELb1ELi512EEEvPfS2_PT_PKS3_PKT0_S9_ifPKiSB_iPKfiiiSD_SD_iiiii,"axG",@progbits,_ZN4vllm25paged_attention_v2_kernelIttLi192ELi32ELi128ELNS_18Fp8KVCacheDataTypeE0ELb1ELi512EEEvPfS2_PT_PKS3_PKT0_S9_ifPKiSB_iPKfiiiSD_SD_iiiii,comdat
.Lfunc_end115:
	.size	_ZN4vllm25paged_attention_v2_kernelIttLi192ELi32ELi128ELNS_18Fp8KVCacheDataTypeE0ELb1ELi512EEEvPfS2_PT_PKS3_PKT0_S9_ifPKiSB_iPKfiiiSD_SD_iiiii, .Lfunc_end115-_ZN4vllm25paged_attention_v2_kernelIttLi192ELi32ELi128ELNS_18Fp8KVCacheDataTypeE0ELb1ELi512EEEvPfS2_PT_PKS3_PKT0_S9_ifPKiSB_iPKfiiiSD_SD_iiiii
                                        ; -- End function
	.set _ZN4vllm25paged_attention_v2_kernelIttLi192ELi32ELi128ELNS_18Fp8KVCacheDataTypeE0ELb1ELi512EEEvPfS2_PT_PKS3_PKT0_S9_ifPKiSB_iPKfiiiSD_SD_iiiii.num_vgpr, 132
	.set _ZN4vllm25paged_attention_v2_kernelIttLi192ELi32ELi128ELNS_18Fp8KVCacheDataTypeE0ELb1ELi512EEEvPfS2_PT_PKS3_PKT0_S9_ifPKiSB_iPKfiiiSD_SD_iiiii.num_agpr, 0
	.set _ZN4vllm25paged_attention_v2_kernelIttLi192ELi32ELi128ELNS_18Fp8KVCacheDataTypeE0ELb1ELi512EEEvPfS2_PT_PKS3_PKT0_S9_ifPKiSB_iPKfiiiSD_SD_iiiii.numbered_sgpr, 42
	.set _ZN4vllm25paged_attention_v2_kernelIttLi192ELi32ELi128ELNS_18Fp8KVCacheDataTypeE0ELb1ELi512EEEvPfS2_PT_PKS3_PKT0_S9_ifPKiSB_iPKfiiiSD_SD_iiiii.num_named_barrier, 0
	.set _ZN4vllm25paged_attention_v2_kernelIttLi192ELi32ELi128ELNS_18Fp8KVCacheDataTypeE0ELb1ELi512EEEvPfS2_PT_PKS3_PKT0_S9_ifPKiSB_iPKfiiiSD_SD_iiiii.private_seg_size, 0
	.set _ZN4vllm25paged_attention_v2_kernelIttLi192ELi32ELi128ELNS_18Fp8KVCacheDataTypeE0ELb1ELi512EEEvPfS2_PT_PKS3_PKT0_S9_ifPKiSB_iPKfiiiSD_SD_iiiii.uses_vcc, 1
	.set _ZN4vllm25paged_attention_v2_kernelIttLi192ELi32ELi128ELNS_18Fp8KVCacheDataTypeE0ELb1ELi512EEEvPfS2_PT_PKS3_PKT0_S9_ifPKiSB_iPKfiiiSD_SD_iiiii.uses_flat_scratch, 0
	.set _ZN4vllm25paged_attention_v2_kernelIttLi192ELi32ELi128ELNS_18Fp8KVCacheDataTypeE0ELb1ELi512EEEvPfS2_PT_PKS3_PKT0_S9_ifPKiSB_iPKfiiiSD_SD_iiiii.has_dyn_sized_stack, 0
	.set _ZN4vllm25paged_attention_v2_kernelIttLi192ELi32ELi128ELNS_18Fp8KVCacheDataTypeE0ELb1ELi512EEEvPfS2_PT_PKS3_PKT0_S9_ifPKiSB_iPKfiiiSD_SD_iiiii.has_recursion, 0
	.set _ZN4vllm25paged_attention_v2_kernelIttLi192ELi32ELi128ELNS_18Fp8KVCacheDataTypeE0ELb1ELi512EEEvPfS2_PT_PKS3_PKT0_S9_ifPKiSB_iPKfiiiSD_SD_iiiii.has_indirect_call, 0
	.section	.AMDGPU.csdata,"",@progbits
; Kernel info:
; codeLenInByte = 19348
; TotalNumSgprs: 44
; NumVgprs: 132
; ScratchSize: 0
; MemoryBound: 0
; FloatMode: 240
; IeeeMode: 1
; LDSByteSize: 416 bytes/workgroup (compile time only)
; SGPRBlocks: 0
; VGPRBlocks: 16
; NumSGPRsForWavesPerEU: 44
; NumVGPRsForWavesPerEU: 132
; Occupancy: 10
; WaveLimiterHint : 1
; COMPUTE_PGM_RSRC2:SCRATCH_EN: 0
; COMPUTE_PGM_RSRC2:USER_SGPR: 2
; COMPUTE_PGM_RSRC2:TRAP_HANDLER: 0
; COMPUTE_PGM_RSRC2:TGID_X_EN: 1
; COMPUTE_PGM_RSRC2:TGID_Y_EN: 1
; COMPUTE_PGM_RSRC2:TGID_Z_EN: 1
; COMPUTE_PGM_RSRC2:TIDIG_COMP_CNT: 0
	.section	.text._ZN4vllm25paged_attention_v2_kernelIttLi256ELi32ELi128ELNS_18Fp8KVCacheDataTypeE0ELb1ELi512EEEvPfS2_PT_PKS3_PKT0_S9_ifPKiSB_iPKfiiiSD_SD_iiiii,"axG",@progbits,_ZN4vllm25paged_attention_v2_kernelIttLi256ELi32ELi128ELNS_18Fp8KVCacheDataTypeE0ELb1ELi512EEEvPfS2_PT_PKS3_PKT0_S9_ifPKiSB_iPKfiiiSD_SD_iiiii,comdat
	.protected	_ZN4vllm25paged_attention_v2_kernelIttLi256ELi32ELi128ELNS_18Fp8KVCacheDataTypeE0ELb1ELi512EEEvPfS2_PT_PKS3_PKT0_S9_ifPKiSB_iPKfiiiSD_SD_iiiii ; -- Begin function _ZN4vllm25paged_attention_v2_kernelIttLi256ELi32ELi128ELNS_18Fp8KVCacheDataTypeE0ELb1ELi512EEEvPfS2_PT_PKS3_PKT0_S9_ifPKiSB_iPKfiiiSD_SD_iiiii
	.globl	_ZN4vllm25paged_attention_v2_kernelIttLi256ELi32ELi128ELNS_18Fp8KVCacheDataTypeE0ELb1ELi512EEEvPfS2_PT_PKS3_PKT0_S9_ifPKiSB_iPKfiiiSD_SD_iiiii
	.p2align	8
	.type	_ZN4vllm25paged_attention_v2_kernelIttLi256ELi32ELi128ELNS_18Fp8KVCacheDataTypeE0ELb1ELi512EEEvPfS2_PT_PKS3_PKT0_S9_ifPKiSB_iPKfiiiSD_SD_iiiii,@function
_ZN4vllm25paged_attention_v2_kernelIttLi256ELi32ELi128ELNS_18Fp8KVCacheDataTypeE0ELb1ELi512EEEvPfS2_PT_PKS3_PKT0_S9_ifPKiSB_iPKfiiiSD_SD_iiiii: ; @_ZN4vllm25paged_attention_v2_kernelIttLi256ELi32ELi128ELNS_18Fp8KVCacheDataTypeE0ELb1ELi512EEEvPfS2_PT_PKS3_PKT0_S9_ifPKiSB_iPKfiiiSD_SD_iiiii
; %bb.0:
	s_load_b64 s[2:3], s[0:1], 0x40
	s_and_b32 s36, ttmp7, 0xffff
	s_lshr_b32 s35, ttmp7, 16
	s_lshl_b32 s4, s36, 2
	s_lshl_b32 s6, s35, 9
	s_wait_kmcnt 0x0
	s_load_b32 s7, s[2:3], s4 offset:0x0
	s_wait_kmcnt 0x0
	s_cmp_ge_i32 s6, s7
	s_cbranch_scc1 .LBB116_180
; %bb.1:
	s_clause 0x1
	s_load_b32 s37, s[0:1], 0x90
	s_load_b64 s[12:13], s[0:1], 0x30
	s_wait_kmcnt 0x0
	s_abs_i32 s5, s37
	s_abs_i32 s2, s12
	s_delay_alu instid0(SALU_CYCLE_1) | instskip(SKIP_1) | instid1(SALU_CYCLE_2)
	s_cvt_f32_u32 s3, s2
	s_sub_co_i32 s4, 0, s2
	v_rcp_iflag_f32_e32 v1, s3
	s_delay_alu instid0(TRANS32_DEP_1) | instskip(SKIP_2) | instid1(SALU_CYCLE_2)
	v_readfirstlane_b32 s3, v1
	s_mul_f32 s3, s3, 0x4f7ffffe
	s_wait_alu 0xfffe
	s_cvt_u32_f32 s3, s3
	s_wait_alu 0xfffe
	s_delay_alu instid0(SALU_CYCLE_2) | instskip(NEXT) | instid1(SALU_CYCLE_1)
	s_mul_i32 s4, s4, s3
	s_mul_hi_u32 s4, s3, s4
	s_delay_alu instid0(SALU_CYCLE_1)
	s_add_co_i32 s3, s3, s4
	s_xor_b32 s4, s37, s12
	s_wait_alu 0xfffe
	s_mul_hi_u32 s3, s5, s3
	s_ashr_i32 s4, s4, 31
	s_wait_alu 0xfffe
	s_mul_i32 s8, s3, s2
	s_delay_alu instid0(SALU_CYCLE_1)
	s_sub_co_i32 s5, s5, s8
	s_add_co_i32 s8, s3, 1
	s_sub_co_i32 s9, s5, s2
	s_cmp_ge_u32 s5, s2
	s_cselect_b32 s3, s8, s3
	s_cselect_b32 s5, s9, s5
	s_wait_alu 0xfffe
	s_add_co_i32 s8, s3, 1
	s_cmp_ge_u32 s5, s2
	s_mov_b32 s5, 0
	s_cselect_b32 s2, s8, s3
	s_load_b64 s[8:9], s[0:1], 0x50
	s_xor_b32 s2, s2, s4
	s_mov_b32 s28, s5
	s_wait_alu 0xfffe
	s_sub_co_i32 s10, s2, s4
	s_abs_i32 s4, ttmp9
	s_abs_i32 s14, s10
	s_delay_alu instid0(SALU_CYCLE_1) | instskip(SKIP_2) | instid1(SALU_CYCLE_1)
	s_cvt_f32_u32 s2, s14
	s_sub_co_i32 s3, 0, s14
	s_wait_alu 0xfffe
	v_rcp_iflag_f32_e32 v1, s2
	s_delay_alu instid0(TRANS32_DEP_1) | instskip(SKIP_2) | instid1(SALU_CYCLE_2)
	v_readfirstlane_b32 s2, v1
	s_mul_f32 s2, s2, 0x4f7ffffe
	s_wait_alu 0xfffe
	s_cvt_u32_f32 s2, s2
	s_wait_alu 0xfffe
	s_delay_alu instid0(SALU_CYCLE_2)
	s_mul_i32 s3, s3, s2
	s_wait_alu 0xfffe
	s_mul_hi_u32 s3, s2, s3
	s_wait_alu 0xfffe
	s_add_co_i32 s2, s2, s3
	s_mov_b32 s3, s5
	s_wait_kmcnt 0x0
	s_cmp_eq_u64 s[8:9], 0
	s_cbranch_scc1 .LBB116_3
; %bb.2:
	s_mov_b32 s16, ttmp9
	s_ashr_i32 s17, ttmp9, 31
	s_delay_alu instid0(SALU_CYCLE_1) | instskip(NEXT) | instid1(SALU_CYCLE_1)
	s_lshl_b64 s[16:17], s[16:17], 2
	s_add_nc_u64 s[8:9], s[8:9], s[16:17]
	s_load_b32 s28, s[8:9], 0x0
.LBB116_3:
	s_load_b96 s[16:18], s[0:1], 0x58
	s_mul_u64 s[2:3], s[4:5], s[2:3]
	v_cmp_gt_u32_e64 s2, 32, v0
	s_ashr_i32 s5, ttmp9, 31
	s_ashr_i32 s15, s10, 31
	s_lshl_b32 s20, ttmp9, 8
	s_wait_alu 0xfffe
	s_and_saveexec_b32 s8, s2
	s_cbranch_execz .LBB116_5
; %bb.4:
	s_load_b64 s[10:11], s[0:1], 0x18
	s_wait_kmcnt 0x0
	s_mul_i32 s22, s16, s36
	s_ashr_i32 s21, s20, 31
	s_ashr_i32 s23, s22, 31
	v_lshlrev_b32_e32 v5, 4, v0
	s_lshl_b64 s[22:23], s[22:23], 1
	s_delay_alu instid0(SALU_CYCLE_1) | instskip(SKIP_1) | instid1(SALU_CYCLE_1)
	s_add_nc_u64 s[10:11], s[10:11], s[22:23]
	s_lshl_b64 s[22:23], s[20:21], 1
	s_add_nc_u64 s[10:11], s[10:11], s[22:23]
	global_load_b128 v[1:4], v5, s[10:11]
	s_wait_loadcnt 0x0
	ds_store_b128 v5, v[1:4]
.LBB116_5:
	s_or_b32 exec_lo, exec_lo, s8
	s_load_b128 s[8:11], s[0:1], 0x78
	s_wait_kmcnt 0x0
	s_mul_i32 s16, s3, s14
	s_xor_b32 s5, s5, s15
	s_sub_co_i32 s4, s4, s16
	s_add_co_i32 s15, s3, 1
	s_sub_co_i32 s16, s4, s14
	s_cmp_ge_u32 s4, s14
	s_mov_b32 s24, -1
	s_cselect_b32 s3, s15, s3
	s_cselect_b32 s4, s16, s4
	s_wait_alu 0xfffe
	s_add_co_i32 s15, s3, 1
	s_cmp_ge_u32 s4, s14
                                        ; implicit-def: $sgpr33
	s_cselect_b32 s4, s15, s3
	s_load_b32 s3, s[0:1], 0x88
	s_xor_b32 s4, s4, s5
	s_add_co_i32 s16, s7, -1
	s_sub_co_i32 s19, s4, s5
	s_wait_dscnt 0x0
	s_barrier_signal -1
	s_abs_i32 s21, s11
	s_barrier_wait -1
	s_cvt_f32_u32 s14, s21
	global_inv scope:SCOPE_SE
	v_rcp_iflag_f32_e32 v1, s14
	s_delay_alu instid0(TRANS32_DEP_1) | instskip(SKIP_1) | instid1(SALU_CYCLE_3)
	v_readfirstlane_b32 s14, v1
	s_mul_f32 s4, s14, 0x4f7ffffe
	s_cvt_u32_f32 s14, s4
	s_sub_co_i32 s4, 0, s21
	s_wait_alu 0xfffe
	s_delay_alu instid0(SALU_CYCLE_1)
	s_mul_i32 s5, s4, s14
	s_abs_i32 s4, s16
	s_mul_hi_u32 s15, s14, s5
	s_mov_b32 s5, 0
	s_wait_alu 0xfffe
	s_add_co_i32 s22, s14, s15
	s_wait_kmcnt 0x0
	s_cmp_lt_i32 s3, 0
	s_mov_b32 s23, s5
	s_cbranch_scc0 .LBB116_7
; %bb.6:
	s_mul_i32 s12, s8, s12
	s_mov_b32 s24, s5
	s_add_co_i32 s12, s19, s12
	s_delay_alu instid0(SALU_CYCLE_1) | instskip(NEXT) | instid1(SALU_CYCLE_1)
	s_mul_i32 s12, s12, s3
	s_sub_co_i32 s33, 1, s12
.LBB116_7:
	s_mul_u64 s[14:15], s[4:5], s[22:23]
	s_ashr_i32 s5, s16, 31
	s_and_not1_b32 vcc_lo, exec_lo, s24
	s_ashr_i32 s23, s11, 31
	s_cbranch_vccnz .LBB116_9
; %bb.8:
	s_mul_i32 s8, s37, s8
	s_delay_alu instid0(SALU_CYCLE_1) | instskip(NEXT) | instid1(SALU_CYCLE_1)
	s_add_co_i32 s8, s8, ttmp9
	s_mul_i32 s3, s8, s3
	s_wait_alu 0xfffe
	s_add_co_i32 s33, s3, 1
.LBB116_9:
	s_load_b32 s3, s[0:1], 0x48
	s_mul_i32 s8, s15, s21
	s_xor_b32 s5, s5, s23
	s_sub_co_i32 s4, s4, s8
	s_add_co_i32 s11, s15, 1
	s_clause 0x1
	s_load_b64 s[24:25], s[0:1], 0x38
	s_load_b32 s16, s[0:1], 0x98
	v_lshrrev_b32_e32 v128, 5, v0
	v_dual_mov_b32 v132, 0xff7fffff :: v_dual_and_b32 v129, 31, v0
	s_mul_i32 s18, s19, s18
	s_delay_alu instid0(VALU_DEP_1)
	v_lshlrev_b32_e32 v130, 2, v129
	s_wait_kmcnt 0x0
	s_mul_i32 s26, s3, s36
	s_sub_co_i32 s3, s4, s21
	s_ashr_i32 s27, s26, 31
	s_cmp_ge_u32 s4, s21
	s_cselect_b32 s8, s11, s15
	s_wait_alu 0xfffe
	s_cselect_b32 s3, s3, s4
	s_add_co_i32 s4, s8, 1
	s_wait_alu 0xfffe
	s_cmp_ge_u32 s3, s21
	s_cselect_b32 s3, s4, s8
	s_add_co_i32 s4, s7, 31
	s_lshl_b32 s38, s35, 4
	s_ashr_i32 s8, s4, 31
	v_add_nc_u32_e32 v125, s38, v128
	s_lshr_b32 s8, s8, 27
	s_add_co_i32 s11, s38, 16
	s_add_co_i32 s4, s4, s8
	s_delay_alu instid0(SALU_CYCLE_1)
	s_ashr_i32 s8, s4, 5
	s_wait_alu 0xfffe
	s_xor_b32 s4, s3, s5
	s_min_i32 s34, s11, s8
	s_sub_co_i32 s11, s4, s5
	v_cmp_gt_i32_e64 s3, s34, v125
	s_and_saveexec_b32 s12, s3
	s_cbranch_execz .LBB116_17
; %bb.10:
	s_ashr_i32 s19, s18, 31
	s_sub_co_i32 s14, s11, s9
	s_lshl_b64 s[4:5], s[18:19], 1
	s_cmp_neq_f32 s28, 0
	s_load_b64 s[30:31], s[0:1], 0x20
	v_dual_mov_b32 v131, 0 :: v_dual_lshlrev_b32 v2, 4, v129
	s_cselect_b32 vcc_lo, -1, 0
	s_abs_i32 s15, s10
	v_dual_mov_b32 v139, v125 :: v_dual_lshlrev_b32 v4, 2, v125
	s_wait_alu 0xfffe
	s_cvt_f32_u32 s19, s15
	s_lshl_b64 s[40:41], s[26:27], 2
	v_subrev_nc_u32_e32 v3, s7, v129
	v_lshl_or_b32 v5, v128, 7, v130
	v_rcp_iflag_f32_e32 v1, s19
	s_add_nc_u64 s[40:41], s[24:25], s[40:41]
	s_sub_co_i32 s39, 0, s15
	v_add_co_u32 v126, s40, s40, v4
	v_lshl_add_u32 v133, v128, 5, s6
	v_dual_mov_b32 v134, 0xff7fffff :: v_dual_add_nc_u32 v135, 1, v3
	v_add_nc_u32_e32 v136, 0x220, v5
	s_wait_kmcnt 0x0
	s_add_nc_u64 s[4:5], s[30:31], s[4:5]
	s_delay_alu instid0(TRANS32_DEP_1)
	v_readfirstlane_b32 s29, v1
	v_add_co_u32 v137, s4, s4, v2
	s_wait_alu 0xf1ff
	v_add_co_ci_u32_e64 v127, null, s41, 0, s40
	s_mul_f32 s29, s29, 0x4f7ffffe
	v_add_co_ci_u32_e64 v138, null, s5, 0, s4
	v_mov_b32_e32 v132, 0xff7fffff
	s_delay_alu instid0(SALU_CYCLE_1)
	s_cvt_u32_f32 s30, s29
	s_mov_b32 s19, s17
	s_mov_b32 s29, 0
	s_wait_alu 0xfffe
	s_mul_i32 s39, s39, s30
	s_wait_alu 0xfffe
	s_mul_hi_u32 s4, s30, s39
	s_wait_alu 0xfffe
	s_add_co_i32 s30, s30, s4
	s_branch .LBB116_12
.LBB116_11:                             ;   in Loop: Header=BB116_12 Depth=1
	s_wait_alu 0xfffe
	s_or_b32 exec_lo, exec_lo, s5
	v_add_nc_u32_e32 v139, 4, v139
	v_add_co_u32 v126, s5, v126, 16
	s_wait_alu 0xf1ff
	v_add_co_ci_u32_e64 v127, null, 0, v127, s5
	s_delay_alu instid0(VALU_DEP_3)
	v_cmp_le_i32_e64 s4, s34, v139
	v_add_nc_u32_e32 v133, 0x80, v133
	v_add_nc_u32_e32 v136, 0x200, v136
	s_or_b32 s29, s4, s29
	s_wait_alu 0xfffe
	s_and_not1_b32 exec_lo, exec_lo, s29
	s_cbranch_execz .LBB116_16
.LBB116_12:                             ; =>This Inner Loop Header: Depth=1
	v_sub_nc_u32_e32 v1, 0, v133
	s_delay_alu instid0(VALU_DEP_1) | instskip(NEXT) | instid1(VALU_DEP_1)
	v_max_i32_e32 v1, v133, v1
	v_mul_hi_u32 v2, v1, s22
	s_delay_alu instid0(VALU_DEP_1) | instskip(NEXT) | instid1(VALU_DEP_1)
	v_mul_lo_u32 v3, v2, s21
	v_sub_nc_u32_e32 v1, v1, v3
	v_add_nc_u32_e32 v3, 1, v2
	s_delay_alu instid0(VALU_DEP_2) | instskip(SKIP_2) | instid1(VALU_DEP_1)
	v_subrev_nc_u32_e32 v4, s21, v1
	v_cmp_le_u32_e64 s4, s21, v1
	s_wait_alu 0xf1ff
	v_cndmask_b32_e64 v2, v2, v3, s4
	s_delay_alu instid0(VALU_DEP_3) | instskip(SKIP_1) | instid1(VALU_DEP_3)
	v_cndmask_b32_e64 v1, v1, v4, s4
	v_ashrrev_i32_e32 v3, 31, v133
	v_add_nc_u32_e32 v4, 1, v2
	s_delay_alu instid0(VALU_DEP_3) | instskip(NEXT) | instid1(VALU_DEP_3)
	v_cmp_le_u32_e64 s4, s21, v1
	v_xor_b32_e32 v3, s23, v3
	s_wait_alu 0xf1ff
	s_delay_alu instid0(VALU_DEP_2) | instskip(NEXT) | instid1(VALU_DEP_1)
	v_cndmask_b32_e64 v1, v2, v4, s4
	v_xor_b32_e32 v1, v1, v3
	s_delay_alu instid0(VALU_DEP_1) | instskip(NEXT) | instid1(VALU_DEP_1)
	v_sub_nc_u32_e32 v1, v1, v3
	v_add_nc_u32_e32 v2, s33, v1
	v_cmp_ge_i32_e64 s5, s14, v1
	s_delay_alu instid0(VALU_DEP_2) | instskip(NEXT) | instid1(VALU_DEP_1)
	v_sub_nc_u32_e32 v3, 0, v2
	v_max_i32_e32 v3, v2, v3
	v_ashrrev_i32_e32 v2, 31, v2
	s_delay_alu instid0(VALU_DEP_2) | instskip(NEXT) | instid1(VALU_DEP_1)
	v_mul_hi_u32 v4, v3, s30
	v_mul_lo_u32 v4, v4, s15
	s_delay_alu instid0(VALU_DEP_1) | instskip(NEXT) | instid1(VALU_DEP_1)
	v_sub_nc_u32_e32 v3, v3, v4
	v_subrev_nc_u32_e32 v4, s15, v3
	v_cmp_le_u32_e64 s4, s15, v3
	s_wait_alu 0xf1ff
	s_delay_alu instid0(VALU_DEP_1) | instskip(NEXT) | instid1(VALU_DEP_1)
	v_cndmask_b32_e64 v3, v3, v4, s4
	v_subrev_nc_u32_e32 v4, s15, v3
	v_cmp_le_u32_e64 s4, s15, v3
	s_wait_alu 0xf1ff
	s_delay_alu instid0(VALU_DEP_1) | instskip(NEXT) | instid1(VALU_DEP_1)
	v_cndmask_b32_e64 v3, v3, v4, s4
	v_xor_b32_e32 v3, v3, v2
	s_delay_alu instid0(VALU_DEP_1) | instskip(NEXT) | instid1(VALU_DEP_1)
	v_sub_nc_u32_e32 v2, v3, v2
	v_cmp_ne_u32_e64 s4, 0, v2
	s_and_b32 s4, s4, s5
	s_wait_alu 0xfffe
	s_and_saveexec_b32 s5, s4
	s_wait_alu 0xfffe
	s_xor_b32 s4, exec_lo, s5
; %bb.13:                               ;   in Loop: Header=BB116_12 Depth=1
	ds_store_b32 v136, v134
; %bb.14:                               ;   in Loop: Header=BB116_12 Depth=1
	s_wait_alu 0xfffe
	s_and_not1_saveexec_b32 s5, s4
	s_cbranch_execz .LBB116_11
; %bb.15:                               ;   in Loop: Header=BB116_12 Depth=1
	global_load_b32 v1, v[126:127], off
	v_add_nc_u32_e32 v3, v135, v133
	s_delay_alu instid0(VALU_DEP_1) | instskip(NEXT) | instid1(VALU_DEP_1)
	v_cvt_f32_i32_e32 v3, v3
	v_mul_f32_e32 v3, s28, v3
	s_delay_alu instid0(VALU_DEP_1) | instskip(SKIP_2) | instid1(VALU_DEP_1)
	v_dual_cndmask_b32 v140, 0, v3 :: v_dual_add_nc_u32 v145, v129, v133
	s_wait_loadcnt 0x0
	v_mad_co_i64_i32 v[1:2], null, v1, s19, 0
	v_lshlrev_b64_e32 v[1:2], 1, v[1:2]
	s_delay_alu instid0(VALU_DEP_1) | instskip(SKIP_1) | instid1(VALU_DEP_2)
	v_add_co_u32 v1, s4, v137, v1
	s_wait_alu 0xf1ff
	v_add_co_ci_u32_e64 v2, null, v138, v2, s4
	v_cmp_gt_i32_e64 s4, s7, v145
	s_clause 0x1f
	global_load_b128 v[141:144], v[1:2], off
	global_load_b128 v[121:124], v[1:2], off offset:512
	global_load_b128 v[117:120], v[1:2], off offset:1024
	;; [unrolled: 1-line block ×31, first 2 shown]
	ds_load_b128 v[145:148], v131
	s_wait_dscnt 0x0
	v_lshrrev_b32_e32 v149, 16, v145
	v_and_b32_e32 v145, 0xffff, v145
	;;#ASMSTART
	v_cvt_f32_f16 v145, v145;
	;;#ASMEND
	;;#ASMSTART
	v_cvt_f32_f16 v149, v149;
	;;#ASMEND
	s_wait_loadcnt 0x1f
	v_lshrrev_b32_e32 v151, 16, v141
	v_and_b32_e32 v141, 0xffff, v141
	;;#ASMSTART
	v_cvt_f32_f16 v150, v141;
	;;#ASMEND
	v_lshrrev_b32_e32 v141, 16, v146
	v_and_b32_e32 v146, 0xffff, v146
	;;#ASMSTART
	v_cvt_f32_f16 v151, v151;
	;;#ASMEND
	;;#ASMSTART
	v_cvt_f32_f16 v146, v146;
	;;#ASMEND
	;; [unrolled: 3-line block ×3, first 2 shown]
	v_lshrrev_b32_e32 v141, 16, v142
	v_and_b32_e32 v142, 0xffff, v142
	;;#ASMSTART
	v_cvt_f32_f16 v153, v142;
	;;#ASMEND
	;;#ASMSTART
	v_cvt_f32_f16 v154, v141;
	;;#ASMEND
	v_lshrrev_b32_e32 v141, 16, v147
	v_and_b32_e32 v142, 0xffff, v147
	;;#ASMSTART
	v_cvt_f32_f16 v147, v142;
	;;#ASMEND
	;;#ASMSTART
	v_cvt_f32_f16 v155, v141;
	;;#ASMEND
	;; [unrolled: 8-line block ×5, first 2 shown]
	ds_load_b128 v[141:144], v131 offset:16
	s_wait_loadcnt 0x1e
	v_lshrrev_b32_e32 v162, 16, v121
	v_and_b32_e32 v121, 0xffff, v121
	s_wait_dscnt 0x0
	v_lshrrev_b32_e32 v161, 16, v141
	v_and_b32_e32 v141, 0xffff, v141
	;;#ASMSTART
	v_cvt_f32_f16 v141, v141;
	;;#ASMEND
	;;#ASMSTART
	v_cvt_f32_f16 v161, v161;
	;;#ASMEND
	;; [unrolled: 3-line block ×3, first 2 shown]
	s_delay_alu instid0(VALU_DEP_1) | instskip(SKIP_2) | instid1(VALU_DEP_2)
	v_mul_f32_e32 v121, v141, v121
	;;#ASMSTART
	v_cvt_f32_f16 v162, v162;
	;;#ASMEND
	v_mul_f32_e32 v141, v161, v162
	v_fmac_f32_e32 v121, v145, v150
	v_lshrrev_b32_e32 v145, 16, v142
	s_delay_alu instid0(VALU_DEP_3)
	v_dual_fmac_f32 v141, v149, v151 :: v_dual_and_b32 v142, 0xffff, v142
	;;#ASMSTART
	v_cvt_f32_f16 v142, v142;
	;;#ASMEND
	v_lshrrev_b32_e32 v149, 16, v122
	v_and_b32_e32 v122, 0xffff, v122
	;;#ASMSTART
	v_cvt_f32_f16 v145, v145;
	;;#ASMEND
	;;#ASMSTART
	v_cvt_f32_f16 v122, v122;
	;;#ASMEND
	s_delay_alu instid0(VALU_DEP_1) | instskip(SKIP_3) | instid1(VALU_DEP_3)
	v_mul_f32_e32 v142, v142, v122
	;;#ASMSTART
	v_cvt_f32_f16 v149, v149;
	;;#ASMEND
	v_mul_f32_e32 v122, v145, v149
	v_lshrrev_b32_e32 v145, 16, v143
	v_dual_fmac_f32 v142, v146, v153 :: v_dual_and_b32 v143, 0xffff, v143
	v_lshrrev_b32_e32 v146, 16, v123
	v_and_b32_e32 v123, 0xffff, v123
	;;#ASMSTART
	v_cvt_f32_f16 v143, v143;
	;;#ASMEND
	;;#ASMSTART
	v_cvt_f32_f16 v145, v145;
	;;#ASMEND
	;; [unrolled: 3-line block ×4, first 2 shown]
	v_mul_f32_e32 v143, v143, v123
	v_mul_f32_e32 v123, v145, v146
	v_lshrrev_b32_e32 v145, 16, v144
	v_and_b32_e32 v144, 0xffff, v144
	;;#ASMSTART
	v_cvt_f32_f16 v144, v144;
	;;#ASMEND
	v_lshrrev_b32_e32 v146, 16, v124
	v_and_b32_e32 v124, 0xffff, v124
	;;#ASMSTART
	v_cvt_f32_f16 v145, v145;
	;;#ASMEND
	;;#ASMSTART
	v_cvt_f32_f16 v124, v124;
	;;#ASMEND
	s_delay_alu instid0(VALU_DEP_1) | instskip(SKIP_3) | instid1(VALU_DEP_3)
	v_mul_f32_e32 v144, v144, v124
	;;#ASMSTART
	v_cvt_f32_f16 v146, v146;
	;;#ASMEND
	v_dual_fmac_f32 v143, v147, v156 :: v_dual_mul_f32 v124, v145, v146
	v_fmac_f32_e32 v122, v152, v154
	v_fmac_f32_e32 v144, v148, v159
	ds_load_b128 v[145:148], v131 offset:32
	s_wait_loadcnt 0x1d
	v_lshrrev_b32_e32 v150, 16, v117
	v_dual_fmac_f32 v124, v158, v160 :: v_dual_and_b32 v117, 0xffff, v117
	v_fmac_f32_e32 v123, v155, v157
	s_wait_dscnt 0x0
	v_lshrrev_b32_e32 v149, 16, v145
	v_and_b32_e32 v145, 0xffff, v145
	;;#ASMSTART
	v_cvt_f32_f16 v145, v145;
	;;#ASMEND
	;;#ASMSTART
	v_cvt_f32_f16 v149, v149;
	;;#ASMEND
	;; [unrolled: 3-line block ×3, first 2 shown]
	s_delay_alu instid0(VALU_DEP_1)
	v_fmac_f32_e32 v121, v145, v117
	v_and_b32_e32 v117, 0xffff, v146
	;;#ASMSTART
	v_cvt_f32_f16 v150, v150;
	;;#ASMEND
	v_lshrrev_b32_e32 v145, 16, v146
	;;#ASMSTART
	v_cvt_f32_f16 v117, v117;
	;;#ASMEND
	v_lshrrev_b32_e32 v146, 16, v118
	v_and_b32_e32 v118, 0xffff, v118
	;;#ASMSTART
	v_cvt_f32_f16 v145, v145;
	;;#ASMEND
	;;#ASMSTART
	v_cvt_f32_f16 v118, v118;
	;;#ASMEND
	s_delay_alu instid0(VALU_DEP_1)
	v_dual_fmac_f32 v142, v117, v118 :: v_dual_and_b32 v117, 0xffff, v147
	;;#ASMSTART
	v_cvt_f32_f16 v146, v146;
	;;#ASMEND
	v_fmac_f32_e32 v122, v145, v146
	v_lshrrev_b32_e32 v118, 16, v147
	;;#ASMSTART
	v_cvt_f32_f16 v117, v117;
	;;#ASMEND
	v_lshrrev_b32_e32 v145, 16, v119
	v_and_b32_e32 v119, 0xffff, v119
	;;#ASMSTART
	v_cvt_f32_f16 v118, v118;
	;;#ASMEND
	;;#ASMSTART
	v_cvt_f32_f16 v119, v119;
	;;#ASMEND
	s_delay_alu instid0(VALU_DEP_1)
	v_fmac_f32_e32 v143, v117, v119
	v_and_b32_e32 v117, 0xffff, v148
	;;#ASMSTART
	v_cvt_f32_f16 v145, v145;
	;;#ASMEND
	;;#ASMSTART
	v_cvt_f32_f16 v117, v117;
	;;#ASMEND
	v_fmac_f32_e32 v123, v118, v145
	v_lshrrev_b32_e32 v118, 16, v148
	v_and_b32_e32 v119, 0xffff, v120
	;;#ASMSTART
	v_cvt_f32_f16 v118, v118;
	;;#ASMEND
	v_lshrrev_b32_e32 v145, 16, v120
	;;#ASMSTART
	v_cvt_f32_f16 v119, v119;
	;;#ASMEND
	;;#ASMSTART
	v_cvt_f32_f16 v120, v145;
	;;#ASMEND
	v_dual_fmac_f32 v141, v149, v150 :: v_dual_fmac_f32 v124, v118, v120
	v_fmac_f32_e32 v144, v117, v119
	ds_load_b128 v[117:120], v131 offset:48
	s_wait_loadcnt 0x1c
	v_lshrrev_b32_e32 v146, 16, v113
	v_and_b32_e32 v113, 0xffff, v113
	s_wait_dscnt 0x0
	v_lshrrev_b32_e32 v145, 16, v117
	v_and_b32_e32 v117, 0xffff, v117
	;;#ASMSTART
	v_cvt_f32_f16 v117, v117;
	;;#ASMEND
	;;#ASMSTART
	v_cvt_f32_f16 v145, v145;
	;;#ASMEND
	;; [unrolled: 3-line block ×3, first 2 shown]
	s_delay_alu instid0(VALU_DEP_1)
	v_fmac_f32_e32 v121, v117, v113
	v_lshrrev_b32_e32 v117, 16, v118
	v_and_b32_e32 v113, 0xffff, v118
	v_lshrrev_b32_e32 v118, 16, v114
	v_and_b32_e32 v114, 0xffff, v114
	;;#ASMSTART
	v_cvt_f32_f16 v146, v146;
	;;#ASMEND
	;;#ASMSTART
	v_cvt_f32_f16 v113, v113;
	;;#ASMEND
	;; [unrolled: 3-line block ×5, first 2 shown]
	v_fmac_f32_e32 v142, v113, v114
	v_fmac_f32_e32 v122, v117, v118
	v_lshrrev_b32_e32 v114, 16, v119
	v_and_b32_e32 v113, 0xffff, v119
	v_lshrrev_b32_e32 v117, 16, v115
	v_and_b32_e32 v115, 0xffff, v115
	;;#ASMSTART
	v_cvt_f32_f16 v113, v113;
	;;#ASMEND
	;;#ASMSTART
	v_cvt_f32_f16 v114, v114;
	;;#ASMEND
	;; [unrolled: 3-line block ×4, first 2 shown]
	v_fmac_f32_e32 v143, v113, v115
	v_fmac_f32_e32 v123, v114, v117
	v_lshrrev_b32_e32 v114, 16, v120
	v_and_b32_e32 v113, 0xffff, v120
	v_and_b32_e32 v115, 0xffff, v116
	;;#ASMSTART
	v_cvt_f32_f16 v113, v113;
	;;#ASMEND
	;;#ASMSTART
	v_cvt_f32_f16 v114, v114;
	;;#ASMEND
	v_lshrrev_b32_e32 v117, 16, v116
	;;#ASMSTART
	v_cvt_f32_f16 v115, v115;
	;;#ASMEND
	;;#ASMSTART
	v_cvt_f32_f16 v116, v117;
	;;#ASMEND
	v_fmac_f32_e32 v144, v113, v115
	v_fmac_f32_e32 v124, v114, v116
	ds_load_b128 v[113:116], v131 offset:64
	s_wait_loadcnt 0x1b
	v_lshrrev_b32_e32 v118, 16, v109
	v_and_b32_e32 v109, 0xffff, v109
	s_wait_dscnt 0x0
	v_lshrrev_b32_e32 v117, 16, v113
	v_and_b32_e32 v113, 0xffff, v113
	;;#ASMSTART
	v_cvt_f32_f16 v113, v113;
	;;#ASMEND
	;;#ASMSTART
	v_cvt_f32_f16 v117, v117;
	;;#ASMEND
	;; [unrolled: 3-line block ×3, first 2 shown]
	s_delay_alu instid0(VALU_DEP_1)
	v_fmac_f32_e32 v121, v113, v109
	v_lshrrev_b32_e32 v113, 16, v114
	v_and_b32_e32 v109, 0xffff, v114
	v_lshrrev_b32_e32 v114, 16, v110
	v_and_b32_e32 v110, 0xffff, v110
	;;#ASMSTART
	v_cvt_f32_f16 v118, v118;
	;;#ASMEND
	;;#ASMSTART
	v_cvt_f32_f16 v109, v109;
	;;#ASMEND
	;; [unrolled: 3-line block ×5, first 2 shown]
	v_fmac_f32_e32 v142, v109, v110
	v_fmac_f32_e32 v122, v113, v114
	v_lshrrev_b32_e32 v110, 16, v115
	v_and_b32_e32 v109, 0xffff, v115
	v_lshrrev_b32_e32 v113, 16, v111
	v_and_b32_e32 v111, 0xffff, v111
	;;#ASMSTART
	v_cvt_f32_f16 v109, v109;
	;;#ASMEND
	;;#ASMSTART
	v_cvt_f32_f16 v110, v110;
	;;#ASMEND
	;; [unrolled: 3-line block ×4, first 2 shown]
	v_fmac_f32_e32 v143, v109, v111
	v_fmac_f32_e32 v123, v110, v113
	v_lshrrev_b32_e32 v110, 16, v116
	v_and_b32_e32 v109, 0xffff, v116
	v_and_b32_e32 v111, 0xffff, v112
	;;#ASMSTART
	v_cvt_f32_f16 v109, v109;
	;;#ASMEND
	;;#ASMSTART
	v_cvt_f32_f16 v110, v110;
	;;#ASMEND
	v_lshrrev_b32_e32 v113, 16, v112
	;;#ASMSTART
	v_cvt_f32_f16 v111, v111;
	;;#ASMEND
	;;#ASMSTART
	v_cvt_f32_f16 v112, v113;
	;;#ASMEND
	v_dual_fmac_f32 v141, v145, v146 :: v_dual_fmac_f32 v124, v110, v112
	v_fmac_f32_e32 v144, v109, v111
	ds_load_b128 v[109:112], v131 offset:80
	s_wait_loadcnt 0x1a
	v_lshrrev_b32_e32 v114, 16, v105
	v_and_b32_e32 v105, 0xffff, v105
	s_wait_dscnt 0x0
	v_lshrrev_b32_e32 v113, 16, v109
	v_and_b32_e32 v109, 0xffff, v109
	;;#ASMSTART
	v_cvt_f32_f16 v109, v109;
	;;#ASMEND
	;;#ASMSTART
	v_cvt_f32_f16 v113, v113;
	;;#ASMEND
	;; [unrolled: 3-line block ×3, first 2 shown]
	s_delay_alu instid0(VALU_DEP_1)
	v_fmac_f32_e32 v121, v109, v105
	v_lshrrev_b32_e32 v109, 16, v110
	v_and_b32_e32 v105, 0xffff, v110
	v_lshrrev_b32_e32 v110, 16, v106
	v_and_b32_e32 v106, 0xffff, v106
	;;#ASMSTART
	v_cvt_f32_f16 v114, v114;
	;;#ASMEND
	;;#ASMSTART
	v_cvt_f32_f16 v105, v105;
	;;#ASMEND
	;; [unrolled: 3-line block ×5, first 2 shown]
	v_fmac_f32_e32 v142, v105, v106
	v_fmac_f32_e32 v122, v109, v110
	v_lshrrev_b32_e32 v106, 16, v111
	v_and_b32_e32 v105, 0xffff, v111
	v_lshrrev_b32_e32 v109, 16, v107
	v_and_b32_e32 v107, 0xffff, v107
	;;#ASMSTART
	v_cvt_f32_f16 v105, v105;
	;;#ASMEND
	;;#ASMSTART
	v_cvt_f32_f16 v106, v106;
	;;#ASMEND
	;;#ASMSTART
	v_cvt_f32_f16 v107, v107;
	;;#ASMEND
	;;#ASMSTART
	v_cvt_f32_f16 v109, v109;
	;;#ASMEND
	v_fmac_f32_e32 v143, v105, v107
	v_fmac_f32_e32 v123, v106, v109
	v_lshrrev_b32_e32 v106, 16, v112
	v_and_b32_e32 v105, 0xffff, v112
	v_and_b32_e32 v107, 0xffff, v108
	;;#ASMSTART
	v_cvt_f32_f16 v105, v105;
	;;#ASMEND
	;;#ASMSTART
	v_cvt_f32_f16 v106, v106;
	;;#ASMEND
	v_lshrrev_b32_e32 v109, 16, v108
	;;#ASMSTART
	v_cvt_f32_f16 v107, v107;
	;;#ASMEND
	;;#ASMSTART
	v_cvt_f32_f16 v108, v109;
	;;#ASMEND
	v_fmac_f32_e32 v144, v105, v107
	v_fmac_f32_e32 v124, v106, v108
	ds_load_b128 v[105:108], v131 offset:96
	s_wait_loadcnt 0x19
	v_lshrrev_b32_e32 v110, 16, v101
	v_and_b32_e32 v101, 0xffff, v101
	s_wait_dscnt 0x0
	v_lshrrev_b32_e32 v109, 16, v105
	v_and_b32_e32 v105, 0xffff, v105
	;;#ASMSTART
	v_cvt_f32_f16 v105, v105;
	;;#ASMEND
	;;#ASMSTART
	v_cvt_f32_f16 v109, v109;
	;;#ASMEND
	;; [unrolled: 3-line block ×3, first 2 shown]
	s_delay_alu instid0(VALU_DEP_1)
	v_fmac_f32_e32 v121, v105, v101
	v_lshrrev_b32_e32 v105, 16, v106
	v_and_b32_e32 v101, 0xffff, v106
	v_lshrrev_b32_e32 v106, 16, v102
	v_and_b32_e32 v102, 0xffff, v102
	;;#ASMSTART
	v_cvt_f32_f16 v110, v110;
	;;#ASMEND
	;;#ASMSTART
	v_cvt_f32_f16 v101, v101;
	;;#ASMEND
	;; [unrolled: 3-line block ×5, first 2 shown]
	v_fmac_f32_e32 v142, v101, v102
	v_fmac_f32_e32 v122, v105, v106
	v_lshrrev_b32_e32 v102, 16, v107
	v_and_b32_e32 v101, 0xffff, v107
	v_lshrrev_b32_e32 v105, 16, v103
	v_and_b32_e32 v103, 0xffff, v103
	;;#ASMSTART
	v_cvt_f32_f16 v101, v101;
	;;#ASMEND
	;;#ASMSTART
	v_cvt_f32_f16 v102, v102;
	;;#ASMEND
	;; [unrolled: 3-line block ×4, first 2 shown]
	v_fmac_f32_e32 v143, v101, v103
	v_fmac_f32_e32 v123, v102, v105
	v_lshrrev_b32_e32 v102, 16, v108
	v_and_b32_e32 v101, 0xffff, v108
	v_and_b32_e32 v103, 0xffff, v104
	;;#ASMSTART
	v_cvt_f32_f16 v101, v101;
	;;#ASMEND
	;;#ASMSTART
	v_cvt_f32_f16 v102, v102;
	;;#ASMEND
	v_lshrrev_b32_e32 v105, 16, v104
	;;#ASMSTART
	v_cvt_f32_f16 v103, v103;
	;;#ASMEND
	;;#ASMSTART
	v_cvt_f32_f16 v104, v105;
	;;#ASMEND
	v_dual_fmac_f32 v141, v117, v118 :: v_dual_fmac_f32 v124, v102, v104
	v_fmac_f32_e32 v144, v101, v103
	ds_load_b128 v[101:104], v131 offset:112
	s_wait_loadcnt 0x18
	v_lshrrev_b32_e32 v106, 16, v97
	v_and_b32_e32 v97, 0xffff, v97
	s_wait_dscnt 0x0
	v_lshrrev_b32_e32 v105, 16, v101
	v_and_b32_e32 v101, 0xffff, v101
	;;#ASMSTART
	v_cvt_f32_f16 v101, v101;
	;;#ASMEND
	;;#ASMSTART
	v_cvt_f32_f16 v105, v105;
	;;#ASMEND
	;; [unrolled: 3-line block ×3, first 2 shown]
	s_delay_alu instid0(VALU_DEP_1)
	v_fmac_f32_e32 v121, v101, v97
	v_lshrrev_b32_e32 v101, 16, v102
	v_and_b32_e32 v97, 0xffff, v102
	v_lshrrev_b32_e32 v102, 16, v98
	v_and_b32_e32 v98, 0xffff, v98
	;;#ASMSTART
	v_cvt_f32_f16 v106, v106;
	;;#ASMEND
	;;#ASMSTART
	v_cvt_f32_f16 v97, v97;
	;;#ASMEND
	;; [unrolled: 3-line block ×5, first 2 shown]
	v_fmac_f32_e32 v142, v97, v98
	v_fmac_f32_e32 v122, v101, v102
	v_lshrrev_b32_e32 v98, 16, v103
	v_and_b32_e32 v97, 0xffff, v103
	v_lshrrev_b32_e32 v101, 16, v99
	v_and_b32_e32 v99, 0xffff, v99
	;;#ASMSTART
	v_cvt_f32_f16 v97, v97;
	;;#ASMEND
	;;#ASMSTART
	v_cvt_f32_f16 v98, v98;
	;;#ASMEND
	;; [unrolled: 3-line block ×4, first 2 shown]
	v_fmac_f32_e32 v143, v97, v99
	v_fmac_f32_e32 v123, v98, v101
	v_lshrrev_b32_e32 v98, 16, v104
	v_and_b32_e32 v97, 0xffff, v104
	v_and_b32_e32 v99, 0xffff, v100
	;;#ASMSTART
	v_cvt_f32_f16 v97, v97;
	;;#ASMEND
	;;#ASMSTART
	v_cvt_f32_f16 v98, v98;
	;;#ASMEND
	v_lshrrev_b32_e32 v101, 16, v100
	;;#ASMSTART
	v_cvt_f32_f16 v99, v99;
	;;#ASMEND
	;;#ASMSTART
	v_cvt_f32_f16 v100, v101;
	;;#ASMEND
	v_fmac_f32_e32 v144, v97, v99
	v_fmac_f32_e32 v124, v98, v100
	ds_load_b128 v[97:100], v131 offset:128
	s_wait_loadcnt 0x17
	v_lshrrev_b32_e32 v102, 16, v93
	v_and_b32_e32 v93, 0xffff, v93
	s_wait_dscnt 0x0
	v_lshrrev_b32_e32 v101, 16, v97
	v_and_b32_e32 v97, 0xffff, v97
	;;#ASMSTART
	v_cvt_f32_f16 v97, v97;
	;;#ASMEND
	;;#ASMSTART
	v_cvt_f32_f16 v101, v101;
	;;#ASMEND
	;; [unrolled: 3-line block ×3, first 2 shown]
	s_delay_alu instid0(VALU_DEP_1)
	v_fmac_f32_e32 v121, v97, v93
	v_lshrrev_b32_e32 v97, 16, v98
	v_and_b32_e32 v93, 0xffff, v98
	v_lshrrev_b32_e32 v98, 16, v94
	v_and_b32_e32 v94, 0xffff, v94
	;;#ASMSTART
	v_cvt_f32_f16 v102, v102;
	;;#ASMEND
	;;#ASMSTART
	v_cvt_f32_f16 v93, v93;
	;;#ASMEND
	;; [unrolled: 3-line block ×5, first 2 shown]
	v_fmac_f32_e32 v142, v93, v94
	v_fmac_f32_e32 v122, v97, v98
	v_lshrrev_b32_e32 v94, 16, v99
	v_and_b32_e32 v93, 0xffff, v99
	v_lshrrev_b32_e32 v97, 16, v95
	v_and_b32_e32 v95, 0xffff, v95
	;;#ASMSTART
	v_cvt_f32_f16 v93, v93;
	;;#ASMEND
	;;#ASMSTART
	v_cvt_f32_f16 v94, v94;
	;;#ASMEND
	;; [unrolled: 3-line block ×4, first 2 shown]
	v_fmac_f32_e32 v143, v93, v95
	v_fmac_f32_e32 v123, v94, v97
	v_lshrrev_b32_e32 v94, 16, v100
	v_and_b32_e32 v93, 0xffff, v100
	v_and_b32_e32 v95, 0xffff, v96
	;;#ASMSTART
	v_cvt_f32_f16 v93, v93;
	;;#ASMEND
	;;#ASMSTART
	v_cvt_f32_f16 v94, v94;
	;;#ASMEND
	v_lshrrev_b32_e32 v97, 16, v96
	;;#ASMSTART
	v_cvt_f32_f16 v95, v95;
	;;#ASMEND
	;;#ASMSTART
	v_cvt_f32_f16 v96, v97;
	;;#ASMEND
	v_dual_fmac_f32 v141, v113, v114 :: v_dual_fmac_f32 v124, v94, v96
	v_fmac_f32_e32 v144, v93, v95
	ds_load_b128 v[93:96], v131 offset:144
	s_wait_loadcnt 0x16
	v_lshrrev_b32_e32 v98, 16, v89
	v_and_b32_e32 v89, 0xffff, v89
	s_wait_dscnt 0x0
	v_lshrrev_b32_e32 v97, 16, v93
	v_and_b32_e32 v93, 0xffff, v93
	;;#ASMSTART
	v_cvt_f32_f16 v93, v93;
	;;#ASMEND
	;;#ASMSTART
	v_cvt_f32_f16 v97, v97;
	;;#ASMEND
	;; [unrolled: 3-line block ×3, first 2 shown]
	s_delay_alu instid0(VALU_DEP_1)
	v_fmac_f32_e32 v121, v93, v89
	v_lshrrev_b32_e32 v93, 16, v94
	v_and_b32_e32 v89, 0xffff, v94
	v_lshrrev_b32_e32 v94, 16, v90
	v_and_b32_e32 v90, 0xffff, v90
	;;#ASMSTART
	v_cvt_f32_f16 v98, v98;
	;;#ASMEND
	;;#ASMSTART
	v_cvt_f32_f16 v89, v89;
	;;#ASMEND
	;; [unrolled: 3-line block ×5, first 2 shown]
	v_fmac_f32_e32 v142, v89, v90
	v_fmac_f32_e32 v122, v93, v94
	v_lshrrev_b32_e32 v90, 16, v95
	v_and_b32_e32 v89, 0xffff, v95
	v_lshrrev_b32_e32 v93, 16, v91
	v_and_b32_e32 v91, 0xffff, v91
	;;#ASMSTART
	v_cvt_f32_f16 v89, v89;
	;;#ASMEND
	;;#ASMSTART
	v_cvt_f32_f16 v90, v90;
	;;#ASMEND
	;; [unrolled: 3-line block ×4, first 2 shown]
	v_fmac_f32_e32 v143, v89, v91
	v_fmac_f32_e32 v123, v90, v93
	v_lshrrev_b32_e32 v90, 16, v96
	v_and_b32_e32 v89, 0xffff, v96
	v_and_b32_e32 v91, 0xffff, v92
	;;#ASMSTART
	v_cvt_f32_f16 v89, v89;
	;;#ASMEND
	;;#ASMSTART
	v_cvt_f32_f16 v90, v90;
	;;#ASMEND
	v_lshrrev_b32_e32 v93, 16, v92
	;;#ASMSTART
	v_cvt_f32_f16 v91, v91;
	;;#ASMEND
	;;#ASMSTART
	v_cvt_f32_f16 v92, v93;
	;;#ASMEND
	v_fmac_f32_e32 v144, v89, v91
	v_fmac_f32_e32 v124, v90, v92
	ds_load_b128 v[89:92], v131 offset:160
	s_wait_loadcnt 0x15
	v_lshrrev_b32_e32 v94, 16, v85
	v_and_b32_e32 v85, 0xffff, v85
	s_wait_dscnt 0x0
	v_lshrrev_b32_e32 v93, 16, v89
	v_and_b32_e32 v89, 0xffff, v89
	;;#ASMSTART
	v_cvt_f32_f16 v89, v89;
	;;#ASMEND
	;;#ASMSTART
	v_cvt_f32_f16 v93, v93;
	;;#ASMEND
	;; [unrolled: 3-line block ×3, first 2 shown]
	s_delay_alu instid0(VALU_DEP_1)
	v_fmac_f32_e32 v121, v89, v85
	v_lshrrev_b32_e32 v89, 16, v90
	v_and_b32_e32 v85, 0xffff, v90
	v_lshrrev_b32_e32 v90, 16, v86
	v_and_b32_e32 v86, 0xffff, v86
	;;#ASMSTART
	v_cvt_f32_f16 v94, v94;
	;;#ASMEND
	;;#ASMSTART
	v_cvt_f32_f16 v85, v85;
	;;#ASMEND
	;; [unrolled: 3-line block ×5, first 2 shown]
	v_fmac_f32_e32 v142, v85, v86
	v_fmac_f32_e32 v122, v89, v90
	v_lshrrev_b32_e32 v86, 16, v91
	v_and_b32_e32 v85, 0xffff, v91
	v_lshrrev_b32_e32 v89, 16, v87
	v_and_b32_e32 v87, 0xffff, v87
	;;#ASMSTART
	v_cvt_f32_f16 v85, v85;
	;;#ASMEND
	;;#ASMSTART
	v_cvt_f32_f16 v86, v86;
	;;#ASMEND
	;; [unrolled: 3-line block ×4, first 2 shown]
	v_fmac_f32_e32 v143, v85, v87
	v_fmac_f32_e32 v123, v86, v89
	v_lshrrev_b32_e32 v86, 16, v92
	v_and_b32_e32 v85, 0xffff, v92
	v_and_b32_e32 v87, 0xffff, v88
	;;#ASMSTART
	v_cvt_f32_f16 v85, v85;
	;;#ASMEND
	;;#ASMSTART
	v_cvt_f32_f16 v86, v86;
	;;#ASMEND
	v_lshrrev_b32_e32 v89, 16, v88
	;;#ASMSTART
	v_cvt_f32_f16 v87, v87;
	;;#ASMEND
	;;#ASMSTART
	v_cvt_f32_f16 v88, v89;
	;;#ASMEND
	v_fmac_f32_e32 v144, v85, v87
	v_fmac_f32_e32 v124, v86, v88
	ds_load_b128 v[85:88], v131 offset:176
	s_wait_loadcnt 0x14
	v_lshrrev_b32_e32 v90, 16, v81
	v_and_b32_e32 v81, 0xffff, v81
	s_wait_dscnt 0x0
	v_lshrrev_b32_e32 v89, 16, v85
	v_and_b32_e32 v85, 0xffff, v85
	;;#ASMSTART
	v_cvt_f32_f16 v85, v85;
	;;#ASMEND
	;;#ASMSTART
	v_cvt_f32_f16 v89, v89;
	;;#ASMEND
	;; [unrolled: 3-line block ×3, first 2 shown]
	s_delay_alu instid0(VALU_DEP_1)
	v_fmac_f32_e32 v121, v85, v81
	v_lshrrev_b32_e32 v85, 16, v86
	v_and_b32_e32 v81, 0xffff, v86
	v_lshrrev_b32_e32 v86, 16, v82
	v_and_b32_e32 v82, 0xffff, v82
	;;#ASMSTART
	v_cvt_f32_f16 v90, v90;
	;;#ASMEND
	;;#ASMSTART
	v_cvt_f32_f16 v81, v81;
	;;#ASMEND
	;;#ASMSTART
	v_cvt_f32_f16 v85, v85;
	;;#ASMEND
	;;#ASMSTART
	v_cvt_f32_f16 v82, v82;
	;;#ASMEND
	;;#ASMSTART
	v_cvt_f32_f16 v86, v86;
	;;#ASMEND
	v_fmac_f32_e32 v142, v81, v82
	v_fmac_f32_e32 v122, v85, v86
	v_lshrrev_b32_e32 v82, 16, v87
	v_and_b32_e32 v81, 0xffff, v87
	v_lshrrev_b32_e32 v85, 16, v83
	v_and_b32_e32 v83, 0xffff, v83
	;;#ASMSTART
	v_cvt_f32_f16 v81, v81;
	;;#ASMEND
	;;#ASMSTART
	v_cvt_f32_f16 v82, v82;
	;;#ASMEND
	;; [unrolled: 3-line block ×4, first 2 shown]
	v_fmac_f32_e32 v143, v81, v83
	v_fmac_f32_e32 v123, v82, v85
	v_lshrrev_b32_e32 v82, 16, v88
	v_and_b32_e32 v81, 0xffff, v88
	v_and_b32_e32 v83, 0xffff, v84
	;;#ASMSTART
	v_cvt_f32_f16 v81, v81;
	;;#ASMEND
	;;#ASMSTART
	v_cvt_f32_f16 v82, v82;
	;;#ASMEND
	v_lshrrev_b32_e32 v85, 16, v84
	;;#ASMSTART
	v_cvt_f32_f16 v83, v83;
	;;#ASMEND
	;;#ASMSTART
	v_cvt_f32_f16 v84, v85;
	;;#ASMEND
	v_dual_fmac_f32 v141, v109, v110 :: v_dual_fmac_f32 v124, v82, v84
	v_fmac_f32_e32 v144, v81, v83
	ds_load_b128 v[81:84], v131 offset:192
	s_wait_loadcnt 0x13
	v_lshrrev_b32_e32 v86, 16, v77
	v_and_b32_e32 v77, 0xffff, v77
	s_wait_dscnt 0x0
	v_lshrrev_b32_e32 v85, 16, v81
	v_and_b32_e32 v81, 0xffff, v81
	;;#ASMSTART
	v_cvt_f32_f16 v81, v81;
	;;#ASMEND
	;;#ASMSTART
	v_cvt_f32_f16 v85, v85;
	;;#ASMEND
	;; [unrolled: 3-line block ×3, first 2 shown]
	s_delay_alu instid0(VALU_DEP_1)
	v_fmac_f32_e32 v121, v81, v77
	v_lshrrev_b32_e32 v81, 16, v82
	v_and_b32_e32 v77, 0xffff, v82
	v_lshrrev_b32_e32 v82, 16, v78
	v_and_b32_e32 v78, 0xffff, v78
	;;#ASMSTART
	v_cvt_f32_f16 v86, v86;
	;;#ASMEND
	;;#ASMSTART
	v_cvt_f32_f16 v77, v77;
	;;#ASMEND
	;;#ASMSTART
	v_cvt_f32_f16 v81, v81;
	;;#ASMEND
	;;#ASMSTART
	v_cvt_f32_f16 v78, v78;
	;;#ASMEND
	;;#ASMSTART
	v_cvt_f32_f16 v82, v82;
	;;#ASMEND
	v_fmac_f32_e32 v142, v77, v78
	v_fmac_f32_e32 v122, v81, v82
	v_lshrrev_b32_e32 v78, 16, v83
	v_and_b32_e32 v77, 0xffff, v83
	v_lshrrev_b32_e32 v81, 16, v79
	v_and_b32_e32 v79, 0xffff, v79
	;;#ASMSTART
	v_cvt_f32_f16 v77, v77;
	;;#ASMEND
	;;#ASMSTART
	v_cvt_f32_f16 v78, v78;
	;;#ASMEND
	;; [unrolled: 3-line block ×4, first 2 shown]
	v_fmac_f32_e32 v143, v77, v79
	v_fmac_f32_e32 v123, v78, v81
	v_lshrrev_b32_e32 v78, 16, v84
	v_and_b32_e32 v77, 0xffff, v84
	v_and_b32_e32 v79, 0xffff, v80
	;;#ASMSTART
	v_cvt_f32_f16 v77, v77;
	;;#ASMEND
	;;#ASMSTART
	v_cvt_f32_f16 v78, v78;
	;;#ASMEND
	v_lshrrev_b32_e32 v81, 16, v80
	;;#ASMSTART
	v_cvt_f32_f16 v79, v79;
	;;#ASMEND
	;;#ASMSTART
	v_cvt_f32_f16 v80, v81;
	;;#ASMEND
	v_fmac_f32_e32 v144, v77, v79
	v_fmac_f32_e32 v124, v78, v80
	ds_load_b128 v[77:80], v131 offset:208
	s_wait_loadcnt 0x12
	v_lshrrev_b32_e32 v82, 16, v73
	v_and_b32_e32 v73, 0xffff, v73
	s_wait_dscnt 0x0
	v_lshrrev_b32_e32 v81, 16, v77
	v_and_b32_e32 v77, 0xffff, v77
	;;#ASMSTART
	v_cvt_f32_f16 v77, v77;
	;;#ASMEND
	;;#ASMSTART
	v_cvt_f32_f16 v81, v81;
	;;#ASMEND
	;; [unrolled: 3-line block ×3, first 2 shown]
	s_delay_alu instid0(VALU_DEP_1)
	v_fmac_f32_e32 v121, v77, v73
	v_lshrrev_b32_e32 v77, 16, v78
	v_and_b32_e32 v73, 0xffff, v78
	v_lshrrev_b32_e32 v78, 16, v74
	v_and_b32_e32 v74, 0xffff, v74
	;;#ASMSTART
	v_cvt_f32_f16 v82, v82;
	;;#ASMEND
	;;#ASMSTART
	v_cvt_f32_f16 v73, v73;
	;;#ASMEND
	;;#ASMSTART
	v_cvt_f32_f16 v77, v77;
	;;#ASMEND
	;;#ASMSTART
	v_cvt_f32_f16 v74, v74;
	;;#ASMEND
	;;#ASMSTART
	v_cvt_f32_f16 v78, v78;
	;;#ASMEND
	v_fmac_f32_e32 v142, v73, v74
	v_fmac_f32_e32 v122, v77, v78
	v_lshrrev_b32_e32 v74, 16, v79
	v_and_b32_e32 v73, 0xffff, v79
	v_lshrrev_b32_e32 v77, 16, v75
	v_and_b32_e32 v75, 0xffff, v75
	;;#ASMSTART
	v_cvt_f32_f16 v73, v73;
	;;#ASMEND
	;;#ASMSTART
	v_cvt_f32_f16 v74, v74;
	;;#ASMEND
	;; [unrolled: 3-line block ×4, first 2 shown]
	v_fmac_f32_e32 v143, v73, v75
	v_fmac_f32_e32 v123, v74, v77
	v_lshrrev_b32_e32 v74, 16, v80
	v_and_b32_e32 v73, 0xffff, v80
	v_and_b32_e32 v75, 0xffff, v76
	;;#ASMSTART
	v_cvt_f32_f16 v73, v73;
	;;#ASMEND
	;;#ASMSTART
	v_cvt_f32_f16 v74, v74;
	;;#ASMEND
	v_lshrrev_b32_e32 v77, 16, v76
	;;#ASMSTART
	v_cvt_f32_f16 v75, v75;
	;;#ASMEND
	;;#ASMSTART
	v_cvt_f32_f16 v76, v77;
	;;#ASMEND
	v_dual_fmac_f32 v141, v105, v106 :: v_dual_fmac_f32 v124, v74, v76
	v_fmac_f32_e32 v144, v73, v75
	ds_load_b128 v[73:76], v131 offset:224
	s_wait_loadcnt 0x11
	v_lshrrev_b32_e32 v78, 16, v69
	v_and_b32_e32 v69, 0xffff, v69
	s_wait_dscnt 0x0
	v_lshrrev_b32_e32 v77, 16, v73
	v_and_b32_e32 v73, 0xffff, v73
	;;#ASMSTART
	v_cvt_f32_f16 v73, v73;
	;;#ASMEND
	;;#ASMSTART
	v_cvt_f32_f16 v77, v77;
	;;#ASMEND
	;; [unrolled: 3-line block ×3, first 2 shown]
	s_delay_alu instid0(VALU_DEP_1)
	v_fmac_f32_e32 v121, v73, v69
	v_lshrrev_b32_e32 v73, 16, v74
	v_and_b32_e32 v69, 0xffff, v74
	v_lshrrev_b32_e32 v74, 16, v70
	v_and_b32_e32 v70, 0xffff, v70
	;;#ASMSTART
	v_cvt_f32_f16 v78, v78;
	;;#ASMEND
	;;#ASMSTART
	v_cvt_f32_f16 v69, v69;
	;;#ASMEND
	;; [unrolled: 3-line block ×5, first 2 shown]
	v_fmac_f32_e32 v142, v69, v70
	v_fmac_f32_e32 v122, v73, v74
	v_lshrrev_b32_e32 v70, 16, v75
	v_and_b32_e32 v69, 0xffff, v75
	v_lshrrev_b32_e32 v73, 16, v71
	v_and_b32_e32 v71, 0xffff, v71
	;;#ASMSTART
	v_cvt_f32_f16 v69, v69;
	;;#ASMEND
	;;#ASMSTART
	v_cvt_f32_f16 v70, v70;
	;;#ASMEND
	;; [unrolled: 3-line block ×4, first 2 shown]
	v_fmac_f32_e32 v143, v69, v71
	v_fmac_f32_e32 v123, v70, v73
	v_lshrrev_b32_e32 v70, 16, v76
	v_and_b32_e32 v69, 0xffff, v76
	v_and_b32_e32 v71, 0xffff, v72
	;;#ASMSTART
	v_cvt_f32_f16 v69, v69;
	;;#ASMEND
	;;#ASMSTART
	v_cvt_f32_f16 v70, v70;
	;;#ASMEND
	v_lshrrev_b32_e32 v73, 16, v72
	;;#ASMSTART
	v_cvt_f32_f16 v71, v71;
	;;#ASMEND
	;;#ASMSTART
	v_cvt_f32_f16 v72, v73;
	;;#ASMEND
	v_fmac_f32_e32 v144, v69, v71
	v_fmac_f32_e32 v124, v70, v72
	ds_load_b128 v[69:72], v131 offset:240
	s_wait_loadcnt 0x10
	v_lshrrev_b32_e32 v74, 16, v65
	v_and_b32_e32 v65, 0xffff, v65
	s_wait_dscnt 0x0
	v_lshrrev_b32_e32 v73, 16, v69
	v_and_b32_e32 v69, 0xffff, v69
	;;#ASMSTART
	v_cvt_f32_f16 v69, v69;
	;;#ASMEND
	;;#ASMSTART
	v_cvt_f32_f16 v73, v73;
	;;#ASMEND
	;; [unrolled: 3-line block ×3, first 2 shown]
	s_delay_alu instid0(VALU_DEP_1)
	v_fmac_f32_e32 v121, v69, v65
	v_lshrrev_b32_e32 v69, 16, v70
	v_and_b32_e32 v65, 0xffff, v70
	v_lshrrev_b32_e32 v70, 16, v66
	v_and_b32_e32 v66, 0xffff, v66
	;;#ASMSTART
	v_cvt_f32_f16 v74, v74;
	;;#ASMEND
	;;#ASMSTART
	v_cvt_f32_f16 v65, v65;
	;;#ASMEND
	;; [unrolled: 3-line block ×5, first 2 shown]
	v_fmac_f32_e32 v142, v65, v66
	v_fmac_f32_e32 v122, v69, v70
	v_lshrrev_b32_e32 v66, 16, v71
	v_and_b32_e32 v65, 0xffff, v71
	v_lshrrev_b32_e32 v69, 16, v67
	v_and_b32_e32 v67, 0xffff, v67
	;;#ASMSTART
	v_cvt_f32_f16 v65, v65;
	;;#ASMEND
	;;#ASMSTART
	v_cvt_f32_f16 v66, v66;
	;;#ASMEND
	;; [unrolled: 3-line block ×4, first 2 shown]
	v_fmac_f32_e32 v143, v65, v67
	v_fmac_f32_e32 v123, v66, v69
	v_lshrrev_b32_e32 v66, 16, v72
	v_and_b32_e32 v65, 0xffff, v72
	v_and_b32_e32 v67, 0xffff, v68
	;;#ASMSTART
	v_cvt_f32_f16 v65, v65;
	;;#ASMEND
	;;#ASMSTART
	v_cvt_f32_f16 v66, v66;
	;;#ASMEND
	v_lshrrev_b32_e32 v69, 16, v68
	;;#ASMSTART
	v_cvt_f32_f16 v67, v67;
	;;#ASMEND
	;;#ASMSTART
	v_cvt_f32_f16 v68, v69;
	;;#ASMEND
	v_dual_fmac_f32 v141, v101, v102 :: v_dual_fmac_f32 v124, v66, v68
	v_fmac_f32_e32 v144, v65, v67
	ds_load_b128 v[65:68], v131 offset:256
	s_wait_loadcnt 0xf
	v_lshrrev_b32_e32 v70, 16, v61
	v_and_b32_e32 v61, 0xffff, v61
	s_wait_dscnt 0x0
	v_lshrrev_b32_e32 v69, 16, v65
	v_and_b32_e32 v65, 0xffff, v65
	;;#ASMSTART
	v_cvt_f32_f16 v65, v65;
	;;#ASMEND
	;;#ASMSTART
	v_cvt_f32_f16 v69, v69;
	;;#ASMEND
	;; [unrolled: 3-line block ×3, first 2 shown]
	s_delay_alu instid0(VALU_DEP_1)
	v_fmac_f32_e32 v121, v65, v61
	v_lshrrev_b32_e32 v65, 16, v66
	v_and_b32_e32 v61, 0xffff, v66
	v_lshrrev_b32_e32 v66, 16, v62
	v_and_b32_e32 v62, 0xffff, v62
	;;#ASMSTART
	v_cvt_f32_f16 v70, v70;
	;;#ASMEND
	;;#ASMSTART
	v_cvt_f32_f16 v61, v61;
	;;#ASMEND
	;; [unrolled: 3-line block ×5, first 2 shown]
	v_fmac_f32_e32 v142, v61, v62
	v_fmac_f32_e32 v122, v65, v66
	v_lshrrev_b32_e32 v62, 16, v67
	v_and_b32_e32 v61, 0xffff, v67
	v_lshrrev_b32_e32 v65, 16, v63
	v_and_b32_e32 v63, 0xffff, v63
	;;#ASMSTART
	v_cvt_f32_f16 v61, v61;
	;;#ASMEND
	;;#ASMSTART
	v_cvt_f32_f16 v62, v62;
	;;#ASMEND
	;; [unrolled: 3-line block ×4, first 2 shown]
	v_fmac_f32_e32 v143, v61, v63
	v_fmac_f32_e32 v123, v62, v65
	v_lshrrev_b32_e32 v62, 16, v68
	v_and_b32_e32 v61, 0xffff, v68
	v_and_b32_e32 v63, 0xffff, v64
	;;#ASMSTART
	v_cvt_f32_f16 v61, v61;
	;;#ASMEND
	;;#ASMSTART
	v_cvt_f32_f16 v62, v62;
	;;#ASMEND
	v_lshrrev_b32_e32 v65, 16, v64
	;;#ASMSTART
	v_cvt_f32_f16 v63, v63;
	;;#ASMEND
	;;#ASMSTART
	v_cvt_f32_f16 v64, v65;
	;;#ASMEND
	v_fmac_f32_e32 v144, v61, v63
	v_fmac_f32_e32 v124, v62, v64
	ds_load_b128 v[61:64], v131 offset:272
	s_wait_loadcnt 0xe
	v_lshrrev_b32_e32 v66, 16, v57
	v_and_b32_e32 v57, 0xffff, v57
	s_wait_dscnt 0x0
	v_lshrrev_b32_e32 v65, 16, v61
	v_and_b32_e32 v61, 0xffff, v61
	;;#ASMSTART
	v_cvt_f32_f16 v61, v61;
	;;#ASMEND
	;;#ASMSTART
	v_cvt_f32_f16 v65, v65;
	;;#ASMEND
	;; [unrolled: 3-line block ×3, first 2 shown]
	s_delay_alu instid0(VALU_DEP_1)
	v_fmac_f32_e32 v121, v61, v57
	v_lshrrev_b32_e32 v61, 16, v62
	v_and_b32_e32 v57, 0xffff, v62
	v_lshrrev_b32_e32 v62, 16, v58
	v_and_b32_e32 v58, 0xffff, v58
	;;#ASMSTART
	v_cvt_f32_f16 v66, v66;
	;;#ASMEND
	;;#ASMSTART
	v_cvt_f32_f16 v57, v57;
	;;#ASMEND
	;; [unrolled: 3-line block ×5, first 2 shown]
	v_fmac_f32_e32 v142, v57, v58
	v_fmac_f32_e32 v122, v61, v62
	v_lshrrev_b32_e32 v58, 16, v63
	v_and_b32_e32 v57, 0xffff, v63
	v_lshrrev_b32_e32 v61, 16, v59
	v_and_b32_e32 v59, 0xffff, v59
	;;#ASMSTART
	v_cvt_f32_f16 v57, v57;
	;;#ASMEND
	;;#ASMSTART
	v_cvt_f32_f16 v58, v58;
	;;#ASMEND
	;; [unrolled: 3-line block ×4, first 2 shown]
	v_fmac_f32_e32 v143, v57, v59
	v_fmac_f32_e32 v123, v58, v61
	v_lshrrev_b32_e32 v58, 16, v64
	v_and_b32_e32 v57, 0xffff, v64
	v_and_b32_e32 v59, 0xffff, v60
	;;#ASMSTART
	v_cvt_f32_f16 v57, v57;
	;;#ASMEND
	;;#ASMSTART
	v_cvt_f32_f16 v58, v58;
	;;#ASMEND
	v_lshrrev_b32_e32 v61, 16, v60
	;;#ASMSTART
	v_cvt_f32_f16 v59, v59;
	;;#ASMEND
	;;#ASMSTART
	v_cvt_f32_f16 v60, v61;
	;;#ASMEND
	v_dual_fmac_f32 v141, v97, v98 :: v_dual_fmac_f32 v124, v58, v60
	v_fmac_f32_e32 v144, v57, v59
	ds_load_b128 v[57:60], v131 offset:288
	s_wait_loadcnt 0xd
	v_lshrrev_b32_e32 v62, 16, v53
	v_and_b32_e32 v53, 0xffff, v53
	s_wait_dscnt 0x0
	v_lshrrev_b32_e32 v61, 16, v57
	v_and_b32_e32 v57, 0xffff, v57
	;;#ASMSTART
	v_cvt_f32_f16 v57, v57;
	;;#ASMEND
	;;#ASMSTART
	v_cvt_f32_f16 v61, v61;
	;;#ASMEND
	;; [unrolled: 3-line block ×3, first 2 shown]
	s_delay_alu instid0(VALU_DEP_1)
	v_fmac_f32_e32 v121, v57, v53
	v_lshrrev_b32_e32 v57, 16, v58
	v_and_b32_e32 v53, 0xffff, v58
	v_lshrrev_b32_e32 v58, 16, v54
	v_and_b32_e32 v54, 0xffff, v54
	;;#ASMSTART
	v_cvt_f32_f16 v62, v62;
	;;#ASMEND
	;;#ASMSTART
	v_cvt_f32_f16 v53, v53;
	;;#ASMEND
	;; [unrolled: 3-line block ×5, first 2 shown]
	v_fmac_f32_e32 v142, v53, v54
	v_fmac_f32_e32 v122, v57, v58
	v_lshrrev_b32_e32 v54, 16, v59
	v_and_b32_e32 v53, 0xffff, v59
	v_lshrrev_b32_e32 v57, 16, v55
	v_and_b32_e32 v55, 0xffff, v55
	;;#ASMSTART
	v_cvt_f32_f16 v53, v53;
	;;#ASMEND
	;;#ASMSTART
	v_cvt_f32_f16 v54, v54;
	;;#ASMEND
	;; [unrolled: 3-line block ×4, first 2 shown]
	v_fmac_f32_e32 v143, v53, v55
	v_fmac_f32_e32 v123, v54, v57
	v_lshrrev_b32_e32 v54, 16, v60
	v_and_b32_e32 v53, 0xffff, v60
	v_and_b32_e32 v55, 0xffff, v56
	;;#ASMSTART
	v_cvt_f32_f16 v53, v53;
	;;#ASMEND
	;;#ASMSTART
	v_cvt_f32_f16 v54, v54;
	;;#ASMEND
	v_lshrrev_b32_e32 v57, 16, v56
	;;#ASMSTART
	v_cvt_f32_f16 v55, v55;
	;;#ASMEND
	;;#ASMSTART
	v_cvt_f32_f16 v56, v57;
	;;#ASMEND
	v_fmac_f32_e32 v144, v53, v55
	v_fmac_f32_e32 v124, v54, v56
	ds_load_b128 v[53:56], v131 offset:304
	s_wait_loadcnt 0xc
	v_lshrrev_b32_e32 v58, 16, v49
	v_and_b32_e32 v49, 0xffff, v49
	s_wait_dscnt 0x0
	v_lshrrev_b32_e32 v57, 16, v53
	v_and_b32_e32 v53, 0xffff, v53
	;;#ASMSTART
	v_cvt_f32_f16 v53, v53;
	;;#ASMEND
	;;#ASMSTART
	v_cvt_f32_f16 v57, v57;
	;;#ASMEND
	;; [unrolled: 3-line block ×3, first 2 shown]
	s_delay_alu instid0(VALU_DEP_1)
	v_fmac_f32_e32 v121, v53, v49
	v_lshrrev_b32_e32 v53, 16, v54
	v_and_b32_e32 v49, 0xffff, v54
	v_lshrrev_b32_e32 v54, 16, v50
	v_and_b32_e32 v50, 0xffff, v50
	;;#ASMSTART
	v_cvt_f32_f16 v58, v58;
	;;#ASMEND
	;;#ASMSTART
	v_cvt_f32_f16 v49, v49;
	;;#ASMEND
	;; [unrolled: 3-line block ×5, first 2 shown]
	v_fmac_f32_e32 v142, v49, v50
	v_fmac_f32_e32 v122, v53, v54
	v_lshrrev_b32_e32 v50, 16, v55
	v_and_b32_e32 v49, 0xffff, v55
	v_lshrrev_b32_e32 v53, 16, v51
	v_and_b32_e32 v51, 0xffff, v51
	;;#ASMSTART
	v_cvt_f32_f16 v49, v49;
	;;#ASMEND
	;;#ASMSTART
	v_cvt_f32_f16 v50, v50;
	;;#ASMEND
	;; [unrolled: 3-line block ×4, first 2 shown]
	v_fmac_f32_e32 v143, v49, v51
	v_fmac_f32_e32 v123, v50, v53
	v_lshrrev_b32_e32 v50, 16, v56
	v_and_b32_e32 v49, 0xffff, v56
	v_and_b32_e32 v51, 0xffff, v52
	;;#ASMSTART
	v_cvt_f32_f16 v49, v49;
	;;#ASMEND
	;;#ASMSTART
	v_cvt_f32_f16 v50, v50;
	;;#ASMEND
	v_lshrrev_b32_e32 v53, 16, v52
	;;#ASMSTART
	v_cvt_f32_f16 v51, v51;
	;;#ASMEND
	;;#ASMSTART
	v_cvt_f32_f16 v52, v53;
	;;#ASMEND
	v_dual_fmac_f32 v141, v93, v94 :: v_dual_fmac_f32 v124, v50, v52
	v_fmac_f32_e32 v144, v49, v51
	ds_load_b128 v[49:52], v131 offset:320
	s_wait_loadcnt 0xb
	v_lshrrev_b32_e32 v54, 16, v45
	v_and_b32_e32 v45, 0xffff, v45
	s_wait_dscnt 0x0
	v_lshrrev_b32_e32 v53, 16, v49
	v_and_b32_e32 v49, 0xffff, v49
	;;#ASMSTART
	v_cvt_f32_f16 v49, v49;
	;;#ASMEND
	;;#ASMSTART
	v_cvt_f32_f16 v53, v53;
	;;#ASMEND
	;; [unrolled: 3-line block ×3, first 2 shown]
	s_delay_alu instid0(VALU_DEP_1)
	v_fmac_f32_e32 v121, v49, v45
	v_lshrrev_b32_e32 v49, 16, v50
	v_and_b32_e32 v45, 0xffff, v50
	v_lshrrev_b32_e32 v50, 16, v46
	v_and_b32_e32 v46, 0xffff, v46
	;;#ASMSTART
	v_cvt_f32_f16 v54, v54;
	;;#ASMEND
	;;#ASMSTART
	v_cvt_f32_f16 v45, v45;
	;;#ASMEND
	;; [unrolled: 3-line block ×5, first 2 shown]
	v_fmac_f32_e32 v142, v45, v46
	v_fmac_f32_e32 v122, v49, v50
	v_lshrrev_b32_e32 v46, 16, v51
	v_and_b32_e32 v45, 0xffff, v51
	v_lshrrev_b32_e32 v49, 16, v47
	v_and_b32_e32 v47, 0xffff, v47
	;;#ASMSTART
	v_cvt_f32_f16 v45, v45;
	;;#ASMEND
	;;#ASMSTART
	v_cvt_f32_f16 v46, v46;
	;;#ASMEND
	;; [unrolled: 3-line block ×4, first 2 shown]
	v_fmac_f32_e32 v143, v45, v47
	v_fmac_f32_e32 v123, v46, v49
	v_lshrrev_b32_e32 v46, 16, v52
	v_and_b32_e32 v45, 0xffff, v52
	v_and_b32_e32 v47, 0xffff, v48
	;;#ASMSTART
	v_cvt_f32_f16 v45, v45;
	;;#ASMEND
	;;#ASMSTART
	v_cvt_f32_f16 v46, v46;
	;;#ASMEND
	v_lshrrev_b32_e32 v49, 16, v48
	;;#ASMSTART
	v_cvt_f32_f16 v47, v47;
	;;#ASMEND
	;;#ASMSTART
	v_cvt_f32_f16 v48, v49;
	;;#ASMEND
	v_fmac_f32_e32 v144, v45, v47
	v_fmac_f32_e32 v124, v46, v48
	ds_load_b128 v[45:48], v131 offset:336
	s_wait_loadcnt 0xa
	v_lshrrev_b32_e32 v50, 16, v41
	v_and_b32_e32 v41, 0xffff, v41
	s_wait_dscnt 0x0
	v_lshrrev_b32_e32 v49, 16, v45
	v_and_b32_e32 v45, 0xffff, v45
	;;#ASMSTART
	v_cvt_f32_f16 v45, v45;
	;;#ASMEND
	;;#ASMSTART
	v_cvt_f32_f16 v49, v49;
	;;#ASMEND
	;; [unrolled: 3-line block ×3, first 2 shown]
	s_delay_alu instid0(VALU_DEP_1)
	v_fmac_f32_e32 v121, v45, v41
	v_lshrrev_b32_e32 v45, 16, v46
	v_and_b32_e32 v41, 0xffff, v46
	v_lshrrev_b32_e32 v46, 16, v42
	v_and_b32_e32 v42, 0xffff, v42
	;;#ASMSTART
	v_cvt_f32_f16 v50, v50;
	;;#ASMEND
	;;#ASMSTART
	v_cvt_f32_f16 v41, v41;
	;;#ASMEND
	;; [unrolled: 3-line block ×5, first 2 shown]
	v_fmac_f32_e32 v142, v41, v42
	v_fmac_f32_e32 v122, v45, v46
	v_lshrrev_b32_e32 v42, 16, v47
	v_and_b32_e32 v41, 0xffff, v47
	v_lshrrev_b32_e32 v45, 16, v43
	v_and_b32_e32 v43, 0xffff, v43
	;;#ASMSTART
	v_cvt_f32_f16 v41, v41;
	;;#ASMEND
	;;#ASMSTART
	v_cvt_f32_f16 v42, v42;
	;;#ASMEND
	;; [unrolled: 3-line block ×4, first 2 shown]
	v_fmac_f32_e32 v143, v41, v43
	v_fmac_f32_e32 v123, v42, v45
	v_lshrrev_b32_e32 v42, 16, v48
	v_and_b32_e32 v41, 0xffff, v48
	v_and_b32_e32 v43, 0xffff, v44
	;;#ASMSTART
	v_cvt_f32_f16 v41, v41;
	;;#ASMEND
	;;#ASMSTART
	v_cvt_f32_f16 v42, v42;
	;;#ASMEND
	v_lshrrev_b32_e32 v45, 16, v44
	;;#ASMSTART
	v_cvt_f32_f16 v43, v43;
	;;#ASMEND
	;;#ASMSTART
	v_cvt_f32_f16 v44, v45;
	;;#ASMEND
	v_fmac_f32_e32 v144, v41, v43
	v_fmac_f32_e32 v124, v42, v44
	ds_load_b128 v[41:44], v131 offset:352
	s_wait_loadcnt 0x9
	v_lshrrev_b32_e32 v46, 16, v37
	v_and_b32_e32 v37, 0xffff, v37
	s_wait_dscnt 0x0
	v_lshrrev_b32_e32 v45, 16, v41
	v_and_b32_e32 v41, 0xffff, v41
	;;#ASMSTART
	v_cvt_f32_f16 v41, v41;
	;;#ASMEND
	;;#ASMSTART
	v_cvt_f32_f16 v45, v45;
	;;#ASMEND
	;; [unrolled: 3-line block ×3, first 2 shown]
	s_delay_alu instid0(VALU_DEP_1)
	v_fmac_f32_e32 v121, v41, v37
	v_lshrrev_b32_e32 v41, 16, v42
	v_and_b32_e32 v37, 0xffff, v42
	v_lshrrev_b32_e32 v42, 16, v38
	v_and_b32_e32 v38, 0xffff, v38
	;;#ASMSTART
	v_cvt_f32_f16 v46, v46;
	;;#ASMEND
	;;#ASMSTART
	v_cvt_f32_f16 v37, v37;
	;;#ASMEND
	;;#ASMSTART
	v_cvt_f32_f16 v41, v41;
	;;#ASMEND
	;;#ASMSTART
	v_cvt_f32_f16 v38, v38;
	;;#ASMEND
	;;#ASMSTART
	v_cvt_f32_f16 v42, v42;
	;;#ASMEND
	v_fmac_f32_e32 v142, v37, v38
	v_fmac_f32_e32 v122, v41, v42
	v_lshrrev_b32_e32 v38, 16, v43
	v_and_b32_e32 v37, 0xffff, v43
	v_lshrrev_b32_e32 v41, 16, v39
	v_and_b32_e32 v39, 0xffff, v39
	;;#ASMSTART
	v_cvt_f32_f16 v37, v37;
	;;#ASMEND
	;;#ASMSTART
	v_cvt_f32_f16 v38, v38;
	;;#ASMEND
	;; [unrolled: 3-line block ×4, first 2 shown]
	v_fmac_f32_e32 v143, v37, v39
	v_fmac_f32_e32 v123, v38, v41
	v_lshrrev_b32_e32 v38, 16, v44
	v_and_b32_e32 v37, 0xffff, v44
	v_and_b32_e32 v39, 0xffff, v40
	;;#ASMSTART
	v_cvt_f32_f16 v37, v37;
	;;#ASMEND
	;;#ASMSTART
	v_cvt_f32_f16 v38, v38;
	;;#ASMEND
	v_lshrrev_b32_e32 v41, 16, v40
	;;#ASMSTART
	v_cvt_f32_f16 v39, v39;
	;;#ASMEND
	;;#ASMSTART
	v_cvt_f32_f16 v40, v41;
	;;#ASMEND
	v_dual_fmac_f32 v141, v89, v90 :: v_dual_fmac_f32 v124, v38, v40
	v_fmac_f32_e32 v144, v37, v39
	ds_load_b128 v[37:40], v131 offset:368
	s_wait_loadcnt 0x8
	v_lshrrev_b32_e32 v42, 16, v33
	v_and_b32_e32 v33, 0xffff, v33
	s_wait_dscnt 0x0
	v_lshrrev_b32_e32 v41, 16, v37
	v_and_b32_e32 v37, 0xffff, v37
	;;#ASMSTART
	v_cvt_f32_f16 v37, v37;
	;;#ASMEND
	;;#ASMSTART
	v_cvt_f32_f16 v41, v41;
	;;#ASMEND
	;; [unrolled: 3-line block ×3, first 2 shown]
	s_delay_alu instid0(VALU_DEP_1)
	v_fmac_f32_e32 v121, v37, v33
	v_lshrrev_b32_e32 v37, 16, v38
	v_and_b32_e32 v33, 0xffff, v38
	v_lshrrev_b32_e32 v38, 16, v34
	v_and_b32_e32 v34, 0xffff, v34
	;;#ASMSTART
	v_cvt_f32_f16 v42, v42;
	;;#ASMEND
	;;#ASMSTART
	v_cvt_f32_f16 v33, v33;
	;;#ASMEND
	;; [unrolled: 3-line block ×5, first 2 shown]
	v_fmac_f32_e32 v142, v33, v34
	v_fmac_f32_e32 v122, v37, v38
	v_lshrrev_b32_e32 v34, 16, v39
	v_and_b32_e32 v33, 0xffff, v39
	v_lshrrev_b32_e32 v37, 16, v35
	v_and_b32_e32 v35, 0xffff, v35
	;;#ASMSTART
	v_cvt_f32_f16 v33, v33;
	;;#ASMEND
	;;#ASMSTART
	v_cvt_f32_f16 v34, v34;
	;;#ASMEND
	;;#ASMSTART
	v_cvt_f32_f16 v35, v35;
	;;#ASMEND
	;;#ASMSTART
	v_cvt_f32_f16 v37, v37;
	;;#ASMEND
	v_fmac_f32_e32 v143, v33, v35
	v_fmac_f32_e32 v123, v34, v37
	v_lshrrev_b32_e32 v34, 16, v40
	v_and_b32_e32 v33, 0xffff, v40
	v_and_b32_e32 v35, 0xffff, v36
	;;#ASMSTART
	v_cvt_f32_f16 v33, v33;
	;;#ASMEND
	;;#ASMSTART
	v_cvt_f32_f16 v34, v34;
	;;#ASMEND
	v_lshrrev_b32_e32 v37, 16, v36
	;;#ASMSTART
	v_cvt_f32_f16 v35, v35;
	;;#ASMEND
	;;#ASMSTART
	v_cvt_f32_f16 v36, v37;
	;;#ASMEND
	v_fmac_f32_e32 v144, v33, v35
	v_fmac_f32_e32 v124, v34, v36
	ds_load_b128 v[33:36], v131 offset:384
	s_wait_loadcnt 0x7
	v_lshrrev_b32_e32 v38, 16, v29
	v_and_b32_e32 v29, 0xffff, v29
	s_wait_dscnt 0x0
	v_lshrrev_b32_e32 v37, 16, v33
	v_and_b32_e32 v33, 0xffff, v33
	;;#ASMSTART
	v_cvt_f32_f16 v33, v33;
	;;#ASMEND
	;;#ASMSTART
	v_cvt_f32_f16 v37, v37;
	;;#ASMEND
	;;#ASMSTART
	v_cvt_f32_f16 v29, v29;
	;;#ASMEND
	s_delay_alu instid0(VALU_DEP_1)
	v_fmac_f32_e32 v121, v33, v29
	v_lshrrev_b32_e32 v33, 16, v34
	v_and_b32_e32 v29, 0xffff, v34
	v_lshrrev_b32_e32 v34, 16, v30
	v_and_b32_e32 v30, 0xffff, v30
	;;#ASMSTART
	v_cvt_f32_f16 v38, v38;
	;;#ASMEND
	;;#ASMSTART
	v_cvt_f32_f16 v29, v29;
	;;#ASMEND
	;; [unrolled: 3-line block ×5, first 2 shown]
	v_fmac_f32_e32 v142, v29, v30
	v_fmac_f32_e32 v122, v33, v34
	v_lshrrev_b32_e32 v30, 16, v35
	v_and_b32_e32 v29, 0xffff, v35
	v_lshrrev_b32_e32 v33, 16, v31
	v_and_b32_e32 v31, 0xffff, v31
	;;#ASMSTART
	v_cvt_f32_f16 v29, v29;
	;;#ASMEND
	;;#ASMSTART
	v_cvt_f32_f16 v30, v30;
	;;#ASMEND
	;;#ASMSTART
	v_cvt_f32_f16 v31, v31;
	;;#ASMEND
	;;#ASMSTART
	v_cvt_f32_f16 v33, v33;
	;;#ASMEND
	v_fmac_f32_e32 v143, v29, v31
	v_fmac_f32_e32 v123, v30, v33
	v_lshrrev_b32_e32 v30, 16, v36
	v_and_b32_e32 v29, 0xffff, v36
	v_and_b32_e32 v31, 0xffff, v32
	;;#ASMSTART
	v_cvt_f32_f16 v29, v29;
	;;#ASMEND
	;;#ASMSTART
	v_cvt_f32_f16 v30, v30;
	;;#ASMEND
	v_lshrrev_b32_e32 v33, 16, v32
	;;#ASMSTART
	v_cvt_f32_f16 v31, v31;
	;;#ASMEND
	;;#ASMSTART
	v_cvt_f32_f16 v32, v33;
	;;#ASMEND
	v_dual_fmac_f32 v141, v85, v86 :: v_dual_fmac_f32 v124, v30, v32
	v_fmac_f32_e32 v144, v29, v31
	ds_load_b128 v[29:32], v131 offset:400
	s_wait_loadcnt 0x6
	v_lshrrev_b32_e32 v34, 16, v25
	v_and_b32_e32 v25, 0xffff, v25
	s_wait_dscnt 0x0
	v_lshrrev_b32_e32 v33, 16, v29
	v_and_b32_e32 v29, 0xffff, v29
	;;#ASMSTART
	v_cvt_f32_f16 v29, v29;
	;;#ASMEND
	;;#ASMSTART
	v_cvt_f32_f16 v33, v33;
	;;#ASMEND
	;; [unrolled: 3-line block ×3, first 2 shown]
	s_delay_alu instid0(VALU_DEP_1)
	v_fmac_f32_e32 v121, v29, v25
	v_lshrrev_b32_e32 v29, 16, v30
	v_and_b32_e32 v25, 0xffff, v30
	v_lshrrev_b32_e32 v30, 16, v26
	v_and_b32_e32 v26, 0xffff, v26
	;;#ASMSTART
	v_cvt_f32_f16 v34, v34;
	;;#ASMEND
	;;#ASMSTART
	v_cvt_f32_f16 v25, v25;
	;;#ASMEND
	;;#ASMSTART
	v_cvt_f32_f16 v29, v29;
	;;#ASMEND
	;;#ASMSTART
	v_cvt_f32_f16 v26, v26;
	;;#ASMEND
	;;#ASMSTART
	v_cvt_f32_f16 v30, v30;
	;;#ASMEND
	v_fmac_f32_e32 v142, v25, v26
	v_fmac_f32_e32 v122, v29, v30
	v_lshrrev_b32_e32 v26, 16, v31
	v_and_b32_e32 v25, 0xffff, v31
	v_lshrrev_b32_e32 v29, 16, v27
	v_and_b32_e32 v27, 0xffff, v27
	;;#ASMSTART
	v_cvt_f32_f16 v25, v25;
	;;#ASMEND
	;;#ASMSTART
	v_cvt_f32_f16 v26, v26;
	;;#ASMEND
	;; [unrolled: 3-line block ×4, first 2 shown]
	v_fmac_f32_e32 v143, v25, v27
	v_fmac_f32_e32 v123, v26, v29
	v_lshrrev_b32_e32 v26, 16, v32
	v_and_b32_e32 v25, 0xffff, v32
	v_and_b32_e32 v27, 0xffff, v28
	;;#ASMSTART
	v_cvt_f32_f16 v25, v25;
	;;#ASMEND
	;;#ASMSTART
	v_cvt_f32_f16 v26, v26;
	;;#ASMEND
	v_lshrrev_b32_e32 v29, 16, v28
	;;#ASMSTART
	v_cvt_f32_f16 v27, v27;
	;;#ASMEND
	;;#ASMSTART
	v_cvt_f32_f16 v28, v29;
	;;#ASMEND
	v_fmac_f32_e32 v144, v25, v27
	v_fmac_f32_e32 v124, v26, v28
	ds_load_b128 v[25:28], v131 offset:416
	s_wait_loadcnt 0x5
	v_lshrrev_b32_e32 v30, 16, v21
	v_and_b32_e32 v21, 0xffff, v21
	s_wait_dscnt 0x0
	v_lshrrev_b32_e32 v29, 16, v25
	v_and_b32_e32 v25, 0xffff, v25
	;;#ASMSTART
	v_cvt_f32_f16 v25, v25;
	;;#ASMEND
	;;#ASMSTART
	v_cvt_f32_f16 v29, v29;
	;;#ASMEND
	;; [unrolled: 3-line block ×3, first 2 shown]
	s_delay_alu instid0(VALU_DEP_1)
	v_fmac_f32_e32 v121, v25, v21
	v_lshrrev_b32_e32 v25, 16, v26
	v_and_b32_e32 v21, 0xffff, v26
	v_lshrrev_b32_e32 v26, 16, v22
	v_and_b32_e32 v22, 0xffff, v22
	;;#ASMSTART
	v_cvt_f32_f16 v30, v30;
	;;#ASMEND
	;;#ASMSTART
	v_cvt_f32_f16 v21, v21;
	;;#ASMEND
	;;#ASMSTART
	v_cvt_f32_f16 v25, v25;
	;;#ASMEND
	;;#ASMSTART
	v_cvt_f32_f16 v22, v22;
	;;#ASMEND
	;;#ASMSTART
	v_cvt_f32_f16 v26, v26;
	;;#ASMEND
	v_fmac_f32_e32 v142, v21, v22
	v_fmac_f32_e32 v122, v25, v26
	v_lshrrev_b32_e32 v22, 16, v27
	v_and_b32_e32 v21, 0xffff, v27
	v_lshrrev_b32_e32 v25, 16, v23
	v_and_b32_e32 v23, 0xffff, v23
	;;#ASMSTART
	v_cvt_f32_f16 v21, v21;
	;;#ASMEND
	;;#ASMSTART
	v_cvt_f32_f16 v22, v22;
	;;#ASMEND
	;; [unrolled: 3-line block ×4, first 2 shown]
	v_fmac_f32_e32 v143, v21, v23
	v_fmac_f32_e32 v123, v22, v25
	v_lshrrev_b32_e32 v22, 16, v28
	v_and_b32_e32 v21, 0xffff, v28
	v_and_b32_e32 v23, 0xffff, v24
	;;#ASMSTART
	v_cvt_f32_f16 v21, v21;
	;;#ASMEND
	;;#ASMSTART
	v_cvt_f32_f16 v22, v22;
	;;#ASMEND
	v_lshrrev_b32_e32 v25, 16, v24
	;;#ASMSTART
	v_cvt_f32_f16 v23, v23;
	;;#ASMEND
	;;#ASMSTART
	v_cvt_f32_f16 v24, v25;
	;;#ASMEND
	v_dual_fmac_f32 v141, v81, v82 :: v_dual_fmac_f32 v124, v22, v24
	v_fmac_f32_e32 v144, v21, v23
	ds_load_b128 v[21:24], v131 offset:432
	s_wait_loadcnt 0x4
	v_lshrrev_b32_e32 v26, 16, v17
	v_and_b32_e32 v17, 0xffff, v17
	s_wait_dscnt 0x0
	v_lshrrev_b32_e32 v25, 16, v21
	v_and_b32_e32 v21, 0xffff, v21
	;;#ASMSTART
	v_cvt_f32_f16 v21, v21;
	;;#ASMEND
	;;#ASMSTART
	v_cvt_f32_f16 v25, v25;
	;;#ASMEND
	;; [unrolled: 3-line block ×3, first 2 shown]
	s_delay_alu instid0(VALU_DEP_1)
	v_fmac_f32_e32 v121, v21, v17
	v_lshrrev_b32_e32 v21, 16, v22
	v_and_b32_e32 v17, 0xffff, v22
	v_lshrrev_b32_e32 v22, 16, v18
	v_and_b32_e32 v18, 0xffff, v18
	;;#ASMSTART
	v_cvt_f32_f16 v26, v26;
	;;#ASMEND
	;;#ASMSTART
	v_cvt_f32_f16 v17, v17;
	;;#ASMEND
	;; [unrolled: 3-line block ×5, first 2 shown]
	v_fmac_f32_e32 v142, v17, v18
	v_fmac_f32_e32 v122, v21, v22
	v_lshrrev_b32_e32 v18, 16, v23
	v_and_b32_e32 v17, 0xffff, v23
	v_lshrrev_b32_e32 v21, 16, v19
	v_and_b32_e32 v19, 0xffff, v19
	;;#ASMSTART
	v_cvt_f32_f16 v17, v17;
	;;#ASMEND
	;;#ASMSTART
	v_cvt_f32_f16 v18, v18;
	;;#ASMEND
	;; [unrolled: 3-line block ×4, first 2 shown]
	v_fmac_f32_e32 v143, v17, v19
	v_fmac_f32_e32 v123, v18, v21
	v_lshrrev_b32_e32 v18, 16, v24
	v_and_b32_e32 v17, 0xffff, v24
	v_and_b32_e32 v19, 0xffff, v20
	;;#ASMSTART
	v_cvt_f32_f16 v17, v17;
	;;#ASMEND
	;;#ASMSTART
	v_cvt_f32_f16 v18, v18;
	;;#ASMEND
	v_lshrrev_b32_e32 v21, 16, v20
	;;#ASMSTART
	v_cvt_f32_f16 v19, v19;
	;;#ASMEND
	;;#ASMSTART
	v_cvt_f32_f16 v20, v21;
	;;#ASMEND
	v_fmac_f32_e32 v144, v17, v19
	v_fmac_f32_e32 v124, v18, v20
	ds_load_b128 v[17:20], v131 offset:448
	s_wait_loadcnt 0x3
	v_lshrrev_b32_e32 v22, 16, v13
	v_and_b32_e32 v13, 0xffff, v13
	s_wait_dscnt 0x0
	v_lshrrev_b32_e32 v21, 16, v17
	v_and_b32_e32 v17, 0xffff, v17
	;;#ASMSTART
	v_cvt_f32_f16 v17, v17;
	;;#ASMEND
	;;#ASMSTART
	v_cvt_f32_f16 v21, v21;
	;;#ASMEND
	;; [unrolled: 3-line block ×3, first 2 shown]
	s_delay_alu instid0(VALU_DEP_1)
	v_fmac_f32_e32 v121, v17, v13
	v_lshrrev_b32_e32 v17, 16, v18
	v_and_b32_e32 v13, 0xffff, v18
	v_lshrrev_b32_e32 v18, 16, v14
	v_and_b32_e32 v14, 0xffff, v14
	;;#ASMSTART
	v_cvt_f32_f16 v22, v22;
	;;#ASMEND
	;;#ASMSTART
	v_cvt_f32_f16 v13, v13;
	;;#ASMEND
	;; [unrolled: 3-line block ×5, first 2 shown]
	v_fmac_f32_e32 v142, v13, v14
	v_fmac_f32_e32 v122, v17, v18
	v_lshrrev_b32_e32 v14, 16, v19
	v_and_b32_e32 v13, 0xffff, v19
	v_lshrrev_b32_e32 v17, 16, v15
	v_and_b32_e32 v15, 0xffff, v15
	;;#ASMSTART
	v_cvt_f32_f16 v13, v13;
	;;#ASMEND
	;;#ASMSTART
	v_cvt_f32_f16 v14, v14;
	;;#ASMEND
	;; [unrolled: 3-line block ×4, first 2 shown]
	v_fmac_f32_e32 v143, v13, v15
	v_fmac_f32_e32 v123, v14, v17
	v_lshrrev_b32_e32 v14, 16, v20
	v_and_b32_e32 v13, 0xffff, v20
	v_and_b32_e32 v15, 0xffff, v16
	;;#ASMSTART
	v_cvt_f32_f16 v13, v13;
	;;#ASMEND
	;;#ASMSTART
	v_cvt_f32_f16 v14, v14;
	;;#ASMEND
	v_lshrrev_b32_e32 v17, 16, v16
	;;#ASMSTART
	v_cvt_f32_f16 v15, v15;
	;;#ASMEND
	;;#ASMSTART
	v_cvt_f32_f16 v16, v17;
	;;#ASMEND
	v_dual_fmac_f32 v141, v77, v78 :: v_dual_fmac_f32 v124, v14, v16
	v_fmac_f32_e32 v144, v13, v15
	ds_load_b128 v[13:16], v131 offset:464
	s_wait_loadcnt 0x2
	v_lshrrev_b32_e32 v18, 16, v9
	v_and_b32_e32 v9, 0xffff, v9
	s_wait_dscnt 0x0
	v_lshrrev_b32_e32 v17, 16, v13
	v_and_b32_e32 v13, 0xffff, v13
	;;#ASMSTART
	v_cvt_f32_f16 v13, v13;
	;;#ASMEND
	;;#ASMSTART
	v_cvt_f32_f16 v17, v17;
	;;#ASMEND
	;; [unrolled: 3-line block ×3, first 2 shown]
	s_delay_alu instid0(VALU_DEP_1)
	v_fmac_f32_e32 v121, v13, v9
	v_lshrrev_b32_e32 v13, 16, v14
	v_and_b32_e32 v9, 0xffff, v14
	v_lshrrev_b32_e32 v14, 16, v10
	v_and_b32_e32 v10, 0xffff, v10
	;;#ASMSTART
	v_cvt_f32_f16 v18, v18;
	;;#ASMEND
	;;#ASMSTART
	v_cvt_f32_f16 v9, v9;
	;;#ASMEND
	;; [unrolled: 3-line block ×5, first 2 shown]
	v_fmac_f32_e32 v142, v9, v10
	v_fmac_f32_e32 v122, v13, v14
	v_lshrrev_b32_e32 v10, 16, v15
	v_and_b32_e32 v9, 0xffff, v15
	v_lshrrev_b32_e32 v13, 16, v11
	v_and_b32_e32 v11, 0xffff, v11
	;;#ASMSTART
	v_cvt_f32_f16 v9, v9;
	;;#ASMEND
	;;#ASMSTART
	v_cvt_f32_f16 v10, v10;
	;;#ASMEND
	;; [unrolled: 3-line block ×4, first 2 shown]
	v_fmac_f32_e32 v143, v9, v11
	v_fmac_f32_e32 v123, v10, v13
	v_lshrrev_b32_e32 v10, 16, v16
	v_and_b32_e32 v9, 0xffff, v16
	v_and_b32_e32 v11, 0xffff, v12
	;;#ASMSTART
	v_cvt_f32_f16 v9, v9;
	;;#ASMEND
	;;#ASMSTART
	v_cvt_f32_f16 v10, v10;
	;;#ASMEND
	v_lshrrev_b32_e32 v13, 16, v12
	;;#ASMSTART
	v_cvt_f32_f16 v11, v11;
	;;#ASMEND
	;;#ASMSTART
	v_cvt_f32_f16 v12, v13;
	;;#ASMEND
	v_fmac_f32_e32 v144, v9, v11
	v_fmac_f32_e32 v124, v10, v12
	ds_load_b128 v[9:12], v131 offset:480
	s_wait_loadcnt 0x1
	v_lshrrev_b32_e32 v14, 16, v5
	v_and_b32_e32 v5, 0xffff, v5
	s_wait_dscnt 0x0
	v_lshrrev_b32_e32 v13, 16, v9
	v_and_b32_e32 v9, 0xffff, v9
	;;#ASMSTART
	v_cvt_f32_f16 v9, v9;
	;;#ASMEND
	;;#ASMSTART
	v_cvt_f32_f16 v13, v13;
	;;#ASMEND
	;;#ASMSTART
	v_cvt_f32_f16 v5, v5;
	;;#ASMEND
	s_delay_alu instid0(VALU_DEP_1)
	v_fmac_f32_e32 v121, v9, v5
	v_lshrrev_b32_e32 v9, 16, v10
	v_and_b32_e32 v5, 0xffff, v10
	v_lshrrev_b32_e32 v10, 16, v6
	v_and_b32_e32 v6, 0xffff, v6
	;;#ASMSTART
	v_cvt_f32_f16 v14, v14;
	;;#ASMEND
	;;#ASMSTART
	v_cvt_f32_f16 v5, v5;
	;;#ASMEND
	;; [unrolled: 3-line block ×5, first 2 shown]
	v_fmac_f32_e32 v142, v5, v6
	v_fmac_f32_e32 v122, v9, v10
	v_lshrrev_b32_e32 v6, 16, v11
	v_and_b32_e32 v5, 0xffff, v11
	v_lshrrev_b32_e32 v9, 16, v7
	v_and_b32_e32 v7, 0xffff, v7
	;;#ASMSTART
	v_cvt_f32_f16 v5, v5;
	;;#ASMEND
	;;#ASMSTART
	v_cvt_f32_f16 v6, v6;
	;;#ASMEND
	;; [unrolled: 3-line block ×4, first 2 shown]
	v_fmac_f32_e32 v143, v5, v7
	v_fmac_f32_e32 v123, v6, v9
	v_lshrrev_b32_e32 v6, 16, v12
	v_and_b32_e32 v5, 0xffff, v12
	v_and_b32_e32 v7, 0xffff, v8
	;;#ASMSTART
	v_cvt_f32_f16 v5, v5;
	;;#ASMEND
	;;#ASMSTART
	v_cvt_f32_f16 v6, v6;
	;;#ASMEND
	v_lshrrev_b32_e32 v9, 16, v8
	;;#ASMSTART
	v_cvt_f32_f16 v7, v7;
	;;#ASMEND
	;;#ASMSTART
	v_cvt_f32_f16 v8, v9;
	;;#ASMEND
	v_dual_fmac_f32 v141, v73, v74 :: v_dual_fmac_f32 v124, v6, v8
	v_fmac_f32_e32 v144, v5, v7
	ds_load_b128 v[5:8], v131 offset:496
	s_wait_loadcnt 0x0
	v_lshrrev_b32_e32 v10, 16, v1
	v_fmac_f32_e32 v141, v69, v70
	v_and_b32_e32 v1, 0xffff, v1
	s_delay_alu instid0(VALU_DEP_2) | instskip(NEXT) | instid1(VALU_DEP_1)
	v_fmac_f32_e32 v141, v65, v66
	v_fmac_f32_e32 v141, v61, v62
	s_delay_alu instid0(VALU_DEP_1) | instskip(SKIP_3) | instid1(VALU_DEP_3)
	v_fmac_f32_e32 v141, v57, v58
	s_wait_dscnt 0x0
	v_lshrrev_b32_e32 v9, 16, v5
	v_and_b32_e32 v5, 0xffff, v5
	v_fmac_f32_e32 v141, v53, v54
	;;#ASMSTART
	v_cvt_f32_f16 v5, v5;
	;;#ASMEND
	;;#ASMSTART
	v_cvt_f32_f16 v9, v9;
	;;#ASMEND
	;; [unrolled: 3-line block ×3, first 2 shown]
	v_fmac_f32_e32 v121, v5, v1
	v_fmac_f32_e32 v141, v49, v50
	v_and_b32_e32 v1, 0xffff, v6
	;;#ASMSTART
	v_cvt_f32_f16 v10, v10;
	;;#ASMEND
	v_lshrrev_b32_e32 v5, 16, v6
	;;#ASMSTART
	v_cvt_f32_f16 v1, v1;
	;;#ASMEND
	v_fmac_f32_e32 v141, v45, v46
	v_lshrrev_b32_e32 v6, 16, v2
	v_and_b32_e32 v2, 0xffff, v2
	;;#ASMSTART
	v_cvt_f32_f16 v5, v5;
	;;#ASMEND
	;;#ASMSTART
	v_cvt_f32_f16 v2, v2;
	;;#ASMEND
	v_fmac_f32_e32 v141, v41, v42
	s_delay_alu instid0(VALU_DEP_2) | instskip(SKIP_2) | instid1(VALU_DEP_3)
	v_dual_fmac_f32 v142, v1, v2 :: v_dual_and_b32 v1, 0xffff, v7
	;;#ASMSTART
	v_cvt_f32_f16 v6, v6;
	;;#ASMEND
	v_fmac_f32_e32 v122, v5, v6
	v_fmac_f32_e32 v141, v37, v38
	v_lshrrev_b32_e32 v2, 16, v7
	;;#ASMSTART
	v_cvt_f32_f16 v1, v1;
	;;#ASMEND
	v_lshrrev_b32_e32 v5, 16, v3
	v_and_b32_e32 v3, 0xffff, v3
	v_fmac_f32_e32 v141, v33, v34
	;;#ASMSTART
	v_cvt_f32_f16 v2, v2;
	;;#ASMEND
	;;#ASMSTART
	v_cvt_f32_f16 v3, v3;
	;;#ASMEND
	s_delay_alu instid0(VALU_DEP_2)
	v_fmac_f32_e32 v143, v1, v3
	v_and_b32_e32 v1, 0xffff, v8
	v_fmac_f32_e32 v141, v29, v30
	;;#ASMSTART
	v_cvt_f32_f16 v5, v5;
	;;#ASMEND
	v_fmac_f32_e32 v123, v2, v5
	v_lshrrev_b32_e32 v2, 16, v8
	;;#ASMSTART
	v_cvt_f32_f16 v1, v1;
	;;#ASMEND
	v_fmac_f32_e32 v141, v25, v26
	v_and_b32_e32 v3, 0xffff, v4
	;;#ASMSTART
	v_cvt_f32_f16 v2, v2;
	;;#ASMEND
	;;#ASMSTART
	v_cvt_f32_f16 v3, v3;
	;;#ASMEND
	s_delay_alu instid0(VALU_DEP_1) | instskip(SKIP_3) | instid1(VALU_DEP_2)
	v_fmac_f32_e32 v144, v1, v3
	v_fmac_f32_e32 v141, v21, v22
	v_lshrrev_b32_e32 v5, 16, v4
	;;#ASMSTART
	v_cvt_f32_f16 v4, v5;
	;;#ASMEND
	v_dual_fmac_f32 v124, v2, v4 :: v_dual_fmac_f32 v141, v17, v18
	s_delay_alu instid0(VALU_DEP_1) | instskip(NEXT) | instid1(VALU_DEP_1)
	v_fmac_f32_e32 v141, v13, v14
	v_fmac_f32_e32 v141, v9, v10
	s_delay_alu instid0(VALU_DEP_1) | instskip(NEXT) | instid1(VALU_DEP_1)
	v_add_f32_e32 v1, v121, v141
	v_add_f32_e32 v1, v1, v142
	s_delay_alu instid0(VALU_DEP_1) | instskip(NEXT) | instid1(VALU_DEP_1)
	v_add_f32_e32 v1, v122, v1
	v_add_f32_e32 v1, v1, v143
	s_delay_alu instid0(VALU_DEP_1) | instskip(NEXT) | instid1(VALU_DEP_1)
	v_add_f32_e32 v1, v123, v1
	v_add_f32_e32 v1, v1, v144
	s_delay_alu instid0(VALU_DEP_1) | instskip(NEXT) | instid1(VALU_DEP_1)
	v_add_f32_e32 v1, v124, v1
	v_fmac_f32_e32 v140, s13, v1
	s_wait_alu 0xf1ff
	s_delay_alu instid0(VALU_DEP_1) | instskip(SKIP_2) | instid1(VALU_DEP_1)
	v_cndmask_b32_e64 v1, 0, v140, s4
	ds_store_b32 v136, v1
	v_max_num_f32_e32 v1, v132, v132
	v_max_num_f32_e32 v1, v1, v140
	s_delay_alu instid0(VALU_DEP_1)
	v_cndmask_b32_e64 v132, v132, v1, s4
	s_branch .LBB116_11
.LBB116_16:
	s_or_b32 exec_lo, exec_lo, s29
.LBB116_17:
	s_delay_alu instid0(SALU_CYCLE_1)
	s_or_b32 exec_lo, exec_lo, s12
	v_mbcnt_lo_u32_b32 v1, -1, 0
	s_clause 0x2
	s_load_b128 s[12:15], s[0:1], 0x0
	s_load_b64 s[28:29], s[0:1], 0x10
	s_load_b64 s[30:31], s[0:1], 0x28
	v_max_num_f32_e32 v5, v132, v132
	v_xor_b32_e32 v2, 16, v1
	v_xor_b32_e32 v4, 8, v1
	s_delay_alu instid0(VALU_DEP_2) | instskip(SKIP_2) | instid1(VALU_DEP_3)
	v_cmp_gt_i32_e32 vcc_lo, 32, v2
	s_wait_alu 0xfffd
	v_cndmask_b32_e32 v2, v1, v2, vcc_lo
	v_cmp_gt_i32_e32 vcc_lo, 32, v4
	s_delay_alu instid0(VALU_DEP_2)
	v_lshlrev_b32_e32 v2, 2, v2
	s_wait_alu 0xfffd
	v_cndmask_b32_e32 v4, v1, v4, vcc_lo
	ds_bpermute_b32 v3, v2, v132
	s_wait_dscnt 0x0
	v_dual_max_num_f32 v6, v3, v3 :: v_dual_lshlrev_b32 v3, 2, v4
	s_delay_alu instid0(VALU_DEP_1)
	v_max_num_f32_e32 v4, v5, v6
	v_xor_b32_e32 v6, 4, v1
	ds_bpermute_b32 v5, v3, v4
	v_cmp_gt_i32_e32 vcc_lo, 32, v6
	s_wait_alu 0xfffd
	v_cndmask_b32_e32 v6, v1, v6, vcc_lo
	s_wait_dscnt 0x0
	v_max_num_f32_e32 v7, v5, v5
	s_delay_alu instid0(VALU_DEP_1)
	v_dual_max_num_f32 v4, v4, v7 :: v_dual_lshlrev_b32 v5, 2, v6
	v_xor_b32_e32 v7, 2, v1
	ds_bpermute_b32 v6, v5, v4
	v_cmp_gt_i32_e32 vcc_lo, 32, v7
	s_wait_dscnt 0x0
	s_wait_alu 0xfffd
	v_dual_cndmask_b32 v7, v1, v7 :: v_dual_max_num_f32 v6, v6, v6
	s_delay_alu instid0(VALU_DEP_1) | instskip(NEXT) | instid1(VALU_DEP_2)
	v_max_num_f32_e32 v4, v4, v6
	v_lshlrev_b32_e32 v8, 2, v7
	v_xor_b32_e32 v7, 1, v1
	s_delay_alu instid0(VALU_DEP_1)
	v_cmp_gt_i32_e32 vcc_lo, 32, v7
	s_wait_alu 0xfffd
	v_cndmask_b32_e32 v7, v1, v7, vcc_lo
	ds_bpermute_b32 v6, v8, v4
	v_cmp_eq_u32_e32 vcc_lo, 0, v129
	s_wait_dscnt 0x0
	v_dual_max_num_f32 v6, v6, v6 :: v_dual_lshlrev_b32 v7, 2, v7
	s_delay_alu instid0(VALU_DEP_1)
	v_dual_max_num_f32 v1, v4, v6 :: v_dual_lshlrev_b32 v6, 2, v128
	ds_bpermute_b32 v4, v7, v1
	s_and_saveexec_b32 s0, vcc_lo
	s_cbranch_execz .LBB116_19
; %bb.18:
	s_wait_dscnt 0x0
	v_dual_max_num_f32 v4, v4, v4 :: v_dual_max_num_f32 v1, v1, v1
	s_delay_alu instid0(VALU_DEP_1)
	v_max_num_f32_e32 v1, v1, v4
	ds_store_b32 v6, v1 offset:512
.LBB116_19:
	s_or_b32 exec_lo, exec_lo, s0
	v_cmp_gt_u32_e64 s0, 4, v129
	v_mov_b32_e32 v1, 0xff7fffff
	s_wait_loadcnt_dscnt 0x0
	s_barrier_signal -1
	s_barrier_wait -1
	global_inv scope:SCOPE_SE
	s_and_saveexec_b32 s1, s0
; %bb.20:
	ds_load_b32 v1, v130 offset:512
; %bb.21:
	s_or_b32 exec_lo, exec_lo, s1
	s_wait_dscnt 0x0
	ds_bpermute_b32 v4, v8, v1
	v_max_num_f32_e32 v1, v1, v1
	s_sub_co_i32 s1, s34, s38
	v_mov_b32_e32 v9, 0
	s_lshl_b32 s1, s1, 5
	s_delay_alu instid0(SALU_CYCLE_1) | instskip(NEXT) | instid1(SALU_CYCLE_1)
	s_add_co_i32 s1, s1, s6
	s_min_i32 s1, s1, s7
	s_delay_alu instid0(SALU_CYCLE_1) | instskip(SKIP_4) | instid1(VALU_DEP_1)
	s_sub_co_i32 s5, s1, s6
	s_wait_alu 0xfffe
	v_cmp_gt_i32_e64 s1, s5, v0
	s_wait_dscnt 0x0
	v_max_num_f32_e32 v4, v4, v4
	v_max_num_f32_e32 v1, v1, v4
	ds_bpermute_b32 v4, v7, v1
	s_wait_dscnt 0x0
	v_max_num_f32_e32 v4, v4, v4
	s_delay_alu instid0(VALU_DEP_1)
	v_max_num_f32_e32 v1, v1, v4
	v_lshl_add_u32 v4, v0, 2, 0x220
	ds_bpermute_b32 v1, v9, v1
	s_and_saveexec_b32 s19, s1
	s_cbranch_execz .LBB116_25
; %bb.22:
	v_lshl_add_u32 v10, v0, 2, 0x220
	v_mov_b32_e32 v9, 0
	v_mov_b32_e32 v11, v0
	s_mov_b32 s38, 0
.LBB116_23:                             ; =>This Inner Loop Header: Depth=1
	ds_load_b32 v12, v10
	v_add_nc_u32_e32 v11, 0x80, v11
	s_delay_alu instid0(VALU_DEP_1) | instskip(SKIP_4) | instid1(VALU_DEP_1)
	v_cmp_le_i32_e64 s4, s5, v11
	s_wait_alu 0xfffe
	s_or_b32 s38, s4, s38
	s_wait_dscnt 0x0
	v_sub_f32_e32 v12, v12, v1
	v_mul_f32_e32 v12, 0x3fb8aa3b, v12
	s_delay_alu instid0(VALU_DEP_1)
	v_exp_f32_e32 v12, v12
	ds_store_b32 v10, v12
	v_dual_add_f32 v9, v9, v12 :: v_dual_add_nc_u32 v10, 0x200, v10
	s_wait_alu 0xfffe
	s_and_not1_b32 exec_lo, exec_lo, s38
	s_cbranch_execnz .LBB116_23
; %bb.24:
	s_or_b32 exec_lo, exec_lo, s38
.LBB116_25:
	s_wait_alu 0xfffe
	s_or_b32 exec_lo, exec_lo, s19
	ds_bpermute_b32 v2, v2, v9
	s_wait_dscnt 0x0
	v_add_f32_e32 v2, v9, v2
	ds_bpermute_b32 v3, v3, v2
	s_wait_dscnt 0x0
	v_add_f32_e32 v2, v2, v3
	;; [unrolled: 3-line block ×5, first 2 shown]
	s_and_saveexec_b32 s4, vcc_lo
; %bb.26:
	ds_store_b32 v6, v2 offset:528
; %bb.27:
	s_wait_alu 0xfffe
	s_or_b32 exec_lo, exec_lo, s4
	s_wait_loadcnt_dscnt 0x0
	s_barrier_signal -1
	s_barrier_wait -1
	global_inv scope:SCOPE_SE
	s_and_saveexec_b32 s4, s0
; %bb.28:
	ds_load_b32 v2, v130 offset:528
; %bb.29:
	s_wait_alu 0xfffe
	s_or_b32 exec_lo, exec_lo, s4
	s_wait_dscnt 0x0
	ds_bpermute_b32 v3, v8, v2
	s_wait_dscnt 0x0
	v_add_f32_e32 v2, v2, v3
	ds_bpermute_b32 v3, v7, v2
	s_wait_dscnt 0x0
	v_dual_add_f32 v2, v2, v3 :: v_dual_mov_b32 v3, 0
	ds_bpermute_b32 v2, v3, v2
	s_and_saveexec_b32 s0, s1
	s_cbranch_execz .LBB116_32
; %bb.30:
	s_wait_dscnt 0x0
	v_add_f32_e32 v3, 0x358637bd, v2
	s_mov_b32 s1, 0
	s_delay_alu instid0(VALU_DEP_1) | instskip(SKIP_1) | instid1(VALU_DEP_2)
	v_div_scale_f32 v5, null, v3, v3, 1.0
	v_div_scale_f32 v10, vcc_lo, 1.0, v3, 1.0
	v_rcp_f32_e32 v6, v5
	s_delay_alu instid0(TRANS32_DEP_1) | instskip(NEXT) | instid1(VALU_DEP_1)
	v_fma_f32 v9, -v5, v6, 1.0
	v_fmac_f32_e32 v6, v9, v6
	s_delay_alu instid0(VALU_DEP_1) | instskip(NEXT) | instid1(VALU_DEP_1)
	v_mul_f32_e32 v9, v10, v6
	v_fma_f32 v11, -v5, v9, v10
	s_delay_alu instid0(VALU_DEP_1) | instskip(NEXT) | instid1(VALU_DEP_1)
	v_fmac_f32_e32 v9, v11, v6
	v_fma_f32 v5, -v5, v9, v10
	s_wait_alu 0xfffd
	s_delay_alu instid0(VALU_DEP_1) | instskip(NEXT) | instid1(VALU_DEP_1)
	v_div_fmas_f32 v5, v5, v6, v9
	v_div_fixup_f32 v3, v5, v3, 1.0
	v_mov_b32_e32 v5, v0
.LBB116_31:                             ; =>This Inner Loop Header: Depth=1
	ds_load_b32 v6, v4
	s_wait_dscnt 0x0
	v_dual_mul_f32 v6, v3, v6 :: v_dual_add_nc_u32 v5, 0x80, v5
	s_delay_alu instid0(VALU_DEP_1) | instskip(SKIP_3) | instid1(SALU_CYCLE_1)
	v_cmp_le_i32_e32 vcc_lo, s5, v5
	ds_store_b32 v4, v6
	v_add_nc_u32_e32 v4, 0x200, v4
	s_or_b32 s1, vcc_lo, s1
	s_and_not1_b32 exec_lo, exec_lo, s1
	s_cbranch_execnz .LBB116_31
.LBB116_32:
	s_or_b32 exec_lo, exec_lo, s0
	s_mul_i32 s0, s16, s36
	s_wait_loadcnt_dscnt 0x0
	s_mul_i32 s4, s0, s37
	s_mov_b32 s0, exec_lo
	s_barrier_signal -1
	s_barrier_wait -1
	global_inv scope:SCOPE_SE
	v_cmpx_eq_u32_e32 0, v0
	s_cbranch_execz .LBB116_34
; %bb.33:
	s_wait_alu 0xfffe
	s_ashr_i32 s5, s4, 31
	s_mul_i32 s36, s16, ttmp9
	s_lshl_b32 s1, s35, 2
	s_wait_alu 0xfffe
	s_lshl_b64 s[38:39], s[4:5], 2
	s_ashr_i32 s37, s36, 31
	v_mov_b32_e32 v3, s1
	s_wait_kmcnt 0x0
	s_wait_alu 0xfffe
	s_add_nc_u64 s[14:15], s[14:15], s[38:39]
	s_lshl_b64 s[36:37], s[36:37], 2
	s_add_nc_u64 s[12:13], s[12:13], s[38:39]
	s_wait_alu 0xfffe
	s_add_nc_u64 s[14:15], s[14:15], s[36:37]
	s_add_nc_u64 s[12:13], s[12:13], s[36:37]
	s_clause 0x1
	global_store_b32 v3, v1, s[14:15]
	global_store_b32 v3, v2, s[12:13]
.LBB116_34:
	s_or_b32 exec_lo, exec_lo, s0
	v_dual_mov_b32 v40, 0 :: v_dual_mov_b32 v39, 0
	v_dual_mov_b32 v38, 0 :: v_dual_mov_b32 v37, 0
	;; [unrolled: 1-line block ×16, first 2 shown]
	s_and_saveexec_b32 s1, s3
	s_cbranch_execz .LBB116_104
; %bb.35:
	s_abs_i32 s3, s10
	v_dual_mov_b32 v10, 0 :: v_dual_lshlrev_b32 v1, 3, v0
	s_wait_alu 0xfffe
	s_cvt_f32_u32 s10, s3
	s_lshl_b32 s0, s6, 2
	s_wait_kmcnt 0x0
	s_mov_b32 s12, s17
	v_mov_b32_e32 v13, 0
	v_rcp_iflag_f32_e32 v2, s10
	v_or_b32_e32 v3, 0x1f00, v1
	s_wait_alu 0xfffe
	s_sub_co_i32 s14, 0x220, s0
	s_sub_co_i32 s0, 0, s3
	s_ashr_i32 s19, s18, 31
	v_dual_mov_b32 v9, 0 :: v_dual_mov_b32 v12, 0
	v_dual_mov_b32 v11, 0 :: v_dual_mov_b32 v14, 0
	v_dual_mov_b32 v16, 0 :: v_dual_and_b32 v41, 24, v1
	s_delay_alu instid0(TRANS32_DEP_1) | instskip(SKIP_4) | instid1(VALU_DEP_3)
	v_readfirstlane_b32 s15, v2
	v_and_b32_e32 v2, 0xf8, v1
	v_dual_mov_b32 v18, 0 :: v_dual_lshlrev_b32 v43, 1, v3
	v_mov_b32_e32 v15, 0
	s_mul_f32 s15, s15, 0x4f7ffffe
	v_dual_mov_b32 v17, 0 :: v_dual_lshlrev_b32 v42, 1, v2
	v_mov_b32_e32 v20, 0
	s_wait_alu 0xfffe
	s_cvt_u32_f32 s17, s15
	v_dual_mov_b32 v19, 0 :: v_dual_mov_b32 v22, 0
	v_dual_mov_b32 v21, 0 :: v_dual_mov_b32 v24, 0
	s_delay_alu instid0(SALU_CYCLE_1)
	s_mul_i32 s0, s0, s17
	v_dual_mov_b32 v23, 0 :: v_dual_mov_b32 v26, 0
	v_dual_mov_b32 v25, 0 :: v_dual_mov_b32 v28, 0
	;; [unrolled: 1-line block ×8, first 2 shown]
	v_mov_b32_e32 v39, 0
	s_lshl_b64 s[26:27], s[26:27], 2
	s_sub_co_i32 s5, s11, s9
	s_lshl_b64 s[10:11], s[18:19], 1
	s_wait_alu 0xfffe
	s_mul_hi_u32 s0, s17, s0
	s_add_co_i32 s13, s8, -1
	s_add_nc_u64 s[8:9], s[24:25], s[26:27]
	s_add_nc_u64 s[10:11], s[30:31], s[10:11]
	s_mov_b32 s15, 0
	s_wait_alu 0xfffe
	s_add_co_i32 s17, s17, s0
	s_branch .LBB116_38
.LBB116_36:                             ;   in Loop: Header=BB116_38 Depth=1
	s_wait_alu 0xfffe
	s_or_b32 exec_lo, exec_lo, s0
	v_dual_add_f32 v50, v59, v118 :: v_dual_add_f32 v51, v116, v117
	v_dual_add_f32 v52, v114, v115 :: v_dual_add_f32 v53, v112, v113
	v_add_f32_e32 v54, v110, v111
	s_delay_alu instid0(VALU_DEP_3) | instskip(NEXT) | instid1(VALU_DEP_3)
	v_dual_add_f32 v10, v10, v50 :: v_dual_add_f32 v11, v11, v51
	v_dual_add_f32 v12, v12, v52 :: v_dual_add_f32 v51, v106, v107
	v_add_f32_e32 v50, v108, v109
	v_add_f32_e32 v13, v13, v53
	v_dual_add_f32 v53, v102, v103 :: v_dual_add_f32 v52, v104, v105
	s_delay_alu instid0(VALU_DEP_3) | instskip(SKIP_1) | instid1(VALU_DEP_3)
	v_dual_add_f32 v16, v16, v51 :: v_dual_add_f32 v15, v15, v50
	v_dual_add_f32 v50, v98, v99 :: v_dual_add_f32 v51, v96, v97
	;; [unrolled: 1-line block ×3, first 2 shown]
	v_add_f32_e32 v54, v100, v101
	s_delay_alu instid0(VALU_DEP_3) | instskip(SKIP_1) | instid1(VALU_DEP_3)
	v_dual_add_f32 v20, v20, v50 :: v_dual_add_f32 v21, v21, v51
	v_add_f32_e32 v51, v86, v87
	v_dual_add_f32 v52, v94, v95 :: v_dual_add_f32 v19, v19, v54
	v_add_f32_e32 v50, v88, v89
	v_add_f32_e32 v18, v18, v53
	v_dual_add_f32 v53, v92, v93 :: v_dual_add_f32 v54, v90, v91
	v_dual_add_f32 v26, v26, v51 :: v_dual_add_f32 v51, v76, v77
	s_delay_alu instid0(VALU_DEP_2) | instskip(NEXT) | instid1(VALU_DEP_3)
	v_dual_add_f32 v23, v23, v53 :: v_dual_lshlrev_b32 v6, 16, v6
	v_dual_add_f32 v24, v24, v54 :: v_dual_add_f32 v53, v82, v83
	v_add_f32_e32 v54, v80, v81
	v_add_f32_e32 v22, v22, v52
	v_dual_add_f32 v52, v84, v85 :: v_dual_add_f32 v31, v31, v51
	v_lshlrev_b32_e32 v51, 16, v58
	s_delay_alu instid0(VALU_DEP_4) | instskip(SKIP_1) | instid1(VALU_DEP_4)
	v_dual_add_f32 v29, v29, v54 :: v_dual_add_f32 v54, v70, v71
	v_lshlrev_b32_e32 v5, 16, v5
	v_add_f32_e32 v27, v27, v52
	v_dual_add_f32 v25, v25, v50 :: v_dual_add_f32 v50, v78, v79
	v_and_or_b32 v1, 0xffff, v1, v51
	v_and_or_b32 v2, 0xffff, v2, v6
	;; [unrolled: 1-line block ×3, first 2 shown]
	;;#ASMSTART
	v_pk_mul_f16 v1, v45, v1;

	;;#ASMEND
	;;#ASMSTART
	v_pk_mul_f16 v2, v44, v2;

	;;#ASMEND
	;; [unrolled: 4-line block ×4, first 2 shown]
	;;#ASMSTART
	v_pk_add_f16 v1, v1, v2;

	;;#ASMEND
	v_dual_add_f32 v30, v30, v50 :: v_dual_add_f32 v5, v64, v65
	v_add_f32_e32 v50, v68, v69
	;;#ASMSTART
	v_pk_add_f16 v1, v1, v3;

	;;#ASMEND
	v_dual_add_f32 v3, v46, v47 :: v_dual_add_f32 v28, v28, v53
	v_dual_add_f32 v53, v72, v73 :: v_dual_add_f32 v52, v74, v75
	;;#ASMSTART
	v_pk_add_f16 v1, v1, v4;

	;;#ASMEND
	v_and_b32_e32 v4, 0xffff, v1
	v_lshrrev_b32_e32 v6, 16, v1
	;;#ASMSTART
	v_cvt_f32_f16 v4, v4;
	;;#ASMEND
	v_dual_add_f32 v33, v33, v53 :: v_dual_add_f32 v32, v32, v52
	v_dual_add_f32 v1, v62, v63 :: v_dual_add_f32 v2, v60, v61
	v_add_f32_e32 v52, v66, v67
	;;#ASMSTART
	v_cvt_f32_f16 v6, v6;
	;;#ASMEND
	v_add_f32_e32 v4, v4, v6
	v_dual_add_f32 v34, v34, v54 :: v_dual_add_f32 v37, v37, v5
	v_dual_add_f32 v35, v35, v50 :: v_dual_add_f32 v38, v38, v1
	;; [unrolled: 1-line block ×3, first 2 shown]
	s_delay_alu instid0(VALU_DEP_4)
	v_dual_add_f32 v40, v40, v3 :: v_dual_add_f32 v9, v9, v4
.LBB116_37:                             ;   in Loop: Header=BB116_38 Depth=1
	s_wait_alu 0xfffe
	s_or_b32 exec_lo, exec_lo, s18
	v_add_nc_u32_e32 v125, 4, v125
	s_delay_alu instid0(VALU_DEP_1)
	v_cmp_le_i32_e32 vcc_lo, s34, v125
	s_or_b32 s15, vcc_lo, s15
	s_wait_alu 0xfffe
	s_and_not1_b32 exec_lo, exec_lo, s15
	s_cbranch_execz .LBB116_103
.LBB116_38:                             ; =>This Inner Loop Header: Depth=1
	v_lshlrev_b32_e32 v1, 5, v125
	s_delay_alu instid0(VALU_DEP_1) | instskip(NEXT) | instid1(VALU_DEP_1)
	v_sub_nc_u32_e32 v2, 0, v1
	v_max_i32_e32 v2, v1, v2
	s_delay_alu instid0(VALU_DEP_1) | instskip(NEXT) | instid1(VALU_DEP_1)
	v_mul_hi_u32 v3, v2, s22
	v_mul_lo_u32 v4, v3, s21
	s_delay_alu instid0(VALU_DEP_1) | instskip(SKIP_1) | instid1(VALU_DEP_2)
	v_sub_nc_u32_e32 v2, v2, v4
	v_add_nc_u32_e32 v4, 1, v3
	v_subrev_nc_u32_e32 v5, s21, v2
	v_cmp_le_u32_e32 vcc_lo, s21, v2
	s_wait_alu 0xfffd
	s_delay_alu instid0(VALU_DEP_2) | instskip(SKIP_1) | instid1(VALU_DEP_2)
	v_dual_cndmask_b32 v3, v3, v4 :: v_dual_cndmask_b32 v2, v2, v5
	v_ashrrev_i32_e32 v4, 31, v1
	v_add_nc_u32_e32 v5, 1, v3
	s_delay_alu instid0(VALU_DEP_3) | instskip(NEXT) | instid1(VALU_DEP_3)
	v_cmp_le_u32_e32 vcc_lo, s21, v2
	v_xor_b32_e32 v4, s23, v4
	s_wait_alu 0xfffd
	s_delay_alu instid0(VALU_DEP_3) | instskip(NEXT) | instid1(VALU_DEP_1)
	v_cndmask_b32_e32 v2, v3, v5, vcc_lo
	v_xor_b32_e32 v2, v2, v4
	s_delay_alu instid0(VALU_DEP_1) | instskip(NEXT) | instid1(VALU_DEP_1)
	v_sub_nc_u32_e32 v2, v2, v4
	v_add_nc_u32_e32 v3, s33, v2
	v_cmp_lt_i32_e64 s0, s5, v2
	s_delay_alu instid0(VALU_DEP_2) | instskip(NEXT) | instid1(VALU_DEP_1)
	v_sub_nc_u32_e32 v4, 0, v3
	v_max_i32_e32 v4, v3, v4
	s_delay_alu instid0(VALU_DEP_1) | instskip(NEXT) | instid1(VALU_DEP_1)
	v_mul_hi_u32 v5, v4, s17
	v_mul_lo_u32 v5, v5, s3
	s_delay_alu instid0(VALU_DEP_1) | instskip(NEXT) | instid1(VALU_DEP_1)
	v_sub_nc_u32_e32 v4, v4, v5
	v_subrev_nc_u32_e32 v5, s3, v4
	v_cmp_le_u32_e32 vcc_lo, s3, v4
	s_wait_alu 0xfffd
	s_delay_alu instid0(VALU_DEP_2) | instskip(SKIP_1) | instid1(VALU_DEP_2)
	v_cndmask_b32_e32 v4, v4, v5, vcc_lo
	v_ashrrev_i32_e32 v3, 31, v3
	v_subrev_nc_u32_e32 v5, s3, v4
	v_cmp_le_u32_e32 vcc_lo, s3, v4
	s_wait_alu 0xfffd
	s_delay_alu instid0(VALU_DEP_2) | instskip(NEXT) | instid1(VALU_DEP_1)
	v_cndmask_b32_e32 v4, v4, v5, vcc_lo
	v_xor_b32_e32 v4, v4, v3
	s_delay_alu instid0(VALU_DEP_1) | instskip(NEXT) | instid1(VALU_DEP_1)
	v_sub_nc_u32_e32 v3, v4, v3
	v_cmp_eq_u32_e32 vcc_lo, 0, v3
	s_or_b32 s0, vcc_lo, s0
	s_wait_alu 0xfffe
	s_and_saveexec_b32 s18, s0
	s_cbranch_execz .LBB116_37
; %bb.39:                               ;   in Loop: Header=BB116_38 Depth=1
	v_ashrrev_i32_e32 v126, 31, v125
	v_or_b32_e32 v50, v1, v41
	s_delay_alu instid0(VALU_DEP_2) | instskip(NEXT) | instid1(VALU_DEP_2)
	v_lshlrev_b64_e32 v[2:3], 2, v[125:126]
	v_lshl_add_u32 v44, v50, 2, s14
	v_or_b32_e32 v57, 1, v50
	v_or_b32_e32 v56, 2, v50
	v_or_b32_e32 v55, 7, v50
	v_add_co_u32 v2, vcc_lo, s8, v2
	s_wait_alu 0xfffd
	v_add_co_ci_u32_e64 v3, null, s9, v3, vcc_lo
	ds_load_2addr_b64 v[51:54], v44 offset0:2 offset1:3
	global_load_b32 v5, v[2:3], off
	ds_load_2addr_b64 v[1:4], v44 offset1:1
	s_wait_dscnt 0x0
	;;#ASMSTART
	v_cvt_f16_f32 v45, v1;

	;;#ASMEND
	;;#ASMSTART
	v_cvt_f16_f32 v44, v2;

	;;#ASMEND
	;; [unrolled: 4-line block ×8, first 2 shown]
	v_or_b32_e32 v53, 3, v50
	v_or_b32_e32 v52, 4, v50
	;; [unrolled: 1-line block ×4, first 2 shown]
	s_wait_loadcnt 0x0
	v_mad_co_i64_i32 v[5:6], null, v5, s12, 0
	s_delay_alu instid0(VALU_DEP_1) | instskip(NEXT) | instid1(VALU_DEP_1)
	v_lshlrev_b64_e32 v[5:6], 1, v[5:6]
	v_add_co_u32 v58, vcc_lo, s10, v5
	s_wait_alu 0xfffd
	s_delay_alu instid0(VALU_DEP_2) | instskip(NEXT) | instid1(VALU_DEP_2)
	v_add_co_ci_u32_e64 v59, null, s11, v6, vcc_lo
	v_add_co_u32 v5, vcc_lo, v58, v42
	s_wait_alu 0xfffd
	s_delay_alu instid0(VALU_DEP_2)
	v_add_co_ci_u32_e64 v6, null, 0, v59, vcc_lo
	v_cmp_eq_u32_e32 vcc_lo, s13, v125
	global_load_b128 v[1:4], v[5:6], off
	s_wait_loadcnt 0x0
	v_lshrrev_b32_e32 v64, 16, v1
	v_lshrrev_b32_e32 v63, 16, v2
	;; [unrolled: 1-line block ×3, first 2 shown]
	s_and_saveexec_b32 s19, vcc_lo
	s_cbranch_execz .LBB116_41
; %bb.40:                               ;   in Loop: Header=BB116_38 Depth=1
	v_cmp_gt_i32_e64 s0, s7, v50
	v_and_b32_e32 v65, 0xffff, v4
	v_and_b32_e32 v4, 0xffff0000, v4
	s_wait_alu 0xf1ff
	s_delay_alu instid0(VALU_DEP_3) | instskip(SKIP_2) | instid1(VALU_DEP_1)
	v_cndmask_b32_e64 v1, 0, v1, s0
	v_cmp_gt_i32_e64 s0, s7, v57
	s_wait_alu 0xf1ff
	v_cndmask_b32_e64 v64, 0, v64, s0
	v_cmp_gt_i32_e64 s0, s7, v56
	s_wait_alu 0xf1ff
	s_delay_alu instid0(VALU_DEP_1) | instskip(SKIP_2) | instid1(VALU_DEP_1)
	v_cndmask_b32_e64 v2, 0, v2, s0
	v_cmp_gt_i32_e64 s0, s7, v53
	s_wait_alu 0xf1ff
	v_cndmask_b32_e64 v63, 0, v63, s0
	v_cmp_gt_i32_e64 s0, s7, v54
	s_wait_alu 0xf1ff
	s_delay_alu instid0(VALU_DEP_1) | instskip(SKIP_2) | instid1(VALU_DEP_1)
	v_cndmask_b32_e64 v65, 0, v65, s0
	v_cmp_gt_i32_e64 s0, s7, v55
	s_wait_alu 0xf1ff
	v_cndmask_b32_e64 v4, 0, v4, s0
	v_cmp_gt_i32_e64 s0, s7, v52
	s_delay_alu instid0(VALU_DEP_2) | instskip(SKIP_1) | instid1(VALU_DEP_2)
	v_or_b32_e32 v4, v65, v4
	s_wait_alu 0xf1ff
	v_cndmask_b32_e64 v3, 0, v3, s0
	v_cmp_gt_i32_e64 s0, s7, v51
	s_wait_alu 0xf1ff
	s_delay_alu instid0(VALU_DEP_1)
	v_cndmask_b32_e64 v62, 0, v62, s0
.LBB116_41:                             ;   in Loop: Header=BB116_38 Depth=1
	s_wait_alu 0xfffe
	s_or_b32 exec_lo, exec_lo, s19
	v_and_b32_e32 v45, 0xffff, v45
	v_and_b32_e32 v60, 0xffff, v60
	v_lshlrev_b32_e32 v64, 16, v64
	v_lshlrev_b32_e32 v62, 16, v62
	v_and_b32_e32 v61, 0xffff, v61
	v_lshl_or_b32 v45, v44, 16, v45
	v_lshl_or_b32 v44, v48, 16, v60
	v_lshlrev_b32_e32 v60, 16, v63
	v_and_b32_e32 v49, 0xffff, v49
	v_and_or_b32 v1, 0xffff, v1, v64
	v_and_or_b32 v3, 0xffff, v3, v62
	;;#ASMSTART
	v_pk_mul_f16 v1, v45, v1;

	;;#ASMEND
	v_and_or_b32 v2, 0xffff, v2, v60
	v_lshl_or_b32 v48, v47, 16, v61
	v_lshl_or_b32 v49, v46, 16, v49
	;;#ASMSTART
	v_pk_mul_f16 v2, v44, v2;

	;;#ASMEND
	;;#ASMSTART
	v_pk_mul_f16 v3, v48, v3;

	;;#ASMEND
	;; [unrolled: 4-line block ×3, first 2 shown]
	;;#ASMSTART
	v_pk_add_f16 v1, v1, v2;

	;;#ASMEND
	;;#ASMSTART
	v_pk_add_f16 v1, v1, v3;

	;;#ASMEND
	;; [unrolled: 4-line block ×3, first 2 shown]
	v_and_b32_e32 v2, 0xffff, v1
	v_lshrrev_b32_e32 v1, 16, v1
	;;#ASMSTART
	v_cvt_f32_f16 v46, v2;
	;;#ASMEND
	;;#ASMSTART
	v_cvt_f32_f16 v47, v1;
	;;#ASMEND
	global_load_b128 v[1:4], v[5:6], off offset:512
	s_wait_loadcnt 0x0
	v_lshrrev_b32_e32 v62, 16, v1
	v_lshrrev_b32_e32 v61, 16, v2
	;; [unrolled: 1-line block ×3, first 2 shown]
	s_and_saveexec_b32 s19, vcc_lo
	s_cbranch_execz .LBB116_43
; %bb.42:                               ;   in Loop: Header=BB116_38 Depth=1
	v_cmp_gt_i32_e64 s0, s7, v50
	v_and_b32_e32 v63, 0xffff, v4
	v_and_b32_e32 v4, 0xffff0000, v4
	s_wait_alu 0xf1ff
	s_delay_alu instid0(VALU_DEP_3) | instskip(SKIP_2) | instid1(VALU_DEP_1)
	v_cndmask_b32_e64 v1, 0, v1, s0
	v_cmp_gt_i32_e64 s0, s7, v57
	s_wait_alu 0xf1ff
	v_cndmask_b32_e64 v62, 0, v62, s0
	v_cmp_gt_i32_e64 s0, s7, v56
	s_wait_alu 0xf1ff
	s_delay_alu instid0(VALU_DEP_1) | instskip(SKIP_2) | instid1(VALU_DEP_1)
	v_cndmask_b32_e64 v2, 0, v2, s0
	v_cmp_gt_i32_e64 s0, s7, v53
	s_wait_alu 0xf1ff
	v_cndmask_b32_e64 v61, 0, v61, s0
	v_cmp_gt_i32_e64 s0, s7, v54
	s_wait_alu 0xf1ff
	s_delay_alu instid0(VALU_DEP_1) | instskip(SKIP_2) | instid1(VALU_DEP_1)
	v_cndmask_b32_e64 v63, 0, v63, s0
	v_cmp_gt_i32_e64 s0, s7, v55
	s_wait_alu 0xf1ff
	v_cndmask_b32_e64 v4, 0, v4, s0
	v_cmp_gt_i32_e64 s0, s7, v52
	s_delay_alu instid0(VALU_DEP_2) | instskip(SKIP_1) | instid1(VALU_DEP_2)
	v_or_b32_e32 v4, v63, v4
	s_wait_alu 0xf1ff
	v_cndmask_b32_e64 v3, 0, v3, s0
	v_cmp_gt_i32_e64 s0, s7, v51
	s_wait_alu 0xf1ff
	s_delay_alu instid0(VALU_DEP_1)
	v_cndmask_b32_e64 v60, 0, v60, s0
.LBB116_43:                             ;   in Loop: Header=BB116_38 Depth=1
	s_wait_alu 0xfffe
	s_or_b32 exec_lo, exec_lo, s19
	v_lshlrev_b32_e32 v62, 16, v62
	v_lshlrev_b32_e32 v61, 16, v61
	v_lshlrev_b32_e32 v60, 16, v60
	s_delay_alu instid0(VALU_DEP_3) | instskip(NEXT) | instid1(VALU_DEP_3)
	v_and_or_b32 v1, 0xffff, v1, v62
	v_and_or_b32 v2, 0xffff, v2, v61
	s_delay_alu instid0(VALU_DEP_3)
	v_and_or_b32 v3, 0xffff, v3, v60
	;;#ASMSTART
	v_pk_mul_f16 v1, v45, v1;

	;;#ASMEND
	;;#ASMSTART
	v_pk_mul_f16 v2, v44, v2;

	;;#ASMEND
	;; [unrolled: 4-line block ×4, first 2 shown]
	;;#ASMSTART
	v_pk_add_f16 v1, v1, v2;

	;;#ASMEND
	;;#ASMSTART
	v_pk_add_f16 v1, v1, v3;

	;;#ASMEND
	;; [unrolled: 4-line block ×3, first 2 shown]
	v_and_b32_e32 v2, 0xffff, v1
	v_lshrrev_b32_e32 v1, 16, v1
	;;#ASMSTART
	v_cvt_f32_f16 v60, v2;
	;;#ASMEND
	;;#ASMSTART
	v_cvt_f32_f16 v61, v1;
	;;#ASMEND
	global_load_b128 v[1:4], v[5:6], off offset:1024
	s_wait_loadcnt 0x0
	v_lshrrev_b32_e32 v64, 16, v1
	v_lshrrev_b32_e32 v63, 16, v2
	;; [unrolled: 1-line block ×3, first 2 shown]
	s_and_saveexec_b32 s19, vcc_lo
	s_cbranch_execz .LBB116_45
; %bb.44:                               ;   in Loop: Header=BB116_38 Depth=1
	v_cmp_gt_i32_e64 s0, s7, v50
	v_and_b32_e32 v65, 0xffff, v4
	v_and_b32_e32 v4, 0xffff0000, v4
	s_wait_alu 0xf1ff
	s_delay_alu instid0(VALU_DEP_3) | instskip(SKIP_2) | instid1(VALU_DEP_1)
	v_cndmask_b32_e64 v1, 0, v1, s0
	v_cmp_gt_i32_e64 s0, s7, v57
	s_wait_alu 0xf1ff
	v_cndmask_b32_e64 v64, 0, v64, s0
	v_cmp_gt_i32_e64 s0, s7, v56
	s_wait_alu 0xf1ff
	s_delay_alu instid0(VALU_DEP_1) | instskip(SKIP_2) | instid1(VALU_DEP_1)
	v_cndmask_b32_e64 v2, 0, v2, s0
	v_cmp_gt_i32_e64 s0, s7, v53
	s_wait_alu 0xf1ff
	v_cndmask_b32_e64 v63, 0, v63, s0
	v_cmp_gt_i32_e64 s0, s7, v54
	s_wait_alu 0xf1ff
	s_delay_alu instid0(VALU_DEP_1) | instskip(SKIP_2) | instid1(VALU_DEP_1)
	v_cndmask_b32_e64 v65, 0, v65, s0
	v_cmp_gt_i32_e64 s0, s7, v55
	s_wait_alu 0xf1ff
	v_cndmask_b32_e64 v4, 0, v4, s0
	v_cmp_gt_i32_e64 s0, s7, v52
	s_delay_alu instid0(VALU_DEP_2) | instskip(SKIP_1) | instid1(VALU_DEP_2)
	v_or_b32_e32 v4, v65, v4
	s_wait_alu 0xf1ff
	v_cndmask_b32_e64 v3, 0, v3, s0
	v_cmp_gt_i32_e64 s0, s7, v51
	s_wait_alu 0xf1ff
	s_delay_alu instid0(VALU_DEP_1)
	v_cndmask_b32_e64 v62, 0, v62, s0
.LBB116_45:                             ;   in Loop: Header=BB116_38 Depth=1
	s_wait_alu 0xfffe
	s_or_b32 exec_lo, exec_lo, s19
	v_lshlrev_b32_e32 v64, 16, v64
	v_lshlrev_b32_e32 v63, 16, v63
	;; [unrolled: 1-line block ×3, first 2 shown]
	s_delay_alu instid0(VALU_DEP_3) | instskip(NEXT) | instid1(VALU_DEP_3)
	v_and_or_b32 v1, 0xffff, v1, v64
	v_and_or_b32 v2, 0xffff, v2, v63
	s_delay_alu instid0(VALU_DEP_3)
	v_and_or_b32 v3, 0xffff, v3, v62
	;;#ASMSTART
	v_pk_mul_f16 v1, v45, v1;

	;;#ASMEND
	;;#ASMSTART
	v_pk_mul_f16 v2, v44, v2;

	;;#ASMEND
	;; [unrolled: 4-line block ×4, first 2 shown]
	;;#ASMSTART
	v_pk_add_f16 v1, v1, v2;

	;;#ASMEND
	;;#ASMSTART
	v_pk_add_f16 v1, v1, v3;

	;;#ASMEND
	;; [unrolled: 4-line block ×3, first 2 shown]
	v_and_b32_e32 v2, 0xffff, v1
	v_lshrrev_b32_e32 v1, 16, v1
	;;#ASMSTART
	v_cvt_f32_f16 v62, v2;
	;;#ASMEND
	;;#ASMSTART
	v_cvt_f32_f16 v63, v1;
	;;#ASMEND
	global_load_b128 v[1:4], v[5:6], off offset:1536
	s_wait_loadcnt 0x0
	v_lshrrev_b32_e32 v66, 16, v1
	v_lshrrev_b32_e32 v65, 16, v2
	;; [unrolled: 1-line block ×3, first 2 shown]
	s_and_saveexec_b32 s19, vcc_lo
	s_cbranch_execz .LBB116_47
; %bb.46:                               ;   in Loop: Header=BB116_38 Depth=1
	v_cmp_gt_i32_e64 s0, s7, v50
	v_and_b32_e32 v67, 0xffff, v4
	v_and_b32_e32 v4, 0xffff0000, v4
	s_wait_alu 0xf1ff
	s_delay_alu instid0(VALU_DEP_3) | instskip(SKIP_2) | instid1(VALU_DEP_1)
	v_cndmask_b32_e64 v1, 0, v1, s0
	v_cmp_gt_i32_e64 s0, s7, v57
	s_wait_alu 0xf1ff
	v_cndmask_b32_e64 v66, 0, v66, s0
	v_cmp_gt_i32_e64 s0, s7, v56
	s_wait_alu 0xf1ff
	s_delay_alu instid0(VALU_DEP_1) | instskip(SKIP_2) | instid1(VALU_DEP_1)
	v_cndmask_b32_e64 v2, 0, v2, s0
	v_cmp_gt_i32_e64 s0, s7, v53
	s_wait_alu 0xf1ff
	v_cndmask_b32_e64 v65, 0, v65, s0
	v_cmp_gt_i32_e64 s0, s7, v54
	s_wait_alu 0xf1ff
	s_delay_alu instid0(VALU_DEP_1) | instskip(SKIP_2) | instid1(VALU_DEP_1)
	v_cndmask_b32_e64 v67, 0, v67, s0
	v_cmp_gt_i32_e64 s0, s7, v55
	s_wait_alu 0xf1ff
	v_cndmask_b32_e64 v4, 0, v4, s0
	v_cmp_gt_i32_e64 s0, s7, v52
	s_delay_alu instid0(VALU_DEP_2) | instskip(SKIP_1) | instid1(VALU_DEP_2)
	v_or_b32_e32 v4, v67, v4
	s_wait_alu 0xf1ff
	v_cndmask_b32_e64 v3, 0, v3, s0
	v_cmp_gt_i32_e64 s0, s7, v51
	s_wait_alu 0xf1ff
	s_delay_alu instid0(VALU_DEP_1)
	v_cndmask_b32_e64 v64, 0, v64, s0
.LBB116_47:                             ;   in Loop: Header=BB116_38 Depth=1
	s_wait_alu 0xfffe
	s_or_b32 exec_lo, exec_lo, s19
	v_lshlrev_b32_e32 v66, 16, v66
	v_lshlrev_b32_e32 v65, 16, v65
	;; [unrolled: 1-line block ×3, first 2 shown]
	s_delay_alu instid0(VALU_DEP_3) | instskip(NEXT) | instid1(VALU_DEP_3)
	v_and_or_b32 v1, 0xffff, v1, v66
	v_and_or_b32 v2, 0xffff, v2, v65
	s_delay_alu instid0(VALU_DEP_3)
	v_and_or_b32 v3, 0xffff, v3, v64
	;;#ASMSTART
	v_pk_mul_f16 v1, v45, v1;

	;;#ASMEND
	;;#ASMSTART
	v_pk_mul_f16 v2, v44, v2;

	;;#ASMEND
	;; [unrolled: 4-line block ×4, first 2 shown]
	;;#ASMSTART
	v_pk_add_f16 v1, v1, v2;

	;;#ASMEND
	;;#ASMSTART
	v_pk_add_f16 v1, v1, v3;

	;;#ASMEND
	;; [unrolled: 4-line block ×3, first 2 shown]
	v_and_b32_e32 v2, 0xffff, v1
	v_lshrrev_b32_e32 v1, 16, v1
	;;#ASMSTART
	v_cvt_f32_f16 v64, v2;
	;;#ASMEND
	;;#ASMSTART
	v_cvt_f32_f16 v65, v1;
	;;#ASMEND
	global_load_b128 v[1:4], v[5:6], off offset:2048
	s_wait_loadcnt 0x0
	v_lshrrev_b32_e32 v68, 16, v1
	v_lshrrev_b32_e32 v67, 16, v2
	;; [unrolled: 1-line block ×3, first 2 shown]
	s_and_saveexec_b32 s19, vcc_lo
	s_cbranch_execz .LBB116_49
; %bb.48:                               ;   in Loop: Header=BB116_38 Depth=1
	v_cmp_gt_i32_e64 s0, s7, v50
	v_and_b32_e32 v69, 0xffff, v4
	v_and_b32_e32 v4, 0xffff0000, v4
	s_wait_alu 0xf1ff
	s_delay_alu instid0(VALU_DEP_3) | instskip(SKIP_2) | instid1(VALU_DEP_1)
	v_cndmask_b32_e64 v1, 0, v1, s0
	v_cmp_gt_i32_e64 s0, s7, v57
	s_wait_alu 0xf1ff
	v_cndmask_b32_e64 v68, 0, v68, s0
	v_cmp_gt_i32_e64 s0, s7, v56
	s_wait_alu 0xf1ff
	s_delay_alu instid0(VALU_DEP_1) | instskip(SKIP_2) | instid1(VALU_DEP_1)
	v_cndmask_b32_e64 v2, 0, v2, s0
	v_cmp_gt_i32_e64 s0, s7, v53
	s_wait_alu 0xf1ff
	v_cndmask_b32_e64 v67, 0, v67, s0
	v_cmp_gt_i32_e64 s0, s7, v54
	s_wait_alu 0xf1ff
	s_delay_alu instid0(VALU_DEP_1) | instskip(SKIP_2) | instid1(VALU_DEP_1)
	v_cndmask_b32_e64 v69, 0, v69, s0
	v_cmp_gt_i32_e64 s0, s7, v55
	s_wait_alu 0xf1ff
	v_cndmask_b32_e64 v4, 0, v4, s0
	v_cmp_gt_i32_e64 s0, s7, v52
	s_delay_alu instid0(VALU_DEP_2) | instskip(SKIP_1) | instid1(VALU_DEP_2)
	v_or_b32_e32 v4, v69, v4
	s_wait_alu 0xf1ff
	v_cndmask_b32_e64 v3, 0, v3, s0
	v_cmp_gt_i32_e64 s0, s7, v51
	s_wait_alu 0xf1ff
	s_delay_alu instid0(VALU_DEP_1)
	v_cndmask_b32_e64 v66, 0, v66, s0
.LBB116_49:                             ;   in Loop: Header=BB116_38 Depth=1
	s_wait_alu 0xfffe
	s_or_b32 exec_lo, exec_lo, s19
	v_lshlrev_b32_e32 v68, 16, v68
	v_lshlrev_b32_e32 v67, 16, v67
	;; [unrolled: 1-line block ×3, first 2 shown]
	s_delay_alu instid0(VALU_DEP_3) | instskip(NEXT) | instid1(VALU_DEP_3)
	v_and_or_b32 v1, 0xffff, v1, v68
	v_and_or_b32 v2, 0xffff, v2, v67
	s_delay_alu instid0(VALU_DEP_3)
	v_and_or_b32 v3, 0xffff, v3, v66
	;;#ASMSTART
	v_pk_mul_f16 v1, v45, v1;

	;;#ASMEND
	;;#ASMSTART
	v_pk_mul_f16 v2, v44, v2;

	;;#ASMEND
	;; [unrolled: 4-line block ×4, first 2 shown]
	;;#ASMSTART
	v_pk_add_f16 v1, v1, v2;

	;;#ASMEND
	;;#ASMSTART
	v_pk_add_f16 v1, v1, v3;

	;;#ASMEND
	;; [unrolled: 4-line block ×3, first 2 shown]
	v_and_b32_e32 v2, 0xffff, v1
	v_lshrrev_b32_e32 v1, 16, v1
	;;#ASMSTART
	v_cvt_f32_f16 v66, v2;
	;;#ASMEND
	;;#ASMSTART
	v_cvt_f32_f16 v67, v1;
	;;#ASMEND
	global_load_b128 v[1:4], v[5:6], off offset:2560
	s_wait_loadcnt 0x0
	v_lshrrev_b32_e32 v70, 16, v1
	v_lshrrev_b32_e32 v69, 16, v2
	;; [unrolled: 1-line block ×3, first 2 shown]
	s_and_saveexec_b32 s19, vcc_lo
	s_cbranch_execz .LBB116_51
; %bb.50:                               ;   in Loop: Header=BB116_38 Depth=1
	v_cmp_gt_i32_e64 s0, s7, v50
	v_and_b32_e32 v71, 0xffff, v4
	v_and_b32_e32 v4, 0xffff0000, v4
	s_wait_alu 0xf1ff
	s_delay_alu instid0(VALU_DEP_3) | instskip(SKIP_2) | instid1(VALU_DEP_1)
	v_cndmask_b32_e64 v1, 0, v1, s0
	v_cmp_gt_i32_e64 s0, s7, v57
	s_wait_alu 0xf1ff
	v_cndmask_b32_e64 v70, 0, v70, s0
	v_cmp_gt_i32_e64 s0, s7, v56
	s_wait_alu 0xf1ff
	s_delay_alu instid0(VALU_DEP_1) | instskip(SKIP_2) | instid1(VALU_DEP_1)
	v_cndmask_b32_e64 v2, 0, v2, s0
	v_cmp_gt_i32_e64 s0, s7, v53
	s_wait_alu 0xf1ff
	v_cndmask_b32_e64 v69, 0, v69, s0
	v_cmp_gt_i32_e64 s0, s7, v54
	s_wait_alu 0xf1ff
	s_delay_alu instid0(VALU_DEP_1) | instskip(SKIP_2) | instid1(VALU_DEP_1)
	v_cndmask_b32_e64 v71, 0, v71, s0
	v_cmp_gt_i32_e64 s0, s7, v55
	s_wait_alu 0xf1ff
	v_cndmask_b32_e64 v4, 0, v4, s0
	v_cmp_gt_i32_e64 s0, s7, v52
	s_delay_alu instid0(VALU_DEP_2) | instskip(SKIP_1) | instid1(VALU_DEP_2)
	v_or_b32_e32 v4, v71, v4
	s_wait_alu 0xf1ff
	v_cndmask_b32_e64 v3, 0, v3, s0
	v_cmp_gt_i32_e64 s0, s7, v51
	s_wait_alu 0xf1ff
	s_delay_alu instid0(VALU_DEP_1)
	v_cndmask_b32_e64 v68, 0, v68, s0
.LBB116_51:                             ;   in Loop: Header=BB116_38 Depth=1
	s_wait_alu 0xfffe
	s_or_b32 exec_lo, exec_lo, s19
	v_lshlrev_b32_e32 v70, 16, v70
	v_lshlrev_b32_e32 v69, 16, v69
	;; [unrolled: 1-line block ×3, first 2 shown]
	s_delay_alu instid0(VALU_DEP_3) | instskip(NEXT) | instid1(VALU_DEP_3)
	v_and_or_b32 v1, 0xffff, v1, v70
	v_and_or_b32 v2, 0xffff, v2, v69
	s_delay_alu instid0(VALU_DEP_3)
	v_and_or_b32 v3, 0xffff, v3, v68
	;;#ASMSTART
	v_pk_mul_f16 v1, v45, v1;

	;;#ASMEND
	;;#ASMSTART
	v_pk_mul_f16 v2, v44, v2;

	;;#ASMEND
	;; [unrolled: 4-line block ×4, first 2 shown]
	;;#ASMSTART
	v_pk_add_f16 v1, v1, v2;

	;;#ASMEND
	;;#ASMSTART
	v_pk_add_f16 v1, v1, v3;

	;;#ASMEND
	;; [unrolled: 4-line block ×3, first 2 shown]
	v_and_b32_e32 v2, 0xffff, v1
	v_lshrrev_b32_e32 v1, 16, v1
	;;#ASMSTART
	v_cvt_f32_f16 v68, v2;
	;;#ASMEND
	;;#ASMSTART
	v_cvt_f32_f16 v69, v1;
	;;#ASMEND
	global_load_b128 v[1:4], v[5:6], off offset:3072
	s_wait_loadcnt 0x0
	v_lshrrev_b32_e32 v72, 16, v1
	v_lshrrev_b32_e32 v71, 16, v2
	;; [unrolled: 1-line block ×3, first 2 shown]
	s_and_saveexec_b32 s19, vcc_lo
	s_cbranch_execz .LBB116_53
; %bb.52:                               ;   in Loop: Header=BB116_38 Depth=1
	v_cmp_gt_i32_e64 s0, s7, v50
	v_and_b32_e32 v73, 0xffff, v4
	v_and_b32_e32 v4, 0xffff0000, v4
	s_wait_alu 0xf1ff
	s_delay_alu instid0(VALU_DEP_3) | instskip(SKIP_2) | instid1(VALU_DEP_1)
	v_cndmask_b32_e64 v1, 0, v1, s0
	v_cmp_gt_i32_e64 s0, s7, v57
	s_wait_alu 0xf1ff
	v_cndmask_b32_e64 v72, 0, v72, s0
	v_cmp_gt_i32_e64 s0, s7, v56
	s_wait_alu 0xf1ff
	s_delay_alu instid0(VALU_DEP_1) | instskip(SKIP_2) | instid1(VALU_DEP_1)
	v_cndmask_b32_e64 v2, 0, v2, s0
	v_cmp_gt_i32_e64 s0, s7, v53
	s_wait_alu 0xf1ff
	v_cndmask_b32_e64 v71, 0, v71, s0
	v_cmp_gt_i32_e64 s0, s7, v54
	s_wait_alu 0xf1ff
	s_delay_alu instid0(VALU_DEP_1) | instskip(SKIP_2) | instid1(VALU_DEP_1)
	v_cndmask_b32_e64 v73, 0, v73, s0
	v_cmp_gt_i32_e64 s0, s7, v55
	s_wait_alu 0xf1ff
	v_cndmask_b32_e64 v4, 0, v4, s0
	v_cmp_gt_i32_e64 s0, s7, v52
	s_delay_alu instid0(VALU_DEP_2) | instskip(SKIP_1) | instid1(VALU_DEP_2)
	v_or_b32_e32 v4, v73, v4
	s_wait_alu 0xf1ff
	v_cndmask_b32_e64 v3, 0, v3, s0
	v_cmp_gt_i32_e64 s0, s7, v51
	s_wait_alu 0xf1ff
	s_delay_alu instid0(VALU_DEP_1)
	v_cndmask_b32_e64 v70, 0, v70, s0
.LBB116_53:                             ;   in Loop: Header=BB116_38 Depth=1
	s_wait_alu 0xfffe
	s_or_b32 exec_lo, exec_lo, s19
	v_lshlrev_b32_e32 v72, 16, v72
	v_lshlrev_b32_e32 v71, 16, v71
	;; [unrolled: 1-line block ×3, first 2 shown]
	s_delay_alu instid0(VALU_DEP_3) | instskip(NEXT) | instid1(VALU_DEP_3)
	v_and_or_b32 v1, 0xffff, v1, v72
	v_and_or_b32 v2, 0xffff, v2, v71
	s_delay_alu instid0(VALU_DEP_3)
	v_and_or_b32 v3, 0xffff, v3, v70
	;;#ASMSTART
	v_pk_mul_f16 v1, v45, v1;

	;;#ASMEND
	;;#ASMSTART
	v_pk_mul_f16 v2, v44, v2;

	;;#ASMEND
	;; [unrolled: 4-line block ×4, first 2 shown]
	;;#ASMSTART
	v_pk_add_f16 v1, v1, v2;

	;;#ASMEND
	;;#ASMSTART
	v_pk_add_f16 v1, v1, v3;

	;;#ASMEND
	;;#ASMSTART
	v_pk_add_f16 v1, v1, v4;

	;;#ASMEND
	v_and_b32_e32 v2, 0xffff, v1
	v_lshrrev_b32_e32 v1, 16, v1
	;;#ASMSTART
	v_cvt_f32_f16 v70, v2;
	;;#ASMEND
	;;#ASMSTART
	v_cvt_f32_f16 v71, v1;
	;;#ASMEND
	global_load_b128 v[1:4], v[5:6], off offset:3584
	s_wait_loadcnt 0x0
	v_lshrrev_b32_e32 v74, 16, v1
	v_lshrrev_b32_e32 v73, 16, v2
	;; [unrolled: 1-line block ×3, first 2 shown]
	s_and_saveexec_b32 s19, vcc_lo
	s_cbranch_execz .LBB116_55
; %bb.54:                               ;   in Loop: Header=BB116_38 Depth=1
	v_cmp_gt_i32_e64 s0, s7, v50
	v_and_b32_e32 v75, 0xffff, v4
	v_and_b32_e32 v4, 0xffff0000, v4
	s_wait_alu 0xf1ff
	s_delay_alu instid0(VALU_DEP_3) | instskip(SKIP_2) | instid1(VALU_DEP_1)
	v_cndmask_b32_e64 v1, 0, v1, s0
	v_cmp_gt_i32_e64 s0, s7, v57
	s_wait_alu 0xf1ff
	v_cndmask_b32_e64 v74, 0, v74, s0
	v_cmp_gt_i32_e64 s0, s7, v56
	s_wait_alu 0xf1ff
	s_delay_alu instid0(VALU_DEP_1) | instskip(SKIP_2) | instid1(VALU_DEP_1)
	v_cndmask_b32_e64 v2, 0, v2, s0
	v_cmp_gt_i32_e64 s0, s7, v53
	s_wait_alu 0xf1ff
	v_cndmask_b32_e64 v73, 0, v73, s0
	v_cmp_gt_i32_e64 s0, s7, v54
	s_wait_alu 0xf1ff
	s_delay_alu instid0(VALU_DEP_1) | instskip(SKIP_2) | instid1(VALU_DEP_1)
	v_cndmask_b32_e64 v75, 0, v75, s0
	v_cmp_gt_i32_e64 s0, s7, v55
	s_wait_alu 0xf1ff
	v_cndmask_b32_e64 v4, 0, v4, s0
	v_cmp_gt_i32_e64 s0, s7, v52
	s_delay_alu instid0(VALU_DEP_2) | instskip(SKIP_1) | instid1(VALU_DEP_2)
	v_or_b32_e32 v4, v75, v4
	s_wait_alu 0xf1ff
	v_cndmask_b32_e64 v3, 0, v3, s0
	v_cmp_gt_i32_e64 s0, s7, v51
	s_wait_alu 0xf1ff
	s_delay_alu instid0(VALU_DEP_1)
	v_cndmask_b32_e64 v72, 0, v72, s0
.LBB116_55:                             ;   in Loop: Header=BB116_38 Depth=1
	s_wait_alu 0xfffe
	s_or_b32 exec_lo, exec_lo, s19
	v_lshlrev_b32_e32 v74, 16, v74
	v_lshlrev_b32_e32 v73, 16, v73
	;; [unrolled: 1-line block ×3, first 2 shown]
	s_delay_alu instid0(VALU_DEP_3) | instskip(NEXT) | instid1(VALU_DEP_3)
	v_and_or_b32 v1, 0xffff, v1, v74
	v_and_or_b32 v2, 0xffff, v2, v73
	s_delay_alu instid0(VALU_DEP_3)
	v_and_or_b32 v3, 0xffff, v3, v72
	;;#ASMSTART
	v_pk_mul_f16 v1, v45, v1;

	;;#ASMEND
	;;#ASMSTART
	v_pk_mul_f16 v2, v44, v2;

	;;#ASMEND
	;; [unrolled: 4-line block ×4, first 2 shown]
	;;#ASMSTART
	v_pk_add_f16 v1, v1, v2;

	;;#ASMEND
	;;#ASMSTART
	v_pk_add_f16 v1, v1, v3;

	;;#ASMEND
	;; [unrolled: 4-line block ×3, first 2 shown]
	v_and_b32_e32 v2, 0xffff, v1
	v_lshrrev_b32_e32 v1, 16, v1
	;;#ASMSTART
	v_cvt_f32_f16 v72, v2;
	;;#ASMEND
	;;#ASMSTART
	v_cvt_f32_f16 v73, v1;
	;;#ASMEND
	global_load_b128 v[1:4], v[5:6], off offset:4096
	s_wait_loadcnt 0x0
	v_lshrrev_b32_e32 v76, 16, v1
	v_lshrrev_b32_e32 v75, 16, v2
	;; [unrolled: 1-line block ×3, first 2 shown]
	s_and_saveexec_b32 s19, vcc_lo
	s_cbranch_execz .LBB116_57
; %bb.56:                               ;   in Loop: Header=BB116_38 Depth=1
	v_cmp_gt_i32_e64 s0, s7, v50
	v_and_b32_e32 v77, 0xffff, v4
	v_and_b32_e32 v4, 0xffff0000, v4
	s_wait_alu 0xf1ff
	s_delay_alu instid0(VALU_DEP_3) | instskip(SKIP_2) | instid1(VALU_DEP_1)
	v_cndmask_b32_e64 v1, 0, v1, s0
	v_cmp_gt_i32_e64 s0, s7, v57
	s_wait_alu 0xf1ff
	v_cndmask_b32_e64 v76, 0, v76, s0
	v_cmp_gt_i32_e64 s0, s7, v56
	s_wait_alu 0xf1ff
	s_delay_alu instid0(VALU_DEP_1) | instskip(SKIP_2) | instid1(VALU_DEP_1)
	v_cndmask_b32_e64 v2, 0, v2, s0
	v_cmp_gt_i32_e64 s0, s7, v53
	s_wait_alu 0xf1ff
	v_cndmask_b32_e64 v75, 0, v75, s0
	v_cmp_gt_i32_e64 s0, s7, v54
	s_wait_alu 0xf1ff
	s_delay_alu instid0(VALU_DEP_1) | instskip(SKIP_2) | instid1(VALU_DEP_1)
	v_cndmask_b32_e64 v77, 0, v77, s0
	v_cmp_gt_i32_e64 s0, s7, v55
	s_wait_alu 0xf1ff
	v_cndmask_b32_e64 v4, 0, v4, s0
	v_cmp_gt_i32_e64 s0, s7, v52
	s_delay_alu instid0(VALU_DEP_2) | instskip(SKIP_1) | instid1(VALU_DEP_2)
	v_or_b32_e32 v4, v77, v4
	s_wait_alu 0xf1ff
	v_cndmask_b32_e64 v3, 0, v3, s0
	v_cmp_gt_i32_e64 s0, s7, v51
	s_wait_alu 0xf1ff
	s_delay_alu instid0(VALU_DEP_1)
	v_cndmask_b32_e64 v74, 0, v74, s0
.LBB116_57:                             ;   in Loop: Header=BB116_38 Depth=1
	s_wait_alu 0xfffe
	s_or_b32 exec_lo, exec_lo, s19
	v_lshlrev_b32_e32 v76, 16, v76
	v_lshlrev_b32_e32 v75, 16, v75
	;; [unrolled: 1-line block ×3, first 2 shown]
	s_delay_alu instid0(VALU_DEP_3) | instskip(NEXT) | instid1(VALU_DEP_3)
	v_and_or_b32 v1, 0xffff, v1, v76
	v_and_or_b32 v2, 0xffff, v2, v75
	s_delay_alu instid0(VALU_DEP_3)
	v_and_or_b32 v3, 0xffff, v3, v74
	;;#ASMSTART
	v_pk_mul_f16 v1, v45, v1;

	;;#ASMEND
	;;#ASMSTART
	v_pk_mul_f16 v2, v44, v2;

	;;#ASMEND
	;; [unrolled: 4-line block ×4, first 2 shown]
	;;#ASMSTART
	v_pk_add_f16 v1, v1, v2;

	;;#ASMEND
	;;#ASMSTART
	v_pk_add_f16 v1, v1, v3;

	;;#ASMEND
	;; [unrolled: 4-line block ×3, first 2 shown]
	v_and_b32_e32 v2, 0xffff, v1
	v_lshrrev_b32_e32 v1, 16, v1
	;;#ASMSTART
	v_cvt_f32_f16 v74, v2;
	;;#ASMEND
	;;#ASMSTART
	v_cvt_f32_f16 v75, v1;
	;;#ASMEND
	global_load_b128 v[1:4], v[5:6], off offset:4608
	s_wait_loadcnt 0x0
	v_lshrrev_b32_e32 v78, 16, v1
	v_lshrrev_b32_e32 v77, 16, v2
	;; [unrolled: 1-line block ×3, first 2 shown]
	s_and_saveexec_b32 s19, vcc_lo
	s_cbranch_execz .LBB116_59
; %bb.58:                               ;   in Loop: Header=BB116_38 Depth=1
	v_cmp_gt_i32_e64 s0, s7, v50
	v_and_b32_e32 v79, 0xffff, v4
	v_and_b32_e32 v4, 0xffff0000, v4
	s_wait_alu 0xf1ff
	s_delay_alu instid0(VALU_DEP_3) | instskip(SKIP_2) | instid1(VALU_DEP_1)
	v_cndmask_b32_e64 v1, 0, v1, s0
	v_cmp_gt_i32_e64 s0, s7, v57
	s_wait_alu 0xf1ff
	v_cndmask_b32_e64 v78, 0, v78, s0
	v_cmp_gt_i32_e64 s0, s7, v56
	s_wait_alu 0xf1ff
	s_delay_alu instid0(VALU_DEP_1) | instskip(SKIP_2) | instid1(VALU_DEP_1)
	v_cndmask_b32_e64 v2, 0, v2, s0
	v_cmp_gt_i32_e64 s0, s7, v53
	s_wait_alu 0xf1ff
	v_cndmask_b32_e64 v77, 0, v77, s0
	v_cmp_gt_i32_e64 s0, s7, v54
	s_wait_alu 0xf1ff
	s_delay_alu instid0(VALU_DEP_1) | instskip(SKIP_2) | instid1(VALU_DEP_1)
	v_cndmask_b32_e64 v79, 0, v79, s0
	v_cmp_gt_i32_e64 s0, s7, v55
	s_wait_alu 0xf1ff
	v_cndmask_b32_e64 v4, 0, v4, s0
	v_cmp_gt_i32_e64 s0, s7, v52
	s_delay_alu instid0(VALU_DEP_2) | instskip(SKIP_1) | instid1(VALU_DEP_2)
	v_or_b32_e32 v4, v79, v4
	s_wait_alu 0xf1ff
	v_cndmask_b32_e64 v3, 0, v3, s0
	v_cmp_gt_i32_e64 s0, s7, v51
	s_wait_alu 0xf1ff
	s_delay_alu instid0(VALU_DEP_1)
	v_cndmask_b32_e64 v76, 0, v76, s0
.LBB116_59:                             ;   in Loop: Header=BB116_38 Depth=1
	s_wait_alu 0xfffe
	s_or_b32 exec_lo, exec_lo, s19
	v_lshlrev_b32_e32 v78, 16, v78
	v_lshlrev_b32_e32 v77, 16, v77
	v_lshlrev_b32_e32 v76, 16, v76
	s_delay_alu instid0(VALU_DEP_3) | instskip(NEXT) | instid1(VALU_DEP_3)
	v_and_or_b32 v1, 0xffff, v1, v78
	v_and_or_b32 v2, 0xffff, v2, v77
	s_delay_alu instid0(VALU_DEP_3)
	v_and_or_b32 v3, 0xffff, v3, v76
	;;#ASMSTART
	v_pk_mul_f16 v1, v45, v1;

	;;#ASMEND
	;;#ASMSTART
	v_pk_mul_f16 v2, v44, v2;

	;;#ASMEND
	;; [unrolled: 4-line block ×4, first 2 shown]
	;;#ASMSTART
	v_pk_add_f16 v1, v1, v2;

	;;#ASMEND
	;;#ASMSTART
	v_pk_add_f16 v1, v1, v3;

	;;#ASMEND
	;; [unrolled: 4-line block ×3, first 2 shown]
	v_and_b32_e32 v2, 0xffff, v1
	v_lshrrev_b32_e32 v1, 16, v1
	;;#ASMSTART
	v_cvt_f32_f16 v76, v2;
	;;#ASMEND
	;;#ASMSTART
	v_cvt_f32_f16 v77, v1;
	;;#ASMEND
	global_load_b128 v[1:4], v[5:6], off offset:5120
	s_wait_loadcnt 0x0
	v_lshrrev_b32_e32 v80, 16, v1
	v_lshrrev_b32_e32 v79, 16, v2
	;; [unrolled: 1-line block ×3, first 2 shown]
	s_and_saveexec_b32 s19, vcc_lo
	s_cbranch_execz .LBB116_61
; %bb.60:                               ;   in Loop: Header=BB116_38 Depth=1
	v_cmp_gt_i32_e64 s0, s7, v50
	v_and_b32_e32 v81, 0xffff, v4
	v_and_b32_e32 v4, 0xffff0000, v4
	s_wait_alu 0xf1ff
	s_delay_alu instid0(VALU_DEP_3) | instskip(SKIP_2) | instid1(VALU_DEP_1)
	v_cndmask_b32_e64 v1, 0, v1, s0
	v_cmp_gt_i32_e64 s0, s7, v57
	s_wait_alu 0xf1ff
	v_cndmask_b32_e64 v80, 0, v80, s0
	v_cmp_gt_i32_e64 s0, s7, v56
	s_wait_alu 0xf1ff
	s_delay_alu instid0(VALU_DEP_1) | instskip(SKIP_2) | instid1(VALU_DEP_1)
	v_cndmask_b32_e64 v2, 0, v2, s0
	v_cmp_gt_i32_e64 s0, s7, v53
	s_wait_alu 0xf1ff
	v_cndmask_b32_e64 v79, 0, v79, s0
	v_cmp_gt_i32_e64 s0, s7, v54
	s_wait_alu 0xf1ff
	s_delay_alu instid0(VALU_DEP_1) | instskip(SKIP_2) | instid1(VALU_DEP_1)
	v_cndmask_b32_e64 v81, 0, v81, s0
	v_cmp_gt_i32_e64 s0, s7, v55
	s_wait_alu 0xf1ff
	v_cndmask_b32_e64 v4, 0, v4, s0
	v_cmp_gt_i32_e64 s0, s7, v52
	s_delay_alu instid0(VALU_DEP_2) | instskip(SKIP_1) | instid1(VALU_DEP_2)
	v_or_b32_e32 v4, v81, v4
	s_wait_alu 0xf1ff
	v_cndmask_b32_e64 v3, 0, v3, s0
	v_cmp_gt_i32_e64 s0, s7, v51
	s_wait_alu 0xf1ff
	s_delay_alu instid0(VALU_DEP_1)
	v_cndmask_b32_e64 v78, 0, v78, s0
.LBB116_61:                             ;   in Loop: Header=BB116_38 Depth=1
	s_wait_alu 0xfffe
	s_or_b32 exec_lo, exec_lo, s19
	v_lshlrev_b32_e32 v80, 16, v80
	v_lshlrev_b32_e32 v79, 16, v79
	;; [unrolled: 1-line block ×3, first 2 shown]
	s_delay_alu instid0(VALU_DEP_3) | instskip(NEXT) | instid1(VALU_DEP_3)
	v_and_or_b32 v1, 0xffff, v1, v80
	v_and_or_b32 v2, 0xffff, v2, v79
	s_delay_alu instid0(VALU_DEP_3)
	v_and_or_b32 v3, 0xffff, v3, v78
	;;#ASMSTART
	v_pk_mul_f16 v1, v45, v1;

	;;#ASMEND
	;;#ASMSTART
	v_pk_mul_f16 v2, v44, v2;

	;;#ASMEND
	;; [unrolled: 4-line block ×4, first 2 shown]
	;;#ASMSTART
	v_pk_add_f16 v1, v1, v2;

	;;#ASMEND
	;;#ASMSTART
	v_pk_add_f16 v1, v1, v3;

	;;#ASMEND
	;; [unrolled: 4-line block ×3, first 2 shown]
	v_and_b32_e32 v2, 0xffff, v1
	v_lshrrev_b32_e32 v1, 16, v1
	;;#ASMSTART
	v_cvt_f32_f16 v78, v2;
	;;#ASMEND
	;;#ASMSTART
	v_cvt_f32_f16 v79, v1;
	;;#ASMEND
	global_load_b128 v[1:4], v[5:6], off offset:5632
	s_wait_loadcnt 0x0
	v_lshrrev_b32_e32 v82, 16, v1
	v_lshrrev_b32_e32 v81, 16, v2
	;; [unrolled: 1-line block ×3, first 2 shown]
	s_and_saveexec_b32 s19, vcc_lo
	s_cbranch_execz .LBB116_63
; %bb.62:                               ;   in Loop: Header=BB116_38 Depth=1
	v_cmp_gt_i32_e64 s0, s7, v50
	v_and_b32_e32 v83, 0xffff, v4
	v_and_b32_e32 v4, 0xffff0000, v4
	s_wait_alu 0xf1ff
	s_delay_alu instid0(VALU_DEP_3) | instskip(SKIP_2) | instid1(VALU_DEP_1)
	v_cndmask_b32_e64 v1, 0, v1, s0
	v_cmp_gt_i32_e64 s0, s7, v57
	s_wait_alu 0xf1ff
	v_cndmask_b32_e64 v82, 0, v82, s0
	v_cmp_gt_i32_e64 s0, s7, v56
	s_wait_alu 0xf1ff
	s_delay_alu instid0(VALU_DEP_1) | instskip(SKIP_2) | instid1(VALU_DEP_1)
	v_cndmask_b32_e64 v2, 0, v2, s0
	v_cmp_gt_i32_e64 s0, s7, v53
	s_wait_alu 0xf1ff
	v_cndmask_b32_e64 v81, 0, v81, s0
	v_cmp_gt_i32_e64 s0, s7, v54
	s_wait_alu 0xf1ff
	s_delay_alu instid0(VALU_DEP_1) | instskip(SKIP_2) | instid1(VALU_DEP_1)
	v_cndmask_b32_e64 v83, 0, v83, s0
	v_cmp_gt_i32_e64 s0, s7, v55
	s_wait_alu 0xf1ff
	v_cndmask_b32_e64 v4, 0, v4, s0
	v_cmp_gt_i32_e64 s0, s7, v52
	s_delay_alu instid0(VALU_DEP_2) | instskip(SKIP_1) | instid1(VALU_DEP_2)
	v_or_b32_e32 v4, v83, v4
	s_wait_alu 0xf1ff
	v_cndmask_b32_e64 v3, 0, v3, s0
	v_cmp_gt_i32_e64 s0, s7, v51
	s_wait_alu 0xf1ff
	s_delay_alu instid0(VALU_DEP_1)
	v_cndmask_b32_e64 v80, 0, v80, s0
.LBB116_63:                             ;   in Loop: Header=BB116_38 Depth=1
	s_wait_alu 0xfffe
	s_or_b32 exec_lo, exec_lo, s19
	v_lshlrev_b32_e32 v82, 16, v82
	v_lshlrev_b32_e32 v81, 16, v81
	v_lshlrev_b32_e32 v80, 16, v80
	s_delay_alu instid0(VALU_DEP_3) | instskip(NEXT) | instid1(VALU_DEP_3)
	v_and_or_b32 v1, 0xffff, v1, v82
	v_and_or_b32 v2, 0xffff, v2, v81
	s_delay_alu instid0(VALU_DEP_3)
	v_and_or_b32 v3, 0xffff, v3, v80
	;;#ASMSTART
	v_pk_mul_f16 v1, v45, v1;

	;;#ASMEND
	;;#ASMSTART
	v_pk_mul_f16 v2, v44, v2;

	;;#ASMEND
	;; [unrolled: 4-line block ×4, first 2 shown]
	;;#ASMSTART
	v_pk_add_f16 v1, v1, v2;

	;;#ASMEND
	;;#ASMSTART
	v_pk_add_f16 v1, v1, v3;

	;;#ASMEND
	;; [unrolled: 4-line block ×3, first 2 shown]
	v_and_b32_e32 v2, 0xffff, v1
	v_lshrrev_b32_e32 v1, 16, v1
	;;#ASMSTART
	v_cvt_f32_f16 v80, v2;
	;;#ASMEND
	;;#ASMSTART
	v_cvt_f32_f16 v81, v1;
	;;#ASMEND
	global_load_b128 v[1:4], v[5:6], off offset:6144
	s_wait_loadcnt 0x0
	v_lshrrev_b32_e32 v84, 16, v1
	v_lshrrev_b32_e32 v83, 16, v2
	;; [unrolled: 1-line block ×3, first 2 shown]
	s_and_saveexec_b32 s19, vcc_lo
	s_cbranch_execz .LBB116_65
; %bb.64:                               ;   in Loop: Header=BB116_38 Depth=1
	v_cmp_gt_i32_e64 s0, s7, v50
	v_and_b32_e32 v85, 0xffff, v4
	v_and_b32_e32 v4, 0xffff0000, v4
	s_wait_alu 0xf1ff
	s_delay_alu instid0(VALU_DEP_3) | instskip(SKIP_2) | instid1(VALU_DEP_1)
	v_cndmask_b32_e64 v1, 0, v1, s0
	v_cmp_gt_i32_e64 s0, s7, v57
	s_wait_alu 0xf1ff
	v_cndmask_b32_e64 v84, 0, v84, s0
	v_cmp_gt_i32_e64 s0, s7, v56
	s_wait_alu 0xf1ff
	s_delay_alu instid0(VALU_DEP_1) | instskip(SKIP_2) | instid1(VALU_DEP_1)
	v_cndmask_b32_e64 v2, 0, v2, s0
	v_cmp_gt_i32_e64 s0, s7, v53
	s_wait_alu 0xf1ff
	v_cndmask_b32_e64 v83, 0, v83, s0
	v_cmp_gt_i32_e64 s0, s7, v54
	s_wait_alu 0xf1ff
	s_delay_alu instid0(VALU_DEP_1) | instskip(SKIP_2) | instid1(VALU_DEP_1)
	v_cndmask_b32_e64 v85, 0, v85, s0
	v_cmp_gt_i32_e64 s0, s7, v55
	s_wait_alu 0xf1ff
	v_cndmask_b32_e64 v4, 0, v4, s0
	v_cmp_gt_i32_e64 s0, s7, v52
	s_delay_alu instid0(VALU_DEP_2) | instskip(SKIP_1) | instid1(VALU_DEP_2)
	v_or_b32_e32 v4, v85, v4
	s_wait_alu 0xf1ff
	v_cndmask_b32_e64 v3, 0, v3, s0
	v_cmp_gt_i32_e64 s0, s7, v51
	s_wait_alu 0xf1ff
	s_delay_alu instid0(VALU_DEP_1)
	v_cndmask_b32_e64 v82, 0, v82, s0
.LBB116_65:                             ;   in Loop: Header=BB116_38 Depth=1
	s_wait_alu 0xfffe
	s_or_b32 exec_lo, exec_lo, s19
	v_lshlrev_b32_e32 v84, 16, v84
	v_lshlrev_b32_e32 v83, 16, v83
	v_lshlrev_b32_e32 v82, 16, v82
	s_delay_alu instid0(VALU_DEP_3) | instskip(NEXT) | instid1(VALU_DEP_3)
	v_and_or_b32 v1, 0xffff, v1, v84
	v_and_or_b32 v2, 0xffff, v2, v83
	s_delay_alu instid0(VALU_DEP_3)
	v_and_or_b32 v3, 0xffff, v3, v82
	;;#ASMSTART
	v_pk_mul_f16 v1, v45, v1;

	;;#ASMEND
	;;#ASMSTART
	v_pk_mul_f16 v2, v44, v2;

	;;#ASMEND
	;; [unrolled: 4-line block ×4, first 2 shown]
	;;#ASMSTART
	v_pk_add_f16 v1, v1, v2;

	;;#ASMEND
	;;#ASMSTART
	v_pk_add_f16 v1, v1, v3;

	;;#ASMEND
	;; [unrolled: 4-line block ×3, first 2 shown]
	v_and_b32_e32 v2, 0xffff, v1
	v_lshrrev_b32_e32 v1, 16, v1
	;;#ASMSTART
	v_cvt_f32_f16 v82, v2;
	;;#ASMEND
	;;#ASMSTART
	v_cvt_f32_f16 v83, v1;
	;;#ASMEND
	global_load_b128 v[1:4], v[5:6], off offset:6656
	s_wait_loadcnt 0x0
	v_lshrrev_b32_e32 v86, 16, v1
	v_lshrrev_b32_e32 v85, 16, v2
	v_lshrrev_b32_e32 v84, 16, v3
	s_and_saveexec_b32 s19, vcc_lo
	s_cbranch_execz .LBB116_67
; %bb.66:                               ;   in Loop: Header=BB116_38 Depth=1
	v_cmp_gt_i32_e64 s0, s7, v50
	v_and_b32_e32 v87, 0xffff, v4
	v_and_b32_e32 v4, 0xffff0000, v4
	s_wait_alu 0xf1ff
	s_delay_alu instid0(VALU_DEP_3) | instskip(SKIP_2) | instid1(VALU_DEP_1)
	v_cndmask_b32_e64 v1, 0, v1, s0
	v_cmp_gt_i32_e64 s0, s7, v57
	s_wait_alu 0xf1ff
	v_cndmask_b32_e64 v86, 0, v86, s0
	v_cmp_gt_i32_e64 s0, s7, v56
	s_wait_alu 0xf1ff
	s_delay_alu instid0(VALU_DEP_1) | instskip(SKIP_2) | instid1(VALU_DEP_1)
	v_cndmask_b32_e64 v2, 0, v2, s0
	v_cmp_gt_i32_e64 s0, s7, v53
	s_wait_alu 0xf1ff
	v_cndmask_b32_e64 v85, 0, v85, s0
	v_cmp_gt_i32_e64 s0, s7, v54
	s_wait_alu 0xf1ff
	s_delay_alu instid0(VALU_DEP_1) | instskip(SKIP_2) | instid1(VALU_DEP_1)
	v_cndmask_b32_e64 v87, 0, v87, s0
	v_cmp_gt_i32_e64 s0, s7, v55
	s_wait_alu 0xf1ff
	v_cndmask_b32_e64 v4, 0, v4, s0
	v_cmp_gt_i32_e64 s0, s7, v52
	s_delay_alu instid0(VALU_DEP_2) | instskip(SKIP_1) | instid1(VALU_DEP_2)
	v_or_b32_e32 v4, v87, v4
	s_wait_alu 0xf1ff
	v_cndmask_b32_e64 v3, 0, v3, s0
	v_cmp_gt_i32_e64 s0, s7, v51
	s_wait_alu 0xf1ff
	s_delay_alu instid0(VALU_DEP_1)
	v_cndmask_b32_e64 v84, 0, v84, s0
.LBB116_67:                             ;   in Loop: Header=BB116_38 Depth=1
	s_wait_alu 0xfffe
	s_or_b32 exec_lo, exec_lo, s19
	v_lshlrev_b32_e32 v86, 16, v86
	v_lshlrev_b32_e32 v85, 16, v85
	;; [unrolled: 1-line block ×3, first 2 shown]
	s_delay_alu instid0(VALU_DEP_3) | instskip(NEXT) | instid1(VALU_DEP_3)
	v_and_or_b32 v1, 0xffff, v1, v86
	v_and_or_b32 v2, 0xffff, v2, v85
	s_delay_alu instid0(VALU_DEP_3)
	v_and_or_b32 v3, 0xffff, v3, v84
	;;#ASMSTART
	v_pk_mul_f16 v1, v45, v1;

	;;#ASMEND
	;;#ASMSTART
	v_pk_mul_f16 v2, v44, v2;

	;;#ASMEND
	;; [unrolled: 4-line block ×4, first 2 shown]
	;;#ASMSTART
	v_pk_add_f16 v1, v1, v2;

	;;#ASMEND
	;;#ASMSTART
	v_pk_add_f16 v1, v1, v3;

	;;#ASMEND
	;; [unrolled: 4-line block ×3, first 2 shown]
	v_and_b32_e32 v2, 0xffff, v1
	v_lshrrev_b32_e32 v1, 16, v1
	;;#ASMSTART
	v_cvt_f32_f16 v84, v2;
	;;#ASMEND
	;;#ASMSTART
	v_cvt_f32_f16 v85, v1;
	;;#ASMEND
	global_load_b128 v[1:4], v[5:6], off offset:7168
	s_wait_loadcnt 0x0
	v_lshrrev_b32_e32 v88, 16, v1
	v_lshrrev_b32_e32 v87, 16, v2
	;; [unrolled: 1-line block ×3, first 2 shown]
	s_and_saveexec_b32 s19, vcc_lo
	s_cbranch_execz .LBB116_69
; %bb.68:                               ;   in Loop: Header=BB116_38 Depth=1
	v_cmp_gt_i32_e64 s0, s7, v50
	v_and_b32_e32 v89, 0xffff, v4
	v_and_b32_e32 v4, 0xffff0000, v4
	s_wait_alu 0xf1ff
	s_delay_alu instid0(VALU_DEP_3) | instskip(SKIP_2) | instid1(VALU_DEP_1)
	v_cndmask_b32_e64 v1, 0, v1, s0
	v_cmp_gt_i32_e64 s0, s7, v57
	s_wait_alu 0xf1ff
	v_cndmask_b32_e64 v88, 0, v88, s0
	v_cmp_gt_i32_e64 s0, s7, v56
	s_wait_alu 0xf1ff
	s_delay_alu instid0(VALU_DEP_1) | instskip(SKIP_2) | instid1(VALU_DEP_1)
	v_cndmask_b32_e64 v2, 0, v2, s0
	v_cmp_gt_i32_e64 s0, s7, v53
	s_wait_alu 0xf1ff
	v_cndmask_b32_e64 v87, 0, v87, s0
	v_cmp_gt_i32_e64 s0, s7, v54
	s_wait_alu 0xf1ff
	s_delay_alu instid0(VALU_DEP_1) | instskip(SKIP_2) | instid1(VALU_DEP_1)
	v_cndmask_b32_e64 v89, 0, v89, s0
	v_cmp_gt_i32_e64 s0, s7, v55
	s_wait_alu 0xf1ff
	v_cndmask_b32_e64 v4, 0, v4, s0
	v_cmp_gt_i32_e64 s0, s7, v52
	s_delay_alu instid0(VALU_DEP_2) | instskip(SKIP_1) | instid1(VALU_DEP_2)
	v_or_b32_e32 v4, v89, v4
	s_wait_alu 0xf1ff
	v_cndmask_b32_e64 v3, 0, v3, s0
	v_cmp_gt_i32_e64 s0, s7, v51
	s_wait_alu 0xf1ff
	s_delay_alu instid0(VALU_DEP_1)
	v_cndmask_b32_e64 v86, 0, v86, s0
.LBB116_69:                             ;   in Loop: Header=BB116_38 Depth=1
	s_wait_alu 0xfffe
	s_or_b32 exec_lo, exec_lo, s19
	v_lshlrev_b32_e32 v88, 16, v88
	v_lshlrev_b32_e32 v87, 16, v87
	;; [unrolled: 1-line block ×3, first 2 shown]
	s_delay_alu instid0(VALU_DEP_3) | instskip(NEXT) | instid1(VALU_DEP_3)
	v_and_or_b32 v1, 0xffff, v1, v88
	v_and_or_b32 v2, 0xffff, v2, v87
	s_delay_alu instid0(VALU_DEP_3)
	v_and_or_b32 v3, 0xffff, v3, v86
	;;#ASMSTART
	v_pk_mul_f16 v1, v45, v1;

	;;#ASMEND
	;;#ASMSTART
	v_pk_mul_f16 v2, v44, v2;

	;;#ASMEND
	;; [unrolled: 4-line block ×4, first 2 shown]
	;;#ASMSTART
	v_pk_add_f16 v1, v1, v2;

	;;#ASMEND
	;;#ASMSTART
	v_pk_add_f16 v1, v1, v3;

	;;#ASMEND
	;; [unrolled: 4-line block ×3, first 2 shown]
	v_and_b32_e32 v2, 0xffff, v1
	v_lshrrev_b32_e32 v1, 16, v1
	;;#ASMSTART
	v_cvt_f32_f16 v86, v2;
	;;#ASMEND
	;;#ASMSTART
	v_cvt_f32_f16 v87, v1;
	;;#ASMEND
	global_load_b128 v[1:4], v[5:6], off offset:7680
	s_wait_loadcnt 0x0
	v_lshrrev_b32_e32 v90, 16, v1
	v_lshrrev_b32_e32 v89, 16, v2
	;; [unrolled: 1-line block ×3, first 2 shown]
	s_and_saveexec_b32 s19, vcc_lo
	s_cbranch_execz .LBB116_71
; %bb.70:                               ;   in Loop: Header=BB116_38 Depth=1
	v_cmp_gt_i32_e64 s0, s7, v50
	v_and_b32_e32 v91, 0xffff, v4
	v_and_b32_e32 v4, 0xffff0000, v4
	s_wait_alu 0xf1ff
	s_delay_alu instid0(VALU_DEP_3) | instskip(SKIP_2) | instid1(VALU_DEP_1)
	v_cndmask_b32_e64 v1, 0, v1, s0
	v_cmp_gt_i32_e64 s0, s7, v57
	s_wait_alu 0xf1ff
	v_cndmask_b32_e64 v90, 0, v90, s0
	v_cmp_gt_i32_e64 s0, s7, v56
	s_wait_alu 0xf1ff
	s_delay_alu instid0(VALU_DEP_1) | instskip(SKIP_2) | instid1(VALU_DEP_1)
	v_cndmask_b32_e64 v2, 0, v2, s0
	v_cmp_gt_i32_e64 s0, s7, v53
	s_wait_alu 0xf1ff
	v_cndmask_b32_e64 v89, 0, v89, s0
	v_cmp_gt_i32_e64 s0, s7, v54
	s_wait_alu 0xf1ff
	s_delay_alu instid0(VALU_DEP_1) | instskip(SKIP_2) | instid1(VALU_DEP_1)
	v_cndmask_b32_e64 v91, 0, v91, s0
	v_cmp_gt_i32_e64 s0, s7, v55
	s_wait_alu 0xf1ff
	v_cndmask_b32_e64 v4, 0, v4, s0
	v_cmp_gt_i32_e64 s0, s7, v52
	s_delay_alu instid0(VALU_DEP_2) | instskip(SKIP_1) | instid1(VALU_DEP_2)
	v_or_b32_e32 v4, v91, v4
	s_wait_alu 0xf1ff
	v_cndmask_b32_e64 v3, 0, v3, s0
	v_cmp_gt_i32_e64 s0, s7, v51
	s_wait_alu 0xf1ff
	s_delay_alu instid0(VALU_DEP_1)
	v_cndmask_b32_e64 v88, 0, v88, s0
.LBB116_71:                             ;   in Loop: Header=BB116_38 Depth=1
	s_wait_alu 0xfffe
	s_or_b32 exec_lo, exec_lo, s19
	v_lshlrev_b32_e32 v90, 16, v90
	v_lshlrev_b32_e32 v89, 16, v89
	;; [unrolled: 1-line block ×3, first 2 shown]
	s_delay_alu instid0(VALU_DEP_3) | instskip(NEXT) | instid1(VALU_DEP_3)
	v_and_or_b32 v1, 0xffff, v1, v90
	v_and_or_b32 v2, 0xffff, v2, v89
	s_delay_alu instid0(VALU_DEP_3)
	v_and_or_b32 v3, 0xffff, v3, v88
	;;#ASMSTART
	v_pk_mul_f16 v1, v45, v1;

	;;#ASMEND
	;;#ASMSTART
	v_pk_mul_f16 v2, v44, v2;

	;;#ASMEND
	;; [unrolled: 4-line block ×4, first 2 shown]
	;;#ASMSTART
	v_pk_add_f16 v1, v1, v2;

	;;#ASMEND
	;;#ASMSTART
	v_pk_add_f16 v1, v1, v3;

	;;#ASMEND
	;; [unrolled: 4-line block ×3, first 2 shown]
	v_and_b32_e32 v2, 0xffff, v1
	v_lshrrev_b32_e32 v1, 16, v1
	;;#ASMSTART
	v_cvt_f32_f16 v88, v2;
	;;#ASMEND
	;;#ASMSTART
	v_cvt_f32_f16 v89, v1;
	;;#ASMEND
	global_load_b128 v[1:4], v[5:6], off offset:8192
	s_wait_loadcnt 0x0
	v_lshrrev_b32_e32 v92, 16, v1
	v_lshrrev_b32_e32 v91, 16, v2
	;; [unrolled: 1-line block ×3, first 2 shown]
	s_and_saveexec_b32 s19, vcc_lo
	s_cbranch_execz .LBB116_73
; %bb.72:                               ;   in Loop: Header=BB116_38 Depth=1
	v_cmp_gt_i32_e64 s0, s7, v50
	v_and_b32_e32 v93, 0xffff, v4
	v_and_b32_e32 v4, 0xffff0000, v4
	s_wait_alu 0xf1ff
	s_delay_alu instid0(VALU_DEP_3) | instskip(SKIP_2) | instid1(VALU_DEP_1)
	v_cndmask_b32_e64 v1, 0, v1, s0
	v_cmp_gt_i32_e64 s0, s7, v57
	s_wait_alu 0xf1ff
	v_cndmask_b32_e64 v92, 0, v92, s0
	v_cmp_gt_i32_e64 s0, s7, v56
	s_wait_alu 0xf1ff
	s_delay_alu instid0(VALU_DEP_1) | instskip(SKIP_2) | instid1(VALU_DEP_1)
	v_cndmask_b32_e64 v2, 0, v2, s0
	v_cmp_gt_i32_e64 s0, s7, v53
	s_wait_alu 0xf1ff
	v_cndmask_b32_e64 v91, 0, v91, s0
	v_cmp_gt_i32_e64 s0, s7, v54
	s_wait_alu 0xf1ff
	s_delay_alu instid0(VALU_DEP_1) | instskip(SKIP_2) | instid1(VALU_DEP_1)
	v_cndmask_b32_e64 v93, 0, v93, s0
	v_cmp_gt_i32_e64 s0, s7, v55
	s_wait_alu 0xf1ff
	v_cndmask_b32_e64 v4, 0, v4, s0
	v_cmp_gt_i32_e64 s0, s7, v52
	s_delay_alu instid0(VALU_DEP_2) | instskip(SKIP_1) | instid1(VALU_DEP_2)
	v_or_b32_e32 v4, v93, v4
	s_wait_alu 0xf1ff
	v_cndmask_b32_e64 v3, 0, v3, s0
	v_cmp_gt_i32_e64 s0, s7, v51
	s_wait_alu 0xf1ff
	s_delay_alu instid0(VALU_DEP_1)
	v_cndmask_b32_e64 v90, 0, v90, s0
.LBB116_73:                             ;   in Loop: Header=BB116_38 Depth=1
	s_wait_alu 0xfffe
	s_or_b32 exec_lo, exec_lo, s19
	v_lshlrev_b32_e32 v92, 16, v92
	v_lshlrev_b32_e32 v91, 16, v91
	;; [unrolled: 1-line block ×3, first 2 shown]
	s_delay_alu instid0(VALU_DEP_3) | instskip(NEXT) | instid1(VALU_DEP_3)
	v_and_or_b32 v1, 0xffff, v1, v92
	v_and_or_b32 v2, 0xffff, v2, v91
	s_delay_alu instid0(VALU_DEP_3)
	v_and_or_b32 v3, 0xffff, v3, v90
	;;#ASMSTART
	v_pk_mul_f16 v1, v45, v1;

	;;#ASMEND
	;;#ASMSTART
	v_pk_mul_f16 v2, v44, v2;

	;;#ASMEND
	;; [unrolled: 4-line block ×4, first 2 shown]
	;;#ASMSTART
	v_pk_add_f16 v1, v1, v2;

	;;#ASMEND
	;;#ASMSTART
	v_pk_add_f16 v1, v1, v3;

	;;#ASMEND
	;; [unrolled: 4-line block ×3, first 2 shown]
	v_and_b32_e32 v2, 0xffff, v1
	v_lshrrev_b32_e32 v1, 16, v1
	;;#ASMSTART
	v_cvt_f32_f16 v90, v2;
	;;#ASMEND
	;;#ASMSTART
	v_cvt_f32_f16 v91, v1;
	;;#ASMEND
	global_load_b128 v[1:4], v[5:6], off offset:8704
	s_wait_loadcnt 0x0
	v_lshrrev_b32_e32 v94, 16, v1
	v_lshrrev_b32_e32 v93, 16, v2
	;; [unrolled: 1-line block ×3, first 2 shown]
	s_and_saveexec_b32 s19, vcc_lo
	s_cbranch_execz .LBB116_75
; %bb.74:                               ;   in Loop: Header=BB116_38 Depth=1
	v_cmp_gt_i32_e64 s0, s7, v50
	v_and_b32_e32 v95, 0xffff, v4
	v_and_b32_e32 v4, 0xffff0000, v4
	s_wait_alu 0xf1ff
	s_delay_alu instid0(VALU_DEP_3) | instskip(SKIP_2) | instid1(VALU_DEP_1)
	v_cndmask_b32_e64 v1, 0, v1, s0
	v_cmp_gt_i32_e64 s0, s7, v57
	s_wait_alu 0xf1ff
	v_cndmask_b32_e64 v94, 0, v94, s0
	v_cmp_gt_i32_e64 s0, s7, v56
	s_wait_alu 0xf1ff
	s_delay_alu instid0(VALU_DEP_1) | instskip(SKIP_2) | instid1(VALU_DEP_1)
	v_cndmask_b32_e64 v2, 0, v2, s0
	v_cmp_gt_i32_e64 s0, s7, v53
	s_wait_alu 0xf1ff
	v_cndmask_b32_e64 v93, 0, v93, s0
	v_cmp_gt_i32_e64 s0, s7, v54
	s_wait_alu 0xf1ff
	s_delay_alu instid0(VALU_DEP_1) | instskip(SKIP_2) | instid1(VALU_DEP_1)
	v_cndmask_b32_e64 v95, 0, v95, s0
	v_cmp_gt_i32_e64 s0, s7, v55
	s_wait_alu 0xf1ff
	v_cndmask_b32_e64 v4, 0, v4, s0
	v_cmp_gt_i32_e64 s0, s7, v52
	s_delay_alu instid0(VALU_DEP_2) | instskip(SKIP_1) | instid1(VALU_DEP_2)
	v_or_b32_e32 v4, v95, v4
	s_wait_alu 0xf1ff
	v_cndmask_b32_e64 v3, 0, v3, s0
	v_cmp_gt_i32_e64 s0, s7, v51
	s_wait_alu 0xf1ff
	s_delay_alu instid0(VALU_DEP_1)
	v_cndmask_b32_e64 v92, 0, v92, s0
.LBB116_75:                             ;   in Loop: Header=BB116_38 Depth=1
	s_wait_alu 0xfffe
	s_or_b32 exec_lo, exec_lo, s19
	v_lshlrev_b32_e32 v94, 16, v94
	v_lshlrev_b32_e32 v93, 16, v93
	;; [unrolled: 1-line block ×3, first 2 shown]
	s_delay_alu instid0(VALU_DEP_3) | instskip(NEXT) | instid1(VALU_DEP_3)
	v_and_or_b32 v1, 0xffff, v1, v94
	v_and_or_b32 v2, 0xffff, v2, v93
	s_delay_alu instid0(VALU_DEP_3)
	v_and_or_b32 v3, 0xffff, v3, v92
	;;#ASMSTART
	v_pk_mul_f16 v1, v45, v1;

	;;#ASMEND
	;;#ASMSTART
	v_pk_mul_f16 v2, v44, v2;

	;;#ASMEND
	;; [unrolled: 4-line block ×4, first 2 shown]
	;;#ASMSTART
	v_pk_add_f16 v1, v1, v2;

	;;#ASMEND
	;;#ASMSTART
	v_pk_add_f16 v1, v1, v3;

	;;#ASMEND
	;; [unrolled: 4-line block ×3, first 2 shown]
	v_and_b32_e32 v2, 0xffff, v1
	v_lshrrev_b32_e32 v1, 16, v1
	;;#ASMSTART
	v_cvt_f32_f16 v92, v2;
	;;#ASMEND
	;;#ASMSTART
	v_cvt_f32_f16 v93, v1;
	;;#ASMEND
	global_load_b128 v[1:4], v[5:6], off offset:9216
	s_wait_loadcnt 0x0
	v_lshrrev_b32_e32 v96, 16, v1
	v_lshrrev_b32_e32 v95, 16, v2
	;; [unrolled: 1-line block ×3, first 2 shown]
	s_and_saveexec_b32 s19, vcc_lo
	s_cbranch_execz .LBB116_77
; %bb.76:                               ;   in Loop: Header=BB116_38 Depth=1
	v_cmp_gt_i32_e64 s0, s7, v50
	v_and_b32_e32 v97, 0xffff, v4
	v_and_b32_e32 v4, 0xffff0000, v4
	s_wait_alu 0xf1ff
	s_delay_alu instid0(VALU_DEP_3) | instskip(SKIP_2) | instid1(VALU_DEP_1)
	v_cndmask_b32_e64 v1, 0, v1, s0
	v_cmp_gt_i32_e64 s0, s7, v57
	s_wait_alu 0xf1ff
	v_cndmask_b32_e64 v96, 0, v96, s0
	v_cmp_gt_i32_e64 s0, s7, v56
	s_wait_alu 0xf1ff
	s_delay_alu instid0(VALU_DEP_1) | instskip(SKIP_2) | instid1(VALU_DEP_1)
	v_cndmask_b32_e64 v2, 0, v2, s0
	v_cmp_gt_i32_e64 s0, s7, v53
	s_wait_alu 0xf1ff
	v_cndmask_b32_e64 v95, 0, v95, s0
	v_cmp_gt_i32_e64 s0, s7, v54
	s_wait_alu 0xf1ff
	s_delay_alu instid0(VALU_DEP_1) | instskip(SKIP_2) | instid1(VALU_DEP_1)
	v_cndmask_b32_e64 v97, 0, v97, s0
	v_cmp_gt_i32_e64 s0, s7, v55
	s_wait_alu 0xf1ff
	v_cndmask_b32_e64 v4, 0, v4, s0
	v_cmp_gt_i32_e64 s0, s7, v52
	s_delay_alu instid0(VALU_DEP_2) | instskip(SKIP_1) | instid1(VALU_DEP_2)
	v_or_b32_e32 v4, v97, v4
	s_wait_alu 0xf1ff
	v_cndmask_b32_e64 v3, 0, v3, s0
	v_cmp_gt_i32_e64 s0, s7, v51
	s_wait_alu 0xf1ff
	s_delay_alu instid0(VALU_DEP_1)
	v_cndmask_b32_e64 v94, 0, v94, s0
.LBB116_77:                             ;   in Loop: Header=BB116_38 Depth=1
	s_wait_alu 0xfffe
	s_or_b32 exec_lo, exec_lo, s19
	v_lshlrev_b32_e32 v96, 16, v96
	v_lshlrev_b32_e32 v95, 16, v95
	;; [unrolled: 1-line block ×3, first 2 shown]
	s_delay_alu instid0(VALU_DEP_3) | instskip(NEXT) | instid1(VALU_DEP_3)
	v_and_or_b32 v1, 0xffff, v1, v96
	v_and_or_b32 v2, 0xffff, v2, v95
	s_delay_alu instid0(VALU_DEP_3)
	v_and_or_b32 v3, 0xffff, v3, v94
	;;#ASMSTART
	v_pk_mul_f16 v1, v45, v1;

	;;#ASMEND
	;;#ASMSTART
	v_pk_mul_f16 v2, v44, v2;

	;;#ASMEND
	;; [unrolled: 4-line block ×4, first 2 shown]
	;;#ASMSTART
	v_pk_add_f16 v1, v1, v2;

	;;#ASMEND
	;;#ASMSTART
	v_pk_add_f16 v1, v1, v3;

	;;#ASMEND
	;; [unrolled: 4-line block ×3, first 2 shown]
	v_and_b32_e32 v2, 0xffff, v1
	v_lshrrev_b32_e32 v1, 16, v1
	;;#ASMSTART
	v_cvt_f32_f16 v94, v2;
	;;#ASMEND
	;;#ASMSTART
	v_cvt_f32_f16 v95, v1;
	;;#ASMEND
	global_load_b128 v[1:4], v[5:6], off offset:9728
	s_wait_loadcnt 0x0
	v_lshrrev_b32_e32 v98, 16, v1
	v_lshrrev_b32_e32 v97, 16, v2
	;; [unrolled: 1-line block ×3, first 2 shown]
	s_and_saveexec_b32 s19, vcc_lo
	s_cbranch_execz .LBB116_79
; %bb.78:                               ;   in Loop: Header=BB116_38 Depth=1
	v_cmp_gt_i32_e64 s0, s7, v50
	v_and_b32_e32 v99, 0xffff, v4
	v_and_b32_e32 v4, 0xffff0000, v4
	s_wait_alu 0xf1ff
	s_delay_alu instid0(VALU_DEP_3) | instskip(SKIP_2) | instid1(VALU_DEP_1)
	v_cndmask_b32_e64 v1, 0, v1, s0
	v_cmp_gt_i32_e64 s0, s7, v57
	s_wait_alu 0xf1ff
	v_cndmask_b32_e64 v98, 0, v98, s0
	v_cmp_gt_i32_e64 s0, s7, v56
	s_wait_alu 0xf1ff
	s_delay_alu instid0(VALU_DEP_1) | instskip(SKIP_2) | instid1(VALU_DEP_1)
	v_cndmask_b32_e64 v2, 0, v2, s0
	v_cmp_gt_i32_e64 s0, s7, v53
	s_wait_alu 0xf1ff
	v_cndmask_b32_e64 v97, 0, v97, s0
	v_cmp_gt_i32_e64 s0, s7, v54
	s_wait_alu 0xf1ff
	s_delay_alu instid0(VALU_DEP_1) | instskip(SKIP_2) | instid1(VALU_DEP_1)
	v_cndmask_b32_e64 v99, 0, v99, s0
	v_cmp_gt_i32_e64 s0, s7, v55
	s_wait_alu 0xf1ff
	v_cndmask_b32_e64 v4, 0, v4, s0
	v_cmp_gt_i32_e64 s0, s7, v52
	s_delay_alu instid0(VALU_DEP_2) | instskip(SKIP_1) | instid1(VALU_DEP_2)
	v_or_b32_e32 v4, v99, v4
	s_wait_alu 0xf1ff
	v_cndmask_b32_e64 v3, 0, v3, s0
	v_cmp_gt_i32_e64 s0, s7, v51
	s_wait_alu 0xf1ff
	s_delay_alu instid0(VALU_DEP_1)
	v_cndmask_b32_e64 v96, 0, v96, s0
.LBB116_79:                             ;   in Loop: Header=BB116_38 Depth=1
	s_wait_alu 0xfffe
	s_or_b32 exec_lo, exec_lo, s19
	v_lshlrev_b32_e32 v98, 16, v98
	v_lshlrev_b32_e32 v97, 16, v97
	;; [unrolled: 1-line block ×3, first 2 shown]
	s_delay_alu instid0(VALU_DEP_3) | instskip(NEXT) | instid1(VALU_DEP_3)
	v_and_or_b32 v1, 0xffff, v1, v98
	v_and_or_b32 v2, 0xffff, v2, v97
	s_delay_alu instid0(VALU_DEP_3)
	v_and_or_b32 v3, 0xffff, v3, v96
	;;#ASMSTART
	v_pk_mul_f16 v1, v45, v1;

	;;#ASMEND
	;;#ASMSTART
	v_pk_mul_f16 v2, v44, v2;

	;;#ASMEND
	;; [unrolled: 4-line block ×4, first 2 shown]
	;;#ASMSTART
	v_pk_add_f16 v1, v1, v2;

	;;#ASMEND
	;;#ASMSTART
	v_pk_add_f16 v1, v1, v3;

	;;#ASMEND
	;; [unrolled: 4-line block ×3, first 2 shown]
	v_and_b32_e32 v2, 0xffff, v1
	v_lshrrev_b32_e32 v1, 16, v1
	;;#ASMSTART
	v_cvt_f32_f16 v96, v2;
	;;#ASMEND
	;;#ASMSTART
	v_cvt_f32_f16 v97, v1;
	;;#ASMEND
	global_load_b128 v[1:4], v[5:6], off offset:10240
	s_wait_loadcnt 0x0
	v_lshrrev_b32_e32 v100, 16, v1
	v_lshrrev_b32_e32 v99, 16, v2
	;; [unrolled: 1-line block ×3, first 2 shown]
	s_and_saveexec_b32 s19, vcc_lo
	s_cbranch_execz .LBB116_81
; %bb.80:                               ;   in Loop: Header=BB116_38 Depth=1
	v_cmp_gt_i32_e64 s0, s7, v50
	v_and_b32_e32 v101, 0xffff, v4
	v_and_b32_e32 v4, 0xffff0000, v4
	s_wait_alu 0xf1ff
	s_delay_alu instid0(VALU_DEP_3) | instskip(SKIP_2) | instid1(VALU_DEP_1)
	v_cndmask_b32_e64 v1, 0, v1, s0
	v_cmp_gt_i32_e64 s0, s7, v57
	s_wait_alu 0xf1ff
	v_cndmask_b32_e64 v100, 0, v100, s0
	v_cmp_gt_i32_e64 s0, s7, v56
	s_wait_alu 0xf1ff
	s_delay_alu instid0(VALU_DEP_1) | instskip(SKIP_2) | instid1(VALU_DEP_1)
	v_cndmask_b32_e64 v2, 0, v2, s0
	v_cmp_gt_i32_e64 s0, s7, v53
	s_wait_alu 0xf1ff
	v_cndmask_b32_e64 v99, 0, v99, s0
	v_cmp_gt_i32_e64 s0, s7, v54
	s_wait_alu 0xf1ff
	s_delay_alu instid0(VALU_DEP_1) | instskip(SKIP_2) | instid1(VALU_DEP_1)
	v_cndmask_b32_e64 v101, 0, v101, s0
	v_cmp_gt_i32_e64 s0, s7, v55
	s_wait_alu 0xf1ff
	v_cndmask_b32_e64 v4, 0, v4, s0
	v_cmp_gt_i32_e64 s0, s7, v52
	s_delay_alu instid0(VALU_DEP_2) | instskip(SKIP_1) | instid1(VALU_DEP_2)
	v_or_b32_e32 v4, v101, v4
	s_wait_alu 0xf1ff
	v_cndmask_b32_e64 v3, 0, v3, s0
	v_cmp_gt_i32_e64 s0, s7, v51
	s_wait_alu 0xf1ff
	s_delay_alu instid0(VALU_DEP_1)
	v_cndmask_b32_e64 v98, 0, v98, s0
.LBB116_81:                             ;   in Loop: Header=BB116_38 Depth=1
	s_wait_alu 0xfffe
	s_or_b32 exec_lo, exec_lo, s19
	v_lshlrev_b32_e32 v100, 16, v100
	v_lshlrev_b32_e32 v99, 16, v99
	;; [unrolled: 1-line block ×3, first 2 shown]
	s_delay_alu instid0(VALU_DEP_3) | instskip(NEXT) | instid1(VALU_DEP_3)
	v_and_or_b32 v1, 0xffff, v1, v100
	v_and_or_b32 v2, 0xffff, v2, v99
	s_delay_alu instid0(VALU_DEP_3)
	v_and_or_b32 v3, 0xffff, v3, v98
	;;#ASMSTART
	v_pk_mul_f16 v1, v45, v1;

	;;#ASMEND
	;;#ASMSTART
	v_pk_mul_f16 v2, v44, v2;

	;;#ASMEND
	;; [unrolled: 4-line block ×4, first 2 shown]
	;;#ASMSTART
	v_pk_add_f16 v1, v1, v2;

	;;#ASMEND
	;;#ASMSTART
	v_pk_add_f16 v1, v1, v3;

	;;#ASMEND
	;; [unrolled: 4-line block ×3, first 2 shown]
	v_and_b32_e32 v2, 0xffff, v1
	v_lshrrev_b32_e32 v1, 16, v1
	;;#ASMSTART
	v_cvt_f32_f16 v98, v2;
	;;#ASMEND
	;;#ASMSTART
	v_cvt_f32_f16 v99, v1;
	;;#ASMEND
	global_load_b128 v[1:4], v[5:6], off offset:10752
	s_wait_loadcnt 0x0
	v_lshrrev_b32_e32 v102, 16, v1
	v_lshrrev_b32_e32 v101, 16, v2
	;; [unrolled: 1-line block ×3, first 2 shown]
	s_and_saveexec_b32 s19, vcc_lo
	s_cbranch_execz .LBB116_83
; %bb.82:                               ;   in Loop: Header=BB116_38 Depth=1
	v_cmp_gt_i32_e64 s0, s7, v50
	v_and_b32_e32 v103, 0xffff, v4
	v_and_b32_e32 v4, 0xffff0000, v4
	s_wait_alu 0xf1ff
	s_delay_alu instid0(VALU_DEP_3) | instskip(SKIP_2) | instid1(VALU_DEP_1)
	v_cndmask_b32_e64 v1, 0, v1, s0
	v_cmp_gt_i32_e64 s0, s7, v57
	s_wait_alu 0xf1ff
	v_cndmask_b32_e64 v102, 0, v102, s0
	v_cmp_gt_i32_e64 s0, s7, v56
	s_wait_alu 0xf1ff
	s_delay_alu instid0(VALU_DEP_1) | instskip(SKIP_2) | instid1(VALU_DEP_1)
	v_cndmask_b32_e64 v2, 0, v2, s0
	v_cmp_gt_i32_e64 s0, s7, v53
	s_wait_alu 0xf1ff
	v_cndmask_b32_e64 v101, 0, v101, s0
	v_cmp_gt_i32_e64 s0, s7, v54
	s_wait_alu 0xf1ff
	s_delay_alu instid0(VALU_DEP_1) | instskip(SKIP_2) | instid1(VALU_DEP_1)
	v_cndmask_b32_e64 v103, 0, v103, s0
	v_cmp_gt_i32_e64 s0, s7, v55
	s_wait_alu 0xf1ff
	v_cndmask_b32_e64 v4, 0, v4, s0
	v_cmp_gt_i32_e64 s0, s7, v52
	s_delay_alu instid0(VALU_DEP_2) | instskip(SKIP_1) | instid1(VALU_DEP_2)
	v_or_b32_e32 v4, v103, v4
	s_wait_alu 0xf1ff
	v_cndmask_b32_e64 v3, 0, v3, s0
	v_cmp_gt_i32_e64 s0, s7, v51
	s_wait_alu 0xf1ff
	s_delay_alu instid0(VALU_DEP_1)
	v_cndmask_b32_e64 v100, 0, v100, s0
.LBB116_83:                             ;   in Loop: Header=BB116_38 Depth=1
	s_wait_alu 0xfffe
	s_or_b32 exec_lo, exec_lo, s19
	v_lshlrev_b32_e32 v102, 16, v102
	v_lshlrev_b32_e32 v101, 16, v101
	;; [unrolled: 1-line block ×3, first 2 shown]
	s_delay_alu instid0(VALU_DEP_3) | instskip(NEXT) | instid1(VALU_DEP_3)
	v_and_or_b32 v1, 0xffff, v1, v102
	v_and_or_b32 v2, 0xffff, v2, v101
	s_delay_alu instid0(VALU_DEP_3)
	v_and_or_b32 v3, 0xffff, v3, v100
	;;#ASMSTART
	v_pk_mul_f16 v1, v45, v1;

	;;#ASMEND
	;;#ASMSTART
	v_pk_mul_f16 v2, v44, v2;

	;;#ASMEND
	;; [unrolled: 4-line block ×4, first 2 shown]
	;;#ASMSTART
	v_pk_add_f16 v1, v1, v2;

	;;#ASMEND
	;;#ASMSTART
	v_pk_add_f16 v1, v1, v3;

	;;#ASMEND
	;; [unrolled: 4-line block ×3, first 2 shown]
	v_and_b32_e32 v2, 0xffff, v1
	v_lshrrev_b32_e32 v1, 16, v1
	;;#ASMSTART
	v_cvt_f32_f16 v100, v2;
	;;#ASMEND
	;;#ASMSTART
	v_cvt_f32_f16 v101, v1;
	;;#ASMEND
	global_load_b128 v[1:4], v[5:6], off offset:11264
	s_wait_loadcnt 0x0
	v_lshrrev_b32_e32 v104, 16, v1
	v_lshrrev_b32_e32 v103, 16, v2
	;; [unrolled: 1-line block ×3, first 2 shown]
	s_and_saveexec_b32 s19, vcc_lo
	s_cbranch_execz .LBB116_85
; %bb.84:                               ;   in Loop: Header=BB116_38 Depth=1
	v_cmp_gt_i32_e64 s0, s7, v50
	v_and_b32_e32 v105, 0xffff, v4
	v_and_b32_e32 v4, 0xffff0000, v4
	s_wait_alu 0xf1ff
	s_delay_alu instid0(VALU_DEP_3) | instskip(SKIP_2) | instid1(VALU_DEP_1)
	v_cndmask_b32_e64 v1, 0, v1, s0
	v_cmp_gt_i32_e64 s0, s7, v57
	s_wait_alu 0xf1ff
	v_cndmask_b32_e64 v104, 0, v104, s0
	v_cmp_gt_i32_e64 s0, s7, v56
	s_wait_alu 0xf1ff
	s_delay_alu instid0(VALU_DEP_1) | instskip(SKIP_2) | instid1(VALU_DEP_1)
	v_cndmask_b32_e64 v2, 0, v2, s0
	v_cmp_gt_i32_e64 s0, s7, v53
	s_wait_alu 0xf1ff
	v_cndmask_b32_e64 v103, 0, v103, s0
	v_cmp_gt_i32_e64 s0, s7, v54
	s_wait_alu 0xf1ff
	s_delay_alu instid0(VALU_DEP_1) | instskip(SKIP_2) | instid1(VALU_DEP_1)
	v_cndmask_b32_e64 v105, 0, v105, s0
	v_cmp_gt_i32_e64 s0, s7, v55
	s_wait_alu 0xf1ff
	v_cndmask_b32_e64 v4, 0, v4, s0
	v_cmp_gt_i32_e64 s0, s7, v52
	s_delay_alu instid0(VALU_DEP_2) | instskip(SKIP_1) | instid1(VALU_DEP_2)
	v_or_b32_e32 v4, v105, v4
	s_wait_alu 0xf1ff
	v_cndmask_b32_e64 v3, 0, v3, s0
	v_cmp_gt_i32_e64 s0, s7, v51
	s_wait_alu 0xf1ff
	s_delay_alu instid0(VALU_DEP_1)
	v_cndmask_b32_e64 v102, 0, v102, s0
.LBB116_85:                             ;   in Loop: Header=BB116_38 Depth=1
	s_wait_alu 0xfffe
	s_or_b32 exec_lo, exec_lo, s19
	v_lshlrev_b32_e32 v104, 16, v104
	v_lshlrev_b32_e32 v103, 16, v103
	;; [unrolled: 1-line block ×3, first 2 shown]
	s_delay_alu instid0(VALU_DEP_3) | instskip(NEXT) | instid1(VALU_DEP_3)
	v_and_or_b32 v1, 0xffff, v1, v104
	v_and_or_b32 v2, 0xffff, v2, v103
	s_delay_alu instid0(VALU_DEP_3)
	v_and_or_b32 v3, 0xffff, v3, v102
	;;#ASMSTART
	v_pk_mul_f16 v1, v45, v1;

	;;#ASMEND
	;;#ASMSTART
	v_pk_mul_f16 v2, v44, v2;

	;;#ASMEND
	;; [unrolled: 4-line block ×4, first 2 shown]
	;;#ASMSTART
	v_pk_add_f16 v1, v1, v2;

	;;#ASMEND
	;;#ASMSTART
	v_pk_add_f16 v1, v1, v3;

	;;#ASMEND
	;;#ASMSTART
	v_pk_add_f16 v1, v1, v4;

	;;#ASMEND
	v_and_b32_e32 v2, 0xffff, v1
	v_lshrrev_b32_e32 v1, 16, v1
	;;#ASMSTART
	v_cvt_f32_f16 v102, v2;
	;;#ASMEND
	;;#ASMSTART
	v_cvt_f32_f16 v103, v1;
	;;#ASMEND
	global_load_b128 v[1:4], v[5:6], off offset:11776
	s_wait_loadcnt 0x0
	v_lshrrev_b32_e32 v106, 16, v1
	v_lshrrev_b32_e32 v105, 16, v2
	;; [unrolled: 1-line block ×3, first 2 shown]
	s_and_saveexec_b32 s19, vcc_lo
	s_cbranch_execz .LBB116_87
; %bb.86:                               ;   in Loop: Header=BB116_38 Depth=1
	v_cmp_gt_i32_e64 s0, s7, v50
	v_and_b32_e32 v107, 0xffff, v4
	v_and_b32_e32 v4, 0xffff0000, v4
	s_wait_alu 0xf1ff
	s_delay_alu instid0(VALU_DEP_3) | instskip(SKIP_2) | instid1(VALU_DEP_1)
	v_cndmask_b32_e64 v1, 0, v1, s0
	v_cmp_gt_i32_e64 s0, s7, v57
	s_wait_alu 0xf1ff
	v_cndmask_b32_e64 v106, 0, v106, s0
	v_cmp_gt_i32_e64 s0, s7, v56
	s_wait_alu 0xf1ff
	s_delay_alu instid0(VALU_DEP_1) | instskip(SKIP_2) | instid1(VALU_DEP_1)
	v_cndmask_b32_e64 v2, 0, v2, s0
	v_cmp_gt_i32_e64 s0, s7, v53
	s_wait_alu 0xf1ff
	v_cndmask_b32_e64 v105, 0, v105, s0
	v_cmp_gt_i32_e64 s0, s7, v54
	s_wait_alu 0xf1ff
	s_delay_alu instid0(VALU_DEP_1) | instskip(SKIP_2) | instid1(VALU_DEP_1)
	v_cndmask_b32_e64 v107, 0, v107, s0
	v_cmp_gt_i32_e64 s0, s7, v55
	s_wait_alu 0xf1ff
	v_cndmask_b32_e64 v4, 0, v4, s0
	v_cmp_gt_i32_e64 s0, s7, v52
	s_delay_alu instid0(VALU_DEP_2) | instskip(SKIP_1) | instid1(VALU_DEP_2)
	v_or_b32_e32 v4, v107, v4
	s_wait_alu 0xf1ff
	v_cndmask_b32_e64 v3, 0, v3, s0
	v_cmp_gt_i32_e64 s0, s7, v51
	s_wait_alu 0xf1ff
	s_delay_alu instid0(VALU_DEP_1)
	v_cndmask_b32_e64 v104, 0, v104, s0
.LBB116_87:                             ;   in Loop: Header=BB116_38 Depth=1
	s_wait_alu 0xfffe
	s_or_b32 exec_lo, exec_lo, s19
	v_lshlrev_b32_e32 v106, 16, v106
	v_lshlrev_b32_e32 v105, 16, v105
	;; [unrolled: 1-line block ×3, first 2 shown]
	s_delay_alu instid0(VALU_DEP_3) | instskip(NEXT) | instid1(VALU_DEP_3)
	v_and_or_b32 v1, 0xffff, v1, v106
	v_and_or_b32 v2, 0xffff, v2, v105
	s_delay_alu instid0(VALU_DEP_3)
	v_and_or_b32 v3, 0xffff, v3, v104
	;;#ASMSTART
	v_pk_mul_f16 v1, v45, v1;

	;;#ASMEND
	;;#ASMSTART
	v_pk_mul_f16 v2, v44, v2;

	;;#ASMEND
	;; [unrolled: 4-line block ×4, first 2 shown]
	;;#ASMSTART
	v_pk_add_f16 v1, v1, v2;

	;;#ASMEND
	;;#ASMSTART
	v_pk_add_f16 v1, v1, v3;

	;;#ASMEND
	;; [unrolled: 4-line block ×3, first 2 shown]
	v_and_b32_e32 v2, 0xffff, v1
	v_lshrrev_b32_e32 v1, 16, v1
	;;#ASMSTART
	v_cvt_f32_f16 v104, v2;
	;;#ASMEND
	;;#ASMSTART
	v_cvt_f32_f16 v105, v1;
	;;#ASMEND
	global_load_b128 v[1:4], v[5:6], off offset:12288
	s_wait_loadcnt 0x0
	v_lshrrev_b32_e32 v108, 16, v1
	v_lshrrev_b32_e32 v107, 16, v2
	;; [unrolled: 1-line block ×3, first 2 shown]
	s_and_saveexec_b32 s19, vcc_lo
	s_cbranch_execz .LBB116_89
; %bb.88:                               ;   in Loop: Header=BB116_38 Depth=1
	v_cmp_gt_i32_e64 s0, s7, v50
	v_and_b32_e32 v109, 0xffff, v4
	v_and_b32_e32 v4, 0xffff0000, v4
	s_wait_alu 0xf1ff
	s_delay_alu instid0(VALU_DEP_3) | instskip(SKIP_2) | instid1(VALU_DEP_1)
	v_cndmask_b32_e64 v1, 0, v1, s0
	v_cmp_gt_i32_e64 s0, s7, v57
	s_wait_alu 0xf1ff
	v_cndmask_b32_e64 v108, 0, v108, s0
	v_cmp_gt_i32_e64 s0, s7, v56
	s_wait_alu 0xf1ff
	s_delay_alu instid0(VALU_DEP_1) | instskip(SKIP_2) | instid1(VALU_DEP_1)
	v_cndmask_b32_e64 v2, 0, v2, s0
	v_cmp_gt_i32_e64 s0, s7, v53
	s_wait_alu 0xf1ff
	v_cndmask_b32_e64 v107, 0, v107, s0
	v_cmp_gt_i32_e64 s0, s7, v54
	s_wait_alu 0xf1ff
	s_delay_alu instid0(VALU_DEP_1) | instskip(SKIP_2) | instid1(VALU_DEP_1)
	v_cndmask_b32_e64 v109, 0, v109, s0
	v_cmp_gt_i32_e64 s0, s7, v55
	s_wait_alu 0xf1ff
	v_cndmask_b32_e64 v4, 0, v4, s0
	v_cmp_gt_i32_e64 s0, s7, v52
	s_delay_alu instid0(VALU_DEP_2) | instskip(SKIP_1) | instid1(VALU_DEP_2)
	v_or_b32_e32 v4, v109, v4
	s_wait_alu 0xf1ff
	v_cndmask_b32_e64 v3, 0, v3, s0
	v_cmp_gt_i32_e64 s0, s7, v51
	s_wait_alu 0xf1ff
	s_delay_alu instid0(VALU_DEP_1)
	v_cndmask_b32_e64 v106, 0, v106, s0
.LBB116_89:                             ;   in Loop: Header=BB116_38 Depth=1
	s_wait_alu 0xfffe
	s_or_b32 exec_lo, exec_lo, s19
	v_lshlrev_b32_e32 v108, 16, v108
	v_lshlrev_b32_e32 v107, 16, v107
	;; [unrolled: 1-line block ×3, first 2 shown]
	s_delay_alu instid0(VALU_DEP_3) | instskip(NEXT) | instid1(VALU_DEP_3)
	v_and_or_b32 v1, 0xffff, v1, v108
	v_and_or_b32 v2, 0xffff, v2, v107
	s_delay_alu instid0(VALU_DEP_3)
	v_and_or_b32 v3, 0xffff, v3, v106
	;;#ASMSTART
	v_pk_mul_f16 v1, v45, v1;

	;;#ASMEND
	;;#ASMSTART
	v_pk_mul_f16 v2, v44, v2;

	;;#ASMEND
	;; [unrolled: 4-line block ×4, first 2 shown]
	;;#ASMSTART
	v_pk_add_f16 v1, v1, v2;

	;;#ASMEND
	;;#ASMSTART
	v_pk_add_f16 v1, v1, v3;

	;;#ASMEND
	;; [unrolled: 4-line block ×3, first 2 shown]
	v_and_b32_e32 v2, 0xffff, v1
	v_lshrrev_b32_e32 v1, 16, v1
	;;#ASMSTART
	v_cvt_f32_f16 v106, v2;
	;;#ASMEND
	;;#ASMSTART
	v_cvt_f32_f16 v107, v1;
	;;#ASMEND
	global_load_b128 v[1:4], v[5:6], off offset:12800
	s_wait_loadcnt 0x0
	v_lshrrev_b32_e32 v110, 16, v1
	v_lshrrev_b32_e32 v109, 16, v2
	;; [unrolled: 1-line block ×3, first 2 shown]
	s_and_saveexec_b32 s19, vcc_lo
	s_cbranch_execz .LBB116_91
; %bb.90:                               ;   in Loop: Header=BB116_38 Depth=1
	v_cmp_gt_i32_e64 s0, s7, v50
	v_and_b32_e32 v111, 0xffff, v4
	v_and_b32_e32 v4, 0xffff0000, v4
	s_wait_alu 0xf1ff
	s_delay_alu instid0(VALU_DEP_3) | instskip(SKIP_2) | instid1(VALU_DEP_1)
	v_cndmask_b32_e64 v1, 0, v1, s0
	v_cmp_gt_i32_e64 s0, s7, v57
	s_wait_alu 0xf1ff
	v_cndmask_b32_e64 v110, 0, v110, s0
	v_cmp_gt_i32_e64 s0, s7, v56
	s_wait_alu 0xf1ff
	s_delay_alu instid0(VALU_DEP_1) | instskip(SKIP_2) | instid1(VALU_DEP_1)
	v_cndmask_b32_e64 v2, 0, v2, s0
	v_cmp_gt_i32_e64 s0, s7, v53
	s_wait_alu 0xf1ff
	v_cndmask_b32_e64 v109, 0, v109, s0
	v_cmp_gt_i32_e64 s0, s7, v54
	s_wait_alu 0xf1ff
	s_delay_alu instid0(VALU_DEP_1) | instskip(SKIP_2) | instid1(VALU_DEP_1)
	v_cndmask_b32_e64 v111, 0, v111, s0
	v_cmp_gt_i32_e64 s0, s7, v55
	s_wait_alu 0xf1ff
	v_cndmask_b32_e64 v4, 0, v4, s0
	v_cmp_gt_i32_e64 s0, s7, v52
	s_delay_alu instid0(VALU_DEP_2) | instskip(SKIP_1) | instid1(VALU_DEP_2)
	v_or_b32_e32 v4, v111, v4
	s_wait_alu 0xf1ff
	v_cndmask_b32_e64 v3, 0, v3, s0
	v_cmp_gt_i32_e64 s0, s7, v51
	s_wait_alu 0xf1ff
	s_delay_alu instid0(VALU_DEP_1)
	v_cndmask_b32_e64 v108, 0, v108, s0
.LBB116_91:                             ;   in Loop: Header=BB116_38 Depth=1
	s_wait_alu 0xfffe
	s_or_b32 exec_lo, exec_lo, s19
	v_lshlrev_b32_e32 v110, 16, v110
	v_lshlrev_b32_e32 v109, 16, v109
	;; [unrolled: 1-line block ×3, first 2 shown]
	s_delay_alu instid0(VALU_DEP_3) | instskip(NEXT) | instid1(VALU_DEP_3)
	v_and_or_b32 v1, 0xffff, v1, v110
	v_and_or_b32 v2, 0xffff, v2, v109
	s_delay_alu instid0(VALU_DEP_3)
	v_and_or_b32 v3, 0xffff, v3, v108
	;;#ASMSTART
	v_pk_mul_f16 v1, v45, v1;

	;;#ASMEND
	;;#ASMSTART
	v_pk_mul_f16 v2, v44, v2;

	;;#ASMEND
	;; [unrolled: 4-line block ×4, first 2 shown]
	;;#ASMSTART
	v_pk_add_f16 v1, v1, v2;

	;;#ASMEND
	;;#ASMSTART
	v_pk_add_f16 v1, v1, v3;

	;;#ASMEND
	;;#ASMSTART
	v_pk_add_f16 v1, v1, v4;

	;;#ASMEND
	v_and_b32_e32 v2, 0xffff, v1
	v_lshrrev_b32_e32 v1, 16, v1
	;;#ASMSTART
	v_cvt_f32_f16 v108, v2;
	;;#ASMEND
	;;#ASMSTART
	v_cvt_f32_f16 v109, v1;
	;;#ASMEND
	global_load_b128 v[1:4], v[5:6], off offset:13312
	s_wait_loadcnt 0x0
	v_lshrrev_b32_e32 v112, 16, v1
	v_lshrrev_b32_e32 v111, 16, v2
	;; [unrolled: 1-line block ×3, first 2 shown]
	s_and_saveexec_b32 s19, vcc_lo
	s_cbranch_execz .LBB116_93
; %bb.92:                               ;   in Loop: Header=BB116_38 Depth=1
	v_cmp_gt_i32_e64 s0, s7, v50
	v_and_b32_e32 v113, 0xffff, v4
	v_and_b32_e32 v4, 0xffff0000, v4
	s_wait_alu 0xf1ff
	s_delay_alu instid0(VALU_DEP_3) | instskip(SKIP_2) | instid1(VALU_DEP_1)
	v_cndmask_b32_e64 v1, 0, v1, s0
	v_cmp_gt_i32_e64 s0, s7, v57
	s_wait_alu 0xf1ff
	v_cndmask_b32_e64 v112, 0, v112, s0
	v_cmp_gt_i32_e64 s0, s7, v56
	s_wait_alu 0xf1ff
	s_delay_alu instid0(VALU_DEP_1) | instskip(SKIP_2) | instid1(VALU_DEP_1)
	v_cndmask_b32_e64 v2, 0, v2, s0
	v_cmp_gt_i32_e64 s0, s7, v53
	s_wait_alu 0xf1ff
	v_cndmask_b32_e64 v111, 0, v111, s0
	v_cmp_gt_i32_e64 s0, s7, v54
	s_wait_alu 0xf1ff
	s_delay_alu instid0(VALU_DEP_1) | instskip(SKIP_2) | instid1(VALU_DEP_1)
	v_cndmask_b32_e64 v113, 0, v113, s0
	v_cmp_gt_i32_e64 s0, s7, v55
	s_wait_alu 0xf1ff
	v_cndmask_b32_e64 v4, 0, v4, s0
	v_cmp_gt_i32_e64 s0, s7, v52
	s_delay_alu instid0(VALU_DEP_2) | instskip(SKIP_1) | instid1(VALU_DEP_2)
	v_or_b32_e32 v4, v113, v4
	s_wait_alu 0xf1ff
	v_cndmask_b32_e64 v3, 0, v3, s0
	v_cmp_gt_i32_e64 s0, s7, v51
	s_wait_alu 0xf1ff
	s_delay_alu instid0(VALU_DEP_1)
	v_cndmask_b32_e64 v110, 0, v110, s0
.LBB116_93:                             ;   in Loop: Header=BB116_38 Depth=1
	s_wait_alu 0xfffe
	s_or_b32 exec_lo, exec_lo, s19
	v_lshlrev_b32_e32 v112, 16, v112
	v_lshlrev_b32_e32 v111, 16, v111
	;; [unrolled: 1-line block ×3, first 2 shown]
	s_delay_alu instid0(VALU_DEP_3) | instskip(NEXT) | instid1(VALU_DEP_3)
	v_and_or_b32 v1, 0xffff, v1, v112
	v_and_or_b32 v2, 0xffff, v2, v111
	s_delay_alu instid0(VALU_DEP_3)
	v_and_or_b32 v3, 0xffff, v3, v110
	;;#ASMSTART
	v_pk_mul_f16 v1, v45, v1;

	;;#ASMEND
	;;#ASMSTART
	v_pk_mul_f16 v2, v44, v2;

	;;#ASMEND
	;; [unrolled: 4-line block ×4, first 2 shown]
	;;#ASMSTART
	v_pk_add_f16 v1, v1, v2;

	;;#ASMEND
	;;#ASMSTART
	v_pk_add_f16 v1, v1, v3;

	;;#ASMEND
	;; [unrolled: 4-line block ×3, first 2 shown]
	v_and_b32_e32 v2, 0xffff, v1
	v_lshrrev_b32_e32 v1, 16, v1
	;;#ASMSTART
	v_cvt_f32_f16 v110, v2;
	;;#ASMEND
	;;#ASMSTART
	v_cvt_f32_f16 v111, v1;
	;;#ASMEND
	global_load_b128 v[1:4], v[5:6], off offset:13824
	s_wait_loadcnt 0x0
	v_lshrrev_b32_e32 v114, 16, v1
	v_lshrrev_b32_e32 v113, 16, v2
	;; [unrolled: 1-line block ×3, first 2 shown]
	s_and_saveexec_b32 s19, vcc_lo
	s_cbranch_execz .LBB116_95
; %bb.94:                               ;   in Loop: Header=BB116_38 Depth=1
	v_cmp_gt_i32_e64 s0, s7, v50
	v_and_b32_e32 v115, 0xffff, v4
	v_and_b32_e32 v4, 0xffff0000, v4
	s_wait_alu 0xf1ff
	s_delay_alu instid0(VALU_DEP_3) | instskip(SKIP_2) | instid1(VALU_DEP_1)
	v_cndmask_b32_e64 v1, 0, v1, s0
	v_cmp_gt_i32_e64 s0, s7, v57
	s_wait_alu 0xf1ff
	v_cndmask_b32_e64 v114, 0, v114, s0
	v_cmp_gt_i32_e64 s0, s7, v56
	s_wait_alu 0xf1ff
	s_delay_alu instid0(VALU_DEP_1) | instskip(SKIP_2) | instid1(VALU_DEP_1)
	v_cndmask_b32_e64 v2, 0, v2, s0
	v_cmp_gt_i32_e64 s0, s7, v53
	s_wait_alu 0xf1ff
	v_cndmask_b32_e64 v113, 0, v113, s0
	v_cmp_gt_i32_e64 s0, s7, v54
	s_wait_alu 0xf1ff
	s_delay_alu instid0(VALU_DEP_1) | instskip(SKIP_2) | instid1(VALU_DEP_1)
	v_cndmask_b32_e64 v115, 0, v115, s0
	v_cmp_gt_i32_e64 s0, s7, v55
	s_wait_alu 0xf1ff
	v_cndmask_b32_e64 v4, 0, v4, s0
	v_cmp_gt_i32_e64 s0, s7, v52
	s_delay_alu instid0(VALU_DEP_2) | instskip(SKIP_1) | instid1(VALU_DEP_2)
	v_or_b32_e32 v4, v115, v4
	s_wait_alu 0xf1ff
	v_cndmask_b32_e64 v3, 0, v3, s0
	v_cmp_gt_i32_e64 s0, s7, v51
	s_wait_alu 0xf1ff
	s_delay_alu instid0(VALU_DEP_1)
	v_cndmask_b32_e64 v112, 0, v112, s0
.LBB116_95:                             ;   in Loop: Header=BB116_38 Depth=1
	s_wait_alu 0xfffe
	s_or_b32 exec_lo, exec_lo, s19
	v_lshlrev_b32_e32 v114, 16, v114
	v_lshlrev_b32_e32 v113, 16, v113
	;; [unrolled: 1-line block ×3, first 2 shown]
	s_delay_alu instid0(VALU_DEP_3) | instskip(NEXT) | instid1(VALU_DEP_3)
	v_and_or_b32 v1, 0xffff, v1, v114
	v_and_or_b32 v2, 0xffff, v2, v113
	s_delay_alu instid0(VALU_DEP_3)
	v_and_or_b32 v3, 0xffff, v3, v112
	;;#ASMSTART
	v_pk_mul_f16 v1, v45, v1;

	;;#ASMEND
	;;#ASMSTART
	v_pk_mul_f16 v2, v44, v2;

	;;#ASMEND
	;; [unrolled: 4-line block ×4, first 2 shown]
	;;#ASMSTART
	v_pk_add_f16 v1, v1, v2;

	;;#ASMEND
	;;#ASMSTART
	v_pk_add_f16 v1, v1, v3;

	;;#ASMEND
	;; [unrolled: 4-line block ×3, first 2 shown]
	v_and_b32_e32 v2, 0xffff, v1
	v_lshrrev_b32_e32 v1, 16, v1
	;;#ASMSTART
	v_cvt_f32_f16 v112, v2;
	;;#ASMEND
	;;#ASMSTART
	v_cvt_f32_f16 v113, v1;
	;;#ASMEND
	global_load_b128 v[1:4], v[5:6], off offset:14336
	s_wait_loadcnt 0x0
	v_lshrrev_b32_e32 v116, 16, v1
	v_lshrrev_b32_e32 v115, 16, v2
	;; [unrolled: 1-line block ×3, first 2 shown]
	s_and_saveexec_b32 s19, vcc_lo
	s_cbranch_execz .LBB116_97
; %bb.96:                               ;   in Loop: Header=BB116_38 Depth=1
	v_cmp_gt_i32_e64 s0, s7, v50
	v_and_b32_e32 v117, 0xffff, v4
	v_and_b32_e32 v4, 0xffff0000, v4
	s_wait_alu 0xf1ff
	s_delay_alu instid0(VALU_DEP_3) | instskip(SKIP_2) | instid1(VALU_DEP_1)
	v_cndmask_b32_e64 v1, 0, v1, s0
	v_cmp_gt_i32_e64 s0, s7, v57
	s_wait_alu 0xf1ff
	v_cndmask_b32_e64 v116, 0, v116, s0
	v_cmp_gt_i32_e64 s0, s7, v56
	s_wait_alu 0xf1ff
	s_delay_alu instid0(VALU_DEP_1) | instskip(SKIP_2) | instid1(VALU_DEP_1)
	v_cndmask_b32_e64 v2, 0, v2, s0
	v_cmp_gt_i32_e64 s0, s7, v53
	s_wait_alu 0xf1ff
	v_cndmask_b32_e64 v115, 0, v115, s0
	v_cmp_gt_i32_e64 s0, s7, v54
	s_wait_alu 0xf1ff
	s_delay_alu instid0(VALU_DEP_1) | instskip(SKIP_2) | instid1(VALU_DEP_1)
	v_cndmask_b32_e64 v117, 0, v117, s0
	v_cmp_gt_i32_e64 s0, s7, v55
	s_wait_alu 0xf1ff
	v_cndmask_b32_e64 v4, 0, v4, s0
	v_cmp_gt_i32_e64 s0, s7, v52
	s_delay_alu instid0(VALU_DEP_2) | instskip(SKIP_1) | instid1(VALU_DEP_2)
	v_or_b32_e32 v4, v117, v4
	s_wait_alu 0xf1ff
	v_cndmask_b32_e64 v3, 0, v3, s0
	v_cmp_gt_i32_e64 s0, s7, v51
	s_wait_alu 0xf1ff
	s_delay_alu instid0(VALU_DEP_1)
	v_cndmask_b32_e64 v114, 0, v114, s0
.LBB116_97:                             ;   in Loop: Header=BB116_38 Depth=1
	s_wait_alu 0xfffe
	s_or_b32 exec_lo, exec_lo, s19
	v_lshlrev_b32_e32 v116, 16, v116
	v_lshlrev_b32_e32 v115, 16, v115
	;; [unrolled: 1-line block ×3, first 2 shown]
	s_delay_alu instid0(VALU_DEP_3) | instskip(NEXT) | instid1(VALU_DEP_3)
	v_and_or_b32 v1, 0xffff, v1, v116
	v_and_or_b32 v2, 0xffff, v2, v115
	s_delay_alu instid0(VALU_DEP_3)
	v_and_or_b32 v3, 0xffff, v3, v114
	;;#ASMSTART
	v_pk_mul_f16 v1, v45, v1;

	;;#ASMEND
	;;#ASMSTART
	v_pk_mul_f16 v2, v44, v2;

	;;#ASMEND
	;; [unrolled: 4-line block ×4, first 2 shown]
	;;#ASMSTART
	v_pk_add_f16 v1, v1, v2;

	;;#ASMEND
	;;#ASMSTART
	v_pk_add_f16 v1, v1, v3;

	;;#ASMEND
	;; [unrolled: 4-line block ×3, first 2 shown]
	v_and_b32_e32 v2, 0xffff, v1
	v_lshrrev_b32_e32 v1, 16, v1
	;;#ASMSTART
	v_cvt_f32_f16 v114, v2;
	;;#ASMEND
	;;#ASMSTART
	v_cvt_f32_f16 v115, v1;
	;;#ASMEND
	global_load_b128 v[1:4], v[5:6], off offset:14848
	s_wait_loadcnt 0x0
	v_lshrrev_b32_e32 v118, 16, v1
	v_lshrrev_b32_e32 v117, 16, v2
	v_lshrrev_b32_e32 v116, 16, v3
	s_and_saveexec_b32 s19, vcc_lo
	s_cbranch_execz .LBB116_99
; %bb.98:                               ;   in Loop: Header=BB116_38 Depth=1
	v_cmp_gt_i32_e64 s0, s7, v50
	v_and_b32_e32 v119, 0xffff, v4
	v_and_b32_e32 v4, 0xffff0000, v4
	s_wait_alu 0xf1ff
	s_delay_alu instid0(VALU_DEP_3) | instskip(SKIP_2) | instid1(VALU_DEP_1)
	v_cndmask_b32_e64 v1, 0, v1, s0
	v_cmp_gt_i32_e64 s0, s7, v57
	s_wait_alu 0xf1ff
	v_cndmask_b32_e64 v118, 0, v118, s0
	v_cmp_gt_i32_e64 s0, s7, v56
	s_wait_alu 0xf1ff
	s_delay_alu instid0(VALU_DEP_1) | instskip(SKIP_2) | instid1(VALU_DEP_1)
	v_cndmask_b32_e64 v2, 0, v2, s0
	v_cmp_gt_i32_e64 s0, s7, v53
	s_wait_alu 0xf1ff
	v_cndmask_b32_e64 v117, 0, v117, s0
	v_cmp_gt_i32_e64 s0, s7, v54
	s_wait_alu 0xf1ff
	s_delay_alu instid0(VALU_DEP_1) | instskip(SKIP_2) | instid1(VALU_DEP_1)
	v_cndmask_b32_e64 v119, 0, v119, s0
	v_cmp_gt_i32_e64 s0, s7, v55
	s_wait_alu 0xf1ff
	v_cndmask_b32_e64 v4, 0, v4, s0
	v_cmp_gt_i32_e64 s0, s7, v52
	s_delay_alu instid0(VALU_DEP_2) | instskip(SKIP_1) | instid1(VALU_DEP_2)
	v_or_b32_e32 v4, v119, v4
	s_wait_alu 0xf1ff
	v_cndmask_b32_e64 v3, 0, v3, s0
	v_cmp_gt_i32_e64 s0, s7, v51
	s_wait_alu 0xf1ff
	s_delay_alu instid0(VALU_DEP_1)
	v_cndmask_b32_e64 v116, 0, v116, s0
.LBB116_99:                             ;   in Loop: Header=BB116_38 Depth=1
	s_wait_alu 0xfffe
	s_or_b32 exec_lo, exec_lo, s19
	v_lshlrev_b32_e32 v118, 16, v118
	v_lshlrev_b32_e32 v117, 16, v117
	;; [unrolled: 1-line block ×3, first 2 shown]
	s_delay_alu instid0(VALU_DEP_3) | instskip(NEXT) | instid1(VALU_DEP_3)
	v_and_or_b32 v1, 0xffff, v1, v118
	v_and_or_b32 v2, 0xffff, v2, v117
	s_delay_alu instid0(VALU_DEP_3)
	v_and_or_b32 v3, 0xffff, v3, v116
	;;#ASMSTART
	v_pk_mul_f16 v1, v45, v1;

	;;#ASMEND
	;;#ASMSTART
	v_pk_mul_f16 v2, v44, v2;

	;;#ASMEND
	;; [unrolled: 4-line block ×4, first 2 shown]
	;;#ASMSTART
	v_pk_add_f16 v1, v1, v2;

	;;#ASMEND
	;;#ASMSTART
	v_pk_add_f16 v1, v1, v3;

	;;#ASMEND
	;; [unrolled: 4-line block ×3, first 2 shown]
	v_and_b32_e32 v2, 0xffff, v1
	v_lshrrev_b32_e32 v1, 16, v1
	;;#ASMSTART
	v_cvt_f32_f16 v116, v2;
	;;#ASMEND
	;;#ASMSTART
	v_cvt_f32_f16 v117, v1;
	;;#ASMEND
	global_load_b128 v[1:4], v[5:6], off offset:15360
	s_wait_loadcnt 0x0
	v_lshrrev_b32_e32 v118, 16, v1
	v_lshrrev_b32_e32 v6, 16, v2
	;; [unrolled: 1-line block ×3, first 2 shown]
	s_and_saveexec_b32 s19, vcc_lo
	s_cbranch_execz .LBB116_101
; %bb.100:                              ;   in Loop: Header=BB116_38 Depth=1
	v_cmp_gt_i32_e64 s0, s7, v50
	v_and_b32_e32 v119, 0xffff, v4
	v_and_b32_e32 v4, 0xffff0000, v4
	s_wait_alu 0xf1ff
	s_delay_alu instid0(VALU_DEP_3) | instskip(SKIP_2) | instid1(VALU_DEP_1)
	v_cndmask_b32_e64 v1, 0, v1, s0
	v_cmp_gt_i32_e64 s0, s7, v57
	s_wait_alu 0xf1ff
	v_cndmask_b32_e64 v118, 0, v118, s0
	v_cmp_gt_i32_e64 s0, s7, v56
	s_wait_alu 0xf1ff
	s_delay_alu instid0(VALU_DEP_1) | instskip(SKIP_2) | instid1(VALU_DEP_1)
	v_cndmask_b32_e64 v2, 0, v2, s0
	v_cmp_gt_i32_e64 s0, s7, v53
	s_wait_alu 0xf1ff
	v_cndmask_b32_e64 v6, 0, v6, s0
	v_cmp_gt_i32_e64 s0, s7, v54
	s_wait_alu 0xf1ff
	s_delay_alu instid0(VALU_DEP_1) | instskip(SKIP_2) | instid1(VALU_DEP_1)
	v_cndmask_b32_e64 v119, 0, v119, s0
	v_cmp_gt_i32_e64 s0, s7, v55
	s_wait_alu 0xf1ff
	v_cndmask_b32_e64 v4, 0, v4, s0
	v_cmp_gt_i32_e64 s0, s7, v52
	s_delay_alu instid0(VALU_DEP_2) | instskip(SKIP_1) | instid1(VALU_DEP_2)
	v_or_b32_e32 v4, v119, v4
	s_wait_alu 0xf1ff
	v_cndmask_b32_e64 v3, 0, v3, s0
	v_cmp_gt_i32_e64 s0, s7, v51
	s_wait_alu 0xf1ff
	s_delay_alu instid0(VALU_DEP_1)
	v_cndmask_b32_e64 v5, 0, v5, s0
.LBB116_101:                            ;   in Loop: Header=BB116_38 Depth=1
	s_wait_alu 0xfffe
	s_or_b32 exec_lo, exec_lo, s19
	v_lshlrev_b32_e32 v118, 16, v118
	v_lshlrev_b32_e32 v6, 16, v6
	;; [unrolled: 1-line block ×3, first 2 shown]
	s_delay_alu instid0(VALU_DEP_3) | instskip(NEXT) | instid1(VALU_DEP_3)
	v_and_or_b32 v1, 0xffff, v1, v118
	v_and_or_b32 v2, 0xffff, v2, v6
	s_delay_alu instid0(VALU_DEP_3)
	v_and_or_b32 v3, 0xffff, v3, v5
	;;#ASMSTART
	v_pk_mul_f16 v1, v45, v1;

	;;#ASMEND
	;;#ASMSTART
	v_pk_mul_f16 v2, v44, v2;

	;;#ASMEND
	;; [unrolled: 4-line block ×4, first 2 shown]
	;;#ASMSTART
	v_pk_add_f16 v1, v1, v2;

	;;#ASMEND
	;;#ASMSTART
	v_pk_add_f16 v1, v1, v3;

	;;#ASMEND
	;; [unrolled: 4-line block ×3, first 2 shown]
	v_lshrrev_b32_e32 v3, 16, v1
	v_and_b32_e32 v4, 0xffff, v1
	v_add_co_u32 v1, s0, v58, v43
	s_wait_alu 0xf1ff
	v_add_co_ci_u32_e64 v2, null, 0, v59, s0
	;;#ASMSTART
	v_cvt_f32_f16 v59, v4;
	;;#ASMEND
	;;#ASMSTART
	v_cvt_f32_f16 v118, v3;
	;;#ASMEND
	global_load_b128 v[1:4], v[1:2], off
	s_wait_loadcnt 0x0
	v_lshrrev_b32_e32 v58, 16, v1
	v_lshrrev_b32_e32 v6, 16, v2
	;; [unrolled: 1-line block ×3, first 2 shown]
	s_and_saveexec_b32 s0, vcc_lo
	s_cbranch_execz .LBB116_36
; %bb.102:                              ;   in Loop: Header=BB116_38 Depth=1
	v_cmp_gt_i32_e32 vcc_lo, s7, v50
	v_and_b32_e32 v50, 0xffff, v4
	s_wait_alu 0xfffd
	v_dual_cndmask_b32 v1, 0, v1 :: v_dual_and_b32 v4, 0xffff0000, v4
	v_cmp_gt_i32_e32 vcc_lo, s7, v57
	s_wait_alu 0xfffd
	v_cndmask_b32_e32 v58, 0, v58, vcc_lo
	v_cmp_gt_i32_e32 vcc_lo, s7, v56
	s_wait_alu 0xfffd
	v_cndmask_b32_e32 v2, 0, v2, vcc_lo
	;; [unrolled: 3-line block ×5, first 2 shown]
	v_cmp_gt_i32_e32 vcc_lo, s7, v52
	s_delay_alu instid0(VALU_DEP_2)
	v_or_b32_e32 v4, v50, v4
	s_wait_alu 0xfffd
	v_cndmask_b32_e32 v3, 0, v3, vcc_lo
	v_cmp_gt_i32_e32 vcc_lo, s7, v51
	s_wait_alu 0xfffd
	v_cndmask_b32_e32 v5, 0, v5, vcc_lo
	s_branch .LBB116_36
.LBB116_103:
	s_or_b32 exec_lo, exec_lo, s15
.LBB116_104:
	s_wait_alu 0xfffe
	s_or_b32 exec_lo, exec_lo, s1
	ds_bpermute_b32 v1, v8, v40
	ds_bpermute_b32 v3, v8, v38
	;; [unrolled: 1-line block ×16, first 2 shown]
	s_mov_b32 s0, exec_lo
	s_wait_storecnt 0x0
	s_wait_loadcnt_dscnt 0x0
	s_barrier_signal -1
	s_barrier_wait -1
	v_add_f32_e32 v1, v40, v1
	v_dual_add_f32 v3, v38, v3 :: v_dual_add_f32 v4, v37, v4
	v_dual_add_f32 v5, v36, v5 :: v_dual_add_f32 v6, v35, v6
	;; [unrolled: 1-line block ×3, first 2 shown]
	v_add_f32_e32 v36, v32, v43
	v_add_f32_e32 v2, v39, v2
	ds_bpermute_b32 v32, v7, v1
	ds_bpermute_b32 v38, v7, v3
	;; [unrolled: 1-line block ×5, first 2 shown]
	v_add_f32_e32 v43, v31, v44
	ds_bpermute_b32 v31, v7, v35
	v_dual_add_f32 v44, v30, v45 :: v_dual_add_f32 v45, v29, v46
	ds_bpermute_b32 v46, v7, v36
	ds_bpermute_b32 v37, v7, v2
	;; [unrolled: 1-line block ×6, first 2 shown]
	s_wait_dscnt 0x0
	global_inv scope:SCOPE_SE
	v_dual_add_f32 v33, v1, v32 :: v_dual_add_f32 v30, v3, v38
	v_add_f32_e32 v29, v4, v39
	v_add_f32_e32 v5, v5, v40
	;; [unrolled: 1-line block ×3, first 2 shown]
	ds_bpermute_b32 v34, v8, v24
	v_add_f32_e32 v3, v35, v31
	ds_bpermute_b32 v35, v8, v23
	ds_bpermute_b32 v38, v8, v22
	v_dual_add_f32 v31, v36, v46 :: v_dual_add_f32 v40, v25, v53
	v_add_f32_e32 v39, v26, v52
	ds_bpermute_b32 v26, v8, v21
	ds_bpermute_b32 v25, v8, v20
	v_dual_add_f32 v32, v2, v37 :: v_dual_add_f32 v37, v28, v47
	v_add_f32_e32 v4, v45, v50
	ds_bpermute_b32 v47, v8, v14
	v_add_f32_e32 v2, v6, v41
	v_dual_add_f32 v6, v44, v49 :: v_dual_add_f32 v27, v27, v51
	ds_bpermute_b32 v42, v8, v19
	ds_bpermute_b32 v45, v8, v18
	ds_bpermute_b32 v49, v8, v13
	ds_bpermute_b32 v51, v8, v12
	s_wait_dscnt 0x9
	v_add_f32_e32 v34, v24, v34
	ds_bpermute_b32 v24, v8, v17
	s_wait_dscnt 0x8
	v_dual_add_f32 v35, v23, v35 :: v_dual_add_f32 v38, v22, v38
	ds_bpermute_b32 v23, v8, v16
	ds_bpermute_b32 v22, v8, v15
	;; [unrolled: 1-line block ×3, first 2 shown]
	s_wait_dscnt 0xa
	v_add_f32_e32 v52, v21, v26
	ds_bpermute_b32 v21, v8, v11
	s_wait_dscnt 0xa
	v_add_f32_e32 v53, v20, v25
	ds_bpermute_b32 v20, v8, v10
	ds_bpermute_b32 v8, v8, v9
	ds_bpermute_b32 v41, v7, v27
	s_wait_dscnt 0xc
	v_add_f32_e32 v47, v14, v47
	ds_bpermute_b32 v46, v7, v34
	v_add_f32_e32 v28, v43, v48
	s_wait_dscnt 0xb
	v_dual_add_f32 v42, v19, v42 :: v_dual_add_f32 v45, v18, v45
	s_wait_dscnt 0x9
	v_dual_add_f32 v49, v13, v49 :: v_dual_add_f32 v12, v12, v51
	ds_bpermute_b32 v43, v7, v39
	s_wait_dscnt 0x9
	v_add_f32_e32 v54, v17, v24
	ds_bpermute_b32 v44, v7, v40
	ds_bpermute_b32 v48, v7, v35
	s_wait_dscnt 0x9
	v_dual_add_f32 v55, v16, v23 :: v_dual_add_f32 v56, v15, v22
	ds_bpermute_b32 v50, v7, v38
	ds_bpermute_b32 v19, v7, v52
	s_wait_dscnt 0x9
	v_add_f32_e32 v57, v11, v21
	ds_bpermute_b32 v18, v7, v53
	s_wait_dscnt 0x9
	v_add_f32_e32 v10, v10, v20
	s_wait_dscnt 0x8
	v_add_f32_e32 v60, v9, v8
	ds_bpermute_b32 v51, v7, v47
	ds_bpermute_b32 v17, v7, v42
	;; [unrolled: 1-line block ×9, first 2 shown]
	s_wait_dscnt 0x10
	v_dual_add_f32 v26, v37, v36 :: v_dual_add_f32 v25, v27, v41
	ds_bpermute_b32 v36, v7, v10
	ds_bpermute_b32 v27, v7, v60
	s_wait_dscnt 0xe
	v_dual_add_f32 v22, v34, v46 :: v_dual_add_f32 v21, v35, v48
	v_and_b32_e32 v34, 28, v129
	v_dual_add_f32 v24, v39, v43 :: v_dual_add_f32 v23, v40, v44
	s_wait_dscnt 0xc
	v_dual_add_f32 v20, v38, v50 :: v_dual_add_f32 v19, v52, v19
	s_wait_dscnt 0xa
	;; [unrolled: 2-line block ×5, first 2 shown]
	v_add_f32_e32 v13, v56, v13
	s_wait_dscnt 0x3
	v_dual_add_f32 v9, v49, v58 :: v_dual_add_f32 v8, v12, v59
	s_wait_dscnt 0x2
	v_dual_add_f32 v7, v57, v61 :: v_dual_add_nc_u32 v34, 0x220, v34
	s_wait_dscnt 0x1
	v_add_f32_e32 v10, v10, v36
	v_and_b32_e32 v36, 0x3c3, v0
	s_wait_dscnt 0x0
	v_dual_add_f32 v12, v60, v27 :: v_dual_lshlrev_b32 v35, 10, v128
	v_lshrrev_b32_e32 v27, 2, v129
	s_delay_alu instid0(VALU_DEP_3)
	v_cmpx_eq_u32_e32 64, v36
	s_cbranch_execz .LBB116_106
; %bb.105:
	s_delay_alu instid0(VALU_DEP_3) | instskip(NEXT) | instid1(VALU_DEP_1)
	v_add_nc_u32_e32 v36, v34, v35
	v_add_nc_u32_e32 v37, 0xfffff800, v36
	;; [unrolled: 1-line block ×9, first 2 shown]
	ds_store_b32 v37, v33
	ds_store_b32 v38, v32
	ds_store_b32 v39, v30
	ds_store_b32 v40, v29
	ds_store_b32 v41, v5
	ds_store_b32 v42, v2
	ds_store_b32 v43, v1
	ds_store_b32 v44, v3
	v_add_nc_u32_e32 v37, 0xfffff900, v36
	v_add_nc_u32_e32 v38, 0xfffff920, v36
	v_add_nc_u32_e32 v39, 0xfffff940, v36
	v_add_nc_u32_e32 v40, 0xfffff960, v36
	v_add_nc_u32_e32 v41, 0xfffff980, v36
	v_add_nc_u32_e32 v42, 0xfffff9a0, v36
	v_add_nc_u32_e32 v43, 0xfffff9c0, v36
	v_add_nc_u32_e32 v44, 0xfffff9e0, v36
	ds_store_b32 v37, v31
	ds_store_b32 v38, v28
	ds_store_b32 v39, v6
	ds_store_b32 v40, v4
	ds_store_b32 v41, v26
	ds_store_b32 v42, v25
	ds_store_b32 v43, v24
	ds_store_b32 v44, v23
	v_add_nc_u32_e32 v37, 0xfffffa00, v36
	v_add_nc_u32_e32 v38, 0xfffffa20, v36
	v_add_nc_u32_e32 v39, 0xfffffa40, v36
	v_add_nc_u32_e32 v40, 0xfffffa60, v36
	v_add_nc_u32_e32 v41, 0xfffffa80, v36
	v_add_nc_u32_e32 v42, 0xfffffaa0, v36
	v_add_nc_u32_e32 v43, 0xfffffac0, v36
	v_add_nc_u32_e32 v44, 0xfffffae0, v36
	;; [unrolled: 16-line block ×3, first 2 shown]
	ds_store_b32 v37, v14
	ds_store_b32 v38, v13
	;; [unrolled: 1-line block ×8, first 2 shown]
.LBB116_106:
	s_wait_alu 0xfffe
	s_or_b32 exec_lo, exec_lo, s0
	v_lshlrev_b32_e32 v27, 2, v27
	v_and_b32_e32 v36, 3, v0
	s_mov_b32 s1, exec_lo
	s_wait_loadcnt_dscnt 0x0
	s_barrier_signal -1
	v_add3_u32 v27, 0x220, v35, v27
	v_cmp_eq_u32_e32 vcc_lo, 0, v36
	s_barrier_wait -1
	global_inv scope:SCOPE_SE
	v_cmpx_gt_u32_e32 64, v0
	s_cbranch_execz .LBB116_141
; %bb.107:
	s_and_saveexec_b32 s0, vcc_lo
	s_cbranch_execnz .LBB116_181
; %bb.108:
	s_wait_alu 0xfffe
	s_or_b32 exec_lo, exec_lo, s0
	s_and_saveexec_b32 s0, vcc_lo
	s_cbranch_execnz .LBB116_182
.LBB116_109:
	s_wait_alu 0xfffe
	s_or_b32 exec_lo, exec_lo, s0
	s_and_saveexec_b32 s0, vcc_lo
	s_cbranch_execnz .LBB116_183
.LBB116_110:
	s_wait_alu 0xfffe
	s_or_b32 exec_lo, exec_lo, s0
	s_and_saveexec_b32 s0, vcc_lo
	s_cbranch_execnz .LBB116_184
.LBB116_111:
	s_wait_alu 0xfffe
	s_or_b32 exec_lo, exec_lo, s0
	s_and_saveexec_b32 s0, vcc_lo
	s_cbranch_execnz .LBB116_185
.LBB116_112:
	s_wait_alu 0xfffe
	s_or_b32 exec_lo, exec_lo, s0
	s_and_saveexec_b32 s0, vcc_lo
	s_cbranch_execnz .LBB116_186
.LBB116_113:
	s_wait_alu 0xfffe
	s_or_b32 exec_lo, exec_lo, s0
	s_and_saveexec_b32 s0, vcc_lo
	s_cbranch_execnz .LBB116_187
.LBB116_114:
	s_wait_alu 0xfffe
	s_or_b32 exec_lo, exec_lo, s0
	s_and_saveexec_b32 s0, vcc_lo
	s_cbranch_execnz .LBB116_188
.LBB116_115:
	s_wait_alu 0xfffe
	s_or_b32 exec_lo, exec_lo, s0
	s_and_saveexec_b32 s0, vcc_lo
	s_cbranch_execnz .LBB116_189
.LBB116_116:
	s_wait_alu 0xfffe
	s_or_b32 exec_lo, exec_lo, s0
	s_and_saveexec_b32 s0, vcc_lo
	s_cbranch_execnz .LBB116_190
.LBB116_117:
	s_wait_alu 0xfffe
	s_or_b32 exec_lo, exec_lo, s0
	s_and_saveexec_b32 s0, vcc_lo
	s_cbranch_execnz .LBB116_191
.LBB116_118:
	s_wait_alu 0xfffe
	s_or_b32 exec_lo, exec_lo, s0
	s_and_saveexec_b32 s0, vcc_lo
	s_cbranch_execnz .LBB116_192
.LBB116_119:
	s_wait_alu 0xfffe
	s_or_b32 exec_lo, exec_lo, s0
	s_and_saveexec_b32 s0, vcc_lo
	s_cbranch_execnz .LBB116_193
.LBB116_120:
	s_wait_alu 0xfffe
	s_or_b32 exec_lo, exec_lo, s0
	s_and_saveexec_b32 s0, vcc_lo
	s_cbranch_execnz .LBB116_194
.LBB116_121:
	s_wait_alu 0xfffe
	s_or_b32 exec_lo, exec_lo, s0
	s_and_saveexec_b32 s0, vcc_lo
	s_cbranch_execnz .LBB116_195
.LBB116_122:
	s_wait_alu 0xfffe
	s_or_b32 exec_lo, exec_lo, s0
	s_and_saveexec_b32 s0, vcc_lo
	s_cbranch_execnz .LBB116_196
.LBB116_123:
	s_wait_alu 0xfffe
	s_or_b32 exec_lo, exec_lo, s0
	s_and_saveexec_b32 s0, vcc_lo
	s_cbranch_execnz .LBB116_197
.LBB116_124:
	s_wait_alu 0xfffe
	s_or_b32 exec_lo, exec_lo, s0
	s_and_saveexec_b32 s0, vcc_lo
	s_cbranch_execnz .LBB116_198
.LBB116_125:
	s_wait_alu 0xfffe
	s_or_b32 exec_lo, exec_lo, s0
	s_and_saveexec_b32 s0, vcc_lo
	s_cbranch_execnz .LBB116_199
.LBB116_126:
	s_wait_alu 0xfffe
	s_or_b32 exec_lo, exec_lo, s0
	s_and_saveexec_b32 s0, vcc_lo
	s_cbranch_execnz .LBB116_200
.LBB116_127:
	s_wait_alu 0xfffe
	s_or_b32 exec_lo, exec_lo, s0
	s_and_saveexec_b32 s0, vcc_lo
	s_cbranch_execnz .LBB116_201
.LBB116_128:
	s_wait_alu 0xfffe
	s_or_b32 exec_lo, exec_lo, s0
	s_and_saveexec_b32 s0, vcc_lo
	s_cbranch_execnz .LBB116_202
.LBB116_129:
	s_wait_alu 0xfffe
	s_or_b32 exec_lo, exec_lo, s0
	s_and_saveexec_b32 s0, vcc_lo
	s_cbranch_execnz .LBB116_203
.LBB116_130:
	s_wait_alu 0xfffe
	s_or_b32 exec_lo, exec_lo, s0
	s_and_saveexec_b32 s0, vcc_lo
	s_cbranch_execnz .LBB116_204
.LBB116_131:
	s_wait_alu 0xfffe
	s_or_b32 exec_lo, exec_lo, s0
	s_and_saveexec_b32 s0, vcc_lo
	s_cbranch_execnz .LBB116_205
.LBB116_132:
	s_wait_alu 0xfffe
	s_or_b32 exec_lo, exec_lo, s0
	s_and_saveexec_b32 s0, vcc_lo
	s_cbranch_execnz .LBB116_206
.LBB116_133:
	s_wait_alu 0xfffe
	s_or_b32 exec_lo, exec_lo, s0
	s_and_saveexec_b32 s0, vcc_lo
	s_cbranch_execnz .LBB116_207
.LBB116_134:
	s_wait_alu 0xfffe
	s_or_b32 exec_lo, exec_lo, s0
	s_and_saveexec_b32 s0, vcc_lo
	s_cbranch_execnz .LBB116_208
.LBB116_135:
	s_wait_alu 0xfffe
	s_or_b32 exec_lo, exec_lo, s0
	s_and_saveexec_b32 s0, vcc_lo
	s_cbranch_execnz .LBB116_209
.LBB116_136:
	s_wait_alu 0xfffe
	s_or_b32 exec_lo, exec_lo, s0
	s_and_saveexec_b32 s0, vcc_lo
	s_cbranch_execnz .LBB116_210
.LBB116_137:
	s_wait_alu 0xfffe
	s_or_b32 exec_lo, exec_lo, s0
	s_and_saveexec_b32 s0, vcc_lo
	s_cbranch_execnz .LBB116_211
.LBB116_138:
	s_wait_alu 0xfffe
	s_or_b32 exec_lo, exec_lo, s0
	s_and_saveexec_b32 s0, vcc_lo
	s_cbranch_execz .LBB116_140
.LBB116_139:
	ds_load_b32 v35, v27 offset:992
	s_wait_dscnt 0x0
	v_add_f32_e32 v12, v12, v35
.LBB116_140:
	s_wait_alu 0xfffe
	s_or_b32 exec_lo, exec_lo, s0
.LBB116_141:
	s_wait_alu 0xfffe
	s_or_b32 exec_lo, exec_lo, s1
	v_and_b32_e32 v35, 0x3e3, v0
	s_mov_b32 s1, exec_lo
	s_wait_loadcnt 0x0
	s_barrier_signal -1
	s_barrier_wait -1
	global_inv scope:SCOPE_SE
	v_cmpx_eq_u32_e32 32, v35
	s_cbranch_execz .LBB116_143
; %bb.142:
	ds_store_2addr_b32 v34, v33, v32 offset1:8
	ds_store_2addr_b32 v34, v30, v29 offset0:16 offset1:24
	ds_store_2addr_b32 v34, v5, v2 offset0:32 offset1:40
	;; [unrolled: 1-line block ×15, first 2 shown]
.LBB116_143:
	s_wait_alu 0xfffe
	s_or_b32 exec_lo, exec_lo, s1
	s_wait_loadcnt_dscnt 0x0
	s_barrier_signal -1
	s_barrier_wait -1
	global_inv scope:SCOPE_SE
	s_and_saveexec_b32 s0, s2
	s_cbranch_execz .LBB116_178
; %bb.144:
	s_and_saveexec_b32 s1, vcc_lo
	s_cbranch_execnz .LBB116_212
; %bb.145:
	s_wait_alu 0xfffe
	s_or_b32 exec_lo, exec_lo, s1
	s_and_saveexec_b32 s1, vcc_lo
	s_cbranch_execnz .LBB116_213
.LBB116_146:
	s_wait_alu 0xfffe
	s_or_b32 exec_lo, exec_lo, s1
	s_and_saveexec_b32 s1, vcc_lo
	s_cbranch_execnz .LBB116_214
.LBB116_147:
	s_wait_alu 0xfffe
	s_or_b32 exec_lo, exec_lo, s1
	s_and_saveexec_b32 s1, vcc_lo
	s_cbranch_execnz .LBB116_215
.LBB116_148:
	s_wait_alu 0xfffe
	s_or_b32 exec_lo, exec_lo, s1
	s_and_saveexec_b32 s1, vcc_lo
	s_cbranch_execnz .LBB116_216
.LBB116_149:
	s_wait_alu 0xfffe
	s_or_b32 exec_lo, exec_lo, s1
	s_and_saveexec_b32 s1, vcc_lo
	s_cbranch_execnz .LBB116_217
.LBB116_150:
	s_wait_alu 0xfffe
	s_or_b32 exec_lo, exec_lo, s1
	s_and_saveexec_b32 s1, vcc_lo
	s_cbranch_execnz .LBB116_218
.LBB116_151:
	s_wait_alu 0xfffe
	s_or_b32 exec_lo, exec_lo, s1
	s_and_saveexec_b32 s1, vcc_lo
	s_cbranch_execnz .LBB116_219
.LBB116_152:
	s_wait_alu 0xfffe
	s_or_b32 exec_lo, exec_lo, s1
	s_and_saveexec_b32 s1, vcc_lo
	s_cbranch_execnz .LBB116_220
.LBB116_153:
	s_wait_alu 0xfffe
	s_or_b32 exec_lo, exec_lo, s1
	s_and_saveexec_b32 s1, vcc_lo
	s_cbranch_execnz .LBB116_221
.LBB116_154:
	s_wait_alu 0xfffe
	s_or_b32 exec_lo, exec_lo, s1
	s_and_saveexec_b32 s1, vcc_lo
	s_cbranch_execnz .LBB116_222
.LBB116_155:
	s_wait_alu 0xfffe
	s_or_b32 exec_lo, exec_lo, s1
	s_and_saveexec_b32 s1, vcc_lo
	s_cbranch_execnz .LBB116_223
.LBB116_156:
	s_wait_alu 0xfffe
	s_or_b32 exec_lo, exec_lo, s1
	s_and_saveexec_b32 s1, vcc_lo
	s_cbranch_execnz .LBB116_224
.LBB116_157:
	s_wait_alu 0xfffe
	s_or_b32 exec_lo, exec_lo, s1
	s_and_saveexec_b32 s1, vcc_lo
	s_cbranch_execnz .LBB116_225
.LBB116_158:
	s_wait_alu 0xfffe
	s_or_b32 exec_lo, exec_lo, s1
	s_and_saveexec_b32 s1, vcc_lo
	s_cbranch_execnz .LBB116_226
.LBB116_159:
	s_wait_alu 0xfffe
	s_or_b32 exec_lo, exec_lo, s1
	s_and_saveexec_b32 s1, vcc_lo
	s_cbranch_execnz .LBB116_227
.LBB116_160:
	s_wait_alu 0xfffe
	s_or_b32 exec_lo, exec_lo, s1
	s_and_saveexec_b32 s1, vcc_lo
	s_cbranch_execnz .LBB116_228
.LBB116_161:
	s_wait_alu 0xfffe
	s_or_b32 exec_lo, exec_lo, s1
	s_and_saveexec_b32 s1, vcc_lo
	s_cbranch_execnz .LBB116_229
.LBB116_162:
	s_wait_alu 0xfffe
	s_or_b32 exec_lo, exec_lo, s1
	s_and_saveexec_b32 s1, vcc_lo
	s_cbranch_execnz .LBB116_230
.LBB116_163:
	s_wait_alu 0xfffe
	s_or_b32 exec_lo, exec_lo, s1
	s_and_saveexec_b32 s1, vcc_lo
	s_cbranch_execnz .LBB116_231
.LBB116_164:
	s_wait_alu 0xfffe
	s_or_b32 exec_lo, exec_lo, s1
	s_and_saveexec_b32 s1, vcc_lo
	s_cbranch_execnz .LBB116_232
.LBB116_165:
	s_wait_alu 0xfffe
	s_or_b32 exec_lo, exec_lo, s1
	s_and_saveexec_b32 s1, vcc_lo
	s_cbranch_execnz .LBB116_233
.LBB116_166:
	s_wait_alu 0xfffe
	s_or_b32 exec_lo, exec_lo, s1
	s_and_saveexec_b32 s1, vcc_lo
	s_cbranch_execnz .LBB116_234
.LBB116_167:
	s_wait_alu 0xfffe
	s_or_b32 exec_lo, exec_lo, s1
	s_and_saveexec_b32 s1, vcc_lo
	s_cbranch_execnz .LBB116_235
.LBB116_168:
	s_wait_alu 0xfffe
	s_or_b32 exec_lo, exec_lo, s1
	s_and_saveexec_b32 s1, vcc_lo
	s_cbranch_execnz .LBB116_236
.LBB116_169:
	s_wait_alu 0xfffe
	s_or_b32 exec_lo, exec_lo, s1
	s_and_saveexec_b32 s1, vcc_lo
	s_cbranch_execnz .LBB116_237
.LBB116_170:
	s_wait_alu 0xfffe
	s_or_b32 exec_lo, exec_lo, s1
	s_and_saveexec_b32 s1, vcc_lo
	s_cbranch_execnz .LBB116_238
.LBB116_171:
	s_wait_alu 0xfffe
	s_or_b32 exec_lo, exec_lo, s1
	s_and_saveexec_b32 s1, vcc_lo
	s_cbranch_execnz .LBB116_239
.LBB116_172:
	s_wait_alu 0xfffe
	s_or_b32 exec_lo, exec_lo, s1
	s_and_saveexec_b32 s1, vcc_lo
	s_cbranch_execnz .LBB116_240
.LBB116_173:
	s_wait_alu 0xfffe
	s_or_b32 exec_lo, exec_lo, s1
	s_and_saveexec_b32 s1, vcc_lo
	s_cbranch_execnz .LBB116_241
.LBB116_174:
	s_wait_alu 0xfffe
	s_or_b32 exec_lo, exec_lo, s1
	s_and_saveexec_b32 s1, vcc_lo
	s_cbranch_execnz .LBB116_242
.LBB116_175:
	s_wait_alu 0xfffe
	s_or_b32 exec_lo, exec_lo, s1
	s_and_saveexec_b32 s1, vcc_lo
	s_cbranch_execz .LBB116_177
.LBB116_176:
	ds_load_b32 v27, v27 offset:992
	s_wait_dscnt 0x0
	v_add_f32_e32 v12, v12, v27
.LBB116_177:
	s_wait_alu 0xfffe
	s_or_b32 exec_lo, exec_lo, s1
.LBB116_178:
	s_wait_alu 0xfffe
	s_or_b32 exec_lo, exec_lo, s0
	s_mov_b32 s7, 0
	s_wait_loadcnt 0x0
	s_barrier_signal -1
	s_barrier_wait -1
	global_inv scope:SCOPE_SE
	s_mov_b32 s0, exec_lo
	v_cmpx_eq_u32_e32 0, v35
	s_cbranch_execz .LBB116_180
; %bb.179:
	s_lshl_b32 s0, s4, 8
	s_mul_i32 s2, s16, s20
	s_wait_alu 0xfffe
	s_ashr_i32 s1, s0, 31
	s_ashr_i32 s3, s2, 31
	s_wait_alu 0xfffe
	s_lshl_b64 s[0:1], s[0:1], 1
	s_lshl_b64 s[2:3], s[2:3], 1
	s_wait_kmcnt 0x0
	s_wait_alu 0xfffe
	s_add_nc_u64 s[0:1], s[28:29], s[0:1]
	v_lshrrev_b32_e32 v0, 1, v0
	s_wait_alu 0xfffe
	s_add_nc_u64 s[0:1], s[0:1], s[2:3]
	;;#ASMSTART
	v_cvt_f16_f32 v27, v33;

	;;#ASMEND
	s_wait_alu 0xfffe
	s_add_nc_u64 s[0:1], s[0:1], s[6:7]
	global_store_b16 v0, v27, s[0:1]
	;;#ASMSTART
	v_cvt_f16_f32 v27, v32;

	;;#ASMEND
	global_store_b16 v0, v27, s[0:1] offset:16
	;;#ASMSTART
	v_cvt_f16_f32 v27, v30;

	;;#ASMEND
	global_store_b16 v0, v27, s[0:1] offset:32
	;; [unrolled: 5-line block ×31, first 2 shown]
.LBB116_180:
	s_nop 0
	s_sendmsg sendmsg(MSG_DEALLOC_VGPRS)
	s_endpgm
.LBB116_181:
	ds_load_b32 v35, v27
	s_wait_dscnt 0x0
	v_add_f32_e32 v33, v33, v35
	s_wait_alu 0xfffe
	s_or_b32 exec_lo, exec_lo, s0
	s_and_saveexec_b32 s0, vcc_lo
	s_cbranch_execz .LBB116_109
.LBB116_182:
	ds_load_b32 v35, v27 offset:32
	s_wait_dscnt 0x0
	v_add_f32_e32 v32, v32, v35
	s_wait_alu 0xfffe
	s_or_b32 exec_lo, exec_lo, s0
	s_and_saveexec_b32 s0, vcc_lo
	s_cbranch_execz .LBB116_110
.LBB116_183:
	ds_load_b32 v35, v27 offset:64
	s_wait_dscnt 0x0
	v_add_f32_e32 v30, v30, v35
	s_wait_alu 0xfffe
	s_or_b32 exec_lo, exec_lo, s0
	s_and_saveexec_b32 s0, vcc_lo
	s_cbranch_execz .LBB116_111
.LBB116_184:
	ds_load_b32 v35, v27 offset:96
	s_wait_dscnt 0x0
	v_add_f32_e32 v29, v29, v35
	s_wait_alu 0xfffe
	s_or_b32 exec_lo, exec_lo, s0
	s_and_saveexec_b32 s0, vcc_lo
	s_cbranch_execz .LBB116_112
.LBB116_185:
	ds_load_b32 v35, v27 offset:128
	s_wait_dscnt 0x0
	v_add_f32_e32 v5, v5, v35
	s_wait_alu 0xfffe
	s_or_b32 exec_lo, exec_lo, s0
	s_and_saveexec_b32 s0, vcc_lo
	s_cbranch_execz .LBB116_113
.LBB116_186:
	ds_load_b32 v35, v27 offset:160
	s_wait_dscnt 0x0
	v_add_f32_e32 v2, v2, v35
	s_wait_alu 0xfffe
	s_or_b32 exec_lo, exec_lo, s0
	s_and_saveexec_b32 s0, vcc_lo
	s_cbranch_execz .LBB116_114
.LBB116_187:
	ds_load_b32 v35, v27 offset:192
	s_wait_dscnt 0x0
	v_add_f32_e32 v1, v1, v35
	s_wait_alu 0xfffe
	s_or_b32 exec_lo, exec_lo, s0
	s_and_saveexec_b32 s0, vcc_lo
	s_cbranch_execz .LBB116_115
.LBB116_188:
	ds_load_b32 v35, v27 offset:224
	s_wait_dscnt 0x0
	v_add_f32_e32 v3, v3, v35
	s_wait_alu 0xfffe
	s_or_b32 exec_lo, exec_lo, s0
	s_and_saveexec_b32 s0, vcc_lo
	s_cbranch_execz .LBB116_116
.LBB116_189:
	ds_load_b32 v35, v27 offset:256
	s_wait_dscnt 0x0
	v_add_f32_e32 v31, v31, v35
	s_wait_alu 0xfffe
	s_or_b32 exec_lo, exec_lo, s0
	s_and_saveexec_b32 s0, vcc_lo
	s_cbranch_execz .LBB116_117
.LBB116_190:
	ds_load_b32 v35, v27 offset:288
	s_wait_dscnt 0x0
	v_add_f32_e32 v28, v28, v35
	s_wait_alu 0xfffe
	s_or_b32 exec_lo, exec_lo, s0
	s_and_saveexec_b32 s0, vcc_lo
	s_cbranch_execz .LBB116_118
.LBB116_191:
	ds_load_b32 v35, v27 offset:320
	s_wait_dscnt 0x0
	v_add_f32_e32 v6, v6, v35
	s_wait_alu 0xfffe
	s_or_b32 exec_lo, exec_lo, s0
	s_and_saveexec_b32 s0, vcc_lo
	s_cbranch_execz .LBB116_119
.LBB116_192:
	ds_load_b32 v35, v27 offset:352
	s_wait_dscnt 0x0
	v_add_f32_e32 v4, v4, v35
	s_wait_alu 0xfffe
	s_or_b32 exec_lo, exec_lo, s0
	s_and_saveexec_b32 s0, vcc_lo
	s_cbranch_execz .LBB116_120
.LBB116_193:
	ds_load_b32 v35, v27 offset:384
	s_wait_dscnt 0x0
	v_add_f32_e32 v26, v26, v35
	s_wait_alu 0xfffe
	s_or_b32 exec_lo, exec_lo, s0
	s_and_saveexec_b32 s0, vcc_lo
	s_cbranch_execz .LBB116_121
.LBB116_194:
	ds_load_b32 v35, v27 offset:416
	s_wait_dscnt 0x0
	v_add_f32_e32 v25, v25, v35
	s_wait_alu 0xfffe
	s_or_b32 exec_lo, exec_lo, s0
	s_and_saveexec_b32 s0, vcc_lo
	s_cbranch_execz .LBB116_122
.LBB116_195:
	ds_load_b32 v35, v27 offset:448
	s_wait_dscnt 0x0
	v_add_f32_e32 v24, v24, v35
	s_wait_alu 0xfffe
	s_or_b32 exec_lo, exec_lo, s0
	s_and_saveexec_b32 s0, vcc_lo
	s_cbranch_execz .LBB116_123
.LBB116_196:
	ds_load_b32 v35, v27 offset:480
	s_wait_dscnt 0x0
	v_add_f32_e32 v23, v23, v35
	s_wait_alu 0xfffe
	s_or_b32 exec_lo, exec_lo, s0
	s_and_saveexec_b32 s0, vcc_lo
	s_cbranch_execz .LBB116_124
.LBB116_197:
	ds_load_b32 v35, v27 offset:512
	s_wait_dscnt 0x0
	v_add_f32_e32 v22, v22, v35
	s_wait_alu 0xfffe
	s_or_b32 exec_lo, exec_lo, s0
	s_and_saveexec_b32 s0, vcc_lo
	s_cbranch_execz .LBB116_125
.LBB116_198:
	ds_load_b32 v35, v27 offset:544
	s_wait_dscnt 0x0
	v_add_f32_e32 v21, v21, v35
	s_wait_alu 0xfffe
	s_or_b32 exec_lo, exec_lo, s0
	s_and_saveexec_b32 s0, vcc_lo
	s_cbranch_execz .LBB116_126
.LBB116_199:
	ds_load_b32 v35, v27 offset:576
	s_wait_dscnt 0x0
	v_add_f32_e32 v20, v20, v35
	s_wait_alu 0xfffe
	s_or_b32 exec_lo, exec_lo, s0
	s_and_saveexec_b32 s0, vcc_lo
	s_cbranch_execz .LBB116_127
.LBB116_200:
	ds_load_b32 v35, v27 offset:608
	s_wait_dscnt 0x0
	v_add_f32_e32 v19, v19, v35
	s_wait_alu 0xfffe
	s_or_b32 exec_lo, exec_lo, s0
	s_and_saveexec_b32 s0, vcc_lo
	s_cbranch_execz .LBB116_128
.LBB116_201:
	ds_load_b32 v35, v27 offset:640
	s_wait_dscnt 0x0
	v_add_f32_e32 v18, v18, v35
	s_wait_alu 0xfffe
	s_or_b32 exec_lo, exec_lo, s0
	s_and_saveexec_b32 s0, vcc_lo
	s_cbranch_execz .LBB116_129
.LBB116_202:
	ds_load_b32 v35, v27 offset:672
	s_wait_dscnt 0x0
	v_add_f32_e32 v17, v17, v35
	s_wait_alu 0xfffe
	s_or_b32 exec_lo, exec_lo, s0
	s_and_saveexec_b32 s0, vcc_lo
	s_cbranch_execz .LBB116_130
.LBB116_203:
	ds_load_b32 v35, v27 offset:704
	s_wait_dscnt 0x0
	v_add_f32_e32 v16, v16, v35
	s_wait_alu 0xfffe
	s_or_b32 exec_lo, exec_lo, s0
	s_and_saveexec_b32 s0, vcc_lo
	s_cbranch_execz .LBB116_131
.LBB116_204:
	ds_load_b32 v35, v27 offset:736
	s_wait_dscnt 0x0
	v_add_f32_e32 v15, v15, v35
	s_wait_alu 0xfffe
	s_or_b32 exec_lo, exec_lo, s0
	s_and_saveexec_b32 s0, vcc_lo
	s_cbranch_execz .LBB116_132
.LBB116_205:
	ds_load_b32 v35, v27 offset:768
	s_wait_dscnt 0x0
	v_add_f32_e32 v14, v14, v35
	s_wait_alu 0xfffe
	s_or_b32 exec_lo, exec_lo, s0
	s_and_saveexec_b32 s0, vcc_lo
	s_cbranch_execz .LBB116_133
.LBB116_206:
	ds_load_b32 v35, v27 offset:800
	s_wait_dscnt 0x0
	v_add_f32_e32 v13, v13, v35
	s_wait_alu 0xfffe
	s_or_b32 exec_lo, exec_lo, s0
	s_and_saveexec_b32 s0, vcc_lo
	s_cbranch_execz .LBB116_134
.LBB116_207:
	ds_load_b32 v35, v27 offset:832
	s_wait_dscnt 0x0
	v_add_f32_e32 v11, v11, v35
	s_wait_alu 0xfffe
	s_or_b32 exec_lo, exec_lo, s0
	s_and_saveexec_b32 s0, vcc_lo
	s_cbranch_execz .LBB116_135
.LBB116_208:
	ds_load_b32 v35, v27 offset:864
	s_wait_dscnt 0x0
	v_add_f32_e32 v9, v9, v35
	s_wait_alu 0xfffe
	s_or_b32 exec_lo, exec_lo, s0
	s_and_saveexec_b32 s0, vcc_lo
	s_cbranch_execz .LBB116_136
.LBB116_209:
	ds_load_b32 v35, v27 offset:896
	s_wait_dscnt 0x0
	v_add_f32_e32 v8, v8, v35
	s_wait_alu 0xfffe
	s_or_b32 exec_lo, exec_lo, s0
	s_and_saveexec_b32 s0, vcc_lo
	s_cbranch_execz .LBB116_137
.LBB116_210:
	ds_load_b32 v35, v27 offset:928
	s_wait_dscnt 0x0
	v_add_f32_e32 v7, v7, v35
	s_wait_alu 0xfffe
	s_or_b32 exec_lo, exec_lo, s0
	s_and_saveexec_b32 s0, vcc_lo
	s_cbranch_execz .LBB116_138
.LBB116_211:
	ds_load_b32 v35, v27 offset:960
	s_wait_dscnt 0x0
	v_add_f32_e32 v10, v10, v35
	s_wait_alu 0xfffe
	s_or_b32 exec_lo, exec_lo, s0
	s_and_saveexec_b32 s0, vcc_lo
	s_cbranch_execnz .LBB116_139
	s_branch .LBB116_140
.LBB116_212:
	ds_load_b32 v34, v27
	s_wait_dscnt 0x0
	v_add_f32_e32 v33, v33, v34
	s_wait_alu 0xfffe
	s_or_b32 exec_lo, exec_lo, s1
	s_and_saveexec_b32 s1, vcc_lo
	s_cbranch_execz .LBB116_146
.LBB116_213:
	ds_load_b32 v34, v27 offset:32
	s_wait_dscnt 0x0
	v_add_f32_e32 v32, v32, v34
	s_wait_alu 0xfffe
	s_or_b32 exec_lo, exec_lo, s1
	s_and_saveexec_b32 s1, vcc_lo
	s_cbranch_execz .LBB116_147
.LBB116_214:
	ds_load_b32 v34, v27 offset:64
	s_wait_dscnt 0x0
	v_add_f32_e32 v30, v30, v34
	s_wait_alu 0xfffe
	s_or_b32 exec_lo, exec_lo, s1
	s_and_saveexec_b32 s1, vcc_lo
	s_cbranch_execz .LBB116_148
.LBB116_215:
	ds_load_b32 v34, v27 offset:96
	s_wait_dscnt 0x0
	v_add_f32_e32 v29, v29, v34
	s_wait_alu 0xfffe
	s_or_b32 exec_lo, exec_lo, s1
	s_and_saveexec_b32 s1, vcc_lo
	s_cbranch_execz .LBB116_149
.LBB116_216:
	ds_load_b32 v34, v27 offset:128
	s_wait_dscnt 0x0
	v_add_f32_e32 v5, v5, v34
	s_wait_alu 0xfffe
	s_or_b32 exec_lo, exec_lo, s1
	s_and_saveexec_b32 s1, vcc_lo
	s_cbranch_execz .LBB116_150
.LBB116_217:
	ds_load_b32 v34, v27 offset:160
	s_wait_dscnt 0x0
	v_add_f32_e32 v2, v2, v34
	s_wait_alu 0xfffe
	s_or_b32 exec_lo, exec_lo, s1
	s_and_saveexec_b32 s1, vcc_lo
	s_cbranch_execz .LBB116_151
.LBB116_218:
	ds_load_b32 v34, v27 offset:192
	s_wait_dscnt 0x0
	v_add_f32_e32 v1, v1, v34
	s_wait_alu 0xfffe
	s_or_b32 exec_lo, exec_lo, s1
	s_and_saveexec_b32 s1, vcc_lo
	s_cbranch_execz .LBB116_152
.LBB116_219:
	ds_load_b32 v34, v27 offset:224
	s_wait_dscnt 0x0
	v_add_f32_e32 v3, v3, v34
	s_wait_alu 0xfffe
	s_or_b32 exec_lo, exec_lo, s1
	s_and_saveexec_b32 s1, vcc_lo
	s_cbranch_execz .LBB116_153
.LBB116_220:
	ds_load_b32 v34, v27 offset:256
	s_wait_dscnt 0x0
	v_add_f32_e32 v31, v31, v34
	s_wait_alu 0xfffe
	s_or_b32 exec_lo, exec_lo, s1
	s_and_saveexec_b32 s1, vcc_lo
	s_cbranch_execz .LBB116_154
.LBB116_221:
	ds_load_b32 v34, v27 offset:288
	s_wait_dscnt 0x0
	v_add_f32_e32 v28, v28, v34
	s_wait_alu 0xfffe
	s_or_b32 exec_lo, exec_lo, s1
	s_and_saveexec_b32 s1, vcc_lo
	s_cbranch_execz .LBB116_155
.LBB116_222:
	ds_load_b32 v34, v27 offset:320
	s_wait_dscnt 0x0
	v_add_f32_e32 v6, v6, v34
	s_wait_alu 0xfffe
	s_or_b32 exec_lo, exec_lo, s1
	s_and_saveexec_b32 s1, vcc_lo
	s_cbranch_execz .LBB116_156
.LBB116_223:
	ds_load_b32 v34, v27 offset:352
	s_wait_dscnt 0x0
	v_add_f32_e32 v4, v4, v34
	s_wait_alu 0xfffe
	s_or_b32 exec_lo, exec_lo, s1
	s_and_saveexec_b32 s1, vcc_lo
	s_cbranch_execz .LBB116_157
.LBB116_224:
	ds_load_b32 v34, v27 offset:384
	s_wait_dscnt 0x0
	v_add_f32_e32 v26, v26, v34
	s_wait_alu 0xfffe
	s_or_b32 exec_lo, exec_lo, s1
	s_and_saveexec_b32 s1, vcc_lo
	s_cbranch_execz .LBB116_158
.LBB116_225:
	ds_load_b32 v34, v27 offset:416
	s_wait_dscnt 0x0
	v_add_f32_e32 v25, v25, v34
	s_wait_alu 0xfffe
	s_or_b32 exec_lo, exec_lo, s1
	s_and_saveexec_b32 s1, vcc_lo
	s_cbranch_execz .LBB116_159
.LBB116_226:
	ds_load_b32 v34, v27 offset:448
	s_wait_dscnt 0x0
	v_add_f32_e32 v24, v24, v34
	s_wait_alu 0xfffe
	s_or_b32 exec_lo, exec_lo, s1
	s_and_saveexec_b32 s1, vcc_lo
	s_cbranch_execz .LBB116_160
.LBB116_227:
	ds_load_b32 v34, v27 offset:480
	s_wait_dscnt 0x0
	v_add_f32_e32 v23, v23, v34
	s_wait_alu 0xfffe
	s_or_b32 exec_lo, exec_lo, s1
	s_and_saveexec_b32 s1, vcc_lo
	s_cbranch_execz .LBB116_161
.LBB116_228:
	ds_load_b32 v34, v27 offset:512
	s_wait_dscnt 0x0
	v_add_f32_e32 v22, v22, v34
	s_wait_alu 0xfffe
	s_or_b32 exec_lo, exec_lo, s1
	s_and_saveexec_b32 s1, vcc_lo
	s_cbranch_execz .LBB116_162
.LBB116_229:
	ds_load_b32 v34, v27 offset:544
	s_wait_dscnt 0x0
	v_add_f32_e32 v21, v21, v34
	s_wait_alu 0xfffe
	s_or_b32 exec_lo, exec_lo, s1
	s_and_saveexec_b32 s1, vcc_lo
	s_cbranch_execz .LBB116_163
.LBB116_230:
	ds_load_b32 v34, v27 offset:576
	s_wait_dscnt 0x0
	v_add_f32_e32 v20, v20, v34
	s_wait_alu 0xfffe
	s_or_b32 exec_lo, exec_lo, s1
	s_and_saveexec_b32 s1, vcc_lo
	s_cbranch_execz .LBB116_164
.LBB116_231:
	ds_load_b32 v34, v27 offset:608
	s_wait_dscnt 0x0
	v_add_f32_e32 v19, v19, v34
	s_wait_alu 0xfffe
	s_or_b32 exec_lo, exec_lo, s1
	s_and_saveexec_b32 s1, vcc_lo
	s_cbranch_execz .LBB116_165
.LBB116_232:
	ds_load_b32 v34, v27 offset:640
	s_wait_dscnt 0x0
	v_add_f32_e32 v18, v18, v34
	s_wait_alu 0xfffe
	s_or_b32 exec_lo, exec_lo, s1
	s_and_saveexec_b32 s1, vcc_lo
	s_cbranch_execz .LBB116_166
.LBB116_233:
	ds_load_b32 v34, v27 offset:672
	s_wait_dscnt 0x0
	v_add_f32_e32 v17, v17, v34
	s_wait_alu 0xfffe
	s_or_b32 exec_lo, exec_lo, s1
	s_and_saveexec_b32 s1, vcc_lo
	s_cbranch_execz .LBB116_167
.LBB116_234:
	ds_load_b32 v34, v27 offset:704
	s_wait_dscnt 0x0
	v_add_f32_e32 v16, v16, v34
	s_wait_alu 0xfffe
	s_or_b32 exec_lo, exec_lo, s1
	s_and_saveexec_b32 s1, vcc_lo
	s_cbranch_execz .LBB116_168
.LBB116_235:
	ds_load_b32 v34, v27 offset:736
	s_wait_dscnt 0x0
	v_add_f32_e32 v15, v15, v34
	s_wait_alu 0xfffe
	s_or_b32 exec_lo, exec_lo, s1
	s_and_saveexec_b32 s1, vcc_lo
	s_cbranch_execz .LBB116_169
.LBB116_236:
	ds_load_b32 v34, v27 offset:768
	s_wait_dscnt 0x0
	v_add_f32_e32 v14, v14, v34
	s_wait_alu 0xfffe
	s_or_b32 exec_lo, exec_lo, s1
	s_and_saveexec_b32 s1, vcc_lo
	s_cbranch_execz .LBB116_170
.LBB116_237:
	ds_load_b32 v34, v27 offset:800
	s_wait_dscnt 0x0
	v_add_f32_e32 v13, v13, v34
	s_wait_alu 0xfffe
	s_or_b32 exec_lo, exec_lo, s1
	s_and_saveexec_b32 s1, vcc_lo
	s_cbranch_execz .LBB116_171
.LBB116_238:
	ds_load_b32 v34, v27 offset:832
	s_wait_dscnt 0x0
	v_add_f32_e32 v11, v11, v34
	s_wait_alu 0xfffe
	s_or_b32 exec_lo, exec_lo, s1
	s_and_saveexec_b32 s1, vcc_lo
	s_cbranch_execz .LBB116_172
.LBB116_239:
	ds_load_b32 v34, v27 offset:864
	s_wait_dscnt 0x0
	v_add_f32_e32 v9, v9, v34
	s_wait_alu 0xfffe
	s_or_b32 exec_lo, exec_lo, s1
	s_and_saveexec_b32 s1, vcc_lo
	s_cbranch_execz .LBB116_173
.LBB116_240:
	ds_load_b32 v34, v27 offset:896
	s_wait_dscnt 0x0
	v_add_f32_e32 v8, v8, v34
	s_wait_alu 0xfffe
	s_or_b32 exec_lo, exec_lo, s1
	s_and_saveexec_b32 s1, vcc_lo
	s_cbranch_execz .LBB116_174
.LBB116_241:
	ds_load_b32 v34, v27 offset:928
	s_wait_dscnt 0x0
	v_add_f32_e32 v7, v7, v34
	s_wait_alu 0xfffe
	s_or_b32 exec_lo, exec_lo, s1
	s_and_saveexec_b32 s1, vcc_lo
	s_cbranch_execz .LBB116_175
.LBB116_242:
	ds_load_b32 v34, v27 offset:960
	s_wait_dscnt 0x0
	v_add_f32_e32 v10, v10, v34
	s_wait_alu 0xfffe
	s_or_b32 exec_lo, exec_lo, s1
	s_and_saveexec_b32 s1, vcc_lo
	s_cbranch_execnz .LBB116_176
	s_branch .LBB116_177
	.section	.rodata,"a",@progbits
	.p2align	6, 0x0
	.amdhsa_kernel _ZN4vllm25paged_attention_v2_kernelIttLi256ELi32ELi128ELNS_18Fp8KVCacheDataTypeE0ELb1ELi512EEEvPfS2_PT_PKS3_PKT0_S9_ifPKiSB_iPKfiiiSD_SD_iiiii
		.amdhsa_group_segment_fixed_size 544
		.amdhsa_private_segment_fixed_size 0
		.amdhsa_kernarg_size 400
		.amdhsa_user_sgpr_count 2
		.amdhsa_user_sgpr_dispatch_ptr 0
		.amdhsa_user_sgpr_queue_ptr 0
		.amdhsa_user_sgpr_kernarg_segment_ptr 1
		.amdhsa_user_sgpr_dispatch_id 0
		.amdhsa_user_sgpr_private_segment_size 0
		.amdhsa_wavefront_size32 1
		.amdhsa_uses_dynamic_stack 0
		.amdhsa_enable_private_segment 0
		.amdhsa_system_sgpr_workgroup_id_x 1
		.amdhsa_system_sgpr_workgroup_id_y 1
		.amdhsa_system_sgpr_workgroup_id_z 1
		.amdhsa_system_sgpr_workgroup_info 0
		.amdhsa_system_vgpr_workitem_id 0
		.amdhsa_next_free_vgpr 163
		.amdhsa_next_free_sgpr 42
		.amdhsa_reserve_vcc 1
		.amdhsa_float_round_mode_32 0
		.amdhsa_float_round_mode_16_64 0
		.amdhsa_float_denorm_mode_32 3
		.amdhsa_float_denorm_mode_16_64 3
		.amdhsa_fp16_overflow 0
		.amdhsa_workgroup_processor_mode 1
		.amdhsa_memory_ordered 1
		.amdhsa_forward_progress 1
		.amdhsa_inst_pref_size 192
		.amdhsa_round_robin_scheduling 0
		.amdhsa_exception_fp_ieee_invalid_op 0
		.amdhsa_exception_fp_denorm_src 0
		.amdhsa_exception_fp_ieee_div_zero 0
		.amdhsa_exception_fp_ieee_overflow 0
		.amdhsa_exception_fp_ieee_underflow 0
		.amdhsa_exception_fp_ieee_inexact 0
		.amdhsa_exception_int_div_zero 0
	.end_amdhsa_kernel
	.section	.text._ZN4vllm25paged_attention_v2_kernelIttLi256ELi32ELi128ELNS_18Fp8KVCacheDataTypeE0ELb1ELi512EEEvPfS2_PT_PKS3_PKT0_S9_ifPKiSB_iPKfiiiSD_SD_iiiii,"axG",@progbits,_ZN4vllm25paged_attention_v2_kernelIttLi256ELi32ELi128ELNS_18Fp8KVCacheDataTypeE0ELb1ELi512EEEvPfS2_PT_PKS3_PKT0_S9_ifPKiSB_iPKfiiiSD_SD_iiiii,comdat
.Lfunc_end116:
	.size	_ZN4vllm25paged_attention_v2_kernelIttLi256ELi32ELi128ELNS_18Fp8KVCacheDataTypeE0ELb1ELi512EEEvPfS2_PT_PKS3_PKT0_S9_ifPKiSB_iPKfiiiSD_SD_iiiii, .Lfunc_end116-_ZN4vllm25paged_attention_v2_kernelIttLi256ELi32ELi128ELNS_18Fp8KVCacheDataTypeE0ELb1ELi512EEEvPfS2_PT_PKS3_PKT0_S9_ifPKiSB_iPKfiiiSD_SD_iiiii
                                        ; -- End function
	.set _ZN4vllm25paged_attention_v2_kernelIttLi256ELi32ELi128ELNS_18Fp8KVCacheDataTypeE0ELb1ELi512EEEvPfS2_PT_PKS3_PKT0_S9_ifPKiSB_iPKfiiiSD_SD_iiiii.num_vgpr, 163
	.set _ZN4vllm25paged_attention_v2_kernelIttLi256ELi32ELi128ELNS_18Fp8KVCacheDataTypeE0ELb1ELi512EEEvPfS2_PT_PKS3_PKT0_S9_ifPKiSB_iPKfiiiSD_SD_iiiii.num_agpr, 0
	.set _ZN4vllm25paged_attention_v2_kernelIttLi256ELi32ELi128ELNS_18Fp8KVCacheDataTypeE0ELb1ELi512EEEvPfS2_PT_PKS3_PKT0_S9_ifPKiSB_iPKfiiiSD_SD_iiiii.numbered_sgpr, 42
	.set _ZN4vllm25paged_attention_v2_kernelIttLi256ELi32ELi128ELNS_18Fp8KVCacheDataTypeE0ELb1ELi512EEEvPfS2_PT_PKS3_PKT0_S9_ifPKiSB_iPKfiiiSD_SD_iiiii.num_named_barrier, 0
	.set _ZN4vllm25paged_attention_v2_kernelIttLi256ELi32ELi128ELNS_18Fp8KVCacheDataTypeE0ELb1ELi512EEEvPfS2_PT_PKS3_PKT0_S9_ifPKiSB_iPKfiiiSD_SD_iiiii.private_seg_size, 0
	.set _ZN4vllm25paged_attention_v2_kernelIttLi256ELi32ELi128ELNS_18Fp8KVCacheDataTypeE0ELb1ELi512EEEvPfS2_PT_PKS3_PKT0_S9_ifPKiSB_iPKfiiiSD_SD_iiiii.uses_vcc, 1
	.set _ZN4vllm25paged_attention_v2_kernelIttLi256ELi32ELi128ELNS_18Fp8KVCacheDataTypeE0ELb1ELi512EEEvPfS2_PT_PKS3_PKT0_S9_ifPKiSB_iPKfiiiSD_SD_iiiii.uses_flat_scratch, 0
	.set _ZN4vllm25paged_attention_v2_kernelIttLi256ELi32ELi128ELNS_18Fp8KVCacheDataTypeE0ELb1ELi512EEEvPfS2_PT_PKS3_PKT0_S9_ifPKiSB_iPKfiiiSD_SD_iiiii.has_dyn_sized_stack, 0
	.set _ZN4vllm25paged_attention_v2_kernelIttLi256ELi32ELi128ELNS_18Fp8KVCacheDataTypeE0ELb1ELi512EEEvPfS2_PT_PKS3_PKT0_S9_ifPKiSB_iPKfiiiSD_SD_iiiii.has_recursion, 0
	.set _ZN4vllm25paged_attention_v2_kernelIttLi256ELi32ELi128ELNS_18Fp8KVCacheDataTypeE0ELb1ELi512EEEvPfS2_PT_PKS3_PKT0_S9_ifPKiSB_iPKfiiiSD_SD_iiiii.has_indirect_call, 0
	.section	.AMDGPU.csdata,"",@progbits
; Kernel info:
; codeLenInByte = 24476
; TotalNumSgprs: 44
; NumVgprs: 163
; ScratchSize: 0
; MemoryBound: 0
; FloatMode: 240
; IeeeMode: 1
; LDSByteSize: 544 bytes/workgroup (compile time only)
; SGPRBlocks: 0
; VGPRBlocks: 20
; NumSGPRsForWavesPerEU: 44
; NumVGPRsForWavesPerEU: 163
; Occupancy: 9
; WaveLimiterHint : 1
; COMPUTE_PGM_RSRC2:SCRATCH_EN: 0
; COMPUTE_PGM_RSRC2:USER_SGPR: 2
; COMPUTE_PGM_RSRC2:TRAP_HANDLER: 0
; COMPUTE_PGM_RSRC2:TGID_X_EN: 1
; COMPUTE_PGM_RSRC2:TGID_Y_EN: 1
; COMPUTE_PGM_RSRC2:TGID_Z_EN: 1
; COMPUTE_PGM_RSRC2:TIDIG_COMP_CNT: 0
	.section	.text._ZN4vllm25paged_attention_v2_kernelIttLi32ELi32ELi128ELNS_18Fp8KVCacheDataTypeE0ELb0ELi512EEEvPfS2_PT_PKS3_PKT0_S9_ifPKiSB_iPKfiiiSD_SD_iiiii,"axG",@progbits,_ZN4vllm25paged_attention_v2_kernelIttLi32ELi32ELi128ELNS_18Fp8KVCacheDataTypeE0ELb0ELi512EEEvPfS2_PT_PKS3_PKT0_S9_ifPKiSB_iPKfiiiSD_SD_iiiii,comdat
	.protected	_ZN4vllm25paged_attention_v2_kernelIttLi32ELi32ELi128ELNS_18Fp8KVCacheDataTypeE0ELb0ELi512EEEvPfS2_PT_PKS3_PKT0_S9_ifPKiSB_iPKfiiiSD_SD_iiiii ; -- Begin function _ZN4vllm25paged_attention_v2_kernelIttLi32ELi32ELi128ELNS_18Fp8KVCacheDataTypeE0ELb0ELi512EEEvPfS2_PT_PKS3_PKT0_S9_ifPKiSB_iPKfiiiSD_SD_iiiii
	.globl	_ZN4vllm25paged_attention_v2_kernelIttLi32ELi32ELi128ELNS_18Fp8KVCacheDataTypeE0ELb0ELi512EEEvPfS2_PT_PKS3_PKT0_S9_ifPKiSB_iPKfiiiSD_SD_iiiii
	.p2align	8
	.type	_ZN4vllm25paged_attention_v2_kernelIttLi32ELi32ELi128ELNS_18Fp8KVCacheDataTypeE0ELb0ELi512EEEvPfS2_PT_PKS3_PKT0_S9_ifPKiSB_iPKfiiiSD_SD_iiiii,@function
_ZN4vllm25paged_attention_v2_kernelIttLi32ELi32ELi128ELNS_18Fp8KVCacheDataTypeE0ELb0ELi512EEEvPfS2_PT_PKS3_PKT0_S9_ifPKiSB_iPKfiiiSD_SD_iiiii: ; @_ZN4vllm25paged_attention_v2_kernelIttLi32ELi32ELi128ELNS_18Fp8KVCacheDataTypeE0ELb0ELi512EEEvPfS2_PT_PKS3_PKT0_S9_ifPKiSB_iPKfiiiSD_SD_iiiii
; %bb.0:
	s_load_b64 s[2:3], s[0:1], 0x40
	s_and_b32 s18, ttmp7, 0xffff
	s_lshr_b32 s24, ttmp7, 16
	s_lshl_b32 s4, s18, 2
	s_lshl_b32 s26, s24, 9
	s_wait_kmcnt 0x0
	s_load_b32 s25, s[2:3], s4 offset:0x0
	s_wait_kmcnt 0x0
	s_cmp_ge_i32 s26, s25
	s_cbranch_scc1 .LBB117_58
; %bb.1:
	s_clause 0x1
	s_load_b32 s19, s[0:1], 0x90
	s_load_b64 s[4:5], s[0:1], 0x30
	s_wait_kmcnt 0x0
	s_abs_i32 s7, s19
	s_abs_i32 s2, s4
	s_xor_b32 s4, s19, s4
	s_cvt_f32_u32 s3, s2
	s_sub_co_i32 s6, 0, s2
	s_ashr_i32 s4, s4, 31
	s_delay_alu instid0(SALU_CYCLE_1) | instskip(NEXT) | instid1(TRANS32_DEP_1)
	v_rcp_iflag_f32_e32 v1, s3
	v_readfirstlane_b32 s3, v1
	s_mul_f32 s3, s3, 0x4f7ffffe
	s_wait_alu 0xfffe
	s_delay_alu instid0(SALU_CYCLE_2) | instskip(SKIP_1) | instid1(SALU_CYCLE_2)
	s_cvt_u32_f32 s3, s3
	s_wait_alu 0xfffe
	s_mul_i32 s6, s6, s3
	s_delay_alu instid0(SALU_CYCLE_1) | instskip(NEXT) | instid1(SALU_CYCLE_1)
	s_mul_hi_u32 s6, s3, s6
	s_add_co_i32 s3, s3, s6
	s_wait_alu 0xfffe
	s_mul_hi_u32 s3, s7, s3
	s_wait_alu 0xfffe
	s_mul_i32 s6, s3, s2
	s_delay_alu instid0(SALU_CYCLE_1)
	s_sub_co_i32 s6, s7, s6
	s_add_co_i32 s7, s3, 1
	s_sub_co_i32 s8, s6, s2
	s_cmp_ge_u32 s6, s2
	s_cselect_b32 s3, s7, s3
	s_cselect_b32 s6, s8, s6
	s_wait_alu 0xfffe
	s_add_co_i32 s7, s3, 1
	s_cmp_ge_u32 s6, s2
	s_load_b64 s[8:9], s[0:1], 0x50
	s_cselect_b32 s2, s7, s3
	s_mov_b32 s3, 0
	s_wait_alu 0xfffe
	s_xor_b32 s2, s2, s4
	s_mov_b32 s11, s3
	s_wait_alu 0xfffe
	s_sub_co_i32 s12, s2, s4
	s_delay_alu instid0(SALU_CYCLE_1) | instskip(NEXT) | instid1(SALU_CYCLE_1)
	s_abs_i32 s4, s12
	s_cvt_f32_u32 s2, s4
	s_wait_alu 0xfffe
	s_delay_alu instid0(SALU_CYCLE_2) | instskip(NEXT) | instid1(TRANS32_DEP_1)
	v_rcp_iflag_f32_e32 v1, s2
	v_readfirstlane_b32 s2, v1
	s_mul_f32 s2, s2, 0x4f7ffffe
	s_wait_alu 0xfffe
	s_delay_alu instid0(SALU_CYCLE_2) | instskip(SKIP_2) | instid1(SALU_CYCLE_1)
	s_cvt_u32_f32 s6, s2
	s_sub_co_i32 s2, 0, s4
	s_wait_alu 0xfffe
	s_mul_i32 s2, s2, s6
	s_wait_alu 0xfffe
	s_mul_hi_u32 s7, s6, s2
	s_abs_i32 s2, ttmp9
	s_add_co_i32 s6, s6, s7
	s_mov_b32 s7, s3
	s_wait_kmcnt 0x0
	s_cmp_eq_u64 s[8:9], 0
	s_cbranch_scc1 .LBB117_3
; %bb.2:
	s_mov_b32 s10, ttmp9
	s_ashr_i32 s11, ttmp9, 31
	s_delay_alu instid0(SALU_CYCLE_1) | instskip(NEXT) | instid1(SALU_CYCLE_1)
	s_lshl_b64 s[10:11], s[10:11], 2
	s_add_nc_u64 s[8:9], s[8:9], s[10:11]
	s_load_b32 s11, s[8:9], 0x0
.LBB117_3:
	s_load_b96 s[8:10], s[0:1], 0x58
	v_lshlrev_b32_e32 v3, 4, v0
	s_mul_u64 s[6:7], s[2:3], s[6:7]
	s_ashr_i32 s3, ttmp9, 31
	s_ashr_i32 s6, s12, 31
	s_lshl_b32 s12, ttmp9, 5
	s_mov_b32 s14, exec_lo
	v_cmpx_gt_u32_e32 4, v0
	s_cbranch_execz .LBB117_5
; %bb.4:
	s_load_b64 s[16:17], s[0:1], 0x18
	s_wait_kmcnt 0x0
	s_mul_i32 s20, s8, s18
	s_ashr_i32 s13, s12, 31
	s_ashr_i32 s21, s20, 31
	s_delay_alu instid0(SALU_CYCLE_1) | instskip(NEXT) | instid1(SALU_CYCLE_1)
	s_lshl_b64 s[20:21], s[20:21], 1
	s_add_nc_u64 s[16:17], s[16:17], s[20:21]
	s_lshl_b64 s[20:21], s[12:13], 1
	s_delay_alu instid0(SALU_CYCLE_1)
	s_add_nc_u64 s[16:17], s[16:17], s[20:21]
	global_load_b128 v[4:7], v3, s[16:17]
	s_wait_loadcnt 0x0
	ds_store_b128 v3, v[4:7]
.LBB117_5:
	s_or_b32 exec_lo, exec_lo, s14
	s_wait_kmcnt 0x0
	s_add_co_i32 s8, s25, 31
	s_lshl_b32 s28, s24, 4
	s_ashr_i32 s13, s8, 31
	s_mul_i32 s17, s7, s4
	s_lshr_b32 s13, s13, 27
	s_sub_co_i32 s2, s2, s17
	s_add_co_i32 s8, s8, s13
	s_add_co_i32 s13, s28, 16
	s_ashr_i32 s27, s8, 5
	s_clause 0x2
	s_load_b64 s[14:15], s[0:1], 0x38
	s_load_b32 s8, s[0:1], 0x98
	s_load_b32 s16, s[0:1], 0x48
	s_min_i32 s13, s13, s27
	s_xor_b32 s3, s3, s6
	s_add_co_i32 s6, s7, 1
	s_sub_co_i32 s17, s2, s4
	s_cmp_ge_u32 s2, s4
	v_lshrrev_b32_e32 v9, 5, v0
	s_cselect_b32 s6, s6, s7
	s_cselect_b32 s2, s17, s2
	s_add_co_i32 s7, s6, 1
	s_wait_alu 0xfffe
	s_cmp_ge_u32 s2, s4
	v_and_b32_e32 v10, 31, v0
	v_dual_mov_b32 v6, 0xff7fffff :: v_dual_add_nc_u32 v11, s28, v9
	s_cselect_b32 s2, s7, s6
	s_wait_dscnt 0x0
	s_wait_alu 0xfffe
	s_xor_b32 s2, s2, s3
	v_lshlrev_b32_e32 v5, 2, v10
	s_wait_alu 0xfffe
	s_sub_co_i32 s3, s2, s3
	v_cmp_gt_i32_e64 s2, s13, v11
	v_lshlrev_b32_e32 v4, 2, v11
	s_wait_kmcnt 0x0
	s_mul_i32 s16, s16, s18
	s_wait_alu 0xfffe
	s_mul_i32 s20, s3, s10
	s_ashr_i32 s17, s16, 31
	s_barrier_signal -1
	s_barrier_wait -1
	global_inv scope:SCOPE_SE
	s_and_saveexec_b32 s6, s2
	s_cbranch_execz .LBB117_9
; %bb.6:
	s_load_b64 s[22:23], s[0:1], 0x20
	s_ashr_i32 s21, s20, 31
	v_lshlrev_b32_e32 v1, 5, v9
	s_lshl_b64 s[30:31], s[20:21], 1
	s_cmp_neq_f32 s11, 0
	v_dual_mov_b32 v6, 0xff7fffff :: v_dual_lshlrev_b32 v13, 4, v10
	v_lshl_or_b32 v2, v9, 7, v5
	s_cselect_b32 vcc_lo, -1, 0
	s_lshl_b64 s[34:35], s[16:17], 2
	v_add3_u32 v8, s26, v1, v10
	s_add_nc_u64 s[34:35], s[14:15], s[34:35]
	v_dual_mov_b32 v7, 0 :: v_dual_add_nc_u32 v12, 0x60, v2
	v_add_co_u32 v1, s3, s34, v4
	s_wait_alu 0xf1ff
	v_add_co_ci_u32_e64 v2, null, s35, 0, s3
	v_mov_b32_e32 v15, v11
	s_mov_b32 s10, s9
	s_wait_kmcnt 0x0
	s_add_nc_u64 s[22:23], s[22:23], s[30:31]
	s_mov_b32 s7, 0
	v_add_co_u32 v13, s3, s22, v13
	s_wait_alu 0xf1ff
	v_add_co_ci_u32_e64 v14, null, s23, 0, s3
	s_sub_co_i32 s21, 1, s25
.LBB117_7:                              ; =>This Inner Loop Header: Depth=1
	global_load_b32 v16, v[1:2], off
	v_dual_max_num_f32 v37, v6, v6 :: v_dual_add_nc_u32 v36, s21, v8
	s_delay_alu instid0(VALU_DEP_1) | instskip(SKIP_2) | instid1(VALU_DEP_1)
	v_cvt_f32_i32_e32 v36, v36
	s_wait_loadcnt 0x0
	v_mad_co_i64_i32 v[16:17], null, v16, s10, 0
	v_lshlrev_b64_e32 v[16:17], 1, v[16:17]
	s_delay_alu instid0(VALU_DEP_1) | instskip(SKIP_1) | instid1(VALU_DEP_2)
	v_add_co_u32 v28, s3, v13, v16
	s_wait_alu 0xf1ff
	v_add_co_ci_u32_e64 v29, null, v14, v17, s3
	v_add_co_u32 v1, s3, v1, 16
	s_wait_alu 0xf1ff
	v_add_co_ci_u32_e64 v2, null, 0, v2, s3
	s_clause 0x3
	global_load_b128 v[16:19], v[28:29], off
	global_load_b128 v[20:23], v[28:29], off offset:512
	global_load_b128 v[24:27], v[28:29], off offset:1024
	;; [unrolled: 1-line block ×3, first 2 shown]
	ds_load_b128 v[32:35], v7
	v_mul_f32_e32 v36, s11, v36
	v_cmp_gt_i32_e64 s3, s25, v8
	v_add_nc_u32_e32 v8, 0x80, v8
	s_wait_dscnt 0x0
	v_lshrrev_b32_e32 v38, 16, v32
	v_and_b32_e32 v32, 0xffff, v32
	v_lshrrev_b32_e32 v39, 16, v33
	v_and_b32_e32 v40, 0xffff, v33
	;; [unrolled: 2-line block ×4, first 2 shown]
	;;#ASMSTART
	v_cvt_f32_f16 v32, v32;
	;;#ASMEND
	;;#ASMSTART
	v_cvt_f32_f16 v33, v38;
	;;#ASMEND
	s_wait_loadcnt 0x3
	v_lshrrev_b32_e32 v38, 16, v16
	v_and_b32_e32 v16, 0xffff, v16
	v_lshrrev_b32_e32 v43, 16, v17
	v_and_b32_e32 v17, 0xffff, v17
	;; [unrolled: 2-line block ×4, first 2 shown]
	s_wait_loadcnt 0x2
	v_lshrrev_b32_e32 v46, 16, v20
	v_and_b32_e32 v47, 0xffff, v20
	v_lshrrev_b32_e32 v48, 16, v21
	v_and_b32_e32 v49, 0xffff, v21
	;; [unrolled: 2-line block ×3, first 2 shown]
	v_lshrrev_b32_e32 v53, 16, v23
	s_wait_loadcnt 0x1
	v_lshrrev_b32_e32 v54, 16, v24
	v_and_b32_e32 v55, 0xffff, v24
	v_lshrrev_b32_e32 v56, 16, v25
	v_lshrrev_b32_e32 v58, 16, v26
	;; [unrolled: 1-line block ×3, first 2 shown]
	s_wait_loadcnt 0x0
	v_lshrrev_b32_e32 v62, 16, v28
	v_and_b32_e32 v63, 0xffff, v28
	v_lshrrev_b32_e32 v64, 16, v29
	v_and_b32_e32 v65, 0xffff, v29
	;; [unrolled: 2-line block ×4, first 2 shown]
	;;#ASMSTART
	v_cvt_f32_f16 v20, v16;
	;;#ASMEND
	v_and_b32_e32 v57, 0xffff, v25
	;;#ASMSTART
	v_cvt_f32_f16 v21, v38;
	;;#ASMEND
	v_and_b32_e32 v52, 0xffff, v23
	;;#ASMSTART
	v_cvt_f32_f16 v22, v40;
	;;#ASMEND
	;;#ASMSTART
	v_cvt_f32_f16 v23, v39;
	;;#ASMEND
	;; [unrolled: 3-line block ×3, first 2 shown]
	v_and_b32_e32 v59, 0xffff, v26
	;;#ASMSTART
	v_cvt_f32_f16 v25, v43;
	;;#ASMEND
	;;#ASMSTART
	v_cvt_f32_f16 v26, v34;
	;;#ASMEND
	v_and_b32_e32 v61, 0xffff, v27
	;;#ASMSTART
	v_cvt_f32_f16 v27, v41;
	;;#ASMEND
	;;#ASMSTART
	v_cvt_f32_f16 v28, v18;
	;;#ASMEND
	;; [unrolled: 3-line block ×7, first 2 shown]
	ds_load_b128 v[16:19], v7 offset:16
	s_wait_dscnt 0x0
	v_lshrrev_b32_e32 v39, 16, v16
	v_and_b32_e32 v16, 0xffff, v16
	;;#ASMSTART
	v_cvt_f32_f16 v38, v16;
	;;#ASMEND
	;;#ASMSTART
	v_cvt_f32_f16 v39, v39;
	;;#ASMEND
	;; [unrolled: 3-line block ×4, first 2 shown]
	v_mul_f32_e32 v39, v39, v41
	v_lshrrev_b32_e32 v43, 16, v17
	v_and_b32_e32 v17, 0xffff, v17
	v_lshrrev_b32_e32 v70, 16, v18
	v_and_b32_e32 v18, 0xffff, v18
	;; [unrolled: 2-line block ×3, first 2 shown]
	;;#ASMSTART
	v_cvt_f32_f16 v42, v17;
	;;#ASMEND
	;;#ASMSTART
	v_cvt_f32_f16 v43, v43;
	;;#ASMEND
	;; [unrolled: 3-line block ×10, first 2 shown]
	v_fmac_f32_e32 v39, v33, v21
	;;#ASMSTART
	v_cvt_f32_f16 v52, v52;
	;;#ASMEND
	;;#ASMSTART
	v_cvt_f32_f16 v53, v53;
	;;#ASMEND
	ds_load_b128 v[16:19], v7 offset:32
	v_dual_mul_f32 v41, v43, v45 :: v_dual_mul_f32 v38, v38, v40
	v_mul_f32_e32 v40, v42, v44
	v_dual_mul_f32 v42, v46, v48 :: v_dual_mul_f32 v43, v47, v49
	v_dual_mul_f32 v44, v50, v52 :: v_dual_mul_f32 v45, v51, v53
	s_delay_alu instid0(VALU_DEP_4) | instskip(NEXT) | instid1(VALU_DEP_4)
	v_dual_fmac_f32 v41, v23, v25 :: v_dual_fmac_f32 v38, v32, v20
	v_fmac_f32_e32 v40, v22, v24
	s_delay_alu instid0(VALU_DEP_4) | instskip(NEXT) | instid1(VALU_DEP_4)
	v_dual_fmac_f32 v42, v26, v28 :: v_dual_fmac_f32 v43, v27, v29
	v_dual_fmac_f32 v44, v30, v34 :: v_dual_fmac_f32 v45, v31, v35
	s_wait_dscnt 0x0
	v_lshrrev_b32_e32 v21, 16, v16
	v_lshrrev_b32_e32 v25, 16, v17
	v_and_b32_e32 v16, 0xffff, v16
	v_and_b32_e32 v17, 0xffff, v17
	v_lshrrev_b32_e32 v29, 16, v18
	v_lshrrev_b32_e32 v33, 16, v19
	v_and_b32_e32 v19, 0xffff, v19
	;;#ASMSTART
	v_cvt_f32_f16 v20, v16;
	;;#ASMEND
	;;#ASMSTART
	v_cvt_f32_f16 v21, v21;
	;;#ASMEND
	;; [unrolled: 3-line block ×8, first 2 shown]
	v_dual_fmac_f32 v41, v25, v27 :: v_dual_and_b32 v18, 0xffff, v18
	;;#ASMSTART
	v_cvt_f32_f16 v28, v18;
	;;#ASMEND
	;;#ASMSTART
	v_cvt_f32_f16 v29, v29;
	;;#ASMEND
	;; [unrolled: 3-line block ×8, first 2 shown]
	ds_load_b128 v[16:19], v7 offset:48
	v_dual_fmac_f32 v38, v20, v22 :: v_dual_fmac_f32 v39, v21, v23
	v_dual_fmac_f32 v43, v29, v31 :: v_dual_fmac_f32 v40, v24, v26
	;; [unrolled: 1-line block ×3, first 2 shown]
	v_fmac_f32_e32 v42, v28, v30
	s_wait_dscnt 0x0
	v_lshrrev_b32_e32 v20, 16, v16
	v_and_b32_e32 v16, 0xffff, v16
	v_lshrrev_b32_e32 v21, 16, v17
	v_and_b32_e32 v22, 0xffff, v17
	v_lshrrev_b32_e32 v25, 16, v18
	v_lshrrev_b32_e32 v26, 16, v19
	v_and_b32_e32 v27, 0xffff, v19
	;;#ASMSTART
	v_cvt_f32_f16 v16, v16;
	;;#ASMEND
	;;#ASMSTART
	v_cvt_f32_f16 v17, v20;
	;;#ASMEND
	v_and_b32_e32 v24, 0xffff, v18
	;;#ASMSTART
	v_cvt_f32_f16 v18, v63;
	;;#ASMEND
	;;#ASMSTART
	v_cvt_f32_f16 v19, v62;
	;;#ASMEND
	v_dual_fmac_f32 v38, v16, v18 :: v_dual_fmac_f32 v39, v17, v19
	;;#ASMSTART
	v_cvt_f32_f16 v20, v22;
	;;#ASMEND
	;;#ASMSTART
	v_cvt_f32_f16 v21, v21;
	;;#ASMEND
	;; [unrolled: 3-line block ×7, first 2 shown]
	v_fmac_f32_e32 v40, v20, v22
	;;#ASMSTART
	v_cvt_f32_f16 v18, v66;
	;;#ASMEND
	v_fmac_f32_e32 v43, v25, v18
	v_add_f32_e32 v17, v38, v39
	v_dual_fmac_f32 v41, v21, v23 :: v_dual_fmac_f32 v42, v24, v16
	;;#ASMSTART
	v_cvt_f32_f16 v19, v27;
	;;#ASMEND
	s_delay_alu instid0(VALU_DEP_2) | instskip(NEXT) | instid1(VALU_DEP_1)
	v_add_f32_e32 v17, v17, v40
	v_add_f32_e32 v16, v41, v17
	;;#ASMSTART
	v_cvt_f32_f16 v17, v26;
	;;#ASMEND
	;;#ASMSTART
	v_cvt_f32_f16 v18, v69;
	;;#ASMEND
	v_fmac_f32_e32 v44, v19, v18
	;;#ASMSTART
	v_cvt_f32_f16 v18, v68;
	;;#ASMEND
	v_add_f32_e32 v16, v16, v42
	v_fmac_f32_e32 v45, v17, v18
	v_cndmask_b32_e32 v17, 0, v36, vcc_lo
	s_delay_alu instid0(VALU_DEP_3) | instskip(NEXT) | instid1(VALU_DEP_1)
	v_add_f32_e32 v16, v43, v16
	v_dual_add_f32 v16, v16, v44 :: v_dual_add_nc_u32 v15, 4, v15
	s_delay_alu instid0(VALU_DEP_1) | instskip(NEXT) | instid1(VALU_DEP_2)
	v_add_f32_e32 v16, v45, v16
	v_cmp_le_i32_e64 s4, s13, v15
	s_delay_alu instid0(VALU_DEP_2) | instskip(SKIP_1) | instid1(VALU_DEP_1)
	v_fmac_f32_e32 v17, s5, v16
	s_or_b32 s7, s4, s7
	v_cndmask_b32_e64 v16, 0, v17, s3
	v_max_num_f32_e32 v17, v37, v17
	ds_store_b32 v12, v16
	v_cndmask_b32_e64 v6, v6, v17, s3
	v_add_nc_u32_e32 v12, 0x200, v12
	s_and_not1_b32 exec_lo, exec_lo, s7
	s_cbranch_execnz .LBB117_7
; %bb.8:
	s_or_b32 exec_lo, exec_lo, s7
.LBB117_9:
	s_delay_alu instid0(SALU_CYCLE_1)
	s_or_b32 exec_lo, exec_lo, s6
	v_mbcnt_lo_u32_b32 v1, -1, 0
	v_max_num_f32_e32 v12, v6, v6
	s_clause 0x2
	s_load_b128 s[4:7], s[0:1], 0x0
	s_load_b64 s[10:11], s[0:1], 0x10
	s_load_b64 s[22:23], s[0:1], 0x28
	v_xor_b32_e32 v2, 16, v1
	v_xor_b32_e32 v8, 8, v1
	s_delay_alu instid0(VALU_DEP_2) | instskip(SKIP_2) | instid1(VALU_DEP_3)
	v_cmp_gt_i32_e32 vcc_lo, 32, v2
	s_wait_alu 0xfffd
	v_cndmask_b32_e32 v2, v1, v2, vcc_lo
	v_cmp_gt_i32_e32 vcc_lo, 32, v8
	s_delay_alu instid0(VALU_DEP_2) | instskip(SKIP_4) | instid1(VALU_DEP_1)
	v_lshlrev_b32_e32 v2, 2, v2
	ds_bpermute_b32 v7, v2, v6
	s_wait_dscnt 0x0
	v_max_num_f32_e32 v7, v7, v7
	s_wait_alu 0xfffd
	v_dual_max_num_f32 v7, v12, v7 :: v_dual_cndmask_b32 v6, v1, v8
	v_xor_b32_e32 v12, 4, v1
	s_delay_alu instid0(VALU_DEP_2) | instskip(NEXT) | instid1(VALU_DEP_2)
	v_lshlrev_b32_e32 v6, 2, v6
	v_cmp_gt_i32_e32 vcc_lo, 32, v12
	ds_bpermute_b32 v8, v6, v7
	s_wait_dscnt 0x0
	v_max_num_f32_e32 v13, v8, v8
	s_wait_alu 0xfffd
	s_delay_alu instid0(VALU_DEP_1) | instskip(SKIP_1) | instid1(VALU_DEP_2)
	v_dual_max_num_f32 v7, v7, v13 :: v_dual_cndmask_b32 v12, v1, v12
	v_xor_b32_e32 v13, 2, v1
	v_lshlrev_b32_e32 v8, 2, v12
	s_delay_alu instid0(VALU_DEP_2) | instskip(SKIP_4) | instid1(VALU_DEP_1)
	v_cmp_gt_i32_e32 vcc_lo, 32, v13
	ds_bpermute_b32 v12, v8, v7
	s_wait_dscnt 0x0
	s_wait_alu 0xfffd
	v_dual_cndmask_b32 v13, v1, v13 :: v_dual_max_num_f32 v14, v12, v12
	v_dual_max_num_f32 v7, v7, v14 :: v_dual_lshlrev_b32 v12, 2, v13
	v_xor_b32_e32 v14, 1, v1
	ds_bpermute_b32 v13, v12, v7
	v_cmp_gt_i32_e32 vcc_lo, 32, v14
	s_wait_alu 0xfffd
	v_cndmask_b32_e32 v14, v1, v14, vcc_lo
	v_cmp_eq_u32_e32 vcc_lo, 0, v10
	s_wait_dscnt 0x0
	v_max_num_f32_e32 v13, v13, v13
	s_delay_alu instid0(VALU_DEP_1)
	v_max_num_f32_e32 v1, v7, v13
	v_lshlrev_b32_e32 v13, 2, v14
	v_lshlrev_b32_e32 v14, 2, v9
	ds_bpermute_b32 v7, v13, v1
	s_and_saveexec_b32 s0, vcc_lo
	s_cbranch_execz .LBB117_11
; %bb.10:
	s_wait_dscnt 0x0
	v_max_num_f32_e32 v7, v7, v7
	v_max_num_f32_e32 v1, v1, v1
	s_delay_alu instid0(VALU_DEP_1)
	v_max_num_f32_e32 v1, v1, v7
	ds_store_b32 v14, v1 offset:64
.LBB117_11:
	s_or_b32 exec_lo, exec_lo, s0
	v_cmp_gt_u32_e64 s0, 4, v10
	v_mov_b32_e32 v1, 0xff7fffff
	s_wait_loadcnt_dscnt 0x0
	s_barrier_signal -1
	s_barrier_wait -1
	global_inv scope:SCOPE_SE
	s_and_saveexec_b32 s1, s0
; %bb.12:
	ds_load_b32 v1, v5 offset:64
; %bb.13:
	s_or_b32 exec_lo, exec_lo, s1
	s_wait_dscnt 0x0
	ds_bpermute_b32 v7, v12, v1
	v_max_num_f32_e32 v1, v1, v1
	v_mov_b32_e32 v15, 0
	s_sub_co_i32 s1, s13, s28
	s_delay_alu instid0(SALU_CYCLE_1) | instskip(NEXT) | instid1(SALU_CYCLE_1)
	s_lshl_b32 s1, s1, 5
	s_add_co_i32 s1, s1, s26
	s_delay_alu instid0(SALU_CYCLE_1) | instskip(NEXT) | instid1(SALU_CYCLE_1)
	s_min_i32 s1, s1, s25
	s_sub_co_i32 s21, s1, s26
	s_wait_alu 0xfffe
	v_cmp_gt_i32_e64 s1, s21, v0
	s_wait_dscnt 0x0
	v_max_num_f32_e32 v7, v7, v7
	s_delay_alu instid0(VALU_DEP_1) | instskip(SKIP_3) | instid1(VALU_DEP_1)
	v_max_num_f32_e32 v1, v1, v7
	ds_bpermute_b32 v7, v13, v1
	s_wait_dscnt 0x0
	v_max_num_f32_e32 v7, v7, v7
	v_max_num_f32_e32 v1, v1, v7
	v_lshl_add_u32 v7, v0, 2, 0x60
	ds_bpermute_b32 v1, v15, v1
	s_and_saveexec_b32 s28, s1
	s_cbranch_execz .LBB117_17
; %bb.14:
	v_lshl_add_u32 v16, v0, 2, 0x60
	v_mov_b32_e32 v15, 0
	v_mov_b32_e32 v17, v0
	s_mov_b32 s29, 0
.LBB117_15:                             ; =>This Inner Loop Header: Depth=1
	ds_load_b32 v18, v16
	v_add_nc_u32_e32 v17, 0x80, v17
	s_delay_alu instid0(VALU_DEP_1) | instskip(SKIP_4) | instid1(VALU_DEP_1)
	v_cmp_le_i32_e64 s3, s21, v17
	s_wait_alu 0xfffe
	s_or_b32 s29, s3, s29
	s_wait_dscnt 0x0
	v_sub_f32_e32 v18, v18, v1
	v_mul_f32_e32 v18, 0x3fb8aa3b, v18
	s_delay_alu instid0(VALU_DEP_1)
	v_exp_f32_e32 v18, v18
	ds_store_b32 v16, v18
	v_dual_add_f32 v15, v15, v18 :: v_dual_add_nc_u32 v16, 0x200, v16
	s_wait_alu 0xfffe
	s_and_not1_b32 exec_lo, exec_lo, s29
	s_cbranch_execnz .LBB117_15
; %bb.16:
	s_or_b32 exec_lo, exec_lo, s29
.LBB117_17:
	s_wait_alu 0xfffe
	s_or_b32 exec_lo, exec_lo, s28
	ds_bpermute_b32 v2, v2, v15
	s_wait_dscnt 0x0
	v_add_f32_e32 v2, v15, v2
	ds_bpermute_b32 v6, v6, v2
	s_wait_dscnt 0x0
	v_add_f32_e32 v2, v2, v6
	;; [unrolled: 3-line block ×5, first 2 shown]
	s_and_saveexec_b32 s3, vcc_lo
; %bb.18:
	ds_store_b32 v14, v2 offset:80
; %bb.19:
	s_wait_alu 0xfffe
	s_or_b32 exec_lo, exec_lo, s3
	s_wait_loadcnt_dscnt 0x0
	s_barrier_signal -1
	s_barrier_wait -1
	global_inv scope:SCOPE_SE
	s_and_saveexec_b32 s3, s0
; %bb.20:
	ds_load_b32 v2, v5 offset:80
; %bb.21:
	s_wait_alu 0xfffe
	s_or_b32 exec_lo, exec_lo, s3
	s_wait_dscnt 0x0
	ds_bpermute_b32 v5, v12, v2
	s_wait_dscnt 0x0
	v_add_f32_e32 v2, v2, v5
	ds_bpermute_b32 v5, v13, v2
	s_wait_dscnt 0x0
	v_dual_add_f32 v2, v2, v5 :: v_dual_mov_b32 v5, 0
	ds_bpermute_b32 v2, v5, v2
	s_and_saveexec_b32 s0, s1
	s_cbranch_execz .LBB117_24
; %bb.22:
	s_wait_dscnt 0x0
	v_add_f32_e32 v5, 0x358637bd, v2
	s_mov_b32 s1, 0
	s_delay_alu instid0(VALU_DEP_1) | instskip(NEXT) | instid1(VALU_DEP_1)
	v_div_scale_f32 v6, null, v5, v5, 1.0
	v_rcp_f32_e32 v8, v6
	s_delay_alu instid0(TRANS32_DEP_1) | instskip(NEXT) | instid1(VALU_DEP_1)
	v_fma_f32 v14, -v6, v8, 1.0
	v_fmac_f32_e32 v8, v14, v8
	v_div_scale_f32 v15, vcc_lo, 1.0, v5, 1.0
	s_delay_alu instid0(VALU_DEP_1) | instskip(NEXT) | instid1(VALU_DEP_1)
	v_mul_f32_e32 v14, v15, v8
	v_fma_f32 v16, -v6, v14, v15
	s_delay_alu instid0(VALU_DEP_1) | instskip(NEXT) | instid1(VALU_DEP_1)
	v_fmac_f32_e32 v14, v16, v8
	v_fma_f32 v6, -v6, v14, v15
	s_wait_alu 0xfffd
	s_delay_alu instid0(VALU_DEP_1) | instskip(NEXT) | instid1(VALU_DEP_1)
	v_div_fmas_f32 v6, v6, v8, v14
	v_div_fixup_f32 v5, v6, v5, 1.0
	v_mov_b32_e32 v6, v0
.LBB117_23:                             ; =>This Inner Loop Header: Depth=1
	ds_load_b32 v8, v7
	v_add_nc_u32_e32 v6, 0x80, v6
	s_delay_alu instid0(VALU_DEP_1)
	v_cmp_le_i32_e32 vcc_lo, s21, v6
	s_or_b32 s1, vcc_lo, s1
	s_wait_dscnt 0x0
	v_mul_f32_e32 v8, v5, v8
	ds_store_b32 v7, v8
	v_add_nc_u32_e32 v7, 0x200, v7
	s_and_not1_b32 exec_lo, exec_lo, s1
	s_cbranch_execnz .LBB117_23
.LBB117_24:
	s_or_b32 exec_lo, exec_lo, s0
	s_mul_i32 s0, s8, s18
	s_wait_loadcnt_dscnt 0x0
	s_mul_i32 s18, s0, s19
	s_mov_b32 s0, exec_lo
	s_barrier_signal -1
	s_barrier_wait -1
	global_inv scope:SCOPE_SE
	v_cmpx_eq_u32_e32 0, v0
	s_cbranch_execz .LBB117_26
; %bb.25:
	s_ashr_i32 s19, s18, 31
	s_mul_i32 s28, s8, ttmp9
	s_lshl_b32 s1, s24, 2
	s_lshl_b64 s[30:31], s[18:19], 2
	s_wait_alu 0xfffe
	s_ashr_i32 s29, s28, 31
	v_mov_b32_e32 v5, s1
	s_wait_kmcnt 0x0
	s_add_nc_u64 s[6:7], s[6:7], s[30:31]
	s_wait_alu 0xfffe
	s_lshl_b64 s[28:29], s[28:29], 2
	s_add_nc_u64 s[4:5], s[4:5], s[30:31]
	s_wait_alu 0xfffe
	s_add_nc_u64 s[6:7], s[6:7], s[28:29]
	s_add_nc_u64 s[4:5], s[4:5], s[28:29]
	s_clause 0x1
	global_store_b32 v5, v1, s[6:7]
	global_store_b32 v5, v2, s[4:5]
.LBB117_26:
	s_or_b32 exec_lo, exec_lo, s0
	v_dual_mov_b32 v16, 0 :: v_dual_mov_b32 v17, 0
	v_dual_mov_b32 v15, 0 :: v_dual_and_b32 v14, 3, v0
	v_mov_b32_e32 v18, 0
	s_and_saveexec_b32 s1, s2
	s_cbranch_execz .LBB117_38
; %bb.27:
	s_ashr_i32 s21, s20, 31
	v_and_b32_e32 v3, 0x1f0, v3
	v_dual_mov_b32 v18, 0 :: v_dual_lshlrev_b32 v1, 3, v0
	s_wait_alu 0xfffe
	s_lshl_b64 s[2:3], s[20:21], 1
	v_dual_mov_b32 v15, 0 :: v_dual_lshlrev_b32 v2, 5, v14
	s_wait_kmcnt 0x0
	s_wait_alu 0xfffe
	s_add_nc_u64 s[2:3], s[22:23], s[2:3]
	v_dual_mov_b32 v16, 0 :: v_dual_and_b32 v1, 24, v1
	s_wait_alu 0xfffe
	v_add_co_u32 v19, s0, s2, v3
	v_lshl_add_u32 v5, v9, 5, s26
	s_wait_alu 0xf1ff
	v_add_co_ci_u32_e64 v20, null, s3, 0, s0
	s_lshl_b64 s[2:3], s[16:17], 2
	v_lshl_or_b32 v2, v9, 7, v2
	s_wait_alu 0xfffe
	s_add_nc_u64 s[2:3], s[14:15], s[2:3]
	v_add3_u32 v21, v5, v1, 7
	s_wait_alu 0xfffe
	v_add_co_u32 v5, s0, s2, v4
	v_dual_mov_b32 v17, 0 :: v_dual_add_nc_u32 v22, 0x60, v2
	s_wait_alu 0xf1ff
	v_add_co_ci_u32_e64 v6, null, s3, 0, s0
	s_mov_b32 s2, s9
	s_add_co_i32 s27, s27, -1
	s_mov_b32 s3, 0
	s_branch .LBB117_29
.LBB117_28:                             ;   in Loop: Header=BB117_29 Depth=1
	s_wait_alu 0xfffe
	s_or_b32 exec_lo, exec_lo, s0
	v_lshlrev_b32_e32 v23, 16, v40
	v_lshlrev_b32_e32 v8, 16, v8
	;; [unrolled: 1-line block ×3, first 2 shown]
	v_add_nc_u32_e32 v11, 4, v11
	v_add_co_u32 v5, s0, v5, 16
	v_and_or_b32 v1, 0xffff, v1, v23
	v_and_or_b32 v2, 0xffff, v2, v8
	;; [unrolled: 1-line block ×3, first 2 shown]
	;;#ASMSTART
	v_pk_mul_f16 v1, v31, v1;

	;;#ASMEND
	;;#ASMSTART
	v_pk_mul_f16 v2, v30, v2;

	;;#ASMEND
	;; [unrolled: 4-line block ×4, first 2 shown]
	;;#ASMSTART
	v_pk_add_f16 v1, v1, v2;

	;;#ASMEND
	;;#ASMSTART
	v_pk_add_f16 v1, v1, v3;

	;;#ASMEND
	;; [unrolled: 4-line block ×3, first 2 shown]
	v_dual_add_f32 v3, v34, v35 :: v_dual_and_b32 v4, 0xffff, v1
	v_lshrrev_b32_e32 v7, 16, v1
	;;#ASMSTART
	v_cvt_f32_f16 v4, v4;
	;;#ASMEND
	v_dual_add_f32 v1, v38, v39 :: v_dual_add_f32 v2, v36, v37
	;;#ASMSTART
	v_cvt_f32_f16 v7, v7;
	;;#ASMEND
	s_delay_alu instid0(VALU_DEP_2) | instskip(SKIP_1) | instid1(VALU_DEP_3)
	v_add_f32_e32 v4, v4, v7
	v_cmp_le_i32_e32 vcc_lo, s13, v11
	v_dual_add_f32 v17, v17, v1 :: v_dual_add_f32 v18, v18, v2
	s_delay_alu instid0(VALU_DEP_3)
	v_dual_add_f32 v16, v16, v3 :: v_dual_add_f32 v15, v15, v4
	v_add_nc_u32_e32 v21, 0x80, v21
	v_add_nc_u32_e32 v22, 0x200, v22
	s_wait_alu 0xf1ff
	v_add_co_ci_u32_e64 v6, null, 0, v6, s0
	s_or_b32 s3, vcc_lo, s3
	s_wait_alu 0xfffe
	s_and_not1_b32 exec_lo, exec_lo, s3
	s_cbranch_execz .LBB117_37
.LBB117_29:                             ; =>This Inner Loop Header: Depth=1
	global_load_b32 v7, v[5:6], off
	ds_load_2addr_b64 v[1:4], v22 offset1:1
	ds_load_2addr_b64 v[23:26], v22 offset0:2 offset1:3
	v_add_nc_u32_e32 v27, -7, v21
	v_add_nc_u32_e32 v29, -6, v21
	;; [unrolled: 1-line block ×3, first 2 shown]
	s_wait_dscnt 0x1
	;;#ASMSTART
	v_cvt_f16_f32 v31, v1;

	;;#ASMEND
	;;#ASMSTART
	v_cvt_f16_f32 v30, v2;

	;;#ASMEND
	;; [unrolled: 4-line block ×4, first 2 shown]
	s_wait_dscnt 0x0
	;;#ASMSTART
	v_cvt_f16_f32 v37, v23;

	;;#ASMEND
	;;#ASMSTART
	v_cvt_f16_f32 v32, v24;

	;;#ASMEND
	;; [unrolled: 4-line block ×4, first 2 shown]
	v_add_nc_u32_e32 v25, -4, v21
	v_add_nc_u32_e32 v24, -3, v21
	;; [unrolled: 1-line block ×4, first 2 shown]
	s_wait_loadcnt 0x0
	s_wait_alu 0xfffe
	v_mad_co_i64_i32 v[7:8], null, v7, s2, 0
	s_delay_alu instid0(VALU_DEP_1) | instskip(NEXT) | instid1(VALU_DEP_1)
	v_lshlrev_b64_e32 v[7:8], 1, v[7:8]
	v_add_co_u32 v7, vcc_lo, v19, v7
	s_wait_alu 0xfffd
	s_delay_alu instid0(VALU_DEP_2)
	v_add_co_ci_u32_e64 v8, null, v20, v8, vcc_lo
	v_cmp_eq_u32_e32 vcc_lo, s27, v11
	global_load_b128 v[1:4], v[7:8], off
	s_wait_loadcnt 0x0
	v_lshrrev_b32_e32 v40, 16, v1
	v_lshrrev_b32_e32 v39, 16, v2
	;; [unrolled: 1-line block ×3, first 2 shown]
	s_and_saveexec_b32 s4, vcc_lo
	s_cbranch_execz .LBB117_31
; %bb.30:                               ;   in Loop: Header=BB117_29 Depth=1
	v_cmp_gt_i32_e64 s0, s25, v27
	v_and_b32_e32 v41, 0xffff, v4
	v_and_b32_e32 v4, 0xffff0000, v4
	s_wait_alu 0xf1ff
	s_delay_alu instid0(VALU_DEP_3) | instskip(SKIP_2) | instid1(VALU_DEP_1)
	v_cndmask_b32_e64 v1, 0, v1, s0
	v_cmp_gt_i32_e64 s0, s25, v29
	s_wait_alu 0xf1ff
	v_cndmask_b32_e64 v40, 0, v40, s0
	v_cmp_gt_i32_e64 s0, s25, v28
	s_wait_alu 0xf1ff
	s_delay_alu instid0(VALU_DEP_1) | instskip(SKIP_2) | instid1(VALU_DEP_1)
	v_cndmask_b32_e64 v2, 0, v2, s0
	v_cmp_gt_i32_e64 s0, s25, v25
	s_wait_alu 0xf1ff
	v_cndmask_b32_e64 v39, 0, v39, s0
	v_cmp_gt_i32_e64 s0, s25, v26
	s_wait_alu 0xf1ff
	s_delay_alu instid0(VALU_DEP_1) | instskip(SKIP_2) | instid1(VALU_DEP_1)
	v_cndmask_b32_e64 v41, 0, v41, s0
	v_cmp_gt_i32_e64 s0, s25, v21
	s_wait_alu 0xf1ff
	v_cndmask_b32_e64 v4, 0, v4, s0
	v_cmp_gt_i32_e64 s0, s25, v24
	s_delay_alu instid0(VALU_DEP_2) | instskip(SKIP_1) | instid1(VALU_DEP_2)
	v_or_b32_e32 v4, v41, v4
	s_wait_alu 0xf1ff
	v_cndmask_b32_e64 v3, 0, v3, s0
	v_cmp_gt_i32_e64 s0, s25, v23
	s_wait_alu 0xf1ff
	s_delay_alu instid0(VALU_DEP_1)
	v_cndmask_b32_e64 v38, 0, v38, s0
.LBB117_31:                             ;   in Loop: Header=BB117_29 Depth=1
	s_wait_alu 0xfffe
	s_or_b32 exec_lo, exec_lo, s4
	v_and_b32_e32 v31, 0xffff, v31
	v_and_b32_e32 v36, 0xffff, v36
	v_lshlrev_b32_e32 v40, 16, v40
	v_and_b32_e32 v37, 0xffff, v37
	v_and_b32_e32 v35, 0xffff, v35
	v_lshl_or_b32 v31, v30, 16, v31
	v_lshl_or_b32 v30, v34, 16, v36
	v_lshlrev_b32_e32 v34, 16, v39
	v_lshlrev_b32_e32 v36, 16, v38
	v_and_or_b32 v1, 0xffff, v1, v40
	;;#ASMSTART
	v_pk_mul_f16 v1, v31, v1;

	;;#ASMEND
	v_lshl_or_b32 v32, v32, 16, v37
	v_and_or_b32 v2, 0xffff, v2, v34
	v_and_or_b32 v3, 0xffff, v3, v36
	v_lshl_or_b32 v33, v33, 16, v35
	;;#ASMSTART
	v_pk_mul_f16 v2, v30, v2;

	;;#ASMEND
	;;#ASMSTART
	v_pk_mul_f16 v3, v32, v3;

	;;#ASMEND
	;; [unrolled: 4-line block ×3, first 2 shown]
	;;#ASMSTART
	v_pk_add_f16 v1, v1, v2;

	;;#ASMEND
	;;#ASMSTART
	v_pk_add_f16 v1, v1, v3;

	;;#ASMEND
	;; [unrolled: 4-line block ×3, first 2 shown]
	v_and_b32_e32 v2, 0xffff, v1
	v_lshrrev_b32_e32 v1, 16, v1
	;;#ASMSTART
	v_cvt_f32_f16 v34, v2;
	;;#ASMEND
	;;#ASMSTART
	v_cvt_f32_f16 v35, v1;
	;;#ASMEND
	global_load_b128 v[1:4], v[7:8], off offset:512
	s_wait_loadcnt 0x0
	v_lshrrev_b32_e32 v38, 16, v1
	v_lshrrev_b32_e32 v37, 16, v2
	;; [unrolled: 1-line block ×3, first 2 shown]
	s_and_saveexec_b32 s4, vcc_lo
	s_cbranch_execz .LBB117_33
; %bb.32:                               ;   in Loop: Header=BB117_29 Depth=1
	v_cmp_gt_i32_e64 s0, s25, v27
	v_and_b32_e32 v39, 0xffff, v4
	v_and_b32_e32 v4, 0xffff0000, v4
	s_wait_alu 0xf1ff
	s_delay_alu instid0(VALU_DEP_3) | instskip(SKIP_2) | instid1(VALU_DEP_1)
	v_cndmask_b32_e64 v1, 0, v1, s0
	v_cmp_gt_i32_e64 s0, s25, v29
	s_wait_alu 0xf1ff
	v_cndmask_b32_e64 v38, 0, v38, s0
	v_cmp_gt_i32_e64 s0, s25, v28
	s_wait_alu 0xf1ff
	s_delay_alu instid0(VALU_DEP_1) | instskip(SKIP_2) | instid1(VALU_DEP_1)
	v_cndmask_b32_e64 v2, 0, v2, s0
	v_cmp_gt_i32_e64 s0, s25, v25
	s_wait_alu 0xf1ff
	v_cndmask_b32_e64 v37, 0, v37, s0
	v_cmp_gt_i32_e64 s0, s25, v26
	s_wait_alu 0xf1ff
	s_delay_alu instid0(VALU_DEP_1) | instskip(SKIP_2) | instid1(VALU_DEP_1)
	v_cndmask_b32_e64 v39, 0, v39, s0
	v_cmp_gt_i32_e64 s0, s25, v21
	s_wait_alu 0xf1ff
	v_cndmask_b32_e64 v4, 0, v4, s0
	v_cmp_gt_i32_e64 s0, s25, v24
	s_delay_alu instid0(VALU_DEP_2) | instskip(SKIP_1) | instid1(VALU_DEP_2)
	v_or_b32_e32 v4, v39, v4
	s_wait_alu 0xf1ff
	v_cndmask_b32_e64 v3, 0, v3, s0
	v_cmp_gt_i32_e64 s0, s25, v23
	s_wait_alu 0xf1ff
	s_delay_alu instid0(VALU_DEP_1)
	v_cndmask_b32_e64 v36, 0, v36, s0
.LBB117_33:                             ;   in Loop: Header=BB117_29 Depth=1
	s_wait_alu 0xfffe
	s_or_b32 exec_lo, exec_lo, s4
	v_lshlrev_b32_e32 v38, 16, v38
	v_lshlrev_b32_e32 v37, 16, v37
	;; [unrolled: 1-line block ×3, first 2 shown]
	s_delay_alu instid0(VALU_DEP_3) | instskip(NEXT) | instid1(VALU_DEP_3)
	v_and_or_b32 v1, 0xffff, v1, v38
	v_and_or_b32 v2, 0xffff, v2, v37
	s_delay_alu instid0(VALU_DEP_3)
	v_and_or_b32 v3, 0xffff, v3, v36
	;;#ASMSTART
	v_pk_mul_f16 v1, v31, v1;

	;;#ASMEND
	;;#ASMSTART
	v_pk_mul_f16 v2, v30, v2;

	;;#ASMEND
	;; [unrolled: 4-line block ×4, first 2 shown]
	;;#ASMSTART
	v_pk_add_f16 v1, v1, v2;

	;;#ASMEND
	;;#ASMSTART
	v_pk_add_f16 v1, v1, v3;

	;;#ASMEND
	;; [unrolled: 4-line block ×3, first 2 shown]
	v_and_b32_e32 v2, 0xffff, v1
	v_lshrrev_b32_e32 v1, 16, v1
	;;#ASMSTART
	v_cvt_f32_f16 v36, v2;
	;;#ASMEND
	;;#ASMSTART
	v_cvt_f32_f16 v37, v1;
	;;#ASMEND
	global_load_b128 v[1:4], v[7:8], off offset:1024
	s_wait_loadcnt 0x0
	v_lshrrev_b32_e32 v40, 16, v1
	v_lshrrev_b32_e32 v39, 16, v2
	;; [unrolled: 1-line block ×3, first 2 shown]
	s_and_saveexec_b32 s4, vcc_lo
	s_cbranch_execz .LBB117_35
; %bb.34:                               ;   in Loop: Header=BB117_29 Depth=1
	v_cmp_gt_i32_e64 s0, s25, v27
	v_and_b32_e32 v41, 0xffff, v4
	v_and_b32_e32 v4, 0xffff0000, v4
	s_wait_alu 0xf1ff
	s_delay_alu instid0(VALU_DEP_3) | instskip(SKIP_2) | instid1(VALU_DEP_1)
	v_cndmask_b32_e64 v1, 0, v1, s0
	v_cmp_gt_i32_e64 s0, s25, v29
	s_wait_alu 0xf1ff
	v_cndmask_b32_e64 v40, 0, v40, s0
	v_cmp_gt_i32_e64 s0, s25, v28
	s_wait_alu 0xf1ff
	s_delay_alu instid0(VALU_DEP_1) | instskip(SKIP_2) | instid1(VALU_DEP_1)
	v_cndmask_b32_e64 v2, 0, v2, s0
	v_cmp_gt_i32_e64 s0, s25, v25
	s_wait_alu 0xf1ff
	v_cndmask_b32_e64 v39, 0, v39, s0
	v_cmp_gt_i32_e64 s0, s25, v26
	s_wait_alu 0xf1ff
	s_delay_alu instid0(VALU_DEP_1) | instskip(SKIP_2) | instid1(VALU_DEP_1)
	v_cndmask_b32_e64 v41, 0, v41, s0
	v_cmp_gt_i32_e64 s0, s25, v21
	s_wait_alu 0xf1ff
	v_cndmask_b32_e64 v4, 0, v4, s0
	v_cmp_gt_i32_e64 s0, s25, v24
	s_delay_alu instid0(VALU_DEP_2) | instskip(SKIP_1) | instid1(VALU_DEP_2)
	v_or_b32_e32 v4, v41, v4
	s_wait_alu 0xf1ff
	v_cndmask_b32_e64 v3, 0, v3, s0
	v_cmp_gt_i32_e64 s0, s25, v23
	s_wait_alu 0xf1ff
	s_delay_alu instid0(VALU_DEP_1)
	v_cndmask_b32_e64 v38, 0, v38, s0
.LBB117_35:                             ;   in Loop: Header=BB117_29 Depth=1
	s_wait_alu 0xfffe
	s_or_b32 exec_lo, exec_lo, s4
	v_lshlrev_b32_e32 v40, 16, v40
	v_lshlrev_b32_e32 v39, 16, v39
	;; [unrolled: 1-line block ×3, first 2 shown]
	s_delay_alu instid0(VALU_DEP_3) | instskip(NEXT) | instid1(VALU_DEP_3)
	v_and_or_b32 v1, 0xffff, v1, v40
	v_and_or_b32 v2, 0xffff, v2, v39
	s_delay_alu instid0(VALU_DEP_3)
	v_and_or_b32 v3, 0xffff, v3, v38
	;;#ASMSTART
	v_pk_mul_f16 v1, v31, v1;

	;;#ASMEND
	;;#ASMSTART
	v_pk_mul_f16 v2, v30, v2;

	;;#ASMEND
	;; [unrolled: 4-line block ×4, first 2 shown]
	;;#ASMSTART
	v_pk_add_f16 v1, v1, v2;

	;;#ASMEND
	;;#ASMSTART
	v_pk_add_f16 v1, v1, v3;

	;;#ASMEND
	;; [unrolled: 4-line block ×3, first 2 shown]
	v_and_b32_e32 v2, 0xffff, v1
	v_lshrrev_b32_e32 v1, 16, v1
	;;#ASMSTART
	v_cvt_f32_f16 v38, v2;
	;;#ASMEND
	;;#ASMSTART
	v_cvt_f32_f16 v39, v1;
	;;#ASMEND
	global_load_b128 v[1:4], v[7:8], off offset:1536
	s_wait_loadcnt 0x0
	v_lshrrev_b32_e32 v40, 16, v1
	v_lshrrev_b32_e32 v8, 16, v2
	;; [unrolled: 1-line block ×3, first 2 shown]
	s_and_saveexec_b32 s0, vcc_lo
	s_cbranch_execz .LBB117_28
; %bb.36:                               ;   in Loop: Header=BB117_29 Depth=1
	v_cmp_gt_i32_e32 vcc_lo, s25, v27
	v_and_b32_e32 v27, 0xffff, v4
	s_wait_alu 0xfffd
	v_cndmask_b32_e32 v1, 0, v1, vcc_lo
	v_cmp_gt_i32_e32 vcc_lo, s25, v29
	s_wait_alu 0xfffd
	v_cndmask_b32_e32 v40, 0, v40, vcc_lo
	v_cmp_gt_i32_e32 vcc_lo, s25, v28
	;; [unrolled: 3-line block ×4, first 2 shown]
	s_wait_alu 0xfffd
	v_dual_cndmask_b32 v25, 0, v27 :: v_dual_and_b32 v4, 0xffff0000, v4
	v_cmp_gt_i32_e32 vcc_lo, s25, v21
	s_wait_alu 0xfffd
	s_delay_alu instid0(VALU_DEP_2)
	v_cndmask_b32_e32 v4, 0, v4, vcc_lo
	v_cmp_gt_i32_e32 vcc_lo, s25, v24
	s_wait_alu 0xfffd
	v_cndmask_b32_e32 v3, 0, v3, vcc_lo
	v_cmp_gt_i32_e32 vcc_lo, s25, v23
	s_wait_alu 0xfffd
	v_cndmask_b32_e32 v7, 0, v7, vcc_lo
	v_or_b32_e32 v4, v25, v4
	s_branch .LBB117_28
.LBB117_37:
	s_or_b32 exec_lo, exec_lo, s3
.LBB117_38:
	s_wait_alu 0xfffe
	s_or_b32 exec_lo, exec_lo, s1
	ds_bpermute_b32 v1, v12, v16
	ds_bpermute_b32 v2, v12, v18
	ds_bpermute_b32 v3, v12, v17
	ds_bpermute_b32 v4, v12, v15
	v_lshrrev_b32_e32 v5, 2, v10
	s_mov_b32 s0, exec_lo
	s_wait_storecnt 0x0
	s_wait_loadcnt_dscnt 0x0
	s_barrier_signal -1
	s_barrier_wait -1
	global_inv scope:SCOPE_SE
	v_dual_add_f32 v1, v16, v1 :: v_dual_add_f32 v2, v18, v2
	v_dual_add_f32 v7, v17, v3 :: v_dual_add_f32 v8, v15, v4
	ds_bpermute_b32 v3, v13, v1
	ds_bpermute_b32 v11, v13, v2
	;; [unrolled: 1-line block ×4, first 2 shown]
	v_and_b32_e32 v4, 28, v10
	v_and_b32_e32 v10, 0x3c3, v0
	s_delay_alu instid0(VALU_DEP_2)
	v_add_nc_u32_e32 v6, 0x60, v4
	s_wait_dscnt 0x3
	v_add_f32_e32 v4, v1, v3
	s_wait_dscnt 0x1
	v_dual_add_f32 v3, v2, v11 :: v_dual_add_f32 v2, v7, v12
	s_wait_dscnt 0x0
	v_add_f32_e32 v1, v8, v13
	v_cmpx_eq_u32_e32 64, v10
	s_cbranch_execz .LBB117_40
; %bb.39:
	v_lshl_add_u32 v7, v9, 7, v6
	s_delay_alu instid0(VALU_DEP_1)
	v_add_nc_u32_e32 v8, 0xffffff00, v7
	v_add_nc_u32_e32 v9, 0xffffff20, v7
	;; [unrolled: 1-line block ×4, first 2 shown]
	ds_store_b32 v8, v4
	ds_store_b32 v9, v3
	;; [unrolled: 1-line block ×4, first 2 shown]
.LBB117_40:
	s_wait_alu 0xfffe
	s_or_b32 exec_lo, exec_lo, s0
	v_and_b32_e32 v7, 0x3e0, v0
	v_lshlrev_b32_e32 v5, 2, v5
	s_mov_b32 s1, exec_lo
	v_cmp_eq_u32_e32 vcc_lo, 0, v14
	s_wait_loadcnt_dscnt 0x0
	v_lshlrev_b32_e32 v7, 2, v7
	s_barrier_signal -1
	s_barrier_wait -1
	global_inv scope:SCOPE_SE
	v_add3_u32 v5, 0x60, v7, v5
	v_cmpx_gt_u32_e32 64, v0
	s_cbranch_execz .LBB117_47
; %bb.41:
	s_and_saveexec_b32 s0, vcc_lo
	s_cbranch_execnz .LBB117_59
; %bb.42:
	s_wait_alu 0xfffe
	s_or_b32 exec_lo, exec_lo, s0
	s_and_saveexec_b32 s0, vcc_lo
	s_cbranch_execnz .LBB117_60
.LBB117_43:
	s_wait_alu 0xfffe
	s_or_b32 exec_lo, exec_lo, s0
	s_and_saveexec_b32 s0, vcc_lo
	s_cbranch_execnz .LBB117_61
.LBB117_44:
	s_wait_alu 0xfffe
	s_or_b32 exec_lo, exec_lo, s0
	s_and_saveexec_b32 s0, vcc_lo
	s_cbranch_execz .LBB117_46
.LBB117_45:
	ds_load_b32 v7, v5 offset:96
	s_wait_dscnt 0x0
	v_add_f32_e32 v1, v1, v7
.LBB117_46:
	s_wait_alu 0xfffe
	s_or_b32 exec_lo, exec_lo, s0
.LBB117_47:
	s_wait_alu 0xfffe
	s_or_b32 exec_lo, exec_lo, s1
	v_and_b32_e32 v7, 0x3e3, v0
	s_mov_b32 s1, exec_lo
	s_wait_loadcnt 0x0
	s_barrier_signal -1
	s_barrier_wait -1
	global_inv scope:SCOPE_SE
	v_cmpx_eq_u32_e32 32, v7
	s_cbranch_execz .LBB117_49
; %bb.48:
	ds_store_2addr_b32 v6, v4, v3 offset1:8
	ds_store_2addr_b32 v6, v2, v1 offset0:16 offset1:24
.LBB117_49:
	s_wait_alu 0xfffe
	s_or_b32 exec_lo, exec_lo, s1
	s_delay_alu instid0(SALU_CYCLE_1)
	s_mov_b32 s1, exec_lo
	s_wait_loadcnt_dscnt 0x0
	s_barrier_signal -1
	s_barrier_wait -1
	global_inv scope:SCOPE_SE
	v_cmpx_gt_u32_e32 32, v0
	s_cbranch_execz .LBB117_56
; %bb.50:
	s_and_saveexec_b32 s0, vcc_lo
	s_cbranch_execnz .LBB117_62
; %bb.51:
	s_wait_alu 0xfffe
	s_or_b32 exec_lo, exec_lo, s0
	s_and_saveexec_b32 s0, vcc_lo
	s_cbranch_execnz .LBB117_63
.LBB117_52:
	s_wait_alu 0xfffe
	s_or_b32 exec_lo, exec_lo, s0
	s_and_saveexec_b32 s0, vcc_lo
	s_cbranch_execnz .LBB117_64
.LBB117_53:
	s_wait_alu 0xfffe
	s_or_b32 exec_lo, exec_lo, s0
	s_and_saveexec_b32 s0, vcc_lo
	s_cbranch_execz .LBB117_55
.LBB117_54:
	ds_load_b32 v5, v5 offset:96
	s_wait_dscnt 0x0
	v_add_f32_e32 v1, v1, v5
.LBB117_55:
	s_wait_alu 0xfffe
	s_or_b32 exec_lo, exec_lo, s0
.LBB117_56:
	s_wait_alu 0xfffe
	s_or_b32 exec_lo, exec_lo, s1
	s_mov_b32 s1, 0
	s_wait_loadcnt 0x0
	s_barrier_signal -1
	s_barrier_wait -1
	global_inv scope:SCOPE_SE
	s_mov_b32 s0, exec_lo
	v_cmpx_eq_u32_e32 0, v7
	s_cbranch_execz .LBB117_58
; %bb.57:
	s_lshl_b32 s2, s18, 5
	s_wait_kmcnt 0x0
	s_mul_i32 s4, s8, s12
	s_wait_alu 0xfffe
	s_ashr_i32 s3, s2, 31
	s_ashr_i32 s5, s4, 31
	s_wait_alu 0xfffe
	s_lshl_b64 s[2:3], s[2:3], 1
	s_lshl_b64 s[4:5], s[4:5], 1
	s_wait_alu 0xfffe
	s_add_nc_u64 s[2:3], s[10:11], s[2:3]
	v_lshrrev_b32_e32 v0, 1, v0
	s_lshl_b32 s0, s24, 6
	s_wait_alu 0xfffe
	s_add_nc_u64 s[2:3], s[2:3], s[4:5]
	;;#ASMSTART
	v_cvt_f16_f32 v4, v4;

	;;#ASMEND
	s_wait_alu 0xfffe
	s_add_nc_u64 s[0:1], s[2:3], s[0:1]
	global_store_b16 v0, v4, s[0:1]
	;;#ASMSTART
	v_cvt_f16_f32 v3, v3;

	;;#ASMEND
	global_store_b16 v0, v3, s[0:1] offset:16
	;;#ASMSTART
	v_cvt_f16_f32 v2, v2;

	;;#ASMEND
	global_store_b16 v0, v2, s[0:1] offset:32
	;; [unrolled: 5-line block ×3, first 2 shown]
.LBB117_58:
	s_endpgm
.LBB117_59:
	ds_load_b32 v7, v5
	s_wait_dscnt 0x0
	v_add_f32_e32 v4, v4, v7
	s_wait_alu 0xfffe
	s_or_b32 exec_lo, exec_lo, s0
	s_and_saveexec_b32 s0, vcc_lo
	s_cbranch_execz .LBB117_43
.LBB117_60:
	ds_load_b32 v7, v5 offset:32
	s_wait_dscnt 0x0
	v_add_f32_e32 v3, v3, v7
	s_wait_alu 0xfffe
	s_or_b32 exec_lo, exec_lo, s0
	s_and_saveexec_b32 s0, vcc_lo
	s_cbranch_execz .LBB117_44
.LBB117_61:
	ds_load_b32 v7, v5 offset:64
	s_wait_dscnt 0x0
	v_add_f32_e32 v2, v2, v7
	s_wait_alu 0xfffe
	s_or_b32 exec_lo, exec_lo, s0
	s_and_saveexec_b32 s0, vcc_lo
	s_cbranch_execnz .LBB117_45
	s_branch .LBB117_46
.LBB117_62:
	ds_load_b32 v6, v5
	s_wait_dscnt 0x0
	v_add_f32_e32 v4, v4, v6
	s_wait_alu 0xfffe
	s_or_b32 exec_lo, exec_lo, s0
	s_and_saveexec_b32 s0, vcc_lo
	s_cbranch_execz .LBB117_52
.LBB117_63:
	ds_load_b32 v6, v5 offset:32
	s_wait_dscnt 0x0
	v_add_f32_e32 v3, v3, v6
	s_wait_alu 0xfffe
	s_or_b32 exec_lo, exec_lo, s0
	s_and_saveexec_b32 s0, vcc_lo
	s_cbranch_execz .LBB117_53
.LBB117_64:
	ds_load_b32 v6, v5 offset:64
	s_wait_dscnt 0x0
	v_add_f32_e32 v2, v2, v6
	s_wait_alu 0xfffe
	s_or_b32 exec_lo, exec_lo, s0
	s_and_saveexec_b32 s0, vcc_lo
	s_cbranch_execnz .LBB117_54
	s_branch .LBB117_55
	.section	.rodata,"a",@progbits
	.p2align	6, 0x0
	.amdhsa_kernel _ZN4vllm25paged_attention_v2_kernelIttLi32ELi32ELi128ELNS_18Fp8KVCacheDataTypeE0ELb0ELi512EEEvPfS2_PT_PKS3_PKT0_S9_ifPKiSB_iPKfiiiSD_SD_iiiii
		.amdhsa_group_segment_fixed_size 96
		.amdhsa_private_segment_fixed_size 0
		.amdhsa_kernarg_size 400
		.amdhsa_user_sgpr_count 2
		.amdhsa_user_sgpr_dispatch_ptr 0
		.amdhsa_user_sgpr_queue_ptr 0
		.amdhsa_user_sgpr_kernarg_segment_ptr 1
		.amdhsa_user_sgpr_dispatch_id 0
		.amdhsa_user_sgpr_private_segment_size 0
		.amdhsa_wavefront_size32 1
		.amdhsa_uses_dynamic_stack 0
		.amdhsa_enable_private_segment 0
		.amdhsa_system_sgpr_workgroup_id_x 1
		.amdhsa_system_sgpr_workgroup_id_y 1
		.amdhsa_system_sgpr_workgroup_id_z 1
		.amdhsa_system_sgpr_workgroup_info 0
		.amdhsa_system_vgpr_workitem_id 0
		.amdhsa_next_free_vgpr 72
		.amdhsa_next_free_sgpr 36
		.amdhsa_reserve_vcc 1
		.amdhsa_float_round_mode_32 0
		.amdhsa_float_round_mode_16_64 0
		.amdhsa_float_denorm_mode_32 3
		.amdhsa_float_denorm_mode_16_64 3
		.amdhsa_fp16_overflow 0
		.amdhsa_workgroup_processor_mode 1
		.amdhsa_memory_ordered 1
		.amdhsa_forward_progress 1
		.amdhsa_inst_pref_size 43
		.amdhsa_round_robin_scheduling 0
		.amdhsa_exception_fp_ieee_invalid_op 0
		.amdhsa_exception_fp_denorm_src 0
		.amdhsa_exception_fp_ieee_div_zero 0
		.amdhsa_exception_fp_ieee_overflow 0
		.amdhsa_exception_fp_ieee_underflow 0
		.amdhsa_exception_fp_ieee_inexact 0
		.amdhsa_exception_int_div_zero 0
	.end_amdhsa_kernel
	.section	.text._ZN4vllm25paged_attention_v2_kernelIttLi32ELi32ELi128ELNS_18Fp8KVCacheDataTypeE0ELb0ELi512EEEvPfS2_PT_PKS3_PKT0_S9_ifPKiSB_iPKfiiiSD_SD_iiiii,"axG",@progbits,_ZN4vllm25paged_attention_v2_kernelIttLi32ELi32ELi128ELNS_18Fp8KVCacheDataTypeE0ELb0ELi512EEEvPfS2_PT_PKS3_PKT0_S9_ifPKiSB_iPKfiiiSD_SD_iiiii,comdat
.Lfunc_end117:
	.size	_ZN4vllm25paged_attention_v2_kernelIttLi32ELi32ELi128ELNS_18Fp8KVCacheDataTypeE0ELb0ELi512EEEvPfS2_PT_PKS3_PKT0_S9_ifPKiSB_iPKfiiiSD_SD_iiiii, .Lfunc_end117-_ZN4vllm25paged_attention_v2_kernelIttLi32ELi32ELi128ELNS_18Fp8KVCacheDataTypeE0ELb0ELi512EEEvPfS2_PT_PKS3_PKT0_S9_ifPKiSB_iPKfiiiSD_SD_iiiii
                                        ; -- End function
	.set _ZN4vllm25paged_attention_v2_kernelIttLi32ELi32ELi128ELNS_18Fp8KVCacheDataTypeE0ELb0ELi512EEEvPfS2_PT_PKS3_PKT0_S9_ifPKiSB_iPKfiiiSD_SD_iiiii.num_vgpr, 72
	.set _ZN4vllm25paged_attention_v2_kernelIttLi32ELi32ELi128ELNS_18Fp8KVCacheDataTypeE0ELb0ELi512EEEvPfS2_PT_PKS3_PKT0_S9_ifPKiSB_iPKfiiiSD_SD_iiiii.num_agpr, 0
	.set _ZN4vllm25paged_attention_v2_kernelIttLi32ELi32ELi128ELNS_18Fp8KVCacheDataTypeE0ELb0ELi512EEEvPfS2_PT_PKS3_PKT0_S9_ifPKiSB_iPKfiiiSD_SD_iiiii.numbered_sgpr, 36
	.set _ZN4vllm25paged_attention_v2_kernelIttLi32ELi32ELi128ELNS_18Fp8KVCacheDataTypeE0ELb0ELi512EEEvPfS2_PT_PKS3_PKT0_S9_ifPKiSB_iPKfiiiSD_SD_iiiii.num_named_barrier, 0
	.set _ZN4vllm25paged_attention_v2_kernelIttLi32ELi32ELi128ELNS_18Fp8KVCacheDataTypeE0ELb0ELi512EEEvPfS2_PT_PKS3_PKT0_S9_ifPKiSB_iPKfiiiSD_SD_iiiii.private_seg_size, 0
	.set _ZN4vllm25paged_attention_v2_kernelIttLi32ELi32ELi128ELNS_18Fp8KVCacheDataTypeE0ELb0ELi512EEEvPfS2_PT_PKS3_PKT0_S9_ifPKiSB_iPKfiiiSD_SD_iiiii.uses_vcc, 1
	.set _ZN4vllm25paged_attention_v2_kernelIttLi32ELi32ELi128ELNS_18Fp8KVCacheDataTypeE0ELb0ELi512EEEvPfS2_PT_PKS3_PKT0_S9_ifPKiSB_iPKfiiiSD_SD_iiiii.uses_flat_scratch, 0
	.set _ZN4vllm25paged_attention_v2_kernelIttLi32ELi32ELi128ELNS_18Fp8KVCacheDataTypeE0ELb0ELi512EEEvPfS2_PT_PKS3_PKT0_S9_ifPKiSB_iPKfiiiSD_SD_iiiii.has_dyn_sized_stack, 0
	.set _ZN4vllm25paged_attention_v2_kernelIttLi32ELi32ELi128ELNS_18Fp8KVCacheDataTypeE0ELb0ELi512EEEvPfS2_PT_PKS3_PKT0_S9_ifPKiSB_iPKfiiiSD_SD_iiiii.has_recursion, 0
	.set _ZN4vllm25paged_attention_v2_kernelIttLi32ELi32ELi128ELNS_18Fp8KVCacheDataTypeE0ELb0ELi512EEEvPfS2_PT_PKS3_PKT0_S9_ifPKiSB_iPKfiiiSD_SD_iiiii.has_indirect_call, 0
	.section	.AMDGPU.csdata,"",@progbits
; Kernel info:
; codeLenInByte = 5444
; TotalNumSgprs: 38
; NumVgprs: 72
; ScratchSize: 0
; MemoryBound: 0
; FloatMode: 240
; IeeeMode: 1
; LDSByteSize: 96 bytes/workgroup (compile time only)
; SGPRBlocks: 0
; VGPRBlocks: 8
; NumSGPRsForWavesPerEU: 38
; NumVGPRsForWavesPerEU: 72
; Occupancy: 16
; WaveLimiterHint : 1
; COMPUTE_PGM_RSRC2:SCRATCH_EN: 0
; COMPUTE_PGM_RSRC2:USER_SGPR: 2
; COMPUTE_PGM_RSRC2:TRAP_HANDLER: 0
; COMPUTE_PGM_RSRC2:TGID_X_EN: 1
; COMPUTE_PGM_RSRC2:TGID_Y_EN: 1
; COMPUTE_PGM_RSRC2:TGID_Z_EN: 1
; COMPUTE_PGM_RSRC2:TIDIG_COMP_CNT: 0
	.section	.text._ZN4vllm25paged_attention_v2_kernelIttLi64ELi32ELi128ELNS_18Fp8KVCacheDataTypeE0ELb0ELi512EEEvPfS2_PT_PKS3_PKT0_S9_ifPKiSB_iPKfiiiSD_SD_iiiii,"axG",@progbits,_ZN4vllm25paged_attention_v2_kernelIttLi64ELi32ELi128ELNS_18Fp8KVCacheDataTypeE0ELb0ELi512EEEvPfS2_PT_PKS3_PKT0_S9_ifPKiSB_iPKfiiiSD_SD_iiiii,comdat
	.protected	_ZN4vllm25paged_attention_v2_kernelIttLi64ELi32ELi128ELNS_18Fp8KVCacheDataTypeE0ELb0ELi512EEEvPfS2_PT_PKS3_PKT0_S9_ifPKiSB_iPKfiiiSD_SD_iiiii ; -- Begin function _ZN4vllm25paged_attention_v2_kernelIttLi64ELi32ELi128ELNS_18Fp8KVCacheDataTypeE0ELb0ELi512EEEvPfS2_PT_PKS3_PKT0_S9_ifPKiSB_iPKfiiiSD_SD_iiiii
	.globl	_ZN4vllm25paged_attention_v2_kernelIttLi64ELi32ELi128ELNS_18Fp8KVCacheDataTypeE0ELb0ELi512EEEvPfS2_PT_PKS3_PKT0_S9_ifPKiSB_iPKfiiiSD_SD_iiiii
	.p2align	8
	.type	_ZN4vllm25paged_attention_v2_kernelIttLi64ELi32ELi128ELNS_18Fp8KVCacheDataTypeE0ELb0ELi512EEEvPfS2_PT_PKS3_PKT0_S9_ifPKiSB_iPKfiiiSD_SD_iiiii,@function
_ZN4vllm25paged_attention_v2_kernelIttLi64ELi32ELi128ELNS_18Fp8KVCacheDataTypeE0ELb0ELi512EEEvPfS2_PT_PKS3_PKT0_S9_ifPKiSB_iPKfiiiSD_SD_iiiii: ; @_ZN4vllm25paged_attention_v2_kernelIttLi64ELi32ELi128ELNS_18Fp8KVCacheDataTypeE0ELb0ELi512EEEvPfS2_PT_PKS3_PKT0_S9_ifPKiSB_iPKfiiiSD_SD_iiiii
; %bb.0:
	s_load_b64 s[2:3], s[0:1], 0x40
	s_and_b32 s20, ttmp7, 0xffff
	s_lshr_b32 s24, ttmp7, 16
	s_lshl_b32 s4, s20, 2
	s_lshl_b32 s26, s24, 9
	s_wait_kmcnt 0x0
	s_load_b32 s25, s[2:3], s4 offset:0x0
	s_wait_kmcnt 0x0
	s_cmp_ge_i32 s26, s25
	s_cbranch_scc1 .LBB118_74
; %bb.1:
	s_clause 0x1
	s_load_b32 s21, s[0:1], 0x90
	s_load_b64 s[4:5], s[0:1], 0x30
	s_wait_kmcnt 0x0
	s_abs_i32 s7, s21
	s_abs_i32 s2, s4
	s_xor_b32 s4, s21, s4
	s_cvt_f32_u32 s3, s2
	s_sub_co_i32 s6, 0, s2
	s_ashr_i32 s4, s4, 31
	s_delay_alu instid0(SALU_CYCLE_1) | instskip(NEXT) | instid1(TRANS32_DEP_1)
	v_rcp_iflag_f32_e32 v1, s3
	v_readfirstlane_b32 s3, v1
	s_mul_f32 s3, s3, 0x4f7ffffe
	s_wait_alu 0xfffe
	s_delay_alu instid0(SALU_CYCLE_2) | instskip(SKIP_1) | instid1(SALU_CYCLE_2)
	s_cvt_u32_f32 s3, s3
	s_wait_alu 0xfffe
	s_mul_i32 s6, s6, s3
	s_delay_alu instid0(SALU_CYCLE_1) | instskip(NEXT) | instid1(SALU_CYCLE_1)
	s_mul_hi_u32 s6, s3, s6
	s_add_co_i32 s3, s3, s6
	s_wait_alu 0xfffe
	s_mul_hi_u32 s3, s7, s3
	s_wait_alu 0xfffe
	s_mul_i32 s6, s3, s2
	s_delay_alu instid0(SALU_CYCLE_1)
	s_sub_co_i32 s6, s7, s6
	s_add_co_i32 s7, s3, 1
	s_sub_co_i32 s8, s6, s2
	s_cmp_ge_u32 s6, s2
	s_cselect_b32 s3, s7, s3
	s_cselect_b32 s6, s8, s6
	s_wait_alu 0xfffe
	s_add_co_i32 s7, s3, 1
	s_cmp_ge_u32 s6, s2
	s_load_b64 s[8:9], s[0:1], 0x50
	s_cselect_b32 s2, s7, s3
	s_mov_b32 s3, 0
	s_wait_alu 0xfffe
	s_xor_b32 s2, s2, s4
	s_mov_b32 s11, s3
	s_wait_alu 0xfffe
	s_sub_co_i32 s12, s2, s4
	s_delay_alu instid0(SALU_CYCLE_1) | instskip(NEXT) | instid1(SALU_CYCLE_1)
	s_abs_i32 s4, s12
	s_cvt_f32_u32 s2, s4
	s_wait_alu 0xfffe
	s_delay_alu instid0(SALU_CYCLE_2) | instskip(NEXT) | instid1(TRANS32_DEP_1)
	v_rcp_iflag_f32_e32 v1, s2
	v_readfirstlane_b32 s2, v1
	s_mul_f32 s2, s2, 0x4f7ffffe
	s_wait_alu 0xfffe
	s_delay_alu instid0(SALU_CYCLE_2) | instskip(SKIP_2) | instid1(SALU_CYCLE_1)
	s_cvt_u32_f32 s6, s2
	s_sub_co_i32 s2, 0, s4
	s_wait_alu 0xfffe
	s_mul_i32 s2, s2, s6
	s_wait_alu 0xfffe
	s_mul_hi_u32 s7, s6, s2
	s_abs_i32 s2, ttmp9
	s_add_co_i32 s6, s6, s7
	s_mov_b32 s7, s3
	s_wait_kmcnt 0x0
	s_cmp_eq_u64 s[8:9], 0
	s_cbranch_scc1 .LBB118_3
; %bb.2:
	s_mov_b32 s10, ttmp9
	s_ashr_i32 s11, ttmp9, 31
	s_delay_alu instid0(SALU_CYCLE_1) | instskip(NEXT) | instid1(SALU_CYCLE_1)
	s_lshl_b64 s[10:11], s[10:11], 2
	s_add_nc_u64 s[8:9], s[8:9], s[10:11]
	s_load_b32 s11, s[8:9], 0x0
.LBB118_3:
	s_load_b96 s[8:10], s[0:1], 0x58
	v_lshlrev_b32_e32 v7, 4, v0
	s_mul_u64 s[6:7], s[2:3], s[6:7]
	s_ashr_i32 s3, ttmp9, 31
	s_ashr_i32 s6, s12, 31
	s_lshl_b32 s12, ttmp9, 6
	s_mov_b32 s14, exec_lo
	v_cmpx_gt_u32_e32 8, v0
	s_cbranch_execz .LBB118_5
; %bb.4:
	s_load_b64 s[16:17], s[0:1], 0x18
	s_wait_kmcnt 0x0
	s_mul_i32 s18, s8, s20
	s_ashr_i32 s13, s12, 31
	s_ashr_i32 s19, s18, 31
	s_delay_alu instid0(SALU_CYCLE_1) | instskip(NEXT) | instid1(SALU_CYCLE_1)
	s_lshl_b64 s[18:19], s[18:19], 1
	s_add_nc_u64 s[16:17], s[16:17], s[18:19]
	s_lshl_b64 s[18:19], s[12:13], 1
	s_delay_alu instid0(SALU_CYCLE_1)
	s_add_nc_u64 s[16:17], s[16:17], s[18:19]
	global_load_b128 v[1:4], v7, s[16:17]
	s_wait_loadcnt 0x0
	ds_store_b128 v7, v[1:4]
.LBB118_5:
	s_or_b32 exec_lo, exec_lo, s14
	s_wait_kmcnt 0x0
	s_add_co_i32 s8, s25, 31
	s_lshl_b32 s28, s24, 4
	s_ashr_i32 s13, s8, 31
	s_mul_i32 s17, s7, s4
	s_lshr_b32 s13, s13, 27
	s_sub_co_i32 s2, s2, s17
	s_add_co_i32 s8, s8, s13
	s_add_co_i32 s13, s28, 16
	s_ashr_i32 s27, s8, 5
	s_clause 0x2
	s_load_b64 s[14:15], s[0:1], 0x38
	s_load_b32 s8, s[0:1], 0x98
	s_load_b32 s16, s[0:1], 0x48
	s_min_i32 s13, s13, s27
	s_xor_b32 s3, s3, s6
	s_add_co_i32 s6, s7, 1
	s_sub_co_i32 s17, s2, s4
	s_cmp_ge_u32 s2, s4
	v_lshrrev_b32_e32 v9, 5, v0
	s_cselect_b32 s6, s6, s7
	s_cselect_b32 s2, s17, s2
	s_add_co_i32 s7, s6, 1
	s_wait_alu 0xfffe
	s_cmp_ge_u32 s2, s4
	v_dual_mov_b32 v13, 0xff7fffff :: v_dual_and_b32 v10, 31, v0
	v_add_nc_u32_e32 v11, s28, v9
	s_cselect_b32 s2, s7, s6
	s_wait_dscnt 0x0
	s_wait_alu 0xfffe
	s_xor_b32 s2, s2, s3
	v_lshlrev_b32_e32 v12, 2, v10
	s_wait_alu 0xfffe
	s_sub_co_i32 s3, s2, s3
	v_cmp_gt_i32_e64 s2, s13, v11
	v_lshlrev_b32_e32 v8, 2, v11
	s_wait_kmcnt 0x0
	s_mul_i32 s16, s16, s20
	s_wait_alu 0xfffe
	s_mul_i32 s18, s3, s10
	s_ashr_i32 s17, s16, 31
	s_barrier_signal -1
	s_barrier_wait -1
	global_inv scope:SCOPE_SE
	s_and_saveexec_b32 s6, s2
	s_cbranch_execz .LBB118_9
; %bb.6:
	s_load_b64 s[22:23], s[0:1], 0x20
	s_ashr_i32 s19, s18, 31
	v_dual_mov_b32 v14, 0 :: v_dual_lshlrev_b32 v1, 4, v10
	s_lshl_b64 s[30:31], s[18:19], 1
	s_cmp_neq_f32 s11, 0
	v_dual_mov_b32 v13, 0xff7fffff :: v_dual_lshlrev_b32 v2, 5, v9
	v_lshl_or_b32 v3, v9, 7, v12
	s_cselect_b32 vcc_lo, -1, 0
	s_lshl_b64 s[34:35], s[16:17], 2
	s_delay_alu instid0(VALU_DEP_2)
	v_add3_u32 v15, s26, v2, v10
	s_add_nc_u64 s[34:35], s[14:15], s[34:35]
	v_dual_mov_b32 v19, v11 :: v_dual_add_nc_u32 v16, 0xa0, v3
	v_add_co_u32 v5, s3, s34, v8
	s_wait_alu 0xf1ff
	v_add_co_ci_u32_e64 v6, null, s35, 0, s3
	s_mov_b32 s10, s9
	s_wait_kmcnt 0x0
	s_add_nc_u64 s[22:23], s[22:23], s[30:31]
	s_mov_b32 s7, 0
	v_add_co_u32 v17, s3, s22, v1
	s_wait_alu 0xf1ff
	v_add_co_ci_u32_e64 v18, null, s23, 0, s3
	s_sub_co_i32 s19, 1, s25
.LBB118_7:                              ; =>This Inner Loop Header: Depth=1
	global_load_b32 v20, v[5:6], off
	ds_load_b128 v[1:4], v14
	v_dual_max_num_f32 v48, v13, v13 :: v_dual_add_nc_u32 v21, s19, v15
	v_add_nc_u32_e32 v19, 4, v19
	s_delay_alu instid0(VALU_DEP_2) | instskip(NEXT) | instid1(VALU_DEP_2)
	v_cvt_f32_i32_e32 v21, v21
	v_cmp_le_i32_e64 s4, s13, v19
	s_delay_alu instid0(VALU_DEP_2)
	v_mul_f32_e32 v49, s11, v21
	s_or_b32 s7, s4, s7
	s_wait_dscnt 0x0
	v_lshrrev_b32_e32 v51, 16, v1
	v_and_b32_e32 v50, 0xffff, v1
	v_lshrrev_b32_e32 v52, 16, v2
	v_and_b32_e32 v53, 0xffff, v2
	;; [unrolled: 2-line block ×4, first 2 shown]
	s_wait_loadcnt 0x0
	v_mad_co_i64_i32 v[1:2], null, v20, s10, 0
	s_delay_alu instid0(VALU_DEP_1) | instskip(NEXT) | instid1(VALU_DEP_1)
	v_lshlrev_b64_e32 v[1:2], 1, v[1:2]
	v_add_co_u32 v44, s3, v17, v1
	s_wait_alu 0xf1ff
	s_delay_alu instid0(VALU_DEP_2)
	v_add_co_ci_u32_e64 v45, null, v18, v2, s3
	v_add_co_u32 v5, s3, v5, 16
	s_wait_alu 0xf1ff
	v_add_co_ci_u32_e64 v6, null, 0, v6, s3
	s_clause 0x7
	global_load_b128 v[1:4], v[44:45], off
	global_load_b128 v[20:23], v[44:45], off offset:512
	global_load_b128 v[24:27], v[44:45], off offset:1024
	;; [unrolled: 1-line block ×7, first 2 shown]
	;;#ASMSTART
	v_cvt_f32_f16 v50, v50;
	;;#ASMEND
	;;#ASMSTART
	v_cvt_f32_f16 v51, v51;
	;;#ASMEND
	v_cmp_gt_i32_e64 s3, s25, v15
	v_add_nc_u32_e32 v15, 0x80, v15
	s_wait_loadcnt 0x7
	v_lshrrev_b32_e32 v58, 16, v1
	v_and_b32_e32 v1, 0xffff, v1
	v_lshrrev_b32_e32 v59, 16, v2
	v_and_b32_e32 v2, 0xffff, v2
	;; [unrolled: 2-line block ×4, first 2 shown]
	s_wait_loadcnt 0x6
	v_lshrrev_b32_e32 v62, 16, v20
	v_and_b32_e32 v63, 0xffff, v20
	v_lshrrev_b32_e32 v64, 16, v21
	v_lshrrev_b32_e32 v66, 16, v22
	v_and_b32_e32 v67, 0xffff, v22
	v_lshrrev_b32_e32 v68, 16, v23
	v_and_b32_e32 v69, 0xffff, v23
	s_wait_loadcnt 0x5
	v_lshrrev_b32_e32 v70, 16, v24
	v_and_b32_e32 v71, 0xffff, v24
	v_lshrrev_b32_e32 v72, 16, v25
	v_and_b32_e32 v73, 0xffff, v25
	v_lshrrev_b32_e32 v74, 16, v26
	v_and_b32_e32 v75, 0xffff, v26
	v_lshrrev_b32_e32 v76, 16, v27
	v_and_b32_e32 v77, 0xffff, v27
	s_wait_loadcnt 0x4
	v_lshrrev_b32_e32 v78, 16, v28
	v_and_b32_e32 v79, 0xffff, v28
	v_lshrrev_b32_e32 v80, 16, v29
	v_and_b32_e32 v81, 0xffff, v29
	;; [unrolled: 9-line block ×3, first 2 shown]
	;;#ASMSTART
	v_cvt_f32_f16 v20, v1;
	;;#ASMEND
	v_and_b32_e32 v65, 0xffff, v21
	;;#ASMSTART
	v_cvt_f32_f16 v21, v58;
	;;#ASMEND
	;;#ASMSTART
	v_cvt_f32_f16 v22, v53;
	;;#ASMEND
	;; [unrolled: 3-line block ×13, first 2 shown]
	ds_load_b128 v[1:4], v14 offset:16
	v_lshrrev_b32_e32 v90, 16, v34
	v_and_b32_e32 v91, 0xffff, v34
	v_lshrrev_b32_e32 v92, 16, v35
	v_and_b32_e32 v93, 0xffff, v35
	s_wait_loadcnt 0x2
	v_lshrrev_b32_e32 v94, 16, v36
	v_and_b32_e32 v95, 0xffff, v36
	v_lshrrev_b32_e32 v100, 16, v39
	v_and_b32_e32 v101, 0xffff, v39
	;; [unrolled: 2-line block ×4, first 2 shown]
	s_wait_loadcnt 0x1
	v_lshrrev_b32_e32 v102, 16, v40
	v_and_b32_e32 v103, 0xffff, v40
	v_lshrrev_b32_e32 v108, 16, v43
	v_and_b32_e32 v109, 0xffff, v43
	;; [unrolled: 2-line block ×3, first 2 shown]
	v_lshrrev_b32_e32 v106, 16, v42
	s_wait_dscnt 0x0
	v_lshrrev_b32_e32 v35, 16, v1
	v_and_b32_e32 v1, 0xffff, v1
	;;#ASMSTART
	v_cvt_f32_f16 v34, v1;
	;;#ASMEND
	;;#ASMSTART
	v_cvt_f32_f16 v35, v35;
	;;#ASMEND
	;; [unrolled: 3-line block ×3, first 2 shown]
	v_mul_f32_e32 v34, v34, v36
	v_lshrrev_b32_e32 v39, 16, v2
	v_and_b32_e32 v2, 0xffff, v2
	;;#ASMSTART
	v_cvt_f32_f16 v37, v62;
	;;#ASMEND
	;;#ASMSTART
	v_cvt_f32_f16 v38, v2;
	;;#ASMEND
	;; [unrolled: 3-line block ×3, first 2 shown]
	v_fmac_f32_e32 v34, v50, v20
	;;#ASMSTART
	v_cvt_f32_f16 v40, v65;
	;;#ASMEND
	v_mul_f32_e32 v36, v38, v40
	v_lshrrev_b32_e32 v43, 16, v3
	v_and_b32_e32 v107, 0xffff, v42
	s_wait_loadcnt 0x0
	v_lshrrev_b32_e32 v110, 16, v44
	v_and_b32_e32 v111, 0xffff, v44
	v_and_b32_e32 v3, 0xffff, v3
	;;#ASMSTART
	v_cvt_f32_f16 v41, v64;
	;;#ASMEND
	;;#ASMSTART
	v_cvt_f32_f16 v42, v3;
	;;#ASMEND
	;; [unrolled: 3-line block ×3, first 2 shown]
	v_fmac_f32_e32 v36, v22, v24
	;;#ASMSTART
	v_cvt_f32_f16 v44, v67;
	;;#ASMEND
	v_mul_f32_e32 v38, v42, v44
	v_lshrrev_b32_e32 v112, 16, v45
	v_and_b32_e32 v113, 0xffff, v45
	v_lshrrev_b32_e32 v116, 16, v47
	v_and_b32_e32 v117, 0xffff, v47
	v_lshrrev_b32_e32 v47, 16, v4
	;;#ASMSTART
	v_cvt_f32_f16 v45, v66;
	;;#ASMEND
	v_and_b32_e32 v4, 0xffff, v4
	v_lshrrev_b32_e32 v114, 16, v46
	v_and_b32_e32 v115, 0xffff, v46
	v_mul_f32_e32 v35, v35, v37
	v_mul_f32_e32 v37, v39, v41
	;; [unrolled: 1-line block ×3, first 2 shown]
	;;#ASMSTART
	v_cvt_f32_f16 v46, v4;
	;;#ASMEND
	;;#ASMSTART
	v_cvt_f32_f16 v47, v47;
	;;#ASMEND
	v_fmac_f32_e32 v38, v26, v28
	;;#ASMSTART
	v_cvt_f32_f16 v52, v69;
	;;#ASMEND
	;;#ASMSTART
	v_cvt_f32_f16 v53, v68;
	;;#ASMEND
	ds_load_b128 v[1:4], v14 offset:32
	v_dual_mul_f32 v41, v47, v53 :: v_dual_mul_f32 v40, v46, v52
	v_fmac_f32_e32 v35, v51, v21
	v_fmac_f32_e32 v37, v23, v25
	s_delay_alu instid0(VALU_DEP_3)
	v_dual_fmac_f32 v39, v27, v29 :: v_dual_fmac_f32 v40, v30, v32
	s_wait_dscnt 0x0
	v_lshrrev_b32_e32 v21, 16, v1
	v_and_b32_e32 v1, 0xffff, v1
	v_lshrrev_b32_e32 v25, 16, v2
	v_dual_fmac_f32 v41, v31, v33 :: v_dual_and_b32 v2, 0xffff, v2
	v_lshrrev_b32_e32 v29, 16, v3
	v_and_b32_e32 v3, 0xffff, v3
	v_lshrrev_b32_e32 v33, 16, v4
	v_and_b32_e32 v4, 0xffff, v4
	;;#ASMSTART
	v_cvt_f32_f16 v20, v1;
	;;#ASMEND
	;;#ASMSTART
	v_cvt_f32_f16 v21, v21;
	;;#ASMEND
	;; [unrolled: 3-line block ×16, first 2 shown]
	ds_load_b128 v[1:4], v14 offset:48
	v_dual_fmac_f32 v38, v28, v30 :: v_dual_fmac_f32 v35, v21, v23
	v_fmac_f32_e32 v37, v25, v27
	v_dual_fmac_f32 v41, v33, v43 :: v_dual_fmac_f32 v34, v20, v22
	v_fmac_f32_e32 v36, v24, v26
	v_fmac_f32_e32 v40, v32, v42
	s_wait_dscnt 0x0
	v_lshrrev_b32_e32 v21, 16, v1
	v_and_b32_e32 v1, 0xffff, v1
	v_lshrrev_b32_e32 v25, 16, v2
	v_and_b32_e32 v2, 0xffff, v2
	v_lshrrev_b32_e32 v33, 16, v4
	v_dual_fmac_f32 v39, v29, v31 :: v_dual_and_b32 v4, 0xffff, v4
	v_lshrrev_b32_e32 v29, 16, v3
	v_and_b32_e32 v3, 0xffff, v3
	;;#ASMSTART
	v_cvt_f32_f16 v20, v1;
	;;#ASMEND
	;;#ASMSTART
	v_cvt_f32_f16 v21, v21;
	;;#ASMEND
	;; [unrolled: 3-line block ×14, first 2 shown]
	v_fmac_f32_e32 v38, v28, v30
	;;#ASMSTART
	v_cvt_f32_f16 v42, v85;
	;;#ASMEND
	;;#ASMSTART
	v_cvt_f32_f16 v43, v84;
	;;#ASMEND
	ds_load_b128 v[1:4], v14 offset:64
	v_fmac_f32_e32 v34, v20, v22
	v_dual_fmac_f32 v36, v24, v26 :: v_dual_fmac_f32 v35, v21, v23
	v_fmac_f32_e32 v39, v29, v31
	v_dual_fmac_f32 v41, v33, v43 :: v_dual_fmac_f32 v40, v32, v42
	s_wait_dscnt 0x0
	v_lshrrev_b32_e32 v21, 16, v1
	v_and_b32_e32 v1, 0xffff, v1
	v_lshrrev_b32_e32 v29, 16, v3
	v_and_b32_e32 v3, 0xffff, v3
	v_lshrrev_b32_e32 v33, 16, v4
	v_dual_fmac_f32 v37, v25, v27 :: v_dual_and_b32 v4, 0xffff, v4
	v_lshrrev_b32_e32 v25, 16, v2
	v_and_b32_e32 v2, 0xffff, v2
	;;#ASMSTART
	v_cvt_f32_f16 v20, v1;
	;;#ASMEND
	;;#ASMSTART
	v_cvt_f32_f16 v21, v21;
	;;#ASMEND
	;; [unrolled: 3-line block ×6, first 2 shown]
	v_fmac_f32_e32 v34, v20, v22
	;;#ASMSTART
	v_cvt_f32_f16 v26, v89;
	;;#ASMEND
	;;#ASMSTART
	v_cvt_f32_f16 v27, v88;
	;;#ASMEND
	;; [unrolled: 3-line block ×8, first 2 shown]
	v_fmac_f32_e32 v36, v24, v26
	;;#ASMSTART
	v_cvt_f32_f16 v42, v93;
	;;#ASMEND
	;;#ASMSTART
	v_cvt_f32_f16 v43, v92;
	;;#ASMEND
	ds_load_b128 v[1:4], v14 offset:80
	v_fmac_f32_e32 v35, v21, v23
	v_fmac_f32_e32 v37, v25, v27
	;; [unrolled: 1-line block ×3, first 2 shown]
	v_dual_fmac_f32 v41, v33, v43 :: v_dual_fmac_f32 v38, v28, v30
	v_fmac_f32_e32 v40, v32, v42
	s_wait_dscnt 0x0
	v_lshrrev_b32_e32 v21, 16, v1
	v_and_b32_e32 v1, 0xffff, v1
	v_lshrrev_b32_e32 v25, 16, v2
	v_and_b32_e32 v2, 0xffff, v2
	;; [unrolled: 2-line block ×4, first 2 shown]
	;;#ASMSTART
	v_cvt_f32_f16 v20, v1;
	;;#ASMEND
	;;#ASMSTART
	v_cvt_f32_f16 v21, v21;
	;;#ASMEND
	;; [unrolled: 3-line block ×14, first 2 shown]
	v_fmac_f32_e32 v34, v20, v22
	;;#ASMSTART
	v_cvt_f32_f16 v42, v101;
	;;#ASMEND
	;;#ASMSTART
	v_cvt_f32_f16 v43, v100;
	;;#ASMEND
	ds_load_b128 v[1:4], v14 offset:96
	v_fmac_f32_e32 v35, v21, v23
	v_fmac_f32_e32 v37, v25, v27
	;; [unrolled: 1-line block ×3, first 2 shown]
	v_dual_fmac_f32 v41, v33, v43 :: v_dual_fmac_f32 v36, v24, v26
	v_fmac_f32_e32 v38, v28, v30
	v_fmac_f32_e32 v40, v32, v42
	s_wait_dscnt 0x0
	v_lshrrev_b32_e32 v21, 16, v1
	v_and_b32_e32 v1, 0xffff, v1
	v_lshrrev_b32_e32 v25, 16, v2
	v_and_b32_e32 v2, 0xffff, v2
	;; [unrolled: 2-line block ×4, first 2 shown]
	;;#ASMSTART
	v_cvt_f32_f16 v20, v1;
	;;#ASMEND
	;;#ASMSTART
	v_cvt_f32_f16 v21, v21;
	;;#ASMEND
	;; [unrolled: 3-line block ×16, first 2 shown]
	ds_load_b128 v[1:4], v14 offset:112
	v_dual_fmac_f32 v34, v20, v22 :: v_dual_fmac_f32 v35, v21, v23
	v_dual_fmac_f32 v36, v24, v26 :: v_dual_fmac_f32 v37, v25, v27
	v_dual_fmac_f32 v38, v28, v30 :: v_dual_fmac_f32 v39, v29, v31
	v_dual_fmac_f32 v40, v32, v42 :: v_dual_fmac_f32 v41, v33, v43
	s_wait_dscnt 0x0
	v_lshrrev_b32_e32 v20, 16, v1
	v_and_b32_e32 v1, 0xffff, v1
	v_lshrrev_b32_e32 v21, 16, v2
	v_and_b32_e32 v22, 0xffff, v2
	v_lshrrev_b32_e32 v25, 16, v3
	v_lshrrev_b32_e32 v26, 16, v4
	v_and_b32_e32 v27, 0xffff, v4
	;;#ASMSTART
	v_cvt_f32_f16 v1, v1;
	;;#ASMEND
	;;#ASMSTART
	v_cvt_f32_f16 v2, v20;
	;;#ASMEND
	v_and_b32_e32 v24, 0xffff, v3
	;;#ASMSTART
	v_cvt_f32_f16 v3, v111;
	;;#ASMEND
	;;#ASMSTART
	v_cvt_f32_f16 v4, v110;
	;;#ASMEND
	v_dual_fmac_f32 v34, v1, v3 :: v_dual_fmac_f32 v35, v2, v4
	;;#ASMSTART
	v_cvt_f32_f16 v20, v22;
	;;#ASMEND
	;;#ASMSTART
	v_cvt_f32_f16 v21, v21;
	;;#ASMEND
	;; [unrolled: 3-line block ×3, first 2 shown]
	v_fmac_f32_e32 v36, v20, v22
	v_add_f32_e32 v2, v34, v35
	;;#ASMSTART
	v_cvt_f32_f16 v23, v112;
	;;#ASMEND
	v_fmac_f32_e32 v37, v21, v23
	;;#ASMSTART
	v_cvt_f32_f16 v24, v24;
	;;#ASMEND
	;;#ASMSTART
	v_cvt_f32_f16 v25, v25;
	;;#ASMEND
	v_add_f32_e32 v2, v2, v36
	;;#ASMSTART
	v_cvt_f32_f16 v1, v115;
	;;#ASMEND
	v_fmac_f32_e32 v38, v24, v1
	;;#ASMSTART
	v_cvt_f32_f16 v3, v114;
	;;#ASMEND
	v_fmac_f32_e32 v39, v25, v3
	v_add_f32_e32 v1, v37, v2
	;;#ASMSTART
	v_cvt_f32_f16 v4, v27;
	;;#ASMEND
	;;#ASMSTART
	v_cvt_f32_f16 v2, v26;
	;;#ASMEND
	;; [unrolled: 3-line block ×3, first 2 shown]
	s_delay_alu instid0(VALU_DEP_1) | instskip(SKIP_2) | instid1(VALU_DEP_2)
	v_dual_fmac_f32 v40, v4, v3 :: v_dual_add_f32 v1, v1, v38
	;;#ASMSTART
	v_cvt_f32_f16 v3, v116;
	;;#ASMEND
	v_dual_fmac_f32 v41, v2, v3 :: v_dual_cndmask_b32 v2, 0, v49
	v_add_f32_e32 v1, v39, v1
	s_delay_alu instid0(VALU_DEP_1) | instskip(NEXT) | instid1(VALU_DEP_1)
	v_add_f32_e32 v1, v1, v40
	v_add_f32_e32 v1, v41, v1
	s_delay_alu instid0(VALU_DEP_1) | instskip(SKIP_1) | instid1(VALU_DEP_1)
	v_fmac_f32_e32 v2, s5, v1
	s_wait_alu 0xf1ff
	v_cndmask_b32_e64 v1, 0, v2, s3
	v_max_num_f32_e32 v2, v48, v2
	ds_store_b32 v16, v1
	v_cndmask_b32_e64 v13, v13, v2, s3
	v_add_nc_u32_e32 v16, 0x200, v16
	s_and_not1_b32 exec_lo, exec_lo, s7
	s_cbranch_execnz .LBB118_7
; %bb.8:
	s_or_b32 exec_lo, exec_lo, s7
.LBB118_9:
	s_delay_alu instid0(SALU_CYCLE_1)
	s_or_b32 exec_lo, exec_lo, s6
	v_mbcnt_lo_u32_b32 v1, -1, 0
	s_clause 0x2
	s_load_b128 s[4:7], s[0:1], 0x0
	s_load_b64 s[10:11], s[0:1], 0x10
	s_load_b64 s[22:23], s[0:1], 0x28
	v_max_num_f32_e32 v5, v13, v13
	v_xor_b32_e32 v2, 16, v1
	v_xor_b32_e32 v4, 8, v1
	s_delay_alu instid0(VALU_DEP_2) | instskip(SKIP_2) | instid1(VALU_DEP_3)
	v_cmp_gt_i32_e32 vcc_lo, 32, v2
	s_wait_alu 0xfffd
	v_cndmask_b32_e32 v2, v1, v2, vcc_lo
	v_cmp_gt_i32_e32 vcc_lo, 32, v4
	s_delay_alu instid0(VALU_DEP_2)
	v_lshlrev_b32_e32 v2, 2, v2
	s_wait_alu 0xfffd
	v_cndmask_b32_e32 v4, v1, v4, vcc_lo
	ds_bpermute_b32 v3, v2, v13
	s_wait_dscnt 0x0
	v_dual_max_num_f32 v6, v3, v3 :: v_dual_lshlrev_b32 v3, 2, v4
	s_delay_alu instid0(VALU_DEP_1)
	v_max_num_f32_e32 v4, v5, v6
	v_xor_b32_e32 v6, 4, v1
	ds_bpermute_b32 v5, v3, v4
	v_cmp_gt_i32_e32 vcc_lo, 32, v6
	s_wait_alu 0xfffd
	v_cndmask_b32_e32 v6, v1, v6, vcc_lo
	s_wait_dscnt 0x0
	v_max_num_f32_e32 v13, v5, v5
	s_delay_alu instid0(VALU_DEP_1)
	v_dual_max_num_f32 v4, v4, v13 :: v_dual_lshlrev_b32 v5, 2, v6
	v_xor_b32_e32 v13, 2, v1
	ds_bpermute_b32 v6, v5, v4
	v_cmp_gt_i32_e32 vcc_lo, 32, v13
	s_wait_dscnt 0x0
	s_wait_alu 0xfffd
	v_dual_cndmask_b32 v13, v1, v13 :: v_dual_max_num_f32 v6, v6, v6
	s_delay_alu instid0(VALU_DEP_1) | instskip(NEXT) | instid1(VALU_DEP_2)
	v_max_num_f32_e32 v4, v4, v6
	v_lshlrev_b32_e32 v14, 2, v13
	v_xor_b32_e32 v13, 1, v1
	s_delay_alu instid0(VALU_DEP_1)
	v_cmp_gt_i32_e32 vcc_lo, 32, v13
	s_wait_alu 0xfffd
	v_cndmask_b32_e32 v13, v1, v13, vcc_lo
	ds_bpermute_b32 v6, v14, v4
	v_cmp_eq_u32_e32 vcc_lo, 0, v10
	s_wait_dscnt 0x0
	v_dual_max_num_f32 v6, v6, v6 :: v_dual_lshlrev_b32 v13, 2, v13
	s_delay_alu instid0(VALU_DEP_1)
	v_dual_max_num_f32 v1, v4, v6 :: v_dual_lshlrev_b32 v6, 2, v9
	ds_bpermute_b32 v4, v13, v1
	s_and_saveexec_b32 s0, vcc_lo
	s_cbranch_execz .LBB118_11
; %bb.10:
	s_wait_dscnt 0x0
	v_dual_max_num_f32 v4, v4, v4 :: v_dual_max_num_f32 v1, v1, v1
	s_delay_alu instid0(VALU_DEP_1)
	v_max_num_f32_e32 v1, v1, v4
	ds_store_b32 v6, v1 offset:128
.LBB118_11:
	s_or_b32 exec_lo, exec_lo, s0
	v_cmp_gt_u32_e64 s0, 4, v10
	v_mov_b32_e32 v1, 0xff7fffff
	s_wait_loadcnt_dscnt 0x0
	s_barrier_signal -1
	s_barrier_wait -1
	global_inv scope:SCOPE_SE
	s_and_saveexec_b32 s1, s0
; %bb.12:
	ds_load_b32 v1, v12 offset:128
; %bb.13:
	s_or_b32 exec_lo, exec_lo, s1
	s_wait_dscnt 0x0
	ds_bpermute_b32 v4, v14, v1
	v_max_num_f32_e32 v1, v1, v1
	s_sub_co_i32 s1, s13, s28
	v_mov_b32_e32 v15, 0
	s_lshl_b32 s1, s1, 5
	s_delay_alu instid0(SALU_CYCLE_1) | instskip(NEXT) | instid1(SALU_CYCLE_1)
	s_add_co_i32 s1, s1, s26
	s_min_i32 s1, s1, s25
	s_delay_alu instid0(SALU_CYCLE_1) | instskip(SKIP_4) | instid1(VALU_DEP_1)
	s_sub_co_i32 s19, s1, s26
	s_wait_alu 0xfffe
	v_cmp_gt_i32_e64 s1, s19, v0
	s_wait_dscnt 0x0
	v_max_num_f32_e32 v4, v4, v4
	v_max_num_f32_e32 v1, v1, v4
	ds_bpermute_b32 v4, v13, v1
	s_wait_dscnt 0x0
	v_max_num_f32_e32 v4, v4, v4
	s_delay_alu instid0(VALU_DEP_1)
	v_max_num_f32_e32 v1, v1, v4
	v_lshl_add_u32 v4, v0, 2, 0xa0
	ds_bpermute_b32 v1, v15, v1
	s_and_saveexec_b32 s28, s1
	s_cbranch_execz .LBB118_17
; %bb.14:
	v_lshl_add_u32 v16, v0, 2, 0xa0
	v_mov_b32_e32 v15, 0
	v_mov_b32_e32 v17, v0
	s_mov_b32 s29, 0
.LBB118_15:                             ; =>This Inner Loop Header: Depth=1
	ds_load_b32 v18, v16
	v_add_nc_u32_e32 v17, 0x80, v17
	s_delay_alu instid0(VALU_DEP_1) | instskip(SKIP_4) | instid1(VALU_DEP_1)
	v_cmp_le_i32_e64 s3, s19, v17
	s_wait_alu 0xfffe
	s_or_b32 s29, s3, s29
	s_wait_dscnt 0x0
	v_sub_f32_e32 v18, v18, v1
	v_mul_f32_e32 v18, 0x3fb8aa3b, v18
	s_delay_alu instid0(VALU_DEP_1)
	v_exp_f32_e32 v18, v18
	ds_store_b32 v16, v18
	v_dual_add_f32 v15, v15, v18 :: v_dual_add_nc_u32 v16, 0x200, v16
	s_wait_alu 0xfffe
	s_and_not1_b32 exec_lo, exec_lo, s29
	s_cbranch_execnz .LBB118_15
; %bb.16:
	s_or_b32 exec_lo, exec_lo, s29
.LBB118_17:
	s_wait_alu 0xfffe
	s_or_b32 exec_lo, exec_lo, s28
	ds_bpermute_b32 v2, v2, v15
	s_wait_dscnt 0x0
	v_add_f32_e32 v2, v15, v2
	ds_bpermute_b32 v3, v3, v2
	s_wait_dscnt 0x0
	v_add_f32_e32 v2, v2, v3
	ds_bpermute_b32 v3, v5, v2
	s_wait_dscnt 0x0
	v_add_f32_e32 v2, v2, v3
	ds_bpermute_b32 v3, v14, v2
	s_wait_dscnt 0x0
	v_add_f32_e32 v2, v2, v3
	ds_bpermute_b32 v3, v13, v2
	s_wait_dscnt 0x0
	v_add_f32_e32 v2, v2, v3
	s_and_saveexec_b32 s3, vcc_lo
; %bb.18:
	ds_store_b32 v6, v2 offset:144
; %bb.19:
	s_wait_alu 0xfffe
	s_or_b32 exec_lo, exec_lo, s3
	s_wait_loadcnt_dscnt 0x0
	s_barrier_signal -1
	s_barrier_wait -1
	global_inv scope:SCOPE_SE
	s_and_saveexec_b32 s3, s0
; %bb.20:
	ds_load_b32 v2, v12 offset:144
; %bb.21:
	s_wait_alu 0xfffe
	s_or_b32 exec_lo, exec_lo, s3
	s_wait_dscnt 0x0
	ds_bpermute_b32 v3, v14, v2
	s_wait_dscnt 0x0
	v_add_f32_e32 v2, v2, v3
	ds_bpermute_b32 v3, v13, v2
	s_wait_dscnt 0x0
	v_dual_add_f32 v2, v2, v3 :: v_dual_mov_b32 v3, 0
	ds_bpermute_b32 v2, v3, v2
	s_and_saveexec_b32 s0, s1
	s_cbranch_execz .LBB118_24
; %bb.22:
	s_wait_dscnt 0x0
	v_add_f32_e32 v3, 0x358637bd, v2
	s_mov_b32 s1, 0
	s_delay_alu instid0(VALU_DEP_1) | instskip(SKIP_1) | instid1(VALU_DEP_2)
	v_div_scale_f32 v5, null, v3, v3, 1.0
	v_div_scale_f32 v15, vcc_lo, 1.0, v3, 1.0
	v_rcp_f32_e32 v6, v5
	s_delay_alu instid0(TRANS32_DEP_1) | instskip(NEXT) | instid1(VALU_DEP_1)
	v_fma_f32 v12, -v5, v6, 1.0
	v_fmac_f32_e32 v6, v12, v6
	s_delay_alu instid0(VALU_DEP_1) | instskip(NEXT) | instid1(VALU_DEP_1)
	v_mul_f32_e32 v12, v15, v6
	v_fma_f32 v16, -v5, v12, v15
	s_delay_alu instid0(VALU_DEP_1) | instskip(NEXT) | instid1(VALU_DEP_1)
	v_fmac_f32_e32 v12, v16, v6
	v_fma_f32 v5, -v5, v12, v15
	s_wait_alu 0xfffd
	s_delay_alu instid0(VALU_DEP_1) | instskip(NEXT) | instid1(VALU_DEP_1)
	v_div_fmas_f32 v5, v5, v6, v12
	v_div_fixup_f32 v3, v5, v3, 1.0
	v_mov_b32_e32 v5, v0
.LBB118_23:                             ; =>This Inner Loop Header: Depth=1
	ds_load_b32 v6, v4
	s_wait_dscnt 0x0
	v_dual_mul_f32 v6, v3, v6 :: v_dual_add_nc_u32 v5, 0x80, v5
	s_delay_alu instid0(VALU_DEP_1) | instskip(SKIP_3) | instid1(SALU_CYCLE_1)
	v_cmp_le_i32_e32 vcc_lo, s19, v5
	ds_store_b32 v4, v6
	v_add_nc_u32_e32 v4, 0x200, v4
	s_or_b32 s1, vcc_lo, s1
	s_and_not1_b32 exec_lo, exec_lo, s1
	s_cbranch_execnz .LBB118_23
.LBB118_24:
	s_or_b32 exec_lo, exec_lo, s0
	s_mul_i32 s0, s8, s20
	s_wait_loadcnt_dscnt 0x0
	s_mul_i32 s20, s0, s21
	s_mov_b32 s0, exec_lo
	s_barrier_signal -1
	s_barrier_wait -1
	global_inv scope:SCOPE_SE
	v_cmpx_eq_u32_e32 0, v0
	s_cbranch_execz .LBB118_26
; %bb.25:
	s_ashr_i32 s21, s20, 31
	s_mul_i32 s28, s8, ttmp9
	s_lshl_b32 s1, s24, 2
	s_lshl_b64 s[30:31], s[20:21], 2
	s_wait_alu 0xfffe
	s_ashr_i32 s29, s28, 31
	v_mov_b32_e32 v3, s1
	s_wait_kmcnt 0x0
	s_add_nc_u64 s[6:7], s[6:7], s[30:31]
	s_wait_alu 0xfffe
	s_lshl_b64 s[28:29], s[28:29], 2
	s_add_nc_u64 s[4:5], s[4:5], s[30:31]
	s_wait_alu 0xfffe
	s_add_nc_u64 s[6:7], s[6:7], s[28:29]
	s_add_nc_u64 s[4:5], s[4:5], s[28:29]
	s_clause 0x1
	global_store_b32 v3, v1, s[6:7]
	global_store_b32 v3, v2, s[4:5]
.LBB118_26:
	s_or_b32 exec_lo, exec_lo, s0
	v_dual_mov_b32 v20, 0 :: v_dual_mov_b32 v21, 0
	v_dual_mov_b32 v19, 0 :: v_dual_and_b32 v12, 3, v0
	v_dual_mov_b32 v22, 0 :: v_dual_mov_b32 v17, 0
	v_dual_mov_b32 v18, 0 :: v_dual_mov_b32 v15, 0
	v_mov_b32_e32 v16, 0
	s_and_saveexec_b32 s1, s2
	s_cbranch_execz .LBB118_46
; %bb.27:
	s_ashr_i32 s19, s18, 31
	v_dual_mov_b32 v22, 0 :: v_dual_and_b32 v3, 0x1f0, v7
	s_wait_alu 0xfffe
	s_lshl_b64 s[2:3], s[18:19], 1
	v_dual_mov_b32 v16, 0 :: v_dual_lshlrev_b32 v1, 3, v0
	v_dual_mov_b32 v15, 0 :: v_dual_lshlrev_b32 v2, 5, v12
	s_wait_kmcnt 0x0
	s_wait_alu 0xfffe
	s_add_nc_u64 s[2:3], s[22:23], s[2:3]
	v_dual_mov_b32 v18, 0 :: v_dual_and_b32 v1, 24, v1
	s_wait_alu 0xfffe
	v_add_co_u32 v23, s0, s2, v3
	s_wait_alu 0xf1ff
	v_add_co_ci_u32_e64 v24, null, s3, 0, s0
	s_lshl_b64 s[2:3], s[16:17], 2
	v_lshl_add_u32 v4, v9, 5, s26
	v_lshl_or_b32 v2, v9, 7, v2
	s_wait_alu 0xfffe
	s_add_nc_u64 s[2:3], s[14:15], s[2:3]
	v_mov_b32_e32 v17, 0
	s_wait_alu 0xfffe
	v_add_co_u32 v5, s0, s2, v8
	v_add3_u32 v25, v4, v1, 7
	v_add_nc_u32_e32 v26, 0xa0, v2
	s_wait_alu 0xf1ff
	v_add_co_ci_u32_e64 v6, null, s3, 0, s0
	v_dual_mov_b32 v19, 0 :: v_dual_mov_b32 v20, 0
	v_mov_b32_e32 v21, 0
	s_mov_b32 s2, s9
	s_add_co_i32 s27, s27, -1
	s_mov_b32 s3, 0
	s_branch .LBB118_29
.LBB118_28:                             ;   in Loop: Header=BB118_29 Depth=1
	s_wait_alu 0xfffe
	s_or_b32 exec_lo, exec_lo, s0
	v_dual_add_f32 v27, v51, v52 :: v_dual_add_f32 v28, v48, v49
	v_lshlrev_b32_e32 v29, 16, v50
	v_lshlrev_b32_e32 v8, 16, v8
	;; [unrolled: 1-line block ×3, first 2 shown]
	s_delay_alu instid0(VALU_DEP_4)
	v_add_f32_e32 v16, v16, v27
	v_add_f32_e32 v27, v46, v47
	v_and_or_b32 v1, 0xffff, v1, v29
	v_and_or_b32 v2, 0xffff, v2, v8
	;; [unrolled: 1-line block ×3, first 2 shown]
	;;#ASMSTART
	v_pk_mul_f16 v1, v35, v1;

	;;#ASMEND
	;;#ASMSTART
	v_pk_mul_f16 v2, v34, v2;

	;;#ASMEND
	;; [unrolled: 4-line block ×4, first 2 shown]
	;;#ASMSTART
	v_pk_add_f16 v1, v1, v2;

	;;#ASMEND
	v_add_f32_e32 v2, v40, v41
	;;#ASMSTART
	v_pk_add_f16 v1, v1, v3;

	;;#ASMEND
	;;#ASMSTART
	v_pk_add_f16 v1, v1, v4;

	;;#ASMEND
	v_and_b32_e32 v4, 0xffff, v1
	s_delay_alu instid0(VALU_DEP_2)
	v_dual_add_f32 v22, v22, v2 :: v_dual_add_nc_u32 v11, 4, v11
	v_lshrrev_b32_e32 v7, 16, v1
	v_add_f32_e32 v1, v42, v43
	;;#ASMSTART
	v_cvt_f32_f16 v4, v4;
	;;#ASMEND
	v_dual_add_f32 v17, v17, v28 :: v_dual_add_f32 v28, v44, v45
	v_dual_add_f32 v3, v38, v39 :: v_dual_add_nc_u32 v26, 0x200, v26
	;;#ASMSTART
	v_cvt_f32_f16 v7, v7;
	;;#ASMEND
	v_dual_add_f32 v4, v4, v7 :: v_dual_add_f32 v21, v21, v1
	v_cmp_le_i32_e32 vcc_lo, s13, v11
	v_add_co_u32 v5, s0, v5, 16
	v_dual_add_f32 v18, v18, v27 :: v_dual_add_f32 v19, v19, v28
	s_delay_alu instid0(VALU_DEP_4)
	v_dual_add_f32 v20, v20, v3 :: v_dual_add_f32 v15, v15, v4
	v_add_nc_u32_e32 v25, 0x80, v25
	s_wait_alu 0xf1ff
	v_add_co_ci_u32_e64 v6, null, 0, v6, s0
	s_or_b32 s3, vcc_lo, s3
	s_wait_alu 0xfffe
	s_and_not1_b32 exec_lo, exec_lo, s3
	s_cbranch_execz .LBB118_45
.LBB118_29:                             ; =>This Inner Loop Header: Depth=1
	global_load_b32 v7, v[5:6], off
	ds_load_2addr_b64 v[1:4], v26 offset1:1
	ds_load_2addr_b64 v[27:30], v26 offset0:2 offset1:3
	v_add_nc_u32_e32 v31, -7, v25
	v_add_nc_u32_e32 v33, -6, v25
	;; [unrolled: 1-line block ×3, first 2 shown]
	s_wait_dscnt 0x1
	;;#ASMSTART
	v_cvt_f16_f32 v35, v1;

	;;#ASMEND
	;;#ASMSTART
	v_cvt_f16_f32 v34, v2;

	;;#ASMEND
	;; [unrolled: 4-line block ×4, first 2 shown]
	s_wait_dscnt 0x0
	;;#ASMSTART
	v_cvt_f16_f32 v41, v27;

	;;#ASMEND
	;;#ASMSTART
	v_cvt_f16_f32 v36, v28;

	;;#ASMEND
	;;#ASMSTART
	v_cvt_f16_f32 v39, v29;

	;;#ASMEND
	;;#ASMSTART
	v_cvt_f16_f32 v37, v30;

	;;#ASMEND
	v_add_nc_u32_e32 v29, -4, v25
	v_add_nc_u32_e32 v28, -3, v25
	;; [unrolled: 1-line block ×4, first 2 shown]
	s_wait_loadcnt 0x0
	s_wait_alu 0xfffe
	v_mad_co_i64_i32 v[7:8], null, v7, s2, 0
	s_delay_alu instid0(VALU_DEP_1) | instskip(NEXT) | instid1(VALU_DEP_1)
	v_lshlrev_b64_e32 v[7:8], 1, v[7:8]
	v_add_co_u32 v7, vcc_lo, v23, v7
	s_wait_alu 0xfffd
	s_delay_alu instid0(VALU_DEP_2)
	v_add_co_ci_u32_e64 v8, null, v24, v8, vcc_lo
	v_cmp_eq_u32_e32 vcc_lo, s27, v11
	global_load_b128 v[1:4], v[7:8], off
	s_wait_loadcnt 0x0
	v_lshrrev_b32_e32 v44, 16, v1
	v_lshrrev_b32_e32 v43, 16, v2
	;; [unrolled: 1-line block ×3, first 2 shown]
	s_and_saveexec_b32 s4, vcc_lo
	s_cbranch_execz .LBB118_31
; %bb.30:                               ;   in Loop: Header=BB118_29 Depth=1
	v_cmp_gt_i32_e64 s0, s25, v31
	v_and_b32_e32 v45, 0xffff, v4
	v_and_b32_e32 v4, 0xffff0000, v4
	s_wait_alu 0xf1ff
	s_delay_alu instid0(VALU_DEP_3) | instskip(SKIP_2) | instid1(VALU_DEP_1)
	v_cndmask_b32_e64 v1, 0, v1, s0
	v_cmp_gt_i32_e64 s0, s25, v33
	s_wait_alu 0xf1ff
	v_cndmask_b32_e64 v44, 0, v44, s0
	v_cmp_gt_i32_e64 s0, s25, v32
	s_wait_alu 0xf1ff
	s_delay_alu instid0(VALU_DEP_1) | instskip(SKIP_2) | instid1(VALU_DEP_1)
	v_cndmask_b32_e64 v2, 0, v2, s0
	v_cmp_gt_i32_e64 s0, s25, v29
	s_wait_alu 0xf1ff
	v_cndmask_b32_e64 v43, 0, v43, s0
	v_cmp_gt_i32_e64 s0, s25, v30
	s_wait_alu 0xf1ff
	s_delay_alu instid0(VALU_DEP_1) | instskip(SKIP_2) | instid1(VALU_DEP_1)
	v_cndmask_b32_e64 v45, 0, v45, s0
	v_cmp_gt_i32_e64 s0, s25, v25
	s_wait_alu 0xf1ff
	v_cndmask_b32_e64 v4, 0, v4, s0
	v_cmp_gt_i32_e64 s0, s25, v28
	s_delay_alu instid0(VALU_DEP_2) | instskip(SKIP_1) | instid1(VALU_DEP_2)
	v_or_b32_e32 v4, v45, v4
	s_wait_alu 0xf1ff
	v_cndmask_b32_e64 v3, 0, v3, s0
	v_cmp_gt_i32_e64 s0, s25, v27
	s_wait_alu 0xf1ff
	s_delay_alu instid0(VALU_DEP_1)
	v_cndmask_b32_e64 v42, 0, v42, s0
.LBB118_31:                             ;   in Loop: Header=BB118_29 Depth=1
	s_wait_alu 0xfffe
	s_or_b32 exec_lo, exec_lo, s4
	v_and_b32_e32 v35, 0xffff, v35
	v_and_b32_e32 v40, 0xffff, v40
	v_lshlrev_b32_e32 v44, 16, v44
	v_and_b32_e32 v41, 0xffff, v41
	v_and_b32_e32 v39, 0xffff, v39
	v_lshl_or_b32 v35, v34, 16, v35
	v_lshl_or_b32 v34, v38, 16, v40
	v_lshlrev_b32_e32 v38, 16, v43
	v_lshlrev_b32_e32 v40, 16, v42
	v_and_or_b32 v1, 0xffff, v1, v44
	;;#ASMSTART
	v_pk_mul_f16 v1, v35, v1;

	;;#ASMEND
	v_lshl_or_b32 v36, v36, 16, v41
	v_and_or_b32 v2, 0xffff, v2, v38
	v_and_or_b32 v3, 0xffff, v3, v40
	v_lshl_or_b32 v37, v37, 16, v39
	;;#ASMSTART
	v_pk_mul_f16 v2, v34, v2;

	;;#ASMEND
	;;#ASMSTART
	v_pk_mul_f16 v3, v36, v3;

	;;#ASMEND
	;; [unrolled: 4-line block ×3, first 2 shown]
	;;#ASMSTART
	v_pk_add_f16 v1, v1, v2;

	;;#ASMEND
	;;#ASMSTART
	v_pk_add_f16 v1, v1, v3;

	;;#ASMEND
	;; [unrolled: 4-line block ×3, first 2 shown]
	v_and_b32_e32 v2, 0xffff, v1
	v_lshrrev_b32_e32 v1, 16, v1
	;;#ASMSTART
	v_cvt_f32_f16 v38, v2;
	;;#ASMEND
	;;#ASMSTART
	v_cvt_f32_f16 v39, v1;
	;;#ASMEND
	global_load_b128 v[1:4], v[7:8], off offset:512
	s_wait_loadcnt 0x0
	v_lshrrev_b32_e32 v42, 16, v1
	v_lshrrev_b32_e32 v41, 16, v2
	;; [unrolled: 1-line block ×3, first 2 shown]
	s_and_saveexec_b32 s4, vcc_lo
	s_cbranch_execz .LBB118_33
; %bb.32:                               ;   in Loop: Header=BB118_29 Depth=1
	v_cmp_gt_i32_e64 s0, s25, v31
	v_and_b32_e32 v43, 0xffff, v4
	v_and_b32_e32 v4, 0xffff0000, v4
	s_wait_alu 0xf1ff
	s_delay_alu instid0(VALU_DEP_3) | instskip(SKIP_2) | instid1(VALU_DEP_1)
	v_cndmask_b32_e64 v1, 0, v1, s0
	v_cmp_gt_i32_e64 s0, s25, v33
	s_wait_alu 0xf1ff
	v_cndmask_b32_e64 v42, 0, v42, s0
	v_cmp_gt_i32_e64 s0, s25, v32
	s_wait_alu 0xf1ff
	s_delay_alu instid0(VALU_DEP_1) | instskip(SKIP_2) | instid1(VALU_DEP_1)
	v_cndmask_b32_e64 v2, 0, v2, s0
	v_cmp_gt_i32_e64 s0, s25, v29
	s_wait_alu 0xf1ff
	v_cndmask_b32_e64 v41, 0, v41, s0
	v_cmp_gt_i32_e64 s0, s25, v30
	s_wait_alu 0xf1ff
	s_delay_alu instid0(VALU_DEP_1) | instskip(SKIP_2) | instid1(VALU_DEP_1)
	v_cndmask_b32_e64 v43, 0, v43, s0
	v_cmp_gt_i32_e64 s0, s25, v25
	s_wait_alu 0xf1ff
	v_cndmask_b32_e64 v4, 0, v4, s0
	v_cmp_gt_i32_e64 s0, s25, v28
	s_delay_alu instid0(VALU_DEP_2) | instskip(SKIP_1) | instid1(VALU_DEP_2)
	v_or_b32_e32 v4, v43, v4
	s_wait_alu 0xf1ff
	v_cndmask_b32_e64 v3, 0, v3, s0
	v_cmp_gt_i32_e64 s0, s25, v27
	s_wait_alu 0xf1ff
	s_delay_alu instid0(VALU_DEP_1)
	v_cndmask_b32_e64 v40, 0, v40, s0
.LBB118_33:                             ;   in Loop: Header=BB118_29 Depth=1
	s_wait_alu 0xfffe
	s_or_b32 exec_lo, exec_lo, s4
	v_lshlrev_b32_e32 v42, 16, v42
	v_lshlrev_b32_e32 v41, 16, v41
	;; [unrolled: 1-line block ×3, first 2 shown]
	s_delay_alu instid0(VALU_DEP_3) | instskip(NEXT) | instid1(VALU_DEP_3)
	v_and_or_b32 v1, 0xffff, v1, v42
	v_and_or_b32 v2, 0xffff, v2, v41
	s_delay_alu instid0(VALU_DEP_3)
	v_and_or_b32 v3, 0xffff, v3, v40
	;;#ASMSTART
	v_pk_mul_f16 v1, v35, v1;

	;;#ASMEND
	;;#ASMSTART
	v_pk_mul_f16 v2, v34, v2;

	;;#ASMEND
	;;#ASMSTART
	v_pk_mul_f16 v3, v36, v3;

	;;#ASMEND
	;;#ASMSTART
	v_pk_mul_f16 v4, v37, v4;

	;;#ASMEND
	;;#ASMSTART
	v_pk_add_f16 v1, v1, v2;

	;;#ASMEND
	;;#ASMSTART
	v_pk_add_f16 v1, v1, v3;

	;;#ASMEND
	;; [unrolled: 4-line block ×3, first 2 shown]
	v_and_b32_e32 v2, 0xffff, v1
	v_lshrrev_b32_e32 v1, 16, v1
	;;#ASMSTART
	v_cvt_f32_f16 v40, v2;
	;;#ASMEND
	;;#ASMSTART
	v_cvt_f32_f16 v41, v1;
	;;#ASMEND
	global_load_b128 v[1:4], v[7:8], off offset:1024
	s_wait_loadcnt 0x0
	v_lshrrev_b32_e32 v44, 16, v1
	v_lshrrev_b32_e32 v43, 16, v2
	;; [unrolled: 1-line block ×3, first 2 shown]
	s_and_saveexec_b32 s4, vcc_lo
	s_cbranch_execz .LBB118_35
; %bb.34:                               ;   in Loop: Header=BB118_29 Depth=1
	v_cmp_gt_i32_e64 s0, s25, v31
	v_and_b32_e32 v45, 0xffff, v4
	v_and_b32_e32 v4, 0xffff0000, v4
	s_wait_alu 0xf1ff
	s_delay_alu instid0(VALU_DEP_3) | instskip(SKIP_2) | instid1(VALU_DEP_1)
	v_cndmask_b32_e64 v1, 0, v1, s0
	v_cmp_gt_i32_e64 s0, s25, v33
	s_wait_alu 0xf1ff
	v_cndmask_b32_e64 v44, 0, v44, s0
	v_cmp_gt_i32_e64 s0, s25, v32
	s_wait_alu 0xf1ff
	s_delay_alu instid0(VALU_DEP_1) | instskip(SKIP_2) | instid1(VALU_DEP_1)
	v_cndmask_b32_e64 v2, 0, v2, s0
	v_cmp_gt_i32_e64 s0, s25, v29
	s_wait_alu 0xf1ff
	v_cndmask_b32_e64 v43, 0, v43, s0
	v_cmp_gt_i32_e64 s0, s25, v30
	s_wait_alu 0xf1ff
	s_delay_alu instid0(VALU_DEP_1) | instskip(SKIP_2) | instid1(VALU_DEP_1)
	v_cndmask_b32_e64 v45, 0, v45, s0
	v_cmp_gt_i32_e64 s0, s25, v25
	s_wait_alu 0xf1ff
	v_cndmask_b32_e64 v4, 0, v4, s0
	v_cmp_gt_i32_e64 s0, s25, v28
	s_delay_alu instid0(VALU_DEP_2) | instskip(SKIP_1) | instid1(VALU_DEP_2)
	v_or_b32_e32 v4, v45, v4
	s_wait_alu 0xf1ff
	v_cndmask_b32_e64 v3, 0, v3, s0
	v_cmp_gt_i32_e64 s0, s25, v27
	s_wait_alu 0xf1ff
	s_delay_alu instid0(VALU_DEP_1)
	v_cndmask_b32_e64 v42, 0, v42, s0
.LBB118_35:                             ;   in Loop: Header=BB118_29 Depth=1
	s_wait_alu 0xfffe
	s_or_b32 exec_lo, exec_lo, s4
	v_lshlrev_b32_e32 v44, 16, v44
	v_lshlrev_b32_e32 v43, 16, v43
	;; [unrolled: 1-line block ×3, first 2 shown]
	s_delay_alu instid0(VALU_DEP_3) | instskip(NEXT) | instid1(VALU_DEP_3)
	v_and_or_b32 v1, 0xffff, v1, v44
	v_and_or_b32 v2, 0xffff, v2, v43
	s_delay_alu instid0(VALU_DEP_3)
	v_and_or_b32 v3, 0xffff, v3, v42
	;;#ASMSTART
	v_pk_mul_f16 v1, v35, v1;

	;;#ASMEND
	;;#ASMSTART
	v_pk_mul_f16 v2, v34, v2;

	;;#ASMEND
	;; [unrolled: 4-line block ×4, first 2 shown]
	;;#ASMSTART
	v_pk_add_f16 v1, v1, v2;

	;;#ASMEND
	;;#ASMSTART
	v_pk_add_f16 v1, v1, v3;

	;;#ASMEND
	;; [unrolled: 4-line block ×3, first 2 shown]
	v_and_b32_e32 v2, 0xffff, v1
	v_lshrrev_b32_e32 v1, 16, v1
	;;#ASMSTART
	v_cvt_f32_f16 v42, v2;
	;;#ASMEND
	;;#ASMSTART
	v_cvt_f32_f16 v43, v1;
	;;#ASMEND
	global_load_b128 v[1:4], v[7:8], off offset:1536
	s_wait_loadcnt 0x0
	v_lshrrev_b32_e32 v46, 16, v1
	v_lshrrev_b32_e32 v45, 16, v2
	;; [unrolled: 1-line block ×3, first 2 shown]
	s_and_saveexec_b32 s4, vcc_lo
	s_cbranch_execz .LBB118_37
; %bb.36:                               ;   in Loop: Header=BB118_29 Depth=1
	v_cmp_gt_i32_e64 s0, s25, v31
	v_and_b32_e32 v47, 0xffff, v4
	v_and_b32_e32 v4, 0xffff0000, v4
	s_wait_alu 0xf1ff
	s_delay_alu instid0(VALU_DEP_3) | instskip(SKIP_2) | instid1(VALU_DEP_1)
	v_cndmask_b32_e64 v1, 0, v1, s0
	v_cmp_gt_i32_e64 s0, s25, v33
	s_wait_alu 0xf1ff
	v_cndmask_b32_e64 v46, 0, v46, s0
	v_cmp_gt_i32_e64 s0, s25, v32
	s_wait_alu 0xf1ff
	s_delay_alu instid0(VALU_DEP_1) | instskip(SKIP_2) | instid1(VALU_DEP_1)
	v_cndmask_b32_e64 v2, 0, v2, s0
	v_cmp_gt_i32_e64 s0, s25, v29
	s_wait_alu 0xf1ff
	v_cndmask_b32_e64 v45, 0, v45, s0
	v_cmp_gt_i32_e64 s0, s25, v30
	s_wait_alu 0xf1ff
	s_delay_alu instid0(VALU_DEP_1) | instskip(SKIP_2) | instid1(VALU_DEP_1)
	v_cndmask_b32_e64 v47, 0, v47, s0
	v_cmp_gt_i32_e64 s0, s25, v25
	s_wait_alu 0xf1ff
	v_cndmask_b32_e64 v4, 0, v4, s0
	v_cmp_gt_i32_e64 s0, s25, v28
	s_delay_alu instid0(VALU_DEP_2) | instskip(SKIP_1) | instid1(VALU_DEP_2)
	v_or_b32_e32 v4, v47, v4
	s_wait_alu 0xf1ff
	v_cndmask_b32_e64 v3, 0, v3, s0
	v_cmp_gt_i32_e64 s0, s25, v27
	s_wait_alu 0xf1ff
	s_delay_alu instid0(VALU_DEP_1)
	v_cndmask_b32_e64 v44, 0, v44, s0
.LBB118_37:                             ;   in Loop: Header=BB118_29 Depth=1
	s_wait_alu 0xfffe
	s_or_b32 exec_lo, exec_lo, s4
	v_lshlrev_b32_e32 v46, 16, v46
	v_lshlrev_b32_e32 v45, 16, v45
	;; [unrolled: 1-line block ×3, first 2 shown]
	s_delay_alu instid0(VALU_DEP_3) | instskip(NEXT) | instid1(VALU_DEP_3)
	v_and_or_b32 v1, 0xffff, v1, v46
	v_and_or_b32 v2, 0xffff, v2, v45
	s_delay_alu instid0(VALU_DEP_3)
	v_and_or_b32 v3, 0xffff, v3, v44
	;;#ASMSTART
	v_pk_mul_f16 v1, v35, v1;

	;;#ASMEND
	;;#ASMSTART
	v_pk_mul_f16 v2, v34, v2;

	;;#ASMEND
	;; [unrolled: 4-line block ×4, first 2 shown]
	;;#ASMSTART
	v_pk_add_f16 v1, v1, v2;

	;;#ASMEND
	;;#ASMSTART
	v_pk_add_f16 v1, v1, v3;

	;;#ASMEND
	;; [unrolled: 4-line block ×3, first 2 shown]
	v_and_b32_e32 v2, 0xffff, v1
	v_lshrrev_b32_e32 v1, 16, v1
	;;#ASMSTART
	v_cvt_f32_f16 v44, v2;
	;;#ASMEND
	;;#ASMSTART
	v_cvt_f32_f16 v45, v1;
	;;#ASMEND
	global_load_b128 v[1:4], v[7:8], off offset:2048
	s_wait_loadcnt 0x0
	v_lshrrev_b32_e32 v48, 16, v1
	v_lshrrev_b32_e32 v47, 16, v2
	;; [unrolled: 1-line block ×3, first 2 shown]
	s_and_saveexec_b32 s4, vcc_lo
	s_cbranch_execz .LBB118_39
; %bb.38:                               ;   in Loop: Header=BB118_29 Depth=1
	v_cmp_gt_i32_e64 s0, s25, v31
	v_and_b32_e32 v49, 0xffff, v4
	v_and_b32_e32 v4, 0xffff0000, v4
	s_wait_alu 0xf1ff
	s_delay_alu instid0(VALU_DEP_3) | instskip(SKIP_2) | instid1(VALU_DEP_1)
	v_cndmask_b32_e64 v1, 0, v1, s0
	v_cmp_gt_i32_e64 s0, s25, v33
	s_wait_alu 0xf1ff
	v_cndmask_b32_e64 v48, 0, v48, s0
	v_cmp_gt_i32_e64 s0, s25, v32
	s_wait_alu 0xf1ff
	s_delay_alu instid0(VALU_DEP_1) | instskip(SKIP_2) | instid1(VALU_DEP_1)
	v_cndmask_b32_e64 v2, 0, v2, s0
	v_cmp_gt_i32_e64 s0, s25, v29
	s_wait_alu 0xf1ff
	v_cndmask_b32_e64 v47, 0, v47, s0
	v_cmp_gt_i32_e64 s0, s25, v30
	s_wait_alu 0xf1ff
	s_delay_alu instid0(VALU_DEP_1) | instskip(SKIP_2) | instid1(VALU_DEP_1)
	v_cndmask_b32_e64 v49, 0, v49, s0
	v_cmp_gt_i32_e64 s0, s25, v25
	s_wait_alu 0xf1ff
	v_cndmask_b32_e64 v4, 0, v4, s0
	v_cmp_gt_i32_e64 s0, s25, v28
	s_delay_alu instid0(VALU_DEP_2) | instskip(SKIP_1) | instid1(VALU_DEP_2)
	v_or_b32_e32 v4, v49, v4
	s_wait_alu 0xf1ff
	v_cndmask_b32_e64 v3, 0, v3, s0
	v_cmp_gt_i32_e64 s0, s25, v27
	s_wait_alu 0xf1ff
	s_delay_alu instid0(VALU_DEP_1)
	v_cndmask_b32_e64 v46, 0, v46, s0
.LBB118_39:                             ;   in Loop: Header=BB118_29 Depth=1
	s_wait_alu 0xfffe
	s_or_b32 exec_lo, exec_lo, s4
	v_lshlrev_b32_e32 v48, 16, v48
	v_lshlrev_b32_e32 v47, 16, v47
	v_lshlrev_b32_e32 v46, 16, v46
	s_delay_alu instid0(VALU_DEP_3) | instskip(NEXT) | instid1(VALU_DEP_3)
	v_and_or_b32 v1, 0xffff, v1, v48
	v_and_or_b32 v2, 0xffff, v2, v47
	s_delay_alu instid0(VALU_DEP_3)
	v_and_or_b32 v3, 0xffff, v3, v46
	;;#ASMSTART
	v_pk_mul_f16 v1, v35, v1;

	;;#ASMEND
	;;#ASMSTART
	v_pk_mul_f16 v2, v34, v2;

	;;#ASMEND
	;; [unrolled: 4-line block ×4, first 2 shown]
	;;#ASMSTART
	v_pk_add_f16 v1, v1, v2;

	;;#ASMEND
	;;#ASMSTART
	v_pk_add_f16 v1, v1, v3;

	;;#ASMEND
	;; [unrolled: 4-line block ×3, first 2 shown]
	v_and_b32_e32 v2, 0xffff, v1
	v_lshrrev_b32_e32 v1, 16, v1
	;;#ASMSTART
	v_cvt_f32_f16 v46, v2;
	;;#ASMEND
	;;#ASMSTART
	v_cvt_f32_f16 v47, v1;
	;;#ASMEND
	global_load_b128 v[1:4], v[7:8], off offset:2560
	s_wait_loadcnt 0x0
	v_lshrrev_b32_e32 v50, 16, v1
	v_lshrrev_b32_e32 v49, 16, v2
	;; [unrolled: 1-line block ×3, first 2 shown]
	s_and_saveexec_b32 s4, vcc_lo
	s_cbranch_execz .LBB118_41
; %bb.40:                               ;   in Loop: Header=BB118_29 Depth=1
	v_cmp_gt_i32_e64 s0, s25, v31
	v_and_b32_e32 v51, 0xffff, v4
	v_and_b32_e32 v4, 0xffff0000, v4
	s_wait_alu 0xf1ff
	s_delay_alu instid0(VALU_DEP_3) | instskip(SKIP_2) | instid1(VALU_DEP_1)
	v_cndmask_b32_e64 v1, 0, v1, s0
	v_cmp_gt_i32_e64 s0, s25, v33
	s_wait_alu 0xf1ff
	v_cndmask_b32_e64 v50, 0, v50, s0
	v_cmp_gt_i32_e64 s0, s25, v32
	s_wait_alu 0xf1ff
	s_delay_alu instid0(VALU_DEP_1) | instskip(SKIP_2) | instid1(VALU_DEP_1)
	v_cndmask_b32_e64 v2, 0, v2, s0
	v_cmp_gt_i32_e64 s0, s25, v29
	s_wait_alu 0xf1ff
	v_cndmask_b32_e64 v49, 0, v49, s0
	v_cmp_gt_i32_e64 s0, s25, v30
	s_wait_alu 0xf1ff
	s_delay_alu instid0(VALU_DEP_1) | instskip(SKIP_2) | instid1(VALU_DEP_1)
	v_cndmask_b32_e64 v51, 0, v51, s0
	v_cmp_gt_i32_e64 s0, s25, v25
	s_wait_alu 0xf1ff
	v_cndmask_b32_e64 v4, 0, v4, s0
	v_cmp_gt_i32_e64 s0, s25, v28
	s_delay_alu instid0(VALU_DEP_2) | instskip(SKIP_1) | instid1(VALU_DEP_2)
	v_or_b32_e32 v4, v51, v4
	s_wait_alu 0xf1ff
	v_cndmask_b32_e64 v3, 0, v3, s0
	v_cmp_gt_i32_e64 s0, s25, v27
	s_wait_alu 0xf1ff
	s_delay_alu instid0(VALU_DEP_1)
	v_cndmask_b32_e64 v48, 0, v48, s0
.LBB118_41:                             ;   in Loop: Header=BB118_29 Depth=1
	s_wait_alu 0xfffe
	s_or_b32 exec_lo, exec_lo, s4
	v_lshlrev_b32_e32 v50, 16, v50
	v_lshlrev_b32_e32 v49, 16, v49
	;; [unrolled: 1-line block ×3, first 2 shown]
	s_delay_alu instid0(VALU_DEP_3) | instskip(NEXT) | instid1(VALU_DEP_3)
	v_and_or_b32 v1, 0xffff, v1, v50
	v_and_or_b32 v2, 0xffff, v2, v49
	s_delay_alu instid0(VALU_DEP_3)
	v_and_or_b32 v3, 0xffff, v3, v48
	;;#ASMSTART
	v_pk_mul_f16 v1, v35, v1;

	;;#ASMEND
	;;#ASMSTART
	v_pk_mul_f16 v2, v34, v2;

	;;#ASMEND
	;; [unrolled: 4-line block ×4, first 2 shown]
	;;#ASMSTART
	v_pk_add_f16 v1, v1, v2;

	;;#ASMEND
	;;#ASMSTART
	v_pk_add_f16 v1, v1, v3;

	;;#ASMEND
	;; [unrolled: 4-line block ×3, first 2 shown]
	v_and_b32_e32 v2, 0xffff, v1
	v_lshrrev_b32_e32 v1, 16, v1
	;;#ASMSTART
	v_cvt_f32_f16 v48, v2;
	;;#ASMEND
	;;#ASMSTART
	v_cvt_f32_f16 v49, v1;
	;;#ASMEND
	global_load_b128 v[1:4], v[7:8], off offset:3072
	s_wait_loadcnt 0x0
	v_lshrrev_b32_e32 v52, 16, v1
	v_lshrrev_b32_e32 v51, 16, v2
	;; [unrolled: 1-line block ×3, first 2 shown]
	s_and_saveexec_b32 s4, vcc_lo
	s_cbranch_execz .LBB118_43
; %bb.42:                               ;   in Loop: Header=BB118_29 Depth=1
	v_cmp_gt_i32_e64 s0, s25, v31
	v_and_b32_e32 v53, 0xffff, v4
	v_and_b32_e32 v4, 0xffff0000, v4
	s_wait_alu 0xf1ff
	s_delay_alu instid0(VALU_DEP_3) | instskip(SKIP_2) | instid1(VALU_DEP_1)
	v_cndmask_b32_e64 v1, 0, v1, s0
	v_cmp_gt_i32_e64 s0, s25, v33
	s_wait_alu 0xf1ff
	v_cndmask_b32_e64 v52, 0, v52, s0
	v_cmp_gt_i32_e64 s0, s25, v32
	s_wait_alu 0xf1ff
	s_delay_alu instid0(VALU_DEP_1) | instskip(SKIP_2) | instid1(VALU_DEP_1)
	v_cndmask_b32_e64 v2, 0, v2, s0
	v_cmp_gt_i32_e64 s0, s25, v29
	s_wait_alu 0xf1ff
	v_cndmask_b32_e64 v51, 0, v51, s0
	v_cmp_gt_i32_e64 s0, s25, v30
	s_wait_alu 0xf1ff
	s_delay_alu instid0(VALU_DEP_1) | instskip(SKIP_2) | instid1(VALU_DEP_1)
	v_cndmask_b32_e64 v53, 0, v53, s0
	v_cmp_gt_i32_e64 s0, s25, v25
	s_wait_alu 0xf1ff
	v_cndmask_b32_e64 v4, 0, v4, s0
	v_cmp_gt_i32_e64 s0, s25, v28
	s_delay_alu instid0(VALU_DEP_2) | instskip(SKIP_1) | instid1(VALU_DEP_2)
	v_or_b32_e32 v4, v53, v4
	s_wait_alu 0xf1ff
	v_cndmask_b32_e64 v3, 0, v3, s0
	v_cmp_gt_i32_e64 s0, s25, v27
	s_wait_alu 0xf1ff
	s_delay_alu instid0(VALU_DEP_1)
	v_cndmask_b32_e64 v50, 0, v50, s0
.LBB118_43:                             ;   in Loop: Header=BB118_29 Depth=1
	s_wait_alu 0xfffe
	s_or_b32 exec_lo, exec_lo, s4
	v_lshlrev_b32_e32 v52, 16, v52
	v_lshlrev_b32_e32 v51, 16, v51
	;; [unrolled: 1-line block ×3, first 2 shown]
	s_delay_alu instid0(VALU_DEP_3) | instskip(NEXT) | instid1(VALU_DEP_3)
	v_and_or_b32 v1, 0xffff, v1, v52
	v_and_or_b32 v2, 0xffff, v2, v51
	s_delay_alu instid0(VALU_DEP_3)
	v_and_or_b32 v3, 0xffff, v3, v50
	;;#ASMSTART
	v_pk_mul_f16 v1, v35, v1;

	;;#ASMEND
	;;#ASMSTART
	v_pk_mul_f16 v2, v34, v2;

	;;#ASMEND
	;; [unrolled: 4-line block ×4, first 2 shown]
	;;#ASMSTART
	v_pk_add_f16 v1, v1, v2;

	;;#ASMEND
	;;#ASMSTART
	v_pk_add_f16 v1, v1, v3;

	;;#ASMEND
	;; [unrolled: 4-line block ×3, first 2 shown]
	v_and_b32_e32 v2, 0xffff, v1
	v_lshrrev_b32_e32 v1, 16, v1
	;;#ASMSTART
	v_cvt_f32_f16 v51, v2;
	;;#ASMEND
	;;#ASMSTART
	v_cvt_f32_f16 v52, v1;
	;;#ASMEND
	global_load_b128 v[1:4], v[7:8], off offset:3584
	s_wait_loadcnt 0x0
	v_lshrrev_b32_e32 v50, 16, v1
	v_lshrrev_b32_e32 v8, 16, v2
	;; [unrolled: 1-line block ×3, first 2 shown]
	s_and_saveexec_b32 s0, vcc_lo
	s_cbranch_execz .LBB118_28
; %bb.44:                               ;   in Loop: Header=BB118_29 Depth=1
	v_cmp_gt_i32_e32 vcc_lo, s25, v31
	v_and_b32_e32 v31, 0xffff, v4
	s_wait_alu 0xfffd
	v_cndmask_b32_e32 v1, 0, v1, vcc_lo
	v_cmp_gt_i32_e32 vcc_lo, s25, v33
	s_wait_alu 0xfffd
	v_cndmask_b32_e32 v50, 0, v50, vcc_lo
	v_cmp_gt_i32_e32 vcc_lo, s25, v32
	;; [unrolled: 3-line block ×4, first 2 shown]
	s_wait_alu 0xfffd
	v_dual_cndmask_b32 v29, 0, v31 :: v_dual_and_b32 v4, 0xffff0000, v4
	v_cmp_gt_i32_e32 vcc_lo, s25, v25
	s_wait_alu 0xfffd
	s_delay_alu instid0(VALU_DEP_2)
	v_cndmask_b32_e32 v4, 0, v4, vcc_lo
	v_cmp_gt_i32_e32 vcc_lo, s25, v28
	s_wait_alu 0xfffd
	v_cndmask_b32_e32 v3, 0, v3, vcc_lo
	v_cmp_gt_i32_e32 vcc_lo, s25, v27
	s_wait_alu 0xfffd
	v_cndmask_b32_e32 v7, 0, v7, vcc_lo
	v_or_b32_e32 v4, v29, v4
	s_branch .LBB118_28
.LBB118_45:
	s_or_b32 exec_lo, exec_lo, s3
.LBB118_46:
	s_wait_alu 0xfffe
	s_or_b32 exec_lo, exec_lo, s1
	ds_bpermute_b32 v1, v14, v20
	ds_bpermute_b32 v2, v14, v22
	;; [unrolled: 1-line block ×8, first 2 shown]
	v_lshrrev_b32_e32 v11, 2, v10
	s_mov_b32 s0, exec_lo
	s_wait_storecnt 0x0
	s_wait_loadcnt_dscnt 0x0
	s_barrier_signal -1
	s_barrier_wait -1
	global_inv scope:SCOPE_SE
	v_dual_add_f32 v1, v20, v1 :: v_dual_add_f32 v2, v22, v2
	v_dual_add_f32 v3, v21, v3 :: v_dual_add_f32 v4, v19, v4
	;; [unrolled: 1-line block ×4, first 2 shown]
	ds_bpermute_b32 v5, v13, v1
	ds_bpermute_b32 v6, v13, v2
	;; [unrolled: 1-line block ×8, first 2 shown]
	v_and_b32_e32 v7, 28, v10
	v_lshlrev_b32_e32 v9, 8, v9
	s_wait_dscnt 0x7
	v_dual_add_f32 v8, v1, v5 :: v_dual_and_b32 v23, 0x3c3, v0
	s_wait_dscnt 0x6
	v_dual_add_f32 v7, v2, v6 :: v_dual_add_nc_u32 v10, 0xa0, v7
	s_wait_dscnt 0x4
	v_dual_add_f32 v6, v3, v18 :: v_dual_add_f32 v5, v4, v19
	s_wait_dscnt 0x2
	v_dual_add_f32 v4, v14, v20 :: v_dual_add_f32 v3, v17, v21
	;; [unrolled: 2-line block ×3, first 2 shown]
	v_cmpx_eq_u32_e32 64, v23
	s_cbranch_execz .LBB118_48
; %bb.47:
	v_add_nc_u32_e32 v13, v10, v9
	s_delay_alu instid0(VALU_DEP_1)
	v_add_nc_u32_e32 v14, 0xfffffe00, v13
	v_add_nc_u32_e32 v15, 0xfffffe20, v13
	;; [unrolled: 1-line block ×8, first 2 shown]
	ds_store_b32 v14, v8
	ds_store_b32 v15, v7
	ds_store_b32 v16, v6
	ds_store_b32 v17, v5
	ds_store_b32 v18, v4
	ds_store_b32 v19, v3
	ds_store_b32 v20, v2
	ds_store_b32 v13, v1
.LBB118_48:
	s_wait_alu 0xfffe
	s_or_b32 exec_lo, exec_lo, s0
	v_lshlrev_b32_e32 v11, 2, v11
	s_mov_b32 s1, exec_lo
	v_cmp_eq_u32_e32 vcc_lo, 0, v12
	s_wait_loadcnt_dscnt 0x0
	s_barrier_signal -1
	v_add3_u32 v9, 0xa0, v9, v11
	s_barrier_wait -1
	global_inv scope:SCOPE_SE
	v_cmpx_gt_u32_e32 64, v0
	s_cbranch_execz .LBB118_59
; %bb.49:
	s_and_saveexec_b32 s0, vcc_lo
	s_cbranch_execnz .LBB118_75
; %bb.50:
	s_wait_alu 0xfffe
	s_or_b32 exec_lo, exec_lo, s0
	s_and_saveexec_b32 s0, vcc_lo
	s_cbranch_execnz .LBB118_76
.LBB118_51:
	s_wait_alu 0xfffe
	s_or_b32 exec_lo, exec_lo, s0
	s_and_saveexec_b32 s0, vcc_lo
	s_cbranch_execnz .LBB118_77
.LBB118_52:
	s_wait_alu 0xfffe
	s_or_b32 exec_lo, exec_lo, s0
	s_and_saveexec_b32 s0, vcc_lo
	s_cbranch_execnz .LBB118_78
.LBB118_53:
	s_wait_alu 0xfffe
	s_or_b32 exec_lo, exec_lo, s0
	s_and_saveexec_b32 s0, vcc_lo
	s_cbranch_execnz .LBB118_79
.LBB118_54:
	s_wait_alu 0xfffe
	s_or_b32 exec_lo, exec_lo, s0
	s_and_saveexec_b32 s0, vcc_lo
	s_cbranch_execnz .LBB118_80
.LBB118_55:
	s_wait_alu 0xfffe
	s_or_b32 exec_lo, exec_lo, s0
	s_and_saveexec_b32 s0, vcc_lo
	s_cbranch_execnz .LBB118_81
.LBB118_56:
	s_wait_alu 0xfffe
	s_or_b32 exec_lo, exec_lo, s0
	s_and_saveexec_b32 s0, vcc_lo
	s_cbranch_execz .LBB118_58
.LBB118_57:
	ds_load_b32 v11, v9 offset:224
	s_wait_dscnt 0x0
	v_add_f32_e32 v1, v1, v11
.LBB118_58:
	s_wait_alu 0xfffe
	s_or_b32 exec_lo, exec_lo, s0
.LBB118_59:
	s_wait_alu 0xfffe
	s_or_b32 exec_lo, exec_lo, s1
	v_and_b32_e32 v11, 0x3e3, v0
	s_mov_b32 s1, exec_lo
	s_wait_loadcnt 0x0
	s_barrier_signal -1
	s_barrier_wait -1
	global_inv scope:SCOPE_SE
	v_cmpx_eq_u32_e32 32, v11
	s_cbranch_execz .LBB118_61
; %bb.60:
	ds_store_2addr_b32 v10, v8, v7 offset1:8
	ds_store_2addr_b32 v10, v6, v5 offset0:16 offset1:24
	ds_store_2addr_b32 v10, v4, v3 offset0:32 offset1:40
	;; [unrolled: 1-line block ×3, first 2 shown]
.LBB118_61:
	s_wait_alu 0xfffe
	s_or_b32 exec_lo, exec_lo, s1
	s_delay_alu instid0(SALU_CYCLE_1)
	s_mov_b32 s1, exec_lo
	s_wait_loadcnt_dscnt 0x0
	s_barrier_signal -1
	s_barrier_wait -1
	global_inv scope:SCOPE_SE
	v_cmpx_gt_u32_e32 32, v0
	s_cbranch_execz .LBB118_72
; %bb.62:
	s_and_saveexec_b32 s0, vcc_lo
	s_cbranch_execnz .LBB118_82
; %bb.63:
	s_wait_alu 0xfffe
	s_or_b32 exec_lo, exec_lo, s0
	s_and_saveexec_b32 s0, vcc_lo
	s_cbranch_execnz .LBB118_83
.LBB118_64:
	s_wait_alu 0xfffe
	s_or_b32 exec_lo, exec_lo, s0
	s_and_saveexec_b32 s0, vcc_lo
	s_cbranch_execnz .LBB118_84
.LBB118_65:
	s_wait_alu 0xfffe
	s_or_b32 exec_lo, exec_lo, s0
	s_and_saveexec_b32 s0, vcc_lo
	s_cbranch_execnz .LBB118_85
.LBB118_66:
	s_wait_alu 0xfffe
	s_or_b32 exec_lo, exec_lo, s0
	s_and_saveexec_b32 s0, vcc_lo
	s_cbranch_execnz .LBB118_86
.LBB118_67:
	s_wait_alu 0xfffe
	s_or_b32 exec_lo, exec_lo, s0
	s_and_saveexec_b32 s0, vcc_lo
	s_cbranch_execnz .LBB118_87
.LBB118_68:
	s_wait_alu 0xfffe
	s_or_b32 exec_lo, exec_lo, s0
	s_and_saveexec_b32 s0, vcc_lo
	s_cbranch_execnz .LBB118_88
.LBB118_69:
	s_wait_alu 0xfffe
	s_or_b32 exec_lo, exec_lo, s0
	s_and_saveexec_b32 s0, vcc_lo
	s_cbranch_execz .LBB118_71
.LBB118_70:
	ds_load_b32 v9, v9 offset:224
	s_wait_dscnt 0x0
	v_add_f32_e32 v1, v1, v9
.LBB118_71:
	s_wait_alu 0xfffe
	s_or_b32 exec_lo, exec_lo, s0
.LBB118_72:
	s_wait_alu 0xfffe
	s_or_b32 exec_lo, exec_lo, s1
	s_mov_b32 s1, 0
	s_wait_loadcnt 0x0
	s_barrier_signal -1
	s_barrier_wait -1
	global_inv scope:SCOPE_SE
	s_mov_b32 s0, exec_lo
	v_cmpx_eq_u32_e32 0, v11
	s_cbranch_execz .LBB118_74
; %bb.73:
	s_lshl_b32 s2, s20, 6
	s_wait_kmcnt 0x0
	s_mul_i32 s4, s8, s12
	s_wait_alu 0xfffe
	s_ashr_i32 s3, s2, 31
	s_ashr_i32 s5, s4, 31
	s_wait_alu 0xfffe
	s_lshl_b64 s[2:3], s[2:3], 1
	s_lshl_b64 s[4:5], s[4:5], 1
	s_wait_alu 0xfffe
	s_add_nc_u64 s[2:3], s[10:11], s[2:3]
	v_lshrrev_b32_e32 v0, 1, v0
	s_lshl_b32 s0, s24, 7
	s_wait_alu 0xfffe
	s_add_nc_u64 s[2:3], s[2:3], s[4:5]
	;;#ASMSTART
	v_cvt_f16_f32 v8, v8;

	;;#ASMEND
	s_wait_alu 0xfffe
	s_add_nc_u64 s[0:1], s[2:3], s[0:1]
	global_store_b16 v0, v8, s[0:1]
	;;#ASMSTART
	v_cvt_f16_f32 v7, v7;

	;;#ASMEND
	global_store_b16 v0, v7, s[0:1] offset:16
	;;#ASMSTART
	v_cvt_f16_f32 v6, v6;

	;;#ASMEND
	global_store_b16 v0, v6, s[0:1] offset:32
	;; [unrolled: 5-line block ×7, first 2 shown]
.LBB118_74:
	s_nop 0
	s_sendmsg sendmsg(MSG_DEALLOC_VGPRS)
	s_endpgm
.LBB118_75:
	ds_load_b32 v11, v9
	s_wait_dscnt 0x0
	v_add_f32_e32 v8, v8, v11
	s_wait_alu 0xfffe
	s_or_b32 exec_lo, exec_lo, s0
	s_and_saveexec_b32 s0, vcc_lo
	s_cbranch_execz .LBB118_51
.LBB118_76:
	ds_load_b32 v11, v9 offset:32
	s_wait_dscnt 0x0
	v_add_f32_e32 v7, v7, v11
	s_wait_alu 0xfffe
	s_or_b32 exec_lo, exec_lo, s0
	s_and_saveexec_b32 s0, vcc_lo
	s_cbranch_execz .LBB118_52
.LBB118_77:
	ds_load_b32 v11, v9 offset:64
	s_wait_dscnt 0x0
	v_add_f32_e32 v6, v6, v11
	s_wait_alu 0xfffe
	s_or_b32 exec_lo, exec_lo, s0
	s_and_saveexec_b32 s0, vcc_lo
	s_cbranch_execz .LBB118_53
.LBB118_78:
	ds_load_b32 v11, v9 offset:96
	s_wait_dscnt 0x0
	v_add_f32_e32 v5, v5, v11
	s_wait_alu 0xfffe
	s_or_b32 exec_lo, exec_lo, s0
	s_and_saveexec_b32 s0, vcc_lo
	s_cbranch_execz .LBB118_54
.LBB118_79:
	ds_load_b32 v11, v9 offset:128
	s_wait_dscnt 0x0
	v_add_f32_e32 v4, v4, v11
	s_wait_alu 0xfffe
	s_or_b32 exec_lo, exec_lo, s0
	s_and_saveexec_b32 s0, vcc_lo
	s_cbranch_execz .LBB118_55
.LBB118_80:
	ds_load_b32 v11, v9 offset:160
	s_wait_dscnt 0x0
	v_add_f32_e32 v3, v3, v11
	s_wait_alu 0xfffe
	s_or_b32 exec_lo, exec_lo, s0
	s_and_saveexec_b32 s0, vcc_lo
	s_cbranch_execz .LBB118_56
.LBB118_81:
	ds_load_b32 v11, v9 offset:192
	s_wait_dscnt 0x0
	v_add_f32_e32 v2, v2, v11
	s_wait_alu 0xfffe
	s_or_b32 exec_lo, exec_lo, s0
	s_and_saveexec_b32 s0, vcc_lo
	s_cbranch_execnz .LBB118_57
	s_branch .LBB118_58
.LBB118_82:
	ds_load_b32 v10, v9
	s_wait_dscnt 0x0
	v_add_f32_e32 v8, v8, v10
	s_wait_alu 0xfffe
	s_or_b32 exec_lo, exec_lo, s0
	s_and_saveexec_b32 s0, vcc_lo
	s_cbranch_execz .LBB118_64
.LBB118_83:
	ds_load_b32 v10, v9 offset:32
	s_wait_dscnt 0x0
	v_add_f32_e32 v7, v7, v10
	s_wait_alu 0xfffe
	s_or_b32 exec_lo, exec_lo, s0
	s_and_saveexec_b32 s0, vcc_lo
	s_cbranch_execz .LBB118_65
.LBB118_84:
	ds_load_b32 v10, v9 offset:64
	s_wait_dscnt 0x0
	v_add_f32_e32 v6, v6, v10
	s_wait_alu 0xfffe
	s_or_b32 exec_lo, exec_lo, s0
	s_and_saveexec_b32 s0, vcc_lo
	s_cbranch_execz .LBB118_66
.LBB118_85:
	ds_load_b32 v10, v9 offset:96
	s_wait_dscnt 0x0
	v_add_f32_e32 v5, v5, v10
	s_wait_alu 0xfffe
	s_or_b32 exec_lo, exec_lo, s0
	s_and_saveexec_b32 s0, vcc_lo
	s_cbranch_execz .LBB118_67
.LBB118_86:
	ds_load_b32 v10, v9 offset:128
	s_wait_dscnt 0x0
	v_add_f32_e32 v4, v4, v10
	s_wait_alu 0xfffe
	s_or_b32 exec_lo, exec_lo, s0
	s_and_saveexec_b32 s0, vcc_lo
	s_cbranch_execz .LBB118_68
.LBB118_87:
	ds_load_b32 v10, v9 offset:160
	s_wait_dscnt 0x0
	v_add_f32_e32 v3, v3, v10
	s_wait_alu 0xfffe
	s_or_b32 exec_lo, exec_lo, s0
	s_and_saveexec_b32 s0, vcc_lo
	s_cbranch_execz .LBB118_69
.LBB118_88:
	ds_load_b32 v10, v9 offset:192
	s_wait_dscnt 0x0
	v_add_f32_e32 v2, v2, v10
	s_wait_alu 0xfffe
	s_or_b32 exec_lo, exec_lo, s0
	s_and_saveexec_b32 s0, vcc_lo
	s_cbranch_execnz .LBB118_70
	s_branch .LBB118_71
	.section	.rodata,"a",@progbits
	.p2align	6, 0x0
	.amdhsa_kernel _ZN4vllm25paged_attention_v2_kernelIttLi64ELi32ELi128ELNS_18Fp8KVCacheDataTypeE0ELb0ELi512EEEvPfS2_PT_PKS3_PKT0_S9_ifPKiSB_iPKfiiiSD_SD_iiiii
		.amdhsa_group_segment_fixed_size 160
		.amdhsa_private_segment_fixed_size 0
		.amdhsa_kernarg_size 400
		.amdhsa_user_sgpr_count 2
		.amdhsa_user_sgpr_dispatch_ptr 0
		.amdhsa_user_sgpr_queue_ptr 0
		.amdhsa_user_sgpr_kernarg_segment_ptr 1
		.amdhsa_user_sgpr_dispatch_id 0
		.amdhsa_user_sgpr_private_segment_size 0
		.amdhsa_wavefront_size32 1
		.amdhsa_uses_dynamic_stack 0
		.amdhsa_enable_private_segment 0
		.amdhsa_system_sgpr_workgroup_id_x 1
		.amdhsa_system_sgpr_workgroup_id_y 1
		.amdhsa_system_sgpr_workgroup_id_z 1
		.amdhsa_system_sgpr_workgroup_info 0
		.amdhsa_system_vgpr_workitem_id 0
		.amdhsa_next_free_vgpr 118
		.amdhsa_next_free_sgpr 36
		.amdhsa_reserve_vcc 1
		.amdhsa_float_round_mode_32 0
		.amdhsa_float_round_mode_16_64 0
		.amdhsa_float_denorm_mode_32 3
		.amdhsa_float_denorm_mode_16_64 3
		.amdhsa_fp16_overflow 0
		.amdhsa_workgroup_processor_mode 1
		.amdhsa_memory_ordered 1
		.amdhsa_forward_progress 1
		.amdhsa_inst_pref_size 63
		.amdhsa_round_robin_scheduling 0
		.amdhsa_exception_fp_ieee_invalid_op 0
		.amdhsa_exception_fp_denorm_src 0
		.amdhsa_exception_fp_ieee_div_zero 0
		.amdhsa_exception_fp_ieee_overflow 0
		.amdhsa_exception_fp_ieee_underflow 0
		.amdhsa_exception_fp_ieee_inexact 0
		.amdhsa_exception_int_div_zero 0
	.end_amdhsa_kernel
	.section	.text._ZN4vllm25paged_attention_v2_kernelIttLi64ELi32ELi128ELNS_18Fp8KVCacheDataTypeE0ELb0ELi512EEEvPfS2_PT_PKS3_PKT0_S9_ifPKiSB_iPKfiiiSD_SD_iiiii,"axG",@progbits,_ZN4vllm25paged_attention_v2_kernelIttLi64ELi32ELi128ELNS_18Fp8KVCacheDataTypeE0ELb0ELi512EEEvPfS2_PT_PKS3_PKT0_S9_ifPKiSB_iPKfiiiSD_SD_iiiii,comdat
.Lfunc_end118:
	.size	_ZN4vllm25paged_attention_v2_kernelIttLi64ELi32ELi128ELNS_18Fp8KVCacheDataTypeE0ELb0ELi512EEEvPfS2_PT_PKS3_PKT0_S9_ifPKiSB_iPKfiiiSD_SD_iiiii, .Lfunc_end118-_ZN4vllm25paged_attention_v2_kernelIttLi64ELi32ELi128ELNS_18Fp8KVCacheDataTypeE0ELb0ELi512EEEvPfS2_PT_PKS3_PKT0_S9_ifPKiSB_iPKfiiiSD_SD_iiiii
                                        ; -- End function
	.set _ZN4vllm25paged_attention_v2_kernelIttLi64ELi32ELi128ELNS_18Fp8KVCacheDataTypeE0ELb0ELi512EEEvPfS2_PT_PKS3_PKT0_S9_ifPKiSB_iPKfiiiSD_SD_iiiii.num_vgpr, 118
	.set _ZN4vllm25paged_attention_v2_kernelIttLi64ELi32ELi128ELNS_18Fp8KVCacheDataTypeE0ELb0ELi512EEEvPfS2_PT_PKS3_PKT0_S9_ifPKiSB_iPKfiiiSD_SD_iiiii.num_agpr, 0
	.set _ZN4vllm25paged_attention_v2_kernelIttLi64ELi32ELi128ELNS_18Fp8KVCacheDataTypeE0ELb0ELi512EEEvPfS2_PT_PKS3_PKT0_S9_ifPKiSB_iPKfiiiSD_SD_iiiii.numbered_sgpr, 36
	.set _ZN4vllm25paged_attention_v2_kernelIttLi64ELi32ELi128ELNS_18Fp8KVCacheDataTypeE0ELb0ELi512EEEvPfS2_PT_PKS3_PKT0_S9_ifPKiSB_iPKfiiiSD_SD_iiiii.num_named_barrier, 0
	.set _ZN4vllm25paged_attention_v2_kernelIttLi64ELi32ELi128ELNS_18Fp8KVCacheDataTypeE0ELb0ELi512EEEvPfS2_PT_PKS3_PKT0_S9_ifPKiSB_iPKfiiiSD_SD_iiiii.private_seg_size, 0
	.set _ZN4vllm25paged_attention_v2_kernelIttLi64ELi32ELi128ELNS_18Fp8KVCacheDataTypeE0ELb0ELi512EEEvPfS2_PT_PKS3_PKT0_S9_ifPKiSB_iPKfiiiSD_SD_iiiii.uses_vcc, 1
	.set _ZN4vllm25paged_attention_v2_kernelIttLi64ELi32ELi128ELNS_18Fp8KVCacheDataTypeE0ELb0ELi512EEEvPfS2_PT_PKS3_PKT0_S9_ifPKiSB_iPKfiiiSD_SD_iiiii.uses_flat_scratch, 0
	.set _ZN4vllm25paged_attention_v2_kernelIttLi64ELi32ELi128ELNS_18Fp8KVCacheDataTypeE0ELb0ELi512EEEvPfS2_PT_PKS3_PKT0_S9_ifPKiSB_iPKfiiiSD_SD_iiiii.has_dyn_sized_stack, 0
	.set _ZN4vllm25paged_attention_v2_kernelIttLi64ELi32ELi128ELNS_18Fp8KVCacheDataTypeE0ELb0ELi512EEEvPfS2_PT_PKS3_PKT0_S9_ifPKiSB_iPKfiiiSD_SD_iiiii.has_recursion, 0
	.set _ZN4vllm25paged_attention_v2_kernelIttLi64ELi32ELi128ELNS_18Fp8KVCacheDataTypeE0ELb0ELi512EEEvPfS2_PT_PKS3_PKT0_S9_ifPKiSB_iPKfiiiSD_SD_iiiii.has_indirect_call, 0
	.section	.AMDGPU.csdata,"",@progbits
; Kernel info:
; codeLenInByte = 8004
; TotalNumSgprs: 38
; NumVgprs: 118
; ScratchSize: 0
; MemoryBound: 0
; FloatMode: 240
; IeeeMode: 1
; LDSByteSize: 160 bytes/workgroup (compile time only)
; SGPRBlocks: 0
; VGPRBlocks: 14
; NumSGPRsForWavesPerEU: 38
; NumVGPRsForWavesPerEU: 118
; Occupancy: 12
; WaveLimiterHint : 1
; COMPUTE_PGM_RSRC2:SCRATCH_EN: 0
; COMPUTE_PGM_RSRC2:USER_SGPR: 2
; COMPUTE_PGM_RSRC2:TRAP_HANDLER: 0
; COMPUTE_PGM_RSRC2:TGID_X_EN: 1
; COMPUTE_PGM_RSRC2:TGID_Y_EN: 1
; COMPUTE_PGM_RSRC2:TGID_Z_EN: 1
; COMPUTE_PGM_RSRC2:TIDIG_COMP_CNT: 0
	.section	.text._ZN4vllm25paged_attention_v2_kernelIttLi80ELi32ELi128ELNS_18Fp8KVCacheDataTypeE0ELb0ELi512EEEvPfS2_PT_PKS3_PKT0_S9_ifPKiSB_iPKfiiiSD_SD_iiiii,"axG",@progbits,_ZN4vllm25paged_attention_v2_kernelIttLi80ELi32ELi128ELNS_18Fp8KVCacheDataTypeE0ELb0ELi512EEEvPfS2_PT_PKS3_PKT0_S9_ifPKiSB_iPKfiiiSD_SD_iiiii,comdat
	.protected	_ZN4vllm25paged_attention_v2_kernelIttLi80ELi32ELi128ELNS_18Fp8KVCacheDataTypeE0ELb0ELi512EEEvPfS2_PT_PKS3_PKT0_S9_ifPKiSB_iPKfiiiSD_SD_iiiii ; -- Begin function _ZN4vllm25paged_attention_v2_kernelIttLi80ELi32ELi128ELNS_18Fp8KVCacheDataTypeE0ELb0ELi512EEEvPfS2_PT_PKS3_PKT0_S9_ifPKiSB_iPKfiiiSD_SD_iiiii
	.globl	_ZN4vllm25paged_attention_v2_kernelIttLi80ELi32ELi128ELNS_18Fp8KVCacheDataTypeE0ELb0ELi512EEEvPfS2_PT_PKS3_PKT0_S9_ifPKiSB_iPKfiiiSD_SD_iiiii
	.p2align	8
	.type	_ZN4vllm25paged_attention_v2_kernelIttLi80ELi32ELi128ELNS_18Fp8KVCacheDataTypeE0ELb0ELi512EEEvPfS2_PT_PKS3_PKT0_S9_ifPKiSB_iPKfiiiSD_SD_iiiii,@function
_ZN4vllm25paged_attention_v2_kernelIttLi80ELi32ELi128ELNS_18Fp8KVCacheDataTypeE0ELb0ELi512EEEvPfS2_PT_PKS3_PKT0_S9_ifPKiSB_iPKfiiiSD_SD_iiiii: ; @_ZN4vllm25paged_attention_v2_kernelIttLi80ELi32ELi128ELNS_18Fp8KVCacheDataTypeE0ELb0ELi512EEEvPfS2_PT_PKS3_PKT0_S9_ifPKiSB_iPKfiiiSD_SD_iiiii
; %bb.0:
	s_load_b64 s[2:3], s[0:1], 0x40
	s_and_b32 s20, ttmp7, 0xffff
	s_lshr_b32 s24, ttmp7, 16
	s_lshl_b32 s4, s20, 2
	s_lshl_b32 s26, s24, 9
	s_wait_kmcnt 0x0
	s_load_b32 s25, s[2:3], s4 offset:0x0
	s_wait_kmcnt 0x0
	s_cmp_ge_i32 s26, s25
	s_cbranch_scc1 .LBB119_82
; %bb.1:
	s_clause 0x1
	s_load_b32 s21, s[0:1], 0x90
	s_load_b64 s[4:5], s[0:1], 0x30
	s_wait_kmcnt 0x0
	s_abs_i32 s7, s21
	s_abs_i32 s2, s4
	s_xor_b32 s4, s21, s4
	s_cvt_f32_u32 s3, s2
	s_sub_co_i32 s6, 0, s2
	s_ashr_i32 s4, s4, 31
	s_delay_alu instid0(SALU_CYCLE_1) | instskip(NEXT) | instid1(TRANS32_DEP_1)
	v_rcp_iflag_f32_e32 v1, s3
	v_readfirstlane_b32 s3, v1
	s_mul_f32 s3, s3, 0x4f7ffffe
	s_wait_alu 0xfffe
	s_delay_alu instid0(SALU_CYCLE_2) | instskip(SKIP_1) | instid1(SALU_CYCLE_2)
	s_cvt_u32_f32 s3, s3
	s_wait_alu 0xfffe
	s_mul_i32 s6, s6, s3
	s_delay_alu instid0(SALU_CYCLE_1) | instskip(NEXT) | instid1(SALU_CYCLE_1)
	s_mul_hi_u32 s6, s3, s6
	s_add_co_i32 s3, s3, s6
	s_wait_alu 0xfffe
	s_mul_hi_u32 s3, s7, s3
	s_wait_alu 0xfffe
	s_mul_i32 s6, s3, s2
	s_delay_alu instid0(SALU_CYCLE_1)
	s_sub_co_i32 s6, s7, s6
	s_add_co_i32 s7, s3, 1
	s_sub_co_i32 s8, s6, s2
	s_cmp_ge_u32 s6, s2
	s_cselect_b32 s3, s7, s3
	s_cselect_b32 s6, s8, s6
	s_wait_alu 0xfffe
	s_add_co_i32 s7, s3, 1
	s_cmp_ge_u32 s6, s2
	s_load_b64 s[8:9], s[0:1], 0x50
	s_cselect_b32 s2, s7, s3
	s_mov_b32 s3, 0
	s_wait_alu 0xfffe
	s_xor_b32 s2, s2, s4
	s_mov_b32 s18, s3
	s_wait_alu 0xfffe
	s_sub_co_i32 s11, s2, s4
	s_delay_alu instid0(SALU_CYCLE_1) | instskip(NEXT) | instid1(SALU_CYCLE_1)
	s_abs_i32 s4, s11
	s_cvt_f32_u32 s2, s4
	s_wait_alu 0xfffe
	s_delay_alu instid0(SALU_CYCLE_2) | instskip(NEXT) | instid1(TRANS32_DEP_1)
	v_rcp_iflag_f32_e32 v1, s2
	v_readfirstlane_b32 s2, v1
	s_mul_f32 s2, s2, 0x4f7ffffe
	s_wait_alu 0xfffe
	s_delay_alu instid0(SALU_CYCLE_2) | instskip(SKIP_2) | instid1(SALU_CYCLE_1)
	s_cvt_u32_f32 s6, s2
	s_sub_co_i32 s2, 0, s4
	s_wait_alu 0xfffe
	s_mul_i32 s2, s2, s6
	s_wait_alu 0xfffe
	s_mul_hi_u32 s7, s6, s2
	s_abs_i32 s2, ttmp9
	s_add_co_i32 s6, s6, s7
	s_mov_b32 s7, s3
	s_wait_kmcnt 0x0
	s_cmp_eq_u64 s[8:9], 0
	s_cbranch_scc1 .LBB119_3
; %bb.2:
	s_mov_b32 s12, ttmp9
	s_ashr_i32 s13, ttmp9, 31
	s_delay_alu instid0(SALU_CYCLE_1) | instskip(NEXT) | instid1(SALU_CYCLE_1)
	s_lshl_b64 s[12:13], s[12:13], 2
	s_add_nc_u64 s[8:9], s[8:9], s[12:13]
	s_load_b32 s18, s[8:9], 0x0
.LBB119_3:
	s_load_b96 s[8:10], s[0:1], 0x58
	v_lshlrev_b32_e32 v7, 4, v0
	s_mul_u64 s[6:7], s[2:3], s[6:7]
	s_ashr_i32 s3, ttmp9, 31
	s_ashr_i32 s6, s11, 31
	s_mul_i32 s12, ttmp9, 0x50
	s_mov_b32 s11, exec_lo
	v_cmpx_gt_u32_e32 10, v0
	s_cbranch_execz .LBB119_5
; %bb.4:
	s_load_b64 s[14:15], s[0:1], 0x18
	s_wait_kmcnt 0x0
	s_mul_i32 s16, s8, s20
	s_ashr_i32 s13, s12, 31
	s_ashr_i32 s17, s16, 31
	s_delay_alu instid0(SALU_CYCLE_1) | instskip(NEXT) | instid1(SALU_CYCLE_1)
	s_lshl_b64 s[16:17], s[16:17], 1
	s_add_nc_u64 s[14:15], s[14:15], s[16:17]
	s_lshl_b64 s[16:17], s[12:13], 1
	s_delay_alu instid0(SALU_CYCLE_1)
	s_add_nc_u64 s[14:15], s[14:15], s[16:17]
	global_load_b128 v[1:4], v7, s[14:15]
	s_wait_loadcnt 0x0
	ds_store_b128 v7, v[1:4]
.LBB119_5:
	s_or_b32 exec_lo, exec_lo, s11
	s_wait_kmcnt 0x0
	s_add_co_i32 s8, s25, 31
	s_lshl_b32 s28, s24, 4
	s_ashr_i32 s11, s8, 31
	s_wait_alu 0xfffe
	s_xor_b32 s3, s3, s6
	s_lshr_b32 s11, s11, 27
	s_add_co_i32 s6, s7, 1
	s_add_co_i32 s8, s8, s11
	;; [unrolled: 1-line block ×3, first 2 shown]
	s_ashr_i32 s27, s8, 5
	s_clause 0x2
	s_load_b64 s[14:15], s[0:1], 0x38
	s_load_b32 s8, s[0:1], 0x98
	s_load_b32 s16, s[0:1], 0x48
	s_min_i32 s13, s11, s27
	s_mul_i32 s11, s7, s4
	v_lshrrev_b32_e32 v9, 5, v0
	s_sub_co_i32 s2, s2, s11
	v_dual_mov_b32 v13, 0xff7fffff :: v_dual_and_b32 v10, 31, v0
	s_wait_alu 0xfffe
	s_sub_co_i32 s11, s2, s4
	s_cmp_ge_u32 s2, s4
	v_add_nc_u32_e32 v11, s28, v9
	s_cselect_b32 s6, s6, s7
	s_cselect_b32 s2, s11, s2
	s_add_co_i32 s7, s6, 1
	s_wait_alu 0xfffe
	s_cmp_ge_u32 s2, s4
	v_lshlrev_b32_e32 v12, 2, v10
	s_cselect_b32 s2, s7, s6
	v_lshlrev_b32_e32 v8, 2, v11
	s_wait_alu 0xfffe
	s_xor_b32 s2, s2, s3
	s_wait_dscnt 0x0
	s_wait_alu 0xfffe
	s_sub_co_i32 s3, s2, s3
	v_cmp_gt_i32_e64 s2, s13, v11
	s_wait_kmcnt 0x0
	s_mul_i32 s16, s16, s20
	s_wait_alu 0xfffe
	s_mul_i32 s10, s3, s10
	s_ashr_i32 s17, s16, 31
	s_barrier_signal -1
	s_barrier_wait -1
	global_inv scope:SCOPE_SE
	s_and_saveexec_b32 s6, s2
	s_cbranch_execz .LBB119_9
; %bb.6:
	s_load_b64 s[22:23], s[0:1], 0x20
	s_ashr_i32 s11, s10, 31
	v_dual_mov_b32 v14, 0 :: v_dual_lshlrev_b32 v1, 4, v10
	s_lshl_b64 s[30:31], s[10:11], 1
	s_cmp_neq_f32 s18, 0
	v_dual_mov_b32 v13, 0xff7fffff :: v_dual_lshlrev_b32 v2, 5, v9
	v_lshl_or_b32 v3, v9, 7, v12
	s_cselect_b32 vcc_lo, -1, 0
	s_lshl_b64 s[34:35], s[16:17], 2
	s_delay_alu instid0(VALU_DEP_2)
	v_add3_u32 v15, s26, v2, v10
	s_add_nc_u64 s[34:35], s[14:15], s[34:35]
	v_dual_mov_b32 v19, v11 :: v_dual_add_nc_u32 v16, 0xc0, v3
	v_add_co_u32 v5, s3, s34, v8
	s_wait_alu 0xf1ff
	v_add_co_ci_u32_e64 v6, null, s35, 0, s3
	s_mov_b32 s11, s9
	s_wait_kmcnt 0x0
	s_add_nc_u64 s[22:23], s[22:23], s[30:31]
	s_mov_b32 s7, 0
	v_add_co_u32 v17, s3, s22, v1
	s_wait_alu 0xf1ff
	v_add_co_ci_u32_e64 v18, null, s23, 0, s3
	s_sub_co_i32 s19, 1, s25
.LBB119_7:                              ; =>This Inner Loop Header: Depth=1
	global_load_b32 v20, v[5:6], off
	ds_load_b128 v[1:4], v14
	v_dual_max_num_f32 v21, v13, v13 :: v_dual_add_nc_u32 v22, s19, v15
	v_add_nc_u32_e32 v19, 4, v19
	s_delay_alu instid0(VALU_DEP_2) | instskip(NEXT) | instid1(VALU_DEP_2)
	v_cvt_f32_i32_e32 v22, v22
	v_cmp_le_i32_e64 s4, s13, v19
	s_or_b32 s7, s4, s7
	s_wait_dscnt 0x0
	v_lshrrev_b32_e32 v59, 16, v1
	v_and_b32_e32 v60, 0xffff, v1
	v_lshrrev_b32_e32 v61, 16, v2
	v_and_b32_e32 v62, 0xffff, v2
	v_lshrrev_b32_e32 v63, 16, v3
	v_and_b32_e32 v64, 0xffff, v3
	v_lshrrev_b32_e32 v65, 16, v4
	v_and_b32_e32 v66, 0xffff, v4
	s_wait_loadcnt 0x0
	v_mad_co_i64_i32 v[1:2], null, v20, s11, 0
	s_delay_alu instid0(VALU_DEP_1) | instskip(NEXT) | instid1(VALU_DEP_1)
	v_lshlrev_b64_e32 v[1:2], 1, v[1:2]
	v_add_co_u32 v55, s3, v17, v1
	s_wait_alu 0xf1ff
	s_delay_alu instid0(VALU_DEP_2)
	v_add_co_ci_u32_e64 v56, null, v18, v2, s3
	v_add_co_u32 v5, s3, v5, 16
	s_wait_alu 0xf1ff
	v_add_co_ci_u32_e64 v6, null, 0, v6, s3
	s_clause 0x9
	global_load_b128 v[1:4], v[55:56], off
	global_load_b128 v[23:26], v[55:56], off offset:512
	global_load_b128 v[27:30], v[55:56], off offset:1024
	global_load_b128 v[31:34], v[55:56], off offset:1536
	global_load_b128 v[35:38], v[55:56], off offset:2048
	global_load_b128 v[39:42], v[55:56], off offset:2560
	global_load_b128 v[43:46], v[55:56], off offset:3072
	global_load_b128 v[47:50], v[55:56], off offset:3584
	global_load_b128 v[51:54], v[55:56], off offset:4096
	global_load_b128 v[55:58], v[55:56], off offset:4608
	v_mul_f32_e32 v22, s18, v22
	;;#ASMSTART
	v_cvt_f32_f16 v20, v60;
	;;#ASMEND
	;;#ASMSTART
	v_cvt_f32_f16 v59, v59;
	;;#ASMEND
	v_cmp_gt_i32_e64 s3, s25, v15
	v_add_nc_u32_e32 v15, 0x80, v15
	s_wait_loadcnt 0x9
	v_lshrrev_b32_e32 v60, 16, v1
	v_and_b32_e32 v1, 0xffff, v1
	v_lshrrev_b32_e32 v67, 16, v2
	v_and_b32_e32 v2, 0xffff, v2
	;; [unrolled: 2-line block ×3, first 2 shown]
	v_lshrrev_b32_e32 v69, 16, v4
	s_wait_loadcnt 0x8
	v_lshrrev_b32_e32 v70, 16, v23
	v_and_b32_e32 v71, 0xffff, v23
	;;#ASMSTART
	v_cvt_f32_f16 v23, v1;
	;;#ASMEND
	v_and_b32_e32 v4, 0xffff, v4
	v_lshrrev_b32_e32 v72, 16, v24
	v_and_b32_e32 v73, 0xffff, v24
	v_lshrrev_b32_e32 v74, 16, v25
	;; [unrolled: 2-line block ×3, first 2 shown]
	v_and_b32_e32 v77, 0xffff, v26
	s_wait_loadcnt 0x7
	v_lshrrev_b32_e32 v78, 16, v27
	v_lshrrev_b32_e32 v80, 16, v28
	v_and_b32_e32 v81, 0xffff, v28
	v_lshrrev_b32_e32 v82, 16, v29
	v_lshrrev_b32_e32 v84, 16, v30
	v_and_b32_e32 v85, 0xffff, v30
	s_wait_loadcnt 0x6
	v_lshrrev_b32_e32 v86, 16, v31
	v_and_b32_e32 v87, 0xffff, v31
	v_lshrrev_b32_e32 v88, 16, v32
	v_and_b32_e32 v89, 0xffff, v32
	;; [unrolled: 2-line block ×4, first 2 shown]
	s_wait_loadcnt 0x5
	v_lshrrev_b32_e32 v94, 16, v35
	v_and_b32_e32 v95, 0xffff, v35
	v_lshrrev_b32_e32 v96, 16, v36
	v_and_b32_e32 v97, 0xffff, v36
	;;#ASMSTART
	v_cvt_f32_f16 v24, v60;
	;;#ASMEND
	v_and_b32_e32 v79, 0xffff, v27
	;;#ASMSTART
	v_cvt_f32_f16 v25, v62;
	;;#ASMEND
	;;#ASMSTART
	v_cvt_f32_f16 v26, v61;
	;;#ASMEND
	;; [unrolled: 3-line block ×4, first 2 shown]
	v_and_b32_e32 v83, 0xffff, v29
	;;#ASMSTART
	v_cvt_f32_f16 v29, v64;
	;;#ASMEND
	;;#ASMSTART
	v_cvt_f32_f16 v30, v63;
	;;#ASMEND
	;;#ASMSTART
	v_cvt_f32_f16 v31, v3;
	;;#ASMEND
	;;#ASMSTART
	v_cvt_f32_f16 v32, v68;
	;;#ASMEND
	;;#ASMSTART
	v_cvt_f32_f16 v33, v66;
	;;#ASMEND
	;;#ASMSTART
	v_cvt_f32_f16 v34, v65;
	;;#ASMEND
	;;#ASMSTART
	v_cvt_f32_f16 v35, v4;
	;;#ASMEND
	;;#ASMSTART
	v_cvt_f32_f16 v36, v69;
	;;#ASMEND
	ds_load_b128 v[1:4], v14 offset:16
	v_lshrrev_b32_e32 v100, 16, v38
	v_and_b32_e32 v101, 0xffff, v38
	s_wait_loadcnt 0x4
	v_lshrrev_b32_e32 v108, 16, v42
	v_and_b32_e32 v109, 0xffff, v42
	s_wait_loadcnt 0x3
	;; [unrolled: 3-line block ×3, first 2 shown]
	v_lshrrev_b32_e32 v124, 16, v50
	v_and_b32_e32 v125, 0xffff, v50
	v_lshrrev_b32_e32 v98, 16, v37
	v_and_b32_e32 v99, 0xffff, v37
	;; [unrolled: 2-line block ×6, first 2 shown]
	v_lshrrev_b32_e32 v112, 16, v44
	s_wait_dscnt 0x0
	v_lshrrev_b32_e32 v38, 16, v1
	v_and_b32_e32 v1, 0xffff, v1
	v_lshrrev_b32_e32 v42, 16, v2
	v_and_b32_e32 v2, 0xffff, v2
	;; [unrolled: 2-line block ×4, first 2 shown]
	v_and_b32_e32 v113, 0xffff, v44
	v_lshrrev_b32_e32 v114, 16, v45
	v_and_b32_e32 v115, 0xffff, v45
	v_lshrrev_b32_e32 v118, 16, v47
	;; [unrolled: 2-line block ×4, first 2 shown]
	v_and_b32_e32 v123, 0xffff, v49
	s_wait_loadcnt 0x1
	v_lshrrev_b32_e32 v126, 16, v51
	v_and_b32_e32 v127, 0xffff, v51
	v_lshrrev_b32_e32 v128, 16, v52
	v_and_b32_e32 v129, 0xffff, v52
	;;#ASMSTART
	v_cvt_f32_f16 v37, v1;
	;;#ASMEND
	;;#ASMSTART
	v_cvt_f32_f16 v38, v38;
	;;#ASMEND
	;; [unrolled: 3-line block ×16, first 2 shown]
	ds_load_b128 v[1:4], v14 offset:32
	v_mul_f32_e32 v37, v37, v39
	v_mul_f32_e32 v39, v41, v43
	;; [unrolled: 1-line block ×3, first 2 shown]
	v_dual_mul_f32 v43, v49, v51 :: v_dual_mul_f32 v38, v38, v40
	v_mul_f32_e32 v40, v42, v44
	v_mul_f32_e32 v42, v46, v48
	;; [unrolled: 1-line block ×3, first 2 shown]
	v_lshrrev_b32_e32 v131, 16, v54
	v_dual_fmac_f32 v39, v25, v27 :: v_dual_and_b32 v54, 0xffff, v54
	s_wait_loadcnt 0x0
	v_lshrrev_b32_e32 v133, 16, v56
	v_dual_fmac_f32 v41, v29, v31 :: v_dual_and_b32 v56, 0xffff, v56
	v_lshrrev_b32_e32 v135, 16, v58
	v_dual_fmac_f32 v43, v33, v35 :: v_dual_and_b32 v58, 0xffff, v58
	v_dual_fmac_f32 v37, v20, v23 :: v_dual_fmac_f32 v38, v59, v24
	s_wait_dscnt 0x0
	v_lshrrev_b32_e32 v23, 16, v1
	v_and_b32_e32 v1, 0xffff, v1
	v_lshrrev_b32_e32 v27, 16, v2
	v_and_b32_e32 v2, 0xffff, v2
	;; [unrolled: 2-line block ×4, first 2 shown]
	v_fmac_f32_e32 v40, v26, v28
	v_fmac_f32_e32 v42, v30, v32
	;; [unrolled: 1-line block ×3, first 2 shown]
	;;#ASMSTART
	v_cvt_f32_f16 v20, v1;
	;;#ASMEND
	;;#ASMSTART
	v_cvt_f32_f16 v23, v23;
	;;#ASMEND
	;; [unrolled: 3-line block ×16, first 2 shown]
	ds_load_b128 v[1:4], v14 offset:48
	v_fmac_f32_e32 v38, v23, v25
	v_fmac_f32_e32 v40, v27, v29
	v_dual_fmac_f32 v42, v31, v33 :: v_dual_fmac_f32 v43, v34, v36
	v_dual_fmac_f32 v44, v35, v45 :: v_dual_fmac_f32 v37, v20, v24
	v_fmac_f32_e32 v39, v26, v28
	v_fmac_f32_e32 v41, v30, v32
	v_lshrrev_b32_e32 v132, 16, v55
	v_lshrrev_b32_e32 v130, 16, v53
	v_and_b32_e32 v53, 0xffff, v53
	v_lshrrev_b32_e32 v134, 16, v57
	v_and_b32_e32 v57, 0xffff, v57
	s_wait_dscnt 0x0
	v_lshrrev_b32_e32 v23, 16, v1
	v_and_b32_e32 v1, 0xffff, v1
	v_lshrrev_b32_e32 v27, 16, v2
	v_and_b32_e32 v2, 0xffff, v2
	;; [unrolled: 2-line block ×4, first 2 shown]
	;;#ASMSTART
	v_cvt_f32_f16 v20, v1;
	;;#ASMEND
	;;#ASMSTART
	v_cvt_f32_f16 v23, v23;
	;;#ASMEND
	;; [unrolled: 3-line block ×16, first 2 shown]
	ds_load_b128 v[1:4], v14 offset:64
	v_dual_fmac_f32 v37, v20, v24 :: v_dual_fmac_f32 v38, v23, v25
	v_fmac_f32_e32 v40, v27, v29
	v_fmac_f32_e32 v42, v31, v33
	v_dual_fmac_f32 v44, v35, v45 :: v_dual_fmac_f32 v39, v26, v28
	v_fmac_f32_e32 v41, v30, v32
	v_fmac_f32_e32 v43, v34, v36
	s_wait_dscnt 0x0
	v_lshrrev_b32_e32 v23, 16, v1
	v_and_b32_e32 v1, 0xffff, v1
	v_lshrrev_b32_e32 v27, 16, v2
	v_and_b32_e32 v2, 0xffff, v2
	;; [unrolled: 2-line block ×4, first 2 shown]
	;;#ASMSTART
	v_cvt_f32_f16 v20, v1;
	;;#ASMEND
	;;#ASMSTART
	v_cvt_f32_f16 v23, v23;
	;;#ASMEND
	;;#ASMSTART
	v_cvt_f32_f16 v24, v95;
	;;#ASMEND
	;;#ASMSTART
	v_cvt_f32_f16 v25, v94;
	;;#ASMEND
	;;#ASMSTART
	v_cvt_f32_f16 v26, v2;
	;;#ASMEND
	;;#ASMSTART
	v_cvt_f32_f16 v27, v27;
	;;#ASMEND
	;;#ASMSTART
	v_cvt_f32_f16 v28, v97;
	;;#ASMEND
	;;#ASMSTART
	v_cvt_f32_f16 v29, v96;
	;;#ASMEND
	;;#ASMSTART
	v_cvt_f32_f16 v30, v3;
	;;#ASMEND
	;;#ASMSTART
	v_cvt_f32_f16 v31, v31;
	;;#ASMEND
	;;#ASMSTART
	v_cvt_f32_f16 v32, v99;
	;;#ASMEND
	;;#ASMSTART
	v_cvt_f32_f16 v33, v98;
	;;#ASMEND
	;;#ASMSTART
	v_cvt_f32_f16 v34, v4;
	;;#ASMEND
	;;#ASMSTART
	v_cvt_f32_f16 v35, v35;
	;;#ASMEND
	;;#ASMSTART
	v_cvt_f32_f16 v36, v101;
	;;#ASMEND
	;;#ASMSTART
	v_cvt_f32_f16 v45, v100;
	;;#ASMEND
	ds_load_b128 v[1:4], v14 offset:80
	v_fmac_f32_e32 v38, v23, v25
	v_fmac_f32_e32 v40, v27, v29
	v_fmac_f32_e32 v42, v31, v33
	v_dual_fmac_f32 v44, v35, v45 :: v_dual_fmac_f32 v37, v20, v24
	v_fmac_f32_e32 v41, v30, v32
	v_fmac_f32_e32 v43, v34, v36
	s_wait_dscnt 0x0
	v_lshrrev_b32_e32 v23, 16, v1
	v_and_b32_e32 v1, 0xffff, v1
	v_lshrrev_b32_e32 v27, 16, v2
	v_and_b32_e32 v2, 0xffff, v2
	;; [unrolled: 2-line block ×4, first 2 shown]
	v_fmac_f32_e32 v39, v26, v28
	;;#ASMSTART
	v_cvt_f32_f16 v20, v1;
	;;#ASMEND
	;;#ASMSTART
	v_cvt_f32_f16 v23, v23;
	;;#ASMEND
	;; [unrolled: 3-line block ×16, first 2 shown]
	ds_load_b128 v[1:4], v14 offset:96
	v_fmac_f32_e32 v38, v23, v25
	v_fmac_f32_e32 v40, v27, v29
	;; [unrolled: 1-line block ×3, first 2 shown]
	v_dual_fmac_f32 v44, v35, v45 :: v_dual_fmac_f32 v37, v20, v24
	v_fmac_f32_e32 v39, v26, v28
	v_fmac_f32_e32 v41, v30, v32
	;; [unrolled: 1-line block ×3, first 2 shown]
	s_wait_dscnt 0x0
	v_lshrrev_b32_e32 v23, 16, v1
	v_and_b32_e32 v1, 0xffff, v1
	v_lshrrev_b32_e32 v27, 16, v2
	v_and_b32_e32 v2, 0xffff, v2
	;; [unrolled: 2-line block ×4, first 2 shown]
	;;#ASMSTART
	v_cvt_f32_f16 v20, v1;
	;;#ASMEND
	;;#ASMSTART
	v_cvt_f32_f16 v23, v23;
	;;#ASMEND
	;; [unrolled: 3-line block ×16, first 2 shown]
	ds_load_b128 v[1:4], v14 offset:112
	v_dual_fmac_f32 v42, v31, v33 :: v_dual_and_b32 v55, 0xffff, v55
	v_fmac_f32_e32 v38, v23, v25
	v_fmac_f32_e32 v40, v27, v29
	v_dual_fmac_f32 v44, v35, v45 :: v_dual_fmac_f32 v37, v20, v24
	v_fmac_f32_e32 v39, v26, v28
	v_fmac_f32_e32 v41, v30, v32
	;; [unrolled: 1-line block ×3, first 2 shown]
	s_wait_dscnt 0x0
	v_lshrrev_b32_e32 v23, 16, v1
	v_and_b32_e32 v1, 0xffff, v1
	v_lshrrev_b32_e32 v27, 16, v2
	v_and_b32_e32 v2, 0xffff, v2
	;; [unrolled: 2-line block ×4, first 2 shown]
	;;#ASMSTART
	v_cvt_f32_f16 v20, v1;
	;;#ASMEND
	;;#ASMSTART
	v_cvt_f32_f16 v23, v23;
	;;#ASMEND
	;; [unrolled: 3-line block ×16, first 2 shown]
	ds_load_b128 v[1:4], v14 offset:128
	v_fmac_f32_e32 v38, v23, v25
	v_fmac_f32_e32 v40, v27, v29
	;; [unrolled: 1-line block ×3, first 2 shown]
	v_dual_fmac_f32 v44, v35, v45 :: v_dual_fmac_f32 v37, v20, v24
	v_fmac_f32_e32 v39, v26, v28
	v_fmac_f32_e32 v41, v30, v32
	;; [unrolled: 1-line block ×3, first 2 shown]
	s_wait_dscnt 0x0
	v_lshrrev_b32_e32 v23, 16, v1
	v_and_b32_e32 v1, 0xffff, v1
	v_lshrrev_b32_e32 v27, 16, v2
	v_and_b32_e32 v2, 0xffff, v2
	v_lshrrev_b32_e32 v31, 16, v3
	v_and_b32_e32 v3, 0xffff, v3
	v_lshrrev_b32_e32 v35, 16, v4
	v_and_b32_e32 v4, 0xffff, v4
	;;#ASMSTART
	v_cvt_f32_f16 v20, v1;
	;;#ASMEND
	;;#ASMSTART
	v_cvt_f32_f16 v23, v23;
	;;#ASMEND
	;; [unrolled: 3-line block ×16, first 2 shown]
	ds_load_b128 v[1:4], v14 offset:144
	v_dual_fmac_f32 v37, v20, v24 :: v_dual_fmac_f32 v38, v23, v25
	v_dual_fmac_f32 v39, v26, v28 :: v_dual_fmac_f32 v40, v27, v29
	;; [unrolled: 1-line block ×4, first 2 shown]
	s_wait_dscnt 0x0
	v_lshrrev_b32_e32 v20, 16, v1
	v_and_b32_e32 v1, 0xffff, v1
	v_lshrrev_b32_e32 v23, 16, v2
	v_and_b32_e32 v24, 0xffff, v2
	;; [unrolled: 2-line block ×4, first 2 shown]
	;;#ASMSTART
	v_cvt_f32_f16 v1, v1;
	;;#ASMEND
	;;#ASMSTART
	v_cvt_f32_f16 v2, v20;
	;;#ASMEND
	;; [unrolled: 3-line block ×4, first 2 shown]
	v_dual_fmac_f32 v37, v1, v3 :: v_dual_fmac_f32 v38, v2, v4
	;;#ASMSTART
	v_cvt_f32_f16 v20, v24;
	;;#ASMEND
	;;#ASMSTART
	v_cvt_f32_f16 v23, v23;
	;;#ASMEND
	;; [unrolled: 3-line block ×3, first 2 shown]
	s_delay_alu instid0(VALU_DEP_1)
	v_dual_fmac_f32 v39, v20, v24 :: v_dual_add_f32 v2, v37, v38
	;;#ASMSTART
	v_cvt_f32_f16 v25, v133;
	;;#ASMEND
	v_fmac_f32_e32 v40, v23, v25
	;;#ASMSTART
	v_cvt_f32_f16 v26, v26;
	;;#ASMEND
	;;#ASMSTART
	v_cvt_f32_f16 v27, v27;
	;;#ASMEND
	v_add_f32_e32 v2, v2, v39
	;;#ASMSTART
	v_cvt_f32_f16 v1, v57;
	;;#ASMEND
	v_fmac_f32_e32 v41, v26, v1
	;;#ASMSTART
	v_cvt_f32_f16 v3, v134;
	;;#ASMEND
	s_delay_alu instid0(VALU_DEP_2)
	v_dual_fmac_f32 v42, v27, v3 :: v_dual_add_f32 v1, v40, v2
	;;#ASMSTART
	v_cvt_f32_f16 v4, v29;
	;;#ASMEND
	;;#ASMSTART
	v_cvt_f32_f16 v2, v28;
	;;#ASMEND
	;; [unrolled: 3-line block ×3, first 2 shown]
	v_fmac_f32_e32 v43, v4, v3
	v_add_f32_e32 v1, v1, v41
	;;#ASMSTART
	v_cvt_f32_f16 v3, v135;
	;;#ASMEND
	v_fmac_f32_e32 v44, v2, v3
	s_delay_alu instid0(VALU_DEP_2) | instskip(NEXT) | instid1(VALU_DEP_1)
	v_dual_cndmask_b32 v2, 0, v22 :: v_dual_add_f32 v1, v42, v1
	v_add_f32_e32 v1, v1, v43
	s_delay_alu instid0(VALU_DEP_1) | instskip(NEXT) | instid1(VALU_DEP_1)
	v_add_f32_e32 v1, v44, v1
	v_fmac_f32_e32 v2, s5, v1
	s_wait_alu 0xf1ff
	s_delay_alu instid0(VALU_DEP_1)
	v_cndmask_b32_e64 v1, 0, v2, s3
	v_max_num_f32_e32 v2, v21, v2
	ds_store_b32 v16, v1
	v_cndmask_b32_e64 v13, v13, v2, s3
	v_add_nc_u32_e32 v16, 0x200, v16
	s_and_not1_b32 exec_lo, exec_lo, s7
	s_cbranch_execnz .LBB119_7
; %bb.8:
	s_or_b32 exec_lo, exec_lo, s7
.LBB119_9:
	s_delay_alu instid0(SALU_CYCLE_1)
	s_or_b32 exec_lo, exec_lo, s6
	v_mbcnt_lo_u32_b32 v1, -1, 0
	s_clause 0x2
	s_load_b128 s[4:7], s[0:1], 0x0
	s_load_b64 s[18:19], s[0:1], 0x10
	s_load_b64 s[22:23], s[0:1], 0x28
	v_max_num_f32_e32 v5, v13, v13
	v_xor_b32_e32 v2, 16, v1
	v_xor_b32_e32 v4, 8, v1
	s_delay_alu instid0(VALU_DEP_2) | instskip(SKIP_2) | instid1(VALU_DEP_3)
	v_cmp_gt_i32_e32 vcc_lo, 32, v2
	s_wait_alu 0xfffd
	v_cndmask_b32_e32 v2, v1, v2, vcc_lo
	v_cmp_gt_i32_e32 vcc_lo, 32, v4
	s_delay_alu instid0(VALU_DEP_2)
	v_lshlrev_b32_e32 v2, 2, v2
	s_wait_alu 0xfffd
	v_cndmask_b32_e32 v4, v1, v4, vcc_lo
	ds_bpermute_b32 v3, v2, v13
	s_wait_dscnt 0x0
	v_dual_max_num_f32 v6, v3, v3 :: v_dual_lshlrev_b32 v3, 2, v4
	s_delay_alu instid0(VALU_DEP_1)
	v_max_num_f32_e32 v4, v5, v6
	v_xor_b32_e32 v6, 4, v1
	ds_bpermute_b32 v5, v3, v4
	v_cmp_gt_i32_e32 vcc_lo, 32, v6
	s_wait_alu 0xfffd
	v_cndmask_b32_e32 v6, v1, v6, vcc_lo
	s_wait_dscnt 0x0
	v_max_num_f32_e32 v13, v5, v5
	s_delay_alu instid0(VALU_DEP_1)
	v_dual_max_num_f32 v4, v4, v13 :: v_dual_lshlrev_b32 v5, 2, v6
	v_xor_b32_e32 v13, 2, v1
	ds_bpermute_b32 v6, v5, v4
	v_cmp_gt_i32_e32 vcc_lo, 32, v13
	s_wait_dscnt 0x0
	s_wait_alu 0xfffd
	v_dual_cndmask_b32 v13, v1, v13 :: v_dual_max_num_f32 v6, v6, v6
	s_delay_alu instid0(VALU_DEP_1) | instskip(NEXT) | instid1(VALU_DEP_2)
	v_max_num_f32_e32 v4, v4, v6
	v_lshlrev_b32_e32 v14, 2, v13
	v_xor_b32_e32 v13, 1, v1
	s_delay_alu instid0(VALU_DEP_1)
	v_cmp_gt_i32_e32 vcc_lo, 32, v13
	s_wait_alu 0xfffd
	v_cndmask_b32_e32 v13, v1, v13, vcc_lo
	ds_bpermute_b32 v6, v14, v4
	v_cmp_eq_u32_e32 vcc_lo, 0, v10
	s_wait_dscnt 0x0
	v_dual_max_num_f32 v6, v6, v6 :: v_dual_lshlrev_b32 v13, 2, v13
	s_delay_alu instid0(VALU_DEP_1)
	v_dual_max_num_f32 v1, v4, v6 :: v_dual_lshlrev_b32 v6, 2, v9
	ds_bpermute_b32 v4, v13, v1
	s_and_saveexec_b32 s0, vcc_lo
	s_cbranch_execz .LBB119_11
; %bb.10:
	s_wait_dscnt 0x0
	v_dual_max_num_f32 v4, v4, v4 :: v_dual_max_num_f32 v1, v1, v1
	s_delay_alu instid0(VALU_DEP_1)
	v_max_num_f32_e32 v1, v1, v4
	ds_store_b32 v6, v1 offset:160
.LBB119_11:
	s_or_b32 exec_lo, exec_lo, s0
	v_cmp_gt_u32_e64 s0, 4, v10
	v_mov_b32_e32 v1, 0xff7fffff
	s_wait_loadcnt_dscnt 0x0
	s_barrier_signal -1
	s_barrier_wait -1
	global_inv scope:SCOPE_SE
	s_and_saveexec_b32 s1, s0
; %bb.12:
	ds_load_b32 v1, v12 offset:160
; %bb.13:
	s_or_b32 exec_lo, exec_lo, s1
	s_wait_dscnt 0x0
	ds_bpermute_b32 v4, v14, v1
	v_max_num_f32_e32 v1, v1, v1
	s_sub_co_i32 s1, s13, s28
	v_mov_b32_e32 v15, 0
	s_lshl_b32 s1, s1, 5
	s_delay_alu instid0(SALU_CYCLE_1) | instskip(NEXT) | instid1(SALU_CYCLE_1)
	s_add_co_i32 s1, s1, s26
	s_min_i32 s1, s1, s25
	s_delay_alu instid0(SALU_CYCLE_1) | instskip(SKIP_4) | instid1(VALU_DEP_1)
	s_sub_co_i32 s11, s1, s26
	s_wait_alu 0xfffe
	v_cmp_gt_i32_e64 s1, s11, v0
	s_wait_dscnt 0x0
	v_max_num_f32_e32 v4, v4, v4
	v_max_num_f32_e32 v1, v1, v4
	ds_bpermute_b32 v4, v13, v1
	s_wait_dscnt 0x0
	v_max_num_f32_e32 v4, v4, v4
	s_delay_alu instid0(VALU_DEP_1)
	v_max_num_f32_e32 v1, v1, v4
	v_lshl_add_u32 v4, v0, 2, 0xc0
	ds_bpermute_b32 v1, v15, v1
	s_and_saveexec_b32 s28, s1
	s_cbranch_execz .LBB119_17
; %bb.14:
	v_lshl_add_u32 v16, v0, 2, 0xc0
	v_mov_b32_e32 v15, 0
	v_mov_b32_e32 v17, v0
	s_mov_b32 s29, 0
.LBB119_15:                             ; =>This Inner Loop Header: Depth=1
	ds_load_b32 v18, v16
	v_add_nc_u32_e32 v17, 0x80, v17
	s_delay_alu instid0(VALU_DEP_1) | instskip(SKIP_4) | instid1(VALU_DEP_1)
	v_cmp_le_i32_e64 s3, s11, v17
	s_wait_alu 0xfffe
	s_or_b32 s29, s3, s29
	s_wait_dscnt 0x0
	v_sub_f32_e32 v18, v18, v1
	v_mul_f32_e32 v18, 0x3fb8aa3b, v18
	s_delay_alu instid0(VALU_DEP_1)
	v_exp_f32_e32 v18, v18
	ds_store_b32 v16, v18
	v_dual_add_f32 v15, v15, v18 :: v_dual_add_nc_u32 v16, 0x200, v16
	s_wait_alu 0xfffe
	s_and_not1_b32 exec_lo, exec_lo, s29
	s_cbranch_execnz .LBB119_15
; %bb.16:
	s_or_b32 exec_lo, exec_lo, s29
.LBB119_17:
	s_wait_alu 0xfffe
	s_or_b32 exec_lo, exec_lo, s28
	ds_bpermute_b32 v2, v2, v15
	s_wait_dscnt 0x0
	v_add_f32_e32 v2, v15, v2
	ds_bpermute_b32 v3, v3, v2
	s_wait_dscnt 0x0
	v_add_f32_e32 v2, v2, v3
	ds_bpermute_b32 v3, v5, v2
	s_wait_dscnt 0x0
	v_add_f32_e32 v2, v2, v3
	ds_bpermute_b32 v3, v14, v2
	s_wait_dscnt 0x0
	v_add_f32_e32 v2, v2, v3
	ds_bpermute_b32 v3, v13, v2
	s_wait_dscnt 0x0
	v_add_f32_e32 v2, v2, v3
	s_and_saveexec_b32 s3, vcc_lo
; %bb.18:
	ds_store_b32 v6, v2 offset:176
; %bb.19:
	s_wait_alu 0xfffe
	s_or_b32 exec_lo, exec_lo, s3
	s_wait_loadcnt_dscnt 0x0
	s_barrier_signal -1
	s_barrier_wait -1
	global_inv scope:SCOPE_SE
	s_and_saveexec_b32 s3, s0
; %bb.20:
	ds_load_b32 v2, v12 offset:176
; %bb.21:
	s_wait_alu 0xfffe
	s_or_b32 exec_lo, exec_lo, s3
	s_wait_dscnt 0x0
	ds_bpermute_b32 v3, v14, v2
	s_wait_dscnt 0x0
	v_add_f32_e32 v2, v2, v3
	ds_bpermute_b32 v3, v13, v2
	s_wait_dscnt 0x0
	v_dual_add_f32 v2, v2, v3 :: v_dual_mov_b32 v3, 0
	ds_bpermute_b32 v2, v3, v2
	s_and_saveexec_b32 s0, s1
	s_cbranch_execz .LBB119_24
; %bb.22:
	s_wait_dscnt 0x0
	v_add_f32_e32 v3, 0x358637bd, v2
	s_mov_b32 s1, 0
	s_delay_alu instid0(VALU_DEP_1) | instskip(SKIP_1) | instid1(VALU_DEP_2)
	v_div_scale_f32 v5, null, v3, v3, 1.0
	v_div_scale_f32 v15, vcc_lo, 1.0, v3, 1.0
	v_rcp_f32_e32 v6, v5
	s_delay_alu instid0(TRANS32_DEP_1) | instskip(NEXT) | instid1(VALU_DEP_1)
	v_fma_f32 v12, -v5, v6, 1.0
	v_fmac_f32_e32 v6, v12, v6
	s_delay_alu instid0(VALU_DEP_1) | instskip(NEXT) | instid1(VALU_DEP_1)
	v_mul_f32_e32 v12, v15, v6
	v_fma_f32 v16, -v5, v12, v15
	s_delay_alu instid0(VALU_DEP_1) | instskip(NEXT) | instid1(VALU_DEP_1)
	v_fmac_f32_e32 v12, v16, v6
	v_fma_f32 v5, -v5, v12, v15
	s_wait_alu 0xfffd
	s_delay_alu instid0(VALU_DEP_1) | instskip(NEXT) | instid1(VALU_DEP_1)
	v_div_fmas_f32 v5, v5, v6, v12
	v_div_fixup_f32 v3, v5, v3, 1.0
	v_mov_b32_e32 v5, v0
.LBB119_23:                             ; =>This Inner Loop Header: Depth=1
	ds_load_b32 v6, v4
	s_wait_dscnt 0x0
	v_dual_mul_f32 v6, v3, v6 :: v_dual_add_nc_u32 v5, 0x80, v5
	s_delay_alu instid0(VALU_DEP_1) | instskip(SKIP_3) | instid1(SALU_CYCLE_1)
	v_cmp_le_i32_e32 vcc_lo, s11, v5
	ds_store_b32 v4, v6
	v_add_nc_u32_e32 v4, 0x200, v4
	s_or_b32 s1, vcc_lo, s1
	s_and_not1_b32 exec_lo, exec_lo, s1
	s_cbranch_execnz .LBB119_23
.LBB119_24:
	s_or_b32 exec_lo, exec_lo, s0
	s_mul_i32 s0, s8, s20
	s_wait_loadcnt_dscnt 0x0
	s_mul_i32 s20, s0, s21
	s_mov_b32 s0, exec_lo
	s_barrier_signal -1
	s_barrier_wait -1
	global_inv scope:SCOPE_SE
	v_cmpx_eq_u32_e32 0, v0
	s_cbranch_execz .LBB119_26
; %bb.25:
	s_ashr_i32 s21, s20, 31
	s_mul_i32 s28, s8, ttmp9
	s_lshl_b32 s1, s24, 2
	s_lshl_b64 s[30:31], s[20:21], 2
	s_wait_alu 0xfffe
	s_ashr_i32 s29, s28, 31
	v_mov_b32_e32 v3, s1
	s_wait_kmcnt 0x0
	s_add_nc_u64 s[6:7], s[6:7], s[30:31]
	s_wait_alu 0xfffe
	s_lshl_b64 s[28:29], s[28:29], 2
	s_add_nc_u64 s[4:5], s[4:5], s[30:31]
	s_wait_alu 0xfffe
	s_add_nc_u64 s[6:7], s[6:7], s[28:29]
	s_add_nc_u64 s[4:5], s[4:5], s[28:29]
	s_clause 0x1
	global_store_b32 v3, v1, s[6:7]
	global_store_b32 v3, v2, s[4:5]
.LBB119_26:
	s_or_b32 exec_lo, exec_lo, s0
	v_dual_mov_b32 v22, 0 :: v_dual_mov_b32 v23, 0
	v_dual_mov_b32 v21, 0 :: v_dual_and_b32 v12, 3, v0
	v_dual_mov_b32 v24, 0 :: v_dual_mov_b32 v19, 0
	v_dual_mov_b32 v20, 0 :: v_dual_mov_b32 v17, 0
	;; [unrolled: 1-line block ×3, first 2 shown]
	v_mov_b32_e32 v16, 0
	s_and_saveexec_b32 s1, s2
	s_cbranch_execz .LBB119_50
; %bb.27:
	s_ashr_i32 s11, s10, 31
	v_dual_mov_b32 v20, 0 :: v_dual_and_b32 v3, 0x1f0, v7
	s_wait_alu 0xfffe
	s_lshl_b64 s[2:3], s[10:11], 1
	v_dual_mov_b32 v16, 0 :: v_dual_lshlrev_b32 v1, 3, v0
	v_dual_mov_b32 v15, 0 :: v_dual_lshlrev_b32 v2, 5, v12
	s_wait_kmcnt 0x0
	s_wait_alu 0xfffe
	s_add_nc_u64 s[2:3], s[22:23], s[2:3]
	v_dual_mov_b32 v18, 0 :: v_dual_and_b32 v1, 24, v1
	s_wait_alu 0xfffe
	v_add_co_u32 v25, s0, s2, v3
	s_wait_alu 0xf1ff
	v_add_co_ci_u32_e64 v26, null, s3, 0, s0
	s_lshl_b64 s[2:3], s[16:17], 2
	v_lshl_add_u32 v4, v9, 5, s26
	v_lshl_or_b32 v2, v9, 7, v2
	s_wait_alu 0xfffe
	s_add_nc_u64 s[2:3], s[14:15], s[2:3]
	v_mov_b32_e32 v17, 0
	s_wait_alu 0xfffe
	v_add_co_u32 v5, s0, s2, v8
	v_add3_u32 v27, v4, v1, 7
	v_add_nc_u32_e32 v28, 0xc0, v2
	s_wait_alu 0xf1ff
	v_add_co_ci_u32_e64 v6, null, s3, 0, s0
	v_dual_mov_b32 v19, 0 :: v_dual_mov_b32 v24, 0
	v_dual_mov_b32 v21, 0 :: v_dual_mov_b32 v22, 0
	v_mov_b32_e32 v23, 0
	s_mov_b32 s2, s9
	s_add_co_i32 s27, s27, -1
	s_mov_b32 s3, 0
	s_branch .LBB119_29
.LBB119_28:                             ;   in Loop: Header=BB119_29 Depth=1
	s_wait_alu 0xfffe
	s_or_b32 exec_lo, exec_lo, s0
	v_dual_add_f32 v29, v57, v58 :: v_dual_add_f32 v30, v54, v55
	v_dual_add_f32 v31, v52, v53 :: v_dual_add_f32 v32, v50, v51
	v_lshlrev_b32_e32 v8, 16, v8
	s_delay_alu instid0(VALU_DEP_3) | instskip(SKIP_4) | instid1(VALU_DEP_4)
	v_dual_add_f32 v16, v16, v29 :: v_dual_add_f32 v17, v17, v30
	v_dual_add_f32 v30, v48, v49 :: v_dual_lshlrev_b32 v29, 16, v56
	v_lshlrev_b32_e32 v7, 16, v7
	v_dual_add_f32 v18, v18, v31 :: v_dual_add_f32 v19, v19, v32
	v_add_f32_e32 v31, v46, v47
	v_and_or_b32 v1, 0xffff, v1, v29
	v_and_or_b32 v2, 0xffff, v2, v8
	v_add_f32_e32 v20, v20, v30
	v_and_or_b32 v3, 0xffff, v3, v7
	;;#ASMSTART
	v_pk_mul_f16 v1, v35, v1;

	;;#ASMEND
	;;#ASMSTART
	v_pk_mul_f16 v2, v34, v2;

	;;#ASMEND
	;; [unrolled: 4-line block ×4, first 2 shown]
	;;#ASMSTART
	v_pk_add_f16 v1, v1, v2;

	;;#ASMEND
	;;#ASMSTART
	v_pk_add_f16 v1, v1, v3;

	;;#ASMEND
	;; [unrolled: 4-line block ×3, first 2 shown]
	v_dual_add_f32 v21, v21, v31 :: v_dual_and_b32 v4, 0xffff, v1
	v_lshrrev_b32_e32 v7, 16, v1
	v_dual_add_f32 v1, v44, v45 :: v_dual_add_f32 v2, v42, v43
	v_add_nc_u32_e32 v11, 4, v11
	;;#ASMSTART
	v_cvt_f32_f16 v4, v4;
	;;#ASMEND
	v_dual_add_f32 v3, v40, v41 :: v_dual_add_nc_u32 v28, 0x200, v28
	s_delay_alu instid0(VALU_DEP_3) | instskip(SKIP_4) | instid1(VALU_DEP_3)
	v_add_f32_e32 v24, v24, v2
	;;#ASMSTART
	v_cvt_f32_f16 v7, v7;
	;;#ASMEND
	v_dual_add_f32 v4, v4, v7 :: v_dual_add_f32 v23, v23, v1
	v_cmp_le_i32_e32 vcc_lo, s13, v11
	v_add_co_u32 v5, s0, v5, 16
	v_dual_add_f32 v22, v22, v3 :: v_dual_add_f32 v15, v15, v4
	v_add_nc_u32_e32 v27, 0x80, v27
	s_wait_alu 0xf1ff
	v_add_co_ci_u32_e64 v6, null, 0, v6, s0
	s_or_b32 s3, vcc_lo, s3
	s_wait_alu 0xfffe
	s_and_not1_b32 exec_lo, exec_lo, s3
	s_cbranch_execz .LBB119_49
.LBB119_29:                             ; =>This Inner Loop Header: Depth=1
	global_load_b32 v7, v[5:6], off
	ds_load_2addr_b64 v[1:4], v28 offset1:1
	ds_load_2addr_b64 v[29:32], v28 offset0:2 offset1:3
	v_add_nc_u32_e32 v33, -7, v27
	v_add_nc_u32_e32 v37, -6, v27
	;; [unrolled: 1-line block ×3, first 2 shown]
	s_wait_dscnt 0x1
	;;#ASMSTART
	v_cvt_f16_f32 v35, v1;

	;;#ASMEND
	;;#ASMSTART
	v_cvt_f16_f32 v34, v2;

	;;#ASMEND
	;; [unrolled: 4-line block ×4, first 2 shown]
	s_wait_dscnt 0x0
	;;#ASMSTART
	v_cvt_f16_f32 v43, v29;

	;;#ASMEND
	;;#ASMSTART
	v_cvt_f16_f32 v38, v30;

	;;#ASMEND
	;; [unrolled: 4-line block ×4, first 2 shown]
	v_add_nc_u32_e32 v31, -4, v27
	v_add_nc_u32_e32 v30, -3, v27
	;; [unrolled: 1-line block ×4, first 2 shown]
	s_wait_loadcnt 0x0
	s_wait_alu 0xfffe
	v_mad_co_i64_i32 v[7:8], null, v7, s2, 0
	s_delay_alu instid0(VALU_DEP_1) | instskip(NEXT) | instid1(VALU_DEP_1)
	v_lshlrev_b64_e32 v[7:8], 1, v[7:8]
	v_add_co_u32 v7, vcc_lo, v25, v7
	s_wait_alu 0xfffd
	s_delay_alu instid0(VALU_DEP_2)
	v_add_co_ci_u32_e64 v8, null, v26, v8, vcc_lo
	v_cmp_eq_u32_e32 vcc_lo, s27, v11
	global_load_b128 v[1:4], v[7:8], off
	s_wait_loadcnt 0x0
	v_lshrrev_b32_e32 v46, 16, v1
	v_lshrrev_b32_e32 v45, 16, v2
	v_lshrrev_b32_e32 v44, 16, v3
	s_and_saveexec_b32 s4, vcc_lo
	s_cbranch_execz .LBB119_31
; %bb.30:                               ;   in Loop: Header=BB119_29 Depth=1
	v_cmp_gt_i32_e64 s0, s25, v33
	v_and_b32_e32 v47, 0xffff, v4
	v_and_b32_e32 v4, 0xffff0000, v4
	s_wait_alu 0xf1ff
	s_delay_alu instid0(VALU_DEP_3) | instskip(SKIP_2) | instid1(VALU_DEP_1)
	v_cndmask_b32_e64 v1, 0, v1, s0
	v_cmp_gt_i32_e64 s0, s25, v37
	s_wait_alu 0xf1ff
	v_cndmask_b32_e64 v46, 0, v46, s0
	v_cmp_gt_i32_e64 s0, s25, v36
	s_wait_alu 0xf1ff
	s_delay_alu instid0(VALU_DEP_1) | instskip(SKIP_2) | instid1(VALU_DEP_1)
	v_cndmask_b32_e64 v2, 0, v2, s0
	v_cmp_gt_i32_e64 s0, s25, v31
	s_wait_alu 0xf1ff
	v_cndmask_b32_e64 v45, 0, v45, s0
	v_cmp_gt_i32_e64 s0, s25, v32
	s_wait_alu 0xf1ff
	s_delay_alu instid0(VALU_DEP_1) | instskip(SKIP_2) | instid1(VALU_DEP_1)
	v_cndmask_b32_e64 v47, 0, v47, s0
	v_cmp_gt_i32_e64 s0, s25, v27
	s_wait_alu 0xf1ff
	v_cndmask_b32_e64 v4, 0, v4, s0
	v_cmp_gt_i32_e64 s0, s25, v30
	s_delay_alu instid0(VALU_DEP_2) | instskip(SKIP_1) | instid1(VALU_DEP_2)
	v_or_b32_e32 v4, v47, v4
	s_wait_alu 0xf1ff
	v_cndmask_b32_e64 v3, 0, v3, s0
	v_cmp_gt_i32_e64 s0, s25, v29
	s_wait_alu 0xf1ff
	s_delay_alu instid0(VALU_DEP_1)
	v_cndmask_b32_e64 v44, 0, v44, s0
.LBB119_31:                             ;   in Loop: Header=BB119_29 Depth=1
	s_wait_alu 0xfffe
	s_or_b32 exec_lo, exec_lo, s4
	v_and_b32_e32 v35, 0xffff, v35
	v_and_b32_e32 v42, 0xffff, v42
	v_lshlrev_b32_e32 v46, 16, v46
	v_and_b32_e32 v43, 0xffff, v43
	v_and_b32_e32 v41, 0xffff, v41
	v_lshl_or_b32 v35, v34, 16, v35
	v_lshl_or_b32 v34, v40, 16, v42
	v_lshlrev_b32_e32 v40, 16, v45
	v_lshlrev_b32_e32 v42, 16, v44
	v_and_or_b32 v1, 0xffff, v1, v46
	;;#ASMSTART
	v_pk_mul_f16 v1, v35, v1;

	;;#ASMEND
	v_lshl_or_b32 v38, v38, 16, v43
	v_and_or_b32 v2, 0xffff, v2, v40
	v_and_or_b32 v3, 0xffff, v3, v42
	v_lshl_or_b32 v39, v39, 16, v41
	;;#ASMSTART
	v_pk_mul_f16 v2, v34, v2;

	;;#ASMEND
	;;#ASMSTART
	v_pk_mul_f16 v3, v38, v3;

	;;#ASMEND
	;; [unrolled: 4-line block ×3, first 2 shown]
	;;#ASMSTART
	v_pk_add_f16 v1, v1, v2;

	;;#ASMEND
	;;#ASMSTART
	v_pk_add_f16 v1, v1, v3;

	;;#ASMEND
	;; [unrolled: 4-line block ×3, first 2 shown]
	v_and_b32_e32 v2, 0xffff, v1
	v_lshrrev_b32_e32 v1, 16, v1
	;;#ASMSTART
	v_cvt_f32_f16 v40, v2;
	;;#ASMEND
	;;#ASMSTART
	v_cvt_f32_f16 v41, v1;
	;;#ASMEND
	global_load_b128 v[1:4], v[7:8], off offset:512
	s_wait_loadcnt 0x0
	v_lshrrev_b32_e32 v44, 16, v1
	v_lshrrev_b32_e32 v43, 16, v2
	;; [unrolled: 1-line block ×3, first 2 shown]
	s_and_saveexec_b32 s4, vcc_lo
	s_cbranch_execz .LBB119_33
; %bb.32:                               ;   in Loop: Header=BB119_29 Depth=1
	v_cmp_gt_i32_e64 s0, s25, v33
	v_and_b32_e32 v45, 0xffff, v4
	v_and_b32_e32 v4, 0xffff0000, v4
	s_wait_alu 0xf1ff
	s_delay_alu instid0(VALU_DEP_3) | instskip(SKIP_2) | instid1(VALU_DEP_1)
	v_cndmask_b32_e64 v1, 0, v1, s0
	v_cmp_gt_i32_e64 s0, s25, v37
	s_wait_alu 0xf1ff
	v_cndmask_b32_e64 v44, 0, v44, s0
	v_cmp_gt_i32_e64 s0, s25, v36
	s_wait_alu 0xf1ff
	s_delay_alu instid0(VALU_DEP_1) | instskip(SKIP_2) | instid1(VALU_DEP_1)
	v_cndmask_b32_e64 v2, 0, v2, s0
	v_cmp_gt_i32_e64 s0, s25, v31
	s_wait_alu 0xf1ff
	v_cndmask_b32_e64 v43, 0, v43, s0
	v_cmp_gt_i32_e64 s0, s25, v32
	s_wait_alu 0xf1ff
	s_delay_alu instid0(VALU_DEP_1) | instskip(SKIP_2) | instid1(VALU_DEP_1)
	v_cndmask_b32_e64 v45, 0, v45, s0
	v_cmp_gt_i32_e64 s0, s25, v27
	s_wait_alu 0xf1ff
	v_cndmask_b32_e64 v4, 0, v4, s0
	v_cmp_gt_i32_e64 s0, s25, v30
	s_delay_alu instid0(VALU_DEP_2) | instskip(SKIP_1) | instid1(VALU_DEP_2)
	v_or_b32_e32 v4, v45, v4
	s_wait_alu 0xf1ff
	v_cndmask_b32_e64 v3, 0, v3, s0
	v_cmp_gt_i32_e64 s0, s25, v29
	s_wait_alu 0xf1ff
	s_delay_alu instid0(VALU_DEP_1)
	v_cndmask_b32_e64 v42, 0, v42, s0
.LBB119_33:                             ;   in Loop: Header=BB119_29 Depth=1
	s_wait_alu 0xfffe
	s_or_b32 exec_lo, exec_lo, s4
	v_lshlrev_b32_e32 v44, 16, v44
	v_lshlrev_b32_e32 v43, 16, v43
	;; [unrolled: 1-line block ×3, first 2 shown]
	s_delay_alu instid0(VALU_DEP_3) | instskip(NEXT) | instid1(VALU_DEP_3)
	v_and_or_b32 v1, 0xffff, v1, v44
	v_and_or_b32 v2, 0xffff, v2, v43
	s_delay_alu instid0(VALU_DEP_3)
	v_and_or_b32 v3, 0xffff, v3, v42
	;;#ASMSTART
	v_pk_mul_f16 v1, v35, v1;

	;;#ASMEND
	;;#ASMSTART
	v_pk_mul_f16 v2, v34, v2;

	;;#ASMEND
	;; [unrolled: 4-line block ×4, first 2 shown]
	;;#ASMSTART
	v_pk_add_f16 v1, v1, v2;

	;;#ASMEND
	;;#ASMSTART
	v_pk_add_f16 v1, v1, v3;

	;;#ASMEND
	;;#ASMSTART
	v_pk_add_f16 v1, v1, v4;

	;;#ASMEND
	v_and_b32_e32 v2, 0xffff, v1
	v_lshrrev_b32_e32 v1, 16, v1
	;;#ASMSTART
	v_cvt_f32_f16 v42, v2;
	;;#ASMEND
	;;#ASMSTART
	v_cvt_f32_f16 v43, v1;
	;;#ASMEND
	global_load_b128 v[1:4], v[7:8], off offset:1024
	s_wait_loadcnt 0x0
	v_lshrrev_b32_e32 v46, 16, v1
	v_lshrrev_b32_e32 v45, 16, v2
	;; [unrolled: 1-line block ×3, first 2 shown]
	s_and_saveexec_b32 s4, vcc_lo
	s_cbranch_execz .LBB119_35
; %bb.34:                               ;   in Loop: Header=BB119_29 Depth=1
	v_cmp_gt_i32_e64 s0, s25, v33
	v_and_b32_e32 v47, 0xffff, v4
	v_and_b32_e32 v4, 0xffff0000, v4
	s_wait_alu 0xf1ff
	s_delay_alu instid0(VALU_DEP_3) | instskip(SKIP_2) | instid1(VALU_DEP_1)
	v_cndmask_b32_e64 v1, 0, v1, s0
	v_cmp_gt_i32_e64 s0, s25, v37
	s_wait_alu 0xf1ff
	v_cndmask_b32_e64 v46, 0, v46, s0
	v_cmp_gt_i32_e64 s0, s25, v36
	s_wait_alu 0xf1ff
	s_delay_alu instid0(VALU_DEP_1) | instskip(SKIP_2) | instid1(VALU_DEP_1)
	v_cndmask_b32_e64 v2, 0, v2, s0
	v_cmp_gt_i32_e64 s0, s25, v31
	s_wait_alu 0xf1ff
	v_cndmask_b32_e64 v45, 0, v45, s0
	v_cmp_gt_i32_e64 s0, s25, v32
	s_wait_alu 0xf1ff
	s_delay_alu instid0(VALU_DEP_1) | instskip(SKIP_2) | instid1(VALU_DEP_1)
	v_cndmask_b32_e64 v47, 0, v47, s0
	v_cmp_gt_i32_e64 s0, s25, v27
	s_wait_alu 0xf1ff
	v_cndmask_b32_e64 v4, 0, v4, s0
	v_cmp_gt_i32_e64 s0, s25, v30
	s_delay_alu instid0(VALU_DEP_2) | instskip(SKIP_1) | instid1(VALU_DEP_2)
	v_or_b32_e32 v4, v47, v4
	s_wait_alu 0xf1ff
	v_cndmask_b32_e64 v3, 0, v3, s0
	v_cmp_gt_i32_e64 s0, s25, v29
	s_wait_alu 0xf1ff
	s_delay_alu instid0(VALU_DEP_1)
	v_cndmask_b32_e64 v44, 0, v44, s0
.LBB119_35:                             ;   in Loop: Header=BB119_29 Depth=1
	s_wait_alu 0xfffe
	s_or_b32 exec_lo, exec_lo, s4
	v_lshlrev_b32_e32 v46, 16, v46
	v_lshlrev_b32_e32 v45, 16, v45
	;; [unrolled: 1-line block ×3, first 2 shown]
	s_delay_alu instid0(VALU_DEP_3) | instskip(NEXT) | instid1(VALU_DEP_3)
	v_and_or_b32 v1, 0xffff, v1, v46
	v_and_or_b32 v2, 0xffff, v2, v45
	s_delay_alu instid0(VALU_DEP_3)
	v_and_or_b32 v3, 0xffff, v3, v44
	;;#ASMSTART
	v_pk_mul_f16 v1, v35, v1;

	;;#ASMEND
	;;#ASMSTART
	v_pk_mul_f16 v2, v34, v2;

	;;#ASMEND
	;; [unrolled: 4-line block ×4, first 2 shown]
	;;#ASMSTART
	v_pk_add_f16 v1, v1, v2;

	;;#ASMEND
	;;#ASMSTART
	v_pk_add_f16 v1, v1, v3;

	;;#ASMEND
	;; [unrolled: 4-line block ×3, first 2 shown]
	v_and_b32_e32 v2, 0xffff, v1
	v_lshrrev_b32_e32 v1, 16, v1
	;;#ASMSTART
	v_cvt_f32_f16 v44, v2;
	;;#ASMEND
	;;#ASMSTART
	v_cvt_f32_f16 v45, v1;
	;;#ASMEND
	global_load_b128 v[1:4], v[7:8], off offset:1536
	s_wait_loadcnt 0x0
	v_lshrrev_b32_e32 v48, 16, v1
	v_lshrrev_b32_e32 v47, 16, v2
	;; [unrolled: 1-line block ×3, first 2 shown]
	s_and_saveexec_b32 s4, vcc_lo
	s_cbranch_execz .LBB119_37
; %bb.36:                               ;   in Loop: Header=BB119_29 Depth=1
	v_cmp_gt_i32_e64 s0, s25, v33
	v_and_b32_e32 v49, 0xffff, v4
	v_and_b32_e32 v4, 0xffff0000, v4
	s_wait_alu 0xf1ff
	s_delay_alu instid0(VALU_DEP_3) | instskip(SKIP_2) | instid1(VALU_DEP_1)
	v_cndmask_b32_e64 v1, 0, v1, s0
	v_cmp_gt_i32_e64 s0, s25, v37
	s_wait_alu 0xf1ff
	v_cndmask_b32_e64 v48, 0, v48, s0
	v_cmp_gt_i32_e64 s0, s25, v36
	s_wait_alu 0xf1ff
	s_delay_alu instid0(VALU_DEP_1) | instskip(SKIP_2) | instid1(VALU_DEP_1)
	v_cndmask_b32_e64 v2, 0, v2, s0
	v_cmp_gt_i32_e64 s0, s25, v31
	s_wait_alu 0xf1ff
	v_cndmask_b32_e64 v47, 0, v47, s0
	v_cmp_gt_i32_e64 s0, s25, v32
	s_wait_alu 0xf1ff
	s_delay_alu instid0(VALU_DEP_1) | instskip(SKIP_2) | instid1(VALU_DEP_1)
	v_cndmask_b32_e64 v49, 0, v49, s0
	v_cmp_gt_i32_e64 s0, s25, v27
	s_wait_alu 0xf1ff
	v_cndmask_b32_e64 v4, 0, v4, s0
	v_cmp_gt_i32_e64 s0, s25, v30
	s_delay_alu instid0(VALU_DEP_2) | instskip(SKIP_1) | instid1(VALU_DEP_2)
	v_or_b32_e32 v4, v49, v4
	s_wait_alu 0xf1ff
	v_cndmask_b32_e64 v3, 0, v3, s0
	v_cmp_gt_i32_e64 s0, s25, v29
	s_wait_alu 0xf1ff
	s_delay_alu instid0(VALU_DEP_1)
	v_cndmask_b32_e64 v46, 0, v46, s0
.LBB119_37:                             ;   in Loop: Header=BB119_29 Depth=1
	s_wait_alu 0xfffe
	s_or_b32 exec_lo, exec_lo, s4
	v_lshlrev_b32_e32 v48, 16, v48
	v_lshlrev_b32_e32 v47, 16, v47
	;; [unrolled: 1-line block ×3, first 2 shown]
	s_delay_alu instid0(VALU_DEP_3) | instskip(NEXT) | instid1(VALU_DEP_3)
	v_and_or_b32 v1, 0xffff, v1, v48
	v_and_or_b32 v2, 0xffff, v2, v47
	s_delay_alu instid0(VALU_DEP_3)
	v_and_or_b32 v3, 0xffff, v3, v46
	;;#ASMSTART
	v_pk_mul_f16 v1, v35, v1;

	;;#ASMEND
	;;#ASMSTART
	v_pk_mul_f16 v2, v34, v2;

	;;#ASMEND
	;; [unrolled: 4-line block ×4, first 2 shown]
	;;#ASMSTART
	v_pk_add_f16 v1, v1, v2;

	;;#ASMEND
	;;#ASMSTART
	v_pk_add_f16 v1, v1, v3;

	;;#ASMEND
	;; [unrolled: 4-line block ×3, first 2 shown]
	v_and_b32_e32 v2, 0xffff, v1
	v_lshrrev_b32_e32 v1, 16, v1
	;;#ASMSTART
	v_cvt_f32_f16 v46, v2;
	;;#ASMEND
	;;#ASMSTART
	v_cvt_f32_f16 v47, v1;
	;;#ASMEND
	global_load_b128 v[1:4], v[7:8], off offset:2048
	s_wait_loadcnt 0x0
	v_lshrrev_b32_e32 v50, 16, v1
	v_lshrrev_b32_e32 v49, 16, v2
	;; [unrolled: 1-line block ×3, first 2 shown]
	s_and_saveexec_b32 s4, vcc_lo
	s_cbranch_execz .LBB119_39
; %bb.38:                               ;   in Loop: Header=BB119_29 Depth=1
	v_cmp_gt_i32_e64 s0, s25, v33
	v_and_b32_e32 v51, 0xffff, v4
	v_and_b32_e32 v4, 0xffff0000, v4
	s_wait_alu 0xf1ff
	s_delay_alu instid0(VALU_DEP_3) | instskip(SKIP_2) | instid1(VALU_DEP_1)
	v_cndmask_b32_e64 v1, 0, v1, s0
	v_cmp_gt_i32_e64 s0, s25, v37
	s_wait_alu 0xf1ff
	v_cndmask_b32_e64 v50, 0, v50, s0
	v_cmp_gt_i32_e64 s0, s25, v36
	s_wait_alu 0xf1ff
	s_delay_alu instid0(VALU_DEP_1) | instskip(SKIP_2) | instid1(VALU_DEP_1)
	v_cndmask_b32_e64 v2, 0, v2, s0
	v_cmp_gt_i32_e64 s0, s25, v31
	s_wait_alu 0xf1ff
	v_cndmask_b32_e64 v49, 0, v49, s0
	v_cmp_gt_i32_e64 s0, s25, v32
	s_wait_alu 0xf1ff
	s_delay_alu instid0(VALU_DEP_1) | instskip(SKIP_2) | instid1(VALU_DEP_1)
	v_cndmask_b32_e64 v51, 0, v51, s0
	v_cmp_gt_i32_e64 s0, s25, v27
	s_wait_alu 0xf1ff
	v_cndmask_b32_e64 v4, 0, v4, s0
	v_cmp_gt_i32_e64 s0, s25, v30
	s_delay_alu instid0(VALU_DEP_2) | instskip(SKIP_1) | instid1(VALU_DEP_2)
	v_or_b32_e32 v4, v51, v4
	s_wait_alu 0xf1ff
	v_cndmask_b32_e64 v3, 0, v3, s0
	v_cmp_gt_i32_e64 s0, s25, v29
	s_wait_alu 0xf1ff
	s_delay_alu instid0(VALU_DEP_1)
	v_cndmask_b32_e64 v48, 0, v48, s0
.LBB119_39:                             ;   in Loop: Header=BB119_29 Depth=1
	s_wait_alu 0xfffe
	s_or_b32 exec_lo, exec_lo, s4
	v_lshlrev_b32_e32 v50, 16, v50
	v_lshlrev_b32_e32 v49, 16, v49
	;; [unrolled: 1-line block ×3, first 2 shown]
	s_delay_alu instid0(VALU_DEP_3) | instskip(NEXT) | instid1(VALU_DEP_3)
	v_and_or_b32 v1, 0xffff, v1, v50
	v_and_or_b32 v2, 0xffff, v2, v49
	s_delay_alu instid0(VALU_DEP_3)
	v_and_or_b32 v3, 0xffff, v3, v48
	;;#ASMSTART
	v_pk_mul_f16 v1, v35, v1;

	;;#ASMEND
	;;#ASMSTART
	v_pk_mul_f16 v2, v34, v2;

	;;#ASMEND
	;; [unrolled: 4-line block ×4, first 2 shown]
	;;#ASMSTART
	v_pk_add_f16 v1, v1, v2;

	;;#ASMEND
	;;#ASMSTART
	v_pk_add_f16 v1, v1, v3;

	;;#ASMEND
	;; [unrolled: 4-line block ×3, first 2 shown]
	v_and_b32_e32 v2, 0xffff, v1
	v_lshrrev_b32_e32 v1, 16, v1
	;;#ASMSTART
	v_cvt_f32_f16 v48, v2;
	;;#ASMEND
	;;#ASMSTART
	v_cvt_f32_f16 v49, v1;
	;;#ASMEND
	global_load_b128 v[1:4], v[7:8], off offset:2560
	s_wait_loadcnt 0x0
	v_lshrrev_b32_e32 v52, 16, v1
	v_lshrrev_b32_e32 v51, 16, v2
	;; [unrolled: 1-line block ×3, first 2 shown]
	s_and_saveexec_b32 s4, vcc_lo
	s_cbranch_execz .LBB119_41
; %bb.40:                               ;   in Loop: Header=BB119_29 Depth=1
	v_cmp_gt_i32_e64 s0, s25, v33
	v_and_b32_e32 v53, 0xffff, v4
	v_and_b32_e32 v4, 0xffff0000, v4
	s_wait_alu 0xf1ff
	s_delay_alu instid0(VALU_DEP_3) | instskip(SKIP_2) | instid1(VALU_DEP_1)
	v_cndmask_b32_e64 v1, 0, v1, s0
	v_cmp_gt_i32_e64 s0, s25, v37
	s_wait_alu 0xf1ff
	v_cndmask_b32_e64 v52, 0, v52, s0
	v_cmp_gt_i32_e64 s0, s25, v36
	s_wait_alu 0xf1ff
	s_delay_alu instid0(VALU_DEP_1) | instskip(SKIP_2) | instid1(VALU_DEP_1)
	v_cndmask_b32_e64 v2, 0, v2, s0
	v_cmp_gt_i32_e64 s0, s25, v31
	s_wait_alu 0xf1ff
	v_cndmask_b32_e64 v51, 0, v51, s0
	v_cmp_gt_i32_e64 s0, s25, v32
	s_wait_alu 0xf1ff
	s_delay_alu instid0(VALU_DEP_1) | instskip(SKIP_2) | instid1(VALU_DEP_1)
	v_cndmask_b32_e64 v53, 0, v53, s0
	v_cmp_gt_i32_e64 s0, s25, v27
	s_wait_alu 0xf1ff
	v_cndmask_b32_e64 v4, 0, v4, s0
	v_cmp_gt_i32_e64 s0, s25, v30
	s_delay_alu instid0(VALU_DEP_2) | instskip(SKIP_1) | instid1(VALU_DEP_2)
	v_or_b32_e32 v4, v53, v4
	s_wait_alu 0xf1ff
	v_cndmask_b32_e64 v3, 0, v3, s0
	v_cmp_gt_i32_e64 s0, s25, v29
	s_wait_alu 0xf1ff
	s_delay_alu instid0(VALU_DEP_1)
	v_cndmask_b32_e64 v50, 0, v50, s0
.LBB119_41:                             ;   in Loop: Header=BB119_29 Depth=1
	s_wait_alu 0xfffe
	s_or_b32 exec_lo, exec_lo, s4
	v_lshlrev_b32_e32 v52, 16, v52
	v_lshlrev_b32_e32 v51, 16, v51
	;; [unrolled: 1-line block ×3, first 2 shown]
	s_delay_alu instid0(VALU_DEP_3) | instskip(NEXT) | instid1(VALU_DEP_3)
	v_and_or_b32 v1, 0xffff, v1, v52
	v_and_or_b32 v2, 0xffff, v2, v51
	s_delay_alu instid0(VALU_DEP_3)
	v_and_or_b32 v3, 0xffff, v3, v50
	;;#ASMSTART
	v_pk_mul_f16 v1, v35, v1;

	;;#ASMEND
	;;#ASMSTART
	v_pk_mul_f16 v2, v34, v2;

	;;#ASMEND
	;; [unrolled: 4-line block ×4, first 2 shown]
	;;#ASMSTART
	v_pk_add_f16 v1, v1, v2;

	;;#ASMEND
	;;#ASMSTART
	v_pk_add_f16 v1, v1, v3;

	;;#ASMEND
	;; [unrolled: 4-line block ×3, first 2 shown]
	v_and_b32_e32 v2, 0xffff, v1
	v_lshrrev_b32_e32 v1, 16, v1
	;;#ASMSTART
	v_cvt_f32_f16 v50, v2;
	;;#ASMEND
	;;#ASMSTART
	v_cvt_f32_f16 v51, v1;
	;;#ASMEND
	global_load_b128 v[1:4], v[7:8], off offset:3072
	s_wait_loadcnt 0x0
	v_lshrrev_b32_e32 v54, 16, v1
	v_lshrrev_b32_e32 v53, 16, v2
	;; [unrolled: 1-line block ×3, first 2 shown]
	s_and_saveexec_b32 s4, vcc_lo
	s_cbranch_execz .LBB119_43
; %bb.42:                               ;   in Loop: Header=BB119_29 Depth=1
	v_cmp_gt_i32_e64 s0, s25, v33
	v_and_b32_e32 v55, 0xffff, v4
	v_and_b32_e32 v4, 0xffff0000, v4
	s_wait_alu 0xf1ff
	s_delay_alu instid0(VALU_DEP_3) | instskip(SKIP_2) | instid1(VALU_DEP_1)
	v_cndmask_b32_e64 v1, 0, v1, s0
	v_cmp_gt_i32_e64 s0, s25, v37
	s_wait_alu 0xf1ff
	v_cndmask_b32_e64 v54, 0, v54, s0
	v_cmp_gt_i32_e64 s0, s25, v36
	s_wait_alu 0xf1ff
	s_delay_alu instid0(VALU_DEP_1) | instskip(SKIP_2) | instid1(VALU_DEP_1)
	v_cndmask_b32_e64 v2, 0, v2, s0
	v_cmp_gt_i32_e64 s0, s25, v31
	s_wait_alu 0xf1ff
	v_cndmask_b32_e64 v53, 0, v53, s0
	v_cmp_gt_i32_e64 s0, s25, v32
	s_wait_alu 0xf1ff
	s_delay_alu instid0(VALU_DEP_1) | instskip(SKIP_2) | instid1(VALU_DEP_1)
	v_cndmask_b32_e64 v55, 0, v55, s0
	v_cmp_gt_i32_e64 s0, s25, v27
	s_wait_alu 0xf1ff
	v_cndmask_b32_e64 v4, 0, v4, s0
	v_cmp_gt_i32_e64 s0, s25, v30
	s_delay_alu instid0(VALU_DEP_2) | instskip(SKIP_1) | instid1(VALU_DEP_2)
	v_or_b32_e32 v4, v55, v4
	s_wait_alu 0xf1ff
	v_cndmask_b32_e64 v3, 0, v3, s0
	v_cmp_gt_i32_e64 s0, s25, v29
	s_wait_alu 0xf1ff
	s_delay_alu instid0(VALU_DEP_1)
	v_cndmask_b32_e64 v52, 0, v52, s0
.LBB119_43:                             ;   in Loop: Header=BB119_29 Depth=1
	s_wait_alu 0xfffe
	s_or_b32 exec_lo, exec_lo, s4
	v_lshlrev_b32_e32 v54, 16, v54
	v_lshlrev_b32_e32 v53, 16, v53
	;; [unrolled: 1-line block ×3, first 2 shown]
	s_delay_alu instid0(VALU_DEP_3) | instskip(NEXT) | instid1(VALU_DEP_3)
	v_and_or_b32 v1, 0xffff, v1, v54
	v_and_or_b32 v2, 0xffff, v2, v53
	s_delay_alu instid0(VALU_DEP_3)
	v_and_or_b32 v3, 0xffff, v3, v52
	;;#ASMSTART
	v_pk_mul_f16 v1, v35, v1;

	;;#ASMEND
	;;#ASMSTART
	v_pk_mul_f16 v2, v34, v2;

	;;#ASMEND
	;; [unrolled: 4-line block ×4, first 2 shown]
	;;#ASMSTART
	v_pk_add_f16 v1, v1, v2;

	;;#ASMEND
	;;#ASMSTART
	v_pk_add_f16 v1, v1, v3;

	;;#ASMEND
	;; [unrolled: 4-line block ×3, first 2 shown]
	v_and_b32_e32 v2, 0xffff, v1
	v_lshrrev_b32_e32 v1, 16, v1
	;;#ASMSTART
	v_cvt_f32_f16 v52, v2;
	;;#ASMEND
	;;#ASMSTART
	v_cvt_f32_f16 v53, v1;
	;;#ASMEND
	global_load_b128 v[1:4], v[7:8], off offset:3584
	s_wait_loadcnt 0x0
	v_lshrrev_b32_e32 v56, 16, v1
	v_lshrrev_b32_e32 v55, 16, v2
	;; [unrolled: 1-line block ×3, first 2 shown]
	s_and_saveexec_b32 s4, vcc_lo
	s_cbranch_execz .LBB119_45
; %bb.44:                               ;   in Loop: Header=BB119_29 Depth=1
	v_cmp_gt_i32_e64 s0, s25, v33
	v_and_b32_e32 v57, 0xffff, v4
	v_and_b32_e32 v4, 0xffff0000, v4
	s_wait_alu 0xf1ff
	s_delay_alu instid0(VALU_DEP_3) | instskip(SKIP_2) | instid1(VALU_DEP_1)
	v_cndmask_b32_e64 v1, 0, v1, s0
	v_cmp_gt_i32_e64 s0, s25, v37
	s_wait_alu 0xf1ff
	v_cndmask_b32_e64 v56, 0, v56, s0
	v_cmp_gt_i32_e64 s0, s25, v36
	s_wait_alu 0xf1ff
	s_delay_alu instid0(VALU_DEP_1) | instskip(SKIP_2) | instid1(VALU_DEP_1)
	v_cndmask_b32_e64 v2, 0, v2, s0
	v_cmp_gt_i32_e64 s0, s25, v31
	s_wait_alu 0xf1ff
	v_cndmask_b32_e64 v55, 0, v55, s0
	v_cmp_gt_i32_e64 s0, s25, v32
	s_wait_alu 0xf1ff
	s_delay_alu instid0(VALU_DEP_1) | instskip(SKIP_2) | instid1(VALU_DEP_1)
	v_cndmask_b32_e64 v57, 0, v57, s0
	v_cmp_gt_i32_e64 s0, s25, v27
	s_wait_alu 0xf1ff
	v_cndmask_b32_e64 v4, 0, v4, s0
	v_cmp_gt_i32_e64 s0, s25, v30
	s_delay_alu instid0(VALU_DEP_2) | instskip(SKIP_1) | instid1(VALU_DEP_2)
	v_or_b32_e32 v4, v57, v4
	s_wait_alu 0xf1ff
	v_cndmask_b32_e64 v3, 0, v3, s0
	v_cmp_gt_i32_e64 s0, s25, v29
	s_wait_alu 0xf1ff
	s_delay_alu instid0(VALU_DEP_1)
	v_cndmask_b32_e64 v54, 0, v54, s0
.LBB119_45:                             ;   in Loop: Header=BB119_29 Depth=1
	s_wait_alu 0xfffe
	s_or_b32 exec_lo, exec_lo, s4
	v_lshlrev_b32_e32 v56, 16, v56
	v_lshlrev_b32_e32 v55, 16, v55
	;; [unrolled: 1-line block ×3, first 2 shown]
	s_delay_alu instid0(VALU_DEP_3) | instskip(NEXT) | instid1(VALU_DEP_3)
	v_and_or_b32 v1, 0xffff, v1, v56
	v_and_or_b32 v2, 0xffff, v2, v55
	s_delay_alu instid0(VALU_DEP_3)
	v_and_or_b32 v3, 0xffff, v3, v54
	;;#ASMSTART
	v_pk_mul_f16 v1, v35, v1;

	;;#ASMEND
	;;#ASMSTART
	v_pk_mul_f16 v2, v34, v2;

	;;#ASMEND
	;; [unrolled: 4-line block ×4, first 2 shown]
	;;#ASMSTART
	v_pk_add_f16 v1, v1, v2;

	;;#ASMEND
	;;#ASMSTART
	v_pk_add_f16 v1, v1, v3;

	;;#ASMEND
	;; [unrolled: 4-line block ×3, first 2 shown]
	v_and_b32_e32 v2, 0xffff, v1
	v_lshrrev_b32_e32 v1, 16, v1
	;;#ASMSTART
	v_cvt_f32_f16 v54, v2;
	;;#ASMEND
	;;#ASMSTART
	v_cvt_f32_f16 v55, v1;
	;;#ASMEND
	global_load_b128 v[1:4], v[7:8], off offset:4096
	s_wait_loadcnt 0x0
	v_lshrrev_b32_e32 v58, 16, v1
	v_lshrrev_b32_e32 v57, 16, v2
	;; [unrolled: 1-line block ×3, first 2 shown]
	s_and_saveexec_b32 s4, vcc_lo
	s_cbranch_execz .LBB119_47
; %bb.46:                               ;   in Loop: Header=BB119_29 Depth=1
	v_cmp_gt_i32_e64 s0, s25, v33
	v_and_b32_e32 v59, 0xffff, v4
	v_and_b32_e32 v4, 0xffff0000, v4
	s_wait_alu 0xf1ff
	s_delay_alu instid0(VALU_DEP_3) | instskip(SKIP_2) | instid1(VALU_DEP_1)
	v_cndmask_b32_e64 v1, 0, v1, s0
	v_cmp_gt_i32_e64 s0, s25, v37
	s_wait_alu 0xf1ff
	v_cndmask_b32_e64 v58, 0, v58, s0
	v_cmp_gt_i32_e64 s0, s25, v36
	s_wait_alu 0xf1ff
	s_delay_alu instid0(VALU_DEP_1) | instskip(SKIP_2) | instid1(VALU_DEP_1)
	v_cndmask_b32_e64 v2, 0, v2, s0
	v_cmp_gt_i32_e64 s0, s25, v31
	s_wait_alu 0xf1ff
	v_cndmask_b32_e64 v57, 0, v57, s0
	v_cmp_gt_i32_e64 s0, s25, v32
	s_wait_alu 0xf1ff
	s_delay_alu instid0(VALU_DEP_1) | instskip(SKIP_2) | instid1(VALU_DEP_1)
	v_cndmask_b32_e64 v59, 0, v59, s0
	v_cmp_gt_i32_e64 s0, s25, v27
	s_wait_alu 0xf1ff
	v_cndmask_b32_e64 v4, 0, v4, s0
	v_cmp_gt_i32_e64 s0, s25, v30
	s_delay_alu instid0(VALU_DEP_2) | instskip(SKIP_1) | instid1(VALU_DEP_2)
	v_or_b32_e32 v4, v59, v4
	s_wait_alu 0xf1ff
	v_cndmask_b32_e64 v3, 0, v3, s0
	v_cmp_gt_i32_e64 s0, s25, v29
	s_wait_alu 0xf1ff
	s_delay_alu instid0(VALU_DEP_1)
	v_cndmask_b32_e64 v56, 0, v56, s0
.LBB119_47:                             ;   in Loop: Header=BB119_29 Depth=1
	s_wait_alu 0xfffe
	s_or_b32 exec_lo, exec_lo, s4
	v_lshlrev_b32_e32 v58, 16, v58
	v_lshlrev_b32_e32 v57, 16, v57
	;; [unrolled: 1-line block ×3, first 2 shown]
	s_delay_alu instid0(VALU_DEP_3) | instskip(NEXT) | instid1(VALU_DEP_3)
	v_and_or_b32 v1, 0xffff, v1, v58
	v_and_or_b32 v2, 0xffff, v2, v57
	s_delay_alu instid0(VALU_DEP_3)
	v_and_or_b32 v3, 0xffff, v3, v56
	;;#ASMSTART
	v_pk_mul_f16 v1, v35, v1;

	;;#ASMEND
	;;#ASMSTART
	v_pk_mul_f16 v2, v34, v2;

	;;#ASMEND
	;;#ASMSTART
	v_pk_mul_f16 v3, v38, v3;

	;;#ASMEND
	;;#ASMSTART
	v_pk_mul_f16 v4, v39, v4;

	;;#ASMEND
	;;#ASMSTART
	v_pk_add_f16 v1, v1, v2;

	;;#ASMEND
	;;#ASMSTART
	v_pk_add_f16 v1, v1, v3;

	;;#ASMEND
	;; [unrolled: 4-line block ×3, first 2 shown]
	v_and_b32_e32 v2, 0xffff, v1
	v_lshrrev_b32_e32 v1, 16, v1
	;;#ASMSTART
	v_cvt_f32_f16 v57, v2;
	;;#ASMEND
	;;#ASMSTART
	v_cvt_f32_f16 v58, v1;
	;;#ASMEND
	global_load_b128 v[1:4], v[7:8], off offset:4608
	s_wait_loadcnt 0x0
	v_lshrrev_b32_e32 v56, 16, v1
	v_lshrrev_b32_e32 v8, 16, v2
	;; [unrolled: 1-line block ×3, first 2 shown]
	s_and_saveexec_b32 s0, vcc_lo
	s_cbranch_execz .LBB119_28
; %bb.48:                               ;   in Loop: Header=BB119_29 Depth=1
	v_cmp_gt_i32_e32 vcc_lo, s25, v33
	v_and_b32_e32 v33, 0xffff, v4
	s_wait_alu 0xfffd
	v_cndmask_b32_e32 v1, 0, v1, vcc_lo
	v_cmp_gt_i32_e32 vcc_lo, s25, v37
	s_wait_alu 0xfffd
	v_cndmask_b32_e32 v56, 0, v56, vcc_lo
	v_cmp_gt_i32_e32 vcc_lo, s25, v36
	;; [unrolled: 3-line block ×4, first 2 shown]
	s_wait_alu 0xfffd
	v_dual_cndmask_b32 v31, 0, v33 :: v_dual_and_b32 v4, 0xffff0000, v4
	v_cmp_gt_i32_e32 vcc_lo, s25, v27
	s_wait_alu 0xfffd
	s_delay_alu instid0(VALU_DEP_2)
	v_cndmask_b32_e32 v4, 0, v4, vcc_lo
	v_cmp_gt_i32_e32 vcc_lo, s25, v30
	s_wait_alu 0xfffd
	v_cndmask_b32_e32 v3, 0, v3, vcc_lo
	v_cmp_gt_i32_e32 vcc_lo, s25, v29
	s_wait_alu 0xfffd
	v_cndmask_b32_e32 v7, 0, v7, vcc_lo
	v_or_b32_e32 v4, v31, v4
	s_branch .LBB119_28
.LBB119_49:
	s_or_b32 exec_lo, exec_lo, s3
.LBB119_50:
	s_wait_alu 0xfffe
	s_or_b32 exec_lo, exec_lo, s1
	ds_bpermute_b32 v1, v14, v22
	ds_bpermute_b32 v2, v14, v24
	;; [unrolled: 1-line block ×10, first 2 shown]
	s_mov_b32 s0, exec_lo
	s_wait_storecnt 0x0
	s_wait_loadcnt_dscnt 0x0
	s_barrier_signal -1
	s_barrier_wait -1
	global_inv scope:SCOPE_SE
	v_dual_add_f32 v1, v22, v1 :: v_dual_add_f32 v2, v24, v2
	v_dual_add_f32 v3, v23, v3 :: v_dual_add_f32 v4, v21, v4
	;; [unrolled: 1-line block ×3, first 2 shown]
	ds_bpermute_b32 v7, v13, v2
	v_dual_add_f32 v19, v19, v6 :: v_dual_add_f32 v16, v16, v11
	ds_bpermute_b32 v20, v13, v4
	ds_bpermute_b32 v23, v13, v18
	v_add_f32_e32 v17, v17, v8
	ds_bpermute_b32 v21, v13, v5
	v_add_f32_e32 v15, v15, v14
	ds_bpermute_b32 v6, v13, v1
	ds_bpermute_b32 v8, v13, v3
	;; [unrolled: 1-line block ×5, first 2 shown]
	v_mul_u32_u24_e32 v14, 0x140, v9
	v_lshrrev_b32_e32 v11, 2, v10
	v_and_b32_e32 v27, 0x3c3, v0
	s_wait_dscnt 0x8
	v_add_f32_e32 v9, v2, v7
	s_wait_dscnt 0x6
	v_dual_add_f32 v7, v4, v20 :: v_dual_add_f32 v4, v18, v23
	ds_bpermute_b32 v24, v13, v17
	v_and_b32_e32 v13, 28, v10
	s_wait_dscnt 0x5
	v_add_f32_e32 v10, v1, v6
	s_wait_dscnt 0x4
	v_add_f32_e32 v8, v3, v8
	v_add_f32_e32 v6, v5, v21
	v_add_nc_u32_e32 v13, 0xc0, v13
	s_wait_dscnt 0x2
	v_dual_add_f32 v5, v19, v22 :: v_dual_add_f32 v2, v16, v25
	s_wait_dscnt 0x1
	v_add_f32_e32 v1, v15, v26
	s_wait_dscnt 0x0
	v_add_f32_e32 v3, v17, v24
	v_cmpx_eq_u32_e32 64, v27
	s_cbranch_execz .LBB119_52
; %bb.51:
	v_add_nc_u32_e32 v15, v13, v14
	s_delay_alu instid0(VALU_DEP_1)
	v_add_nc_u32_e32 v16, 0xfffffd80, v15
	v_add_nc_u32_e32 v17, 0xfffffda0, v15
	;; [unrolled: 1-line block ×10, first 2 shown]
	ds_store_b32 v16, v10
	ds_store_b32 v17, v9
	;; [unrolled: 1-line block ×10, first 2 shown]
.LBB119_52:
	s_wait_alu 0xfffe
	s_or_b32 exec_lo, exec_lo, s0
	v_lshlrev_b32_e32 v11, 2, v11
	s_mov_b32 s1, exec_lo
	v_cmp_eq_u32_e32 vcc_lo, 0, v12
	s_wait_loadcnt_dscnt 0x0
	s_barrier_signal -1
	v_add3_u32 v11, 0xc0, v14, v11
	s_barrier_wait -1
	global_inv scope:SCOPE_SE
	v_cmpx_gt_u32_e32 64, v0
	s_cbranch_execz .LBB119_65
; %bb.53:
	s_and_saveexec_b32 s0, vcc_lo
	s_cbranch_execnz .LBB119_83
; %bb.54:
	s_wait_alu 0xfffe
	s_or_b32 exec_lo, exec_lo, s0
	s_and_saveexec_b32 s0, vcc_lo
	s_cbranch_execnz .LBB119_84
.LBB119_55:
	s_wait_alu 0xfffe
	s_or_b32 exec_lo, exec_lo, s0
	s_and_saveexec_b32 s0, vcc_lo
	s_cbranch_execnz .LBB119_85
.LBB119_56:
	s_wait_alu 0xfffe
	s_or_b32 exec_lo, exec_lo, s0
	s_and_saveexec_b32 s0, vcc_lo
	s_cbranch_execnz .LBB119_86
.LBB119_57:
	s_wait_alu 0xfffe
	s_or_b32 exec_lo, exec_lo, s0
	s_and_saveexec_b32 s0, vcc_lo
	s_cbranch_execnz .LBB119_87
.LBB119_58:
	s_wait_alu 0xfffe
	s_or_b32 exec_lo, exec_lo, s0
	s_and_saveexec_b32 s0, vcc_lo
	s_cbranch_execnz .LBB119_88
.LBB119_59:
	s_wait_alu 0xfffe
	s_or_b32 exec_lo, exec_lo, s0
	s_and_saveexec_b32 s0, vcc_lo
	s_cbranch_execnz .LBB119_89
.LBB119_60:
	s_wait_alu 0xfffe
	s_or_b32 exec_lo, exec_lo, s0
	s_and_saveexec_b32 s0, vcc_lo
	s_cbranch_execnz .LBB119_90
.LBB119_61:
	s_wait_alu 0xfffe
	s_or_b32 exec_lo, exec_lo, s0
	s_and_saveexec_b32 s0, vcc_lo
	s_cbranch_execnz .LBB119_91
.LBB119_62:
	s_wait_alu 0xfffe
	s_or_b32 exec_lo, exec_lo, s0
	s_and_saveexec_b32 s0, vcc_lo
	s_cbranch_execz .LBB119_64
.LBB119_63:
	ds_load_b32 v12, v11 offset:288
	s_wait_dscnt 0x0
	v_add_f32_e32 v1, v1, v12
.LBB119_64:
	s_wait_alu 0xfffe
	s_or_b32 exec_lo, exec_lo, s0
.LBB119_65:
	s_wait_alu 0xfffe
	s_or_b32 exec_lo, exec_lo, s1
	v_and_b32_e32 v12, 0x3e3, v0
	s_mov_b32 s1, exec_lo
	s_wait_loadcnt 0x0
	s_barrier_signal -1
	s_barrier_wait -1
	global_inv scope:SCOPE_SE
	v_cmpx_eq_u32_e32 32, v12
	s_cbranch_execz .LBB119_67
; %bb.66:
	ds_store_2addr_b32 v13, v10, v9 offset1:8
	ds_store_2addr_b32 v13, v8, v7 offset0:16 offset1:24
	ds_store_2addr_b32 v13, v6, v5 offset0:32 offset1:40
	ds_store_2addr_b32 v13, v4, v3 offset0:48 offset1:56
	ds_store_2addr_b32 v13, v2, v1 offset0:64 offset1:72
.LBB119_67:
	s_wait_alu 0xfffe
	s_or_b32 exec_lo, exec_lo, s1
	s_delay_alu instid0(SALU_CYCLE_1)
	s_mov_b32 s1, exec_lo
	s_wait_loadcnt_dscnt 0x0
	s_barrier_signal -1
	s_barrier_wait -1
	global_inv scope:SCOPE_SE
	v_cmpx_gt_u32_e32 32, v0
	s_cbranch_execz .LBB119_80
; %bb.68:
	s_and_saveexec_b32 s0, vcc_lo
	s_cbranch_execnz .LBB119_92
; %bb.69:
	s_wait_alu 0xfffe
	s_or_b32 exec_lo, exec_lo, s0
	s_and_saveexec_b32 s0, vcc_lo
	s_cbranch_execnz .LBB119_93
.LBB119_70:
	s_wait_alu 0xfffe
	s_or_b32 exec_lo, exec_lo, s0
	s_and_saveexec_b32 s0, vcc_lo
	s_cbranch_execnz .LBB119_94
.LBB119_71:
	s_wait_alu 0xfffe
	s_or_b32 exec_lo, exec_lo, s0
	s_and_saveexec_b32 s0, vcc_lo
	s_cbranch_execnz .LBB119_95
.LBB119_72:
	s_wait_alu 0xfffe
	s_or_b32 exec_lo, exec_lo, s0
	s_and_saveexec_b32 s0, vcc_lo
	s_cbranch_execnz .LBB119_96
.LBB119_73:
	s_wait_alu 0xfffe
	s_or_b32 exec_lo, exec_lo, s0
	s_and_saveexec_b32 s0, vcc_lo
	s_cbranch_execnz .LBB119_97
.LBB119_74:
	s_wait_alu 0xfffe
	s_or_b32 exec_lo, exec_lo, s0
	s_and_saveexec_b32 s0, vcc_lo
	s_cbranch_execnz .LBB119_98
.LBB119_75:
	s_wait_alu 0xfffe
	s_or_b32 exec_lo, exec_lo, s0
	s_and_saveexec_b32 s0, vcc_lo
	s_cbranch_execnz .LBB119_99
.LBB119_76:
	s_wait_alu 0xfffe
	s_or_b32 exec_lo, exec_lo, s0
	s_and_saveexec_b32 s0, vcc_lo
	s_cbranch_execnz .LBB119_100
.LBB119_77:
	s_wait_alu 0xfffe
	s_or_b32 exec_lo, exec_lo, s0
	s_and_saveexec_b32 s0, vcc_lo
	s_cbranch_execz .LBB119_79
.LBB119_78:
	ds_load_b32 v11, v11 offset:288
	s_wait_dscnt 0x0
	v_add_f32_e32 v1, v1, v11
.LBB119_79:
	s_wait_alu 0xfffe
	s_or_b32 exec_lo, exec_lo, s0
.LBB119_80:
	s_wait_alu 0xfffe
	s_or_b32 exec_lo, exec_lo, s1
	s_mov_b32 s1, 0
	s_wait_loadcnt 0x0
	s_barrier_signal -1
	s_barrier_wait -1
	global_inv scope:SCOPE_SE
	s_mov_b32 s0, exec_lo
	v_cmpx_eq_u32_e32 0, v12
	s_cbranch_execz .LBB119_82
; %bb.81:
	s_mul_i32 s2, s20, 0x50
	s_wait_kmcnt 0x0
	s_mul_i32 s4, s8, s12
	s_wait_alu 0xfffe
	s_ashr_i32 s3, s2, 31
	s_ashr_i32 s5, s4, 31
	s_wait_alu 0xfffe
	s_lshl_b64 s[2:3], s[2:3], 1
	s_lshl_b64 s[4:5], s[4:5], 1
	s_wait_alu 0xfffe
	s_add_nc_u64 s[2:3], s[18:19], s[2:3]
	v_lshrrev_b32_e32 v0, 1, v0
	s_mul_i32 s0, s24, 0xa0
	s_wait_alu 0xfffe
	s_add_nc_u64 s[2:3], s[2:3], s[4:5]
	;;#ASMSTART
	v_cvt_f16_f32 v10, v10;

	;;#ASMEND
	s_wait_alu 0xfffe
	s_add_nc_u64 s[0:1], s[2:3], s[0:1]
	global_store_b16 v0, v10, s[0:1]
	;;#ASMSTART
	v_cvt_f16_f32 v9, v9;

	;;#ASMEND
	global_store_b16 v0, v9, s[0:1] offset:16
	;;#ASMSTART
	v_cvt_f16_f32 v8, v8;

	;;#ASMEND
	global_store_b16 v0, v8, s[0:1] offset:32
	;; [unrolled: 5-line block ×9, first 2 shown]
.LBB119_82:
	s_nop 0
	s_sendmsg sendmsg(MSG_DEALLOC_VGPRS)
	s_endpgm
.LBB119_83:
	ds_load_b32 v12, v11
	s_wait_dscnt 0x0
	v_add_f32_e32 v10, v10, v12
	s_wait_alu 0xfffe
	s_or_b32 exec_lo, exec_lo, s0
	s_and_saveexec_b32 s0, vcc_lo
	s_cbranch_execz .LBB119_55
.LBB119_84:
	ds_load_b32 v12, v11 offset:32
	s_wait_dscnt 0x0
	v_add_f32_e32 v9, v9, v12
	s_wait_alu 0xfffe
	s_or_b32 exec_lo, exec_lo, s0
	s_and_saveexec_b32 s0, vcc_lo
	s_cbranch_execz .LBB119_56
.LBB119_85:
	ds_load_b32 v12, v11 offset:64
	s_wait_dscnt 0x0
	v_add_f32_e32 v8, v8, v12
	s_wait_alu 0xfffe
	s_or_b32 exec_lo, exec_lo, s0
	s_and_saveexec_b32 s0, vcc_lo
	s_cbranch_execz .LBB119_57
.LBB119_86:
	ds_load_b32 v12, v11 offset:96
	s_wait_dscnt 0x0
	v_add_f32_e32 v7, v7, v12
	s_wait_alu 0xfffe
	s_or_b32 exec_lo, exec_lo, s0
	s_and_saveexec_b32 s0, vcc_lo
	s_cbranch_execz .LBB119_58
.LBB119_87:
	ds_load_b32 v12, v11 offset:128
	s_wait_dscnt 0x0
	v_add_f32_e32 v6, v6, v12
	s_wait_alu 0xfffe
	s_or_b32 exec_lo, exec_lo, s0
	s_and_saveexec_b32 s0, vcc_lo
	s_cbranch_execz .LBB119_59
.LBB119_88:
	ds_load_b32 v12, v11 offset:160
	s_wait_dscnt 0x0
	v_add_f32_e32 v5, v5, v12
	s_wait_alu 0xfffe
	s_or_b32 exec_lo, exec_lo, s0
	s_and_saveexec_b32 s0, vcc_lo
	s_cbranch_execz .LBB119_60
.LBB119_89:
	ds_load_b32 v12, v11 offset:192
	s_wait_dscnt 0x0
	v_add_f32_e32 v4, v4, v12
	s_wait_alu 0xfffe
	s_or_b32 exec_lo, exec_lo, s0
	s_and_saveexec_b32 s0, vcc_lo
	s_cbranch_execz .LBB119_61
.LBB119_90:
	ds_load_b32 v12, v11 offset:224
	s_wait_dscnt 0x0
	v_add_f32_e32 v3, v3, v12
	s_wait_alu 0xfffe
	s_or_b32 exec_lo, exec_lo, s0
	s_and_saveexec_b32 s0, vcc_lo
	s_cbranch_execz .LBB119_62
.LBB119_91:
	ds_load_b32 v12, v11 offset:256
	s_wait_dscnt 0x0
	v_add_f32_e32 v2, v2, v12
	s_wait_alu 0xfffe
	s_or_b32 exec_lo, exec_lo, s0
	s_and_saveexec_b32 s0, vcc_lo
	s_cbranch_execnz .LBB119_63
	s_branch .LBB119_64
.LBB119_92:
	ds_load_b32 v13, v11
	s_wait_dscnt 0x0
	v_add_f32_e32 v10, v10, v13
	s_wait_alu 0xfffe
	s_or_b32 exec_lo, exec_lo, s0
	s_and_saveexec_b32 s0, vcc_lo
	s_cbranch_execz .LBB119_70
.LBB119_93:
	ds_load_b32 v13, v11 offset:32
	s_wait_dscnt 0x0
	v_add_f32_e32 v9, v9, v13
	s_wait_alu 0xfffe
	s_or_b32 exec_lo, exec_lo, s0
	s_and_saveexec_b32 s0, vcc_lo
	s_cbranch_execz .LBB119_71
.LBB119_94:
	ds_load_b32 v13, v11 offset:64
	s_wait_dscnt 0x0
	v_add_f32_e32 v8, v8, v13
	s_wait_alu 0xfffe
	s_or_b32 exec_lo, exec_lo, s0
	s_and_saveexec_b32 s0, vcc_lo
	s_cbranch_execz .LBB119_72
.LBB119_95:
	ds_load_b32 v13, v11 offset:96
	s_wait_dscnt 0x0
	v_add_f32_e32 v7, v7, v13
	s_wait_alu 0xfffe
	s_or_b32 exec_lo, exec_lo, s0
	s_and_saveexec_b32 s0, vcc_lo
	s_cbranch_execz .LBB119_73
.LBB119_96:
	ds_load_b32 v13, v11 offset:128
	s_wait_dscnt 0x0
	v_add_f32_e32 v6, v6, v13
	s_wait_alu 0xfffe
	s_or_b32 exec_lo, exec_lo, s0
	s_and_saveexec_b32 s0, vcc_lo
	s_cbranch_execz .LBB119_74
.LBB119_97:
	ds_load_b32 v13, v11 offset:160
	s_wait_dscnt 0x0
	v_add_f32_e32 v5, v5, v13
	s_wait_alu 0xfffe
	s_or_b32 exec_lo, exec_lo, s0
	s_and_saveexec_b32 s0, vcc_lo
	s_cbranch_execz .LBB119_75
.LBB119_98:
	ds_load_b32 v13, v11 offset:192
	s_wait_dscnt 0x0
	v_add_f32_e32 v4, v4, v13
	s_wait_alu 0xfffe
	s_or_b32 exec_lo, exec_lo, s0
	s_and_saveexec_b32 s0, vcc_lo
	s_cbranch_execz .LBB119_76
.LBB119_99:
	ds_load_b32 v13, v11 offset:224
	s_wait_dscnt 0x0
	v_add_f32_e32 v3, v3, v13
	s_wait_alu 0xfffe
	s_or_b32 exec_lo, exec_lo, s0
	s_and_saveexec_b32 s0, vcc_lo
	s_cbranch_execz .LBB119_77
.LBB119_100:
	ds_load_b32 v13, v11 offset:256
	s_wait_dscnt 0x0
	v_add_f32_e32 v2, v2, v13
	s_wait_alu 0xfffe
	s_or_b32 exec_lo, exec_lo, s0
	s_and_saveexec_b32 s0, vcc_lo
	s_cbranch_execnz .LBB119_78
	s_branch .LBB119_79
	.section	.rodata,"a",@progbits
	.p2align	6, 0x0
	.amdhsa_kernel _ZN4vllm25paged_attention_v2_kernelIttLi80ELi32ELi128ELNS_18Fp8KVCacheDataTypeE0ELb0ELi512EEEvPfS2_PT_PKS3_PKT0_S9_ifPKiSB_iPKfiiiSD_SD_iiiii
		.amdhsa_group_segment_fixed_size 192
		.amdhsa_private_segment_fixed_size 0
		.amdhsa_kernarg_size 400
		.amdhsa_user_sgpr_count 2
		.amdhsa_user_sgpr_dispatch_ptr 0
		.amdhsa_user_sgpr_queue_ptr 0
		.amdhsa_user_sgpr_kernarg_segment_ptr 1
		.amdhsa_user_sgpr_dispatch_id 0
		.amdhsa_user_sgpr_private_segment_size 0
		.amdhsa_wavefront_size32 1
		.amdhsa_uses_dynamic_stack 0
		.amdhsa_enable_private_segment 0
		.amdhsa_system_sgpr_workgroup_id_x 1
		.amdhsa_system_sgpr_workgroup_id_y 1
		.amdhsa_system_sgpr_workgroup_id_z 1
		.amdhsa_system_sgpr_workgroup_info 0
		.amdhsa_system_vgpr_workitem_id 0
		.amdhsa_next_free_vgpr 136
		.amdhsa_next_free_sgpr 36
		.amdhsa_reserve_vcc 1
		.amdhsa_float_round_mode_32 0
		.amdhsa_float_round_mode_16_64 0
		.amdhsa_float_denorm_mode_32 3
		.amdhsa_float_denorm_mode_16_64 3
		.amdhsa_fp16_overflow 0
		.amdhsa_workgroup_processor_mode 1
		.amdhsa_memory_ordered 1
		.amdhsa_forward_progress 1
		.amdhsa_inst_pref_size 73
		.amdhsa_round_robin_scheduling 0
		.amdhsa_exception_fp_ieee_invalid_op 0
		.amdhsa_exception_fp_denorm_src 0
		.amdhsa_exception_fp_ieee_div_zero 0
		.amdhsa_exception_fp_ieee_overflow 0
		.amdhsa_exception_fp_ieee_underflow 0
		.amdhsa_exception_fp_ieee_inexact 0
		.amdhsa_exception_int_div_zero 0
	.end_amdhsa_kernel
	.section	.text._ZN4vllm25paged_attention_v2_kernelIttLi80ELi32ELi128ELNS_18Fp8KVCacheDataTypeE0ELb0ELi512EEEvPfS2_PT_PKS3_PKT0_S9_ifPKiSB_iPKfiiiSD_SD_iiiii,"axG",@progbits,_ZN4vllm25paged_attention_v2_kernelIttLi80ELi32ELi128ELNS_18Fp8KVCacheDataTypeE0ELb0ELi512EEEvPfS2_PT_PKS3_PKT0_S9_ifPKiSB_iPKfiiiSD_SD_iiiii,comdat
.Lfunc_end119:
	.size	_ZN4vllm25paged_attention_v2_kernelIttLi80ELi32ELi128ELNS_18Fp8KVCacheDataTypeE0ELb0ELi512EEEvPfS2_PT_PKS3_PKT0_S9_ifPKiSB_iPKfiiiSD_SD_iiiii, .Lfunc_end119-_ZN4vllm25paged_attention_v2_kernelIttLi80ELi32ELi128ELNS_18Fp8KVCacheDataTypeE0ELb0ELi512EEEvPfS2_PT_PKS3_PKT0_S9_ifPKiSB_iPKfiiiSD_SD_iiiii
                                        ; -- End function
	.set _ZN4vllm25paged_attention_v2_kernelIttLi80ELi32ELi128ELNS_18Fp8KVCacheDataTypeE0ELb0ELi512EEEvPfS2_PT_PKS3_PKT0_S9_ifPKiSB_iPKfiiiSD_SD_iiiii.num_vgpr, 136
	.set _ZN4vllm25paged_attention_v2_kernelIttLi80ELi32ELi128ELNS_18Fp8KVCacheDataTypeE0ELb0ELi512EEEvPfS2_PT_PKS3_PKT0_S9_ifPKiSB_iPKfiiiSD_SD_iiiii.num_agpr, 0
	.set _ZN4vllm25paged_attention_v2_kernelIttLi80ELi32ELi128ELNS_18Fp8KVCacheDataTypeE0ELb0ELi512EEEvPfS2_PT_PKS3_PKT0_S9_ifPKiSB_iPKfiiiSD_SD_iiiii.numbered_sgpr, 36
	.set _ZN4vllm25paged_attention_v2_kernelIttLi80ELi32ELi128ELNS_18Fp8KVCacheDataTypeE0ELb0ELi512EEEvPfS2_PT_PKS3_PKT0_S9_ifPKiSB_iPKfiiiSD_SD_iiiii.num_named_barrier, 0
	.set _ZN4vllm25paged_attention_v2_kernelIttLi80ELi32ELi128ELNS_18Fp8KVCacheDataTypeE0ELb0ELi512EEEvPfS2_PT_PKS3_PKT0_S9_ifPKiSB_iPKfiiiSD_SD_iiiii.private_seg_size, 0
	.set _ZN4vllm25paged_attention_v2_kernelIttLi80ELi32ELi128ELNS_18Fp8KVCacheDataTypeE0ELb0ELi512EEEvPfS2_PT_PKS3_PKT0_S9_ifPKiSB_iPKfiiiSD_SD_iiiii.uses_vcc, 1
	.set _ZN4vllm25paged_attention_v2_kernelIttLi80ELi32ELi128ELNS_18Fp8KVCacheDataTypeE0ELb0ELi512EEEvPfS2_PT_PKS3_PKT0_S9_ifPKiSB_iPKfiiiSD_SD_iiiii.uses_flat_scratch, 0
	.set _ZN4vllm25paged_attention_v2_kernelIttLi80ELi32ELi128ELNS_18Fp8KVCacheDataTypeE0ELb0ELi512EEEvPfS2_PT_PKS3_PKT0_S9_ifPKiSB_iPKfiiiSD_SD_iiiii.has_dyn_sized_stack, 0
	.set _ZN4vllm25paged_attention_v2_kernelIttLi80ELi32ELi128ELNS_18Fp8KVCacheDataTypeE0ELb0ELi512EEEvPfS2_PT_PKS3_PKT0_S9_ifPKiSB_iPKfiiiSD_SD_iiiii.has_recursion, 0
	.set _ZN4vllm25paged_attention_v2_kernelIttLi80ELi32ELi128ELNS_18Fp8KVCacheDataTypeE0ELb0ELi512EEEvPfS2_PT_PKS3_PKT0_S9_ifPKiSB_iPKfiiiSD_SD_iiiii.has_indirect_call, 0
	.section	.AMDGPU.csdata,"",@progbits
; Kernel info:
; codeLenInByte = 9304
; TotalNumSgprs: 38
; NumVgprs: 136
; ScratchSize: 0
; MemoryBound: 0
; FloatMode: 240
; IeeeMode: 1
; LDSByteSize: 192 bytes/workgroup (compile time only)
; SGPRBlocks: 0
; VGPRBlocks: 16
; NumSGPRsForWavesPerEU: 38
; NumVGPRsForWavesPerEU: 136
; Occupancy: 10
; WaveLimiterHint : 1
; COMPUTE_PGM_RSRC2:SCRATCH_EN: 0
; COMPUTE_PGM_RSRC2:USER_SGPR: 2
; COMPUTE_PGM_RSRC2:TRAP_HANDLER: 0
; COMPUTE_PGM_RSRC2:TGID_X_EN: 1
; COMPUTE_PGM_RSRC2:TGID_Y_EN: 1
; COMPUTE_PGM_RSRC2:TGID_Z_EN: 1
; COMPUTE_PGM_RSRC2:TIDIG_COMP_CNT: 0
	.section	.text._ZN4vllm25paged_attention_v2_kernelIttLi96ELi32ELi128ELNS_18Fp8KVCacheDataTypeE0ELb0ELi512EEEvPfS2_PT_PKS3_PKT0_S9_ifPKiSB_iPKfiiiSD_SD_iiiii,"axG",@progbits,_ZN4vllm25paged_attention_v2_kernelIttLi96ELi32ELi128ELNS_18Fp8KVCacheDataTypeE0ELb0ELi512EEEvPfS2_PT_PKS3_PKT0_S9_ifPKiSB_iPKfiiiSD_SD_iiiii,comdat
	.protected	_ZN4vllm25paged_attention_v2_kernelIttLi96ELi32ELi128ELNS_18Fp8KVCacheDataTypeE0ELb0ELi512EEEvPfS2_PT_PKS3_PKT0_S9_ifPKiSB_iPKfiiiSD_SD_iiiii ; -- Begin function _ZN4vllm25paged_attention_v2_kernelIttLi96ELi32ELi128ELNS_18Fp8KVCacheDataTypeE0ELb0ELi512EEEvPfS2_PT_PKS3_PKT0_S9_ifPKiSB_iPKfiiiSD_SD_iiiii
	.globl	_ZN4vllm25paged_attention_v2_kernelIttLi96ELi32ELi128ELNS_18Fp8KVCacheDataTypeE0ELb0ELi512EEEvPfS2_PT_PKS3_PKT0_S9_ifPKiSB_iPKfiiiSD_SD_iiiii
	.p2align	8
	.type	_ZN4vllm25paged_attention_v2_kernelIttLi96ELi32ELi128ELNS_18Fp8KVCacheDataTypeE0ELb0ELi512EEEvPfS2_PT_PKS3_PKT0_S9_ifPKiSB_iPKfiiiSD_SD_iiiii,@function
_ZN4vllm25paged_attention_v2_kernelIttLi96ELi32ELi128ELNS_18Fp8KVCacheDataTypeE0ELb0ELi512EEEvPfS2_PT_PKS3_PKT0_S9_ifPKiSB_iPKfiiiSD_SD_iiiii: ; @_ZN4vllm25paged_attention_v2_kernelIttLi96ELi32ELi128ELNS_18Fp8KVCacheDataTypeE0ELb0ELi512EEEvPfS2_PT_PKS3_PKT0_S9_ifPKiSB_iPKfiiiSD_SD_iiiii
; %bb.0:
	s_load_b64 s[2:3], s[0:1], 0x40
	s_and_b32 s20, ttmp7, 0xffff
	s_lshr_b32 s24, ttmp7, 16
	s_lshl_b32 s4, s20, 2
	s_lshl_b32 s26, s24, 9
	s_wait_kmcnt 0x0
	s_load_b32 s25, s[2:3], s4 offset:0x0
	s_wait_kmcnt 0x0
	s_cmp_ge_i32 s26, s25
	s_cbranch_scc1 .LBB120_90
; %bb.1:
	s_clause 0x1
	s_load_b32 s21, s[0:1], 0x90
	s_load_b64 s[4:5], s[0:1], 0x30
	s_wait_kmcnt 0x0
	s_abs_i32 s7, s21
	s_abs_i32 s2, s4
	s_xor_b32 s4, s21, s4
	s_cvt_f32_u32 s3, s2
	s_sub_co_i32 s6, 0, s2
	s_ashr_i32 s4, s4, 31
	s_delay_alu instid0(SALU_CYCLE_1) | instskip(NEXT) | instid1(TRANS32_DEP_1)
	v_rcp_iflag_f32_e32 v1, s3
	v_readfirstlane_b32 s3, v1
	s_mul_f32 s3, s3, 0x4f7ffffe
	s_wait_alu 0xfffe
	s_delay_alu instid0(SALU_CYCLE_2) | instskip(SKIP_1) | instid1(SALU_CYCLE_2)
	s_cvt_u32_f32 s3, s3
	s_wait_alu 0xfffe
	s_mul_i32 s6, s6, s3
	s_delay_alu instid0(SALU_CYCLE_1) | instskip(NEXT) | instid1(SALU_CYCLE_1)
	s_mul_hi_u32 s6, s3, s6
	s_add_co_i32 s3, s3, s6
	s_wait_alu 0xfffe
	s_mul_hi_u32 s3, s7, s3
	s_wait_alu 0xfffe
	s_mul_i32 s6, s3, s2
	s_delay_alu instid0(SALU_CYCLE_1)
	s_sub_co_i32 s6, s7, s6
	s_add_co_i32 s7, s3, 1
	s_sub_co_i32 s8, s6, s2
	s_cmp_ge_u32 s6, s2
	s_cselect_b32 s3, s7, s3
	s_cselect_b32 s6, s8, s6
	s_wait_alu 0xfffe
	s_add_co_i32 s7, s3, 1
	s_cmp_ge_u32 s6, s2
	s_load_b64 s[8:9], s[0:1], 0x50
	s_cselect_b32 s2, s7, s3
	s_mov_b32 s3, 0
	s_wait_alu 0xfffe
	s_xor_b32 s2, s2, s4
	s_mov_b32 s18, s3
	s_wait_alu 0xfffe
	s_sub_co_i32 s11, s2, s4
	s_delay_alu instid0(SALU_CYCLE_1) | instskip(NEXT) | instid1(SALU_CYCLE_1)
	s_abs_i32 s4, s11
	s_cvt_f32_u32 s2, s4
	s_wait_alu 0xfffe
	s_delay_alu instid0(SALU_CYCLE_2) | instskip(NEXT) | instid1(TRANS32_DEP_1)
	v_rcp_iflag_f32_e32 v1, s2
	v_readfirstlane_b32 s2, v1
	s_mul_f32 s2, s2, 0x4f7ffffe
	s_wait_alu 0xfffe
	s_delay_alu instid0(SALU_CYCLE_2) | instskip(SKIP_2) | instid1(SALU_CYCLE_1)
	s_cvt_u32_f32 s6, s2
	s_sub_co_i32 s2, 0, s4
	s_wait_alu 0xfffe
	s_mul_i32 s2, s2, s6
	s_wait_alu 0xfffe
	s_mul_hi_u32 s7, s6, s2
	s_abs_i32 s2, ttmp9
	s_add_co_i32 s6, s6, s7
	s_mov_b32 s7, s3
	s_wait_kmcnt 0x0
	s_cmp_eq_u64 s[8:9], 0
	s_cbranch_scc1 .LBB120_3
; %bb.2:
	s_mov_b32 s12, ttmp9
	s_ashr_i32 s13, ttmp9, 31
	s_delay_alu instid0(SALU_CYCLE_1) | instskip(NEXT) | instid1(SALU_CYCLE_1)
	s_lshl_b64 s[12:13], s[12:13], 2
	s_add_nc_u64 s[8:9], s[8:9], s[12:13]
	s_load_b32 s18, s[8:9], 0x0
.LBB120_3:
	s_load_b96 s[8:10], s[0:1], 0x58
	v_lshlrev_b32_e32 v7, 4, v0
	s_mul_u64 s[6:7], s[2:3], s[6:7]
	s_ashr_i32 s3, ttmp9, 31
	s_ashr_i32 s6, s11, 31
	s_mul_i32 s12, ttmp9, 0x60
	s_mov_b32 s11, exec_lo
	v_cmpx_gt_u32_e32 12, v0
	s_cbranch_execz .LBB120_5
; %bb.4:
	s_load_b64 s[14:15], s[0:1], 0x18
	s_wait_kmcnt 0x0
	s_mul_i32 s16, s8, s20
	s_ashr_i32 s13, s12, 31
	s_ashr_i32 s17, s16, 31
	s_delay_alu instid0(SALU_CYCLE_1) | instskip(NEXT) | instid1(SALU_CYCLE_1)
	s_lshl_b64 s[16:17], s[16:17], 1
	s_add_nc_u64 s[14:15], s[14:15], s[16:17]
	s_lshl_b64 s[16:17], s[12:13], 1
	s_delay_alu instid0(SALU_CYCLE_1)
	s_add_nc_u64 s[14:15], s[14:15], s[16:17]
	global_load_b128 v[1:4], v7, s[14:15]
	s_wait_loadcnt 0x0
	ds_store_b128 v7, v[1:4]
.LBB120_5:
	s_or_b32 exec_lo, exec_lo, s11
	s_wait_kmcnt 0x0
	s_add_co_i32 s8, s25, 31
	s_lshl_b32 s28, s24, 4
	s_ashr_i32 s11, s8, 31
	s_wait_alu 0xfffe
	s_xor_b32 s3, s3, s6
	s_lshr_b32 s11, s11, 27
	s_add_co_i32 s6, s7, 1
	s_add_co_i32 s8, s8, s11
	;; [unrolled: 1-line block ×3, first 2 shown]
	s_ashr_i32 s27, s8, 5
	s_clause 0x2
	s_load_b64 s[14:15], s[0:1], 0x38
	s_load_b32 s8, s[0:1], 0x98
	s_load_b32 s16, s[0:1], 0x48
	s_min_i32 s13, s11, s27
	s_mul_i32 s11, s7, s4
	v_lshrrev_b32_e32 v9, 5, v0
	s_sub_co_i32 s2, s2, s11
	v_dual_mov_b32 v13, 0xff7fffff :: v_dual_and_b32 v10, 31, v0
	s_wait_alu 0xfffe
	s_sub_co_i32 s11, s2, s4
	s_cmp_ge_u32 s2, s4
	v_add_nc_u32_e32 v11, s28, v9
	s_cselect_b32 s6, s6, s7
	s_cselect_b32 s2, s11, s2
	s_add_co_i32 s7, s6, 1
	s_wait_alu 0xfffe
	s_cmp_ge_u32 s2, s4
	v_lshlrev_b32_e32 v12, 2, v10
	s_cselect_b32 s2, s7, s6
	v_lshlrev_b32_e32 v8, 2, v11
	s_wait_alu 0xfffe
	s_xor_b32 s2, s2, s3
	s_wait_dscnt 0x0
	s_wait_alu 0xfffe
	s_sub_co_i32 s3, s2, s3
	v_cmp_gt_i32_e64 s2, s13, v11
	s_wait_kmcnt 0x0
	s_mul_i32 s16, s16, s20
	s_wait_alu 0xfffe
	s_mul_i32 s10, s3, s10
	s_ashr_i32 s17, s16, 31
	s_barrier_signal -1
	s_barrier_wait -1
	global_inv scope:SCOPE_SE
	s_and_saveexec_b32 s6, s2
	s_cbranch_execz .LBB120_9
; %bb.6:
	s_load_b64 s[22:23], s[0:1], 0x20
	s_ashr_i32 s11, s10, 31
	v_dual_mov_b32 v14, 0 :: v_dual_lshlrev_b32 v1, 4, v10
	s_lshl_b64 s[30:31], s[10:11], 1
	s_cmp_neq_f32 s18, 0
	v_dual_mov_b32 v13, 0xff7fffff :: v_dual_lshlrev_b32 v2, 5, v9
	v_lshl_or_b32 v3, v9, 7, v12
	s_cselect_b32 vcc_lo, -1, 0
	s_lshl_b64 s[34:35], s[16:17], 2
	s_delay_alu instid0(VALU_DEP_2)
	v_add3_u32 v15, s26, v2, v10
	s_add_nc_u64 s[34:35], s[14:15], s[34:35]
	v_dual_mov_b32 v19, v11 :: v_dual_add_nc_u32 v16, 0xe0, v3
	v_add_co_u32 v5, s3, s34, v8
	s_wait_alu 0xf1ff
	v_add_co_ci_u32_e64 v6, null, s35, 0, s3
	s_mov_b32 s11, s9
	s_wait_kmcnt 0x0
	s_add_nc_u64 s[22:23], s[22:23], s[30:31]
	s_mov_b32 s7, 0
	v_add_co_u32 v17, s3, s22, v1
	s_wait_alu 0xf1ff
	v_add_co_ci_u32_e64 v18, null, s23, 0, s3
	s_sub_co_i32 s19, 1, s25
.LBB120_7:                              ; =>This Inner Loop Header: Depth=1
	global_load_b32 v20, v[5:6], off
	ds_load_b128 v[1:4], v14
	v_dual_max_num_f32 v21, v13, v13 :: v_dual_add_nc_u32 v22, s19, v15
	v_add_nc_u32_e32 v19, 4, v19
	s_delay_alu instid0(VALU_DEP_2) | instskip(NEXT) | instid1(VALU_DEP_2)
	v_cvt_f32_i32_e32 v22, v22
	v_cmp_le_i32_e64 s4, s13, v19
	s_or_b32 s7, s4, s7
	s_wait_dscnt 0x0
	v_lshrrev_b32_e32 v67, 16, v1
	v_and_b32_e32 v68, 0xffff, v1
	v_lshrrev_b32_e32 v69, 16, v2
	v_and_b32_e32 v70, 0xffff, v2
	;; [unrolled: 2-line block ×4, first 2 shown]
	s_wait_loadcnt 0x0
	v_mad_co_i64_i32 v[1:2], null, v20, s11, 0
	s_delay_alu instid0(VALU_DEP_1) | instskip(NEXT) | instid1(VALU_DEP_1)
	v_lshlrev_b64_e32 v[1:2], 1, v[1:2]
	v_add_co_u32 v63, s3, v17, v1
	s_wait_alu 0xf1ff
	s_delay_alu instid0(VALU_DEP_2)
	v_add_co_ci_u32_e64 v64, null, v18, v2, s3
	v_add_co_u32 v5, s3, v5, 16
	s_wait_alu 0xf1ff
	v_add_co_ci_u32_e64 v6, null, 0, v6, s3
	s_clause 0xb
	global_load_b128 v[1:4], v[63:64], off
	global_load_b128 v[23:26], v[63:64], off offset:512
	global_load_b128 v[27:30], v[63:64], off offset:1024
	;; [unrolled: 1-line block ×11, first 2 shown]
	v_mul_f32_e32 v22, s18, v22
	;;#ASMSTART
	v_cvt_f32_f16 v20, v68;
	;;#ASMEND
	;;#ASMSTART
	v_cvt_f32_f16 v67, v67;
	;;#ASMEND
	v_cmp_gt_i32_e64 s3, s25, v15
	v_add_nc_u32_e32 v15, 0x80, v15
	s_wait_loadcnt 0xb
	v_lshrrev_b32_e32 v68, 16, v1
	v_and_b32_e32 v75, 0xffff, v1
	v_lshrrev_b32_e32 v76, 16, v2
	v_lshrrev_b32_e32 v78, 16, v3
	v_and_b32_e32 v79, 0xffff, v3
	v_lshrrev_b32_e32 v80, 16, v4
	v_and_b32_e32 v81, 0xffff, v4
	s_wait_loadcnt 0xa
	v_lshrrev_b32_e32 v82, 16, v23
	v_and_b32_e32 v83, 0xffff, v23
	v_lshrrev_b32_e32 v84, 16, v24
	v_and_b32_e32 v85, 0xffff, v24
	v_lshrrev_b32_e32 v86, 16, v25
	v_lshrrev_b32_e32 v88, 16, v26
	v_and_b32_e32 v89, 0xffff, v26
	s_wait_loadcnt 0x9
	v_lshrrev_b32_e32 v90, 16, v27
	v_and_b32_e32 v91, 0xffff, v27
	v_lshrrev_b32_e32 v92, 16, v28
	v_and_b32_e32 v93, 0xffff, v28
	v_lshrrev_b32_e32 v94, 16, v29
	v_and_b32_e32 v95, 0xffff, v29
	v_lshrrev_b32_e32 v96, 16, v30
	v_and_b32_e32 v97, 0xffff, v30
	s_wait_loadcnt 0x8
	v_lshrrev_b32_e32 v98, 16, v31
	v_and_b32_e32 v99, 0xffff, v31
	v_lshrrev_b32_e32 v100, 16, v32
	v_and_b32_e32 v101, 0xffff, v32
	v_lshrrev_b32_e32 v102, 16, v33
	v_and_b32_e32 v103, 0xffff, v33
	;; [unrolled: 9-line block ×3, first 2 shown]
	v_lshrrev_b32_e32 v112, 16, v38
	v_and_b32_e32 v113, 0xffff, v38
	;;#ASMSTART
	v_cvt_f32_f16 v3, v75;
	;;#ASMEND
	;;#ASMSTART
	v_cvt_f32_f16 v4, v68;
	;;#ASMEND
	v_and_b32_e32 v77, 0xffff, v2
	;;#ASMSTART
	v_cvt_f32_f16 v27, v70;
	;;#ASMEND
	;;#ASMSTART
	v_cvt_f32_f16 v28, v69;
	;;#ASMEND
	;; [unrolled: 3-line block ×4, first 2 shown]
	v_and_b32_e32 v87, 0xffff, v25
	;;#ASMSTART
	v_cvt_f32_f16 v31, v72;
	;;#ASMEND
	;;#ASMSTART
	v_cvt_f32_f16 v32, v71;
	;;#ASMEND
	;; [unrolled: 3-line block ×8, first 2 shown]
	ds_load_b128 v[23:26], v14 offset:16
	s_wait_loadcnt 0x6
	v_lshrrev_b32_e32 v116, 16, v40
	v_and_b32_e32 v117, 0xffff, v40
	v_lshrrev_b32_e32 v114, 16, v39
	v_and_b32_e32 v115, 0xffff, v39
	;; [unrolled: 2-line block ×4, first 2 shown]
	s_wait_loadcnt 0x5
	v_lshrrev_b32_e32 v124, 16, v44
	v_and_b32_e32 v125, 0xffff, v44
	v_lshrrev_b32_e32 v122, 16, v43
	v_and_b32_e32 v123, 0xffff, v43
	;; [unrolled: 2-line block ×4, first 2 shown]
	s_wait_loadcnt 0x4
	v_lshrrev_b32_e32 v132, 16, v48
	v_and_b32_e32 v133, 0xffff, v48
	s_wait_loadcnt 0x3
	v_lshrrev_b32_e32 v140, 16, v52
	s_wait_dscnt 0x0
	v_lshrrev_b32_e32 v40, 16, v23
	v_and_b32_e32 v23, 0xffff, v23
	v_lshrrev_b32_e32 v44, 16, v24
	;;#ASMSTART
	v_cvt_f32_f16 v39, v23;
	;;#ASMEND
	;;#ASMSTART
	v_cvt_f32_f16 v40, v40;
	;;#ASMEND
	;; [unrolled: 3-line block ×4, first 2 shown]
	v_and_b32_e32 v24, 0xffff, v24
	;;#ASMSTART
	v_cvt_f32_f16 v43, v24;
	;;#ASMEND
	;;#ASMSTART
	v_cvt_f32_f16 v44, v44;
	;;#ASMEND
	;; [unrolled: 3-line block ×4, first 2 shown]
	v_mul_f32_e32 v40, v40, v42
	v_dual_mul_f32 v42, v44, v46 :: v_dual_and_b32 v141, 0xffff, v52
	v_lshrrev_b32_e32 v48, 16, v25
	v_and_b32_e32 v25, 0xffff, v25
	v_lshrrev_b32_e32 v52, 16, v26
	v_and_b32_e32 v26, 0xffff, v26
	;; [unrolled: 2-line block ×8, first 2 shown]
	;;#ASMSTART
	v_cvt_f32_f16 v47, v25;
	;;#ASMEND
	;;#ASMSTART
	v_cvt_f32_f16 v48, v48;
	;;#ASMEND
	v_fmac_f32_e32 v42, v28, v30
	;;#ASMSTART
	v_cvt_f32_f16 v49, v87;
	;;#ASMEND
	;;#ASMSTART
	v_cvt_f32_f16 v50, v86;
	;;#ASMEND
	;; [unrolled: 3-line block ×6, first 2 shown]
	ds_load_b128 v[23:26], v14 offset:32
	v_mul_f32_e32 v44, v48, v50
	s_wait_loadcnt 0x2
	v_lshrrev_b32_e32 v147, 16, v56
	v_dual_mul_f32 v39, v39, v41 :: v_dual_and_b32 v56, 0xffff, v56
	v_mul_f32_e32 v41, v43, v45
	v_mul_f32_e32 v43, v47, v49
	v_dual_mul_f32 v45, v51, v53 :: v_dual_mul_f32 v46, v52, v54
	v_fmac_f32_e32 v44, v32, v34
	s_wait_loadcnt 0x1
	v_lshrrev_b32_e32 v151, 16, v60
	v_dual_fmac_f32 v43, v31, v33 :: v_dual_and_b32 v60, 0xffff, v60
	v_lshrrev_b32_e32 v153, 16, v62
	v_dual_fmac_f32 v45, v35, v37 :: v_dual_and_b32 v62, 0xffff, v62
	v_dual_fmac_f32 v39, v20, v3 :: v_dual_fmac_f32 v40, v67, v4
	v_lshrrev_b32_e32 v149, 16, v58
	v_dual_fmac_f32 v41, v27, v29 :: v_dual_and_b32 v58, 0xffff, v58
	s_wait_dscnt 0x0
	v_lshrrev_b32_e32 v4, 16, v23
	v_and_b32_e32 v3, 0xffff, v23
	v_lshrrev_b32_e32 v23, 16, v24
	v_and_b32_e32 v24, 0xffff, v24
	;; [unrolled: 2-line block ×4, first 2 shown]
	v_fmac_f32_e32 v46, v36, v38
	;;#ASMSTART
	v_cvt_f32_f16 v3, v3;
	;;#ASMEND
	;;#ASMSTART
	v_cvt_f32_f16 v4, v4;
	;;#ASMEND
	;; [unrolled: 3-line block ×10, first 2 shown]
	v_fmac_f32_e32 v42, v29, v31
	;;#ASMSTART
	v_cvt_f32_f16 v34, v95;
	;;#ASMEND
	;;#ASMSTART
	v_cvt_f32_f16 v35, v94;
	;;#ASMEND
	;;#ASMSTART
	v_cvt_f32_f16 v36, v26;
	;;#ASMEND
	;;#ASMSTART
	v_cvt_f32_f16 v37, v37;
	;;#ASMEND
	v_fmac_f32_e32 v44, v33, v35
	;;#ASMSTART
	v_cvt_f32_f16 v38, v97;
	;;#ASMEND
	;;#ASMSTART
	v_cvt_f32_f16 v47, v96;
	;;#ASMEND
	ds_load_b128 v[23:26], v14 offset:48
	v_fmac_f32_e32 v40, v4, v27
	s_wait_loadcnt 0x0
	v_lshrrev_b32_e32 v155, 16, v64
	v_dual_fmac_f32 v41, v28, v30 :: v_dual_and_b32 v64, 0xffff, v64
	v_dual_fmac_f32 v39, v3, v20 :: v_dual_and_b32 v2, 0xffff, v66
	v_dual_fmac_f32 v46, v37, v47 :: v_dual_fmac_f32 v43, v32, v34
	v_fmac_f32_e32 v45, v36, v38
	v_lshrrev_b32_e32 v152, 16, v61
	v_lshrrev_b32_e32 v156, 16, v65
	v_lshrrev_b32_e32 v148, 16, v57
	v_lshrrev_b32_e32 v146, 16, v55
	v_and_b32_e32 v55, 0xffff, v55
	v_lshrrev_b32_e32 v150, 16, v59
	v_and_b32_e32 v59, 0xffff, v59
	v_lshrrev_b32_e32 v154, 16, v63
	;; [unrolled: 2-line block ×3, first 2 shown]
	s_wait_dscnt 0x0
	v_lshrrev_b32_e32 v4, 16, v23
	v_and_b32_e32 v3, 0xffff, v23
	v_lshrrev_b32_e32 v23, 16, v24
	v_and_b32_e32 v24, 0xffff, v24
	;; [unrolled: 2-line block ×4, first 2 shown]
	;;#ASMSTART
	v_cvt_f32_f16 v3, v3;
	;;#ASMEND
	;;#ASMSTART
	v_cvt_f32_f16 v4, v4;
	;;#ASMEND
	;; [unrolled: 3-line block ×10, first 2 shown]
	v_fmac_f32_e32 v40, v4, v27
	;;#ASMSTART
	v_cvt_f32_f16 v34, v103;
	;;#ASMEND
	;;#ASMSTART
	v_cvt_f32_f16 v35, v102;
	;;#ASMEND
	;; [unrolled: 3-line block ×4, first 2 shown]
	v_fmac_f32_e32 v42, v29, v31
	;;#ASMSTART
	v_cvt_f32_f16 v38, v105;
	;;#ASMEND
	;;#ASMSTART
	v_cvt_f32_f16 v47, v104;
	;;#ASMEND
	ds_load_b128 v[23:26], v14 offset:64
	v_fmac_f32_e32 v39, v3, v20
	v_dual_fmac_f32 v43, v32, v34 :: v_dual_fmac_f32 v44, v33, v35
	v_dual_fmac_f32 v46, v37, v47 :: v_dual_fmac_f32 v41, v28, v30
	v_fmac_f32_e32 v45, v36, v38
	s_wait_dscnt 0x0
	v_lshrrev_b32_e32 v4, 16, v23
	v_and_b32_e32 v3, 0xffff, v23
	v_lshrrev_b32_e32 v23, 16, v24
	v_and_b32_e32 v24, 0xffff, v24
	;; [unrolled: 2-line block ×4, first 2 shown]
	;;#ASMSTART
	v_cvt_f32_f16 v3, v3;
	;;#ASMEND
	;;#ASMSTART
	v_cvt_f32_f16 v4, v4;
	;;#ASMEND
	;; [unrolled: 3-line block ×14, first 2 shown]
	v_fmac_f32_e32 v40, v4, v27
	;;#ASMSTART
	v_cvt_f32_f16 v38, v113;
	;;#ASMEND
	;;#ASMSTART
	v_cvt_f32_f16 v47, v112;
	;;#ASMEND
	ds_load_b128 v[23:26], v14 offset:80
	v_dual_fmac_f32 v39, v3, v20 :: v_dual_fmac_f32 v44, v33, v35
	v_dual_fmac_f32 v46, v37, v47 :: v_dual_fmac_f32 v41, v28, v30
	;; [unrolled: 1-line block ×3, first 2 shown]
	s_wait_dscnt 0x0
	v_lshrrev_b32_e32 v4, 16, v23
	v_and_b32_e32 v3, 0xffff, v23
	v_lshrrev_b32_e32 v23, 16, v24
	v_and_b32_e32 v24, 0xffff, v24
	;; [unrolled: 2-line block ×4, first 2 shown]
	v_fmac_f32_e32 v45, v36, v38
	;;#ASMSTART
	v_cvt_f32_f16 v3, v3;
	;;#ASMEND
	;;#ASMSTART
	v_cvt_f32_f16 v4, v4;
	;;#ASMEND
	;; [unrolled: 3-line block ×16, first 2 shown]
	ds_load_b128 v[23:26], v14 offset:96
	v_dual_fmac_f32 v39, v3, v20 :: v_dual_fmac_f32 v40, v4, v27
	v_fmac_f32_e32 v44, v33, v35
	v_fmac_f32_e32 v46, v37, v47
	v_dual_fmac_f32 v42, v29, v31 :: v_dual_fmac_f32 v43, v32, v34
	v_fmac_f32_e32 v45, v36, v38
	s_wait_dscnt 0x0
	v_lshrrev_b32_e32 v4, 16, v23
	v_and_b32_e32 v3, 0xffff, v23
	v_lshrrev_b32_e32 v23, 16, v24
	v_and_b32_e32 v24, 0xffff, v24
	;; [unrolled: 2-line block ×4, first 2 shown]
	v_fmac_f32_e32 v41, v28, v30
	;;#ASMSTART
	v_cvt_f32_f16 v3, v3;
	;;#ASMEND
	;;#ASMSTART
	v_cvt_f32_f16 v4, v4;
	;;#ASMEND
	;; [unrolled: 3-line block ×16, first 2 shown]
	ds_load_b128 v[23:26], v14 offset:112
	v_dual_fmac_f32 v39, v3, v20 :: v_dual_fmac_f32 v40, v4, v27
	v_fmac_f32_e32 v44, v33, v35
	v_dual_fmac_f32 v46, v37, v47 :: v_dual_fmac_f32 v41, v28, v30
	v_dual_fmac_f32 v42, v29, v31 :: v_dual_fmac_f32 v43, v32, v34
	v_fmac_f32_e32 v45, v36, v38
	s_wait_dscnt 0x0
	v_lshrrev_b32_e32 v4, 16, v23
	v_and_b32_e32 v3, 0xffff, v23
	v_lshrrev_b32_e32 v23, 16, v24
	v_and_b32_e32 v24, 0xffff, v24
	;; [unrolled: 2-line block ×4, first 2 shown]
	;;#ASMSTART
	v_cvt_f32_f16 v3, v3;
	;;#ASMEND
	;;#ASMSTART
	v_cvt_f32_f16 v4, v4;
	;;#ASMEND
	;; [unrolled: 3-line block ×16, first 2 shown]
	ds_load_b128 v[23:26], v14 offset:128
	v_dual_fmac_f32 v44, v33, v35 :: v_dual_and_b32 v61, 0xffff, v61
	v_dual_fmac_f32 v46, v37, v47 :: v_dual_and_b32 v65, 0xffff, v65
	v_dual_fmac_f32 v39, v3, v20 :: v_dual_fmac_f32 v40, v4, v27
	v_dual_fmac_f32 v42, v29, v31 :: v_dual_and_b32 v57, 0xffff, v57
	v_fmac_f32_e32 v41, v28, v30
	v_fmac_f32_e32 v43, v32, v34
	;; [unrolled: 1-line block ×3, first 2 shown]
	s_wait_dscnt 0x0
	v_lshrrev_b32_e32 v4, 16, v23
	v_and_b32_e32 v3, 0xffff, v23
	v_lshrrev_b32_e32 v23, 16, v24
	v_and_b32_e32 v24, 0xffff, v24
	;; [unrolled: 2-line block ×4, first 2 shown]
	;;#ASMSTART
	v_cvt_f32_f16 v3, v3;
	;;#ASMEND
	;;#ASMSTART
	v_cvt_f32_f16 v4, v4;
	;;#ASMEND
	;; [unrolled: 3-line block ×16, first 2 shown]
	ds_load_b128 v[23:26], v14 offset:144
	v_dual_fmac_f32 v39, v3, v20 :: v_dual_fmac_f32 v40, v4, v27
	v_fmac_f32_e32 v44, v33, v35
	v_dual_fmac_f32 v46, v37, v47 :: v_dual_fmac_f32 v41, v28, v30
	v_dual_fmac_f32 v42, v29, v31 :: v_dual_fmac_f32 v43, v32, v34
	v_fmac_f32_e32 v45, v36, v38
	s_wait_dscnt 0x0
	v_lshrrev_b32_e32 v4, 16, v23
	v_and_b32_e32 v3, 0xffff, v23
	v_lshrrev_b32_e32 v23, 16, v24
	v_and_b32_e32 v24, 0xffff, v24
	;; [unrolled: 2-line block ×4, first 2 shown]
	;;#ASMSTART
	v_cvt_f32_f16 v3, v3;
	;;#ASMEND
	;;#ASMSTART
	v_cvt_f32_f16 v4, v4;
	;;#ASMEND
	;; [unrolled: 3-line block ×16, first 2 shown]
	ds_load_b128 v[23:26], v14 offset:160
	v_fmac_f32_e32 v43, v32, v34
	v_dual_fmac_f32 v39, v3, v20 :: v_dual_fmac_f32 v40, v4, v27
	v_dual_fmac_f32 v44, v33, v35 :: v_dual_fmac_f32 v41, v28, v30
	v_fmac_f32_e32 v42, v29, v31
	v_dual_fmac_f32 v46, v37, v47 :: v_dual_fmac_f32 v45, v36, v38
	s_wait_dscnt 0x0
	v_lshrrev_b32_e32 v4, 16, v23
	v_and_b32_e32 v3, 0xffff, v23
	v_lshrrev_b32_e32 v33, 16, v25
	v_lshrrev_b32_e32 v23, 16, v24
	v_and_b32_e32 v24, 0xffff, v24
	v_and_b32_e32 v25, 0xffff, v25
	v_lshrrev_b32_e32 v37, 16, v26
	;;#ASMSTART
	v_cvt_f32_f16 v3, v3;
	;;#ASMEND
	;;#ASMSTART
	v_cvt_f32_f16 v4, v4;
	;;#ASMEND
	;; [unrolled: 3-line block ×11, first 2 shown]
	v_fmac_f32_e32 v43, v32, v34
	v_and_b32_e32 v26, 0xffff, v26
	;;#ASMSTART
	v_cvt_f32_f16 v35, v152;
	;;#ASMEND
	;;#ASMSTART
	v_cvt_f32_f16 v36, v26;
	;;#ASMEND
	;; [unrolled: 3-line block ×5, first 2 shown]
	ds_load_b128 v[23:26], v14 offset:176
	v_dual_fmac_f32 v39, v3, v20 :: v_dual_fmac_f32 v40, v4, v27
	v_dual_fmac_f32 v41, v28, v30 :: v_dual_fmac_f32 v42, v29, v31
	;; [unrolled: 1-line block ×3, first 2 shown]
	v_fmac_f32_e32 v46, v37, v47
	s_wait_dscnt 0x0
	v_lshrrev_b32_e32 v4, 16, v23
	v_and_b32_e32 v3, 0xffff, v23
	;;#ASMSTART
	v_cvt_f32_f16 v3, v3;
	;;#ASMEND
	;;#ASMSTART
	v_cvt_f32_f16 v4, v4;
	;;#ASMEND
	;; [unrolled: 3-line block ×4, first 2 shown]
	v_dual_fmac_f32 v39, v3, v20 :: v_dual_fmac_f32 v40, v4, v23
	v_lshrrev_b32_e32 v27, 16, v24
	v_and_b32_e32 v24, 0xffff, v24
	v_lshrrev_b32_e32 v29, 16, v25
	v_and_b32_e32 v28, 0xffff, v25
	;; [unrolled: 2-line block ×3, first 2 shown]
	;;#ASMSTART
	v_cvt_f32_f16 v24, v24;
	;;#ASMEND
	;;#ASMSTART
	v_cvt_f32_f16 v25, v27;
	;;#ASMEND
	;; [unrolled: 3-line block ×3, first 2 shown]
	v_dual_fmac_f32 v41, v24, v26 :: v_dual_add_f32 v4, v39, v40
	;;#ASMSTART
	v_cvt_f32_f16 v27, v155;
	;;#ASMEND
	v_fmac_f32_e32 v42, v25, v27
	;;#ASMSTART
	v_cvt_f32_f16 v28, v28;
	;;#ASMEND
	;;#ASMSTART
	v_cvt_f32_f16 v29, v29;
	;;#ASMEND
	v_add_f32_e32 v4, v4, v41
	;;#ASMSTART
	v_cvt_f32_f16 v3, v65;
	;;#ASMEND
	v_fmac_f32_e32 v43, v28, v3
	;;#ASMSTART
	v_cvt_f32_f16 v20, v156;
	;;#ASMEND
	v_fmac_f32_e32 v44, v29, v20
	v_add_f32_e32 v3, v42, v4
	;;#ASMSTART
	v_cvt_f32_f16 v23, v31;
	;;#ASMEND
	;;#ASMSTART
	v_cvt_f32_f16 v4, v30;
	;;#ASMEND
	;; [unrolled: 3-line block ×3, first 2 shown]
	v_fmac_f32_e32 v45, v23, v2
	v_add_f32_e32 v3, v3, v43
	;;#ASMSTART
	v_cvt_f32_f16 v1, v1;
	;;#ASMEND
	v_fmac_f32_e32 v46, v4, v1
	s_delay_alu instid0(VALU_DEP_2) | instskip(NEXT) | instid1(VALU_DEP_1)
	v_add_f32_e32 v2, v44, v3
	v_dual_add_f32 v1, v2, v45 :: v_dual_cndmask_b32 v2, 0, v22
	s_delay_alu instid0(VALU_DEP_1) | instskip(NEXT) | instid1(VALU_DEP_1)
	v_add_f32_e32 v1, v46, v1
	v_fmac_f32_e32 v2, s5, v1
	s_wait_alu 0xf1ff
	s_delay_alu instid0(VALU_DEP_1)
	v_cndmask_b32_e64 v1, 0, v2, s3
	v_max_num_f32_e32 v2, v21, v2
	ds_store_b32 v16, v1
	v_cndmask_b32_e64 v13, v13, v2, s3
	v_add_nc_u32_e32 v16, 0x200, v16
	s_and_not1_b32 exec_lo, exec_lo, s7
	s_cbranch_execnz .LBB120_7
; %bb.8:
	s_or_b32 exec_lo, exec_lo, s7
.LBB120_9:
	s_delay_alu instid0(SALU_CYCLE_1)
	s_or_b32 exec_lo, exec_lo, s6
	v_mbcnt_lo_u32_b32 v1, -1, 0
	s_clause 0x2
	s_load_b128 s[4:7], s[0:1], 0x0
	s_load_b64 s[18:19], s[0:1], 0x10
	s_load_b64 s[22:23], s[0:1], 0x28
	v_max_num_f32_e32 v5, v13, v13
	v_xor_b32_e32 v2, 16, v1
	v_xor_b32_e32 v4, 8, v1
	s_delay_alu instid0(VALU_DEP_2) | instskip(SKIP_2) | instid1(VALU_DEP_3)
	v_cmp_gt_i32_e32 vcc_lo, 32, v2
	s_wait_alu 0xfffd
	v_cndmask_b32_e32 v2, v1, v2, vcc_lo
	v_cmp_gt_i32_e32 vcc_lo, 32, v4
	s_delay_alu instid0(VALU_DEP_2)
	v_lshlrev_b32_e32 v2, 2, v2
	s_wait_alu 0xfffd
	v_cndmask_b32_e32 v4, v1, v4, vcc_lo
	ds_bpermute_b32 v3, v2, v13
	s_wait_dscnt 0x0
	v_dual_max_num_f32 v6, v3, v3 :: v_dual_lshlrev_b32 v3, 2, v4
	s_delay_alu instid0(VALU_DEP_1)
	v_max_num_f32_e32 v4, v5, v6
	v_xor_b32_e32 v6, 4, v1
	ds_bpermute_b32 v5, v3, v4
	v_cmp_gt_i32_e32 vcc_lo, 32, v6
	s_wait_alu 0xfffd
	v_cndmask_b32_e32 v6, v1, v6, vcc_lo
	s_wait_dscnt 0x0
	v_max_num_f32_e32 v13, v5, v5
	s_delay_alu instid0(VALU_DEP_1)
	v_dual_max_num_f32 v4, v4, v13 :: v_dual_lshlrev_b32 v5, 2, v6
	v_xor_b32_e32 v13, 2, v1
	ds_bpermute_b32 v6, v5, v4
	v_cmp_gt_i32_e32 vcc_lo, 32, v13
	s_wait_dscnt 0x0
	s_wait_alu 0xfffd
	v_dual_cndmask_b32 v13, v1, v13 :: v_dual_max_num_f32 v6, v6, v6
	s_delay_alu instid0(VALU_DEP_1) | instskip(NEXT) | instid1(VALU_DEP_2)
	v_max_num_f32_e32 v4, v4, v6
	v_lshlrev_b32_e32 v14, 2, v13
	v_xor_b32_e32 v13, 1, v1
	s_delay_alu instid0(VALU_DEP_1)
	v_cmp_gt_i32_e32 vcc_lo, 32, v13
	s_wait_alu 0xfffd
	v_cndmask_b32_e32 v13, v1, v13, vcc_lo
	ds_bpermute_b32 v6, v14, v4
	v_cmp_eq_u32_e32 vcc_lo, 0, v10
	s_wait_dscnt 0x0
	v_dual_max_num_f32 v6, v6, v6 :: v_dual_lshlrev_b32 v13, 2, v13
	s_delay_alu instid0(VALU_DEP_1)
	v_dual_max_num_f32 v1, v4, v6 :: v_dual_lshlrev_b32 v6, 2, v9
	ds_bpermute_b32 v4, v13, v1
	s_and_saveexec_b32 s0, vcc_lo
	s_cbranch_execz .LBB120_11
; %bb.10:
	s_wait_dscnt 0x0
	v_dual_max_num_f32 v4, v4, v4 :: v_dual_max_num_f32 v1, v1, v1
	s_delay_alu instid0(VALU_DEP_1)
	v_max_num_f32_e32 v1, v1, v4
	ds_store_b32 v6, v1 offset:192
.LBB120_11:
	s_or_b32 exec_lo, exec_lo, s0
	v_cmp_gt_u32_e64 s0, 4, v10
	v_mov_b32_e32 v1, 0xff7fffff
	s_wait_loadcnt_dscnt 0x0
	s_barrier_signal -1
	s_barrier_wait -1
	global_inv scope:SCOPE_SE
	s_and_saveexec_b32 s1, s0
; %bb.12:
	ds_load_b32 v1, v12 offset:192
; %bb.13:
	s_or_b32 exec_lo, exec_lo, s1
	s_wait_dscnt 0x0
	ds_bpermute_b32 v4, v14, v1
	v_max_num_f32_e32 v1, v1, v1
	s_sub_co_i32 s1, s13, s28
	v_mov_b32_e32 v15, 0
	s_lshl_b32 s1, s1, 5
	s_delay_alu instid0(SALU_CYCLE_1) | instskip(NEXT) | instid1(SALU_CYCLE_1)
	s_add_co_i32 s1, s1, s26
	s_min_i32 s1, s1, s25
	s_delay_alu instid0(SALU_CYCLE_1) | instskip(SKIP_4) | instid1(VALU_DEP_1)
	s_sub_co_i32 s11, s1, s26
	s_wait_alu 0xfffe
	v_cmp_gt_i32_e64 s1, s11, v0
	s_wait_dscnt 0x0
	v_max_num_f32_e32 v4, v4, v4
	v_max_num_f32_e32 v1, v1, v4
	ds_bpermute_b32 v4, v13, v1
	s_wait_dscnt 0x0
	v_max_num_f32_e32 v4, v4, v4
	s_delay_alu instid0(VALU_DEP_1)
	v_max_num_f32_e32 v1, v1, v4
	v_lshl_add_u32 v4, v0, 2, 0xe0
	ds_bpermute_b32 v1, v15, v1
	s_and_saveexec_b32 s28, s1
	s_cbranch_execz .LBB120_17
; %bb.14:
	v_lshl_add_u32 v16, v0, 2, 0xe0
	v_mov_b32_e32 v15, 0
	v_mov_b32_e32 v17, v0
	s_mov_b32 s29, 0
.LBB120_15:                             ; =>This Inner Loop Header: Depth=1
	ds_load_b32 v18, v16
	v_add_nc_u32_e32 v17, 0x80, v17
	s_delay_alu instid0(VALU_DEP_1) | instskip(SKIP_4) | instid1(VALU_DEP_1)
	v_cmp_le_i32_e64 s3, s11, v17
	s_wait_alu 0xfffe
	s_or_b32 s29, s3, s29
	s_wait_dscnt 0x0
	v_sub_f32_e32 v18, v18, v1
	v_mul_f32_e32 v18, 0x3fb8aa3b, v18
	s_delay_alu instid0(VALU_DEP_1)
	v_exp_f32_e32 v18, v18
	ds_store_b32 v16, v18
	v_dual_add_f32 v15, v15, v18 :: v_dual_add_nc_u32 v16, 0x200, v16
	s_wait_alu 0xfffe
	s_and_not1_b32 exec_lo, exec_lo, s29
	s_cbranch_execnz .LBB120_15
; %bb.16:
	s_or_b32 exec_lo, exec_lo, s29
.LBB120_17:
	s_wait_alu 0xfffe
	s_or_b32 exec_lo, exec_lo, s28
	ds_bpermute_b32 v2, v2, v15
	s_wait_dscnt 0x0
	v_add_f32_e32 v2, v15, v2
	ds_bpermute_b32 v3, v3, v2
	s_wait_dscnt 0x0
	v_add_f32_e32 v2, v2, v3
	;; [unrolled: 3-line block ×5, first 2 shown]
	s_and_saveexec_b32 s3, vcc_lo
; %bb.18:
	ds_store_b32 v6, v2 offset:208
; %bb.19:
	s_wait_alu 0xfffe
	s_or_b32 exec_lo, exec_lo, s3
	s_wait_loadcnt_dscnt 0x0
	s_barrier_signal -1
	s_barrier_wait -1
	global_inv scope:SCOPE_SE
	s_and_saveexec_b32 s3, s0
; %bb.20:
	ds_load_b32 v2, v12 offset:208
; %bb.21:
	s_wait_alu 0xfffe
	s_or_b32 exec_lo, exec_lo, s3
	s_wait_dscnt 0x0
	ds_bpermute_b32 v3, v14, v2
	s_wait_dscnt 0x0
	v_add_f32_e32 v2, v2, v3
	ds_bpermute_b32 v3, v13, v2
	s_wait_dscnt 0x0
	v_dual_add_f32 v2, v2, v3 :: v_dual_mov_b32 v3, 0
	ds_bpermute_b32 v2, v3, v2
	s_and_saveexec_b32 s0, s1
	s_cbranch_execz .LBB120_24
; %bb.22:
	s_wait_dscnt 0x0
	v_add_f32_e32 v3, 0x358637bd, v2
	s_mov_b32 s1, 0
	s_delay_alu instid0(VALU_DEP_1) | instskip(SKIP_1) | instid1(VALU_DEP_2)
	v_div_scale_f32 v5, null, v3, v3, 1.0
	v_div_scale_f32 v15, vcc_lo, 1.0, v3, 1.0
	v_rcp_f32_e32 v6, v5
	s_delay_alu instid0(TRANS32_DEP_1) | instskip(NEXT) | instid1(VALU_DEP_1)
	v_fma_f32 v12, -v5, v6, 1.0
	v_fmac_f32_e32 v6, v12, v6
	s_delay_alu instid0(VALU_DEP_1) | instskip(NEXT) | instid1(VALU_DEP_1)
	v_mul_f32_e32 v12, v15, v6
	v_fma_f32 v16, -v5, v12, v15
	s_delay_alu instid0(VALU_DEP_1) | instskip(NEXT) | instid1(VALU_DEP_1)
	v_fmac_f32_e32 v12, v16, v6
	v_fma_f32 v5, -v5, v12, v15
	s_wait_alu 0xfffd
	s_delay_alu instid0(VALU_DEP_1) | instskip(NEXT) | instid1(VALU_DEP_1)
	v_div_fmas_f32 v5, v5, v6, v12
	v_div_fixup_f32 v3, v5, v3, 1.0
	v_mov_b32_e32 v5, v0
.LBB120_23:                             ; =>This Inner Loop Header: Depth=1
	ds_load_b32 v6, v4
	s_wait_dscnt 0x0
	v_dual_mul_f32 v6, v3, v6 :: v_dual_add_nc_u32 v5, 0x80, v5
	s_delay_alu instid0(VALU_DEP_1) | instskip(SKIP_3) | instid1(SALU_CYCLE_1)
	v_cmp_le_i32_e32 vcc_lo, s11, v5
	ds_store_b32 v4, v6
	v_add_nc_u32_e32 v4, 0x200, v4
	s_or_b32 s1, vcc_lo, s1
	s_and_not1_b32 exec_lo, exec_lo, s1
	s_cbranch_execnz .LBB120_23
.LBB120_24:
	s_or_b32 exec_lo, exec_lo, s0
	s_mul_i32 s0, s8, s20
	s_wait_loadcnt_dscnt 0x0
	s_mul_i32 s20, s0, s21
	s_mov_b32 s0, exec_lo
	s_barrier_signal -1
	s_barrier_wait -1
	global_inv scope:SCOPE_SE
	v_cmpx_eq_u32_e32 0, v0
	s_cbranch_execz .LBB120_26
; %bb.25:
	s_ashr_i32 s21, s20, 31
	s_mul_i32 s28, s8, ttmp9
	s_lshl_b32 s1, s24, 2
	s_lshl_b64 s[30:31], s[20:21], 2
	s_wait_alu 0xfffe
	s_ashr_i32 s29, s28, 31
	v_mov_b32_e32 v3, s1
	s_wait_kmcnt 0x0
	s_add_nc_u64 s[6:7], s[6:7], s[30:31]
	s_wait_alu 0xfffe
	s_lshl_b64 s[28:29], s[28:29], 2
	s_add_nc_u64 s[4:5], s[4:5], s[30:31]
	s_wait_alu 0xfffe
	s_add_nc_u64 s[6:7], s[6:7], s[28:29]
	s_add_nc_u64 s[4:5], s[4:5], s[28:29]
	s_clause 0x1
	global_store_b32 v3, v1, s[6:7]
	global_store_b32 v3, v2, s[4:5]
.LBB120_26:
	s_or_b32 exec_lo, exec_lo, s0
	v_dual_mov_b32 v24, 0 :: v_dual_mov_b32 v25, 0
	v_dual_mov_b32 v23, 0 :: v_dual_and_b32 v12, 3, v0
	v_dual_mov_b32 v26, 0 :: v_dual_mov_b32 v21, 0
	v_dual_mov_b32 v22, 0 :: v_dual_mov_b32 v19, 0
	;; [unrolled: 1-line block ×4, first 2 shown]
	v_mov_b32_e32 v16, 0
	s_and_saveexec_b32 s1, s2
	s_cbranch_execz .LBB120_54
; %bb.27:
	s_ashr_i32 s11, s10, 31
	v_dual_mov_b32 v20, 0 :: v_dual_and_b32 v3, 0x1f0, v7
	s_wait_alu 0xfffe
	s_lshl_b64 s[2:3], s[10:11], 1
	v_dual_mov_b32 v16, 0 :: v_dual_lshlrev_b32 v1, 3, v0
	v_dual_mov_b32 v15, 0 :: v_dual_lshlrev_b32 v2, 5, v12
	s_wait_kmcnt 0x0
	s_wait_alu 0xfffe
	s_add_nc_u64 s[2:3], s[22:23], s[2:3]
	v_dual_mov_b32 v18, 0 :: v_dual_and_b32 v1, 24, v1
	s_wait_alu 0xfffe
	v_add_co_u32 v27, s0, s2, v3
	s_wait_alu 0xf1ff
	v_add_co_ci_u32_e64 v28, null, s3, 0, s0
	s_lshl_b64 s[2:3], s[16:17], 2
	v_lshl_add_u32 v4, v9, 5, s26
	v_lshl_or_b32 v2, v9, 7, v2
	s_wait_alu 0xfffe
	s_add_nc_u64 s[2:3], s[14:15], s[2:3]
	v_mov_b32_e32 v17, 0
	s_wait_alu 0xfffe
	v_add_co_u32 v5, s0, s2, v8
	v_add3_u32 v29, v4, v1, 7
	v_add_nc_u32_e32 v30, 0xe0, v2
	s_wait_alu 0xf1ff
	v_add_co_ci_u32_e64 v6, null, s3, 0, s0
	v_dual_mov_b32 v19, 0 :: v_dual_mov_b32 v22, 0
	v_dual_mov_b32 v21, 0 :: v_dual_mov_b32 v26, 0
	;; [unrolled: 1-line block ×3, first 2 shown]
	v_mov_b32_e32 v25, 0
	s_mov_b32 s2, s9
	s_add_co_i32 s27, s27, -1
	s_mov_b32 s3, 0
	s_branch .LBB120_29
.LBB120_28:                             ;   in Loop: Header=BB120_29 Depth=1
	s_wait_alu 0xfffe
	s_or_b32 exec_lo, exec_lo, s0
	v_dual_add_f32 v31, v63, v64 :: v_dual_add_f32 v32, v60, v61
	v_add_f32_e32 v36, v54, v55
	v_dual_add_f32 v33, v58, v59 :: v_dual_add_f32 v34, v56, v57
	s_delay_alu instid0(VALU_DEP_3) | instskip(SKIP_1) | instid1(VALU_DEP_4)
	v_dual_add_f32 v16, v16, v31 :: v_dual_add_f32 v17, v17, v32
	v_add_f32_e32 v31, v52, v53
	v_add_f32_e32 v20, v20, v36
	v_lshlrev_b32_e32 v8, 16, v8
	v_add_f32_e32 v32, v50, v51
	v_lshlrev_b32_e32 v7, 16, v7
	v_add_f32_e32 v21, v21, v31
	v_dual_add_f32 v18, v18, v33 :: v_dual_lshlrev_b32 v31, 16, v62
	v_add_f32_e32 v19, v19, v34
	v_add_f32_e32 v33, v48, v49
	v_and_or_b32 v2, 0xffff, v2, v8
	s_delay_alu instid0(VALU_DEP_4)
	v_and_or_b32 v1, 0xffff, v1, v31
	v_add_f32_e32 v22, v22, v32
	v_and_or_b32 v3, 0xffff, v3, v7
	;;#ASMSTART
	v_pk_mul_f16 v1, v37, v1;

	;;#ASMEND
	;;#ASMSTART
	v_pk_mul_f16 v2, v35, v2;

	;;#ASMEND
	;; [unrolled: 4-line block ×4, first 2 shown]
	;;#ASMSTART
	v_pk_add_f16 v1, v1, v2;

	;;#ASMEND
	;;#ASMSTART
	v_pk_add_f16 v1, v1, v3;

	;;#ASMEND
	;; [unrolled: 4-line block ×3, first 2 shown]
	v_and_b32_e32 v4, 0xffff, v1
	v_add_nc_u32_e32 v11, 4, v11
	v_lshrrev_b32_e32 v7, 16, v1
	v_add_f32_e32 v1, v46, v47
	;;#ASMSTART
	v_cvt_f32_f16 v4, v4;
	;;#ASMEND
	v_dual_add_f32 v2, v44, v45 :: v_dual_add_f32 v3, v42, v43
	;;#ASMSTART
	v_cvt_f32_f16 v7, v7;
	;;#ASMEND
	v_dual_add_f32 v23, v23, v33 :: v_dual_add_f32 v4, v4, v7
	v_cmp_le_i32_e32 vcc_lo, s13, v11
	v_add_co_u32 v5, s0, v5, 16
	v_dual_add_f32 v25, v25, v1 :: v_dual_add_f32 v26, v26, v2
	s_delay_alu instid0(VALU_DEP_4)
	v_dual_add_f32 v24, v24, v3 :: v_dual_add_f32 v15, v15, v4
	v_add_nc_u32_e32 v29, 0x80, v29
	v_add_nc_u32_e32 v30, 0x200, v30
	s_wait_alu 0xf1ff
	v_add_co_ci_u32_e64 v6, null, 0, v6, s0
	s_or_b32 s3, vcc_lo, s3
	s_wait_alu 0xfffe
	s_and_not1_b32 exec_lo, exec_lo, s3
	s_cbranch_execz .LBB120_53
.LBB120_29:                             ; =>This Inner Loop Header: Depth=1
	global_load_b32 v7, v[5:6], off
	ds_load_2addr_b64 v[1:4], v30 offset1:1
	ds_load_2addr_b64 v[31:34], v30 offset0:2 offset1:3
	v_add_nc_u32_e32 v36, -7, v29
	v_add_nc_u32_e32 v41, -6, v29
	;; [unrolled: 1-line block ×3, first 2 shown]
	s_wait_dscnt 0x1
	;;#ASMSTART
	v_cvt_f16_f32 v37, v1;

	;;#ASMEND
	;;#ASMSTART
	v_cvt_f16_f32 v35, v2;

	;;#ASMEND
	;; [unrolled: 4-line block ×4, first 2 shown]
	s_wait_dscnt 0x0
	;;#ASMSTART
	v_cvt_f16_f32 v45, v31;

	;;#ASMEND
	;;#ASMSTART
	v_cvt_f16_f32 v38, v32;

	;;#ASMEND
	;; [unrolled: 4-line block ×4, first 2 shown]
	v_add_nc_u32_e32 v33, -4, v29
	v_add_nc_u32_e32 v32, -3, v29
	;; [unrolled: 1-line block ×4, first 2 shown]
	s_wait_loadcnt 0x0
	s_wait_alu 0xfffe
	v_mad_co_i64_i32 v[7:8], null, v7, s2, 0
	s_delay_alu instid0(VALU_DEP_1) | instskip(NEXT) | instid1(VALU_DEP_1)
	v_lshlrev_b64_e32 v[7:8], 1, v[7:8]
	v_add_co_u32 v7, vcc_lo, v27, v7
	s_wait_alu 0xfffd
	s_delay_alu instid0(VALU_DEP_2)
	v_add_co_ci_u32_e64 v8, null, v28, v8, vcc_lo
	v_cmp_eq_u32_e32 vcc_lo, s27, v11
	global_load_b128 v[1:4], v[7:8], off
	s_wait_loadcnt 0x0
	v_lshrrev_b32_e32 v48, 16, v1
	v_lshrrev_b32_e32 v47, 16, v2
	;; [unrolled: 1-line block ×3, first 2 shown]
	s_and_saveexec_b32 s4, vcc_lo
	s_cbranch_execz .LBB120_31
; %bb.30:                               ;   in Loop: Header=BB120_29 Depth=1
	v_cmp_gt_i32_e64 s0, s25, v36
	v_and_b32_e32 v49, 0xffff, v4
	v_and_b32_e32 v4, 0xffff0000, v4
	s_wait_alu 0xf1ff
	s_delay_alu instid0(VALU_DEP_3) | instskip(SKIP_2) | instid1(VALU_DEP_1)
	v_cndmask_b32_e64 v1, 0, v1, s0
	v_cmp_gt_i32_e64 s0, s25, v41
	s_wait_alu 0xf1ff
	v_cndmask_b32_e64 v48, 0, v48, s0
	v_cmp_gt_i32_e64 s0, s25, v40
	s_wait_alu 0xf1ff
	s_delay_alu instid0(VALU_DEP_1) | instskip(SKIP_2) | instid1(VALU_DEP_1)
	v_cndmask_b32_e64 v2, 0, v2, s0
	v_cmp_gt_i32_e64 s0, s25, v33
	s_wait_alu 0xf1ff
	v_cndmask_b32_e64 v47, 0, v47, s0
	v_cmp_gt_i32_e64 s0, s25, v34
	s_wait_alu 0xf1ff
	s_delay_alu instid0(VALU_DEP_1) | instskip(SKIP_2) | instid1(VALU_DEP_1)
	v_cndmask_b32_e64 v49, 0, v49, s0
	v_cmp_gt_i32_e64 s0, s25, v29
	s_wait_alu 0xf1ff
	v_cndmask_b32_e64 v4, 0, v4, s0
	v_cmp_gt_i32_e64 s0, s25, v32
	s_delay_alu instid0(VALU_DEP_2) | instskip(SKIP_1) | instid1(VALU_DEP_2)
	v_or_b32_e32 v4, v49, v4
	s_wait_alu 0xf1ff
	v_cndmask_b32_e64 v3, 0, v3, s0
	v_cmp_gt_i32_e64 s0, s25, v31
	s_wait_alu 0xf1ff
	s_delay_alu instid0(VALU_DEP_1)
	v_cndmask_b32_e64 v46, 0, v46, s0
.LBB120_31:                             ;   in Loop: Header=BB120_29 Depth=1
	s_wait_alu 0xfffe
	s_or_b32 exec_lo, exec_lo, s4
	v_and_b32_e32 v37, 0xffff, v37
	v_and_b32_e32 v44, 0xffff, v44
	v_lshlrev_b32_e32 v48, 16, v48
	v_and_b32_e32 v45, 0xffff, v45
	v_and_b32_e32 v43, 0xffff, v43
	v_lshl_or_b32 v37, v35, 16, v37
	v_lshl_or_b32 v35, v42, 16, v44
	v_lshlrev_b32_e32 v42, 16, v47
	v_lshlrev_b32_e32 v44, 16, v46
	v_and_or_b32 v1, 0xffff, v1, v48
	;;#ASMSTART
	v_pk_mul_f16 v1, v37, v1;

	;;#ASMEND
	v_lshl_or_b32 v38, v38, 16, v45
	v_and_or_b32 v2, 0xffff, v2, v42
	v_and_or_b32 v3, 0xffff, v3, v44
	v_lshl_or_b32 v39, v39, 16, v43
	;;#ASMSTART
	v_pk_mul_f16 v2, v35, v2;

	;;#ASMEND
	;;#ASMSTART
	v_pk_mul_f16 v3, v38, v3;

	;;#ASMEND
	;; [unrolled: 4-line block ×3, first 2 shown]
	;;#ASMSTART
	v_pk_add_f16 v1, v1, v2;

	;;#ASMEND
	;;#ASMSTART
	v_pk_add_f16 v1, v1, v3;

	;;#ASMEND
	;; [unrolled: 4-line block ×3, first 2 shown]
	v_and_b32_e32 v2, 0xffff, v1
	v_lshrrev_b32_e32 v1, 16, v1
	;;#ASMSTART
	v_cvt_f32_f16 v42, v2;
	;;#ASMEND
	;;#ASMSTART
	v_cvt_f32_f16 v43, v1;
	;;#ASMEND
	global_load_b128 v[1:4], v[7:8], off offset:512
	s_wait_loadcnt 0x0
	v_lshrrev_b32_e32 v46, 16, v1
	v_lshrrev_b32_e32 v45, 16, v2
	;; [unrolled: 1-line block ×3, first 2 shown]
	s_and_saveexec_b32 s4, vcc_lo
	s_cbranch_execz .LBB120_33
; %bb.32:                               ;   in Loop: Header=BB120_29 Depth=1
	v_cmp_gt_i32_e64 s0, s25, v36
	v_and_b32_e32 v47, 0xffff, v4
	v_and_b32_e32 v4, 0xffff0000, v4
	s_wait_alu 0xf1ff
	s_delay_alu instid0(VALU_DEP_3) | instskip(SKIP_2) | instid1(VALU_DEP_1)
	v_cndmask_b32_e64 v1, 0, v1, s0
	v_cmp_gt_i32_e64 s0, s25, v41
	s_wait_alu 0xf1ff
	v_cndmask_b32_e64 v46, 0, v46, s0
	v_cmp_gt_i32_e64 s0, s25, v40
	s_wait_alu 0xf1ff
	s_delay_alu instid0(VALU_DEP_1) | instskip(SKIP_2) | instid1(VALU_DEP_1)
	v_cndmask_b32_e64 v2, 0, v2, s0
	v_cmp_gt_i32_e64 s0, s25, v33
	s_wait_alu 0xf1ff
	v_cndmask_b32_e64 v45, 0, v45, s0
	v_cmp_gt_i32_e64 s0, s25, v34
	s_wait_alu 0xf1ff
	s_delay_alu instid0(VALU_DEP_1) | instskip(SKIP_2) | instid1(VALU_DEP_1)
	v_cndmask_b32_e64 v47, 0, v47, s0
	v_cmp_gt_i32_e64 s0, s25, v29
	s_wait_alu 0xf1ff
	v_cndmask_b32_e64 v4, 0, v4, s0
	v_cmp_gt_i32_e64 s0, s25, v32
	s_delay_alu instid0(VALU_DEP_2) | instskip(SKIP_1) | instid1(VALU_DEP_2)
	v_or_b32_e32 v4, v47, v4
	s_wait_alu 0xf1ff
	v_cndmask_b32_e64 v3, 0, v3, s0
	v_cmp_gt_i32_e64 s0, s25, v31
	s_wait_alu 0xf1ff
	s_delay_alu instid0(VALU_DEP_1)
	v_cndmask_b32_e64 v44, 0, v44, s0
.LBB120_33:                             ;   in Loop: Header=BB120_29 Depth=1
	s_wait_alu 0xfffe
	s_or_b32 exec_lo, exec_lo, s4
	v_lshlrev_b32_e32 v46, 16, v46
	v_lshlrev_b32_e32 v45, 16, v45
	;; [unrolled: 1-line block ×3, first 2 shown]
	s_delay_alu instid0(VALU_DEP_3) | instskip(NEXT) | instid1(VALU_DEP_3)
	v_and_or_b32 v1, 0xffff, v1, v46
	v_and_or_b32 v2, 0xffff, v2, v45
	s_delay_alu instid0(VALU_DEP_3)
	v_and_or_b32 v3, 0xffff, v3, v44
	;;#ASMSTART
	v_pk_mul_f16 v1, v37, v1;

	;;#ASMEND
	;;#ASMSTART
	v_pk_mul_f16 v2, v35, v2;

	;;#ASMEND
	;; [unrolled: 4-line block ×4, first 2 shown]
	;;#ASMSTART
	v_pk_add_f16 v1, v1, v2;

	;;#ASMEND
	;;#ASMSTART
	v_pk_add_f16 v1, v1, v3;

	;;#ASMEND
	;; [unrolled: 4-line block ×3, first 2 shown]
	v_and_b32_e32 v2, 0xffff, v1
	v_lshrrev_b32_e32 v1, 16, v1
	;;#ASMSTART
	v_cvt_f32_f16 v44, v2;
	;;#ASMEND
	;;#ASMSTART
	v_cvt_f32_f16 v45, v1;
	;;#ASMEND
	global_load_b128 v[1:4], v[7:8], off offset:1024
	s_wait_loadcnt 0x0
	v_lshrrev_b32_e32 v48, 16, v1
	v_lshrrev_b32_e32 v47, 16, v2
	;; [unrolled: 1-line block ×3, first 2 shown]
	s_and_saveexec_b32 s4, vcc_lo
	s_cbranch_execz .LBB120_35
; %bb.34:                               ;   in Loop: Header=BB120_29 Depth=1
	v_cmp_gt_i32_e64 s0, s25, v36
	v_and_b32_e32 v49, 0xffff, v4
	v_and_b32_e32 v4, 0xffff0000, v4
	s_wait_alu 0xf1ff
	s_delay_alu instid0(VALU_DEP_3) | instskip(SKIP_2) | instid1(VALU_DEP_1)
	v_cndmask_b32_e64 v1, 0, v1, s0
	v_cmp_gt_i32_e64 s0, s25, v41
	s_wait_alu 0xf1ff
	v_cndmask_b32_e64 v48, 0, v48, s0
	v_cmp_gt_i32_e64 s0, s25, v40
	s_wait_alu 0xf1ff
	s_delay_alu instid0(VALU_DEP_1) | instskip(SKIP_2) | instid1(VALU_DEP_1)
	v_cndmask_b32_e64 v2, 0, v2, s0
	v_cmp_gt_i32_e64 s0, s25, v33
	s_wait_alu 0xf1ff
	v_cndmask_b32_e64 v47, 0, v47, s0
	v_cmp_gt_i32_e64 s0, s25, v34
	s_wait_alu 0xf1ff
	s_delay_alu instid0(VALU_DEP_1) | instskip(SKIP_2) | instid1(VALU_DEP_1)
	v_cndmask_b32_e64 v49, 0, v49, s0
	v_cmp_gt_i32_e64 s0, s25, v29
	s_wait_alu 0xf1ff
	v_cndmask_b32_e64 v4, 0, v4, s0
	v_cmp_gt_i32_e64 s0, s25, v32
	s_delay_alu instid0(VALU_DEP_2) | instskip(SKIP_1) | instid1(VALU_DEP_2)
	v_or_b32_e32 v4, v49, v4
	s_wait_alu 0xf1ff
	v_cndmask_b32_e64 v3, 0, v3, s0
	v_cmp_gt_i32_e64 s0, s25, v31
	s_wait_alu 0xf1ff
	s_delay_alu instid0(VALU_DEP_1)
	v_cndmask_b32_e64 v46, 0, v46, s0
.LBB120_35:                             ;   in Loop: Header=BB120_29 Depth=1
	s_wait_alu 0xfffe
	s_or_b32 exec_lo, exec_lo, s4
	v_lshlrev_b32_e32 v48, 16, v48
	v_lshlrev_b32_e32 v47, 16, v47
	;; [unrolled: 1-line block ×3, first 2 shown]
	s_delay_alu instid0(VALU_DEP_3) | instskip(NEXT) | instid1(VALU_DEP_3)
	v_and_or_b32 v1, 0xffff, v1, v48
	v_and_or_b32 v2, 0xffff, v2, v47
	s_delay_alu instid0(VALU_DEP_3)
	v_and_or_b32 v3, 0xffff, v3, v46
	;;#ASMSTART
	v_pk_mul_f16 v1, v37, v1;

	;;#ASMEND
	;;#ASMSTART
	v_pk_mul_f16 v2, v35, v2;

	;;#ASMEND
	;; [unrolled: 4-line block ×4, first 2 shown]
	;;#ASMSTART
	v_pk_add_f16 v1, v1, v2;

	;;#ASMEND
	;;#ASMSTART
	v_pk_add_f16 v1, v1, v3;

	;;#ASMEND
	;; [unrolled: 4-line block ×3, first 2 shown]
	v_and_b32_e32 v2, 0xffff, v1
	v_lshrrev_b32_e32 v1, 16, v1
	;;#ASMSTART
	v_cvt_f32_f16 v46, v2;
	;;#ASMEND
	;;#ASMSTART
	v_cvt_f32_f16 v47, v1;
	;;#ASMEND
	global_load_b128 v[1:4], v[7:8], off offset:1536
	s_wait_loadcnt 0x0
	v_lshrrev_b32_e32 v50, 16, v1
	v_lshrrev_b32_e32 v49, 16, v2
	;; [unrolled: 1-line block ×3, first 2 shown]
	s_and_saveexec_b32 s4, vcc_lo
	s_cbranch_execz .LBB120_37
; %bb.36:                               ;   in Loop: Header=BB120_29 Depth=1
	v_cmp_gt_i32_e64 s0, s25, v36
	v_and_b32_e32 v51, 0xffff, v4
	v_and_b32_e32 v4, 0xffff0000, v4
	s_wait_alu 0xf1ff
	s_delay_alu instid0(VALU_DEP_3) | instskip(SKIP_2) | instid1(VALU_DEP_1)
	v_cndmask_b32_e64 v1, 0, v1, s0
	v_cmp_gt_i32_e64 s0, s25, v41
	s_wait_alu 0xf1ff
	v_cndmask_b32_e64 v50, 0, v50, s0
	v_cmp_gt_i32_e64 s0, s25, v40
	s_wait_alu 0xf1ff
	s_delay_alu instid0(VALU_DEP_1) | instskip(SKIP_2) | instid1(VALU_DEP_1)
	v_cndmask_b32_e64 v2, 0, v2, s0
	v_cmp_gt_i32_e64 s0, s25, v33
	s_wait_alu 0xf1ff
	v_cndmask_b32_e64 v49, 0, v49, s0
	v_cmp_gt_i32_e64 s0, s25, v34
	s_wait_alu 0xf1ff
	s_delay_alu instid0(VALU_DEP_1) | instskip(SKIP_2) | instid1(VALU_DEP_1)
	v_cndmask_b32_e64 v51, 0, v51, s0
	v_cmp_gt_i32_e64 s0, s25, v29
	s_wait_alu 0xf1ff
	v_cndmask_b32_e64 v4, 0, v4, s0
	v_cmp_gt_i32_e64 s0, s25, v32
	s_delay_alu instid0(VALU_DEP_2) | instskip(SKIP_1) | instid1(VALU_DEP_2)
	v_or_b32_e32 v4, v51, v4
	s_wait_alu 0xf1ff
	v_cndmask_b32_e64 v3, 0, v3, s0
	v_cmp_gt_i32_e64 s0, s25, v31
	s_wait_alu 0xf1ff
	s_delay_alu instid0(VALU_DEP_1)
	v_cndmask_b32_e64 v48, 0, v48, s0
.LBB120_37:                             ;   in Loop: Header=BB120_29 Depth=1
	s_wait_alu 0xfffe
	s_or_b32 exec_lo, exec_lo, s4
	v_lshlrev_b32_e32 v50, 16, v50
	v_lshlrev_b32_e32 v49, 16, v49
	;; [unrolled: 1-line block ×3, first 2 shown]
	s_delay_alu instid0(VALU_DEP_3) | instskip(NEXT) | instid1(VALU_DEP_3)
	v_and_or_b32 v1, 0xffff, v1, v50
	v_and_or_b32 v2, 0xffff, v2, v49
	s_delay_alu instid0(VALU_DEP_3)
	v_and_or_b32 v3, 0xffff, v3, v48
	;;#ASMSTART
	v_pk_mul_f16 v1, v37, v1;

	;;#ASMEND
	;;#ASMSTART
	v_pk_mul_f16 v2, v35, v2;

	;;#ASMEND
	;; [unrolled: 4-line block ×4, first 2 shown]
	;;#ASMSTART
	v_pk_add_f16 v1, v1, v2;

	;;#ASMEND
	;;#ASMSTART
	v_pk_add_f16 v1, v1, v3;

	;;#ASMEND
	;; [unrolled: 4-line block ×3, first 2 shown]
	v_and_b32_e32 v2, 0xffff, v1
	v_lshrrev_b32_e32 v1, 16, v1
	;;#ASMSTART
	v_cvt_f32_f16 v48, v2;
	;;#ASMEND
	;;#ASMSTART
	v_cvt_f32_f16 v49, v1;
	;;#ASMEND
	global_load_b128 v[1:4], v[7:8], off offset:2048
	s_wait_loadcnt 0x0
	v_lshrrev_b32_e32 v52, 16, v1
	v_lshrrev_b32_e32 v51, 16, v2
	;; [unrolled: 1-line block ×3, first 2 shown]
	s_and_saveexec_b32 s4, vcc_lo
	s_cbranch_execz .LBB120_39
; %bb.38:                               ;   in Loop: Header=BB120_29 Depth=1
	v_cmp_gt_i32_e64 s0, s25, v36
	v_and_b32_e32 v53, 0xffff, v4
	v_and_b32_e32 v4, 0xffff0000, v4
	s_wait_alu 0xf1ff
	s_delay_alu instid0(VALU_DEP_3) | instskip(SKIP_2) | instid1(VALU_DEP_1)
	v_cndmask_b32_e64 v1, 0, v1, s0
	v_cmp_gt_i32_e64 s0, s25, v41
	s_wait_alu 0xf1ff
	v_cndmask_b32_e64 v52, 0, v52, s0
	v_cmp_gt_i32_e64 s0, s25, v40
	s_wait_alu 0xf1ff
	s_delay_alu instid0(VALU_DEP_1) | instskip(SKIP_2) | instid1(VALU_DEP_1)
	v_cndmask_b32_e64 v2, 0, v2, s0
	v_cmp_gt_i32_e64 s0, s25, v33
	s_wait_alu 0xf1ff
	v_cndmask_b32_e64 v51, 0, v51, s0
	v_cmp_gt_i32_e64 s0, s25, v34
	s_wait_alu 0xf1ff
	s_delay_alu instid0(VALU_DEP_1) | instskip(SKIP_2) | instid1(VALU_DEP_1)
	v_cndmask_b32_e64 v53, 0, v53, s0
	v_cmp_gt_i32_e64 s0, s25, v29
	s_wait_alu 0xf1ff
	v_cndmask_b32_e64 v4, 0, v4, s0
	v_cmp_gt_i32_e64 s0, s25, v32
	s_delay_alu instid0(VALU_DEP_2) | instskip(SKIP_1) | instid1(VALU_DEP_2)
	v_or_b32_e32 v4, v53, v4
	s_wait_alu 0xf1ff
	v_cndmask_b32_e64 v3, 0, v3, s0
	v_cmp_gt_i32_e64 s0, s25, v31
	s_wait_alu 0xf1ff
	s_delay_alu instid0(VALU_DEP_1)
	v_cndmask_b32_e64 v50, 0, v50, s0
.LBB120_39:                             ;   in Loop: Header=BB120_29 Depth=1
	s_wait_alu 0xfffe
	s_or_b32 exec_lo, exec_lo, s4
	v_lshlrev_b32_e32 v52, 16, v52
	v_lshlrev_b32_e32 v51, 16, v51
	v_lshlrev_b32_e32 v50, 16, v50
	s_delay_alu instid0(VALU_DEP_3) | instskip(NEXT) | instid1(VALU_DEP_3)
	v_and_or_b32 v1, 0xffff, v1, v52
	v_and_or_b32 v2, 0xffff, v2, v51
	s_delay_alu instid0(VALU_DEP_3)
	v_and_or_b32 v3, 0xffff, v3, v50
	;;#ASMSTART
	v_pk_mul_f16 v1, v37, v1;

	;;#ASMEND
	;;#ASMSTART
	v_pk_mul_f16 v2, v35, v2;

	;;#ASMEND
	;; [unrolled: 4-line block ×4, first 2 shown]
	;;#ASMSTART
	v_pk_add_f16 v1, v1, v2;

	;;#ASMEND
	;;#ASMSTART
	v_pk_add_f16 v1, v1, v3;

	;;#ASMEND
	;;#ASMSTART
	v_pk_add_f16 v1, v1, v4;

	;;#ASMEND
	v_and_b32_e32 v2, 0xffff, v1
	v_lshrrev_b32_e32 v1, 16, v1
	;;#ASMSTART
	v_cvt_f32_f16 v50, v2;
	;;#ASMEND
	;;#ASMSTART
	v_cvt_f32_f16 v51, v1;
	;;#ASMEND
	global_load_b128 v[1:4], v[7:8], off offset:2560
	s_wait_loadcnt 0x0
	v_lshrrev_b32_e32 v54, 16, v1
	v_lshrrev_b32_e32 v53, 16, v2
	;; [unrolled: 1-line block ×3, first 2 shown]
	s_and_saveexec_b32 s4, vcc_lo
	s_cbranch_execz .LBB120_41
; %bb.40:                               ;   in Loop: Header=BB120_29 Depth=1
	v_cmp_gt_i32_e64 s0, s25, v36
	v_and_b32_e32 v55, 0xffff, v4
	v_and_b32_e32 v4, 0xffff0000, v4
	s_wait_alu 0xf1ff
	s_delay_alu instid0(VALU_DEP_3) | instskip(SKIP_2) | instid1(VALU_DEP_1)
	v_cndmask_b32_e64 v1, 0, v1, s0
	v_cmp_gt_i32_e64 s0, s25, v41
	s_wait_alu 0xf1ff
	v_cndmask_b32_e64 v54, 0, v54, s0
	v_cmp_gt_i32_e64 s0, s25, v40
	s_wait_alu 0xf1ff
	s_delay_alu instid0(VALU_DEP_1) | instskip(SKIP_2) | instid1(VALU_DEP_1)
	v_cndmask_b32_e64 v2, 0, v2, s0
	v_cmp_gt_i32_e64 s0, s25, v33
	s_wait_alu 0xf1ff
	v_cndmask_b32_e64 v53, 0, v53, s0
	v_cmp_gt_i32_e64 s0, s25, v34
	s_wait_alu 0xf1ff
	s_delay_alu instid0(VALU_DEP_1) | instskip(SKIP_2) | instid1(VALU_DEP_1)
	v_cndmask_b32_e64 v55, 0, v55, s0
	v_cmp_gt_i32_e64 s0, s25, v29
	s_wait_alu 0xf1ff
	v_cndmask_b32_e64 v4, 0, v4, s0
	v_cmp_gt_i32_e64 s0, s25, v32
	s_delay_alu instid0(VALU_DEP_2) | instskip(SKIP_1) | instid1(VALU_DEP_2)
	v_or_b32_e32 v4, v55, v4
	s_wait_alu 0xf1ff
	v_cndmask_b32_e64 v3, 0, v3, s0
	v_cmp_gt_i32_e64 s0, s25, v31
	s_wait_alu 0xf1ff
	s_delay_alu instid0(VALU_DEP_1)
	v_cndmask_b32_e64 v52, 0, v52, s0
.LBB120_41:                             ;   in Loop: Header=BB120_29 Depth=1
	s_wait_alu 0xfffe
	s_or_b32 exec_lo, exec_lo, s4
	v_lshlrev_b32_e32 v54, 16, v54
	v_lshlrev_b32_e32 v53, 16, v53
	;; [unrolled: 1-line block ×3, first 2 shown]
	s_delay_alu instid0(VALU_DEP_3) | instskip(NEXT) | instid1(VALU_DEP_3)
	v_and_or_b32 v1, 0xffff, v1, v54
	v_and_or_b32 v2, 0xffff, v2, v53
	s_delay_alu instid0(VALU_DEP_3)
	v_and_or_b32 v3, 0xffff, v3, v52
	;;#ASMSTART
	v_pk_mul_f16 v1, v37, v1;

	;;#ASMEND
	;;#ASMSTART
	v_pk_mul_f16 v2, v35, v2;

	;;#ASMEND
	;; [unrolled: 4-line block ×4, first 2 shown]
	;;#ASMSTART
	v_pk_add_f16 v1, v1, v2;

	;;#ASMEND
	;;#ASMSTART
	v_pk_add_f16 v1, v1, v3;

	;;#ASMEND
	;; [unrolled: 4-line block ×3, first 2 shown]
	v_and_b32_e32 v2, 0xffff, v1
	v_lshrrev_b32_e32 v1, 16, v1
	;;#ASMSTART
	v_cvt_f32_f16 v52, v2;
	;;#ASMEND
	;;#ASMSTART
	v_cvt_f32_f16 v53, v1;
	;;#ASMEND
	global_load_b128 v[1:4], v[7:8], off offset:3072
	s_wait_loadcnt 0x0
	v_lshrrev_b32_e32 v56, 16, v1
	v_lshrrev_b32_e32 v55, 16, v2
	;; [unrolled: 1-line block ×3, first 2 shown]
	s_and_saveexec_b32 s4, vcc_lo
	s_cbranch_execz .LBB120_43
; %bb.42:                               ;   in Loop: Header=BB120_29 Depth=1
	v_cmp_gt_i32_e64 s0, s25, v36
	v_and_b32_e32 v57, 0xffff, v4
	v_and_b32_e32 v4, 0xffff0000, v4
	s_wait_alu 0xf1ff
	s_delay_alu instid0(VALU_DEP_3) | instskip(SKIP_2) | instid1(VALU_DEP_1)
	v_cndmask_b32_e64 v1, 0, v1, s0
	v_cmp_gt_i32_e64 s0, s25, v41
	s_wait_alu 0xf1ff
	v_cndmask_b32_e64 v56, 0, v56, s0
	v_cmp_gt_i32_e64 s0, s25, v40
	s_wait_alu 0xf1ff
	s_delay_alu instid0(VALU_DEP_1) | instskip(SKIP_2) | instid1(VALU_DEP_1)
	v_cndmask_b32_e64 v2, 0, v2, s0
	v_cmp_gt_i32_e64 s0, s25, v33
	s_wait_alu 0xf1ff
	v_cndmask_b32_e64 v55, 0, v55, s0
	v_cmp_gt_i32_e64 s0, s25, v34
	s_wait_alu 0xf1ff
	s_delay_alu instid0(VALU_DEP_1) | instskip(SKIP_2) | instid1(VALU_DEP_1)
	v_cndmask_b32_e64 v57, 0, v57, s0
	v_cmp_gt_i32_e64 s0, s25, v29
	s_wait_alu 0xf1ff
	v_cndmask_b32_e64 v4, 0, v4, s0
	v_cmp_gt_i32_e64 s0, s25, v32
	s_delay_alu instid0(VALU_DEP_2) | instskip(SKIP_1) | instid1(VALU_DEP_2)
	v_or_b32_e32 v4, v57, v4
	s_wait_alu 0xf1ff
	v_cndmask_b32_e64 v3, 0, v3, s0
	v_cmp_gt_i32_e64 s0, s25, v31
	s_wait_alu 0xf1ff
	s_delay_alu instid0(VALU_DEP_1)
	v_cndmask_b32_e64 v54, 0, v54, s0
.LBB120_43:                             ;   in Loop: Header=BB120_29 Depth=1
	s_wait_alu 0xfffe
	s_or_b32 exec_lo, exec_lo, s4
	v_lshlrev_b32_e32 v56, 16, v56
	v_lshlrev_b32_e32 v55, 16, v55
	;; [unrolled: 1-line block ×3, first 2 shown]
	s_delay_alu instid0(VALU_DEP_3) | instskip(NEXT) | instid1(VALU_DEP_3)
	v_and_or_b32 v1, 0xffff, v1, v56
	v_and_or_b32 v2, 0xffff, v2, v55
	s_delay_alu instid0(VALU_DEP_3)
	v_and_or_b32 v3, 0xffff, v3, v54
	;;#ASMSTART
	v_pk_mul_f16 v1, v37, v1;

	;;#ASMEND
	;;#ASMSTART
	v_pk_mul_f16 v2, v35, v2;

	;;#ASMEND
	;; [unrolled: 4-line block ×4, first 2 shown]
	;;#ASMSTART
	v_pk_add_f16 v1, v1, v2;

	;;#ASMEND
	;;#ASMSTART
	v_pk_add_f16 v1, v1, v3;

	;;#ASMEND
	;; [unrolled: 4-line block ×3, first 2 shown]
	v_and_b32_e32 v2, 0xffff, v1
	v_lshrrev_b32_e32 v1, 16, v1
	;;#ASMSTART
	v_cvt_f32_f16 v54, v2;
	;;#ASMEND
	;;#ASMSTART
	v_cvt_f32_f16 v55, v1;
	;;#ASMEND
	global_load_b128 v[1:4], v[7:8], off offset:3584
	s_wait_loadcnt 0x0
	v_lshrrev_b32_e32 v58, 16, v1
	v_lshrrev_b32_e32 v57, 16, v2
	;; [unrolled: 1-line block ×3, first 2 shown]
	s_and_saveexec_b32 s4, vcc_lo
	s_cbranch_execz .LBB120_45
; %bb.44:                               ;   in Loop: Header=BB120_29 Depth=1
	v_cmp_gt_i32_e64 s0, s25, v36
	v_and_b32_e32 v59, 0xffff, v4
	v_and_b32_e32 v4, 0xffff0000, v4
	s_wait_alu 0xf1ff
	s_delay_alu instid0(VALU_DEP_3) | instskip(SKIP_2) | instid1(VALU_DEP_1)
	v_cndmask_b32_e64 v1, 0, v1, s0
	v_cmp_gt_i32_e64 s0, s25, v41
	s_wait_alu 0xf1ff
	v_cndmask_b32_e64 v58, 0, v58, s0
	v_cmp_gt_i32_e64 s0, s25, v40
	s_wait_alu 0xf1ff
	s_delay_alu instid0(VALU_DEP_1) | instskip(SKIP_2) | instid1(VALU_DEP_1)
	v_cndmask_b32_e64 v2, 0, v2, s0
	v_cmp_gt_i32_e64 s0, s25, v33
	s_wait_alu 0xf1ff
	v_cndmask_b32_e64 v57, 0, v57, s0
	v_cmp_gt_i32_e64 s0, s25, v34
	s_wait_alu 0xf1ff
	s_delay_alu instid0(VALU_DEP_1) | instskip(SKIP_2) | instid1(VALU_DEP_1)
	v_cndmask_b32_e64 v59, 0, v59, s0
	v_cmp_gt_i32_e64 s0, s25, v29
	s_wait_alu 0xf1ff
	v_cndmask_b32_e64 v4, 0, v4, s0
	v_cmp_gt_i32_e64 s0, s25, v32
	s_delay_alu instid0(VALU_DEP_2) | instskip(SKIP_1) | instid1(VALU_DEP_2)
	v_or_b32_e32 v4, v59, v4
	s_wait_alu 0xf1ff
	v_cndmask_b32_e64 v3, 0, v3, s0
	v_cmp_gt_i32_e64 s0, s25, v31
	s_wait_alu 0xf1ff
	s_delay_alu instid0(VALU_DEP_1)
	v_cndmask_b32_e64 v56, 0, v56, s0
.LBB120_45:                             ;   in Loop: Header=BB120_29 Depth=1
	s_wait_alu 0xfffe
	s_or_b32 exec_lo, exec_lo, s4
	v_lshlrev_b32_e32 v58, 16, v58
	v_lshlrev_b32_e32 v57, 16, v57
	v_lshlrev_b32_e32 v56, 16, v56
	s_delay_alu instid0(VALU_DEP_3) | instskip(NEXT) | instid1(VALU_DEP_3)
	v_and_or_b32 v1, 0xffff, v1, v58
	v_and_or_b32 v2, 0xffff, v2, v57
	s_delay_alu instid0(VALU_DEP_3)
	v_and_or_b32 v3, 0xffff, v3, v56
	;;#ASMSTART
	v_pk_mul_f16 v1, v37, v1;

	;;#ASMEND
	;;#ASMSTART
	v_pk_mul_f16 v2, v35, v2;

	;;#ASMEND
	;; [unrolled: 4-line block ×4, first 2 shown]
	;;#ASMSTART
	v_pk_add_f16 v1, v1, v2;

	;;#ASMEND
	;;#ASMSTART
	v_pk_add_f16 v1, v1, v3;

	;;#ASMEND
	;; [unrolled: 4-line block ×3, first 2 shown]
	v_and_b32_e32 v2, 0xffff, v1
	v_lshrrev_b32_e32 v1, 16, v1
	;;#ASMSTART
	v_cvt_f32_f16 v56, v2;
	;;#ASMEND
	;;#ASMSTART
	v_cvt_f32_f16 v57, v1;
	;;#ASMEND
	global_load_b128 v[1:4], v[7:8], off offset:4096
	s_wait_loadcnt 0x0
	v_lshrrev_b32_e32 v60, 16, v1
	v_lshrrev_b32_e32 v59, 16, v2
	;; [unrolled: 1-line block ×3, first 2 shown]
	s_and_saveexec_b32 s4, vcc_lo
	s_cbranch_execz .LBB120_47
; %bb.46:                               ;   in Loop: Header=BB120_29 Depth=1
	v_cmp_gt_i32_e64 s0, s25, v36
	v_and_b32_e32 v61, 0xffff, v4
	v_and_b32_e32 v4, 0xffff0000, v4
	s_wait_alu 0xf1ff
	s_delay_alu instid0(VALU_DEP_3) | instskip(SKIP_2) | instid1(VALU_DEP_1)
	v_cndmask_b32_e64 v1, 0, v1, s0
	v_cmp_gt_i32_e64 s0, s25, v41
	s_wait_alu 0xf1ff
	v_cndmask_b32_e64 v60, 0, v60, s0
	v_cmp_gt_i32_e64 s0, s25, v40
	s_wait_alu 0xf1ff
	s_delay_alu instid0(VALU_DEP_1) | instskip(SKIP_2) | instid1(VALU_DEP_1)
	v_cndmask_b32_e64 v2, 0, v2, s0
	v_cmp_gt_i32_e64 s0, s25, v33
	s_wait_alu 0xf1ff
	v_cndmask_b32_e64 v59, 0, v59, s0
	v_cmp_gt_i32_e64 s0, s25, v34
	s_wait_alu 0xf1ff
	s_delay_alu instid0(VALU_DEP_1) | instskip(SKIP_2) | instid1(VALU_DEP_1)
	v_cndmask_b32_e64 v61, 0, v61, s0
	v_cmp_gt_i32_e64 s0, s25, v29
	s_wait_alu 0xf1ff
	v_cndmask_b32_e64 v4, 0, v4, s0
	v_cmp_gt_i32_e64 s0, s25, v32
	s_delay_alu instid0(VALU_DEP_2) | instskip(SKIP_1) | instid1(VALU_DEP_2)
	v_or_b32_e32 v4, v61, v4
	s_wait_alu 0xf1ff
	v_cndmask_b32_e64 v3, 0, v3, s0
	v_cmp_gt_i32_e64 s0, s25, v31
	s_wait_alu 0xf1ff
	s_delay_alu instid0(VALU_DEP_1)
	v_cndmask_b32_e64 v58, 0, v58, s0
.LBB120_47:                             ;   in Loop: Header=BB120_29 Depth=1
	s_wait_alu 0xfffe
	s_or_b32 exec_lo, exec_lo, s4
	v_lshlrev_b32_e32 v60, 16, v60
	v_lshlrev_b32_e32 v59, 16, v59
	;; [unrolled: 1-line block ×3, first 2 shown]
	s_delay_alu instid0(VALU_DEP_3) | instskip(NEXT) | instid1(VALU_DEP_3)
	v_and_or_b32 v1, 0xffff, v1, v60
	v_and_or_b32 v2, 0xffff, v2, v59
	s_delay_alu instid0(VALU_DEP_3)
	v_and_or_b32 v3, 0xffff, v3, v58
	;;#ASMSTART
	v_pk_mul_f16 v1, v37, v1;

	;;#ASMEND
	;;#ASMSTART
	v_pk_mul_f16 v2, v35, v2;

	;;#ASMEND
	;; [unrolled: 4-line block ×4, first 2 shown]
	;;#ASMSTART
	v_pk_add_f16 v1, v1, v2;

	;;#ASMEND
	;;#ASMSTART
	v_pk_add_f16 v1, v1, v3;

	;;#ASMEND
	;; [unrolled: 4-line block ×3, first 2 shown]
	v_and_b32_e32 v2, 0xffff, v1
	v_lshrrev_b32_e32 v1, 16, v1
	;;#ASMSTART
	v_cvt_f32_f16 v58, v2;
	;;#ASMEND
	;;#ASMSTART
	v_cvt_f32_f16 v59, v1;
	;;#ASMEND
	global_load_b128 v[1:4], v[7:8], off offset:4608
	s_wait_loadcnt 0x0
	v_lshrrev_b32_e32 v62, 16, v1
	v_lshrrev_b32_e32 v61, 16, v2
	;; [unrolled: 1-line block ×3, first 2 shown]
	s_and_saveexec_b32 s4, vcc_lo
	s_cbranch_execz .LBB120_49
; %bb.48:                               ;   in Loop: Header=BB120_29 Depth=1
	v_cmp_gt_i32_e64 s0, s25, v36
	v_and_b32_e32 v63, 0xffff, v4
	v_and_b32_e32 v4, 0xffff0000, v4
	s_wait_alu 0xf1ff
	s_delay_alu instid0(VALU_DEP_3) | instskip(SKIP_2) | instid1(VALU_DEP_1)
	v_cndmask_b32_e64 v1, 0, v1, s0
	v_cmp_gt_i32_e64 s0, s25, v41
	s_wait_alu 0xf1ff
	v_cndmask_b32_e64 v62, 0, v62, s0
	v_cmp_gt_i32_e64 s0, s25, v40
	s_wait_alu 0xf1ff
	s_delay_alu instid0(VALU_DEP_1) | instskip(SKIP_2) | instid1(VALU_DEP_1)
	v_cndmask_b32_e64 v2, 0, v2, s0
	v_cmp_gt_i32_e64 s0, s25, v33
	s_wait_alu 0xf1ff
	v_cndmask_b32_e64 v61, 0, v61, s0
	v_cmp_gt_i32_e64 s0, s25, v34
	s_wait_alu 0xf1ff
	s_delay_alu instid0(VALU_DEP_1) | instskip(SKIP_2) | instid1(VALU_DEP_1)
	v_cndmask_b32_e64 v63, 0, v63, s0
	v_cmp_gt_i32_e64 s0, s25, v29
	s_wait_alu 0xf1ff
	v_cndmask_b32_e64 v4, 0, v4, s0
	v_cmp_gt_i32_e64 s0, s25, v32
	s_delay_alu instid0(VALU_DEP_2) | instskip(SKIP_1) | instid1(VALU_DEP_2)
	v_or_b32_e32 v4, v63, v4
	s_wait_alu 0xf1ff
	v_cndmask_b32_e64 v3, 0, v3, s0
	v_cmp_gt_i32_e64 s0, s25, v31
	s_wait_alu 0xf1ff
	s_delay_alu instid0(VALU_DEP_1)
	v_cndmask_b32_e64 v60, 0, v60, s0
.LBB120_49:                             ;   in Loop: Header=BB120_29 Depth=1
	s_wait_alu 0xfffe
	s_or_b32 exec_lo, exec_lo, s4
	v_lshlrev_b32_e32 v62, 16, v62
	v_lshlrev_b32_e32 v61, 16, v61
	;; [unrolled: 1-line block ×3, first 2 shown]
	s_delay_alu instid0(VALU_DEP_3) | instskip(NEXT) | instid1(VALU_DEP_3)
	v_and_or_b32 v1, 0xffff, v1, v62
	v_and_or_b32 v2, 0xffff, v2, v61
	s_delay_alu instid0(VALU_DEP_3)
	v_and_or_b32 v3, 0xffff, v3, v60
	;;#ASMSTART
	v_pk_mul_f16 v1, v37, v1;

	;;#ASMEND
	;;#ASMSTART
	v_pk_mul_f16 v2, v35, v2;

	;;#ASMEND
	;; [unrolled: 4-line block ×4, first 2 shown]
	;;#ASMSTART
	v_pk_add_f16 v1, v1, v2;

	;;#ASMEND
	;;#ASMSTART
	v_pk_add_f16 v1, v1, v3;

	;;#ASMEND
	;;#ASMSTART
	v_pk_add_f16 v1, v1, v4;

	;;#ASMEND
	v_and_b32_e32 v2, 0xffff, v1
	v_lshrrev_b32_e32 v1, 16, v1
	;;#ASMSTART
	v_cvt_f32_f16 v60, v2;
	;;#ASMEND
	;;#ASMSTART
	v_cvt_f32_f16 v61, v1;
	;;#ASMEND
	global_load_b128 v[1:4], v[7:8], off offset:5120
	s_wait_loadcnt 0x0
	v_lshrrev_b32_e32 v64, 16, v1
	v_lshrrev_b32_e32 v63, 16, v2
	;; [unrolled: 1-line block ×3, first 2 shown]
	s_and_saveexec_b32 s4, vcc_lo
	s_cbranch_execz .LBB120_51
; %bb.50:                               ;   in Loop: Header=BB120_29 Depth=1
	v_cmp_gt_i32_e64 s0, s25, v36
	v_and_b32_e32 v65, 0xffff, v4
	v_and_b32_e32 v4, 0xffff0000, v4
	s_wait_alu 0xf1ff
	s_delay_alu instid0(VALU_DEP_3) | instskip(SKIP_2) | instid1(VALU_DEP_1)
	v_cndmask_b32_e64 v1, 0, v1, s0
	v_cmp_gt_i32_e64 s0, s25, v41
	s_wait_alu 0xf1ff
	v_cndmask_b32_e64 v64, 0, v64, s0
	v_cmp_gt_i32_e64 s0, s25, v40
	s_wait_alu 0xf1ff
	s_delay_alu instid0(VALU_DEP_1) | instskip(SKIP_2) | instid1(VALU_DEP_1)
	v_cndmask_b32_e64 v2, 0, v2, s0
	v_cmp_gt_i32_e64 s0, s25, v33
	s_wait_alu 0xf1ff
	v_cndmask_b32_e64 v63, 0, v63, s0
	v_cmp_gt_i32_e64 s0, s25, v34
	s_wait_alu 0xf1ff
	s_delay_alu instid0(VALU_DEP_1) | instskip(SKIP_2) | instid1(VALU_DEP_1)
	v_cndmask_b32_e64 v65, 0, v65, s0
	v_cmp_gt_i32_e64 s0, s25, v29
	s_wait_alu 0xf1ff
	v_cndmask_b32_e64 v4, 0, v4, s0
	v_cmp_gt_i32_e64 s0, s25, v32
	s_delay_alu instid0(VALU_DEP_2) | instskip(SKIP_1) | instid1(VALU_DEP_2)
	v_or_b32_e32 v4, v65, v4
	s_wait_alu 0xf1ff
	v_cndmask_b32_e64 v3, 0, v3, s0
	v_cmp_gt_i32_e64 s0, s25, v31
	s_wait_alu 0xf1ff
	s_delay_alu instid0(VALU_DEP_1)
	v_cndmask_b32_e64 v62, 0, v62, s0
.LBB120_51:                             ;   in Loop: Header=BB120_29 Depth=1
	s_wait_alu 0xfffe
	s_or_b32 exec_lo, exec_lo, s4
	v_lshlrev_b32_e32 v64, 16, v64
	v_lshlrev_b32_e32 v63, 16, v63
	;; [unrolled: 1-line block ×3, first 2 shown]
	s_delay_alu instid0(VALU_DEP_3) | instskip(NEXT) | instid1(VALU_DEP_3)
	v_and_or_b32 v1, 0xffff, v1, v64
	v_and_or_b32 v2, 0xffff, v2, v63
	s_delay_alu instid0(VALU_DEP_3)
	v_and_or_b32 v3, 0xffff, v3, v62
	;;#ASMSTART
	v_pk_mul_f16 v1, v37, v1;

	;;#ASMEND
	;;#ASMSTART
	v_pk_mul_f16 v2, v35, v2;

	;;#ASMEND
	;; [unrolled: 4-line block ×4, first 2 shown]
	;;#ASMSTART
	v_pk_add_f16 v1, v1, v2;

	;;#ASMEND
	;;#ASMSTART
	v_pk_add_f16 v1, v1, v3;

	;;#ASMEND
	;; [unrolled: 4-line block ×3, first 2 shown]
	v_and_b32_e32 v2, 0xffff, v1
	v_lshrrev_b32_e32 v1, 16, v1
	;;#ASMSTART
	v_cvt_f32_f16 v63, v2;
	;;#ASMEND
	;;#ASMSTART
	v_cvt_f32_f16 v64, v1;
	;;#ASMEND
	global_load_b128 v[1:4], v[7:8], off offset:5632
	s_wait_loadcnt 0x0
	v_lshrrev_b32_e32 v62, 16, v1
	v_lshrrev_b32_e32 v8, 16, v2
	;; [unrolled: 1-line block ×3, first 2 shown]
	s_and_saveexec_b32 s0, vcc_lo
	s_cbranch_execz .LBB120_28
; %bb.52:                               ;   in Loop: Header=BB120_29 Depth=1
	v_cmp_gt_i32_e32 vcc_lo, s25, v36
	v_and_b32_e32 v36, 0xffff, v4
	s_wait_alu 0xfffd
	v_dual_cndmask_b32 v1, 0, v1 :: v_dual_and_b32 v4, 0xffff0000, v4
	v_cmp_gt_i32_e32 vcc_lo, s25, v41
	s_wait_alu 0xfffd
	v_cndmask_b32_e32 v62, 0, v62, vcc_lo
	v_cmp_gt_i32_e32 vcc_lo, s25, v40
	s_wait_alu 0xfffd
	v_cndmask_b32_e32 v2, 0, v2, vcc_lo
	;; [unrolled: 3-line block ×5, first 2 shown]
	v_cmp_gt_i32_e32 vcc_lo, s25, v32
	s_delay_alu instid0(VALU_DEP_2)
	v_or_b32_e32 v4, v33, v4
	s_wait_alu 0xfffd
	v_cndmask_b32_e32 v3, 0, v3, vcc_lo
	v_cmp_gt_i32_e32 vcc_lo, s25, v31
	s_wait_alu 0xfffd
	v_cndmask_b32_e32 v7, 0, v7, vcc_lo
	s_branch .LBB120_28
.LBB120_53:
	s_or_b32 exec_lo, exec_lo, s3
.LBB120_54:
	s_wait_alu 0xfffe
	s_or_b32 exec_lo, exec_lo, s1
	ds_bpermute_b32 v1, v14, v24
	ds_bpermute_b32 v27, v14, v17
	;; [unrolled: 1-line block ×12, first 2 shown]
	v_mul_u32_u24_e32 v9, 0x180, v9
	s_mov_b32 s0, exec_lo
	s_wait_storecnt 0x0
	s_wait_loadcnt_dscnt 0x0
	s_barrier_signal -1
	s_barrier_wait -1
	global_inv scope:SCOPE_SE
	v_add_f32_e32 v1, v24, v1
	v_dual_add_f32 v17, v17, v27 :: v_dual_add_f32 v2, v26, v2
	v_dual_add_f32 v3, v25, v3 :: v_dual_add_f32 v4, v23, v4
	;; [unrolled: 1-line block ×4, first 2 shown]
	v_add_f32_e32 v18, v18, v11
	v_dual_add_f32 v16, v16, v28 :: v_dual_add_f32 v21, v15, v14
	ds_bpermute_b32 v7, v13, v1
	ds_bpermute_b32 v28, v13, v17
	;; [unrolled: 1-line block ×12, first 2 shown]
	s_wait_dscnt 0xb
	v_add_f32_e32 v15, v1, v7
	s_wait_dscnt 0xa
	v_add_f32_e32 v1, v17, v28
	s_wait_dscnt 0x9
	v_dual_add_f32 v14, v2, v8 :: v_dual_and_b32 v17, 28, v10
	s_wait_dscnt 0x8
	v_add_f32_e32 v13, v3, v11
	s_wait_dscnt 0x6
	v_dual_add_f32 v11, v4, v22 :: v_dual_add_f32 v8, v5, v23
	s_wait_dscnt 0x5
	v_add_f32_e32 v7, v6, v24
	s_wait_dscnt 0x2
	v_dual_add_f32 v5, v20, v25 :: v_dual_add_f32 v2, v18, v27
	v_dual_add_f32 v3, v19, v26 :: v_dual_and_b32 v18, 0x3c3, v0
	s_wait_dscnt 0x1
	v_add_f32_e32 v4, v16, v29
	s_wait_dscnt 0x0
	v_add_f32_e32 v6, v21, v30
	v_lshrrev_b32_e32 v16, 2, v10
	v_add_nc_u32_e32 v10, 0xe0, v17
	v_cmpx_eq_u32_e32 64, v18
	s_cbranch_execz .LBB120_56
; %bb.55:
	s_delay_alu instid0(VALU_DEP_2) | instskip(NEXT) | instid1(VALU_DEP_1)
	v_add_nc_u32_e32 v17, v10, v9
	v_add_nc_u32_e32 v18, 0xfffffd00, v17
	;; [unrolled: 1-line block ×13, first 2 shown]
	ds_store_b32 v18, v15
	ds_store_b32 v19, v14
	;; [unrolled: 1-line block ×12, first 2 shown]
.LBB120_56:
	s_wait_alu 0xfffe
	s_or_b32 exec_lo, exec_lo, s0
	v_lshlrev_b32_e32 v16, 2, v16
	s_mov_b32 s1, exec_lo
	v_cmp_eq_u32_e32 vcc_lo, 0, v12
	s_wait_loadcnt_dscnt 0x0
	s_barrier_signal -1
	v_add3_u32 v9, 0xe0, v9, v16
	s_barrier_wait -1
	global_inv scope:SCOPE_SE
	v_cmpx_gt_u32_e32 64, v0
	s_cbranch_execz .LBB120_71
; %bb.57:
	s_and_saveexec_b32 s0, vcc_lo
	s_cbranch_execnz .LBB120_91
; %bb.58:
	s_wait_alu 0xfffe
	s_or_b32 exec_lo, exec_lo, s0
	s_and_saveexec_b32 s0, vcc_lo
	s_cbranch_execnz .LBB120_92
.LBB120_59:
	s_wait_alu 0xfffe
	s_or_b32 exec_lo, exec_lo, s0
	s_and_saveexec_b32 s0, vcc_lo
	s_cbranch_execnz .LBB120_93
.LBB120_60:
	s_wait_alu 0xfffe
	s_or_b32 exec_lo, exec_lo, s0
	s_and_saveexec_b32 s0, vcc_lo
	s_cbranch_execnz .LBB120_94
.LBB120_61:
	s_wait_alu 0xfffe
	s_or_b32 exec_lo, exec_lo, s0
	s_and_saveexec_b32 s0, vcc_lo
	s_cbranch_execnz .LBB120_95
.LBB120_62:
	s_wait_alu 0xfffe
	s_or_b32 exec_lo, exec_lo, s0
	s_and_saveexec_b32 s0, vcc_lo
	s_cbranch_execnz .LBB120_96
.LBB120_63:
	s_wait_alu 0xfffe
	s_or_b32 exec_lo, exec_lo, s0
	s_and_saveexec_b32 s0, vcc_lo
	s_cbranch_execnz .LBB120_97
.LBB120_64:
	s_wait_alu 0xfffe
	s_or_b32 exec_lo, exec_lo, s0
	s_and_saveexec_b32 s0, vcc_lo
	s_cbranch_execnz .LBB120_98
.LBB120_65:
	s_wait_alu 0xfffe
	s_or_b32 exec_lo, exec_lo, s0
	s_and_saveexec_b32 s0, vcc_lo
	s_cbranch_execnz .LBB120_99
.LBB120_66:
	s_wait_alu 0xfffe
	s_or_b32 exec_lo, exec_lo, s0
	s_and_saveexec_b32 s0, vcc_lo
	s_cbranch_execnz .LBB120_100
.LBB120_67:
	s_wait_alu 0xfffe
	s_or_b32 exec_lo, exec_lo, s0
	s_and_saveexec_b32 s0, vcc_lo
	s_cbranch_execnz .LBB120_101
.LBB120_68:
	s_wait_alu 0xfffe
	s_or_b32 exec_lo, exec_lo, s0
	s_and_saveexec_b32 s0, vcc_lo
	s_cbranch_execz .LBB120_70
.LBB120_69:
	ds_load_b32 v12, v9 offset:352
	s_wait_dscnt 0x0
	v_add_f32_e32 v6, v6, v12
.LBB120_70:
	s_wait_alu 0xfffe
	s_or_b32 exec_lo, exec_lo, s0
.LBB120_71:
	s_wait_alu 0xfffe
	s_or_b32 exec_lo, exec_lo, s1
	v_and_b32_e32 v12, 0x3e3, v0
	s_mov_b32 s1, exec_lo
	s_wait_loadcnt 0x0
	s_barrier_signal -1
	s_barrier_wait -1
	global_inv scope:SCOPE_SE
	v_cmpx_eq_u32_e32 32, v12
	s_cbranch_execz .LBB120_73
; %bb.72:
	ds_store_2addr_b32 v10, v15, v14 offset1:8
	ds_store_2addr_b32 v10, v13, v11 offset0:16 offset1:24
	ds_store_2addr_b32 v10, v8, v7 offset0:32 offset1:40
	;; [unrolled: 1-line block ×5, first 2 shown]
.LBB120_73:
	s_wait_alu 0xfffe
	s_or_b32 exec_lo, exec_lo, s1
	s_delay_alu instid0(SALU_CYCLE_1)
	s_mov_b32 s1, exec_lo
	s_wait_loadcnt_dscnt 0x0
	s_barrier_signal -1
	s_barrier_wait -1
	global_inv scope:SCOPE_SE
	v_cmpx_gt_u32_e32 32, v0
	s_cbranch_execz .LBB120_88
; %bb.74:
	s_and_saveexec_b32 s0, vcc_lo
	s_cbranch_execnz .LBB120_102
; %bb.75:
	s_wait_alu 0xfffe
	s_or_b32 exec_lo, exec_lo, s0
	s_and_saveexec_b32 s0, vcc_lo
	s_cbranch_execnz .LBB120_103
.LBB120_76:
	s_wait_alu 0xfffe
	s_or_b32 exec_lo, exec_lo, s0
	s_and_saveexec_b32 s0, vcc_lo
	s_cbranch_execnz .LBB120_104
.LBB120_77:
	s_wait_alu 0xfffe
	s_or_b32 exec_lo, exec_lo, s0
	s_and_saveexec_b32 s0, vcc_lo
	s_cbranch_execnz .LBB120_105
.LBB120_78:
	s_wait_alu 0xfffe
	s_or_b32 exec_lo, exec_lo, s0
	s_and_saveexec_b32 s0, vcc_lo
	s_cbranch_execnz .LBB120_106
.LBB120_79:
	s_wait_alu 0xfffe
	s_or_b32 exec_lo, exec_lo, s0
	s_and_saveexec_b32 s0, vcc_lo
	s_cbranch_execnz .LBB120_107
.LBB120_80:
	s_wait_alu 0xfffe
	s_or_b32 exec_lo, exec_lo, s0
	s_and_saveexec_b32 s0, vcc_lo
	s_cbranch_execnz .LBB120_108
.LBB120_81:
	s_wait_alu 0xfffe
	s_or_b32 exec_lo, exec_lo, s0
	s_and_saveexec_b32 s0, vcc_lo
	s_cbranch_execnz .LBB120_109
.LBB120_82:
	s_wait_alu 0xfffe
	s_or_b32 exec_lo, exec_lo, s0
	s_and_saveexec_b32 s0, vcc_lo
	s_cbranch_execnz .LBB120_110
.LBB120_83:
	s_wait_alu 0xfffe
	s_or_b32 exec_lo, exec_lo, s0
	s_and_saveexec_b32 s0, vcc_lo
	s_cbranch_execnz .LBB120_111
.LBB120_84:
	s_wait_alu 0xfffe
	s_or_b32 exec_lo, exec_lo, s0
	s_and_saveexec_b32 s0, vcc_lo
	s_cbranch_execnz .LBB120_112
.LBB120_85:
	s_wait_alu 0xfffe
	s_or_b32 exec_lo, exec_lo, s0
	s_and_saveexec_b32 s0, vcc_lo
	s_cbranch_execz .LBB120_87
.LBB120_86:
	ds_load_b32 v9, v9 offset:352
	s_wait_dscnt 0x0
	v_add_f32_e32 v6, v6, v9
.LBB120_87:
	s_wait_alu 0xfffe
	s_or_b32 exec_lo, exec_lo, s0
.LBB120_88:
	s_wait_alu 0xfffe
	s_or_b32 exec_lo, exec_lo, s1
	s_mov_b32 s1, 0
	s_wait_loadcnt 0x0
	s_barrier_signal -1
	s_barrier_wait -1
	global_inv scope:SCOPE_SE
	s_mov_b32 s0, exec_lo
	v_cmpx_eq_u32_e32 0, v12
	s_cbranch_execz .LBB120_90
; %bb.89:
	s_mul_i32 s2, s20, 0x60
	s_wait_kmcnt 0x0
	s_mul_i32 s4, s8, s12
	s_wait_alu 0xfffe
	s_ashr_i32 s3, s2, 31
	s_ashr_i32 s5, s4, 31
	s_wait_alu 0xfffe
	s_lshl_b64 s[2:3], s[2:3], 1
	s_lshl_b64 s[4:5], s[4:5], 1
	s_wait_alu 0xfffe
	s_add_nc_u64 s[2:3], s[18:19], s[2:3]
	v_lshrrev_b32_e32 v0, 1, v0
	s_mul_i32 s0, s24, 0xc0
	s_wait_alu 0xfffe
	s_add_nc_u64 s[2:3], s[2:3], s[4:5]
	;;#ASMSTART
	v_cvt_f16_f32 v9, v15;

	;;#ASMEND
	s_wait_alu 0xfffe
	s_add_nc_u64 s[0:1], s[2:3], s[0:1]
	global_store_b16 v0, v9, s[0:1]
	;;#ASMSTART
	v_cvt_f16_f32 v9, v14;

	;;#ASMEND
	global_store_b16 v0, v9, s[0:1] offset:16
	;;#ASMSTART
	v_cvt_f16_f32 v9, v13;

	;;#ASMEND
	global_store_b16 v0, v9, s[0:1] offset:32
	;; [unrolled: 5-line block ×11, first 2 shown]
.LBB120_90:
	s_nop 0
	s_sendmsg sendmsg(MSG_DEALLOC_VGPRS)
	s_endpgm
.LBB120_91:
	ds_load_b32 v12, v9
	s_wait_dscnt 0x0
	v_add_f32_e32 v15, v15, v12
	s_wait_alu 0xfffe
	s_or_b32 exec_lo, exec_lo, s0
	s_and_saveexec_b32 s0, vcc_lo
	s_cbranch_execz .LBB120_59
.LBB120_92:
	ds_load_b32 v12, v9 offset:32
	s_wait_dscnt 0x0
	v_add_f32_e32 v14, v14, v12
	s_wait_alu 0xfffe
	s_or_b32 exec_lo, exec_lo, s0
	s_and_saveexec_b32 s0, vcc_lo
	s_cbranch_execz .LBB120_60
.LBB120_93:
	ds_load_b32 v12, v9 offset:64
	s_wait_dscnt 0x0
	v_add_f32_e32 v13, v13, v12
	s_wait_alu 0xfffe
	s_or_b32 exec_lo, exec_lo, s0
	s_and_saveexec_b32 s0, vcc_lo
	s_cbranch_execz .LBB120_61
.LBB120_94:
	ds_load_b32 v12, v9 offset:96
	s_wait_dscnt 0x0
	v_add_f32_e32 v11, v11, v12
	s_wait_alu 0xfffe
	s_or_b32 exec_lo, exec_lo, s0
	s_and_saveexec_b32 s0, vcc_lo
	s_cbranch_execz .LBB120_62
.LBB120_95:
	ds_load_b32 v12, v9 offset:128
	s_wait_dscnt 0x0
	v_add_f32_e32 v8, v8, v12
	s_wait_alu 0xfffe
	s_or_b32 exec_lo, exec_lo, s0
	s_and_saveexec_b32 s0, vcc_lo
	s_cbranch_execz .LBB120_63
.LBB120_96:
	ds_load_b32 v12, v9 offset:160
	s_wait_dscnt 0x0
	v_add_f32_e32 v7, v7, v12
	s_wait_alu 0xfffe
	s_or_b32 exec_lo, exec_lo, s0
	s_and_saveexec_b32 s0, vcc_lo
	s_cbranch_execz .LBB120_64
.LBB120_97:
	ds_load_b32 v12, v9 offset:192
	s_wait_dscnt 0x0
	v_add_f32_e32 v5, v5, v12
	s_wait_alu 0xfffe
	s_or_b32 exec_lo, exec_lo, s0
	s_and_saveexec_b32 s0, vcc_lo
	s_cbranch_execz .LBB120_65
.LBB120_98:
	ds_load_b32 v12, v9 offset:224
	s_wait_dscnt 0x0
	v_add_f32_e32 v3, v3, v12
	s_wait_alu 0xfffe
	s_or_b32 exec_lo, exec_lo, s0
	s_and_saveexec_b32 s0, vcc_lo
	s_cbranch_execz .LBB120_66
.LBB120_99:
	ds_load_b32 v12, v9 offset:256
	s_wait_dscnt 0x0
	v_add_f32_e32 v2, v2, v12
	s_wait_alu 0xfffe
	s_or_b32 exec_lo, exec_lo, s0
	s_and_saveexec_b32 s0, vcc_lo
	s_cbranch_execz .LBB120_67
.LBB120_100:
	ds_load_b32 v12, v9 offset:288
	s_wait_dscnt 0x0
	v_add_f32_e32 v1, v1, v12
	s_wait_alu 0xfffe
	s_or_b32 exec_lo, exec_lo, s0
	s_and_saveexec_b32 s0, vcc_lo
	s_cbranch_execz .LBB120_68
.LBB120_101:
	ds_load_b32 v12, v9 offset:320
	s_wait_dscnt 0x0
	v_add_f32_e32 v4, v4, v12
	s_wait_alu 0xfffe
	s_or_b32 exec_lo, exec_lo, s0
	s_and_saveexec_b32 s0, vcc_lo
	s_cbranch_execnz .LBB120_69
	s_branch .LBB120_70
.LBB120_102:
	ds_load_b32 v10, v9
	s_wait_dscnt 0x0
	v_add_f32_e32 v15, v15, v10
	s_wait_alu 0xfffe
	s_or_b32 exec_lo, exec_lo, s0
	s_and_saveexec_b32 s0, vcc_lo
	s_cbranch_execz .LBB120_76
.LBB120_103:
	ds_load_b32 v10, v9 offset:32
	s_wait_dscnt 0x0
	v_add_f32_e32 v14, v14, v10
	s_wait_alu 0xfffe
	s_or_b32 exec_lo, exec_lo, s0
	s_and_saveexec_b32 s0, vcc_lo
	s_cbranch_execz .LBB120_77
.LBB120_104:
	ds_load_b32 v10, v9 offset:64
	s_wait_dscnt 0x0
	v_add_f32_e32 v13, v13, v10
	s_wait_alu 0xfffe
	s_or_b32 exec_lo, exec_lo, s0
	s_and_saveexec_b32 s0, vcc_lo
	s_cbranch_execz .LBB120_78
.LBB120_105:
	ds_load_b32 v10, v9 offset:96
	s_wait_dscnt 0x0
	v_add_f32_e32 v11, v11, v10
	s_wait_alu 0xfffe
	s_or_b32 exec_lo, exec_lo, s0
	s_and_saveexec_b32 s0, vcc_lo
	s_cbranch_execz .LBB120_79
.LBB120_106:
	ds_load_b32 v10, v9 offset:128
	s_wait_dscnt 0x0
	v_add_f32_e32 v8, v8, v10
	s_wait_alu 0xfffe
	s_or_b32 exec_lo, exec_lo, s0
	s_and_saveexec_b32 s0, vcc_lo
	s_cbranch_execz .LBB120_80
.LBB120_107:
	ds_load_b32 v10, v9 offset:160
	s_wait_dscnt 0x0
	v_add_f32_e32 v7, v7, v10
	s_wait_alu 0xfffe
	s_or_b32 exec_lo, exec_lo, s0
	s_and_saveexec_b32 s0, vcc_lo
	s_cbranch_execz .LBB120_81
.LBB120_108:
	ds_load_b32 v10, v9 offset:192
	s_wait_dscnt 0x0
	v_add_f32_e32 v5, v5, v10
	s_wait_alu 0xfffe
	s_or_b32 exec_lo, exec_lo, s0
	s_and_saveexec_b32 s0, vcc_lo
	s_cbranch_execz .LBB120_82
.LBB120_109:
	ds_load_b32 v10, v9 offset:224
	s_wait_dscnt 0x0
	v_add_f32_e32 v3, v3, v10
	s_wait_alu 0xfffe
	s_or_b32 exec_lo, exec_lo, s0
	s_and_saveexec_b32 s0, vcc_lo
	s_cbranch_execz .LBB120_83
.LBB120_110:
	ds_load_b32 v10, v9 offset:256
	s_wait_dscnt 0x0
	v_add_f32_e32 v2, v2, v10
	s_wait_alu 0xfffe
	s_or_b32 exec_lo, exec_lo, s0
	s_and_saveexec_b32 s0, vcc_lo
	s_cbranch_execz .LBB120_84
.LBB120_111:
	ds_load_b32 v10, v9 offset:288
	s_wait_dscnt 0x0
	v_add_f32_e32 v1, v1, v10
	s_wait_alu 0xfffe
	s_or_b32 exec_lo, exec_lo, s0
	s_and_saveexec_b32 s0, vcc_lo
	s_cbranch_execz .LBB120_85
.LBB120_112:
	ds_load_b32 v10, v9 offset:320
	s_wait_dscnt 0x0
	v_add_f32_e32 v4, v4, v10
	s_wait_alu 0xfffe
	s_or_b32 exec_lo, exec_lo, s0
	s_and_saveexec_b32 s0, vcc_lo
	s_cbranch_execnz .LBB120_86
	s_branch .LBB120_87
	.section	.rodata,"a",@progbits
	.p2align	6, 0x0
	.amdhsa_kernel _ZN4vllm25paged_attention_v2_kernelIttLi96ELi32ELi128ELNS_18Fp8KVCacheDataTypeE0ELb0ELi512EEEvPfS2_PT_PKS3_PKT0_S9_ifPKiSB_iPKfiiiSD_SD_iiiii
		.amdhsa_group_segment_fixed_size 224
		.amdhsa_private_segment_fixed_size 0
		.amdhsa_kernarg_size 400
		.amdhsa_user_sgpr_count 2
		.amdhsa_user_sgpr_dispatch_ptr 0
		.amdhsa_user_sgpr_queue_ptr 0
		.amdhsa_user_sgpr_kernarg_segment_ptr 1
		.amdhsa_user_sgpr_dispatch_id 0
		.amdhsa_user_sgpr_private_segment_size 0
		.amdhsa_wavefront_size32 1
		.amdhsa_uses_dynamic_stack 0
		.amdhsa_enable_private_segment 0
		.amdhsa_system_sgpr_workgroup_id_x 1
		.amdhsa_system_sgpr_workgroup_id_y 1
		.amdhsa_system_sgpr_workgroup_id_z 1
		.amdhsa_system_sgpr_workgroup_info 0
		.amdhsa_system_vgpr_workitem_id 0
		.amdhsa_next_free_vgpr 157
		.amdhsa_next_free_sgpr 36
		.amdhsa_reserve_vcc 1
		.amdhsa_float_round_mode_32 0
		.amdhsa_float_round_mode_16_64 0
		.amdhsa_float_denorm_mode_32 3
		.amdhsa_float_denorm_mode_16_64 3
		.amdhsa_fp16_overflow 0
		.amdhsa_workgroup_processor_mode 1
		.amdhsa_memory_ordered 1
		.amdhsa_forward_progress 1
		.amdhsa_inst_pref_size 83
		.amdhsa_round_robin_scheduling 0
		.amdhsa_exception_fp_ieee_invalid_op 0
		.amdhsa_exception_fp_denorm_src 0
		.amdhsa_exception_fp_ieee_div_zero 0
		.amdhsa_exception_fp_ieee_overflow 0
		.amdhsa_exception_fp_ieee_underflow 0
		.amdhsa_exception_fp_ieee_inexact 0
		.amdhsa_exception_int_div_zero 0
	.end_amdhsa_kernel
	.section	.text._ZN4vllm25paged_attention_v2_kernelIttLi96ELi32ELi128ELNS_18Fp8KVCacheDataTypeE0ELb0ELi512EEEvPfS2_PT_PKS3_PKT0_S9_ifPKiSB_iPKfiiiSD_SD_iiiii,"axG",@progbits,_ZN4vllm25paged_attention_v2_kernelIttLi96ELi32ELi128ELNS_18Fp8KVCacheDataTypeE0ELb0ELi512EEEvPfS2_PT_PKS3_PKT0_S9_ifPKiSB_iPKfiiiSD_SD_iiiii,comdat
.Lfunc_end120:
	.size	_ZN4vllm25paged_attention_v2_kernelIttLi96ELi32ELi128ELNS_18Fp8KVCacheDataTypeE0ELb0ELi512EEEvPfS2_PT_PKS3_PKT0_S9_ifPKiSB_iPKfiiiSD_SD_iiiii, .Lfunc_end120-_ZN4vllm25paged_attention_v2_kernelIttLi96ELi32ELi128ELNS_18Fp8KVCacheDataTypeE0ELb0ELi512EEEvPfS2_PT_PKS3_PKT0_S9_ifPKiSB_iPKfiiiSD_SD_iiiii
                                        ; -- End function
	.set _ZN4vllm25paged_attention_v2_kernelIttLi96ELi32ELi128ELNS_18Fp8KVCacheDataTypeE0ELb0ELi512EEEvPfS2_PT_PKS3_PKT0_S9_ifPKiSB_iPKfiiiSD_SD_iiiii.num_vgpr, 157
	.set _ZN4vllm25paged_attention_v2_kernelIttLi96ELi32ELi128ELNS_18Fp8KVCacheDataTypeE0ELb0ELi512EEEvPfS2_PT_PKS3_PKT0_S9_ifPKiSB_iPKfiiiSD_SD_iiiii.num_agpr, 0
	.set _ZN4vllm25paged_attention_v2_kernelIttLi96ELi32ELi128ELNS_18Fp8KVCacheDataTypeE0ELb0ELi512EEEvPfS2_PT_PKS3_PKT0_S9_ifPKiSB_iPKfiiiSD_SD_iiiii.numbered_sgpr, 36
	.set _ZN4vllm25paged_attention_v2_kernelIttLi96ELi32ELi128ELNS_18Fp8KVCacheDataTypeE0ELb0ELi512EEEvPfS2_PT_PKS3_PKT0_S9_ifPKiSB_iPKfiiiSD_SD_iiiii.num_named_barrier, 0
	.set _ZN4vllm25paged_attention_v2_kernelIttLi96ELi32ELi128ELNS_18Fp8KVCacheDataTypeE0ELb0ELi512EEEvPfS2_PT_PKS3_PKT0_S9_ifPKiSB_iPKfiiiSD_SD_iiiii.private_seg_size, 0
	.set _ZN4vllm25paged_attention_v2_kernelIttLi96ELi32ELi128ELNS_18Fp8KVCacheDataTypeE0ELb0ELi512EEEvPfS2_PT_PKS3_PKT0_S9_ifPKiSB_iPKfiiiSD_SD_iiiii.uses_vcc, 1
	.set _ZN4vllm25paged_attention_v2_kernelIttLi96ELi32ELi128ELNS_18Fp8KVCacheDataTypeE0ELb0ELi512EEEvPfS2_PT_PKS3_PKT0_S9_ifPKiSB_iPKfiiiSD_SD_iiiii.uses_flat_scratch, 0
	.set _ZN4vllm25paged_attention_v2_kernelIttLi96ELi32ELi128ELNS_18Fp8KVCacheDataTypeE0ELb0ELi512EEEvPfS2_PT_PKS3_PKT0_S9_ifPKiSB_iPKfiiiSD_SD_iiiii.has_dyn_sized_stack, 0
	.set _ZN4vllm25paged_attention_v2_kernelIttLi96ELi32ELi128ELNS_18Fp8KVCacheDataTypeE0ELb0ELi512EEEvPfS2_PT_PKS3_PKT0_S9_ifPKiSB_iPKfiiiSD_SD_iiiii.has_recursion, 0
	.set _ZN4vllm25paged_attention_v2_kernelIttLi96ELi32ELi128ELNS_18Fp8KVCacheDataTypeE0ELb0ELi512EEEvPfS2_PT_PKS3_PKT0_S9_ifPKiSB_iPKfiiiSD_SD_iiiii.has_indirect_call, 0
	.section	.AMDGPU.csdata,"",@progbits
; Kernel info:
; codeLenInByte = 10580
; TotalNumSgprs: 38
; NumVgprs: 157
; ScratchSize: 0
; MemoryBound: 0
; FloatMode: 240
; IeeeMode: 1
; LDSByteSize: 224 bytes/workgroup (compile time only)
; SGPRBlocks: 0
; VGPRBlocks: 19
; NumSGPRsForWavesPerEU: 38
; NumVGPRsForWavesPerEU: 157
; Occupancy: 9
; WaveLimiterHint : 1
; COMPUTE_PGM_RSRC2:SCRATCH_EN: 0
; COMPUTE_PGM_RSRC2:USER_SGPR: 2
; COMPUTE_PGM_RSRC2:TRAP_HANDLER: 0
; COMPUTE_PGM_RSRC2:TGID_X_EN: 1
; COMPUTE_PGM_RSRC2:TGID_Y_EN: 1
; COMPUTE_PGM_RSRC2:TGID_Z_EN: 1
; COMPUTE_PGM_RSRC2:TIDIG_COMP_CNT: 0
	.section	.text._ZN4vllm25paged_attention_v2_kernelIttLi112ELi32ELi128ELNS_18Fp8KVCacheDataTypeE0ELb0ELi512EEEvPfS2_PT_PKS3_PKT0_S9_ifPKiSB_iPKfiiiSD_SD_iiiii,"axG",@progbits,_ZN4vllm25paged_attention_v2_kernelIttLi112ELi32ELi128ELNS_18Fp8KVCacheDataTypeE0ELb0ELi512EEEvPfS2_PT_PKS3_PKT0_S9_ifPKiSB_iPKfiiiSD_SD_iiiii,comdat
	.protected	_ZN4vllm25paged_attention_v2_kernelIttLi112ELi32ELi128ELNS_18Fp8KVCacheDataTypeE0ELb0ELi512EEEvPfS2_PT_PKS3_PKT0_S9_ifPKiSB_iPKfiiiSD_SD_iiiii ; -- Begin function _ZN4vllm25paged_attention_v2_kernelIttLi112ELi32ELi128ELNS_18Fp8KVCacheDataTypeE0ELb0ELi512EEEvPfS2_PT_PKS3_PKT0_S9_ifPKiSB_iPKfiiiSD_SD_iiiii
	.globl	_ZN4vllm25paged_attention_v2_kernelIttLi112ELi32ELi128ELNS_18Fp8KVCacheDataTypeE0ELb0ELi512EEEvPfS2_PT_PKS3_PKT0_S9_ifPKiSB_iPKfiiiSD_SD_iiiii
	.p2align	8
	.type	_ZN4vllm25paged_attention_v2_kernelIttLi112ELi32ELi128ELNS_18Fp8KVCacheDataTypeE0ELb0ELi512EEEvPfS2_PT_PKS3_PKT0_S9_ifPKiSB_iPKfiiiSD_SD_iiiii,@function
_ZN4vllm25paged_attention_v2_kernelIttLi112ELi32ELi128ELNS_18Fp8KVCacheDataTypeE0ELb0ELi512EEEvPfS2_PT_PKS3_PKT0_S9_ifPKiSB_iPKfiiiSD_SD_iiiii: ; @_ZN4vllm25paged_attention_v2_kernelIttLi112ELi32ELi128ELNS_18Fp8KVCacheDataTypeE0ELb0ELi512EEEvPfS2_PT_PKS3_PKT0_S9_ifPKiSB_iPKfiiiSD_SD_iiiii
; %bb.0:
	s_load_b64 s[2:3], s[0:1], 0x40
	s_and_b32 s20, ttmp7, 0xffff
	s_lshr_b32 s24, ttmp7, 16
	s_lshl_b32 s4, s20, 2
	s_lshl_b32 s26, s24, 9
	s_wait_kmcnt 0x0
	s_load_b32 s25, s[2:3], s4 offset:0x0
	s_wait_kmcnt 0x0
	s_cmp_ge_i32 s26, s25
	s_cbranch_scc1 .LBB121_98
; %bb.1:
	s_clause 0x1
	s_load_b32 s21, s[0:1], 0x90
	s_load_b64 s[4:5], s[0:1], 0x30
	s_wait_kmcnt 0x0
	s_abs_i32 s7, s21
	s_abs_i32 s2, s4
	s_xor_b32 s4, s21, s4
	s_cvt_f32_u32 s3, s2
	s_sub_co_i32 s6, 0, s2
	s_ashr_i32 s4, s4, 31
	s_delay_alu instid0(SALU_CYCLE_1) | instskip(NEXT) | instid1(TRANS32_DEP_1)
	v_rcp_iflag_f32_e32 v1, s3
	v_readfirstlane_b32 s3, v1
	s_mul_f32 s3, s3, 0x4f7ffffe
	s_wait_alu 0xfffe
	s_delay_alu instid0(SALU_CYCLE_2) | instskip(SKIP_1) | instid1(SALU_CYCLE_2)
	s_cvt_u32_f32 s3, s3
	s_wait_alu 0xfffe
	s_mul_i32 s6, s6, s3
	s_delay_alu instid0(SALU_CYCLE_1) | instskip(NEXT) | instid1(SALU_CYCLE_1)
	s_mul_hi_u32 s6, s3, s6
	s_add_co_i32 s3, s3, s6
	s_wait_alu 0xfffe
	s_mul_hi_u32 s3, s7, s3
	s_wait_alu 0xfffe
	s_mul_i32 s6, s3, s2
	s_delay_alu instid0(SALU_CYCLE_1)
	s_sub_co_i32 s6, s7, s6
	s_add_co_i32 s7, s3, 1
	s_sub_co_i32 s8, s6, s2
	s_cmp_ge_u32 s6, s2
	s_cselect_b32 s3, s7, s3
	s_cselect_b32 s6, s8, s6
	s_wait_alu 0xfffe
	s_add_co_i32 s7, s3, 1
	s_cmp_ge_u32 s6, s2
	s_load_b64 s[8:9], s[0:1], 0x50
	s_cselect_b32 s2, s7, s3
	s_mov_b32 s3, 0
	s_wait_alu 0xfffe
	s_xor_b32 s2, s2, s4
	s_mov_b32 s18, s3
	s_wait_alu 0xfffe
	s_sub_co_i32 s11, s2, s4
	s_delay_alu instid0(SALU_CYCLE_1) | instskip(NEXT) | instid1(SALU_CYCLE_1)
	s_abs_i32 s4, s11
	s_cvt_f32_u32 s2, s4
	s_wait_alu 0xfffe
	s_delay_alu instid0(SALU_CYCLE_2) | instskip(NEXT) | instid1(TRANS32_DEP_1)
	v_rcp_iflag_f32_e32 v1, s2
	v_readfirstlane_b32 s2, v1
	s_mul_f32 s2, s2, 0x4f7ffffe
	s_wait_alu 0xfffe
	s_delay_alu instid0(SALU_CYCLE_2) | instskip(SKIP_2) | instid1(SALU_CYCLE_1)
	s_cvt_u32_f32 s6, s2
	s_sub_co_i32 s2, 0, s4
	s_wait_alu 0xfffe
	s_mul_i32 s2, s2, s6
	s_wait_alu 0xfffe
	s_mul_hi_u32 s7, s6, s2
	s_abs_i32 s2, ttmp9
	s_add_co_i32 s6, s6, s7
	s_mov_b32 s7, s3
	s_wait_kmcnt 0x0
	s_cmp_eq_u64 s[8:9], 0
	s_cbranch_scc1 .LBB121_3
; %bb.2:
	s_mov_b32 s12, ttmp9
	s_ashr_i32 s13, ttmp9, 31
	s_delay_alu instid0(SALU_CYCLE_1) | instskip(NEXT) | instid1(SALU_CYCLE_1)
	s_lshl_b64 s[12:13], s[12:13], 2
	s_add_nc_u64 s[8:9], s[8:9], s[12:13]
	s_load_b32 s18, s[8:9], 0x0
.LBB121_3:
	s_load_b96 s[8:10], s[0:1], 0x58
	v_lshlrev_b32_e32 v7, 4, v0
	s_mul_u64 s[6:7], s[2:3], s[6:7]
	s_ashr_i32 s3, ttmp9, 31
	s_ashr_i32 s6, s11, 31
	s_mul_i32 s12, ttmp9, 0x70
	s_mov_b32 s11, exec_lo
	v_cmpx_gt_u32_e32 14, v0
	s_cbranch_execz .LBB121_5
; %bb.4:
	s_load_b64 s[14:15], s[0:1], 0x18
	s_wait_kmcnt 0x0
	s_mul_i32 s16, s8, s20
	s_ashr_i32 s13, s12, 31
	s_ashr_i32 s17, s16, 31
	s_delay_alu instid0(SALU_CYCLE_1) | instskip(NEXT) | instid1(SALU_CYCLE_1)
	s_lshl_b64 s[16:17], s[16:17], 1
	s_add_nc_u64 s[14:15], s[14:15], s[16:17]
	s_lshl_b64 s[16:17], s[12:13], 1
	s_delay_alu instid0(SALU_CYCLE_1)
	s_add_nc_u64 s[14:15], s[14:15], s[16:17]
	global_load_b128 v[1:4], v7, s[14:15]
	s_wait_loadcnt 0x0
	ds_store_b128 v7, v[1:4]
.LBB121_5:
	s_or_b32 exec_lo, exec_lo, s11
	s_wait_kmcnt 0x0
	s_add_co_i32 s8, s25, 31
	s_lshl_b32 s28, s24, 4
	s_ashr_i32 s11, s8, 31
	s_wait_alu 0xfffe
	s_xor_b32 s3, s3, s6
	s_lshr_b32 s11, s11, 27
	s_add_co_i32 s6, s7, 1
	s_add_co_i32 s8, s8, s11
	s_add_co_i32 s11, s28, 16
	s_ashr_i32 s27, s8, 5
	s_clause 0x2
	s_load_b64 s[14:15], s[0:1], 0x38
	s_load_b32 s8, s[0:1], 0x98
	s_load_b32 s16, s[0:1], 0x48
	s_min_i32 s13, s11, s27
	s_mul_i32 s11, s7, s4
	v_lshrrev_b32_e32 v9, 5, v0
	s_sub_co_i32 s2, s2, s11
	v_dual_mov_b32 v13, 0xff7fffff :: v_dual_and_b32 v10, 31, v0
	s_wait_alu 0xfffe
	s_sub_co_i32 s11, s2, s4
	s_cmp_ge_u32 s2, s4
	v_add_nc_u32_e32 v11, s28, v9
	s_cselect_b32 s6, s6, s7
	s_cselect_b32 s2, s11, s2
	s_add_co_i32 s7, s6, 1
	s_wait_alu 0xfffe
	s_cmp_ge_u32 s2, s4
	v_lshlrev_b32_e32 v12, 2, v10
	s_cselect_b32 s2, s7, s6
	v_lshlrev_b32_e32 v8, 2, v11
	s_wait_alu 0xfffe
	s_xor_b32 s2, s2, s3
	s_wait_dscnt 0x0
	s_wait_alu 0xfffe
	s_sub_co_i32 s3, s2, s3
	v_cmp_gt_i32_e64 s2, s13, v11
	s_wait_kmcnt 0x0
	s_mul_i32 s16, s16, s20
	s_wait_alu 0xfffe
	s_mul_i32 s10, s3, s10
	s_ashr_i32 s17, s16, 31
	s_barrier_signal -1
	s_barrier_wait -1
	global_inv scope:SCOPE_SE
	s_and_saveexec_b32 s6, s2
	s_cbranch_execz .LBB121_9
; %bb.6:
	s_load_b64 s[22:23], s[0:1], 0x20
	s_ashr_i32 s11, s10, 31
	v_dual_mov_b32 v14, 0 :: v_dual_lshlrev_b32 v1, 4, v10
	s_lshl_b64 s[30:31], s[10:11], 1
	s_cmp_neq_f32 s18, 0
	v_dual_mov_b32 v13, 0xff7fffff :: v_dual_lshlrev_b32 v2, 5, v9
	v_lshl_or_b32 v3, v9, 7, v12
	s_cselect_b32 vcc_lo, -1, 0
	s_lshl_b64 s[34:35], s[16:17], 2
	s_delay_alu instid0(VALU_DEP_2)
	v_add3_u32 v15, s26, v2, v10
	s_add_nc_u64 s[34:35], s[14:15], s[34:35]
	v_dual_mov_b32 v19, v11 :: v_dual_add_nc_u32 v16, 0x100, v3
	v_add_co_u32 v5, s3, s34, v8
	s_wait_alu 0xf1ff
	v_add_co_ci_u32_e64 v6, null, s35, 0, s3
	s_mov_b32 s11, s9
	s_wait_kmcnt 0x0
	s_add_nc_u64 s[22:23], s[22:23], s[30:31]
	s_mov_b32 s7, 0
	v_add_co_u32 v17, s3, s22, v1
	s_wait_alu 0xf1ff
	v_add_co_ci_u32_e64 v18, null, s23, 0, s3
	s_sub_co_i32 s19, 1, s25
.LBB121_7:                              ; =>This Inner Loop Header: Depth=1
	global_load_b32 v20, v[5:6], off
	ds_load_b128 v[1:4], v14
	v_dual_max_num_f32 v21, v13, v13 :: v_dual_add_nc_u32 v22, s19, v15
	v_add_nc_u32_e32 v19, 4, v19
	s_delay_alu instid0(VALU_DEP_2) | instskip(NEXT) | instid1(VALU_DEP_2)
	v_cvt_f32_i32_e32 v22, v22
	v_cmp_le_i32_e64 s4, s13, v19
	s_delay_alu instid0(VALU_DEP_2)
	v_mul_f32_e32 v22, s18, v22
	s_or_b32 s7, s4, s7
	s_wait_dscnt 0x0
	v_lshrrev_b32_e32 v76, 16, v1
	v_and_b32_e32 v75, 0xffff, v1
	v_lshrrev_b32_e32 v77, 16, v2
	v_and_b32_e32 v78, 0xffff, v2
	;; [unrolled: 2-line block ×4, first 2 shown]
	s_wait_loadcnt 0x0
	v_mad_co_i64_i32 v[1:2], null, v20, s11, 0
	s_delay_alu instid0(VALU_DEP_1) | instskip(NEXT) | instid1(VALU_DEP_1)
	v_lshlrev_b64_e32 v[1:2], 1, v[1:2]
	v_add_co_u32 v71, s3, v17, v1
	s_wait_alu 0xf1ff
	s_delay_alu instid0(VALU_DEP_2)
	v_add_co_ci_u32_e64 v72, null, v18, v2, s3
	s_clause 0xd
	global_load_b128 v[1:4], v[71:72], off
	global_load_b128 v[23:26], v[71:72], off offset:512
	global_load_b128 v[27:30], v[71:72], off offset:1024
	;; [unrolled: 1-line block ×13, first 2 shown]
	;;#ASMSTART
	v_cvt_f32_f16 v75, v75;
	;;#ASMEND
	;;#ASMSTART
	v_cvt_f32_f16 v76, v76;
	;;#ASMEND
	v_add_co_u32 v5, s3, v5, 16
	s_wait_alu 0xf1ff
	v_add_co_ci_u32_e64 v6, null, 0, v6, s3
	v_cmp_gt_i32_e64 s3, s25, v15
	v_add_nc_u32_e32 v15, 0x80, v15
	s_wait_loadcnt 0xd
	v_lshrrev_b32_e32 v20, 16, v1
	v_and_b32_e32 v1, 0xffff, v1
	v_lshrrev_b32_e32 v83, 16, v2
	v_and_b32_e32 v2, 0xffff, v2
	;; [unrolled: 2-line block ×3, first 2 shown]
	v_lshrrev_b32_e32 v85, 16, v4
	s_wait_loadcnt 0x8
	v_lshrrev_b32_e32 v115, 16, v39
	s_wait_loadcnt 0x5
	v_lshrrev_b32_e32 v145, 16, v54
	v_and_b32_e32 v146, 0xffff, v54
	s_wait_loadcnt 0x4
	v_lshrrev_b32_e32 v147, 16, v55
	v_and_b32_e32 v148, 0xffff, v55
	;;#ASMSTART
	v_cvt_f32_f16 v54, v1;
	;;#ASMEND
	;;#ASMSTART
	v_cvt_f32_f16 v55, v20;
	;;#ASMEND
	v_and_b32_e32 v4, 0xffff, v4
	v_and_b32_e32 v116, 0xffff, v39
	v_lshrrev_b32_e32 v119, 16, v41
	v_and_b32_e32 v120, 0xffff, v41
	v_lshrrev_b32_e32 v121, 16, v42
	;; [unrolled: 2-line block ×12, first 2 shown]
	v_and_b32_e32 v154, 0xffff, v58
	s_wait_loadcnt 0x3
	v_lshrrev_b32_e32 v155, 16, v59
	v_and_b32_e32 v156, 0xffff, v59
	v_lshrrev_b32_e32 v157, 16, v60
	v_and_b32_e32 v158, 0xffff, v60
	;; [unrolled: 2-line block ×4, first 2 shown]
	s_wait_loadcnt 0x2
	v_lshrrev_b32_e32 v47, 16, v63
	v_and_b32_e32 v49, 0xffff, v63
	v_lshrrev_b32_e32 v45, 16, v64
	v_and_b32_e32 v48, 0xffff, v64
	;; [unrolled: 2-line block ×4, first 2 shown]
	s_wait_loadcnt 0x1
	v_lshrrev_b32_e32 v39, 16, v67
	;;#ASMSTART
	v_cvt_f32_f16 v56, v78;
	;;#ASMEND
	;;#ASMSTART
	v_cvt_f32_f16 v57, v77;
	;;#ASMEND
	;; [unrolled: 3-line block ×7, first 2 shown]
	v_and_b32_e32 v41, 0xffff, v67
	;;#ASMSTART
	v_cvt_f32_f16 v63, v84;
	;;#ASMEND
	;;#ASMSTART
	v_cvt_f32_f16 v64, v82;
	;;#ASMEND
	;; [unrolled: 3-line block ×5, first 2 shown]
	ds_load_b128 v[1:4], v14 offset:16
	v_lshrrev_b32_e32 v86, 16, v23
	v_and_b32_e32 v23, 0xffff, v23
	v_lshrrev_b32_e32 v87, 16, v24
	v_and_b32_e32 v24, 0xffff, v24
	;; [unrolled: 2-line block ×9, first 2 shown]
	v_lshrrev_b32_e32 v143, 16, v53
	s_wait_dscnt 0x0
	v_lshrrev_b32_e32 v20, 16, v1
	v_and_b32_e32 v1, 0xffff, v1
	v_and_b32_e32 v144, 0xffff, v53
	v_lshrrev_b32_e32 v37, 16, v68
	v_and_b32_e32 v40, 0xffff, v68
	s_wait_loadcnt 0x0
	v_lshrrev_b32_e32 v26, 16, v74
	v_and_b32_e32 v27, 0xffff, v74
	v_lshrrev_b32_e32 v50, 16, v2
	v_and_b32_e32 v51, 0xffff, v2
	;; [unrolled: 2-line block ×4, first 2 shown]
	;;#ASMSTART
	v_cvt_f32_f16 v1, v1;
	;;#ASMEND
	;;#ASMSTART
	v_cvt_f32_f16 v2, v20;
	;;#ASMEND
	;; [unrolled: 3-line block ×7, first 2 shown]
	v_mul_f32_e32 v23, v20, v23
	v_lshrrev_b32_e32 v88, 16, v25
	v_dual_mul_f32 v24, v1, v3 :: v_dual_and_b32 v25, 0xffff, v25
	v_lshrrev_b32_e32 v93, 16, v28
	v_and_b32_e32 v94, 0xffff, v28
	v_lshrrev_b32_e32 v95, 16, v29
	v_lshrrev_b32_e32 v97, 16, v30
	v_and_b32_e32 v98, 0xffff, v30
	v_lshrrev_b32_e32 v99, 16, v31
	v_and_b32_e32 v100, 0xffff, v31
	;; [unrolled: 2-line block ×12, first 2 shown]
	v_lshrrev_b32_e32 v28, 16, v73
	;;#ASMSTART
	v_cvt_f32_f16 v69, v87;
	;;#ASMEND
	;;#ASMSTART
	v_cvt_f32_f16 v70, v53;
	;;#ASMEND
	;; [unrolled: 3-line block ×4, first 2 shown]
	v_mul_f32_e32 v20, v68, v69
	v_dual_fmac_f32 v23, v56, v58 :: v_dual_and_b32 v96, 0xffff, v29
	v_and_b32_e32 v29, 0xffff, v73
	;;#ASMSTART
	v_cvt_f32_f16 v73, v88;
	;;#ASMEND
	v_mul_f32_e32 v3, v71, v73
	;;#ASMSTART
	v_cvt_f32_f16 v74, v74;
	;;#ASMEND
	;;#ASMSTART
	v_cvt_f32_f16 v77, v77;
	;;#ASMEND
	v_mul_f32_e32 v25, v2, v4
	s_delay_alu instid0(VALU_DEP_2)
	v_dual_mul_f32 v4, v70, v72 :: v_dual_fmac_f32 v3, v61, v63
	;;#ASMSTART
	v_cvt_f32_f16 v78, v90;
	;;#ASMEND
	;;#ASMSTART
	v_cvt_f32_f16 v79, v89;
	;;#ASMEND
	ds_load_b128 v[50:53], v14 offset:32
	v_dual_mul_f32 v2, v74, v78 :: v_dual_mul_f32 v1, v77, v79
	v_fmac_f32_e32 v24, v75, v54
	v_fmac_f32_e32 v4, v60, v62
	;; [unrolled: 1-line block ×4, first 2 shown]
	v_dual_fmac_f32 v2, v64, v66 :: v_dual_fmac_f32 v1, v65, v67
	s_wait_dscnt 0x0
	v_lshrrev_b32_e32 v55, 16, v50
	v_lshrrev_b32_e32 v59, 16, v51
	;; [unrolled: 1-line block ×3, first 2 shown]
	v_and_b32_e32 v50, 0xffff, v50
	v_and_b32_e32 v52, 0xffff, v52
	v_lshrrev_b32_e32 v67, 16, v53
	;;#ASMSTART
	v_cvt_f32_f16 v54, v50;
	;;#ASMEND
	;;#ASMSTART
	v_cvt_f32_f16 v55, v55;
	;;#ASMEND
	;;#ASMSTART
	v_cvt_f32_f16 v56, v92;
	;;#ASMEND
	;;#ASMSTART
	v_cvt_f32_f16 v57, v91;
	;;#ASMEND
	v_dual_fmac_f32 v24, v54, v56 :: v_dual_and_b32 v51, 0xffff, v51
	;;#ASMSTART
	v_cvt_f32_f16 v58, v51;
	;;#ASMEND
	;;#ASMSTART
	v_cvt_f32_f16 v59, v59;
	;;#ASMEND
	;; [unrolled: 3-line block ×6, first 2 shown]
	v_fmac_f32_e32 v23, v58, v60
	;;#ASMSTART
	v_cvt_f32_f16 v64, v96;
	;;#ASMEND
	v_dual_fmac_f32 v4, v62, v64 :: v_dual_and_b32 v53, 0xffff, v53
	;;#ASMSTART
	v_cvt_f32_f16 v65, v95;
	;;#ASMEND
	;;#ASMSTART
	v_cvt_f32_f16 v66, v53;
	;;#ASMEND
	;; [unrolled: 3-line block ×3, first 2 shown]
	v_fmac_f32_e32 v3, v63, v65
	;;#ASMSTART
	v_cvt_f32_f16 v68, v98;
	;;#ASMEND
	;;#ASMSTART
	v_cvt_f32_f16 v69, v97;
	;;#ASMEND
	ds_load_b128 v[50:53], v14 offset:48
	v_fmac_f32_e32 v25, v55, v57
	v_fmac_f32_e32 v20, v59, v61
	v_dual_fmac_f32 v2, v66, v68 :: v_dual_fmac_f32 v1, v67, v69
	s_wait_dscnt 0x0
	v_lshrrev_b32_e32 v55, 16, v50
	v_and_b32_e32 v50, 0xffff, v50
	v_lshrrev_b32_e32 v59, 16, v51
	v_and_b32_e32 v51, 0xffff, v51
	;; [unrolled: 2-line block ×4, first 2 shown]
	;;#ASMSTART
	v_cvt_f32_f16 v54, v50;
	;;#ASMEND
	;;#ASMSTART
	v_cvt_f32_f16 v55, v55;
	;;#ASMEND
	;; [unrolled: 3-line block ×6, first 2 shown]
	v_fmac_f32_e32 v25, v55, v57
	;;#ASMSTART
	v_cvt_f32_f16 v60, v102;
	;;#ASMEND
	;;#ASMSTART
	v_cvt_f32_f16 v61, v101;
	;;#ASMEND
	;; [unrolled: 3-line block ×4, first 2 shown]
	v_fmac_f32_e32 v23, v58, v60
	;;#ASMSTART
	v_cvt_f32_f16 v64, v104;
	;;#ASMEND
	;;#ASMSTART
	v_cvt_f32_f16 v65, v103;
	;;#ASMEND
	;; [unrolled: 3-line block ×4, first 2 shown]
	v_fmac_f32_e32 v3, v63, v65
	;;#ASMSTART
	v_cvt_f32_f16 v68, v106;
	;;#ASMEND
	;;#ASMSTART
	v_cvt_f32_f16 v69, v105;
	;;#ASMEND
	ds_load_b128 v[50:53], v14 offset:64
	v_fmac_f32_e32 v24, v54, v56
	v_fmac_f32_e32 v4, v62, v64
	;; [unrolled: 1-line block ×3, first 2 shown]
	v_dual_fmac_f32 v1, v67, v69 :: v_dual_fmac_f32 v2, v66, v68
	s_wait_dscnt 0x0
	v_lshrrev_b32_e32 v55, 16, v50
	v_lshrrev_b32_e32 v59, 16, v51
	;; [unrolled: 1-line block ×3, first 2 shown]
	v_and_b32_e32 v50, 0xffff, v50
	v_and_b32_e32 v52, 0xffff, v52
	v_lshrrev_b32_e32 v67, 16, v53
	;;#ASMSTART
	v_cvt_f32_f16 v54, v50;
	;;#ASMEND
	;;#ASMSTART
	v_cvt_f32_f16 v55, v55;
	;;#ASMEND
	;; [unrolled: 3-line block ×3, first 2 shown]
	v_dual_fmac_f32 v24, v54, v56 :: v_dual_and_b32 v51, 0xffff, v51
	;;#ASMSTART
	v_cvt_f32_f16 v57, v107;
	;;#ASMEND
	;;#ASMSTART
	v_cvt_f32_f16 v58, v51;
	;;#ASMEND
	;; [unrolled: 3-line block ×3, first 2 shown]
	v_fmac_f32_e32 v25, v55, v57
	;;#ASMSTART
	v_cvt_f32_f16 v60, v110;
	;;#ASMEND
	;;#ASMSTART
	v_cvt_f32_f16 v61, v109;
	;;#ASMEND
	;; [unrolled: 3-line block ×4, first 2 shown]
	v_fmac_f32_e32 v23, v58, v60
	;;#ASMSTART
	v_cvt_f32_f16 v64, v112;
	;;#ASMEND
	v_dual_fmac_f32 v4, v62, v64 :: v_dual_and_b32 v53, 0xffff, v53
	;;#ASMSTART
	v_cvt_f32_f16 v65, v111;
	;;#ASMEND
	;;#ASMSTART
	v_cvt_f32_f16 v66, v53;
	;;#ASMEND
	;;#ASMSTART
	v_cvt_f32_f16 v67, v67;
	;;#ASMEND
	v_fmac_f32_e32 v3, v63, v65
	;;#ASMSTART
	v_cvt_f32_f16 v68, v114;
	;;#ASMEND
	;;#ASMSTART
	v_cvt_f32_f16 v69, v113;
	;;#ASMEND
	ds_load_b128 v[50:53], v14 offset:80
	v_fmac_f32_e32 v20, v59, v61
	v_dual_fmac_f32 v2, v66, v68 :: v_dual_fmac_f32 v1, v67, v69
	s_wait_dscnt 0x0
	v_lshrrev_b32_e32 v55, 16, v50
	v_and_b32_e32 v50, 0xffff, v50
	v_lshrrev_b32_e32 v59, 16, v51
	v_and_b32_e32 v51, 0xffff, v51
	;; [unrolled: 2-line block ×4, first 2 shown]
	;;#ASMSTART
	v_cvt_f32_f16 v54, v50;
	;;#ASMEND
	;;#ASMSTART
	v_cvt_f32_f16 v55, v55;
	;;#ASMEND
	;; [unrolled: 3-line block ×6, first 2 shown]
	v_fmac_f32_e32 v25, v55, v57
	;;#ASMSTART
	v_cvt_f32_f16 v60, v118;
	;;#ASMEND
	;;#ASMSTART
	v_cvt_f32_f16 v61, v117;
	;;#ASMEND
	;; [unrolled: 3-line block ×4, first 2 shown]
	v_fmac_f32_e32 v23, v58, v60
	;;#ASMSTART
	v_cvt_f32_f16 v64, v120;
	;;#ASMEND
	;;#ASMSTART
	v_cvt_f32_f16 v65, v119;
	;;#ASMEND
	;; [unrolled: 3-line block ×4, first 2 shown]
	v_fmac_f32_e32 v3, v63, v65
	;;#ASMSTART
	v_cvt_f32_f16 v68, v122;
	;;#ASMEND
	;;#ASMSTART
	v_cvt_f32_f16 v69, v121;
	;;#ASMEND
	ds_load_b128 v[50:53], v14 offset:96
	v_fmac_f32_e32 v24, v54, v56
	v_fmac_f32_e32 v20, v59, v61
	v_dual_fmac_f32 v4, v62, v64 :: v_dual_fmac_f32 v1, v67, v69
	v_fmac_f32_e32 v2, v66, v68
	s_wait_dscnt 0x0
	v_lshrrev_b32_e32 v55, 16, v50
	v_and_b32_e32 v50, 0xffff, v50
	v_lshrrev_b32_e32 v59, 16, v51
	v_and_b32_e32 v51, 0xffff, v51
	;; [unrolled: 2-line block ×4, first 2 shown]
	;;#ASMSTART
	v_cvt_f32_f16 v54, v50;
	;;#ASMEND
	;;#ASMSTART
	v_cvt_f32_f16 v55, v55;
	;;#ASMEND
	;; [unrolled: 3-line block ×6, first 2 shown]
	v_fmac_f32_e32 v25, v55, v57
	;;#ASMSTART
	v_cvt_f32_f16 v60, v126;
	;;#ASMEND
	;;#ASMSTART
	v_cvt_f32_f16 v61, v125;
	;;#ASMEND
	;; [unrolled: 3-line block ×4, first 2 shown]
	v_fmac_f32_e32 v23, v58, v60
	;;#ASMSTART
	v_cvt_f32_f16 v64, v128;
	;;#ASMEND
	;;#ASMSTART
	v_cvt_f32_f16 v65, v127;
	;;#ASMEND
	;; [unrolled: 3-line block ×4, first 2 shown]
	v_fmac_f32_e32 v3, v63, v65
	;;#ASMSTART
	v_cvt_f32_f16 v68, v130;
	;;#ASMEND
	;;#ASMSTART
	v_cvt_f32_f16 v69, v129;
	;;#ASMEND
	ds_load_b128 v[50:53], v14 offset:112
	v_fmac_f32_e32 v20, v59, v61
	v_dual_fmac_f32 v1, v67, v69 :: v_dual_fmac_f32 v24, v54, v56
	v_fmac_f32_e32 v4, v62, v64
	s_wait_dscnt 0x0
	v_lshrrev_b32_e32 v55, 16, v50
	v_and_b32_e32 v50, 0xffff, v50
	v_lshrrev_b32_e32 v59, 16, v51
	v_and_b32_e32 v51, 0xffff, v51
	;; [unrolled: 2-line block ×3, first 2 shown]
	v_lshrrev_b32_e32 v67, 16, v53
	v_dual_fmac_f32 v2, v66, v68 :: v_dual_and_b32 v53, 0xffff, v53
	;;#ASMSTART
	v_cvt_f32_f16 v54, v50;
	;;#ASMEND
	;;#ASMSTART
	v_cvt_f32_f16 v55, v55;
	;;#ASMEND
	;; [unrolled: 3-line block ×6, first 2 shown]
	v_fmac_f32_e32 v25, v55, v57
	;;#ASMSTART
	v_cvt_f32_f16 v60, v134;
	;;#ASMEND
	;;#ASMSTART
	v_cvt_f32_f16 v61, v133;
	;;#ASMEND
	;; [unrolled: 3-line block ×4, first 2 shown]
	v_fmac_f32_e32 v23, v58, v60
	;;#ASMSTART
	v_cvt_f32_f16 v64, v136;
	;;#ASMEND
	;;#ASMSTART
	v_cvt_f32_f16 v65, v135;
	;;#ASMEND
	;; [unrolled: 3-line block ×4, first 2 shown]
	v_fmac_f32_e32 v3, v63, v65
	;;#ASMSTART
	v_cvt_f32_f16 v68, v138;
	;;#ASMEND
	;;#ASMSTART
	v_cvt_f32_f16 v69, v137;
	;;#ASMEND
	ds_load_b128 v[50:53], v14 offset:128
	v_fmac_f32_e32 v20, v59, v61
	v_dual_fmac_f32 v1, v67, v69 :: v_dual_fmac_f32 v2, v66, v68
	s_wait_dscnt 0x0
	v_lshrrev_b32_e32 v55, 16, v50
	v_and_b32_e32 v50, 0xffff, v50
	v_lshrrev_b32_e32 v59, 16, v51
	v_and_b32_e32 v51, 0xffff, v51
	;; [unrolled: 2-line block ×3, first 2 shown]
	v_lshrrev_b32_e32 v67, 16, v53
	v_dual_fmac_f32 v24, v54, v56 :: v_dual_and_b32 v53, 0xffff, v53
	v_fmac_f32_e32 v4, v62, v64
	;;#ASMSTART
	v_cvt_f32_f16 v54, v50;
	;;#ASMEND
	;;#ASMSTART
	v_cvt_f32_f16 v55, v55;
	;;#ASMEND
	;; [unrolled: 3-line block ×6, first 2 shown]
	v_fmac_f32_e32 v25, v55, v57
	;;#ASMSTART
	v_cvt_f32_f16 v60, v142;
	;;#ASMEND
	;;#ASMSTART
	v_cvt_f32_f16 v61, v141;
	;;#ASMEND
	;; [unrolled: 3-line block ×4, first 2 shown]
	v_fmac_f32_e32 v23, v58, v60
	;;#ASMSTART
	v_cvt_f32_f16 v64, v144;
	;;#ASMEND
	;;#ASMSTART
	v_cvt_f32_f16 v65, v143;
	;;#ASMEND
	;; [unrolled: 3-line block ×4, first 2 shown]
	v_fmac_f32_e32 v3, v63, v65
	;;#ASMSTART
	v_cvt_f32_f16 v68, v146;
	;;#ASMEND
	;;#ASMSTART
	v_cvt_f32_f16 v69, v145;
	;;#ASMEND
	ds_load_b128 v[50:53], v14 offset:144
	v_fmac_f32_e32 v20, v59, v61
	v_dual_fmac_f32 v1, v67, v69 :: v_dual_fmac_f32 v24, v54, v56
	v_fmac_f32_e32 v4, v62, v64
	v_fmac_f32_e32 v2, v66, v68
	s_wait_dscnt 0x0
	v_lshrrev_b32_e32 v55, 16, v50
	v_and_b32_e32 v50, 0xffff, v50
	v_lshrrev_b32_e32 v59, 16, v51
	v_and_b32_e32 v51, 0xffff, v51
	;; [unrolled: 2-line block ×4, first 2 shown]
	;;#ASMSTART
	v_cvt_f32_f16 v54, v50;
	;;#ASMEND
	;;#ASMSTART
	v_cvt_f32_f16 v55, v55;
	;;#ASMEND
	;; [unrolled: 3-line block ×6, first 2 shown]
	v_fmac_f32_e32 v25, v55, v57
	;;#ASMSTART
	v_cvt_f32_f16 v60, v150;
	;;#ASMEND
	;;#ASMSTART
	v_cvt_f32_f16 v61, v149;
	;;#ASMEND
	;;#ASMSTART
	v_cvt_f32_f16 v62, v52;
	;;#ASMEND
	;;#ASMSTART
	v_cvt_f32_f16 v63, v63;
	;;#ASMEND
	v_fmac_f32_e32 v23, v58, v60
	;;#ASMSTART
	v_cvt_f32_f16 v64, v152;
	;;#ASMEND
	;;#ASMSTART
	v_cvt_f32_f16 v65, v151;
	;;#ASMEND
	;; [unrolled: 3-line block ×4, first 2 shown]
	v_fmac_f32_e32 v3, v63, v65
	;;#ASMSTART
	v_cvt_f32_f16 v68, v154;
	;;#ASMEND
	;;#ASMSTART
	v_cvt_f32_f16 v69, v153;
	;;#ASMEND
	ds_load_b128 v[50:53], v14 offset:160
	v_fmac_f32_e32 v20, v59, v61
	v_dual_fmac_f32 v1, v67, v69 :: v_dual_fmac_f32 v24, v54, v56
	v_fmac_f32_e32 v4, v62, v64
	v_fmac_f32_e32 v2, v66, v68
	s_wait_dscnt 0x0
	v_lshrrev_b32_e32 v55, 16, v50
	v_and_b32_e32 v50, 0xffff, v50
	v_lshrrev_b32_e32 v59, 16, v51
	v_and_b32_e32 v51, 0xffff, v51
	;; [unrolled: 2-line block ×4, first 2 shown]
	;;#ASMSTART
	v_cvt_f32_f16 v54, v50;
	;;#ASMEND
	;;#ASMSTART
	v_cvt_f32_f16 v55, v55;
	;;#ASMEND
	;; [unrolled: 3-line block ×6, first 2 shown]
	v_fmac_f32_e32 v25, v55, v57
	;;#ASMSTART
	v_cvt_f32_f16 v60, v158;
	;;#ASMEND
	;;#ASMSTART
	v_cvt_f32_f16 v61, v157;
	;;#ASMEND
	;; [unrolled: 3-line block ×4, first 2 shown]
	v_fmac_f32_e32 v23, v58, v60
	;;#ASMSTART
	v_cvt_f32_f16 v64, v160;
	;;#ASMEND
	;;#ASMSTART
	v_cvt_f32_f16 v65, v159;
	;;#ASMEND
	;; [unrolled: 3-line block ×4, first 2 shown]
	v_fmac_f32_e32 v3, v63, v65
	;;#ASMSTART
	v_cvt_f32_f16 v68, v162;
	;;#ASMEND
	;;#ASMSTART
	v_cvt_f32_f16 v69, v161;
	;;#ASMEND
	ds_load_b128 v[50:53], v14 offset:176
	v_fmac_f32_e32 v24, v54, v56
	v_fmac_f32_e32 v20, v59, v61
	v_dual_fmac_f32 v1, v67, v69 :: v_dual_fmac_f32 v4, v62, v64
	v_fmac_f32_e32 v2, v66, v68
	s_wait_dscnt 0x0
	v_lshrrev_b32_e32 v54, 16, v50
	v_and_b32_e32 v50, 0xffff, v50
	v_lshrrev_b32_e32 v55, 16, v51
	v_and_b32_e32 v56, 0xffff, v51
	;; [unrolled: 2-line block ×4, first 2 shown]
	;;#ASMSTART
	v_cvt_f32_f16 v50, v50;
	;;#ASMEND
	;;#ASMSTART
	v_cvt_f32_f16 v51, v54;
	;;#ASMEND
	;; [unrolled: 3-line block ×10, first 2 shown]
	v_fmac_f32_e32 v25, v51, v47
	;;#ASMSTART
	v_cvt_f32_f16 v46, v46;
	;;#ASMEND
	;;#ASMSTART
	v_cvt_f32_f16 v57, v43;
	;;#ASMEND
	;; [unrolled: 3-line block ×4, first 2 shown]
	v_fmac_f32_e32 v23, v52, v48
	;;#ASMSTART
	v_cvt_f32_f16 v60, v44;
	;;#ASMEND
	;;#ASMSTART
	v_cvt_f32_f16 v61, v42;
	;;#ASMEND
	ds_load_b128 v[42:45], v14 offset:192
	v_fmac_f32_e32 v24, v50, v49
	v_fmac_f32_e32 v4, v55, v46
	v_dual_fmac_f32 v20, v53, v54 :: v_dual_fmac_f32 v3, v56, v57
	v_dual_fmac_f32 v1, v59, v61 :: v_dual_fmac_f32 v2, v58, v60
	s_wait_dscnt 0x0
	v_lshrrev_b32_e32 v46, 16, v42
	v_and_b32_e32 v42, 0xffff, v42
	v_lshrrev_b32_e32 v47, 16, v43
	v_and_b32_e32 v48, 0xffff, v43
	;; [unrolled: 2-line block ×4, first 2 shown]
	;;#ASMSTART
	v_cvt_f32_f16 v42, v42;
	;;#ASMEND
	;;#ASMSTART
	v_cvt_f32_f16 v43, v46;
	;;#ASMEND
	;; [unrolled: 3-line block ×10, first 2 shown]
	v_fmac_f32_e32 v25, v43, v39
	;;#ASMSTART
	v_cvt_f32_f16 v38, v38;
	;;#ASMEND
	;;#ASMSTART
	v_cvt_f32_f16 v49, v35;
	;;#ASMEND
	;; [unrolled: 3-line block ×6, first 2 shown]
	ds_load_b128 v[34:37], v14 offset:208
	v_fmac_f32_e32 v24, v42, v41
	v_dual_fmac_f32 v4, v47, v38 :: v_dual_fmac_f32 v23, v44, v40
	v_dual_fmac_f32 v20, v45, v46 :: v_dual_fmac_f32 v3, v48, v49
	;; [unrolled: 1-line block ×3, first 2 shown]
	s_wait_dscnt 0x0
	v_lshrrev_b32_e32 v38, 16, v34
	v_and_b32_e32 v34, 0xffff, v34
	v_lshrrev_b32_e32 v39, 16, v35
	v_and_b32_e32 v40, 0xffff, v35
	;;#ASMSTART
	v_cvt_f32_f16 v34, v34;
	;;#ASMEND
	;;#ASMSTART
	v_cvt_f32_f16 v35, v38;
	;;#ASMEND
	;; [unrolled: 3-line block ×4, first 2 shown]
	v_dual_fmac_f32 v24, v34, v33 :: v_dual_fmac_f32 v25, v35, v31
	v_lshrrev_b32_e32 v41, 16, v36
	v_and_b32_e32 v42, 0xffff, v36
	v_lshrrev_b32_e32 v43, 16, v37
	v_and_b32_e32 v44, 0xffff, v37
	;;#ASMSTART
	v_cvt_f32_f16 v36, v40;
	;;#ASMEND
	;;#ASMSTART
	v_cvt_f32_f16 v37, v39;
	;;#ASMEND
	;;#ASMSTART
	v_cvt_f32_f16 v32, v32;
	;;#ASMEND
	v_fmac_f32_e32 v23, v36, v32
	v_add_f32_e32 v24, v24, v25
	;;#ASMSTART
	v_cvt_f32_f16 v30, v30;
	;;#ASMEND
	v_fmac_f32_e32 v20, v37, v30
	;;#ASMSTART
	v_cvt_f32_f16 v38, v42;
	;;#ASMEND
	;;#ASMSTART
	v_cvt_f32_f16 v39, v41;
	;;#ASMEND
	v_add_f32_e32 v23, v24, v23
	;;#ASMSTART
	v_cvt_f32_f16 v29, v29;
	;;#ASMEND
	v_fmac_f32_e32 v4, v38, v29
	;;#ASMSTART
	v_cvt_f32_f16 v25, v28;
	;;#ASMEND
	s_delay_alu instid0(VALU_DEP_2) | instskip(SKIP_2) | instid1(VALU_DEP_1)
	v_dual_fmac_f32 v3, v39, v25 :: v_dual_add_f32 v20, v20, v23
	;;#ASMSTART
	v_cvt_f32_f16 v24, v44;
	;;#ASMEND
	;;#ASMSTART
	v_cvt_f32_f16 v23, v43;
	;;#ASMEND
	v_add_f32_e32 v4, v20, v4
	;;#ASMSTART
	v_cvt_f32_f16 v20, v27;
	;;#ASMEND
	v_fmac_f32_e32 v2, v24, v20
	s_delay_alu instid0(VALU_DEP_2) | instskip(SKIP_2) | instid1(VALU_DEP_2)
	v_add_f32_e32 v3, v3, v4
	;;#ASMSTART
	v_cvt_f32_f16 v4, v26;
	;;#ASMEND
	v_fmac_f32_e32 v1, v23, v4
	v_add_f32_e32 v2, v3, v2
	v_cndmask_b32_e32 v3, 0, v22, vcc_lo
	s_delay_alu instid0(VALU_DEP_2) | instskip(NEXT) | instid1(VALU_DEP_1)
	v_add_f32_e32 v1, v1, v2
	v_fmac_f32_e32 v3, s5, v1
	s_wait_alu 0xf1ff
	s_delay_alu instid0(VALU_DEP_1)
	v_cndmask_b32_e64 v1, 0, v3, s3
	v_max_num_f32_e32 v2, v21, v3
	ds_store_b32 v16, v1
	v_cndmask_b32_e64 v13, v13, v2, s3
	v_add_nc_u32_e32 v16, 0x200, v16
	s_and_not1_b32 exec_lo, exec_lo, s7
	s_cbranch_execnz .LBB121_7
; %bb.8:
	s_or_b32 exec_lo, exec_lo, s7
.LBB121_9:
	s_delay_alu instid0(SALU_CYCLE_1)
	s_or_b32 exec_lo, exec_lo, s6
	v_mbcnt_lo_u32_b32 v1, -1, 0
	s_clause 0x2
	s_load_b128 s[4:7], s[0:1], 0x0
	s_load_b64 s[18:19], s[0:1], 0x10
	s_load_b64 s[22:23], s[0:1], 0x28
	v_max_num_f32_e32 v5, v13, v13
	v_xor_b32_e32 v2, 16, v1
	v_xor_b32_e32 v4, 8, v1
	s_delay_alu instid0(VALU_DEP_2) | instskip(SKIP_2) | instid1(VALU_DEP_3)
	v_cmp_gt_i32_e32 vcc_lo, 32, v2
	s_wait_alu 0xfffd
	v_cndmask_b32_e32 v2, v1, v2, vcc_lo
	v_cmp_gt_i32_e32 vcc_lo, 32, v4
	s_delay_alu instid0(VALU_DEP_2)
	v_lshlrev_b32_e32 v2, 2, v2
	s_wait_alu 0xfffd
	v_cndmask_b32_e32 v4, v1, v4, vcc_lo
	ds_bpermute_b32 v3, v2, v13
	s_wait_dscnt 0x0
	v_dual_max_num_f32 v6, v3, v3 :: v_dual_lshlrev_b32 v3, 2, v4
	s_delay_alu instid0(VALU_DEP_1)
	v_max_num_f32_e32 v4, v5, v6
	v_xor_b32_e32 v6, 4, v1
	ds_bpermute_b32 v5, v3, v4
	v_cmp_gt_i32_e32 vcc_lo, 32, v6
	s_wait_alu 0xfffd
	v_cndmask_b32_e32 v6, v1, v6, vcc_lo
	s_wait_dscnt 0x0
	v_max_num_f32_e32 v13, v5, v5
	s_delay_alu instid0(VALU_DEP_1)
	v_dual_max_num_f32 v4, v4, v13 :: v_dual_lshlrev_b32 v5, 2, v6
	v_xor_b32_e32 v13, 2, v1
	ds_bpermute_b32 v6, v5, v4
	v_cmp_gt_i32_e32 vcc_lo, 32, v13
	s_wait_dscnt 0x0
	s_wait_alu 0xfffd
	v_dual_cndmask_b32 v13, v1, v13 :: v_dual_max_num_f32 v6, v6, v6
	s_delay_alu instid0(VALU_DEP_1) | instskip(NEXT) | instid1(VALU_DEP_2)
	v_max_num_f32_e32 v4, v4, v6
	v_lshlrev_b32_e32 v14, 2, v13
	v_xor_b32_e32 v13, 1, v1
	s_delay_alu instid0(VALU_DEP_1)
	v_cmp_gt_i32_e32 vcc_lo, 32, v13
	s_wait_alu 0xfffd
	v_cndmask_b32_e32 v13, v1, v13, vcc_lo
	ds_bpermute_b32 v6, v14, v4
	v_cmp_eq_u32_e32 vcc_lo, 0, v10
	s_wait_dscnt 0x0
	v_dual_max_num_f32 v6, v6, v6 :: v_dual_lshlrev_b32 v13, 2, v13
	s_delay_alu instid0(VALU_DEP_1)
	v_dual_max_num_f32 v1, v4, v6 :: v_dual_lshlrev_b32 v6, 2, v9
	ds_bpermute_b32 v4, v13, v1
	s_and_saveexec_b32 s0, vcc_lo
	s_cbranch_execz .LBB121_11
; %bb.10:
	s_wait_dscnt 0x0
	v_dual_max_num_f32 v4, v4, v4 :: v_dual_max_num_f32 v1, v1, v1
	s_delay_alu instid0(VALU_DEP_1)
	v_max_num_f32_e32 v1, v1, v4
	ds_store_b32 v6, v1 offset:224
.LBB121_11:
	s_or_b32 exec_lo, exec_lo, s0
	v_cmp_gt_u32_e64 s0, 4, v10
	v_mov_b32_e32 v1, 0xff7fffff
	s_wait_loadcnt_dscnt 0x0
	s_barrier_signal -1
	s_barrier_wait -1
	global_inv scope:SCOPE_SE
	s_and_saveexec_b32 s1, s0
; %bb.12:
	ds_load_b32 v1, v12 offset:224
; %bb.13:
	s_or_b32 exec_lo, exec_lo, s1
	s_wait_dscnt 0x0
	ds_bpermute_b32 v4, v14, v1
	v_max_num_f32_e32 v1, v1, v1
	s_sub_co_i32 s1, s13, s28
	v_mov_b32_e32 v15, 0
	s_lshl_b32 s1, s1, 5
	s_delay_alu instid0(SALU_CYCLE_1) | instskip(NEXT) | instid1(SALU_CYCLE_1)
	s_add_co_i32 s1, s1, s26
	s_min_i32 s1, s1, s25
	s_delay_alu instid0(SALU_CYCLE_1) | instskip(SKIP_4) | instid1(VALU_DEP_1)
	s_sub_co_i32 s11, s1, s26
	s_wait_alu 0xfffe
	v_cmp_gt_i32_e64 s1, s11, v0
	s_wait_dscnt 0x0
	v_max_num_f32_e32 v4, v4, v4
	v_max_num_f32_e32 v1, v1, v4
	ds_bpermute_b32 v4, v13, v1
	s_wait_dscnt 0x0
	v_max_num_f32_e32 v4, v4, v4
	s_delay_alu instid0(VALU_DEP_1)
	v_max_num_f32_e32 v1, v1, v4
	v_lshl_add_u32 v4, v0, 2, 0x100
	ds_bpermute_b32 v1, v15, v1
	s_and_saveexec_b32 s28, s1
	s_cbranch_execz .LBB121_17
; %bb.14:
	v_lshl_add_u32 v16, v0, 2, 0x100
	v_mov_b32_e32 v15, 0
	v_mov_b32_e32 v17, v0
	s_mov_b32 s29, 0
.LBB121_15:                             ; =>This Inner Loop Header: Depth=1
	ds_load_b32 v18, v16
	v_add_nc_u32_e32 v17, 0x80, v17
	s_delay_alu instid0(VALU_DEP_1) | instskip(SKIP_4) | instid1(VALU_DEP_1)
	v_cmp_le_i32_e64 s3, s11, v17
	s_wait_alu 0xfffe
	s_or_b32 s29, s3, s29
	s_wait_dscnt 0x0
	v_sub_f32_e32 v18, v18, v1
	v_mul_f32_e32 v18, 0x3fb8aa3b, v18
	s_delay_alu instid0(VALU_DEP_1)
	v_exp_f32_e32 v18, v18
	ds_store_b32 v16, v18
	v_dual_add_f32 v15, v15, v18 :: v_dual_add_nc_u32 v16, 0x200, v16
	s_wait_alu 0xfffe
	s_and_not1_b32 exec_lo, exec_lo, s29
	s_cbranch_execnz .LBB121_15
; %bb.16:
	s_or_b32 exec_lo, exec_lo, s29
.LBB121_17:
	s_wait_alu 0xfffe
	s_or_b32 exec_lo, exec_lo, s28
	ds_bpermute_b32 v2, v2, v15
	s_wait_dscnt 0x0
	v_add_f32_e32 v2, v15, v2
	ds_bpermute_b32 v3, v3, v2
	s_wait_dscnt 0x0
	v_add_f32_e32 v2, v2, v3
	;; [unrolled: 3-line block ×5, first 2 shown]
	s_and_saveexec_b32 s3, vcc_lo
; %bb.18:
	ds_store_b32 v6, v2 offset:240
; %bb.19:
	s_wait_alu 0xfffe
	s_or_b32 exec_lo, exec_lo, s3
	s_wait_loadcnt_dscnt 0x0
	s_barrier_signal -1
	s_barrier_wait -1
	global_inv scope:SCOPE_SE
	s_and_saveexec_b32 s3, s0
; %bb.20:
	ds_load_b32 v2, v12 offset:240
; %bb.21:
	s_wait_alu 0xfffe
	s_or_b32 exec_lo, exec_lo, s3
	s_wait_dscnt 0x0
	ds_bpermute_b32 v3, v14, v2
	s_wait_dscnt 0x0
	v_add_f32_e32 v2, v2, v3
	ds_bpermute_b32 v3, v13, v2
	s_wait_dscnt 0x0
	v_dual_add_f32 v2, v2, v3 :: v_dual_mov_b32 v3, 0
	ds_bpermute_b32 v2, v3, v2
	s_and_saveexec_b32 s0, s1
	s_cbranch_execz .LBB121_24
; %bb.22:
	s_wait_dscnt 0x0
	v_add_f32_e32 v3, 0x358637bd, v2
	s_mov_b32 s1, 0
	s_delay_alu instid0(VALU_DEP_1) | instskip(SKIP_1) | instid1(VALU_DEP_2)
	v_div_scale_f32 v5, null, v3, v3, 1.0
	v_div_scale_f32 v15, vcc_lo, 1.0, v3, 1.0
	v_rcp_f32_e32 v6, v5
	s_delay_alu instid0(TRANS32_DEP_1) | instskip(NEXT) | instid1(VALU_DEP_1)
	v_fma_f32 v12, -v5, v6, 1.0
	v_fmac_f32_e32 v6, v12, v6
	s_delay_alu instid0(VALU_DEP_1) | instskip(NEXT) | instid1(VALU_DEP_1)
	v_mul_f32_e32 v12, v15, v6
	v_fma_f32 v16, -v5, v12, v15
	s_delay_alu instid0(VALU_DEP_1) | instskip(NEXT) | instid1(VALU_DEP_1)
	v_fmac_f32_e32 v12, v16, v6
	v_fma_f32 v5, -v5, v12, v15
	s_wait_alu 0xfffd
	s_delay_alu instid0(VALU_DEP_1) | instskip(NEXT) | instid1(VALU_DEP_1)
	v_div_fmas_f32 v5, v5, v6, v12
	v_div_fixup_f32 v3, v5, v3, 1.0
	v_mov_b32_e32 v5, v0
.LBB121_23:                             ; =>This Inner Loop Header: Depth=1
	ds_load_b32 v6, v4
	s_wait_dscnt 0x0
	v_dual_mul_f32 v6, v3, v6 :: v_dual_add_nc_u32 v5, 0x80, v5
	s_delay_alu instid0(VALU_DEP_1) | instskip(SKIP_3) | instid1(SALU_CYCLE_1)
	v_cmp_le_i32_e32 vcc_lo, s11, v5
	ds_store_b32 v4, v6
	v_add_nc_u32_e32 v4, 0x200, v4
	s_or_b32 s1, vcc_lo, s1
	s_and_not1_b32 exec_lo, exec_lo, s1
	s_cbranch_execnz .LBB121_23
.LBB121_24:
	s_or_b32 exec_lo, exec_lo, s0
	s_mul_i32 s0, s8, s20
	s_wait_loadcnt_dscnt 0x0
	s_mul_i32 s20, s0, s21
	s_mov_b32 s0, exec_lo
	s_barrier_signal -1
	s_barrier_wait -1
	global_inv scope:SCOPE_SE
	v_cmpx_eq_u32_e32 0, v0
	s_cbranch_execz .LBB121_26
; %bb.25:
	s_ashr_i32 s21, s20, 31
	s_mul_i32 s28, s8, ttmp9
	s_lshl_b32 s1, s24, 2
	s_lshl_b64 s[30:31], s[20:21], 2
	s_wait_alu 0xfffe
	s_ashr_i32 s29, s28, 31
	v_mov_b32_e32 v3, s1
	s_wait_kmcnt 0x0
	s_add_nc_u64 s[6:7], s[6:7], s[30:31]
	s_wait_alu 0xfffe
	s_lshl_b64 s[28:29], s[28:29], 2
	s_add_nc_u64 s[4:5], s[4:5], s[30:31]
	s_wait_alu 0xfffe
	s_add_nc_u64 s[6:7], s[6:7], s[28:29]
	s_add_nc_u64 s[4:5], s[4:5], s[28:29]
	s_clause 0x1
	global_store_b32 v3, v1, s[6:7]
	global_store_b32 v3, v2, s[4:5]
.LBB121_26:
	s_or_b32 exec_lo, exec_lo, s0
	v_dual_mov_b32 v26, 0 :: v_dual_mov_b32 v27, 0
	v_dual_mov_b32 v25, 0 :: v_dual_and_b32 v12, 3, v0
	v_dual_mov_b32 v28, 0 :: v_dual_mov_b32 v23, 0
	v_dual_mov_b32 v24, 0 :: v_dual_mov_b32 v21, 0
	;; [unrolled: 1-line block ×5, first 2 shown]
	v_mov_b32_e32 v16, 0
	s_and_saveexec_b32 s1, s2
	s_cbranch_execz .LBB121_58
; %bb.27:
	s_ashr_i32 s11, s10, 31
	v_dual_mov_b32 v20, 0 :: v_dual_and_b32 v3, 0x1f0, v7
	s_wait_alu 0xfffe
	s_lshl_b64 s[2:3], s[10:11], 1
	v_dual_mov_b32 v16, 0 :: v_dual_lshlrev_b32 v1, 3, v0
	v_dual_mov_b32 v15, 0 :: v_dual_lshlrev_b32 v2, 5, v12
	s_wait_kmcnt 0x0
	s_wait_alu 0xfffe
	s_add_nc_u64 s[2:3], s[22:23], s[2:3]
	v_dual_mov_b32 v18, 0 :: v_dual_and_b32 v1, 24, v1
	s_wait_alu 0xfffe
	v_add_co_u32 v29, s0, s2, v3
	s_wait_alu 0xf1ff
	v_add_co_ci_u32_e64 v30, null, s3, 0, s0
	s_lshl_b64 s[2:3], s[16:17], 2
	v_lshl_add_u32 v4, v9, 5, s26
	v_lshl_or_b32 v2, v9, 7, v2
	s_wait_alu 0xfffe
	s_add_nc_u64 s[2:3], s[14:15], s[2:3]
	v_mov_b32_e32 v17, 0
	s_wait_alu 0xfffe
	v_add_co_u32 v5, s0, s2, v8
	v_add3_u32 v31, v4, v1, 7
	v_add_nc_u32_e32 v32, 0x100, v2
	s_wait_alu 0xf1ff
	v_add_co_ci_u32_e64 v6, null, s3, 0, s0
	v_dual_mov_b32 v19, 0 :: v_dual_mov_b32 v22, 0
	v_dual_mov_b32 v21, 0 :: v_dual_mov_b32 v24, 0
	;; [unrolled: 1-line block ×4, first 2 shown]
	v_mov_b32_e32 v27, 0
	s_mov_b32 s2, s9
	s_add_co_i32 s27, s27, -1
	s_mov_b32 s3, 0
	s_branch .LBB121_29
.LBB121_28:                             ;   in Loop: Header=BB121_29 Depth=1
	s_wait_alu 0xfffe
	s_or_b32 exec_lo, exec_lo, s0
	v_dual_add_f32 v33, v69, v70 :: v_dual_add_f32 v34, v66, v67
	v_add_f32_e32 v36, v64, v65
	v_add_f32_e32 v40, v54, v55
	v_lshlrev_b32_e32 v8, 16, v8
	s_delay_alu instid0(VALU_DEP_4) | instskip(NEXT) | instid1(VALU_DEP_4)
	v_dual_add_f32 v16, v16, v33 :: v_dual_add_f32 v33, v62, v63
	v_dual_add_f32 v17, v17, v34 :: v_dual_add_f32 v18, v18, v36
	;; [unrolled: 1-line block ×3, first 2 shown]
	s_delay_alu instid0(VALU_DEP_3) | instskip(SKIP_2) | instid1(VALU_DEP_4)
	v_add_f32_e32 v19, v19, v33
	v_dual_add_f32 v34, v60, v61 :: v_dual_lshlrev_b32 v33, 16, v68
	v_lshlrev_b32_e32 v7, 16, v7
	v_add_f32_e32 v21, v21, v36
	v_and_or_b32 v2, 0xffff, v2, v8
	s_delay_alu instid0(VALU_DEP_4)
	v_and_or_b32 v1, 0xffff, v1, v33
	v_dual_add_f32 v20, v20, v34 :: v_dual_add_f32 v23, v23, v40
	v_add_f32_e32 v34, v52, v53
	v_and_or_b32 v3, 0xffff, v3, v7
	;;#ASMSTART
	v_pk_mul_f16 v1, v37, v1;

	;;#ASMEND
	;;#ASMSTART
	v_pk_mul_f16 v2, v35, v2;

	;;#ASMEND
	;; [unrolled: 4-line block ×4, first 2 shown]
	;;#ASMSTART
	v_pk_add_f16 v1, v1, v2;

	;;#ASMEND
	;;#ASMSTART
	v_pk_add_f16 v1, v1, v3;

	;;#ASMEND
	;; [unrolled: 4-line block ×3, first 2 shown]
	v_and_b32_e32 v4, 0xffff, v1
	v_lshrrev_b32_e32 v7, 16, v1
	;;#ASMSTART
	v_cvt_f32_f16 v4, v4;
	;;#ASMEND
	;;#ASMSTART
	v_cvt_f32_f16 v7, v7;
	;;#ASMEND
	s_delay_alu instid0(VALU_DEP_1) | instskip(SKIP_3) | instid1(VALU_DEP_3)
	v_add_f32_e32 v4, v4, v7
	v_add_f32_e32 v2, v46, v47
	v_dual_add_f32 v24, v24, v34 :: v_dual_add_nc_u32 v11, 4, v11
	v_add_f32_e32 v3, v42, v43
	v_dual_add_f32 v15, v15, v4 :: v_dual_add_f32 v28, v28, v2
	v_dual_add_f32 v1, v48, v49 :: v_dual_add_f32 v36, v50, v51
	s_delay_alu instid0(VALU_DEP_4) | instskip(SKIP_1) | instid1(VALU_DEP_3)
	v_cmp_le_i32_e32 vcc_lo, s13, v11
	v_add_co_u32 v5, s0, v5, 16
	v_dual_add_f32 v27, v27, v1 :: v_dual_add_f32 v22, v22, v39
	s_delay_alu instid0(VALU_DEP_4)
	v_dual_add_f32 v25, v25, v36 :: v_dual_add_f32 v26, v26, v3
	v_add_nc_u32_e32 v31, 0x80, v31
	v_add_nc_u32_e32 v32, 0x200, v32
	s_wait_alu 0xf1ff
	v_add_co_ci_u32_e64 v6, null, 0, v6, s0
	s_or_b32 s3, vcc_lo, s3
	s_wait_alu 0xfffe
	s_and_not1_b32 exec_lo, exec_lo, s3
	s_cbranch_execz .LBB121_57
.LBB121_29:                             ; =>This Inner Loop Header: Depth=1
	global_load_b32 v7, v[5:6], off
	ds_load_2addr_b64 v[1:4], v32 offset1:1
	ds_load_2addr_b64 v[38:41], v32 offset0:2 offset1:3
	v_add_nc_u32_e32 v45, -6, v31
	v_add_nc_u32_e32 v44, -5, v31
	;; [unrolled: 1-line block ×5, first 2 shown]
	s_wait_dscnt 0x1
	;;#ASMSTART
	v_cvt_f16_f32 v37, v1;

	;;#ASMEND
	;;#ASMSTART
	v_cvt_f16_f32 v35, v2;

	;;#ASMEND
	;; [unrolled: 4-line block ×4, first 2 shown]
	s_wait_dscnt 0x0
	;;#ASMSTART
	v_cvt_f16_f32 v47, v38;

	;;#ASMEND
	;;#ASMSTART
	v_cvt_f16_f32 v38, v39;

	;;#ASMEND
	;; [unrolled: 4-line block ×4, first 2 shown]
	v_add_nc_u32_e32 v40, -7, v31
	v_add_nc_u32_e32 v39, -1, v31
	s_wait_loadcnt 0x0
	s_wait_alu 0xfffe
	v_mad_co_i64_i32 v[7:8], null, v7, s2, 0
	s_delay_alu instid0(VALU_DEP_1) | instskip(NEXT) | instid1(VALU_DEP_1)
	v_lshlrev_b64_e32 v[7:8], 1, v[7:8]
	v_add_co_u32 v7, vcc_lo, v29, v7
	s_wait_alu 0xfffd
	s_delay_alu instid0(VALU_DEP_2)
	v_add_co_ci_u32_e64 v8, null, v30, v8, vcc_lo
	v_cmp_eq_u32_e32 vcc_lo, s27, v11
	global_load_b128 v[1:4], v[7:8], off
	s_wait_loadcnt 0x0
	v_lshrrev_b32_e32 v50, 16, v1
	v_lshrrev_b32_e32 v49, 16, v2
	;; [unrolled: 1-line block ×3, first 2 shown]
	s_and_saveexec_b32 s4, vcc_lo
	s_cbranch_execz .LBB121_31
; %bb.30:                               ;   in Loop: Header=BB121_29 Depth=1
	v_cmp_gt_i32_e64 s0, s25, v40
	v_and_b32_e32 v51, 0xffff, v4
	v_and_b32_e32 v4, 0xffff0000, v4
	s_wait_alu 0xf1ff
	s_delay_alu instid0(VALU_DEP_3) | instskip(SKIP_2) | instid1(VALU_DEP_1)
	v_cndmask_b32_e64 v1, 0, v1, s0
	v_cmp_gt_i32_e64 s0, s25, v45
	s_wait_alu 0xf1ff
	v_cndmask_b32_e64 v50, 0, v50, s0
	v_cmp_gt_i32_e64 s0, s25, v44
	s_wait_alu 0xf1ff
	s_delay_alu instid0(VALU_DEP_1) | instskip(SKIP_2) | instid1(VALU_DEP_1)
	v_cndmask_b32_e64 v2, 0, v2, s0
	v_cmp_gt_i32_e64 s0, s25, v36
	s_wait_alu 0xf1ff
	v_cndmask_b32_e64 v49, 0, v49, s0
	v_cmp_gt_i32_e64 s0, s25, v39
	s_wait_alu 0xf1ff
	s_delay_alu instid0(VALU_DEP_1) | instskip(SKIP_2) | instid1(VALU_DEP_1)
	v_cndmask_b32_e64 v51, 0, v51, s0
	v_cmp_gt_i32_e64 s0, s25, v31
	s_wait_alu 0xf1ff
	v_cndmask_b32_e64 v4, 0, v4, s0
	v_cmp_gt_i32_e64 s0, s25, v34
	s_delay_alu instid0(VALU_DEP_2) | instskip(SKIP_1) | instid1(VALU_DEP_2)
	v_or_b32_e32 v4, v51, v4
	s_wait_alu 0xf1ff
	v_cndmask_b32_e64 v3, 0, v3, s0
	v_cmp_gt_i32_e64 s0, s25, v33
	s_wait_alu 0xf1ff
	s_delay_alu instid0(VALU_DEP_1)
	v_cndmask_b32_e64 v48, 0, v48, s0
.LBB121_31:                             ;   in Loop: Header=BB121_29 Depth=1
	s_wait_alu 0xfffe
	s_or_b32 exec_lo, exec_lo, s4
	v_and_b32_e32 v37, 0xffff, v37
	v_and_b32_e32 v46, 0xffff, v46
	v_lshlrev_b32_e32 v50, 16, v50
	v_and_b32_e32 v47, 0xffff, v47
	v_and_b32_e32 v43, 0xffff, v43
	v_lshl_or_b32 v37, v35, 16, v37
	v_lshl_or_b32 v35, v42, 16, v46
	v_lshlrev_b32_e32 v42, 16, v49
	v_lshlrev_b32_e32 v46, 16, v48
	v_and_or_b32 v1, 0xffff, v1, v50
	;;#ASMSTART
	v_pk_mul_f16 v1, v37, v1;

	;;#ASMEND
	v_lshl_or_b32 v38, v38, 16, v47
	v_and_or_b32 v2, 0xffff, v2, v42
	v_and_or_b32 v3, 0xffff, v3, v46
	v_lshl_or_b32 v41, v41, 16, v43
	;;#ASMSTART
	v_pk_mul_f16 v2, v35, v2;

	;;#ASMEND
	;;#ASMSTART
	v_pk_mul_f16 v3, v38, v3;

	;;#ASMEND
	;;#ASMSTART
	v_pk_mul_f16 v4, v41, v4;

	;;#ASMEND
	;;#ASMSTART
	v_pk_add_f16 v1, v1, v2;

	;;#ASMEND
	;;#ASMSTART
	v_pk_add_f16 v1, v1, v3;

	;;#ASMEND
	;; [unrolled: 4-line block ×3, first 2 shown]
	v_and_b32_e32 v2, 0xffff, v1
	v_lshrrev_b32_e32 v1, 16, v1
	;;#ASMSTART
	v_cvt_f32_f16 v42, v2;
	;;#ASMEND
	;;#ASMSTART
	v_cvt_f32_f16 v43, v1;
	;;#ASMEND
	global_load_b128 v[1:4], v[7:8], off offset:512
	s_wait_loadcnt 0x0
	v_lshrrev_b32_e32 v48, 16, v1
	v_lshrrev_b32_e32 v47, 16, v2
	;; [unrolled: 1-line block ×3, first 2 shown]
	s_and_saveexec_b32 s4, vcc_lo
	s_cbranch_execz .LBB121_33
; %bb.32:                               ;   in Loop: Header=BB121_29 Depth=1
	v_cmp_gt_i32_e64 s0, s25, v40
	v_and_b32_e32 v49, 0xffff, v4
	v_and_b32_e32 v4, 0xffff0000, v4
	s_wait_alu 0xf1ff
	s_delay_alu instid0(VALU_DEP_3) | instskip(SKIP_2) | instid1(VALU_DEP_1)
	v_cndmask_b32_e64 v1, 0, v1, s0
	v_cmp_gt_i32_e64 s0, s25, v45
	s_wait_alu 0xf1ff
	v_cndmask_b32_e64 v48, 0, v48, s0
	v_cmp_gt_i32_e64 s0, s25, v44
	s_wait_alu 0xf1ff
	s_delay_alu instid0(VALU_DEP_1) | instskip(SKIP_2) | instid1(VALU_DEP_1)
	v_cndmask_b32_e64 v2, 0, v2, s0
	v_cmp_gt_i32_e64 s0, s25, v36
	s_wait_alu 0xf1ff
	v_cndmask_b32_e64 v47, 0, v47, s0
	v_cmp_gt_i32_e64 s0, s25, v39
	s_wait_alu 0xf1ff
	s_delay_alu instid0(VALU_DEP_1) | instskip(SKIP_2) | instid1(VALU_DEP_1)
	v_cndmask_b32_e64 v49, 0, v49, s0
	v_cmp_gt_i32_e64 s0, s25, v31
	s_wait_alu 0xf1ff
	v_cndmask_b32_e64 v4, 0, v4, s0
	v_cmp_gt_i32_e64 s0, s25, v34
	s_delay_alu instid0(VALU_DEP_2) | instskip(SKIP_1) | instid1(VALU_DEP_2)
	v_or_b32_e32 v4, v49, v4
	s_wait_alu 0xf1ff
	v_cndmask_b32_e64 v3, 0, v3, s0
	v_cmp_gt_i32_e64 s0, s25, v33
	s_wait_alu 0xf1ff
	s_delay_alu instid0(VALU_DEP_1)
	v_cndmask_b32_e64 v46, 0, v46, s0
.LBB121_33:                             ;   in Loop: Header=BB121_29 Depth=1
	s_wait_alu 0xfffe
	s_or_b32 exec_lo, exec_lo, s4
	v_lshlrev_b32_e32 v48, 16, v48
	v_lshlrev_b32_e32 v47, 16, v47
	;; [unrolled: 1-line block ×3, first 2 shown]
	s_delay_alu instid0(VALU_DEP_3) | instskip(NEXT) | instid1(VALU_DEP_3)
	v_and_or_b32 v1, 0xffff, v1, v48
	v_and_or_b32 v2, 0xffff, v2, v47
	s_delay_alu instid0(VALU_DEP_3)
	v_and_or_b32 v3, 0xffff, v3, v46
	;;#ASMSTART
	v_pk_mul_f16 v1, v37, v1;

	;;#ASMEND
	;;#ASMSTART
	v_pk_mul_f16 v2, v35, v2;

	;;#ASMEND
	;;#ASMSTART
	v_pk_mul_f16 v3, v38, v3;

	;;#ASMEND
	;;#ASMSTART
	v_pk_mul_f16 v4, v41, v4;

	;;#ASMEND
	;;#ASMSTART
	v_pk_add_f16 v1, v1, v2;

	;;#ASMEND
	;;#ASMSTART
	v_pk_add_f16 v1, v1, v3;

	;;#ASMEND
	;; [unrolled: 4-line block ×3, first 2 shown]
	v_and_b32_e32 v2, 0xffff, v1
	v_lshrrev_b32_e32 v1, 16, v1
	;;#ASMSTART
	v_cvt_f32_f16 v46, v2;
	;;#ASMEND
	;;#ASMSTART
	v_cvt_f32_f16 v47, v1;
	;;#ASMEND
	global_load_b128 v[1:4], v[7:8], off offset:1024
	s_wait_loadcnt 0x0
	v_lshrrev_b32_e32 v50, 16, v1
	v_lshrrev_b32_e32 v49, 16, v2
	;; [unrolled: 1-line block ×3, first 2 shown]
	s_and_saveexec_b32 s4, vcc_lo
	s_cbranch_execz .LBB121_35
; %bb.34:                               ;   in Loop: Header=BB121_29 Depth=1
	v_cmp_gt_i32_e64 s0, s25, v40
	v_and_b32_e32 v51, 0xffff, v4
	v_and_b32_e32 v4, 0xffff0000, v4
	s_wait_alu 0xf1ff
	s_delay_alu instid0(VALU_DEP_3) | instskip(SKIP_2) | instid1(VALU_DEP_1)
	v_cndmask_b32_e64 v1, 0, v1, s0
	v_cmp_gt_i32_e64 s0, s25, v45
	s_wait_alu 0xf1ff
	v_cndmask_b32_e64 v50, 0, v50, s0
	v_cmp_gt_i32_e64 s0, s25, v44
	s_wait_alu 0xf1ff
	s_delay_alu instid0(VALU_DEP_1) | instskip(SKIP_2) | instid1(VALU_DEP_1)
	v_cndmask_b32_e64 v2, 0, v2, s0
	v_cmp_gt_i32_e64 s0, s25, v36
	s_wait_alu 0xf1ff
	v_cndmask_b32_e64 v49, 0, v49, s0
	v_cmp_gt_i32_e64 s0, s25, v39
	s_wait_alu 0xf1ff
	s_delay_alu instid0(VALU_DEP_1) | instskip(SKIP_2) | instid1(VALU_DEP_1)
	v_cndmask_b32_e64 v51, 0, v51, s0
	v_cmp_gt_i32_e64 s0, s25, v31
	s_wait_alu 0xf1ff
	v_cndmask_b32_e64 v4, 0, v4, s0
	v_cmp_gt_i32_e64 s0, s25, v34
	s_delay_alu instid0(VALU_DEP_2) | instskip(SKIP_1) | instid1(VALU_DEP_2)
	v_or_b32_e32 v4, v51, v4
	s_wait_alu 0xf1ff
	v_cndmask_b32_e64 v3, 0, v3, s0
	v_cmp_gt_i32_e64 s0, s25, v33
	s_wait_alu 0xf1ff
	s_delay_alu instid0(VALU_DEP_1)
	v_cndmask_b32_e64 v48, 0, v48, s0
.LBB121_35:                             ;   in Loop: Header=BB121_29 Depth=1
	s_wait_alu 0xfffe
	s_or_b32 exec_lo, exec_lo, s4
	v_lshlrev_b32_e32 v50, 16, v50
	v_lshlrev_b32_e32 v49, 16, v49
	;; [unrolled: 1-line block ×3, first 2 shown]
	s_delay_alu instid0(VALU_DEP_3) | instskip(NEXT) | instid1(VALU_DEP_3)
	v_and_or_b32 v1, 0xffff, v1, v50
	v_and_or_b32 v2, 0xffff, v2, v49
	s_delay_alu instid0(VALU_DEP_3)
	v_and_or_b32 v3, 0xffff, v3, v48
	;;#ASMSTART
	v_pk_mul_f16 v1, v37, v1;

	;;#ASMEND
	;;#ASMSTART
	v_pk_mul_f16 v2, v35, v2;

	;;#ASMEND
	;; [unrolled: 4-line block ×4, first 2 shown]
	;;#ASMSTART
	v_pk_add_f16 v1, v1, v2;

	;;#ASMEND
	;;#ASMSTART
	v_pk_add_f16 v1, v1, v3;

	;;#ASMEND
	;; [unrolled: 4-line block ×3, first 2 shown]
	v_and_b32_e32 v2, 0xffff, v1
	v_lshrrev_b32_e32 v1, 16, v1
	;;#ASMSTART
	v_cvt_f32_f16 v48, v2;
	;;#ASMEND
	;;#ASMSTART
	v_cvt_f32_f16 v49, v1;
	;;#ASMEND
	global_load_b128 v[1:4], v[7:8], off offset:1536
	s_wait_loadcnt 0x0
	v_lshrrev_b32_e32 v52, 16, v1
	v_lshrrev_b32_e32 v51, 16, v2
	;; [unrolled: 1-line block ×3, first 2 shown]
	s_and_saveexec_b32 s4, vcc_lo
	s_cbranch_execz .LBB121_37
; %bb.36:                               ;   in Loop: Header=BB121_29 Depth=1
	v_cmp_gt_i32_e64 s0, s25, v40
	v_and_b32_e32 v53, 0xffff, v4
	v_and_b32_e32 v4, 0xffff0000, v4
	s_wait_alu 0xf1ff
	s_delay_alu instid0(VALU_DEP_3) | instskip(SKIP_2) | instid1(VALU_DEP_1)
	v_cndmask_b32_e64 v1, 0, v1, s0
	v_cmp_gt_i32_e64 s0, s25, v45
	s_wait_alu 0xf1ff
	v_cndmask_b32_e64 v52, 0, v52, s0
	v_cmp_gt_i32_e64 s0, s25, v44
	s_wait_alu 0xf1ff
	s_delay_alu instid0(VALU_DEP_1) | instskip(SKIP_2) | instid1(VALU_DEP_1)
	v_cndmask_b32_e64 v2, 0, v2, s0
	v_cmp_gt_i32_e64 s0, s25, v36
	s_wait_alu 0xf1ff
	v_cndmask_b32_e64 v51, 0, v51, s0
	v_cmp_gt_i32_e64 s0, s25, v39
	s_wait_alu 0xf1ff
	s_delay_alu instid0(VALU_DEP_1) | instskip(SKIP_2) | instid1(VALU_DEP_1)
	v_cndmask_b32_e64 v53, 0, v53, s0
	v_cmp_gt_i32_e64 s0, s25, v31
	s_wait_alu 0xf1ff
	v_cndmask_b32_e64 v4, 0, v4, s0
	v_cmp_gt_i32_e64 s0, s25, v34
	s_delay_alu instid0(VALU_DEP_2) | instskip(SKIP_1) | instid1(VALU_DEP_2)
	v_or_b32_e32 v4, v53, v4
	s_wait_alu 0xf1ff
	v_cndmask_b32_e64 v3, 0, v3, s0
	v_cmp_gt_i32_e64 s0, s25, v33
	s_wait_alu 0xf1ff
	s_delay_alu instid0(VALU_DEP_1)
	v_cndmask_b32_e64 v50, 0, v50, s0
.LBB121_37:                             ;   in Loop: Header=BB121_29 Depth=1
	s_wait_alu 0xfffe
	s_or_b32 exec_lo, exec_lo, s4
	v_lshlrev_b32_e32 v52, 16, v52
	v_lshlrev_b32_e32 v51, 16, v51
	;; [unrolled: 1-line block ×3, first 2 shown]
	s_delay_alu instid0(VALU_DEP_3) | instskip(NEXT) | instid1(VALU_DEP_3)
	v_and_or_b32 v1, 0xffff, v1, v52
	v_and_or_b32 v2, 0xffff, v2, v51
	s_delay_alu instid0(VALU_DEP_3)
	v_and_or_b32 v3, 0xffff, v3, v50
	;;#ASMSTART
	v_pk_mul_f16 v1, v37, v1;

	;;#ASMEND
	;;#ASMSTART
	v_pk_mul_f16 v2, v35, v2;

	;;#ASMEND
	;; [unrolled: 4-line block ×4, first 2 shown]
	;;#ASMSTART
	v_pk_add_f16 v1, v1, v2;

	;;#ASMEND
	;;#ASMSTART
	v_pk_add_f16 v1, v1, v3;

	;;#ASMEND
	;; [unrolled: 4-line block ×3, first 2 shown]
	v_and_b32_e32 v2, 0xffff, v1
	v_lshrrev_b32_e32 v1, 16, v1
	;;#ASMSTART
	v_cvt_f32_f16 v50, v2;
	;;#ASMEND
	;;#ASMSTART
	v_cvt_f32_f16 v51, v1;
	;;#ASMEND
	global_load_b128 v[1:4], v[7:8], off offset:2048
	s_wait_loadcnt 0x0
	v_lshrrev_b32_e32 v54, 16, v1
	v_lshrrev_b32_e32 v53, 16, v2
	;; [unrolled: 1-line block ×3, first 2 shown]
	s_and_saveexec_b32 s4, vcc_lo
	s_cbranch_execz .LBB121_39
; %bb.38:                               ;   in Loop: Header=BB121_29 Depth=1
	v_cmp_gt_i32_e64 s0, s25, v40
	v_and_b32_e32 v55, 0xffff, v4
	v_and_b32_e32 v4, 0xffff0000, v4
	s_wait_alu 0xf1ff
	s_delay_alu instid0(VALU_DEP_3) | instskip(SKIP_2) | instid1(VALU_DEP_1)
	v_cndmask_b32_e64 v1, 0, v1, s0
	v_cmp_gt_i32_e64 s0, s25, v45
	s_wait_alu 0xf1ff
	v_cndmask_b32_e64 v54, 0, v54, s0
	v_cmp_gt_i32_e64 s0, s25, v44
	s_wait_alu 0xf1ff
	s_delay_alu instid0(VALU_DEP_1) | instskip(SKIP_2) | instid1(VALU_DEP_1)
	v_cndmask_b32_e64 v2, 0, v2, s0
	v_cmp_gt_i32_e64 s0, s25, v36
	s_wait_alu 0xf1ff
	v_cndmask_b32_e64 v53, 0, v53, s0
	v_cmp_gt_i32_e64 s0, s25, v39
	s_wait_alu 0xf1ff
	s_delay_alu instid0(VALU_DEP_1) | instskip(SKIP_2) | instid1(VALU_DEP_1)
	v_cndmask_b32_e64 v55, 0, v55, s0
	v_cmp_gt_i32_e64 s0, s25, v31
	s_wait_alu 0xf1ff
	v_cndmask_b32_e64 v4, 0, v4, s0
	v_cmp_gt_i32_e64 s0, s25, v34
	s_delay_alu instid0(VALU_DEP_2) | instskip(SKIP_1) | instid1(VALU_DEP_2)
	v_or_b32_e32 v4, v55, v4
	s_wait_alu 0xf1ff
	v_cndmask_b32_e64 v3, 0, v3, s0
	v_cmp_gt_i32_e64 s0, s25, v33
	s_wait_alu 0xf1ff
	s_delay_alu instid0(VALU_DEP_1)
	v_cndmask_b32_e64 v52, 0, v52, s0
.LBB121_39:                             ;   in Loop: Header=BB121_29 Depth=1
	s_wait_alu 0xfffe
	s_or_b32 exec_lo, exec_lo, s4
	v_lshlrev_b32_e32 v54, 16, v54
	v_lshlrev_b32_e32 v53, 16, v53
	;; [unrolled: 1-line block ×3, first 2 shown]
	s_delay_alu instid0(VALU_DEP_3) | instskip(NEXT) | instid1(VALU_DEP_3)
	v_and_or_b32 v1, 0xffff, v1, v54
	v_and_or_b32 v2, 0xffff, v2, v53
	s_delay_alu instid0(VALU_DEP_3)
	v_and_or_b32 v3, 0xffff, v3, v52
	;;#ASMSTART
	v_pk_mul_f16 v1, v37, v1;

	;;#ASMEND
	;;#ASMSTART
	v_pk_mul_f16 v2, v35, v2;

	;;#ASMEND
	;; [unrolled: 4-line block ×4, first 2 shown]
	;;#ASMSTART
	v_pk_add_f16 v1, v1, v2;

	;;#ASMEND
	;;#ASMSTART
	v_pk_add_f16 v1, v1, v3;

	;;#ASMEND
	;; [unrolled: 4-line block ×3, first 2 shown]
	v_and_b32_e32 v2, 0xffff, v1
	v_lshrrev_b32_e32 v1, 16, v1
	;;#ASMSTART
	v_cvt_f32_f16 v52, v2;
	;;#ASMEND
	;;#ASMSTART
	v_cvt_f32_f16 v53, v1;
	;;#ASMEND
	global_load_b128 v[1:4], v[7:8], off offset:2560
	s_wait_loadcnt 0x0
	v_lshrrev_b32_e32 v56, 16, v1
	v_lshrrev_b32_e32 v55, 16, v2
	;; [unrolled: 1-line block ×3, first 2 shown]
	s_and_saveexec_b32 s4, vcc_lo
	s_cbranch_execz .LBB121_41
; %bb.40:                               ;   in Loop: Header=BB121_29 Depth=1
	v_cmp_gt_i32_e64 s0, s25, v40
	v_and_b32_e32 v57, 0xffff, v4
	v_and_b32_e32 v4, 0xffff0000, v4
	s_wait_alu 0xf1ff
	s_delay_alu instid0(VALU_DEP_3) | instskip(SKIP_2) | instid1(VALU_DEP_1)
	v_cndmask_b32_e64 v1, 0, v1, s0
	v_cmp_gt_i32_e64 s0, s25, v45
	s_wait_alu 0xf1ff
	v_cndmask_b32_e64 v56, 0, v56, s0
	v_cmp_gt_i32_e64 s0, s25, v44
	s_wait_alu 0xf1ff
	s_delay_alu instid0(VALU_DEP_1) | instskip(SKIP_2) | instid1(VALU_DEP_1)
	v_cndmask_b32_e64 v2, 0, v2, s0
	v_cmp_gt_i32_e64 s0, s25, v36
	s_wait_alu 0xf1ff
	v_cndmask_b32_e64 v55, 0, v55, s0
	v_cmp_gt_i32_e64 s0, s25, v39
	s_wait_alu 0xf1ff
	s_delay_alu instid0(VALU_DEP_1) | instskip(SKIP_2) | instid1(VALU_DEP_1)
	v_cndmask_b32_e64 v57, 0, v57, s0
	v_cmp_gt_i32_e64 s0, s25, v31
	s_wait_alu 0xf1ff
	v_cndmask_b32_e64 v4, 0, v4, s0
	v_cmp_gt_i32_e64 s0, s25, v34
	s_delay_alu instid0(VALU_DEP_2) | instskip(SKIP_1) | instid1(VALU_DEP_2)
	v_or_b32_e32 v4, v57, v4
	s_wait_alu 0xf1ff
	v_cndmask_b32_e64 v3, 0, v3, s0
	v_cmp_gt_i32_e64 s0, s25, v33
	s_wait_alu 0xf1ff
	s_delay_alu instid0(VALU_DEP_1)
	v_cndmask_b32_e64 v54, 0, v54, s0
.LBB121_41:                             ;   in Loop: Header=BB121_29 Depth=1
	s_wait_alu 0xfffe
	s_or_b32 exec_lo, exec_lo, s4
	v_lshlrev_b32_e32 v56, 16, v56
	v_lshlrev_b32_e32 v55, 16, v55
	;; [unrolled: 1-line block ×3, first 2 shown]
	s_delay_alu instid0(VALU_DEP_3) | instskip(NEXT) | instid1(VALU_DEP_3)
	v_and_or_b32 v1, 0xffff, v1, v56
	v_and_or_b32 v2, 0xffff, v2, v55
	s_delay_alu instid0(VALU_DEP_3)
	v_and_or_b32 v3, 0xffff, v3, v54
	;;#ASMSTART
	v_pk_mul_f16 v1, v37, v1;

	;;#ASMEND
	;;#ASMSTART
	v_pk_mul_f16 v2, v35, v2;

	;;#ASMEND
	;;#ASMSTART
	v_pk_mul_f16 v3, v38, v3;

	;;#ASMEND
	;;#ASMSTART
	v_pk_mul_f16 v4, v41, v4;

	;;#ASMEND
	;;#ASMSTART
	v_pk_add_f16 v1, v1, v2;

	;;#ASMEND
	;;#ASMSTART
	v_pk_add_f16 v1, v1, v3;

	;;#ASMEND
	;; [unrolled: 4-line block ×3, first 2 shown]
	v_and_b32_e32 v2, 0xffff, v1
	v_lshrrev_b32_e32 v1, 16, v1
	;;#ASMSTART
	v_cvt_f32_f16 v54, v2;
	;;#ASMEND
	;;#ASMSTART
	v_cvt_f32_f16 v55, v1;
	;;#ASMEND
	global_load_b128 v[1:4], v[7:8], off offset:3072
	s_wait_loadcnt 0x0
	v_lshrrev_b32_e32 v58, 16, v1
	v_lshrrev_b32_e32 v57, 16, v2
	;; [unrolled: 1-line block ×3, first 2 shown]
	s_and_saveexec_b32 s4, vcc_lo
	s_cbranch_execz .LBB121_43
; %bb.42:                               ;   in Loop: Header=BB121_29 Depth=1
	v_cmp_gt_i32_e64 s0, s25, v40
	v_and_b32_e32 v59, 0xffff, v4
	v_and_b32_e32 v4, 0xffff0000, v4
	s_wait_alu 0xf1ff
	s_delay_alu instid0(VALU_DEP_3) | instskip(SKIP_2) | instid1(VALU_DEP_1)
	v_cndmask_b32_e64 v1, 0, v1, s0
	v_cmp_gt_i32_e64 s0, s25, v45
	s_wait_alu 0xf1ff
	v_cndmask_b32_e64 v58, 0, v58, s0
	v_cmp_gt_i32_e64 s0, s25, v44
	s_wait_alu 0xf1ff
	s_delay_alu instid0(VALU_DEP_1) | instskip(SKIP_2) | instid1(VALU_DEP_1)
	v_cndmask_b32_e64 v2, 0, v2, s0
	v_cmp_gt_i32_e64 s0, s25, v36
	s_wait_alu 0xf1ff
	v_cndmask_b32_e64 v57, 0, v57, s0
	v_cmp_gt_i32_e64 s0, s25, v39
	s_wait_alu 0xf1ff
	s_delay_alu instid0(VALU_DEP_1) | instskip(SKIP_2) | instid1(VALU_DEP_1)
	v_cndmask_b32_e64 v59, 0, v59, s0
	v_cmp_gt_i32_e64 s0, s25, v31
	s_wait_alu 0xf1ff
	v_cndmask_b32_e64 v4, 0, v4, s0
	v_cmp_gt_i32_e64 s0, s25, v34
	s_delay_alu instid0(VALU_DEP_2) | instskip(SKIP_1) | instid1(VALU_DEP_2)
	v_or_b32_e32 v4, v59, v4
	s_wait_alu 0xf1ff
	v_cndmask_b32_e64 v3, 0, v3, s0
	v_cmp_gt_i32_e64 s0, s25, v33
	s_wait_alu 0xf1ff
	s_delay_alu instid0(VALU_DEP_1)
	v_cndmask_b32_e64 v56, 0, v56, s0
.LBB121_43:                             ;   in Loop: Header=BB121_29 Depth=1
	s_wait_alu 0xfffe
	s_or_b32 exec_lo, exec_lo, s4
	v_lshlrev_b32_e32 v58, 16, v58
	v_lshlrev_b32_e32 v57, 16, v57
	;; [unrolled: 1-line block ×3, first 2 shown]
	s_delay_alu instid0(VALU_DEP_3) | instskip(NEXT) | instid1(VALU_DEP_3)
	v_and_or_b32 v1, 0xffff, v1, v58
	v_and_or_b32 v2, 0xffff, v2, v57
	s_delay_alu instid0(VALU_DEP_3)
	v_and_or_b32 v3, 0xffff, v3, v56
	;;#ASMSTART
	v_pk_mul_f16 v1, v37, v1;

	;;#ASMEND
	;;#ASMSTART
	v_pk_mul_f16 v2, v35, v2;

	;;#ASMEND
	;; [unrolled: 4-line block ×4, first 2 shown]
	;;#ASMSTART
	v_pk_add_f16 v1, v1, v2;

	;;#ASMEND
	;;#ASMSTART
	v_pk_add_f16 v1, v1, v3;

	;;#ASMEND
	;; [unrolled: 4-line block ×3, first 2 shown]
	v_and_b32_e32 v2, 0xffff, v1
	v_lshrrev_b32_e32 v1, 16, v1
	;;#ASMSTART
	v_cvt_f32_f16 v56, v2;
	;;#ASMEND
	;;#ASMSTART
	v_cvt_f32_f16 v57, v1;
	;;#ASMEND
	global_load_b128 v[1:4], v[7:8], off offset:3584
	s_wait_loadcnt 0x0
	v_lshrrev_b32_e32 v60, 16, v1
	v_lshrrev_b32_e32 v59, 16, v2
	;; [unrolled: 1-line block ×3, first 2 shown]
	s_and_saveexec_b32 s4, vcc_lo
	s_cbranch_execz .LBB121_45
; %bb.44:                               ;   in Loop: Header=BB121_29 Depth=1
	v_cmp_gt_i32_e64 s0, s25, v40
	v_and_b32_e32 v61, 0xffff, v4
	v_and_b32_e32 v4, 0xffff0000, v4
	s_wait_alu 0xf1ff
	s_delay_alu instid0(VALU_DEP_3) | instskip(SKIP_2) | instid1(VALU_DEP_1)
	v_cndmask_b32_e64 v1, 0, v1, s0
	v_cmp_gt_i32_e64 s0, s25, v45
	s_wait_alu 0xf1ff
	v_cndmask_b32_e64 v60, 0, v60, s0
	v_cmp_gt_i32_e64 s0, s25, v44
	s_wait_alu 0xf1ff
	s_delay_alu instid0(VALU_DEP_1) | instskip(SKIP_2) | instid1(VALU_DEP_1)
	v_cndmask_b32_e64 v2, 0, v2, s0
	v_cmp_gt_i32_e64 s0, s25, v36
	s_wait_alu 0xf1ff
	v_cndmask_b32_e64 v59, 0, v59, s0
	v_cmp_gt_i32_e64 s0, s25, v39
	s_wait_alu 0xf1ff
	s_delay_alu instid0(VALU_DEP_1) | instskip(SKIP_2) | instid1(VALU_DEP_1)
	v_cndmask_b32_e64 v61, 0, v61, s0
	v_cmp_gt_i32_e64 s0, s25, v31
	s_wait_alu 0xf1ff
	v_cndmask_b32_e64 v4, 0, v4, s0
	v_cmp_gt_i32_e64 s0, s25, v34
	s_delay_alu instid0(VALU_DEP_2) | instskip(SKIP_1) | instid1(VALU_DEP_2)
	v_or_b32_e32 v4, v61, v4
	s_wait_alu 0xf1ff
	v_cndmask_b32_e64 v3, 0, v3, s0
	v_cmp_gt_i32_e64 s0, s25, v33
	s_wait_alu 0xf1ff
	s_delay_alu instid0(VALU_DEP_1)
	v_cndmask_b32_e64 v58, 0, v58, s0
.LBB121_45:                             ;   in Loop: Header=BB121_29 Depth=1
	s_wait_alu 0xfffe
	s_or_b32 exec_lo, exec_lo, s4
	v_lshlrev_b32_e32 v60, 16, v60
	v_lshlrev_b32_e32 v59, 16, v59
	;; [unrolled: 1-line block ×3, first 2 shown]
	s_delay_alu instid0(VALU_DEP_3) | instskip(NEXT) | instid1(VALU_DEP_3)
	v_and_or_b32 v1, 0xffff, v1, v60
	v_and_or_b32 v2, 0xffff, v2, v59
	s_delay_alu instid0(VALU_DEP_3)
	v_and_or_b32 v3, 0xffff, v3, v58
	;;#ASMSTART
	v_pk_mul_f16 v1, v37, v1;

	;;#ASMEND
	;;#ASMSTART
	v_pk_mul_f16 v2, v35, v2;

	;;#ASMEND
	;; [unrolled: 4-line block ×4, first 2 shown]
	;;#ASMSTART
	v_pk_add_f16 v1, v1, v2;

	;;#ASMEND
	;;#ASMSTART
	v_pk_add_f16 v1, v1, v3;

	;;#ASMEND
	;; [unrolled: 4-line block ×3, first 2 shown]
	v_and_b32_e32 v2, 0xffff, v1
	v_lshrrev_b32_e32 v1, 16, v1
	;;#ASMSTART
	v_cvt_f32_f16 v58, v2;
	;;#ASMEND
	;;#ASMSTART
	v_cvt_f32_f16 v59, v1;
	;;#ASMEND
	global_load_b128 v[1:4], v[7:8], off offset:4096
	s_wait_loadcnt 0x0
	v_lshrrev_b32_e32 v62, 16, v1
	v_lshrrev_b32_e32 v61, 16, v2
	;; [unrolled: 1-line block ×3, first 2 shown]
	s_and_saveexec_b32 s4, vcc_lo
	s_cbranch_execz .LBB121_47
; %bb.46:                               ;   in Loop: Header=BB121_29 Depth=1
	v_cmp_gt_i32_e64 s0, s25, v40
	v_and_b32_e32 v63, 0xffff, v4
	v_and_b32_e32 v4, 0xffff0000, v4
	s_wait_alu 0xf1ff
	s_delay_alu instid0(VALU_DEP_3) | instskip(SKIP_2) | instid1(VALU_DEP_1)
	v_cndmask_b32_e64 v1, 0, v1, s0
	v_cmp_gt_i32_e64 s0, s25, v45
	s_wait_alu 0xf1ff
	v_cndmask_b32_e64 v62, 0, v62, s0
	v_cmp_gt_i32_e64 s0, s25, v44
	s_wait_alu 0xf1ff
	s_delay_alu instid0(VALU_DEP_1) | instskip(SKIP_2) | instid1(VALU_DEP_1)
	v_cndmask_b32_e64 v2, 0, v2, s0
	v_cmp_gt_i32_e64 s0, s25, v36
	s_wait_alu 0xf1ff
	v_cndmask_b32_e64 v61, 0, v61, s0
	v_cmp_gt_i32_e64 s0, s25, v39
	s_wait_alu 0xf1ff
	s_delay_alu instid0(VALU_DEP_1) | instskip(SKIP_2) | instid1(VALU_DEP_1)
	v_cndmask_b32_e64 v63, 0, v63, s0
	v_cmp_gt_i32_e64 s0, s25, v31
	s_wait_alu 0xf1ff
	v_cndmask_b32_e64 v4, 0, v4, s0
	v_cmp_gt_i32_e64 s0, s25, v34
	s_delay_alu instid0(VALU_DEP_2) | instskip(SKIP_1) | instid1(VALU_DEP_2)
	v_or_b32_e32 v4, v63, v4
	s_wait_alu 0xf1ff
	v_cndmask_b32_e64 v3, 0, v3, s0
	v_cmp_gt_i32_e64 s0, s25, v33
	s_wait_alu 0xf1ff
	s_delay_alu instid0(VALU_DEP_1)
	v_cndmask_b32_e64 v60, 0, v60, s0
.LBB121_47:                             ;   in Loop: Header=BB121_29 Depth=1
	s_wait_alu 0xfffe
	s_or_b32 exec_lo, exec_lo, s4
	v_lshlrev_b32_e32 v62, 16, v62
	v_lshlrev_b32_e32 v61, 16, v61
	;; [unrolled: 1-line block ×3, first 2 shown]
	s_delay_alu instid0(VALU_DEP_3) | instskip(NEXT) | instid1(VALU_DEP_3)
	v_and_or_b32 v1, 0xffff, v1, v62
	v_and_or_b32 v2, 0xffff, v2, v61
	s_delay_alu instid0(VALU_DEP_3)
	v_and_or_b32 v3, 0xffff, v3, v60
	;;#ASMSTART
	v_pk_mul_f16 v1, v37, v1;

	;;#ASMEND
	;;#ASMSTART
	v_pk_mul_f16 v2, v35, v2;

	;;#ASMEND
	;; [unrolled: 4-line block ×4, first 2 shown]
	;;#ASMSTART
	v_pk_add_f16 v1, v1, v2;

	;;#ASMEND
	;;#ASMSTART
	v_pk_add_f16 v1, v1, v3;

	;;#ASMEND
	;; [unrolled: 4-line block ×3, first 2 shown]
	v_and_b32_e32 v2, 0xffff, v1
	v_lshrrev_b32_e32 v1, 16, v1
	;;#ASMSTART
	v_cvt_f32_f16 v60, v2;
	;;#ASMEND
	;;#ASMSTART
	v_cvt_f32_f16 v61, v1;
	;;#ASMEND
	global_load_b128 v[1:4], v[7:8], off offset:4608
	s_wait_loadcnt 0x0
	v_lshrrev_b32_e32 v64, 16, v1
	v_lshrrev_b32_e32 v63, 16, v2
	;; [unrolled: 1-line block ×3, first 2 shown]
	s_and_saveexec_b32 s4, vcc_lo
	s_cbranch_execz .LBB121_49
; %bb.48:                               ;   in Loop: Header=BB121_29 Depth=1
	v_cmp_gt_i32_e64 s0, s25, v40
	v_and_b32_e32 v65, 0xffff, v4
	v_and_b32_e32 v4, 0xffff0000, v4
	s_wait_alu 0xf1ff
	s_delay_alu instid0(VALU_DEP_3) | instskip(SKIP_2) | instid1(VALU_DEP_1)
	v_cndmask_b32_e64 v1, 0, v1, s0
	v_cmp_gt_i32_e64 s0, s25, v45
	s_wait_alu 0xf1ff
	v_cndmask_b32_e64 v64, 0, v64, s0
	v_cmp_gt_i32_e64 s0, s25, v44
	s_wait_alu 0xf1ff
	s_delay_alu instid0(VALU_DEP_1) | instskip(SKIP_2) | instid1(VALU_DEP_1)
	v_cndmask_b32_e64 v2, 0, v2, s0
	v_cmp_gt_i32_e64 s0, s25, v36
	s_wait_alu 0xf1ff
	v_cndmask_b32_e64 v63, 0, v63, s0
	v_cmp_gt_i32_e64 s0, s25, v39
	s_wait_alu 0xf1ff
	s_delay_alu instid0(VALU_DEP_1) | instskip(SKIP_2) | instid1(VALU_DEP_1)
	v_cndmask_b32_e64 v65, 0, v65, s0
	v_cmp_gt_i32_e64 s0, s25, v31
	s_wait_alu 0xf1ff
	v_cndmask_b32_e64 v4, 0, v4, s0
	v_cmp_gt_i32_e64 s0, s25, v34
	s_delay_alu instid0(VALU_DEP_2) | instskip(SKIP_1) | instid1(VALU_DEP_2)
	v_or_b32_e32 v4, v65, v4
	s_wait_alu 0xf1ff
	v_cndmask_b32_e64 v3, 0, v3, s0
	v_cmp_gt_i32_e64 s0, s25, v33
	s_wait_alu 0xf1ff
	s_delay_alu instid0(VALU_DEP_1)
	v_cndmask_b32_e64 v62, 0, v62, s0
.LBB121_49:                             ;   in Loop: Header=BB121_29 Depth=1
	s_wait_alu 0xfffe
	s_or_b32 exec_lo, exec_lo, s4
	v_lshlrev_b32_e32 v64, 16, v64
	v_lshlrev_b32_e32 v63, 16, v63
	;; [unrolled: 1-line block ×3, first 2 shown]
	s_delay_alu instid0(VALU_DEP_3) | instskip(NEXT) | instid1(VALU_DEP_3)
	v_and_or_b32 v1, 0xffff, v1, v64
	v_and_or_b32 v2, 0xffff, v2, v63
	s_delay_alu instid0(VALU_DEP_3)
	v_and_or_b32 v3, 0xffff, v3, v62
	;;#ASMSTART
	v_pk_mul_f16 v1, v37, v1;

	;;#ASMEND
	;;#ASMSTART
	v_pk_mul_f16 v2, v35, v2;

	;;#ASMEND
	;; [unrolled: 4-line block ×4, first 2 shown]
	;;#ASMSTART
	v_pk_add_f16 v1, v1, v2;

	;;#ASMEND
	;;#ASMSTART
	v_pk_add_f16 v1, v1, v3;

	;;#ASMEND
	;; [unrolled: 4-line block ×3, first 2 shown]
	v_and_b32_e32 v2, 0xffff, v1
	v_lshrrev_b32_e32 v1, 16, v1
	;;#ASMSTART
	v_cvt_f32_f16 v62, v2;
	;;#ASMEND
	;;#ASMSTART
	v_cvt_f32_f16 v63, v1;
	;;#ASMEND
	global_load_b128 v[1:4], v[7:8], off offset:5120
	s_wait_loadcnt 0x0
	v_lshrrev_b32_e32 v66, 16, v1
	v_lshrrev_b32_e32 v65, 16, v2
	;; [unrolled: 1-line block ×3, first 2 shown]
	s_and_saveexec_b32 s4, vcc_lo
	s_cbranch_execz .LBB121_51
; %bb.50:                               ;   in Loop: Header=BB121_29 Depth=1
	v_cmp_gt_i32_e64 s0, s25, v40
	v_and_b32_e32 v67, 0xffff, v4
	v_and_b32_e32 v4, 0xffff0000, v4
	s_wait_alu 0xf1ff
	s_delay_alu instid0(VALU_DEP_3) | instskip(SKIP_2) | instid1(VALU_DEP_1)
	v_cndmask_b32_e64 v1, 0, v1, s0
	v_cmp_gt_i32_e64 s0, s25, v45
	s_wait_alu 0xf1ff
	v_cndmask_b32_e64 v66, 0, v66, s0
	v_cmp_gt_i32_e64 s0, s25, v44
	s_wait_alu 0xf1ff
	s_delay_alu instid0(VALU_DEP_1) | instskip(SKIP_2) | instid1(VALU_DEP_1)
	v_cndmask_b32_e64 v2, 0, v2, s0
	v_cmp_gt_i32_e64 s0, s25, v36
	s_wait_alu 0xf1ff
	v_cndmask_b32_e64 v65, 0, v65, s0
	v_cmp_gt_i32_e64 s0, s25, v39
	s_wait_alu 0xf1ff
	s_delay_alu instid0(VALU_DEP_1) | instskip(SKIP_2) | instid1(VALU_DEP_1)
	v_cndmask_b32_e64 v67, 0, v67, s0
	v_cmp_gt_i32_e64 s0, s25, v31
	s_wait_alu 0xf1ff
	v_cndmask_b32_e64 v4, 0, v4, s0
	v_cmp_gt_i32_e64 s0, s25, v34
	s_delay_alu instid0(VALU_DEP_2) | instskip(SKIP_1) | instid1(VALU_DEP_2)
	v_or_b32_e32 v4, v67, v4
	s_wait_alu 0xf1ff
	v_cndmask_b32_e64 v3, 0, v3, s0
	v_cmp_gt_i32_e64 s0, s25, v33
	s_wait_alu 0xf1ff
	s_delay_alu instid0(VALU_DEP_1)
	v_cndmask_b32_e64 v64, 0, v64, s0
.LBB121_51:                             ;   in Loop: Header=BB121_29 Depth=1
	s_wait_alu 0xfffe
	s_or_b32 exec_lo, exec_lo, s4
	v_lshlrev_b32_e32 v66, 16, v66
	v_lshlrev_b32_e32 v65, 16, v65
	;; [unrolled: 1-line block ×3, first 2 shown]
	s_delay_alu instid0(VALU_DEP_3) | instskip(NEXT) | instid1(VALU_DEP_3)
	v_and_or_b32 v1, 0xffff, v1, v66
	v_and_or_b32 v2, 0xffff, v2, v65
	s_delay_alu instid0(VALU_DEP_3)
	v_and_or_b32 v3, 0xffff, v3, v64
	;;#ASMSTART
	v_pk_mul_f16 v1, v37, v1;

	;;#ASMEND
	;;#ASMSTART
	v_pk_mul_f16 v2, v35, v2;

	;;#ASMEND
	;;#ASMSTART
	v_pk_mul_f16 v3, v38, v3;

	;;#ASMEND
	;;#ASMSTART
	v_pk_mul_f16 v4, v41, v4;

	;;#ASMEND
	;;#ASMSTART
	v_pk_add_f16 v1, v1, v2;

	;;#ASMEND
	;;#ASMSTART
	v_pk_add_f16 v1, v1, v3;

	;;#ASMEND
	;; [unrolled: 4-line block ×3, first 2 shown]
	v_and_b32_e32 v2, 0xffff, v1
	v_lshrrev_b32_e32 v1, 16, v1
	;;#ASMSTART
	v_cvt_f32_f16 v64, v2;
	;;#ASMEND
	;;#ASMSTART
	v_cvt_f32_f16 v65, v1;
	;;#ASMEND
	global_load_b128 v[1:4], v[7:8], off offset:5632
	s_wait_loadcnt 0x0
	v_lshrrev_b32_e32 v68, 16, v1
	v_lshrrev_b32_e32 v67, 16, v2
	;; [unrolled: 1-line block ×3, first 2 shown]
	s_and_saveexec_b32 s4, vcc_lo
	s_cbranch_execz .LBB121_53
; %bb.52:                               ;   in Loop: Header=BB121_29 Depth=1
	v_cmp_gt_i32_e64 s0, s25, v40
	v_and_b32_e32 v69, 0xffff, v4
	v_and_b32_e32 v4, 0xffff0000, v4
	s_wait_alu 0xf1ff
	s_delay_alu instid0(VALU_DEP_3) | instskip(SKIP_2) | instid1(VALU_DEP_1)
	v_cndmask_b32_e64 v1, 0, v1, s0
	v_cmp_gt_i32_e64 s0, s25, v45
	s_wait_alu 0xf1ff
	v_cndmask_b32_e64 v68, 0, v68, s0
	v_cmp_gt_i32_e64 s0, s25, v44
	s_wait_alu 0xf1ff
	s_delay_alu instid0(VALU_DEP_1) | instskip(SKIP_2) | instid1(VALU_DEP_1)
	v_cndmask_b32_e64 v2, 0, v2, s0
	v_cmp_gt_i32_e64 s0, s25, v36
	s_wait_alu 0xf1ff
	v_cndmask_b32_e64 v67, 0, v67, s0
	v_cmp_gt_i32_e64 s0, s25, v39
	s_wait_alu 0xf1ff
	s_delay_alu instid0(VALU_DEP_1) | instskip(SKIP_2) | instid1(VALU_DEP_1)
	v_cndmask_b32_e64 v69, 0, v69, s0
	v_cmp_gt_i32_e64 s0, s25, v31
	s_wait_alu 0xf1ff
	v_cndmask_b32_e64 v4, 0, v4, s0
	v_cmp_gt_i32_e64 s0, s25, v34
	s_delay_alu instid0(VALU_DEP_2) | instskip(SKIP_1) | instid1(VALU_DEP_2)
	v_or_b32_e32 v4, v69, v4
	s_wait_alu 0xf1ff
	v_cndmask_b32_e64 v3, 0, v3, s0
	v_cmp_gt_i32_e64 s0, s25, v33
	s_wait_alu 0xf1ff
	s_delay_alu instid0(VALU_DEP_1)
	v_cndmask_b32_e64 v66, 0, v66, s0
.LBB121_53:                             ;   in Loop: Header=BB121_29 Depth=1
	s_wait_alu 0xfffe
	s_or_b32 exec_lo, exec_lo, s4
	v_lshlrev_b32_e32 v68, 16, v68
	v_lshlrev_b32_e32 v67, 16, v67
	;; [unrolled: 1-line block ×3, first 2 shown]
	s_delay_alu instid0(VALU_DEP_3) | instskip(NEXT) | instid1(VALU_DEP_3)
	v_and_or_b32 v1, 0xffff, v1, v68
	v_and_or_b32 v2, 0xffff, v2, v67
	s_delay_alu instid0(VALU_DEP_3)
	v_and_or_b32 v3, 0xffff, v3, v66
	;;#ASMSTART
	v_pk_mul_f16 v1, v37, v1;

	;;#ASMEND
	;;#ASMSTART
	v_pk_mul_f16 v2, v35, v2;

	;;#ASMEND
	;; [unrolled: 4-line block ×4, first 2 shown]
	;;#ASMSTART
	v_pk_add_f16 v1, v1, v2;

	;;#ASMEND
	;;#ASMSTART
	v_pk_add_f16 v1, v1, v3;

	;;#ASMEND
	;; [unrolled: 4-line block ×3, first 2 shown]
	v_and_b32_e32 v2, 0xffff, v1
	v_lshrrev_b32_e32 v1, 16, v1
	;;#ASMSTART
	v_cvt_f32_f16 v66, v2;
	;;#ASMEND
	;;#ASMSTART
	v_cvt_f32_f16 v67, v1;
	;;#ASMEND
	global_load_b128 v[1:4], v[7:8], off offset:6144
	s_wait_loadcnt 0x0
	v_lshrrev_b32_e32 v70, 16, v1
	v_lshrrev_b32_e32 v69, 16, v2
	;; [unrolled: 1-line block ×3, first 2 shown]
	s_and_saveexec_b32 s4, vcc_lo
	s_cbranch_execz .LBB121_55
; %bb.54:                               ;   in Loop: Header=BB121_29 Depth=1
	v_cmp_gt_i32_e64 s0, s25, v40
	v_and_b32_e32 v71, 0xffff, v4
	v_and_b32_e32 v4, 0xffff0000, v4
	s_wait_alu 0xf1ff
	s_delay_alu instid0(VALU_DEP_3) | instskip(SKIP_2) | instid1(VALU_DEP_1)
	v_cndmask_b32_e64 v1, 0, v1, s0
	v_cmp_gt_i32_e64 s0, s25, v45
	s_wait_alu 0xf1ff
	v_cndmask_b32_e64 v70, 0, v70, s0
	v_cmp_gt_i32_e64 s0, s25, v44
	s_wait_alu 0xf1ff
	s_delay_alu instid0(VALU_DEP_1) | instskip(SKIP_2) | instid1(VALU_DEP_1)
	v_cndmask_b32_e64 v2, 0, v2, s0
	v_cmp_gt_i32_e64 s0, s25, v36
	s_wait_alu 0xf1ff
	v_cndmask_b32_e64 v69, 0, v69, s0
	v_cmp_gt_i32_e64 s0, s25, v39
	s_wait_alu 0xf1ff
	s_delay_alu instid0(VALU_DEP_1) | instskip(SKIP_2) | instid1(VALU_DEP_1)
	v_cndmask_b32_e64 v71, 0, v71, s0
	v_cmp_gt_i32_e64 s0, s25, v31
	s_wait_alu 0xf1ff
	v_cndmask_b32_e64 v4, 0, v4, s0
	v_cmp_gt_i32_e64 s0, s25, v34
	s_delay_alu instid0(VALU_DEP_2) | instskip(SKIP_1) | instid1(VALU_DEP_2)
	v_or_b32_e32 v4, v71, v4
	s_wait_alu 0xf1ff
	v_cndmask_b32_e64 v3, 0, v3, s0
	v_cmp_gt_i32_e64 s0, s25, v33
	s_wait_alu 0xf1ff
	s_delay_alu instid0(VALU_DEP_1)
	v_cndmask_b32_e64 v68, 0, v68, s0
.LBB121_55:                             ;   in Loop: Header=BB121_29 Depth=1
	s_wait_alu 0xfffe
	s_or_b32 exec_lo, exec_lo, s4
	v_lshlrev_b32_e32 v70, 16, v70
	v_lshlrev_b32_e32 v69, 16, v69
	;; [unrolled: 1-line block ×3, first 2 shown]
	s_delay_alu instid0(VALU_DEP_3) | instskip(NEXT) | instid1(VALU_DEP_3)
	v_and_or_b32 v1, 0xffff, v1, v70
	v_and_or_b32 v2, 0xffff, v2, v69
	s_delay_alu instid0(VALU_DEP_3)
	v_and_or_b32 v3, 0xffff, v3, v68
	;;#ASMSTART
	v_pk_mul_f16 v1, v37, v1;

	;;#ASMEND
	;;#ASMSTART
	v_pk_mul_f16 v2, v35, v2;

	;;#ASMEND
	;; [unrolled: 4-line block ×4, first 2 shown]
	;;#ASMSTART
	v_pk_add_f16 v1, v1, v2;

	;;#ASMEND
	;;#ASMSTART
	v_pk_add_f16 v1, v1, v3;

	;;#ASMEND
	;; [unrolled: 4-line block ×3, first 2 shown]
	v_and_b32_e32 v2, 0xffff, v1
	v_lshrrev_b32_e32 v1, 16, v1
	;;#ASMSTART
	v_cvt_f32_f16 v69, v2;
	;;#ASMEND
	;;#ASMSTART
	v_cvt_f32_f16 v70, v1;
	;;#ASMEND
	global_load_b128 v[1:4], v[7:8], off offset:6656
	s_wait_loadcnt 0x0
	v_lshrrev_b32_e32 v68, 16, v1
	v_lshrrev_b32_e32 v8, 16, v2
	;; [unrolled: 1-line block ×3, first 2 shown]
	s_and_saveexec_b32 s0, vcc_lo
	s_cbranch_execz .LBB121_28
; %bb.56:                               ;   in Loop: Header=BB121_29 Depth=1
	v_cmp_gt_i32_e32 vcc_lo, s25, v40
	v_and_b32_e32 v40, 0xffff, v4
	s_wait_alu 0xfffd
	v_dual_cndmask_b32 v1, 0, v1 :: v_dual_and_b32 v4, 0xffff0000, v4
	v_cmp_gt_i32_e32 vcc_lo, s25, v45
	s_wait_alu 0xfffd
	v_cndmask_b32_e32 v68, 0, v68, vcc_lo
	v_cmp_gt_i32_e32 vcc_lo, s25, v44
	s_wait_alu 0xfffd
	v_cndmask_b32_e32 v2, 0, v2, vcc_lo
	;; [unrolled: 3-line block ×5, first 2 shown]
	v_cmp_gt_i32_e32 vcc_lo, s25, v34
	s_delay_alu instid0(VALU_DEP_2)
	v_or_b32_e32 v4, v36, v4
	s_wait_alu 0xfffd
	v_cndmask_b32_e32 v3, 0, v3, vcc_lo
	v_cmp_gt_i32_e32 vcc_lo, s25, v33
	s_wait_alu 0xfffd
	v_cndmask_b32_e32 v7, 0, v7, vcc_lo
	s_branch .LBB121_28
.LBB121_57:
	s_or_b32 exec_lo, exec_lo, s3
.LBB121_58:
	s_wait_alu 0xfffe
	s_or_b32 exec_lo, exec_lo, s1
	ds_bpermute_b32 v3, v14, v27
	ds_bpermute_b32 v5, v14, v24
	;; [unrolled: 1-line block ×14, first 2 shown]
	v_mul_u32_u24_e32 v9, 0x1c0, v9
	s_mov_b32 s0, exec_lo
	s_wait_storecnt 0x0
	s_wait_loadcnt_dscnt 0x0
	s_barrier_signal -1
	s_barrier_wait -1
	global_inv scope:SCOPE_SE
	v_add_f32_e32 v3, v27, v3
	v_dual_add_f32 v5, v24, v5 :: v_dual_add_f32 v6, v23, v6
	v_add_f32_e32 v4, v25, v4
	v_add_f32_e32 v21, v21, v8
	ds_bpermute_b32 v24, v13, v3
	v_add_f32_e32 v19, v19, v29
	ds_bpermute_b32 v8, v13, v6
	v_dual_add_f32 v1, v26, v1 :: v_dual_add_f32 v2, v28, v2
	v_add_f32_e32 v7, v22, v7
	v_add_f32_e32 v20, v20, v11
	;; [unrolled: 1-line block ×4, first 2 shown]
	ds_bpermute_b32 v31, v13, v19
	v_add_f32_e32 v32, v16, v32
	v_add_f32_e32 v34, v15, v14
	ds_bpermute_b32 v22, v13, v1
	ds_bpermute_b32 v23, v13, v2
	;; [unrolled: 1-line block ×9, first 2 shown]
	s_wait_dscnt 0xb
	v_add_f32_e32 v15, v3, v24
	ds_bpermute_b32 v35, v13, v30
	s_wait_dscnt 0xb
	v_add_f32_e32 v11, v6, v8
	ds_bpermute_b32 v37, v13, v34
	s_wait_dscnt 0xb
	v_add_f32_e32 v3, v19, v31
	v_and_b32_e32 v19, 28, v10
	s_wait_dscnt 0x9
	v_dual_add_f32 v17, v1, v22 :: v_dual_add_f32 v16, v2, v23
	s_wait_dscnt 0x7
	v_dual_add_f32 v14, v4, v25 :: v_dual_add_f32 v13, v5, v26
	;; [unrolled: 2-line block ×3, first 2 shown]
	s_wait_dscnt 0x4
	v_dual_add_f32 v5, v20, v29 :: v_dual_and_b32 v20, 0x3c3, v0
	s_wait_dscnt 0x3
	v_add_f32_e32 v2, v18, v33
	s_wait_dscnt 0x1
	v_dual_add_f32 v4, v32, v36 :: v_dual_add_f32 v1, v30, v35
	v_lshrrev_b32_e32 v18, 2, v10
	s_wait_dscnt 0x0
	v_add_f32_e32 v6, v34, v37
	v_add_nc_u32_e32 v10, 0x100, v19
	v_cmpx_eq_u32_e32 64, v20
	s_cbranch_execz .LBB121_60
; %bb.59:
	s_delay_alu instid0(VALU_DEP_2) | instskip(NEXT) | instid1(VALU_DEP_1)
	v_add_nc_u32_e32 v19, v10, v9
	v_add_nc_u32_e32 v20, 0xfffffc80, v19
	;; [unrolled: 1-line block ×9, first 2 shown]
	ds_store_b32 v20, v17
	ds_store_b32 v21, v16
	;; [unrolled: 1-line block ×8, first 2 shown]
	v_add_nc_u32_e32 v20, 0xfffffd80, v19
	v_add_nc_u32_e32 v21, 0xfffffda0, v19
	;; [unrolled: 1-line block ×6, first 2 shown]
	ds_store_b32 v20, v5
	ds_store_b32 v21, v3
	;; [unrolled: 1-line block ×6, first 2 shown]
.LBB121_60:
	s_wait_alu 0xfffe
	s_or_b32 exec_lo, exec_lo, s0
	v_lshlrev_b32_e32 v18, 2, v18
	s_mov_b32 s1, exec_lo
	v_cmp_eq_u32_e32 vcc_lo, 0, v12
	s_wait_loadcnt_dscnt 0x0
	s_barrier_signal -1
	v_add3_u32 v9, 0x100, v9, v18
	s_barrier_wait -1
	global_inv scope:SCOPE_SE
	v_cmpx_gt_u32_e32 64, v0
	s_cbranch_execz .LBB121_77
; %bb.61:
	s_and_saveexec_b32 s0, vcc_lo
	s_cbranch_execnz .LBB121_99
; %bb.62:
	s_wait_alu 0xfffe
	s_or_b32 exec_lo, exec_lo, s0
	s_and_saveexec_b32 s0, vcc_lo
	s_cbranch_execnz .LBB121_100
.LBB121_63:
	s_wait_alu 0xfffe
	s_or_b32 exec_lo, exec_lo, s0
	s_and_saveexec_b32 s0, vcc_lo
	s_cbranch_execnz .LBB121_101
.LBB121_64:
	s_wait_alu 0xfffe
	s_or_b32 exec_lo, exec_lo, s0
	s_and_saveexec_b32 s0, vcc_lo
	s_cbranch_execnz .LBB121_102
.LBB121_65:
	s_wait_alu 0xfffe
	s_or_b32 exec_lo, exec_lo, s0
	s_and_saveexec_b32 s0, vcc_lo
	s_cbranch_execnz .LBB121_103
.LBB121_66:
	s_wait_alu 0xfffe
	s_or_b32 exec_lo, exec_lo, s0
	s_and_saveexec_b32 s0, vcc_lo
	s_cbranch_execnz .LBB121_104
.LBB121_67:
	s_wait_alu 0xfffe
	s_or_b32 exec_lo, exec_lo, s0
	s_and_saveexec_b32 s0, vcc_lo
	s_cbranch_execnz .LBB121_105
.LBB121_68:
	s_wait_alu 0xfffe
	s_or_b32 exec_lo, exec_lo, s0
	s_and_saveexec_b32 s0, vcc_lo
	s_cbranch_execnz .LBB121_106
.LBB121_69:
	s_wait_alu 0xfffe
	s_or_b32 exec_lo, exec_lo, s0
	s_and_saveexec_b32 s0, vcc_lo
	s_cbranch_execnz .LBB121_107
.LBB121_70:
	s_wait_alu 0xfffe
	s_or_b32 exec_lo, exec_lo, s0
	s_and_saveexec_b32 s0, vcc_lo
	s_cbranch_execnz .LBB121_108
.LBB121_71:
	s_wait_alu 0xfffe
	s_or_b32 exec_lo, exec_lo, s0
	s_and_saveexec_b32 s0, vcc_lo
	s_cbranch_execnz .LBB121_109
.LBB121_72:
	s_wait_alu 0xfffe
	s_or_b32 exec_lo, exec_lo, s0
	s_and_saveexec_b32 s0, vcc_lo
	s_cbranch_execnz .LBB121_110
.LBB121_73:
	s_wait_alu 0xfffe
	s_or_b32 exec_lo, exec_lo, s0
	s_and_saveexec_b32 s0, vcc_lo
	s_cbranch_execnz .LBB121_111
.LBB121_74:
	s_wait_alu 0xfffe
	s_or_b32 exec_lo, exec_lo, s0
	s_and_saveexec_b32 s0, vcc_lo
	s_cbranch_execz .LBB121_76
.LBB121_75:
	ds_load_b32 v12, v9 offset:416
	s_wait_dscnt 0x0
	v_add_f32_e32 v6, v6, v12
.LBB121_76:
	s_wait_alu 0xfffe
	s_or_b32 exec_lo, exec_lo, s0
.LBB121_77:
	s_wait_alu 0xfffe
	s_or_b32 exec_lo, exec_lo, s1
	v_and_b32_e32 v12, 0x3e3, v0
	s_mov_b32 s1, exec_lo
	s_wait_loadcnt 0x0
	s_barrier_signal -1
	s_barrier_wait -1
	global_inv scope:SCOPE_SE
	v_cmpx_eq_u32_e32 32, v12
	s_cbranch_execz .LBB121_79
; %bb.78:
	ds_store_2addr_b32 v10, v17, v16 offset1:8
	ds_store_2addr_b32 v10, v15, v14 offset0:16 offset1:24
	ds_store_2addr_b32 v10, v13, v11 offset0:32 offset1:40
	;; [unrolled: 1-line block ×6, first 2 shown]
.LBB121_79:
	s_wait_alu 0xfffe
	s_or_b32 exec_lo, exec_lo, s1
	s_delay_alu instid0(SALU_CYCLE_1)
	s_mov_b32 s1, exec_lo
	s_wait_loadcnt_dscnt 0x0
	s_barrier_signal -1
	s_barrier_wait -1
	global_inv scope:SCOPE_SE
	v_cmpx_gt_u32_e32 32, v0
	s_cbranch_execz .LBB121_96
; %bb.80:
	s_and_saveexec_b32 s0, vcc_lo
	s_cbranch_execnz .LBB121_112
; %bb.81:
	s_wait_alu 0xfffe
	s_or_b32 exec_lo, exec_lo, s0
	s_and_saveexec_b32 s0, vcc_lo
	s_cbranch_execnz .LBB121_113
.LBB121_82:
	s_wait_alu 0xfffe
	s_or_b32 exec_lo, exec_lo, s0
	s_and_saveexec_b32 s0, vcc_lo
	s_cbranch_execnz .LBB121_114
.LBB121_83:
	s_wait_alu 0xfffe
	s_or_b32 exec_lo, exec_lo, s0
	s_and_saveexec_b32 s0, vcc_lo
	s_cbranch_execnz .LBB121_115
.LBB121_84:
	s_wait_alu 0xfffe
	s_or_b32 exec_lo, exec_lo, s0
	s_and_saveexec_b32 s0, vcc_lo
	s_cbranch_execnz .LBB121_116
.LBB121_85:
	s_wait_alu 0xfffe
	s_or_b32 exec_lo, exec_lo, s0
	s_and_saveexec_b32 s0, vcc_lo
	s_cbranch_execnz .LBB121_117
.LBB121_86:
	s_wait_alu 0xfffe
	s_or_b32 exec_lo, exec_lo, s0
	s_and_saveexec_b32 s0, vcc_lo
	s_cbranch_execnz .LBB121_118
.LBB121_87:
	s_wait_alu 0xfffe
	s_or_b32 exec_lo, exec_lo, s0
	s_and_saveexec_b32 s0, vcc_lo
	s_cbranch_execnz .LBB121_119
.LBB121_88:
	s_wait_alu 0xfffe
	s_or_b32 exec_lo, exec_lo, s0
	s_and_saveexec_b32 s0, vcc_lo
	s_cbranch_execnz .LBB121_120
.LBB121_89:
	s_wait_alu 0xfffe
	s_or_b32 exec_lo, exec_lo, s0
	s_and_saveexec_b32 s0, vcc_lo
	s_cbranch_execnz .LBB121_121
.LBB121_90:
	s_wait_alu 0xfffe
	s_or_b32 exec_lo, exec_lo, s0
	s_and_saveexec_b32 s0, vcc_lo
	s_cbranch_execnz .LBB121_122
.LBB121_91:
	s_wait_alu 0xfffe
	s_or_b32 exec_lo, exec_lo, s0
	s_and_saveexec_b32 s0, vcc_lo
	s_cbranch_execnz .LBB121_123
.LBB121_92:
	s_wait_alu 0xfffe
	s_or_b32 exec_lo, exec_lo, s0
	s_and_saveexec_b32 s0, vcc_lo
	s_cbranch_execnz .LBB121_124
.LBB121_93:
	s_wait_alu 0xfffe
	s_or_b32 exec_lo, exec_lo, s0
	s_and_saveexec_b32 s0, vcc_lo
	s_cbranch_execz .LBB121_95
.LBB121_94:
	ds_load_b32 v9, v9 offset:416
	s_wait_dscnt 0x0
	v_add_f32_e32 v6, v6, v9
.LBB121_95:
	s_wait_alu 0xfffe
	s_or_b32 exec_lo, exec_lo, s0
.LBB121_96:
	s_wait_alu 0xfffe
	s_or_b32 exec_lo, exec_lo, s1
	s_mov_b32 s1, 0
	s_wait_loadcnt 0x0
	s_barrier_signal -1
	s_barrier_wait -1
	global_inv scope:SCOPE_SE
	s_mov_b32 s0, exec_lo
	v_cmpx_eq_u32_e32 0, v12
	s_cbranch_execz .LBB121_98
; %bb.97:
	s_mul_i32 s2, s20, 0x70
	s_wait_kmcnt 0x0
	s_mul_i32 s4, s8, s12
	s_wait_alu 0xfffe
	s_ashr_i32 s3, s2, 31
	s_ashr_i32 s5, s4, 31
	s_wait_alu 0xfffe
	s_lshl_b64 s[2:3], s[2:3], 1
	s_lshl_b64 s[4:5], s[4:5], 1
	s_wait_alu 0xfffe
	s_add_nc_u64 s[2:3], s[18:19], s[2:3]
	v_lshrrev_b32_e32 v0, 1, v0
	s_mul_i32 s0, s24, 0xe0
	s_wait_alu 0xfffe
	s_add_nc_u64 s[2:3], s[2:3], s[4:5]
	;;#ASMSTART
	v_cvt_f16_f32 v9, v17;

	;;#ASMEND
	s_wait_alu 0xfffe
	s_add_nc_u64 s[0:1], s[2:3], s[0:1]
	global_store_b16 v0, v9, s[0:1]
	;;#ASMSTART
	v_cvt_f16_f32 v9, v16;

	;;#ASMEND
	global_store_b16 v0, v9, s[0:1] offset:16
	;;#ASMSTART
	v_cvt_f16_f32 v9, v15;

	;;#ASMEND
	global_store_b16 v0, v9, s[0:1] offset:32
	;; [unrolled: 5-line block ×13, first 2 shown]
.LBB121_98:
	s_nop 0
	s_sendmsg sendmsg(MSG_DEALLOC_VGPRS)
	s_endpgm
.LBB121_99:
	ds_load_b32 v12, v9
	s_wait_dscnt 0x0
	v_add_f32_e32 v17, v17, v12
	s_wait_alu 0xfffe
	s_or_b32 exec_lo, exec_lo, s0
	s_and_saveexec_b32 s0, vcc_lo
	s_cbranch_execz .LBB121_63
.LBB121_100:
	ds_load_b32 v12, v9 offset:32
	s_wait_dscnt 0x0
	v_add_f32_e32 v16, v16, v12
	s_wait_alu 0xfffe
	s_or_b32 exec_lo, exec_lo, s0
	s_and_saveexec_b32 s0, vcc_lo
	s_cbranch_execz .LBB121_64
.LBB121_101:
	ds_load_b32 v12, v9 offset:64
	s_wait_dscnt 0x0
	v_add_f32_e32 v15, v15, v12
	s_wait_alu 0xfffe
	s_or_b32 exec_lo, exec_lo, s0
	s_and_saveexec_b32 s0, vcc_lo
	s_cbranch_execz .LBB121_65
.LBB121_102:
	ds_load_b32 v12, v9 offset:96
	s_wait_dscnt 0x0
	v_add_f32_e32 v14, v14, v12
	s_wait_alu 0xfffe
	s_or_b32 exec_lo, exec_lo, s0
	s_and_saveexec_b32 s0, vcc_lo
	s_cbranch_execz .LBB121_66
.LBB121_103:
	ds_load_b32 v12, v9 offset:128
	s_wait_dscnt 0x0
	v_add_f32_e32 v13, v13, v12
	s_wait_alu 0xfffe
	s_or_b32 exec_lo, exec_lo, s0
	s_and_saveexec_b32 s0, vcc_lo
	s_cbranch_execz .LBB121_67
.LBB121_104:
	ds_load_b32 v12, v9 offset:160
	s_wait_dscnt 0x0
	v_add_f32_e32 v11, v11, v12
	s_wait_alu 0xfffe
	s_or_b32 exec_lo, exec_lo, s0
	s_and_saveexec_b32 s0, vcc_lo
	s_cbranch_execz .LBB121_68
.LBB121_105:
	ds_load_b32 v12, v9 offset:192
	s_wait_dscnt 0x0
	v_add_f32_e32 v8, v8, v12
	s_wait_alu 0xfffe
	s_or_b32 exec_lo, exec_lo, s0
	s_and_saveexec_b32 s0, vcc_lo
	s_cbranch_execz .LBB121_69
.LBB121_106:
	ds_load_b32 v12, v9 offset:224
	s_wait_dscnt 0x0
	v_add_f32_e32 v7, v7, v12
	s_wait_alu 0xfffe
	s_or_b32 exec_lo, exec_lo, s0
	s_and_saveexec_b32 s0, vcc_lo
	s_cbranch_execz .LBB121_70
.LBB121_107:
	ds_load_b32 v12, v9 offset:256
	s_wait_dscnt 0x0
	v_add_f32_e32 v5, v5, v12
	s_wait_alu 0xfffe
	s_or_b32 exec_lo, exec_lo, s0
	s_and_saveexec_b32 s0, vcc_lo
	s_cbranch_execz .LBB121_71
.LBB121_108:
	ds_load_b32 v12, v9 offset:288
	s_wait_dscnt 0x0
	v_add_f32_e32 v3, v3, v12
	s_wait_alu 0xfffe
	s_or_b32 exec_lo, exec_lo, s0
	s_and_saveexec_b32 s0, vcc_lo
	s_cbranch_execz .LBB121_72
.LBB121_109:
	ds_load_b32 v12, v9 offset:320
	s_wait_dscnt 0x0
	v_add_f32_e32 v2, v2, v12
	s_wait_alu 0xfffe
	s_or_b32 exec_lo, exec_lo, s0
	s_and_saveexec_b32 s0, vcc_lo
	s_cbranch_execz .LBB121_73
.LBB121_110:
	ds_load_b32 v12, v9 offset:352
	s_wait_dscnt 0x0
	v_add_f32_e32 v1, v1, v12
	s_wait_alu 0xfffe
	s_or_b32 exec_lo, exec_lo, s0
	s_and_saveexec_b32 s0, vcc_lo
	s_cbranch_execz .LBB121_74
.LBB121_111:
	ds_load_b32 v12, v9 offset:384
	s_wait_dscnt 0x0
	v_add_f32_e32 v4, v4, v12
	s_wait_alu 0xfffe
	s_or_b32 exec_lo, exec_lo, s0
	s_and_saveexec_b32 s0, vcc_lo
	s_cbranch_execnz .LBB121_75
	s_branch .LBB121_76
.LBB121_112:
	ds_load_b32 v10, v9
	s_wait_dscnt 0x0
	v_add_f32_e32 v17, v17, v10
	s_wait_alu 0xfffe
	s_or_b32 exec_lo, exec_lo, s0
	s_and_saveexec_b32 s0, vcc_lo
	s_cbranch_execz .LBB121_82
.LBB121_113:
	ds_load_b32 v10, v9 offset:32
	s_wait_dscnt 0x0
	v_add_f32_e32 v16, v16, v10
	s_wait_alu 0xfffe
	s_or_b32 exec_lo, exec_lo, s0
	s_and_saveexec_b32 s0, vcc_lo
	s_cbranch_execz .LBB121_83
.LBB121_114:
	ds_load_b32 v10, v9 offset:64
	s_wait_dscnt 0x0
	v_add_f32_e32 v15, v15, v10
	s_wait_alu 0xfffe
	s_or_b32 exec_lo, exec_lo, s0
	s_and_saveexec_b32 s0, vcc_lo
	s_cbranch_execz .LBB121_84
.LBB121_115:
	ds_load_b32 v10, v9 offset:96
	s_wait_dscnt 0x0
	v_add_f32_e32 v14, v14, v10
	s_wait_alu 0xfffe
	s_or_b32 exec_lo, exec_lo, s0
	s_and_saveexec_b32 s0, vcc_lo
	s_cbranch_execz .LBB121_85
.LBB121_116:
	ds_load_b32 v10, v9 offset:128
	s_wait_dscnt 0x0
	v_add_f32_e32 v13, v13, v10
	s_wait_alu 0xfffe
	s_or_b32 exec_lo, exec_lo, s0
	s_and_saveexec_b32 s0, vcc_lo
	s_cbranch_execz .LBB121_86
.LBB121_117:
	ds_load_b32 v10, v9 offset:160
	s_wait_dscnt 0x0
	v_add_f32_e32 v11, v11, v10
	s_wait_alu 0xfffe
	s_or_b32 exec_lo, exec_lo, s0
	s_and_saveexec_b32 s0, vcc_lo
	s_cbranch_execz .LBB121_87
.LBB121_118:
	ds_load_b32 v10, v9 offset:192
	s_wait_dscnt 0x0
	v_add_f32_e32 v8, v8, v10
	s_wait_alu 0xfffe
	s_or_b32 exec_lo, exec_lo, s0
	s_and_saveexec_b32 s0, vcc_lo
	s_cbranch_execz .LBB121_88
.LBB121_119:
	ds_load_b32 v10, v9 offset:224
	s_wait_dscnt 0x0
	v_add_f32_e32 v7, v7, v10
	s_wait_alu 0xfffe
	s_or_b32 exec_lo, exec_lo, s0
	s_and_saveexec_b32 s0, vcc_lo
	s_cbranch_execz .LBB121_89
.LBB121_120:
	ds_load_b32 v10, v9 offset:256
	s_wait_dscnt 0x0
	v_add_f32_e32 v5, v5, v10
	s_wait_alu 0xfffe
	s_or_b32 exec_lo, exec_lo, s0
	s_and_saveexec_b32 s0, vcc_lo
	s_cbranch_execz .LBB121_90
.LBB121_121:
	ds_load_b32 v10, v9 offset:288
	s_wait_dscnt 0x0
	v_add_f32_e32 v3, v3, v10
	s_wait_alu 0xfffe
	s_or_b32 exec_lo, exec_lo, s0
	s_and_saveexec_b32 s0, vcc_lo
	s_cbranch_execz .LBB121_91
.LBB121_122:
	ds_load_b32 v10, v9 offset:320
	s_wait_dscnt 0x0
	v_add_f32_e32 v2, v2, v10
	s_wait_alu 0xfffe
	s_or_b32 exec_lo, exec_lo, s0
	s_and_saveexec_b32 s0, vcc_lo
	s_cbranch_execz .LBB121_92
.LBB121_123:
	ds_load_b32 v10, v9 offset:352
	s_wait_dscnt 0x0
	v_add_f32_e32 v1, v1, v10
	s_wait_alu 0xfffe
	s_or_b32 exec_lo, exec_lo, s0
	s_and_saveexec_b32 s0, vcc_lo
	s_cbranch_execz .LBB121_93
.LBB121_124:
	ds_load_b32 v10, v9 offset:384
	s_wait_dscnt 0x0
	v_add_f32_e32 v4, v4, v10
	s_wait_alu 0xfffe
	s_or_b32 exec_lo, exec_lo, s0
	s_and_saveexec_b32 s0, vcc_lo
	s_cbranch_execnz .LBB121_94
	s_branch .LBB121_95
	.section	.rodata,"a",@progbits
	.p2align	6, 0x0
	.amdhsa_kernel _ZN4vllm25paged_attention_v2_kernelIttLi112ELi32ELi128ELNS_18Fp8KVCacheDataTypeE0ELb0ELi512EEEvPfS2_PT_PKS3_PKT0_S9_ifPKiSB_iPKfiiiSD_SD_iiiii
		.amdhsa_group_segment_fixed_size 256
		.amdhsa_private_segment_fixed_size 0
		.amdhsa_kernarg_size 400
		.amdhsa_user_sgpr_count 2
		.amdhsa_user_sgpr_dispatch_ptr 0
		.amdhsa_user_sgpr_queue_ptr 0
		.amdhsa_user_sgpr_kernarg_segment_ptr 1
		.amdhsa_user_sgpr_dispatch_id 0
		.amdhsa_user_sgpr_private_segment_size 0
		.amdhsa_wavefront_size32 1
		.amdhsa_uses_dynamic_stack 0
		.amdhsa_enable_private_segment 0
		.amdhsa_system_sgpr_workgroup_id_x 1
		.amdhsa_system_sgpr_workgroup_id_y 1
		.amdhsa_system_sgpr_workgroup_id_z 1
		.amdhsa_system_sgpr_workgroup_info 0
		.amdhsa_system_vgpr_workitem_id 0
		.amdhsa_next_free_vgpr 163
		.amdhsa_next_free_sgpr 36
		.amdhsa_reserve_vcc 1
		.amdhsa_float_round_mode_32 0
		.amdhsa_float_round_mode_16_64 0
		.amdhsa_float_denorm_mode_32 3
		.amdhsa_float_denorm_mode_16_64 3
		.amdhsa_fp16_overflow 0
		.amdhsa_workgroup_processor_mode 1
		.amdhsa_memory_ordered 1
		.amdhsa_forward_progress 1
		.amdhsa_inst_pref_size 93
		.amdhsa_round_robin_scheduling 0
		.amdhsa_exception_fp_ieee_invalid_op 0
		.amdhsa_exception_fp_denorm_src 0
		.amdhsa_exception_fp_ieee_div_zero 0
		.amdhsa_exception_fp_ieee_overflow 0
		.amdhsa_exception_fp_ieee_underflow 0
		.amdhsa_exception_fp_ieee_inexact 0
		.amdhsa_exception_int_div_zero 0
	.end_amdhsa_kernel
	.section	.text._ZN4vllm25paged_attention_v2_kernelIttLi112ELi32ELi128ELNS_18Fp8KVCacheDataTypeE0ELb0ELi512EEEvPfS2_PT_PKS3_PKT0_S9_ifPKiSB_iPKfiiiSD_SD_iiiii,"axG",@progbits,_ZN4vllm25paged_attention_v2_kernelIttLi112ELi32ELi128ELNS_18Fp8KVCacheDataTypeE0ELb0ELi512EEEvPfS2_PT_PKS3_PKT0_S9_ifPKiSB_iPKfiiiSD_SD_iiiii,comdat
.Lfunc_end121:
	.size	_ZN4vllm25paged_attention_v2_kernelIttLi112ELi32ELi128ELNS_18Fp8KVCacheDataTypeE0ELb0ELi512EEEvPfS2_PT_PKS3_PKT0_S9_ifPKiSB_iPKfiiiSD_SD_iiiii, .Lfunc_end121-_ZN4vllm25paged_attention_v2_kernelIttLi112ELi32ELi128ELNS_18Fp8KVCacheDataTypeE0ELb0ELi512EEEvPfS2_PT_PKS3_PKT0_S9_ifPKiSB_iPKfiiiSD_SD_iiiii
                                        ; -- End function
	.set _ZN4vllm25paged_attention_v2_kernelIttLi112ELi32ELi128ELNS_18Fp8KVCacheDataTypeE0ELb0ELi512EEEvPfS2_PT_PKS3_PKT0_S9_ifPKiSB_iPKfiiiSD_SD_iiiii.num_vgpr, 163
	.set _ZN4vllm25paged_attention_v2_kernelIttLi112ELi32ELi128ELNS_18Fp8KVCacheDataTypeE0ELb0ELi512EEEvPfS2_PT_PKS3_PKT0_S9_ifPKiSB_iPKfiiiSD_SD_iiiii.num_agpr, 0
	.set _ZN4vllm25paged_attention_v2_kernelIttLi112ELi32ELi128ELNS_18Fp8KVCacheDataTypeE0ELb0ELi512EEEvPfS2_PT_PKS3_PKT0_S9_ifPKiSB_iPKfiiiSD_SD_iiiii.numbered_sgpr, 36
	.set _ZN4vllm25paged_attention_v2_kernelIttLi112ELi32ELi128ELNS_18Fp8KVCacheDataTypeE0ELb0ELi512EEEvPfS2_PT_PKS3_PKT0_S9_ifPKiSB_iPKfiiiSD_SD_iiiii.num_named_barrier, 0
	.set _ZN4vllm25paged_attention_v2_kernelIttLi112ELi32ELi128ELNS_18Fp8KVCacheDataTypeE0ELb0ELi512EEEvPfS2_PT_PKS3_PKT0_S9_ifPKiSB_iPKfiiiSD_SD_iiiii.private_seg_size, 0
	.set _ZN4vllm25paged_attention_v2_kernelIttLi112ELi32ELi128ELNS_18Fp8KVCacheDataTypeE0ELb0ELi512EEEvPfS2_PT_PKS3_PKT0_S9_ifPKiSB_iPKfiiiSD_SD_iiiii.uses_vcc, 1
	.set _ZN4vllm25paged_attention_v2_kernelIttLi112ELi32ELi128ELNS_18Fp8KVCacheDataTypeE0ELb0ELi512EEEvPfS2_PT_PKS3_PKT0_S9_ifPKiSB_iPKfiiiSD_SD_iiiii.uses_flat_scratch, 0
	.set _ZN4vllm25paged_attention_v2_kernelIttLi112ELi32ELi128ELNS_18Fp8KVCacheDataTypeE0ELb0ELi512EEEvPfS2_PT_PKS3_PKT0_S9_ifPKiSB_iPKfiiiSD_SD_iiiii.has_dyn_sized_stack, 0
	.set _ZN4vllm25paged_attention_v2_kernelIttLi112ELi32ELi128ELNS_18Fp8KVCacheDataTypeE0ELb0ELi512EEEvPfS2_PT_PKS3_PKT0_S9_ifPKiSB_iPKfiiiSD_SD_iiiii.has_recursion, 0
	.set _ZN4vllm25paged_attention_v2_kernelIttLi112ELi32ELi128ELNS_18Fp8KVCacheDataTypeE0ELb0ELi512EEEvPfS2_PT_PKS3_PKT0_S9_ifPKiSB_iPKfiiiSD_SD_iiiii.has_indirect_call, 0
	.section	.AMDGPU.csdata,"",@progbits
; Kernel info:
; codeLenInByte = 11856
; TotalNumSgprs: 38
; NumVgprs: 163
; ScratchSize: 0
; MemoryBound: 0
; FloatMode: 240
; IeeeMode: 1
; LDSByteSize: 256 bytes/workgroup (compile time only)
; SGPRBlocks: 0
; VGPRBlocks: 20
; NumSGPRsForWavesPerEU: 38
; NumVGPRsForWavesPerEU: 163
; Occupancy: 9
; WaveLimiterHint : 1
; COMPUTE_PGM_RSRC2:SCRATCH_EN: 0
; COMPUTE_PGM_RSRC2:USER_SGPR: 2
; COMPUTE_PGM_RSRC2:TRAP_HANDLER: 0
; COMPUTE_PGM_RSRC2:TGID_X_EN: 1
; COMPUTE_PGM_RSRC2:TGID_Y_EN: 1
; COMPUTE_PGM_RSRC2:TGID_Z_EN: 1
; COMPUTE_PGM_RSRC2:TIDIG_COMP_CNT: 0
	.section	.text._ZN4vllm25paged_attention_v2_kernelIttLi120ELi32ELi128ELNS_18Fp8KVCacheDataTypeE0ELb0ELi512EEEvPfS2_PT_PKS3_PKT0_S9_ifPKiSB_iPKfiiiSD_SD_iiiii,"axG",@progbits,_ZN4vllm25paged_attention_v2_kernelIttLi120ELi32ELi128ELNS_18Fp8KVCacheDataTypeE0ELb0ELi512EEEvPfS2_PT_PKS3_PKT0_S9_ifPKiSB_iPKfiiiSD_SD_iiiii,comdat
	.protected	_ZN4vllm25paged_attention_v2_kernelIttLi120ELi32ELi128ELNS_18Fp8KVCacheDataTypeE0ELb0ELi512EEEvPfS2_PT_PKS3_PKT0_S9_ifPKiSB_iPKfiiiSD_SD_iiiii ; -- Begin function _ZN4vllm25paged_attention_v2_kernelIttLi120ELi32ELi128ELNS_18Fp8KVCacheDataTypeE0ELb0ELi512EEEvPfS2_PT_PKS3_PKT0_S9_ifPKiSB_iPKfiiiSD_SD_iiiii
	.globl	_ZN4vllm25paged_attention_v2_kernelIttLi120ELi32ELi128ELNS_18Fp8KVCacheDataTypeE0ELb0ELi512EEEvPfS2_PT_PKS3_PKT0_S9_ifPKiSB_iPKfiiiSD_SD_iiiii
	.p2align	8
	.type	_ZN4vllm25paged_attention_v2_kernelIttLi120ELi32ELi128ELNS_18Fp8KVCacheDataTypeE0ELb0ELi512EEEvPfS2_PT_PKS3_PKT0_S9_ifPKiSB_iPKfiiiSD_SD_iiiii,@function
_ZN4vllm25paged_attention_v2_kernelIttLi120ELi32ELi128ELNS_18Fp8KVCacheDataTypeE0ELb0ELi512EEEvPfS2_PT_PKS3_PKT0_S9_ifPKiSB_iPKfiiiSD_SD_iiiii: ; @_ZN4vllm25paged_attention_v2_kernelIttLi120ELi32ELi128ELNS_18Fp8KVCacheDataTypeE0ELb0ELi512EEEvPfS2_PT_PKS3_PKT0_S9_ifPKiSB_iPKfiiiSD_SD_iiiii
; %bb.0:
	s_load_b64 s[2:3], s[0:1], 0x40
	s_and_b32 s20, ttmp7, 0xffff
	s_lshr_b32 s24, ttmp7, 16
	s_lshl_b32 s4, s20, 2
	s_lshl_b32 s26, s24, 9
	s_wait_kmcnt 0x0
	s_load_b32 s25, s[2:3], s4 offset:0x0
	s_wait_kmcnt 0x0
	s_cmp_ge_i32 s26, s25
	s_cbranch_scc1 .LBB122_102
; %bb.1:
	s_clause 0x1
	s_load_b32 s21, s[0:1], 0x90
	s_load_b64 s[4:5], s[0:1], 0x30
	s_wait_kmcnt 0x0
	s_abs_i32 s7, s21
	s_abs_i32 s2, s4
	s_xor_b32 s4, s21, s4
	s_cvt_f32_u32 s3, s2
	s_sub_co_i32 s6, 0, s2
	s_ashr_i32 s4, s4, 31
	s_delay_alu instid0(SALU_CYCLE_1) | instskip(NEXT) | instid1(TRANS32_DEP_1)
	v_rcp_iflag_f32_e32 v1, s3
	v_readfirstlane_b32 s3, v1
	s_mul_f32 s3, s3, 0x4f7ffffe
	s_wait_alu 0xfffe
	s_delay_alu instid0(SALU_CYCLE_2) | instskip(SKIP_1) | instid1(SALU_CYCLE_2)
	s_cvt_u32_f32 s3, s3
	s_wait_alu 0xfffe
	s_mul_i32 s6, s6, s3
	s_delay_alu instid0(SALU_CYCLE_1) | instskip(NEXT) | instid1(SALU_CYCLE_1)
	s_mul_hi_u32 s6, s3, s6
	s_add_co_i32 s3, s3, s6
	s_wait_alu 0xfffe
	s_mul_hi_u32 s3, s7, s3
	s_wait_alu 0xfffe
	s_mul_i32 s6, s3, s2
	s_delay_alu instid0(SALU_CYCLE_1)
	s_sub_co_i32 s6, s7, s6
	s_add_co_i32 s7, s3, 1
	s_sub_co_i32 s8, s6, s2
	s_cmp_ge_u32 s6, s2
	s_cselect_b32 s3, s7, s3
	s_cselect_b32 s6, s8, s6
	s_wait_alu 0xfffe
	s_add_co_i32 s7, s3, 1
	s_cmp_ge_u32 s6, s2
	s_load_b64 s[8:9], s[0:1], 0x50
	s_cselect_b32 s2, s7, s3
	s_mov_b32 s3, 0
	s_wait_alu 0xfffe
	s_xor_b32 s2, s2, s4
	s_mov_b32 s7, s3
	s_wait_alu 0xfffe
	s_sub_co_i32 s12, s2, s4
	s_delay_alu instid0(SALU_CYCLE_1) | instskip(NEXT) | instid1(SALU_CYCLE_1)
	s_abs_i32 s11, s12
	s_cvt_f32_u32 s2, s11
	s_wait_alu 0xfffe
	s_delay_alu instid0(SALU_CYCLE_2) | instskip(NEXT) | instid1(TRANS32_DEP_1)
	v_rcp_iflag_f32_e32 v1, s2
	v_readfirstlane_b32 s2, v1
	s_mul_f32 s2, s2, 0x4f7ffffe
	s_wait_alu 0xfffe
	s_delay_alu instid0(SALU_CYCLE_2) | instskip(SKIP_2) | instid1(SALU_CYCLE_1)
	s_cvt_u32_f32 s4, s2
	s_sub_co_i32 s2, 0, s11
	s_wait_alu 0xfffe
	s_mul_i32 s2, s2, s4
	s_wait_alu 0xfffe
	s_mul_hi_u32 s6, s4, s2
	s_abs_i32 s2, ttmp9
	s_add_co_i32 s6, s4, s6
	s_wait_kmcnt 0x0
	s_cmp_eq_u64 s[8:9], 0
	s_mov_b32 s4, s3
	s_cbranch_scc1 .LBB122_3
; %bb.2:
	s_mov_b32 s14, ttmp9
	s_ashr_i32 s15, ttmp9, 31
	s_delay_alu instid0(SALU_CYCLE_1) | instskip(NEXT) | instid1(SALU_CYCLE_1)
	s_lshl_b64 s[14:15], s[14:15], 2
	s_add_nc_u64 s[8:9], s[8:9], s[14:15]
	s_load_b32 s4, s[8:9], 0x0
.LBB122_3:
	s_load_b96 s[8:10], s[0:1], 0x58
	v_lshlrev_b32_e32 v62, 4, v0
	s_mul_u64 s[6:7], s[2:3], s[6:7]
	s_ashr_i32 s3, ttmp9, 31
	s_ashr_i32 s6, s12, 31
	s_mul_i32 s12, ttmp9, 0x78
	s_mov_b32 s14, exec_lo
	v_cmpx_gt_u32_e32 15, v0
	s_cbranch_execz .LBB122_5
; %bb.4:
	s_load_b64 s[16:17], s[0:1], 0x18
	s_wait_kmcnt 0x0
	s_mul_i32 s18, s8, s20
	s_ashr_i32 s13, s12, 31
	s_ashr_i32 s19, s18, 31
	s_delay_alu instid0(SALU_CYCLE_1) | instskip(NEXT) | instid1(SALU_CYCLE_1)
	s_lshl_b64 s[18:19], s[18:19], 1
	s_add_nc_u64 s[16:17], s[16:17], s[18:19]
	s_lshl_b64 s[18:19], s[12:13], 1
	s_delay_alu instid0(SALU_CYCLE_1)
	s_add_nc_u64 s[16:17], s[16:17], s[18:19]
	global_load_b128 v[1:4], v62, s[16:17]
	s_wait_loadcnt 0x0
	ds_store_b128 v62, v[1:4]
.LBB122_5:
	s_or_b32 exec_lo, exec_lo, s14
	s_wait_kmcnt 0x0
	s_add_co_i32 s8, s25, 31
	s_lshl_b32 s28, s24, 4
	s_ashr_i32 s13, s8, 31
	s_mul_i32 s17, s7, s11
	s_lshr_b32 s13, s13, 27
	s_sub_co_i32 s2, s2, s17
	s_add_co_i32 s8, s8, s13
	s_add_co_i32 s13, s28, 16
	s_ashr_i32 s27, s8, 5
	s_clause 0x2
	s_load_b64 s[14:15], s[0:1], 0x38
	s_load_b32 s8, s[0:1], 0x98
	s_load_b32 s16, s[0:1], 0x48
	s_min_i32 s13, s13, s27
	s_xor_b32 s3, s3, s6
	s_add_co_i32 s6, s7, 1
	s_sub_co_i32 s17, s2, s11
	s_cmp_ge_u32 s2, s11
	v_lshrrev_b32_e32 v59, 5, v0
	s_cselect_b32 s6, s6, s7
	s_cselect_b32 s2, s17, s2
	s_add_co_i32 s7, s6, 1
	s_wait_alu 0xfffe
	s_cmp_ge_u32 s2, s11
	v_dual_mov_b32 v65, 0xff7fffff :: v_dual_and_b32 v60, 31, v0
	v_add_nc_u32_e32 v61, s28, v59
	s_cselect_b32 s2, s7, s6
	s_wait_dscnt 0x0
	s_wait_alu 0xfffe
	s_xor_b32 s2, s2, s3
	v_lshlrev_b32_e32 v64, 2, v60
	s_wait_alu 0xfffe
	s_sub_co_i32 s3, s2, s3
	v_cmp_gt_i32_e64 s2, s13, v61
	v_lshlrev_b32_e32 v63, 2, v61
	s_wait_kmcnt 0x0
	s_mul_i32 s16, s16, s20
	s_wait_alu 0xfffe
	s_mul_i32 s10, s3, s10
	s_ashr_i32 s17, s16, 31
	s_barrier_signal -1
	s_barrier_wait -1
	global_inv scope:SCOPE_SE
	s_and_saveexec_b32 s6, s2
	s_cbranch_execz .LBB122_9
; %bb.6:
	s_load_b64 s[18:19], s[0:1], 0x20
	s_ashr_i32 s11, s10, 31
	v_dual_mov_b32 v66, 0 :: v_dual_lshlrev_b32 v1, 4, v60
	s_lshl_b64 s[22:23], s[10:11], 1
	s_cmp_neq_f32 s4, 0
	v_dual_mov_b32 v65, 0xff7fffff :: v_dual_lshlrev_b32 v2, 5, v59
	v_lshl_or_b32 v3, v59, 7, v64
	s_cselect_b32 vcc_lo, -1, 0
	s_lshl_b64 s[30:31], s[16:17], 2
	s_delay_alu instid0(VALU_DEP_2)
	v_add3_u32 v67, s26, v2, v60
	s_add_nc_u64 s[30:31], s[14:15], s[30:31]
	v_dual_mov_b32 v71, v61 :: v_dual_add_nc_u32 v68, 0x110, v3
	v_add_co_u32 v57, s3, s30, v63
	s_wait_alu 0xf1ff
	v_add_co_ci_u32_e64 v58, null, s31, 0, s3
	s_mov_b32 s11, s9
	s_wait_kmcnt 0x0
	s_add_nc_u64 s[18:19], s[18:19], s[22:23]
	s_mov_b32 s7, 0
	v_add_co_u32 v69, s3, s18, v1
	s_wait_alu 0xf1ff
	v_add_co_ci_u32_e64 v70, null, s19, 0, s3
	s_sub_co_i32 s18, 1, s25
.LBB122_7:                              ; =>This Inner Loop Header: Depth=1
	global_load_b32 v1, v[57:58], off
	s_wait_alu 0xfffe
	v_add_nc_u32_e32 v3, s18, v67
	v_add_nc_u32_e32 v71, 4, v71
	s_delay_alu instid0(VALU_DEP_2) | instskip(NEXT) | instid1(VALU_DEP_1)
	v_cvt_f32_i32_e32 v3, v3
	v_mul_f32_e32 v3, s4, v3
	s_delay_alu instid0(VALU_DEP_1) | instskip(SKIP_2) | instid1(VALU_DEP_1)
	v_cndmask_b32_e32 v72, 0, v3, vcc_lo
	s_wait_loadcnt 0x0
	v_mad_co_i64_i32 v[1:2], null, v1, s11, 0
	v_lshlrev_b64_e32 v[1:2], 1, v[1:2]
	s_delay_alu instid0(VALU_DEP_1) | instskip(SKIP_1) | instid1(VALU_DEP_2)
	v_add_co_u32 v1, s3, v69, v1
	s_wait_alu 0xf1ff
	v_add_co_ci_u32_e64 v2, null, v70, v2, s3
	v_cmp_gt_i32_e64 s3, s25, v67
	v_add_nc_u32_e32 v67, 0x80, v67
	s_clause 0xe
	global_load_b128 v[73:76], v[1:2], off
	global_load_b128 v[53:56], v[1:2], off offset:512
	global_load_b128 v[49:52], v[1:2], off offset:1024
	;; [unrolled: 1-line block ×14, first 2 shown]
	ds_load_b128 v[77:80], v66
	s_wait_dscnt 0x0
	v_lshrrev_b32_e32 v81, 16, v77
	v_and_b32_e32 v77, 0xffff, v77
	;;#ASMSTART
	v_cvt_f32_f16 v77, v77;
	;;#ASMEND
	;;#ASMSTART
	v_cvt_f32_f16 v81, v81;
	;;#ASMEND
	s_wait_loadcnt 0xe
	v_lshrrev_b32_e32 v83, 16, v73
	v_and_b32_e32 v73, 0xffff, v73
	;;#ASMSTART
	v_cvt_f32_f16 v82, v73;
	;;#ASMEND
	v_lshrrev_b32_e32 v73, 16, v78
	v_and_b32_e32 v78, 0xffff, v78
	;;#ASMSTART
	v_cvt_f32_f16 v83, v83;
	;;#ASMEND
	;;#ASMSTART
	v_cvt_f32_f16 v78, v78;
	;;#ASMEND
	;; [unrolled: 3-line block ×3, first 2 shown]
	v_lshrrev_b32_e32 v73, 16, v74
	v_and_b32_e32 v74, 0xffff, v74
	;;#ASMSTART
	v_cvt_f32_f16 v85, v74;
	;;#ASMEND
	;;#ASMSTART
	v_cvt_f32_f16 v86, v73;
	;;#ASMEND
	v_lshrrev_b32_e32 v73, 16, v79
	v_and_b32_e32 v74, 0xffff, v79
	;;#ASMSTART
	v_cvt_f32_f16 v79, v74;
	;;#ASMEND
	;;#ASMSTART
	v_cvt_f32_f16 v87, v73;
	;;#ASMEND
	;; [unrolled: 8-line block ×5, first 2 shown]
	ds_load_b128 v[73:76], v66 offset:16
	s_wait_loadcnt 0xd
	v_lshrrev_b32_e32 v94, 16, v53
	v_and_b32_e32 v53, 0xffff, v53
	s_wait_dscnt 0x0
	v_lshrrev_b32_e32 v93, 16, v73
	v_and_b32_e32 v73, 0xffff, v73
	;;#ASMSTART
	v_cvt_f32_f16 v73, v73;
	;;#ASMEND
	;;#ASMSTART
	v_cvt_f32_f16 v93, v93;
	;;#ASMEND
	;; [unrolled: 3-line block ×4, first 2 shown]
	v_mul_f32_e32 v53, v73, v53
	v_mul_f32_e32 v73, v93, v94
	s_delay_alu instid0(VALU_DEP_2) | instskip(NEXT) | instid1(VALU_DEP_2)
	v_fmac_f32_e32 v53, v77, v82
	v_fmac_f32_e32 v73, v81, v83
	v_lshrrev_b32_e32 v77, 16, v74
	v_and_b32_e32 v74, 0xffff, v74
	v_lshrrev_b32_e32 v81, 16, v54
	v_and_b32_e32 v54, 0xffff, v54
	;;#ASMSTART
	v_cvt_f32_f16 v74, v74;
	;;#ASMEND
	;;#ASMSTART
	v_cvt_f32_f16 v77, v77;
	;;#ASMEND
	;; [unrolled: 3-line block ×3, first 2 shown]
	s_delay_alu instid0(VALU_DEP_1) | instskip(SKIP_3) | instid1(VALU_DEP_3)
	v_mul_f32_e32 v54, v74, v54
	;;#ASMSTART
	v_cvt_f32_f16 v81, v81;
	;;#ASMEND
	v_mul_f32_e32 v74, v77, v81
	v_lshrrev_b32_e32 v77, 16, v75
	v_dual_fmac_f32 v54, v78, v85 :: v_dual_and_b32 v75, 0xffff, v75
	v_lshrrev_b32_e32 v78, 16, v55
	v_and_b32_e32 v55, 0xffff, v55
	;;#ASMSTART
	v_cvt_f32_f16 v75, v75;
	;;#ASMEND
	;;#ASMSTART
	v_cvt_f32_f16 v77, v77;
	;;#ASMEND
	;; [unrolled: 3-line block ×4, first 2 shown]
	v_mul_f32_e32 v55, v75, v55
	v_mul_f32_e32 v75, v77, v78
	v_lshrrev_b32_e32 v77, 16, v76
	v_and_b32_e32 v76, 0xffff, v76
	v_lshrrev_b32_e32 v78, 16, v56
	v_and_b32_e32 v56, 0xffff, v56
	;;#ASMSTART
	v_cvt_f32_f16 v76, v76;
	;;#ASMEND
	;;#ASMSTART
	v_cvt_f32_f16 v77, v77;
	;;#ASMEND
	;; [unrolled: 3-line block ×3, first 2 shown]
	s_delay_alu instid0(VALU_DEP_1) | instskip(SKIP_3) | instid1(VALU_DEP_3)
	v_mul_f32_e32 v56, v76, v56
	;;#ASMSTART
	v_cvt_f32_f16 v78, v78;
	;;#ASMEND
	v_dual_fmac_f32 v55, v79, v88 :: v_dual_mul_f32 v76, v77, v78
	v_fmac_f32_e32 v74, v84, v86
	v_fmac_f32_e32 v56, v80, v91
	ds_load_b128 v[77:80], v66 offset:32
	s_wait_loadcnt 0xc
	v_lshrrev_b32_e32 v82, 16, v49
	v_and_b32_e32 v49, 0xffff, v49
	v_fmac_f32_e32 v75, v87, v89
	s_wait_dscnt 0x0
	v_lshrrev_b32_e32 v81, 16, v77
	v_dual_fmac_f32 v76, v90, v92 :: v_dual_and_b32 v77, 0xffff, v77
	;;#ASMSTART
	v_cvt_f32_f16 v77, v77;
	;;#ASMEND
	;;#ASMSTART
	v_cvt_f32_f16 v81, v81;
	;;#ASMEND
	;; [unrolled: 3-line block ×3, first 2 shown]
	s_delay_alu instid0(VALU_DEP_1)
	v_fmac_f32_e32 v53, v77, v49
	v_and_b32_e32 v49, 0xffff, v78
	;;#ASMSTART
	v_cvt_f32_f16 v82, v82;
	;;#ASMEND
	v_lshrrev_b32_e32 v77, 16, v78
	;;#ASMSTART
	v_cvt_f32_f16 v49, v49;
	;;#ASMEND
	v_lshrrev_b32_e32 v78, 16, v50
	v_and_b32_e32 v50, 0xffff, v50
	;;#ASMSTART
	v_cvt_f32_f16 v77, v77;
	;;#ASMEND
	;;#ASMSTART
	v_cvt_f32_f16 v50, v50;
	;;#ASMEND
	s_delay_alu instid0(VALU_DEP_1)
	v_dual_fmac_f32 v54, v49, v50 :: v_dual_and_b32 v49, 0xffff, v79
	;;#ASMSTART
	v_cvt_f32_f16 v78, v78;
	;;#ASMEND
	v_fmac_f32_e32 v74, v77, v78
	v_lshrrev_b32_e32 v50, 16, v79
	;;#ASMSTART
	v_cvt_f32_f16 v49, v49;
	;;#ASMEND
	v_lshrrev_b32_e32 v77, 16, v51
	v_and_b32_e32 v51, 0xffff, v51
	;;#ASMSTART
	v_cvt_f32_f16 v50, v50;
	;;#ASMEND
	;;#ASMSTART
	v_cvt_f32_f16 v51, v51;
	;;#ASMEND
	s_delay_alu instid0(VALU_DEP_1)
	v_fmac_f32_e32 v55, v49, v51
	v_and_b32_e32 v49, 0xffff, v80
	;;#ASMSTART
	v_cvt_f32_f16 v77, v77;
	;;#ASMEND
	;;#ASMSTART
	v_cvt_f32_f16 v49, v49;
	;;#ASMEND
	v_fmac_f32_e32 v75, v50, v77
	v_lshrrev_b32_e32 v50, 16, v80
	v_and_b32_e32 v51, 0xffff, v52
	;;#ASMSTART
	v_cvt_f32_f16 v50, v50;
	;;#ASMEND
	v_lshrrev_b32_e32 v77, 16, v52
	;;#ASMSTART
	v_cvt_f32_f16 v51, v51;
	;;#ASMEND
	;;#ASMSTART
	v_cvt_f32_f16 v52, v77;
	;;#ASMEND
	v_dual_fmac_f32 v73, v81, v82 :: v_dual_fmac_f32 v76, v50, v52
	v_fmac_f32_e32 v56, v49, v51
	ds_load_b128 v[49:52], v66 offset:48
	s_wait_loadcnt 0xb
	v_lshrrev_b32_e32 v78, 16, v45
	v_and_b32_e32 v45, 0xffff, v45
	s_wait_dscnt 0x0
	v_lshrrev_b32_e32 v77, 16, v49
	v_and_b32_e32 v49, 0xffff, v49
	;;#ASMSTART
	v_cvt_f32_f16 v49, v49;
	;;#ASMEND
	;;#ASMSTART
	v_cvt_f32_f16 v77, v77;
	;;#ASMEND
	;; [unrolled: 3-line block ×3, first 2 shown]
	s_delay_alu instid0(VALU_DEP_1)
	v_fmac_f32_e32 v53, v49, v45
	v_lshrrev_b32_e32 v49, 16, v50
	v_and_b32_e32 v45, 0xffff, v50
	v_lshrrev_b32_e32 v50, 16, v46
	v_and_b32_e32 v46, 0xffff, v46
	;;#ASMSTART
	v_cvt_f32_f16 v78, v78;
	;;#ASMEND
	;;#ASMSTART
	v_cvt_f32_f16 v45, v45;
	;;#ASMEND
	;; [unrolled: 3-line block ×5, first 2 shown]
	v_fmac_f32_e32 v54, v45, v46
	v_fmac_f32_e32 v74, v49, v50
	v_lshrrev_b32_e32 v46, 16, v51
	v_and_b32_e32 v45, 0xffff, v51
	v_lshrrev_b32_e32 v49, 16, v47
	v_and_b32_e32 v47, 0xffff, v47
	;;#ASMSTART
	v_cvt_f32_f16 v45, v45;
	;;#ASMEND
	;;#ASMSTART
	v_cvt_f32_f16 v46, v46;
	;;#ASMEND
	;; [unrolled: 3-line block ×4, first 2 shown]
	v_fmac_f32_e32 v55, v45, v47
	v_fmac_f32_e32 v75, v46, v49
	v_lshrrev_b32_e32 v46, 16, v52
	v_and_b32_e32 v45, 0xffff, v52
	v_and_b32_e32 v47, 0xffff, v48
	;;#ASMSTART
	v_cvt_f32_f16 v45, v45;
	;;#ASMEND
	;;#ASMSTART
	v_cvt_f32_f16 v46, v46;
	;;#ASMEND
	v_lshrrev_b32_e32 v49, 16, v48
	;;#ASMSTART
	v_cvt_f32_f16 v47, v47;
	;;#ASMEND
	;;#ASMSTART
	v_cvt_f32_f16 v48, v49;
	;;#ASMEND
	v_fmac_f32_e32 v56, v45, v47
	v_fmac_f32_e32 v76, v46, v48
	ds_load_b128 v[45:48], v66 offset:64
	s_wait_loadcnt 0xa
	v_lshrrev_b32_e32 v50, 16, v41
	v_and_b32_e32 v41, 0xffff, v41
	s_wait_dscnt 0x0
	v_lshrrev_b32_e32 v49, 16, v45
	v_and_b32_e32 v45, 0xffff, v45
	;;#ASMSTART
	v_cvt_f32_f16 v45, v45;
	;;#ASMEND
	;;#ASMSTART
	v_cvt_f32_f16 v49, v49;
	;;#ASMEND
	;; [unrolled: 3-line block ×3, first 2 shown]
	s_delay_alu instid0(VALU_DEP_1)
	v_fmac_f32_e32 v53, v45, v41
	v_lshrrev_b32_e32 v45, 16, v46
	v_and_b32_e32 v41, 0xffff, v46
	v_lshrrev_b32_e32 v46, 16, v42
	v_and_b32_e32 v42, 0xffff, v42
	;;#ASMSTART
	v_cvt_f32_f16 v50, v50;
	;;#ASMEND
	;;#ASMSTART
	v_cvt_f32_f16 v41, v41;
	;;#ASMEND
	;; [unrolled: 3-line block ×5, first 2 shown]
	v_fmac_f32_e32 v54, v41, v42
	v_fmac_f32_e32 v74, v45, v46
	v_lshrrev_b32_e32 v42, 16, v47
	v_and_b32_e32 v41, 0xffff, v47
	v_lshrrev_b32_e32 v45, 16, v43
	v_and_b32_e32 v43, 0xffff, v43
	;;#ASMSTART
	v_cvt_f32_f16 v41, v41;
	;;#ASMEND
	;;#ASMSTART
	v_cvt_f32_f16 v42, v42;
	;;#ASMEND
	;; [unrolled: 3-line block ×4, first 2 shown]
	v_fmac_f32_e32 v55, v41, v43
	v_fmac_f32_e32 v75, v42, v45
	v_lshrrev_b32_e32 v42, 16, v48
	v_and_b32_e32 v41, 0xffff, v48
	v_and_b32_e32 v43, 0xffff, v44
	;;#ASMSTART
	v_cvt_f32_f16 v41, v41;
	;;#ASMEND
	;;#ASMSTART
	v_cvt_f32_f16 v42, v42;
	;;#ASMEND
	v_lshrrev_b32_e32 v45, 16, v44
	;;#ASMSTART
	v_cvt_f32_f16 v43, v43;
	;;#ASMEND
	;;#ASMSTART
	v_cvt_f32_f16 v44, v45;
	;;#ASMEND
	v_dual_fmac_f32 v73, v77, v78 :: v_dual_fmac_f32 v76, v42, v44
	v_fmac_f32_e32 v56, v41, v43
	ds_load_b128 v[41:44], v66 offset:80
	s_wait_loadcnt 0x9
	v_lshrrev_b32_e32 v46, 16, v37
	v_and_b32_e32 v37, 0xffff, v37
	s_wait_dscnt 0x0
	v_lshrrev_b32_e32 v45, 16, v41
	v_and_b32_e32 v41, 0xffff, v41
	;;#ASMSTART
	v_cvt_f32_f16 v41, v41;
	;;#ASMEND
	;;#ASMSTART
	v_cvt_f32_f16 v45, v45;
	;;#ASMEND
	;;#ASMSTART
	v_cvt_f32_f16 v37, v37;
	;;#ASMEND
	s_delay_alu instid0(VALU_DEP_1)
	v_fmac_f32_e32 v53, v41, v37
	v_lshrrev_b32_e32 v41, 16, v42
	v_and_b32_e32 v37, 0xffff, v42
	v_lshrrev_b32_e32 v42, 16, v38
	v_and_b32_e32 v38, 0xffff, v38
	;;#ASMSTART
	v_cvt_f32_f16 v46, v46;
	;;#ASMEND
	;;#ASMSTART
	v_cvt_f32_f16 v37, v37;
	;;#ASMEND
	;; [unrolled: 3-line block ×5, first 2 shown]
	v_fmac_f32_e32 v54, v37, v38
	v_fmac_f32_e32 v74, v41, v42
	v_lshrrev_b32_e32 v38, 16, v43
	v_and_b32_e32 v37, 0xffff, v43
	v_lshrrev_b32_e32 v41, 16, v39
	v_and_b32_e32 v39, 0xffff, v39
	;;#ASMSTART
	v_cvt_f32_f16 v37, v37;
	;;#ASMEND
	;;#ASMSTART
	v_cvt_f32_f16 v38, v38;
	;;#ASMEND
	;; [unrolled: 3-line block ×4, first 2 shown]
	v_fmac_f32_e32 v55, v37, v39
	v_fmac_f32_e32 v75, v38, v41
	v_lshrrev_b32_e32 v38, 16, v44
	v_and_b32_e32 v37, 0xffff, v44
	v_and_b32_e32 v39, 0xffff, v40
	;;#ASMSTART
	v_cvt_f32_f16 v37, v37;
	;;#ASMEND
	;;#ASMSTART
	v_cvt_f32_f16 v38, v38;
	;;#ASMEND
	v_lshrrev_b32_e32 v41, 16, v40
	;;#ASMSTART
	v_cvt_f32_f16 v39, v39;
	;;#ASMEND
	;;#ASMSTART
	v_cvt_f32_f16 v40, v41;
	;;#ASMEND
	v_fmac_f32_e32 v56, v37, v39
	v_fmac_f32_e32 v76, v38, v40
	ds_load_b128 v[37:40], v66 offset:96
	s_wait_loadcnt 0x8
	v_lshrrev_b32_e32 v42, 16, v33
	v_and_b32_e32 v33, 0xffff, v33
	s_wait_dscnt 0x0
	v_lshrrev_b32_e32 v41, 16, v37
	v_and_b32_e32 v37, 0xffff, v37
	;;#ASMSTART
	v_cvt_f32_f16 v37, v37;
	;;#ASMEND
	;;#ASMSTART
	v_cvt_f32_f16 v41, v41;
	;;#ASMEND
	;; [unrolled: 3-line block ×3, first 2 shown]
	s_delay_alu instid0(VALU_DEP_1)
	v_fmac_f32_e32 v53, v37, v33
	v_lshrrev_b32_e32 v37, 16, v38
	v_and_b32_e32 v33, 0xffff, v38
	v_lshrrev_b32_e32 v38, 16, v34
	v_and_b32_e32 v34, 0xffff, v34
	;;#ASMSTART
	v_cvt_f32_f16 v42, v42;
	;;#ASMEND
	;;#ASMSTART
	v_cvt_f32_f16 v33, v33;
	;;#ASMEND
	;; [unrolled: 3-line block ×5, first 2 shown]
	v_fmac_f32_e32 v54, v33, v34
	v_fmac_f32_e32 v74, v37, v38
	v_lshrrev_b32_e32 v34, 16, v39
	v_and_b32_e32 v33, 0xffff, v39
	v_lshrrev_b32_e32 v37, 16, v35
	v_and_b32_e32 v35, 0xffff, v35
	;;#ASMSTART
	v_cvt_f32_f16 v33, v33;
	;;#ASMEND
	;;#ASMSTART
	v_cvt_f32_f16 v34, v34;
	;;#ASMEND
	;; [unrolled: 3-line block ×4, first 2 shown]
	v_fmac_f32_e32 v55, v33, v35
	v_fmac_f32_e32 v75, v34, v37
	v_lshrrev_b32_e32 v34, 16, v40
	v_and_b32_e32 v33, 0xffff, v40
	v_and_b32_e32 v35, 0xffff, v36
	;;#ASMSTART
	v_cvt_f32_f16 v33, v33;
	;;#ASMEND
	;;#ASMSTART
	v_cvt_f32_f16 v34, v34;
	;;#ASMEND
	v_lshrrev_b32_e32 v37, 16, v36
	;;#ASMSTART
	v_cvt_f32_f16 v35, v35;
	;;#ASMEND
	;;#ASMSTART
	v_cvt_f32_f16 v36, v37;
	;;#ASMEND
	v_dual_fmac_f32 v73, v49, v50 :: v_dual_fmac_f32 v76, v34, v36
	v_fmac_f32_e32 v56, v33, v35
	ds_load_b128 v[33:36], v66 offset:112
	s_wait_loadcnt 0x7
	v_lshrrev_b32_e32 v38, 16, v29
	v_and_b32_e32 v29, 0xffff, v29
	s_wait_dscnt 0x0
	v_lshrrev_b32_e32 v37, 16, v33
	v_and_b32_e32 v33, 0xffff, v33
	;;#ASMSTART
	v_cvt_f32_f16 v33, v33;
	;;#ASMEND
	;;#ASMSTART
	v_cvt_f32_f16 v37, v37;
	;;#ASMEND
	;; [unrolled: 3-line block ×3, first 2 shown]
	s_delay_alu instid0(VALU_DEP_1)
	v_fmac_f32_e32 v53, v33, v29
	v_lshrrev_b32_e32 v33, 16, v34
	v_and_b32_e32 v29, 0xffff, v34
	v_lshrrev_b32_e32 v34, 16, v30
	v_and_b32_e32 v30, 0xffff, v30
	;;#ASMSTART
	v_cvt_f32_f16 v38, v38;
	;;#ASMEND
	;;#ASMSTART
	v_cvt_f32_f16 v29, v29;
	;;#ASMEND
	;; [unrolled: 3-line block ×5, first 2 shown]
	v_fmac_f32_e32 v54, v29, v30
	v_fmac_f32_e32 v74, v33, v34
	v_lshrrev_b32_e32 v30, 16, v35
	v_and_b32_e32 v29, 0xffff, v35
	v_lshrrev_b32_e32 v33, 16, v31
	v_and_b32_e32 v31, 0xffff, v31
	;;#ASMSTART
	v_cvt_f32_f16 v29, v29;
	;;#ASMEND
	;;#ASMSTART
	v_cvt_f32_f16 v30, v30;
	;;#ASMEND
	;; [unrolled: 3-line block ×4, first 2 shown]
	v_fmac_f32_e32 v55, v29, v31
	v_fmac_f32_e32 v75, v30, v33
	v_lshrrev_b32_e32 v30, 16, v36
	v_and_b32_e32 v29, 0xffff, v36
	v_and_b32_e32 v31, 0xffff, v32
	;;#ASMSTART
	v_cvt_f32_f16 v29, v29;
	;;#ASMEND
	;;#ASMSTART
	v_cvt_f32_f16 v30, v30;
	;;#ASMEND
	v_lshrrev_b32_e32 v33, 16, v32
	;;#ASMSTART
	v_cvt_f32_f16 v31, v31;
	;;#ASMEND
	;;#ASMSTART
	v_cvt_f32_f16 v32, v33;
	;;#ASMEND
	v_fmac_f32_e32 v56, v29, v31
	v_fmac_f32_e32 v76, v30, v32
	ds_load_b128 v[29:32], v66 offset:128
	s_wait_loadcnt 0x6
	v_lshrrev_b32_e32 v34, 16, v25
	v_and_b32_e32 v25, 0xffff, v25
	s_wait_dscnt 0x0
	v_lshrrev_b32_e32 v33, 16, v29
	v_and_b32_e32 v29, 0xffff, v29
	;;#ASMSTART
	v_cvt_f32_f16 v29, v29;
	;;#ASMEND
	;;#ASMSTART
	v_cvt_f32_f16 v33, v33;
	;;#ASMEND
	;; [unrolled: 3-line block ×3, first 2 shown]
	s_delay_alu instid0(VALU_DEP_1)
	v_fmac_f32_e32 v53, v29, v25
	v_lshrrev_b32_e32 v29, 16, v30
	v_and_b32_e32 v25, 0xffff, v30
	v_lshrrev_b32_e32 v30, 16, v26
	v_and_b32_e32 v26, 0xffff, v26
	;;#ASMSTART
	v_cvt_f32_f16 v34, v34;
	;;#ASMEND
	;;#ASMSTART
	v_cvt_f32_f16 v25, v25;
	;;#ASMEND
	;; [unrolled: 3-line block ×5, first 2 shown]
	v_fmac_f32_e32 v54, v25, v26
	v_fmac_f32_e32 v74, v29, v30
	v_lshrrev_b32_e32 v26, 16, v31
	v_and_b32_e32 v25, 0xffff, v31
	v_lshrrev_b32_e32 v29, 16, v27
	v_and_b32_e32 v27, 0xffff, v27
	;;#ASMSTART
	v_cvt_f32_f16 v25, v25;
	;;#ASMEND
	;;#ASMSTART
	v_cvt_f32_f16 v26, v26;
	;;#ASMEND
	;; [unrolled: 3-line block ×4, first 2 shown]
	v_fmac_f32_e32 v55, v25, v27
	v_fmac_f32_e32 v75, v26, v29
	v_lshrrev_b32_e32 v26, 16, v32
	v_and_b32_e32 v25, 0xffff, v32
	v_and_b32_e32 v27, 0xffff, v28
	;;#ASMSTART
	v_cvt_f32_f16 v25, v25;
	;;#ASMEND
	;;#ASMSTART
	v_cvt_f32_f16 v26, v26;
	;;#ASMEND
	v_lshrrev_b32_e32 v29, 16, v28
	;;#ASMSTART
	v_cvt_f32_f16 v27, v27;
	;;#ASMEND
	;;#ASMSTART
	v_cvt_f32_f16 v28, v29;
	;;#ASMEND
	v_dual_fmac_f32 v73, v45, v46 :: v_dual_fmac_f32 v76, v26, v28
	v_fmac_f32_e32 v56, v25, v27
	ds_load_b128 v[25:28], v66 offset:144
	s_wait_loadcnt 0x5
	v_lshrrev_b32_e32 v30, 16, v21
	v_and_b32_e32 v21, 0xffff, v21
	s_wait_dscnt 0x0
	v_lshrrev_b32_e32 v29, 16, v25
	v_and_b32_e32 v25, 0xffff, v25
	;;#ASMSTART
	v_cvt_f32_f16 v25, v25;
	;;#ASMEND
	;;#ASMSTART
	v_cvt_f32_f16 v29, v29;
	;;#ASMEND
	;; [unrolled: 3-line block ×3, first 2 shown]
	s_delay_alu instid0(VALU_DEP_1)
	v_fmac_f32_e32 v53, v25, v21
	v_lshrrev_b32_e32 v25, 16, v26
	v_and_b32_e32 v21, 0xffff, v26
	v_lshrrev_b32_e32 v26, 16, v22
	v_and_b32_e32 v22, 0xffff, v22
	;;#ASMSTART
	v_cvt_f32_f16 v30, v30;
	;;#ASMEND
	;;#ASMSTART
	v_cvt_f32_f16 v21, v21;
	;;#ASMEND
	;; [unrolled: 3-line block ×5, first 2 shown]
	v_fmac_f32_e32 v54, v21, v22
	v_fmac_f32_e32 v74, v25, v26
	v_lshrrev_b32_e32 v22, 16, v27
	v_and_b32_e32 v21, 0xffff, v27
	v_lshrrev_b32_e32 v25, 16, v23
	v_and_b32_e32 v23, 0xffff, v23
	;;#ASMSTART
	v_cvt_f32_f16 v21, v21;
	;;#ASMEND
	;;#ASMSTART
	v_cvt_f32_f16 v22, v22;
	;;#ASMEND
	;; [unrolled: 3-line block ×4, first 2 shown]
	v_fmac_f32_e32 v55, v21, v23
	v_fmac_f32_e32 v75, v22, v25
	v_lshrrev_b32_e32 v22, 16, v28
	v_and_b32_e32 v21, 0xffff, v28
	v_and_b32_e32 v23, 0xffff, v24
	;;#ASMSTART
	v_cvt_f32_f16 v21, v21;
	;;#ASMEND
	;;#ASMSTART
	v_cvt_f32_f16 v22, v22;
	;;#ASMEND
	v_lshrrev_b32_e32 v25, 16, v24
	;;#ASMSTART
	v_cvt_f32_f16 v23, v23;
	;;#ASMEND
	;;#ASMSTART
	v_cvt_f32_f16 v24, v25;
	;;#ASMEND
	v_fmac_f32_e32 v56, v21, v23
	v_fmac_f32_e32 v76, v22, v24
	ds_load_b128 v[21:24], v66 offset:160
	s_wait_loadcnt 0x4
	v_lshrrev_b32_e32 v26, 16, v17
	v_and_b32_e32 v17, 0xffff, v17
	s_wait_dscnt 0x0
	v_lshrrev_b32_e32 v25, 16, v21
	v_and_b32_e32 v21, 0xffff, v21
	;;#ASMSTART
	v_cvt_f32_f16 v21, v21;
	;;#ASMEND
	;;#ASMSTART
	v_cvt_f32_f16 v25, v25;
	;;#ASMEND
	;; [unrolled: 3-line block ×3, first 2 shown]
	s_delay_alu instid0(VALU_DEP_1)
	v_fmac_f32_e32 v53, v21, v17
	v_lshrrev_b32_e32 v21, 16, v22
	v_and_b32_e32 v17, 0xffff, v22
	v_lshrrev_b32_e32 v22, 16, v18
	v_and_b32_e32 v18, 0xffff, v18
	;;#ASMSTART
	v_cvt_f32_f16 v26, v26;
	;;#ASMEND
	;;#ASMSTART
	v_cvt_f32_f16 v17, v17;
	;;#ASMEND
	;; [unrolled: 3-line block ×5, first 2 shown]
	v_fmac_f32_e32 v54, v17, v18
	v_fmac_f32_e32 v74, v21, v22
	v_lshrrev_b32_e32 v18, 16, v23
	v_and_b32_e32 v17, 0xffff, v23
	v_lshrrev_b32_e32 v21, 16, v19
	v_and_b32_e32 v19, 0xffff, v19
	;;#ASMSTART
	v_cvt_f32_f16 v17, v17;
	;;#ASMEND
	;;#ASMSTART
	v_cvt_f32_f16 v18, v18;
	;;#ASMEND
	;; [unrolled: 3-line block ×4, first 2 shown]
	v_fmac_f32_e32 v55, v17, v19
	v_fmac_f32_e32 v75, v18, v21
	v_lshrrev_b32_e32 v18, 16, v24
	v_and_b32_e32 v17, 0xffff, v24
	v_and_b32_e32 v19, 0xffff, v20
	;;#ASMSTART
	v_cvt_f32_f16 v17, v17;
	;;#ASMEND
	;;#ASMSTART
	v_cvt_f32_f16 v18, v18;
	;;#ASMEND
	v_lshrrev_b32_e32 v21, 16, v20
	;;#ASMSTART
	v_cvt_f32_f16 v19, v19;
	;;#ASMEND
	;;#ASMSTART
	v_cvt_f32_f16 v20, v21;
	;;#ASMEND
	v_dual_fmac_f32 v73, v41, v42 :: v_dual_fmac_f32 v76, v18, v20
	v_fmac_f32_e32 v56, v17, v19
	ds_load_b128 v[17:20], v66 offset:176
	s_wait_loadcnt 0x3
	v_lshrrev_b32_e32 v22, 16, v13
	v_and_b32_e32 v13, 0xffff, v13
	s_wait_dscnt 0x0
	v_lshrrev_b32_e32 v21, 16, v17
	v_and_b32_e32 v17, 0xffff, v17
	;;#ASMSTART
	v_cvt_f32_f16 v17, v17;
	;;#ASMEND
	;;#ASMSTART
	v_cvt_f32_f16 v21, v21;
	;;#ASMEND
	;; [unrolled: 3-line block ×3, first 2 shown]
	s_delay_alu instid0(VALU_DEP_1)
	v_fmac_f32_e32 v53, v17, v13
	v_lshrrev_b32_e32 v17, 16, v18
	v_and_b32_e32 v13, 0xffff, v18
	v_lshrrev_b32_e32 v18, 16, v14
	v_and_b32_e32 v14, 0xffff, v14
	;;#ASMSTART
	v_cvt_f32_f16 v22, v22;
	;;#ASMEND
	;;#ASMSTART
	v_cvt_f32_f16 v13, v13;
	;;#ASMEND
	;; [unrolled: 3-line block ×5, first 2 shown]
	v_fmac_f32_e32 v54, v13, v14
	v_fmac_f32_e32 v74, v17, v18
	v_lshrrev_b32_e32 v14, 16, v19
	v_and_b32_e32 v13, 0xffff, v19
	v_lshrrev_b32_e32 v17, 16, v15
	v_and_b32_e32 v15, 0xffff, v15
	;;#ASMSTART
	v_cvt_f32_f16 v13, v13;
	;;#ASMEND
	;;#ASMSTART
	v_cvt_f32_f16 v14, v14;
	;;#ASMEND
	;; [unrolled: 3-line block ×4, first 2 shown]
	v_fmac_f32_e32 v55, v13, v15
	v_fmac_f32_e32 v75, v14, v17
	v_lshrrev_b32_e32 v14, 16, v20
	v_and_b32_e32 v13, 0xffff, v20
	v_and_b32_e32 v15, 0xffff, v16
	;;#ASMSTART
	v_cvt_f32_f16 v13, v13;
	;;#ASMEND
	;;#ASMSTART
	v_cvt_f32_f16 v14, v14;
	;;#ASMEND
	v_lshrrev_b32_e32 v17, 16, v16
	;;#ASMSTART
	v_cvt_f32_f16 v15, v15;
	;;#ASMEND
	;;#ASMSTART
	v_cvt_f32_f16 v16, v17;
	;;#ASMEND
	v_fmac_f32_e32 v56, v13, v15
	v_fmac_f32_e32 v76, v14, v16
	ds_load_b128 v[13:16], v66 offset:192
	s_wait_loadcnt 0x2
	v_lshrrev_b32_e32 v18, 16, v9
	v_and_b32_e32 v9, 0xffff, v9
	s_wait_dscnt 0x0
	v_lshrrev_b32_e32 v17, 16, v13
	v_and_b32_e32 v13, 0xffff, v13
	;;#ASMSTART
	v_cvt_f32_f16 v13, v13;
	;;#ASMEND
	;;#ASMSTART
	v_cvt_f32_f16 v17, v17;
	;;#ASMEND
	;; [unrolled: 3-line block ×3, first 2 shown]
	s_delay_alu instid0(VALU_DEP_1)
	v_fmac_f32_e32 v53, v13, v9
	v_lshrrev_b32_e32 v13, 16, v14
	v_and_b32_e32 v9, 0xffff, v14
	v_lshrrev_b32_e32 v14, 16, v10
	v_and_b32_e32 v10, 0xffff, v10
	;;#ASMSTART
	v_cvt_f32_f16 v18, v18;
	;;#ASMEND
	;;#ASMSTART
	v_cvt_f32_f16 v9, v9;
	;;#ASMEND
	;; [unrolled: 3-line block ×5, first 2 shown]
	v_fmac_f32_e32 v54, v9, v10
	v_fmac_f32_e32 v74, v13, v14
	v_lshrrev_b32_e32 v10, 16, v15
	v_and_b32_e32 v9, 0xffff, v15
	v_lshrrev_b32_e32 v13, 16, v11
	v_and_b32_e32 v11, 0xffff, v11
	;;#ASMSTART
	v_cvt_f32_f16 v9, v9;
	;;#ASMEND
	;;#ASMSTART
	v_cvt_f32_f16 v10, v10;
	;;#ASMEND
	;; [unrolled: 3-line block ×4, first 2 shown]
	v_fmac_f32_e32 v55, v9, v11
	v_fmac_f32_e32 v75, v10, v13
	v_lshrrev_b32_e32 v10, 16, v16
	v_and_b32_e32 v9, 0xffff, v16
	v_and_b32_e32 v11, 0xffff, v12
	;;#ASMSTART
	v_cvt_f32_f16 v9, v9;
	;;#ASMEND
	;;#ASMSTART
	v_cvt_f32_f16 v10, v10;
	;;#ASMEND
	v_lshrrev_b32_e32 v13, 16, v12
	;;#ASMSTART
	v_cvt_f32_f16 v11, v11;
	;;#ASMEND
	;;#ASMSTART
	v_cvt_f32_f16 v12, v13;
	;;#ASMEND
	v_fmac_f32_e32 v56, v9, v11
	v_fmac_f32_e32 v76, v10, v12
	ds_load_b128 v[9:12], v66 offset:208
	s_wait_loadcnt 0x1
	v_lshrrev_b32_e32 v14, 16, v5
	v_and_b32_e32 v5, 0xffff, v5
	s_wait_dscnt 0x0
	v_lshrrev_b32_e32 v13, 16, v9
	v_and_b32_e32 v9, 0xffff, v9
	;;#ASMSTART
	v_cvt_f32_f16 v9, v9;
	;;#ASMEND
	;;#ASMSTART
	v_cvt_f32_f16 v13, v13;
	;;#ASMEND
	;; [unrolled: 3-line block ×3, first 2 shown]
	s_delay_alu instid0(VALU_DEP_1)
	v_fmac_f32_e32 v53, v9, v5
	v_lshrrev_b32_e32 v9, 16, v10
	v_and_b32_e32 v5, 0xffff, v10
	v_lshrrev_b32_e32 v10, 16, v6
	v_and_b32_e32 v6, 0xffff, v6
	;;#ASMSTART
	v_cvt_f32_f16 v14, v14;
	;;#ASMEND
	;;#ASMSTART
	v_cvt_f32_f16 v5, v5;
	;;#ASMEND
	;; [unrolled: 3-line block ×5, first 2 shown]
	v_fmac_f32_e32 v54, v5, v6
	v_fmac_f32_e32 v74, v9, v10
	v_lshrrev_b32_e32 v6, 16, v11
	v_and_b32_e32 v5, 0xffff, v11
	v_lshrrev_b32_e32 v9, 16, v7
	v_and_b32_e32 v7, 0xffff, v7
	;;#ASMSTART
	v_cvt_f32_f16 v5, v5;
	;;#ASMEND
	;;#ASMSTART
	v_cvt_f32_f16 v6, v6;
	;;#ASMEND
	;; [unrolled: 3-line block ×4, first 2 shown]
	v_fmac_f32_e32 v55, v5, v7
	v_fmac_f32_e32 v75, v6, v9
	v_lshrrev_b32_e32 v6, 16, v12
	v_and_b32_e32 v5, 0xffff, v12
	v_and_b32_e32 v7, 0xffff, v8
	;;#ASMSTART
	v_cvt_f32_f16 v5, v5;
	;;#ASMEND
	;;#ASMSTART
	v_cvt_f32_f16 v6, v6;
	;;#ASMEND
	v_lshrrev_b32_e32 v9, 16, v8
	;;#ASMSTART
	v_cvt_f32_f16 v7, v7;
	;;#ASMEND
	;;#ASMSTART
	v_cvt_f32_f16 v8, v9;
	;;#ASMEND
	v_dual_fmac_f32 v73, v37, v38 :: v_dual_fmac_f32 v76, v6, v8
	v_fmac_f32_e32 v56, v5, v7
	ds_load_b128 v[5:8], v66 offset:224
	s_wait_loadcnt 0x0
	v_lshrrev_b32_e32 v10, 16, v1
	v_fmac_f32_e32 v73, v33, v34
	v_and_b32_e32 v1, 0xffff, v1
	s_delay_alu instid0(VALU_DEP_2) | instskip(NEXT) | instid1(VALU_DEP_1)
	v_fmac_f32_e32 v73, v29, v30
	v_fmac_f32_e32 v73, v25, v26
	s_delay_alu instid0(VALU_DEP_1) | instskip(SKIP_3) | instid1(VALU_DEP_3)
	v_fmac_f32_e32 v73, v21, v22
	s_wait_dscnt 0x0
	v_lshrrev_b32_e32 v9, 16, v5
	v_and_b32_e32 v5, 0xffff, v5
	v_fmac_f32_e32 v73, v17, v18
	;;#ASMSTART
	v_cvt_f32_f16 v5, v5;
	;;#ASMEND
	;;#ASMSTART
	v_cvt_f32_f16 v9, v9;
	;;#ASMEND
	;; [unrolled: 3-line block ×3, first 2 shown]
	v_fmac_f32_e32 v53, v5, v1
	v_fmac_f32_e32 v73, v13, v14
	v_and_b32_e32 v1, 0xffff, v6
	;;#ASMSTART
	v_cvt_f32_f16 v10, v10;
	;;#ASMEND
	v_lshrrev_b32_e32 v5, 16, v6
	;;#ASMSTART
	v_cvt_f32_f16 v1, v1;
	;;#ASMEND
	v_fmac_f32_e32 v73, v9, v10
	v_lshrrev_b32_e32 v6, 16, v2
	v_and_b32_e32 v2, 0xffff, v2
	;;#ASMSTART
	v_cvt_f32_f16 v5, v5;
	;;#ASMEND
	;;#ASMSTART
	v_cvt_f32_f16 v2, v2;
	;;#ASMEND
	s_delay_alu instid0(VALU_DEP_1)
	v_dual_fmac_f32 v54, v1, v2 :: v_dual_and_b32 v1, 0xffff, v7
	;;#ASMSTART
	v_cvt_f32_f16 v6, v6;
	;;#ASMEND
	v_fmac_f32_e32 v74, v5, v6
	v_lshrrev_b32_e32 v2, 16, v7
	;;#ASMSTART
	v_cvt_f32_f16 v1, v1;
	;;#ASMEND
	v_lshrrev_b32_e32 v5, 16, v3
	v_and_b32_e32 v3, 0xffff, v3
	;;#ASMSTART
	v_cvt_f32_f16 v2, v2;
	;;#ASMEND
	;;#ASMSTART
	v_cvt_f32_f16 v3, v3;
	;;#ASMEND
	s_delay_alu instid0(VALU_DEP_1)
	v_fmac_f32_e32 v55, v1, v3
	v_and_b32_e32 v1, 0xffff, v8
	;;#ASMSTART
	v_cvt_f32_f16 v5, v5;
	;;#ASMEND
	v_fmac_f32_e32 v75, v2, v5
	v_lshrrev_b32_e32 v2, 16, v8
	;;#ASMSTART
	v_cvt_f32_f16 v1, v1;
	;;#ASMEND
	v_and_b32_e32 v3, 0xffff, v4
	;;#ASMSTART
	v_cvt_f32_f16 v2, v2;
	;;#ASMEND
	;;#ASMSTART
	v_cvt_f32_f16 v3, v3;
	;;#ASMEND
	s_delay_alu instid0(VALU_DEP_1) | instskip(SKIP_3) | instid1(VALU_DEP_2)
	v_fmac_f32_e32 v56, v1, v3
	v_add_f32_e32 v1, v53, v73
	v_lshrrev_b32_e32 v5, 16, v4
	;;#ASMSTART
	v_cvt_f32_f16 v4, v5;
	;;#ASMEND
	v_dual_fmac_f32 v76, v2, v4 :: v_dual_add_f32 v1, v1, v54
	s_delay_alu instid0(VALU_DEP_1) | instskip(NEXT) | instid1(VALU_DEP_1)
	v_add_f32_e32 v1, v74, v1
	v_add_f32_e32 v1, v1, v55
	s_delay_alu instid0(VALU_DEP_1) | instskip(NEXT) | instid1(VALU_DEP_1)
	v_add_f32_e32 v1, v75, v1
	v_add_f32_e32 v1, v1, v56
	s_delay_alu instid0(VALU_DEP_1) | instskip(NEXT) | instid1(VALU_DEP_1)
	v_add_f32_e32 v1, v76, v1
	v_fmac_f32_e32 v72, s5, v1
	s_wait_alu 0xf1ff
	s_delay_alu instid0(VALU_DEP_1) | instskip(SKIP_2) | instid1(VALU_DEP_1)
	v_cndmask_b32_e64 v1, 0, v72, s3
	ds_store_b32 v68, v1
	v_dual_max_num_f32 v1, v65, v65 :: v_dual_add_nc_u32 v68, 0x200, v68
	v_max_num_f32_e32 v1, v1, v72
	s_delay_alu instid0(VALU_DEP_1)
	v_cndmask_b32_e64 v65, v65, v1, s3
	v_add_co_u32 v57, s3, v57, 16
	s_wait_alu 0xf1ff
	v_add_co_ci_u32_e64 v58, null, 0, v58, s3
	v_cmp_le_i32_e64 s3, s13, v71
	s_or_b32 s7, s3, s7
	s_delay_alu instid0(SALU_CYCLE_1)
	s_and_not1_b32 exec_lo, exec_lo, s7
	s_cbranch_execnz .LBB122_7
; %bb.8:
	s_or_b32 exec_lo, exec_lo, s7
.LBB122_9:
	s_delay_alu instid0(SALU_CYCLE_1)
	s_or_b32 exec_lo, exec_lo, s6
	v_mbcnt_lo_u32_b32 v1, -1, 0
	s_clause 0x2
	s_load_b128 s[4:7], s[0:1], 0x0
	s_load_b64 s[18:19], s[0:1], 0x10
	s_load_b64 s[22:23], s[0:1], 0x28
	v_max_num_f32_e32 v5, v65, v65
	v_xor_b32_e32 v2, 16, v1
	v_xor_b32_e32 v4, 8, v1
	s_delay_alu instid0(VALU_DEP_2) | instskip(SKIP_2) | instid1(VALU_DEP_3)
	v_cmp_gt_i32_e32 vcc_lo, 32, v2
	s_wait_alu 0xfffd
	v_cndmask_b32_e32 v2, v1, v2, vcc_lo
	v_cmp_gt_i32_e32 vcc_lo, 32, v4
	s_delay_alu instid0(VALU_DEP_2)
	v_lshlrev_b32_e32 v2, 2, v2
	s_wait_alu 0xfffd
	v_cndmask_b32_e32 v4, v1, v4, vcc_lo
	ds_bpermute_b32 v3, v2, v65
	s_wait_dscnt 0x0
	v_dual_max_num_f32 v6, v3, v3 :: v_dual_lshlrev_b32 v3, 2, v4
	s_delay_alu instid0(VALU_DEP_1)
	v_max_num_f32_e32 v4, v5, v6
	v_xor_b32_e32 v6, 4, v1
	ds_bpermute_b32 v5, v3, v4
	v_cmp_gt_i32_e32 vcc_lo, 32, v6
	s_wait_alu 0xfffd
	v_cndmask_b32_e32 v6, v1, v6, vcc_lo
	s_wait_dscnt 0x0
	v_max_num_f32_e32 v7, v5, v5
	s_delay_alu instid0(VALU_DEP_1)
	v_dual_max_num_f32 v4, v4, v7 :: v_dual_lshlrev_b32 v5, 2, v6
	v_xor_b32_e32 v7, 2, v1
	ds_bpermute_b32 v6, v5, v4
	v_cmp_gt_i32_e32 vcc_lo, 32, v7
	s_wait_dscnt 0x0
	s_wait_alu 0xfffd
	v_dual_cndmask_b32 v7, v1, v7 :: v_dual_max_num_f32 v6, v6, v6
	s_delay_alu instid0(VALU_DEP_1) | instskip(NEXT) | instid1(VALU_DEP_2)
	v_max_num_f32_e32 v4, v4, v6
	v_lshlrev_b32_e32 v10, 2, v7
	v_xor_b32_e32 v7, 1, v1
	s_delay_alu instid0(VALU_DEP_1)
	v_cmp_gt_i32_e32 vcc_lo, 32, v7
	s_wait_alu 0xfffd
	v_cndmask_b32_e32 v7, v1, v7, vcc_lo
	ds_bpermute_b32 v6, v10, v4
	v_cmp_eq_u32_e32 vcc_lo, 0, v60
	s_wait_dscnt 0x0
	v_dual_max_num_f32 v6, v6, v6 :: v_dual_lshlrev_b32 v9, 2, v7
	s_delay_alu instid0(VALU_DEP_1)
	v_dual_max_num_f32 v1, v4, v6 :: v_dual_lshlrev_b32 v6, 2, v59
	ds_bpermute_b32 v4, v9, v1
	s_and_saveexec_b32 s0, vcc_lo
	s_cbranch_execz .LBB122_11
; %bb.10:
	s_wait_dscnt 0x0
	v_dual_max_num_f32 v4, v4, v4 :: v_dual_max_num_f32 v1, v1, v1
	s_delay_alu instid0(VALU_DEP_1)
	v_max_num_f32_e32 v1, v1, v4
	ds_store_b32 v6, v1 offset:240
.LBB122_11:
	s_or_b32 exec_lo, exec_lo, s0
	v_cmp_gt_u32_e64 s0, 4, v60
	v_mov_b32_e32 v1, 0xff7fffff
	s_wait_loadcnt_dscnt 0x0
	s_barrier_signal -1
	s_barrier_wait -1
	global_inv scope:SCOPE_SE
	s_and_saveexec_b32 s1, s0
; %bb.12:
	ds_load_b32 v1, v64 offset:240
; %bb.13:
	s_or_b32 exec_lo, exec_lo, s1
	s_wait_dscnt 0x0
	ds_bpermute_b32 v4, v10, v1
	v_max_num_f32_e32 v1, v1, v1
	s_sub_co_i32 s1, s13, s28
	v_mov_b32_e32 v7, 0
	s_lshl_b32 s1, s1, 5
	s_delay_alu instid0(SALU_CYCLE_1) | instskip(NEXT) | instid1(SALU_CYCLE_1)
	s_add_co_i32 s1, s1, s26
	s_min_i32 s1, s1, s25
	s_delay_alu instid0(SALU_CYCLE_1) | instskip(SKIP_4) | instid1(VALU_DEP_1)
	s_sub_co_i32 s11, s1, s26
	s_wait_alu 0xfffe
	v_cmp_gt_i32_e64 s1, s11, v0
	s_wait_dscnt 0x0
	v_max_num_f32_e32 v4, v4, v4
	v_max_num_f32_e32 v1, v1, v4
	ds_bpermute_b32 v4, v9, v1
	s_wait_dscnt 0x0
	v_max_num_f32_e32 v4, v4, v4
	s_delay_alu instid0(VALU_DEP_1)
	v_max_num_f32_e32 v1, v1, v4
	v_lshl_add_u32 v4, v0, 2, 0x110
	ds_bpermute_b32 v1, v7, v1
	s_and_saveexec_b32 s28, s1
	s_cbranch_execz .LBB122_17
; %bb.14:
	v_lshl_add_u32 v8, v0, 2, 0x110
	v_mov_b32_e32 v7, 0
	v_mov_b32_e32 v11, v0
	s_mov_b32 s29, 0
.LBB122_15:                             ; =>This Inner Loop Header: Depth=1
	ds_load_b32 v12, v8
	v_add_nc_u32_e32 v11, 0x80, v11
	s_delay_alu instid0(VALU_DEP_1) | instskip(SKIP_4) | instid1(VALU_DEP_1)
	v_cmp_le_i32_e64 s3, s11, v11
	s_wait_alu 0xfffe
	s_or_b32 s29, s3, s29
	s_wait_dscnt 0x0
	v_sub_f32_e32 v12, v12, v1
	v_mul_f32_e32 v12, 0x3fb8aa3b, v12
	s_delay_alu instid0(VALU_DEP_1)
	v_exp_f32_e32 v12, v12
	ds_store_b32 v8, v12
	v_add_f32_e32 v7, v7, v12
	v_add_nc_u32_e32 v8, 0x200, v8
	s_wait_alu 0xfffe
	s_and_not1_b32 exec_lo, exec_lo, s29
	s_cbranch_execnz .LBB122_15
; %bb.16:
	s_or_b32 exec_lo, exec_lo, s29
.LBB122_17:
	s_wait_alu 0xfffe
	s_or_b32 exec_lo, exec_lo, s28
	ds_bpermute_b32 v2, v2, v7
	s_wait_dscnt 0x0
	v_add_f32_e32 v2, v7, v2
	ds_bpermute_b32 v3, v3, v2
	s_wait_dscnt 0x0
	v_add_f32_e32 v2, v2, v3
	;; [unrolled: 3-line block ×5, first 2 shown]
	s_and_saveexec_b32 s3, vcc_lo
; %bb.18:
	ds_store_b32 v6, v2 offset:256
; %bb.19:
	s_wait_alu 0xfffe
	s_or_b32 exec_lo, exec_lo, s3
	s_wait_loadcnt_dscnt 0x0
	s_barrier_signal -1
	s_barrier_wait -1
	global_inv scope:SCOPE_SE
	s_and_saveexec_b32 s3, s0
; %bb.20:
	ds_load_b32 v2, v64 offset:256
; %bb.21:
	s_wait_alu 0xfffe
	s_or_b32 exec_lo, exec_lo, s3
	s_wait_dscnt 0x0
	ds_bpermute_b32 v3, v10, v2
	s_wait_dscnt 0x0
	v_add_f32_e32 v2, v2, v3
	ds_bpermute_b32 v3, v9, v2
	s_wait_dscnt 0x0
	v_dual_add_f32 v2, v2, v3 :: v_dual_mov_b32 v3, 0
	ds_bpermute_b32 v2, v3, v2
	s_and_saveexec_b32 s0, s1
	s_cbranch_execz .LBB122_24
; %bb.22:
	s_wait_dscnt 0x0
	v_add_f32_e32 v3, 0x358637bd, v2
	s_mov_b32 s1, 0
	s_delay_alu instid0(VALU_DEP_1) | instskip(SKIP_1) | instid1(VALU_DEP_2)
	v_div_scale_f32 v5, null, v3, v3, 1.0
	v_div_scale_f32 v8, vcc_lo, 1.0, v3, 1.0
	v_rcp_f32_e32 v6, v5
	s_delay_alu instid0(TRANS32_DEP_1) | instskip(NEXT) | instid1(VALU_DEP_1)
	v_fma_f32 v7, -v5, v6, 1.0
	v_fmac_f32_e32 v6, v7, v6
	s_delay_alu instid0(VALU_DEP_1) | instskip(NEXT) | instid1(VALU_DEP_1)
	v_mul_f32_e32 v7, v8, v6
	v_fma_f32 v11, -v5, v7, v8
	s_delay_alu instid0(VALU_DEP_1) | instskip(NEXT) | instid1(VALU_DEP_1)
	v_fmac_f32_e32 v7, v11, v6
	v_fma_f32 v5, -v5, v7, v8
	s_wait_alu 0xfffd
	s_delay_alu instid0(VALU_DEP_1) | instskip(NEXT) | instid1(VALU_DEP_1)
	v_div_fmas_f32 v5, v5, v6, v7
	v_div_fixup_f32 v3, v5, v3, 1.0
	v_mov_b32_e32 v5, v0
.LBB122_23:                             ; =>This Inner Loop Header: Depth=1
	ds_load_b32 v6, v4
	s_wait_dscnt 0x0
	v_dual_mul_f32 v6, v3, v6 :: v_dual_add_nc_u32 v5, 0x80, v5
	s_delay_alu instid0(VALU_DEP_1) | instskip(SKIP_3) | instid1(SALU_CYCLE_1)
	v_cmp_le_i32_e32 vcc_lo, s11, v5
	ds_store_b32 v4, v6
	v_add_nc_u32_e32 v4, 0x200, v4
	s_or_b32 s1, vcc_lo, s1
	s_and_not1_b32 exec_lo, exec_lo, s1
	s_cbranch_execnz .LBB122_23
.LBB122_24:
	s_or_b32 exec_lo, exec_lo, s0
	s_mul_i32 s0, s8, s20
	s_wait_loadcnt_dscnt 0x0
	s_mul_i32 s20, s0, s21
	s_mov_b32 s0, exec_lo
	s_barrier_signal -1
	s_barrier_wait -1
	global_inv scope:SCOPE_SE
	v_cmpx_eq_u32_e32 0, v0
	s_cbranch_execz .LBB122_26
; %bb.25:
	s_ashr_i32 s21, s20, 31
	s_mul_i32 s28, s8, ttmp9
	s_lshl_b32 s1, s24, 2
	s_lshl_b64 s[30:31], s[20:21], 2
	s_wait_alu 0xfffe
	s_ashr_i32 s29, s28, 31
	v_mov_b32_e32 v3, s1
	s_wait_kmcnt 0x0
	s_add_nc_u64 s[6:7], s[6:7], s[30:31]
	s_wait_alu 0xfffe
	s_lshl_b64 s[28:29], s[28:29], 2
	s_add_nc_u64 s[4:5], s[4:5], s[30:31]
	s_wait_alu 0xfffe
	s_add_nc_u64 s[6:7], s[6:7], s[28:29]
	s_add_nc_u64 s[4:5], s[4:5], s[28:29]
	s_clause 0x1
	global_store_b32 v3, v1, s[6:7]
	global_store_b32 v3, v2, s[4:5]
.LBB122_26:
	s_or_b32 exec_lo, exec_lo, s0
	v_dual_mov_b32 v24, 0 :: v_dual_and_b32 v11, 3, v0
	v_dual_mov_b32 v26, 0 :: v_dual_mov_b32 v25, 0
	v_dual_mov_b32 v23, 0 :: v_dual_mov_b32 v22, 0
	;; [unrolled: 1-line block ×7, first 2 shown]
	s_and_saveexec_b32 s1, s2
	s_cbranch_execz .LBB122_60
; %bb.27:
	s_ashr_i32 s11, s10, 31
	v_dual_mov_b32 v16, 0 :: v_dual_and_b32 v3, 0x1f0, v62
	s_wait_alu 0xfffe
	s_lshl_b64 s[2:3], s[10:11], 1
	v_dual_mov_b32 v12, 0 :: v_dual_lshlrev_b32 v1, 3, v0
	v_dual_mov_b32 v13, 0 :: v_dual_lshlrev_b32 v2, 5, v11
	s_wait_kmcnt 0x0
	s_wait_alu 0xfffe
	s_add_nc_u64 s[2:3], s[22:23], s[2:3]
	v_dual_mov_b32 v14, 0 :: v_dual_and_b32 v1, 24, v1
	s_wait_alu 0xfffe
	v_add_co_u32 v27, s0, s2, v3
	s_wait_alu 0xf1ff
	v_add_co_ci_u32_e64 v28, null, s3, 0, s0
	s_lshl_b64 s[2:3], s[16:17], 2
	v_lshl_add_u32 v4, v59, 5, s26
	v_lshl_or_b32 v2, v59, 7, v2
	s_wait_alu 0xfffe
	s_add_nc_u64 s[2:3], s[14:15], s[2:3]
	v_mov_b32_e32 v15, 0
	s_wait_alu 0xfffe
	v_add_co_u32 v5, s0, s2, v63
	v_add3_u32 v29, v4, v1, 7
	v_add_nc_u32_e32 v30, 0x110, v2
	s_wait_alu 0xf1ff
	v_add_co_ci_u32_e64 v6, null, s3, 0, s0
	v_dual_mov_b32 v17, 0 :: v_dual_mov_b32 v18, 0
	v_dual_mov_b32 v19, 0 :: v_dual_mov_b32 v20, 0
	;; [unrolled: 1-line block ×5, first 2 shown]
	s_mov_b32 s2, s9
	s_add_co_i32 s27, s27, -1
	s_mov_b32 s3, 0
	s_branch .LBB122_29
.LBB122_28:                             ;   in Loop: Header=BB122_29 Depth=1
	s_wait_alu 0xfffe
	s_or_b32 exec_lo, exec_lo, s0
	v_dual_add_f32 v31, v72, v73 :: v_dual_add_f32 v32, v69, v70
	v_dual_add_f32 v35, v67, v68 :: v_dual_add_f32 v38, v65, v66
	v_lshlrev_b32_e32 v7, 16, v7
	s_delay_alu instid0(VALU_DEP_3) | instskip(SKIP_1) | instid1(VALU_DEP_4)
	v_dual_add_f32 v13, v13, v31 :: v_dual_add_f32 v14, v14, v32
	v_dual_add_f32 v31, v63, v64 :: v_dual_add_f32 v32, v58, v62
	;; [unrolled: 1-line block ×4, first 2 shown]
	s_delay_alu instid0(VALU_DEP_3) | instskip(SKIP_1) | instid1(VALU_DEP_3)
	v_add_f32_e32 v17, v17, v31
	v_lshlrev_b32_e32 v31, 16, v71
	v_dual_add_f32 v19, v19, v35 :: v_dual_lshlrev_b32 v8, 16, v8
	v_dual_add_f32 v39, v52, v53 :: v_dual_add_f32 v18, v18, v32
	v_dual_add_f32 v32, v50, v51 :: v_dual_add_f32 v35, v48, v49
	s_delay_alu instid0(VALU_DEP_4) | instskip(NEXT) | instid1(VALU_DEP_4)
	v_and_or_b32 v1, 0xffff, v1, v31
	v_and_or_b32 v2, 0xffff, v2, v8
	;; [unrolled: 1-line block ×3, first 2 shown]
	;;#ASMSTART
	v_pk_mul_f16 v1, v34, v1;

	;;#ASMEND
	;;#ASMSTART
	v_pk_mul_f16 v2, v33, v2;

	;;#ASMEND
	;; [unrolled: 4-line block ×4, first 2 shown]
	;;#ASMSTART
	v_pk_add_f16 v1, v1, v2;

	;;#ASMEND
	;;#ASMSTART
	v_pk_add_f16 v1, v1, v3;

	;;#ASMEND
	;; [unrolled: 4-line block ×3, first 2 shown]
	v_dual_add_f32 v23, v23, v35 :: v_dual_and_b32 v4, 0xffff, v1
	v_dual_add_f32 v3, v40, v41 :: v_dual_add_nc_u32 v30, 0x200, v30
	v_add_nc_u32_e32 v61, 4, v61
	v_lshrrev_b32_e32 v7, 16, v1
	;;#ASMSTART
	v_cvt_f32_f16 v4, v4;
	;;#ASMEND
	v_add_f32_e32 v2, v44, v45
	;;#ASMSTART
	v_cvt_f32_f16 v7, v7;
	;;#ASMEND
	s_delay_alu instid0(VALU_DEP_2)
	v_add_f32_e32 v4, v4, v7
	v_add_f32_e32 v1, v46, v47
	;; [unrolled: 1-line block ×3, first 2 shown]
	v_cmp_le_i32_e32 vcc_lo, s13, v61
	v_add_co_u32 v5, s0, v5, 16
	v_dual_add_f32 v20, v20, v38 :: v_dual_add_f32 v21, v21, v39
	v_add_f32_e32 v22, v22, v32
	v_add_f32_e32 v26, v26, v2
	v_dual_add_f32 v12, v12, v4 :: v_dual_add_f32 v25, v25, v1
	v_add_nc_u32_e32 v29, 0x80, v29
	s_wait_alu 0xf1ff
	v_add_co_ci_u32_e64 v6, null, 0, v6, s0
	s_or_b32 s3, vcc_lo, s3
	s_wait_alu 0xfffe
	s_and_not1_b32 exec_lo, exec_lo, s3
	s_cbranch_execz .LBB122_59
.LBB122_29:                             ; =>This Inner Loop Header: Depth=1
	global_load_b32 v7, v[5:6], off
	ds_load_2addr_b64 v[1:4], v30 offset1:1
	ds_load_2addr_b64 v[35:38], v30 offset0:2 offset1:3
	v_add_nc_u32_e32 v39, -7, v29
	v_add_nc_u32_e32 v43, -6, v29
	;; [unrolled: 1-line block ×5, first 2 shown]
	s_wait_dscnt 0x1
	;;#ASMSTART
	v_cvt_f16_f32 v34, v1;

	;;#ASMEND
	;;#ASMSTART
	v_cvt_f16_f32 v33, v2;

	;;#ASMEND
	;;#ASMSTART
	v_cvt_f16_f32 v44, v3;

	;;#ASMEND
	;;#ASMSTART
	v_cvt_f16_f32 v40, v4;

	;;#ASMEND
	s_wait_dscnt 0x0
	;;#ASMSTART
	v_cvt_f16_f32 v45, v35;

	;;#ASMEND
	;;#ASMSTART
	v_cvt_f16_f32 v36, v36;

	;;#ASMEND
	;; [unrolled: 4-line block ×4, first 2 shown]
	v_add_nc_u32_e32 v35, -4, v29
	v_add_nc_u32_e32 v38, -1, v29
	s_wait_loadcnt 0x0
	s_wait_alu 0xfffe
	v_mad_co_i64_i32 v[7:8], null, v7, s2, 0
	s_delay_alu instid0(VALU_DEP_1) | instskip(NEXT) | instid1(VALU_DEP_1)
	v_lshlrev_b64_e32 v[7:8], 1, v[7:8]
	v_add_co_u32 v7, vcc_lo, v27, v7
	s_wait_alu 0xfffd
	s_delay_alu instid0(VALU_DEP_2)
	v_add_co_ci_u32_e64 v8, null, v28, v8, vcc_lo
	v_cmp_eq_u32_e32 vcc_lo, s27, v61
	global_load_b128 v[1:4], v[7:8], off
	s_wait_loadcnt 0x0
	v_lshrrev_b32_e32 v48, 16, v1
	v_lshrrev_b32_e32 v47, 16, v2
	;; [unrolled: 1-line block ×3, first 2 shown]
	s_and_saveexec_b32 s4, vcc_lo
	s_cbranch_execz .LBB122_31
; %bb.30:                               ;   in Loop: Header=BB122_29 Depth=1
	v_cmp_gt_i32_e64 s0, s25, v39
	v_and_b32_e32 v49, 0xffff, v4
	v_and_b32_e32 v4, 0xffff0000, v4
	s_wait_alu 0xf1ff
	s_delay_alu instid0(VALU_DEP_3) | instskip(SKIP_2) | instid1(VALU_DEP_1)
	v_cndmask_b32_e64 v1, 0, v1, s0
	v_cmp_gt_i32_e64 s0, s25, v43
	s_wait_alu 0xf1ff
	v_cndmask_b32_e64 v48, 0, v48, s0
	v_cmp_gt_i32_e64 s0, s25, v42
	s_wait_alu 0xf1ff
	s_delay_alu instid0(VALU_DEP_1) | instskip(SKIP_2) | instid1(VALU_DEP_1)
	v_cndmask_b32_e64 v2, 0, v2, s0
	v_cmp_gt_i32_e64 s0, s25, v35
	s_wait_alu 0xf1ff
	v_cndmask_b32_e64 v47, 0, v47, s0
	v_cmp_gt_i32_e64 s0, s25, v38
	s_wait_alu 0xf1ff
	s_delay_alu instid0(VALU_DEP_1) | instskip(SKIP_2) | instid1(VALU_DEP_1)
	v_cndmask_b32_e64 v49, 0, v49, s0
	v_cmp_gt_i32_e64 s0, s25, v29
	s_wait_alu 0xf1ff
	v_cndmask_b32_e64 v4, 0, v4, s0
	v_cmp_gt_i32_e64 s0, s25, v32
	s_delay_alu instid0(VALU_DEP_2) | instskip(SKIP_1) | instid1(VALU_DEP_2)
	v_or_b32_e32 v4, v49, v4
	s_wait_alu 0xf1ff
	v_cndmask_b32_e64 v3, 0, v3, s0
	v_cmp_gt_i32_e64 s0, s25, v31
	s_wait_alu 0xf1ff
	s_delay_alu instid0(VALU_DEP_1)
	v_cndmask_b32_e64 v46, 0, v46, s0
.LBB122_31:                             ;   in Loop: Header=BB122_29 Depth=1
	s_wait_alu 0xfffe
	s_or_b32 exec_lo, exec_lo, s4
	v_and_b32_e32 v34, 0xffff, v34
	v_and_b32_e32 v44, 0xffff, v44
	v_lshlrev_b32_e32 v48, 16, v48
	v_and_b32_e32 v45, 0xffff, v45
	v_and_b32_e32 v41, 0xffff, v41
	v_lshl_or_b32 v34, v33, 16, v34
	v_lshl_or_b32 v33, v40, 16, v44
	v_lshlrev_b32_e32 v40, 16, v47
	v_lshlrev_b32_e32 v44, 16, v46
	v_and_or_b32 v1, 0xffff, v1, v48
	;;#ASMSTART
	v_pk_mul_f16 v1, v34, v1;

	;;#ASMEND
	v_lshl_or_b32 v36, v36, 16, v45
	v_and_or_b32 v2, 0xffff, v2, v40
	v_and_or_b32 v3, 0xffff, v3, v44
	v_lshl_or_b32 v37, v37, 16, v41
	;;#ASMSTART
	v_pk_mul_f16 v2, v33, v2;

	;;#ASMEND
	;;#ASMSTART
	v_pk_mul_f16 v3, v36, v3;

	;;#ASMEND
	;; [unrolled: 4-line block ×3, first 2 shown]
	;;#ASMSTART
	v_pk_add_f16 v1, v1, v2;

	;;#ASMEND
	;;#ASMSTART
	v_pk_add_f16 v1, v1, v3;

	;;#ASMEND
	;;#ASMSTART
	v_pk_add_f16 v1, v1, v4;

	;;#ASMEND
	v_and_b32_e32 v2, 0xffff, v1
	v_lshrrev_b32_e32 v1, 16, v1
	;;#ASMSTART
	v_cvt_f32_f16 v40, v2;
	;;#ASMEND
	;;#ASMSTART
	v_cvt_f32_f16 v41, v1;
	;;#ASMEND
	global_load_b128 v[1:4], v[7:8], off offset:512
	s_wait_loadcnt 0x0
	v_lshrrev_b32_e32 v46, 16, v1
	v_lshrrev_b32_e32 v45, 16, v2
	;; [unrolled: 1-line block ×3, first 2 shown]
	s_and_saveexec_b32 s4, vcc_lo
	s_cbranch_execz .LBB122_33
; %bb.32:                               ;   in Loop: Header=BB122_29 Depth=1
	v_cmp_gt_i32_e64 s0, s25, v39
	v_and_b32_e32 v47, 0xffff, v4
	v_and_b32_e32 v4, 0xffff0000, v4
	s_wait_alu 0xf1ff
	s_delay_alu instid0(VALU_DEP_3) | instskip(SKIP_2) | instid1(VALU_DEP_1)
	v_cndmask_b32_e64 v1, 0, v1, s0
	v_cmp_gt_i32_e64 s0, s25, v43
	s_wait_alu 0xf1ff
	v_cndmask_b32_e64 v46, 0, v46, s0
	v_cmp_gt_i32_e64 s0, s25, v42
	s_wait_alu 0xf1ff
	s_delay_alu instid0(VALU_DEP_1) | instskip(SKIP_2) | instid1(VALU_DEP_1)
	v_cndmask_b32_e64 v2, 0, v2, s0
	v_cmp_gt_i32_e64 s0, s25, v35
	s_wait_alu 0xf1ff
	v_cndmask_b32_e64 v45, 0, v45, s0
	v_cmp_gt_i32_e64 s0, s25, v38
	s_wait_alu 0xf1ff
	s_delay_alu instid0(VALU_DEP_1) | instskip(SKIP_2) | instid1(VALU_DEP_1)
	v_cndmask_b32_e64 v47, 0, v47, s0
	v_cmp_gt_i32_e64 s0, s25, v29
	s_wait_alu 0xf1ff
	v_cndmask_b32_e64 v4, 0, v4, s0
	v_cmp_gt_i32_e64 s0, s25, v32
	s_delay_alu instid0(VALU_DEP_2) | instskip(SKIP_1) | instid1(VALU_DEP_2)
	v_or_b32_e32 v4, v47, v4
	s_wait_alu 0xf1ff
	v_cndmask_b32_e64 v3, 0, v3, s0
	v_cmp_gt_i32_e64 s0, s25, v31
	s_wait_alu 0xf1ff
	s_delay_alu instid0(VALU_DEP_1)
	v_cndmask_b32_e64 v44, 0, v44, s0
.LBB122_33:                             ;   in Loop: Header=BB122_29 Depth=1
	s_wait_alu 0xfffe
	s_or_b32 exec_lo, exec_lo, s4
	v_lshlrev_b32_e32 v46, 16, v46
	v_lshlrev_b32_e32 v45, 16, v45
	;; [unrolled: 1-line block ×3, first 2 shown]
	s_delay_alu instid0(VALU_DEP_3) | instskip(NEXT) | instid1(VALU_DEP_3)
	v_and_or_b32 v1, 0xffff, v1, v46
	v_and_or_b32 v2, 0xffff, v2, v45
	s_delay_alu instid0(VALU_DEP_3)
	v_and_or_b32 v3, 0xffff, v3, v44
	;;#ASMSTART
	v_pk_mul_f16 v1, v34, v1;

	;;#ASMEND
	;;#ASMSTART
	v_pk_mul_f16 v2, v33, v2;

	;;#ASMEND
	;; [unrolled: 4-line block ×4, first 2 shown]
	;;#ASMSTART
	v_pk_add_f16 v1, v1, v2;

	;;#ASMEND
	;;#ASMSTART
	v_pk_add_f16 v1, v1, v3;

	;;#ASMEND
	;; [unrolled: 4-line block ×3, first 2 shown]
	v_and_b32_e32 v2, 0xffff, v1
	v_lshrrev_b32_e32 v1, 16, v1
	;;#ASMSTART
	v_cvt_f32_f16 v44, v2;
	;;#ASMEND
	;;#ASMSTART
	v_cvt_f32_f16 v45, v1;
	;;#ASMEND
	global_load_b128 v[1:4], v[7:8], off offset:1024
	s_wait_loadcnt 0x0
	v_lshrrev_b32_e32 v48, 16, v1
	v_lshrrev_b32_e32 v47, 16, v2
	;; [unrolled: 1-line block ×3, first 2 shown]
	s_and_saveexec_b32 s4, vcc_lo
	s_cbranch_execz .LBB122_35
; %bb.34:                               ;   in Loop: Header=BB122_29 Depth=1
	v_cmp_gt_i32_e64 s0, s25, v39
	v_and_b32_e32 v49, 0xffff, v4
	v_and_b32_e32 v4, 0xffff0000, v4
	s_wait_alu 0xf1ff
	s_delay_alu instid0(VALU_DEP_3) | instskip(SKIP_2) | instid1(VALU_DEP_1)
	v_cndmask_b32_e64 v1, 0, v1, s0
	v_cmp_gt_i32_e64 s0, s25, v43
	s_wait_alu 0xf1ff
	v_cndmask_b32_e64 v48, 0, v48, s0
	v_cmp_gt_i32_e64 s0, s25, v42
	s_wait_alu 0xf1ff
	s_delay_alu instid0(VALU_DEP_1) | instskip(SKIP_2) | instid1(VALU_DEP_1)
	v_cndmask_b32_e64 v2, 0, v2, s0
	v_cmp_gt_i32_e64 s0, s25, v35
	s_wait_alu 0xf1ff
	v_cndmask_b32_e64 v47, 0, v47, s0
	v_cmp_gt_i32_e64 s0, s25, v38
	s_wait_alu 0xf1ff
	s_delay_alu instid0(VALU_DEP_1) | instskip(SKIP_2) | instid1(VALU_DEP_1)
	v_cndmask_b32_e64 v49, 0, v49, s0
	v_cmp_gt_i32_e64 s0, s25, v29
	s_wait_alu 0xf1ff
	v_cndmask_b32_e64 v4, 0, v4, s0
	v_cmp_gt_i32_e64 s0, s25, v32
	s_delay_alu instid0(VALU_DEP_2) | instskip(SKIP_1) | instid1(VALU_DEP_2)
	v_or_b32_e32 v4, v49, v4
	s_wait_alu 0xf1ff
	v_cndmask_b32_e64 v3, 0, v3, s0
	v_cmp_gt_i32_e64 s0, s25, v31
	s_wait_alu 0xf1ff
	s_delay_alu instid0(VALU_DEP_1)
	v_cndmask_b32_e64 v46, 0, v46, s0
.LBB122_35:                             ;   in Loop: Header=BB122_29 Depth=1
	s_wait_alu 0xfffe
	s_or_b32 exec_lo, exec_lo, s4
	v_lshlrev_b32_e32 v48, 16, v48
	v_lshlrev_b32_e32 v47, 16, v47
	;; [unrolled: 1-line block ×3, first 2 shown]
	s_delay_alu instid0(VALU_DEP_3) | instskip(NEXT) | instid1(VALU_DEP_3)
	v_and_or_b32 v1, 0xffff, v1, v48
	v_and_or_b32 v2, 0xffff, v2, v47
	s_delay_alu instid0(VALU_DEP_3)
	v_and_or_b32 v3, 0xffff, v3, v46
	;;#ASMSTART
	v_pk_mul_f16 v1, v34, v1;

	;;#ASMEND
	;;#ASMSTART
	v_pk_mul_f16 v2, v33, v2;

	;;#ASMEND
	;; [unrolled: 4-line block ×4, first 2 shown]
	;;#ASMSTART
	v_pk_add_f16 v1, v1, v2;

	;;#ASMEND
	;;#ASMSTART
	v_pk_add_f16 v1, v1, v3;

	;;#ASMEND
	;; [unrolled: 4-line block ×3, first 2 shown]
	v_and_b32_e32 v2, 0xffff, v1
	v_lshrrev_b32_e32 v1, 16, v1
	;;#ASMSTART
	v_cvt_f32_f16 v46, v2;
	;;#ASMEND
	;;#ASMSTART
	v_cvt_f32_f16 v47, v1;
	;;#ASMEND
	global_load_b128 v[1:4], v[7:8], off offset:1536
	s_wait_loadcnt 0x0
	v_lshrrev_b32_e32 v50, 16, v1
	v_lshrrev_b32_e32 v49, 16, v2
	;; [unrolled: 1-line block ×3, first 2 shown]
	s_and_saveexec_b32 s4, vcc_lo
	s_cbranch_execz .LBB122_37
; %bb.36:                               ;   in Loop: Header=BB122_29 Depth=1
	v_cmp_gt_i32_e64 s0, s25, v39
	v_and_b32_e32 v51, 0xffff, v4
	v_and_b32_e32 v4, 0xffff0000, v4
	s_wait_alu 0xf1ff
	s_delay_alu instid0(VALU_DEP_3) | instskip(SKIP_2) | instid1(VALU_DEP_1)
	v_cndmask_b32_e64 v1, 0, v1, s0
	v_cmp_gt_i32_e64 s0, s25, v43
	s_wait_alu 0xf1ff
	v_cndmask_b32_e64 v50, 0, v50, s0
	v_cmp_gt_i32_e64 s0, s25, v42
	s_wait_alu 0xf1ff
	s_delay_alu instid0(VALU_DEP_1) | instskip(SKIP_2) | instid1(VALU_DEP_1)
	v_cndmask_b32_e64 v2, 0, v2, s0
	v_cmp_gt_i32_e64 s0, s25, v35
	s_wait_alu 0xf1ff
	v_cndmask_b32_e64 v49, 0, v49, s0
	v_cmp_gt_i32_e64 s0, s25, v38
	s_wait_alu 0xf1ff
	s_delay_alu instid0(VALU_DEP_1) | instskip(SKIP_2) | instid1(VALU_DEP_1)
	v_cndmask_b32_e64 v51, 0, v51, s0
	v_cmp_gt_i32_e64 s0, s25, v29
	s_wait_alu 0xf1ff
	v_cndmask_b32_e64 v4, 0, v4, s0
	v_cmp_gt_i32_e64 s0, s25, v32
	s_delay_alu instid0(VALU_DEP_2) | instskip(SKIP_1) | instid1(VALU_DEP_2)
	v_or_b32_e32 v4, v51, v4
	s_wait_alu 0xf1ff
	v_cndmask_b32_e64 v3, 0, v3, s0
	v_cmp_gt_i32_e64 s0, s25, v31
	s_wait_alu 0xf1ff
	s_delay_alu instid0(VALU_DEP_1)
	v_cndmask_b32_e64 v48, 0, v48, s0
.LBB122_37:                             ;   in Loop: Header=BB122_29 Depth=1
	s_wait_alu 0xfffe
	s_or_b32 exec_lo, exec_lo, s4
	v_lshlrev_b32_e32 v50, 16, v50
	v_lshlrev_b32_e32 v49, 16, v49
	;; [unrolled: 1-line block ×3, first 2 shown]
	s_delay_alu instid0(VALU_DEP_3) | instskip(NEXT) | instid1(VALU_DEP_3)
	v_and_or_b32 v1, 0xffff, v1, v50
	v_and_or_b32 v2, 0xffff, v2, v49
	s_delay_alu instid0(VALU_DEP_3)
	v_and_or_b32 v3, 0xffff, v3, v48
	;;#ASMSTART
	v_pk_mul_f16 v1, v34, v1;

	;;#ASMEND
	;;#ASMSTART
	v_pk_mul_f16 v2, v33, v2;

	;;#ASMEND
	;; [unrolled: 4-line block ×4, first 2 shown]
	;;#ASMSTART
	v_pk_add_f16 v1, v1, v2;

	;;#ASMEND
	;;#ASMSTART
	v_pk_add_f16 v1, v1, v3;

	;;#ASMEND
	;; [unrolled: 4-line block ×3, first 2 shown]
	v_and_b32_e32 v2, 0xffff, v1
	v_lshrrev_b32_e32 v1, 16, v1
	;;#ASMSTART
	v_cvt_f32_f16 v48, v2;
	;;#ASMEND
	;;#ASMSTART
	v_cvt_f32_f16 v49, v1;
	;;#ASMEND
	global_load_b128 v[1:4], v[7:8], off offset:2048
	s_wait_loadcnt 0x0
	v_lshrrev_b32_e32 v52, 16, v1
	v_lshrrev_b32_e32 v51, 16, v2
	;; [unrolled: 1-line block ×3, first 2 shown]
	s_and_saveexec_b32 s4, vcc_lo
	s_cbranch_execz .LBB122_39
; %bb.38:                               ;   in Loop: Header=BB122_29 Depth=1
	v_cmp_gt_i32_e64 s0, s25, v39
	v_and_b32_e32 v53, 0xffff, v4
	v_and_b32_e32 v4, 0xffff0000, v4
	s_wait_alu 0xf1ff
	s_delay_alu instid0(VALU_DEP_3) | instskip(SKIP_2) | instid1(VALU_DEP_1)
	v_cndmask_b32_e64 v1, 0, v1, s0
	v_cmp_gt_i32_e64 s0, s25, v43
	s_wait_alu 0xf1ff
	v_cndmask_b32_e64 v52, 0, v52, s0
	v_cmp_gt_i32_e64 s0, s25, v42
	s_wait_alu 0xf1ff
	s_delay_alu instid0(VALU_DEP_1) | instskip(SKIP_2) | instid1(VALU_DEP_1)
	v_cndmask_b32_e64 v2, 0, v2, s0
	v_cmp_gt_i32_e64 s0, s25, v35
	s_wait_alu 0xf1ff
	v_cndmask_b32_e64 v51, 0, v51, s0
	v_cmp_gt_i32_e64 s0, s25, v38
	s_wait_alu 0xf1ff
	s_delay_alu instid0(VALU_DEP_1) | instskip(SKIP_2) | instid1(VALU_DEP_1)
	v_cndmask_b32_e64 v53, 0, v53, s0
	v_cmp_gt_i32_e64 s0, s25, v29
	s_wait_alu 0xf1ff
	v_cndmask_b32_e64 v4, 0, v4, s0
	v_cmp_gt_i32_e64 s0, s25, v32
	s_delay_alu instid0(VALU_DEP_2) | instskip(SKIP_1) | instid1(VALU_DEP_2)
	v_or_b32_e32 v4, v53, v4
	s_wait_alu 0xf1ff
	v_cndmask_b32_e64 v3, 0, v3, s0
	v_cmp_gt_i32_e64 s0, s25, v31
	s_wait_alu 0xf1ff
	s_delay_alu instid0(VALU_DEP_1)
	v_cndmask_b32_e64 v50, 0, v50, s0
.LBB122_39:                             ;   in Loop: Header=BB122_29 Depth=1
	s_wait_alu 0xfffe
	s_or_b32 exec_lo, exec_lo, s4
	v_lshlrev_b32_e32 v52, 16, v52
	v_lshlrev_b32_e32 v51, 16, v51
	v_lshlrev_b32_e32 v50, 16, v50
	s_delay_alu instid0(VALU_DEP_3) | instskip(NEXT) | instid1(VALU_DEP_3)
	v_and_or_b32 v1, 0xffff, v1, v52
	v_and_or_b32 v2, 0xffff, v2, v51
	s_delay_alu instid0(VALU_DEP_3)
	v_and_or_b32 v3, 0xffff, v3, v50
	;;#ASMSTART
	v_pk_mul_f16 v1, v34, v1;

	;;#ASMEND
	;;#ASMSTART
	v_pk_mul_f16 v2, v33, v2;

	;;#ASMEND
	;; [unrolled: 4-line block ×4, first 2 shown]
	;;#ASMSTART
	v_pk_add_f16 v1, v1, v2;

	;;#ASMEND
	;;#ASMSTART
	v_pk_add_f16 v1, v1, v3;

	;;#ASMEND
	;; [unrolled: 4-line block ×3, first 2 shown]
	v_and_b32_e32 v2, 0xffff, v1
	v_lshrrev_b32_e32 v1, 16, v1
	;;#ASMSTART
	v_cvt_f32_f16 v50, v2;
	;;#ASMEND
	;;#ASMSTART
	v_cvt_f32_f16 v51, v1;
	;;#ASMEND
	global_load_b128 v[1:4], v[7:8], off offset:2560
	s_wait_loadcnt 0x0
	v_lshrrev_b32_e32 v54, 16, v1
	v_lshrrev_b32_e32 v53, 16, v2
	;; [unrolled: 1-line block ×3, first 2 shown]
	s_and_saveexec_b32 s4, vcc_lo
	s_cbranch_execz .LBB122_41
; %bb.40:                               ;   in Loop: Header=BB122_29 Depth=1
	v_cmp_gt_i32_e64 s0, s25, v39
	v_and_b32_e32 v55, 0xffff, v4
	v_and_b32_e32 v4, 0xffff0000, v4
	s_wait_alu 0xf1ff
	s_delay_alu instid0(VALU_DEP_3) | instskip(SKIP_2) | instid1(VALU_DEP_1)
	v_cndmask_b32_e64 v1, 0, v1, s0
	v_cmp_gt_i32_e64 s0, s25, v43
	s_wait_alu 0xf1ff
	v_cndmask_b32_e64 v54, 0, v54, s0
	v_cmp_gt_i32_e64 s0, s25, v42
	s_wait_alu 0xf1ff
	s_delay_alu instid0(VALU_DEP_1) | instskip(SKIP_2) | instid1(VALU_DEP_1)
	v_cndmask_b32_e64 v2, 0, v2, s0
	v_cmp_gt_i32_e64 s0, s25, v35
	s_wait_alu 0xf1ff
	v_cndmask_b32_e64 v53, 0, v53, s0
	v_cmp_gt_i32_e64 s0, s25, v38
	s_wait_alu 0xf1ff
	s_delay_alu instid0(VALU_DEP_1) | instskip(SKIP_2) | instid1(VALU_DEP_1)
	v_cndmask_b32_e64 v55, 0, v55, s0
	v_cmp_gt_i32_e64 s0, s25, v29
	s_wait_alu 0xf1ff
	v_cndmask_b32_e64 v4, 0, v4, s0
	v_cmp_gt_i32_e64 s0, s25, v32
	s_delay_alu instid0(VALU_DEP_2) | instskip(SKIP_1) | instid1(VALU_DEP_2)
	v_or_b32_e32 v4, v55, v4
	s_wait_alu 0xf1ff
	v_cndmask_b32_e64 v3, 0, v3, s0
	v_cmp_gt_i32_e64 s0, s25, v31
	s_wait_alu 0xf1ff
	s_delay_alu instid0(VALU_DEP_1)
	v_cndmask_b32_e64 v52, 0, v52, s0
.LBB122_41:                             ;   in Loop: Header=BB122_29 Depth=1
	s_wait_alu 0xfffe
	s_or_b32 exec_lo, exec_lo, s4
	v_lshlrev_b32_e32 v54, 16, v54
	v_lshlrev_b32_e32 v53, 16, v53
	;; [unrolled: 1-line block ×3, first 2 shown]
	s_delay_alu instid0(VALU_DEP_3) | instskip(NEXT) | instid1(VALU_DEP_3)
	v_and_or_b32 v1, 0xffff, v1, v54
	v_and_or_b32 v2, 0xffff, v2, v53
	s_delay_alu instid0(VALU_DEP_3)
	v_and_or_b32 v3, 0xffff, v3, v52
	;;#ASMSTART
	v_pk_mul_f16 v1, v34, v1;

	;;#ASMEND
	;;#ASMSTART
	v_pk_mul_f16 v2, v33, v2;

	;;#ASMEND
	;; [unrolled: 4-line block ×4, first 2 shown]
	;;#ASMSTART
	v_pk_add_f16 v1, v1, v2;

	;;#ASMEND
	;;#ASMSTART
	v_pk_add_f16 v1, v1, v3;

	;;#ASMEND
	;; [unrolled: 4-line block ×3, first 2 shown]
	v_and_b32_e32 v2, 0xffff, v1
	v_lshrrev_b32_e32 v1, 16, v1
	;;#ASMSTART
	v_cvt_f32_f16 v52, v2;
	;;#ASMEND
	;;#ASMSTART
	v_cvt_f32_f16 v53, v1;
	;;#ASMEND
	global_load_b128 v[1:4], v[7:8], off offset:3072
	s_wait_loadcnt 0x0
	v_lshrrev_b32_e32 v56, 16, v1
	v_lshrrev_b32_e32 v55, 16, v2
	;; [unrolled: 1-line block ×3, first 2 shown]
	s_and_saveexec_b32 s4, vcc_lo
	s_cbranch_execz .LBB122_43
; %bb.42:                               ;   in Loop: Header=BB122_29 Depth=1
	v_cmp_gt_i32_e64 s0, s25, v39
	v_and_b32_e32 v57, 0xffff, v4
	v_and_b32_e32 v4, 0xffff0000, v4
	s_wait_alu 0xf1ff
	s_delay_alu instid0(VALU_DEP_3) | instskip(SKIP_2) | instid1(VALU_DEP_1)
	v_cndmask_b32_e64 v1, 0, v1, s0
	v_cmp_gt_i32_e64 s0, s25, v43
	s_wait_alu 0xf1ff
	v_cndmask_b32_e64 v56, 0, v56, s0
	v_cmp_gt_i32_e64 s0, s25, v42
	s_wait_alu 0xf1ff
	s_delay_alu instid0(VALU_DEP_1) | instskip(SKIP_2) | instid1(VALU_DEP_1)
	v_cndmask_b32_e64 v2, 0, v2, s0
	v_cmp_gt_i32_e64 s0, s25, v35
	s_wait_alu 0xf1ff
	v_cndmask_b32_e64 v55, 0, v55, s0
	v_cmp_gt_i32_e64 s0, s25, v38
	s_wait_alu 0xf1ff
	s_delay_alu instid0(VALU_DEP_1) | instskip(SKIP_2) | instid1(VALU_DEP_1)
	v_cndmask_b32_e64 v57, 0, v57, s0
	v_cmp_gt_i32_e64 s0, s25, v29
	s_wait_alu 0xf1ff
	v_cndmask_b32_e64 v4, 0, v4, s0
	v_cmp_gt_i32_e64 s0, s25, v32
	s_delay_alu instid0(VALU_DEP_2) | instskip(SKIP_1) | instid1(VALU_DEP_2)
	v_or_b32_e32 v4, v57, v4
	s_wait_alu 0xf1ff
	v_cndmask_b32_e64 v3, 0, v3, s0
	v_cmp_gt_i32_e64 s0, s25, v31
	s_wait_alu 0xf1ff
	s_delay_alu instid0(VALU_DEP_1)
	v_cndmask_b32_e64 v54, 0, v54, s0
.LBB122_43:                             ;   in Loop: Header=BB122_29 Depth=1
	s_wait_alu 0xfffe
	s_or_b32 exec_lo, exec_lo, s4
	v_lshlrev_b32_e32 v56, 16, v56
	v_lshlrev_b32_e32 v55, 16, v55
	;; [unrolled: 1-line block ×3, first 2 shown]
	s_delay_alu instid0(VALU_DEP_3) | instskip(NEXT) | instid1(VALU_DEP_3)
	v_and_or_b32 v1, 0xffff, v1, v56
	v_and_or_b32 v2, 0xffff, v2, v55
	s_delay_alu instid0(VALU_DEP_3)
	v_and_or_b32 v3, 0xffff, v3, v54
	;;#ASMSTART
	v_pk_mul_f16 v1, v34, v1;

	;;#ASMEND
	;;#ASMSTART
	v_pk_mul_f16 v2, v33, v2;

	;;#ASMEND
	;;#ASMSTART
	v_pk_mul_f16 v3, v36, v3;

	;;#ASMEND
	;;#ASMSTART
	v_pk_mul_f16 v4, v37, v4;

	;;#ASMEND
	;;#ASMSTART
	v_pk_add_f16 v1, v1, v2;

	;;#ASMEND
	;;#ASMSTART
	v_pk_add_f16 v1, v1, v3;

	;;#ASMEND
	;; [unrolled: 4-line block ×3, first 2 shown]
	v_and_b32_e32 v2, 0xffff, v1
	v_lshrrev_b32_e32 v1, 16, v1
	;;#ASMSTART
	v_cvt_f32_f16 v54, v2;
	;;#ASMEND
	;;#ASMSTART
	v_cvt_f32_f16 v55, v1;
	;;#ASMEND
	global_load_b128 v[1:4], v[7:8], off offset:3584
	s_wait_loadcnt 0x0
	v_lshrrev_b32_e32 v58, 16, v1
	v_lshrrev_b32_e32 v57, 16, v2
	;; [unrolled: 1-line block ×3, first 2 shown]
	s_and_saveexec_b32 s4, vcc_lo
	s_cbranch_execz .LBB122_45
; %bb.44:                               ;   in Loop: Header=BB122_29 Depth=1
	v_cmp_gt_i32_e64 s0, s25, v39
	v_and_b32_e32 v62, 0xffff, v4
	v_and_b32_e32 v4, 0xffff0000, v4
	s_wait_alu 0xf1ff
	s_delay_alu instid0(VALU_DEP_3) | instskip(SKIP_2) | instid1(VALU_DEP_1)
	v_cndmask_b32_e64 v1, 0, v1, s0
	v_cmp_gt_i32_e64 s0, s25, v43
	s_wait_alu 0xf1ff
	v_cndmask_b32_e64 v58, 0, v58, s0
	v_cmp_gt_i32_e64 s0, s25, v42
	s_wait_alu 0xf1ff
	s_delay_alu instid0(VALU_DEP_1) | instskip(SKIP_2) | instid1(VALU_DEP_1)
	v_cndmask_b32_e64 v2, 0, v2, s0
	v_cmp_gt_i32_e64 s0, s25, v35
	s_wait_alu 0xf1ff
	v_cndmask_b32_e64 v57, 0, v57, s0
	v_cmp_gt_i32_e64 s0, s25, v38
	s_wait_alu 0xf1ff
	s_delay_alu instid0(VALU_DEP_1) | instskip(SKIP_2) | instid1(VALU_DEP_1)
	v_cndmask_b32_e64 v62, 0, v62, s0
	v_cmp_gt_i32_e64 s0, s25, v29
	s_wait_alu 0xf1ff
	v_cndmask_b32_e64 v4, 0, v4, s0
	v_cmp_gt_i32_e64 s0, s25, v32
	s_delay_alu instid0(VALU_DEP_2) | instskip(SKIP_1) | instid1(VALU_DEP_2)
	v_or_b32_e32 v4, v62, v4
	s_wait_alu 0xf1ff
	v_cndmask_b32_e64 v3, 0, v3, s0
	v_cmp_gt_i32_e64 s0, s25, v31
	s_wait_alu 0xf1ff
	s_delay_alu instid0(VALU_DEP_1)
	v_cndmask_b32_e64 v56, 0, v56, s0
.LBB122_45:                             ;   in Loop: Header=BB122_29 Depth=1
	s_wait_alu 0xfffe
	s_or_b32 exec_lo, exec_lo, s4
	v_lshlrev_b32_e32 v58, 16, v58
	v_lshlrev_b32_e32 v57, 16, v57
	;; [unrolled: 1-line block ×3, first 2 shown]
	s_delay_alu instid0(VALU_DEP_3) | instskip(NEXT) | instid1(VALU_DEP_3)
	v_and_or_b32 v1, 0xffff, v1, v58
	v_and_or_b32 v2, 0xffff, v2, v57
	s_delay_alu instid0(VALU_DEP_3)
	v_and_or_b32 v3, 0xffff, v3, v56
	;;#ASMSTART
	v_pk_mul_f16 v1, v34, v1;

	;;#ASMEND
	;;#ASMSTART
	v_pk_mul_f16 v2, v33, v2;

	;;#ASMEND
	;; [unrolled: 4-line block ×4, first 2 shown]
	;;#ASMSTART
	v_pk_add_f16 v1, v1, v2;

	;;#ASMEND
	;;#ASMSTART
	v_pk_add_f16 v1, v1, v3;

	;;#ASMEND
	;; [unrolled: 4-line block ×3, first 2 shown]
	v_and_b32_e32 v2, 0xffff, v1
	v_lshrrev_b32_e32 v1, 16, v1
	;;#ASMSTART
	v_cvt_f32_f16 v56, v2;
	;;#ASMEND
	;;#ASMSTART
	v_cvt_f32_f16 v57, v1;
	;;#ASMEND
	global_load_b128 v[1:4], v[7:8], off offset:4096
	s_wait_loadcnt 0x0
	v_lshrrev_b32_e32 v63, 16, v1
	v_lshrrev_b32_e32 v62, 16, v2
	;; [unrolled: 1-line block ×3, first 2 shown]
	s_and_saveexec_b32 s4, vcc_lo
	s_cbranch_execz .LBB122_47
; %bb.46:                               ;   in Loop: Header=BB122_29 Depth=1
	v_cmp_gt_i32_e64 s0, s25, v39
	v_and_b32_e32 v64, 0xffff, v4
	v_and_b32_e32 v4, 0xffff0000, v4
	s_wait_alu 0xf1ff
	s_delay_alu instid0(VALU_DEP_3) | instskip(SKIP_2) | instid1(VALU_DEP_1)
	v_cndmask_b32_e64 v1, 0, v1, s0
	v_cmp_gt_i32_e64 s0, s25, v43
	s_wait_alu 0xf1ff
	v_cndmask_b32_e64 v63, 0, v63, s0
	v_cmp_gt_i32_e64 s0, s25, v42
	s_wait_alu 0xf1ff
	s_delay_alu instid0(VALU_DEP_1) | instskip(SKIP_2) | instid1(VALU_DEP_1)
	v_cndmask_b32_e64 v2, 0, v2, s0
	v_cmp_gt_i32_e64 s0, s25, v35
	s_wait_alu 0xf1ff
	v_cndmask_b32_e64 v62, 0, v62, s0
	v_cmp_gt_i32_e64 s0, s25, v38
	s_wait_alu 0xf1ff
	s_delay_alu instid0(VALU_DEP_1) | instskip(SKIP_2) | instid1(VALU_DEP_1)
	v_cndmask_b32_e64 v64, 0, v64, s0
	v_cmp_gt_i32_e64 s0, s25, v29
	s_wait_alu 0xf1ff
	v_cndmask_b32_e64 v4, 0, v4, s0
	v_cmp_gt_i32_e64 s0, s25, v32
	s_delay_alu instid0(VALU_DEP_2) | instskip(SKIP_1) | instid1(VALU_DEP_2)
	v_or_b32_e32 v4, v64, v4
	s_wait_alu 0xf1ff
	v_cndmask_b32_e64 v3, 0, v3, s0
	v_cmp_gt_i32_e64 s0, s25, v31
	s_wait_alu 0xf1ff
	s_delay_alu instid0(VALU_DEP_1)
	v_cndmask_b32_e64 v58, 0, v58, s0
.LBB122_47:                             ;   in Loop: Header=BB122_29 Depth=1
	s_wait_alu 0xfffe
	s_or_b32 exec_lo, exec_lo, s4
	v_lshlrev_b32_e32 v63, 16, v63
	v_lshlrev_b32_e32 v62, 16, v62
	;; [unrolled: 1-line block ×3, first 2 shown]
	s_delay_alu instid0(VALU_DEP_3) | instskip(NEXT) | instid1(VALU_DEP_3)
	v_and_or_b32 v1, 0xffff, v1, v63
	v_and_or_b32 v2, 0xffff, v2, v62
	s_delay_alu instid0(VALU_DEP_3)
	v_and_or_b32 v3, 0xffff, v3, v58
	;;#ASMSTART
	v_pk_mul_f16 v1, v34, v1;

	;;#ASMEND
	;;#ASMSTART
	v_pk_mul_f16 v2, v33, v2;

	;;#ASMEND
	;; [unrolled: 4-line block ×4, first 2 shown]
	;;#ASMSTART
	v_pk_add_f16 v1, v1, v2;

	;;#ASMEND
	;;#ASMSTART
	v_pk_add_f16 v1, v1, v3;

	;;#ASMEND
	;; [unrolled: 4-line block ×3, first 2 shown]
	v_and_b32_e32 v2, 0xffff, v1
	v_lshrrev_b32_e32 v1, 16, v1
	;;#ASMSTART
	v_cvt_f32_f16 v58, v2;
	;;#ASMEND
	;;#ASMSTART
	v_cvt_f32_f16 v62, v1;
	;;#ASMEND
	global_load_b128 v[1:4], v[7:8], off offset:4608
	s_wait_loadcnt 0x0
	v_lshrrev_b32_e32 v65, 16, v1
	v_lshrrev_b32_e32 v64, 16, v2
	v_lshrrev_b32_e32 v63, 16, v3
	s_and_saveexec_b32 s4, vcc_lo
	s_cbranch_execz .LBB122_49
; %bb.48:                               ;   in Loop: Header=BB122_29 Depth=1
	v_cmp_gt_i32_e64 s0, s25, v39
	v_and_b32_e32 v66, 0xffff, v4
	v_and_b32_e32 v4, 0xffff0000, v4
	s_wait_alu 0xf1ff
	s_delay_alu instid0(VALU_DEP_3) | instskip(SKIP_2) | instid1(VALU_DEP_1)
	v_cndmask_b32_e64 v1, 0, v1, s0
	v_cmp_gt_i32_e64 s0, s25, v43
	s_wait_alu 0xf1ff
	v_cndmask_b32_e64 v65, 0, v65, s0
	v_cmp_gt_i32_e64 s0, s25, v42
	s_wait_alu 0xf1ff
	s_delay_alu instid0(VALU_DEP_1) | instskip(SKIP_2) | instid1(VALU_DEP_1)
	v_cndmask_b32_e64 v2, 0, v2, s0
	v_cmp_gt_i32_e64 s0, s25, v35
	s_wait_alu 0xf1ff
	v_cndmask_b32_e64 v64, 0, v64, s0
	v_cmp_gt_i32_e64 s0, s25, v38
	s_wait_alu 0xf1ff
	s_delay_alu instid0(VALU_DEP_1) | instskip(SKIP_2) | instid1(VALU_DEP_1)
	v_cndmask_b32_e64 v66, 0, v66, s0
	v_cmp_gt_i32_e64 s0, s25, v29
	s_wait_alu 0xf1ff
	v_cndmask_b32_e64 v4, 0, v4, s0
	v_cmp_gt_i32_e64 s0, s25, v32
	s_delay_alu instid0(VALU_DEP_2) | instskip(SKIP_1) | instid1(VALU_DEP_2)
	v_or_b32_e32 v4, v66, v4
	s_wait_alu 0xf1ff
	v_cndmask_b32_e64 v3, 0, v3, s0
	v_cmp_gt_i32_e64 s0, s25, v31
	s_wait_alu 0xf1ff
	s_delay_alu instid0(VALU_DEP_1)
	v_cndmask_b32_e64 v63, 0, v63, s0
.LBB122_49:                             ;   in Loop: Header=BB122_29 Depth=1
	s_wait_alu 0xfffe
	s_or_b32 exec_lo, exec_lo, s4
	v_lshlrev_b32_e32 v65, 16, v65
	v_lshlrev_b32_e32 v64, 16, v64
	;; [unrolled: 1-line block ×3, first 2 shown]
	s_delay_alu instid0(VALU_DEP_3) | instskip(NEXT) | instid1(VALU_DEP_3)
	v_and_or_b32 v1, 0xffff, v1, v65
	v_and_or_b32 v2, 0xffff, v2, v64
	s_delay_alu instid0(VALU_DEP_3)
	v_and_or_b32 v3, 0xffff, v3, v63
	;;#ASMSTART
	v_pk_mul_f16 v1, v34, v1;

	;;#ASMEND
	;;#ASMSTART
	v_pk_mul_f16 v2, v33, v2;

	;;#ASMEND
	;; [unrolled: 4-line block ×4, first 2 shown]
	;;#ASMSTART
	v_pk_add_f16 v1, v1, v2;

	;;#ASMEND
	;;#ASMSTART
	v_pk_add_f16 v1, v1, v3;

	;;#ASMEND
	;; [unrolled: 4-line block ×3, first 2 shown]
	v_and_b32_e32 v2, 0xffff, v1
	v_lshrrev_b32_e32 v1, 16, v1
	;;#ASMSTART
	v_cvt_f32_f16 v63, v2;
	;;#ASMEND
	;;#ASMSTART
	v_cvt_f32_f16 v64, v1;
	;;#ASMEND
	global_load_b128 v[1:4], v[7:8], off offset:5120
	s_wait_loadcnt 0x0
	v_lshrrev_b32_e32 v67, 16, v1
	v_lshrrev_b32_e32 v66, 16, v2
	;; [unrolled: 1-line block ×3, first 2 shown]
	s_and_saveexec_b32 s4, vcc_lo
	s_cbranch_execz .LBB122_51
; %bb.50:                               ;   in Loop: Header=BB122_29 Depth=1
	v_cmp_gt_i32_e64 s0, s25, v39
	v_and_b32_e32 v68, 0xffff, v4
	v_and_b32_e32 v4, 0xffff0000, v4
	s_wait_alu 0xf1ff
	s_delay_alu instid0(VALU_DEP_3) | instskip(SKIP_2) | instid1(VALU_DEP_1)
	v_cndmask_b32_e64 v1, 0, v1, s0
	v_cmp_gt_i32_e64 s0, s25, v43
	s_wait_alu 0xf1ff
	v_cndmask_b32_e64 v67, 0, v67, s0
	v_cmp_gt_i32_e64 s0, s25, v42
	s_wait_alu 0xf1ff
	s_delay_alu instid0(VALU_DEP_1) | instskip(SKIP_2) | instid1(VALU_DEP_1)
	v_cndmask_b32_e64 v2, 0, v2, s0
	v_cmp_gt_i32_e64 s0, s25, v35
	s_wait_alu 0xf1ff
	v_cndmask_b32_e64 v66, 0, v66, s0
	v_cmp_gt_i32_e64 s0, s25, v38
	s_wait_alu 0xf1ff
	s_delay_alu instid0(VALU_DEP_1) | instskip(SKIP_2) | instid1(VALU_DEP_1)
	v_cndmask_b32_e64 v68, 0, v68, s0
	v_cmp_gt_i32_e64 s0, s25, v29
	s_wait_alu 0xf1ff
	v_cndmask_b32_e64 v4, 0, v4, s0
	v_cmp_gt_i32_e64 s0, s25, v32
	s_delay_alu instid0(VALU_DEP_2) | instskip(SKIP_1) | instid1(VALU_DEP_2)
	v_or_b32_e32 v4, v68, v4
	s_wait_alu 0xf1ff
	v_cndmask_b32_e64 v3, 0, v3, s0
	v_cmp_gt_i32_e64 s0, s25, v31
	s_wait_alu 0xf1ff
	s_delay_alu instid0(VALU_DEP_1)
	v_cndmask_b32_e64 v65, 0, v65, s0
.LBB122_51:                             ;   in Loop: Header=BB122_29 Depth=1
	s_wait_alu 0xfffe
	s_or_b32 exec_lo, exec_lo, s4
	v_lshlrev_b32_e32 v67, 16, v67
	v_lshlrev_b32_e32 v66, 16, v66
	v_lshlrev_b32_e32 v65, 16, v65
	s_delay_alu instid0(VALU_DEP_3) | instskip(NEXT) | instid1(VALU_DEP_3)
	v_and_or_b32 v1, 0xffff, v1, v67
	v_and_or_b32 v2, 0xffff, v2, v66
	s_delay_alu instid0(VALU_DEP_3)
	v_and_or_b32 v3, 0xffff, v3, v65
	;;#ASMSTART
	v_pk_mul_f16 v1, v34, v1;

	;;#ASMEND
	;;#ASMSTART
	v_pk_mul_f16 v2, v33, v2;

	;;#ASMEND
	;; [unrolled: 4-line block ×4, first 2 shown]
	;;#ASMSTART
	v_pk_add_f16 v1, v1, v2;

	;;#ASMEND
	;;#ASMSTART
	v_pk_add_f16 v1, v1, v3;

	;;#ASMEND
	;; [unrolled: 4-line block ×3, first 2 shown]
	v_and_b32_e32 v2, 0xffff, v1
	v_lshrrev_b32_e32 v1, 16, v1
	;;#ASMSTART
	v_cvt_f32_f16 v65, v2;
	;;#ASMEND
	;;#ASMSTART
	v_cvt_f32_f16 v66, v1;
	;;#ASMEND
	global_load_b128 v[1:4], v[7:8], off offset:5632
	s_wait_loadcnt 0x0
	v_lshrrev_b32_e32 v69, 16, v1
	v_lshrrev_b32_e32 v68, 16, v2
	;; [unrolled: 1-line block ×3, first 2 shown]
	s_and_saveexec_b32 s4, vcc_lo
	s_cbranch_execz .LBB122_53
; %bb.52:                               ;   in Loop: Header=BB122_29 Depth=1
	v_cmp_gt_i32_e64 s0, s25, v39
	v_and_b32_e32 v70, 0xffff, v4
	v_and_b32_e32 v4, 0xffff0000, v4
	s_wait_alu 0xf1ff
	s_delay_alu instid0(VALU_DEP_3) | instskip(SKIP_2) | instid1(VALU_DEP_1)
	v_cndmask_b32_e64 v1, 0, v1, s0
	v_cmp_gt_i32_e64 s0, s25, v43
	s_wait_alu 0xf1ff
	v_cndmask_b32_e64 v69, 0, v69, s0
	v_cmp_gt_i32_e64 s0, s25, v42
	s_wait_alu 0xf1ff
	s_delay_alu instid0(VALU_DEP_1) | instskip(SKIP_2) | instid1(VALU_DEP_1)
	v_cndmask_b32_e64 v2, 0, v2, s0
	v_cmp_gt_i32_e64 s0, s25, v35
	s_wait_alu 0xf1ff
	v_cndmask_b32_e64 v68, 0, v68, s0
	v_cmp_gt_i32_e64 s0, s25, v38
	s_wait_alu 0xf1ff
	s_delay_alu instid0(VALU_DEP_1) | instskip(SKIP_2) | instid1(VALU_DEP_1)
	v_cndmask_b32_e64 v70, 0, v70, s0
	v_cmp_gt_i32_e64 s0, s25, v29
	s_wait_alu 0xf1ff
	v_cndmask_b32_e64 v4, 0, v4, s0
	v_cmp_gt_i32_e64 s0, s25, v32
	s_delay_alu instid0(VALU_DEP_2) | instskip(SKIP_1) | instid1(VALU_DEP_2)
	v_or_b32_e32 v4, v70, v4
	s_wait_alu 0xf1ff
	v_cndmask_b32_e64 v3, 0, v3, s0
	v_cmp_gt_i32_e64 s0, s25, v31
	s_wait_alu 0xf1ff
	s_delay_alu instid0(VALU_DEP_1)
	v_cndmask_b32_e64 v67, 0, v67, s0
.LBB122_53:                             ;   in Loop: Header=BB122_29 Depth=1
	s_wait_alu 0xfffe
	s_or_b32 exec_lo, exec_lo, s4
	v_lshlrev_b32_e32 v69, 16, v69
	v_lshlrev_b32_e32 v68, 16, v68
	;; [unrolled: 1-line block ×3, first 2 shown]
	s_delay_alu instid0(VALU_DEP_3) | instskip(NEXT) | instid1(VALU_DEP_3)
	v_and_or_b32 v1, 0xffff, v1, v69
	v_and_or_b32 v2, 0xffff, v2, v68
	s_delay_alu instid0(VALU_DEP_3)
	v_and_or_b32 v3, 0xffff, v3, v67
	;;#ASMSTART
	v_pk_mul_f16 v1, v34, v1;

	;;#ASMEND
	;;#ASMSTART
	v_pk_mul_f16 v2, v33, v2;

	;;#ASMEND
	;; [unrolled: 4-line block ×4, first 2 shown]
	;;#ASMSTART
	v_pk_add_f16 v1, v1, v2;

	;;#ASMEND
	;;#ASMSTART
	v_pk_add_f16 v1, v1, v3;

	;;#ASMEND
	;; [unrolled: 4-line block ×3, first 2 shown]
	v_and_b32_e32 v2, 0xffff, v1
	v_lshrrev_b32_e32 v1, 16, v1
	;;#ASMSTART
	v_cvt_f32_f16 v67, v2;
	;;#ASMEND
	;;#ASMSTART
	v_cvt_f32_f16 v68, v1;
	;;#ASMEND
	global_load_b128 v[1:4], v[7:8], off offset:6144
	s_wait_loadcnt 0x0
	v_lshrrev_b32_e32 v71, 16, v1
	v_lshrrev_b32_e32 v70, 16, v2
	v_lshrrev_b32_e32 v69, 16, v3
	s_and_saveexec_b32 s4, vcc_lo
	s_cbranch_execz .LBB122_55
; %bb.54:                               ;   in Loop: Header=BB122_29 Depth=1
	v_cmp_gt_i32_e64 s0, s25, v39
	v_and_b32_e32 v72, 0xffff, v4
	v_and_b32_e32 v4, 0xffff0000, v4
	s_wait_alu 0xf1ff
	s_delay_alu instid0(VALU_DEP_3) | instskip(SKIP_2) | instid1(VALU_DEP_1)
	v_cndmask_b32_e64 v1, 0, v1, s0
	v_cmp_gt_i32_e64 s0, s25, v43
	s_wait_alu 0xf1ff
	v_cndmask_b32_e64 v71, 0, v71, s0
	v_cmp_gt_i32_e64 s0, s25, v42
	s_wait_alu 0xf1ff
	s_delay_alu instid0(VALU_DEP_1) | instskip(SKIP_2) | instid1(VALU_DEP_1)
	v_cndmask_b32_e64 v2, 0, v2, s0
	v_cmp_gt_i32_e64 s0, s25, v35
	s_wait_alu 0xf1ff
	v_cndmask_b32_e64 v70, 0, v70, s0
	v_cmp_gt_i32_e64 s0, s25, v38
	s_wait_alu 0xf1ff
	s_delay_alu instid0(VALU_DEP_1) | instskip(SKIP_2) | instid1(VALU_DEP_1)
	v_cndmask_b32_e64 v72, 0, v72, s0
	v_cmp_gt_i32_e64 s0, s25, v29
	s_wait_alu 0xf1ff
	v_cndmask_b32_e64 v4, 0, v4, s0
	v_cmp_gt_i32_e64 s0, s25, v32
	s_delay_alu instid0(VALU_DEP_2) | instskip(SKIP_1) | instid1(VALU_DEP_2)
	v_or_b32_e32 v4, v72, v4
	s_wait_alu 0xf1ff
	v_cndmask_b32_e64 v3, 0, v3, s0
	v_cmp_gt_i32_e64 s0, s25, v31
	s_wait_alu 0xf1ff
	s_delay_alu instid0(VALU_DEP_1)
	v_cndmask_b32_e64 v69, 0, v69, s0
.LBB122_55:                             ;   in Loop: Header=BB122_29 Depth=1
	s_wait_alu 0xfffe
	s_or_b32 exec_lo, exec_lo, s4
	v_lshlrev_b32_e32 v71, 16, v71
	v_lshlrev_b32_e32 v70, 16, v70
	;; [unrolled: 1-line block ×3, first 2 shown]
	s_delay_alu instid0(VALU_DEP_3) | instskip(NEXT) | instid1(VALU_DEP_3)
	v_and_or_b32 v1, 0xffff, v1, v71
	v_and_or_b32 v2, 0xffff, v2, v70
	s_delay_alu instid0(VALU_DEP_3)
	v_and_or_b32 v3, 0xffff, v3, v69
	;;#ASMSTART
	v_pk_mul_f16 v1, v34, v1;

	;;#ASMEND
	;;#ASMSTART
	v_pk_mul_f16 v2, v33, v2;

	;;#ASMEND
	;; [unrolled: 4-line block ×4, first 2 shown]
	;;#ASMSTART
	v_pk_add_f16 v1, v1, v2;

	;;#ASMEND
	;;#ASMSTART
	v_pk_add_f16 v1, v1, v3;

	;;#ASMEND
	;;#ASMSTART
	v_pk_add_f16 v1, v1, v4;

	;;#ASMEND
	v_and_b32_e32 v2, 0xffff, v1
	v_lshrrev_b32_e32 v1, 16, v1
	;;#ASMSTART
	v_cvt_f32_f16 v69, v2;
	;;#ASMEND
	;;#ASMSTART
	v_cvt_f32_f16 v70, v1;
	;;#ASMEND
	global_load_b128 v[1:4], v[7:8], off offset:6656
	s_wait_loadcnt 0x0
	v_lshrrev_b32_e32 v73, 16, v1
	v_lshrrev_b32_e32 v72, 16, v2
	;; [unrolled: 1-line block ×3, first 2 shown]
	s_and_saveexec_b32 s4, vcc_lo
	s_cbranch_execz .LBB122_57
; %bb.56:                               ;   in Loop: Header=BB122_29 Depth=1
	v_cmp_gt_i32_e64 s0, s25, v39
	v_and_b32_e32 v74, 0xffff, v4
	v_and_b32_e32 v4, 0xffff0000, v4
	s_wait_alu 0xf1ff
	s_delay_alu instid0(VALU_DEP_3) | instskip(SKIP_2) | instid1(VALU_DEP_1)
	v_cndmask_b32_e64 v1, 0, v1, s0
	v_cmp_gt_i32_e64 s0, s25, v43
	s_wait_alu 0xf1ff
	v_cndmask_b32_e64 v73, 0, v73, s0
	v_cmp_gt_i32_e64 s0, s25, v42
	s_wait_alu 0xf1ff
	s_delay_alu instid0(VALU_DEP_1) | instskip(SKIP_2) | instid1(VALU_DEP_1)
	v_cndmask_b32_e64 v2, 0, v2, s0
	v_cmp_gt_i32_e64 s0, s25, v35
	s_wait_alu 0xf1ff
	v_cndmask_b32_e64 v72, 0, v72, s0
	v_cmp_gt_i32_e64 s0, s25, v38
	s_wait_alu 0xf1ff
	s_delay_alu instid0(VALU_DEP_1) | instskip(SKIP_2) | instid1(VALU_DEP_1)
	v_cndmask_b32_e64 v74, 0, v74, s0
	v_cmp_gt_i32_e64 s0, s25, v29
	s_wait_alu 0xf1ff
	v_cndmask_b32_e64 v4, 0, v4, s0
	v_cmp_gt_i32_e64 s0, s25, v32
	s_delay_alu instid0(VALU_DEP_2) | instskip(SKIP_1) | instid1(VALU_DEP_2)
	v_or_b32_e32 v4, v74, v4
	s_wait_alu 0xf1ff
	v_cndmask_b32_e64 v3, 0, v3, s0
	v_cmp_gt_i32_e64 s0, s25, v31
	s_wait_alu 0xf1ff
	s_delay_alu instid0(VALU_DEP_1)
	v_cndmask_b32_e64 v71, 0, v71, s0
.LBB122_57:                             ;   in Loop: Header=BB122_29 Depth=1
	s_wait_alu 0xfffe
	s_or_b32 exec_lo, exec_lo, s4
	v_lshlrev_b32_e32 v73, 16, v73
	v_lshlrev_b32_e32 v72, 16, v72
	;; [unrolled: 1-line block ×3, first 2 shown]
	s_delay_alu instid0(VALU_DEP_3) | instskip(NEXT) | instid1(VALU_DEP_3)
	v_and_or_b32 v1, 0xffff, v1, v73
	v_and_or_b32 v2, 0xffff, v2, v72
	s_delay_alu instid0(VALU_DEP_3)
	v_and_or_b32 v3, 0xffff, v3, v71
	;;#ASMSTART
	v_pk_mul_f16 v1, v34, v1;

	;;#ASMEND
	;;#ASMSTART
	v_pk_mul_f16 v2, v33, v2;

	;;#ASMEND
	;; [unrolled: 4-line block ×4, first 2 shown]
	;;#ASMSTART
	v_pk_add_f16 v1, v1, v2;

	;;#ASMEND
	;;#ASMSTART
	v_pk_add_f16 v1, v1, v3;

	;;#ASMEND
	;;#ASMSTART
	v_pk_add_f16 v1, v1, v4;

	;;#ASMEND
	v_and_b32_e32 v2, 0xffff, v1
	v_lshrrev_b32_e32 v1, 16, v1
	;;#ASMSTART
	v_cvt_f32_f16 v72, v2;
	;;#ASMEND
	;;#ASMSTART
	v_cvt_f32_f16 v73, v1;
	;;#ASMEND
	global_load_b128 v[1:4], v[7:8], off offset:7168
	s_wait_loadcnt 0x0
	v_lshrrev_b32_e32 v71, 16, v1
	v_lshrrev_b32_e32 v8, 16, v2
	v_lshrrev_b32_e32 v7, 16, v3
	s_and_saveexec_b32 s0, vcc_lo
	s_cbranch_execz .LBB122_28
; %bb.58:                               ;   in Loop: Header=BB122_29 Depth=1
	v_cmp_gt_i32_e32 vcc_lo, s25, v39
	v_and_b32_e32 v39, 0xffff, v4
	s_wait_alu 0xfffd
	v_dual_cndmask_b32 v1, 0, v1 :: v_dual_and_b32 v4, 0xffff0000, v4
	v_cmp_gt_i32_e32 vcc_lo, s25, v43
	s_wait_alu 0xfffd
	v_cndmask_b32_e32 v71, 0, v71, vcc_lo
	v_cmp_gt_i32_e32 vcc_lo, s25, v42
	s_wait_alu 0xfffd
	v_cndmask_b32_e32 v2, 0, v2, vcc_lo
	;; [unrolled: 3-line block ×6, first 2 shown]
	v_cmp_gt_i32_e32 vcc_lo, s25, v31
	v_or_b32_e32 v4, v35, v4
	s_wait_alu 0xfffd
	v_cndmask_b32_e32 v7, 0, v7, vcc_lo
	s_branch .LBB122_28
.LBB122_59:
	s_or_b32 exec_lo, exec_lo, s3
.LBB122_60:
	s_wait_alu 0xfffe
	s_or_b32 exec_lo, exec_lo, s1
	ds_bpermute_b32 v1, v10, v24
	ds_bpermute_b32 v3, v10, v25
	;; [unrolled: 1-line block ×15, first 2 shown]
	s_mov_b32 s0, exec_lo
	s_wait_storecnt 0x0
	s_wait_loadcnt_dscnt 0x0
	s_barrier_signal -1
	s_barrier_wait -1
	global_inv scope:SCOPE_SE
	v_add_f32_e32 v1, v24, v1
	v_add_f32_e32 v3, v25, v3
	;; [unrolled: 1-line block ×5, first 2 shown]
	v_dual_add_f32 v6, v21, v6 :: v_dual_add_f32 v7, v20, v7
	ds_bpermute_b32 v20, v9, v1
	ds_bpermute_b32 v22, v9, v3
	;; [unrolled: 1-line block ×3, first 2 shown]
	v_dual_add_f32 v18, v18, v27 :: v_dual_add_f32 v17, v17, v28
	v_dual_add_f32 v8, v19, v8 :: v_dual_add_f32 v27, v16, v29
	;; [unrolled: 1-line block ×3, first 2 shown]
	ds_bpermute_b32 v30, v9, v17
	v_add_f32_e32 v31, v14, v31
	v_add_f32_e32 v35, v12, v10
	ds_bpermute_b32 v21, v9, v2
	ds_bpermute_b32 v23, v9, v4
	;; [unrolled: 1-line block ×8, first 2 shown]
	s_wait_dscnt 0xb
	v_add_f32_e32 v16, v1, v20
	ds_bpermute_b32 v34, v9, v29
	s_wait_dscnt 0xb
	v_add_f32_e32 v14, v3, v22
	ds_bpermute_b32 v36, v9, v31
	;; [unrolled: 3-line block ×3, first 2 shown]
	s_wait_dscnt 0xb
	v_dual_add_f32 v5, v17, v30 :: v_dual_and_b32 v20, 0x3c3, v0
	v_and_b32_e32 v17, 28, v60
	s_wait_dscnt 0xa
	v_add_f32_e32 v15, v2, v21
	s_wait_dscnt 0x9
	v_add_f32_e32 v13, v4, v23
	s_wait_dscnt 0x7
	v_dual_add_f32 v10, v6, v19 :: v_dual_add_f32 v9, v7, v25
	s_wait_dscnt 0x5
	v_dual_add_f32 v8, v8, v26 :: v_dual_add_f32 v7, v18, v28
	s_wait_dscnt 0x4
	v_add_f32_e32 v3, v27, v33
	s_wait_dscnt 0x3
	v_add_f32_e32 v4, v32, v37
	v_lshrrev_b32_e32 v18, 2, v60
	s_wait_dscnt 0x2
	v_add_f32_e32 v2, v29, v34
	v_mul_u32_u24_e32 v19, 0x1e0, v59
	s_wait_dscnt 0x1
	v_add_f32_e32 v1, v31, v36
	s_wait_dscnt 0x0
	v_dual_add_f32 v6, v35, v38 :: v_dual_add_nc_u32 v17, 0x110, v17
	v_cmpx_eq_u32_e32 64, v20
	s_cbranch_execz .LBB122_62
; %bb.61:
	s_delay_alu instid0(VALU_DEP_2) | instskip(NEXT) | instid1(VALU_DEP_1)
	v_add_nc_u32_e32 v20, v17, v19
	v_add_nc_u32_e32 v21, 0xfffffc40, v20
	;; [unrolled: 1-line block ×9, first 2 shown]
	ds_store_b32 v21, v16
	ds_store_b32 v22, v15
	;; [unrolled: 1-line block ×8, first 2 shown]
	v_add_nc_u32_e32 v21, 0xfffffd40, v20
	v_add_nc_u32_e32 v22, 0xfffffd60, v20
	;; [unrolled: 1-line block ×7, first 2 shown]
	ds_store_b32 v21, v7
	ds_store_b32 v22, v5
	;; [unrolled: 1-line block ×7, first 2 shown]
.LBB122_62:
	s_wait_alu 0xfffe
	s_or_b32 exec_lo, exec_lo, s0
	v_lshlrev_b32_e32 v18, 2, v18
	v_cmp_eq_u32_e32 vcc_lo, 0, v11
	s_mov_b32 s1, exec_lo
	s_wait_loadcnt_dscnt 0x0
	s_barrier_signal -1
	v_add3_u32 v11, 0x110, v19, v18
	s_barrier_wait -1
	global_inv scope:SCOPE_SE
	v_cmpx_gt_u32_e32 64, v0
	s_cbranch_execz .LBB122_80
; %bb.63:
	s_and_saveexec_b32 s0, vcc_lo
	s_cbranch_execnz .LBB122_103
; %bb.64:
	s_wait_alu 0xfffe
	s_or_b32 exec_lo, exec_lo, s0
	s_and_saveexec_b32 s0, vcc_lo
	s_cbranch_execnz .LBB122_104
.LBB122_65:
	s_wait_alu 0xfffe
	s_or_b32 exec_lo, exec_lo, s0
	s_and_saveexec_b32 s0, vcc_lo
	s_cbranch_execnz .LBB122_105
.LBB122_66:
	s_wait_alu 0xfffe
	s_or_b32 exec_lo, exec_lo, s0
	s_and_saveexec_b32 s0, vcc_lo
	s_cbranch_execnz .LBB122_106
.LBB122_67:
	s_wait_alu 0xfffe
	s_or_b32 exec_lo, exec_lo, s0
	s_and_saveexec_b32 s0, vcc_lo
	s_cbranch_execnz .LBB122_107
.LBB122_68:
	s_wait_alu 0xfffe
	s_or_b32 exec_lo, exec_lo, s0
	s_and_saveexec_b32 s0, vcc_lo
	s_cbranch_execnz .LBB122_108
.LBB122_69:
	s_wait_alu 0xfffe
	s_or_b32 exec_lo, exec_lo, s0
	s_and_saveexec_b32 s0, vcc_lo
	s_cbranch_execnz .LBB122_109
.LBB122_70:
	s_wait_alu 0xfffe
	s_or_b32 exec_lo, exec_lo, s0
	s_and_saveexec_b32 s0, vcc_lo
	s_cbranch_execnz .LBB122_110
.LBB122_71:
	s_wait_alu 0xfffe
	s_or_b32 exec_lo, exec_lo, s0
	s_and_saveexec_b32 s0, vcc_lo
	s_cbranch_execnz .LBB122_111
.LBB122_72:
	s_wait_alu 0xfffe
	s_or_b32 exec_lo, exec_lo, s0
	s_and_saveexec_b32 s0, vcc_lo
	s_cbranch_execnz .LBB122_112
.LBB122_73:
	s_wait_alu 0xfffe
	s_or_b32 exec_lo, exec_lo, s0
	s_and_saveexec_b32 s0, vcc_lo
	s_cbranch_execnz .LBB122_113
.LBB122_74:
	s_wait_alu 0xfffe
	s_or_b32 exec_lo, exec_lo, s0
	s_and_saveexec_b32 s0, vcc_lo
	s_cbranch_execnz .LBB122_114
.LBB122_75:
	s_wait_alu 0xfffe
	s_or_b32 exec_lo, exec_lo, s0
	s_and_saveexec_b32 s0, vcc_lo
	s_cbranch_execnz .LBB122_115
.LBB122_76:
	s_wait_alu 0xfffe
	s_or_b32 exec_lo, exec_lo, s0
	s_and_saveexec_b32 s0, vcc_lo
	s_cbranch_execnz .LBB122_116
.LBB122_77:
	s_wait_alu 0xfffe
	s_or_b32 exec_lo, exec_lo, s0
	s_and_saveexec_b32 s0, vcc_lo
	s_cbranch_execz .LBB122_79
.LBB122_78:
	ds_load_b32 v18, v11 offset:448
	s_wait_dscnt 0x0
	v_add_f32_e32 v6, v6, v18
.LBB122_79:
	s_wait_alu 0xfffe
	s_or_b32 exec_lo, exec_lo, s0
.LBB122_80:
	s_wait_alu 0xfffe
	s_or_b32 exec_lo, exec_lo, s1
	v_and_b32_e32 v18, 0x3e3, v0
	s_mov_b32 s1, exec_lo
	s_wait_loadcnt 0x0
	s_barrier_signal -1
	s_barrier_wait -1
	global_inv scope:SCOPE_SE
	v_cmpx_eq_u32_e32 32, v18
	s_cbranch_execz .LBB122_82
; %bb.81:
	ds_store_2addr_b32 v17, v16, v15 offset1:8
	ds_store_2addr_b32 v17, v14, v13 offset0:16 offset1:24
	ds_store_2addr_b32 v17, v12, v10 offset0:32 offset1:40
	;; [unrolled: 1-line block ×6, first 2 shown]
	ds_store_b32 v17, v6 offset:448
.LBB122_82:
	s_wait_alu 0xfffe
	s_or_b32 exec_lo, exec_lo, s1
	s_delay_alu instid0(SALU_CYCLE_1)
	s_mov_b32 s1, exec_lo
	s_wait_loadcnt_dscnt 0x0
	s_barrier_signal -1
	s_barrier_wait -1
	global_inv scope:SCOPE_SE
	v_cmpx_gt_u32_e32 32, v0
	s_cbranch_execz .LBB122_100
; %bb.83:
	s_and_saveexec_b32 s0, vcc_lo
	s_cbranch_execnz .LBB122_117
; %bb.84:
	s_wait_alu 0xfffe
	s_or_b32 exec_lo, exec_lo, s0
	s_and_saveexec_b32 s0, vcc_lo
	s_cbranch_execnz .LBB122_118
.LBB122_85:
	s_wait_alu 0xfffe
	s_or_b32 exec_lo, exec_lo, s0
	s_and_saveexec_b32 s0, vcc_lo
	s_cbranch_execnz .LBB122_119
.LBB122_86:
	s_wait_alu 0xfffe
	s_or_b32 exec_lo, exec_lo, s0
	s_and_saveexec_b32 s0, vcc_lo
	s_cbranch_execnz .LBB122_120
.LBB122_87:
	s_wait_alu 0xfffe
	s_or_b32 exec_lo, exec_lo, s0
	s_and_saveexec_b32 s0, vcc_lo
	s_cbranch_execnz .LBB122_121
.LBB122_88:
	s_wait_alu 0xfffe
	s_or_b32 exec_lo, exec_lo, s0
	s_and_saveexec_b32 s0, vcc_lo
	s_cbranch_execnz .LBB122_122
.LBB122_89:
	s_wait_alu 0xfffe
	s_or_b32 exec_lo, exec_lo, s0
	s_and_saveexec_b32 s0, vcc_lo
	s_cbranch_execnz .LBB122_123
.LBB122_90:
	s_wait_alu 0xfffe
	s_or_b32 exec_lo, exec_lo, s0
	s_and_saveexec_b32 s0, vcc_lo
	s_cbranch_execnz .LBB122_124
.LBB122_91:
	s_wait_alu 0xfffe
	s_or_b32 exec_lo, exec_lo, s0
	s_and_saveexec_b32 s0, vcc_lo
	s_cbranch_execnz .LBB122_125
.LBB122_92:
	s_wait_alu 0xfffe
	s_or_b32 exec_lo, exec_lo, s0
	s_and_saveexec_b32 s0, vcc_lo
	s_cbranch_execnz .LBB122_126
.LBB122_93:
	s_wait_alu 0xfffe
	s_or_b32 exec_lo, exec_lo, s0
	s_and_saveexec_b32 s0, vcc_lo
	s_cbranch_execnz .LBB122_127
.LBB122_94:
	s_wait_alu 0xfffe
	s_or_b32 exec_lo, exec_lo, s0
	s_and_saveexec_b32 s0, vcc_lo
	s_cbranch_execnz .LBB122_128
.LBB122_95:
	s_wait_alu 0xfffe
	s_or_b32 exec_lo, exec_lo, s0
	s_and_saveexec_b32 s0, vcc_lo
	s_cbranch_execnz .LBB122_129
.LBB122_96:
	s_wait_alu 0xfffe
	s_or_b32 exec_lo, exec_lo, s0
	s_and_saveexec_b32 s0, vcc_lo
	s_cbranch_execnz .LBB122_130
.LBB122_97:
	s_wait_alu 0xfffe
	s_or_b32 exec_lo, exec_lo, s0
	s_and_saveexec_b32 s0, vcc_lo
	s_cbranch_execz .LBB122_99
.LBB122_98:
	ds_load_b32 v11, v11 offset:448
	s_wait_dscnt 0x0
	v_add_f32_e32 v6, v6, v11
.LBB122_99:
	s_wait_alu 0xfffe
	s_or_b32 exec_lo, exec_lo, s0
.LBB122_100:
	s_wait_alu 0xfffe
	s_or_b32 exec_lo, exec_lo, s1
	s_mov_b32 s1, 0
	s_wait_loadcnt 0x0
	s_barrier_signal -1
	s_barrier_wait -1
	global_inv scope:SCOPE_SE
	s_mov_b32 s0, exec_lo
	v_cmpx_eq_u32_e32 0, v18
	s_cbranch_execz .LBB122_102
; %bb.101:
	s_mul_i32 s2, s20, 0x78
	s_wait_kmcnt 0x0
	s_mul_i32 s4, s8, s12
	s_wait_alu 0xfffe
	s_ashr_i32 s3, s2, 31
	s_ashr_i32 s5, s4, 31
	s_wait_alu 0xfffe
	s_lshl_b64 s[2:3], s[2:3], 1
	s_lshl_b64 s[4:5], s[4:5], 1
	s_wait_alu 0xfffe
	s_add_nc_u64 s[2:3], s[18:19], s[2:3]
	v_lshrrev_b32_e32 v0, 1, v0
	s_mul_i32 s0, s24, 0xf0
	s_wait_alu 0xfffe
	s_add_nc_u64 s[2:3], s[2:3], s[4:5]
	;;#ASMSTART
	v_cvt_f16_f32 v11, v16;

	;;#ASMEND
	s_wait_alu 0xfffe
	s_add_nc_u64 s[0:1], s[2:3], s[0:1]
	global_store_b16 v0, v11, s[0:1]
	;;#ASMSTART
	v_cvt_f16_f32 v11, v15;

	;;#ASMEND
	global_store_b16 v0, v11, s[0:1] offset:16
	;;#ASMSTART
	v_cvt_f16_f32 v11, v14;

	;;#ASMEND
	global_store_b16 v0, v11, s[0:1] offset:32
	;; [unrolled: 5-line block ×14, first 2 shown]
.LBB122_102:
	s_endpgm
.LBB122_103:
	ds_load_b32 v18, v11
	s_wait_dscnt 0x0
	v_add_f32_e32 v16, v16, v18
	s_wait_alu 0xfffe
	s_or_b32 exec_lo, exec_lo, s0
	s_and_saveexec_b32 s0, vcc_lo
	s_cbranch_execz .LBB122_65
.LBB122_104:
	ds_load_b32 v18, v11 offset:32
	s_wait_dscnt 0x0
	v_add_f32_e32 v15, v15, v18
	s_wait_alu 0xfffe
	s_or_b32 exec_lo, exec_lo, s0
	s_and_saveexec_b32 s0, vcc_lo
	s_cbranch_execz .LBB122_66
.LBB122_105:
	ds_load_b32 v18, v11 offset:64
	s_wait_dscnt 0x0
	v_add_f32_e32 v14, v14, v18
	s_wait_alu 0xfffe
	s_or_b32 exec_lo, exec_lo, s0
	s_and_saveexec_b32 s0, vcc_lo
	s_cbranch_execz .LBB122_67
.LBB122_106:
	ds_load_b32 v18, v11 offset:96
	s_wait_dscnt 0x0
	v_add_f32_e32 v13, v13, v18
	s_wait_alu 0xfffe
	s_or_b32 exec_lo, exec_lo, s0
	s_and_saveexec_b32 s0, vcc_lo
	s_cbranch_execz .LBB122_68
.LBB122_107:
	ds_load_b32 v18, v11 offset:128
	s_wait_dscnt 0x0
	v_add_f32_e32 v12, v12, v18
	s_wait_alu 0xfffe
	s_or_b32 exec_lo, exec_lo, s0
	s_and_saveexec_b32 s0, vcc_lo
	s_cbranch_execz .LBB122_69
.LBB122_108:
	ds_load_b32 v18, v11 offset:160
	s_wait_dscnt 0x0
	v_add_f32_e32 v10, v10, v18
	s_wait_alu 0xfffe
	s_or_b32 exec_lo, exec_lo, s0
	s_and_saveexec_b32 s0, vcc_lo
	s_cbranch_execz .LBB122_70
.LBB122_109:
	ds_load_b32 v18, v11 offset:192
	s_wait_dscnt 0x0
	v_add_f32_e32 v9, v9, v18
	s_wait_alu 0xfffe
	s_or_b32 exec_lo, exec_lo, s0
	s_and_saveexec_b32 s0, vcc_lo
	s_cbranch_execz .LBB122_71
.LBB122_110:
	ds_load_b32 v18, v11 offset:224
	s_wait_dscnt 0x0
	v_add_f32_e32 v8, v8, v18
	s_wait_alu 0xfffe
	s_or_b32 exec_lo, exec_lo, s0
	s_and_saveexec_b32 s0, vcc_lo
	s_cbranch_execz .LBB122_72
.LBB122_111:
	ds_load_b32 v18, v11 offset:256
	s_wait_dscnt 0x0
	v_add_f32_e32 v7, v7, v18
	s_wait_alu 0xfffe
	s_or_b32 exec_lo, exec_lo, s0
	s_and_saveexec_b32 s0, vcc_lo
	s_cbranch_execz .LBB122_73
.LBB122_112:
	ds_load_b32 v18, v11 offset:288
	s_wait_dscnt 0x0
	v_add_f32_e32 v5, v5, v18
	s_wait_alu 0xfffe
	s_or_b32 exec_lo, exec_lo, s0
	s_and_saveexec_b32 s0, vcc_lo
	s_cbranch_execz .LBB122_74
.LBB122_113:
	ds_load_b32 v18, v11 offset:320
	s_wait_dscnt 0x0
	v_add_f32_e32 v3, v3, v18
	s_wait_alu 0xfffe
	s_or_b32 exec_lo, exec_lo, s0
	s_and_saveexec_b32 s0, vcc_lo
	s_cbranch_execz .LBB122_75
.LBB122_114:
	ds_load_b32 v18, v11 offset:352
	s_wait_dscnt 0x0
	v_add_f32_e32 v2, v2, v18
	s_wait_alu 0xfffe
	s_or_b32 exec_lo, exec_lo, s0
	s_and_saveexec_b32 s0, vcc_lo
	s_cbranch_execz .LBB122_76
.LBB122_115:
	ds_load_b32 v18, v11 offset:384
	s_wait_dscnt 0x0
	v_add_f32_e32 v1, v1, v18
	s_wait_alu 0xfffe
	s_or_b32 exec_lo, exec_lo, s0
	s_and_saveexec_b32 s0, vcc_lo
	s_cbranch_execz .LBB122_77
.LBB122_116:
	ds_load_b32 v18, v11 offset:416
	s_wait_dscnt 0x0
	v_add_f32_e32 v4, v4, v18
	s_wait_alu 0xfffe
	s_or_b32 exec_lo, exec_lo, s0
	s_and_saveexec_b32 s0, vcc_lo
	s_cbranch_execnz .LBB122_78
	s_branch .LBB122_79
.LBB122_117:
	ds_load_b32 v17, v11
	s_wait_dscnt 0x0
	v_add_f32_e32 v16, v16, v17
	s_wait_alu 0xfffe
	s_or_b32 exec_lo, exec_lo, s0
	s_and_saveexec_b32 s0, vcc_lo
	s_cbranch_execz .LBB122_85
.LBB122_118:
	ds_load_b32 v17, v11 offset:32
	s_wait_dscnt 0x0
	v_add_f32_e32 v15, v15, v17
	s_wait_alu 0xfffe
	s_or_b32 exec_lo, exec_lo, s0
	s_and_saveexec_b32 s0, vcc_lo
	s_cbranch_execz .LBB122_86
.LBB122_119:
	ds_load_b32 v17, v11 offset:64
	s_wait_dscnt 0x0
	v_add_f32_e32 v14, v14, v17
	s_wait_alu 0xfffe
	s_or_b32 exec_lo, exec_lo, s0
	s_and_saveexec_b32 s0, vcc_lo
	s_cbranch_execz .LBB122_87
.LBB122_120:
	ds_load_b32 v17, v11 offset:96
	s_wait_dscnt 0x0
	v_add_f32_e32 v13, v13, v17
	s_wait_alu 0xfffe
	s_or_b32 exec_lo, exec_lo, s0
	s_and_saveexec_b32 s0, vcc_lo
	s_cbranch_execz .LBB122_88
.LBB122_121:
	ds_load_b32 v17, v11 offset:128
	s_wait_dscnt 0x0
	v_add_f32_e32 v12, v12, v17
	s_wait_alu 0xfffe
	s_or_b32 exec_lo, exec_lo, s0
	s_and_saveexec_b32 s0, vcc_lo
	s_cbranch_execz .LBB122_89
.LBB122_122:
	ds_load_b32 v17, v11 offset:160
	s_wait_dscnt 0x0
	v_add_f32_e32 v10, v10, v17
	s_wait_alu 0xfffe
	s_or_b32 exec_lo, exec_lo, s0
	s_and_saveexec_b32 s0, vcc_lo
	s_cbranch_execz .LBB122_90
.LBB122_123:
	ds_load_b32 v17, v11 offset:192
	s_wait_dscnt 0x0
	v_add_f32_e32 v9, v9, v17
	s_wait_alu 0xfffe
	s_or_b32 exec_lo, exec_lo, s0
	s_and_saveexec_b32 s0, vcc_lo
	s_cbranch_execz .LBB122_91
.LBB122_124:
	ds_load_b32 v17, v11 offset:224
	s_wait_dscnt 0x0
	v_add_f32_e32 v8, v8, v17
	s_wait_alu 0xfffe
	s_or_b32 exec_lo, exec_lo, s0
	s_and_saveexec_b32 s0, vcc_lo
	s_cbranch_execz .LBB122_92
.LBB122_125:
	ds_load_b32 v17, v11 offset:256
	s_wait_dscnt 0x0
	v_add_f32_e32 v7, v7, v17
	s_wait_alu 0xfffe
	s_or_b32 exec_lo, exec_lo, s0
	s_and_saveexec_b32 s0, vcc_lo
	s_cbranch_execz .LBB122_93
.LBB122_126:
	ds_load_b32 v17, v11 offset:288
	s_wait_dscnt 0x0
	v_add_f32_e32 v5, v5, v17
	s_wait_alu 0xfffe
	s_or_b32 exec_lo, exec_lo, s0
	s_and_saveexec_b32 s0, vcc_lo
	s_cbranch_execz .LBB122_94
.LBB122_127:
	ds_load_b32 v17, v11 offset:320
	s_wait_dscnt 0x0
	v_add_f32_e32 v3, v3, v17
	s_wait_alu 0xfffe
	s_or_b32 exec_lo, exec_lo, s0
	s_and_saveexec_b32 s0, vcc_lo
	s_cbranch_execz .LBB122_95
.LBB122_128:
	ds_load_b32 v17, v11 offset:352
	s_wait_dscnt 0x0
	v_add_f32_e32 v2, v2, v17
	s_wait_alu 0xfffe
	s_or_b32 exec_lo, exec_lo, s0
	s_and_saveexec_b32 s0, vcc_lo
	s_cbranch_execz .LBB122_96
.LBB122_129:
	ds_load_b32 v17, v11 offset:384
	s_wait_dscnt 0x0
	v_add_f32_e32 v1, v1, v17
	s_wait_alu 0xfffe
	s_or_b32 exec_lo, exec_lo, s0
	s_and_saveexec_b32 s0, vcc_lo
	s_cbranch_execz .LBB122_97
.LBB122_130:
	ds_load_b32 v17, v11 offset:416
	s_wait_dscnt 0x0
	v_add_f32_e32 v4, v4, v17
	s_wait_alu 0xfffe
	s_or_b32 exec_lo, exec_lo, s0
	s_and_saveexec_b32 s0, vcc_lo
	s_cbranch_execnz .LBB122_98
	s_branch .LBB122_99
	.section	.rodata,"a",@progbits
	.p2align	6, 0x0
	.amdhsa_kernel _ZN4vllm25paged_attention_v2_kernelIttLi120ELi32ELi128ELNS_18Fp8KVCacheDataTypeE0ELb0ELi512EEEvPfS2_PT_PKS3_PKT0_S9_ifPKiSB_iPKfiiiSD_SD_iiiii
		.amdhsa_group_segment_fixed_size 272
		.amdhsa_private_segment_fixed_size 0
		.amdhsa_kernarg_size 400
		.amdhsa_user_sgpr_count 2
		.amdhsa_user_sgpr_dispatch_ptr 0
		.amdhsa_user_sgpr_queue_ptr 0
		.amdhsa_user_sgpr_kernarg_segment_ptr 1
		.amdhsa_user_sgpr_dispatch_id 0
		.amdhsa_user_sgpr_private_segment_size 0
		.amdhsa_wavefront_size32 1
		.amdhsa_uses_dynamic_stack 0
		.amdhsa_enable_private_segment 0
		.amdhsa_system_sgpr_workgroup_id_x 1
		.amdhsa_system_sgpr_workgroup_id_y 1
		.amdhsa_system_sgpr_workgroup_id_z 1
		.amdhsa_system_sgpr_workgroup_info 0
		.amdhsa_system_vgpr_workitem_id 0
		.amdhsa_next_free_vgpr 95
		.amdhsa_next_free_sgpr 32
		.amdhsa_reserve_vcc 1
		.amdhsa_float_round_mode_32 0
		.amdhsa_float_round_mode_16_64 0
		.amdhsa_float_denorm_mode_32 3
		.amdhsa_float_denorm_mode_16_64 3
		.amdhsa_fp16_overflow 0
		.amdhsa_workgroup_processor_mode 1
		.amdhsa_memory_ordered 1
		.amdhsa_forward_progress 1
		.amdhsa_inst_pref_size 99
		.amdhsa_round_robin_scheduling 0
		.amdhsa_exception_fp_ieee_invalid_op 0
		.amdhsa_exception_fp_denorm_src 0
		.amdhsa_exception_fp_ieee_div_zero 0
		.amdhsa_exception_fp_ieee_overflow 0
		.amdhsa_exception_fp_ieee_underflow 0
		.amdhsa_exception_fp_ieee_inexact 0
		.amdhsa_exception_int_div_zero 0
	.end_amdhsa_kernel
	.section	.text._ZN4vllm25paged_attention_v2_kernelIttLi120ELi32ELi128ELNS_18Fp8KVCacheDataTypeE0ELb0ELi512EEEvPfS2_PT_PKS3_PKT0_S9_ifPKiSB_iPKfiiiSD_SD_iiiii,"axG",@progbits,_ZN4vllm25paged_attention_v2_kernelIttLi120ELi32ELi128ELNS_18Fp8KVCacheDataTypeE0ELb0ELi512EEEvPfS2_PT_PKS3_PKT0_S9_ifPKiSB_iPKfiiiSD_SD_iiiii,comdat
.Lfunc_end122:
	.size	_ZN4vllm25paged_attention_v2_kernelIttLi120ELi32ELi128ELNS_18Fp8KVCacheDataTypeE0ELb0ELi512EEEvPfS2_PT_PKS3_PKT0_S9_ifPKiSB_iPKfiiiSD_SD_iiiii, .Lfunc_end122-_ZN4vllm25paged_attention_v2_kernelIttLi120ELi32ELi128ELNS_18Fp8KVCacheDataTypeE0ELb0ELi512EEEvPfS2_PT_PKS3_PKT0_S9_ifPKiSB_iPKfiiiSD_SD_iiiii
                                        ; -- End function
	.set _ZN4vllm25paged_attention_v2_kernelIttLi120ELi32ELi128ELNS_18Fp8KVCacheDataTypeE0ELb0ELi512EEEvPfS2_PT_PKS3_PKT0_S9_ifPKiSB_iPKfiiiSD_SD_iiiii.num_vgpr, 95
	.set _ZN4vllm25paged_attention_v2_kernelIttLi120ELi32ELi128ELNS_18Fp8KVCacheDataTypeE0ELb0ELi512EEEvPfS2_PT_PKS3_PKT0_S9_ifPKiSB_iPKfiiiSD_SD_iiiii.num_agpr, 0
	.set _ZN4vllm25paged_attention_v2_kernelIttLi120ELi32ELi128ELNS_18Fp8KVCacheDataTypeE0ELb0ELi512EEEvPfS2_PT_PKS3_PKT0_S9_ifPKiSB_iPKfiiiSD_SD_iiiii.numbered_sgpr, 32
	.set _ZN4vllm25paged_attention_v2_kernelIttLi120ELi32ELi128ELNS_18Fp8KVCacheDataTypeE0ELb0ELi512EEEvPfS2_PT_PKS3_PKT0_S9_ifPKiSB_iPKfiiiSD_SD_iiiii.num_named_barrier, 0
	.set _ZN4vllm25paged_attention_v2_kernelIttLi120ELi32ELi128ELNS_18Fp8KVCacheDataTypeE0ELb0ELi512EEEvPfS2_PT_PKS3_PKT0_S9_ifPKiSB_iPKfiiiSD_SD_iiiii.private_seg_size, 0
	.set _ZN4vllm25paged_attention_v2_kernelIttLi120ELi32ELi128ELNS_18Fp8KVCacheDataTypeE0ELb0ELi512EEEvPfS2_PT_PKS3_PKT0_S9_ifPKiSB_iPKfiiiSD_SD_iiiii.uses_vcc, 1
	.set _ZN4vllm25paged_attention_v2_kernelIttLi120ELi32ELi128ELNS_18Fp8KVCacheDataTypeE0ELb0ELi512EEEvPfS2_PT_PKS3_PKT0_S9_ifPKiSB_iPKfiiiSD_SD_iiiii.uses_flat_scratch, 0
	.set _ZN4vllm25paged_attention_v2_kernelIttLi120ELi32ELi128ELNS_18Fp8KVCacheDataTypeE0ELb0ELi512EEEvPfS2_PT_PKS3_PKT0_S9_ifPKiSB_iPKfiiiSD_SD_iiiii.has_dyn_sized_stack, 0
	.set _ZN4vllm25paged_attention_v2_kernelIttLi120ELi32ELi128ELNS_18Fp8KVCacheDataTypeE0ELb0ELi512EEEvPfS2_PT_PKS3_PKT0_S9_ifPKiSB_iPKfiiiSD_SD_iiiii.has_recursion, 0
	.set _ZN4vllm25paged_attention_v2_kernelIttLi120ELi32ELi128ELNS_18Fp8KVCacheDataTypeE0ELb0ELi512EEEvPfS2_PT_PKS3_PKT0_S9_ifPKiSB_iPKfiiiSD_SD_iiiii.has_indirect_call, 0
	.section	.AMDGPU.csdata,"",@progbits
; Kernel info:
; codeLenInByte = 12596
; TotalNumSgprs: 34
; NumVgprs: 95
; ScratchSize: 0
; MemoryBound: 0
; FloatMode: 240
; IeeeMode: 1
; LDSByteSize: 272 bytes/workgroup (compile time only)
; SGPRBlocks: 0
; VGPRBlocks: 11
; NumSGPRsForWavesPerEU: 34
; NumVGPRsForWavesPerEU: 95
; Occupancy: 16
; WaveLimiterHint : 1
; COMPUTE_PGM_RSRC2:SCRATCH_EN: 0
; COMPUTE_PGM_RSRC2:USER_SGPR: 2
; COMPUTE_PGM_RSRC2:TRAP_HANDLER: 0
; COMPUTE_PGM_RSRC2:TGID_X_EN: 1
; COMPUTE_PGM_RSRC2:TGID_Y_EN: 1
; COMPUTE_PGM_RSRC2:TGID_Z_EN: 1
; COMPUTE_PGM_RSRC2:TIDIG_COMP_CNT: 0
	.section	.text._ZN4vllm25paged_attention_v2_kernelIttLi128ELi32ELi128ELNS_18Fp8KVCacheDataTypeE0ELb0ELi512EEEvPfS2_PT_PKS3_PKT0_S9_ifPKiSB_iPKfiiiSD_SD_iiiii,"axG",@progbits,_ZN4vllm25paged_attention_v2_kernelIttLi128ELi32ELi128ELNS_18Fp8KVCacheDataTypeE0ELb0ELi512EEEvPfS2_PT_PKS3_PKT0_S9_ifPKiSB_iPKfiiiSD_SD_iiiii,comdat
	.protected	_ZN4vllm25paged_attention_v2_kernelIttLi128ELi32ELi128ELNS_18Fp8KVCacheDataTypeE0ELb0ELi512EEEvPfS2_PT_PKS3_PKT0_S9_ifPKiSB_iPKfiiiSD_SD_iiiii ; -- Begin function _ZN4vllm25paged_attention_v2_kernelIttLi128ELi32ELi128ELNS_18Fp8KVCacheDataTypeE0ELb0ELi512EEEvPfS2_PT_PKS3_PKT0_S9_ifPKiSB_iPKfiiiSD_SD_iiiii
	.globl	_ZN4vllm25paged_attention_v2_kernelIttLi128ELi32ELi128ELNS_18Fp8KVCacheDataTypeE0ELb0ELi512EEEvPfS2_PT_PKS3_PKT0_S9_ifPKiSB_iPKfiiiSD_SD_iiiii
	.p2align	8
	.type	_ZN4vllm25paged_attention_v2_kernelIttLi128ELi32ELi128ELNS_18Fp8KVCacheDataTypeE0ELb0ELi512EEEvPfS2_PT_PKS3_PKT0_S9_ifPKiSB_iPKfiiiSD_SD_iiiii,@function
_ZN4vllm25paged_attention_v2_kernelIttLi128ELi32ELi128ELNS_18Fp8KVCacheDataTypeE0ELb0ELi512EEEvPfS2_PT_PKS3_PKT0_S9_ifPKiSB_iPKfiiiSD_SD_iiiii: ; @_ZN4vllm25paged_attention_v2_kernelIttLi128ELi32ELi128ELNS_18Fp8KVCacheDataTypeE0ELb0ELi512EEEvPfS2_PT_PKS3_PKT0_S9_ifPKiSB_iPKfiiiSD_SD_iiiii
; %bb.0:
	s_load_b64 s[2:3], s[0:1], 0x40
	s_and_b32 s20, ttmp7, 0xffff
	s_lshr_b32 s24, ttmp7, 16
	s_lshl_b32 s4, s20, 2
	s_lshl_b32 s26, s24, 9
	s_wait_kmcnt 0x0
	s_load_b32 s25, s[2:3], s4 offset:0x0
	s_wait_kmcnt 0x0
	s_cmp_ge_i32 s26, s25
	s_cbranch_scc1 .LBB123_106
; %bb.1:
	s_clause 0x1
	s_load_b32 s21, s[0:1], 0x90
	s_load_b64 s[4:5], s[0:1], 0x30
	s_wait_kmcnt 0x0
	s_abs_i32 s7, s21
	s_abs_i32 s2, s4
	s_xor_b32 s4, s21, s4
	s_cvt_f32_u32 s3, s2
	s_sub_co_i32 s6, 0, s2
	s_ashr_i32 s4, s4, 31
	s_delay_alu instid0(SALU_CYCLE_1) | instskip(NEXT) | instid1(TRANS32_DEP_1)
	v_rcp_iflag_f32_e32 v1, s3
	v_readfirstlane_b32 s3, v1
	s_mul_f32 s3, s3, 0x4f7ffffe
	s_wait_alu 0xfffe
	s_delay_alu instid0(SALU_CYCLE_2) | instskip(SKIP_1) | instid1(SALU_CYCLE_2)
	s_cvt_u32_f32 s3, s3
	s_wait_alu 0xfffe
	s_mul_i32 s6, s6, s3
	s_delay_alu instid0(SALU_CYCLE_1) | instskip(NEXT) | instid1(SALU_CYCLE_1)
	s_mul_hi_u32 s6, s3, s6
	s_add_co_i32 s3, s3, s6
	s_wait_alu 0xfffe
	s_mul_hi_u32 s3, s7, s3
	s_wait_alu 0xfffe
	s_mul_i32 s6, s3, s2
	s_delay_alu instid0(SALU_CYCLE_1)
	s_sub_co_i32 s6, s7, s6
	s_add_co_i32 s7, s3, 1
	s_sub_co_i32 s8, s6, s2
	s_cmp_ge_u32 s6, s2
	s_cselect_b32 s3, s7, s3
	s_cselect_b32 s6, s8, s6
	s_wait_alu 0xfffe
	s_add_co_i32 s7, s3, 1
	s_cmp_ge_u32 s6, s2
	s_load_b64 s[8:9], s[0:1], 0x50
	s_cselect_b32 s2, s7, s3
	s_mov_b32 s3, 0
	s_wait_alu 0xfffe
	s_xor_b32 s2, s2, s4
	s_mov_b32 s7, s3
	s_wait_alu 0xfffe
	s_sub_co_i32 s12, s2, s4
	s_delay_alu instid0(SALU_CYCLE_1) | instskip(NEXT) | instid1(SALU_CYCLE_1)
	s_abs_i32 s11, s12
	s_cvt_f32_u32 s2, s11
	s_wait_alu 0xfffe
	s_delay_alu instid0(SALU_CYCLE_2) | instskip(NEXT) | instid1(TRANS32_DEP_1)
	v_rcp_iflag_f32_e32 v1, s2
	v_readfirstlane_b32 s2, v1
	s_mul_f32 s2, s2, 0x4f7ffffe
	s_wait_alu 0xfffe
	s_delay_alu instid0(SALU_CYCLE_2) | instskip(SKIP_2) | instid1(SALU_CYCLE_1)
	s_cvt_u32_f32 s4, s2
	s_sub_co_i32 s2, 0, s11
	s_wait_alu 0xfffe
	s_mul_i32 s2, s2, s4
	s_wait_alu 0xfffe
	s_mul_hi_u32 s6, s4, s2
	s_abs_i32 s2, ttmp9
	s_add_co_i32 s6, s4, s6
	s_wait_kmcnt 0x0
	s_cmp_eq_u64 s[8:9], 0
	s_mov_b32 s4, s3
	s_cbranch_scc1 .LBB123_3
; %bb.2:
	s_mov_b32 s14, ttmp9
	s_ashr_i32 s15, ttmp9, 31
	s_delay_alu instid0(SALU_CYCLE_1) | instskip(NEXT) | instid1(SALU_CYCLE_1)
	s_lshl_b64 s[14:15], s[14:15], 2
	s_add_nc_u64 s[8:9], s[8:9], s[14:15]
	s_load_b32 s4, s[8:9], 0x0
.LBB123_3:
	s_load_b96 s[8:10], s[0:1], 0x58
	v_lshlrev_b32_e32 v66, 4, v0
	s_mul_u64 s[6:7], s[2:3], s[6:7]
	s_ashr_i32 s3, ttmp9, 31
	s_ashr_i32 s6, s12, 31
	s_lshl_b32 s12, ttmp9, 7
	s_mov_b32 s14, exec_lo
	v_cmpx_gt_u32_e32 16, v0
	s_cbranch_execz .LBB123_5
; %bb.4:
	s_load_b64 s[16:17], s[0:1], 0x18
	s_wait_kmcnt 0x0
	s_mul_i32 s18, s8, s20
	s_ashr_i32 s13, s12, 31
	s_ashr_i32 s19, s18, 31
	s_delay_alu instid0(SALU_CYCLE_1) | instskip(NEXT) | instid1(SALU_CYCLE_1)
	s_lshl_b64 s[18:19], s[18:19], 1
	s_add_nc_u64 s[16:17], s[16:17], s[18:19]
	s_lshl_b64 s[18:19], s[12:13], 1
	s_delay_alu instid0(SALU_CYCLE_1)
	s_add_nc_u64 s[16:17], s[16:17], s[18:19]
	global_load_b128 v[1:4], v66, s[16:17]
	s_wait_loadcnt 0x0
	ds_store_b128 v66, v[1:4]
.LBB123_5:
	s_or_b32 exec_lo, exec_lo, s14
	s_wait_kmcnt 0x0
	s_add_co_i32 s8, s25, 31
	s_lshl_b32 s28, s24, 4
	s_ashr_i32 s13, s8, 31
	s_mul_i32 s17, s7, s11
	s_lshr_b32 s13, s13, 27
	s_sub_co_i32 s2, s2, s17
	s_add_co_i32 s8, s8, s13
	s_add_co_i32 s13, s28, 16
	s_ashr_i32 s27, s8, 5
	s_clause 0x2
	s_load_b64 s[14:15], s[0:1], 0x38
	s_load_b32 s8, s[0:1], 0x98
	s_load_b32 s16, s[0:1], 0x48
	s_min_i32 s13, s13, s27
	s_xor_b32 s3, s3, s6
	s_add_co_i32 s6, s7, 1
	s_sub_co_i32 s17, s2, s11
	s_cmp_ge_u32 s2, s11
	v_lshrrev_b32_e32 v63, 5, v0
	s_cselect_b32 s6, s6, s7
	s_cselect_b32 s2, s17, s2
	s_add_co_i32 s7, s6, 1
	s_wait_alu 0xfffe
	s_cmp_ge_u32 s2, s11
	v_dual_mov_b32 v69, 0xff7fffff :: v_dual_and_b32 v64, 31, v0
	v_add_nc_u32_e32 v65, s28, v63
	s_cselect_b32 s2, s7, s6
	s_wait_dscnt 0x0
	s_wait_alu 0xfffe
	s_xor_b32 s2, s2, s3
	v_lshlrev_b32_e32 v68, 2, v64
	s_wait_alu 0xfffe
	s_sub_co_i32 s3, s2, s3
	v_cmp_gt_i32_e64 s2, s13, v65
	v_lshlrev_b32_e32 v67, 2, v65
	s_wait_kmcnt 0x0
	s_mul_i32 s16, s16, s20
	s_wait_alu 0xfffe
	s_mul_i32 s10, s3, s10
	s_ashr_i32 s17, s16, 31
	s_barrier_signal -1
	s_barrier_wait -1
	global_inv scope:SCOPE_SE
	s_and_saveexec_b32 s6, s2
	s_cbranch_execz .LBB123_9
; %bb.6:
	s_load_b64 s[18:19], s[0:1], 0x20
	s_ashr_i32 s11, s10, 31
	v_dual_mov_b32 v70, 0 :: v_dual_lshlrev_b32 v1, 4, v64
	s_lshl_b64 s[22:23], s[10:11], 1
	s_cmp_neq_f32 s4, 0
	v_dual_mov_b32 v69, 0xff7fffff :: v_dual_lshlrev_b32 v2, 5, v63
	v_lshl_or_b32 v3, v63, 7, v68
	s_cselect_b32 vcc_lo, -1, 0
	s_lshl_b64 s[30:31], s[16:17], 2
	s_delay_alu instid0(VALU_DEP_2)
	v_add3_u32 v71, s26, v2, v64
	s_add_nc_u64 s[30:31], s[14:15], s[30:31]
	v_dual_mov_b32 v75, v65 :: v_dual_add_nc_u32 v72, 0x120, v3
	v_add_co_u32 v61, s3, s30, v67
	s_wait_alu 0xf1ff
	v_add_co_ci_u32_e64 v62, null, s31, 0, s3
	s_mov_b32 s11, s9
	s_wait_kmcnt 0x0
	s_add_nc_u64 s[18:19], s[18:19], s[22:23]
	s_mov_b32 s7, 0
	v_add_co_u32 v73, s3, s18, v1
	s_wait_alu 0xf1ff
	v_add_co_ci_u32_e64 v74, null, s19, 0, s3
	s_sub_co_i32 s18, 1, s25
.LBB123_7:                              ; =>This Inner Loop Header: Depth=1
	global_load_b32 v1, v[61:62], off
	s_wait_alu 0xfffe
	v_add_nc_u32_e32 v3, s18, v71
	v_add_nc_u32_e32 v75, 4, v75
	s_delay_alu instid0(VALU_DEP_2) | instskip(NEXT) | instid1(VALU_DEP_1)
	v_cvt_f32_i32_e32 v3, v3
	v_mul_f32_e32 v3, s4, v3
	s_delay_alu instid0(VALU_DEP_1) | instskip(SKIP_2) | instid1(VALU_DEP_1)
	v_cndmask_b32_e32 v76, 0, v3, vcc_lo
	s_wait_loadcnt 0x0
	v_mad_co_i64_i32 v[1:2], null, v1, s11, 0
	v_lshlrev_b64_e32 v[1:2], 1, v[1:2]
	s_delay_alu instid0(VALU_DEP_1) | instskip(SKIP_1) | instid1(VALU_DEP_2)
	v_add_co_u32 v1, s3, v73, v1
	s_wait_alu 0xf1ff
	v_add_co_ci_u32_e64 v2, null, v74, v2, s3
	v_cmp_gt_i32_e64 s3, s25, v71
	v_add_nc_u32_e32 v71, 0x80, v71
	s_clause 0xf
	global_load_b128 v[77:80], v[1:2], off
	global_load_b128 v[57:60], v[1:2], off offset:512
	global_load_b128 v[53:56], v[1:2], off offset:1024
	;; [unrolled: 1-line block ×15, first 2 shown]
	ds_load_b128 v[81:84], v70
	s_wait_dscnt 0x0
	v_lshrrev_b32_e32 v85, 16, v81
	v_and_b32_e32 v81, 0xffff, v81
	;;#ASMSTART
	v_cvt_f32_f16 v81, v81;
	;;#ASMEND
	;;#ASMSTART
	v_cvt_f32_f16 v85, v85;
	;;#ASMEND
	s_wait_loadcnt 0xf
	v_lshrrev_b32_e32 v87, 16, v77
	v_and_b32_e32 v77, 0xffff, v77
	;;#ASMSTART
	v_cvt_f32_f16 v86, v77;
	;;#ASMEND
	v_lshrrev_b32_e32 v77, 16, v82
	v_and_b32_e32 v82, 0xffff, v82
	;;#ASMSTART
	v_cvt_f32_f16 v87, v87;
	;;#ASMEND
	;;#ASMSTART
	v_cvt_f32_f16 v82, v82;
	;;#ASMEND
	;; [unrolled: 3-line block ×3, first 2 shown]
	v_lshrrev_b32_e32 v77, 16, v78
	v_and_b32_e32 v78, 0xffff, v78
	;;#ASMSTART
	v_cvt_f32_f16 v89, v78;
	;;#ASMEND
	;;#ASMSTART
	v_cvt_f32_f16 v90, v77;
	;;#ASMEND
	v_lshrrev_b32_e32 v77, 16, v83
	v_and_b32_e32 v78, 0xffff, v83
	;;#ASMSTART
	v_cvt_f32_f16 v83, v78;
	;;#ASMEND
	;;#ASMSTART
	v_cvt_f32_f16 v91, v77;
	;;#ASMEND
	;; [unrolled: 8-line block ×5, first 2 shown]
	ds_load_b128 v[77:80], v70 offset:16
	s_wait_loadcnt 0xe
	v_lshrrev_b32_e32 v98, 16, v57
	v_and_b32_e32 v57, 0xffff, v57
	s_wait_dscnt 0x0
	v_lshrrev_b32_e32 v97, 16, v77
	v_and_b32_e32 v77, 0xffff, v77
	;;#ASMSTART
	v_cvt_f32_f16 v77, v77;
	;;#ASMEND
	;;#ASMSTART
	v_cvt_f32_f16 v97, v97;
	;;#ASMEND
	;; [unrolled: 3-line block ×4, first 2 shown]
	v_mul_f32_e32 v57, v77, v57
	v_mul_f32_e32 v77, v97, v98
	s_delay_alu instid0(VALU_DEP_2) | instskip(NEXT) | instid1(VALU_DEP_2)
	v_fmac_f32_e32 v57, v81, v86
	v_fmac_f32_e32 v77, v85, v87
	v_lshrrev_b32_e32 v81, 16, v78
	v_and_b32_e32 v78, 0xffff, v78
	v_lshrrev_b32_e32 v85, 16, v58
	v_and_b32_e32 v58, 0xffff, v58
	;;#ASMSTART
	v_cvt_f32_f16 v78, v78;
	;;#ASMEND
	;;#ASMSTART
	v_cvt_f32_f16 v81, v81;
	;;#ASMEND
	;; [unrolled: 3-line block ×3, first 2 shown]
	s_delay_alu instid0(VALU_DEP_1) | instskip(SKIP_3) | instid1(VALU_DEP_3)
	v_mul_f32_e32 v58, v78, v58
	;;#ASMSTART
	v_cvt_f32_f16 v85, v85;
	;;#ASMEND
	v_mul_f32_e32 v78, v81, v85
	v_lshrrev_b32_e32 v81, 16, v79
	v_dual_fmac_f32 v58, v82, v89 :: v_dual_and_b32 v79, 0xffff, v79
	v_lshrrev_b32_e32 v82, 16, v59
	v_and_b32_e32 v59, 0xffff, v59
	;;#ASMSTART
	v_cvt_f32_f16 v79, v79;
	;;#ASMEND
	;;#ASMSTART
	v_cvt_f32_f16 v81, v81;
	;;#ASMEND
	;; [unrolled: 3-line block ×4, first 2 shown]
	v_mul_f32_e32 v59, v79, v59
	v_mul_f32_e32 v79, v81, v82
	v_lshrrev_b32_e32 v81, 16, v80
	v_and_b32_e32 v80, 0xffff, v80
	v_lshrrev_b32_e32 v82, 16, v60
	v_and_b32_e32 v60, 0xffff, v60
	;;#ASMSTART
	v_cvt_f32_f16 v80, v80;
	;;#ASMEND
	;;#ASMSTART
	v_cvt_f32_f16 v81, v81;
	;;#ASMEND
	;; [unrolled: 3-line block ×3, first 2 shown]
	s_delay_alu instid0(VALU_DEP_1) | instskip(SKIP_3) | instid1(VALU_DEP_3)
	v_mul_f32_e32 v60, v80, v60
	;;#ASMSTART
	v_cvt_f32_f16 v82, v82;
	;;#ASMEND
	v_dual_fmac_f32 v59, v83, v92 :: v_dual_mul_f32 v80, v81, v82
	v_fmac_f32_e32 v78, v88, v90
	v_fmac_f32_e32 v60, v84, v95
	ds_load_b128 v[81:84], v70 offset:32
	s_wait_loadcnt 0xd
	v_lshrrev_b32_e32 v86, 16, v53
	v_and_b32_e32 v53, 0xffff, v53
	v_fmac_f32_e32 v79, v91, v93
	s_wait_dscnt 0x0
	v_lshrrev_b32_e32 v85, 16, v81
	v_dual_fmac_f32 v80, v94, v96 :: v_dual_and_b32 v81, 0xffff, v81
	;;#ASMSTART
	v_cvt_f32_f16 v81, v81;
	;;#ASMEND
	;;#ASMSTART
	v_cvt_f32_f16 v85, v85;
	;;#ASMEND
	;; [unrolled: 3-line block ×3, first 2 shown]
	s_delay_alu instid0(VALU_DEP_1)
	v_fmac_f32_e32 v57, v81, v53
	v_and_b32_e32 v53, 0xffff, v82
	;;#ASMSTART
	v_cvt_f32_f16 v86, v86;
	;;#ASMEND
	v_lshrrev_b32_e32 v81, 16, v82
	;;#ASMSTART
	v_cvt_f32_f16 v53, v53;
	;;#ASMEND
	v_lshrrev_b32_e32 v82, 16, v54
	v_and_b32_e32 v54, 0xffff, v54
	;;#ASMSTART
	v_cvt_f32_f16 v81, v81;
	;;#ASMEND
	;;#ASMSTART
	v_cvt_f32_f16 v54, v54;
	;;#ASMEND
	s_delay_alu instid0(VALU_DEP_1)
	v_dual_fmac_f32 v58, v53, v54 :: v_dual_and_b32 v53, 0xffff, v83
	;;#ASMSTART
	v_cvt_f32_f16 v82, v82;
	;;#ASMEND
	v_fmac_f32_e32 v78, v81, v82
	v_lshrrev_b32_e32 v54, 16, v83
	;;#ASMSTART
	v_cvt_f32_f16 v53, v53;
	;;#ASMEND
	v_lshrrev_b32_e32 v81, 16, v55
	v_and_b32_e32 v55, 0xffff, v55
	;;#ASMSTART
	v_cvt_f32_f16 v54, v54;
	;;#ASMEND
	;;#ASMSTART
	v_cvt_f32_f16 v55, v55;
	;;#ASMEND
	s_delay_alu instid0(VALU_DEP_1)
	v_fmac_f32_e32 v59, v53, v55
	v_and_b32_e32 v53, 0xffff, v84
	;;#ASMSTART
	v_cvt_f32_f16 v81, v81;
	;;#ASMEND
	;;#ASMSTART
	v_cvt_f32_f16 v53, v53;
	;;#ASMEND
	v_fmac_f32_e32 v79, v54, v81
	v_lshrrev_b32_e32 v54, 16, v84
	v_and_b32_e32 v55, 0xffff, v56
	;;#ASMSTART
	v_cvt_f32_f16 v54, v54;
	;;#ASMEND
	v_lshrrev_b32_e32 v81, 16, v56
	;;#ASMSTART
	v_cvt_f32_f16 v55, v55;
	;;#ASMEND
	;;#ASMSTART
	v_cvt_f32_f16 v56, v81;
	;;#ASMEND
	v_dual_fmac_f32 v77, v85, v86 :: v_dual_fmac_f32 v80, v54, v56
	v_fmac_f32_e32 v60, v53, v55
	ds_load_b128 v[53:56], v70 offset:48
	s_wait_loadcnt 0xc
	v_lshrrev_b32_e32 v82, 16, v49
	v_and_b32_e32 v49, 0xffff, v49
	s_wait_dscnt 0x0
	v_lshrrev_b32_e32 v81, 16, v53
	v_and_b32_e32 v53, 0xffff, v53
	;;#ASMSTART
	v_cvt_f32_f16 v53, v53;
	;;#ASMEND
	;;#ASMSTART
	v_cvt_f32_f16 v81, v81;
	;;#ASMEND
	;;#ASMSTART
	v_cvt_f32_f16 v49, v49;
	;;#ASMEND
	s_delay_alu instid0(VALU_DEP_1)
	v_fmac_f32_e32 v57, v53, v49
	v_lshrrev_b32_e32 v53, 16, v54
	v_and_b32_e32 v49, 0xffff, v54
	v_lshrrev_b32_e32 v54, 16, v50
	v_and_b32_e32 v50, 0xffff, v50
	;;#ASMSTART
	v_cvt_f32_f16 v82, v82;
	;;#ASMEND
	;;#ASMSTART
	v_cvt_f32_f16 v49, v49;
	;;#ASMEND
	;; [unrolled: 3-line block ×5, first 2 shown]
	v_fmac_f32_e32 v58, v49, v50
	v_fmac_f32_e32 v78, v53, v54
	v_lshrrev_b32_e32 v50, 16, v55
	v_and_b32_e32 v49, 0xffff, v55
	v_lshrrev_b32_e32 v53, 16, v51
	v_and_b32_e32 v51, 0xffff, v51
	;;#ASMSTART
	v_cvt_f32_f16 v49, v49;
	;;#ASMEND
	;;#ASMSTART
	v_cvt_f32_f16 v50, v50;
	;;#ASMEND
	;; [unrolled: 3-line block ×4, first 2 shown]
	v_fmac_f32_e32 v59, v49, v51
	v_fmac_f32_e32 v79, v50, v53
	v_lshrrev_b32_e32 v50, 16, v56
	v_and_b32_e32 v49, 0xffff, v56
	v_and_b32_e32 v51, 0xffff, v52
	;;#ASMSTART
	v_cvt_f32_f16 v49, v49;
	;;#ASMEND
	;;#ASMSTART
	v_cvt_f32_f16 v50, v50;
	;;#ASMEND
	v_lshrrev_b32_e32 v53, 16, v52
	;;#ASMSTART
	v_cvt_f32_f16 v51, v51;
	;;#ASMEND
	;;#ASMSTART
	v_cvt_f32_f16 v52, v53;
	;;#ASMEND
	v_fmac_f32_e32 v60, v49, v51
	v_fmac_f32_e32 v80, v50, v52
	ds_load_b128 v[49:52], v70 offset:64
	s_wait_loadcnt 0xb
	v_lshrrev_b32_e32 v54, 16, v45
	v_and_b32_e32 v45, 0xffff, v45
	s_wait_dscnt 0x0
	v_lshrrev_b32_e32 v53, 16, v49
	v_and_b32_e32 v49, 0xffff, v49
	;;#ASMSTART
	v_cvt_f32_f16 v49, v49;
	;;#ASMEND
	;;#ASMSTART
	v_cvt_f32_f16 v53, v53;
	;;#ASMEND
	;; [unrolled: 3-line block ×3, first 2 shown]
	s_delay_alu instid0(VALU_DEP_1)
	v_fmac_f32_e32 v57, v49, v45
	v_lshrrev_b32_e32 v49, 16, v50
	v_and_b32_e32 v45, 0xffff, v50
	v_lshrrev_b32_e32 v50, 16, v46
	v_and_b32_e32 v46, 0xffff, v46
	;;#ASMSTART
	v_cvt_f32_f16 v54, v54;
	;;#ASMEND
	;;#ASMSTART
	v_cvt_f32_f16 v45, v45;
	;;#ASMEND
	;; [unrolled: 3-line block ×5, first 2 shown]
	v_fmac_f32_e32 v58, v45, v46
	v_fmac_f32_e32 v78, v49, v50
	v_lshrrev_b32_e32 v46, 16, v51
	v_and_b32_e32 v45, 0xffff, v51
	v_lshrrev_b32_e32 v49, 16, v47
	v_and_b32_e32 v47, 0xffff, v47
	;;#ASMSTART
	v_cvt_f32_f16 v45, v45;
	;;#ASMEND
	;;#ASMSTART
	v_cvt_f32_f16 v46, v46;
	;;#ASMEND
	;; [unrolled: 3-line block ×4, first 2 shown]
	v_fmac_f32_e32 v59, v45, v47
	v_fmac_f32_e32 v79, v46, v49
	v_lshrrev_b32_e32 v46, 16, v52
	v_and_b32_e32 v45, 0xffff, v52
	v_and_b32_e32 v47, 0xffff, v48
	;;#ASMSTART
	v_cvt_f32_f16 v45, v45;
	;;#ASMEND
	;;#ASMSTART
	v_cvt_f32_f16 v46, v46;
	;;#ASMEND
	v_lshrrev_b32_e32 v49, 16, v48
	;;#ASMSTART
	v_cvt_f32_f16 v47, v47;
	;;#ASMEND
	;;#ASMSTART
	v_cvt_f32_f16 v48, v49;
	;;#ASMEND
	v_dual_fmac_f32 v77, v81, v82 :: v_dual_fmac_f32 v80, v46, v48
	v_fmac_f32_e32 v60, v45, v47
	ds_load_b128 v[45:48], v70 offset:80
	s_wait_loadcnt 0xa
	v_lshrrev_b32_e32 v50, 16, v41
	v_and_b32_e32 v41, 0xffff, v41
	s_wait_dscnt 0x0
	v_lshrrev_b32_e32 v49, 16, v45
	v_and_b32_e32 v45, 0xffff, v45
	;;#ASMSTART
	v_cvt_f32_f16 v45, v45;
	;;#ASMEND
	;;#ASMSTART
	v_cvt_f32_f16 v49, v49;
	;;#ASMEND
	;; [unrolled: 3-line block ×3, first 2 shown]
	s_delay_alu instid0(VALU_DEP_1)
	v_fmac_f32_e32 v57, v45, v41
	v_lshrrev_b32_e32 v45, 16, v46
	v_and_b32_e32 v41, 0xffff, v46
	v_lshrrev_b32_e32 v46, 16, v42
	v_and_b32_e32 v42, 0xffff, v42
	;;#ASMSTART
	v_cvt_f32_f16 v50, v50;
	;;#ASMEND
	;;#ASMSTART
	v_cvt_f32_f16 v41, v41;
	;;#ASMEND
	;; [unrolled: 3-line block ×5, first 2 shown]
	v_fmac_f32_e32 v58, v41, v42
	v_fmac_f32_e32 v78, v45, v46
	v_lshrrev_b32_e32 v42, 16, v47
	v_and_b32_e32 v41, 0xffff, v47
	v_lshrrev_b32_e32 v45, 16, v43
	v_and_b32_e32 v43, 0xffff, v43
	;;#ASMSTART
	v_cvt_f32_f16 v41, v41;
	;;#ASMEND
	;;#ASMSTART
	v_cvt_f32_f16 v42, v42;
	;;#ASMEND
	;; [unrolled: 3-line block ×4, first 2 shown]
	v_fmac_f32_e32 v59, v41, v43
	v_fmac_f32_e32 v79, v42, v45
	v_lshrrev_b32_e32 v42, 16, v48
	v_and_b32_e32 v41, 0xffff, v48
	v_and_b32_e32 v43, 0xffff, v44
	;;#ASMSTART
	v_cvt_f32_f16 v41, v41;
	;;#ASMEND
	;;#ASMSTART
	v_cvt_f32_f16 v42, v42;
	;;#ASMEND
	v_lshrrev_b32_e32 v45, 16, v44
	;;#ASMSTART
	v_cvt_f32_f16 v43, v43;
	;;#ASMEND
	;;#ASMSTART
	v_cvt_f32_f16 v44, v45;
	;;#ASMEND
	v_fmac_f32_e32 v60, v41, v43
	v_fmac_f32_e32 v80, v42, v44
	ds_load_b128 v[41:44], v70 offset:96
	s_wait_loadcnt 0x9
	v_lshrrev_b32_e32 v46, 16, v37
	v_and_b32_e32 v37, 0xffff, v37
	s_wait_dscnt 0x0
	v_lshrrev_b32_e32 v45, 16, v41
	v_and_b32_e32 v41, 0xffff, v41
	;;#ASMSTART
	v_cvt_f32_f16 v41, v41;
	;;#ASMEND
	;;#ASMSTART
	v_cvt_f32_f16 v45, v45;
	;;#ASMEND
	;; [unrolled: 3-line block ×3, first 2 shown]
	s_delay_alu instid0(VALU_DEP_1)
	v_fmac_f32_e32 v57, v41, v37
	v_lshrrev_b32_e32 v41, 16, v42
	v_and_b32_e32 v37, 0xffff, v42
	v_lshrrev_b32_e32 v42, 16, v38
	v_and_b32_e32 v38, 0xffff, v38
	;;#ASMSTART
	v_cvt_f32_f16 v46, v46;
	;;#ASMEND
	;;#ASMSTART
	v_cvt_f32_f16 v37, v37;
	;;#ASMEND
	;; [unrolled: 3-line block ×5, first 2 shown]
	v_fmac_f32_e32 v58, v37, v38
	v_fmac_f32_e32 v78, v41, v42
	v_lshrrev_b32_e32 v38, 16, v43
	v_and_b32_e32 v37, 0xffff, v43
	v_lshrrev_b32_e32 v41, 16, v39
	v_and_b32_e32 v39, 0xffff, v39
	;;#ASMSTART
	v_cvt_f32_f16 v37, v37;
	;;#ASMEND
	;;#ASMSTART
	v_cvt_f32_f16 v38, v38;
	;;#ASMEND
	;; [unrolled: 3-line block ×4, first 2 shown]
	v_fmac_f32_e32 v59, v37, v39
	v_fmac_f32_e32 v79, v38, v41
	v_lshrrev_b32_e32 v38, 16, v44
	v_and_b32_e32 v37, 0xffff, v44
	v_and_b32_e32 v39, 0xffff, v40
	;;#ASMSTART
	v_cvt_f32_f16 v37, v37;
	;;#ASMEND
	;;#ASMSTART
	v_cvt_f32_f16 v38, v38;
	;;#ASMEND
	v_lshrrev_b32_e32 v41, 16, v40
	;;#ASMSTART
	v_cvt_f32_f16 v39, v39;
	;;#ASMEND
	;;#ASMSTART
	v_cvt_f32_f16 v40, v41;
	;;#ASMEND
	v_dual_fmac_f32 v77, v53, v54 :: v_dual_fmac_f32 v80, v38, v40
	v_fmac_f32_e32 v60, v37, v39
	ds_load_b128 v[37:40], v70 offset:112
	s_wait_loadcnt 0x8
	v_lshrrev_b32_e32 v42, 16, v33
	v_and_b32_e32 v33, 0xffff, v33
	s_wait_dscnt 0x0
	v_lshrrev_b32_e32 v41, 16, v37
	v_and_b32_e32 v37, 0xffff, v37
	;;#ASMSTART
	v_cvt_f32_f16 v37, v37;
	;;#ASMEND
	;;#ASMSTART
	v_cvt_f32_f16 v41, v41;
	;;#ASMEND
	;; [unrolled: 3-line block ×3, first 2 shown]
	s_delay_alu instid0(VALU_DEP_1)
	v_fmac_f32_e32 v57, v37, v33
	v_lshrrev_b32_e32 v37, 16, v38
	v_and_b32_e32 v33, 0xffff, v38
	v_lshrrev_b32_e32 v38, 16, v34
	v_and_b32_e32 v34, 0xffff, v34
	;;#ASMSTART
	v_cvt_f32_f16 v42, v42;
	;;#ASMEND
	;;#ASMSTART
	v_cvt_f32_f16 v33, v33;
	;;#ASMEND
	;; [unrolled: 3-line block ×5, first 2 shown]
	v_fmac_f32_e32 v58, v33, v34
	v_fmac_f32_e32 v78, v37, v38
	v_lshrrev_b32_e32 v34, 16, v39
	v_and_b32_e32 v33, 0xffff, v39
	v_lshrrev_b32_e32 v37, 16, v35
	v_and_b32_e32 v35, 0xffff, v35
	;;#ASMSTART
	v_cvt_f32_f16 v33, v33;
	;;#ASMEND
	;;#ASMSTART
	v_cvt_f32_f16 v34, v34;
	;;#ASMEND
	;; [unrolled: 3-line block ×4, first 2 shown]
	v_fmac_f32_e32 v59, v33, v35
	v_fmac_f32_e32 v79, v34, v37
	v_lshrrev_b32_e32 v34, 16, v40
	v_and_b32_e32 v33, 0xffff, v40
	v_and_b32_e32 v35, 0xffff, v36
	;;#ASMSTART
	v_cvt_f32_f16 v33, v33;
	;;#ASMEND
	;;#ASMSTART
	v_cvt_f32_f16 v34, v34;
	;;#ASMEND
	v_lshrrev_b32_e32 v37, 16, v36
	;;#ASMSTART
	v_cvt_f32_f16 v35, v35;
	;;#ASMEND
	;;#ASMSTART
	v_cvt_f32_f16 v36, v37;
	;;#ASMEND
	v_fmac_f32_e32 v60, v33, v35
	v_fmac_f32_e32 v80, v34, v36
	ds_load_b128 v[33:36], v70 offset:128
	s_wait_loadcnt 0x7
	v_lshrrev_b32_e32 v38, 16, v29
	v_and_b32_e32 v29, 0xffff, v29
	s_wait_dscnt 0x0
	v_lshrrev_b32_e32 v37, 16, v33
	v_and_b32_e32 v33, 0xffff, v33
	;;#ASMSTART
	v_cvt_f32_f16 v33, v33;
	;;#ASMEND
	;;#ASMSTART
	v_cvt_f32_f16 v37, v37;
	;;#ASMEND
	;; [unrolled: 3-line block ×3, first 2 shown]
	s_delay_alu instid0(VALU_DEP_1)
	v_fmac_f32_e32 v57, v33, v29
	v_lshrrev_b32_e32 v33, 16, v34
	v_and_b32_e32 v29, 0xffff, v34
	v_lshrrev_b32_e32 v34, 16, v30
	v_and_b32_e32 v30, 0xffff, v30
	;;#ASMSTART
	v_cvt_f32_f16 v38, v38;
	;;#ASMEND
	;;#ASMSTART
	v_cvt_f32_f16 v29, v29;
	;;#ASMEND
	;; [unrolled: 3-line block ×5, first 2 shown]
	v_fmac_f32_e32 v58, v29, v30
	v_fmac_f32_e32 v78, v33, v34
	v_lshrrev_b32_e32 v30, 16, v35
	v_and_b32_e32 v29, 0xffff, v35
	v_lshrrev_b32_e32 v33, 16, v31
	v_and_b32_e32 v31, 0xffff, v31
	;;#ASMSTART
	v_cvt_f32_f16 v29, v29;
	;;#ASMEND
	;;#ASMSTART
	v_cvt_f32_f16 v30, v30;
	;;#ASMEND
	;; [unrolled: 3-line block ×4, first 2 shown]
	v_fmac_f32_e32 v59, v29, v31
	v_fmac_f32_e32 v79, v30, v33
	v_lshrrev_b32_e32 v30, 16, v36
	v_and_b32_e32 v29, 0xffff, v36
	v_and_b32_e32 v31, 0xffff, v32
	;;#ASMSTART
	v_cvt_f32_f16 v29, v29;
	;;#ASMEND
	;;#ASMSTART
	v_cvt_f32_f16 v30, v30;
	;;#ASMEND
	v_lshrrev_b32_e32 v33, 16, v32
	;;#ASMSTART
	v_cvt_f32_f16 v31, v31;
	;;#ASMEND
	;;#ASMSTART
	v_cvt_f32_f16 v32, v33;
	;;#ASMEND
	v_dual_fmac_f32 v77, v49, v50 :: v_dual_fmac_f32 v80, v30, v32
	v_fmac_f32_e32 v60, v29, v31
	ds_load_b128 v[29:32], v70 offset:144
	s_wait_loadcnt 0x6
	v_lshrrev_b32_e32 v34, 16, v25
	v_and_b32_e32 v25, 0xffff, v25
	s_wait_dscnt 0x0
	v_lshrrev_b32_e32 v33, 16, v29
	v_and_b32_e32 v29, 0xffff, v29
	;;#ASMSTART
	v_cvt_f32_f16 v29, v29;
	;;#ASMEND
	;;#ASMSTART
	v_cvt_f32_f16 v33, v33;
	;;#ASMEND
	;; [unrolled: 3-line block ×3, first 2 shown]
	s_delay_alu instid0(VALU_DEP_1)
	v_fmac_f32_e32 v57, v29, v25
	v_lshrrev_b32_e32 v29, 16, v30
	v_and_b32_e32 v25, 0xffff, v30
	v_lshrrev_b32_e32 v30, 16, v26
	v_and_b32_e32 v26, 0xffff, v26
	;;#ASMSTART
	v_cvt_f32_f16 v34, v34;
	;;#ASMEND
	;;#ASMSTART
	v_cvt_f32_f16 v25, v25;
	;;#ASMEND
	;; [unrolled: 3-line block ×5, first 2 shown]
	v_fmac_f32_e32 v58, v25, v26
	v_fmac_f32_e32 v78, v29, v30
	v_lshrrev_b32_e32 v26, 16, v31
	v_and_b32_e32 v25, 0xffff, v31
	v_lshrrev_b32_e32 v29, 16, v27
	v_and_b32_e32 v27, 0xffff, v27
	;;#ASMSTART
	v_cvt_f32_f16 v25, v25;
	;;#ASMEND
	;;#ASMSTART
	v_cvt_f32_f16 v26, v26;
	;;#ASMEND
	;; [unrolled: 3-line block ×4, first 2 shown]
	v_fmac_f32_e32 v59, v25, v27
	v_fmac_f32_e32 v79, v26, v29
	v_lshrrev_b32_e32 v26, 16, v32
	v_and_b32_e32 v25, 0xffff, v32
	v_and_b32_e32 v27, 0xffff, v28
	;;#ASMSTART
	v_cvt_f32_f16 v25, v25;
	;;#ASMEND
	;;#ASMSTART
	v_cvt_f32_f16 v26, v26;
	;;#ASMEND
	v_lshrrev_b32_e32 v29, 16, v28
	;;#ASMSTART
	v_cvt_f32_f16 v27, v27;
	;;#ASMEND
	;;#ASMSTART
	v_cvt_f32_f16 v28, v29;
	;;#ASMEND
	v_fmac_f32_e32 v60, v25, v27
	v_fmac_f32_e32 v80, v26, v28
	ds_load_b128 v[25:28], v70 offset:160
	s_wait_loadcnt 0x5
	v_lshrrev_b32_e32 v30, 16, v21
	v_and_b32_e32 v21, 0xffff, v21
	s_wait_dscnt 0x0
	v_lshrrev_b32_e32 v29, 16, v25
	v_and_b32_e32 v25, 0xffff, v25
	;;#ASMSTART
	v_cvt_f32_f16 v25, v25;
	;;#ASMEND
	;;#ASMSTART
	v_cvt_f32_f16 v29, v29;
	;;#ASMEND
	;; [unrolled: 3-line block ×3, first 2 shown]
	s_delay_alu instid0(VALU_DEP_1)
	v_fmac_f32_e32 v57, v25, v21
	v_lshrrev_b32_e32 v25, 16, v26
	v_and_b32_e32 v21, 0xffff, v26
	v_lshrrev_b32_e32 v26, 16, v22
	v_and_b32_e32 v22, 0xffff, v22
	;;#ASMSTART
	v_cvt_f32_f16 v30, v30;
	;;#ASMEND
	;;#ASMSTART
	v_cvt_f32_f16 v21, v21;
	;;#ASMEND
	;; [unrolled: 3-line block ×5, first 2 shown]
	v_fmac_f32_e32 v58, v21, v22
	v_fmac_f32_e32 v78, v25, v26
	v_lshrrev_b32_e32 v22, 16, v27
	v_and_b32_e32 v21, 0xffff, v27
	v_lshrrev_b32_e32 v25, 16, v23
	v_and_b32_e32 v23, 0xffff, v23
	;;#ASMSTART
	v_cvt_f32_f16 v21, v21;
	;;#ASMEND
	;;#ASMSTART
	v_cvt_f32_f16 v22, v22;
	;;#ASMEND
	;;#ASMSTART
	v_cvt_f32_f16 v23, v23;
	;;#ASMEND
	;;#ASMSTART
	v_cvt_f32_f16 v25, v25;
	;;#ASMEND
	v_fmac_f32_e32 v59, v21, v23
	v_fmac_f32_e32 v79, v22, v25
	v_lshrrev_b32_e32 v22, 16, v28
	v_and_b32_e32 v21, 0xffff, v28
	v_and_b32_e32 v23, 0xffff, v24
	;;#ASMSTART
	v_cvt_f32_f16 v21, v21;
	;;#ASMEND
	;;#ASMSTART
	v_cvt_f32_f16 v22, v22;
	;;#ASMEND
	v_lshrrev_b32_e32 v25, 16, v24
	;;#ASMSTART
	v_cvt_f32_f16 v23, v23;
	;;#ASMEND
	;;#ASMSTART
	v_cvt_f32_f16 v24, v25;
	;;#ASMEND
	v_dual_fmac_f32 v77, v45, v46 :: v_dual_fmac_f32 v80, v22, v24
	v_fmac_f32_e32 v60, v21, v23
	ds_load_b128 v[21:24], v70 offset:176
	s_wait_loadcnt 0x4
	v_lshrrev_b32_e32 v26, 16, v17
	v_and_b32_e32 v17, 0xffff, v17
	s_wait_dscnt 0x0
	v_lshrrev_b32_e32 v25, 16, v21
	v_and_b32_e32 v21, 0xffff, v21
	;;#ASMSTART
	v_cvt_f32_f16 v21, v21;
	;;#ASMEND
	;;#ASMSTART
	v_cvt_f32_f16 v25, v25;
	;;#ASMEND
	;; [unrolled: 3-line block ×3, first 2 shown]
	s_delay_alu instid0(VALU_DEP_1)
	v_fmac_f32_e32 v57, v21, v17
	v_lshrrev_b32_e32 v21, 16, v22
	v_and_b32_e32 v17, 0xffff, v22
	v_lshrrev_b32_e32 v22, 16, v18
	v_and_b32_e32 v18, 0xffff, v18
	;;#ASMSTART
	v_cvt_f32_f16 v26, v26;
	;;#ASMEND
	;;#ASMSTART
	v_cvt_f32_f16 v17, v17;
	;;#ASMEND
	;; [unrolled: 3-line block ×5, first 2 shown]
	v_fmac_f32_e32 v58, v17, v18
	v_fmac_f32_e32 v78, v21, v22
	v_lshrrev_b32_e32 v18, 16, v23
	v_and_b32_e32 v17, 0xffff, v23
	v_lshrrev_b32_e32 v21, 16, v19
	v_and_b32_e32 v19, 0xffff, v19
	;;#ASMSTART
	v_cvt_f32_f16 v17, v17;
	;;#ASMEND
	;;#ASMSTART
	v_cvt_f32_f16 v18, v18;
	;;#ASMEND
	;; [unrolled: 3-line block ×4, first 2 shown]
	v_fmac_f32_e32 v59, v17, v19
	v_fmac_f32_e32 v79, v18, v21
	v_lshrrev_b32_e32 v18, 16, v24
	v_and_b32_e32 v17, 0xffff, v24
	v_and_b32_e32 v19, 0xffff, v20
	;;#ASMSTART
	v_cvt_f32_f16 v17, v17;
	;;#ASMEND
	;;#ASMSTART
	v_cvt_f32_f16 v18, v18;
	;;#ASMEND
	v_lshrrev_b32_e32 v21, 16, v20
	;;#ASMSTART
	v_cvt_f32_f16 v19, v19;
	;;#ASMEND
	;;#ASMSTART
	v_cvt_f32_f16 v20, v21;
	;;#ASMEND
	v_fmac_f32_e32 v60, v17, v19
	v_fmac_f32_e32 v80, v18, v20
	ds_load_b128 v[17:20], v70 offset:192
	s_wait_loadcnt 0x3
	v_lshrrev_b32_e32 v22, 16, v13
	v_and_b32_e32 v13, 0xffff, v13
	s_wait_dscnt 0x0
	v_lshrrev_b32_e32 v21, 16, v17
	v_and_b32_e32 v17, 0xffff, v17
	;;#ASMSTART
	v_cvt_f32_f16 v17, v17;
	;;#ASMEND
	;;#ASMSTART
	v_cvt_f32_f16 v21, v21;
	;;#ASMEND
	;;#ASMSTART
	v_cvt_f32_f16 v13, v13;
	;;#ASMEND
	s_delay_alu instid0(VALU_DEP_1)
	v_fmac_f32_e32 v57, v17, v13
	v_lshrrev_b32_e32 v17, 16, v18
	v_and_b32_e32 v13, 0xffff, v18
	v_lshrrev_b32_e32 v18, 16, v14
	v_and_b32_e32 v14, 0xffff, v14
	;;#ASMSTART
	v_cvt_f32_f16 v22, v22;
	;;#ASMEND
	;;#ASMSTART
	v_cvt_f32_f16 v13, v13;
	;;#ASMEND
	;; [unrolled: 3-line block ×5, first 2 shown]
	v_fmac_f32_e32 v58, v13, v14
	v_fmac_f32_e32 v78, v17, v18
	v_lshrrev_b32_e32 v14, 16, v19
	v_and_b32_e32 v13, 0xffff, v19
	v_lshrrev_b32_e32 v17, 16, v15
	v_and_b32_e32 v15, 0xffff, v15
	;;#ASMSTART
	v_cvt_f32_f16 v13, v13;
	;;#ASMEND
	;;#ASMSTART
	v_cvt_f32_f16 v14, v14;
	;;#ASMEND
	;; [unrolled: 3-line block ×4, first 2 shown]
	v_fmac_f32_e32 v59, v13, v15
	v_fmac_f32_e32 v79, v14, v17
	v_lshrrev_b32_e32 v14, 16, v20
	v_and_b32_e32 v13, 0xffff, v20
	v_and_b32_e32 v15, 0xffff, v16
	;;#ASMSTART
	v_cvt_f32_f16 v13, v13;
	;;#ASMEND
	;;#ASMSTART
	v_cvt_f32_f16 v14, v14;
	;;#ASMEND
	v_lshrrev_b32_e32 v17, 16, v16
	;;#ASMSTART
	v_cvt_f32_f16 v15, v15;
	;;#ASMEND
	;;#ASMSTART
	v_cvt_f32_f16 v16, v17;
	;;#ASMEND
	v_fmac_f32_e32 v60, v13, v15
	v_fmac_f32_e32 v80, v14, v16
	ds_load_b128 v[13:16], v70 offset:208
	s_wait_loadcnt 0x2
	v_lshrrev_b32_e32 v18, 16, v9
	v_and_b32_e32 v9, 0xffff, v9
	s_wait_dscnt 0x0
	v_lshrrev_b32_e32 v17, 16, v13
	v_and_b32_e32 v13, 0xffff, v13
	;;#ASMSTART
	v_cvt_f32_f16 v13, v13;
	;;#ASMEND
	;;#ASMSTART
	v_cvt_f32_f16 v17, v17;
	;;#ASMEND
	;; [unrolled: 3-line block ×3, first 2 shown]
	s_delay_alu instid0(VALU_DEP_1)
	v_fmac_f32_e32 v57, v13, v9
	v_lshrrev_b32_e32 v13, 16, v14
	v_and_b32_e32 v9, 0xffff, v14
	v_lshrrev_b32_e32 v14, 16, v10
	v_and_b32_e32 v10, 0xffff, v10
	;;#ASMSTART
	v_cvt_f32_f16 v18, v18;
	;;#ASMEND
	;;#ASMSTART
	v_cvt_f32_f16 v9, v9;
	;;#ASMEND
	;; [unrolled: 3-line block ×5, first 2 shown]
	v_fmac_f32_e32 v58, v9, v10
	v_fmac_f32_e32 v78, v13, v14
	v_lshrrev_b32_e32 v10, 16, v15
	v_and_b32_e32 v9, 0xffff, v15
	v_lshrrev_b32_e32 v13, 16, v11
	v_and_b32_e32 v11, 0xffff, v11
	;;#ASMSTART
	v_cvt_f32_f16 v9, v9;
	;;#ASMEND
	;;#ASMSTART
	v_cvt_f32_f16 v10, v10;
	;;#ASMEND
	;; [unrolled: 3-line block ×4, first 2 shown]
	v_fmac_f32_e32 v59, v9, v11
	v_fmac_f32_e32 v79, v10, v13
	v_lshrrev_b32_e32 v10, 16, v16
	v_and_b32_e32 v9, 0xffff, v16
	v_and_b32_e32 v11, 0xffff, v12
	;;#ASMSTART
	v_cvt_f32_f16 v9, v9;
	;;#ASMEND
	;;#ASMSTART
	v_cvt_f32_f16 v10, v10;
	;;#ASMEND
	v_lshrrev_b32_e32 v13, 16, v12
	;;#ASMSTART
	v_cvt_f32_f16 v11, v11;
	;;#ASMEND
	;;#ASMSTART
	v_cvt_f32_f16 v12, v13;
	;;#ASMEND
	v_dual_fmac_f32 v77, v41, v42 :: v_dual_fmac_f32 v80, v10, v12
	v_fmac_f32_e32 v60, v9, v11
	ds_load_b128 v[9:12], v70 offset:224
	s_wait_loadcnt 0x1
	v_lshrrev_b32_e32 v14, 16, v5
	v_and_b32_e32 v5, 0xffff, v5
	s_wait_dscnt 0x0
	v_lshrrev_b32_e32 v13, 16, v9
	v_and_b32_e32 v9, 0xffff, v9
	;;#ASMSTART
	v_cvt_f32_f16 v9, v9;
	;;#ASMEND
	;;#ASMSTART
	v_cvt_f32_f16 v13, v13;
	;;#ASMEND
	;; [unrolled: 3-line block ×3, first 2 shown]
	s_delay_alu instid0(VALU_DEP_1)
	v_fmac_f32_e32 v57, v9, v5
	v_lshrrev_b32_e32 v9, 16, v10
	v_and_b32_e32 v5, 0xffff, v10
	v_lshrrev_b32_e32 v10, 16, v6
	v_and_b32_e32 v6, 0xffff, v6
	;;#ASMSTART
	v_cvt_f32_f16 v14, v14;
	;;#ASMEND
	;;#ASMSTART
	v_cvt_f32_f16 v5, v5;
	;;#ASMEND
	;; [unrolled: 3-line block ×5, first 2 shown]
	v_fmac_f32_e32 v58, v5, v6
	v_fmac_f32_e32 v78, v9, v10
	v_lshrrev_b32_e32 v6, 16, v11
	v_and_b32_e32 v5, 0xffff, v11
	v_lshrrev_b32_e32 v9, 16, v7
	v_and_b32_e32 v7, 0xffff, v7
	;;#ASMSTART
	v_cvt_f32_f16 v5, v5;
	;;#ASMEND
	;;#ASMSTART
	v_cvt_f32_f16 v6, v6;
	;;#ASMEND
	;; [unrolled: 3-line block ×4, first 2 shown]
	v_fmac_f32_e32 v59, v5, v7
	v_fmac_f32_e32 v79, v6, v9
	v_lshrrev_b32_e32 v6, 16, v12
	v_and_b32_e32 v5, 0xffff, v12
	v_and_b32_e32 v7, 0xffff, v8
	;;#ASMSTART
	v_cvt_f32_f16 v5, v5;
	;;#ASMEND
	;;#ASMSTART
	v_cvt_f32_f16 v6, v6;
	;;#ASMEND
	v_lshrrev_b32_e32 v9, 16, v8
	;;#ASMSTART
	v_cvt_f32_f16 v7, v7;
	;;#ASMEND
	;;#ASMSTART
	v_cvt_f32_f16 v8, v9;
	;;#ASMEND
	v_fmac_f32_e32 v60, v5, v7
	v_fmac_f32_e32 v80, v6, v8
	ds_load_b128 v[5:8], v70 offset:240
	s_wait_loadcnt 0x0
	v_lshrrev_b32_e32 v10, 16, v1
	v_and_b32_e32 v1, 0xffff, v1
	s_wait_dscnt 0x0
	v_lshrrev_b32_e32 v9, 16, v5
	v_and_b32_e32 v5, 0xffff, v5
	;;#ASMSTART
	v_cvt_f32_f16 v5, v5;
	;;#ASMEND
	;;#ASMSTART
	v_cvt_f32_f16 v9, v9;
	;;#ASMEND
	;; [unrolled: 3-line block ×3, first 2 shown]
	s_delay_alu instid0(VALU_DEP_1)
	v_fmac_f32_e32 v57, v5, v1
	v_lshrrev_b32_e32 v5, 16, v6
	v_and_b32_e32 v1, 0xffff, v6
	v_lshrrev_b32_e32 v6, 16, v2
	v_and_b32_e32 v2, 0xffff, v2
	;;#ASMSTART
	v_cvt_f32_f16 v10, v10;
	;;#ASMEND
	;;#ASMSTART
	v_cvt_f32_f16 v1, v1;
	;;#ASMEND
	;;#ASMSTART
	v_cvt_f32_f16 v5, v5;
	;;#ASMEND
	;;#ASMSTART
	v_cvt_f32_f16 v2, v2;
	;;#ASMEND
	;;#ASMSTART
	v_cvt_f32_f16 v6, v6;
	;;#ASMEND
	v_fmac_f32_e32 v58, v1, v2
	v_fmac_f32_e32 v78, v5, v6
	v_lshrrev_b32_e32 v2, 16, v7
	v_and_b32_e32 v1, 0xffff, v7
	v_lshrrev_b32_e32 v5, 16, v3
	v_and_b32_e32 v3, 0xffff, v3
	;;#ASMSTART
	v_cvt_f32_f16 v1, v1;
	;;#ASMEND
	;;#ASMSTART
	v_cvt_f32_f16 v2, v2;
	;;#ASMEND
	;;#ASMSTART
	v_cvt_f32_f16 v3, v3;
	;;#ASMEND
	;;#ASMSTART
	v_cvt_f32_f16 v5, v5;
	;;#ASMEND
	v_fmac_f32_e32 v59, v1, v3
	v_fmac_f32_e32 v79, v2, v5
	v_lshrrev_b32_e32 v2, 16, v8
	v_and_b32_e32 v1, 0xffff, v8
	v_and_b32_e32 v3, 0xffff, v4
	;;#ASMSTART
	v_cvt_f32_f16 v1, v1;
	;;#ASMEND
	;;#ASMSTART
	v_cvt_f32_f16 v2, v2;
	;;#ASMEND
	v_lshrrev_b32_e32 v5, 16, v4
	;;#ASMSTART
	v_cvt_f32_f16 v3, v3;
	;;#ASMEND
	;;#ASMSTART
	v_cvt_f32_f16 v4, v5;
	;;#ASMEND
	v_dual_fmac_f32 v77, v37, v38 :: v_dual_fmac_f32 v80, v2, v4
	v_fmac_f32_e32 v60, v1, v3
	s_delay_alu instid0(VALU_DEP_2) | instskip(NEXT) | instid1(VALU_DEP_1)
	v_fmac_f32_e32 v77, v33, v34
	v_fmac_f32_e32 v77, v29, v30
	s_delay_alu instid0(VALU_DEP_1) | instskip(NEXT) | instid1(VALU_DEP_1)
	v_fmac_f32_e32 v77, v25, v26
	v_fmac_f32_e32 v77, v21, v22
	s_delay_alu instid0(VALU_DEP_1) | instskip(NEXT) | instid1(VALU_DEP_1)
	;; [unrolled: 3-line block ×3, first 2 shown]
	v_fmac_f32_e32 v77, v9, v10
	v_add_f32_e32 v1, v57, v77
	s_delay_alu instid0(VALU_DEP_1) | instskip(NEXT) | instid1(VALU_DEP_1)
	v_add_f32_e32 v1, v1, v58
	v_add_f32_e32 v1, v78, v1
	s_delay_alu instid0(VALU_DEP_1) | instskip(NEXT) | instid1(VALU_DEP_1)
	v_add_f32_e32 v1, v1, v59
	;; [unrolled: 3-line block ×3, first 2 shown]
	v_add_f32_e32 v1, v80, v1
	s_delay_alu instid0(VALU_DEP_1) | instskip(SKIP_1) | instid1(VALU_DEP_1)
	v_fmac_f32_e32 v76, s5, v1
	s_wait_alu 0xf1ff
	v_cndmask_b32_e64 v1, 0, v76, s3
	ds_store_b32 v72, v1
	v_dual_max_num_f32 v1, v69, v69 :: v_dual_add_nc_u32 v72, 0x200, v72
	s_delay_alu instid0(VALU_DEP_1) | instskip(NEXT) | instid1(VALU_DEP_1)
	v_max_num_f32_e32 v1, v1, v76
	v_cndmask_b32_e64 v69, v69, v1, s3
	v_add_co_u32 v61, s3, v61, 16
	s_wait_alu 0xf1ff
	v_add_co_ci_u32_e64 v62, null, 0, v62, s3
	v_cmp_le_i32_e64 s3, s13, v75
	s_or_b32 s7, s3, s7
	s_delay_alu instid0(SALU_CYCLE_1)
	s_and_not1_b32 exec_lo, exec_lo, s7
	s_cbranch_execnz .LBB123_7
; %bb.8:
	s_or_b32 exec_lo, exec_lo, s7
.LBB123_9:
	s_delay_alu instid0(SALU_CYCLE_1)
	s_or_b32 exec_lo, exec_lo, s6
	v_mbcnt_lo_u32_b32 v1, -1, 0
	s_clause 0x2
	s_load_b128 s[4:7], s[0:1], 0x0
	s_load_b64 s[18:19], s[0:1], 0x10
	s_load_b64 s[22:23], s[0:1], 0x28
	v_max_num_f32_e32 v5, v69, v69
	v_xor_b32_e32 v2, 16, v1
	v_xor_b32_e32 v4, 8, v1
	s_delay_alu instid0(VALU_DEP_2) | instskip(SKIP_2) | instid1(VALU_DEP_3)
	v_cmp_gt_i32_e32 vcc_lo, 32, v2
	s_wait_alu 0xfffd
	v_cndmask_b32_e32 v2, v1, v2, vcc_lo
	v_cmp_gt_i32_e32 vcc_lo, 32, v4
	s_delay_alu instid0(VALU_DEP_2)
	v_lshlrev_b32_e32 v2, 2, v2
	s_wait_alu 0xfffd
	v_cndmask_b32_e32 v4, v1, v4, vcc_lo
	ds_bpermute_b32 v3, v2, v69
	s_wait_dscnt 0x0
	v_dual_max_num_f32 v6, v3, v3 :: v_dual_lshlrev_b32 v3, 2, v4
	s_delay_alu instid0(VALU_DEP_1)
	v_max_num_f32_e32 v4, v5, v6
	v_xor_b32_e32 v6, 4, v1
	ds_bpermute_b32 v5, v3, v4
	v_cmp_gt_i32_e32 vcc_lo, 32, v6
	s_wait_alu 0xfffd
	v_cndmask_b32_e32 v6, v1, v6, vcc_lo
	s_wait_dscnt 0x0
	v_max_num_f32_e32 v7, v5, v5
	s_delay_alu instid0(VALU_DEP_1)
	v_dual_max_num_f32 v4, v4, v7 :: v_dual_lshlrev_b32 v5, 2, v6
	v_xor_b32_e32 v7, 2, v1
	ds_bpermute_b32 v6, v5, v4
	v_cmp_gt_i32_e32 vcc_lo, 32, v7
	s_wait_dscnt 0x0
	s_wait_alu 0xfffd
	v_dual_cndmask_b32 v7, v1, v7 :: v_dual_max_num_f32 v6, v6, v6
	s_delay_alu instid0(VALU_DEP_1) | instskip(NEXT) | instid1(VALU_DEP_2)
	v_max_num_f32_e32 v4, v4, v6
	v_lshlrev_b32_e32 v10, 2, v7
	v_xor_b32_e32 v7, 1, v1
	s_delay_alu instid0(VALU_DEP_1)
	v_cmp_gt_i32_e32 vcc_lo, 32, v7
	s_wait_alu 0xfffd
	v_cndmask_b32_e32 v7, v1, v7, vcc_lo
	ds_bpermute_b32 v6, v10, v4
	v_cmp_eq_u32_e32 vcc_lo, 0, v64
	s_wait_dscnt 0x0
	v_dual_max_num_f32 v6, v6, v6 :: v_dual_lshlrev_b32 v9, 2, v7
	s_delay_alu instid0(VALU_DEP_1)
	v_dual_max_num_f32 v1, v4, v6 :: v_dual_lshlrev_b32 v6, 2, v63
	ds_bpermute_b32 v4, v9, v1
	s_and_saveexec_b32 s0, vcc_lo
	s_cbranch_execz .LBB123_11
; %bb.10:
	s_wait_dscnt 0x0
	v_dual_max_num_f32 v4, v4, v4 :: v_dual_max_num_f32 v1, v1, v1
	s_delay_alu instid0(VALU_DEP_1)
	v_max_num_f32_e32 v1, v1, v4
	ds_store_b32 v6, v1 offset:256
.LBB123_11:
	s_or_b32 exec_lo, exec_lo, s0
	v_cmp_gt_u32_e64 s0, 4, v64
	v_mov_b32_e32 v1, 0xff7fffff
	s_wait_loadcnt_dscnt 0x0
	s_barrier_signal -1
	s_barrier_wait -1
	global_inv scope:SCOPE_SE
	s_and_saveexec_b32 s1, s0
; %bb.12:
	ds_load_b32 v1, v68 offset:256
; %bb.13:
	s_or_b32 exec_lo, exec_lo, s1
	s_wait_dscnt 0x0
	ds_bpermute_b32 v4, v10, v1
	v_max_num_f32_e32 v1, v1, v1
	s_sub_co_i32 s1, s13, s28
	v_mov_b32_e32 v7, 0
	s_lshl_b32 s1, s1, 5
	s_delay_alu instid0(SALU_CYCLE_1) | instskip(NEXT) | instid1(SALU_CYCLE_1)
	s_add_co_i32 s1, s1, s26
	s_min_i32 s1, s1, s25
	s_delay_alu instid0(SALU_CYCLE_1) | instskip(SKIP_4) | instid1(VALU_DEP_1)
	s_sub_co_i32 s11, s1, s26
	s_wait_alu 0xfffe
	v_cmp_gt_i32_e64 s1, s11, v0
	s_wait_dscnt 0x0
	v_max_num_f32_e32 v4, v4, v4
	v_max_num_f32_e32 v1, v1, v4
	ds_bpermute_b32 v4, v9, v1
	s_wait_dscnt 0x0
	v_max_num_f32_e32 v4, v4, v4
	s_delay_alu instid0(VALU_DEP_1)
	v_max_num_f32_e32 v1, v1, v4
	v_lshl_add_u32 v4, v0, 2, 0x120
	ds_bpermute_b32 v1, v7, v1
	s_and_saveexec_b32 s28, s1
	s_cbranch_execz .LBB123_17
; %bb.14:
	v_lshl_add_u32 v8, v0, 2, 0x120
	v_mov_b32_e32 v7, 0
	v_mov_b32_e32 v11, v0
	s_mov_b32 s29, 0
.LBB123_15:                             ; =>This Inner Loop Header: Depth=1
	ds_load_b32 v12, v8
	v_add_nc_u32_e32 v11, 0x80, v11
	s_delay_alu instid0(VALU_DEP_1) | instskip(SKIP_4) | instid1(VALU_DEP_1)
	v_cmp_le_i32_e64 s3, s11, v11
	s_wait_alu 0xfffe
	s_or_b32 s29, s3, s29
	s_wait_dscnt 0x0
	v_sub_f32_e32 v12, v12, v1
	v_mul_f32_e32 v12, 0x3fb8aa3b, v12
	s_delay_alu instid0(VALU_DEP_1)
	v_exp_f32_e32 v12, v12
	ds_store_b32 v8, v12
	v_add_f32_e32 v7, v7, v12
	v_add_nc_u32_e32 v8, 0x200, v8
	s_wait_alu 0xfffe
	s_and_not1_b32 exec_lo, exec_lo, s29
	s_cbranch_execnz .LBB123_15
; %bb.16:
	s_or_b32 exec_lo, exec_lo, s29
.LBB123_17:
	s_wait_alu 0xfffe
	s_or_b32 exec_lo, exec_lo, s28
	ds_bpermute_b32 v2, v2, v7
	s_wait_dscnt 0x0
	v_add_f32_e32 v2, v7, v2
	ds_bpermute_b32 v3, v3, v2
	s_wait_dscnt 0x0
	v_add_f32_e32 v2, v2, v3
	;; [unrolled: 3-line block ×5, first 2 shown]
	s_and_saveexec_b32 s3, vcc_lo
; %bb.18:
	ds_store_b32 v6, v2 offset:272
; %bb.19:
	s_wait_alu 0xfffe
	s_or_b32 exec_lo, exec_lo, s3
	s_wait_loadcnt_dscnt 0x0
	s_barrier_signal -1
	s_barrier_wait -1
	global_inv scope:SCOPE_SE
	s_and_saveexec_b32 s3, s0
; %bb.20:
	ds_load_b32 v2, v68 offset:272
; %bb.21:
	s_wait_alu 0xfffe
	s_or_b32 exec_lo, exec_lo, s3
	s_wait_dscnt 0x0
	ds_bpermute_b32 v3, v10, v2
	s_wait_dscnt 0x0
	v_add_f32_e32 v2, v2, v3
	ds_bpermute_b32 v3, v9, v2
	s_wait_dscnt 0x0
	v_dual_add_f32 v2, v2, v3 :: v_dual_mov_b32 v3, 0
	ds_bpermute_b32 v2, v3, v2
	s_and_saveexec_b32 s0, s1
	s_cbranch_execz .LBB123_24
; %bb.22:
	s_wait_dscnt 0x0
	v_add_f32_e32 v3, 0x358637bd, v2
	s_mov_b32 s1, 0
	s_delay_alu instid0(VALU_DEP_1) | instskip(SKIP_1) | instid1(VALU_DEP_2)
	v_div_scale_f32 v5, null, v3, v3, 1.0
	v_div_scale_f32 v8, vcc_lo, 1.0, v3, 1.0
	v_rcp_f32_e32 v6, v5
	s_delay_alu instid0(TRANS32_DEP_1) | instskip(NEXT) | instid1(VALU_DEP_1)
	v_fma_f32 v7, -v5, v6, 1.0
	v_fmac_f32_e32 v6, v7, v6
	s_delay_alu instid0(VALU_DEP_1) | instskip(NEXT) | instid1(VALU_DEP_1)
	v_mul_f32_e32 v7, v8, v6
	v_fma_f32 v11, -v5, v7, v8
	s_delay_alu instid0(VALU_DEP_1) | instskip(NEXT) | instid1(VALU_DEP_1)
	v_fmac_f32_e32 v7, v11, v6
	v_fma_f32 v5, -v5, v7, v8
	s_wait_alu 0xfffd
	s_delay_alu instid0(VALU_DEP_1) | instskip(NEXT) | instid1(VALU_DEP_1)
	v_div_fmas_f32 v5, v5, v6, v7
	v_div_fixup_f32 v3, v5, v3, 1.0
	v_mov_b32_e32 v5, v0
.LBB123_23:                             ; =>This Inner Loop Header: Depth=1
	ds_load_b32 v6, v4
	s_wait_dscnt 0x0
	v_dual_mul_f32 v6, v3, v6 :: v_dual_add_nc_u32 v5, 0x80, v5
	s_delay_alu instid0(VALU_DEP_1) | instskip(SKIP_3) | instid1(SALU_CYCLE_1)
	v_cmp_le_i32_e32 vcc_lo, s11, v5
	ds_store_b32 v4, v6
	v_add_nc_u32_e32 v4, 0x200, v4
	s_or_b32 s1, vcc_lo, s1
	s_and_not1_b32 exec_lo, exec_lo, s1
	s_cbranch_execnz .LBB123_23
.LBB123_24:
	s_or_b32 exec_lo, exec_lo, s0
	s_mul_i32 s0, s8, s20
	s_wait_loadcnt_dscnt 0x0
	s_mul_i32 s20, s0, s21
	s_mov_b32 s0, exec_lo
	s_barrier_signal -1
	s_barrier_wait -1
	global_inv scope:SCOPE_SE
	v_cmpx_eq_u32_e32 0, v0
	s_cbranch_execz .LBB123_26
; %bb.25:
	s_ashr_i32 s21, s20, 31
	s_mul_i32 s28, s8, ttmp9
	s_lshl_b32 s1, s24, 2
	s_lshl_b64 s[30:31], s[20:21], 2
	s_wait_alu 0xfffe
	s_ashr_i32 s29, s28, 31
	v_mov_b32_e32 v3, s1
	s_wait_kmcnt 0x0
	s_add_nc_u64 s[6:7], s[6:7], s[30:31]
	s_wait_alu 0xfffe
	s_lshl_b64 s[28:29], s[28:29], 2
	s_add_nc_u64 s[4:5], s[4:5], s[30:31]
	s_wait_alu 0xfffe
	s_add_nc_u64 s[6:7], s[6:7], s[28:29]
	s_add_nc_u64 s[4:5], s[4:5], s[28:29]
	s_clause 0x1
	global_store_b32 v3, v1, s[6:7]
	global_store_b32 v3, v2, s[4:5]
.LBB123_26:
	s_or_b32 exec_lo, exec_lo, s0
	v_dual_mov_b32 v25, 0 :: v_dual_mov_b32 v26, 0
	v_dual_mov_b32 v24, 0 :: v_dual_and_b32 v11, 3, v0
	v_dual_mov_b32 v27, 0 :: v_dual_mov_b32 v22, 0
	v_dual_mov_b32 v23, 0 :: v_dual_mov_b32 v20, 0
	;; [unrolled: 1-line block ×6, first 2 shown]
	v_mov_b32_e32 v13, 0
	s_and_saveexec_b32 s1, s2
	s_cbranch_execz .LBB123_62
; %bb.27:
	s_ashr_i32 s11, s10, 31
	v_dual_mov_b32 v16, 0 :: v_dual_and_b32 v3, 0x1f0, v66
	s_wait_alu 0xfffe
	s_lshl_b64 s[2:3], s[10:11], 1
	v_dual_mov_b32 v12, 0 :: v_dual_lshlrev_b32 v1, 3, v0
	v_dual_mov_b32 v13, 0 :: v_dual_lshlrev_b32 v2, 5, v11
	s_wait_kmcnt 0x0
	s_wait_alu 0xfffe
	s_add_nc_u64 s[2:3], s[22:23], s[2:3]
	v_dual_mov_b32 v14, 0 :: v_dual_and_b32 v1, 24, v1
	s_wait_alu 0xfffe
	v_add_co_u32 v28, s0, s2, v3
	s_wait_alu 0xf1ff
	v_add_co_ci_u32_e64 v29, null, s3, 0, s0
	s_lshl_b64 s[2:3], s[16:17], 2
	v_lshl_add_u32 v4, v63, 5, s26
	v_lshl_or_b32 v2, v63, 7, v2
	s_wait_alu 0xfffe
	s_add_nc_u64 s[2:3], s[14:15], s[2:3]
	v_dual_mov_b32 v15, 0 :: v_dual_mov_b32 v20, 0
	s_wait_alu 0xfffe
	v_add_co_u32 v5, s0, s2, v67
	v_add3_u32 v30, v4, v1, 7
	v_dual_mov_b32 v18, 0 :: v_dual_add_nc_u32 v31, 0x120, v2
	s_wait_alu 0xf1ff
	v_add_co_ci_u32_e64 v6, null, s3, 0, s0
	v_dual_mov_b32 v17, 0 :: v_dual_mov_b32 v22, 0
	v_dual_mov_b32 v19, 0 :: v_dual_mov_b32 v24, 0
	v_dual_mov_b32 v21, 0 :: v_dual_mov_b32 v26, 0
	v_mov_b32_e32 v23, 0
	v_mov_b32_e32 v27, 0
	;; [unrolled: 1-line block ×3, first 2 shown]
	s_mov_b32 s2, s9
	s_add_co_i32 s27, s27, -1
	s_mov_b32 s3, 0
	s_branch .LBB123_29
.LBB123_28:                             ;   in Loop: Header=BB123_29 Depth=1
	s_wait_alu 0xfffe
	s_or_b32 exec_lo, exec_lo, s0
	v_dual_add_f32 v33, v75, v76 :: v_dual_add_f32 v38, v70, v71
	v_dual_add_f32 v35, v72, v73 :: v_dual_add_f32 v42, v66, v67
	v_add_f32_e32 v40, v68, v69
	s_delay_alu instid0(VALU_DEP_3) | instskip(NEXT) | instid1(VALU_DEP_3)
	v_add_f32_e32 v13, v13, v33
	v_dual_add_f32 v15, v15, v38 :: v_dual_add_f32 v14, v14, v35
	s_delay_alu instid0(VALU_DEP_3) | instskip(SKIP_3) | instid1(VALU_DEP_3)
	v_dual_add_f32 v17, v17, v42 :: v_dual_add_f32 v16, v16, v40
	v_dual_add_f32 v33, v61, v62 :: v_dual_add_f32 v40, v55, v56
	;; [unrolled: 1-line block ×3, first 2 shown]
	v_add_f32_e32 v42, v53, v54
	v_dual_add_f32 v18, v18, v33 :: v_dual_add_f32 v21, v21, v40
	s_delay_alu instid0(VALU_DEP_3) | instskip(SKIP_1) | instid1(VALU_DEP_4)
	v_add_f32_e32 v19, v19, v35
	v_lshlrev_b32_e32 v33, 16, v74
	v_dual_add_f32 v22, v22, v42 :: v_dual_add_f32 v35, v51, v52
	v_lshlrev_b32_e32 v8, 16, v8
	v_dual_add_f32 v20, v20, v38 :: v_dual_lshlrev_b32 v7, 16, v7
	s_delay_alu instid0(VALU_DEP_4) | instskip(NEXT) | instid1(VALU_DEP_4)
	v_and_or_b32 v1, 0xffff, v1, v33
	v_add_f32_e32 v23, v23, v35
	s_delay_alu instid0(VALU_DEP_4)
	v_and_or_b32 v2, 0xffff, v2, v8
	;;#ASMSTART
	v_pk_mul_f16 v1, v34, v1;

	;;#ASMEND
	v_and_or_b32 v3, 0xffff, v3, v7
	;;#ASMSTART
	v_pk_mul_f16 v2, v32, v2;

	;;#ASMEND
	;;#ASMSTART
	v_pk_mul_f16 v3, v36, v3;

	;;#ASMEND
	;;#ASMSTART
	v_pk_mul_f16 v4, v37, v4;

	;;#ASMEND
	;;#ASMSTART
	v_pk_add_f16 v1, v1, v2;

	;;#ASMEND
	v_dual_add_f32 v2, v45, v46 :: v_dual_add_nc_u32 v65, 4, v65
	v_add_f32_e32 v38, v49, v50
	;;#ASMSTART
	v_pk_add_f16 v1, v1, v3;

	;;#ASMEND
	;;#ASMSTART
	v_pk_add_f16 v1, v1, v4;

	;;#ASMEND
	s_delay_alu instid0(VALU_DEP_2)
	v_dual_add_f32 v27, v27, v2 :: v_dual_and_b32 v4, 0xffff, v1
	v_lshrrev_b32_e32 v7, 16, v1
	;;#ASMSTART
	v_cvt_f32_f16 v4, v4;
	;;#ASMEND
	v_dual_add_f32 v1, v47, v48 :: v_dual_add_f32 v24, v24, v38
	v_add_f32_e32 v3, v39, v41
	;;#ASMSTART
	v_cvt_f32_f16 v7, v7;
	;;#ASMEND
	v_add_f32_e32 v4, v4, v7
	v_cmp_le_i32_e32 vcc_lo, s13, v65
	v_add_co_u32 v5, s0, v5, 16
	v_dual_add_f32 v26, v26, v1 :: v_dual_add_f32 v25, v25, v3
	s_delay_alu instid0(VALU_DEP_4)
	v_dual_add_f32 v12, v12, v4 :: v_dual_add_nc_u32 v31, 0x200, v31
	v_add_nc_u32_e32 v30, 0x80, v30
	s_wait_alu 0xf1ff
	v_add_co_ci_u32_e64 v6, null, 0, v6, s0
	s_or_b32 s3, vcc_lo, s3
	s_wait_alu 0xfffe
	s_and_not1_b32 exec_lo, exec_lo, s3
	s_cbranch_execz .LBB123_61
.LBB123_29:                             ; =>This Inner Loop Header: Depth=1
	global_load_b32 v7, v[5:6], off
	ds_load_2addr_b64 v[1:4], v31 offset1:1
	ds_load_2addr_b64 v[35:38], v31 offset0:2 offset1:3
	v_add_nc_u32_e32 v42, -7, v30
	v_add_nc_u32_e32 v44, -6, v30
	;; [unrolled: 1-line block ×5, first 2 shown]
	s_wait_dscnt 0x1
	;;#ASMSTART
	v_cvt_f16_f32 v34, v1;

	;;#ASMEND
	;;#ASMSTART
	v_cvt_f16_f32 v32, v2;

	;;#ASMEND
	;; [unrolled: 4-line block ×4, first 2 shown]
	s_wait_dscnt 0x0
	;;#ASMSTART
	v_cvt_f16_f32 v46, v35;

	;;#ASMEND
	;;#ASMSTART
	v_cvt_f16_f32 v36, v36;

	;;#ASMEND
	;; [unrolled: 4-line block ×4, first 2 shown]
	v_add_nc_u32_e32 v38, -4, v30
	v_add_nc_u32_e32 v35, -3, v30
	s_wait_loadcnt 0x0
	s_wait_alu 0xfffe
	v_mad_co_i64_i32 v[7:8], null, v7, s2, 0
	s_delay_alu instid0(VALU_DEP_1) | instskip(NEXT) | instid1(VALU_DEP_1)
	v_lshlrev_b64_e32 v[7:8], 1, v[7:8]
	v_add_co_u32 v7, vcc_lo, v28, v7
	s_wait_alu 0xfffd
	s_delay_alu instid0(VALU_DEP_2)
	v_add_co_ci_u32_e64 v8, null, v29, v8, vcc_lo
	v_cmp_eq_u32_e32 vcc_lo, s27, v65
	global_load_b128 v[1:4], v[7:8], off
	s_wait_loadcnt 0x0
	v_lshrrev_b32_e32 v49, 16, v1
	v_lshrrev_b32_e32 v48, 16, v2
	;; [unrolled: 1-line block ×3, first 2 shown]
	s_and_saveexec_b32 s4, vcc_lo
	s_cbranch_execz .LBB123_31
; %bb.30:                               ;   in Loop: Header=BB123_29 Depth=1
	v_cmp_gt_i32_e64 s0, s25, v42
	v_and_b32_e32 v50, 0xffff, v4
	v_and_b32_e32 v4, 0xffff0000, v4
	s_wait_alu 0xf1ff
	s_delay_alu instid0(VALU_DEP_3) | instskip(SKIP_2) | instid1(VALU_DEP_1)
	v_cndmask_b32_e64 v1, 0, v1, s0
	v_cmp_gt_i32_e64 s0, s25, v44
	s_wait_alu 0xf1ff
	v_cndmask_b32_e64 v49, 0, v49, s0
	v_cmp_gt_i32_e64 s0, s25, v43
	s_wait_alu 0xf1ff
	s_delay_alu instid0(VALU_DEP_1) | instskip(SKIP_2) | instid1(VALU_DEP_1)
	v_cndmask_b32_e64 v2, 0, v2, s0
	v_cmp_gt_i32_e64 s0, s25, v38
	s_wait_alu 0xf1ff
	v_cndmask_b32_e64 v48, 0, v48, s0
	v_cmp_gt_i32_e64 s0, s25, v40
	s_wait_alu 0xf1ff
	s_delay_alu instid0(VALU_DEP_1) | instskip(SKIP_2) | instid1(VALU_DEP_1)
	v_cndmask_b32_e64 v50, 0, v50, s0
	v_cmp_gt_i32_e64 s0, s25, v30
	s_wait_alu 0xf1ff
	v_cndmask_b32_e64 v4, 0, v4, s0
	v_cmp_gt_i32_e64 s0, s25, v35
	s_delay_alu instid0(VALU_DEP_2) | instskip(SKIP_1) | instid1(VALU_DEP_2)
	v_or_b32_e32 v4, v50, v4
	s_wait_alu 0xf1ff
	v_cndmask_b32_e64 v3, 0, v3, s0
	v_cmp_gt_i32_e64 s0, s25, v33
	s_wait_alu 0xf1ff
	s_delay_alu instid0(VALU_DEP_1)
	v_cndmask_b32_e64 v47, 0, v47, s0
.LBB123_31:                             ;   in Loop: Header=BB123_29 Depth=1
	s_wait_alu 0xfffe
	s_or_b32 exec_lo, exec_lo, s4
	v_and_b32_e32 v34, 0xffff, v34
	v_and_b32_e32 v45, 0xffff, v45
	v_lshlrev_b32_e32 v49, 16, v49
	v_and_b32_e32 v46, 0xffff, v46
	v_and_b32_e32 v41, 0xffff, v41
	v_lshl_or_b32 v34, v32, 16, v34
	v_lshl_or_b32 v32, v39, 16, v45
	v_lshlrev_b32_e32 v39, 16, v48
	v_lshlrev_b32_e32 v45, 16, v47
	v_and_or_b32 v1, 0xffff, v1, v49
	;;#ASMSTART
	v_pk_mul_f16 v1, v34, v1;

	;;#ASMEND
	v_lshl_or_b32 v36, v36, 16, v46
	v_and_or_b32 v2, 0xffff, v2, v39
	v_and_or_b32 v3, 0xffff, v3, v45
	v_lshl_or_b32 v37, v37, 16, v41
	;;#ASMSTART
	v_pk_mul_f16 v2, v32, v2;

	;;#ASMEND
	;;#ASMSTART
	v_pk_mul_f16 v3, v36, v3;

	;;#ASMEND
	;; [unrolled: 4-line block ×3, first 2 shown]
	;;#ASMSTART
	v_pk_add_f16 v1, v1, v2;

	;;#ASMEND
	;;#ASMSTART
	v_pk_add_f16 v1, v1, v3;

	;;#ASMEND
	;; [unrolled: 4-line block ×3, first 2 shown]
	v_and_b32_e32 v2, 0xffff, v1
	v_lshrrev_b32_e32 v1, 16, v1
	;;#ASMSTART
	v_cvt_f32_f16 v39, v2;
	;;#ASMEND
	;;#ASMSTART
	v_cvt_f32_f16 v41, v1;
	;;#ASMEND
	global_load_b128 v[1:4], v[7:8], off offset:512
	s_wait_loadcnt 0x0
	v_lshrrev_b32_e32 v47, 16, v1
	v_lshrrev_b32_e32 v46, 16, v2
	;; [unrolled: 1-line block ×3, first 2 shown]
	s_and_saveexec_b32 s4, vcc_lo
	s_cbranch_execz .LBB123_33
; %bb.32:                               ;   in Loop: Header=BB123_29 Depth=1
	v_cmp_gt_i32_e64 s0, s25, v42
	v_and_b32_e32 v48, 0xffff, v4
	v_and_b32_e32 v4, 0xffff0000, v4
	s_wait_alu 0xf1ff
	s_delay_alu instid0(VALU_DEP_3) | instskip(SKIP_2) | instid1(VALU_DEP_1)
	v_cndmask_b32_e64 v1, 0, v1, s0
	v_cmp_gt_i32_e64 s0, s25, v44
	s_wait_alu 0xf1ff
	v_cndmask_b32_e64 v47, 0, v47, s0
	v_cmp_gt_i32_e64 s0, s25, v43
	s_wait_alu 0xf1ff
	s_delay_alu instid0(VALU_DEP_1) | instskip(SKIP_2) | instid1(VALU_DEP_1)
	v_cndmask_b32_e64 v2, 0, v2, s0
	v_cmp_gt_i32_e64 s0, s25, v38
	s_wait_alu 0xf1ff
	v_cndmask_b32_e64 v46, 0, v46, s0
	v_cmp_gt_i32_e64 s0, s25, v40
	s_wait_alu 0xf1ff
	s_delay_alu instid0(VALU_DEP_1) | instskip(SKIP_2) | instid1(VALU_DEP_1)
	v_cndmask_b32_e64 v48, 0, v48, s0
	v_cmp_gt_i32_e64 s0, s25, v30
	s_wait_alu 0xf1ff
	v_cndmask_b32_e64 v4, 0, v4, s0
	v_cmp_gt_i32_e64 s0, s25, v35
	s_delay_alu instid0(VALU_DEP_2) | instskip(SKIP_1) | instid1(VALU_DEP_2)
	v_or_b32_e32 v4, v48, v4
	s_wait_alu 0xf1ff
	v_cndmask_b32_e64 v3, 0, v3, s0
	v_cmp_gt_i32_e64 s0, s25, v33
	s_wait_alu 0xf1ff
	s_delay_alu instid0(VALU_DEP_1)
	v_cndmask_b32_e64 v45, 0, v45, s0
.LBB123_33:                             ;   in Loop: Header=BB123_29 Depth=1
	s_wait_alu 0xfffe
	s_or_b32 exec_lo, exec_lo, s4
	v_lshlrev_b32_e32 v47, 16, v47
	v_lshlrev_b32_e32 v46, 16, v46
	;; [unrolled: 1-line block ×3, first 2 shown]
	s_delay_alu instid0(VALU_DEP_3) | instskip(NEXT) | instid1(VALU_DEP_3)
	v_and_or_b32 v1, 0xffff, v1, v47
	v_and_or_b32 v2, 0xffff, v2, v46
	s_delay_alu instid0(VALU_DEP_3)
	v_and_or_b32 v3, 0xffff, v3, v45
	;;#ASMSTART
	v_pk_mul_f16 v1, v34, v1;

	;;#ASMEND
	;;#ASMSTART
	v_pk_mul_f16 v2, v32, v2;

	;;#ASMEND
	;; [unrolled: 4-line block ×4, first 2 shown]
	;;#ASMSTART
	v_pk_add_f16 v1, v1, v2;

	;;#ASMEND
	;;#ASMSTART
	v_pk_add_f16 v1, v1, v3;

	;;#ASMEND
	;;#ASMSTART
	v_pk_add_f16 v1, v1, v4;

	;;#ASMEND
	v_and_b32_e32 v2, 0xffff, v1
	v_lshrrev_b32_e32 v1, 16, v1
	;;#ASMSTART
	v_cvt_f32_f16 v45, v2;
	;;#ASMEND
	;;#ASMSTART
	v_cvt_f32_f16 v46, v1;
	;;#ASMEND
	global_load_b128 v[1:4], v[7:8], off offset:1024
	s_wait_loadcnt 0x0
	v_lshrrev_b32_e32 v49, 16, v1
	v_lshrrev_b32_e32 v48, 16, v2
	;; [unrolled: 1-line block ×3, first 2 shown]
	s_and_saveexec_b32 s4, vcc_lo
	s_cbranch_execz .LBB123_35
; %bb.34:                               ;   in Loop: Header=BB123_29 Depth=1
	v_cmp_gt_i32_e64 s0, s25, v42
	v_and_b32_e32 v50, 0xffff, v4
	v_and_b32_e32 v4, 0xffff0000, v4
	s_wait_alu 0xf1ff
	s_delay_alu instid0(VALU_DEP_3) | instskip(SKIP_2) | instid1(VALU_DEP_1)
	v_cndmask_b32_e64 v1, 0, v1, s0
	v_cmp_gt_i32_e64 s0, s25, v44
	s_wait_alu 0xf1ff
	v_cndmask_b32_e64 v49, 0, v49, s0
	v_cmp_gt_i32_e64 s0, s25, v43
	s_wait_alu 0xf1ff
	s_delay_alu instid0(VALU_DEP_1) | instskip(SKIP_2) | instid1(VALU_DEP_1)
	v_cndmask_b32_e64 v2, 0, v2, s0
	v_cmp_gt_i32_e64 s0, s25, v38
	s_wait_alu 0xf1ff
	v_cndmask_b32_e64 v48, 0, v48, s0
	v_cmp_gt_i32_e64 s0, s25, v40
	s_wait_alu 0xf1ff
	s_delay_alu instid0(VALU_DEP_1) | instskip(SKIP_2) | instid1(VALU_DEP_1)
	v_cndmask_b32_e64 v50, 0, v50, s0
	v_cmp_gt_i32_e64 s0, s25, v30
	s_wait_alu 0xf1ff
	v_cndmask_b32_e64 v4, 0, v4, s0
	v_cmp_gt_i32_e64 s0, s25, v35
	s_delay_alu instid0(VALU_DEP_2) | instskip(SKIP_1) | instid1(VALU_DEP_2)
	v_or_b32_e32 v4, v50, v4
	s_wait_alu 0xf1ff
	v_cndmask_b32_e64 v3, 0, v3, s0
	v_cmp_gt_i32_e64 s0, s25, v33
	s_wait_alu 0xf1ff
	s_delay_alu instid0(VALU_DEP_1)
	v_cndmask_b32_e64 v47, 0, v47, s0
.LBB123_35:                             ;   in Loop: Header=BB123_29 Depth=1
	s_wait_alu 0xfffe
	s_or_b32 exec_lo, exec_lo, s4
	v_lshlrev_b32_e32 v49, 16, v49
	v_lshlrev_b32_e32 v48, 16, v48
	;; [unrolled: 1-line block ×3, first 2 shown]
	s_delay_alu instid0(VALU_DEP_3) | instskip(NEXT) | instid1(VALU_DEP_3)
	v_and_or_b32 v1, 0xffff, v1, v49
	v_and_or_b32 v2, 0xffff, v2, v48
	s_delay_alu instid0(VALU_DEP_3)
	v_and_or_b32 v3, 0xffff, v3, v47
	;;#ASMSTART
	v_pk_mul_f16 v1, v34, v1;

	;;#ASMEND
	;;#ASMSTART
	v_pk_mul_f16 v2, v32, v2;

	;;#ASMEND
	;; [unrolled: 4-line block ×4, first 2 shown]
	;;#ASMSTART
	v_pk_add_f16 v1, v1, v2;

	;;#ASMEND
	;;#ASMSTART
	v_pk_add_f16 v1, v1, v3;

	;;#ASMEND
	;; [unrolled: 4-line block ×3, first 2 shown]
	v_and_b32_e32 v2, 0xffff, v1
	v_lshrrev_b32_e32 v1, 16, v1
	;;#ASMSTART
	v_cvt_f32_f16 v47, v2;
	;;#ASMEND
	;;#ASMSTART
	v_cvt_f32_f16 v48, v1;
	;;#ASMEND
	global_load_b128 v[1:4], v[7:8], off offset:1536
	s_wait_loadcnt 0x0
	v_lshrrev_b32_e32 v51, 16, v1
	v_lshrrev_b32_e32 v50, 16, v2
	;; [unrolled: 1-line block ×3, first 2 shown]
	s_and_saveexec_b32 s4, vcc_lo
	s_cbranch_execz .LBB123_37
; %bb.36:                               ;   in Loop: Header=BB123_29 Depth=1
	v_cmp_gt_i32_e64 s0, s25, v42
	v_and_b32_e32 v52, 0xffff, v4
	v_and_b32_e32 v4, 0xffff0000, v4
	s_wait_alu 0xf1ff
	s_delay_alu instid0(VALU_DEP_3) | instskip(SKIP_2) | instid1(VALU_DEP_1)
	v_cndmask_b32_e64 v1, 0, v1, s0
	v_cmp_gt_i32_e64 s0, s25, v44
	s_wait_alu 0xf1ff
	v_cndmask_b32_e64 v51, 0, v51, s0
	v_cmp_gt_i32_e64 s0, s25, v43
	s_wait_alu 0xf1ff
	s_delay_alu instid0(VALU_DEP_1) | instskip(SKIP_2) | instid1(VALU_DEP_1)
	v_cndmask_b32_e64 v2, 0, v2, s0
	v_cmp_gt_i32_e64 s0, s25, v38
	s_wait_alu 0xf1ff
	v_cndmask_b32_e64 v50, 0, v50, s0
	v_cmp_gt_i32_e64 s0, s25, v40
	s_wait_alu 0xf1ff
	s_delay_alu instid0(VALU_DEP_1) | instskip(SKIP_2) | instid1(VALU_DEP_1)
	v_cndmask_b32_e64 v52, 0, v52, s0
	v_cmp_gt_i32_e64 s0, s25, v30
	s_wait_alu 0xf1ff
	v_cndmask_b32_e64 v4, 0, v4, s0
	v_cmp_gt_i32_e64 s0, s25, v35
	s_delay_alu instid0(VALU_DEP_2) | instskip(SKIP_1) | instid1(VALU_DEP_2)
	v_or_b32_e32 v4, v52, v4
	s_wait_alu 0xf1ff
	v_cndmask_b32_e64 v3, 0, v3, s0
	v_cmp_gt_i32_e64 s0, s25, v33
	s_wait_alu 0xf1ff
	s_delay_alu instid0(VALU_DEP_1)
	v_cndmask_b32_e64 v49, 0, v49, s0
.LBB123_37:                             ;   in Loop: Header=BB123_29 Depth=1
	s_wait_alu 0xfffe
	s_or_b32 exec_lo, exec_lo, s4
	v_lshlrev_b32_e32 v51, 16, v51
	v_lshlrev_b32_e32 v50, 16, v50
	;; [unrolled: 1-line block ×3, first 2 shown]
	s_delay_alu instid0(VALU_DEP_3) | instskip(NEXT) | instid1(VALU_DEP_3)
	v_and_or_b32 v1, 0xffff, v1, v51
	v_and_or_b32 v2, 0xffff, v2, v50
	s_delay_alu instid0(VALU_DEP_3)
	v_and_or_b32 v3, 0xffff, v3, v49
	;;#ASMSTART
	v_pk_mul_f16 v1, v34, v1;

	;;#ASMEND
	;;#ASMSTART
	v_pk_mul_f16 v2, v32, v2;

	;;#ASMEND
	;; [unrolled: 4-line block ×4, first 2 shown]
	;;#ASMSTART
	v_pk_add_f16 v1, v1, v2;

	;;#ASMEND
	;;#ASMSTART
	v_pk_add_f16 v1, v1, v3;

	;;#ASMEND
	;;#ASMSTART
	v_pk_add_f16 v1, v1, v4;

	;;#ASMEND
	v_and_b32_e32 v2, 0xffff, v1
	v_lshrrev_b32_e32 v1, 16, v1
	;;#ASMSTART
	v_cvt_f32_f16 v49, v2;
	;;#ASMEND
	;;#ASMSTART
	v_cvt_f32_f16 v50, v1;
	;;#ASMEND
	global_load_b128 v[1:4], v[7:8], off offset:2048
	s_wait_loadcnt 0x0
	v_lshrrev_b32_e32 v53, 16, v1
	v_lshrrev_b32_e32 v52, 16, v2
	v_lshrrev_b32_e32 v51, 16, v3
	s_and_saveexec_b32 s4, vcc_lo
	s_cbranch_execz .LBB123_39
; %bb.38:                               ;   in Loop: Header=BB123_29 Depth=1
	v_cmp_gt_i32_e64 s0, s25, v42
	v_and_b32_e32 v54, 0xffff, v4
	v_and_b32_e32 v4, 0xffff0000, v4
	s_wait_alu 0xf1ff
	s_delay_alu instid0(VALU_DEP_3) | instskip(SKIP_2) | instid1(VALU_DEP_1)
	v_cndmask_b32_e64 v1, 0, v1, s0
	v_cmp_gt_i32_e64 s0, s25, v44
	s_wait_alu 0xf1ff
	v_cndmask_b32_e64 v53, 0, v53, s0
	v_cmp_gt_i32_e64 s0, s25, v43
	s_wait_alu 0xf1ff
	s_delay_alu instid0(VALU_DEP_1) | instskip(SKIP_2) | instid1(VALU_DEP_1)
	v_cndmask_b32_e64 v2, 0, v2, s0
	v_cmp_gt_i32_e64 s0, s25, v38
	s_wait_alu 0xf1ff
	v_cndmask_b32_e64 v52, 0, v52, s0
	v_cmp_gt_i32_e64 s0, s25, v40
	s_wait_alu 0xf1ff
	s_delay_alu instid0(VALU_DEP_1) | instskip(SKIP_2) | instid1(VALU_DEP_1)
	v_cndmask_b32_e64 v54, 0, v54, s0
	v_cmp_gt_i32_e64 s0, s25, v30
	s_wait_alu 0xf1ff
	v_cndmask_b32_e64 v4, 0, v4, s0
	v_cmp_gt_i32_e64 s0, s25, v35
	s_delay_alu instid0(VALU_DEP_2) | instskip(SKIP_1) | instid1(VALU_DEP_2)
	v_or_b32_e32 v4, v54, v4
	s_wait_alu 0xf1ff
	v_cndmask_b32_e64 v3, 0, v3, s0
	v_cmp_gt_i32_e64 s0, s25, v33
	s_wait_alu 0xf1ff
	s_delay_alu instid0(VALU_DEP_1)
	v_cndmask_b32_e64 v51, 0, v51, s0
.LBB123_39:                             ;   in Loop: Header=BB123_29 Depth=1
	s_wait_alu 0xfffe
	s_or_b32 exec_lo, exec_lo, s4
	v_lshlrev_b32_e32 v53, 16, v53
	v_lshlrev_b32_e32 v52, 16, v52
	;; [unrolled: 1-line block ×3, first 2 shown]
	s_delay_alu instid0(VALU_DEP_3) | instskip(NEXT) | instid1(VALU_DEP_3)
	v_and_or_b32 v1, 0xffff, v1, v53
	v_and_or_b32 v2, 0xffff, v2, v52
	s_delay_alu instid0(VALU_DEP_3)
	v_and_or_b32 v3, 0xffff, v3, v51
	;;#ASMSTART
	v_pk_mul_f16 v1, v34, v1;

	;;#ASMEND
	;;#ASMSTART
	v_pk_mul_f16 v2, v32, v2;

	;;#ASMEND
	;; [unrolled: 4-line block ×4, first 2 shown]
	;;#ASMSTART
	v_pk_add_f16 v1, v1, v2;

	;;#ASMEND
	;;#ASMSTART
	v_pk_add_f16 v1, v1, v3;

	;;#ASMEND
	;; [unrolled: 4-line block ×3, first 2 shown]
	v_and_b32_e32 v2, 0xffff, v1
	v_lshrrev_b32_e32 v1, 16, v1
	;;#ASMSTART
	v_cvt_f32_f16 v51, v2;
	;;#ASMEND
	;;#ASMSTART
	v_cvt_f32_f16 v52, v1;
	;;#ASMEND
	global_load_b128 v[1:4], v[7:8], off offset:2560
	s_wait_loadcnt 0x0
	v_lshrrev_b32_e32 v55, 16, v1
	v_lshrrev_b32_e32 v54, 16, v2
	;; [unrolled: 1-line block ×3, first 2 shown]
	s_and_saveexec_b32 s4, vcc_lo
	s_cbranch_execz .LBB123_41
; %bb.40:                               ;   in Loop: Header=BB123_29 Depth=1
	v_cmp_gt_i32_e64 s0, s25, v42
	v_and_b32_e32 v56, 0xffff, v4
	v_and_b32_e32 v4, 0xffff0000, v4
	s_wait_alu 0xf1ff
	s_delay_alu instid0(VALU_DEP_3) | instskip(SKIP_2) | instid1(VALU_DEP_1)
	v_cndmask_b32_e64 v1, 0, v1, s0
	v_cmp_gt_i32_e64 s0, s25, v44
	s_wait_alu 0xf1ff
	v_cndmask_b32_e64 v55, 0, v55, s0
	v_cmp_gt_i32_e64 s0, s25, v43
	s_wait_alu 0xf1ff
	s_delay_alu instid0(VALU_DEP_1) | instskip(SKIP_2) | instid1(VALU_DEP_1)
	v_cndmask_b32_e64 v2, 0, v2, s0
	v_cmp_gt_i32_e64 s0, s25, v38
	s_wait_alu 0xf1ff
	v_cndmask_b32_e64 v54, 0, v54, s0
	v_cmp_gt_i32_e64 s0, s25, v40
	s_wait_alu 0xf1ff
	s_delay_alu instid0(VALU_DEP_1) | instskip(SKIP_2) | instid1(VALU_DEP_1)
	v_cndmask_b32_e64 v56, 0, v56, s0
	v_cmp_gt_i32_e64 s0, s25, v30
	s_wait_alu 0xf1ff
	v_cndmask_b32_e64 v4, 0, v4, s0
	v_cmp_gt_i32_e64 s0, s25, v35
	s_delay_alu instid0(VALU_DEP_2) | instskip(SKIP_1) | instid1(VALU_DEP_2)
	v_or_b32_e32 v4, v56, v4
	s_wait_alu 0xf1ff
	v_cndmask_b32_e64 v3, 0, v3, s0
	v_cmp_gt_i32_e64 s0, s25, v33
	s_wait_alu 0xf1ff
	s_delay_alu instid0(VALU_DEP_1)
	v_cndmask_b32_e64 v53, 0, v53, s0
.LBB123_41:                             ;   in Loop: Header=BB123_29 Depth=1
	s_wait_alu 0xfffe
	s_or_b32 exec_lo, exec_lo, s4
	v_lshlrev_b32_e32 v55, 16, v55
	v_lshlrev_b32_e32 v54, 16, v54
	v_lshlrev_b32_e32 v53, 16, v53
	s_delay_alu instid0(VALU_DEP_3) | instskip(NEXT) | instid1(VALU_DEP_3)
	v_and_or_b32 v1, 0xffff, v1, v55
	v_and_or_b32 v2, 0xffff, v2, v54
	s_delay_alu instid0(VALU_DEP_3)
	v_and_or_b32 v3, 0xffff, v3, v53
	;;#ASMSTART
	v_pk_mul_f16 v1, v34, v1;

	;;#ASMEND
	;;#ASMSTART
	v_pk_mul_f16 v2, v32, v2;

	;;#ASMEND
	;; [unrolled: 4-line block ×4, first 2 shown]
	;;#ASMSTART
	v_pk_add_f16 v1, v1, v2;

	;;#ASMEND
	;;#ASMSTART
	v_pk_add_f16 v1, v1, v3;

	;;#ASMEND
	;; [unrolled: 4-line block ×3, first 2 shown]
	v_and_b32_e32 v2, 0xffff, v1
	v_lshrrev_b32_e32 v1, 16, v1
	;;#ASMSTART
	v_cvt_f32_f16 v53, v2;
	;;#ASMEND
	;;#ASMSTART
	v_cvt_f32_f16 v54, v1;
	;;#ASMEND
	global_load_b128 v[1:4], v[7:8], off offset:3072
	s_wait_loadcnt 0x0
	v_lshrrev_b32_e32 v57, 16, v1
	v_lshrrev_b32_e32 v56, 16, v2
	;; [unrolled: 1-line block ×3, first 2 shown]
	s_and_saveexec_b32 s4, vcc_lo
	s_cbranch_execz .LBB123_43
; %bb.42:                               ;   in Loop: Header=BB123_29 Depth=1
	v_cmp_gt_i32_e64 s0, s25, v42
	v_and_b32_e32 v58, 0xffff, v4
	v_and_b32_e32 v4, 0xffff0000, v4
	s_wait_alu 0xf1ff
	s_delay_alu instid0(VALU_DEP_3) | instskip(SKIP_2) | instid1(VALU_DEP_1)
	v_cndmask_b32_e64 v1, 0, v1, s0
	v_cmp_gt_i32_e64 s0, s25, v44
	s_wait_alu 0xf1ff
	v_cndmask_b32_e64 v57, 0, v57, s0
	v_cmp_gt_i32_e64 s0, s25, v43
	s_wait_alu 0xf1ff
	s_delay_alu instid0(VALU_DEP_1) | instskip(SKIP_2) | instid1(VALU_DEP_1)
	v_cndmask_b32_e64 v2, 0, v2, s0
	v_cmp_gt_i32_e64 s0, s25, v38
	s_wait_alu 0xf1ff
	v_cndmask_b32_e64 v56, 0, v56, s0
	v_cmp_gt_i32_e64 s0, s25, v40
	s_wait_alu 0xf1ff
	s_delay_alu instid0(VALU_DEP_1) | instskip(SKIP_2) | instid1(VALU_DEP_1)
	v_cndmask_b32_e64 v58, 0, v58, s0
	v_cmp_gt_i32_e64 s0, s25, v30
	s_wait_alu 0xf1ff
	v_cndmask_b32_e64 v4, 0, v4, s0
	v_cmp_gt_i32_e64 s0, s25, v35
	s_delay_alu instid0(VALU_DEP_2) | instskip(SKIP_1) | instid1(VALU_DEP_2)
	v_or_b32_e32 v4, v58, v4
	s_wait_alu 0xf1ff
	v_cndmask_b32_e64 v3, 0, v3, s0
	v_cmp_gt_i32_e64 s0, s25, v33
	s_wait_alu 0xf1ff
	s_delay_alu instid0(VALU_DEP_1)
	v_cndmask_b32_e64 v55, 0, v55, s0
.LBB123_43:                             ;   in Loop: Header=BB123_29 Depth=1
	s_wait_alu 0xfffe
	s_or_b32 exec_lo, exec_lo, s4
	v_lshlrev_b32_e32 v57, 16, v57
	v_lshlrev_b32_e32 v56, 16, v56
	;; [unrolled: 1-line block ×3, first 2 shown]
	s_delay_alu instid0(VALU_DEP_3) | instskip(NEXT) | instid1(VALU_DEP_3)
	v_and_or_b32 v1, 0xffff, v1, v57
	v_and_or_b32 v2, 0xffff, v2, v56
	s_delay_alu instid0(VALU_DEP_3)
	v_and_or_b32 v3, 0xffff, v3, v55
	;;#ASMSTART
	v_pk_mul_f16 v1, v34, v1;

	;;#ASMEND
	;;#ASMSTART
	v_pk_mul_f16 v2, v32, v2;

	;;#ASMEND
	;; [unrolled: 4-line block ×4, first 2 shown]
	;;#ASMSTART
	v_pk_add_f16 v1, v1, v2;

	;;#ASMEND
	;;#ASMSTART
	v_pk_add_f16 v1, v1, v3;

	;;#ASMEND
	;; [unrolled: 4-line block ×3, first 2 shown]
	v_and_b32_e32 v2, 0xffff, v1
	v_lshrrev_b32_e32 v1, 16, v1
	;;#ASMSTART
	v_cvt_f32_f16 v55, v2;
	;;#ASMEND
	;;#ASMSTART
	v_cvt_f32_f16 v56, v1;
	;;#ASMEND
	global_load_b128 v[1:4], v[7:8], off offset:3584
	s_wait_loadcnt 0x0
	v_lshrrev_b32_e32 v59, 16, v1
	v_lshrrev_b32_e32 v58, 16, v2
	;; [unrolled: 1-line block ×3, first 2 shown]
	s_and_saveexec_b32 s4, vcc_lo
	s_cbranch_execz .LBB123_45
; %bb.44:                               ;   in Loop: Header=BB123_29 Depth=1
	v_cmp_gt_i32_e64 s0, s25, v42
	v_and_b32_e32 v60, 0xffff, v4
	v_and_b32_e32 v4, 0xffff0000, v4
	s_wait_alu 0xf1ff
	s_delay_alu instid0(VALU_DEP_3) | instskip(SKIP_2) | instid1(VALU_DEP_1)
	v_cndmask_b32_e64 v1, 0, v1, s0
	v_cmp_gt_i32_e64 s0, s25, v44
	s_wait_alu 0xf1ff
	v_cndmask_b32_e64 v59, 0, v59, s0
	v_cmp_gt_i32_e64 s0, s25, v43
	s_wait_alu 0xf1ff
	s_delay_alu instid0(VALU_DEP_1) | instskip(SKIP_2) | instid1(VALU_DEP_1)
	v_cndmask_b32_e64 v2, 0, v2, s0
	v_cmp_gt_i32_e64 s0, s25, v38
	s_wait_alu 0xf1ff
	v_cndmask_b32_e64 v58, 0, v58, s0
	v_cmp_gt_i32_e64 s0, s25, v40
	s_wait_alu 0xf1ff
	s_delay_alu instid0(VALU_DEP_1) | instskip(SKIP_2) | instid1(VALU_DEP_1)
	v_cndmask_b32_e64 v60, 0, v60, s0
	v_cmp_gt_i32_e64 s0, s25, v30
	s_wait_alu 0xf1ff
	v_cndmask_b32_e64 v4, 0, v4, s0
	v_cmp_gt_i32_e64 s0, s25, v35
	s_delay_alu instid0(VALU_DEP_2) | instskip(SKIP_1) | instid1(VALU_DEP_2)
	v_or_b32_e32 v4, v60, v4
	s_wait_alu 0xf1ff
	v_cndmask_b32_e64 v3, 0, v3, s0
	v_cmp_gt_i32_e64 s0, s25, v33
	s_wait_alu 0xf1ff
	s_delay_alu instid0(VALU_DEP_1)
	v_cndmask_b32_e64 v57, 0, v57, s0
.LBB123_45:                             ;   in Loop: Header=BB123_29 Depth=1
	s_wait_alu 0xfffe
	s_or_b32 exec_lo, exec_lo, s4
	v_lshlrev_b32_e32 v59, 16, v59
	v_lshlrev_b32_e32 v58, 16, v58
	;; [unrolled: 1-line block ×3, first 2 shown]
	s_delay_alu instid0(VALU_DEP_3) | instskip(NEXT) | instid1(VALU_DEP_3)
	v_and_or_b32 v1, 0xffff, v1, v59
	v_and_or_b32 v2, 0xffff, v2, v58
	s_delay_alu instid0(VALU_DEP_3)
	v_and_or_b32 v3, 0xffff, v3, v57
	;;#ASMSTART
	v_pk_mul_f16 v1, v34, v1;

	;;#ASMEND
	;;#ASMSTART
	v_pk_mul_f16 v2, v32, v2;

	;;#ASMEND
	;; [unrolled: 4-line block ×4, first 2 shown]
	;;#ASMSTART
	v_pk_add_f16 v1, v1, v2;

	;;#ASMEND
	;;#ASMSTART
	v_pk_add_f16 v1, v1, v3;

	;;#ASMEND
	;; [unrolled: 4-line block ×3, first 2 shown]
	v_and_b32_e32 v2, 0xffff, v1
	v_lshrrev_b32_e32 v1, 16, v1
	;;#ASMSTART
	v_cvt_f32_f16 v57, v2;
	;;#ASMEND
	;;#ASMSTART
	v_cvt_f32_f16 v58, v1;
	;;#ASMEND
	global_load_b128 v[1:4], v[7:8], off offset:4096
	s_wait_loadcnt 0x0
	v_lshrrev_b32_e32 v61, 16, v1
	v_lshrrev_b32_e32 v60, 16, v2
	;; [unrolled: 1-line block ×3, first 2 shown]
	s_and_saveexec_b32 s4, vcc_lo
	s_cbranch_execz .LBB123_47
; %bb.46:                               ;   in Loop: Header=BB123_29 Depth=1
	v_cmp_gt_i32_e64 s0, s25, v42
	v_and_b32_e32 v62, 0xffff, v4
	v_and_b32_e32 v4, 0xffff0000, v4
	s_wait_alu 0xf1ff
	s_delay_alu instid0(VALU_DEP_3) | instskip(SKIP_2) | instid1(VALU_DEP_1)
	v_cndmask_b32_e64 v1, 0, v1, s0
	v_cmp_gt_i32_e64 s0, s25, v44
	s_wait_alu 0xf1ff
	v_cndmask_b32_e64 v61, 0, v61, s0
	v_cmp_gt_i32_e64 s0, s25, v43
	s_wait_alu 0xf1ff
	s_delay_alu instid0(VALU_DEP_1) | instskip(SKIP_2) | instid1(VALU_DEP_1)
	v_cndmask_b32_e64 v2, 0, v2, s0
	v_cmp_gt_i32_e64 s0, s25, v38
	s_wait_alu 0xf1ff
	v_cndmask_b32_e64 v60, 0, v60, s0
	v_cmp_gt_i32_e64 s0, s25, v40
	s_wait_alu 0xf1ff
	s_delay_alu instid0(VALU_DEP_1) | instskip(SKIP_2) | instid1(VALU_DEP_1)
	v_cndmask_b32_e64 v62, 0, v62, s0
	v_cmp_gt_i32_e64 s0, s25, v30
	s_wait_alu 0xf1ff
	v_cndmask_b32_e64 v4, 0, v4, s0
	v_cmp_gt_i32_e64 s0, s25, v35
	s_delay_alu instid0(VALU_DEP_2) | instskip(SKIP_1) | instid1(VALU_DEP_2)
	v_or_b32_e32 v4, v62, v4
	s_wait_alu 0xf1ff
	v_cndmask_b32_e64 v3, 0, v3, s0
	v_cmp_gt_i32_e64 s0, s25, v33
	s_wait_alu 0xf1ff
	s_delay_alu instid0(VALU_DEP_1)
	v_cndmask_b32_e64 v59, 0, v59, s0
.LBB123_47:                             ;   in Loop: Header=BB123_29 Depth=1
	s_wait_alu 0xfffe
	s_or_b32 exec_lo, exec_lo, s4
	v_lshlrev_b32_e32 v61, 16, v61
	v_lshlrev_b32_e32 v60, 16, v60
	;; [unrolled: 1-line block ×3, first 2 shown]
	s_delay_alu instid0(VALU_DEP_3) | instskip(NEXT) | instid1(VALU_DEP_3)
	v_and_or_b32 v1, 0xffff, v1, v61
	v_and_or_b32 v2, 0xffff, v2, v60
	s_delay_alu instid0(VALU_DEP_3)
	v_and_or_b32 v3, 0xffff, v3, v59
	;;#ASMSTART
	v_pk_mul_f16 v1, v34, v1;

	;;#ASMEND
	;;#ASMSTART
	v_pk_mul_f16 v2, v32, v2;

	;;#ASMEND
	;; [unrolled: 4-line block ×4, first 2 shown]
	;;#ASMSTART
	v_pk_add_f16 v1, v1, v2;

	;;#ASMEND
	;;#ASMSTART
	v_pk_add_f16 v1, v1, v3;

	;;#ASMEND
	;; [unrolled: 4-line block ×3, first 2 shown]
	v_and_b32_e32 v2, 0xffff, v1
	v_lshrrev_b32_e32 v1, 16, v1
	;;#ASMSTART
	v_cvt_f32_f16 v59, v2;
	;;#ASMEND
	;;#ASMSTART
	v_cvt_f32_f16 v60, v1;
	;;#ASMEND
	global_load_b128 v[1:4], v[7:8], off offset:4608
	s_wait_loadcnt 0x0
	v_lshrrev_b32_e32 v66, 16, v1
	v_lshrrev_b32_e32 v62, 16, v2
	;; [unrolled: 1-line block ×3, first 2 shown]
	s_and_saveexec_b32 s4, vcc_lo
	s_cbranch_execz .LBB123_49
; %bb.48:                               ;   in Loop: Header=BB123_29 Depth=1
	v_cmp_gt_i32_e64 s0, s25, v42
	v_and_b32_e32 v67, 0xffff, v4
	v_and_b32_e32 v4, 0xffff0000, v4
	s_wait_alu 0xf1ff
	s_delay_alu instid0(VALU_DEP_3) | instskip(SKIP_2) | instid1(VALU_DEP_1)
	v_cndmask_b32_e64 v1, 0, v1, s0
	v_cmp_gt_i32_e64 s0, s25, v44
	s_wait_alu 0xf1ff
	v_cndmask_b32_e64 v66, 0, v66, s0
	v_cmp_gt_i32_e64 s0, s25, v43
	s_wait_alu 0xf1ff
	s_delay_alu instid0(VALU_DEP_1) | instskip(SKIP_2) | instid1(VALU_DEP_1)
	v_cndmask_b32_e64 v2, 0, v2, s0
	v_cmp_gt_i32_e64 s0, s25, v38
	s_wait_alu 0xf1ff
	v_cndmask_b32_e64 v62, 0, v62, s0
	v_cmp_gt_i32_e64 s0, s25, v40
	s_wait_alu 0xf1ff
	s_delay_alu instid0(VALU_DEP_1) | instskip(SKIP_2) | instid1(VALU_DEP_1)
	v_cndmask_b32_e64 v67, 0, v67, s0
	v_cmp_gt_i32_e64 s0, s25, v30
	s_wait_alu 0xf1ff
	v_cndmask_b32_e64 v4, 0, v4, s0
	v_cmp_gt_i32_e64 s0, s25, v35
	s_delay_alu instid0(VALU_DEP_2) | instskip(SKIP_1) | instid1(VALU_DEP_2)
	v_or_b32_e32 v4, v67, v4
	s_wait_alu 0xf1ff
	v_cndmask_b32_e64 v3, 0, v3, s0
	v_cmp_gt_i32_e64 s0, s25, v33
	s_wait_alu 0xf1ff
	s_delay_alu instid0(VALU_DEP_1)
	v_cndmask_b32_e64 v61, 0, v61, s0
.LBB123_49:                             ;   in Loop: Header=BB123_29 Depth=1
	s_wait_alu 0xfffe
	s_or_b32 exec_lo, exec_lo, s4
	v_lshlrev_b32_e32 v66, 16, v66
	v_lshlrev_b32_e32 v62, 16, v62
	;; [unrolled: 1-line block ×3, first 2 shown]
	s_delay_alu instid0(VALU_DEP_3) | instskip(NEXT) | instid1(VALU_DEP_3)
	v_and_or_b32 v1, 0xffff, v1, v66
	v_and_or_b32 v2, 0xffff, v2, v62
	s_delay_alu instid0(VALU_DEP_3)
	v_and_or_b32 v3, 0xffff, v3, v61
	;;#ASMSTART
	v_pk_mul_f16 v1, v34, v1;

	;;#ASMEND
	;;#ASMSTART
	v_pk_mul_f16 v2, v32, v2;

	;;#ASMEND
	;; [unrolled: 4-line block ×4, first 2 shown]
	;;#ASMSTART
	v_pk_add_f16 v1, v1, v2;

	;;#ASMEND
	;;#ASMSTART
	v_pk_add_f16 v1, v1, v3;

	;;#ASMEND
	;; [unrolled: 4-line block ×3, first 2 shown]
	v_and_b32_e32 v2, 0xffff, v1
	v_lshrrev_b32_e32 v1, 16, v1
	;;#ASMSTART
	v_cvt_f32_f16 v61, v2;
	;;#ASMEND
	;;#ASMSTART
	v_cvt_f32_f16 v62, v1;
	;;#ASMEND
	global_load_b128 v[1:4], v[7:8], off offset:5120
	s_wait_loadcnt 0x0
	v_lshrrev_b32_e32 v68, 16, v1
	v_lshrrev_b32_e32 v67, 16, v2
	;; [unrolled: 1-line block ×3, first 2 shown]
	s_and_saveexec_b32 s4, vcc_lo
	s_cbranch_execz .LBB123_51
; %bb.50:                               ;   in Loop: Header=BB123_29 Depth=1
	v_cmp_gt_i32_e64 s0, s25, v42
	v_and_b32_e32 v69, 0xffff, v4
	v_and_b32_e32 v4, 0xffff0000, v4
	s_wait_alu 0xf1ff
	s_delay_alu instid0(VALU_DEP_3) | instskip(SKIP_2) | instid1(VALU_DEP_1)
	v_cndmask_b32_e64 v1, 0, v1, s0
	v_cmp_gt_i32_e64 s0, s25, v44
	s_wait_alu 0xf1ff
	v_cndmask_b32_e64 v68, 0, v68, s0
	v_cmp_gt_i32_e64 s0, s25, v43
	s_wait_alu 0xf1ff
	s_delay_alu instid0(VALU_DEP_1) | instskip(SKIP_2) | instid1(VALU_DEP_1)
	v_cndmask_b32_e64 v2, 0, v2, s0
	v_cmp_gt_i32_e64 s0, s25, v38
	s_wait_alu 0xf1ff
	v_cndmask_b32_e64 v67, 0, v67, s0
	v_cmp_gt_i32_e64 s0, s25, v40
	s_wait_alu 0xf1ff
	s_delay_alu instid0(VALU_DEP_1) | instskip(SKIP_2) | instid1(VALU_DEP_1)
	v_cndmask_b32_e64 v69, 0, v69, s0
	v_cmp_gt_i32_e64 s0, s25, v30
	s_wait_alu 0xf1ff
	v_cndmask_b32_e64 v4, 0, v4, s0
	v_cmp_gt_i32_e64 s0, s25, v35
	s_delay_alu instid0(VALU_DEP_2) | instskip(SKIP_1) | instid1(VALU_DEP_2)
	v_or_b32_e32 v4, v69, v4
	s_wait_alu 0xf1ff
	v_cndmask_b32_e64 v3, 0, v3, s0
	v_cmp_gt_i32_e64 s0, s25, v33
	s_wait_alu 0xf1ff
	s_delay_alu instid0(VALU_DEP_1)
	v_cndmask_b32_e64 v66, 0, v66, s0
.LBB123_51:                             ;   in Loop: Header=BB123_29 Depth=1
	s_wait_alu 0xfffe
	s_or_b32 exec_lo, exec_lo, s4
	v_lshlrev_b32_e32 v68, 16, v68
	v_lshlrev_b32_e32 v67, 16, v67
	;; [unrolled: 1-line block ×3, first 2 shown]
	s_delay_alu instid0(VALU_DEP_3) | instskip(NEXT) | instid1(VALU_DEP_3)
	v_and_or_b32 v1, 0xffff, v1, v68
	v_and_or_b32 v2, 0xffff, v2, v67
	s_delay_alu instid0(VALU_DEP_3)
	v_and_or_b32 v3, 0xffff, v3, v66
	;;#ASMSTART
	v_pk_mul_f16 v1, v34, v1;

	;;#ASMEND
	;;#ASMSTART
	v_pk_mul_f16 v2, v32, v2;

	;;#ASMEND
	;; [unrolled: 4-line block ×4, first 2 shown]
	;;#ASMSTART
	v_pk_add_f16 v1, v1, v2;

	;;#ASMEND
	;;#ASMSTART
	v_pk_add_f16 v1, v1, v3;

	;;#ASMEND
	;; [unrolled: 4-line block ×3, first 2 shown]
	v_and_b32_e32 v2, 0xffff, v1
	v_lshrrev_b32_e32 v1, 16, v1
	;;#ASMSTART
	v_cvt_f32_f16 v66, v2;
	;;#ASMEND
	;;#ASMSTART
	v_cvt_f32_f16 v67, v1;
	;;#ASMEND
	global_load_b128 v[1:4], v[7:8], off offset:5632
	s_wait_loadcnt 0x0
	v_lshrrev_b32_e32 v70, 16, v1
	v_lshrrev_b32_e32 v69, 16, v2
	;; [unrolled: 1-line block ×3, first 2 shown]
	s_and_saveexec_b32 s4, vcc_lo
	s_cbranch_execz .LBB123_53
; %bb.52:                               ;   in Loop: Header=BB123_29 Depth=1
	v_cmp_gt_i32_e64 s0, s25, v42
	v_and_b32_e32 v71, 0xffff, v4
	v_and_b32_e32 v4, 0xffff0000, v4
	s_wait_alu 0xf1ff
	s_delay_alu instid0(VALU_DEP_3) | instskip(SKIP_2) | instid1(VALU_DEP_1)
	v_cndmask_b32_e64 v1, 0, v1, s0
	v_cmp_gt_i32_e64 s0, s25, v44
	s_wait_alu 0xf1ff
	v_cndmask_b32_e64 v70, 0, v70, s0
	v_cmp_gt_i32_e64 s0, s25, v43
	s_wait_alu 0xf1ff
	s_delay_alu instid0(VALU_DEP_1) | instskip(SKIP_2) | instid1(VALU_DEP_1)
	v_cndmask_b32_e64 v2, 0, v2, s0
	v_cmp_gt_i32_e64 s0, s25, v38
	s_wait_alu 0xf1ff
	v_cndmask_b32_e64 v69, 0, v69, s0
	v_cmp_gt_i32_e64 s0, s25, v40
	s_wait_alu 0xf1ff
	s_delay_alu instid0(VALU_DEP_1) | instskip(SKIP_2) | instid1(VALU_DEP_1)
	v_cndmask_b32_e64 v71, 0, v71, s0
	v_cmp_gt_i32_e64 s0, s25, v30
	s_wait_alu 0xf1ff
	v_cndmask_b32_e64 v4, 0, v4, s0
	v_cmp_gt_i32_e64 s0, s25, v35
	s_delay_alu instid0(VALU_DEP_2) | instskip(SKIP_1) | instid1(VALU_DEP_2)
	v_or_b32_e32 v4, v71, v4
	s_wait_alu 0xf1ff
	v_cndmask_b32_e64 v3, 0, v3, s0
	v_cmp_gt_i32_e64 s0, s25, v33
	s_wait_alu 0xf1ff
	s_delay_alu instid0(VALU_DEP_1)
	v_cndmask_b32_e64 v68, 0, v68, s0
.LBB123_53:                             ;   in Loop: Header=BB123_29 Depth=1
	s_wait_alu 0xfffe
	s_or_b32 exec_lo, exec_lo, s4
	v_lshlrev_b32_e32 v70, 16, v70
	v_lshlrev_b32_e32 v69, 16, v69
	;; [unrolled: 1-line block ×3, first 2 shown]
	s_delay_alu instid0(VALU_DEP_3) | instskip(NEXT) | instid1(VALU_DEP_3)
	v_and_or_b32 v1, 0xffff, v1, v70
	v_and_or_b32 v2, 0xffff, v2, v69
	s_delay_alu instid0(VALU_DEP_3)
	v_and_or_b32 v3, 0xffff, v3, v68
	;;#ASMSTART
	v_pk_mul_f16 v1, v34, v1;

	;;#ASMEND
	;;#ASMSTART
	v_pk_mul_f16 v2, v32, v2;

	;;#ASMEND
	;; [unrolled: 4-line block ×4, first 2 shown]
	;;#ASMSTART
	v_pk_add_f16 v1, v1, v2;

	;;#ASMEND
	;;#ASMSTART
	v_pk_add_f16 v1, v1, v3;

	;;#ASMEND
	;; [unrolled: 4-line block ×3, first 2 shown]
	v_and_b32_e32 v2, 0xffff, v1
	v_lshrrev_b32_e32 v1, 16, v1
	;;#ASMSTART
	v_cvt_f32_f16 v68, v2;
	;;#ASMEND
	;;#ASMSTART
	v_cvt_f32_f16 v69, v1;
	;;#ASMEND
	global_load_b128 v[1:4], v[7:8], off offset:6144
	s_wait_loadcnt 0x0
	v_lshrrev_b32_e32 v72, 16, v1
	v_lshrrev_b32_e32 v71, 16, v2
	;; [unrolled: 1-line block ×3, first 2 shown]
	s_and_saveexec_b32 s4, vcc_lo
	s_cbranch_execz .LBB123_55
; %bb.54:                               ;   in Loop: Header=BB123_29 Depth=1
	v_cmp_gt_i32_e64 s0, s25, v42
	v_and_b32_e32 v73, 0xffff, v4
	v_and_b32_e32 v4, 0xffff0000, v4
	s_wait_alu 0xf1ff
	s_delay_alu instid0(VALU_DEP_3) | instskip(SKIP_2) | instid1(VALU_DEP_1)
	v_cndmask_b32_e64 v1, 0, v1, s0
	v_cmp_gt_i32_e64 s0, s25, v44
	s_wait_alu 0xf1ff
	v_cndmask_b32_e64 v72, 0, v72, s0
	v_cmp_gt_i32_e64 s0, s25, v43
	s_wait_alu 0xf1ff
	s_delay_alu instid0(VALU_DEP_1) | instskip(SKIP_2) | instid1(VALU_DEP_1)
	v_cndmask_b32_e64 v2, 0, v2, s0
	v_cmp_gt_i32_e64 s0, s25, v38
	s_wait_alu 0xf1ff
	v_cndmask_b32_e64 v71, 0, v71, s0
	v_cmp_gt_i32_e64 s0, s25, v40
	s_wait_alu 0xf1ff
	s_delay_alu instid0(VALU_DEP_1) | instskip(SKIP_2) | instid1(VALU_DEP_1)
	v_cndmask_b32_e64 v73, 0, v73, s0
	v_cmp_gt_i32_e64 s0, s25, v30
	s_wait_alu 0xf1ff
	v_cndmask_b32_e64 v4, 0, v4, s0
	v_cmp_gt_i32_e64 s0, s25, v35
	s_delay_alu instid0(VALU_DEP_2) | instskip(SKIP_1) | instid1(VALU_DEP_2)
	v_or_b32_e32 v4, v73, v4
	s_wait_alu 0xf1ff
	v_cndmask_b32_e64 v3, 0, v3, s0
	v_cmp_gt_i32_e64 s0, s25, v33
	s_wait_alu 0xf1ff
	s_delay_alu instid0(VALU_DEP_1)
	v_cndmask_b32_e64 v70, 0, v70, s0
.LBB123_55:                             ;   in Loop: Header=BB123_29 Depth=1
	s_wait_alu 0xfffe
	s_or_b32 exec_lo, exec_lo, s4
	v_lshlrev_b32_e32 v72, 16, v72
	v_lshlrev_b32_e32 v71, 16, v71
	;; [unrolled: 1-line block ×3, first 2 shown]
	s_delay_alu instid0(VALU_DEP_3) | instskip(NEXT) | instid1(VALU_DEP_3)
	v_and_or_b32 v1, 0xffff, v1, v72
	v_and_or_b32 v2, 0xffff, v2, v71
	s_delay_alu instid0(VALU_DEP_3)
	v_and_or_b32 v3, 0xffff, v3, v70
	;;#ASMSTART
	v_pk_mul_f16 v1, v34, v1;

	;;#ASMEND
	;;#ASMSTART
	v_pk_mul_f16 v2, v32, v2;

	;;#ASMEND
	;;#ASMSTART
	v_pk_mul_f16 v3, v36, v3;

	;;#ASMEND
	;;#ASMSTART
	v_pk_mul_f16 v4, v37, v4;

	;;#ASMEND
	;;#ASMSTART
	v_pk_add_f16 v1, v1, v2;

	;;#ASMEND
	;;#ASMSTART
	v_pk_add_f16 v1, v1, v3;

	;;#ASMEND
	;; [unrolled: 4-line block ×3, first 2 shown]
	v_and_b32_e32 v2, 0xffff, v1
	v_lshrrev_b32_e32 v1, 16, v1
	;;#ASMSTART
	v_cvt_f32_f16 v70, v2;
	;;#ASMEND
	;;#ASMSTART
	v_cvt_f32_f16 v71, v1;
	;;#ASMEND
	global_load_b128 v[1:4], v[7:8], off offset:6656
	s_wait_loadcnt 0x0
	v_lshrrev_b32_e32 v74, 16, v1
	v_lshrrev_b32_e32 v73, 16, v2
	;; [unrolled: 1-line block ×3, first 2 shown]
	s_and_saveexec_b32 s4, vcc_lo
	s_cbranch_execz .LBB123_57
; %bb.56:                               ;   in Loop: Header=BB123_29 Depth=1
	v_cmp_gt_i32_e64 s0, s25, v42
	v_and_b32_e32 v75, 0xffff, v4
	v_and_b32_e32 v4, 0xffff0000, v4
	s_wait_alu 0xf1ff
	s_delay_alu instid0(VALU_DEP_3) | instskip(SKIP_2) | instid1(VALU_DEP_1)
	v_cndmask_b32_e64 v1, 0, v1, s0
	v_cmp_gt_i32_e64 s0, s25, v44
	s_wait_alu 0xf1ff
	v_cndmask_b32_e64 v74, 0, v74, s0
	v_cmp_gt_i32_e64 s0, s25, v43
	s_wait_alu 0xf1ff
	s_delay_alu instid0(VALU_DEP_1) | instskip(SKIP_2) | instid1(VALU_DEP_1)
	v_cndmask_b32_e64 v2, 0, v2, s0
	v_cmp_gt_i32_e64 s0, s25, v38
	s_wait_alu 0xf1ff
	v_cndmask_b32_e64 v73, 0, v73, s0
	v_cmp_gt_i32_e64 s0, s25, v40
	s_wait_alu 0xf1ff
	s_delay_alu instid0(VALU_DEP_1) | instskip(SKIP_2) | instid1(VALU_DEP_1)
	v_cndmask_b32_e64 v75, 0, v75, s0
	v_cmp_gt_i32_e64 s0, s25, v30
	s_wait_alu 0xf1ff
	v_cndmask_b32_e64 v4, 0, v4, s0
	v_cmp_gt_i32_e64 s0, s25, v35
	s_delay_alu instid0(VALU_DEP_2) | instskip(SKIP_1) | instid1(VALU_DEP_2)
	v_or_b32_e32 v4, v75, v4
	s_wait_alu 0xf1ff
	v_cndmask_b32_e64 v3, 0, v3, s0
	v_cmp_gt_i32_e64 s0, s25, v33
	s_wait_alu 0xf1ff
	s_delay_alu instid0(VALU_DEP_1)
	v_cndmask_b32_e64 v72, 0, v72, s0
.LBB123_57:                             ;   in Loop: Header=BB123_29 Depth=1
	s_wait_alu 0xfffe
	s_or_b32 exec_lo, exec_lo, s4
	v_lshlrev_b32_e32 v74, 16, v74
	v_lshlrev_b32_e32 v73, 16, v73
	;; [unrolled: 1-line block ×3, first 2 shown]
	s_delay_alu instid0(VALU_DEP_3) | instskip(NEXT) | instid1(VALU_DEP_3)
	v_and_or_b32 v1, 0xffff, v1, v74
	v_and_or_b32 v2, 0xffff, v2, v73
	s_delay_alu instid0(VALU_DEP_3)
	v_and_or_b32 v3, 0xffff, v3, v72
	;;#ASMSTART
	v_pk_mul_f16 v1, v34, v1;

	;;#ASMEND
	;;#ASMSTART
	v_pk_mul_f16 v2, v32, v2;

	;;#ASMEND
	;; [unrolled: 4-line block ×4, first 2 shown]
	;;#ASMSTART
	v_pk_add_f16 v1, v1, v2;

	;;#ASMEND
	;;#ASMSTART
	v_pk_add_f16 v1, v1, v3;

	;;#ASMEND
	;; [unrolled: 4-line block ×3, first 2 shown]
	v_and_b32_e32 v2, 0xffff, v1
	v_lshrrev_b32_e32 v1, 16, v1
	;;#ASMSTART
	v_cvt_f32_f16 v72, v2;
	;;#ASMEND
	;;#ASMSTART
	v_cvt_f32_f16 v73, v1;
	;;#ASMEND
	global_load_b128 v[1:4], v[7:8], off offset:7168
	s_wait_loadcnt 0x0
	v_lshrrev_b32_e32 v76, 16, v1
	v_lshrrev_b32_e32 v75, 16, v2
	;; [unrolled: 1-line block ×3, first 2 shown]
	s_and_saveexec_b32 s4, vcc_lo
	s_cbranch_execz .LBB123_59
; %bb.58:                               ;   in Loop: Header=BB123_29 Depth=1
	v_cmp_gt_i32_e64 s0, s25, v42
	v_and_b32_e32 v77, 0xffff, v4
	v_and_b32_e32 v4, 0xffff0000, v4
	s_wait_alu 0xf1ff
	s_delay_alu instid0(VALU_DEP_3) | instskip(SKIP_2) | instid1(VALU_DEP_1)
	v_cndmask_b32_e64 v1, 0, v1, s0
	v_cmp_gt_i32_e64 s0, s25, v44
	s_wait_alu 0xf1ff
	v_cndmask_b32_e64 v76, 0, v76, s0
	v_cmp_gt_i32_e64 s0, s25, v43
	s_wait_alu 0xf1ff
	s_delay_alu instid0(VALU_DEP_1) | instskip(SKIP_2) | instid1(VALU_DEP_1)
	v_cndmask_b32_e64 v2, 0, v2, s0
	v_cmp_gt_i32_e64 s0, s25, v38
	s_wait_alu 0xf1ff
	v_cndmask_b32_e64 v75, 0, v75, s0
	v_cmp_gt_i32_e64 s0, s25, v40
	s_wait_alu 0xf1ff
	s_delay_alu instid0(VALU_DEP_1) | instskip(SKIP_2) | instid1(VALU_DEP_1)
	v_cndmask_b32_e64 v77, 0, v77, s0
	v_cmp_gt_i32_e64 s0, s25, v30
	s_wait_alu 0xf1ff
	v_cndmask_b32_e64 v4, 0, v4, s0
	v_cmp_gt_i32_e64 s0, s25, v35
	s_delay_alu instid0(VALU_DEP_2) | instskip(SKIP_1) | instid1(VALU_DEP_2)
	v_or_b32_e32 v4, v77, v4
	s_wait_alu 0xf1ff
	v_cndmask_b32_e64 v3, 0, v3, s0
	v_cmp_gt_i32_e64 s0, s25, v33
	s_wait_alu 0xf1ff
	s_delay_alu instid0(VALU_DEP_1)
	v_cndmask_b32_e64 v74, 0, v74, s0
.LBB123_59:                             ;   in Loop: Header=BB123_29 Depth=1
	s_wait_alu 0xfffe
	s_or_b32 exec_lo, exec_lo, s4
	v_lshlrev_b32_e32 v76, 16, v76
	v_lshlrev_b32_e32 v75, 16, v75
	;; [unrolled: 1-line block ×3, first 2 shown]
	s_delay_alu instid0(VALU_DEP_3) | instskip(NEXT) | instid1(VALU_DEP_3)
	v_and_or_b32 v1, 0xffff, v1, v76
	v_and_or_b32 v2, 0xffff, v2, v75
	s_delay_alu instid0(VALU_DEP_3)
	v_and_or_b32 v3, 0xffff, v3, v74
	;;#ASMSTART
	v_pk_mul_f16 v1, v34, v1;

	;;#ASMEND
	;;#ASMSTART
	v_pk_mul_f16 v2, v32, v2;

	;;#ASMEND
	;; [unrolled: 4-line block ×4, first 2 shown]
	;;#ASMSTART
	v_pk_add_f16 v1, v1, v2;

	;;#ASMEND
	;;#ASMSTART
	v_pk_add_f16 v1, v1, v3;

	;;#ASMEND
	;; [unrolled: 4-line block ×3, first 2 shown]
	v_and_b32_e32 v2, 0xffff, v1
	v_lshrrev_b32_e32 v1, 16, v1
	;;#ASMSTART
	v_cvt_f32_f16 v75, v2;
	;;#ASMEND
	;;#ASMSTART
	v_cvt_f32_f16 v76, v1;
	;;#ASMEND
	global_load_b128 v[1:4], v[7:8], off offset:7680
	s_wait_loadcnt 0x0
	v_lshrrev_b32_e32 v74, 16, v1
	v_lshrrev_b32_e32 v8, 16, v2
	;; [unrolled: 1-line block ×3, first 2 shown]
	s_and_saveexec_b32 s0, vcc_lo
	s_cbranch_execz .LBB123_28
; %bb.60:                               ;   in Loop: Header=BB123_29 Depth=1
	v_cmp_gt_i32_e32 vcc_lo, s25, v42
	v_and_b32_e32 v42, 0xffff, v4
	s_wait_alu 0xfffd
	v_dual_cndmask_b32 v1, 0, v1 :: v_dual_and_b32 v4, 0xffff0000, v4
	v_cmp_gt_i32_e32 vcc_lo, s25, v44
	s_wait_alu 0xfffd
	v_cndmask_b32_e32 v74, 0, v74, vcc_lo
	v_cmp_gt_i32_e32 vcc_lo, s25, v43
	s_wait_alu 0xfffd
	v_cndmask_b32_e32 v2, 0, v2, vcc_lo
	;; [unrolled: 3-line block ×5, first 2 shown]
	v_cmp_gt_i32_e32 vcc_lo, s25, v35
	s_delay_alu instid0(VALU_DEP_2)
	v_or_b32_e32 v4, v38, v4
	s_wait_alu 0xfffd
	v_cndmask_b32_e32 v3, 0, v3, vcc_lo
	v_cmp_gt_i32_e32 vcc_lo, s25, v33
	s_wait_alu 0xfffd
	v_cndmask_b32_e32 v7, 0, v7, vcc_lo
	s_branch .LBB123_28
.LBB123_61:
	s_or_b32 exec_lo, exec_lo, s3
.LBB123_62:
	s_wait_alu 0xfffe
	s_or_b32 exec_lo, exec_lo, s1
	ds_bpermute_b32 v1, v10, v25
	ds_bpermute_b32 v3, v10, v26
	;; [unrolled: 1-line block ×16, first 2 shown]
	s_mov_b32 s0, exec_lo
	s_wait_storecnt 0x0
	s_wait_loadcnt_dscnt 0x0
	s_barrier_signal -1
	s_barrier_wait -1
	v_add_f32_e32 v1, v25, v1
	v_add_f32_e32 v3, v26, v3
	;; [unrolled: 1-line block ×4, first 2 shown]
	v_dual_add_f32 v19, v19, v28 :: v_dual_add_f32 v18, v18, v29
	v_add_f32_e32 v2, v27, v2
	v_add_f32_e32 v4, v24, v4
	;; [unrolled: 1-line block ×3, first 2 shown]
	ds_bpermute_b32 v22, v9, v1
	ds_bpermute_b32 v24, v9, v3
	;; [unrolled: 1-line block ×3, first 2 shown]
	v_add_f32_e32 v8, v20, v8
	ds_bpermute_b32 v26, v9, v7
	v_dual_add_f32 v28, v17, v30 :: v_dual_add_f32 v33, v14, v33
	v_add_f32_e32 v30, v16, v31
	ds_bpermute_b32 v31, v9, v18
	v_add_f32_e32 v32, v15, v32
	v_add_f32_e32 v34, v13, v34
	;; [unrolled: 1-line block ×3, first 2 shown]
	ds_bpermute_b32 v23, v9, v2
	ds_bpermute_b32 v25, v9, v4
	;; [unrolled: 1-line block ×7, first 2 shown]
	s_wait_dscnt 0x0
	global_inv scope:SCOPE_SE
	v_add_f32_e32 v17, v1, v22
	ds_bpermute_b32 v36, v9, v30
	v_add_f32_e32 v15, v3, v24
	ds_bpermute_b32 v40, v9, v34
	;; [unrolled: 2-line block ×3, first 2 shown]
	v_dual_add_f32 v10, v7, v26 :: v_dual_and_b32 v21, 0x3c3, v0
	v_add_f32_e32 v7, v18, v31
	ds_bpermute_b32 v41, v9, v38
	v_and_b32_e32 v18, 28, v64
	v_add_f32_e32 v16, v2, v23
	v_add_f32_e32 v14, v4, v25
	v_dual_add_f32 v12, v6, v20 :: v_dual_add_f32 v9, v8, v27
	v_dual_add_f32 v8, v19, v29 :: v_dual_add_f32 v5, v28, v35
	v_add_f32_e32 v1, v33, v39
	v_lshrrev_b32_e32 v19, 2, v64
	s_wait_dscnt 0x3
	v_dual_add_f32 v3, v30, v36 :: v_dual_add_nc_u32 v18, 0x120, v18
	v_lshlrev_b32_e32 v20, 9, v63
	s_wait_dscnt 0x2
	v_add_f32_e32 v4, v34, v40
	s_wait_dscnt 0x1
	v_add_f32_e32 v2, v32, v37
	;; [unrolled: 2-line block ×3, first 2 shown]
	v_cmpx_eq_u32_e32 64, v21
	s_cbranch_execz .LBB123_64
; %bb.63:
	v_add_nc_u32_e32 v21, v18, v20
	s_delay_alu instid0(VALU_DEP_1)
	v_add_nc_u32_e32 v22, 0xfffffc00, v21
	v_add_nc_u32_e32 v23, 0xfffffc20, v21
	;; [unrolled: 1-line block ×8, first 2 shown]
	ds_store_b32 v22, v17
	ds_store_b32 v23, v16
	;; [unrolled: 1-line block ×8, first 2 shown]
	v_add_nc_u32_e32 v22, 0xfffffd00, v21
	v_add_nc_u32_e32 v23, 0xfffffd20, v21
	;; [unrolled: 1-line block ×8, first 2 shown]
	ds_store_b32 v22, v8
	ds_store_b32 v23, v7
	;; [unrolled: 1-line block ×8, first 2 shown]
.LBB123_64:
	s_wait_alu 0xfffe
	s_or_b32 exec_lo, exec_lo, s0
	v_lshlrev_b32_e32 v19, 2, v19
	v_cmp_eq_u32_e32 vcc_lo, 0, v11
	s_mov_b32 s1, exec_lo
	s_wait_loadcnt_dscnt 0x0
	s_barrier_signal -1
	v_add3_u32 v11, 0x120, v20, v19
	s_barrier_wait -1
	global_inv scope:SCOPE_SE
	v_cmpx_gt_u32_e32 64, v0
	s_cbranch_execz .LBB123_83
; %bb.65:
	s_and_saveexec_b32 s0, vcc_lo
	s_cbranch_execnz .LBB123_107
; %bb.66:
	s_wait_alu 0xfffe
	s_or_b32 exec_lo, exec_lo, s0
	s_and_saveexec_b32 s0, vcc_lo
	s_cbranch_execnz .LBB123_108
.LBB123_67:
	s_wait_alu 0xfffe
	s_or_b32 exec_lo, exec_lo, s0
	s_and_saveexec_b32 s0, vcc_lo
	s_cbranch_execnz .LBB123_109
.LBB123_68:
	s_wait_alu 0xfffe
	s_or_b32 exec_lo, exec_lo, s0
	s_and_saveexec_b32 s0, vcc_lo
	s_cbranch_execnz .LBB123_110
.LBB123_69:
	s_wait_alu 0xfffe
	s_or_b32 exec_lo, exec_lo, s0
	s_and_saveexec_b32 s0, vcc_lo
	s_cbranch_execnz .LBB123_111
.LBB123_70:
	s_wait_alu 0xfffe
	s_or_b32 exec_lo, exec_lo, s0
	s_and_saveexec_b32 s0, vcc_lo
	s_cbranch_execnz .LBB123_112
.LBB123_71:
	s_wait_alu 0xfffe
	s_or_b32 exec_lo, exec_lo, s0
	s_and_saveexec_b32 s0, vcc_lo
	s_cbranch_execnz .LBB123_113
.LBB123_72:
	s_wait_alu 0xfffe
	s_or_b32 exec_lo, exec_lo, s0
	s_and_saveexec_b32 s0, vcc_lo
	s_cbranch_execnz .LBB123_114
.LBB123_73:
	s_wait_alu 0xfffe
	s_or_b32 exec_lo, exec_lo, s0
	s_and_saveexec_b32 s0, vcc_lo
	s_cbranch_execnz .LBB123_115
.LBB123_74:
	s_wait_alu 0xfffe
	s_or_b32 exec_lo, exec_lo, s0
	s_and_saveexec_b32 s0, vcc_lo
	s_cbranch_execnz .LBB123_116
.LBB123_75:
	s_wait_alu 0xfffe
	s_or_b32 exec_lo, exec_lo, s0
	s_and_saveexec_b32 s0, vcc_lo
	s_cbranch_execnz .LBB123_117
.LBB123_76:
	s_wait_alu 0xfffe
	s_or_b32 exec_lo, exec_lo, s0
	s_and_saveexec_b32 s0, vcc_lo
	s_cbranch_execnz .LBB123_118
.LBB123_77:
	s_wait_alu 0xfffe
	s_or_b32 exec_lo, exec_lo, s0
	s_and_saveexec_b32 s0, vcc_lo
	s_cbranch_execnz .LBB123_119
.LBB123_78:
	s_wait_alu 0xfffe
	s_or_b32 exec_lo, exec_lo, s0
	s_and_saveexec_b32 s0, vcc_lo
	s_cbranch_execnz .LBB123_120
.LBB123_79:
	s_wait_alu 0xfffe
	s_or_b32 exec_lo, exec_lo, s0
	s_and_saveexec_b32 s0, vcc_lo
	s_cbranch_execnz .LBB123_121
.LBB123_80:
	s_wait_alu 0xfffe
	s_or_b32 exec_lo, exec_lo, s0
	s_and_saveexec_b32 s0, vcc_lo
	s_cbranch_execz .LBB123_82
.LBB123_81:
	ds_load_b32 v19, v11 offset:480
	s_wait_dscnt 0x0
	v_add_f32_e32 v6, v6, v19
.LBB123_82:
	s_wait_alu 0xfffe
	s_or_b32 exec_lo, exec_lo, s0
.LBB123_83:
	s_wait_alu 0xfffe
	s_or_b32 exec_lo, exec_lo, s1
	v_and_b32_e32 v19, 0x3e3, v0
	s_mov_b32 s1, exec_lo
	s_wait_loadcnt 0x0
	s_barrier_signal -1
	s_barrier_wait -1
	global_inv scope:SCOPE_SE
	v_cmpx_eq_u32_e32 32, v19
	s_cbranch_execz .LBB123_85
; %bb.84:
	ds_store_2addr_b32 v18, v17, v16 offset1:8
	ds_store_2addr_b32 v18, v15, v14 offset0:16 offset1:24
	ds_store_2addr_b32 v18, v13, v12 offset0:32 offset1:40
	;; [unrolled: 1-line block ×7, first 2 shown]
.LBB123_85:
	s_wait_alu 0xfffe
	s_or_b32 exec_lo, exec_lo, s1
	s_delay_alu instid0(SALU_CYCLE_1)
	s_mov_b32 s1, exec_lo
	s_wait_loadcnt_dscnt 0x0
	s_barrier_signal -1
	s_barrier_wait -1
	global_inv scope:SCOPE_SE
	v_cmpx_gt_u32_e32 32, v0
	s_cbranch_execz .LBB123_104
; %bb.86:
	s_and_saveexec_b32 s0, vcc_lo
	s_cbranch_execnz .LBB123_122
; %bb.87:
	s_wait_alu 0xfffe
	s_or_b32 exec_lo, exec_lo, s0
	s_and_saveexec_b32 s0, vcc_lo
	s_cbranch_execnz .LBB123_123
.LBB123_88:
	s_wait_alu 0xfffe
	s_or_b32 exec_lo, exec_lo, s0
	s_and_saveexec_b32 s0, vcc_lo
	s_cbranch_execnz .LBB123_124
.LBB123_89:
	s_wait_alu 0xfffe
	s_or_b32 exec_lo, exec_lo, s0
	s_and_saveexec_b32 s0, vcc_lo
	s_cbranch_execnz .LBB123_125
.LBB123_90:
	s_wait_alu 0xfffe
	s_or_b32 exec_lo, exec_lo, s0
	s_and_saveexec_b32 s0, vcc_lo
	s_cbranch_execnz .LBB123_126
.LBB123_91:
	s_wait_alu 0xfffe
	s_or_b32 exec_lo, exec_lo, s0
	s_and_saveexec_b32 s0, vcc_lo
	s_cbranch_execnz .LBB123_127
.LBB123_92:
	s_wait_alu 0xfffe
	s_or_b32 exec_lo, exec_lo, s0
	s_and_saveexec_b32 s0, vcc_lo
	s_cbranch_execnz .LBB123_128
.LBB123_93:
	s_wait_alu 0xfffe
	s_or_b32 exec_lo, exec_lo, s0
	s_and_saveexec_b32 s0, vcc_lo
	s_cbranch_execnz .LBB123_129
.LBB123_94:
	s_wait_alu 0xfffe
	s_or_b32 exec_lo, exec_lo, s0
	s_and_saveexec_b32 s0, vcc_lo
	s_cbranch_execnz .LBB123_130
.LBB123_95:
	s_wait_alu 0xfffe
	s_or_b32 exec_lo, exec_lo, s0
	s_and_saveexec_b32 s0, vcc_lo
	s_cbranch_execnz .LBB123_131
.LBB123_96:
	s_wait_alu 0xfffe
	s_or_b32 exec_lo, exec_lo, s0
	s_and_saveexec_b32 s0, vcc_lo
	s_cbranch_execnz .LBB123_132
.LBB123_97:
	s_wait_alu 0xfffe
	s_or_b32 exec_lo, exec_lo, s0
	s_and_saveexec_b32 s0, vcc_lo
	s_cbranch_execnz .LBB123_133
.LBB123_98:
	s_wait_alu 0xfffe
	s_or_b32 exec_lo, exec_lo, s0
	s_and_saveexec_b32 s0, vcc_lo
	s_cbranch_execnz .LBB123_134
.LBB123_99:
	s_wait_alu 0xfffe
	s_or_b32 exec_lo, exec_lo, s0
	s_and_saveexec_b32 s0, vcc_lo
	s_cbranch_execnz .LBB123_135
.LBB123_100:
	s_wait_alu 0xfffe
	s_or_b32 exec_lo, exec_lo, s0
	s_and_saveexec_b32 s0, vcc_lo
	s_cbranch_execnz .LBB123_136
.LBB123_101:
	s_wait_alu 0xfffe
	s_or_b32 exec_lo, exec_lo, s0
	s_and_saveexec_b32 s0, vcc_lo
	s_cbranch_execz .LBB123_103
.LBB123_102:
	ds_load_b32 v11, v11 offset:480
	s_wait_dscnt 0x0
	v_add_f32_e32 v6, v6, v11
.LBB123_103:
	s_wait_alu 0xfffe
	s_or_b32 exec_lo, exec_lo, s0
.LBB123_104:
	s_wait_alu 0xfffe
	s_or_b32 exec_lo, exec_lo, s1
	s_mov_b32 s1, 0
	s_wait_loadcnt 0x0
	s_barrier_signal -1
	s_barrier_wait -1
	global_inv scope:SCOPE_SE
	s_mov_b32 s0, exec_lo
	v_cmpx_eq_u32_e32 0, v19
	s_cbranch_execz .LBB123_106
; %bb.105:
	s_lshl_b32 s2, s20, 7
	s_wait_kmcnt 0x0
	s_mul_i32 s4, s8, s12
	s_wait_alu 0xfffe
	s_ashr_i32 s3, s2, 31
	s_ashr_i32 s5, s4, 31
	s_wait_alu 0xfffe
	s_lshl_b64 s[2:3], s[2:3], 1
	s_lshl_b64 s[4:5], s[4:5], 1
	s_wait_alu 0xfffe
	s_add_nc_u64 s[2:3], s[18:19], s[2:3]
	v_lshrrev_b32_e32 v0, 1, v0
	s_lshl_b32 s0, s24, 8
	s_wait_alu 0xfffe
	s_add_nc_u64 s[2:3], s[2:3], s[4:5]
	;;#ASMSTART
	v_cvt_f16_f32 v11, v17;

	;;#ASMEND
	s_wait_alu 0xfffe
	s_add_nc_u64 s[0:1], s[2:3], s[0:1]
	global_store_b16 v0, v11, s[0:1]
	;;#ASMSTART
	v_cvt_f16_f32 v11, v16;

	;;#ASMEND
	global_store_b16 v0, v11, s[0:1] offset:16
	;;#ASMSTART
	v_cvt_f16_f32 v11, v15;

	;;#ASMEND
	global_store_b16 v0, v11, s[0:1] offset:32
	;;#ASMSTART
	v_cvt_f16_f32 v11, v14;

	;;#ASMEND
	global_store_b16 v0, v11, s[0:1] offset:48
	;;#ASMSTART
	v_cvt_f16_f32 v11, v13;

	;;#ASMEND
	global_store_b16 v0, v11, s[0:1] offset:64
	;;#ASMSTART
	v_cvt_f16_f32 v11, v12;

	;;#ASMEND
	global_store_b16 v0, v11, s[0:1] offset:80
	;;#ASMSTART
	v_cvt_f16_f32 v10, v10;

	;;#ASMEND
	global_store_b16 v0, v10, s[0:1] offset:96
	;;#ASMSTART
	v_cvt_f16_f32 v9, v9;

	;;#ASMEND
	global_store_b16 v0, v9, s[0:1] offset:112
	;;#ASMSTART
	v_cvt_f16_f32 v8, v8;

	;;#ASMEND
	global_store_b16 v0, v8, s[0:1] offset:128
	;;#ASMSTART
	v_cvt_f16_f32 v7, v7;

	;;#ASMEND
	global_store_b16 v0, v7, s[0:1] offset:144
	;;#ASMSTART
	v_cvt_f16_f32 v5, v5;

	;;#ASMEND
	global_store_b16 v0, v5, s[0:1] offset:160
	;;#ASMSTART
	v_cvt_f16_f32 v3, v3;

	;;#ASMEND
	global_store_b16 v0, v3, s[0:1] offset:176
	;;#ASMSTART
	v_cvt_f16_f32 v2, v2;

	;;#ASMEND
	global_store_b16 v0, v2, s[0:1] offset:192
	;;#ASMSTART
	v_cvt_f16_f32 v1, v1;

	;;#ASMEND
	global_store_b16 v0, v1, s[0:1] offset:208
	;;#ASMSTART
	v_cvt_f16_f32 v1, v4;

	;;#ASMEND
	global_store_b16 v0, v1, s[0:1] offset:224
	;;#ASMSTART
	v_cvt_f16_f32 v1, v6;

	;;#ASMEND
	global_store_b16 v0, v1, s[0:1] offset:240
.LBB123_106:
	s_nop 0
	s_sendmsg sendmsg(MSG_DEALLOC_VGPRS)
	s_endpgm
.LBB123_107:
	ds_load_b32 v19, v11
	s_wait_dscnt 0x0
	v_add_f32_e32 v17, v17, v19
	s_wait_alu 0xfffe
	s_or_b32 exec_lo, exec_lo, s0
	s_and_saveexec_b32 s0, vcc_lo
	s_cbranch_execz .LBB123_67
.LBB123_108:
	ds_load_b32 v19, v11 offset:32
	s_wait_dscnt 0x0
	v_add_f32_e32 v16, v16, v19
	s_wait_alu 0xfffe
	s_or_b32 exec_lo, exec_lo, s0
	s_and_saveexec_b32 s0, vcc_lo
	s_cbranch_execz .LBB123_68
.LBB123_109:
	ds_load_b32 v19, v11 offset:64
	s_wait_dscnt 0x0
	v_add_f32_e32 v15, v15, v19
	s_wait_alu 0xfffe
	s_or_b32 exec_lo, exec_lo, s0
	s_and_saveexec_b32 s0, vcc_lo
	s_cbranch_execz .LBB123_69
.LBB123_110:
	ds_load_b32 v19, v11 offset:96
	s_wait_dscnt 0x0
	v_add_f32_e32 v14, v14, v19
	s_wait_alu 0xfffe
	s_or_b32 exec_lo, exec_lo, s0
	s_and_saveexec_b32 s0, vcc_lo
	s_cbranch_execz .LBB123_70
.LBB123_111:
	ds_load_b32 v19, v11 offset:128
	s_wait_dscnt 0x0
	v_add_f32_e32 v13, v13, v19
	s_wait_alu 0xfffe
	s_or_b32 exec_lo, exec_lo, s0
	s_and_saveexec_b32 s0, vcc_lo
	s_cbranch_execz .LBB123_71
.LBB123_112:
	ds_load_b32 v19, v11 offset:160
	s_wait_dscnt 0x0
	v_add_f32_e32 v12, v12, v19
	s_wait_alu 0xfffe
	s_or_b32 exec_lo, exec_lo, s0
	s_and_saveexec_b32 s0, vcc_lo
	s_cbranch_execz .LBB123_72
.LBB123_113:
	ds_load_b32 v19, v11 offset:192
	s_wait_dscnt 0x0
	v_add_f32_e32 v10, v10, v19
	s_wait_alu 0xfffe
	s_or_b32 exec_lo, exec_lo, s0
	s_and_saveexec_b32 s0, vcc_lo
	s_cbranch_execz .LBB123_73
.LBB123_114:
	ds_load_b32 v19, v11 offset:224
	s_wait_dscnt 0x0
	v_add_f32_e32 v9, v9, v19
	s_wait_alu 0xfffe
	s_or_b32 exec_lo, exec_lo, s0
	s_and_saveexec_b32 s0, vcc_lo
	s_cbranch_execz .LBB123_74
.LBB123_115:
	ds_load_b32 v19, v11 offset:256
	s_wait_dscnt 0x0
	v_add_f32_e32 v8, v8, v19
	s_wait_alu 0xfffe
	s_or_b32 exec_lo, exec_lo, s0
	s_and_saveexec_b32 s0, vcc_lo
	s_cbranch_execz .LBB123_75
.LBB123_116:
	ds_load_b32 v19, v11 offset:288
	s_wait_dscnt 0x0
	v_add_f32_e32 v7, v7, v19
	s_wait_alu 0xfffe
	s_or_b32 exec_lo, exec_lo, s0
	s_and_saveexec_b32 s0, vcc_lo
	s_cbranch_execz .LBB123_76
.LBB123_117:
	ds_load_b32 v19, v11 offset:320
	s_wait_dscnt 0x0
	v_add_f32_e32 v5, v5, v19
	s_wait_alu 0xfffe
	s_or_b32 exec_lo, exec_lo, s0
	s_and_saveexec_b32 s0, vcc_lo
	s_cbranch_execz .LBB123_77
.LBB123_118:
	ds_load_b32 v19, v11 offset:352
	s_wait_dscnt 0x0
	v_add_f32_e32 v3, v3, v19
	s_wait_alu 0xfffe
	s_or_b32 exec_lo, exec_lo, s0
	s_and_saveexec_b32 s0, vcc_lo
	s_cbranch_execz .LBB123_78
.LBB123_119:
	ds_load_b32 v19, v11 offset:384
	s_wait_dscnt 0x0
	v_add_f32_e32 v2, v2, v19
	s_wait_alu 0xfffe
	s_or_b32 exec_lo, exec_lo, s0
	s_and_saveexec_b32 s0, vcc_lo
	s_cbranch_execz .LBB123_79
.LBB123_120:
	ds_load_b32 v19, v11 offset:416
	s_wait_dscnt 0x0
	v_add_f32_e32 v1, v1, v19
	s_wait_alu 0xfffe
	s_or_b32 exec_lo, exec_lo, s0
	s_and_saveexec_b32 s0, vcc_lo
	s_cbranch_execz .LBB123_80
.LBB123_121:
	ds_load_b32 v19, v11 offset:448
	s_wait_dscnt 0x0
	v_add_f32_e32 v4, v4, v19
	s_wait_alu 0xfffe
	s_or_b32 exec_lo, exec_lo, s0
	s_and_saveexec_b32 s0, vcc_lo
	s_cbranch_execnz .LBB123_81
	s_branch .LBB123_82
.LBB123_122:
	ds_load_b32 v18, v11
	s_wait_dscnt 0x0
	v_add_f32_e32 v17, v17, v18
	s_wait_alu 0xfffe
	s_or_b32 exec_lo, exec_lo, s0
	s_and_saveexec_b32 s0, vcc_lo
	s_cbranch_execz .LBB123_88
.LBB123_123:
	ds_load_b32 v18, v11 offset:32
	s_wait_dscnt 0x0
	v_add_f32_e32 v16, v16, v18
	s_wait_alu 0xfffe
	s_or_b32 exec_lo, exec_lo, s0
	s_and_saveexec_b32 s0, vcc_lo
	s_cbranch_execz .LBB123_89
.LBB123_124:
	ds_load_b32 v18, v11 offset:64
	s_wait_dscnt 0x0
	v_add_f32_e32 v15, v15, v18
	s_wait_alu 0xfffe
	s_or_b32 exec_lo, exec_lo, s0
	s_and_saveexec_b32 s0, vcc_lo
	s_cbranch_execz .LBB123_90
.LBB123_125:
	ds_load_b32 v18, v11 offset:96
	s_wait_dscnt 0x0
	v_add_f32_e32 v14, v14, v18
	s_wait_alu 0xfffe
	s_or_b32 exec_lo, exec_lo, s0
	s_and_saveexec_b32 s0, vcc_lo
	s_cbranch_execz .LBB123_91
.LBB123_126:
	ds_load_b32 v18, v11 offset:128
	s_wait_dscnt 0x0
	v_add_f32_e32 v13, v13, v18
	s_wait_alu 0xfffe
	s_or_b32 exec_lo, exec_lo, s0
	s_and_saveexec_b32 s0, vcc_lo
	s_cbranch_execz .LBB123_92
.LBB123_127:
	ds_load_b32 v18, v11 offset:160
	s_wait_dscnt 0x0
	v_add_f32_e32 v12, v12, v18
	s_wait_alu 0xfffe
	s_or_b32 exec_lo, exec_lo, s0
	s_and_saveexec_b32 s0, vcc_lo
	s_cbranch_execz .LBB123_93
.LBB123_128:
	ds_load_b32 v18, v11 offset:192
	s_wait_dscnt 0x0
	v_add_f32_e32 v10, v10, v18
	s_wait_alu 0xfffe
	s_or_b32 exec_lo, exec_lo, s0
	s_and_saveexec_b32 s0, vcc_lo
	s_cbranch_execz .LBB123_94
.LBB123_129:
	ds_load_b32 v18, v11 offset:224
	s_wait_dscnt 0x0
	v_add_f32_e32 v9, v9, v18
	s_wait_alu 0xfffe
	s_or_b32 exec_lo, exec_lo, s0
	s_and_saveexec_b32 s0, vcc_lo
	s_cbranch_execz .LBB123_95
.LBB123_130:
	ds_load_b32 v18, v11 offset:256
	s_wait_dscnt 0x0
	v_add_f32_e32 v8, v8, v18
	s_wait_alu 0xfffe
	s_or_b32 exec_lo, exec_lo, s0
	s_and_saveexec_b32 s0, vcc_lo
	s_cbranch_execz .LBB123_96
.LBB123_131:
	ds_load_b32 v18, v11 offset:288
	s_wait_dscnt 0x0
	v_add_f32_e32 v7, v7, v18
	s_wait_alu 0xfffe
	s_or_b32 exec_lo, exec_lo, s0
	s_and_saveexec_b32 s0, vcc_lo
	s_cbranch_execz .LBB123_97
.LBB123_132:
	ds_load_b32 v18, v11 offset:320
	s_wait_dscnt 0x0
	v_add_f32_e32 v5, v5, v18
	s_wait_alu 0xfffe
	s_or_b32 exec_lo, exec_lo, s0
	s_and_saveexec_b32 s0, vcc_lo
	s_cbranch_execz .LBB123_98
.LBB123_133:
	ds_load_b32 v18, v11 offset:352
	s_wait_dscnt 0x0
	v_add_f32_e32 v3, v3, v18
	s_wait_alu 0xfffe
	s_or_b32 exec_lo, exec_lo, s0
	s_and_saveexec_b32 s0, vcc_lo
	s_cbranch_execz .LBB123_99
.LBB123_134:
	ds_load_b32 v18, v11 offset:384
	s_wait_dscnt 0x0
	v_add_f32_e32 v2, v2, v18
	s_wait_alu 0xfffe
	s_or_b32 exec_lo, exec_lo, s0
	s_and_saveexec_b32 s0, vcc_lo
	s_cbranch_execz .LBB123_100
.LBB123_135:
	ds_load_b32 v18, v11 offset:416
	s_wait_dscnt 0x0
	v_add_f32_e32 v1, v1, v18
	s_wait_alu 0xfffe
	s_or_b32 exec_lo, exec_lo, s0
	s_and_saveexec_b32 s0, vcc_lo
	s_cbranch_execz .LBB123_101
.LBB123_136:
	ds_load_b32 v18, v11 offset:448
	s_wait_dscnt 0x0
	v_add_f32_e32 v4, v4, v18
	s_wait_alu 0xfffe
	s_or_b32 exec_lo, exec_lo, s0
	s_and_saveexec_b32 s0, vcc_lo
	s_cbranch_execnz .LBB123_102
	s_branch .LBB123_103
	.section	.rodata,"a",@progbits
	.p2align	6, 0x0
	.amdhsa_kernel _ZN4vllm25paged_attention_v2_kernelIttLi128ELi32ELi128ELNS_18Fp8KVCacheDataTypeE0ELb0ELi512EEEvPfS2_PT_PKS3_PKT0_S9_ifPKiSB_iPKfiiiSD_SD_iiiii
		.amdhsa_group_segment_fixed_size 288
		.amdhsa_private_segment_fixed_size 0
		.amdhsa_kernarg_size 400
		.amdhsa_user_sgpr_count 2
		.amdhsa_user_sgpr_dispatch_ptr 0
		.amdhsa_user_sgpr_queue_ptr 0
		.amdhsa_user_sgpr_kernarg_segment_ptr 1
		.amdhsa_user_sgpr_dispatch_id 0
		.amdhsa_user_sgpr_private_segment_size 0
		.amdhsa_wavefront_size32 1
		.amdhsa_uses_dynamic_stack 0
		.amdhsa_enable_private_segment 0
		.amdhsa_system_sgpr_workgroup_id_x 1
		.amdhsa_system_sgpr_workgroup_id_y 1
		.amdhsa_system_sgpr_workgroup_id_z 1
		.amdhsa_system_sgpr_workgroup_info 0
		.amdhsa_system_vgpr_workitem_id 0
		.amdhsa_next_free_vgpr 99
		.amdhsa_next_free_sgpr 32
		.amdhsa_reserve_vcc 1
		.amdhsa_float_round_mode_32 0
		.amdhsa_float_round_mode_16_64 0
		.amdhsa_float_denorm_mode_32 3
		.amdhsa_float_denorm_mode_16_64 3
		.amdhsa_fp16_overflow 0
		.amdhsa_workgroup_processor_mode 1
		.amdhsa_memory_ordered 1
		.amdhsa_forward_progress 1
		.amdhsa_inst_pref_size 104
		.amdhsa_round_robin_scheduling 0
		.amdhsa_exception_fp_ieee_invalid_op 0
		.amdhsa_exception_fp_denorm_src 0
		.amdhsa_exception_fp_ieee_div_zero 0
		.amdhsa_exception_fp_ieee_overflow 0
		.amdhsa_exception_fp_ieee_underflow 0
		.amdhsa_exception_fp_ieee_inexact 0
		.amdhsa_exception_int_div_zero 0
	.end_amdhsa_kernel
	.section	.text._ZN4vllm25paged_attention_v2_kernelIttLi128ELi32ELi128ELNS_18Fp8KVCacheDataTypeE0ELb0ELi512EEEvPfS2_PT_PKS3_PKT0_S9_ifPKiSB_iPKfiiiSD_SD_iiiii,"axG",@progbits,_ZN4vllm25paged_attention_v2_kernelIttLi128ELi32ELi128ELNS_18Fp8KVCacheDataTypeE0ELb0ELi512EEEvPfS2_PT_PKS3_PKT0_S9_ifPKiSB_iPKfiiiSD_SD_iiiii,comdat
.Lfunc_end123:
	.size	_ZN4vllm25paged_attention_v2_kernelIttLi128ELi32ELi128ELNS_18Fp8KVCacheDataTypeE0ELb0ELi512EEEvPfS2_PT_PKS3_PKT0_S9_ifPKiSB_iPKfiiiSD_SD_iiiii, .Lfunc_end123-_ZN4vllm25paged_attention_v2_kernelIttLi128ELi32ELi128ELNS_18Fp8KVCacheDataTypeE0ELb0ELi512EEEvPfS2_PT_PKS3_PKT0_S9_ifPKiSB_iPKfiiiSD_SD_iiiii
                                        ; -- End function
	.set _ZN4vllm25paged_attention_v2_kernelIttLi128ELi32ELi128ELNS_18Fp8KVCacheDataTypeE0ELb0ELi512EEEvPfS2_PT_PKS3_PKT0_S9_ifPKiSB_iPKfiiiSD_SD_iiiii.num_vgpr, 99
	.set _ZN4vllm25paged_attention_v2_kernelIttLi128ELi32ELi128ELNS_18Fp8KVCacheDataTypeE0ELb0ELi512EEEvPfS2_PT_PKS3_PKT0_S9_ifPKiSB_iPKfiiiSD_SD_iiiii.num_agpr, 0
	.set _ZN4vllm25paged_attention_v2_kernelIttLi128ELi32ELi128ELNS_18Fp8KVCacheDataTypeE0ELb0ELi512EEEvPfS2_PT_PKS3_PKT0_S9_ifPKiSB_iPKfiiiSD_SD_iiiii.numbered_sgpr, 32
	.set _ZN4vllm25paged_attention_v2_kernelIttLi128ELi32ELi128ELNS_18Fp8KVCacheDataTypeE0ELb0ELi512EEEvPfS2_PT_PKS3_PKT0_S9_ifPKiSB_iPKfiiiSD_SD_iiiii.num_named_barrier, 0
	.set _ZN4vllm25paged_attention_v2_kernelIttLi128ELi32ELi128ELNS_18Fp8KVCacheDataTypeE0ELb0ELi512EEEvPfS2_PT_PKS3_PKT0_S9_ifPKiSB_iPKfiiiSD_SD_iiiii.private_seg_size, 0
	.set _ZN4vllm25paged_attention_v2_kernelIttLi128ELi32ELi128ELNS_18Fp8KVCacheDataTypeE0ELb0ELi512EEEvPfS2_PT_PKS3_PKT0_S9_ifPKiSB_iPKfiiiSD_SD_iiiii.uses_vcc, 1
	.set _ZN4vllm25paged_attention_v2_kernelIttLi128ELi32ELi128ELNS_18Fp8KVCacheDataTypeE0ELb0ELi512EEEvPfS2_PT_PKS3_PKT0_S9_ifPKiSB_iPKfiiiSD_SD_iiiii.uses_flat_scratch, 0
	.set _ZN4vllm25paged_attention_v2_kernelIttLi128ELi32ELi128ELNS_18Fp8KVCacheDataTypeE0ELb0ELi512EEEvPfS2_PT_PKS3_PKT0_S9_ifPKiSB_iPKfiiiSD_SD_iiiii.has_dyn_sized_stack, 0
	.set _ZN4vllm25paged_attention_v2_kernelIttLi128ELi32ELi128ELNS_18Fp8KVCacheDataTypeE0ELb0ELi512EEEvPfS2_PT_PKS3_PKT0_S9_ifPKiSB_iPKfiiiSD_SD_iiiii.has_recursion, 0
	.set _ZN4vllm25paged_attention_v2_kernelIttLi128ELi32ELi128ELNS_18Fp8KVCacheDataTypeE0ELb0ELi512EEEvPfS2_PT_PKS3_PKT0_S9_ifPKiSB_iPKfiiiSD_SD_iiiii.has_indirect_call, 0
	.section	.AMDGPU.csdata,"",@progbits
; Kernel info:
; codeLenInByte = 13208
; TotalNumSgprs: 34
; NumVgprs: 99
; ScratchSize: 0
; MemoryBound: 0
; FloatMode: 240
; IeeeMode: 1
; LDSByteSize: 288 bytes/workgroup (compile time only)
; SGPRBlocks: 0
; VGPRBlocks: 12
; NumSGPRsForWavesPerEU: 34
; NumVGPRsForWavesPerEU: 99
; Occupancy: 12
; WaveLimiterHint : 1
; COMPUTE_PGM_RSRC2:SCRATCH_EN: 0
; COMPUTE_PGM_RSRC2:USER_SGPR: 2
; COMPUTE_PGM_RSRC2:TRAP_HANDLER: 0
; COMPUTE_PGM_RSRC2:TGID_X_EN: 1
; COMPUTE_PGM_RSRC2:TGID_Y_EN: 1
; COMPUTE_PGM_RSRC2:TGID_Z_EN: 1
; COMPUTE_PGM_RSRC2:TIDIG_COMP_CNT: 0
	.section	.text._ZN4vllm25paged_attention_v2_kernelIttLi192ELi32ELi128ELNS_18Fp8KVCacheDataTypeE0ELb0ELi512EEEvPfS2_PT_PKS3_PKT0_S9_ifPKiSB_iPKfiiiSD_SD_iiiii,"axG",@progbits,_ZN4vllm25paged_attention_v2_kernelIttLi192ELi32ELi128ELNS_18Fp8KVCacheDataTypeE0ELb0ELi512EEEvPfS2_PT_PKS3_PKT0_S9_ifPKiSB_iPKfiiiSD_SD_iiiii,comdat
	.protected	_ZN4vllm25paged_attention_v2_kernelIttLi192ELi32ELi128ELNS_18Fp8KVCacheDataTypeE0ELb0ELi512EEEvPfS2_PT_PKS3_PKT0_S9_ifPKiSB_iPKfiiiSD_SD_iiiii ; -- Begin function _ZN4vllm25paged_attention_v2_kernelIttLi192ELi32ELi128ELNS_18Fp8KVCacheDataTypeE0ELb0ELi512EEEvPfS2_PT_PKS3_PKT0_S9_ifPKiSB_iPKfiiiSD_SD_iiiii
	.globl	_ZN4vllm25paged_attention_v2_kernelIttLi192ELi32ELi128ELNS_18Fp8KVCacheDataTypeE0ELb0ELi512EEEvPfS2_PT_PKS3_PKT0_S9_ifPKiSB_iPKfiiiSD_SD_iiiii
	.p2align	8
	.type	_ZN4vllm25paged_attention_v2_kernelIttLi192ELi32ELi128ELNS_18Fp8KVCacheDataTypeE0ELb0ELi512EEEvPfS2_PT_PKS3_PKT0_S9_ifPKiSB_iPKfiiiSD_SD_iiiii,@function
_ZN4vllm25paged_attention_v2_kernelIttLi192ELi32ELi128ELNS_18Fp8KVCacheDataTypeE0ELb0ELi512EEEvPfS2_PT_PKS3_PKT0_S9_ifPKiSB_iPKfiiiSD_SD_iiiii: ; @_ZN4vllm25paged_attention_v2_kernelIttLi192ELi32ELi128ELNS_18Fp8KVCacheDataTypeE0ELb0ELi512EEEvPfS2_PT_PKS3_PKT0_S9_ifPKiSB_iPKfiiiSD_SD_iiiii
; %bb.0:
	s_load_b64 s[2:3], s[0:1], 0x40
	s_and_b32 s20, ttmp7, 0xffff
	s_lshr_b32 s24, ttmp7, 16
	s_lshl_b32 s4, s20, 2
	s_lshl_b32 s26, s24, 9
	s_wait_kmcnt 0x0
	s_load_b32 s25, s[2:3], s4 offset:0x0
	s_wait_kmcnt 0x0
	s_cmp_ge_i32 s26, s25
	s_cbranch_scc1 .LBB124_138
; %bb.1:
	s_clause 0x1
	s_load_b32 s21, s[0:1], 0x90
	s_load_b64 s[4:5], s[0:1], 0x30
	s_wait_kmcnt 0x0
	s_abs_i32 s7, s21
	s_abs_i32 s2, s4
	s_xor_b32 s4, s21, s4
	s_cvt_f32_u32 s3, s2
	s_sub_co_i32 s6, 0, s2
	s_ashr_i32 s4, s4, 31
	s_delay_alu instid0(SALU_CYCLE_1) | instskip(NEXT) | instid1(TRANS32_DEP_1)
	v_rcp_iflag_f32_e32 v1, s3
	v_readfirstlane_b32 s3, v1
	s_mul_f32 s3, s3, 0x4f7ffffe
	s_wait_alu 0xfffe
	s_delay_alu instid0(SALU_CYCLE_2) | instskip(SKIP_1) | instid1(SALU_CYCLE_2)
	s_cvt_u32_f32 s3, s3
	s_wait_alu 0xfffe
	s_mul_i32 s6, s6, s3
	s_delay_alu instid0(SALU_CYCLE_1) | instskip(NEXT) | instid1(SALU_CYCLE_1)
	s_mul_hi_u32 s6, s3, s6
	s_add_co_i32 s3, s3, s6
	s_wait_alu 0xfffe
	s_mul_hi_u32 s3, s7, s3
	s_wait_alu 0xfffe
	s_mul_i32 s6, s3, s2
	s_delay_alu instid0(SALU_CYCLE_1)
	s_sub_co_i32 s6, s7, s6
	s_add_co_i32 s7, s3, 1
	s_sub_co_i32 s8, s6, s2
	s_cmp_ge_u32 s6, s2
	s_cselect_b32 s3, s7, s3
	s_cselect_b32 s6, s8, s6
	s_wait_alu 0xfffe
	s_add_co_i32 s7, s3, 1
	s_cmp_ge_u32 s6, s2
	s_load_b64 s[8:9], s[0:1], 0x50
	s_cselect_b32 s2, s7, s3
	s_mov_b32 s3, 0
	s_wait_alu 0xfffe
	s_xor_b32 s2, s2, s4
	s_mov_b32 s7, s3
	s_wait_alu 0xfffe
	s_sub_co_i32 s12, s2, s4
	s_delay_alu instid0(SALU_CYCLE_1) | instskip(NEXT) | instid1(SALU_CYCLE_1)
	s_abs_i32 s11, s12
	s_cvt_f32_u32 s2, s11
	s_wait_alu 0xfffe
	s_delay_alu instid0(SALU_CYCLE_2) | instskip(NEXT) | instid1(TRANS32_DEP_1)
	v_rcp_iflag_f32_e32 v1, s2
	v_readfirstlane_b32 s2, v1
	s_mul_f32 s2, s2, 0x4f7ffffe
	s_wait_alu 0xfffe
	s_delay_alu instid0(SALU_CYCLE_2) | instskip(SKIP_2) | instid1(SALU_CYCLE_1)
	s_cvt_u32_f32 s4, s2
	s_sub_co_i32 s2, 0, s11
	s_wait_alu 0xfffe
	s_mul_i32 s2, s2, s4
	s_wait_alu 0xfffe
	s_mul_hi_u32 s6, s4, s2
	s_abs_i32 s2, ttmp9
	s_add_co_i32 s6, s4, s6
	s_wait_kmcnt 0x0
	s_cmp_eq_u64 s[8:9], 0
	s_mov_b32 s4, s3
	s_cbranch_scc1 .LBB124_3
; %bb.2:
	s_mov_b32 s14, ttmp9
	s_ashr_i32 s15, ttmp9, 31
	s_delay_alu instid0(SALU_CYCLE_1) | instskip(NEXT) | instid1(SALU_CYCLE_1)
	s_lshl_b64 s[14:15], s[14:15], 2
	s_add_nc_u64 s[8:9], s[8:9], s[14:15]
	s_load_b32 s4, s[8:9], 0x0
.LBB124_3:
	s_load_b96 s[8:10], s[0:1], 0x58
	v_lshlrev_b32_e32 v98, 4, v0
	s_mul_u64 s[6:7], s[2:3], s[6:7]
	s_ashr_i32 s3, ttmp9, 31
	s_ashr_i32 s6, s12, 31
	s_mul_i32 s12, ttmp9, 0xc0
	s_mov_b32 s14, exec_lo
	v_cmpx_gt_u32_e32 24, v0
	s_cbranch_execz .LBB124_5
; %bb.4:
	s_load_b64 s[16:17], s[0:1], 0x18
	s_wait_kmcnt 0x0
	s_mul_i32 s18, s8, s20
	s_ashr_i32 s13, s12, 31
	s_ashr_i32 s19, s18, 31
	s_delay_alu instid0(SALU_CYCLE_1) | instskip(NEXT) | instid1(SALU_CYCLE_1)
	s_lshl_b64 s[18:19], s[18:19], 1
	s_add_nc_u64 s[16:17], s[16:17], s[18:19]
	s_lshl_b64 s[18:19], s[12:13], 1
	s_delay_alu instid0(SALU_CYCLE_1)
	s_add_nc_u64 s[16:17], s[16:17], s[18:19]
	global_load_b128 v[1:4], v98, s[16:17]
	s_wait_loadcnt 0x0
	ds_store_b128 v98, v[1:4]
.LBB124_5:
	s_or_b32 exec_lo, exec_lo, s14
	s_wait_kmcnt 0x0
	s_add_co_i32 s8, s25, 31
	s_lshl_b32 s28, s24, 4
	s_ashr_i32 s13, s8, 31
	s_mul_i32 s17, s7, s11
	s_lshr_b32 s13, s13, 27
	s_sub_co_i32 s2, s2, s17
	s_add_co_i32 s8, s8, s13
	s_add_co_i32 s13, s28, 16
	s_ashr_i32 s27, s8, 5
	s_clause 0x2
	s_load_b64 s[14:15], s[0:1], 0x38
	s_load_b32 s8, s[0:1], 0x98
	s_load_b32 s16, s[0:1], 0x48
	s_min_i32 s13, s13, s27
	s_xor_b32 s3, s3, s6
	s_add_co_i32 s6, s7, 1
	s_sub_co_i32 s17, s2, s11
	s_cmp_ge_u32 s2, s11
	v_lshrrev_b32_e32 v96, 5, v0
	s_cselect_b32 s6, s6, s7
	s_cselect_b32 s2, s17, s2
	s_add_co_i32 s7, s6, 1
	s_wait_alu 0xfffe
	s_cmp_ge_u32 s2, s11
	v_dual_mov_b32 v100, 0xff7fffff :: v_dual_and_b32 v97, 31, v0
	v_add_nc_u32_e32 v93, s28, v96
	s_cselect_b32 s2, s7, s6
	s_wait_dscnt 0x0
	s_wait_alu 0xfffe
	s_xor_b32 s2, s2, s3
	v_lshlrev_b32_e32 v99, 2, v97
	s_wait_alu 0xfffe
	s_sub_co_i32 s3, s2, s3
	v_cmp_gt_i32_e64 s2, s13, v93
	s_wait_kmcnt 0x0
	s_mul_i32 s16, s16, s20
	s_wait_alu 0xfffe
	s_mul_i32 s10, s3, s10
	s_ashr_i32 s17, s16, 31
	s_barrier_signal -1
	s_barrier_wait -1
	global_inv scope:SCOPE_SE
	s_and_saveexec_b32 s6, s2
	s_cbranch_execz .LBB124_9
; %bb.6:
	s_load_b64 s[18:19], s[0:1], 0x20
	s_ashr_i32 s11, s10, 31
	v_lshlrev_b32_e32 v4, 2, v93
	s_lshl_b64 s[22:23], s[10:11], 1
	s_cmp_neq_f32 s4, 0
	v_dual_mov_b32 v100, 0xff7fffff :: v_dual_lshlrev_b32 v1, 4, v97
	v_dual_mov_b32 v101, 0 :: v_dual_lshlrev_b32 v2, 5, v96
	s_cselect_b32 vcc_lo, -1, 0
	s_lshl_b64 s[30:31], s[16:17], 2
	v_lshl_or_b32 v3, v96, 7, v99
	s_add_nc_u64 s[30:31], s[14:15], s[30:31]
	v_add3_u32 v102, s26, v2, v97
	v_add_co_u32 v94, s3, s30, v4
	s_wait_alu 0xf1ff
	v_add_co_ci_u32_e64 v95, null, s31, 0, s3
	v_dual_mov_b32 v106, v93 :: v_dual_add_nc_u32 v103, 0x1a0, v3
	s_wait_kmcnt 0x0
	s_add_nc_u64 s[18:19], s[18:19], s[22:23]
	s_mov_b32 s11, s9
	v_add_co_u32 v104, s3, s18, v1
	s_wait_alu 0xf1ff
	v_add_co_ci_u32_e64 v105, null, s19, 0, s3
	s_mov_b32 s7, 0
	s_sub_co_i32 s18, 1, s25
.LBB124_7:                              ; =>This Inner Loop Header: Depth=1
	global_load_b32 v1, v[94:95], off
	s_wait_alu 0xfffe
	v_add_nc_u32_e32 v3, s18, v102
	v_add_nc_u32_e32 v106, 4, v106
	s_delay_alu instid0(VALU_DEP_2) | instskip(NEXT) | instid1(VALU_DEP_1)
	v_cvt_f32_i32_e32 v3, v3
	v_mul_f32_e32 v3, s4, v3
	s_delay_alu instid0(VALU_DEP_1) | instskip(SKIP_2) | instid1(VALU_DEP_1)
	v_cndmask_b32_e32 v107, 0, v3, vcc_lo
	s_wait_loadcnt 0x0
	v_mad_co_i64_i32 v[1:2], null, v1, s11, 0
	v_lshlrev_b64_e32 v[1:2], 1, v[1:2]
	s_delay_alu instid0(VALU_DEP_1) | instskip(SKIP_1) | instid1(VALU_DEP_2)
	v_add_co_u32 v1, s3, v104, v1
	s_wait_alu 0xf1ff
	v_add_co_ci_u32_e64 v2, null, v105, v2, s3
	s_clause 0x17
	global_load_b128 v[108:111], v[1:2], off
	global_load_b128 v[89:92], v[1:2], off offset:512
	global_load_b128 v[85:88], v[1:2], off offset:1024
	;; [unrolled: 1-line block ×23, first 2 shown]
	ds_load_b128 v[112:115], v101
	v_cmp_gt_i32_e64 s3, s25, v102
	v_add_nc_u32_e32 v102, 0x80, v102
	s_wait_dscnt 0x0
	v_lshrrev_b32_e32 v116, 16, v112
	v_and_b32_e32 v112, 0xffff, v112
	;;#ASMSTART
	v_cvt_f32_f16 v112, v112;
	;;#ASMEND
	;;#ASMSTART
	v_cvt_f32_f16 v116, v116;
	;;#ASMEND
	s_wait_loadcnt 0x17
	v_lshrrev_b32_e32 v118, 16, v108
	v_and_b32_e32 v108, 0xffff, v108
	;;#ASMSTART
	v_cvt_f32_f16 v117, v108;
	;;#ASMEND
	;;#ASMSTART
	v_cvt_f32_f16 v118, v118;
	;;#ASMEND
	v_lshrrev_b32_e32 v108, 16, v113
	v_and_b32_e32 v113, 0xffff, v113
	;;#ASMSTART
	v_cvt_f32_f16 v113, v113;
	;;#ASMEND
	;;#ASMSTART
	v_cvt_f32_f16 v119, v108;
	;;#ASMEND
	;; [unrolled: 8-line block ×7, first 2 shown]
	ds_load_b128 v[108:111], v101 offset:16
	s_wait_loadcnt 0x16
	v_lshrrev_b32_e32 v129, 16, v89
	v_and_b32_e32 v89, 0xffff, v89
	s_wait_dscnt 0x0
	v_lshrrev_b32_e32 v128, 16, v108
	v_and_b32_e32 v108, 0xffff, v108
	;;#ASMSTART
	v_cvt_f32_f16 v108, v108;
	;;#ASMEND
	;;#ASMSTART
	v_cvt_f32_f16 v128, v128;
	;;#ASMEND
	;; [unrolled: 3-line block ×4, first 2 shown]
	v_mul_f32_e32 v89, v108, v89
	v_mul_f32_e32 v108, v128, v129
	s_delay_alu instid0(VALU_DEP_1) | instskip(SKIP_1) | instid1(VALU_DEP_4)
	v_fmac_f32_e32 v108, v116, v118
	v_lshrrev_b32_e32 v116, 16, v90
	v_dual_fmac_f32 v89, v112, v117 :: v_dual_and_b32 v90, 0xffff, v90
	v_lshrrev_b32_e32 v112, 16, v109
	v_and_b32_e32 v109, 0xffff, v109
	;;#ASMSTART
	v_cvt_f32_f16 v109, v109;
	;;#ASMEND
	;;#ASMSTART
	v_cvt_f32_f16 v112, v112;
	;;#ASMEND
	;; [unrolled: 3-line block ×3, first 2 shown]
	s_delay_alu instid0(VALU_DEP_1)
	v_mul_f32_e32 v90, v109, v90
	;;#ASMSTART
	v_cvt_f32_f16 v116, v116;
	;;#ASMEND
	v_mul_f32_e32 v109, v112, v116
	v_lshrrev_b32_e32 v112, 16, v110
	v_and_b32_e32 v110, 0xffff, v110
	v_fmac_f32_e32 v90, v113, v120
	v_lshrrev_b32_e32 v113, 16, v91
	v_and_b32_e32 v91, 0xffff, v91
	;;#ASMSTART
	v_cvt_f32_f16 v110, v110;
	;;#ASMEND
	;;#ASMSTART
	v_cvt_f32_f16 v112, v112;
	;;#ASMEND
	;; [unrolled: 3-line block ×4, first 2 shown]
	v_dual_mul_f32 v91, v110, v91 :: v_dual_mul_f32 v110, v112, v113
	v_fmac_f32_e32 v109, v119, v121
	v_lshrrev_b32_e32 v112, 16, v111
	v_lshrrev_b32_e32 v113, 16, v92
	v_and_b32_e32 v92, 0xffff, v92
	v_dual_fmac_f32 v110, v122, v124 :: v_dual_and_b32 v111, 0xffff, v111
	;;#ASMSTART
	v_cvt_f32_f16 v111, v111;
	;;#ASMEND
	;;#ASMSTART
	v_cvt_f32_f16 v112, v112;
	;;#ASMEND
	;; [unrolled: 3-line block ×3, first 2 shown]
	s_delay_alu instid0(VALU_DEP_1)
	v_mul_f32_e32 v92, v111, v92
	;;#ASMSTART
	v_cvt_f32_f16 v113, v113;
	;;#ASMEND
	v_fmac_f32_e32 v91, v114, v123
	s_wait_loadcnt 0x15
	v_lshrrev_b32_e32 v117, 16, v85
	v_dual_fmac_f32 v92, v115, v126 :: v_dual_and_b32 v85, 0xffff, v85
	v_mul_f32_e32 v111, v112, v113
	ds_load_b128 v[112:115], v101 offset:32
	s_wait_dscnt 0x0
	v_lshrrev_b32_e32 v116, 16, v112
	v_and_b32_e32 v112, 0xffff, v112
	;;#ASMSTART
	v_cvt_f32_f16 v112, v112;
	;;#ASMEND
	;;#ASMSTART
	v_cvt_f32_f16 v116, v116;
	;;#ASMEND
	;; [unrolled: 3-line block ×3, first 2 shown]
	s_delay_alu instid0(VALU_DEP_1)
	v_fmac_f32_e32 v89, v112, v85
	v_lshrrev_b32_e32 v112, 16, v113
	v_and_b32_e32 v85, 0xffff, v113
	v_lshrrev_b32_e32 v113, 16, v86
	v_and_b32_e32 v86, 0xffff, v86
	;;#ASMSTART
	v_cvt_f32_f16 v117, v117;
	;;#ASMEND
	;;#ASMSTART
	v_cvt_f32_f16 v85, v85;
	;;#ASMEND
	;; [unrolled: 3-line block ×5, first 2 shown]
	v_dual_fmac_f32 v90, v85, v86 :: v_dual_fmac_f32 v109, v112, v113
	v_lshrrev_b32_e32 v86, 16, v114
	v_and_b32_e32 v85, 0xffff, v114
	v_lshrrev_b32_e32 v112, 16, v87
	v_and_b32_e32 v87, 0xffff, v87
	;;#ASMSTART
	v_cvt_f32_f16 v85, v85;
	;;#ASMEND
	;;#ASMSTART
	v_cvt_f32_f16 v86, v86;
	;;#ASMEND
	;;#ASMSTART
	v_cvt_f32_f16 v87, v87;
	;;#ASMEND
	;;#ASMSTART
	v_cvt_f32_f16 v112, v112;
	;;#ASMEND
	v_dual_fmac_f32 v91, v85, v87 :: v_dual_fmac_f32 v110, v86, v112
	v_lshrrev_b32_e32 v86, 16, v115
	v_and_b32_e32 v85, 0xffff, v115
	v_dual_fmac_f32 v108, v116, v117 :: v_dual_and_b32 v87, 0xffff, v88
	;;#ASMSTART
	v_cvt_f32_f16 v85, v85;
	;;#ASMEND
	;;#ASMSTART
	v_cvt_f32_f16 v86, v86;
	;;#ASMEND
	;; [unrolled: 3-line block ×3, first 2 shown]
	s_delay_alu instid0(VALU_DEP_1)
	v_fmac_f32_e32 v92, v85, v87
	v_fmac_f32_e32 v111, v125, v127
	v_lshrrev_b32_e32 v112, 16, v88
	;;#ASMSTART
	v_cvt_f32_f16 v88, v112;
	;;#ASMEND
	s_wait_loadcnt 0x14
	v_lshrrev_b32_e32 v113, 16, v81
	v_and_b32_e32 v81, 0xffff, v81
	v_fmac_f32_e32 v111, v86, v88
	ds_load_b128 v[85:88], v101 offset:48
	s_wait_dscnt 0x0
	v_lshrrev_b32_e32 v112, 16, v85
	v_and_b32_e32 v85, 0xffff, v85
	;;#ASMSTART
	v_cvt_f32_f16 v85, v85;
	;;#ASMEND
	;;#ASMSTART
	v_cvt_f32_f16 v112, v112;
	;;#ASMEND
	;; [unrolled: 3-line block ×3, first 2 shown]
	s_delay_alu instid0(VALU_DEP_1)
	v_fmac_f32_e32 v89, v85, v81
	v_lshrrev_b32_e32 v85, 16, v86
	v_and_b32_e32 v81, 0xffff, v86
	v_lshrrev_b32_e32 v86, 16, v82
	v_and_b32_e32 v82, 0xffff, v82
	;;#ASMSTART
	v_cvt_f32_f16 v113, v113;
	;;#ASMEND
	;;#ASMSTART
	v_cvt_f32_f16 v81, v81;
	;;#ASMEND
	;; [unrolled: 3-line block ×5, first 2 shown]
	v_fmac_f32_e32 v90, v81, v82
	v_fmac_f32_e32 v109, v85, v86
	v_lshrrev_b32_e32 v82, 16, v87
	v_and_b32_e32 v81, 0xffff, v87
	v_lshrrev_b32_e32 v85, 16, v83
	v_and_b32_e32 v83, 0xffff, v83
	;;#ASMSTART
	v_cvt_f32_f16 v81, v81;
	;;#ASMEND
	;;#ASMSTART
	v_cvt_f32_f16 v82, v82;
	;;#ASMEND
	;; [unrolled: 3-line block ×4, first 2 shown]
	v_dual_fmac_f32 v91, v81, v83 :: v_dual_fmac_f32 v110, v82, v85
	v_lshrrev_b32_e32 v82, 16, v88
	v_and_b32_e32 v81, 0xffff, v88
	v_and_b32_e32 v83, 0xffff, v84
	;;#ASMSTART
	v_cvt_f32_f16 v81, v81;
	;;#ASMEND
	;;#ASMSTART
	v_cvt_f32_f16 v82, v82;
	;;#ASMEND
	v_lshrrev_b32_e32 v85, 16, v84
	;;#ASMSTART
	v_cvt_f32_f16 v83, v83;
	;;#ASMEND
	;;#ASMSTART
	v_cvt_f32_f16 v84, v85;
	;;#ASMEND
	v_dual_fmac_f32 v92, v81, v83 :: v_dual_fmac_f32 v111, v82, v84
	ds_load_b128 v[81:84], v101 offset:64
	s_wait_loadcnt 0x13
	v_lshrrev_b32_e32 v86, 16, v77
	v_and_b32_e32 v77, 0xffff, v77
	v_fmac_f32_e32 v108, v112, v113
	s_wait_dscnt 0x0
	v_lshrrev_b32_e32 v85, 16, v81
	v_and_b32_e32 v81, 0xffff, v81
	;;#ASMSTART
	v_cvt_f32_f16 v81, v81;
	;;#ASMEND
	;;#ASMSTART
	v_cvt_f32_f16 v85, v85;
	;;#ASMEND
	;; [unrolled: 3-line block ×3, first 2 shown]
	s_delay_alu instid0(VALU_DEP_1)
	v_fmac_f32_e32 v89, v81, v77
	v_lshrrev_b32_e32 v81, 16, v82
	v_and_b32_e32 v77, 0xffff, v82
	v_lshrrev_b32_e32 v82, 16, v78
	v_and_b32_e32 v78, 0xffff, v78
	;;#ASMSTART
	v_cvt_f32_f16 v86, v86;
	;;#ASMEND
	;;#ASMSTART
	v_cvt_f32_f16 v77, v77;
	;;#ASMEND
	;;#ASMSTART
	v_cvt_f32_f16 v81, v81;
	;;#ASMEND
	;;#ASMSTART
	v_cvt_f32_f16 v78, v78;
	;;#ASMEND
	;;#ASMSTART
	v_cvt_f32_f16 v82, v82;
	;;#ASMEND
	v_fmac_f32_e32 v90, v77, v78
	v_fmac_f32_e32 v109, v81, v82
	v_lshrrev_b32_e32 v78, 16, v83
	v_and_b32_e32 v77, 0xffff, v83
	v_lshrrev_b32_e32 v81, 16, v79
	v_and_b32_e32 v79, 0xffff, v79
	;;#ASMSTART
	v_cvt_f32_f16 v77, v77;
	;;#ASMEND
	;;#ASMSTART
	v_cvt_f32_f16 v78, v78;
	;;#ASMEND
	;; [unrolled: 3-line block ×4, first 2 shown]
	v_dual_fmac_f32 v91, v77, v79 :: v_dual_fmac_f32 v110, v78, v81
	v_lshrrev_b32_e32 v78, 16, v84
	v_and_b32_e32 v77, 0xffff, v84
	v_and_b32_e32 v79, 0xffff, v80
	;;#ASMSTART
	v_cvt_f32_f16 v77, v77;
	;;#ASMEND
	;;#ASMSTART
	v_cvt_f32_f16 v78, v78;
	;;#ASMEND
	v_lshrrev_b32_e32 v81, 16, v80
	;;#ASMSTART
	v_cvt_f32_f16 v79, v79;
	;;#ASMEND
	;;#ASMSTART
	v_cvt_f32_f16 v80, v81;
	;;#ASMEND
	v_dual_fmac_f32 v92, v77, v79 :: v_dual_fmac_f32 v111, v78, v80
	ds_load_b128 v[77:80], v101 offset:80
	s_wait_loadcnt 0x12
	v_lshrrev_b32_e32 v82, 16, v73
	v_dual_fmac_f32 v108, v85, v86 :: v_dual_and_b32 v73, 0xffff, v73
	s_wait_dscnt 0x0
	v_lshrrev_b32_e32 v81, 16, v77
	v_and_b32_e32 v77, 0xffff, v77
	;;#ASMSTART
	v_cvt_f32_f16 v77, v77;
	;;#ASMEND
	;;#ASMSTART
	v_cvt_f32_f16 v81, v81;
	;;#ASMEND
	;; [unrolled: 3-line block ×3, first 2 shown]
	s_delay_alu instid0(VALU_DEP_1)
	v_fmac_f32_e32 v89, v77, v73
	v_lshrrev_b32_e32 v77, 16, v78
	v_and_b32_e32 v73, 0xffff, v78
	v_lshrrev_b32_e32 v78, 16, v74
	v_and_b32_e32 v74, 0xffff, v74
	;;#ASMSTART
	v_cvt_f32_f16 v82, v82;
	;;#ASMEND
	;;#ASMSTART
	v_cvt_f32_f16 v73, v73;
	;;#ASMEND
	;; [unrolled: 3-line block ×5, first 2 shown]
	v_fmac_f32_e32 v90, v73, v74
	v_fmac_f32_e32 v109, v77, v78
	v_lshrrev_b32_e32 v74, 16, v79
	v_and_b32_e32 v73, 0xffff, v79
	v_lshrrev_b32_e32 v77, 16, v75
	v_and_b32_e32 v75, 0xffff, v75
	;;#ASMSTART
	v_cvt_f32_f16 v73, v73;
	;;#ASMEND
	;;#ASMSTART
	v_cvt_f32_f16 v74, v74;
	;;#ASMEND
	;; [unrolled: 3-line block ×4, first 2 shown]
	v_dual_fmac_f32 v91, v73, v75 :: v_dual_fmac_f32 v110, v74, v77
	v_lshrrev_b32_e32 v74, 16, v80
	v_and_b32_e32 v73, 0xffff, v80
	v_and_b32_e32 v75, 0xffff, v76
	;;#ASMSTART
	v_cvt_f32_f16 v73, v73;
	;;#ASMEND
	;;#ASMSTART
	v_cvt_f32_f16 v74, v74;
	;;#ASMEND
	v_lshrrev_b32_e32 v77, 16, v76
	;;#ASMSTART
	v_cvt_f32_f16 v75, v75;
	;;#ASMEND
	;;#ASMSTART
	v_cvt_f32_f16 v76, v77;
	;;#ASMEND
	v_dual_fmac_f32 v92, v73, v75 :: v_dual_fmac_f32 v111, v74, v76
	ds_load_b128 v[73:76], v101 offset:96
	s_wait_loadcnt 0x11
	v_lshrrev_b32_e32 v78, 16, v69
	v_dual_fmac_f32 v108, v81, v82 :: v_dual_and_b32 v69, 0xffff, v69
	s_wait_dscnt 0x0
	v_lshrrev_b32_e32 v77, 16, v73
	v_and_b32_e32 v73, 0xffff, v73
	;;#ASMSTART
	v_cvt_f32_f16 v73, v73;
	;;#ASMEND
	;;#ASMSTART
	v_cvt_f32_f16 v77, v77;
	;;#ASMEND
	;; [unrolled: 3-line block ×3, first 2 shown]
	s_delay_alu instid0(VALU_DEP_1)
	v_fmac_f32_e32 v89, v73, v69
	v_lshrrev_b32_e32 v73, 16, v74
	v_and_b32_e32 v69, 0xffff, v74
	v_lshrrev_b32_e32 v74, 16, v70
	v_and_b32_e32 v70, 0xffff, v70
	;;#ASMSTART
	v_cvt_f32_f16 v78, v78;
	;;#ASMEND
	;;#ASMSTART
	v_cvt_f32_f16 v69, v69;
	;;#ASMEND
	;; [unrolled: 3-line block ×5, first 2 shown]
	v_fmac_f32_e32 v90, v69, v70
	v_fmac_f32_e32 v109, v73, v74
	v_lshrrev_b32_e32 v70, 16, v75
	v_and_b32_e32 v69, 0xffff, v75
	v_lshrrev_b32_e32 v73, 16, v71
	v_and_b32_e32 v71, 0xffff, v71
	;;#ASMSTART
	v_cvt_f32_f16 v69, v69;
	;;#ASMEND
	;;#ASMSTART
	v_cvt_f32_f16 v70, v70;
	;;#ASMEND
	;; [unrolled: 3-line block ×4, first 2 shown]
	v_dual_fmac_f32 v91, v69, v71 :: v_dual_fmac_f32 v110, v70, v73
	v_lshrrev_b32_e32 v70, 16, v76
	v_and_b32_e32 v69, 0xffff, v76
	v_and_b32_e32 v71, 0xffff, v72
	;;#ASMSTART
	v_cvt_f32_f16 v69, v69;
	;;#ASMEND
	;;#ASMSTART
	v_cvt_f32_f16 v70, v70;
	;;#ASMEND
	v_lshrrev_b32_e32 v73, 16, v72
	;;#ASMSTART
	v_cvt_f32_f16 v71, v71;
	;;#ASMEND
	;;#ASMSTART
	v_cvt_f32_f16 v72, v73;
	;;#ASMEND
	v_dual_fmac_f32 v92, v69, v71 :: v_dual_fmac_f32 v111, v70, v72
	ds_load_b128 v[69:72], v101 offset:112
	s_wait_loadcnt 0x10
	v_lshrrev_b32_e32 v74, 16, v65
	v_dual_fmac_f32 v108, v77, v78 :: v_dual_and_b32 v65, 0xffff, v65
	s_wait_dscnt 0x0
	v_lshrrev_b32_e32 v73, 16, v69
	v_and_b32_e32 v69, 0xffff, v69
	;;#ASMSTART
	v_cvt_f32_f16 v69, v69;
	;;#ASMEND
	;;#ASMSTART
	v_cvt_f32_f16 v73, v73;
	;;#ASMEND
	;; [unrolled: 3-line block ×3, first 2 shown]
	s_delay_alu instid0(VALU_DEP_1)
	v_fmac_f32_e32 v89, v69, v65
	v_lshrrev_b32_e32 v69, 16, v70
	v_and_b32_e32 v65, 0xffff, v70
	v_lshrrev_b32_e32 v70, 16, v66
	v_and_b32_e32 v66, 0xffff, v66
	;;#ASMSTART
	v_cvt_f32_f16 v74, v74;
	;;#ASMEND
	;;#ASMSTART
	v_cvt_f32_f16 v65, v65;
	;;#ASMEND
	;; [unrolled: 3-line block ×5, first 2 shown]
	v_fmac_f32_e32 v90, v65, v66
	v_fmac_f32_e32 v109, v69, v70
	v_lshrrev_b32_e32 v66, 16, v71
	v_and_b32_e32 v65, 0xffff, v71
	v_lshrrev_b32_e32 v69, 16, v67
	v_and_b32_e32 v67, 0xffff, v67
	;;#ASMSTART
	v_cvt_f32_f16 v65, v65;
	;;#ASMEND
	;;#ASMSTART
	v_cvt_f32_f16 v66, v66;
	;;#ASMEND
	;; [unrolled: 3-line block ×4, first 2 shown]
	v_dual_fmac_f32 v91, v65, v67 :: v_dual_fmac_f32 v110, v66, v69
	v_lshrrev_b32_e32 v66, 16, v72
	v_and_b32_e32 v65, 0xffff, v72
	v_and_b32_e32 v67, 0xffff, v68
	;;#ASMSTART
	v_cvt_f32_f16 v65, v65;
	;;#ASMEND
	;;#ASMSTART
	v_cvt_f32_f16 v66, v66;
	;;#ASMEND
	v_lshrrev_b32_e32 v69, 16, v68
	;;#ASMSTART
	v_cvt_f32_f16 v67, v67;
	;;#ASMEND
	;;#ASMSTART
	v_cvt_f32_f16 v68, v69;
	;;#ASMEND
	v_dual_fmac_f32 v92, v65, v67 :: v_dual_fmac_f32 v111, v66, v68
	ds_load_b128 v[65:68], v101 offset:128
	s_wait_loadcnt 0xf
	v_lshrrev_b32_e32 v70, 16, v61
	v_dual_fmac_f32 v108, v73, v74 :: v_dual_and_b32 v61, 0xffff, v61
	s_wait_dscnt 0x0
	v_lshrrev_b32_e32 v69, 16, v65
	v_and_b32_e32 v65, 0xffff, v65
	;;#ASMSTART
	v_cvt_f32_f16 v65, v65;
	;;#ASMEND
	;;#ASMSTART
	v_cvt_f32_f16 v69, v69;
	;;#ASMEND
	;;#ASMSTART
	v_cvt_f32_f16 v61, v61;
	;;#ASMEND
	s_delay_alu instid0(VALU_DEP_1)
	v_fmac_f32_e32 v89, v65, v61
	v_lshrrev_b32_e32 v65, 16, v66
	v_and_b32_e32 v61, 0xffff, v66
	v_lshrrev_b32_e32 v66, 16, v62
	v_and_b32_e32 v62, 0xffff, v62
	;;#ASMSTART
	v_cvt_f32_f16 v70, v70;
	;;#ASMEND
	;;#ASMSTART
	v_cvt_f32_f16 v61, v61;
	;;#ASMEND
	;; [unrolled: 3-line block ×5, first 2 shown]
	v_fmac_f32_e32 v90, v61, v62
	v_fmac_f32_e32 v109, v65, v66
	v_lshrrev_b32_e32 v62, 16, v67
	v_and_b32_e32 v61, 0xffff, v67
	v_lshrrev_b32_e32 v65, 16, v63
	v_and_b32_e32 v63, 0xffff, v63
	;;#ASMSTART
	v_cvt_f32_f16 v61, v61;
	;;#ASMEND
	;;#ASMSTART
	v_cvt_f32_f16 v62, v62;
	;;#ASMEND
	;; [unrolled: 3-line block ×4, first 2 shown]
	v_dual_fmac_f32 v91, v61, v63 :: v_dual_fmac_f32 v110, v62, v65
	v_lshrrev_b32_e32 v62, 16, v68
	v_and_b32_e32 v61, 0xffff, v68
	v_and_b32_e32 v63, 0xffff, v64
	;;#ASMSTART
	v_cvt_f32_f16 v61, v61;
	;;#ASMEND
	;;#ASMSTART
	v_cvt_f32_f16 v62, v62;
	;;#ASMEND
	v_lshrrev_b32_e32 v65, 16, v64
	;;#ASMSTART
	v_cvt_f32_f16 v63, v63;
	;;#ASMEND
	;;#ASMSTART
	v_cvt_f32_f16 v64, v65;
	;;#ASMEND
	v_dual_fmac_f32 v92, v61, v63 :: v_dual_fmac_f32 v111, v62, v64
	ds_load_b128 v[61:64], v101 offset:144
	s_wait_loadcnt 0xe
	v_lshrrev_b32_e32 v66, 16, v57
	v_dual_fmac_f32 v108, v69, v70 :: v_dual_and_b32 v57, 0xffff, v57
	s_wait_dscnt 0x0
	v_lshrrev_b32_e32 v65, 16, v61
	v_and_b32_e32 v61, 0xffff, v61
	;;#ASMSTART
	v_cvt_f32_f16 v61, v61;
	;;#ASMEND
	;;#ASMSTART
	v_cvt_f32_f16 v65, v65;
	;;#ASMEND
	;; [unrolled: 3-line block ×3, first 2 shown]
	s_delay_alu instid0(VALU_DEP_1)
	v_fmac_f32_e32 v89, v61, v57
	v_lshrrev_b32_e32 v61, 16, v62
	v_and_b32_e32 v57, 0xffff, v62
	v_lshrrev_b32_e32 v62, 16, v58
	v_and_b32_e32 v58, 0xffff, v58
	;;#ASMSTART
	v_cvt_f32_f16 v66, v66;
	;;#ASMEND
	;;#ASMSTART
	v_cvt_f32_f16 v57, v57;
	;;#ASMEND
	;; [unrolled: 3-line block ×5, first 2 shown]
	v_fmac_f32_e32 v90, v57, v58
	v_fmac_f32_e32 v109, v61, v62
	v_lshrrev_b32_e32 v58, 16, v63
	v_and_b32_e32 v57, 0xffff, v63
	v_lshrrev_b32_e32 v61, 16, v59
	v_and_b32_e32 v59, 0xffff, v59
	;;#ASMSTART
	v_cvt_f32_f16 v57, v57;
	;;#ASMEND
	;;#ASMSTART
	v_cvt_f32_f16 v58, v58;
	;;#ASMEND
	;; [unrolled: 3-line block ×4, first 2 shown]
	v_dual_fmac_f32 v91, v57, v59 :: v_dual_fmac_f32 v110, v58, v61
	v_lshrrev_b32_e32 v58, 16, v64
	v_and_b32_e32 v57, 0xffff, v64
	v_and_b32_e32 v59, 0xffff, v60
	;;#ASMSTART
	v_cvt_f32_f16 v57, v57;
	;;#ASMEND
	;;#ASMSTART
	v_cvt_f32_f16 v58, v58;
	;;#ASMEND
	v_lshrrev_b32_e32 v61, 16, v60
	;;#ASMSTART
	v_cvt_f32_f16 v59, v59;
	;;#ASMEND
	;;#ASMSTART
	v_cvt_f32_f16 v60, v61;
	;;#ASMEND
	v_dual_fmac_f32 v92, v57, v59 :: v_dual_fmac_f32 v111, v58, v60
	ds_load_b128 v[57:60], v101 offset:160
	s_wait_loadcnt 0xd
	v_lshrrev_b32_e32 v62, 16, v53
	v_dual_fmac_f32 v108, v65, v66 :: v_dual_and_b32 v53, 0xffff, v53
	s_wait_dscnt 0x0
	v_lshrrev_b32_e32 v61, 16, v57
	v_and_b32_e32 v57, 0xffff, v57
	;;#ASMSTART
	v_cvt_f32_f16 v57, v57;
	;;#ASMEND
	;;#ASMSTART
	v_cvt_f32_f16 v61, v61;
	;;#ASMEND
	;; [unrolled: 3-line block ×3, first 2 shown]
	s_delay_alu instid0(VALU_DEP_1)
	v_fmac_f32_e32 v89, v57, v53
	v_lshrrev_b32_e32 v57, 16, v58
	v_and_b32_e32 v53, 0xffff, v58
	v_lshrrev_b32_e32 v58, 16, v54
	v_and_b32_e32 v54, 0xffff, v54
	;;#ASMSTART
	v_cvt_f32_f16 v62, v62;
	;;#ASMEND
	;;#ASMSTART
	v_cvt_f32_f16 v53, v53;
	;;#ASMEND
	;; [unrolled: 3-line block ×5, first 2 shown]
	v_fmac_f32_e32 v90, v53, v54
	v_fmac_f32_e32 v109, v57, v58
	v_lshrrev_b32_e32 v54, 16, v59
	v_and_b32_e32 v53, 0xffff, v59
	v_lshrrev_b32_e32 v57, 16, v55
	v_and_b32_e32 v55, 0xffff, v55
	;;#ASMSTART
	v_cvt_f32_f16 v53, v53;
	;;#ASMEND
	;;#ASMSTART
	v_cvt_f32_f16 v54, v54;
	;;#ASMEND
	;; [unrolled: 3-line block ×4, first 2 shown]
	v_dual_fmac_f32 v91, v53, v55 :: v_dual_fmac_f32 v110, v54, v57
	v_lshrrev_b32_e32 v54, 16, v60
	v_and_b32_e32 v53, 0xffff, v60
	v_and_b32_e32 v55, 0xffff, v56
	;;#ASMSTART
	v_cvt_f32_f16 v53, v53;
	;;#ASMEND
	;;#ASMSTART
	v_cvt_f32_f16 v54, v54;
	;;#ASMEND
	v_lshrrev_b32_e32 v57, 16, v56
	;;#ASMSTART
	v_cvt_f32_f16 v55, v55;
	;;#ASMEND
	;;#ASMSTART
	v_cvt_f32_f16 v56, v57;
	;;#ASMEND
	v_dual_fmac_f32 v92, v53, v55 :: v_dual_fmac_f32 v111, v54, v56
	ds_load_b128 v[53:56], v101 offset:176
	s_wait_loadcnt 0xc
	v_lshrrev_b32_e32 v58, 16, v49
	v_dual_fmac_f32 v108, v61, v62 :: v_dual_and_b32 v49, 0xffff, v49
	s_wait_dscnt 0x0
	v_lshrrev_b32_e32 v57, 16, v53
	v_and_b32_e32 v53, 0xffff, v53
	;;#ASMSTART
	v_cvt_f32_f16 v53, v53;
	;;#ASMEND
	;;#ASMSTART
	v_cvt_f32_f16 v57, v57;
	;;#ASMEND
	;;#ASMSTART
	v_cvt_f32_f16 v49, v49;
	;;#ASMEND
	s_delay_alu instid0(VALU_DEP_1)
	v_fmac_f32_e32 v89, v53, v49
	v_lshrrev_b32_e32 v53, 16, v54
	v_and_b32_e32 v49, 0xffff, v54
	v_lshrrev_b32_e32 v54, 16, v50
	v_and_b32_e32 v50, 0xffff, v50
	;;#ASMSTART
	v_cvt_f32_f16 v58, v58;
	;;#ASMEND
	;;#ASMSTART
	v_cvt_f32_f16 v49, v49;
	;;#ASMEND
	;; [unrolled: 3-line block ×5, first 2 shown]
	v_fmac_f32_e32 v90, v49, v50
	v_fmac_f32_e32 v109, v53, v54
	v_lshrrev_b32_e32 v50, 16, v55
	v_and_b32_e32 v49, 0xffff, v55
	v_lshrrev_b32_e32 v53, 16, v51
	v_and_b32_e32 v51, 0xffff, v51
	;;#ASMSTART
	v_cvt_f32_f16 v49, v49;
	;;#ASMEND
	;;#ASMSTART
	v_cvt_f32_f16 v50, v50;
	;;#ASMEND
	;; [unrolled: 3-line block ×4, first 2 shown]
	v_dual_fmac_f32 v91, v49, v51 :: v_dual_fmac_f32 v110, v50, v53
	v_lshrrev_b32_e32 v50, 16, v56
	v_and_b32_e32 v49, 0xffff, v56
	v_and_b32_e32 v51, 0xffff, v52
	;;#ASMSTART
	v_cvt_f32_f16 v49, v49;
	;;#ASMEND
	;;#ASMSTART
	v_cvt_f32_f16 v50, v50;
	;;#ASMEND
	v_lshrrev_b32_e32 v53, 16, v52
	;;#ASMSTART
	v_cvt_f32_f16 v51, v51;
	;;#ASMEND
	;;#ASMSTART
	v_cvt_f32_f16 v52, v53;
	;;#ASMEND
	v_dual_fmac_f32 v92, v49, v51 :: v_dual_fmac_f32 v111, v50, v52
	ds_load_b128 v[49:52], v101 offset:192
	s_wait_loadcnt 0xb
	v_lshrrev_b32_e32 v54, 16, v45
	v_dual_fmac_f32 v108, v57, v58 :: v_dual_and_b32 v45, 0xffff, v45
	s_wait_dscnt 0x0
	v_lshrrev_b32_e32 v53, 16, v49
	v_and_b32_e32 v49, 0xffff, v49
	;;#ASMSTART
	v_cvt_f32_f16 v49, v49;
	;;#ASMEND
	;;#ASMSTART
	v_cvt_f32_f16 v53, v53;
	;;#ASMEND
	;; [unrolled: 3-line block ×3, first 2 shown]
	s_delay_alu instid0(VALU_DEP_1)
	v_fmac_f32_e32 v89, v49, v45
	v_lshrrev_b32_e32 v49, 16, v50
	v_and_b32_e32 v45, 0xffff, v50
	v_lshrrev_b32_e32 v50, 16, v46
	v_and_b32_e32 v46, 0xffff, v46
	;;#ASMSTART
	v_cvt_f32_f16 v54, v54;
	;;#ASMEND
	;;#ASMSTART
	v_cvt_f32_f16 v45, v45;
	;;#ASMEND
	;; [unrolled: 3-line block ×5, first 2 shown]
	v_fmac_f32_e32 v90, v45, v46
	v_fmac_f32_e32 v109, v49, v50
	v_lshrrev_b32_e32 v46, 16, v51
	v_and_b32_e32 v45, 0xffff, v51
	v_lshrrev_b32_e32 v49, 16, v47
	v_and_b32_e32 v47, 0xffff, v47
	;;#ASMSTART
	v_cvt_f32_f16 v45, v45;
	;;#ASMEND
	;;#ASMSTART
	v_cvt_f32_f16 v46, v46;
	;;#ASMEND
	;; [unrolled: 3-line block ×4, first 2 shown]
	v_dual_fmac_f32 v91, v45, v47 :: v_dual_fmac_f32 v110, v46, v49
	v_lshrrev_b32_e32 v46, 16, v52
	v_and_b32_e32 v45, 0xffff, v52
	v_and_b32_e32 v47, 0xffff, v48
	;;#ASMSTART
	v_cvt_f32_f16 v45, v45;
	;;#ASMEND
	;;#ASMSTART
	v_cvt_f32_f16 v46, v46;
	;;#ASMEND
	v_lshrrev_b32_e32 v49, 16, v48
	;;#ASMSTART
	v_cvt_f32_f16 v47, v47;
	;;#ASMEND
	;;#ASMSTART
	v_cvt_f32_f16 v48, v49;
	;;#ASMEND
	v_dual_fmac_f32 v92, v45, v47 :: v_dual_fmac_f32 v111, v46, v48
	ds_load_b128 v[45:48], v101 offset:208
	s_wait_loadcnt 0xa
	v_lshrrev_b32_e32 v50, 16, v41
	v_dual_fmac_f32 v108, v53, v54 :: v_dual_and_b32 v41, 0xffff, v41
	s_wait_dscnt 0x0
	v_lshrrev_b32_e32 v49, 16, v45
	v_and_b32_e32 v45, 0xffff, v45
	;;#ASMSTART
	v_cvt_f32_f16 v45, v45;
	;;#ASMEND
	;;#ASMSTART
	v_cvt_f32_f16 v49, v49;
	;;#ASMEND
	;; [unrolled: 3-line block ×3, first 2 shown]
	s_delay_alu instid0(VALU_DEP_1)
	v_fmac_f32_e32 v89, v45, v41
	v_lshrrev_b32_e32 v45, 16, v46
	v_and_b32_e32 v41, 0xffff, v46
	v_lshrrev_b32_e32 v46, 16, v42
	v_and_b32_e32 v42, 0xffff, v42
	;;#ASMSTART
	v_cvt_f32_f16 v50, v50;
	;;#ASMEND
	;;#ASMSTART
	v_cvt_f32_f16 v41, v41;
	;;#ASMEND
	;; [unrolled: 3-line block ×5, first 2 shown]
	v_fmac_f32_e32 v90, v41, v42
	v_fmac_f32_e32 v109, v45, v46
	v_lshrrev_b32_e32 v42, 16, v47
	v_and_b32_e32 v41, 0xffff, v47
	v_lshrrev_b32_e32 v45, 16, v43
	v_and_b32_e32 v43, 0xffff, v43
	;;#ASMSTART
	v_cvt_f32_f16 v41, v41;
	;;#ASMEND
	;;#ASMSTART
	v_cvt_f32_f16 v42, v42;
	;;#ASMEND
	;; [unrolled: 3-line block ×4, first 2 shown]
	v_dual_fmac_f32 v91, v41, v43 :: v_dual_fmac_f32 v110, v42, v45
	v_lshrrev_b32_e32 v42, 16, v48
	v_and_b32_e32 v41, 0xffff, v48
	v_and_b32_e32 v43, 0xffff, v44
	;;#ASMSTART
	v_cvt_f32_f16 v41, v41;
	;;#ASMEND
	;;#ASMSTART
	v_cvt_f32_f16 v42, v42;
	;;#ASMEND
	v_lshrrev_b32_e32 v45, 16, v44
	;;#ASMSTART
	v_cvt_f32_f16 v43, v43;
	;;#ASMEND
	;;#ASMSTART
	v_cvt_f32_f16 v44, v45;
	;;#ASMEND
	v_dual_fmac_f32 v92, v41, v43 :: v_dual_fmac_f32 v111, v42, v44
	ds_load_b128 v[41:44], v101 offset:224
	s_wait_loadcnt 0x9
	v_lshrrev_b32_e32 v46, 16, v37
	v_dual_fmac_f32 v108, v49, v50 :: v_dual_and_b32 v37, 0xffff, v37
	s_wait_dscnt 0x0
	v_lshrrev_b32_e32 v45, 16, v41
	v_and_b32_e32 v41, 0xffff, v41
	;;#ASMSTART
	v_cvt_f32_f16 v41, v41;
	;;#ASMEND
	;;#ASMSTART
	v_cvt_f32_f16 v45, v45;
	;;#ASMEND
	;; [unrolled: 3-line block ×3, first 2 shown]
	s_delay_alu instid0(VALU_DEP_1)
	v_fmac_f32_e32 v89, v41, v37
	v_lshrrev_b32_e32 v41, 16, v42
	v_and_b32_e32 v37, 0xffff, v42
	v_lshrrev_b32_e32 v42, 16, v38
	v_and_b32_e32 v38, 0xffff, v38
	;;#ASMSTART
	v_cvt_f32_f16 v46, v46;
	;;#ASMEND
	;;#ASMSTART
	v_cvt_f32_f16 v37, v37;
	;;#ASMEND
	;; [unrolled: 3-line block ×5, first 2 shown]
	v_fmac_f32_e32 v90, v37, v38
	v_fmac_f32_e32 v109, v41, v42
	v_lshrrev_b32_e32 v38, 16, v43
	v_and_b32_e32 v37, 0xffff, v43
	v_lshrrev_b32_e32 v41, 16, v39
	v_and_b32_e32 v39, 0xffff, v39
	;;#ASMSTART
	v_cvt_f32_f16 v37, v37;
	;;#ASMEND
	;;#ASMSTART
	v_cvt_f32_f16 v38, v38;
	;;#ASMEND
	;; [unrolled: 3-line block ×4, first 2 shown]
	v_dual_fmac_f32 v91, v37, v39 :: v_dual_fmac_f32 v110, v38, v41
	v_lshrrev_b32_e32 v38, 16, v44
	v_and_b32_e32 v37, 0xffff, v44
	v_and_b32_e32 v39, 0xffff, v40
	;;#ASMSTART
	v_cvt_f32_f16 v37, v37;
	;;#ASMEND
	;;#ASMSTART
	v_cvt_f32_f16 v38, v38;
	;;#ASMEND
	v_lshrrev_b32_e32 v41, 16, v40
	;;#ASMSTART
	v_cvt_f32_f16 v39, v39;
	;;#ASMEND
	;;#ASMSTART
	v_cvt_f32_f16 v40, v41;
	;;#ASMEND
	v_dual_fmac_f32 v92, v37, v39 :: v_dual_fmac_f32 v111, v38, v40
	ds_load_b128 v[37:40], v101 offset:240
	s_wait_loadcnt 0x8
	v_lshrrev_b32_e32 v42, 16, v33
	v_dual_fmac_f32 v108, v45, v46 :: v_dual_and_b32 v33, 0xffff, v33
	s_wait_dscnt 0x0
	v_lshrrev_b32_e32 v41, 16, v37
	v_and_b32_e32 v37, 0xffff, v37
	;;#ASMSTART
	v_cvt_f32_f16 v37, v37;
	;;#ASMEND
	;;#ASMSTART
	v_cvt_f32_f16 v41, v41;
	;;#ASMEND
	;; [unrolled: 3-line block ×3, first 2 shown]
	s_delay_alu instid0(VALU_DEP_1)
	v_fmac_f32_e32 v89, v37, v33
	v_lshrrev_b32_e32 v37, 16, v38
	v_and_b32_e32 v33, 0xffff, v38
	v_lshrrev_b32_e32 v38, 16, v34
	v_and_b32_e32 v34, 0xffff, v34
	;;#ASMSTART
	v_cvt_f32_f16 v42, v42;
	;;#ASMEND
	;;#ASMSTART
	v_cvt_f32_f16 v33, v33;
	;;#ASMEND
	;;#ASMSTART
	v_cvt_f32_f16 v37, v37;
	;;#ASMEND
	;;#ASMSTART
	v_cvt_f32_f16 v34, v34;
	;;#ASMEND
	;;#ASMSTART
	v_cvt_f32_f16 v38, v38;
	;;#ASMEND
	v_fmac_f32_e32 v90, v33, v34
	v_fmac_f32_e32 v109, v37, v38
	v_lshrrev_b32_e32 v34, 16, v39
	v_and_b32_e32 v33, 0xffff, v39
	v_lshrrev_b32_e32 v37, 16, v35
	v_and_b32_e32 v35, 0xffff, v35
	;;#ASMSTART
	v_cvt_f32_f16 v33, v33;
	;;#ASMEND
	;;#ASMSTART
	v_cvt_f32_f16 v34, v34;
	;;#ASMEND
	;;#ASMSTART
	v_cvt_f32_f16 v35, v35;
	;;#ASMEND
	;;#ASMSTART
	v_cvt_f32_f16 v37, v37;
	;;#ASMEND
	v_dual_fmac_f32 v91, v33, v35 :: v_dual_fmac_f32 v110, v34, v37
	v_lshrrev_b32_e32 v34, 16, v40
	v_and_b32_e32 v33, 0xffff, v40
	v_and_b32_e32 v35, 0xffff, v36
	;;#ASMSTART
	v_cvt_f32_f16 v33, v33;
	;;#ASMEND
	;;#ASMSTART
	v_cvt_f32_f16 v34, v34;
	;;#ASMEND
	v_lshrrev_b32_e32 v37, 16, v36
	;;#ASMSTART
	v_cvt_f32_f16 v35, v35;
	;;#ASMEND
	;;#ASMSTART
	v_cvt_f32_f16 v36, v37;
	;;#ASMEND
	v_dual_fmac_f32 v92, v33, v35 :: v_dual_fmac_f32 v111, v34, v36
	ds_load_b128 v[33:36], v101 offset:256
	s_wait_loadcnt 0x7
	v_lshrrev_b32_e32 v38, 16, v29
	v_dual_fmac_f32 v108, v41, v42 :: v_dual_and_b32 v29, 0xffff, v29
	s_wait_dscnt 0x0
	v_lshrrev_b32_e32 v37, 16, v33
	v_and_b32_e32 v33, 0xffff, v33
	;;#ASMSTART
	v_cvt_f32_f16 v33, v33;
	;;#ASMEND
	;;#ASMSTART
	v_cvt_f32_f16 v37, v37;
	;;#ASMEND
	;; [unrolled: 3-line block ×3, first 2 shown]
	s_delay_alu instid0(VALU_DEP_1)
	v_fmac_f32_e32 v89, v33, v29
	v_lshrrev_b32_e32 v33, 16, v34
	v_and_b32_e32 v29, 0xffff, v34
	v_lshrrev_b32_e32 v34, 16, v30
	v_and_b32_e32 v30, 0xffff, v30
	;;#ASMSTART
	v_cvt_f32_f16 v38, v38;
	;;#ASMEND
	;;#ASMSTART
	v_cvt_f32_f16 v29, v29;
	;;#ASMEND
	;; [unrolled: 3-line block ×5, first 2 shown]
	v_fmac_f32_e32 v90, v29, v30
	v_fmac_f32_e32 v109, v33, v34
	v_lshrrev_b32_e32 v30, 16, v35
	v_and_b32_e32 v29, 0xffff, v35
	v_lshrrev_b32_e32 v33, 16, v31
	v_and_b32_e32 v31, 0xffff, v31
	;;#ASMSTART
	v_cvt_f32_f16 v29, v29;
	;;#ASMEND
	;;#ASMSTART
	v_cvt_f32_f16 v30, v30;
	;;#ASMEND
	;;#ASMSTART
	v_cvt_f32_f16 v31, v31;
	;;#ASMEND
	;;#ASMSTART
	v_cvt_f32_f16 v33, v33;
	;;#ASMEND
	v_dual_fmac_f32 v91, v29, v31 :: v_dual_fmac_f32 v110, v30, v33
	v_lshrrev_b32_e32 v30, 16, v36
	v_and_b32_e32 v29, 0xffff, v36
	v_and_b32_e32 v31, 0xffff, v32
	;;#ASMSTART
	v_cvt_f32_f16 v29, v29;
	;;#ASMEND
	;;#ASMSTART
	v_cvt_f32_f16 v30, v30;
	;;#ASMEND
	v_lshrrev_b32_e32 v33, 16, v32
	;;#ASMSTART
	v_cvt_f32_f16 v31, v31;
	;;#ASMEND
	;;#ASMSTART
	v_cvt_f32_f16 v32, v33;
	;;#ASMEND
	v_dual_fmac_f32 v92, v29, v31 :: v_dual_fmac_f32 v111, v30, v32
	ds_load_b128 v[29:32], v101 offset:272
	s_wait_loadcnt 0x6
	v_lshrrev_b32_e32 v34, 16, v25
	v_dual_fmac_f32 v108, v37, v38 :: v_dual_and_b32 v25, 0xffff, v25
	s_wait_dscnt 0x0
	v_lshrrev_b32_e32 v33, 16, v29
	v_and_b32_e32 v29, 0xffff, v29
	;;#ASMSTART
	v_cvt_f32_f16 v29, v29;
	;;#ASMEND
	;;#ASMSTART
	v_cvt_f32_f16 v33, v33;
	;;#ASMEND
	;; [unrolled: 3-line block ×3, first 2 shown]
	s_delay_alu instid0(VALU_DEP_1)
	v_fmac_f32_e32 v89, v29, v25
	v_lshrrev_b32_e32 v29, 16, v30
	v_and_b32_e32 v25, 0xffff, v30
	v_lshrrev_b32_e32 v30, 16, v26
	v_and_b32_e32 v26, 0xffff, v26
	;;#ASMSTART
	v_cvt_f32_f16 v34, v34;
	;;#ASMEND
	;;#ASMSTART
	v_cvt_f32_f16 v25, v25;
	;;#ASMEND
	;;#ASMSTART
	v_cvt_f32_f16 v29, v29;
	;;#ASMEND
	;;#ASMSTART
	v_cvt_f32_f16 v26, v26;
	;;#ASMEND
	;;#ASMSTART
	v_cvt_f32_f16 v30, v30;
	;;#ASMEND
	v_fmac_f32_e32 v90, v25, v26
	v_fmac_f32_e32 v109, v29, v30
	v_lshrrev_b32_e32 v26, 16, v31
	v_and_b32_e32 v25, 0xffff, v31
	v_lshrrev_b32_e32 v29, 16, v27
	v_and_b32_e32 v27, 0xffff, v27
	;;#ASMSTART
	v_cvt_f32_f16 v25, v25;
	;;#ASMEND
	;;#ASMSTART
	v_cvt_f32_f16 v26, v26;
	;;#ASMEND
	;; [unrolled: 3-line block ×4, first 2 shown]
	v_dual_fmac_f32 v91, v25, v27 :: v_dual_fmac_f32 v110, v26, v29
	v_lshrrev_b32_e32 v26, 16, v32
	v_and_b32_e32 v25, 0xffff, v32
	v_and_b32_e32 v27, 0xffff, v28
	;;#ASMSTART
	v_cvt_f32_f16 v25, v25;
	;;#ASMEND
	;;#ASMSTART
	v_cvt_f32_f16 v26, v26;
	;;#ASMEND
	v_lshrrev_b32_e32 v29, 16, v28
	;;#ASMSTART
	v_cvt_f32_f16 v27, v27;
	;;#ASMEND
	;;#ASMSTART
	v_cvt_f32_f16 v28, v29;
	;;#ASMEND
	v_dual_fmac_f32 v92, v25, v27 :: v_dual_fmac_f32 v111, v26, v28
	ds_load_b128 v[25:28], v101 offset:288
	s_wait_loadcnt 0x5
	v_lshrrev_b32_e32 v30, 16, v21
	v_dual_fmac_f32 v108, v33, v34 :: v_dual_and_b32 v21, 0xffff, v21
	s_wait_dscnt 0x0
	v_lshrrev_b32_e32 v29, 16, v25
	v_and_b32_e32 v25, 0xffff, v25
	;;#ASMSTART
	v_cvt_f32_f16 v25, v25;
	;;#ASMEND
	;;#ASMSTART
	v_cvt_f32_f16 v29, v29;
	;;#ASMEND
	;; [unrolled: 3-line block ×3, first 2 shown]
	s_delay_alu instid0(VALU_DEP_1)
	v_fmac_f32_e32 v89, v25, v21
	v_lshrrev_b32_e32 v25, 16, v26
	v_and_b32_e32 v21, 0xffff, v26
	v_lshrrev_b32_e32 v26, 16, v22
	v_and_b32_e32 v22, 0xffff, v22
	;;#ASMSTART
	v_cvt_f32_f16 v30, v30;
	;;#ASMEND
	;;#ASMSTART
	v_cvt_f32_f16 v21, v21;
	;;#ASMEND
	;;#ASMSTART
	v_cvt_f32_f16 v25, v25;
	;;#ASMEND
	;;#ASMSTART
	v_cvt_f32_f16 v22, v22;
	;;#ASMEND
	;;#ASMSTART
	v_cvt_f32_f16 v26, v26;
	;;#ASMEND
	v_fmac_f32_e32 v90, v21, v22
	v_fmac_f32_e32 v109, v25, v26
	v_lshrrev_b32_e32 v22, 16, v27
	v_and_b32_e32 v21, 0xffff, v27
	v_lshrrev_b32_e32 v25, 16, v23
	v_and_b32_e32 v23, 0xffff, v23
	;;#ASMSTART
	v_cvt_f32_f16 v21, v21;
	;;#ASMEND
	;;#ASMSTART
	v_cvt_f32_f16 v22, v22;
	;;#ASMEND
	;; [unrolled: 3-line block ×4, first 2 shown]
	v_dual_fmac_f32 v91, v21, v23 :: v_dual_fmac_f32 v110, v22, v25
	v_lshrrev_b32_e32 v22, 16, v28
	v_and_b32_e32 v21, 0xffff, v28
	v_and_b32_e32 v23, 0xffff, v24
	;;#ASMSTART
	v_cvt_f32_f16 v21, v21;
	;;#ASMEND
	;;#ASMSTART
	v_cvt_f32_f16 v22, v22;
	;;#ASMEND
	v_lshrrev_b32_e32 v25, 16, v24
	;;#ASMSTART
	v_cvt_f32_f16 v23, v23;
	;;#ASMEND
	;;#ASMSTART
	v_cvt_f32_f16 v24, v25;
	;;#ASMEND
	v_dual_fmac_f32 v92, v21, v23 :: v_dual_fmac_f32 v111, v22, v24
	ds_load_b128 v[21:24], v101 offset:304
	s_wait_loadcnt 0x4
	v_lshrrev_b32_e32 v26, 16, v17
	v_dual_fmac_f32 v108, v29, v30 :: v_dual_and_b32 v17, 0xffff, v17
	s_wait_dscnt 0x0
	v_lshrrev_b32_e32 v25, 16, v21
	v_and_b32_e32 v21, 0xffff, v21
	;;#ASMSTART
	v_cvt_f32_f16 v21, v21;
	;;#ASMEND
	;;#ASMSTART
	v_cvt_f32_f16 v25, v25;
	;;#ASMEND
	;; [unrolled: 3-line block ×3, first 2 shown]
	s_delay_alu instid0(VALU_DEP_1)
	v_fmac_f32_e32 v89, v21, v17
	v_lshrrev_b32_e32 v21, 16, v22
	v_and_b32_e32 v17, 0xffff, v22
	v_lshrrev_b32_e32 v22, 16, v18
	v_and_b32_e32 v18, 0xffff, v18
	;;#ASMSTART
	v_cvt_f32_f16 v26, v26;
	;;#ASMEND
	;;#ASMSTART
	v_cvt_f32_f16 v17, v17;
	;;#ASMEND
	;; [unrolled: 3-line block ×5, first 2 shown]
	v_fmac_f32_e32 v90, v17, v18
	v_fmac_f32_e32 v109, v21, v22
	v_lshrrev_b32_e32 v18, 16, v23
	v_and_b32_e32 v17, 0xffff, v23
	v_lshrrev_b32_e32 v21, 16, v19
	v_and_b32_e32 v19, 0xffff, v19
	;;#ASMSTART
	v_cvt_f32_f16 v17, v17;
	;;#ASMEND
	;;#ASMSTART
	v_cvt_f32_f16 v18, v18;
	;;#ASMEND
	;; [unrolled: 3-line block ×4, first 2 shown]
	v_dual_fmac_f32 v91, v17, v19 :: v_dual_fmac_f32 v110, v18, v21
	v_lshrrev_b32_e32 v18, 16, v24
	v_and_b32_e32 v17, 0xffff, v24
	v_and_b32_e32 v19, 0xffff, v20
	;;#ASMSTART
	v_cvt_f32_f16 v17, v17;
	;;#ASMEND
	;;#ASMSTART
	v_cvt_f32_f16 v18, v18;
	;;#ASMEND
	v_lshrrev_b32_e32 v21, 16, v20
	;;#ASMSTART
	v_cvt_f32_f16 v19, v19;
	;;#ASMEND
	;;#ASMSTART
	v_cvt_f32_f16 v20, v21;
	;;#ASMEND
	v_dual_fmac_f32 v92, v17, v19 :: v_dual_fmac_f32 v111, v18, v20
	ds_load_b128 v[17:20], v101 offset:320
	s_wait_loadcnt 0x3
	v_lshrrev_b32_e32 v22, 16, v13
	v_dual_fmac_f32 v108, v25, v26 :: v_dual_and_b32 v13, 0xffff, v13
	s_wait_dscnt 0x0
	v_lshrrev_b32_e32 v21, 16, v17
	v_and_b32_e32 v17, 0xffff, v17
	;;#ASMSTART
	v_cvt_f32_f16 v17, v17;
	;;#ASMEND
	;;#ASMSTART
	v_cvt_f32_f16 v21, v21;
	;;#ASMEND
	;;#ASMSTART
	v_cvt_f32_f16 v13, v13;
	;;#ASMEND
	s_delay_alu instid0(VALU_DEP_1)
	v_fmac_f32_e32 v89, v17, v13
	v_lshrrev_b32_e32 v17, 16, v18
	v_and_b32_e32 v13, 0xffff, v18
	v_lshrrev_b32_e32 v18, 16, v14
	v_and_b32_e32 v14, 0xffff, v14
	;;#ASMSTART
	v_cvt_f32_f16 v22, v22;
	;;#ASMEND
	;;#ASMSTART
	v_cvt_f32_f16 v13, v13;
	;;#ASMEND
	;; [unrolled: 3-line block ×5, first 2 shown]
	v_fmac_f32_e32 v90, v13, v14
	v_fmac_f32_e32 v109, v17, v18
	v_lshrrev_b32_e32 v14, 16, v19
	v_and_b32_e32 v13, 0xffff, v19
	v_lshrrev_b32_e32 v17, 16, v15
	v_and_b32_e32 v15, 0xffff, v15
	;;#ASMSTART
	v_cvt_f32_f16 v13, v13;
	;;#ASMEND
	;;#ASMSTART
	v_cvt_f32_f16 v14, v14;
	;;#ASMEND
	;; [unrolled: 3-line block ×4, first 2 shown]
	v_dual_fmac_f32 v91, v13, v15 :: v_dual_fmac_f32 v110, v14, v17
	v_lshrrev_b32_e32 v14, 16, v20
	v_and_b32_e32 v13, 0xffff, v20
	v_and_b32_e32 v15, 0xffff, v16
	;;#ASMSTART
	v_cvt_f32_f16 v13, v13;
	;;#ASMEND
	;;#ASMSTART
	v_cvt_f32_f16 v14, v14;
	;;#ASMEND
	v_lshrrev_b32_e32 v17, 16, v16
	;;#ASMSTART
	v_cvt_f32_f16 v15, v15;
	;;#ASMEND
	;;#ASMSTART
	v_cvt_f32_f16 v16, v17;
	;;#ASMEND
	v_dual_fmac_f32 v92, v13, v15 :: v_dual_fmac_f32 v111, v14, v16
	ds_load_b128 v[13:16], v101 offset:336
	s_wait_loadcnt 0x2
	v_lshrrev_b32_e32 v18, 16, v9
	v_dual_fmac_f32 v108, v21, v22 :: v_dual_and_b32 v9, 0xffff, v9
	s_wait_dscnt 0x0
	v_lshrrev_b32_e32 v17, 16, v13
	v_and_b32_e32 v13, 0xffff, v13
	;;#ASMSTART
	v_cvt_f32_f16 v13, v13;
	;;#ASMEND
	;;#ASMSTART
	v_cvt_f32_f16 v17, v17;
	;;#ASMEND
	;; [unrolled: 3-line block ×3, first 2 shown]
	s_delay_alu instid0(VALU_DEP_1)
	v_fmac_f32_e32 v89, v13, v9
	v_lshrrev_b32_e32 v13, 16, v14
	v_and_b32_e32 v9, 0xffff, v14
	v_lshrrev_b32_e32 v14, 16, v10
	v_and_b32_e32 v10, 0xffff, v10
	;;#ASMSTART
	v_cvt_f32_f16 v18, v18;
	;;#ASMEND
	;;#ASMSTART
	v_cvt_f32_f16 v9, v9;
	;;#ASMEND
	;; [unrolled: 3-line block ×5, first 2 shown]
	v_fmac_f32_e32 v90, v9, v10
	v_fmac_f32_e32 v109, v13, v14
	v_lshrrev_b32_e32 v10, 16, v15
	v_and_b32_e32 v9, 0xffff, v15
	v_lshrrev_b32_e32 v13, 16, v11
	v_and_b32_e32 v11, 0xffff, v11
	;;#ASMSTART
	v_cvt_f32_f16 v9, v9;
	;;#ASMEND
	;;#ASMSTART
	v_cvt_f32_f16 v10, v10;
	;;#ASMEND
	;; [unrolled: 3-line block ×4, first 2 shown]
	v_dual_fmac_f32 v91, v9, v11 :: v_dual_fmac_f32 v110, v10, v13
	v_lshrrev_b32_e32 v10, 16, v16
	v_and_b32_e32 v9, 0xffff, v16
	v_and_b32_e32 v11, 0xffff, v12
	;;#ASMSTART
	v_cvt_f32_f16 v9, v9;
	;;#ASMEND
	;;#ASMSTART
	v_cvt_f32_f16 v10, v10;
	;;#ASMEND
	v_lshrrev_b32_e32 v13, 16, v12
	;;#ASMSTART
	v_cvt_f32_f16 v11, v11;
	;;#ASMEND
	;;#ASMSTART
	v_cvt_f32_f16 v12, v13;
	;;#ASMEND
	v_dual_fmac_f32 v92, v9, v11 :: v_dual_fmac_f32 v111, v10, v12
	ds_load_b128 v[9:12], v101 offset:352
	s_wait_loadcnt 0x1
	v_lshrrev_b32_e32 v14, 16, v5
	v_dual_fmac_f32 v108, v17, v18 :: v_dual_and_b32 v5, 0xffff, v5
	s_wait_dscnt 0x0
	v_lshrrev_b32_e32 v13, 16, v9
	v_and_b32_e32 v9, 0xffff, v9
	;;#ASMSTART
	v_cvt_f32_f16 v9, v9;
	;;#ASMEND
	;;#ASMSTART
	v_cvt_f32_f16 v13, v13;
	;;#ASMEND
	;; [unrolled: 3-line block ×3, first 2 shown]
	s_delay_alu instid0(VALU_DEP_1)
	v_fmac_f32_e32 v89, v9, v5
	v_lshrrev_b32_e32 v9, 16, v10
	v_and_b32_e32 v5, 0xffff, v10
	v_lshrrev_b32_e32 v10, 16, v6
	v_and_b32_e32 v6, 0xffff, v6
	;;#ASMSTART
	v_cvt_f32_f16 v14, v14;
	;;#ASMEND
	;;#ASMSTART
	v_cvt_f32_f16 v5, v5;
	;;#ASMEND
	;; [unrolled: 3-line block ×5, first 2 shown]
	v_fmac_f32_e32 v90, v5, v6
	v_fmac_f32_e32 v109, v9, v10
	v_lshrrev_b32_e32 v6, 16, v11
	v_and_b32_e32 v5, 0xffff, v11
	v_lshrrev_b32_e32 v9, 16, v7
	v_and_b32_e32 v7, 0xffff, v7
	;;#ASMSTART
	v_cvt_f32_f16 v5, v5;
	;;#ASMEND
	;;#ASMSTART
	v_cvt_f32_f16 v6, v6;
	;;#ASMEND
	;;#ASMSTART
	v_cvt_f32_f16 v7, v7;
	;;#ASMEND
	;;#ASMSTART
	v_cvt_f32_f16 v9, v9;
	;;#ASMEND
	v_dual_fmac_f32 v91, v5, v7 :: v_dual_fmac_f32 v110, v6, v9
	v_lshrrev_b32_e32 v6, 16, v12
	v_and_b32_e32 v5, 0xffff, v12
	v_and_b32_e32 v7, 0xffff, v8
	;;#ASMSTART
	v_cvt_f32_f16 v5, v5;
	;;#ASMEND
	;;#ASMSTART
	v_cvt_f32_f16 v6, v6;
	;;#ASMEND
	v_lshrrev_b32_e32 v9, 16, v8
	;;#ASMSTART
	v_cvt_f32_f16 v7, v7;
	;;#ASMEND
	;;#ASMSTART
	v_cvt_f32_f16 v8, v9;
	;;#ASMEND
	v_dual_fmac_f32 v92, v5, v7 :: v_dual_fmac_f32 v111, v6, v8
	ds_load_b128 v[5:8], v101 offset:368
	v_fmac_f32_e32 v108, v13, v14
	s_wait_loadcnt 0x0
	v_lshrrev_b32_e32 v10, 16, v1
	v_and_b32_e32 v1, 0xffff, v1
	s_wait_dscnt 0x0
	v_lshrrev_b32_e32 v9, 16, v5
	v_and_b32_e32 v5, 0xffff, v5
	;;#ASMSTART
	v_cvt_f32_f16 v5, v5;
	;;#ASMEND
	;;#ASMSTART
	v_cvt_f32_f16 v9, v9;
	;;#ASMEND
	;;#ASMSTART
	v_cvt_f32_f16 v1, v1;
	;;#ASMEND
	s_delay_alu instid0(VALU_DEP_1)
	v_fmac_f32_e32 v89, v5, v1
	v_and_b32_e32 v1, 0xffff, v6
	;;#ASMSTART
	v_cvt_f32_f16 v10, v10;
	;;#ASMEND
	v_fmac_f32_e32 v108, v9, v10
	v_lshrrev_b32_e32 v5, 16, v6
	;;#ASMSTART
	v_cvt_f32_f16 v1, v1;
	;;#ASMEND
	v_lshrrev_b32_e32 v6, 16, v2
	v_and_b32_e32 v2, 0xffff, v2
	;;#ASMSTART
	v_cvt_f32_f16 v5, v5;
	;;#ASMEND
	;;#ASMSTART
	v_cvt_f32_f16 v2, v2;
	;;#ASMEND
	s_delay_alu instid0(VALU_DEP_1)
	v_dual_fmac_f32 v90, v1, v2 :: v_dual_and_b32 v1, 0xffff, v7
	;;#ASMSTART
	v_cvt_f32_f16 v6, v6;
	;;#ASMEND
	v_fmac_f32_e32 v109, v5, v6
	v_lshrrev_b32_e32 v2, 16, v7
	;;#ASMSTART
	v_cvt_f32_f16 v1, v1;
	;;#ASMEND
	v_lshrrev_b32_e32 v5, 16, v3
	v_and_b32_e32 v3, 0xffff, v3
	;;#ASMSTART
	v_cvt_f32_f16 v2, v2;
	;;#ASMEND
	;;#ASMSTART
	v_cvt_f32_f16 v3, v3;
	;;#ASMEND
	s_delay_alu instid0(VALU_DEP_1)
	v_fmac_f32_e32 v91, v1, v3
	v_and_b32_e32 v1, 0xffff, v8
	;;#ASMSTART
	v_cvt_f32_f16 v5, v5;
	;;#ASMEND
	v_fmac_f32_e32 v110, v2, v5
	v_lshrrev_b32_e32 v2, 16, v8
	;;#ASMSTART
	v_cvt_f32_f16 v1, v1;
	;;#ASMEND
	v_and_b32_e32 v3, 0xffff, v4
	;;#ASMSTART
	v_cvt_f32_f16 v2, v2;
	;;#ASMEND
	;;#ASMSTART
	v_cvt_f32_f16 v3, v3;
	;;#ASMEND
	s_delay_alu instid0(VALU_DEP_1) | instskip(SKIP_4) | instid1(VALU_DEP_3)
	v_fmac_f32_e32 v92, v1, v3
	v_add_f32_e32 v1, v89, v108
	v_lshrrev_b32_e32 v5, 16, v4
	;;#ASMSTART
	v_cvt_f32_f16 v4, v5;
	;;#ASMEND
	v_fmac_f32_e32 v111, v2, v4
	v_add_f32_e32 v1, v1, v90
	s_delay_alu instid0(VALU_DEP_1) | instskip(NEXT) | instid1(VALU_DEP_1)
	v_add_f32_e32 v1, v109, v1
	v_add_f32_e32 v1, v1, v91
	s_delay_alu instid0(VALU_DEP_1) | instskip(NEXT) | instid1(VALU_DEP_1)
	v_add_f32_e32 v1, v110, v1
	;; [unrolled: 3-line block ×3, first 2 shown]
	v_fmac_f32_e32 v107, s5, v1
	s_wait_alu 0xf1ff
	s_delay_alu instid0(VALU_DEP_1) | instskip(SKIP_3) | instid1(VALU_DEP_2)
	v_cndmask_b32_e64 v1, 0, v107, s3
	ds_store_b32 v103, v1
	v_max_num_f32_e32 v1, v100, v100
	v_add_nc_u32_e32 v103, 0x200, v103
	v_max_num_f32_e32 v1, v1, v107
	s_delay_alu instid0(VALU_DEP_1)
	v_cndmask_b32_e64 v100, v100, v1, s3
	v_add_co_u32 v94, s3, v94, 16
	s_wait_alu 0xf1ff
	v_add_co_ci_u32_e64 v95, null, 0, v95, s3
	v_cmp_le_i32_e64 s3, s13, v106
	s_or_b32 s7, s3, s7
	s_delay_alu instid0(SALU_CYCLE_1)
	s_and_not1_b32 exec_lo, exec_lo, s7
	s_cbranch_execnz .LBB124_7
; %bb.8:
	s_or_b32 exec_lo, exec_lo, s7
.LBB124_9:
	s_delay_alu instid0(SALU_CYCLE_1)
	s_or_b32 exec_lo, exec_lo, s6
	v_mbcnt_lo_u32_b32 v1, -1, 0
	s_clause 0x2
	s_load_b128 s[4:7], s[0:1], 0x0
	s_load_b64 s[18:19], s[0:1], 0x10
	s_load_b64 s[22:23], s[0:1], 0x28
	v_max_num_f32_e32 v5, v100, v100
	v_xor_b32_e32 v2, 16, v1
	v_xor_b32_e32 v4, 8, v1
	s_delay_alu instid0(VALU_DEP_2) | instskip(SKIP_2) | instid1(VALU_DEP_3)
	v_cmp_gt_i32_e32 vcc_lo, 32, v2
	s_wait_alu 0xfffd
	v_cndmask_b32_e32 v2, v1, v2, vcc_lo
	v_cmp_gt_i32_e32 vcc_lo, 32, v4
	s_delay_alu instid0(VALU_DEP_2)
	v_lshlrev_b32_e32 v2, 2, v2
	s_wait_alu 0xfffd
	v_cndmask_b32_e32 v4, v1, v4, vcc_lo
	ds_bpermute_b32 v3, v2, v100
	s_wait_dscnt 0x0
	v_dual_max_num_f32 v6, v3, v3 :: v_dual_lshlrev_b32 v3, 2, v4
	s_delay_alu instid0(VALU_DEP_1)
	v_max_num_f32_e32 v4, v5, v6
	v_xor_b32_e32 v6, 4, v1
	ds_bpermute_b32 v5, v3, v4
	v_cmp_gt_i32_e32 vcc_lo, 32, v6
	s_wait_alu 0xfffd
	v_cndmask_b32_e32 v6, v1, v6, vcc_lo
	s_wait_dscnt 0x0
	v_max_num_f32_e32 v7, v5, v5
	s_delay_alu instid0(VALU_DEP_1)
	v_dual_max_num_f32 v4, v4, v7 :: v_dual_lshlrev_b32 v5, 2, v6
	v_xor_b32_e32 v7, 2, v1
	ds_bpermute_b32 v6, v5, v4
	v_cmp_gt_i32_e32 vcc_lo, 32, v7
	s_wait_dscnt 0x0
	s_wait_alu 0xfffd
	v_dual_cndmask_b32 v7, v1, v7 :: v_dual_max_num_f32 v6, v6, v6
	s_delay_alu instid0(VALU_DEP_1) | instskip(NEXT) | instid1(VALU_DEP_2)
	v_max_num_f32_e32 v4, v4, v6
	v_lshlrev_b32_e32 v8, 2, v7
	v_xor_b32_e32 v7, 1, v1
	s_delay_alu instid0(VALU_DEP_1)
	v_cmp_gt_i32_e32 vcc_lo, 32, v7
	s_wait_alu 0xfffd
	v_cndmask_b32_e32 v7, v1, v7, vcc_lo
	ds_bpermute_b32 v6, v8, v4
	v_cmp_eq_u32_e32 vcc_lo, 0, v97
	s_wait_dscnt 0x0
	v_dual_max_num_f32 v6, v6, v6 :: v_dual_lshlrev_b32 v7, 2, v7
	s_delay_alu instid0(VALU_DEP_1)
	v_dual_max_num_f32 v1, v4, v6 :: v_dual_lshlrev_b32 v6, 2, v96
	ds_bpermute_b32 v4, v7, v1
	s_and_saveexec_b32 s0, vcc_lo
	s_cbranch_execz .LBB124_11
; %bb.10:
	s_wait_dscnt 0x0
	v_dual_max_num_f32 v4, v4, v4 :: v_dual_max_num_f32 v1, v1, v1
	s_delay_alu instid0(VALU_DEP_1)
	v_max_num_f32_e32 v1, v1, v4
	ds_store_b32 v6, v1 offset:384
.LBB124_11:
	s_or_b32 exec_lo, exec_lo, s0
	v_cmp_gt_u32_e64 s0, 4, v97
	v_mov_b32_e32 v1, 0xff7fffff
	s_wait_loadcnt_dscnt 0x0
	s_barrier_signal -1
	s_barrier_wait -1
	global_inv scope:SCOPE_SE
	s_and_saveexec_b32 s1, s0
; %bb.12:
	ds_load_b32 v1, v99 offset:384
; %bb.13:
	s_or_b32 exec_lo, exec_lo, s1
	s_wait_dscnt 0x0
	ds_bpermute_b32 v4, v8, v1
	v_max_num_f32_e32 v1, v1, v1
	s_sub_co_i32 s1, s13, s28
	v_mov_b32_e32 v9, 0
	s_lshl_b32 s1, s1, 5
	s_delay_alu instid0(SALU_CYCLE_1) | instskip(NEXT) | instid1(SALU_CYCLE_1)
	s_add_co_i32 s1, s1, s26
	s_min_i32 s1, s1, s25
	s_delay_alu instid0(SALU_CYCLE_1) | instskip(SKIP_4) | instid1(VALU_DEP_1)
	s_sub_co_i32 s11, s1, s26
	s_wait_alu 0xfffe
	v_cmp_gt_i32_e64 s1, s11, v0
	s_wait_dscnt 0x0
	v_max_num_f32_e32 v4, v4, v4
	v_max_num_f32_e32 v1, v1, v4
	ds_bpermute_b32 v4, v7, v1
	s_wait_dscnt 0x0
	v_max_num_f32_e32 v4, v4, v4
	s_delay_alu instid0(VALU_DEP_1)
	v_max_num_f32_e32 v1, v1, v4
	v_lshl_add_u32 v4, v0, 2, 0x1a0
	ds_bpermute_b32 v1, v9, v1
	s_and_saveexec_b32 s28, s1
	s_cbranch_execz .LBB124_17
; %bb.14:
	v_lshl_add_u32 v10, v0, 2, 0x1a0
	v_mov_b32_e32 v9, 0
	v_mov_b32_e32 v11, v0
	s_mov_b32 s29, 0
.LBB124_15:                             ; =>This Inner Loop Header: Depth=1
	ds_load_b32 v12, v10
	v_add_nc_u32_e32 v11, 0x80, v11
	s_delay_alu instid0(VALU_DEP_1) | instskip(SKIP_4) | instid1(VALU_DEP_1)
	v_cmp_le_i32_e64 s3, s11, v11
	s_wait_alu 0xfffe
	s_or_b32 s29, s3, s29
	s_wait_dscnt 0x0
	v_sub_f32_e32 v12, v12, v1
	v_mul_f32_e32 v12, 0x3fb8aa3b, v12
	s_delay_alu instid0(VALU_DEP_1)
	v_exp_f32_e32 v12, v12
	ds_store_b32 v10, v12
	v_dual_add_f32 v9, v9, v12 :: v_dual_add_nc_u32 v10, 0x200, v10
	s_wait_alu 0xfffe
	s_and_not1_b32 exec_lo, exec_lo, s29
	s_cbranch_execnz .LBB124_15
; %bb.16:
	s_or_b32 exec_lo, exec_lo, s29
.LBB124_17:
	s_wait_alu 0xfffe
	s_or_b32 exec_lo, exec_lo, s28
	ds_bpermute_b32 v2, v2, v9
	s_wait_dscnt 0x0
	v_add_f32_e32 v2, v9, v2
	ds_bpermute_b32 v3, v3, v2
	s_wait_dscnt 0x0
	v_add_f32_e32 v2, v2, v3
	ds_bpermute_b32 v3, v5, v2
	s_wait_dscnt 0x0
	v_add_f32_e32 v2, v2, v3
	ds_bpermute_b32 v3, v8, v2
	s_wait_dscnt 0x0
	v_add_f32_e32 v2, v2, v3
	ds_bpermute_b32 v3, v7, v2
	s_wait_dscnt 0x0
	v_add_f32_e32 v2, v2, v3
	s_and_saveexec_b32 s3, vcc_lo
; %bb.18:
	ds_store_b32 v6, v2 offset:400
; %bb.19:
	s_wait_alu 0xfffe
	s_or_b32 exec_lo, exec_lo, s3
	s_wait_loadcnt_dscnt 0x0
	s_barrier_signal -1
	s_barrier_wait -1
	global_inv scope:SCOPE_SE
	s_and_saveexec_b32 s3, s0
; %bb.20:
	ds_load_b32 v2, v99 offset:400
; %bb.21:
	s_wait_alu 0xfffe
	s_or_b32 exec_lo, exec_lo, s3
	s_wait_dscnt 0x0
	ds_bpermute_b32 v3, v8, v2
	s_wait_dscnt 0x0
	v_add_f32_e32 v2, v2, v3
	ds_bpermute_b32 v3, v7, v2
	s_wait_dscnt 0x0
	v_dual_add_f32 v2, v2, v3 :: v_dual_mov_b32 v3, 0
	ds_bpermute_b32 v2, v3, v2
	s_and_saveexec_b32 s0, s1
	s_cbranch_execz .LBB124_24
; %bb.22:
	s_wait_dscnt 0x0
	v_add_f32_e32 v3, 0x358637bd, v2
	s_mov_b32 s1, 0
	s_delay_alu instid0(VALU_DEP_1) | instskip(SKIP_1) | instid1(VALU_DEP_2)
	v_div_scale_f32 v5, null, v3, v3, 1.0
	v_div_scale_f32 v10, vcc_lo, 1.0, v3, 1.0
	v_rcp_f32_e32 v6, v5
	s_delay_alu instid0(TRANS32_DEP_1) | instskip(NEXT) | instid1(VALU_DEP_1)
	v_fma_f32 v9, -v5, v6, 1.0
	v_fmac_f32_e32 v6, v9, v6
	s_delay_alu instid0(VALU_DEP_1) | instskip(NEXT) | instid1(VALU_DEP_1)
	v_mul_f32_e32 v9, v10, v6
	v_fma_f32 v11, -v5, v9, v10
	s_delay_alu instid0(VALU_DEP_1) | instskip(NEXT) | instid1(VALU_DEP_1)
	v_fmac_f32_e32 v9, v11, v6
	v_fma_f32 v5, -v5, v9, v10
	s_wait_alu 0xfffd
	s_delay_alu instid0(VALU_DEP_1) | instskip(NEXT) | instid1(VALU_DEP_1)
	v_div_fmas_f32 v5, v5, v6, v9
	v_div_fixup_f32 v3, v5, v3, 1.0
	v_mov_b32_e32 v5, v0
.LBB124_23:                             ; =>This Inner Loop Header: Depth=1
	ds_load_b32 v6, v4
	s_wait_dscnt 0x0
	v_dual_mul_f32 v6, v3, v6 :: v_dual_add_nc_u32 v5, 0x80, v5
	s_delay_alu instid0(VALU_DEP_1) | instskip(SKIP_3) | instid1(SALU_CYCLE_1)
	v_cmp_le_i32_e32 vcc_lo, s11, v5
	ds_store_b32 v4, v6
	v_add_nc_u32_e32 v4, 0x200, v4
	s_or_b32 s1, vcc_lo, s1
	s_and_not1_b32 exec_lo, exec_lo, s1
	s_cbranch_execnz .LBB124_23
.LBB124_24:
	s_or_b32 exec_lo, exec_lo, s0
	s_mul_i32 s0, s8, s20
	s_wait_loadcnt_dscnt 0x0
	s_mul_i32 s20, s0, s21
	s_mov_b32 s0, exec_lo
	s_barrier_signal -1
	s_barrier_wait -1
	global_inv scope:SCOPE_SE
	v_cmpx_eq_u32_e32 0, v0
	s_cbranch_execz .LBB124_26
; %bb.25:
	s_ashr_i32 s21, s20, 31
	s_mul_i32 s28, s8, ttmp9
	s_lshl_b32 s1, s24, 2
	s_lshl_b64 s[30:31], s[20:21], 2
	s_wait_alu 0xfffe
	s_ashr_i32 s29, s28, 31
	v_mov_b32_e32 v3, s1
	s_wait_kmcnt 0x0
	s_add_nc_u64 s[6:7], s[6:7], s[30:31]
	s_wait_alu 0xfffe
	s_lshl_b64 s[28:29], s[28:29], 2
	s_add_nc_u64 s[4:5], s[4:5], s[30:31]
	s_wait_alu 0xfffe
	s_add_nc_u64 s[6:7], s[6:7], s[28:29]
	s_add_nc_u64 s[4:5], s[4:5], s[28:29]
	s_clause 0x1
	global_store_b32 v3, v1, s[6:7]
	global_store_b32 v3, v2, s[4:5]
.LBB124_26:
	s_or_b32 exec_lo, exec_lo, s0
	v_dual_mov_b32 v31, 0 :: v_dual_mov_b32 v32, 0
	v_dual_mov_b32 v30, 0 :: v_dual_mov_b32 v29, 0
	;; [unrolled: 1-line block ×12, first 2 shown]
	s_and_saveexec_b32 s1, s2
	s_cbranch_execz .LBB124_78
; %bb.27:
	v_dual_mov_b32 v10, 0 :: v_dual_lshlrev_b32 v1, 3, v0
	s_ashr_i32 s11, s10, 31
	s_lshl_b32 s0, s26, 2
	s_wait_kmcnt 0x0
	s_wait_alu 0xfffe
	s_lshl_b64 s[6:7], s[10:11], 1
	v_dual_mov_b32 v12, 0 :: v_dual_and_b32 v33, 24, v1
	v_dual_mov_b32 v14, 0 :: v_dual_and_b32 v1, 0x1f0, v98
	s_add_nc_u64 s[6:7], s[22:23], s[6:7]
	s_sub_co_i32 s4, 0x1a0, s0
	v_dual_mov_b32 v9, 0 :: v_dual_mov_b32 v16, 0
	s_delay_alu instid0(VALU_DEP_2)
	v_add_co_u32 v34, s0, s6, v1
	s_wait_alu 0xf1ff
	v_add_co_ci_u32_e64 v35, null, s7, 0, s0
	v_dual_mov_b32 v11, 0 :: v_dual_mov_b32 v18, 0
	v_dual_mov_b32 v13, 0 :: v_dual_mov_b32 v20, 0
	;; [unrolled: 1-line block ×8, first 2 shown]
	v_mov_b32_e32 v27, 0
	v_mov_b32_e32 v29, 0
	;; [unrolled: 1-line block ×3, first 2 shown]
	s_lshl_b64 s[2:3], s[16:17], 2
	s_mov_b32 s5, s9
	s_wait_alu 0xfffe
	s_add_nc_u64 s[2:3], s[14:15], s[2:3]
	s_add_co_i32 s27, s27, -1
	s_mov_b32 s6, 0
	s_branch .LBB124_29
.LBB124_28:                             ;   in Loop: Header=BB124_29 Depth=1
	s_wait_alu 0xfffe
	s_or_b32 exec_lo, exec_lo, s0
	v_add_f32_e32 v36, v94, v95
	v_dual_add_f32 v43, v90, v91 :: v_dual_add_f32 v44, v88, v89
	v_dual_add_f32 v45, v80, v81 :: v_dual_lshlrev_b32 v6, 16, v6
	v_lshlrev_b32_e32 v5, 16, v5
	s_delay_alu instid0(VALU_DEP_3) | instskip(SKIP_4) | instid1(VALU_DEP_3)
	v_dual_add_f32 v11, v11, v43 :: v_dual_add_f32 v12, v12, v44
	v_dual_add_f32 v43, v84, v85 :: v_dual_add_f32 v10, v10, v36
	v_add_f32_e32 v44, v82, v83
	v_add_f32_e32 v36, v86, v87
	v_dual_add_f32 v16, v16, v45 :: v_dual_add_f32 v45, v70, v71
	v_dual_add_f32 v46, v78, v79 :: v_dual_add_f32 v15, v15, v44
	s_delay_alu instid0(VALU_DEP_3) | instskip(NEXT) | instid1(VALU_DEP_3)
	v_dual_add_f32 v13, v13, v36 :: v_dual_add_f32 v36, v76, v77
	v_dual_add_f32 v21, v21, v45 :: v_dual_add_f32 v14, v14, v43
	s_delay_alu instid0(VALU_DEP_3) | instskip(SKIP_1) | instid1(VALU_DEP_4)
	v_add_f32_e32 v17, v17, v46
	v_dual_add_f32 v43, v74, v75 :: v_dual_add_f32 v44, v72, v73
	v_add_f32_e32 v18, v18, v36
	v_add_f32_e32 v36, v66, v67
	s_delay_alu instid0(VALU_DEP_3) | instskip(SKIP_2) | instid1(VALU_DEP_3)
	v_dual_add_f32 v46, v68, v69 :: v_dual_add_f32 v19, v19, v43
	v_add_f32_e32 v43, v64, v65
	v_and_or_b32 v3, 0xffff, v3, v5
	v_dual_add_f32 v23, v23, v36 :: v_dual_add_f32 v22, v22, v46
	v_dual_add_f32 v45, v60, v61 :: v_dual_add_f32 v46, v58, v59
	v_add_f32_e32 v20, v20, v44
	v_add_f32_e32 v44, v62, v63
	v_dual_add_f32 v24, v24, v43 :: v_dual_lshlrev_b32 v43, 16, v92
	v_add_f32_e32 v36, v56, v57
	v_add_f32_e32 v5, v52, v53
	v_and_or_b32 v2, 0xffff, v2, v6
	v_add_f32_e32 v25, v25, v44
	v_and_or_b32 v1, 0xffff, v1, v43
	;;#ASMSTART
	v_pk_mul_f16 v1, v38, v1;

	;;#ASMEND
	;;#ASMSTART
	v_pk_mul_f16 v2, v37, v2;

	;;#ASMEND
	;; [unrolled: 4-line block ×4, first 2 shown]
	;;#ASMSTART
	v_pk_add_f16 v1, v1, v2;

	;;#ASMEND
	;;#ASMSTART
	v_pk_add_f16 v1, v1, v3;

	;;#ASMEND
	;; [unrolled: 4-line block ×3, first 2 shown]
	v_dual_add_f32 v44, v54, v55 :: v_dual_and_b32 v3, 0xffff, v1
	v_lshrrev_b32_e32 v4, 16, v1
	v_dual_add_f32 v1, v50, v51 :: v_dual_add_f32 v28, v28, v36
	v_add_nc_u32_e32 v93, 4, v93
	;;#ASMSTART
	v_cvt_f32_f16 v3, v3;
	;;#ASMEND
	v_add_f32_e32 v2, v41, v42
	;;#ASMSTART
	v_cvt_f32_f16 v4, v4;
	;;#ASMEND
	v_dual_add_f32 v26, v26, v45 :: v_dual_add_f32 v3, v3, v4
	v_cmp_le_i32_e32 vcc_lo, s13, v93
	v_add_f32_e32 v27, v27, v46
	v_dual_add_f32 v29, v29, v44 :: v_dual_add_f32 v30, v30, v5
	v_dual_add_f32 v31, v31, v2 :: v_dual_add_f32 v32, v32, v1
	v_add_f32_e32 v9, v9, v3
	s_or_b32 s6, vcc_lo, s6
	s_wait_alu 0xfffe
	s_and_not1_b32 exec_lo, exec_lo, s6
	s_cbranch_execz .LBB124_77
.LBB124_29:                             ; =>This Inner Loop Header: Depth=1
	v_ashrrev_i32_e32 v94, 31, v93
	v_lshl_or_b32 v36, v93, 5, v33
	s_delay_alu instid0(VALU_DEP_2) | instskip(NEXT) | instid1(VALU_DEP_2)
	v_lshlrev_b64_e32 v[1:2], 2, v[93:94]
	v_lshl_add_u32 v6, v36, 2, s4
	v_or_b32_e32 v49, 1, v36
	v_or_b32_e32 v48, 2, v36
	;; [unrolled: 1-line block ×4, first 2 shown]
	s_wait_alu 0xfffe
	v_add_co_u32 v1, vcc_lo, s2, v1
	s_wait_alu 0xfffd
	v_add_co_ci_u32_e64 v2, null, s3, v2, vcc_lo
	global_load_b32 v5, v[1:2], off
	ds_load_2addr_b64 v[1:4], v6 offset1:1
	ds_load_2addr_b64 v[42:45], v6 offset0:2 offset1:3
	s_wait_dscnt 0x1
	;;#ASMSTART
	v_cvt_f16_f32 v38, v1;

	;;#ASMEND
	;;#ASMSTART
	v_cvt_f16_f32 v37, v2;

	;;#ASMEND
	;; [unrolled: 4-line block ×4, first 2 shown]
	s_wait_dscnt 0x0
	;;#ASMSTART
	v_cvt_f16_f32 v51, v42;

	;;#ASMEND
	;;#ASMSTART
	v_cvt_f16_f32 v39, v43;

	;;#ASMEND
	;; [unrolled: 4-line block ×4, first 2 shown]
	v_or_b32_e32 v45, 3, v36
	v_or_b32_e32 v44, 4, v36
	v_or_b32_e32 v43, 5, v36
	s_wait_loadcnt 0x0
	v_mad_co_i64_i32 v[5:6], null, v5, s5, 0
	s_delay_alu instid0(VALU_DEP_1) | instskip(NEXT) | instid1(VALU_DEP_1)
	v_lshlrev_b64_e32 v[5:6], 1, v[5:6]
	v_add_co_u32 v5, vcc_lo, v34, v5
	s_wait_alu 0xfffd
	s_delay_alu instid0(VALU_DEP_2)
	v_add_co_ci_u32_e64 v6, null, v35, v6, vcc_lo
	v_cmp_eq_u32_e32 vcc_lo, s27, v93
	global_load_b128 v[1:4], v[5:6], off
	s_wait_loadcnt 0x0
	v_lshrrev_b32_e32 v54, 16, v1
	v_lshrrev_b32_e32 v53, 16, v2
	;; [unrolled: 1-line block ×3, first 2 shown]
	s_and_saveexec_b32 s7, vcc_lo
	s_cbranch_execz .LBB124_31
; %bb.30:                               ;   in Loop: Header=BB124_29 Depth=1
	v_cmp_gt_i32_e64 s0, s25, v36
	v_and_b32_e32 v55, 0xffff, v4
	v_and_b32_e32 v4, 0xffff0000, v4
	s_wait_alu 0xf1ff
	s_delay_alu instid0(VALU_DEP_3) | instskip(SKIP_2) | instid1(VALU_DEP_1)
	v_cndmask_b32_e64 v1, 0, v1, s0
	v_cmp_gt_i32_e64 s0, s25, v49
	s_wait_alu 0xf1ff
	v_cndmask_b32_e64 v54, 0, v54, s0
	v_cmp_gt_i32_e64 s0, s25, v48
	s_wait_alu 0xf1ff
	s_delay_alu instid0(VALU_DEP_1) | instskip(SKIP_2) | instid1(VALU_DEP_1)
	v_cndmask_b32_e64 v2, 0, v2, s0
	v_cmp_gt_i32_e64 s0, s25, v45
	s_wait_alu 0xf1ff
	v_cndmask_b32_e64 v53, 0, v53, s0
	v_cmp_gt_i32_e64 s0, s25, v46
	s_wait_alu 0xf1ff
	s_delay_alu instid0(VALU_DEP_1) | instskip(SKIP_2) | instid1(VALU_DEP_1)
	v_cndmask_b32_e64 v55, 0, v55, s0
	v_cmp_gt_i32_e64 s0, s25, v47
	s_wait_alu 0xf1ff
	v_cndmask_b32_e64 v4, 0, v4, s0
	v_cmp_gt_i32_e64 s0, s25, v44
	s_delay_alu instid0(VALU_DEP_2) | instskip(SKIP_1) | instid1(VALU_DEP_2)
	v_or_b32_e32 v4, v55, v4
	s_wait_alu 0xf1ff
	v_cndmask_b32_e64 v3, 0, v3, s0
	v_cmp_gt_i32_e64 s0, s25, v43
	s_wait_alu 0xf1ff
	s_delay_alu instid0(VALU_DEP_1)
	v_cndmask_b32_e64 v52, 0, v52, s0
.LBB124_31:                             ;   in Loop: Header=BB124_29 Depth=1
	s_wait_alu 0xfffe
	s_or_b32 exec_lo, exec_lo, s7
	v_and_b32_e32 v38, 0xffff, v38
	v_and_b32_e32 v50, 0xffff, v50
	v_lshlrev_b32_e32 v54, 16, v54
	v_and_b32_e32 v51, 0xffff, v51
	v_and_b32_e32 v42, 0xffff, v42
	v_lshl_or_b32 v38, v37, 16, v38
	v_lshl_or_b32 v37, v41, 16, v50
	v_lshlrev_b32_e32 v41, 16, v53
	v_lshlrev_b32_e32 v50, 16, v52
	v_and_or_b32 v1, 0xffff, v1, v54
	;;#ASMSTART
	v_pk_mul_f16 v1, v38, v1;

	;;#ASMEND
	v_lshl_or_b32 v39, v39, 16, v51
	v_and_or_b32 v2, 0xffff, v2, v41
	v_and_or_b32 v3, 0xffff, v3, v50
	v_lshl_or_b32 v40, v40, 16, v42
	;;#ASMSTART
	v_pk_mul_f16 v2, v37, v2;

	;;#ASMEND
	;;#ASMSTART
	v_pk_mul_f16 v3, v39, v3;

	;;#ASMEND
	;; [unrolled: 4-line block ×3, first 2 shown]
	;;#ASMSTART
	v_pk_add_f16 v1, v1, v2;

	;;#ASMEND
	;;#ASMSTART
	v_pk_add_f16 v1, v1, v3;

	;;#ASMEND
	;;#ASMSTART
	v_pk_add_f16 v1, v1, v4;

	;;#ASMEND
	v_and_b32_e32 v2, 0xffff, v1
	v_lshrrev_b32_e32 v1, 16, v1
	;;#ASMSTART
	v_cvt_f32_f16 v41, v2;
	;;#ASMEND
	;;#ASMSTART
	v_cvt_f32_f16 v42, v1;
	;;#ASMEND
	global_load_b128 v[1:4], v[5:6], off offset:512
	s_wait_loadcnt 0x0
	v_lshrrev_b32_e32 v52, 16, v1
	v_lshrrev_b32_e32 v51, 16, v2
	;; [unrolled: 1-line block ×3, first 2 shown]
	s_and_saveexec_b32 s7, vcc_lo
	s_cbranch_execz .LBB124_33
; %bb.32:                               ;   in Loop: Header=BB124_29 Depth=1
	v_cmp_gt_i32_e64 s0, s25, v36
	v_and_b32_e32 v53, 0xffff, v4
	v_and_b32_e32 v4, 0xffff0000, v4
	s_wait_alu 0xf1ff
	s_delay_alu instid0(VALU_DEP_3) | instskip(SKIP_2) | instid1(VALU_DEP_1)
	v_cndmask_b32_e64 v1, 0, v1, s0
	v_cmp_gt_i32_e64 s0, s25, v49
	s_wait_alu 0xf1ff
	v_cndmask_b32_e64 v52, 0, v52, s0
	v_cmp_gt_i32_e64 s0, s25, v48
	s_wait_alu 0xf1ff
	s_delay_alu instid0(VALU_DEP_1) | instskip(SKIP_2) | instid1(VALU_DEP_1)
	v_cndmask_b32_e64 v2, 0, v2, s0
	v_cmp_gt_i32_e64 s0, s25, v45
	s_wait_alu 0xf1ff
	v_cndmask_b32_e64 v51, 0, v51, s0
	v_cmp_gt_i32_e64 s0, s25, v46
	s_wait_alu 0xf1ff
	s_delay_alu instid0(VALU_DEP_1) | instskip(SKIP_2) | instid1(VALU_DEP_1)
	v_cndmask_b32_e64 v53, 0, v53, s0
	v_cmp_gt_i32_e64 s0, s25, v47
	s_wait_alu 0xf1ff
	v_cndmask_b32_e64 v4, 0, v4, s0
	v_cmp_gt_i32_e64 s0, s25, v44
	s_delay_alu instid0(VALU_DEP_2) | instskip(SKIP_1) | instid1(VALU_DEP_2)
	v_or_b32_e32 v4, v53, v4
	s_wait_alu 0xf1ff
	v_cndmask_b32_e64 v3, 0, v3, s0
	v_cmp_gt_i32_e64 s0, s25, v43
	s_wait_alu 0xf1ff
	s_delay_alu instid0(VALU_DEP_1)
	v_cndmask_b32_e64 v50, 0, v50, s0
.LBB124_33:                             ;   in Loop: Header=BB124_29 Depth=1
	s_wait_alu 0xfffe
	s_or_b32 exec_lo, exec_lo, s7
	v_lshlrev_b32_e32 v52, 16, v52
	v_lshlrev_b32_e32 v51, 16, v51
	;; [unrolled: 1-line block ×3, first 2 shown]
	s_delay_alu instid0(VALU_DEP_3) | instskip(NEXT) | instid1(VALU_DEP_3)
	v_and_or_b32 v1, 0xffff, v1, v52
	v_and_or_b32 v2, 0xffff, v2, v51
	s_delay_alu instid0(VALU_DEP_3)
	v_and_or_b32 v3, 0xffff, v3, v50
	;;#ASMSTART
	v_pk_mul_f16 v1, v38, v1;

	;;#ASMEND
	;;#ASMSTART
	v_pk_mul_f16 v2, v37, v2;

	;;#ASMEND
	;; [unrolled: 4-line block ×4, first 2 shown]
	;;#ASMSTART
	v_pk_add_f16 v1, v1, v2;

	;;#ASMEND
	;;#ASMSTART
	v_pk_add_f16 v1, v1, v3;

	;;#ASMEND
	;; [unrolled: 4-line block ×3, first 2 shown]
	v_and_b32_e32 v2, 0xffff, v1
	v_lshrrev_b32_e32 v1, 16, v1
	;;#ASMSTART
	v_cvt_f32_f16 v50, v2;
	;;#ASMEND
	;;#ASMSTART
	v_cvt_f32_f16 v51, v1;
	;;#ASMEND
	global_load_b128 v[1:4], v[5:6], off offset:1024
	s_wait_loadcnt 0x0
	v_lshrrev_b32_e32 v54, 16, v1
	v_lshrrev_b32_e32 v53, 16, v2
	v_lshrrev_b32_e32 v52, 16, v3
	s_and_saveexec_b32 s7, vcc_lo
	s_cbranch_execz .LBB124_35
; %bb.34:                               ;   in Loop: Header=BB124_29 Depth=1
	v_cmp_gt_i32_e64 s0, s25, v36
	v_and_b32_e32 v55, 0xffff, v4
	v_and_b32_e32 v4, 0xffff0000, v4
	s_wait_alu 0xf1ff
	s_delay_alu instid0(VALU_DEP_3) | instskip(SKIP_2) | instid1(VALU_DEP_1)
	v_cndmask_b32_e64 v1, 0, v1, s0
	v_cmp_gt_i32_e64 s0, s25, v49
	s_wait_alu 0xf1ff
	v_cndmask_b32_e64 v54, 0, v54, s0
	v_cmp_gt_i32_e64 s0, s25, v48
	s_wait_alu 0xf1ff
	s_delay_alu instid0(VALU_DEP_1) | instskip(SKIP_2) | instid1(VALU_DEP_1)
	v_cndmask_b32_e64 v2, 0, v2, s0
	v_cmp_gt_i32_e64 s0, s25, v45
	s_wait_alu 0xf1ff
	v_cndmask_b32_e64 v53, 0, v53, s0
	v_cmp_gt_i32_e64 s0, s25, v46
	s_wait_alu 0xf1ff
	s_delay_alu instid0(VALU_DEP_1) | instskip(SKIP_2) | instid1(VALU_DEP_1)
	v_cndmask_b32_e64 v55, 0, v55, s0
	v_cmp_gt_i32_e64 s0, s25, v47
	s_wait_alu 0xf1ff
	v_cndmask_b32_e64 v4, 0, v4, s0
	v_cmp_gt_i32_e64 s0, s25, v44
	s_delay_alu instid0(VALU_DEP_2) | instskip(SKIP_1) | instid1(VALU_DEP_2)
	v_or_b32_e32 v4, v55, v4
	s_wait_alu 0xf1ff
	v_cndmask_b32_e64 v3, 0, v3, s0
	v_cmp_gt_i32_e64 s0, s25, v43
	s_wait_alu 0xf1ff
	s_delay_alu instid0(VALU_DEP_1)
	v_cndmask_b32_e64 v52, 0, v52, s0
.LBB124_35:                             ;   in Loop: Header=BB124_29 Depth=1
	s_wait_alu 0xfffe
	s_or_b32 exec_lo, exec_lo, s7
	v_lshlrev_b32_e32 v54, 16, v54
	v_lshlrev_b32_e32 v53, 16, v53
	;; [unrolled: 1-line block ×3, first 2 shown]
	s_delay_alu instid0(VALU_DEP_3) | instskip(NEXT) | instid1(VALU_DEP_3)
	v_and_or_b32 v1, 0xffff, v1, v54
	v_and_or_b32 v2, 0xffff, v2, v53
	s_delay_alu instid0(VALU_DEP_3)
	v_and_or_b32 v3, 0xffff, v3, v52
	;;#ASMSTART
	v_pk_mul_f16 v1, v38, v1;

	;;#ASMEND
	;;#ASMSTART
	v_pk_mul_f16 v2, v37, v2;

	;;#ASMEND
	;; [unrolled: 4-line block ×4, first 2 shown]
	;;#ASMSTART
	v_pk_add_f16 v1, v1, v2;

	;;#ASMEND
	;;#ASMSTART
	v_pk_add_f16 v1, v1, v3;

	;;#ASMEND
	;; [unrolled: 4-line block ×3, first 2 shown]
	v_and_b32_e32 v2, 0xffff, v1
	v_lshrrev_b32_e32 v1, 16, v1
	;;#ASMSTART
	v_cvt_f32_f16 v52, v2;
	;;#ASMEND
	;;#ASMSTART
	v_cvt_f32_f16 v53, v1;
	;;#ASMEND
	global_load_b128 v[1:4], v[5:6], off offset:1536
	s_wait_loadcnt 0x0
	v_lshrrev_b32_e32 v56, 16, v1
	v_lshrrev_b32_e32 v55, 16, v2
	;; [unrolled: 1-line block ×3, first 2 shown]
	s_and_saveexec_b32 s7, vcc_lo
	s_cbranch_execz .LBB124_37
; %bb.36:                               ;   in Loop: Header=BB124_29 Depth=1
	v_cmp_gt_i32_e64 s0, s25, v36
	v_and_b32_e32 v57, 0xffff, v4
	v_and_b32_e32 v4, 0xffff0000, v4
	s_wait_alu 0xf1ff
	s_delay_alu instid0(VALU_DEP_3) | instskip(SKIP_2) | instid1(VALU_DEP_1)
	v_cndmask_b32_e64 v1, 0, v1, s0
	v_cmp_gt_i32_e64 s0, s25, v49
	s_wait_alu 0xf1ff
	v_cndmask_b32_e64 v56, 0, v56, s0
	v_cmp_gt_i32_e64 s0, s25, v48
	s_wait_alu 0xf1ff
	s_delay_alu instid0(VALU_DEP_1) | instskip(SKIP_2) | instid1(VALU_DEP_1)
	v_cndmask_b32_e64 v2, 0, v2, s0
	v_cmp_gt_i32_e64 s0, s25, v45
	s_wait_alu 0xf1ff
	v_cndmask_b32_e64 v55, 0, v55, s0
	v_cmp_gt_i32_e64 s0, s25, v46
	s_wait_alu 0xf1ff
	s_delay_alu instid0(VALU_DEP_1) | instskip(SKIP_2) | instid1(VALU_DEP_1)
	v_cndmask_b32_e64 v57, 0, v57, s0
	v_cmp_gt_i32_e64 s0, s25, v47
	s_wait_alu 0xf1ff
	v_cndmask_b32_e64 v4, 0, v4, s0
	v_cmp_gt_i32_e64 s0, s25, v44
	s_delay_alu instid0(VALU_DEP_2) | instskip(SKIP_1) | instid1(VALU_DEP_2)
	v_or_b32_e32 v4, v57, v4
	s_wait_alu 0xf1ff
	v_cndmask_b32_e64 v3, 0, v3, s0
	v_cmp_gt_i32_e64 s0, s25, v43
	s_wait_alu 0xf1ff
	s_delay_alu instid0(VALU_DEP_1)
	v_cndmask_b32_e64 v54, 0, v54, s0
.LBB124_37:                             ;   in Loop: Header=BB124_29 Depth=1
	s_wait_alu 0xfffe
	s_or_b32 exec_lo, exec_lo, s7
	v_lshlrev_b32_e32 v56, 16, v56
	v_lshlrev_b32_e32 v55, 16, v55
	;; [unrolled: 1-line block ×3, first 2 shown]
	s_delay_alu instid0(VALU_DEP_3) | instskip(NEXT) | instid1(VALU_DEP_3)
	v_and_or_b32 v1, 0xffff, v1, v56
	v_and_or_b32 v2, 0xffff, v2, v55
	s_delay_alu instid0(VALU_DEP_3)
	v_and_or_b32 v3, 0xffff, v3, v54
	;;#ASMSTART
	v_pk_mul_f16 v1, v38, v1;

	;;#ASMEND
	;;#ASMSTART
	v_pk_mul_f16 v2, v37, v2;

	;;#ASMEND
	;; [unrolled: 4-line block ×4, first 2 shown]
	;;#ASMSTART
	v_pk_add_f16 v1, v1, v2;

	;;#ASMEND
	;;#ASMSTART
	v_pk_add_f16 v1, v1, v3;

	;;#ASMEND
	;; [unrolled: 4-line block ×3, first 2 shown]
	v_and_b32_e32 v2, 0xffff, v1
	v_lshrrev_b32_e32 v1, 16, v1
	;;#ASMSTART
	v_cvt_f32_f16 v54, v2;
	;;#ASMEND
	;;#ASMSTART
	v_cvt_f32_f16 v55, v1;
	;;#ASMEND
	global_load_b128 v[1:4], v[5:6], off offset:2048
	s_wait_loadcnt 0x0
	v_lshrrev_b32_e32 v58, 16, v1
	v_lshrrev_b32_e32 v57, 16, v2
	;; [unrolled: 1-line block ×3, first 2 shown]
	s_and_saveexec_b32 s7, vcc_lo
	s_cbranch_execz .LBB124_39
; %bb.38:                               ;   in Loop: Header=BB124_29 Depth=1
	v_cmp_gt_i32_e64 s0, s25, v36
	v_and_b32_e32 v59, 0xffff, v4
	v_and_b32_e32 v4, 0xffff0000, v4
	s_wait_alu 0xf1ff
	s_delay_alu instid0(VALU_DEP_3) | instskip(SKIP_2) | instid1(VALU_DEP_1)
	v_cndmask_b32_e64 v1, 0, v1, s0
	v_cmp_gt_i32_e64 s0, s25, v49
	s_wait_alu 0xf1ff
	v_cndmask_b32_e64 v58, 0, v58, s0
	v_cmp_gt_i32_e64 s0, s25, v48
	s_wait_alu 0xf1ff
	s_delay_alu instid0(VALU_DEP_1) | instskip(SKIP_2) | instid1(VALU_DEP_1)
	v_cndmask_b32_e64 v2, 0, v2, s0
	v_cmp_gt_i32_e64 s0, s25, v45
	s_wait_alu 0xf1ff
	v_cndmask_b32_e64 v57, 0, v57, s0
	v_cmp_gt_i32_e64 s0, s25, v46
	s_wait_alu 0xf1ff
	s_delay_alu instid0(VALU_DEP_1) | instskip(SKIP_2) | instid1(VALU_DEP_1)
	v_cndmask_b32_e64 v59, 0, v59, s0
	v_cmp_gt_i32_e64 s0, s25, v47
	s_wait_alu 0xf1ff
	v_cndmask_b32_e64 v4, 0, v4, s0
	v_cmp_gt_i32_e64 s0, s25, v44
	s_delay_alu instid0(VALU_DEP_2) | instskip(SKIP_1) | instid1(VALU_DEP_2)
	v_or_b32_e32 v4, v59, v4
	s_wait_alu 0xf1ff
	v_cndmask_b32_e64 v3, 0, v3, s0
	v_cmp_gt_i32_e64 s0, s25, v43
	s_wait_alu 0xf1ff
	s_delay_alu instid0(VALU_DEP_1)
	v_cndmask_b32_e64 v56, 0, v56, s0
.LBB124_39:                             ;   in Loop: Header=BB124_29 Depth=1
	s_wait_alu 0xfffe
	s_or_b32 exec_lo, exec_lo, s7
	v_lshlrev_b32_e32 v58, 16, v58
	v_lshlrev_b32_e32 v57, 16, v57
	;; [unrolled: 1-line block ×3, first 2 shown]
	s_delay_alu instid0(VALU_DEP_3) | instskip(NEXT) | instid1(VALU_DEP_3)
	v_and_or_b32 v1, 0xffff, v1, v58
	v_and_or_b32 v2, 0xffff, v2, v57
	s_delay_alu instid0(VALU_DEP_3)
	v_and_or_b32 v3, 0xffff, v3, v56
	;;#ASMSTART
	v_pk_mul_f16 v1, v38, v1;

	;;#ASMEND
	;;#ASMSTART
	v_pk_mul_f16 v2, v37, v2;

	;;#ASMEND
	;; [unrolled: 4-line block ×4, first 2 shown]
	;;#ASMSTART
	v_pk_add_f16 v1, v1, v2;

	;;#ASMEND
	;;#ASMSTART
	v_pk_add_f16 v1, v1, v3;

	;;#ASMEND
	;; [unrolled: 4-line block ×3, first 2 shown]
	v_and_b32_e32 v2, 0xffff, v1
	v_lshrrev_b32_e32 v1, 16, v1
	;;#ASMSTART
	v_cvt_f32_f16 v56, v2;
	;;#ASMEND
	;;#ASMSTART
	v_cvt_f32_f16 v57, v1;
	;;#ASMEND
	global_load_b128 v[1:4], v[5:6], off offset:2560
	s_wait_loadcnt 0x0
	v_lshrrev_b32_e32 v60, 16, v1
	v_lshrrev_b32_e32 v59, 16, v2
	;; [unrolled: 1-line block ×3, first 2 shown]
	s_and_saveexec_b32 s7, vcc_lo
	s_cbranch_execz .LBB124_41
; %bb.40:                               ;   in Loop: Header=BB124_29 Depth=1
	v_cmp_gt_i32_e64 s0, s25, v36
	v_and_b32_e32 v61, 0xffff, v4
	v_and_b32_e32 v4, 0xffff0000, v4
	s_wait_alu 0xf1ff
	s_delay_alu instid0(VALU_DEP_3) | instskip(SKIP_2) | instid1(VALU_DEP_1)
	v_cndmask_b32_e64 v1, 0, v1, s0
	v_cmp_gt_i32_e64 s0, s25, v49
	s_wait_alu 0xf1ff
	v_cndmask_b32_e64 v60, 0, v60, s0
	v_cmp_gt_i32_e64 s0, s25, v48
	s_wait_alu 0xf1ff
	s_delay_alu instid0(VALU_DEP_1) | instskip(SKIP_2) | instid1(VALU_DEP_1)
	v_cndmask_b32_e64 v2, 0, v2, s0
	v_cmp_gt_i32_e64 s0, s25, v45
	s_wait_alu 0xf1ff
	v_cndmask_b32_e64 v59, 0, v59, s0
	v_cmp_gt_i32_e64 s0, s25, v46
	s_wait_alu 0xf1ff
	s_delay_alu instid0(VALU_DEP_1) | instskip(SKIP_2) | instid1(VALU_DEP_1)
	v_cndmask_b32_e64 v61, 0, v61, s0
	v_cmp_gt_i32_e64 s0, s25, v47
	s_wait_alu 0xf1ff
	v_cndmask_b32_e64 v4, 0, v4, s0
	v_cmp_gt_i32_e64 s0, s25, v44
	s_delay_alu instid0(VALU_DEP_2) | instskip(SKIP_1) | instid1(VALU_DEP_2)
	v_or_b32_e32 v4, v61, v4
	s_wait_alu 0xf1ff
	v_cndmask_b32_e64 v3, 0, v3, s0
	v_cmp_gt_i32_e64 s0, s25, v43
	s_wait_alu 0xf1ff
	s_delay_alu instid0(VALU_DEP_1)
	v_cndmask_b32_e64 v58, 0, v58, s0
.LBB124_41:                             ;   in Loop: Header=BB124_29 Depth=1
	s_wait_alu 0xfffe
	s_or_b32 exec_lo, exec_lo, s7
	v_lshlrev_b32_e32 v60, 16, v60
	v_lshlrev_b32_e32 v59, 16, v59
	v_lshlrev_b32_e32 v58, 16, v58
	s_delay_alu instid0(VALU_DEP_3) | instskip(NEXT) | instid1(VALU_DEP_3)
	v_and_or_b32 v1, 0xffff, v1, v60
	v_and_or_b32 v2, 0xffff, v2, v59
	s_delay_alu instid0(VALU_DEP_3)
	v_and_or_b32 v3, 0xffff, v3, v58
	;;#ASMSTART
	v_pk_mul_f16 v1, v38, v1;

	;;#ASMEND
	;;#ASMSTART
	v_pk_mul_f16 v2, v37, v2;

	;;#ASMEND
	;; [unrolled: 4-line block ×4, first 2 shown]
	;;#ASMSTART
	v_pk_add_f16 v1, v1, v2;

	;;#ASMEND
	;;#ASMSTART
	v_pk_add_f16 v1, v1, v3;

	;;#ASMEND
	;; [unrolled: 4-line block ×3, first 2 shown]
	v_and_b32_e32 v2, 0xffff, v1
	v_lshrrev_b32_e32 v1, 16, v1
	;;#ASMSTART
	v_cvt_f32_f16 v58, v2;
	;;#ASMEND
	;;#ASMSTART
	v_cvt_f32_f16 v59, v1;
	;;#ASMEND
	global_load_b128 v[1:4], v[5:6], off offset:3072
	s_wait_loadcnt 0x0
	v_lshrrev_b32_e32 v62, 16, v1
	v_lshrrev_b32_e32 v61, 16, v2
	;; [unrolled: 1-line block ×3, first 2 shown]
	s_and_saveexec_b32 s7, vcc_lo
	s_cbranch_execz .LBB124_43
; %bb.42:                               ;   in Loop: Header=BB124_29 Depth=1
	v_cmp_gt_i32_e64 s0, s25, v36
	v_and_b32_e32 v63, 0xffff, v4
	v_and_b32_e32 v4, 0xffff0000, v4
	s_wait_alu 0xf1ff
	s_delay_alu instid0(VALU_DEP_3) | instskip(SKIP_2) | instid1(VALU_DEP_1)
	v_cndmask_b32_e64 v1, 0, v1, s0
	v_cmp_gt_i32_e64 s0, s25, v49
	s_wait_alu 0xf1ff
	v_cndmask_b32_e64 v62, 0, v62, s0
	v_cmp_gt_i32_e64 s0, s25, v48
	s_wait_alu 0xf1ff
	s_delay_alu instid0(VALU_DEP_1) | instskip(SKIP_2) | instid1(VALU_DEP_1)
	v_cndmask_b32_e64 v2, 0, v2, s0
	v_cmp_gt_i32_e64 s0, s25, v45
	s_wait_alu 0xf1ff
	v_cndmask_b32_e64 v61, 0, v61, s0
	v_cmp_gt_i32_e64 s0, s25, v46
	s_wait_alu 0xf1ff
	s_delay_alu instid0(VALU_DEP_1) | instskip(SKIP_2) | instid1(VALU_DEP_1)
	v_cndmask_b32_e64 v63, 0, v63, s0
	v_cmp_gt_i32_e64 s0, s25, v47
	s_wait_alu 0xf1ff
	v_cndmask_b32_e64 v4, 0, v4, s0
	v_cmp_gt_i32_e64 s0, s25, v44
	s_delay_alu instid0(VALU_DEP_2) | instskip(SKIP_1) | instid1(VALU_DEP_2)
	v_or_b32_e32 v4, v63, v4
	s_wait_alu 0xf1ff
	v_cndmask_b32_e64 v3, 0, v3, s0
	v_cmp_gt_i32_e64 s0, s25, v43
	s_wait_alu 0xf1ff
	s_delay_alu instid0(VALU_DEP_1)
	v_cndmask_b32_e64 v60, 0, v60, s0
.LBB124_43:                             ;   in Loop: Header=BB124_29 Depth=1
	s_wait_alu 0xfffe
	s_or_b32 exec_lo, exec_lo, s7
	v_lshlrev_b32_e32 v62, 16, v62
	v_lshlrev_b32_e32 v61, 16, v61
	;; [unrolled: 1-line block ×3, first 2 shown]
	s_delay_alu instid0(VALU_DEP_3) | instskip(NEXT) | instid1(VALU_DEP_3)
	v_and_or_b32 v1, 0xffff, v1, v62
	v_and_or_b32 v2, 0xffff, v2, v61
	s_delay_alu instid0(VALU_DEP_3)
	v_and_or_b32 v3, 0xffff, v3, v60
	;;#ASMSTART
	v_pk_mul_f16 v1, v38, v1;

	;;#ASMEND
	;;#ASMSTART
	v_pk_mul_f16 v2, v37, v2;

	;;#ASMEND
	;; [unrolled: 4-line block ×4, first 2 shown]
	;;#ASMSTART
	v_pk_add_f16 v1, v1, v2;

	;;#ASMEND
	;;#ASMSTART
	v_pk_add_f16 v1, v1, v3;

	;;#ASMEND
	;; [unrolled: 4-line block ×3, first 2 shown]
	v_and_b32_e32 v2, 0xffff, v1
	v_lshrrev_b32_e32 v1, 16, v1
	;;#ASMSTART
	v_cvt_f32_f16 v60, v2;
	;;#ASMEND
	;;#ASMSTART
	v_cvt_f32_f16 v61, v1;
	;;#ASMEND
	global_load_b128 v[1:4], v[5:6], off offset:3584
	s_wait_loadcnt 0x0
	v_lshrrev_b32_e32 v64, 16, v1
	v_lshrrev_b32_e32 v63, 16, v2
	;; [unrolled: 1-line block ×3, first 2 shown]
	s_and_saveexec_b32 s7, vcc_lo
	s_cbranch_execz .LBB124_45
; %bb.44:                               ;   in Loop: Header=BB124_29 Depth=1
	v_cmp_gt_i32_e64 s0, s25, v36
	v_and_b32_e32 v65, 0xffff, v4
	v_and_b32_e32 v4, 0xffff0000, v4
	s_wait_alu 0xf1ff
	s_delay_alu instid0(VALU_DEP_3) | instskip(SKIP_2) | instid1(VALU_DEP_1)
	v_cndmask_b32_e64 v1, 0, v1, s0
	v_cmp_gt_i32_e64 s0, s25, v49
	s_wait_alu 0xf1ff
	v_cndmask_b32_e64 v64, 0, v64, s0
	v_cmp_gt_i32_e64 s0, s25, v48
	s_wait_alu 0xf1ff
	s_delay_alu instid0(VALU_DEP_1) | instskip(SKIP_2) | instid1(VALU_DEP_1)
	v_cndmask_b32_e64 v2, 0, v2, s0
	v_cmp_gt_i32_e64 s0, s25, v45
	s_wait_alu 0xf1ff
	v_cndmask_b32_e64 v63, 0, v63, s0
	v_cmp_gt_i32_e64 s0, s25, v46
	s_wait_alu 0xf1ff
	s_delay_alu instid0(VALU_DEP_1) | instskip(SKIP_2) | instid1(VALU_DEP_1)
	v_cndmask_b32_e64 v65, 0, v65, s0
	v_cmp_gt_i32_e64 s0, s25, v47
	s_wait_alu 0xf1ff
	v_cndmask_b32_e64 v4, 0, v4, s0
	v_cmp_gt_i32_e64 s0, s25, v44
	s_delay_alu instid0(VALU_DEP_2) | instskip(SKIP_1) | instid1(VALU_DEP_2)
	v_or_b32_e32 v4, v65, v4
	s_wait_alu 0xf1ff
	v_cndmask_b32_e64 v3, 0, v3, s0
	v_cmp_gt_i32_e64 s0, s25, v43
	s_wait_alu 0xf1ff
	s_delay_alu instid0(VALU_DEP_1)
	v_cndmask_b32_e64 v62, 0, v62, s0
.LBB124_45:                             ;   in Loop: Header=BB124_29 Depth=1
	s_wait_alu 0xfffe
	s_or_b32 exec_lo, exec_lo, s7
	v_lshlrev_b32_e32 v64, 16, v64
	v_lshlrev_b32_e32 v63, 16, v63
	;; [unrolled: 1-line block ×3, first 2 shown]
	s_delay_alu instid0(VALU_DEP_3) | instskip(NEXT) | instid1(VALU_DEP_3)
	v_and_or_b32 v1, 0xffff, v1, v64
	v_and_or_b32 v2, 0xffff, v2, v63
	s_delay_alu instid0(VALU_DEP_3)
	v_and_or_b32 v3, 0xffff, v3, v62
	;;#ASMSTART
	v_pk_mul_f16 v1, v38, v1;

	;;#ASMEND
	;;#ASMSTART
	v_pk_mul_f16 v2, v37, v2;

	;;#ASMEND
	;;#ASMSTART
	v_pk_mul_f16 v3, v39, v3;

	;;#ASMEND
	;;#ASMSTART
	v_pk_mul_f16 v4, v40, v4;

	;;#ASMEND
	;;#ASMSTART
	v_pk_add_f16 v1, v1, v2;

	;;#ASMEND
	;;#ASMSTART
	v_pk_add_f16 v1, v1, v3;

	;;#ASMEND
	;; [unrolled: 4-line block ×3, first 2 shown]
	v_and_b32_e32 v2, 0xffff, v1
	v_lshrrev_b32_e32 v1, 16, v1
	;;#ASMSTART
	v_cvt_f32_f16 v62, v2;
	;;#ASMEND
	;;#ASMSTART
	v_cvt_f32_f16 v63, v1;
	;;#ASMEND
	global_load_b128 v[1:4], v[5:6], off offset:4096
	s_wait_loadcnt 0x0
	v_lshrrev_b32_e32 v66, 16, v1
	v_lshrrev_b32_e32 v65, 16, v2
	;; [unrolled: 1-line block ×3, first 2 shown]
	s_and_saveexec_b32 s7, vcc_lo
	s_cbranch_execz .LBB124_47
; %bb.46:                               ;   in Loop: Header=BB124_29 Depth=1
	v_cmp_gt_i32_e64 s0, s25, v36
	v_and_b32_e32 v67, 0xffff, v4
	v_and_b32_e32 v4, 0xffff0000, v4
	s_wait_alu 0xf1ff
	s_delay_alu instid0(VALU_DEP_3) | instskip(SKIP_2) | instid1(VALU_DEP_1)
	v_cndmask_b32_e64 v1, 0, v1, s0
	v_cmp_gt_i32_e64 s0, s25, v49
	s_wait_alu 0xf1ff
	v_cndmask_b32_e64 v66, 0, v66, s0
	v_cmp_gt_i32_e64 s0, s25, v48
	s_wait_alu 0xf1ff
	s_delay_alu instid0(VALU_DEP_1) | instskip(SKIP_2) | instid1(VALU_DEP_1)
	v_cndmask_b32_e64 v2, 0, v2, s0
	v_cmp_gt_i32_e64 s0, s25, v45
	s_wait_alu 0xf1ff
	v_cndmask_b32_e64 v65, 0, v65, s0
	v_cmp_gt_i32_e64 s0, s25, v46
	s_wait_alu 0xf1ff
	s_delay_alu instid0(VALU_DEP_1) | instskip(SKIP_2) | instid1(VALU_DEP_1)
	v_cndmask_b32_e64 v67, 0, v67, s0
	v_cmp_gt_i32_e64 s0, s25, v47
	s_wait_alu 0xf1ff
	v_cndmask_b32_e64 v4, 0, v4, s0
	v_cmp_gt_i32_e64 s0, s25, v44
	s_delay_alu instid0(VALU_DEP_2) | instskip(SKIP_1) | instid1(VALU_DEP_2)
	v_or_b32_e32 v4, v67, v4
	s_wait_alu 0xf1ff
	v_cndmask_b32_e64 v3, 0, v3, s0
	v_cmp_gt_i32_e64 s0, s25, v43
	s_wait_alu 0xf1ff
	s_delay_alu instid0(VALU_DEP_1)
	v_cndmask_b32_e64 v64, 0, v64, s0
.LBB124_47:                             ;   in Loop: Header=BB124_29 Depth=1
	s_wait_alu 0xfffe
	s_or_b32 exec_lo, exec_lo, s7
	v_lshlrev_b32_e32 v66, 16, v66
	v_lshlrev_b32_e32 v65, 16, v65
	;; [unrolled: 1-line block ×3, first 2 shown]
	s_delay_alu instid0(VALU_DEP_3) | instskip(NEXT) | instid1(VALU_DEP_3)
	v_and_or_b32 v1, 0xffff, v1, v66
	v_and_or_b32 v2, 0xffff, v2, v65
	s_delay_alu instid0(VALU_DEP_3)
	v_and_or_b32 v3, 0xffff, v3, v64
	;;#ASMSTART
	v_pk_mul_f16 v1, v38, v1;

	;;#ASMEND
	;;#ASMSTART
	v_pk_mul_f16 v2, v37, v2;

	;;#ASMEND
	;;#ASMSTART
	v_pk_mul_f16 v3, v39, v3;

	;;#ASMEND
	;;#ASMSTART
	v_pk_mul_f16 v4, v40, v4;

	;;#ASMEND
	;;#ASMSTART
	v_pk_add_f16 v1, v1, v2;

	;;#ASMEND
	;;#ASMSTART
	v_pk_add_f16 v1, v1, v3;

	;;#ASMEND
	;;#ASMSTART
	v_pk_add_f16 v1, v1, v4;

	;;#ASMEND
	v_and_b32_e32 v2, 0xffff, v1
	v_lshrrev_b32_e32 v1, 16, v1
	;;#ASMSTART
	v_cvt_f32_f16 v64, v2;
	;;#ASMEND
	;;#ASMSTART
	v_cvt_f32_f16 v65, v1;
	;;#ASMEND
	global_load_b128 v[1:4], v[5:6], off offset:4608
	s_wait_loadcnt 0x0
	v_lshrrev_b32_e32 v68, 16, v1
	v_lshrrev_b32_e32 v67, 16, v2
	;; [unrolled: 1-line block ×3, first 2 shown]
	s_and_saveexec_b32 s7, vcc_lo
	s_cbranch_execz .LBB124_49
; %bb.48:                               ;   in Loop: Header=BB124_29 Depth=1
	v_cmp_gt_i32_e64 s0, s25, v36
	v_and_b32_e32 v69, 0xffff, v4
	v_and_b32_e32 v4, 0xffff0000, v4
	s_wait_alu 0xf1ff
	s_delay_alu instid0(VALU_DEP_3) | instskip(SKIP_2) | instid1(VALU_DEP_1)
	v_cndmask_b32_e64 v1, 0, v1, s0
	v_cmp_gt_i32_e64 s0, s25, v49
	s_wait_alu 0xf1ff
	v_cndmask_b32_e64 v68, 0, v68, s0
	v_cmp_gt_i32_e64 s0, s25, v48
	s_wait_alu 0xf1ff
	s_delay_alu instid0(VALU_DEP_1) | instskip(SKIP_2) | instid1(VALU_DEP_1)
	v_cndmask_b32_e64 v2, 0, v2, s0
	v_cmp_gt_i32_e64 s0, s25, v45
	s_wait_alu 0xf1ff
	v_cndmask_b32_e64 v67, 0, v67, s0
	v_cmp_gt_i32_e64 s0, s25, v46
	s_wait_alu 0xf1ff
	s_delay_alu instid0(VALU_DEP_1) | instskip(SKIP_2) | instid1(VALU_DEP_1)
	v_cndmask_b32_e64 v69, 0, v69, s0
	v_cmp_gt_i32_e64 s0, s25, v47
	s_wait_alu 0xf1ff
	v_cndmask_b32_e64 v4, 0, v4, s0
	v_cmp_gt_i32_e64 s0, s25, v44
	s_delay_alu instid0(VALU_DEP_2) | instskip(SKIP_1) | instid1(VALU_DEP_2)
	v_or_b32_e32 v4, v69, v4
	s_wait_alu 0xf1ff
	v_cndmask_b32_e64 v3, 0, v3, s0
	v_cmp_gt_i32_e64 s0, s25, v43
	s_wait_alu 0xf1ff
	s_delay_alu instid0(VALU_DEP_1)
	v_cndmask_b32_e64 v66, 0, v66, s0
.LBB124_49:                             ;   in Loop: Header=BB124_29 Depth=1
	s_wait_alu 0xfffe
	s_or_b32 exec_lo, exec_lo, s7
	v_lshlrev_b32_e32 v68, 16, v68
	v_lshlrev_b32_e32 v67, 16, v67
	;; [unrolled: 1-line block ×3, first 2 shown]
	s_delay_alu instid0(VALU_DEP_3) | instskip(NEXT) | instid1(VALU_DEP_3)
	v_and_or_b32 v1, 0xffff, v1, v68
	v_and_or_b32 v2, 0xffff, v2, v67
	s_delay_alu instid0(VALU_DEP_3)
	v_and_or_b32 v3, 0xffff, v3, v66
	;;#ASMSTART
	v_pk_mul_f16 v1, v38, v1;

	;;#ASMEND
	;;#ASMSTART
	v_pk_mul_f16 v2, v37, v2;

	;;#ASMEND
	;; [unrolled: 4-line block ×4, first 2 shown]
	;;#ASMSTART
	v_pk_add_f16 v1, v1, v2;

	;;#ASMEND
	;;#ASMSTART
	v_pk_add_f16 v1, v1, v3;

	;;#ASMEND
	;; [unrolled: 4-line block ×3, first 2 shown]
	v_and_b32_e32 v2, 0xffff, v1
	v_lshrrev_b32_e32 v1, 16, v1
	;;#ASMSTART
	v_cvt_f32_f16 v66, v2;
	;;#ASMEND
	;;#ASMSTART
	v_cvt_f32_f16 v67, v1;
	;;#ASMEND
	global_load_b128 v[1:4], v[5:6], off offset:5120
	s_wait_loadcnt 0x0
	v_lshrrev_b32_e32 v70, 16, v1
	v_lshrrev_b32_e32 v69, 16, v2
	;; [unrolled: 1-line block ×3, first 2 shown]
	s_and_saveexec_b32 s7, vcc_lo
	s_cbranch_execz .LBB124_51
; %bb.50:                               ;   in Loop: Header=BB124_29 Depth=1
	v_cmp_gt_i32_e64 s0, s25, v36
	v_and_b32_e32 v71, 0xffff, v4
	v_and_b32_e32 v4, 0xffff0000, v4
	s_wait_alu 0xf1ff
	s_delay_alu instid0(VALU_DEP_3) | instskip(SKIP_2) | instid1(VALU_DEP_1)
	v_cndmask_b32_e64 v1, 0, v1, s0
	v_cmp_gt_i32_e64 s0, s25, v49
	s_wait_alu 0xf1ff
	v_cndmask_b32_e64 v70, 0, v70, s0
	v_cmp_gt_i32_e64 s0, s25, v48
	s_wait_alu 0xf1ff
	s_delay_alu instid0(VALU_DEP_1) | instskip(SKIP_2) | instid1(VALU_DEP_1)
	v_cndmask_b32_e64 v2, 0, v2, s0
	v_cmp_gt_i32_e64 s0, s25, v45
	s_wait_alu 0xf1ff
	v_cndmask_b32_e64 v69, 0, v69, s0
	v_cmp_gt_i32_e64 s0, s25, v46
	s_wait_alu 0xf1ff
	s_delay_alu instid0(VALU_DEP_1) | instskip(SKIP_2) | instid1(VALU_DEP_1)
	v_cndmask_b32_e64 v71, 0, v71, s0
	v_cmp_gt_i32_e64 s0, s25, v47
	s_wait_alu 0xf1ff
	v_cndmask_b32_e64 v4, 0, v4, s0
	v_cmp_gt_i32_e64 s0, s25, v44
	s_delay_alu instid0(VALU_DEP_2) | instskip(SKIP_1) | instid1(VALU_DEP_2)
	v_or_b32_e32 v4, v71, v4
	s_wait_alu 0xf1ff
	v_cndmask_b32_e64 v3, 0, v3, s0
	v_cmp_gt_i32_e64 s0, s25, v43
	s_wait_alu 0xf1ff
	s_delay_alu instid0(VALU_DEP_1)
	v_cndmask_b32_e64 v68, 0, v68, s0
.LBB124_51:                             ;   in Loop: Header=BB124_29 Depth=1
	s_wait_alu 0xfffe
	s_or_b32 exec_lo, exec_lo, s7
	v_lshlrev_b32_e32 v70, 16, v70
	v_lshlrev_b32_e32 v69, 16, v69
	;; [unrolled: 1-line block ×3, first 2 shown]
	s_delay_alu instid0(VALU_DEP_3) | instskip(NEXT) | instid1(VALU_DEP_3)
	v_and_or_b32 v1, 0xffff, v1, v70
	v_and_or_b32 v2, 0xffff, v2, v69
	s_delay_alu instid0(VALU_DEP_3)
	v_and_or_b32 v3, 0xffff, v3, v68
	;;#ASMSTART
	v_pk_mul_f16 v1, v38, v1;

	;;#ASMEND
	;;#ASMSTART
	v_pk_mul_f16 v2, v37, v2;

	;;#ASMEND
	;; [unrolled: 4-line block ×4, first 2 shown]
	;;#ASMSTART
	v_pk_add_f16 v1, v1, v2;

	;;#ASMEND
	;;#ASMSTART
	v_pk_add_f16 v1, v1, v3;

	;;#ASMEND
	;; [unrolled: 4-line block ×3, first 2 shown]
	v_and_b32_e32 v2, 0xffff, v1
	v_lshrrev_b32_e32 v1, 16, v1
	;;#ASMSTART
	v_cvt_f32_f16 v68, v2;
	;;#ASMEND
	;;#ASMSTART
	v_cvt_f32_f16 v69, v1;
	;;#ASMEND
	global_load_b128 v[1:4], v[5:6], off offset:5632
	s_wait_loadcnt 0x0
	v_lshrrev_b32_e32 v72, 16, v1
	v_lshrrev_b32_e32 v71, 16, v2
	;; [unrolled: 1-line block ×3, first 2 shown]
	s_and_saveexec_b32 s7, vcc_lo
	s_cbranch_execz .LBB124_53
; %bb.52:                               ;   in Loop: Header=BB124_29 Depth=1
	v_cmp_gt_i32_e64 s0, s25, v36
	v_and_b32_e32 v73, 0xffff, v4
	v_and_b32_e32 v4, 0xffff0000, v4
	s_wait_alu 0xf1ff
	s_delay_alu instid0(VALU_DEP_3) | instskip(SKIP_2) | instid1(VALU_DEP_1)
	v_cndmask_b32_e64 v1, 0, v1, s0
	v_cmp_gt_i32_e64 s0, s25, v49
	s_wait_alu 0xf1ff
	v_cndmask_b32_e64 v72, 0, v72, s0
	v_cmp_gt_i32_e64 s0, s25, v48
	s_wait_alu 0xf1ff
	s_delay_alu instid0(VALU_DEP_1) | instskip(SKIP_2) | instid1(VALU_DEP_1)
	v_cndmask_b32_e64 v2, 0, v2, s0
	v_cmp_gt_i32_e64 s0, s25, v45
	s_wait_alu 0xf1ff
	v_cndmask_b32_e64 v71, 0, v71, s0
	v_cmp_gt_i32_e64 s0, s25, v46
	s_wait_alu 0xf1ff
	s_delay_alu instid0(VALU_DEP_1) | instskip(SKIP_2) | instid1(VALU_DEP_1)
	v_cndmask_b32_e64 v73, 0, v73, s0
	v_cmp_gt_i32_e64 s0, s25, v47
	s_wait_alu 0xf1ff
	v_cndmask_b32_e64 v4, 0, v4, s0
	v_cmp_gt_i32_e64 s0, s25, v44
	s_delay_alu instid0(VALU_DEP_2) | instskip(SKIP_1) | instid1(VALU_DEP_2)
	v_or_b32_e32 v4, v73, v4
	s_wait_alu 0xf1ff
	v_cndmask_b32_e64 v3, 0, v3, s0
	v_cmp_gt_i32_e64 s0, s25, v43
	s_wait_alu 0xf1ff
	s_delay_alu instid0(VALU_DEP_1)
	v_cndmask_b32_e64 v70, 0, v70, s0
.LBB124_53:                             ;   in Loop: Header=BB124_29 Depth=1
	s_wait_alu 0xfffe
	s_or_b32 exec_lo, exec_lo, s7
	v_lshlrev_b32_e32 v72, 16, v72
	v_lshlrev_b32_e32 v71, 16, v71
	;; [unrolled: 1-line block ×3, first 2 shown]
	s_delay_alu instid0(VALU_DEP_3) | instskip(NEXT) | instid1(VALU_DEP_3)
	v_and_or_b32 v1, 0xffff, v1, v72
	v_and_or_b32 v2, 0xffff, v2, v71
	s_delay_alu instid0(VALU_DEP_3)
	v_and_or_b32 v3, 0xffff, v3, v70
	;;#ASMSTART
	v_pk_mul_f16 v1, v38, v1;

	;;#ASMEND
	;;#ASMSTART
	v_pk_mul_f16 v2, v37, v2;

	;;#ASMEND
	;;#ASMSTART
	v_pk_mul_f16 v3, v39, v3;

	;;#ASMEND
	;;#ASMSTART
	v_pk_mul_f16 v4, v40, v4;

	;;#ASMEND
	;;#ASMSTART
	v_pk_add_f16 v1, v1, v2;

	;;#ASMEND
	;;#ASMSTART
	v_pk_add_f16 v1, v1, v3;

	;;#ASMEND
	;; [unrolled: 4-line block ×3, first 2 shown]
	v_and_b32_e32 v2, 0xffff, v1
	v_lshrrev_b32_e32 v1, 16, v1
	;;#ASMSTART
	v_cvt_f32_f16 v70, v2;
	;;#ASMEND
	;;#ASMSTART
	v_cvt_f32_f16 v71, v1;
	;;#ASMEND
	global_load_b128 v[1:4], v[5:6], off offset:6144
	s_wait_loadcnt 0x0
	v_lshrrev_b32_e32 v74, 16, v1
	v_lshrrev_b32_e32 v73, 16, v2
	;; [unrolled: 1-line block ×3, first 2 shown]
	s_and_saveexec_b32 s7, vcc_lo
	s_cbranch_execz .LBB124_55
; %bb.54:                               ;   in Loop: Header=BB124_29 Depth=1
	v_cmp_gt_i32_e64 s0, s25, v36
	v_and_b32_e32 v75, 0xffff, v4
	v_and_b32_e32 v4, 0xffff0000, v4
	s_wait_alu 0xf1ff
	s_delay_alu instid0(VALU_DEP_3) | instskip(SKIP_2) | instid1(VALU_DEP_1)
	v_cndmask_b32_e64 v1, 0, v1, s0
	v_cmp_gt_i32_e64 s0, s25, v49
	s_wait_alu 0xf1ff
	v_cndmask_b32_e64 v74, 0, v74, s0
	v_cmp_gt_i32_e64 s0, s25, v48
	s_wait_alu 0xf1ff
	s_delay_alu instid0(VALU_DEP_1) | instskip(SKIP_2) | instid1(VALU_DEP_1)
	v_cndmask_b32_e64 v2, 0, v2, s0
	v_cmp_gt_i32_e64 s0, s25, v45
	s_wait_alu 0xf1ff
	v_cndmask_b32_e64 v73, 0, v73, s0
	v_cmp_gt_i32_e64 s0, s25, v46
	s_wait_alu 0xf1ff
	s_delay_alu instid0(VALU_DEP_1) | instskip(SKIP_2) | instid1(VALU_DEP_1)
	v_cndmask_b32_e64 v75, 0, v75, s0
	v_cmp_gt_i32_e64 s0, s25, v47
	s_wait_alu 0xf1ff
	v_cndmask_b32_e64 v4, 0, v4, s0
	v_cmp_gt_i32_e64 s0, s25, v44
	s_delay_alu instid0(VALU_DEP_2) | instskip(SKIP_1) | instid1(VALU_DEP_2)
	v_or_b32_e32 v4, v75, v4
	s_wait_alu 0xf1ff
	v_cndmask_b32_e64 v3, 0, v3, s0
	v_cmp_gt_i32_e64 s0, s25, v43
	s_wait_alu 0xf1ff
	s_delay_alu instid0(VALU_DEP_1)
	v_cndmask_b32_e64 v72, 0, v72, s0
.LBB124_55:                             ;   in Loop: Header=BB124_29 Depth=1
	s_wait_alu 0xfffe
	s_or_b32 exec_lo, exec_lo, s7
	v_lshlrev_b32_e32 v74, 16, v74
	v_lshlrev_b32_e32 v73, 16, v73
	;; [unrolled: 1-line block ×3, first 2 shown]
	s_delay_alu instid0(VALU_DEP_3) | instskip(NEXT) | instid1(VALU_DEP_3)
	v_and_or_b32 v1, 0xffff, v1, v74
	v_and_or_b32 v2, 0xffff, v2, v73
	s_delay_alu instid0(VALU_DEP_3)
	v_and_or_b32 v3, 0xffff, v3, v72
	;;#ASMSTART
	v_pk_mul_f16 v1, v38, v1;

	;;#ASMEND
	;;#ASMSTART
	v_pk_mul_f16 v2, v37, v2;

	;;#ASMEND
	;; [unrolled: 4-line block ×4, first 2 shown]
	;;#ASMSTART
	v_pk_add_f16 v1, v1, v2;

	;;#ASMEND
	;;#ASMSTART
	v_pk_add_f16 v1, v1, v3;

	;;#ASMEND
	;; [unrolled: 4-line block ×3, first 2 shown]
	v_and_b32_e32 v2, 0xffff, v1
	v_lshrrev_b32_e32 v1, 16, v1
	;;#ASMSTART
	v_cvt_f32_f16 v72, v2;
	;;#ASMEND
	;;#ASMSTART
	v_cvt_f32_f16 v73, v1;
	;;#ASMEND
	global_load_b128 v[1:4], v[5:6], off offset:6656
	s_wait_loadcnt 0x0
	v_lshrrev_b32_e32 v76, 16, v1
	v_lshrrev_b32_e32 v75, 16, v2
	;; [unrolled: 1-line block ×3, first 2 shown]
	s_and_saveexec_b32 s7, vcc_lo
	s_cbranch_execz .LBB124_57
; %bb.56:                               ;   in Loop: Header=BB124_29 Depth=1
	v_cmp_gt_i32_e64 s0, s25, v36
	v_and_b32_e32 v77, 0xffff, v4
	v_and_b32_e32 v4, 0xffff0000, v4
	s_wait_alu 0xf1ff
	s_delay_alu instid0(VALU_DEP_3) | instskip(SKIP_2) | instid1(VALU_DEP_1)
	v_cndmask_b32_e64 v1, 0, v1, s0
	v_cmp_gt_i32_e64 s0, s25, v49
	s_wait_alu 0xf1ff
	v_cndmask_b32_e64 v76, 0, v76, s0
	v_cmp_gt_i32_e64 s0, s25, v48
	s_wait_alu 0xf1ff
	s_delay_alu instid0(VALU_DEP_1) | instskip(SKIP_2) | instid1(VALU_DEP_1)
	v_cndmask_b32_e64 v2, 0, v2, s0
	v_cmp_gt_i32_e64 s0, s25, v45
	s_wait_alu 0xf1ff
	v_cndmask_b32_e64 v75, 0, v75, s0
	v_cmp_gt_i32_e64 s0, s25, v46
	s_wait_alu 0xf1ff
	s_delay_alu instid0(VALU_DEP_1) | instskip(SKIP_2) | instid1(VALU_DEP_1)
	v_cndmask_b32_e64 v77, 0, v77, s0
	v_cmp_gt_i32_e64 s0, s25, v47
	s_wait_alu 0xf1ff
	v_cndmask_b32_e64 v4, 0, v4, s0
	v_cmp_gt_i32_e64 s0, s25, v44
	s_delay_alu instid0(VALU_DEP_2) | instskip(SKIP_1) | instid1(VALU_DEP_2)
	v_or_b32_e32 v4, v77, v4
	s_wait_alu 0xf1ff
	v_cndmask_b32_e64 v3, 0, v3, s0
	v_cmp_gt_i32_e64 s0, s25, v43
	s_wait_alu 0xf1ff
	s_delay_alu instid0(VALU_DEP_1)
	v_cndmask_b32_e64 v74, 0, v74, s0
.LBB124_57:                             ;   in Loop: Header=BB124_29 Depth=1
	s_wait_alu 0xfffe
	s_or_b32 exec_lo, exec_lo, s7
	v_lshlrev_b32_e32 v76, 16, v76
	v_lshlrev_b32_e32 v75, 16, v75
	;; [unrolled: 1-line block ×3, first 2 shown]
	s_delay_alu instid0(VALU_DEP_3) | instskip(NEXT) | instid1(VALU_DEP_3)
	v_and_or_b32 v1, 0xffff, v1, v76
	v_and_or_b32 v2, 0xffff, v2, v75
	s_delay_alu instid0(VALU_DEP_3)
	v_and_or_b32 v3, 0xffff, v3, v74
	;;#ASMSTART
	v_pk_mul_f16 v1, v38, v1;

	;;#ASMEND
	;;#ASMSTART
	v_pk_mul_f16 v2, v37, v2;

	;;#ASMEND
	;; [unrolled: 4-line block ×4, first 2 shown]
	;;#ASMSTART
	v_pk_add_f16 v1, v1, v2;

	;;#ASMEND
	;;#ASMSTART
	v_pk_add_f16 v1, v1, v3;

	;;#ASMEND
	;; [unrolled: 4-line block ×3, first 2 shown]
	v_and_b32_e32 v2, 0xffff, v1
	v_lshrrev_b32_e32 v1, 16, v1
	;;#ASMSTART
	v_cvt_f32_f16 v74, v2;
	;;#ASMEND
	;;#ASMSTART
	v_cvt_f32_f16 v75, v1;
	;;#ASMEND
	global_load_b128 v[1:4], v[5:6], off offset:7168
	s_wait_loadcnt 0x0
	v_lshrrev_b32_e32 v78, 16, v1
	v_lshrrev_b32_e32 v77, 16, v2
	;; [unrolled: 1-line block ×3, first 2 shown]
	s_and_saveexec_b32 s7, vcc_lo
	s_cbranch_execz .LBB124_59
; %bb.58:                               ;   in Loop: Header=BB124_29 Depth=1
	v_cmp_gt_i32_e64 s0, s25, v36
	v_and_b32_e32 v79, 0xffff, v4
	v_and_b32_e32 v4, 0xffff0000, v4
	s_wait_alu 0xf1ff
	s_delay_alu instid0(VALU_DEP_3) | instskip(SKIP_2) | instid1(VALU_DEP_1)
	v_cndmask_b32_e64 v1, 0, v1, s0
	v_cmp_gt_i32_e64 s0, s25, v49
	s_wait_alu 0xf1ff
	v_cndmask_b32_e64 v78, 0, v78, s0
	v_cmp_gt_i32_e64 s0, s25, v48
	s_wait_alu 0xf1ff
	s_delay_alu instid0(VALU_DEP_1) | instskip(SKIP_2) | instid1(VALU_DEP_1)
	v_cndmask_b32_e64 v2, 0, v2, s0
	v_cmp_gt_i32_e64 s0, s25, v45
	s_wait_alu 0xf1ff
	v_cndmask_b32_e64 v77, 0, v77, s0
	v_cmp_gt_i32_e64 s0, s25, v46
	s_wait_alu 0xf1ff
	s_delay_alu instid0(VALU_DEP_1) | instskip(SKIP_2) | instid1(VALU_DEP_1)
	v_cndmask_b32_e64 v79, 0, v79, s0
	v_cmp_gt_i32_e64 s0, s25, v47
	s_wait_alu 0xf1ff
	v_cndmask_b32_e64 v4, 0, v4, s0
	v_cmp_gt_i32_e64 s0, s25, v44
	s_delay_alu instid0(VALU_DEP_2) | instskip(SKIP_1) | instid1(VALU_DEP_2)
	v_or_b32_e32 v4, v79, v4
	s_wait_alu 0xf1ff
	v_cndmask_b32_e64 v3, 0, v3, s0
	v_cmp_gt_i32_e64 s0, s25, v43
	s_wait_alu 0xf1ff
	s_delay_alu instid0(VALU_DEP_1)
	v_cndmask_b32_e64 v76, 0, v76, s0
.LBB124_59:                             ;   in Loop: Header=BB124_29 Depth=1
	s_wait_alu 0xfffe
	s_or_b32 exec_lo, exec_lo, s7
	v_lshlrev_b32_e32 v78, 16, v78
	v_lshlrev_b32_e32 v77, 16, v77
	v_lshlrev_b32_e32 v76, 16, v76
	s_delay_alu instid0(VALU_DEP_3) | instskip(NEXT) | instid1(VALU_DEP_3)
	v_and_or_b32 v1, 0xffff, v1, v78
	v_and_or_b32 v2, 0xffff, v2, v77
	s_delay_alu instid0(VALU_DEP_3)
	v_and_or_b32 v3, 0xffff, v3, v76
	;;#ASMSTART
	v_pk_mul_f16 v1, v38, v1;

	;;#ASMEND
	;;#ASMSTART
	v_pk_mul_f16 v2, v37, v2;

	;;#ASMEND
	;; [unrolled: 4-line block ×4, first 2 shown]
	;;#ASMSTART
	v_pk_add_f16 v1, v1, v2;

	;;#ASMEND
	;;#ASMSTART
	v_pk_add_f16 v1, v1, v3;

	;;#ASMEND
	;; [unrolled: 4-line block ×3, first 2 shown]
	v_and_b32_e32 v2, 0xffff, v1
	v_lshrrev_b32_e32 v1, 16, v1
	;;#ASMSTART
	v_cvt_f32_f16 v76, v2;
	;;#ASMEND
	;;#ASMSTART
	v_cvt_f32_f16 v77, v1;
	;;#ASMEND
	global_load_b128 v[1:4], v[5:6], off offset:7680
	s_wait_loadcnt 0x0
	v_lshrrev_b32_e32 v80, 16, v1
	v_lshrrev_b32_e32 v79, 16, v2
	;; [unrolled: 1-line block ×3, first 2 shown]
	s_and_saveexec_b32 s7, vcc_lo
	s_cbranch_execz .LBB124_61
; %bb.60:                               ;   in Loop: Header=BB124_29 Depth=1
	v_cmp_gt_i32_e64 s0, s25, v36
	v_and_b32_e32 v81, 0xffff, v4
	v_and_b32_e32 v4, 0xffff0000, v4
	s_wait_alu 0xf1ff
	s_delay_alu instid0(VALU_DEP_3) | instskip(SKIP_2) | instid1(VALU_DEP_1)
	v_cndmask_b32_e64 v1, 0, v1, s0
	v_cmp_gt_i32_e64 s0, s25, v49
	s_wait_alu 0xf1ff
	v_cndmask_b32_e64 v80, 0, v80, s0
	v_cmp_gt_i32_e64 s0, s25, v48
	s_wait_alu 0xf1ff
	s_delay_alu instid0(VALU_DEP_1) | instskip(SKIP_2) | instid1(VALU_DEP_1)
	v_cndmask_b32_e64 v2, 0, v2, s0
	v_cmp_gt_i32_e64 s0, s25, v45
	s_wait_alu 0xf1ff
	v_cndmask_b32_e64 v79, 0, v79, s0
	v_cmp_gt_i32_e64 s0, s25, v46
	s_wait_alu 0xf1ff
	s_delay_alu instid0(VALU_DEP_1) | instskip(SKIP_2) | instid1(VALU_DEP_1)
	v_cndmask_b32_e64 v81, 0, v81, s0
	v_cmp_gt_i32_e64 s0, s25, v47
	s_wait_alu 0xf1ff
	v_cndmask_b32_e64 v4, 0, v4, s0
	v_cmp_gt_i32_e64 s0, s25, v44
	s_delay_alu instid0(VALU_DEP_2) | instskip(SKIP_1) | instid1(VALU_DEP_2)
	v_or_b32_e32 v4, v81, v4
	s_wait_alu 0xf1ff
	v_cndmask_b32_e64 v3, 0, v3, s0
	v_cmp_gt_i32_e64 s0, s25, v43
	s_wait_alu 0xf1ff
	s_delay_alu instid0(VALU_DEP_1)
	v_cndmask_b32_e64 v78, 0, v78, s0
.LBB124_61:                             ;   in Loop: Header=BB124_29 Depth=1
	s_wait_alu 0xfffe
	s_or_b32 exec_lo, exec_lo, s7
	v_lshlrev_b32_e32 v80, 16, v80
	v_lshlrev_b32_e32 v79, 16, v79
	;; [unrolled: 1-line block ×3, first 2 shown]
	s_delay_alu instid0(VALU_DEP_3) | instskip(NEXT) | instid1(VALU_DEP_3)
	v_and_or_b32 v1, 0xffff, v1, v80
	v_and_or_b32 v2, 0xffff, v2, v79
	s_delay_alu instid0(VALU_DEP_3)
	v_and_or_b32 v3, 0xffff, v3, v78
	;;#ASMSTART
	v_pk_mul_f16 v1, v38, v1;

	;;#ASMEND
	;;#ASMSTART
	v_pk_mul_f16 v2, v37, v2;

	;;#ASMEND
	;; [unrolled: 4-line block ×4, first 2 shown]
	;;#ASMSTART
	v_pk_add_f16 v1, v1, v2;

	;;#ASMEND
	;;#ASMSTART
	v_pk_add_f16 v1, v1, v3;

	;;#ASMEND
	;; [unrolled: 4-line block ×3, first 2 shown]
	v_and_b32_e32 v2, 0xffff, v1
	v_lshrrev_b32_e32 v1, 16, v1
	;;#ASMSTART
	v_cvt_f32_f16 v78, v2;
	;;#ASMEND
	;;#ASMSTART
	v_cvt_f32_f16 v79, v1;
	;;#ASMEND
	global_load_b128 v[1:4], v[5:6], off offset:8192
	s_wait_loadcnt 0x0
	v_lshrrev_b32_e32 v82, 16, v1
	v_lshrrev_b32_e32 v81, 16, v2
	;; [unrolled: 1-line block ×3, first 2 shown]
	s_and_saveexec_b32 s7, vcc_lo
	s_cbranch_execz .LBB124_63
; %bb.62:                               ;   in Loop: Header=BB124_29 Depth=1
	v_cmp_gt_i32_e64 s0, s25, v36
	v_and_b32_e32 v83, 0xffff, v4
	v_and_b32_e32 v4, 0xffff0000, v4
	s_wait_alu 0xf1ff
	s_delay_alu instid0(VALU_DEP_3) | instskip(SKIP_2) | instid1(VALU_DEP_1)
	v_cndmask_b32_e64 v1, 0, v1, s0
	v_cmp_gt_i32_e64 s0, s25, v49
	s_wait_alu 0xf1ff
	v_cndmask_b32_e64 v82, 0, v82, s0
	v_cmp_gt_i32_e64 s0, s25, v48
	s_wait_alu 0xf1ff
	s_delay_alu instid0(VALU_DEP_1) | instskip(SKIP_2) | instid1(VALU_DEP_1)
	v_cndmask_b32_e64 v2, 0, v2, s0
	v_cmp_gt_i32_e64 s0, s25, v45
	s_wait_alu 0xf1ff
	v_cndmask_b32_e64 v81, 0, v81, s0
	v_cmp_gt_i32_e64 s0, s25, v46
	s_wait_alu 0xf1ff
	s_delay_alu instid0(VALU_DEP_1) | instskip(SKIP_2) | instid1(VALU_DEP_1)
	v_cndmask_b32_e64 v83, 0, v83, s0
	v_cmp_gt_i32_e64 s0, s25, v47
	s_wait_alu 0xf1ff
	v_cndmask_b32_e64 v4, 0, v4, s0
	v_cmp_gt_i32_e64 s0, s25, v44
	s_delay_alu instid0(VALU_DEP_2) | instskip(SKIP_1) | instid1(VALU_DEP_2)
	v_or_b32_e32 v4, v83, v4
	s_wait_alu 0xf1ff
	v_cndmask_b32_e64 v3, 0, v3, s0
	v_cmp_gt_i32_e64 s0, s25, v43
	s_wait_alu 0xf1ff
	s_delay_alu instid0(VALU_DEP_1)
	v_cndmask_b32_e64 v80, 0, v80, s0
.LBB124_63:                             ;   in Loop: Header=BB124_29 Depth=1
	s_wait_alu 0xfffe
	s_or_b32 exec_lo, exec_lo, s7
	v_lshlrev_b32_e32 v82, 16, v82
	v_lshlrev_b32_e32 v81, 16, v81
	;; [unrolled: 1-line block ×3, first 2 shown]
	s_delay_alu instid0(VALU_DEP_3) | instskip(NEXT) | instid1(VALU_DEP_3)
	v_and_or_b32 v1, 0xffff, v1, v82
	v_and_or_b32 v2, 0xffff, v2, v81
	s_delay_alu instid0(VALU_DEP_3)
	v_and_or_b32 v3, 0xffff, v3, v80
	;;#ASMSTART
	v_pk_mul_f16 v1, v38, v1;

	;;#ASMEND
	;;#ASMSTART
	v_pk_mul_f16 v2, v37, v2;

	;;#ASMEND
	;; [unrolled: 4-line block ×4, first 2 shown]
	;;#ASMSTART
	v_pk_add_f16 v1, v1, v2;

	;;#ASMEND
	;;#ASMSTART
	v_pk_add_f16 v1, v1, v3;

	;;#ASMEND
	;; [unrolled: 4-line block ×3, first 2 shown]
	v_and_b32_e32 v2, 0xffff, v1
	v_lshrrev_b32_e32 v1, 16, v1
	;;#ASMSTART
	v_cvt_f32_f16 v80, v2;
	;;#ASMEND
	;;#ASMSTART
	v_cvt_f32_f16 v81, v1;
	;;#ASMEND
	global_load_b128 v[1:4], v[5:6], off offset:8704
	s_wait_loadcnt 0x0
	v_lshrrev_b32_e32 v84, 16, v1
	v_lshrrev_b32_e32 v83, 16, v2
	;; [unrolled: 1-line block ×3, first 2 shown]
	s_and_saveexec_b32 s7, vcc_lo
	s_cbranch_execz .LBB124_65
; %bb.64:                               ;   in Loop: Header=BB124_29 Depth=1
	v_cmp_gt_i32_e64 s0, s25, v36
	v_and_b32_e32 v85, 0xffff, v4
	v_and_b32_e32 v4, 0xffff0000, v4
	s_wait_alu 0xf1ff
	s_delay_alu instid0(VALU_DEP_3) | instskip(SKIP_2) | instid1(VALU_DEP_1)
	v_cndmask_b32_e64 v1, 0, v1, s0
	v_cmp_gt_i32_e64 s0, s25, v49
	s_wait_alu 0xf1ff
	v_cndmask_b32_e64 v84, 0, v84, s0
	v_cmp_gt_i32_e64 s0, s25, v48
	s_wait_alu 0xf1ff
	s_delay_alu instid0(VALU_DEP_1) | instskip(SKIP_2) | instid1(VALU_DEP_1)
	v_cndmask_b32_e64 v2, 0, v2, s0
	v_cmp_gt_i32_e64 s0, s25, v45
	s_wait_alu 0xf1ff
	v_cndmask_b32_e64 v83, 0, v83, s0
	v_cmp_gt_i32_e64 s0, s25, v46
	s_wait_alu 0xf1ff
	s_delay_alu instid0(VALU_DEP_1) | instskip(SKIP_2) | instid1(VALU_DEP_1)
	v_cndmask_b32_e64 v85, 0, v85, s0
	v_cmp_gt_i32_e64 s0, s25, v47
	s_wait_alu 0xf1ff
	v_cndmask_b32_e64 v4, 0, v4, s0
	v_cmp_gt_i32_e64 s0, s25, v44
	s_delay_alu instid0(VALU_DEP_2) | instskip(SKIP_1) | instid1(VALU_DEP_2)
	v_or_b32_e32 v4, v85, v4
	s_wait_alu 0xf1ff
	v_cndmask_b32_e64 v3, 0, v3, s0
	v_cmp_gt_i32_e64 s0, s25, v43
	s_wait_alu 0xf1ff
	s_delay_alu instid0(VALU_DEP_1)
	v_cndmask_b32_e64 v82, 0, v82, s0
.LBB124_65:                             ;   in Loop: Header=BB124_29 Depth=1
	s_wait_alu 0xfffe
	s_or_b32 exec_lo, exec_lo, s7
	v_lshlrev_b32_e32 v84, 16, v84
	v_lshlrev_b32_e32 v83, 16, v83
	;; [unrolled: 1-line block ×3, first 2 shown]
	s_delay_alu instid0(VALU_DEP_3) | instskip(NEXT) | instid1(VALU_DEP_3)
	v_and_or_b32 v1, 0xffff, v1, v84
	v_and_or_b32 v2, 0xffff, v2, v83
	s_delay_alu instid0(VALU_DEP_3)
	v_and_or_b32 v3, 0xffff, v3, v82
	;;#ASMSTART
	v_pk_mul_f16 v1, v38, v1;

	;;#ASMEND
	;;#ASMSTART
	v_pk_mul_f16 v2, v37, v2;

	;;#ASMEND
	;; [unrolled: 4-line block ×4, first 2 shown]
	;;#ASMSTART
	v_pk_add_f16 v1, v1, v2;

	;;#ASMEND
	;;#ASMSTART
	v_pk_add_f16 v1, v1, v3;

	;;#ASMEND
	;; [unrolled: 4-line block ×3, first 2 shown]
	v_and_b32_e32 v2, 0xffff, v1
	v_lshrrev_b32_e32 v1, 16, v1
	;;#ASMSTART
	v_cvt_f32_f16 v82, v2;
	;;#ASMEND
	;;#ASMSTART
	v_cvt_f32_f16 v83, v1;
	;;#ASMEND
	global_load_b128 v[1:4], v[5:6], off offset:9216
	s_wait_loadcnt 0x0
	v_lshrrev_b32_e32 v86, 16, v1
	v_lshrrev_b32_e32 v85, 16, v2
	;; [unrolled: 1-line block ×3, first 2 shown]
	s_and_saveexec_b32 s7, vcc_lo
	s_cbranch_execz .LBB124_67
; %bb.66:                               ;   in Loop: Header=BB124_29 Depth=1
	v_cmp_gt_i32_e64 s0, s25, v36
	v_and_b32_e32 v87, 0xffff, v4
	v_and_b32_e32 v4, 0xffff0000, v4
	s_wait_alu 0xf1ff
	s_delay_alu instid0(VALU_DEP_3) | instskip(SKIP_2) | instid1(VALU_DEP_1)
	v_cndmask_b32_e64 v1, 0, v1, s0
	v_cmp_gt_i32_e64 s0, s25, v49
	s_wait_alu 0xf1ff
	v_cndmask_b32_e64 v86, 0, v86, s0
	v_cmp_gt_i32_e64 s0, s25, v48
	s_wait_alu 0xf1ff
	s_delay_alu instid0(VALU_DEP_1) | instskip(SKIP_2) | instid1(VALU_DEP_1)
	v_cndmask_b32_e64 v2, 0, v2, s0
	v_cmp_gt_i32_e64 s0, s25, v45
	s_wait_alu 0xf1ff
	v_cndmask_b32_e64 v85, 0, v85, s0
	v_cmp_gt_i32_e64 s0, s25, v46
	s_wait_alu 0xf1ff
	s_delay_alu instid0(VALU_DEP_1) | instskip(SKIP_2) | instid1(VALU_DEP_1)
	v_cndmask_b32_e64 v87, 0, v87, s0
	v_cmp_gt_i32_e64 s0, s25, v47
	s_wait_alu 0xf1ff
	v_cndmask_b32_e64 v4, 0, v4, s0
	v_cmp_gt_i32_e64 s0, s25, v44
	s_delay_alu instid0(VALU_DEP_2) | instskip(SKIP_1) | instid1(VALU_DEP_2)
	v_or_b32_e32 v4, v87, v4
	s_wait_alu 0xf1ff
	v_cndmask_b32_e64 v3, 0, v3, s0
	v_cmp_gt_i32_e64 s0, s25, v43
	s_wait_alu 0xf1ff
	s_delay_alu instid0(VALU_DEP_1)
	v_cndmask_b32_e64 v84, 0, v84, s0
.LBB124_67:                             ;   in Loop: Header=BB124_29 Depth=1
	s_wait_alu 0xfffe
	s_or_b32 exec_lo, exec_lo, s7
	v_lshlrev_b32_e32 v86, 16, v86
	v_lshlrev_b32_e32 v85, 16, v85
	;; [unrolled: 1-line block ×3, first 2 shown]
	s_delay_alu instid0(VALU_DEP_3) | instskip(NEXT) | instid1(VALU_DEP_3)
	v_and_or_b32 v1, 0xffff, v1, v86
	v_and_or_b32 v2, 0xffff, v2, v85
	s_delay_alu instid0(VALU_DEP_3)
	v_and_or_b32 v3, 0xffff, v3, v84
	;;#ASMSTART
	v_pk_mul_f16 v1, v38, v1;

	;;#ASMEND
	;;#ASMSTART
	v_pk_mul_f16 v2, v37, v2;

	;;#ASMEND
	;; [unrolled: 4-line block ×4, first 2 shown]
	;;#ASMSTART
	v_pk_add_f16 v1, v1, v2;

	;;#ASMEND
	;;#ASMSTART
	v_pk_add_f16 v1, v1, v3;

	;;#ASMEND
	;; [unrolled: 4-line block ×3, first 2 shown]
	v_and_b32_e32 v2, 0xffff, v1
	v_lshrrev_b32_e32 v1, 16, v1
	;;#ASMSTART
	v_cvt_f32_f16 v84, v2;
	;;#ASMEND
	;;#ASMSTART
	v_cvt_f32_f16 v85, v1;
	;;#ASMEND
	global_load_b128 v[1:4], v[5:6], off offset:9728
	s_wait_loadcnt 0x0
	v_lshrrev_b32_e32 v88, 16, v1
	v_lshrrev_b32_e32 v87, 16, v2
	;; [unrolled: 1-line block ×3, first 2 shown]
	s_and_saveexec_b32 s7, vcc_lo
	s_cbranch_execz .LBB124_69
; %bb.68:                               ;   in Loop: Header=BB124_29 Depth=1
	v_cmp_gt_i32_e64 s0, s25, v36
	v_and_b32_e32 v89, 0xffff, v4
	v_and_b32_e32 v4, 0xffff0000, v4
	s_wait_alu 0xf1ff
	s_delay_alu instid0(VALU_DEP_3) | instskip(SKIP_2) | instid1(VALU_DEP_1)
	v_cndmask_b32_e64 v1, 0, v1, s0
	v_cmp_gt_i32_e64 s0, s25, v49
	s_wait_alu 0xf1ff
	v_cndmask_b32_e64 v88, 0, v88, s0
	v_cmp_gt_i32_e64 s0, s25, v48
	s_wait_alu 0xf1ff
	s_delay_alu instid0(VALU_DEP_1) | instskip(SKIP_2) | instid1(VALU_DEP_1)
	v_cndmask_b32_e64 v2, 0, v2, s0
	v_cmp_gt_i32_e64 s0, s25, v45
	s_wait_alu 0xf1ff
	v_cndmask_b32_e64 v87, 0, v87, s0
	v_cmp_gt_i32_e64 s0, s25, v46
	s_wait_alu 0xf1ff
	s_delay_alu instid0(VALU_DEP_1) | instskip(SKIP_2) | instid1(VALU_DEP_1)
	v_cndmask_b32_e64 v89, 0, v89, s0
	v_cmp_gt_i32_e64 s0, s25, v47
	s_wait_alu 0xf1ff
	v_cndmask_b32_e64 v4, 0, v4, s0
	v_cmp_gt_i32_e64 s0, s25, v44
	s_delay_alu instid0(VALU_DEP_2) | instskip(SKIP_1) | instid1(VALU_DEP_2)
	v_or_b32_e32 v4, v89, v4
	s_wait_alu 0xf1ff
	v_cndmask_b32_e64 v3, 0, v3, s0
	v_cmp_gt_i32_e64 s0, s25, v43
	s_wait_alu 0xf1ff
	s_delay_alu instid0(VALU_DEP_1)
	v_cndmask_b32_e64 v86, 0, v86, s0
.LBB124_69:                             ;   in Loop: Header=BB124_29 Depth=1
	s_wait_alu 0xfffe
	s_or_b32 exec_lo, exec_lo, s7
	v_lshlrev_b32_e32 v88, 16, v88
	v_lshlrev_b32_e32 v87, 16, v87
	;; [unrolled: 1-line block ×3, first 2 shown]
	s_delay_alu instid0(VALU_DEP_3) | instskip(NEXT) | instid1(VALU_DEP_3)
	v_and_or_b32 v1, 0xffff, v1, v88
	v_and_or_b32 v2, 0xffff, v2, v87
	s_delay_alu instid0(VALU_DEP_3)
	v_and_or_b32 v3, 0xffff, v3, v86
	;;#ASMSTART
	v_pk_mul_f16 v1, v38, v1;

	;;#ASMEND
	;;#ASMSTART
	v_pk_mul_f16 v2, v37, v2;

	;;#ASMEND
	;; [unrolled: 4-line block ×4, first 2 shown]
	;;#ASMSTART
	v_pk_add_f16 v1, v1, v2;

	;;#ASMEND
	;;#ASMSTART
	v_pk_add_f16 v1, v1, v3;

	;;#ASMEND
	;; [unrolled: 4-line block ×3, first 2 shown]
	v_and_b32_e32 v2, 0xffff, v1
	v_lshrrev_b32_e32 v1, 16, v1
	;;#ASMSTART
	v_cvt_f32_f16 v86, v2;
	;;#ASMEND
	;;#ASMSTART
	v_cvt_f32_f16 v87, v1;
	;;#ASMEND
	global_load_b128 v[1:4], v[5:6], off offset:10240
	s_wait_loadcnt 0x0
	v_lshrrev_b32_e32 v90, 16, v1
	v_lshrrev_b32_e32 v89, 16, v2
	;; [unrolled: 1-line block ×3, first 2 shown]
	s_and_saveexec_b32 s7, vcc_lo
	s_cbranch_execz .LBB124_71
; %bb.70:                               ;   in Loop: Header=BB124_29 Depth=1
	v_cmp_gt_i32_e64 s0, s25, v36
	v_and_b32_e32 v91, 0xffff, v4
	v_and_b32_e32 v4, 0xffff0000, v4
	s_wait_alu 0xf1ff
	s_delay_alu instid0(VALU_DEP_3) | instskip(SKIP_2) | instid1(VALU_DEP_1)
	v_cndmask_b32_e64 v1, 0, v1, s0
	v_cmp_gt_i32_e64 s0, s25, v49
	s_wait_alu 0xf1ff
	v_cndmask_b32_e64 v90, 0, v90, s0
	v_cmp_gt_i32_e64 s0, s25, v48
	s_wait_alu 0xf1ff
	s_delay_alu instid0(VALU_DEP_1) | instskip(SKIP_2) | instid1(VALU_DEP_1)
	v_cndmask_b32_e64 v2, 0, v2, s0
	v_cmp_gt_i32_e64 s0, s25, v45
	s_wait_alu 0xf1ff
	v_cndmask_b32_e64 v89, 0, v89, s0
	v_cmp_gt_i32_e64 s0, s25, v46
	s_wait_alu 0xf1ff
	s_delay_alu instid0(VALU_DEP_1) | instskip(SKIP_2) | instid1(VALU_DEP_1)
	v_cndmask_b32_e64 v91, 0, v91, s0
	v_cmp_gt_i32_e64 s0, s25, v47
	s_wait_alu 0xf1ff
	v_cndmask_b32_e64 v4, 0, v4, s0
	v_cmp_gt_i32_e64 s0, s25, v44
	s_delay_alu instid0(VALU_DEP_2) | instskip(SKIP_1) | instid1(VALU_DEP_2)
	v_or_b32_e32 v4, v91, v4
	s_wait_alu 0xf1ff
	v_cndmask_b32_e64 v3, 0, v3, s0
	v_cmp_gt_i32_e64 s0, s25, v43
	s_wait_alu 0xf1ff
	s_delay_alu instid0(VALU_DEP_1)
	v_cndmask_b32_e64 v88, 0, v88, s0
.LBB124_71:                             ;   in Loop: Header=BB124_29 Depth=1
	s_wait_alu 0xfffe
	s_or_b32 exec_lo, exec_lo, s7
	v_lshlrev_b32_e32 v90, 16, v90
	v_lshlrev_b32_e32 v89, 16, v89
	;; [unrolled: 1-line block ×3, first 2 shown]
	s_delay_alu instid0(VALU_DEP_3) | instskip(NEXT) | instid1(VALU_DEP_3)
	v_and_or_b32 v1, 0xffff, v1, v90
	v_and_or_b32 v2, 0xffff, v2, v89
	s_delay_alu instid0(VALU_DEP_3)
	v_and_or_b32 v3, 0xffff, v3, v88
	;;#ASMSTART
	v_pk_mul_f16 v1, v38, v1;

	;;#ASMEND
	;;#ASMSTART
	v_pk_mul_f16 v2, v37, v2;

	;;#ASMEND
	;; [unrolled: 4-line block ×4, first 2 shown]
	;;#ASMSTART
	v_pk_add_f16 v1, v1, v2;

	;;#ASMEND
	;;#ASMSTART
	v_pk_add_f16 v1, v1, v3;

	;;#ASMEND
	;; [unrolled: 4-line block ×3, first 2 shown]
	v_and_b32_e32 v2, 0xffff, v1
	v_lshrrev_b32_e32 v1, 16, v1
	;;#ASMSTART
	v_cvt_f32_f16 v88, v2;
	;;#ASMEND
	;;#ASMSTART
	v_cvt_f32_f16 v89, v1;
	;;#ASMEND
	global_load_b128 v[1:4], v[5:6], off offset:10752
	s_wait_loadcnt 0x0
	v_lshrrev_b32_e32 v92, 16, v1
	v_lshrrev_b32_e32 v91, 16, v2
	;; [unrolled: 1-line block ×3, first 2 shown]
	s_and_saveexec_b32 s7, vcc_lo
	s_cbranch_execz .LBB124_73
; %bb.72:                               ;   in Loop: Header=BB124_29 Depth=1
	v_cmp_gt_i32_e64 s0, s25, v36
	v_and_b32_e32 v94, 0xffff, v4
	v_and_b32_e32 v4, 0xffff0000, v4
	s_wait_alu 0xf1ff
	s_delay_alu instid0(VALU_DEP_3) | instskip(SKIP_2) | instid1(VALU_DEP_1)
	v_cndmask_b32_e64 v1, 0, v1, s0
	v_cmp_gt_i32_e64 s0, s25, v49
	s_wait_alu 0xf1ff
	v_cndmask_b32_e64 v92, 0, v92, s0
	v_cmp_gt_i32_e64 s0, s25, v48
	s_wait_alu 0xf1ff
	s_delay_alu instid0(VALU_DEP_1) | instskip(SKIP_2) | instid1(VALU_DEP_1)
	v_cndmask_b32_e64 v2, 0, v2, s0
	v_cmp_gt_i32_e64 s0, s25, v45
	s_wait_alu 0xf1ff
	v_cndmask_b32_e64 v91, 0, v91, s0
	v_cmp_gt_i32_e64 s0, s25, v46
	s_wait_alu 0xf1ff
	s_delay_alu instid0(VALU_DEP_1) | instskip(SKIP_2) | instid1(VALU_DEP_1)
	v_cndmask_b32_e64 v94, 0, v94, s0
	v_cmp_gt_i32_e64 s0, s25, v47
	s_wait_alu 0xf1ff
	v_cndmask_b32_e64 v4, 0, v4, s0
	v_cmp_gt_i32_e64 s0, s25, v44
	s_delay_alu instid0(VALU_DEP_2) | instskip(SKIP_1) | instid1(VALU_DEP_2)
	v_or_b32_e32 v4, v94, v4
	s_wait_alu 0xf1ff
	v_cndmask_b32_e64 v3, 0, v3, s0
	v_cmp_gt_i32_e64 s0, s25, v43
	s_wait_alu 0xf1ff
	s_delay_alu instid0(VALU_DEP_1)
	v_cndmask_b32_e64 v90, 0, v90, s0
.LBB124_73:                             ;   in Loop: Header=BB124_29 Depth=1
	s_wait_alu 0xfffe
	s_or_b32 exec_lo, exec_lo, s7
	v_lshlrev_b32_e32 v92, 16, v92
	v_lshlrev_b32_e32 v91, 16, v91
	;; [unrolled: 1-line block ×3, first 2 shown]
	s_delay_alu instid0(VALU_DEP_3) | instskip(NEXT) | instid1(VALU_DEP_3)
	v_and_or_b32 v1, 0xffff, v1, v92
	v_and_or_b32 v2, 0xffff, v2, v91
	s_delay_alu instid0(VALU_DEP_3)
	v_and_or_b32 v3, 0xffff, v3, v90
	;;#ASMSTART
	v_pk_mul_f16 v1, v38, v1;

	;;#ASMEND
	;;#ASMSTART
	v_pk_mul_f16 v2, v37, v2;

	;;#ASMEND
	;; [unrolled: 4-line block ×4, first 2 shown]
	;;#ASMSTART
	v_pk_add_f16 v1, v1, v2;

	;;#ASMEND
	;;#ASMSTART
	v_pk_add_f16 v1, v1, v3;

	;;#ASMEND
	;; [unrolled: 4-line block ×3, first 2 shown]
	v_and_b32_e32 v2, 0xffff, v1
	v_lshrrev_b32_e32 v1, 16, v1
	;;#ASMSTART
	v_cvt_f32_f16 v90, v2;
	;;#ASMEND
	;;#ASMSTART
	v_cvt_f32_f16 v91, v1;
	;;#ASMEND
	global_load_b128 v[1:4], v[5:6], off offset:11264
	s_wait_loadcnt 0x0
	v_lshrrev_b32_e32 v95, 16, v1
	v_lshrrev_b32_e32 v94, 16, v2
	;; [unrolled: 1-line block ×3, first 2 shown]
	s_and_saveexec_b32 s7, vcc_lo
	s_cbranch_execz .LBB124_75
; %bb.74:                               ;   in Loop: Header=BB124_29 Depth=1
	v_cmp_gt_i32_e64 s0, s25, v36
	v_and_b32_e32 v98, 0xffff, v4
	v_and_b32_e32 v4, 0xffff0000, v4
	s_wait_alu 0xf1ff
	s_delay_alu instid0(VALU_DEP_3) | instskip(SKIP_2) | instid1(VALU_DEP_1)
	v_cndmask_b32_e64 v1, 0, v1, s0
	v_cmp_gt_i32_e64 s0, s25, v49
	s_wait_alu 0xf1ff
	v_cndmask_b32_e64 v95, 0, v95, s0
	v_cmp_gt_i32_e64 s0, s25, v48
	s_wait_alu 0xf1ff
	s_delay_alu instid0(VALU_DEP_1) | instskip(SKIP_2) | instid1(VALU_DEP_1)
	v_cndmask_b32_e64 v2, 0, v2, s0
	v_cmp_gt_i32_e64 s0, s25, v45
	s_wait_alu 0xf1ff
	v_cndmask_b32_e64 v94, 0, v94, s0
	v_cmp_gt_i32_e64 s0, s25, v46
	s_wait_alu 0xf1ff
	s_delay_alu instid0(VALU_DEP_1) | instskip(SKIP_2) | instid1(VALU_DEP_1)
	v_cndmask_b32_e64 v98, 0, v98, s0
	v_cmp_gt_i32_e64 s0, s25, v47
	s_wait_alu 0xf1ff
	v_cndmask_b32_e64 v4, 0, v4, s0
	v_cmp_gt_i32_e64 s0, s25, v44
	s_delay_alu instid0(VALU_DEP_2) | instskip(SKIP_1) | instid1(VALU_DEP_2)
	v_or_b32_e32 v4, v98, v4
	s_wait_alu 0xf1ff
	v_cndmask_b32_e64 v3, 0, v3, s0
	v_cmp_gt_i32_e64 s0, s25, v43
	s_wait_alu 0xf1ff
	s_delay_alu instid0(VALU_DEP_1)
	v_cndmask_b32_e64 v92, 0, v92, s0
.LBB124_75:                             ;   in Loop: Header=BB124_29 Depth=1
	s_wait_alu 0xfffe
	s_or_b32 exec_lo, exec_lo, s7
	v_lshlrev_b32_e32 v95, 16, v95
	v_lshlrev_b32_e32 v94, 16, v94
	;; [unrolled: 1-line block ×3, first 2 shown]
	s_delay_alu instid0(VALU_DEP_3) | instskip(NEXT) | instid1(VALU_DEP_3)
	v_and_or_b32 v1, 0xffff, v1, v95
	v_and_or_b32 v2, 0xffff, v2, v94
	s_delay_alu instid0(VALU_DEP_3)
	v_and_or_b32 v3, 0xffff, v3, v92
	;;#ASMSTART
	v_pk_mul_f16 v1, v38, v1;

	;;#ASMEND
	;;#ASMSTART
	v_pk_mul_f16 v2, v37, v2;

	;;#ASMEND
	;;#ASMSTART
	v_pk_mul_f16 v3, v39, v3;

	;;#ASMEND
	;;#ASMSTART
	v_pk_mul_f16 v4, v40, v4;

	;;#ASMEND
	;;#ASMSTART
	v_pk_add_f16 v1, v1, v2;

	;;#ASMEND
	;;#ASMSTART
	v_pk_add_f16 v1, v1, v3;

	;;#ASMEND
	;; [unrolled: 4-line block ×3, first 2 shown]
	v_and_b32_e32 v2, 0xffff, v1
	v_lshrrev_b32_e32 v1, 16, v1
	;;#ASMSTART
	v_cvt_f32_f16 v94, v2;
	;;#ASMEND
	;;#ASMSTART
	v_cvt_f32_f16 v95, v1;
	;;#ASMEND
	global_load_b128 v[1:4], v[5:6], off offset:11776
	s_wait_loadcnt 0x0
	v_lshrrev_b32_e32 v92, 16, v1
	v_lshrrev_b32_e32 v6, 16, v2
	;; [unrolled: 1-line block ×3, first 2 shown]
	s_and_saveexec_b32 s0, vcc_lo
	s_cbranch_execz .LBB124_28
; %bb.76:                               ;   in Loop: Header=BB124_29 Depth=1
	v_cmp_gt_i32_e32 vcc_lo, s25, v36
	v_and_b32_e32 v36, 0xffff, v4
	s_wait_alu 0xfffd
	v_dual_cndmask_b32 v1, 0, v1 :: v_dual_and_b32 v4, 0xffff0000, v4
	v_cmp_gt_i32_e32 vcc_lo, s25, v49
	s_wait_alu 0xfffd
	v_cndmask_b32_e32 v92, 0, v92, vcc_lo
	v_cmp_gt_i32_e32 vcc_lo, s25, v48
	s_wait_alu 0xfffd
	v_cndmask_b32_e32 v2, 0, v2, vcc_lo
	;; [unrolled: 3-line block ×5, first 2 shown]
	v_cmp_gt_i32_e32 vcc_lo, s25, v44
	s_delay_alu instid0(VALU_DEP_2)
	v_or_b32_e32 v4, v36, v4
	s_wait_alu 0xfffd
	v_cndmask_b32_e32 v3, 0, v3, vcc_lo
	v_cmp_gt_i32_e32 vcc_lo, s25, v43
	s_wait_alu 0xfffd
	v_cndmask_b32_e32 v5, 0, v5, vcc_lo
	s_branch .LBB124_28
.LBB124_77:
	s_or_b32 exec_lo, exec_lo, s6
.LBB124_78:
	s_wait_alu 0xfffe
	s_or_b32 exec_lo, exec_lo, s1
	ds_bpermute_b32 v1, v8, v31
	ds_bpermute_b32 v2, v8, v32
	;; [unrolled: 1-line block ×19, first 2 shown]
	s_mov_b32 s0, exec_lo
	s_wait_dscnt 0x11
	v_dual_add_f32 v1, v31, v1 :: v_dual_add_f32 v2, v32, v2
	s_wait_dscnt 0xf
	v_dual_add_f32 v30, v30, v3 :: v_dual_add_f32 v29, v29, v4
	ds_bpermute_b32 v31, v8, v15
	ds_bpermute_b32 v3, v7, v1
	;; [unrolled: 1-line block ×5, first 2 shown]
	s_wait_dscnt 0x12
	v_dual_add_f32 v5, v28, v5 :: v_dual_add_f32 v6, v27, v6
	s_wait_dscnt 0xb
	v_dual_add_f32 v26, v26, v33 :: v_dual_add_f32 v25, v25, v34
	v_add_f32_e32 v27, v24, v35
	v_add_f32_e32 v33, v22, v37
	ds_bpermute_b32 v24, v8, v12
	s_wait_dscnt 0xb
	v_dual_add_f32 v43, v16, v43 :: v_dual_add_f32 v46, v14, v46
	ds_bpermute_b32 v22, v7, v5
	ds_bpermute_b32 v34, v7, v26
	s_wait_dscnt 0xb
	v_add_f32_e32 v28, v23, v36
	ds_bpermute_b32 v49, v7, v43
	s_wait_dscnt 0x9
	v_add_f32_e32 v47, v13, v47
	;; [unrolled: 3-line block ×3, first 2 shown]
	s_wait_dscnt 0x7
	v_dual_add_f32 v4, v1, v3 :: v_dual_add_f32 v3, v2, v32
	s_wait_dscnt 0x5
	v_dual_add_f32 v2, v30, v44 :: v_dual_add_f32 v1, v29, v45
	v_dual_add_f32 v29, v21, v38 :: v_dual_add_f32 v32, v19, v40
	ds_bpermute_b32 v21, v8, v11
	v_add_f32_e32 v30, v20, v39
	ds_bpermute_b32 v20, v8, v10
	ds_bpermute_b32 v8, v8, v9
	;; [unrolled: 1-line block ×3, first 2 shown]
	v_add_f32_e32 v39, v18, v41
	v_add_f32_e32 v41, v17, v42
	ds_bpermute_b32 v42, v7, v32
	s_wait_dscnt 0x9
	v_add_f32_e32 v51, v12, v24
	ds_bpermute_b32 v35, v7, v25
	ds_bpermute_b32 v36, v7, v27
	;; [unrolled: 1-line block ×6, first 2 shown]
	s_wait_dscnt 0xe
	v_add_f32_e32 v24, v5, v22
	ds_bpermute_b32 v50, v7, v31
	s_wait_dscnt 0xe
	v_add_f32_e32 v22, v26, v34
	ds_bpermute_b32 v54, v7, v47
	s_wait_dscnt 0xe
	v_add_f32_e32 v12, v43, v49
	s_wait_dscnt 0xc
	v_add_f32_e32 v53, v11, v21
	ds_bpermute_b32 v55, v7, v51
	s_wait_dscnt 0xc
	v_add_f32_e32 v10, v10, v20
	s_wait_dscnt 0xb
	v_add_f32_e32 v56, v9, v8
	ds_bpermute_b32 v44, v7, v39
	ds_bpermute_b32 v45, v7, v41
	s_wait_dscnt 0xc
	v_add_f32_e32 v18, v33, v48
	ds_bpermute_b32 v8, v7, v53
	ds_bpermute_b32 v57, v7, v10
	;; [unrolled: 1-line block ×3, first 2 shown]
	s_wait_dscnt 0xe
	v_dual_add_f32 v15, v32, v42 :: v_dual_and_b32 v26, 28, v97
	s_wait_dscnt 0xc
	v_dual_add_f32 v23, v6, v23 :: v_dual_add_f32 v20, v27, v36
	s_wait_dscnt 0x9
	v_dual_add_f32 v21, v25, v35 :: v_dual_add_f32 v16, v30, v40
	v_add_f32_e32 v19, v28, v37
	v_add_f32_e32 v17, v29, v38
	s_wait_dscnt 0x7
	v_add_f32_e32 v11, v31, v50
	v_add_f32_e32 v9, v46, v52
	s_wait_dscnt 0x6
	v_add_f32_e32 v7, v47, v54
	s_wait_dscnt 0x5
	v_add_f32_e32 v6, v51, v55
	v_and_b32_e32 v28, 0x3c3, v0
	v_lshrrev_b32_e32 v25, 2, v97
	s_wait_dscnt 0x3
	v_dual_add_f32 v14, v39, v44 :: v_dual_add_f32 v13, v41, v45
	s_wait_dscnt 0x2
	v_dual_add_f32 v5, v53, v8 :: v_dual_add_nc_u32 v26, 0x1a0, v26
	s_wait_dscnt 0x1
	v_add_f32_e32 v8, v10, v57
	s_wait_dscnt 0x0
	v_add_f32_e32 v10, v56, v58
	v_mul_u32_u24_e32 v27, 0x300, v96
	s_wait_loadcnt 0x0
	s_wait_storecnt 0x0
	s_barrier_signal -1
	s_barrier_wait -1
	global_inv scope:SCOPE_SE
	v_cmpx_eq_u32_e32 64, v28
	s_cbranch_execz .LBB124_80
; %bb.79:
	v_add_nc_u32_e32 v28, v26, v27
	s_delay_alu instid0(VALU_DEP_1)
	v_add_nc_u32_e32 v29, 0xfffffa00, v28
	v_add_nc_u32_e32 v30, 0xfffffa20, v28
	v_add_nc_u32_e32 v31, 0xfffffa40, v28
	v_add_nc_u32_e32 v32, 0xfffffa60, v28
	v_add_nc_u32_e32 v33, 0xfffffa80, v28
	v_add_nc_u32_e32 v34, 0xfffffaa0, v28
	v_add_nc_u32_e32 v35, 0xfffffac0, v28
	v_add_nc_u32_e32 v36, 0xfffffae0, v28
	ds_store_b32 v29, v4
	ds_store_b32 v30, v3
	ds_store_b32 v31, v2
	ds_store_b32 v32, v1
	ds_store_b32 v33, v24
	ds_store_b32 v34, v23
	ds_store_b32 v35, v22
	ds_store_b32 v36, v21
	v_add_nc_u32_e32 v29, 0xfffffb00, v28
	v_add_nc_u32_e32 v30, 0xfffffb20, v28
	v_add_nc_u32_e32 v31, 0xfffffb40, v28
	v_add_nc_u32_e32 v32, 0xfffffb60, v28
	v_add_nc_u32_e32 v33, 0xfffffb80, v28
	v_add_nc_u32_e32 v34, 0xfffffba0, v28
	v_add_nc_u32_e32 v35, 0xfffffbc0, v28
	v_add_nc_u32_e32 v36, 0xfffffbe0, v28
	ds_store_b32 v29, v20
	ds_store_b32 v30, v19
	ds_store_b32 v31, v18
	ds_store_b32 v32, v17
	ds_store_b32 v33, v16
	ds_store_b32 v34, v15
	ds_store_b32 v35, v14
	ds_store_b32 v36, v13
	;; [unrolled: 16-line block ×3, first 2 shown]
.LBB124_80:
	s_wait_alu 0xfffe
	s_or_b32 exec_lo, exec_lo, s0
	v_lshlrev_b32_e32 v25, 2, v25
	v_and_b32_e32 v28, 3, v0
	s_mov_b32 s1, exec_lo
	s_wait_loadcnt_dscnt 0x0
	s_barrier_signal -1
	v_add3_u32 v25, 0x1a0, v27, v25
	v_cmp_eq_u32_e32 vcc_lo, 0, v28
	s_barrier_wait -1
	global_inv scope:SCOPE_SE
	v_cmpx_gt_u32_e32 64, v0
	s_cbranch_execz .LBB124_107
; %bb.81:
	s_and_saveexec_b32 s0, vcc_lo
	s_cbranch_execnz .LBB124_139
; %bb.82:
	s_wait_alu 0xfffe
	s_or_b32 exec_lo, exec_lo, s0
	s_and_saveexec_b32 s0, vcc_lo
	s_cbranch_execnz .LBB124_140
.LBB124_83:
	s_wait_alu 0xfffe
	s_or_b32 exec_lo, exec_lo, s0
	s_and_saveexec_b32 s0, vcc_lo
	s_cbranch_execnz .LBB124_141
.LBB124_84:
	s_wait_alu 0xfffe
	s_or_b32 exec_lo, exec_lo, s0
	s_and_saveexec_b32 s0, vcc_lo
	s_cbranch_execnz .LBB124_142
.LBB124_85:
	s_wait_alu 0xfffe
	s_or_b32 exec_lo, exec_lo, s0
	s_and_saveexec_b32 s0, vcc_lo
	s_cbranch_execnz .LBB124_143
.LBB124_86:
	s_wait_alu 0xfffe
	s_or_b32 exec_lo, exec_lo, s0
	s_and_saveexec_b32 s0, vcc_lo
	s_cbranch_execnz .LBB124_144
.LBB124_87:
	s_wait_alu 0xfffe
	s_or_b32 exec_lo, exec_lo, s0
	s_and_saveexec_b32 s0, vcc_lo
	s_cbranch_execnz .LBB124_145
.LBB124_88:
	s_wait_alu 0xfffe
	s_or_b32 exec_lo, exec_lo, s0
	s_and_saveexec_b32 s0, vcc_lo
	s_cbranch_execnz .LBB124_146
.LBB124_89:
	s_wait_alu 0xfffe
	s_or_b32 exec_lo, exec_lo, s0
	s_and_saveexec_b32 s0, vcc_lo
	s_cbranch_execnz .LBB124_147
.LBB124_90:
	s_wait_alu 0xfffe
	s_or_b32 exec_lo, exec_lo, s0
	s_and_saveexec_b32 s0, vcc_lo
	s_cbranch_execnz .LBB124_148
.LBB124_91:
	s_wait_alu 0xfffe
	s_or_b32 exec_lo, exec_lo, s0
	s_and_saveexec_b32 s0, vcc_lo
	s_cbranch_execnz .LBB124_149
.LBB124_92:
	s_wait_alu 0xfffe
	s_or_b32 exec_lo, exec_lo, s0
	s_and_saveexec_b32 s0, vcc_lo
	s_cbranch_execnz .LBB124_150
.LBB124_93:
	s_wait_alu 0xfffe
	s_or_b32 exec_lo, exec_lo, s0
	s_and_saveexec_b32 s0, vcc_lo
	s_cbranch_execnz .LBB124_151
.LBB124_94:
	s_wait_alu 0xfffe
	s_or_b32 exec_lo, exec_lo, s0
	s_and_saveexec_b32 s0, vcc_lo
	s_cbranch_execnz .LBB124_152
.LBB124_95:
	s_wait_alu 0xfffe
	s_or_b32 exec_lo, exec_lo, s0
	s_and_saveexec_b32 s0, vcc_lo
	s_cbranch_execnz .LBB124_153
.LBB124_96:
	s_wait_alu 0xfffe
	s_or_b32 exec_lo, exec_lo, s0
	s_and_saveexec_b32 s0, vcc_lo
	s_cbranch_execnz .LBB124_154
.LBB124_97:
	s_wait_alu 0xfffe
	s_or_b32 exec_lo, exec_lo, s0
	s_and_saveexec_b32 s0, vcc_lo
	s_cbranch_execnz .LBB124_155
.LBB124_98:
	s_wait_alu 0xfffe
	s_or_b32 exec_lo, exec_lo, s0
	s_and_saveexec_b32 s0, vcc_lo
	s_cbranch_execnz .LBB124_156
.LBB124_99:
	s_wait_alu 0xfffe
	s_or_b32 exec_lo, exec_lo, s0
	s_and_saveexec_b32 s0, vcc_lo
	s_cbranch_execnz .LBB124_157
.LBB124_100:
	s_wait_alu 0xfffe
	s_or_b32 exec_lo, exec_lo, s0
	s_and_saveexec_b32 s0, vcc_lo
	s_cbranch_execnz .LBB124_158
.LBB124_101:
	s_wait_alu 0xfffe
	s_or_b32 exec_lo, exec_lo, s0
	s_and_saveexec_b32 s0, vcc_lo
	s_cbranch_execnz .LBB124_159
.LBB124_102:
	s_wait_alu 0xfffe
	s_or_b32 exec_lo, exec_lo, s0
	s_and_saveexec_b32 s0, vcc_lo
	s_cbranch_execnz .LBB124_160
.LBB124_103:
	s_wait_alu 0xfffe
	s_or_b32 exec_lo, exec_lo, s0
	s_and_saveexec_b32 s0, vcc_lo
	s_cbranch_execnz .LBB124_161
.LBB124_104:
	s_wait_alu 0xfffe
	s_or_b32 exec_lo, exec_lo, s0
	s_and_saveexec_b32 s0, vcc_lo
	s_cbranch_execz .LBB124_106
.LBB124_105:
	ds_load_b32 v27, v25 offset:736
	s_wait_dscnt 0x0
	v_add_f32_e32 v10, v10, v27
.LBB124_106:
	s_wait_alu 0xfffe
	s_or_b32 exec_lo, exec_lo, s0
.LBB124_107:
	s_wait_alu 0xfffe
	s_or_b32 exec_lo, exec_lo, s1
	v_and_b32_e32 v27, 0x3e3, v0
	s_mov_b32 s1, exec_lo
	s_wait_loadcnt 0x0
	s_barrier_signal -1
	s_barrier_wait -1
	global_inv scope:SCOPE_SE
	v_cmpx_eq_u32_e32 32, v27
	s_cbranch_execz .LBB124_109
; %bb.108:
	ds_store_2addr_b32 v26, v4, v3 offset1:8
	ds_store_2addr_b32 v26, v2, v1 offset0:16 offset1:24
	ds_store_2addr_b32 v26, v24, v23 offset0:32 offset1:40
	;; [unrolled: 1-line block ×11, first 2 shown]
.LBB124_109:
	s_wait_alu 0xfffe
	s_or_b32 exec_lo, exec_lo, s1
	s_delay_alu instid0(SALU_CYCLE_1)
	s_mov_b32 s1, exec_lo
	s_wait_loadcnt_dscnt 0x0
	s_barrier_signal -1
	s_barrier_wait -1
	global_inv scope:SCOPE_SE
	v_cmpx_gt_u32_e32 32, v0
	s_cbranch_execz .LBB124_136
; %bb.110:
	s_and_saveexec_b32 s0, vcc_lo
	s_cbranch_execnz .LBB124_162
; %bb.111:
	s_wait_alu 0xfffe
	s_or_b32 exec_lo, exec_lo, s0
	s_and_saveexec_b32 s0, vcc_lo
	s_cbranch_execnz .LBB124_163
.LBB124_112:
	s_wait_alu 0xfffe
	s_or_b32 exec_lo, exec_lo, s0
	s_and_saveexec_b32 s0, vcc_lo
	s_cbranch_execnz .LBB124_164
.LBB124_113:
	s_wait_alu 0xfffe
	s_or_b32 exec_lo, exec_lo, s0
	s_and_saveexec_b32 s0, vcc_lo
	s_cbranch_execnz .LBB124_165
.LBB124_114:
	s_wait_alu 0xfffe
	s_or_b32 exec_lo, exec_lo, s0
	s_and_saveexec_b32 s0, vcc_lo
	s_cbranch_execnz .LBB124_166
.LBB124_115:
	s_wait_alu 0xfffe
	s_or_b32 exec_lo, exec_lo, s0
	s_and_saveexec_b32 s0, vcc_lo
	s_cbranch_execnz .LBB124_167
.LBB124_116:
	s_wait_alu 0xfffe
	s_or_b32 exec_lo, exec_lo, s0
	s_and_saveexec_b32 s0, vcc_lo
	s_cbranch_execnz .LBB124_168
.LBB124_117:
	s_wait_alu 0xfffe
	s_or_b32 exec_lo, exec_lo, s0
	s_and_saveexec_b32 s0, vcc_lo
	s_cbranch_execnz .LBB124_169
.LBB124_118:
	s_wait_alu 0xfffe
	s_or_b32 exec_lo, exec_lo, s0
	s_and_saveexec_b32 s0, vcc_lo
	s_cbranch_execnz .LBB124_170
.LBB124_119:
	s_wait_alu 0xfffe
	s_or_b32 exec_lo, exec_lo, s0
	s_and_saveexec_b32 s0, vcc_lo
	s_cbranch_execnz .LBB124_171
.LBB124_120:
	s_wait_alu 0xfffe
	s_or_b32 exec_lo, exec_lo, s0
	s_and_saveexec_b32 s0, vcc_lo
	s_cbranch_execnz .LBB124_172
.LBB124_121:
	s_wait_alu 0xfffe
	s_or_b32 exec_lo, exec_lo, s0
	s_and_saveexec_b32 s0, vcc_lo
	s_cbranch_execnz .LBB124_173
.LBB124_122:
	s_wait_alu 0xfffe
	s_or_b32 exec_lo, exec_lo, s0
	s_and_saveexec_b32 s0, vcc_lo
	s_cbranch_execnz .LBB124_174
.LBB124_123:
	s_wait_alu 0xfffe
	s_or_b32 exec_lo, exec_lo, s0
	s_and_saveexec_b32 s0, vcc_lo
	s_cbranch_execnz .LBB124_175
.LBB124_124:
	s_wait_alu 0xfffe
	s_or_b32 exec_lo, exec_lo, s0
	s_and_saveexec_b32 s0, vcc_lo
	s_cbranch_execnz .LBB124_176
.LBB124_125:
	s_wait_alu 0xfffe
	s_or_b32 exec_lo, exec_lo, s0
	s_and_saveexec_b32 s0, vcc_lo
	s_cbranch_execnz .LBB124_177
.LBB124_126:
	s_wait_alu 0xfffe
	s_or_b32 exec_lo, exec_lo, s0
	s_and_saveexec_b32 s0, vcc_lo
	s_cbranch_execnz .LBB124_178
.LBB124_127:
	s_wait_alu 0xfffe
	s_or_b32 exec_lo, exec_lo, s0
	s_and_saveexec_b32 s0, vcc_lo
	s_cbranch_execnz .LBB124_179
.LBB124_128:
	s_wait_alu 0xfffe
	s_or_b32 exec_lo, exec_lo, s0
	s_and_saveexec_b32 s0, vcc_lo
	s_cbranch_execnz .LBB124_180
.LBB124_129:
	s_wait_alu 0xfffe
	s_or_b32 exec_lo, exec_lo, s0
	s_and_saveexec_b32 s0, vcc_lo
	s_cbranch_execnz .LBB124_181
.LBB124_130:
	s_wait_alu 0xfffe
	s_or_b32 exec_lo, exec_lo, s0
	s_and_saveexec_b32 s0, vcc_lo
	s_cbranch_execnz .LBB124_182
.LBB124_131:
	s_wait_alu 0xfffe
	s_or_b32 exec_lo, exec_lo, s0
	s_and_saveexec_b32 s0, vcc_lo
	s_cbranch_execnz .LBB124_183
.LBB124_132:
	s_wait_alu 0xfffe
	s_or_b32 exec_lo, exec_lo, s0
	s_and_saveexec_b32 s0, vcc_lo
	s_cbranch_execnz .LBB124_184
.LBB124_133:
	s_wait_alu 0xfffe
	s_or_b32 exec_lo, exec_lo, s0
	s_and_saveexec_b32 s0, vcc_lo
	s_cbranch_execz .LBB124_135
.LBB124_134:
	ds_load_b32 v25, v25 offset:736
	s_wait_dscnt 0x0
	v_add_f32_e32 v10, v10, v25
.LBB124_135:
	s_wait_alu 0xfffe
	s_or_b32 exec_lo, exec_lo, s0
.LBB124_136:
	s_wait_alu 0xfffe
	s_or_b32 exec_lo, exec_lo, s1
	s_mov_b32 s1, 0
	s_wait_loadcnt 0x0
	s_barrier_signal -1
	s_barrier_wait -1
	global_inv scope:SCOPE_SE
	s_mov_b32 s0, exec_lo
	v_cmpx_eq_u32_e32 0, v27
	s_cbranch_execz .LBB124_138
; %bb.137:
	s_mul_i32 s2, s20, 0xc0
	s_wait_kmcnt 0x0
	s_mul_i32 s4, s8, s12
	s_wait_alu 0xfffe
	s_ashr_i32 s3, s2, 31
	s_ashr_i32 s5, s4, 31
	s_wait_alu 0xfffe
	s_lshl_b64 s[2:3], s[2:3], 1
	s_lshl_b64 s[4:5], s[4:5], 1
	s_wait_alu 0xfffe
	s_add_nc_u64 s[2:3], s[18:19], s[2:3]
	v_lshrrev_b32_e32 v0, 1, v0
	s_mul_i32 s0, s24, 0x180
	s_wait_alu 0xfffe
	s_add_nc_u64 s[2:3], s[2:3], s[4:5]
	;;#ASMSTART
	v_cvt_f16_f32 v4, v4;

	;;#ASMEND
	s_wait_alu 0xfffe
	s_add_nc_u64 s[0:1], s[2:3], s[0:1]
	global_store_b16 v0, v4, s[0:1]
	;;#ASMSTART
	v_cvt_f16_f32 v3, v3;

	;;#ASMEND
	global_store_b16 v0, v3, s[0:1] offset:16
	;;#ASMSTART
	v_cvt_f16_f32 v2, v2;

	;;#ASMEND
	global_store_b16 v0, v2, s[0:1] offset:32
	;; [unrolled: 5-line block ×23, first 2 shown]
.LBB124_138:
	s_nop 0
	s_sendmsg sendmsg(MSG_DEALLOC_VGPRS)
	s_endpgm
.LBB124_139:
	ds_load_b32 v27, v25
	s_wait_dscnt 0x0
	v_add_f32_e32 v4, v4, v27
	s_wait_alu 0xfffe
	s_or_b32 exec_lo, exec_lo, s0
	s_and_saveexec_b32 s0, vcc_lo
	s_cbranch_execz .LBB124_83
.LBB124_140:
	ds_load_b32 v27, v25 offset:32
	s_wait_dscnt 0x0
	v_add_f32_e32 v3, v3, v27
	s_wait_alu 0xfffe
	s_or_b32 exec_lo, exec_lo, s0
	s_and_saveexec_b32 s0, vcc_lo
	s_cbranch_execz .LBB124_84
.LBB124_141:
	ds_load_b32 v27, v25 offset:64
	s_wait_dscnt 0x0
	v_add_f32_e32 v2, v2, v27
	s_wait_alu 0xfffe
	s_or_b32 exec_lo, exec_lo, s0
	s_and_saveexec_b32 s0, vcc_lo
	s_cbranch_execz .LBB124_85
.LBB124_142:
	ds_load_b32 v27, v25 offset:96
	s_wait_dscnt 0x0
	v_add_f32_e32 v1, v1, v27
	s_wait_alu 0xfffe
	s_or_b32 exec_lo, exec_lo, s0
	s_and_saveexec_b32 s0, vcc_lo
	s_cbranch_execz .LBB124_86
.LBB124_143:
	ds_load_b32 v27, v25 offset:128
	s_wait_dscnt 0x0
	v_add_f32_e32 v24, v24, v27
	s_wait_alu 0xfffe
	s_or_b32 exec_lo, exec_lo, s0
	s_and_saveexec_b32 s0, vcc_lo
	s_cbranch_execz .LBB124_87
.LBB124_144:
	ds_load_b32 v27, v25 offset:160
	s_wait_dscnt 0x0
	v_add_f32_e32 v23, v23, v27
	s_wait_alu 0xfffe
	s_or_b32 exec_lo, exec_lo, s0
	s_and_saveexec_b32 s0, vcc_lo
	s_cbranch_execz .LBB124_88
.LBB124_145:
	ds_load_b32 v27, v25 offset:192
	s_wait_dscnt 0x0
	v_add_f32_e32 v22, v22, v27
	s_wait_alu 0xfffe
	s_or_b32 exec_lo, exec_lo, s0
	s_and_saveexec_b32 s0, vcc_lo
	s_cbranch_execz .LBB124_89
.LBB124_146:
	ds_load_b32 v27, v25 offset:224
	s_wait_dscnt 0x0
	v_add_f32_e32 v21, v21, v27
	s_wait_alu 0xfffe
	s_or_b32 exec_lo, exec_lo, s0
	s_and_saveexec_b32 s0, vcc_lo
	s_cbranch_execz .LBB124_90
.LBB124_147:
	ds_load_b32 v27, v25 offset:256
	s_wait_dscnt 0x0
	v_add_f32_e32 v20, v20, v27
	s_wait_alu 0xfffe
	s_or_b32 exec_lo, exec_lo, s0
	s_and_saveexec_b32 s0, vcc_lo
	s_cbranch_execz .LBB124_91
.LBB124_148:
	ds_load_b32 v27, v25 offset:288
	s_wait_dscnt 0x0
	v_add_f32_e32 v19, v19, v27
	s_wait_alu 0xfffe
	s_or_b32 exec_lo, exec_lo, s0
	s_and_saveexec_b32 s0, vcc_lo
	s_cbranch_execz .LBB124_92
.LBB124_149:
	ds_load_b32 v27, v25 offset:320
	s_wait_dscnt 0x0
	v_add_f32_e32 v18, v18, v27
	s_wait_alu 0xfffe
	s_or_b32 exec_lo, exec_lo, s0
	s_and_saveexec_b32 s0, vcc_lo
	s_cbranch_execz .LBB124_93
.LBB124_150:
	ds_load_b32 v27, v25 offset:352
	s_wait_dscnt 0x0
	v_add_f32_e32 v17, v17, v27
	s_wait_alu 0xfffe
	s_or_b32 exec_lo, exec_lo, s0
	s_and_saveexec_b32 s0, vcc_lo
	s_cbranch_execz .LBB124_94
.LBB124_151:
	ds_load_b32 v27, v25 offset:384
	s_wait_dscnt 0x0
	v_add_f32_e32 v16, v16, v27
	s_wait_alu 0xfffe
	s_or_b32 exec_lo, exec_lo, s0
	s_and_saveexec_b32 s0, vcc_lo
	s_cbranch_execz .LBB124_95
.LBB124_152:
	ds_load_b32 v27, v25 offset:416
	s_wait_dscnt 0x0
	v_add_f32_e32 v15, v15, v27
	s_wait_alu 0xfffe
	s_or_b32 exec_lo, exec_lo, s0
	s_and_saveexec_b32 s0, vcc_lo
	s_cbranch_execz .LBB124_96
.LBB124_153:
	ds_load_b32 v27, v25 offset:448
	s_wait_dscnt 0x0
	v_add_f32_e32 v14, v14, v27
	s_wait_alu 0xfffe
	s_or_b32 exec_lo, exec_lo, s0
	s_and_saveexec_b32 s0, vcc_lo
	s_cbranch_execz .LBB124_97
.LBB124_154:
	ds_load_b32 v27, v25 offset:480
	s_wait_dscnt 0x0
	v_add_f32_e32 v13, v13, v27
	s_wait_alu 0xfffe
	s_or_b32 exec_lo, exec_lo, s0
	s_and_saveexec_b32 s0, vcc_lo
	s_cbranch_execz .LBB124_98
.LBB124_155:
	ds_load_b32 v27, v25 offset:512
	s_wait_dscnt 0x0
	v_add_f32_e32 v12, v12, v27
	s_wait_alu 0xfffe
	s_or_b32 exec_lo, exec_lo, s0
	s_and_saveexec_b32 s0, vcc_lo
	s_cbranch_execz .LBB124_99
.LBB124_156:
	ds_load_b32 v27, v25 offset:544
	s_wait_dscnt 0x0
	v_add_f32_e32 v11, v11, v27
	s_wait_alu 0xfffe
	s_or_b32 exec_lo, exec_lo, s0
	s_and_saveexec_b32 s0, vcc_lo
	s_cbranch_execz .LBB124_100
.LBB124_157:
	ds_load_b32 v27, v25 offset:576
	s_wait_dscnt 0x0
	v_add_f32_e32 v9, v9, v27
	s_wait_alu 0xfffe
	s_or_b32 exec_lo, exec_lo, s0
	s_and_saveexec_b32 s0, vcc_lo
	s_cbranch_execz .LBB124_101
.LBB124_158:
	ds_load_b32 v27, v25 offset:608
	s_wait_dscnt 0x0
	v_add_f32_e32 v7, v7, v27
	s_wait_alu 0xfffe
	s_or_b32 exec_lo, exec_lo, s0
	s_and_saveexec_b32 s0, vcc_lo
	s_cbranch_execz .LBB124_102
.LBB124_159:
	ds_load_b32 v27, v25 offset:640
	s_wait_dscnt 0x0
	v_add_f32_e32 v6, v6, v27
	s_wait_alu 0xfffe
	s_or_b32 exec_lo, exec_lo, s0
	s_and_saveexec_b32 s0, vcc_lo
	s_cbranch_execz .LBB124_103
.LBB124_160:
	ds_load_b32 v27, v25 offset:672
	s_wait_dscnt 0x0
	v_add_f32_e32 v5, v5, v27
	s_wait_alu 0xfffe
	s_or_b32 exec_lo, exec_lo, s0
	s_and_saveexec_b32 s0, vcc_lo
	s_cbranch_execz .LBB124_104
.LBB124_161:
	ds_load_b32 v27, v25 offset:704
	s_wait_dscnt 0x0
	v_add_f32_e32 v8, v8, v27
	s_wait_alu 0xfffe
	s_or_b32 exec_lo, exec_lo, s0
	s_and_saveexec_b32 s0, vcc_lo
	s_cbranch_execnz .LBB124_105
	s_branch .LBB124_106
.LBB124_162:
	ds_load_b32 v26, v25
	s_wait_dscnt 0x0
	v_add_f32_e32 v4, v4, v26
	s_wait_alu 0xfffe
	s_or_b32 exec_lo, exec_lo, s0
	s_and_saveexec_b32 s0, vcc_lo
	s_cbranch_execz .LBB124_112
.LBB124_163:
	ds_load_b32 v26, v25 offset:32
	s_wait_dscnt 0x0
	v_add_f32_e32 v3, v3, v26
	s_wait_alu 0xfffe
	s_or_b32 exec_lo, exec_lo, s0
	s_and_saveexec_b32 s0, vcc_lo
	s_cbranch_execz .LBB124_113
.LBB124_164:
	ds_load_b32 v26, v25 offset:64
	s_wait_dscnt 0x0
	v_add_f32_e32 v2, v2, v26
	s_wait_alu 0xfffe
	s_or_b32 exec_lo, exec_lo, s0
	s_and_saveexec_b32 s0, vcc_lo
	s_cbranch_execz .LBB124_114
.LBB124_165:
	ds_load_b32 v26, v25 offset:96
	s_wait_dscnt 0x0
	v_add_f32_e32 v1, v1, v26
	s_wait_alu 0xfffe
	s_or_b32 exec_lo, exec_lo, s0
	s_and_saveexec_b32 s0, vcc_lo
	s_cbranch_execz .LBB124_115
.LBB124_166:
	ds_load_b32 v26, v25 offset:128
	s_wait_dscnt 0x0
	v_add_f32_e32 v24, v24, v26
	s_wait_alu 0xfffe
	s_or_b32 exec_lo, exec_lo, s0
	s_and_saveexec_b32 s0, vcc_lo
	s_cbranch_execz .LBB124_116
.LBB124_167:
	ds_load_b32 v26, v25 offset:160
	s_wait_dscnt 0x0
	v_add_f32_e32 v23, v23, v26
	s_wait_alu 0xfffe
	s_or_b32 exec_lo, exec_lo, s0
	s_and_saveexec_b32 s0, vcc_lo
	s_cbranch_execz .LBB124_117
.LBB124_168:
	ds_load_b32 v26, v25 offset:192
	s_wait_dscnt 0x0
	v_add_f32_e32 v22, v22, v26
	s_wait_alu 0xfffe
	s_or_b32 exec_lo, exec_lo, s0
	s_and_saveexec_b32 s0, vcc_lo
	s_cbranch_execz .LBB124_118
.LBB124_169:
	ds_load_b32 v26, v25 offset:224
	s_wait_dscnt 0x0
	v_add_f32_e32 v21, v21, v26
	s_wait_alu 0xfffe
	s_or_b32 exec_lo, exec_lo, s0
	s_and_saveexec_b32 s0, vcc_lo
	s_cbranch_execz .LBB124_119
.LBB124_170:
	ds_load_b32 v26, v25 offset:256
	s_wait_dscnt 0x0
	v_add_f32_e32 v20, v20, v26
	s_wait_alu 0xfffe
	s_or_b32 exec_lo, exec_lo, s0
	s_and_saveexec_b32 s0, vcc_lo
	s_cbranch_execz .LBB124_120
.LBB124_171:
	ds_load_b32 v26, v25 offset:288
	s_wait_dscnt 0x0
	v_add_f32_e32 v19, v19, v26
	s_wait_alu 0xfffe
	s_or_b32 exec_lo, exec_lo, s0
	s_and_saveexec_b32 s0, vcc_lo
	s_cbranch_execz .LBB124_121
.LBB124_172:
	ds_load_b32 v26, v25 offset:320
	s_wait_dscnt 0x0
	v_add_f32_e32 v18, v18, v26
	s_wait_alu 0xfffe
	s_or_b32 exec_lo, exec_lo, s0
	s_and_saveexec_b32 s0, vcc_lo
	s_cbranch_execz .LBB124_122
.LBB124_173:
	ds_load_b32 v26, v25 offset:352
	s_wait_dscnt 0x0
	v_add_f32_e32 v17, v17, v26
	s_wait_alu 0xfffe
	s_or_b32 exec_lo, exec_lo, s0
	s_and_saveexec_b32 s0, vcc_lo
	s_cbranch_execz .LBB124_123
.LBB124_174:
	ds_load_b32 v26, v25 offset:384
	s_wait_dscnt 0x0
	v_add_f32_e32 v16, v16, v26
	s_wait_alu 0xfffe
	s_or_b32 exec_lo, exec_lo, s0
	s_and_saveexec_b32 s0, vcc_lo
	s_cbranch_execz .LBB124_124
.LBB124_175:
	ds_load_b32 v26, v25 offset:416
	s_wait_dscnt 0x0
	v_add_f32_e32 v15, v15, v26
	s_wait_alu 0xfffe
	s_or_b32 exec_lo, exec_lo, s0
	s_and_saveexec_b32 s0, vcc_lo
	s_cbranch_execz .LBB124_125
.LBB124_176:
	ds_load_b32 v26, v25 offset:448
	s_wait_dscnt 0x0
	v_add_f32_e32 v14, v14, v26
	s_wait_alu 0xfffe
	s_or_b32 exec_lo, exec_lo, s0
	s_and_saveexec_b32 s0, vcc_lo
	s_cbranch_execz .LBB124_126
.LBB124_177:
	ds_load_b32 v26, v25 offset:480
	s_wait_dscnt 0x0
	v_add_f32_e32 v13, v13, v26
	s_wait_alu 0xfffe
	s_or_b32 exec_lo, exec_lo, s0
	s_and_saveexec_b32 s0, vcc_lo
	s_cbranch_execz .LBB124_127
.LBB124_178:
	ds_load_b32 v26, v25 offset:512
	s_wait_dscnt 0x0
	v_add_f32_e32 v12, v12, v26
	s_wait_alu 0xfffe
	s_or_b32 exec_lo, exec_lo, s0
	s_and_saveexec_b32 s0, vcc_lo
	s_cbranch_execz .LBB124_128
.LBB124_179:
	ds_load_b32 v26, v25 offset:544
	s_wait_dscnt 0x0
	v_add_f32_e32 v11, v11, v26
	s_wait_alu 0xfffe
	s_or_b32 exec_lo, exec_lo, s0
	s_and_saveexec_b32 s0, vcc_lo
	s_cbranch_execz .LBB124_129
.LBB124_180:
	ds_load_b32 v26, v25 offset:576
	s_wait_dscnt 0x0
	v_add_f32_e32 v9, v9, v26
	s_wait_alu 0xfffe
	s_or_b32 exec_lo, exec_lo, s0
	s_and_saveexec_b32 s0, vcc_lo
	s_cbranch_execz .LBB124_130
.LBB124_181:
	ds_load_b32 v26, v25 offset:608
	s_wait_dscnt 0x0
	v_add_f32_e32 v7, v7, v26
	s_wait_alu 0xfffe
	s_or_b32 exec_lo, exec_lo, s0
	s_and_saveexec_b32 s0, vcc_lo
	s_cbranch_execz .LBB124_131
.LBB124_182:
	ds_load_b32 v26, v25 offset:640
	s_wait_dscnt 0x0
	v_add_f32_e32 v6, v6, v26
	s_wait_alu 0xfffe
	s_or_b32 exec_lo, exec_lo, s0
	s_and_saveexec_b32 s0, vcc_lo
	s_cbranch_execz .LBB124_132
.LBB124_183:
	ds_load_b32 v26, v25 offset:672
	s_wait_dscnt 0x0
	v_add_f32_e32 v5, v5, v26
	s_wait_alu 0xfffe
	s_or_b32 exec_lo, exec_lo, s0
	s_and_saveexec_b32 s0, vcc_lo
	s_cbranch_execz .LBB124_133
.LBB124_184:
	ds_load_b32 v26, v25 offset:704
	s_wait_dscnt 0x0
	v_add_f32_e32 v8, v8, v26
	s_wait_alu 0xfffe
	s_or_b32 exec_lo, exec_lo, s0
	s_and_saveexec_b32 s0, vcc_lo
	s_cbranch_execnz .LBB124_134
	s_branch .LBB124_135
	.section	.rodata,"a",@progbits
	.p2align	6, 0x0
	.amdhsa_kernel _ZN4vllm25paged_attention_v2_kernelIttLi192ELi32ELi128ELNS_18Fp8KVCacheDataTypeE0ELb0ELi512EEEvPfS2_PT_PKS3_PKT0_S9_ifPKiSB_iPKfiiiSD_SD_iiiii
		.amdhsa_group_segment_fixed_size 416
		.amdhsa_private_segment_fixed_size 0
		.amdhsa_kernarg_size 400
		.amdhsa_user_sgpr_count 2
		.amdhsa_user_sgpr_dispatch_ptr 0
		.amdhsa_user_sgpr_queue_ptr 0
		.amdhsa_user_sgpr_kernarg_segment_ptr 1
		.amdhsa_user_sgpr_dispatch_id 0
		.amdhsa_user_sgpr_private_segment_size 0
		.amdhsa_wavefront_size32 1
		.amdhsa_uses_dynamic_stack 0
		.amdhsa_enable_private_segment 0
		.amdhsa_system_sgpr_workgroup_id_x 1
		.amdhsa_system_sgpr_workgroup_id_y 1
		.amdhsa_system_sgpr_workgroup_id_z 1
		.amdhsa_system_sgpr_workgroup_info 0
		.amdhsa_system_vgpr_workitem_id 0
		.amdhsa_next_free_vgpr 130
		.amdhsa_next_free_sgpr 32
		.amdhsa_reserve_vcc 1
		.amdhsa_float_round_mode_32 0
		.amdhsa_float_round_mode_16_64 0
		.amdhsa_float_denorm_mode_32 3
		.amdhsa_float_denorm_mode_16_64 3
		.amdhsa_fp16_overflow 0
		.amdhsa_workgroup_processor_mode 1
		.amdhsa_memory_ordered 1
		.amdhsa_forward_progress 1
		.amdhsa_inst_pref_size 144
		.amdhsa_round_robin_scheduling 0
		.amdhsa_exception_fp_ieee_invalid_op 0
		.amdhsa_exception_fp_denorm_src 0
		.amdhsa_exception_fp_ieee_div_zero 0
		.amdhsa_exception_fp_ieee_overflow 0
		.amdhsa_exception_fp_ieee_underflow 0
		.amdhsa_exception_fp_ieee_inexact 0
		.amdhsa_exception_int_div_zero 0
	.end_amdhsa_kernel
	.section	.text._ZN4vllm25paged_attention_v2_kernelIttLi192ELi32ELi128ELNS_18Fp8KVCacheDataTypeE0ELb0ELi512EEEvPfS2_PT_PKS3_PKT0_S9_ifPKiSB_iPKfiiiSD_SD_iiiii,"axG",@progbits,_ZN4vllm25paged_attention_v2_kernelIttLi192ELi32ELi128ELNS_18Fp8KVCacheDataTypeE0ELb0ELi512EEEvPfS2_PT_PKS3_PKT0_S9_ifPKiSB_iPKfiiiSD_SD_iiiii,comdat
.Lfunc_end124:
	.size	_ZN4vllm25paged_attention_v2_kernelIttLi192ELi32ELi128ELNS_18Fp8KVCacheDataTypeE0ELb0ELi512EEEvPfS2_PT_PKS3_PKT0_S9_ifPKiSB_iPKfiiiSD_SD_iiiii, .Lfunc_end124-_ZN4vllm25paged_attention_v2_kernelIttLi192ELi32ELi128ELNS_18Fp8KVCacheDataTypeE0ELb0ELi512EEEvPfS2_PT_PKS3_PKT0_S9_ifPKiSB_iPKfiiiSD_SD_iiiii
                                        ; -- End function
	.set _ZN4vllm25paged_attention_v2_kernelIttLi192ELi32ELi128ELNS_18Fp8KVCacheDataTypeE0ELb0ELi512EEEvPfS2_PT_PKS3_PKT0_S9_ifPKiSB_iPKfiiiSD_SD_iiiii.num_vgpr, 130
	.set _ZN4vllm25paged_attention_v2_kernelIttLi192ELi32ELi128ELNS_18Fp8KVCacheDataTypeE0ELb0ELi512EEEvPfS2_PT_PKS3_PKT0_S9_ifPKiSB_iPKfiiiSD_SD_iiiii.num_agpr, 0
	.set _ZN4vllm25paged_attention_v2_kernelIttLi192ELi32ELi128ELNS_18Fp8KVCacheDataTypeE0ELb0ELi512EEEvPfS2_PT_PKS3_PKT0_S9_ifPKiSB_iPKfiiiSD_SD_iiiii.numbered_sgpr, 32
	.set _ZN4vllm25paged_attention_v2_kernelIttLi192ELi32ELi128ELNS_18Fp8KVCacheDataTypeE0ELb0ELi512EEEvPfS2_PT_PKS3_PKT0_S9_ifPKiSB_iPKfiiiSD_SD_iiiii.num_named_barrier, 0
	.set _ZN4vllm25paged_attention_v2_kernelIttLi192ELi32ELi128ELNS_18Fp8KVCacheDataTypeE0ELb0ELi512EEEvPfS2_PT_PKS3_PKT0_S9_ifPKiSB_iPKfiiiSD_SD_iiiii.private_seg_size, 0
	.set _ZN4vllm25paged_attention_v2_kernelIttLi192ELi32ELi128ELNS_18Fp8KVCacheDataTypeE0ELb0ELi512EEEvPfS2_PT_PKS3_PKT0_S9_ifPKiSB_iPKfiiiSD_SD_iiiii.uses_vcc, 1
	.set _ZN4vllm25paged_attention_v2_kernelIttLi192ELi32ELi128ELNS_18Fp8KVCacheDataTypeE0ELb0ELi512EEEvPfS2_PT_PKS3_PKT0_S9_ifPKiSB_iPKfiiiSD_SD_iiiii.uses_flat_scratch, 0
	.set _ZN4vllm25paged_attention_v2_kernelIttLi192ELi32ELi128ELNS_18Fp8KVCacheDataTypeE0ELb0ELi512EEEvPfS2_PT_PKS3_PKT0_S9_ifPKiSB_iPKfiiiSD_SD_iiiii.has_dyn_sized_stack, 0
	.set _ZN4vllm25paged_attention_v2_kernelIttLi192ELi32ELi128ELNS_18Fp8KVCacheDataTypeE0ELb0ELi512EEEvPfS2_PT_PKS3_PKT0_S9_ifPKiSB_iPKfiiiSD_SD_iiiii.has_recursion, 0
	.set _ZN4vllm25paged_attention_v2_kernelIttLi192ELi32ELi128ELNS_18Fp8KVCacheDataTypeE0ELb0ELi512EEEvPfS2_PT_PKS3_PKT0_S9_ifPKiSB_iPKfiiiSD_SD_iiiii.has_indirect_call, 0
	.section	.AMDGPU.csdata,"",@progbits
; Kernel info:
; codeLenInByte = 18372
; TotalNumSgprs: 34
; NumVgprs: 130
; ScratchSize: 0
; MemoryBound: 0
; FloatMode: 240
; IeeeMode: 1
; LDSByteSize: 416 bytes/workgroup (compile time only)
; SGPRBlocks: 0
; VGPRBlocks: 16
; NumSGPRsForWavesPerEU: 34
; NumVGPRsForWavesPerEU: 130
; Occupancy: 10
; WaveLimiterHint : 1
; COMPUTE_PGM_RSRC2:SCRATCH_EN: 0
; COMPUTE_PGM_RSRC2:USER_SGPR: 2
; COMPUTE_PGM_RSRC2:TRAP_HANDLER: 0
; COMPUTE_PGM_RSRC2:TGID_X_EN: 1
; COMPUTE_PGM_RSRC2:TGID_Y_EN: 1
; COMPUTE_PGM_RSRC2:TGID_Z_EN: 1
; COMPUTE_PGM_RSRC2:TIDIG_COMP_CNT: 0
	.section	.text._ZN4vllm25paged_attention_v2_kernelIttLi256ELi32ELi128ELNS_18Fp8KVCacheDataTypeE0ELb0ELi512EEEvPfS2_PT_PKS3_PKT0_S9_ifPKiSB_iPKfiiiSD_SD_iiiii,"axG",@progbits,_ZN4vllm25paged_attention_v2_kernelIttLi256ELi32ELi128ELNS_18Fp8KVCacheDataTypeE0ELb0ELi512EEEvPfS2_PT_PKS3_PKT0_S9_ifPKiSB_iPKfiiiSD_SD_iiiii,comdat
	.protected	_ZN4vllm25paged_attention_v2_kernelIttLi256ELi32ELi128ELNS_18Fp8KVCacheDataTypeE0ELb0ELi512EEEvPfS2_PT_PKS3_PKT0_S9_ifPKiSB_iPKfiiiSD_SD_iiiii ; -- Begin function _ZN4vllm25paged_attention_v2_kernelIttLi256ELi32ELi128ELNS_18Fp8KVCacheDataTypeE0ELb0ELi512EEEvPfS2_PT_PKS3_PKT0_S9_ifPKiSB_iPKfiiiSD_SD_iiiii
	.globl	_ZN4vllm25paged_attention_v2_kernelIttLi256ELi32ELi128ELNS_18Fp8KVCacheDataTypeE0ELb0ELi512EEEvPfS2_PT_PKS3_PKT0_S9_ifPKiSB_iPKfiiiSD_SD_iiiii
	.p2align	8
	.type	_ZN4vllm25paged_attention_v2_kernelIttLi256ELi32ELi128ELNS_18Fp8KVCacheDataTypeE0ELb0ELi512EEEvPfS2_PT_PKS3_PKT0_S9_ifPKiSB_iPKfiiiSD_SD_iiiii,@function
_ZN4vllm25paged_attention_v2_kernelIttLi256ELi32ELi128ELNS_18Fp8KVCacheDataTypeE0ELb0ELi512EEEvPfS2_PT_PKS3_PKT0_S9_ifPKiSB_iPKfiiiSD_SD_iiiii: ; @_ZN4vllm25paged_attention_v2_kernelIttLi256ELi32ELi128ELNS_18Fp8KVCacheDataTypeE0ELb0ELi512EEEvPfS2_PT_PKS3_PKT0_S9_ifPKiSB_iPKfiiiSD_SD_iiiii
; %bb.0:
	s_load_b64 s[2:3], s[0:1], 0x40
	s_and_b32 s22, ttmp7, 0xffff
	s_lshr_b32 s27, ttmp7, 16
	s_lshl_b32 s4, s22, 2
	s_lshl_b32 s12, s27, 9
	s_wait_kmcnt 0x0
	s_load_b32 s13, s[2:3], s4 offset:0x0
	s_wait_kmcnt 0x0
	s_cmp_ge_i32 s12, s13
	s_cbranch_scc1 .LBB125_170
; %bb.1:
	s_clause 0x1
	s_load_b32 s23, s[0:1], 0x90
	s_load_b64 s[8:9], s[0:1], 0x30
	s_mov_b32 s11, 0
	s_wait_kmcnt 0x0
	s_abs_i32 s5, s23
	s_abs_i32 s2, s8
	s_delay_alu instid0(SALU_CYCLE_1) | instskip(SKIP_1) | instid1(SALU_CYCLE_2)
	s_cvt_f32_u32 s3, s2
	s_sub_co_i32 s4, 0, s2
	v_rcp_iflag_f32_e32 v1, s3
	s_delay_alu instid0(TRANS32_DEP_1) | instskip(SKIP_2) | instid1(SALU_CYCLE_2)
	v_readfirstlane_b32 s3, v1
	s_mul_f32 s3, s3, 0x4f7ffffe
	s_wait_alu 0xfffe
	s_cvt_u32_f32 s3, s3
	s_wait_alu 0xfffe
	s_delay_alu instid0(SALU_CYCLE_2) | instskip(NEXT) | instid1(SALU_CYCLE_1)
	s_mul_i32 s4, s4, s3
	s_mul_hi_u32 s4, s3, s4
	s_delay_alu instid0(SALU_CYCLE_1)
	s_add_co_i32 s3, s3, s4
	s_xor_b32 s4, s23, s8
	s_wait_alu 0xfffe
	s_mul_hi_u32 s3, s5, s3
	s_ashr_i32 s4, s4, 31
	s_wait_alu 0xfffe
	s_mul_i32 s6, s3, s2
	s_mov_b32 s8, s11
	s_sub_co_i32 s5, s5, s6
	s_add_co_i32 s6, s3, 1
	s_sub_co_i32 s7, s5, s2
	s_cmp_ge_u32 s5, s2
	s_cselect_b32 s3, s6, s3
	s_cselect_b32 s5, s7, s5
	s_wait_alu 0xfffe
	s_add_co_i32 s6, s3, 1
	s_cmp_ge_u32 s5, s2
	s_cselect_b32 s2, s6, s3
	s_abs_i32 s10, ttmp9
	s_wait_alu 0xfffe
	s_xor_b32 s2, s2, s4
	s_wait_alu 0xfffe
	s_sub_co_i32 s14, s2, s4
	s_load_b64 s[4:5], s[0:1], 0x50
	s_abs_i32 s7, s14
	s_delay_alu instid0(SALU_CYCLE_1) | instskip(SKIP_2) | instid1(SALU_CYCLE_1)
	s_cvt_f32_u32 s2, s7
	s_sub_co_i32 s3, 0, s7
	s_wait_alu 0xfffe
	v_rcp_iflag_f32_e32 v1, s2
	s_delay_alu instid0(TRANS32_DEP_1) | instskip(SKIP_2) | instid1(SALU_CYCLE_2)
	v_readfirstlane_b32 s2, v1
	s_mul_f32 s2, s2, 0x4f7ffffe
	s_wait_alu 0xfffe
	s_cvt_u32_f32 s2, s2
	s_wait_alu 0xfffe
	s_delay_alu instid0(SALU_CYCLE_2)
	s_mul_i32 s3, s3, s2
	s_wait_alu 0xfffe
	s_mul_hi_u32 s3, s2, s3
	s_wait_alu 0xfffe
	s_add_co_i32 s2, s2, s3
	s_mov_b32 s3, s11
	s_wait_kmcnt 0x0
	s_cmp_eq_u64 s[4:5], 0
	s_cbranch_scc1 .LBB125_3
; %bb.2:
	s_mov_b32 s16, ttmp9
	s_ashr_i32 s17, ttmp9, 31
	s_delay_alu instid0(SALU_CYCLE_1) | instskip(NEXT) | instid1(SALU_CYCLE_1)
	s_lshl_b64 s[16:17], s[16:17], 2
	s_add_nc_u64 s[4:5], s[4:5], s[16:17]
	s_load_b32 s8, s[4:5], 0x0
.LBB125_3:
	s_load_b96 s[4:6], s[0:1], 0x58
	s_mul_u64 s[2:3], s[10:11], s[2:3]
	v_cmp_gt_u32_e64 s2, 32, v0
	s_ashr_i32 s11, ttmp9, 31
	s_ashr_i32 s18, s14, 31
	s_lshl_b32 s14, ttmp9, 8
	s_wait_alu 0xfffe
	s_and_saveexec_b32 s16, s2
	s_cbranch_execz .LBB125_5
; %bb.4:
	s_load_b64 s[20:21], s[0:1], 0x18
	s_wait_kmcnt 0x0
	s_mul_i32 s24, s4, s22
	s_ashr_i32 s15, s14, 31
	s_ashr_i32 s25, s24, 31
	v_lshlrev_b32_e32 v5, 4, v0
	s_lshl_b64 s[24:25], s[24:25], 1
	s_delay_alu instid0(SALU_CYCLE_1) | instskip(SKIP_1) | instid1(SALU_CYCLE_1)
	s_add_nc_u64 s[20:21], s[20:21], s[24:25]
	s_lshl_b64 s[24:25], s[14:15], 1
	s_add_nc_u64 s[20:21], s[20:21], s[24:25]
	global_load_b128 v[1:4], v5, s[20:21]
	s_wait_loadcnt 0x0
	ds_store_b128 v5, v[1:4]
.LBB125_5:
	s_or_b32 exec_lo, exec_lo, s16
	s_wait_kmcnt 0x0
	s_add_co_i32 s4, s13, 31
	s_lshl_b32 s29, s27, 4
	s_ashr_i32 s15, s4, 31
	s_add_co_i32 s19, s29, 16
	s_lshr_b32 s15, s15, 27
	s_xor_b32 s11, s11, s18
	s_add_co_i32 s4, s4, s15
	s_add_co_i32 s18, s3, 1
	s_ashr_i32 s28, s4, 5
	s_clause 0x2
	s_load_b64 s[16:17], s[0:1], 0x38
	s_load_b32 s15, s[0:1], 0x98
	s_load_b32 s4, s[0:1], 0x48
	s_min_i32 s26, s19, s28
	s_mul_i32 s19, s3, s7
	v_lshrrev_b32_e32 v128, 5, v0
	s_sub_co_i32 s10, s10, s19
	v_and_b32_e32 v129, 31, v0
	s_sub_co_i32 s19, s10, s7
	s_cmp_ge_u32 s10, s7
	v_add_nc_u32_e32 v125, s29, v128
	s_cselect_b32 s3, s18, s3
	s_cselect_b32 s10, s19, s10
	s_wait_alu 0xfffe
	s_add_co_i32 s18, s3, 1
	s_cmp_ge_u32 s10, s7
	v_dual_mov_b32 v131, 0xff7fffff :: v_dual_lshlrev_b32 v130, 2, v129
	s_cselect_b32 s3, s18, s3
	s_wait_dscnt 0x0
	s_wait_alu 0xfffe
	s_xor_b32 s3, s3, s11
	s_barrier_signal -1
	s_wait_alu 0xfffe
	s_sub_co_i32 s7, s3, s11
	v_cmp_gt_i32_e64 s3, s26, v125
	s_wait_kmcnt 0x0
	s_mul_i32 s18, s4, s22
	s_mul_i32 s6, s7, s6
	s_ashr_i32 s19, s18, 31
	s_barrier_wait -1
	global_inv scope:SCOPE_SE
	s_and_saveexec_b32 s10, s3
	s_cbranch_execz .LBB125_9
; %bb.6:
	s_load_b64 s[20:21], s[0:1], 0x20
	s_ashr_i32 s7, s6, 31
	v_dual_mov_b32 v137, v125 :: v_dual_lshlrev_b32 v4, 2, v125
	s_lshl_b64 s[24:25], s[6:7], 1
	s_cmp_neq_f32 s8, 0
	v_dual_mov_b32 v132, 0 :: v_dual_lshlrev_b32 v1, 4, v129
	v_dual_mov_b32 v131, 0xff7fffff :: v_dual_lshlrev_b32 v2, 5, v128
	s_cselect_b32 vcc_lo, -1, 0
	s_lshl_b64 s[30:31], s[18:19], 2
	v_lshl_or_b32 v3, v128, 7, v130
	s_add_nc_u64 s[30:31], s[16:17], s[30:31]
	v_add3_u32 v133, s12, v2, v129
	v_add_co_u32 v126, s4, s30, v4
	s_delay_alu instid0(VALU_DEP_1)
	v_add_co_ci_u32_e64 v127, null, s31, 0, s4
	v_add_nc_u32_e32 v134, 0x220, v3
	s_wait_kmcnt 0x0
	s_add_nc_u64 s[20:21], s[20:21], s[24:25]
	s_mov_b32 s11, s5
	v_add_co_u32 v135, s4, s20, v1
	s_wait_alu 0xf1ff
	v_add_co_ci_u32_e64 v136, null, s21, 0, s4
	s_mov_b32 s7, 0
	s_sub_co_i32 s20, 1, s13
.LBB125_7:                              ; =>This Inner Loop Header: Depth=1
	global_load_b32 v1, v[126:127], off
	s_wait_alu 0xfffe
	v_add_nc_u32_e32 v3, s20, v133
	v_add_nc_u32_e32 v137, 4, v137
	s_delay_alu instid0(VALU_DEP_2) | instskip(NEXT) | instid1(VALU_DEP_1)
	v_cvt_f32_i32_e32 v3, v3
	v_mul_f32_e32 v3, s8, v3
	s_delay_alu instid0(VALU_DEP_1) | instskip(SKIP_2) | instid1(VALU_DEP_1)
	v_cndmask_b32_e32 v138, 0, v3, vcc_lo
	s_wait_loadcnt 0x0
	v_mad_co_i64_i32 v[1:2], null, v1, s11, 0
	v_lshlrev_b64_e32 v[1:2], 1, v[1:2]
	s_delay_alu instid0(VALU_DEP_1) | instskip(SKIP_1) | instid1(VALU_DEP_2)
	v_add_co_u32 v1, s4, v135, v1
	s_wait_alu 0xf1ff
	v_add_co_ci_u32_e64 v2, null, v136, v2, s4
	v_cmp_gt_i32_e64 s4, s13, v133
	v_add_nc_u32_e32 v133, 0x80, v133
	s_clause 0x1f
	global_load_b128 v[139:142], v[1:2], off
	global_load_b128 v[121:124], v[1:2], off offset:512
	global_load_b128 v[117:120], v[1:2], off offset:1024
	;; [unrolled: 1-line block ×31, first 2 shown]
	ds_load_b128 v[143:146], v132
	s_wait_dscnt 0x0
	v_lshrrev_b32_e32 v147, 16, v143
	v_and_b32_e32 v143, 0xffff, v143
	;;#ASMSTART
	v_cvt_f32_f16 v143, v143;
	;;#ASMEND
	;;#ASMSTART
	v_cvt_f32_f16 v147, v147;
	;;#ASMEND
	s_wait_loadcnt 0x1f
	v_lshrrev_b32_e32 v149, 16, v139
	v_and_b32_e32 v139, 0xffff, v139
	;;#ASMSTART
	v_cvt_f32_f16 v148, v139;
	;;#ASMEND
	v_lshrrev_b32_e32 v139, 16, v144
	v_and_b32_e32 v144, 0xffff, v144
	;;#ASMSTART
	v_cvt_f32_f16 v149, v149;
	;;#ASMEND
	;;#ASMSTART
	v_cvt_f32_f16 v144, v144;
	;;#ASMEND
	;;#ASMSTART
	v_cvt_f32_f16 v150, v139;
	;;#ASMEND
	v_lshrrev_b32_e32 v139, 16, v140
	v_and_b32_e32 v140, 0xffff, v140
	;;#ASMSTART
	v_cvt_f32_f16 v151, v140;
	;;#ASMEND
	;;#ASMSTART
	v_cvt_f32_f16 v152, v139;
	;;#ASMEND
	v_lshrrev_b32_e32 v139, 16, v145
	v_and_b32_e32 v140, 0xffff, v145
	;;#ASMSTART
	v_cvt_f32_f16 v145, v140;
	;;#ASMEND
	;;#ASMSTART
	v_cvt_f32_f16 v153, v139;
	;;#ASMEND
	;; [unrolled: 8-line block ×5, first 2 shown]
	ds_load_b128 v[139:142], v132 offset:16
	s_wait_loadcnt 0x1e
	v_lshrrev_b32_e32 v160, 16, v121
	v_and_b32_e32 v121, 0xffff, v121
	s_wait_dscnt 0x0
	v_lshrrev_b32_e32 v159, 16, v139
	v_and_b32_e32 v139, 0xffff, v139
	;;#ASMSTART
	v_cvt_f32_f16 v139, v139;
	;;#ASMEND
	;;#ASMSTART
	v_cvt_f32_f16 v159, v159;
	;;#ASMEND
	;; [unrolled: 3-line block ×4, first 2 shown]
	v_mul_f32_e32 v121, v139, v121
	v_mul_f32_e32 v139, v159, v160
	s_delay_alu instid0(VALU_DEP_2) | instskip(NEXT) | instid1(VALU_DEP_2)
	v_fmac_f32_e32 v121, v143, v148
	v_fmac_f32_e32 v139, v147, v149
	v_lshrrev_b32_e32 v143, 16, v140
	v_and_b32_e32 v140, 0xffff, v140
	v_lshrrev_b32_e32 v147, 16, v122
	v_and_b32_e32 v122, 0xffff, v122
	;;#ASMSTART
	v_cvt_f32_f16 v140, v140;
	;;#ASMEND
	;;#ASMSTART
	v_cvt_f32_f16 v143, v143;
	;;#ASMEND
	;; [unrolled: 3-line block ×3, first 2 shown]
	s_delay_alu instid0(VALU_DEP_1) | instskip(SKIP_3) | instid1(VALU_DEP_3)
	v_mul_f32_e32 v122, v140, v122
	;;#ASMSTART
	v_cvt_f32_f16 v147, v147;
	;;#ASMEND
	v_mul_f32_e32 v140, v143, v147
	v_lshrrev_b32_e32 v143, 16, v141
	v_dual_fmac_f32 v122, v144, v151 :: v_dual_and_b32 v141, 0xffff, v141
	v_lshrrev_b32_e32 v144, 16, v123
	v_and_b32_e32 v123, 0xffff, v123
	;;#ASMSTART
	v_cvt_f32_f16 v141, v141;
	;;#ASMEND
	;;#ASMSTART
	v_cvt_f32_f16 v143, v143;
	;;#ASMEND
	;;#ASMSTART
	v_cvt_f32_f16 v123, v123;
	;;#ASMEND
	;;#ASMSTART
	v_cvt_f32_f16 v144, v144;
	;;#ASMEND
	v_mul_f32_e32 v123, v141, v123
	v_mul_f32_e32 v141, v143, v144
	v_lshrrev_b32_e32 v143, 16, v142
	v_and_b32_e32 v142, 0xffff, v142
	v_lshrrev_b32_e32 v144, 16, v124
	s_delay_alu instid0(VALU_DEP_4) | instskip(SKIP_3) | instid1(VALU_DEP_1)
	v_dual_fmac_f32 v141, v153, v155 :: v_dual_and_b32 v124, 0xffff, v124
	;;#ASMSTART
	v_cvt_f32_f16 v142, v142;
	;;#ASMEND
	;;#ASMSTART
	v_cvt_f32_f16 v143, v143;
	;;#ASMEND
	;; [unrolled: 3-line block ×3, first 2 shown]
	v_mul_f32_e32 v124, v142, v124
	;;#ASMSTART
	v_cvt_f32_f16 v144, v144;
	;;#ASMEND
	v_dual_fmac_f32 v123, v145, v154 :: v_dual_mul_f32 v142, v143, v144
	s_wait_loadcnt 0x1d
	v_lshrrev_b32_e32 v148, 16, v117
	v_fmac_f32_e32 v124, v146, v157
	ds_load_b128 v[143:146], v132 offset:32
	v_dual_fmac_f32 v140, v150, v152 :: v_dual_and_b32 v117, 0xffff, v117
	v_fmac_f32_e32 v142, v156, v158
	s_wait_dscnt 0x0
	v_lshrrev_b32_e32 v147, 16, v143
	v_and_b32_e32 v143, 0xffff, v143
	;;#ASMSTART
	v_cvt_f32_f16 v143, v143;
	;;#ASMEND
	;;#ASMSTART
	v_cvt_f32_f16 v147, v147;
	;;#ASMEND
	;; [unrolled: 3-line block ×4, first 2 shown]
	v_fmac_f32_e32 v121, v143, v117
	v_fmac_f32_e32 v139, v147, v148
	v_lshrrev_b32_e32 v143, 16, v144
	v_and_b32_e32 v117, 0xffff, v144
	v_lshrrev_b32_e32 v144, 16, v118
	v_and_b32_e32 v118, 0xffff, v118
	;;#ASMSTART
	v_cvt_f32_f16 v117, v117;
	;;#ASMEND
	;;#ASMSTART
	v_cvt_f32_f16 v143, v143;
	;;#ASMEND
	;;#ASMSTART
	v_cvt_f32_f16 v118, v118;
	;;#ASMEND
	;;#ASMSTART
	v_cvt_f32_f16 v144, v144;
	;;#ASMEND
	v_dual_fmac_f32 v122, v117, v118 :: v_dual_and_b32 v117, 0xffff, v145
	v_fmac_f32_e32 v140, v143, v144
	v_lshrrev_b32_e32 v118, 16, v145
	v_lshrrev_b32_e32 v143, 16, v119
	v_and_b32_e32 v119, 0xffff, v119
	;;#ASMSTART
	v_cvt_f32_f16 v117, v117;
	;;#ASMEND
	;;#ASMSTART
	v_cvt_f32_f16 v118, v118;
	;;#ASMEND
	;; [unrolled: 3-line block ×4, first 2 shown]
	v_fmac_f32_e32 v123, v117, v119
	v_fmac_f32_e32 v141, v118, v143
	v_lshrrev_b32_e32 v118, 16, v146
	v_and_b32_e32 v117, 0xffff, v146
	v_and_b32_e32 v119, 0xffff, v120
	;;#ASMSTART
	v_cvt_f32_f16 v117, v117;
	;;#ASMEND
	;;#ASMSTART
	v_cvt_f32_f16 v118, v118;
	;;#ASMEND
	v_lshrrev_b32_e32 v143, 16, v120
	;;#ASMSTART
	v_cvt_f32_f16 v119, v119;
	;;#ASMEND
	;;#ASMSTART
	v_cvt_f32_f16 v120, v143;
	;;#ASMEND
	v_fmac_f32_e32 v124, v117, v119
	v_fmac_f32_e32 v142, v118, v120
	ds_load_b128 v[117:120], v132 offset:48
	s_wait_loadcnt 0x1c
	v_lshrrev_b32_e32 v144, 16, v113
	v_and_b32_e32 v113, 0xffff, v113
	s_wait_dscnt 0x0
	v_lshrrev_b32_e32 v143, 16, v117
	v_and_b32_e32 v117, 0xffff, v117
	;;#ASMSTART
	v_cvt_f32_f16 v117, v117;
	;;#ASMEND
	;;#ASMSTART
	v_cvt_f32_f16 v143, v143;
	;;#ASMEND
	;; [unrolled: 3-line block ×3, first 2 shown]
	s_delay_alu instid0(VALU_DEP_1)
	v_fmac_f32_e32 v121, v117, v113
	v_lshrrev_b32_e32 v117, 16, v118
	v_and_b32_e32 v113, 0xffff, v118
	v_lshrrev_b32_e32 v118, 16, v114
	v_and_b32_e32 v114, 0xffff, v114
	;;#ASMSTART
	v_cvt_f32_f16 v144, v144;
	;;#ASMEND
	;;#ASMSTART
	v_cvt_f32_f16 v113, v113;
	;;#ASMEND
	;; [unrolled: 3-line block ×5, first 2 shown]
	v_fmac_f32_e32 v122, v113, v114
	v_fmac_f32_e32 v140, v117, v118
	v_lshrrev_b32_e32 v114, 16, v119
	v_and_b32_e32 v113, 0xffff, v119
	v_lshrrev_b32_e32 v117, 16, v115
	v_and_b32_e32 v115, 0xffff, v115
	;;#ASMSTART
	v_cvt_f32_f16 v113, v113;
	;;#ASMEND
	;;#ASMSTART
	v_cvt_f32_f16 v114, v114;
	;;#ASMEND
	;;#ASMSTART
	v_cvt_f32_f16 v115, v115;
	;;#ASMEND
	;;#ASMSTART
	v_cvt_f32_f16 v117, v117;
	;;#ASMEND
	v_fmac_f32_e32 v123, v113, v115
	v_fmac_f32_e32 v141, v114, v117
	v_lshrrev_b32_e32 v114, 16, v120
	v_and_b32_e32 v113, 0xffff, v120
	v_and_b32_e32 v115, 0xffff, v116
	;;#ASMSTART
	v_cvt_f32_f16 v113, v113;
	;;#ASMEND
	;;#ASMSTART
	v_cvt_f32_f16 v114, v114;
	;;#ASMEND
	v_lshrrev_b32_e32 v117, 16, v116
	;;#ASMSTART
	v_cvt_f32_f16 v115, v115;
	;;#ASMEND
	;;#ASMSTART
	v_cvt_f32_f16 v116, v117;
	;;#ASMEND
	v_fmac_f32_e32 v124, v113, v115
	v_fmac_f32_e32 v142, v114, v116
	ds_load_b128 v[113:116], v132 offset:64
	s_wait_loadcnt 0x1b
	v_lshrrev_b32_e32 v118, 16, v109
	v_and_b32_e32 v109, 0xffff, v109
	s_wait_dscnt 0x0
	v_lshrrev_b32_e32 v117, 16, v113
	v_and_b32_e32 v113, 0xffff, v113
	;;#ASMSTART
	v_cvt_f32_f16 v113, v113;
	;;#ASMEND
	;;#ASMSTART
	v_cvt_f32_f16 v117, v117;
	;;#ASMEND
	;; [unrolled: 3-line block ×3, first 2 shown]
	s_delay_alu instid0(VALU_DEP_1)
	v_fmac_f32_e32 v121, v113, v109
	v_lshrrev_b32_e32 v113, 16, v114
	v_and_b32_e32 v109, 0xffff, v114
	v_lshrrev_b32_e32 v114, 16, v110
	v_and_b32_e32 v110, 0xffff, v110
	;;#ASMSTART
	v_cvt_f32_f16 v118, v118;
	;;#ASMEND
	;;#ASMSTART
	v_cvt_f32_f16 v109, v109;
	;;#ASMEND
	;; [unrolled: 3-line block ×4, first 2 shown]
	v_dual_fmac_f32 v139, v143, v144 :: v_dual_fmac_f32 v122, v109, v110
	;;#ASMSTART
	v_cvt_f32_f16 v114, v114;
	;;#ASMEND
	v_fmac_f32_e32 v140, v113, v114
	v_lshrrev_b32_e32 v110, 16, v115
	v_and_b32_e32 v109, 0xffff, v115
	v_lshrrev_b32_e32 v113, 16, v111
	v_and_b32_e32 v111, 0xffff, v111
	;;#ASMSTART
	v_cvt_f32_f16 v109, v109;
	;;#ASMEND
	;;#ASMSTART
	v_cvt_f32_f16 v110, v110;
	;;#ASMEND
	;; [unrolled: 3-line block ×4, first 2 shown]
	v_fmac_f32_e32 v123, v109, v111
	v_fmac_f32_e32 v141, v110, v113
	v_lshrrev_b32_e32 v110, 16, v116
	v_and_b32_e32 v109, 0xffff, v116
	v_and_b32_e32 v111, 0xffff, v112
	;;#ASMSTART
	v_cvt_f32_f16 v109, v109;
	;;#ASMEND
	;;#ASMSTART
	v_cvt_f32_f16 v110, v110;
	;;#ASMEND
	v_lshrrev_b32_e32 v113, 16, v112
	;;#ASMSTART
	v_cvt_f32_f16 v111, v111;
	;;#ASMEND
	;;#ASMSTART
	v_cvt_f32_f16 v112, v113;
	;;#ASMEND
	v_fmac_f32_e32 v124, v109, v111
	v_fmac_f32_e32 v142, v110, v112
	ds_load_b128 v[109:112], v132 offset:80
	s_wait_loadcnt 0x1a
	v_lshrrev_b32_e32 v114, 16, v105
	v_and_b32_e32 v105, 0xffff, v105
	s_wait_dscnt 0x0
	v_lshrrev_b32_e32 v113, 16, v109
	v_and_b32_e32 v109, 0xffff, v109
	;;#ASMSTART
	v_cvt_f32_f16 v109, v109;
	;;#ASMEND
	;;#ASMSTART
	v_cvt_f32_f16 v113, v113;
	;;#ASMEND
	;; [unrolled: 3-line block ×3, first 2 shown]
	s_delay_alu instid0(VALU_DEP_1)
	v_fmac_f32_e32 v121, v109, v105
	v_lshrrev_b32_e32 v109, 16, v110
	v_and_b32_e32 v105, 0xffff, v110
	v_lshrrev_b32_e32 v110, 16, v106
	v_and_b32_e32 v106, 0xffff, v106
	;;#ASMSTART
	v_cvt_f32_f16 v114, v114;
	;;#ASMEND
	;;#ASMSTART
	v_cvt_f32_f16 v105, v105;
	;;#ASMEND
	;; [unrolled: 3-line block ×5, first 2 shown]
	v_fmac_f32_e32 v122, v105, v106
	v_fmac_f32_e32 v140, v109, v110
	v_lshrrev_b32_e32 v106, 16, v111
	v_and_b32_e32 v105, 0xffff, v111
	v_lshrrev_b32_e32 v109, 16, v107
	v_and_b32_e32 v107, 0xffff, v107
	;;#ASMSTART
	v_cvt_f32_f16 v105, v105;
	;;#ASMEND
	;;#ASMSTART
	v_cvt_f32_f16 v106, v106;
	;;#ASMEND
	;; [unrolled: 3-line block ×4, first 2 shown]
	v_fmac_f32_e32 v123, v105, v107
	v_fmac_f32_e32 v141, v106, v109
	v_lshrrev_b32_e32 v106, 16, v112
	v_and_b32_e32 v105, 0xffff, v112
	v_and_b32_e32 v107, 0xffff, v108
	;;#ASMSTART
	v_cvt_f32_f16 v105, v105;
	;;#ASMEND
	;;#ASMSTART
	v_cvt_f32_f16 v106, v106;
	;;#ASMEND
	v_lshrrev_b32_e32 v109, 16, v108
	;;#ASMSTART
	v_cvt_f32_f16 v107, v107;
	;;#ASMEND
	;;#ASMSTART
	v_cvt_f32_f16 v108, v109;
	;;#ASMEND
	v_fmac_f32_e32 v124, v105, v107
	v_fmac_f32_e32 v142, v106, v108
	ds_load_b128 v[105:108], v132 offset:96
	s_wait_loadcnt 0x19
	v_lshrrev_b32_e32 v110, 16, v101
	v_and_b32_e32 v101, 0xffff, v101
	s_wait_dscnt 0x0
	v_lshrrev_b32_e32 v109, 16, v105
	v_and_b32_e32 v105, 0xffff, v105
	;;#ASMSTART
	v_cvt_f32_f16 v105, v105;
	;;#ASMEND
	;;#ASMSTART
	v_cvt_f32_f16 v109, v109;
	;;#ASMEND
	;; [unrolled: 3-line block ×3, first 2 shown]
	s_delay_alu instid0(VALU_DEP_1)
	v_fmac_f32_e32 v121, v105, v101
	v_lshrrev_b32_e32 v105, 16, v106
	v_and_b32_e32 v101, 0xffff, v106
	v_lshrrev_b32_e32 v106, 16, v102
	v_and_b32_e32 v102, 0xffff, v102
	;;#ASMSTART
	v_cvt_f32_f16 v110, v110;
	;;#ASMEND
	;;#ASMSTART
	v_cvt_f32_f16 v101, v101;
	;;#ASMEND
	;; [unrolled: 3-line block ×5, first 2 shown]
	v_fmac_f32_e32 v122, v101, v102
	v_fmac_f32_e32 v140, v105, v106
	v_lshrrev_b32_e32 v102, 16, v107
	v_and_b32_e32 v101, 0xffff, v107
	v_lshrrev_b32_e32 v105, 16, v103
	v_and_b32_e32 v103, 0xffff, v103
	;;#ASMSTART
	v_cvt_f32_f16 v101, v101;
	;;#ASMEND
	;;#ASMSTART
	v_cvt_f32_f16 v102, v102;
	;;#ASMEND
	;; [unrolled: 3-line block ×4, first 2 shown]
	v_fmac_f32_e32 v123, v101, v103
	v_fmac_f32_e32 v141, v102, v105
	v_lshrrev_b32_e32 v102, 16, v108
	v_and_b32_e32 v101, 0xffff, v108
	v_and_b32_e32 v103, 0xffff, v104
	;;#ASMSTART
	v_cvt_f32_f16 v101, v101;
	;;#ASMEND
	;;#ASMSTART
	v_cvt_f32_f16 v102, v102;
	;;#ASMEND
	v_lshrrev_b32_e32 v105, 16, v104
	;;#ASMSTART
	v_cvt_f32_f16 v103, v103;
	;;#ASMEND
	;;#ASMSTART
	v_cvt_f32_f16 v104, v105;
	;;#ASMEND
	v_dual_fmac_f32 v139, v117, v118 :: v_dual_fmac_f32 v142, v102, v104
	v_fmac_f32_e32 v124, v101, v103
	ds_load_b128 v[101:104], v132 offset:112
	s_wait_loadcnt 0x18
	v_lshrrev_b32_e32 v106, 16, v97
	v_and_b32_e32 v97, 0xffff, v97
	s_wait_dscnt 0x0
	v_lshrrev_b32_e32 v105, 16, v101
	v_and_b32_e32 v101, 0xffff, v101
	;;#ASMSTART
	v_cvt_f32_f16 v101, v101;
	;;#ASMEND
	;;#ASMSTART
	v_cvt_f32_f16 v105, v105;
	;;#ASMEND
	;; [unrolled: 3-line block ×3, first 2 shown]
	s_delay_alu instid0(VALU_DEP_1)
	v_fmac_f32_e32 v121, v101, v97
	v_lshrrev_b32_e32 v101, 16, v102
	v_and_b32_e32 v97, 0xffff, v102
	v_lshrrev_b32_e32 v102, 16, v98
	v_and_b32_e32 v98, 0xffff, v98
	;;#ASMSTART
	v_cvt_f32_f16 v106, v106;
	;;#ASMEND
	;;#ASMSTART
	v_cvt_f32_f16 v97, v97;
	;;#ASMEND
	;; [unrolled: 3-line block ×5, first 2 shown]
	v_fmac_f32_e32 v122, v97, v98
	v_fmac_f32_e32 v140, v101, v102
	v_lshrrev_b32_e32 v98, 16, v103
	v_and_b32_e32 v97, 0xffff, v103
	v_lshrrev_b32_e32 v101, 16, v99
	v_and_b32_e32 v99, 0xffff, v99
	;;#ASMSTART
	v_cvt_f32_f16 v97, v97;
	;;#ASMEND
	;;#ASMSTART
	v_cvt_f32_f16 v98, v98;
	;;#ASMEND
	;; [unrolled: 3-line block ×4, first 2 shown]
	v_fmac_f32_e32 v123, v97, v99
	v_fmac_f32_e32 v141, v98, v101
	v_lshrrev_b32_e32 v98, 16, v104
	v_and_b32_e32 v97, 0xffff, v104
	v_and_b32_e32 v99, 0xffff, v100
	;;#ASMSTART
	v_cvt_f32_f16 v97, v97;
	;;#ASMEND
	;;#ASMSTART
	v_cvt_f32_f16 v98, v98;
	;;#ASMEND
	v_lshrrev_b32_e32 v101, 16, v100
	;;#ASMSTART
	v_cvt_f32_f16 v99, v99;
	;;#ASMEND
	;;#ASMSTART
	v_cvt_f32_f16 v100, v101;
	;;#ASMEND
	v_fmac_f32_e32 v124, v97, v99
	v_fmac_f32_e32 v142, v98, v100
	ds_load_b128 v[97:100], v132 offset:128
	s_wait_loadcnt 0x17
	v_lshrrev_b32_e32 v102, 16, v93
	v_and_b32_e32 v93, 0xffff, v93
	s_wait_dscnt 0x0
	v_lshrrev_b32_e32 v101, 16, v97
	v_and_b32_e32 v97, 0xffff, v97
	;;#ASMSTART
	v_cvt_f32_f16 v97, v97;
	;;#ASMEND
	;;#ASMSTART
	v_cvt_f32_f16 v101, v101;
	;;#ASMEND
	;; [unrolled: 3-line block ×3, first 2 shown]
	s_delay_alu instid0(VALU_DEP_1)
	v_fmac_f32_e32 v121, v97, v93
	v_lshrrev_b32_e32 v97, 16, v98
	v_and_b32_e32 v93, 0xffff, v98
	v_lshrrev_b32_e32 v98, 16, v94
	v_and_b32_e32 v94, 0xffff, v94
	;;#ASMSTART
	v_cvt_f32_f16 v102, v102;
	;;#ASMEND
	;;#ASMSTART
	v_cvt_f32_f16 v93, v93;
	;;#ASMEND
	;; [unrolled: 3-line block ×5, first 2 shown]
	v_fmac_f32_e32 v122, v93, v94
	v_fmac_f32_e32 v140, v97, v98
	v_lshrrev_b32_e32 v94, 16, v99
	v_and_b32_e32 v93, 0xffff, v99
	v_lshrrev_b32_e32 v97, 16, v95
	v_and_b32_e32 v95, 0xffff, v95
	;;#ASMSTART
	v_cvt_f32_f16 v93, v93;
	;;#ASMEND
	;;#ASMSTART
	v_cvt_f32_f16 v94, v94;
	;;#ASMEND
	;; [unrolled: 3-line block ×4, first 2 shown]
	v_fmac_f32_e32 v123, v93, v95
	v_fmac_f32_e32 v141, v94, v97
	v_lshrrev_b32_e32 v94, 16, v100
	v_and_b32_e32 v93, 0xffff, v100
	v_and_b32_e32 v95, 0xffff, v96
	;;#ASMSTART
	v_cvt_f32_f16 v93, v93;
	;;#ASMEND
	;;#ASMSTART
	v_cvt_f32_f16 v94, v94;
	;;#ASMEND
	v_lshrrev_b32_e32 v97, 16, v96
	;;#ASMSTART
	v_cvt_f32_f16 v95, v95;
	;;#ASMEND
	;;#ASMSTART
	v_cvt_f32_f16 v96, v97;
	;;#ASMEND
	v_dual_fmac_f32 v139, v113, v114 :: v_dual_fmac_f32 v142, v94, v96
	v_fmac_f32_e32 v124, v93, v95
	ds_load_b128 v[93:96], v132 offset:144
	s_wait_loadcnt 0x16
	v_lshrrev_b32_e32 v98, 16, v89
	v_and_b32_e32 v89, 0xffff, v89
	s_wait_dscnt 0x0
	v_lshrrev_b32_e32 v97, 16, v93
	v_and_b32_e32 v93, 0xffff, v93
	;;#ASMSTART
	v_cvt_f32_f16 v93, v93;
	;;#ASMEND
	;;#ASMSTART
	v_cvt_f32_f16 v97, v97;
	;;#ASMEND
	;; [unrolled: 3-line block ×3, first 2 shown]
	s_delay_alu instid0(VALU_DEP_1)
	v_fmac_f32_e32 v121, v93, v89
	v_lshrrev_b32_e32 v93, 16, v94
	v_and_b32_e32 v89, 0xffff, v94
	v_lshrrev_b32_e32 v94, 16, v90
	v_and_b32_e32 v90, 0xffff, v90
	;;#ASMSTART
	v_cvt_f32_f16 v98, v98;
	;;#ASMEND
	;;#ASMSTART
	v_cvt_f32_f16 v89, v89;
	;;#ASMEND
	;; [unrolled: 3-line block ×5, first 2 shown]
	v_fmac_f32_e32 v122, v89, v90
	v_fmac_f32_e32 v140, v93, v94
	v_lshrrev_b32_e32 v90, 16, v95
	v_and_b32_e32 v89, 0xffff, v95
	v_lshrrev_b32_e32 v93, 16, v91
	v_and_b32_e32 v91, 0xffff, v91
	;;#ASMSTART
	v_cvt_f32_f16 v89, v89;
	;;#ASMEND
	;;#ASMSTART
	v_cvt_f32_f16 v90, v90;
	;;#ASMEND
	;; [unrolled: 3-line block ×4, first 2 shown]
	v_fmac_f32_e32 v123, v89, v91
	v_fmac_f32_e32 v141, v90, v93
	v_lshrrev_b32_e32 v90, 16, v96
	v_and_b32_e32 v89, 0xffff, v96
	v_and_b32_e32 v91, 0xffff, v92
	;;#ASMSTART
	v_cvt_f32_f16 v89, v89;
	;;#ASMEND
	;;#ASMSTART
	v_cvt_f32_f16 v90, v90;
	;;#ASMEND
	v_lshrrev_b32_e32 v93, 16, v92
	;;#ASMSTART
	v_cvt_f32_f16 v91, v91;
	;;#ASMEND
	;;#ASMSTART
	v_cvt_f32_f16 v92, v93;
	;;#ASMEND
	v_fmac_f32_e32 v124, v89, v91
	v_fmac_f32_e32 v142, v90, v92
	ds_load_b128 v[89:92], v132 offset:160
	s_wait_loadcnt 0x15
	v_lshrrev_b32_e32 v94, 16, v85
	v_and_b32_e32 v85, 0xffff, v85
	s_wait_dscnt 0x0
	v_lshrrev_b32_e32 v93, 16, v89
	v_and_b32_e32 v89, 0xffff, v89
	;;#ASMSTART
	v_cvt_f32_f16 v89, v89;
	;;#ASMEND
	;;#ASMSTART
	v_cvt_f32_f16 v93, v93;
	;;#ASMEND
	;; [unrolled: 3-line block ×3, first 2 shown]
	s_delay_alu instid0(VALU_DEP_1)
	v_fmac_f32_e32 v121, v89, v85
	v_lshrrev_b32_e32 v89, 16, v90
	v_and_b32_e32 v85, 0xffff, v90
	v_lshrrev_b32_e32 v90, 16, v86
	v_and_b32_e32 v86, 0xffff, v86
	;;#ASMSTART
	v_cvt_f32_f16 v94, v94;
	;;#ASMEND
	;;#ASMSTART
	v_cvt_f32_f16 v85, v85;
	;;#ASMEND
	;; [unrolled: 3-line block ×5, first 2 shown]
	v_fmac_f32_e32 v122, v85, v86
	v_fmac_f32_e32 v140, v89, v90
	v_lshrrev_b32_e32 v86, 16, v91
	v_and_b32_e32 v85, 0xffff, v91
	v_lshrrev_b32_e32 v89, 16, v87
	v_and_b32_e32 v87, 0xffff, v87
	;;#ASMSTART
	v_cvt_f32_f16 v85, v85;
	;;#ASMEND
	;;#ASMSTART
	v_cvt_f32_f16 v86, v86;
	;;#ASMEND
	;; [unrolled: 3-line block ×4, first 2 shown]
	v_fmac_f32_e32 v123, v85, v87
	v_fmac_f32_e32 v141, v86, v89
	v_lshrrev_b32_e32 v86, 16, v92
	v_and_b32_e32 v85, 0xffff, v92
	v_and_b32_e32 v87, 0xffff, v88
	;;#ASMSTART
	v_cvt_f32_f16 v85, v85;
	;;#ASMEND
	;;#ASMSTART
	v_cvt_f32_f16 v86, v86;
	;;#ASMEND
	v_lshrrev_b32_e32 v89, 16, v88
	;;#ASMSTART
	v_cvt_f32_f16 v87, v87;
	;;#ASMEND
	;;#ASMSTART
	v_cvt_f32_f16 v88, v89;
	;;#ASMEND
	v_dual_fmac_f32 v139, v109, v110 :: v_dual_fmac_f32 v142, v86, v88
	v_fmac_f32_e32 v124, v85, v87
	ds_load_b128 v[85:88], v132 offset:176
	s_wait_loadcnt 0x14
	v_lshrrev_b32_e32 v90, 16, v81
	v_and_b32_e32 v81, 0xffff, v81
	s_wait_dscnt 0x0
	v_lshrrev_b32_e32 v89, 16, v85
	v_and_b32_e32 v85, 0xffff, v85
	;;#ASMSTART
	v_cvt_f32_f16 v85, v85;
	;;#ASMEND
	;;#ASMSTART
	v_cvt_f32_f16 v89, v89;
	;;#ASMEND
	;; [unrolled: 3-line block ×3, first 2 shown]
	s_delay_alu instid0(VALU_DEP_1)
	v_fmac_f32_e32 v121, v85, v81
	v_lshrrev_b32_e32 v85, 16, v86
	v_and_b32_e32 v81, 0xffff, v86
	v_lshrrev_b32_e32 v86, 16, v82
	v_and_b32_e32 v82, 0xffff, v82
	;;#ASMSTART
	v_cvt_f32_f16 v90, v90;
	;;#ASMEND
	;;#ASMSTART
	v_cvt_f32_f16 v81, v81;
	;;#ASMEND
	;; [unrolled: 3-line block ×5, first 2 shown]
	v_fmac_f32_e32 v122, v81, v82
	v_fmac_f32_e32 v140, v85, v86
	v_lshrrev_b32_e32 v82, 16, v87
	v_and_b32_e32 v81, 0xffff, v87
	v_lshrrev_b32_e32 v85, 16, v83
	v_and_b32_e32 v83, 0xffff, v83
	;;#ASMSTART
	v_cvt_f32_f16 v81, v81;
	;;#ASMEND
	;;#ASMSTART
	v_cvt_f32_f16 v82, v82;
	;;#ASMEND
	;; [unrolled: 3-line block ×4, first 2 shown]
	v_fmac_f32_e32 v123, v81, v83
	v_fmac_f32_e32 v141, v82, v85
	v_lshrrev_b32_e32 v82, 16, v88
	v_and_b32_e32 v81, 0xffff, v88
	v_and_b32_e32 v83, 0xffff, v84
	;;#ASMSTART
	v_cvt_f32_f16 v81, v81;
	;;#ASMEND
	;;#ASMSTART
	v_cvt_f32_f16 v82, v82;
	;;#ASMEND
	v_lshrrev_b32_e32 v85, 16, v84
	;;#ASMSTART
	v_cvt_f32_f16 v83, v83;
	;;#ASMEND
	;;#ASMSTART
	v_cvt_f32_f16 v84, v85;
	;;#ASMEND
	v_fmac_f32_e32 v124, v81, v83
	v_fmac_f32_e32 v142, v82, v84
	ds_load_b128 v[81:84], v132 offset:192
	s_wait_loadcnt 0x13
	v_lshrrev_b32_e32 v86, 16, v77
	v_and_b32_e32 v77, 0xffff, v77
	s_wait_dscnt 0x0
	v_lshrrev_b32_e32 v85, 16, v81
	v_and_b32_e32 v81, 0xffff, v81
	;;#ASMSTART
	v_cvt_f32_f16 v81, v81;
	;;#ASMEND
	;;#ASMSTART
	v_cvt_f32_f16 v85, v85;
	;;#ASMEND
	;;#ASMSTART
	v_cvt_f32_f16 v77, v77;
	;;#ASMEND
	s_delay_alu instid0(VALU_DEP_1)
	v_fmac_f32_e32 v121, v81, v77
	v_lshrrev_b32_e32 v81, 16, v82
	v_and_b32_e32 v77, 0xffff, v82
	v_lshrrev_b32_e32 v82, 16, v78
	v_and_b32_e32 v78, 0xffff, v78
	;;#ASMSTART
	v_cvt_f32_f16 v86, v86;
	;;#ASMEND
	;;#ASMSTART
	v_cvt_f32_f16 v77, v77;
	;;#ASMEND
	;; [unrolled: 3-line block ×5, first 2 shown]
	v_fmac_f32_e32 v122, v77, v78
	v_fmac_f32_e32 v140, v81, v82
	v_lshrrev_b32_e32 v78, 16, v83
	v_and_b32_e32 v77, 0xffff, v83
	v_lshrrev_b32_e32 v81, 16, v79
	v_and_b32_e32 v79, 0xffff, v79
	;;#ASMSTART
	v_cvt_f32_f16 v77, v77;
	;;#ASMEND
	;;#ASMSTART
	v_cvt_f32_f16 v78, v78;
	;;#ASMEND
	;; [unrolled: 3-line block ×4, first 2 shown]
	v_fmac_f32_e32 v123, v77, v79
	v_fmac_f32_e32 v141, v78, v81
	v_lshrrev_b32_e32 v78, 16, v84
	v_and_b32_e32 v77, 0xffff, v84
	v_and_b32_e32 v79, 0xffff, v80
	;;#ASMSTART
	v_cvt_f32_f16 v77, v77;
	;;#ASMEND
	;;#ASMSTART
	v_cvt_f32_f16 v78, v78;
	;;#ASMEND
	v_lshrrev_b32_e32 v81, 16, v80
	;;#ASMSTART
	v_cvt_f32_f16 v79, v79;
	;;#ASMEND
	;;#ASMSTART
	v_cvt_f32_f16 v80, v81;
	;;#ASMEND
	v_fmac_f32_e32 v124, v77, v79
	v_fmac_f32_e32 v142, v78, v80
	ds_load_b128 v[77:80], v132 offset:208
	s_wait_loadcnt 0x12
	v_lshrrev_b32_e32 v82, 16, v73
	v_and_b32_e32 v73, 0xffff, v73
	s_wait_dscnt 0x0
	v_lshrrev_b32_e32 v81, 16, v77
	v_and_b32_e32 v77, 0xffff, v77
	;;#ASMSTART
	v_cvt_f32_f16 v77, v77;
	;;#ASMEND
	;;#ASMSTART
	v_cvt_f32_f16 v81, v81;
	;;#ASMEND
	;; [unrolled: 3-line block ×3, first 2 shown]
	s_delay_alu instid0(VALU_DEP_1)
	v_fmac_f32_e32 v121, v77, v73
	v_lshrrev_b32_e32 v77, 16, v78
	v_and_b32_e32 v73, 0xffff, v78
	v_lshrrev_b32_e32 v78, 16, v74
	v_and_b32_e32 v74, 0xffff, v74
	;;#ASMSTART
	v_cvt_f32_f16 v82, v82;
	;;#ASMEND
	;;#ASMSTART
	v_cvt_f32_f16 v73, v73;
	;;#ASMEND
	;; [unrolled: 3-line block ×5, first 2 shown]
	v_fmac_f32_e32 v122, v73, v74
	v_fmac_f32_e32 v140, v77, v78
	v_lshrrev_b32_e32 v74, 16, v79
	v_and_b32_e32 v73, 0xffff, v79
	v_lshrrev_b32_e32 v77, 16, v75
	v_and_b32_e32 v75, 0xffff, v75
	;;#ASMSTART
	v_cvt_f32_f16 v73, v73;
	;;#ASMEND
	;;#ASMSTART
	v_cvt_f32_f16 v74, v74;
	;;#ASMEND
	;; [unrolled: 3-line block ×4, first 2 shown]
	v_fmac_f32_e32 v123, v73, v75
	v_fmac_f32_e32 v141, v74, v77
	v_lshrrev_b32_e32 v74, 16, v80
	v_and_b32_e32 v73, 0xffff, v80
	v_and_b32_e32 v75, 0xffff, v76
	;;#ASMSTART
	v_cvt_f32_f16 v73, v73;
	;;#ASMEND
	;;#ASMSTART
	v_cvt_f32_f16 v74, v74;
	;;#ASMEND
	v_lshrrev_b32_e32 v77, 16, v76
	;;#ASMSTART
	v_cvt_f32_f16 v75, v75;
	;;#ASMEND
	;;#ASMSTART
	v_cvt_f32_f16 v76, v77;
	;;#ASMEND
	v_dual_fmac_f32 v139, v105, v106 :: v_dual_fmac_f32 v142, v74, v76
	v_fmac_f32_e32 v124, v73, v75
	ds_load_b128 v[73:76], v132 offset:224
	s_wait_loadcnt 0x11
	v_lshrrev_b32_e32 v78, 16, v69
	v_and_b32_e32 v69, 0xffff, v69
	s_wait_dscnt 0x0
	v_lshrrev_b32_e32 v77, 16, v73
	v_and_b32_e32 v73, 0xffff, v73
	;;#ASMSTART
	v_cvt_f32_f16 v73, v73;
	;;#ASMEND
	;;#ASMSTART
	v_cvt_f32_f16 v77, v77;
	;;#ASMEND
	;; [unrolled: 3-line block ×3, first 2 shown]
	s_delay_alu instid0(VALU_DEP_1)
	v_fmac_f32_e32 v121, v73, v69
	v_lshrrev_b32_e32 v73, 16, v74
	v_and_b32_e32 v69, 0xffff, v74
	v_lshrrev_b32_e32 v74, 16, v70
	v_and_b32_e32 v70, 0xffff, v70
	;;#ASMSTART
	v_cvt_f32_f16 v78, v78;
	;;#ASMEND
	;;#ASMSTART
	v_cvt_f32_f16 v69, v69;
	;;#ASMEND
	;; [unrolled: 3-line block ×5, first 2 shown]
	v_fmac_f32_e32 v122, v69, v70
	v_fmac_f32_e32 v140, v73, v74
	v_lshrrev_b32_e32 v70, 16, v75
	v_and_b32_e32 v69, 0xffff, v75
	v_lshrrev_b32_e32 v73, 16, v71
	v_and_b32_e32 v71, 0xffff, v71
	;;#ASMSTART
	v_cvt_f32_f16 v69, v69;
	;;#ASMEND
	;;#ASMSTART
	v_cvt_f32_f16 v70, v70;
	;;#ASMEND
	;; [unrolled: 3-line block ×4, first 2 shown]
	v_fmac_f32_e32 v123, v69, v71
	v_fmac_f32_e32 v141, v70, v73
	v_lshrrev_b32_e32 v70, 16, v76
	v_and_b32_e32 v69, 0xffff, v76
	v_and_b32_e32 v71, 0xffff, v72
	;;#ASMSTART
	v_cvt_f32_f16 v69, v69;
	;;#ASMEND
	;;#ASMSTART
	v_cvt_f32_f16 v70, v70;
	;;#ASMEND
	v_lshrrev_b32_e32 v73, 16, v72
	;;#ASMSTART
	v_cvt_f32_f16 v71, v71;
	;;#ASMEND
	;;#ASMSTART
	v_cvt_f32_f16 v72, v73;
	;;#ASMEND
	v_fmac_f32_e32 v124, v69, v71
	v_fmac_f32_e32 v142, v70, v72
	ds_load_b128 v[69:72], v132 offset:240
	s_wait_loadcnt 0x10
	v_lshrrev_b32_e32 v74, 16, v65
	v_and_b32_e32 v65, 0xffff, v65
	s_wait_dscnt 0x0
	v_lshrrev_b32_e32 v73, 16, v69
	v_and_b32_e32 v69, 0xffff, v69
	;;#ASMSTART
	v_cvt_f32_f16 v69, v69;
	;;#ASMEND
	;;#ASMSTART
	v_cvt_f32_f16 v73, v73;
	;;#ASMEND
	;; [unrolled: 3-line block ×3, first 2 shown]
	s_delay_alu instid0(VALU_DEP_1)
	v_fmac_f32_e32 v121, v69, v65
	v_lshrrev_b32_e32 v69, 16, v70
	v_and_b32_e32 v65, 0xffff, v70
	v_lshrrev_b32_e32 v70, 16, v66
	v_and_b32_e32 v66, 0xffff, v66
	;;#ASMSTART
	v_cvt_f32_f16 v74, v74;
	;;#ASMEND
	;;#ASMSTART
	v_cvt_f32_f16 v65, v65;
	;;#ASMEND
	;; [unrolled: 3-line block ×5, first 2 shown]
	v_fmac_f32_e32 v122, v65, v66
	v_fmac_f32_e32 v140, v69, v70
	v_lshrrev_b32_e32 v66, 16, v71
	v_and_b32_e32 v65, 0xffff, v71
	v_lshrrev_b32_e32 v69, 16, v67
	v_and_b32_e32 v67, 0xffff, v67
	;;#ASMSTART
	v_cvt_f32_f16 v65, v65;
	;;#ASMEND
	;;#ASMSTART
	v_cvt_f32_f16 v66, v66;
	;;#ASMEND
	;; [unrolled: 3-line block ×4, first 2 shown]
	v_fmac_f32_e32 v123, v65, v67
	v_fmac_f32_e32 v141, v66, v69
	v_lshrrev_b32_e32 v66, 16, v72
	v_and_b32_e32 v65, 0xffff, v72
	v_and_b32_e32 v67, 0xffff, v68
	;;#ASMSTART
	v_cvt_f32_f16 v65, v65;
	;;#ASMEND
	;;#ASMSTART
	v_cvt_f32_f16 v66, v66;
	;;#ASMEND
	v_lshrrev_b32_e32 v69, 16, v68
	;;#ASMSTART
	v_cvt_f32_f16 v67, v67;
	;;#ASMEND
	;;#ASMSTART
	v_cvt_f32_f16 v68, v69;
	;;#ASMEND
	v_dual_fmac_f32 v139, v101, v102 :: v_dual_fmac_f32 v142, v66, v68
	v_fmac_f32_e32 v124, v65, v67
	ds_load_b128 v[65:68], v132 offset:256
	s_wait_loadcnt 0xf
	v_lshrrev_b32_e32 v70, 16, v61
	v_and_b32_e32 v61, 0xffff, v61
	s_wait_dscnt 0x0
	v_lshrrev_b32_e32 v69, 16, v65
	v_and_b32_e32 v65, 0xffff, v65
	;;#ASMSTART
	v_cvt_f32_f16 v65, v65;
	;;#ASMEND
	;;#ASMSTART
	v_cvt_f32_f16 v69, v69;
	;;#ASMEND
	;; [unrolled: 3-line block ×3, first 2 shown]
	s_delay_alu instid0(VALU_DEP_1)
	v_fmac_f32_e32 v121, v65, v61
	v_lshrrev_b32_e32 v65, 16, v66
	v_and_b32_e32 v61, 0xffff, v66
	v_lshrrev_b32_e32 v66, 16, v62
	v_and_b32_e32 v62, 0xffff, v62
	;;#ASMSTART
	v_cvt_f32_f16 v70, v70;
	;;#ASMEND
	;;#ASMSTART
	v_cvt_f32_f16 v61, v61;
	;;#ASMEND
	;;#ASMSTART
	v_cvt_f32_f16 v65, v65;
	;;#ASMEND
	;;#ASMSTART
	v_cvt_f32_f16 v62, v62;
	;;#ASMEND
	;;#ASMSTART
	v_cvt_f32_f16 v66, v66;
	;;#ASMEND
	v_fmac_f32_e32 v122, v61, v62
	v_fmac_f32_e32 v140, v65, v66
	v_lshrrev_b32_e32 v62, 16, v67
	v_and_b32_e32 v61, 0xffff, v67
	v_lshrrev_b32_e32 v65, 16, v63
	v_and_b32_e32 v63, 0xffff, v63
	;;#ASMSTART
	v_cvt_f32_f16 v61, v61;
	;;#ASMEND
	;;#ASMSTART
	v_cvt_f32_f16 v62, v62;
	;;#ASMEND
	;; [unrolled: 3-line block ×4, first 2 shown]
	v_fmac_f32_e32 v123, v61, v63
	v_fmac_f32_e32 v141, v62, v65
	v_lshrrev_b32_e32 v62, 16, v68
	v_and_b32_e32 v61, 0xffff, v68
	v_and_b32_e32 v63, 0xffff, v64
	;;#ASMSTART
	v_cvt_f32_f16 v61, v61;
	;;#ASMEND
	;;#ASMSTART
	v_cvt_f32_f16 v62, v62;
	;;#ASMEND
	v_lshrrev_b32_e32 v65, 16, v64
	;;#ASMSTART
	v_cvt_f32_f16 v63, v63;
	;;#ASMEND
	;;#ASMSTART
	v_cvt_f32_f16 v64, v65;
	;;#ASMEND
	v_fmac_f32_e32 v124, v61, v63
	v_fmac_f32_e32 v142, v62, v64
	ds_load_b128 v[61:64], v132 offset:272
	s_wait_loadcnt 0xe
	v_lshrrev_b32_e32 v66, 16, v57
	v_and_b32_e32 v57, 0xffff, v57
	s_wait_dscnt 0x0
	v_lshrrev_b32_e32 v65, 16, v61
	v_and_b32_e32 v61, 0xffff, v61
	;;#ASMSTART
	v_cvt_f32_f16 v61, v61;
	;;#ASMEND
	;;#ASMSTART
	v_cvt_f32_f16 v65, v65;
	;;#ASMEND
	;; [unrolled: 3-line block ×3, first 2 shown]
	s_delay_alu instid0(VALU_DEP_1)
	v_fmac_f32_e32 v121, v61, v57
	v_lshrrev_b32_e32 v61, 16, v62
	v_and_b32_e32 v57, 0xffff, v62
	v_lshrrev_b32_e32 v62, 16, v58
	v_and_b32_e32 v58, 0xffff, v58
	;;#ASMSTART
	v_cvt_f32_f16 v66, v66;
	;;#ASMEND
	;;#ASMSTART
	v_cvt_f32_f16 v57, v57;
	;;#ASMEND
	;; [unrolled: 3-line block ×5, first 2 shown]
	v_fmac_f32_e32 v122, v57, v58
	v_fmac_f32_e32 v140, v61, v62
	v_lshrrev_b32_e32 v58, 16, v63
	v_and_b32_e32 v57, 0xffff, v63
	v_lshrrev_b32_e32 v61, 16, v59
	v_and_b32_e32 v59, 0xffff, v59
	;;#ASMSTART
	v_cvt_f32_f16 v57, v57;
	;;#ASMEND
	;;#ASMSTART
	v_cvt_f32_f16 v58, v58;
	;;#ASMEND
	;; [unrolled: 3-line block ×4, first 2 shown]
	v_fmac_f32_e32 v123, v57, v59
	v_fmac_f32_e32 v141, v58, v61
	v_lshrrev_b32_e32 v58, 16, v64
	v_and_b32_e32 v57, 0xffff, v64
	v_and_b32_e32 v59, 0xffff, v60
	;;#ASMSTART
	v_cvt_f32_f16 v57, v57;
	;;#ASMEND
	;;#ASMSTART
	v_cvt_f32_f16 v58, v58;
	;;#ASMEND
	v_lshrrev_b32_e32 v61, 16, v60
	;;#ASMSTART
	v_cvt_f32_f16 v59, v59;
	;;#ASMEND
	;;#ASMSTART
	v_cvt_f32_f16 v60, v61;
	;;#ASMEND
	v_dual_fmac_f32 v139, v97, v98 :: v_dual_fmac_f32 v142, v58, v60
	v_fmac_f32_e32 v124, v57, v59
	ds_load_b128 v[57:60], v132 offset:288
	s_wait_loadcnt 0xd
	v_lshrrev_b32_e32 v62, 16, v53
	v_and_b32_e32 v53, 0xffff, v53
	s_wait_dscnt 0x0
	v_lshrrev_b32_e32 v61, 16, v57
	v_and_b32_e32 v57, 0xffff, v57
	;;#ASMSTART
	v_cvt_f32_f16 v57, v57;
	;;#ASMEND
	;;#ASMSTART
	v_cvt_f32_f16 v61, v61;
	;;#ASMEND
	;;#ASMSTART
	v_cvt_f32_f16 v53, v53;
	;;#ASMEND
	s_delay_alu instid0(VALU_DEP_1)
	v_fmac_f32_e32 v121, v57, v53
	v_lshrrev_b32_e32 v57, 16, v58
	v_and_b32_e32 v53, 0xffff, v58
	v_lshrrev_b32_e32 v58, 16, v54
	v_and_b32_e32 v54, 0xffff, v54
	;;#ASMSTART
	v_cvt_f32_f16 v62, v62;
	;;#ASMEND
	;;#ASMSTART
	v_cvt_f32_f16 v53, v53;
	;;#ASMEND
	;; [unrolled: 3-line block ×5, first 2 shown]
	v_fmac_f32_e32 v122, v53, v54
	v_fmac_f32_e32 v140, v57, v58
	v_lshrrev_b32_e32 v54, 16, v59
	v_and_b32_e32 v53, 0xffff, v59
	v_lshrrev_b32_e32 v57, 16, v55
	v_and_b32_e32 v55, 0xffff, v55
	;;#ASMSTART
	v_cvt_f32_f16 v53, v53;
	;;#ASMEND
	;;#ASMSTART
	v_cvt_f32_f16 v54, v54;
	;;#ASMEND
	;; [unrolled: 3-line block ×4, first 2 shown]
	v_fmac_f32_e32 v123, v53, v55
	v_fmac_f32_e32 v141, v54, v57
	v_lshrrev_b32_e32 v54, 16, v60
	v_and_b32_e32 v53, 0xffff, v60
	v_and_b32_e32 v55, 0xffff, v56
	;;#ASMSTART
	v_cvt_f32_f16 v53, v53;
	;;#ASMEND
	;;#ASMSTART
	v_cvt_f32_f16 v54, v54;
	;;#ASMEND
	v_lshrrev_b32_e32 v57, 16, v56
	;;#ASMSTART
	v_cvt_f32_f16 v55, v55;
	;;#ASMEND
	;;#ASMSTART
	v_cvt_f32_f16 v56, v57;
	;;#ASMEND
	v_fmac_f32_e32 v124, v53, v55
	v_fmac_f32_e32 v142, v54, v56
	ds_load_b128 v[53:56], v132 offset:304
	s_wait_loadcnt 0xc
	v_lshrrev_b32_e32 v58, 16, v49
	v_and_b32_e32 v49, 0xffff, v49
	s_wait_dscnt 0x0
	v_lshrrev_b32_e32 v57, 16, v53
	v_and_b32_e32 v53, 0xffff, v53
	;;#ASMSTART
	v_cvt_f32_f16 v53, v53;
	;;#ASMEND
	;;#ASMSTART
	v_cvt_f32_f16 v57, v57;
	;;#ASMEND
	;; [unrolled: 3-line block ×3, first 2 shown]
	s_delay_alu instid0(VALU_DEP_1)
	v_fmac_f32_e32 v121, v53, v49
	v_lshrrev_b32_e32 v53, 16, v54
	v_and_b32_e32 v49, 0xffff, v54
	v_lshrrev_b32_e32 v54, 16, v50
	v_and_b32_e32 v50, 0xffff, v50
	;;#ASMSTART
	v_cvt_f32_f16 v58, v58;
	;;#ASMEND
	;;#ASMSTART
	v_cvt_f32_f16 v49, v49;
	;;#ASMEND
	;; [unrolled: 3-line block ×5, first 2 shown]
	v_fmac_f32_e32 v122, v49, v50
	v_fmac_f32_e32 v140, v53, v54
	v_lshrrev_b32_e32 v50, 16, v55
	v_and_b32_e32 v49, 0xffff, v55
	v_lshrrev_b32_e32 v53, 16, v51
	v_and_b32_e32 v51, 0xffff, v51
	;;#ASMSTART
	v_cvt_f32_f16 v49, v49;
	;;#ASMEND
	;;#ASMSTART
	v_cvt_f32_f16 v50, v50;
	;;#ASMEND
	;; [unrolled: 3-line block ×4, first 2 shown]
	v_fmac_f32_e32 v123, v49, v51
	v_fmac_f32_e32 v141, v50, v53
	v_lshrrev_b32_e32 v50, 16, v56
	v_and_b32_e32 v49, 0xffff, v56
	v_and_b32_e32 v51, 0xffff, v52
	;;#ASMSTART
	v_cvt_f32_f16 v49, v49;
	;;#ASMEND
	;;#ASMSTART
	v_cvt_f32_f16 v50, v50;
	;;#ASMEND
	v_lshrrev_b32_e32 v53, 16, v52
	;;#ASMSTART
	v_cvt_f32_f16 v51, v51;
	;;#ASMEND
	;;#ASMSTART
	v_cvt_f32_f16 v52, v53;
	;;#ASMEND
	v_dual_fmac_f32 v139, v93, v94 :: v_dual_fmac_f32 v142, v50, v52
	v_fmac_f32_e32 v124, v49, v51
	ds_load_b128 v[49:52], v132 offset:320
	s_wait_loadcnt 0xb
	v_lshrrev_b32_e32 v54, 16, v45
	v_and_b32_e32 v45, 0xffff, v45
	s_wait_dscnt 0x0
	v_lshrrev_b32_e32 v53, 16, v49
	v_and_b32_e32 v49, 0xffff, v49
	;;#ASMSTART
	v_cvt_f32_f16 v49, v49;
	;;#ASMEND
	;;#ASMSTART
	v_cvt_f32_f16 v53, v53;
	;;#ASMEND
	;; [unrolled: 3-line block ×3, first 2 shown]
	s_delay_alu instid0(VALU_DEP_1)
	v_fmac_f32_e32 v121, v49, v45
	v_lshrrev_b32_e32 v49, 16, v50
	v_and_b32_e32 v45, 0xffff, v50
	v_lshrrev_b32_e32 v50, 16, v46
	v_and_b32_e32 v46, 0xffff, v46
	;;#ASMSTART
	v_cvt_f32_f16 v54, v54;
	;;#ASMEND
	;;#ASMSTART
	v_cvt_f32_f16 v45, v45;
	;;#ASMEND
	;; [unrolled: 3-line block ×5, first 2 shown]
	v_fmac_f32_e32 v122, v45, v46
	v_fmac_f32_e32 v140, v49, v50
	v_lshrrev_b32_e32 v46, 16, v51
	v_and_b32_e32 v45, 0xffff, v51
	v_lshrrev_b32_e32 v49, 16, v47
	v_and_b32_e32 v47, 0xffff, v47
	;;#ASMSTART
	v_cvt_f32_f16 v45, v45;
	;;#ASMEND
	;;#ASMSTART
	v_cvt_f32_f16 v46, v46;
	;;#ASMEND
	;; [unrolled: 3-line block ×4, first 2 shown]
	v_fmac_f32_e32 v123, v45, v47
	v_fmac_f32_e32 v141, v46, v49
	v_lshrrev_b32_e32 v46, 16, v52
	v_and_b32_e32 v45, 0xffff, v52
	v_and_b32_e32 v47, 0xffff, v48
	;;#ASMSTART
	v_cvt_f32_f16 v45, v45;
	;;#ASMEND
	;;#ASMSTART
	v_cvt_f32_f16 v46, v46;
	;;#ASMEND
	v_lshrrev_b32_e32 v49, 16, v48
	;;#ASMSTART
	v_cvt_f32_f16 v47, v47;
	;;#ASMEND
	;;#ASMSTART
	v_cvt_f32_f16 v48, v49;
	;;#ASMEND
	v_fmac_f32_e32 v124, v45, v47
	v_fmac_f32_e32 v142, v46, v48
	ds_load_b128 v[45:48], v132 offset:336
	s_wait_loadcnt 0xa
	v_lshrrev_b32_e32 v50, 16, v41
	v_and_b32_e32 v41, 0xffff, v41
	s_wait_dscnt 0x0
	v_lshrrev_b32_e32 v49, 16, v45
	v_and_b32_e32 v45, 0xffff, v45
	;;#ASMSTART
	v_cvt_f32_f16 v45, v45;
	;;#ASMEND
	;;#ASMSTART
	v_cvt_f32_f16 v49, v49;
	;;#ASMEND
	;; [unrolled: 3-line block ×3, first 2 shown]
	s_delay_alu instid0(VALU_DEP_1)
	v_fmac_f32_e32 v121, v45, v41
	v_lshrrev_b32_e32 v45, 16, v46
	v_and_b32_e32 v41, 0xffff, v46
	v_lshrrev_b32_e32 v46, 16, v42
	v_and_b32_e32 v42, 0xffff, v42
	;;#ASMSTART
	v_cvt_f32_f16 v50, v50;
	;;#ASMEND
	;;#ASMSTART
	v_cvt_f32_f16 v41, v41;
	;;#ASMEND
	;;#ASMSTART
	v_cvt_f32_f16 v45, v45;
	;;#ASMEND
	;;#ASMSTART
	v_cvt_f32_f16 v42, v42;
	;;#ASMEND
	;;#ASMSTART
	v_cvt_f32_f16 v46, v46;
	;;#ASMEND
	v_fmac_f32_e32 v122, v41, v42
	v_fmac_f32_e32 v140, v45, v46
	v_lshrrev_b32_e32 v42, 16, v47
	v_and_b32_e32 v41, 0xffff, v47
	v_lshrrev_b32_e32 v45, 16, v43
	v_and_b32_e32 v43, 0xffff, v43
	;;#ASMSTART
	v_cvt_f32_f16 v41, v41;
	;;#ASMEND
	;;#ASMSTART
	v_cvt_f32_f16 v42, v42;
	;;#ASMEND
	;; [unrolled: 3-line block ×4, first 2 shown]
	v_fmac_f32_e32 v123, v41, v43
	v_fmac_f32_e32 v141, v42, v45
	v_lshrrev_b32_e32 v42, 16, v48
	v_and_b32_e32 v41, 0xffff, v48
	v_and_b32_e32 v43, 0xffff, v44
	;;#ASMSTART
	v_cvt_f32_f16 v41, v41;
	;;#ASMEND
	;;#ASMSTART
	v_cvt_f32_f16 v42, v42;
	;;#ASMEND
	v_lshrrev_b32_e32 v45, 16, v44
	;;#ASMSTART
	v_cvt_f32_f16 v43, v43;
	;;#ASMEND
	;;#ASMSTART
	v_cvt_f32_f16 v44, v45;
	;;#ASMEND
	v_dual_fmac_f32 v139, v89, v90 :: v_dual_fmac_f32 v142, v42, v44
	v_fmac_f32_e32 v124, v41, v43
	ds_load_b128 v[41:44], v132 offset:352
	s_wait_loadcnt 0x9
	v_lshrrev_b32_e32 v46, 16, v37
	v_and_b32_e32 v37, 0xffff, v37
	s_wait_dscnt 0x0
	v_lshrrev_b32_e32 v45, 16, v41
	v_and_b32_e32 v41, 0xffff, v41
	;;#ASMSTART
	v_cvt_f32_f16 v41, v41;
	;;#ASMEND
	;;#ASMSTART
	v_cvt_f32_f16 v45, v45;
	;;#ASMEND
	;; [unrolled: 3-line block ×3, first 2 shown]
	s_delay_alu instid0(VALU_DEP_1)
	v_fmac_f32_e32 v121, v41, v37
	v_lshrrev_b32_e32 v41, 16, v42
	v_and_b32_e32 v37, 0xffff, v42
	v_lshrrev_b32_e32 v42, 16, v38
	v_and_b32_e32 v38, 0xffff, v38
	;;#ASMSTART
	v_cvt_f32_f16 v46, v46;
	;;#ASMEND
	;;#ASMSTART
	v_cvt_f32_f16 v37, v37;
	;;#ASMEND
	;; [unrolled: 3-line block ×5, first 2 shown]
	v_fmac_f32_e32 v122, v37, v38
	v_fmac_f32_e32 v140, v41, v42
	v_lshrrev_b32_e32 v38, 16, v43
	v_and_b32_e32 v37, 0xffff, v43
	v_lshrrev_b32_e32 v41, 16, v39
	v_and_b32_e32 v39, 0xffff, v39
	;;#ASMSTART
	v_cvt_f32_f16 v37, v37;
	;;#ASMEND
	;;#ASMSTART
	v_cvt_f32_f16 v38, v38;
	;;#ASMEND
	;; [unrolled: 3-line block ×4, first 2 shown]
	v_fmac_f32_e32 v123, v37, v39
	v_fmac_f32_e32 v141, v38, v41
	v_lshrrev_b32_e32 v38, 16, v44
	v_and_b32_e32 v37, 0xffff, v44
	v_and_b32_e32 v39, 0xffff, v40
	;;#ASMSTART
	v_cvt_f32_f16 v37, v37;
	;;#ASMEND
	;;#ASMSTART
	v_cvt_f32_f16 v38, v38;
	;;#ASMEND
	v_lshrrev_b32_e32 v41, 16, v40
	;;#ASMSTART
	v_cvt_f32_f16 v39, v39;
	;;#ASMEND
	;;#ASMSTART
	v_cvt_f32_f16 v40, v41;
	;;#ASMEND
	v_fmac_f32_e32 v124, v37, v39
	v_fmac_f32_e32 v142, v38, v40
	ds_load_b128 v[37:40], v132 offset:368
	s_wait_loadcnt 0x8
	v_lshrrev_b32_e32 v42, 16, v33
	v_and_b32_e32 v33, 0xffff, v33
	s_wait_dscnt 0x0
	v_lshrrev_b32_e32 v41, 16, v37
	v_and_b32_e32 v37, 0xffff, v37
	;;#ASMSTART
	v_cvt_f32_f16 v37, v37;
	;;#ASMEND
	;;#ASMSTART
	v_cvt_f32_f16 v41, v41;
	;;#ASMEND
	;; [unrolled: 3-line block ×3, first 2 shown]
	s_delay_alu instid0(VALU_DEP_1)
	v_fmac_f32_e32 v121, v37, v33
	v_lshrrev_b32_e32 v37, 16, v38
	v_and_b32_e32 v33, 0xffff, v38
	v_lshrrev_b32_e32 v38, 16, v34
	v_and_b32_e32 v34, 0xffff, v34
	;;#ASMSTART
	v_cvt_f32_f16 v42, v42;
	;;#ASMEND
	;;#ASMSTART
	v_cvt_f32_f16 v33, v33;
	;;#ASMEND
	;;#ASMSTART
	v_cvt_f32_f16 v37, v37;
	;;#ASMEND
	;;#ASMSTART
	v_cvt_f32_f16 v34, v34;
	;;#ASMEND
	;;#ASMSTART
	v_cvt_f32_f16 v38, v38;
	;;#ASMEND
	v_fmac_f32_e32 v122, v33, v34
	v_fmac_f32_e32 v140, v37, v38
	v_lshrrev_b32_e32 v34, 16, v39
	v_and_b32_e32 v33, 0xffff, v39
	v_lshrrev_b32_e32 v37, 16, v35
	v_and_b32_e32 v35, 0xffff, v35
	;;#ASMSTART
	v_cvt_f32_f16 v33, v33;
	;;#ASMEND
	;;#ASMSTART
	v_cvt_f32_f16 v34, v34;
	;;#ASMEND
	;; [unrolled: 3-line block ×4, first 2 shown]
	v_fmac_f32_e32 v123, v33, v35
	v_fmac_f32_e32 v141, v34, v37
	v_lshrrev_b32_e32 v34, 16, v40
	v_and_b32_e32 v33, 0xffff, v40
	v_and_b32_e32 v35, 0xffff, v36
	;;#ASMSTART
	v_cvt_f32_f16 v33, v33;
	;;#ASMEND
	;;#ASMSTART
	v_cvt_f32_f16 v34, v34;
	;;#ASMEND
	v_lshrrev_b32_e32 v37, 16, v36
	;;#ASMSTART
	v_cvt_f32_f16 v35, v35;
	;;#ASMEND
	;;#ASMSTART
	v_cvt_f32_f16 v36, v37;
	;;#ASMEND
	v_fmac_f32_e32 v124, v33, v35
	v_fmac_f32_e32 v142, v34, v36
	ds_load_b128 v[33:36], v132 offset:384
	s_wait_loadcnt 0x7
	v_lshrrev_b32_e32 v38, 16, v29
	v_and_b32_e32 v29, 0xffff, v29
	s_wait_dscnt 0x0
	v_lshrrev_b32_e32 v37, 16, v33
	v_and_b32_e32 v33, 0xffff, v33
	;;#ASMSTART
	v_cvt_f32_f16 v33, v33;
	;;#ASMEND
	;;#ASMSTART
	v_cvt_f32_f16 v37, v37;
	;;#ASMEND
	;; [unrolled: 3-line block ×3, first 2 shown]
	s_delay_alu instid0(VALU_DEP_1)
	v_fmac_f32_e32 v121, v33, v29
	v_lshrrev_b32_e32 v33, 16, v34
	v_and_b32_e32 v29, 0xffff, v34
	v_lshrrev_b32_e32 v34, 16, v30
	v_and_b32_e32 v30, 0xffff, v30
	;;#ASMSTART
	v_cvt_f32_f16 v38, v38;
	;;#ASMEND
	;;#ASMSTART
	v_cvt_f32_f16 v29, v29;
	;;#ASMEND
	;; [unrolled: 3-line block ×5, first 2 shown]
	v_fmac_f32_e32 v122, v29, v30
	v_fmac_f32_e32 v140, v33, v34
	v_lshrrev_b32_e32 v30, 16, v35
	v_and_b32_e32 v29, 0xffff, v35
	v_lshrrev_b32_e32 v33, 16, v31
	v_and_b32_e32 v31, 0xffff, v31
	;;#ASMSTART
	v_cvt_f32_f16 v29, v29;
	;;#ASMEND
	;;#ASMSTART
	v_cvt_f32_f16 v30, v30;
	;;#ASMEND
	;; [unrolled: 3-line block ×4, first 2 shown]
	v_fmac_f32_e32 v123, v29, v31
	v_fmac_f32_e32 v141, v30, v33
	v_lshrrev_b32_e32 v30, 16, v36
	v_and_b32_e32 v29, 0xffff, v36
	v_and_b32_e32 v31, 0xffff, v32
	;;#ASMSTART
	v_cvt_f32_f16 v29, v29;
	;;#ASMEND
	;;#ASMSTART
	v_cvt_f32_f16 v30, v30;
	;;#ASMEND
	v_lshrrev_b32_e32 v33, 16, v32
	;;#ASMSTART
	v_cvt_f32_f16 v31, v31;
	;;#ASMEND
	;;#ASMSTART
	v_cvt_f32_f16 v32, v33;
	;;#ASMEND
	v_dual_fmac_f32 v139, v85, v86 :: v_dual_fmac_f32 v142, v30, v32
	v_fmac_f32_e32 v124, v29, v31
	ds_load_b128 v[29:32], v132 offset:400
	s_wait_loadcnt 0x6
	v_lshrrev_b32_e32 v34, 16, v25
	v_and_b32_e32 v25, 0xffff, v25
	s_wait_dscnt 0x0
	v_lshrrev_b32_e32 v33, 16, v29
	v_and_b32_e32 v29, 0xffff, v29
	;;#ASMSTART
	v_cvt_f32_f16 v29, v29;
	;;#ASMEND
	;;#ASMSTART
	v_cvt_f32_f16 v33, v33;
	;;#ASMEND
	;; [unrolled: 3-line block ×3, first 2 shown]
	s_delay_alu instid0(VALU_DEP_1)
	v_fmac_f32_e32 v121, v29, v25
	v_lshrrev_b32_e32 v29, 16, v30
	v_and_b32_e32 v25, 0xffff, v30
	v_lshrrev_b32_e32 v30, 16, v26
	v_and_b32_e32 v26, 0xffff, v26
	;;#ASMSTART
	v_cvt_f32_f16 v34, v34;
	;;#ASMEND
	;;#ASMSTART
	v_cvt_f32_f16 v25, v25;
	;;#ASMEND
	;; [unrolled: 3-line block ×5, first 2 shown]
	v_fmac_f32_e32 v122, v25, v26
	v_fmac_f32_e32 v140, v29, v30
	v_lshrrev_b32_e32 v26, 16, v31
	v_and_b32_e32 v25, 0xffff, v31
	v_lshrrev_b32_e32 v29, 16, v27
	v_and_b32_e32 v27, 0xffff, v27
	;;#ASMSTART
	v_cvt_f32_f16 v25, v25;
	;;#ASMEND
	;;#ASMSTART
	v_cvt_f32_f16 v26, v26;
	;;#ASMEND
	;;#ASMSTART
	v_cvt_f32_f16 v27, v27;
	;;#ASMEND
	;;#ASMSTART
	v_cvt_f32_f16 v29, v29;
	;;#ASMEND
	v_fmac_f32_e32 v123, v25, v27
	v_fmac_f32_e32 v141, v26, v29
	v_lshrrev_b32_e32 v26, 16, v32
	v_and_b32_e32 v25, 0xffff, v32
	v_and_b32_e32 v27, 0xffff, v28
	;;#ASMSTART
	v_cvt_f32_f16 v25, v25;
	;;#ASMEND
	;;#ASMSTART
	v_cvt_f32_f16 v26, v26;
	;;#ASMEND
	v_lshrrev_b32_e32 v29, 16, v28
	;;#ASMSTART
	v_cvt_f32_f16 v27, v27;
	;;#ASMEND
	;;#ASMSTART
	v_cvt_f32_f16 v28, v29;
	;;#ASMEND
	v_fmac_f32_e32 v124, v25, v27
	v_fmac_f32_e32 v142, v26, v28
	ds_load_b128 v[25:28], v132 offset:416
	s_wait_loadcnt 0x5
	v_lshrrev_b32_e32 v30, 16, v21
	v_and_b32_e32 v21, 0xffff, v21
	s_wait_dscnt 0x0
	v_lshrrev_b32_e32 v29, 16, v25
	v_and_b32_e32 v25, 0xffff, v25
	;;#ASMSTART
	v_cvt_f32_f16 v25, v25;
	;;#ASMEND
	;;#ASMSTART
	v_cvt_f32_f16 v29, v29;
	;;#ASMEND
	;; [unrolled: 3-line block ×3, first 2 shown]
	s_delay_alu instid0(VALU_DEP_1)
	v_fmac_f32_e32 v121, v25, v21
	v_lshrrev_b32_e32 v25, 16, v26
	v_and_b32_e32 v21, 0xffff, v26
	v_lshrrev_b32_e32 v26, 16, v22
	v_and_b32_e32 v22, 0xffff, v22
	;;#ASMSTART
	v_cvt_f32_f16 v30, v30;
	;;#ASMEND
	;;#ASMSTART
	v_cvt_f32_f16 v21, v21;
	;;#ASMEND
	;; [unrolled: 3-line block ×5, first 2 shown]
	v_fmac_f32_e32 v122, v21, v22
	v_fmac_f32_e32 v140, v25, v26
	v_lshrrev_b32_e32 v22, 16, v27
	v_and_b32_e32 v21, 0xffff, v27
	v_lshrrev_b32_e32 v25, 16, v23
	v_and_b32_e32 v23, 0xffff, v23
	;;#ASMSTART
	v_cvt_f32_f16 v21, v21;
	;;#ASMEND
	;;#ASMSTART
	v_cvt_f32_f16 v22, v22;
	;;#ASMEND
	;; [unrolled: 3-line block ×4, first 2 shown]
	v_fmac_f32_e32 v123, v21, v23
	v_fmac_f32_e32 v141, v22, v25
	v_lshrrev_b32_e32 v22, 16, v28
	v_and_b32_e32 v21, 0xffff, v28
	v_and_b32_e32 v23, 0xffff, v24
	;;#ASMSTART
	v_cvt_f32_f16 v21, v21;
	;;#ASMEND
	;;#ASMSTART
	v_cvt_f32_f16 v22, v22;
	;;#ASMEND
	v_lshrrev_b32_e32 v25, 16, v24
	;;#ASMSTART
	v_cvt_f32_f16 v23, v23;
	;;#ASMEND
	;;#ASMSTART
	v_cvt_f32_f16 v24, v25;
	;;#ASMEND
	v_dual_fmac_f32 v139, v81, v82 :: v_dual_fmac_f32 v142, v22, v24
	v_fmac_f32_e32 v124, v21, v23
	ds_load_b128 v[21:24], v132 offset:432
	s_wait_loadcnt 0x4
	v_lshrrev_b32_e32 v26, 16, v17
	v_and_b32_e32 v17, 0xffff, v17
	s_wait_dscnt 0x0
	v_lshrrev_b32_e32 v25, 16, v21
	v_and_b32_e32 v21, 0xffff, v21
	;;#ASMSTART
	v_cvt_f32_f16 v21, v21;
	;;#ASMEND
	;;#ASMSTART
	v_cvt_f32_f16 v25, v25;
	;;#ASMEND
	;; [unrolled: 3-line block ×3, first 2 shown]
	s_delay_alu instid0(VALU_DEP_1)
	v_fmac_f32_e32 v121, v21, v17
	v_lshrrev_b32_e32 v21, 16, v22
	v_and_b32_e32 v17, 0xffff, v22
	v_lshrrev_b32_e32 v22, 16, v18
	v_and_b32_e32 v18, 0xffff, v18
	;;#ASMSTART
	v_cvt_f32_f16 v26, v26;
	;;#ASMEND
	;;#ASMSTART
	v_cvt_f32_f16 v17, v17;
	;;#ASMEND
	;; [unrolled: 3-line block ×5, first 2 shown]
	v_fmac_f32_e32 v122, v17, v18
	v_fmac_f32_e32 v140, v21, v22
	v_lshrrev_b32_e32 v18, 16, v23
	v_and_b32_e32 v17, 0xffff, v23
	v_lshrrev_b32_e32 v21, 16, v19
	v_and_b32_e32 v19, 0xffff, v19
	;;#ASMSTART
	v_cvt_f32_f16 v17, v17;
	;;#ASMEND
	;;#ASMSTART
	v_cvt_f32_f16 v18, v18;
	;;#ASMEND
	;; [unrolled: 3-line block ×4, first 2 shown]
	v_fmac_f32_e32 v123, v17, v19
	v_fmac_f32_e32 v141, v18, v21
	v_lshrrev_b32_e32 v18, 16, v24
	v_and_b32_e32 v17, 0xffff, v24
	v_and_b32_e32 v19, 0xffff, v20
	;;#ASMSTART
	v_cvt_f32_f16 v17, v17;
	;;#ASMEND
	;;#ASMSTART
	v_cvt_f32_f16 v18, v18;
	;;#ASMEND
	v_lshrrev_b32_e32 v21, 16, v20
	;;#ASMSTART
	v_cvt_f32_f16 v19, v19;
	;;#ASMEND
	;;#ASMSTART
	v_cvt_f32_f16 v20, v21;
	;;#ASMEND
	v_fmac_f32_e32 v124, v17, v19
	v_fmac_f32_e32 v142, v18, v20
	ds_load_b128 v[17:20], v132 offset:448
	s_wait_loadcnt 0x3
	v_lshrrev_b32_e32 v22, 16, v13
	v_and_b32_e32 v13, 0xffff, v13
	s_wait_dscnt 0x0
	v_lshrrev_b32_e32 v21, 16, v17
	v_and_b32_e32 v17, 0xffff, v17
	;;#ASMSTART
	v_cvt_f32_f16 v17, v17;
	;;#ASMEND
	;;#ASMSTART
	v_cvt_f32_f16 v21, v21;
	;;#ASMEND
	;; [unrolled: 3-line block ×3, first 2 shown]
	s_delay_alu instid0(VALU_DEP_1)
	v_fmac_f32_e32 v121, v17, v13
	v_lshrrev_b32_e32 v17, 16, v18
	v_and_b32_e32 v13, 0xffff, v18
	v_lshrrev_b32_e32 v18, 16, v14
	v_and_b32_e32 v14, 0xffff, v14
	;;#ASMSTART
	v_cvt_f32_f16 v22, v22;
	;;#ASMEND
	;;#ASMSTART
	v_cvt_f32_f16 v13, v13;
	;;#ASMEND
	;; [unrolled: 3-line block ×5, first 2 shown]
	v_fmac_f32_e32 v122, v13, v14
	v_fmac_f32_e32 v140, v17, v18
	v_lshrrev_b32_e32 v14, 16, v19
	v_and_b32_e32 v13, 0xffff, v19
	v_lshrrev_b32_e32 v17, 16, v15
	v_and_b32_e32 v15, 0xffff, v15
	;;#ASMSTART
	v_cvt_f32_f16 v13, v13;
	;;#ASMEND
	;;#ASMSTART
	v_cvt_f32_f16 v14, v14;
	;;#ASMEND
	;; [unrolled: 3-line block ×4, first 2 shown]
	v_fmac_f32_e32 v123, v13, v15
	v_fmac_f32_e32 v141, v14, v17
	v_lshrrev_b32_e32 v14, 16, v20
	v_and_b32_e32 v13, 0xffff, v20
	v_and_b32_e32 v15, 0xffff, v16
	;;#ASMSTART
	v_cvt_f32_f16 v13, v13;
	;;#ASMEND
	;;#ASMSTART
	v_cvt_f32_f16 v14, v14;
	;;#ASMEND
	v_lshrrev_b32_e32 v17, 16, v16
	;;#ASMSTART
	v_cvt_f32_f16 v15, v15;
	;;#ASMEND
	;;#ASMSTART
	v_cvt_f32_f16 v16, v17;
	;;#ASMEND
	v_dual_fmac_f32 v139, v77, v78 :: v_dual_fmac_f32 v142, v14, v16
	v_fmac_f32_e32 v124, v13, v15
	ds_load_b128 v[13:16], v132 offset:464
	s_wait_loadcnt 0x2
	v_lshrrev_b32_e32 v18, 16, v9
	v_and_b32_e32 v9, 0xffff, v9
	s_wait_dscnt 0x0
	v_lshrrev_b32_e32 v17, 16, v13
	v_and_b32_e32 v13, 0xffff, v13
	;;#ASMSTART
	v_cvt_f32_f16 v13, v13;
	;;#ASMEND
	;;#ASMSTART
	v_cvt_f32_f16 v17, v17;
	;;#ASMEND
	;; [unrolled: 3-line block ×3, first 2 shown]
	s_delay_alu instid0(VALU_DEP_1)
	v_fmac_f32_e32 v121, v13, v9
	v_lshrrev_b32_e32 v13, 16, v14
	v_and_b32_e32 v9, 0xffff, v14
	v_lshrrev_b32_e32 v14, 16, v10
	v_and_b32_e32 v10, 0xffff, v10
	;;#ASMSTART
	v_cvt_f32_f16 v18, v18;
	;;#ASMEND
	;;#ASMSTART
	v_cvt_f32_f16 v9, v9;
	;;#ASMEND
	;; [unrolled: 3-line block ×5, first 2 shown]
	v_fmac_f32_e32 v122, v9, v10
	v_fmac_f32_e32 v140, v13, v14
	v_lshrrev_b32_e32 v10, 16, v15
	v_and_b32_e32 v9, 0xffff, v15
	v_lshrrev_b32_e32 v13, 16, v11
	v_and_b32_e32 v11, 0xffff, v11
	;;#ASMSTART
	v_cvt_f32_f16 v9, v9;
	;;#ASMEND
	;;#ASMSTART
	v_cvt_f32_f16 v10, v10;
	;;#ASMEND
	;; [unrolled: 3-line block ×4, first 2 shown]
	v_fmac_f32_e32 v123, v9, v11
	v_fmac_f32_e32 v141, v10, v13
	v_lshrrev_b32_e32 v10, 16, v16
	v_and_b32_e32 v9, 0xffff, v16
	v_and_b32_e32 v11, 0xffff, v12
	;;#ASMSTART
	v_cvt_f32_f16 v9, v9;
	;;#ASMEND
	;;#ASMSTART
	v_cvt_f32_f16 v10, v10;
	;;#ASMEND
	v_lshrrev_b32_e32 v13, 16, v12
	;;#ASMSTART
	v_cvt_f32_f16 v11, v11;
	;;#ASMEND
	;;#ASMSTART
	v_cvt_f32_f16 v12, v13;
	;;#ASMEND
	v_fmac_f32_e32 v124, v9, v11
	v_fmac_f32_e32 v142, v10, v12
	ds_load_b128 v[9:12], v132 offset:480
	s_wait_loadcnt 0x1
	v_lshrrev_b32_e32 v14, 16, v5
	v_and_b32_e32 v5, 0xffff, v5
	s_wait_dscnt 0x0
	v_lshrrev_b32_e32 v13, 16, v9
	v_and_b32_e32 v9, 0xffff, v9
	;;#ASMSTART
	v_cvt_f32_f16 v9, v9;
	;;#ASMEND
	;;#ASMSTART
	v_cvt_f32_f16 v13, v13;
	;;#ASMEND
	;; [unrolled: 3-line block ×3, first 2 shown]
	s_delay_alu instid0(VALU_DEP_1)
	v_fmac_f32_e32 v121, v9, v5
	v_lshrrev_b32_e32 v9, 16, v10
	v_and_b32_e32 v5, 0xffff, v10
	v_lshrrev_b32_e32 v10, 16, v6
	v_and_b32_e32 v6, 0xffff, v6
	;;#ASMSTART
	v_cvt_f32_f16 v14, v14;
	;;#ASMEND
	;;#ASMSTART
	v_cvt_f32_f16 v5, v5;
	;;#ASMEND
	;; [unrolled: 3-line block ×5, first 2 shown]
	v_fmac_f32_e32 v122, v5, v6
	v_fmac_f32_e32 v140, v9, v10
	v_lshrrev_b32_e32 v6, 16, v11
	v_and_b32_e32 v5, 0xffff, v11
	v_lshrrev_b32_e32 v9, 16, v7
	v_and_b32_e32 v7, 0xffff, v7
	;;#ASMSTART
	v_cvt_f32_f16 v5, v5;
	;;#ASMEND
	;;#ASMSTART
	v_cvt_f32_f16 v6, v6;
	;;#ASMEND
	;; [unrolled: 3-line block ×4, first 2 shown]
	v_fmac_f32_e32 v123, v5, v7
	v_fmac_f32_e32 v141, v6, v9
	v_lshrrev_b32_e32 v6, 16, v12
	v_and_b32_e32 v5, 0xffff, v12
	v_and_b32_e32 v7, 0xffff, v8
	;;#ASMSTART
	v_cvt_f32_f16 v5, v5;
	;;#ASMEND
	;;#ASMSTART
	v_cvt_f32_f16 v6, v6;
	;;#ASMEND
	v_lshrrev_b32_e32 v9, 16, v8
	;;#ASMSTART
	v_cvt_f32_f16 v7, v7;
	;;#ASMEND
	;;#ASMSTART
	v_cvt_f32_f16 v8, v9;
	;;#ASMEND
	v_dual_fmac_f32 v139, v73, v74 :: v_dual_fmac_f32 v142, v6, v8
	v_fmac_f32_e32 v124, v5, v7
	ds_load_b128 v[5:8], v132 offset:496
	s_wait_loadcnt 0x0
	v_lshrrev_b32_e32 v10, 16, v1
	v_fmac_f32_e32 v139, v69, v70
	v_and_b32_e32 v1, 0xffff, v1
	s_delay_alu instid0(VALU_DEP_2) | instskip(NEXT) | instid1(VALU_DEP_1)
	v_fmac_f32_e32 v139, v65, v66
	v_fmac_f32_e32 v139, v61, v62
	s_delay_alu instid0(VALU_DEP_1) | instskip(SKIP_3) | instid1(VALU_DEP_3)
	v_fmac_f32_e32 v139, v57, v58
	s_wait_dscnt 0x0
	v_lshrrev_b32_e32 v9, 16, v5
	v_and_b32_e32 v5, 0xffff, v5
	v_fmac_f32_e32 v139, v53, v54
	;;#ASMSTART
	v_cvt_f32_f16 v5, v5;
	;;#ASMEND
	;;#ASMSTART
	v_cvt_f32_f16 v9, v9;
	;;#ASMEND
	;; [unrolled: 3-line block ×3, first 2 shown]
	v_fmac_f32_e32 v121, v5, v1
	v_fmac_f32_e32 v139, v49, v50
	v_and_b32_e32 v1, 0xffff, v6
	;;#ASMSTART
	v_cvt_f32_f16 v10, v10;
	;;#ASMEND
	v_lshrrev_b32_e32 v5, 16, v6
	;;#ASMSTART
	v_cvt_f32_f16 v1, v1;
	;;#ASMEND
	v_fmac_f32_e32 v139, v45, v46
	v_lshrrev_b32_e32 v6, 16, v2
	v_and_b32_e32 v2, 0xffff, v2
	;;#ASMSTART
	v_cvt_f32_f16 v5, v5;
	;;#ASMEND
	;;#ASMSTART
	v_cvt_f32_f16 v2, v2;
	;;#ASMEND
	v_fmac_f32_e32 v139, v41, v42
	s_delay_alu instid0(VALU_DEP_2) | instskip(SKIP_2) | instid1(VALU_DEP_3)
	v_dual_fmac_f32 v122, v1, v2 :: v_dual_and_b32 v1, 0xffff, v7
	;;#ASMSTART
	v_cvt_f32_f16 v6, v6;
	;;#ASMEND
	v_fmac_f32_e32 v140, v5, v6
	v_fmac_f32_e32 v139, v37, v38
	v_lshrrev_b32_e32 v2, 16, v7
	;;#ASMSTART
	v_cvt_f32_f16 v1, v1;
	;;#ASMEND
	v_lshrrev_b32_e32 v5, 16, v3
	v_and_b32_e32 v3, 0xffff, v3
	v_fmac_f32_e32 v139, v33, v34
	;;#ASMSTART
	v_cvt_f32_f16 v2, v2;
	;;#ASMEND
	;;#ASMSTART
	v_cvt_f32_f16 v3, v3;
	;;#ASMEND
	s_delay_alu instid0(VALU_DEP_2)
	v_fmac_f32_e32 v123, v1, v3
	v_and_b32_e32 v1, 0xffff, v8
	v_fmac_f32_e32 v139, v29, v30
	;;#ASMSTART
	v_cvt_f32_f16 v5, v5;
	;;#ASMEND
	v_fmac_f32_e32 v141, v2, v5
	v_lshrrev_b32_e32 v2, 16, v8
	;;#ASMSTART
	v_cvt_f32_f16 v1, v1;
	;;#ASMEND
	v_fmac_f32_e32 v139, v25, v26
	v_and_b32_e32 v3, 0xffff, v4
	;;#ASMSTART
	v_cvt_f32_f16 v2, v2;
	;;#ASMEND
	;;#ASMSTART
	v_cvt_f32_f16 v3, v3;
	;;#ASMEND
	s_delay_alu instid0(VALU_DEP_1) | instskip(SKIP_3) | instid1(VALU_DEP_2)
	v_fmac_f32_e32 v124, v1, v3
	v_fmac_f32_e32 v139, v21, v22
	v_lshrrev_b32_e32 v5, 16, v4
	;;#ASMSTART
	v_cvt_f32_f16 v4, v5;
	;;#ASMEND
	v_dual_fmac_f32 v142, v2, v4 :: v_dual_fmac_f32 v139, v17, v18
	s_delay_alu instid0(VALU_DEP_1) | instskip(NEXT) | instid1(VALU_DEP_1)
	v_fmac_f32_e32 v139, v13, v14
	v_fmac_f32_e32 v139, v9, v10
	s_delay_alu instid0(VALU_DEP_1) | instskip(NEXT) | instid1(VALU_DEP_1)
	v_add_f32_e32 v1, v121, v139
	v_add_f32_e32 v1, v1, v122
	s_delay_alu instid0(VALU_DEP_1) | instskip(NEXT) | instid1(VALU_DEP_1)
	v_add_f32_e32 v1, v140, v1
	v_add_f32_e32 v1, v1, v123
	;; [unrolled: 3-line block ×3, first 2 shown]
	s_delay_alu instid0(VALU_DEP_1) | instskip(NEXT) | instid1(VALU_DEP_1)
	v_add_f32_e32 v1, v142, v1
	v_fmac_f32_e32 v138, s9, v1
	s_wait_alu 0xf1ff
	s_delay_alu instid0(VALU_DEP_1) | instskip(SKIP_2) | instid1(VALU_DEP_1)
	v_cndmask_b32_e64 v1, 0, v138, s4
	ds_store_b32 v134, v1
	v_dual_max_num_f32 v1, v131, v131 :: v_dual_add_nc_u32 v134, 0x200, v134
	v_max_num_f32_e32 v1, v1, v138
	s_delay_alu instid0(VALU_DEP_1)
	v_cndmask_b32_e64 v131, v131, v1, s4
	v_add_co_u32 v126, s4, v126, 16
	s_wait_alu 0xf1ff
	v_add_co_ci_u32_e64 v127, null, 0, v127, s4
	v_cmp_le_i32_e64 s4, s26, v137
	s_or_b32 s7, s4, s7
	s_delay_alu instid0(SALU_CYCLE_1)
	s_and_not1_b32 exec_lo, exec_lo, s7
	s_cbranch_execnz .LBB125_7
; %bb.8:
	s_or_b32 exec_lo, exec_lo, s7
.LBB125_9:
	s_delay_alu instid0(SALU_CYCLE_1)
	s_or_b32 exec_lo, exec_lo, s10
	v_mbcnt_lo_u32_b32 v1, -1, 0
	s_clause 0x2
	s_load_b128 s[8:11], s[0:1], 0x0
	s_load_b64 s[20:21], s[0:1], 0x10
	s_load_b64 s[24:25], s[0:1], 0x28
	v_max_num_f32_e32 v5, v131, v131
	v_xor_b32_e32 v2, 16, v1
	v_xor_b32_e32 v4, 8, v1
	s_delay_alu instid0(VALU_DEP_2) | instskip(SKIP_2) | instid1(VALU_DEP_3)
	v_cmp_gt_i32_e32 vcc_lo, 32, v2
	s_wait_alu 0xfffd
	v_cndmask_b32_e32 v2, v1, v2, vcc_lo
	v_cmp_gt_i32_e32 vcc_lo, 32, v4
	s_delay_alu instid0(VALU_DEP_2)
	v_lshlrev_b32_e32 v2, 2, v2
	s_wait_alu 0xfffd
	v_cndmask_b32_e32 v4, v1, v4, vcc_lo
	ds_bpermute_b32 v3, v2, v131
	s_wait_dscnt 0x0
	v_dual_max_num_f32 v6, v3, v3 :: v_dual_lshlrev_b32 v3, 2, v4
	s_delay_alu instid0(VALU_DEP_1)
	v_max_num_f32_e32 v4, v5, v6
	v_xor_b32_e32 v6, 4, v1
	ds_bpermute_b32 v5, v3, v4
	v_cmp_gt_i32_e32 vcc_lo, 32, v6
	s_wait_alu 0xfffd
	v_cndmask_b32_e32 v6, v1, v6, vcc_lo
	s_wait_dscnt 0x0
	v_max_num_f32_e32 v7, v5, v5
	s_delay_alu instid0(VALU_DEP_1)
	v_dual_max_num_f32 v4, v4, v7 :: v_dual_lshlrev_b32 v5, 2, v6
	v_xor_b32_e32 v7, 2, v1
	ds_bpermute_b32 v6, v5, v4
	v_cmp_gt_i32_e32 vcc_lo, 32, v7
	s_wait_dscnt 0x0
	s_wait_alu 0xfffd
	v_dual_cndmask_b32 v7, v1, v7 :: v_dual_max_num_f32 v6, v6, v6
	s_delay_alu instid0(VALU_DEP_1) | instskip(NEXT) | instid1(VALU_DEP_2)
	v_max_num_f32_e32 v4, v4, v6
	v_lshlrev_b32_e32 v8, 2, v7
	v_xor_b32_e32 v7, 1, v1
	s_delay_alu instid0(VALU_DEP_1)
	v_cmp_gt_i32_e32 vcc_lo, 32, v7
	s_wait_alu 0xfffd
	v_cndmask_b32_e32 v7, v1, v7, vcc_lo
	ds_bpermute_b32 v6, v8, v4
	v_cmp_eq_u32_e32 vcc_lo, 0, v129
	s_wait_dscnt 0x0
	v_dual_max_num_f32 v6, v6, v6 :: v_dual_lshlrev_b32 v7, 2, v7
	s_delay_alu instid0(VALU_DEP_1)
	v_dual_max_num_f32 v1, v4, v6 :: v_dual_lshlrev_b32 v6, 2, v128
	ds_bpermute_b32 v4, v7, v1
	s_and_saveexec_b32 s0, vcc_lo
	s_cbranch_execz .LBB125_11
; %bb.10:
	s_wait_dscnt 0x0
	v_dual_max_num_f32 v4, v4, v4 :: v_dual_max_num_f32 v1, v1, v1
	s_delay_alu instid0(VALU_DEP_1)
	v_max_num_f32_e32 v1, v1, v4
	ds_store_b32 v6, v1 offset:512
.LBB125_11:
	s_or_b32 exec_lo, exec_lo, s0
	v_cmp_gt_u32_e64 s0, 4, v129
	v_mov_b32_e32 v1, 0xff7fffff
	s_wait_loadcnt_dscnt 0x0
	s_barrier_signal -1
	s_barrier_wait -1
	global_inv scope:SCOPE_SE
	s_and_saveexec_b32 s1, s0
; %bb.12:
	ds_load_b32 v1, v130 offset:512
; %bb.13:
	s_or_b32 exec_lo, exec_lo, s1
	s_wait_dscnt 0x0
	ds_bpermute_b32 v4, v8, v1
	v_max_num_f32_e32 v1, v1, v1
	s_sub_co_i32 s1, s26, s29
	v_mov_b32_e32 v9, 0
	s_lshl_b32 s1, s1, 5
	s_delay_alu instid0(SALU_CYCLE_1) | instskip(NEXT) | instid1(SALU_CYCLE_1)
	s_add_co_i32 s1, s1, s12
	s_min_i32 s1, s1, s13
	s_delay_alu instid0(SALU_CYCLE_1) | instskip(NEXT) | instid1(SALU_CYCLE_1)
	s_sub_co_i32 s7, s1, s12
	v_cmp_gt_i32_e64 s1, s7, v0
	s_wait_dscnt 0x0
	v_max_num_f32_e32 v4, v4, v4
	s_delay_alu instid0(VALU_DEP_1) | instskip(SKIP_3) | instid1(VALU_DEP_1)
	v_max_num_f32_e32 v1, v1, v4
	ds_bpermute_b32 v4, v7, v1
	s_wait_dscnt 0x0
	v_max_num_f32_e32 v4, v4, v4
	v_max_num_f32_e32 v1, v1, v4
	v_lshl_add_u32 v4, v0, 2, 0x220
	ds_bpermute_b32 v1, v9, v1
	s_and_saveexec_b32 s29, s1
	s_cbranch_execz .LBB125_17
; %bb.14:
	v_lshl_add_u32 v10, v0, 2, 0x220
	v_mov_b32_e32 v9, 0
	v_mov_b32_e32 v11, v0
	s_mov_b32 s30, 0
.LBB125_15:                             ; =>This Inner Loop Header: Depth=1
	ds_load_b32 v12, v10
	v_add_nc_u32_e32 v11, 0x80, v11
	s_delay_alu instid0(VALU_DEP_1) | instskip(SKIP_4) | instid1(VALU_DEP_1)
	v_cmp_le_i32_e64 s4, s7, v11
	s_wait_alu 0xfffe
	s_or_b32 s30, s4, s30
	s_wait_dscnt 0x0
	v_sub_f32_e32 v12, v12, v1
	v_mul_f32_e32 v12, 0x3fb8aa3b, v12
	s_delay_alu instid0(VALU_DEP_1)
	v_exp_f32_e32 v12, v12
	ds_store_b32 v10, v12
	v_dual_add_f32 v9, v9, v12 :: v_dual_add_nc_u32 v10, 0x200, v10
	s_wait_alu 0xfffe
	s_and_not1_b32 exec_lo, exec_lo, s30
	s_cbranch_execnz .LBB125_15
; %bb.16:
	s_or_b32 exec_lo, exec_lo, s30
.LBB125_17:
	s_wait_alu 0xfffe
	s_or_b32 exec_lo, exec_lo, s29
	ds_bpermute_b32 v2, v2, v9
	s_wait_dscnt 0x0
	v_add_f32_e32 v2, v9, v2
	ds_bpermute_b32 v3, v3, v2
	s_wait_dscnt 0x0
	v_add_f32_e32 v2, v2, v3
	;; [unrolled: 3-line block ×5, first 2 shown]
	s_and_saveexec_b32 s4, vcc_lo
; %bb.18:
	ds_store_b32 v6, v2 offset:528
; %bb.19:
	s_wait_alu 0xfffe
	s_or_b32 exec_lo, exec_lo, s4
	s_wait_loadcnt_dscnt 0x0
	s_barrier_signal -1
	s_barrier_wait -1
	global_inv scope:SCOPE_SE
	s_and_saveexec_b32 s4, s0
; %bb.20:
	ds_load_b32 v2, v130 offset:528
; %bb.21:
	s_wait_alu 0xfffe
	s_or_b32 exec_lo, exec_lo, s4
	s_wait_dscnt 0x0
	ds_bpermute_b32 v3, v8, v2
	s_wait_dscnt 0x0
	v_add_f32_e32 v2, v2, v3
	ds_bpermute_b32 v3, v7, v2
	s_wait_dscnt 0x0
	v_dual_add_f32 v2, v2, v3 :: v_dual_mov_b32 v3, 0
	ds_bpermute_b32 v2, v3, v2
	s_and_saveexec_b32 s0, s1
	s_cbranch_execz .LBB125_24
; %bb.22:
	s_wait_dscnt 0x0
	v_add_f32_e32 v3, 0x358637bd, v2
	s_mov_b32 s1, 0
	s_delay_alu instid0(VALU_DEP_1) | instskip(SKIP_1) | instid1(VALU_DEP_2)
	v_div_scale_f32 v5, null, v3, v3, 1.0
	v_div_scale_f32 v10, vcc_lo, 1.0, v3, 1.0
	v_rcp_f32_e32 v6, v5
	s_delay_alu instid0(TRANS32_DEP_1) | instskip(NEXT) | instid1(VALU_DEP_1)
	v_fma_f32 v9, -v5, v6, 1.0
	v_fmac_f32_e32 v6, v9, v6
	s_delay_alu instid0(VALU_DEP_1) | instskip(NEXT) | instid1(VALU_DEP_1)
	v_mul_f32_e32 v9, v10, v6
	v_fma_f32 v11, -v5, v9, v10
	s_delay_alu instid0(VALU_DEP_1) | instskip(NEXT) | instid1(VALU_DEP_1)
	v_fmac_f32_e32 v9, v11, v6
	v_fma_f32 v5, -v5, v9, v10
	s_wait_alu 0xfffd
	s_delay_alu instid0(VALU_DEP_1) | instskip(NEXT) | instid1(VALU_DEP_1)
	v_div_fmas_f32 v5, v5, v6, v9
	v_div_fixup_f32 v3, v5, v3, 1.0
	v_mov_b32_e32 v5, v0
.LBB125_23:                             ; =>This Inner Loop Header: Depth=1
	ds_load_b32 v6, v4
	s_wait_dscnt 0x0
	v_dual_mul_f32 v6, v3, v6 :: v_dual_add_nc_u32 v5, 0x80, v5
	s_delay_alu instid0(VALU_DEP_1) | instskip(SKIP_3) | instid1(SALU_CYCLE_1)
	v_cmp_le_i32_e32 vcc_lo, s7, v5
	ds_store_b32 v4, v6
	v_add_nc_u32_e32 v4, 0x200, v4
	s_or_b32 s1, vcc_lo, s1
	s_and_not1_b32 exec_lo, exec_lo, s1
	s_cbranch_execnz .LBB125_23
.LBB125_24:
	s_or_b32 exec_lo, exec_lo, s0
	s_mul_i32 s0, s15, s22
	s_wait_loadcnt_dscnt 0x0
	s_mul_i32 s22, s0, s23
	s_mov_b32 s0, exec_lo
	s_barrier_signal -1
	s_barrier_wait -1
	global_inv scope:SCOPE_SE
	v_cmpx_eq_u32_e32 0, v0
	s_cbranch_execz .LBB125_26
; %bb.25:
	s_ashr_i32 s23, s22, 31
	s_mul_i32 s30, s15, ttmp9
	s_lshl_b32 s1, s27, 2
	s_lshl_b64 s[34:35], s[22:23], 2
	s_wait_alu 0xfffe
	s_ashr_i32 s31, s30, 31
	v_mov_b32_e32 v3, s1
	s_wait_kmcnt 0x0
	s_add_nc_u64 s[10:11], s[10:11], s[34:35]
	s_wait_alu 0xfffe
	s_lshl_b64 s[30:31], s[30:31], 2
	s_add_nc_u64 s[8:9], s[8:9], s[34:35]
	s_wait_alu 0xfffe
	s_add_nc_u64 s[10:11], s[10:11], s[30:31]
	s_add_nc_u64 s[8:9], s[8:9], s[30:31]
	s_clause 0x1
	global_store_b32 v3, v1, s[10:11]
	global_store_b32 v3, v2, s[8:9]
.LBB125_26:
	s_or_b32 exec_lo, exec_lo, s0
	v_dual_mov_b32 v39, 0 :: v_dual_mov_b32 v40, 0
	v_dual_mov_b32 v38, 0 :: v_dual_mov_b32 v37, 0
	;; [unrolled: 1-line block ×16, first 2 shown]
	s_and_saveexec_b32 s1, s3
	s_cbranch_execz .LBB125_94
; %bb.27:
	v_dual_mov_b32 v10, 0 :: v_dual_lshlrev_b32 v1, 3, v0
	s_ashr_i32 s7, s6, 31
	v_dual_mov_b32 v13, 0 :: v_dual_mov_b32 v16, 0
	s_delay_alu instid0(VALU_DEP_2) | instskip(SKIP_3) | instid1(VALU_DEP_3)
	v_dual_mov_b32 v12, 0 :: v_dual_and_b32 v41, 24, v1
	v_dual_mov_b32 v9, 0 :: v_dual_and_b32 v2, 0xf8, v1
	v_or_b32_e32 v1, 0x1f00, v1
	v_dual_mov_b32 v11, 0 :: v_dual_mov_b32 v14, 0
	v_dual_mov_b32 v15, 0 :: v_dual_lshlrev_b32 v42, 1, v2
	s_delay_alu instid0(VALU_DEP_3)
	v_dual_mov_b32 v18, 0 :: v_dual_lshlrev_b32 v43, 1, v1
	v_dual_mov_b32 v17, 0 :: v_dual_mov_b32 v20, 0
	v_dual_mov_b32 v19, 0 :: v_dual_mov_b32 v22, 0
	;; [unrolled: 1-line block ×11, first 2 shown]
	v_mov_b32_e32 v39, 0
	s_wait_kmcnt 0x0
	s_lshl_b64 s[8:9], s[18:19], 2
	s_lshl_b32 s0, s12, 2
	s_mov_b32 s10, s5
	s_wait_alu 0xfffe
	s_lshl_b64 s[4:5], s[6:7], 1
	s_add_nc_u64 s[8:9], s[16:17], s[8:9]
	s_sub_co_i32 s3, 0x220, s0
	s_wait_alu 0xfffe
	s_add_nc_u64 s[4:5], s[24:25], s[4:5]
	s_add_co_i32 s28, s28, -1
	s_mov_b32 s6, 0
	s_branch .LBB125_29
.LBB125_28:                             ;   in Loop: Header=BB125_29 Depth=1
	s_wait_alu 0xfffe
	s_or_b32 exec_lo, exec_lo, s0
	v_dual_add_f32 v50, v59, v118 :: v_dual_add_f32 v51, v116, v117
	v_dual_add_f32 v52, v114, v115 :: v_dual_add_f32 v53, v112, v113
	v_add_f32_e32 v54, v110, v111
	s_delay_alu instid0(VALU_DEP_3) | instskip(SKIP_2) | instid1(VALU_DEP_4)
	v_dual_add_f32 v10, v10, v50 :: v_dual_add_f32 v11, v11, v51
	v_add_f32_e32 v51, v104, v105
	v_add_f32_e32 v50, v108, v109
	v_dual_add_f32 v13, v13, v53 :: v_dual_add_f32 v14, v14, v54
	v_add_f32_e32 v53, v100, v101
	s_delay_alu instid0(VALU_DEP_4) | instskip(NEXT) | instid1(VALU_DEP_4)
	v_dual_add_f32 v17, v17, v51 :: v_dual_add_f32 v12, v12, v52
	v_dual_add_f32 v15, v15, v50 :: v_dual_add_f32 v50, v106, v107
	s_delay_alu instid0(VALU_DEP_3) | instskip(SKIP_1) | instid1(VALU_DEP_3)
	v_dual_add_f32 v52, v102, v103 :: v_dual_add_f32 v19, v19, v53
	v_dual_add_f32 v51, v94, v95 :: v_dual_lshlrev_b32 v6, 16, v6
	v_add_f32_e32 v16, v16, v50
	v_add_f32_e32 v50, v96, v97
	;; [unrolled: 1-line block ×4, first 2 shown]
	v_dual_add_f32 v22, v22, v51 :: v_dual_add_f32 v51, v84, v85
	s_delay_alu instid0(VALU_DEP_4) | instskip(NEXT) | instid1(VALU_DEP_4)
	v_add_f32_e32 v21, v21, v50
	v_add_f32_e32 v20, v20, v54
	;; [unrolled: 1-line block ×4, first 2 shown]
	v_dual_add_f32 v52, v92, v93 :: v_dual_add_f32 v27, v27, v51
	v_add_f32_e32 v24, v24, v53
	v_dual_add_f32 v50, v86, v87 :: v_dual_add_f32 v53, v80, v81
	s_delay_alu instid0(VALU_DEP_3) | instskip(SKIP_2) | instid1(VALU_DEP_4)
	v_dual_add_f32 v23, v23, v52 :: v_dual_add_f32 v52, v82, v83
	v_add_f32_e32 v51, v74, v75
	v_add_f32_e32 v25, v25, v54
	;; [unrolled: 1-line block ×3, first 2 shown]
	s_delay_alu instid0(VALU_DEP_4)
	v_dual_add_f32 v28, v28, v52 :: v_dual_lshlrev_b32 v5, 16, v5
	v_add_f32_e32 v52, v72, v73
	v_add_f32_e32 v26, v26, v50
	;; [unrolled: 1-line block ×3, first 2 shown]
	v_dual_add_f32 v32, v32, v51 :: v_dual_lshlrev_b32 v51, 16, v58
	v_add_f32_e32 v54, v78, v79
	v_and_or_b32 v2, 0xffff, v2, v6
	s_delay_alu instid0(VALU_DEP_4) | instskip(NEXT) | instid1(VALU_DEP_4)
	v_dual_add_f32 v31, v31, v50 :: v_dual_add_f32 v50, v66, v67
	v_and_or_b32 v1, 0xffff, v1, v51
	s_delay_alu instid0(VALU_DEP_4)
	v_add_f32_e32 v30, v30, v54
	v_and_or_b32 v3, 0xffff, v3, v5
	;;#ASMSTART
	v_pk_mul_f16 v1, v45, v1;

	;;#ASMEND
	;;#ASMSTART
	v_pk_mul_f16 v2, v44, v2;

	;;#ASMEND
	v_add_f32_e32 v53, v70, v71
	;;#ASMSTART
	v_pk_mul_f16 v3, v46, v3;

	;;#ASMEND
	;;#ASMSTART
	v_pk_mul_f16 v4, v47, v4;

	;;#ASMEND
	;;#ASMSTART
	v_pk_add_f16 v1, v1, v2;

	;;#ASMEND
	v_add_f32_e32 v2, v48, v49
	;;#ASMSTART
	v_pk_add_f16 v1, v1, v3;

	;;#ASMEND
	;;#ASMSTART
	v_pk_add_f16 v1, v1, v4;

	;;#ASMEND
	v_and_b32_e32 v3, 0xffff, v1
	v_lshrrev_b32_e32 v4, 16, v1
	v_add_f32_e32 v1, v60, v61
	v_dual_add_f32 v36, v36, v50 :: v_dual_add_nc_u32 v125, 4, v125
	;;#ASMSTART
	v_cvt_f32_f16 v3, v3;
	;;#ASMEND
	v_add_f32_e32 v5, v62, v63
	v_dual_add_f32 v33, v33, v52 :: v_dual_add_f32 v52, v64, v65
	v_dual_add_f32 v39, v39, v2 :: v_dual_add_f32 v54, v68, v69
	;;#ASMSTART
	v_cvt_f32_f16 v4, v4;
	;;#ASMEND
	v_dual_add_f32 v34, v34, v53 :: v_dual_add_f32 v3, v3, v4
	v_cmp_le_i32_e32 vcc_lo, s26, v125
	v_add_f32_e32 v37, v37, v52
	v_dual_add_f32 v35, v35, v54 :: v_dual_add_f32 v38, v38, v5
	s_delay_alu instid0(VALU_DEP_4)
	v_dual_add_f32 v40, v40, v1 :: v_dual_add_f32 v9, v9, v3
	s_or_b32 s6, vcc_lo, s6
	s_wait_alu 0xfffe
	s_and_not1_b32 exec_lo, exec_lo, s6
	s_cbranch_execz .LBB125_93
.LBB125_29:                             ; =>This Inner Loop Header: Depth=1
	v_ashrrev_i32_e32 v126, 31, v125
	v_lshl_or_b32 v50, v125, 5, v41
	s_delay_alu instid0(VALU_DEP_2) | instskip(NEXT) | instid1(VALU_DEP_2)
	v_lshlrev_b64_e32 v[1:2], 2, v[125:126]
	v_lshl_add_u32 v44, v50, 2, s3
	v_or_b32_e32 v57, 1, v50
	v_or_b32_e32 v56, 2, v50
	;; [unrolled: 1-line block ×3, first 2 shown]
	v_add_co_u32 v1, vcc_lo, s8, v1
	s_wait_alu 0xfffd
	v_add_co_ci_u32_e64 v2, null, s9, v2, vcc_lo
	ds_load_2addr_b64 v[51:54], v44 offset0:2 offset1:3
	global_load_b32 v5, v[1:2], off
	ds_load_2addr_b64 v[1:4], v44 offset1:1
	s_wait_dscnt 0x0
	;;#ASMSTART
	v_cvt_f16_f32 v45, v1;

	;;#ASMEND
	;;#ASMSTART
	v_cvt_f16_f32 v44, v2;

	;;#ASMEND
	;; [unrolled: 4-line block ×8, first 2 shown]
	v_or_b32_e32 v53, 3, v50
	v_or_b32_e32 v52, 4, v50
	;; [unrolled: 1-line block ×4, first 2 shown]
	s_wait_loadcnt 0x0
	v_mad_co_i64_i32 v[5:6], null, v5, s10, 0
	s_delay_alu instid0(VALU_DEP_1) | instskip(SKIP_1) | instid1(VALU_DEP_1)
	v_lshlrev_b64_e32 v[5:6], 1, v[5:6]
	s_wait_alu 0xfffe
	v_add_co_u32 v58, vcc_lo, s4, v5
	s_wait_alu 0xfffd
	s_delay_alu instid0(VALU_DEP_2) | instskip(NEXT) | instid1(VALU_DEP_2)
	v_add_co_ci_u32_e64 v59, null, s5, v6, vcc_lo
	v_add_co_u32 v5, vcc_lo, v58, v42
	s_wait_alu 0xfffd
	s_delay_alu instid0(VALU_DEP_2)
	v_add_co_ci_u32_e64 v6, null, 0, v59, vcc_lo
	v_cmp_eq_u32_e32 vcc_lo, s28, v125
	global_load_b128 v[1:4], v[5:6], off
	s_wait_loadcnt 0x0
	v_lshrrev_b32_e32 v64, 16, v1
	v_lshrrev_b32_e32 v63, 16, v2
	;; [unrolled: 1-line block ×3, first 2 shown]
	s_and_saveexec_b32 s7, vcc_lo
	s_cbranch_execz .LBB125_31
; %bb.30:                               ;   in Loop: Header=BB125_29 Depth=1
	v_cmp_gt_i32_e64 s0, s13, v50
	v_and_b32_e32 v65, 0xffff, v4
	v_and_b32_e32 v4, 0xffff0000, v4
	s_wait_alu 0xf1ff
	s_delay_alu instid0(VALU_DEP_3) | instskip(SKIP_2) | instid1(VALU_DEP_1)
	v_cndmask_b32_e64 v1, 0, v1, s0
	v_cmp_gt_i32_e64 s0, s13, v57
	s_wait_alu 0xf1ff
	v_cndmask_b32_e64 v64, 0, v64, s0
	v_cmp_gt_i32_e64 s0, s13, v56
	s_wait_alu 0xf1ff
	s_delay_alu instid0(VALU_DEP_1) | instskip(SKIP_2) | instid1(VALU_DEP_1)
	v_cndmask_b32_e64 v2, 0, v2, s0
	v_cmp_gt_i32_e64 s0, s13, v53
	s_wait_alu 0xf1ff
	v_cndmask_b32_e64 v63, 0, v63, s0
	v_cmp_gt_i32_e64 s0, s13, v54
	s_wait_alu 0xf1ff
	s_delay_alu instid0(VALU_DEP_1) | instskip(SKIP_2) | instid1(VALU_DEP_1)
	v_cndmask_b32_e64 v65, 0, v65, s0
	v_cmp_gt_i32_e64 s0, s13, v55
	s_wait_alu 0xf1ff
	v_cndmask_b32_e64 v4, 0, v4, s0
	v_cmp_gt_i32_e64 s0, s13, v52
	s_delay_alu instid0(VALU_DEP_2) | instskip(SKIP_1) | instid1(VALU_DEP_2)
	v_or_b32_e32 v4, v65, v4
	s_wait_alu 0xf1ff
	v_cndmask_b32_e64 v3, 0, v3, s0
	v_cmp_gt_i32_e64 s0, s13, v51
	s_wait_alu 0xf1ff
	s_delay_alu instid0(VALU_DEP_1)
	v_cndmask_b32_e64 v62, 0, v62, s0
.LBB125_31:                             ;   in Loop: Header=BB125_29 Depth=1
	s_wait_alu 0xfffe
	s_or_b32 exec_lo, exec_lo, s7
	v_and_b32_e32 v45, 0xffff, v45
	v_and_b32_e32 v60, 0xffff, v60
	v_lshlrev_b32_e32 v64, 16, v64
	v_and_b32_e32 v61, 0xffff, v61
	v_and_b32_e32 v49, 0xffff, v49
	v_lshl_or_b32 v45, v44, 16, v45
	v_lshl_or_b32 v44, v48, 16, v60
	v_lshlrev_b32_e32 v48, 16, v63
	v_lshlrev_b32_e32 v60, 16, v62
	v_and_or_b32 v1, 0xffff, v1, v64
	;;#ASMSTART
	v_pk_mul_f16 v1, v45, v1;

	;;#ASMEND
	v_lshl_or_b32 v46, v46, 16, v61
	v_and_or_b32 v2, 0xffff, v2, v48
	v_and_or_b32 v3, 0xffff, v3, v60
	v_lshl_or_b32 v47, v47, 16, v49
	;;#ASMSTART
	v_pk_mul_f16 v2, v44, v2;

	;;#ASMEND
	;;#ASMSTART
	v_pk_mul_f16 v3, v46, v3;

	;;#ASMEND
	;; [unrolled: 4-line block ×3, first 2 shown]
	;;#ASMSTART
	v_pk_add_f16 v1, v1, v2;

	;;#ASMEND
	;;#ASMSTART
	v_pk_add_f16 v1, v1, v3;

	;;#ASMEND
	;; [unrolled: 4-line block ×3, first 2 shown]
	v_and_b32_e32 v2, 0xffff, v1
	v_lshrrev_b32_e32 v1, 16, v1
	;;#ASMSTART
	v_cvt_f32_f16 v48, v2;
	;;#ASMEND
	;;#ASMSTART
	v_cvt_f32_f16 v49, v1;
	;;#ASMEND
	global_load_b128 v[1:4], v[5:6], off offset:512
	s_wait_loadcnt 0x0
	v_lshrrev_b32_e32 v62, 16, v1
	v_lshrrev_b32_e32 v61, 16, v2
	;; [unrolled: 1-line block ×3, first 2 shown]
	s_and_saveexec_b32 s7, vcc_lo
	s_cbranch_execz .LBB125_33
; %bb.32:                               ;   in Loop: Header=BB125_29 Depth=1
	v_cmp_gt_i32_e64 s0, s13, v50
	v_and_b32_e32 v63, 0xffff, v4
	v_and_b32_e32 v4, 0xffff0000, v4
	s_wait_alu 0xf1ff
	s_delay_alu instid0(VALU_DEP_3) | instskip(SKIP_2) | instid1(VALU_DEP_1)
	v_cndmask_b32_e64 v1, 0, v1, s0
	v_cmp_gt_i32_e64 s0, s13, v57
	s_wait_alu 0xf1ff
	v_cndmask_b32_e64 v62, 0, v62, s0
	v_cmp_gt_i32_e64 s0, s13, v56
	s_wait_alu 0xf1ff
	s_delay_alu instid0(VALU_DEP_1) | instskip(SKIP_2) | instid1(VALU_DEP_1)
	v_cndmask_b32_e64 v2, 0, v2, s0
	v_cmp_gt_i32_e64 s0, s13, v53
	s_wait_alu 0xf1ff
	v_cndmask_b32_e64 v61, 0, v61, s0
	v_cmp_gt_i32_e64 s0, s13, v54
	s_wait_alu 0xf1ff
	s_delay_alu instid0(VALU_DEP_1) | instskip(SKIP_2) | instid1(VALU_DEP_1)
	v_cndmask_b32_e64 v63, 0, v63, s0
	v_cmp_gt_i32_e64 s0, s13, v55
	s_wait_alu 0xf1ff
	v_cndmask_b32_e64 v4, 0, v4, s0
	v_cmp_gt_i32_e64 s0, s13, v52
	s_delay_alu instid0(VALU_DEP_2) | instskip(SKIP_1) | instid1(VALU_DEP_2)
	v_or_b32_e32 v4, v63, v4
	s_wait_alu 0xf1ff
	v_cndmask_b32_e64 v3, 0, v3, s0
	v_cmp_gt_i32_e64 s0, s13, v51
	s_wait_alu 0xf1ff
	s_delay_alu instid0(VALU_DEP_1)
	v_cndmask_b32_e64 v60, 0, v60, s0
.LBB125_33:                             ;   in Loop: Header=BB125_29 Depth=1
	s_wait_alu 0xfffe
	s_or_b32 exec_lo, exec_lo, s7
	v_lshlrev_b32_e32 v62, 16, v62
	v_lshlrev_b32_e32 v61, 16, v61
	;; [unrolled: 1-line block ×3, first 2 shown]
	s_delay_alu instid0(VALU_DEP_3) | instskip(NEXT) | instid1(VALU_DEP_3)
	v_and_or_b32 v1, 0xffff, v1, v62
	v_and_or_b32 v2, 0xffff, v2, v61
	s_delay_alu instid0(VALU_DEP_3)
	v_and_or_b32 v3, 0xffff, v3, v60
	;;#ASMSTART
	v_pk_mul_f16 v1, v45, v1;

	;;#ASMEND
	;;#ASMSTART
	v_pk_mul_f16 v2, v44, v2;

	;;#ASMEND
	;; [unrolled: 4-line block ×4, first 2 shown]
	;;#ASMSTART
	v_pk_add_f16 v1, v1, v2;

	;;#ASMEND
	;;#ASMSTART
	v_pk_add_f16 v1, v1, v3;

	;;#ASMEND
	;; [unrolled: 4-line block ×3, first 2 shown]
	v_and_b32_e32 v2, 0xffff, v1
	v_lshrrev_b32_e32 v1, 16, v1
	;;#ASMSTART
	v_cvt_f32_f16 v60, v2;
	;;#ASMEND
	;;#ASMSTART
	v_cvt_f32_f16 v61, v1;
	;;#ASMEND
	global_load_b128 v[1:4], v[5:6], off offset:1024
	s_wait_loadcnt 0x0
	v_lshrrev_b32_e32 v64, 16, v1
	v_lshrrev_b32_e32 v63, 16, v2
	;; [unrolled: 1-line block ×3, first 2 shown]
	s_and_saveexec_b32 s7, vcc_lo
	s_cbranch_execz .LBB125_35
; %bb.34:                               ;   in Loop: Header=BB125_29 Depth=1
	v_cmp_gt_i32_e64 s0, s13, v50
	v_and_b32_e32 v65, 0xffff, v4
	v_and_b32_e32 v4, 0xffff0000, v4
	s_wait_alu 0xf1ff
	s_delay_alu instid0(VALU_DEP_3) | instskip(SKIP_2) | instid1(VALU_DEP_1)
	v_cndmask_b32_e64 v1, 0, v1, s0
	v_cmp_gt_i32_e64 s0, s13, v57
	s_wait_alu 0xf1ff
	v_cndmask_b32_e64 v64, 0, v64, s0
	v_cmp_gt_i32_e64 s0, s13, v56
	s_wait_alu 0xf1ff
	s_delay_alu instid0(VALU_DEP_1) | instskip(SKIP_2) | instid1(VALU_DEP_1)
	v_cndmask_b32_e64 v2, 0, v2, s0
	v_cmp_gt_i32_e64 s0, s13, v53
	s_wait_alu 0xf1ff
	v_cndmask_b32_e64 v63, 0, v63, s0
	v_cmp_gt_i32_e64 s0, s13, v54
	s_wait_alu 0xf1ff
	s_delay_alu instid0(VALU_DEP_1) | instskip(SKIP_2) | instid1(VALU_DEP_1)
	v_cndmask_b32_e64 v65, 0, v65, s0
	v_cmp_gt_i32_e64 s0, s13, v55
	s_wait_alu 0xf1ff
	v_cndmask_b32_e64 v4, 0, v4, s0
	v_cmp_gt_i32_e64 s0, s13, v52
	s_delay_alu instid0(VALU_DEP_2) | instskip(SKIP_1) | instid1(VALU_DEP_2)
	v_or_b32_e32 v4, v65, v4
	s_wait_alu 0xf1ff
	v_cndmask_b32_e64 v3, 0, v3, s0
	v_cmp_gt_i32_e64 s0, s13, v51
	s_wait_alu 0xf1ff
	s_delay_alu instid0(VALU_DEP_1)
	v_cndmask_b32_e64 v62, 0, v62, s0
.LBB125_35:                             ;   in Loop: Header=BB125_29 Depth=1
	s_wait_alu 0xfffe
	s_or_b32 exec_lo, exec_lo, s7
	v_lshlrev_b32_e32 v64, 16, v64
	v_lshlrev_b32_e32 v63, 16, v63
	v_lshlrev_b32_e32 v62, 16, v62
	s_delay_alu instid0(VALU_DEP_3) | instskip(NEXT) | instid1(VALU_DEP_3)
	v_and_or_b32 v1, 0xffff, v1, v64
	v_and_or_b32 v2, 0xffff, v2, v63
	s_delay_alu instid0(VALU_DEP_3)
	v_and_or_b32 v3, 0xffff, v3, v62
	;;#ASMSTART
	v_pk_mul_f16 v1, v45, v1;

	;;#ASMEND
	;;#ASMSTART
	v_pk_mul_f16 v2, v44, v2;

	;;#ASMEND
	;; [unrolled: 4-line block ×4, first 2 shown]
	;;#ASMSTART
	v_pk_add_f16 v1, v1, v2;

	;;#ASMEND
	;;#ASMSTART
	v_pk_add_f16 v1, v1, v3;

	;;#ASMEND
	;; [unrolled: 4-line block ×3, first 2 shown]
	v_and_b32_e32 v2, 0xffff, v1
	v_lshrrev_b32_e32 v1, 16, v1
	;;#ASMSTART
	v_cvt_f32_f16 v62, v2;
	;;#ASMEND
	;;#ASMSTART
	v_cvt_f32_f16 v63, v1;
	;;#ASMEND
	global_load_b128 v[1:4], v[5:6], off offset:1536
	s_wait_loadcnt 0x0
	v_lshrrev_b32_e32 v66, 16, v1
	v_lshrrev_b32_e32 v65, 16, v2
	;; [unrolled: 1-line block ×3, first 2 shown]
	s_and_saveexec_b32 s7, vcc_lo
	s_cbranch_execz .LBB125_37
; %bb.36:                               ;   in Loop: Header=BB125_29 Depth=1
	v_cmp_gt_i32_e64 s0, s13, v50
	v_and_b32_e32 v67, 0xffff, v4
	v_and_b32_e32 v4, 0xffff0000, v4
	s_wait_alu 0xf1ff
	s_delay_alu instid0(VALU_DEP_3) | instskip(SKIP_2) | instid1(VALU_DEP_1)
	v_cndmask_b32_e64 v1, 0, v1, s0
	v_cmp_gt_i32_e64 s0, s13, v57
	s_wait_alu 0xf1ff
	v_cndmask_b32_e64 v66, 0, v66, s0
	v_cmp_gt_i32_e64 s0, s13, v56
	s_wait_alu 0xf1ff
	s_delay_alu instid0(VALU_DEP_1) | instskip(SKIP_2) | instid1(VALU_DEP_1)
	v_cndmask_b32_e64 v2, 0, v2, s0
	v_cmp_gt_i32_e64 s0, s13, v53
	s_wait_alu 0xf1ff
	v_cndmask_b32_e64 v65, 0, v65, s0
	v_cmp_gt_i32_e64 s0, s13, v54
	s_wait_alu 0xf1ff
	s_delay_alu instid0(VALU_DEP_1) | instskip(SKIP_2) | instid1(VALU_DEP_1)
	v_cndmask_b32_e64 v67, 0, v67, s0
	v_cmp_gt_i32_e64 s0, s13, v55
	s_wait_alu 0xf1ff
	v_cndmask_b32_e64 v4, 0, v4, s0
	v_cmp_gt_i32_e64 s0, s13, v52
	s_delay_alu instid0(VALU_DEP_2) | instskip(SKIP_1) | instid1(VALU_DEP_2)
	v_or_b32_e32 v4, v67, v4
	s_wait_alu 0xf1ff
	v_cndmask_b32_e64 v3, 0, v3, s0
	v_cmp_gt_i32_e64 s0, s13, v51
	s_wait_alu 0xf1ff
	s_delay_alu instid0(VALU_DEP_1)
	v_cndmask_b32_e64 v64, 0, v64, s0
.LBB125_37:                             ;   in Loop: Header=BB125_29 Depth=1
	s_wait_alu 0xfffe
	s_or_b32 exec_lo, exec_lo, s7
	v_lshlrev_b32_e32 v66, 16, v66
	v_lshlrev_b32_e32 v65, 16, v65
	;; [unrolled: 1-line block ×3, first 2 shown]
	s_delay_alu instid0(VALU_DEP_3) | instskip(NEXT) | instid1(VALU_DEP_3)
	v_and_or_b32 v1, 0xffff, v1, v66
	v_and_or_b32 v2, 0xffff, v2, v65
	s_delay_alu instid0(VALU_DEP_3)
	v_and_or_b32 v3, 0xffff, v3, v64
	;;#ASMSTART
	v_pk_mul_f16 v1, v45, v1;

	;;#ASMEND
	;;#ASMSTART
	v_pk_mul_f16 v2, v44, v2;

	;;#ASMEND
	;; [unrolled: 4-line block ×4, first 2 shown]
	;;#ASMSTART
	v_pk_add_f16 v1, v1, v2;

	;;#ASMEND
	;;#ASMSTART
	v_pk_add_f16 v1, v1, v3;

	;;#ASMEND
	;;#ASMSTART
	v_pk_add_f16 v1, v1, v4;

	;;#ASMEND
	v_and_b32_e32 v2, 0xffff, v1
	v_lshrrev_b32_e32 v1, 16, v1
	;;#ASMSTART
	v_cvt_f32_f16 v64, v2;
	;;#ASMEND
	;;#ASMSTART
	v_cvt_f32_f16 v65, v1;
	;;#ASMEND
	global_load_b128 v[1:4], v[5:6], off offset:2048
	s_wait_loadcnt 0x0
	v_lshrrev_b32_e32 v68, 16, v1
	v_lshrrev_b32_e32 v67, 16, v2
	v_lshrrev_b32_e32 v66, 16, v3
	s_and_saveexec_b32 s7, vcc_lo
	s_cbranch_execz .LBB125_39
; %bb.38:                               ;   in Loop: Header=BB125_29 Depth=1
	v_cmp_gt_i32_e64 s0, s13, v50
	v_and_b32_e32 v69, 0xffff, v4
	v_and_b32_e32 v4, 0xffff0000, v4
	s_wait_alu 0xf1ff
	s_delay_alu instid0(VALU_DEP_3) | instskip(SKIP_2) | instid1(VALU_DEP_1)
	v_cndmask_b32_e64 v1, 0, v1, s0
	v_cmp_gt_i32_e64 s0, s13, v57
	s_wait_alu 0xf1ff
	v_cndmask_b32_e64 v68, 0, v68, s0
	v_cmp_gt_i32_e64 s0, s13, v56
	s_wait_alu 0xf1ff
	s_delay_alu instid0(VALU_DEP_1) | instskip(SKIP_2) | instid1(VALU_DEP_1)
	v_cndmask_b32_e64 v2, 0, v2, s0
	v_cmp_gt_i32_e64 s0, s13, v53
	s_wait_alu 0xf1ff
	v_cndmask_b32_e64 v67, 0, v67, s0
	v_cmp_gt_i32_e64 s0, s13, v54
	s_wait_alu 0xf1ff
	s_delay_alu instid0(VALU_DEP_1) | instskip(SKIP_2) | instid1(VALU_DEP_1)
	v_cndmask_b32_e64 v69, 0, v69, s0
	v_cmp_gt_i32_e64 s0, s13, v55
	s_wait_alu 0xf1ff
	v_cndmask_b32_e64 v4, 0, v4, s0
	v_cmp_gt_i32_e64 s0, s13, v52
	s_delay_alu instid0(VALU_DEP_2) | instskip(SKIP_1) | instid1(VALU_DEP_2)
	v_or_b32_e32 v4, v69, v4
	s_wait_alu 0xf1ff
	v_cndmask_b32_e64 v3, 0, v3, s0
	v_cmp_gt_i32_e64 s0, s13, v51
	s_wait_alu 0xf1ff
	s_delay_alu instid0(VALU_DEP_1)
	v_cndmask_b32_e64 v66, 0, v66, s0
.LBB125_39:                             ;   in Loop: Header=BB125_29 Depth=1
	s_wait_alu 0xfffe
	s_or_b32 exec_lo, exec_lo, s7
	v_lshlrev_b32_e32 v68, 16, v68
	v_lshlrev_b32_e32 v67, 16, v67
	;; [unrolled: 1-line block ×3, first 2 shown]
	s_delay_alu instid0(VALU_DEP_3) | instskip(NEXT) | instid1(VALU_DEP_3)
	v_and_or_b32 v1, 0xffff, v1, v68
	v_and_or_b32 v2, 0xffff, v2, v67
	s_delay_alu instid0(VALU_DEP_3)
	v_and_or_b32 v3, 0xffff, v3, v66
	;;#ASMSTART
	v_pk_mul_f16 v1, v45, v1;

	;;#ASMEND
	;;#ASMSTART
	v_pk_mul_f16 v2, v44, v2;

	;;#ASMEND
	;; [unrolled: 4-line block ×4, first 2 shown]
	;;#ASMSTART
	v_pk_add_f16 v1, v1, v2;

	;;#ASMEND
	;;#ASMSTART
	v_pk_add_f16 v1, v1, v3;

	;;#ASMEND
	;; [unrolled: 4-line block ×3, first 2 shown]
	v_and_b32_e32 v2, 0xffff, v1
	v_lshrrev_b32_e32 v1, 16, v1
	;;#ASMSTART
	v_cvt_f32_f16 v66, v2;
	;;#ASMEND
	;;#ASMSTART
	v_cvt_f32_f16 v67, v1;
	;;#ASMEND
	global_load_b128 v[1:4], v[5:6], off offset:2560
	s_wait_loadcnt 0x0
	v_lshrrev_b32_e32 v70, 16, v1
	v_lshrrev_b32_e32 v69, 16, v2
	;; [unrolled: 1-line block ×3, first 2 shown]
	s_and_saveexec_b32 s7, vcc_lo
	s_cbranch_execz .LBB125_41
; %bb.40:                               ;   in Loop: Header=BB125_29 Depth=1
	v_cmp_gt_i32_e64 s0, s13, v50
	v_and_b32_e32 v71, 0xffff, v4
	v_and_b32_e32 v4, 0xffff0000, v4
	s_wait_alu 0xf1ff
	s_delay_alu instid0(VALU_DEP_3) | instskip(SKIP_2) | instid1(VALU_DEP_1)
	v_cndmask_b32_e64 v1, 0, v1, s0
	v_cmp_gt_i32_e64 s0, s13, v57
	s_wait_alu 0xf1ff
	v_cndmask_b32_e64 v70, 0, v70, s0
	v_cmp_gt_i32_e64 s0, s13, v56
	s_wait_alu 0xf1ff
	s_delay_alu instid0(VALU_DEP_1) | instskip(SKIP_2) | instid1(VALU_DEP_1)
	v_cndmask_b32_e64 v2, 0, v2, s0
	v_cmp_gt_i32_e64 s0, s13, v53
	s_wait_alu 0xf1ff
	v_cndmask_b32_e64 v69, 0, v69, s0
	v_cmp_gt_i32_e64 s0, s13, v54
	s_wait_alu 0xf1ff
	s_delay_alu instid0(VALU_DEP_1) | instskip(SKIP_2) | instid1(VALU_DEP_1)
	v_cndmask_b32_e64 v71, 0, v71, s0
	v_cmp_gt_i32_e64 s0, s13, v55
	s_wait_alu 0xf1ff
	v_cndmask_b32_e64 v4, 0, v4, s0
	v_cmp_gt_i32_e64 s0, s13, v52
	s_delay_alu instid0(VALU_DEP_2) | instskip(SKIP_1) | instid1(VALU_DEP_2)
	v_or_b32_e32 v4, v71, v4
	s_wait_alu 0xf1ff
	v_cndmask_b32_e64 v3, 0, v3, s0
	v_cmp_gt_i32_e64 s0, s13, v51
	s_wait_alu 0xf1ff
	s_delay_alu instid0(VALU_DEP_1)
	v_cndmask_b32_e64 v68, 0, v68, s0
.LBB125_41:                             ;   in Loop: Header=BB125_29 Depth=1
	s_wait_alu 0xfffe
	s_or_b32 exec_lo, exec_lo, s7
	v_lshlrev_b32_e32 v70, 16, v70
	v_lshlrev_b32_e32 v69, 16, v69
	;; [unrolled: 1-line block ×3, first 2 shown]
	s_delay_alu instid0(VALU_DEP_3) | instskip(NEXT) | instid1(VALU_DEP_3)
	v_and_or_b32 v1, 0xffff, v1, v70
	v_and_or_b32 v2, 0xffff, v2, v69
	s_delay_alu instid0(VALU_DEP_3)
	v_and_or_b32 v3, 0xffff, v3, v68
	;;#ASMSTART
	v_pk_mul_f16 v1, v45, v1;

	;;#ASMEND
	;;#ASMSTART
	v_pk_mul_f16 v2, v44, v2;

	;;#ASMEND
	;; [unrolled: 4-line block ×4, first 2 shown]
	;;#ASMSTART
	v_pk_add_f16 v1, v1, v2;

	;;#ASMEND
	;;#ASMSTART
	v_pk_add_f16 v1, v1, v3;

	;;#ASMEND
	;; [unrolled: 4-line block ×3, first 2 shown]
	v_and_b32_e32 v2, 0xffff, v1
	v_lshrrev_b32_e32 v1, 16, v1
	;;#ASMSTART
	v_cvt_f32_f16 v68, v2;
	;;#ASMEND
	;;#ASMSTART
	v_cvt_f32_f16 v69, v1;
	;;#ASMEND
	global_load_b128 v[1:4], v[5:6], off offset:3072
	s_wait_loadcnt 0x0
	v_lshrrev_b32_e32 v72, 16, v1
	v_lshrrev_b32_e32 v71, 16, v2
	;; [unrolled: 1-line block ×3, first 2 shown]
	s_and_saveexec_b32 s7, vcc_lo
	s_cbranch_execz .LBB125_43
; %bb.42:                               ;   in Loop: Header=BB125_29 Depth=1
	v_cmp_gt_i32_e64 s0, s13, v50
	v_and_b32_e32 v73, 0xffff, v4
	v_and_b32_e32 v4, 0xffff0000, v4
	s_wait_alu 0xf1ff
	s_delay_alu instid0(VALU_DEP_3) | instskip(SKIP_2) | instid1(VALU_DEP_1)
	v_cndmask_b32_e64 v1, 0, v1, s0
	v_cmp_gt_i32_e64 s0, s13, v57
	s_wait_alu 0xf1ff
	v_cndmask_b32_e64 v72, 0, v72, s0
	v_cmp_gt_i32_e64 s0, s13, v56
	s_wait_alu 0xf1ff
	s_delay_alu instid0(VALU_DEP_1) | instskip(SKIP_2) | instid1(VALU_DEP_1)
	v_cndmask_b32_e64 v2, 0, v2, s0
	v_cmp_gt_i32_e64 s0, s13, v53
	s_wait_alu 0xf1ff
	v_cndmask_b32_e64 v71, 0, v71, s0
	v_cmp_gt_i32_e64 s0, s13, v54
	s_wait_alu 0xf1ff
	s_delay_alu instid0(VALU_DEP_1) | instskip(SKIP_2) | instid1(VALU_DEP_1)
	v_cndmask_b32_e64 v73, 0, v73, s0
	v_cmp_gt_i32_e64 s0, s13, v55
	s_wait_alu 0xf1ff
	v_cndmask_b32_e64 v4, 0, v4, s0
	v_cmp_gt_i32_e64 s0, s13, v52
	s_delay_alu instid0(VALU_DEP_2) | instskip(SKIP_1) | instid1(VALU_DEP_2)
	v_or_b32_e32 v4, v73, v4
	s_wait_alu 0xf1ff
	v_cndmask_b32_e64 v3, 0, v3, s0
	v_cmp_gt_i32_e64 s0, s13, v51
	s_wait_alu 0xf1ff
	s_delay_alu instid0(VALU_DEP_1)
	v_cndmask_b32_e64 v70, 0, v70, s0
.LBB125_43:                             ;   in Loop: Header=BB125_29 Depth=1
	s_wait_alu 0xfffe
	s_or_b32 exec_lo, exec_lo, s7
	v_lshlrev_b32_e32 v72, 16, v72
	v_lshlrev_b32_e32 v71, 16, v71
	;; [unrolled: 1-line block ×3, first 2 shown]
	s_delay_alu instid0(VALU_DEP_3) | instskip(NEXT) | instid1(VALU_DEP_3)
	v_and_or_b32 v1, 0xffff, v1, v72
	v_and_or_b32 v2, 0xffff, v2, v71
	s_delay_alu instid0(VALU_DEP_3)
	v_and_or_b32 v3, 0xffff, v3, v70
	;;#ASMSTART
	v_pk_mul_f16 v1, v45, v1;

	;;#ASMEND
	;;#ASMSTART
	v_pk_mul_f16 v2, v44, v2;

	;;#ASMEND
	;;#ASMSTART
	v_pk_mul_f16 v3, v46, v3;

	;;#ASMEND
	;;#ASMSTART
	v_pk_mul_f16 v4, v47, v4;

	;;#ASMEND
	;;#ASMSTART
	v_pk_add_f16 v1, v1, v2;

	;;#ASMEND
	;;#ASMSTART
	v_pk_add_f16 v1, v1, v3;

	;;#ASMEND
	;; [unrolled: 4-line block ×3, first 2 shown]
	v_and_b32_e32 v2, 0xffff, v1
	v_lshrrev_b32_e32 v1, 16, v1
	;;#ASMSTART
	v_cvt_f32_f16 v70, v2;
	;;#ASMEND
	;;#ASMSTART
	v_cvt_f32_f16 v71, v1;
	;;#ASMEND
	global_load_b128 v[1:4], v[5:6], off offset:3584
	s_wait_loadcnt 0x0
	v_lshrrev_b32_e32 v74, 16, v1
	v_lshrrev_b32_e32 v73, 16, v2
	;; [unrolled: 1-line block ×3, first 2 shown]
	s_and_saveexec_b32 s7, vcc_lo
	s_cbranch_execz .LBB125_45
; %bb.44:                               ;   in Loop: Header=BB125_29 Depth=1
	v_cmp_gt_i32_e64 s0, s13, v50
	v_and_b32_e32 v75, 0xffff, v4
	v_and_b32_e32 v4, 0xffff0000, v4
	s_wait_alu 0xf1ff
	s_delay_alu instid0(VALU_DEP_3) | instskip(SKIP_2) | instid1(VALU_DEP_1)
	v_cndmask_b32_e64 v1, 0, v1, s0
	v_cmp_gt_i32_e64 s0, s13, v57
	s_wait_alu 0xf1ff
	v_cndmask_b32_e64 v74, 0, v74, s0
	v_cmp_gt_i32_e64 s0, s13, v56
	s_wait_alu 0xf1ff
	s_delay_alu instid0(VALU_DEP_1) | instskip(SKIP_2) | instid1(VALU_DEP_1)
	v_cndmask_b32_e64 v2, 0, v2, s0
	v_cmp_gt_i32_e64 s0, s13, v53
	s_wait_alu 0xf1ff
	v_cndmask_b32_e64 v73, 0, v73, s0
	v_cmp_gt_i32_e64 s0, s13, v54
	s_wait_alu 0xf1ff
	s_delay_alu instid0(VALU_DEP_1) | instskip(SKIP_2) | instid1(VALU_DEP_1)
	v_cndmask_b32_e64 v75, 0, v75, s0
	v_cmp_gt_i32_e64 s0, s13, v55
	s_wait_alu 0xf1ff
	v_cndmask_b32_e64 v4, 0, v4, s0
	v_cmp_gt_i32_e64 s0, s13, v52
	s_delay_alu instid0(VALU_DEP_2) | instskip(SKIP_1) | instid1(VALU_DEP_2)
	v_or_b32_e32 v4, v75, v4
	s_wait_alu 0xf1ff
	v_cndmask_b32_e64 v3, 0, v3, s0
	v_cmp_gt_i32_e64 s0, s13, v51
	s_wait_alu 0xf1ff
	s_delay_alu instid0(VALU_DEP_1)
	v_cndmask_b32_e64 v72, 0, v72, s0
.LBB125_45:                             ;   in Loop: Header=BB125_29 Depth=1
	s_wait_alu 0xfffe
	s_or_b32 exec_lo, exec_lo, s7
	v_lshlrev_b32_e32 v74, 16, v74
	v_lshlrev_b32_e32 v73, 16, v73
	v_lshlrev_b32_e32 v72, 16, v72
	s_delay_alu instid0(VALU_DEP_3) | instskip(NEXT) | instid1(VALU_DEP_3)
	v_and_or_b32 v1, 0xffff, v1, v74
	v_and_or_b32 v2, 0xffff, v2, v73
	s_delay_alu instid0(VALU_DEP_3)
	v_and_or_b32 v3, 0xffff, v3, v72
	;;#ASMSTART
	v_pk_mul_f16 v1, v45, v1;

	;;#ASMEND
	;;#ASMSTART
	v_pk_mul_f16 v2, v44, v2;

	;;#ASMEND
	;; [unrolled: 4-line block ×4, first 2 shown]
	;;#ASMSTART
	v_pk_add_f16 v1, v1, v2;

	;;#ASMEND
	;;#ASMSTART
	v_pk_add_f16 v1, v1, v3;

	;;#ASMEND
	;; [unrolled: 4-line block ×3, first 2 shown]
	v_and_b32_e32 v2, 0xffff, v1
	v_lshrrev_b32_e32 v1, 16, v1
	;;#ASMSTART
	v_cvt_f32_f16 v72, v2;
	;;#ASMEND
	;;#ASMSTART
	v_cvt_f32_f16 v73, v1;
	;;#ASMEND
	global_load_b128 v[1:4], v[5:6], off offset:4096
	s_wait_loadcnt 0x0
	v_lshrrev_b32_e32 v76, 16, v1
	v_lshrrev_b32_e32 v75, 16, v2
	;; [unrolled: 1-line block ×3, first 2 shown]
	s_and_saveexec_b32 s7, vcc_lo
	s_cbranch_execz .LBB125_47
; %bb.46:                               ;   in Loop: Header=BB125_29 Depth=1
	v_cmp_gt_i32_e64 s0, s13, v50
	v_and_b32_e32 v77, 0xffff, v4
	v_and_b32_e32 v4, 0xffff0000, v4
	s_wait_alu 0xf1ff
	s_delay_alu instid0(VALU_DEP_3) | instskip(SKIP_2) | instid1(VALU_DEP_1)
	v_cndmask_b32_e64 v1, 0, v1, s0
	v_cmp_gt_i32_e64 s0, s13, v57
	s_wait_alu 0xf1ff
	v_cndmask_b32_e64 v76, 0, v76, s0
	v_cmp_gt_i32_e64 s0, s13, v56
	s_wait_alu 0xf1ff
	s_delay_alu instid0(VALU_DEP_1) | instskip(SKIP_2) | instid1(VALU_DEP_1)
	v_cndmask_b32_e64 v2, 0, v2, s0
	v_cmp_gt_i32_e64 s0, s13, v53
	s_wait_alu 0xf1ff
	v_cndmask_b32_e64 v75, 0, v75, s0
	v_cmp_gt_i32_e64 s0, s13, v54
	s_wait_alu 0xf1ff
	s_delay_alu instid0(VALU_DEP_1) | instskip(SKIP_2) | instid1(VALU_DEP_1)
	v_cndmask_b32_e64 v77, 0, v77, s0
	v_cmp_gt_i32_e64 s0, s13, v55
	s_wait_alu 0xf1ff
	v_cndmask_b32_e64 v4, 0, v4, s0
	v_cmp_gt_i32_e64 s0, s13, v52
	s_delay_alu instid0(VALU_DEP_2) | instskip(SKIP_1) | instid1(VALU_DEP_2)
	v_or_b32_e32 v4, v77, v4
	s_wait_alu 0xf1ff
	v_cndmask_b32_e64 v3, 0, v3, s0
	v_cmp_gt_i32_e64 s0, s13, v51
	s_wait_alu 0xf1ff
	s_delay_alu instid0(VALU_DEP_1)
	v_cndmask_b32_e64 v74, 0, v74, s0
.LBB125_47:                             ;   in Loop: Header=BB125_29 Depth=1
	s_wait_alu 0xfffe
	s_or_b32 exec_lo, exec_lo, s7
	v_lshlrev_b32_e32 v76, 16, v76
	v_lshlrev_b32_e32 v75, 16, v75
	;; [unrolled: 1-line block ×3, first 2 shown]
	s_delay_alu instid0(VALU_DEP_3) | instskip(NEXT) | instid1(VALU_DEP_3)
	v_and_or_b32 v1, 0xffff, v1, v76
	v_and_or_b32 v2, 0xffff, v2, v75
	s_delay_alu instid0(VALU_DEP_3)
	v_and_or_b32 v3, 0xffff, v3, v74
	;;#ASMSTART
	v_pk_mul_f16 v1, v45, v1;

	;;#ASMEND
	;;#ASMSTART
	v_pk_mul_f16 v2, v44, v2;

	;;#ASMEND
	;; [unrolled: 4-line block ×4, first 2 shown]
	;;#ASMSTART
	v_pk_add_f16 v1, v1, v2;

	;;#ASMEND
	;;#ASMSTART
	v_pk_add_f16 v1, v1, v3;

	;;#ASMEND
	;;#ASMSTART
	v_pk_add_f16 v1, v1, v4;

	;;#ASMEND
	v_and_b32_e32 v2, 0xffff, v1
	v_lshrrev_b32_e32 v1, 16, v1
	;;#ASMSTART
	v_cvt_f32_f16 v74, v2;
	;;#ASMEND
	;;#ASMSTART
	v_cvt_f32_f16 v75, v1;
	;;#ASMEND
	global_load_b128 v[1:4], v[5:6], off offset:4608
	s_wait_loadcnt 0x0
	v_lshrrev_b32_e32 v78, 16, v1
	v_lshrrev_b32_e32 v77, 16, v2
	;; [unrolled: 1-line block ×3, first 2 shown]
	s_and_saveexec_b32 s7, vcc_lo
	s_cbranch_execz .LBB125_49
; %bb.48:                               ;   in Loop: Header=BB125_29 Depth=1
	v_cmp_gt_i32_e64 s0, s13, v50
	v_and_b32_e32 v79, 0xffff, v4
	v_and_b32_e32 v4, 0xffff0000, v4
	s_wait_alu 0xf1ff
	s_delay_alu instid0(VALU_DEP_3) | instskip(SKIP_2) | instid1(VALU_DEP_1)
	v_cndmask_b32_e64 v1, 0, v1, s0
	v_cmp_gt_i32_e64 s0, s13, v57
	s_wait_alu 0xf1ff
	v_cndmask_b32_e64 v78, 0, v78, s0
	v_cmp_gt_i32_e64 s0, s13, v56
	s_wait_alu 0xf1ff
	s_delay_alu instid0(VALU_DEP_1) | instskip(SKIP_2) | instid1(VALU_DEP_1)
	v_cndmask_b32_e64 v2, 0, v2, s0
	v_cmp_gt_i32_e64 s0, s13, v53
	s_wait_alu 0xf1ff
	v_cndmask_b32_e64 v77, 0, v77, s0
	v_cmp_gt_i32_e64 s0, s13, v54
	s_wait_alu 0xf1ff
	s_delay_alu instid0(VALU_DEP_1) | instskip(SKIP_2) | instid1(VALU_DEP_1)
	v_cndmask_b32_e64 v79, 0, v79, s0
	v_cmp_gt_i32_e64 s0, s13, v55
	s_wait_alu 0xf1ff
	v_cndmask_b32_e64 v4, 0, v4, s0
	v_cmp_gt_i32_e64 s0, s13, v52
	s_delay_alu instid0(VALU_DEP_2) | instskip(SKIP_1) | instid1(VALU_DEP_2)
	v_or_b32_e32 v4, v79, v4
	s_wait_alu 0xf1ff
	v_cndmask_b32_e64 v3, 0, v3, s0
	v_cmp_gt_i32_e64 s0, s13, v51
	s_wait_alu 0xf1ff
	s_delay_alu instid0(VALU_DEP_1)
	v_cndmask_b32_e64 v76, 0, v76, s0
.LBB125_49:                             ;   in Loop: Header=BB125_29 Depth=1
	s_wait_alu 0xfffe
	s_or_b32 exec_lo, exec_lo, s7
	v_lshlrev_b32_e32 v78, 16, v78
	v_lshlrev_b32_e32 v77, 16, v77
	;; [unrolled: 1-line block ×3, first 2 shown]
	s_delay_alu instid0(VALU_DEP_3) | instskip(NEXT) | instid1(VALU_DEP_3)
	v_and_or_b32 v1, 0xffff, v1, v78
	v_and_or_b32 v2, 0xffff, v2, v77
	s_delay_alu instid0(VALU_DEP_3)
	v_and_or_b32 v3, 0xffff, v3, v76
	;;#ASMSTART
	v_pk_mul_f16 v1, v45, v1;

	;;#ASMEND
	;;#ASMSTART
	v_pk_mul_f16 v2, v44, v2;

	;;#ASMEND
	;; [unrolled: 4-line block ×4, first 2 shown]
	;;#ASMSTART
	v_pk_add_f16 v1, v1, v2;

	;;#ASMEND
	;;#ASMSTART
	v_pk_add_f16 v1, v1, v3;

	;;#ASMEND
	;;#ASMSTART
	v_pk_add_f16 v1, v1, v4;

	;;#ASMEND
	v_and_b32_e32 v2, 0xffff, v1
	v_lshrrev_b32_e32 v1, 16, v1
	;;#ASMSTART
	v_cvt_f32_f16 v76, v2;
	;;#ASMEND
	;;#ASMSTART
	v_cvt_f32_f16 v77, v1;
	;;#ASMEND
	global_load_b128 v[1:4], v[5:6], off offset:5120
	s_wait_loadcnt 0x0
	v_lshrrev_b32_e32 v80, 16, v1
	v_lshrrev_b32_e32 v79, 16, v2
	;; [unrolled: 1-line block ×3, first 2 shown]
	s_and_saveexec_b32 s7, vcc_lo
	s_cbranch_execz .LBB125_51
; %bb.50:                               ;   in Loop: Header=BB125_29 Depth=1
	v_cmp_gt_i32_e64 s0, s13, v50
	v_and_b32_e32 v81, 0xffff, v4
	v_and_b32_e32 v4, 0xffff0000, v4
	s_wait_alu 0xf1ff
	s_delay_alu instid0(VALU_DEP_3) | instskip(SKIP_2) | instid1(VALU_DEP_1)
	v_cndmask_b32_e64 v1, 0, v1, s0
	v_cmp_gt_i32_e64 s0, s13, v57
	s_wait_alu 0xf1ff
	v_cndmask_b32_e64 v80, 0, v80, s0
	v_cmp_gt_i32_e64 s0, s13, v56
	s_wait_alu 0xf1ff
	s_delay_alu instid0(VALU_DEP_1) | instskip(SKIP_2) | instid1(VALU_DEP_1)
	v_cndmask_b32_e64 v2, 0, v2, s0
	v_cmp_gt_i32_e64 s0, s13, v53
	s_wait_alu 0xf1ff
	v_cndmask_b32_e64 v79, 0, v79, s0
	v_cmp_gt_i32_e64 s0, s13, v54
	s_wait_alu 0xf1ff
	s_delay_alu instid0(VALU_DEP_1) | instskip(SKIP_2) | instid1(VALU_DEP_1)
	v_cndmask_b32_e64 v81, 0, v81, s0
	v_cmp_gt_i32_e64 s0, s13, v55
	s_wait_alu 0xf1ff
	v_cndmask_b32_e64 v4, 0, v4, s0
	v_cmp_gt_i32_e64 s0, s13, v52
	s_delay_alu instid0(VALU_DEP_2) | instskip(SKIP_1) | instid1(VALU_DEP_2)
	v_or_b32_e32 v4, v81, v4
	s_wait_alu 0xf1ff
	v_cndmask_b32_e64 v3, 0, v3, s0
	v_cmp_gt_i32_e64 s0, s13, v51
	s_wait_alu 0xf1ff
	s_delay_alu instid0(VALU_DEP_1)
	v_cndmask_b32_e64 v78, 0, v78, s0
.LBB125_51:                             ;   in Loop: Header=BB125_29 Depth=1
	s_wait_alu 0xfffe
	s_or_b32 exec_lo, exec_lo, s7
	v_lshlrev_b32_e32 v80, 16, v80
	v_lshlrev_b32_e32 v79, 16, v79
	;; [unrolled: 1-line block ×3, first 2 shown]
	s_delay_alu instid0(VALU_DEP_3) | instskip(NEXT) | instid1(VALU_DEP_3)
	v_and_or_b32 v1, 0xffff, v1, v80
	v_and_or_b32 v2, 0xffff, v2, v79
	s_delay_alu instid0(VALU_DEP_3)
	v_and_or_b32 v3, 0xffff, v3, v78
	;;#ASMSTART
	v_pk_mul_f16 v1, v45, v1;

	;;#ASMEND
	;;#ASMSTART
	v_pk_mul_f16 v2, v44, v2;

	;;#ASMEND
	;; [unrolled: 4-line block ×4, first 2 shown]
	;;#ASMSTART
	v_pk_add_f16 v1, v1, v2;

	;;#ASMEND
	;;#ASMSTART
	v_pk_add_f16 v1, v1, v3;

	;;#ASMEND
	;; [unrolled: 4-line block ×3, first 2 shown]
	v_and_b32_e32 v2, 0xffff, v1
	v_lshrrev_b32_e32 v1, 16, v1
	;;#ASMSTART
	v_cvt_f32_f16 v78, v2;
	;;#ASMEND
	;;#ASMSTART
	v_cvt_f32_f16 v79, v1;
	;;#ASMEND
	global_load_b128 v[1:4], v[5:6], off offset:5632
	s_wait_loadcnt 0x0
	v_lshrrev_b32_e32 v82, 16, v1
	v_lshrrev_b32_e32 v81, 16, v2
	;; [unrolled: 1-line block ×3, first 2 shown]
	s_and_saveexec_b32 s7, vcc_lo
	s_cbranch_execz .LBB125_53
; %bb.52:                               ;   in Loop: Header=BB125_29 Depth=1
	v_cmp_gt_i32_e64 s0, s13, v50
	v_and_b32_e32 v83, 0xffff, v4
	v_and_b32_e32 v4, 0xffff0000, v4
	s_wait_alu 0xf1ff
	s_delay_alu instid0(VALU_DEP_3) | instskip(SKIP_2) | instid1(VALU_DEP_1)
	v_cndmask_b32_e64 v1, 0, v1, s0
	v_cmp_gt_i32_e64 s0, s13, v57
	s_wait_alu 0xf1ff
	v_cndmask_b32_e64 v82, 0, v82, s0
	v_cmp_gt_i32_e64 s0, s13, v56
	s_wait_alu 0xf1ff
	s_delay_alu instid0(VALU_DEP_1) | instskip(SKIP_2) | instid1(VALU_DEP_1)
	v_cndmask_b32_e64 v2, 0, v2, s0
	v_cmp_gt_i32_e64 s0, s13, v53
	s_wait_alu 0xf1ff
	v_cndmask_b32_e64 v81, 0, v81, s0
	v_cmp_gt_i32_e64 s0, s13, v54
	s_wait_alu 0xf1ff
	s_delay_alu instid0(VALU_DEP_1) | instskip(SKIP_2) | instid1(VALU_DEP_1)
	v_cndmask_b32_e64 v83, 0, v83, s0
	v_cmp_gt_i32_e64 s0, s13, v55
	s_wait_alu 0xf1ff
	v_cndmask_b32_e64 v4, 0, v4, s0
	v_cmp_gt_i32_e64 s0, s13, v52
	s_delay_alu instid0(VALU_DEP_2) | instskip(SKIP_1) | instid1(VALU_DEP_2)
	v_or_b32_e32 v4, v83, v4
	s_wait_alu 0xf1ff
	v_cndmask_b32_e64 v3, 0, v3, s0
	v_cmp_gt_i32_e64 s0, s13, v51
	s_wait_alu 0xf1ff
	s_delay_alu instid0(VALU_DEP_1)
	v_cndmask_b32_e64 v80, 0, v80, s0
.LBB125_53:                             ;   in Loop: Header=BB125_29 Depth=1
	s_wait_alu 0xfffe
	s_or_b32 exec_lo, exec_lo, s7
	v_lshlrev_b32_e32 v82, 16, v82
	v_lshlrev_b32_e32 v81, 16, v81
	;; [unrolled: 1-line block ×3, first 2 shown]
	s_delay_alu instid0(VALU_DEP_3) | instskip(NEXT) | instid1(VALU_DEP_3)
	v_and_or_b32 v1, 0xffff, v1, v82
	v_and_or_b32 v2, 0xffff, v2, v81
	s_delay_alu instid0(VALU_DEP_3)
	v_and_or_b32 v3, 0xffff, v3, v80
	;;#ASMSTART
	v_pk_mul_f16 v1, v45, v1;

	;;#ASMEND
	;;#ASMSTART
	v_pk_mul_f16 v2, v44, v2;

	;;#ASMEND
	;; [unrolled: 4-line block ×4, first 2 shown]
	;;#ASMSTART
	v_pk_add_f16 v1, v1, v2;

	;;#ASMEND
	;;#ASMSTART
	v_pk_add_f16 v1, v1, v3;

	;;#ASMEND
	;; [unrolled: 4-line block ×3, first 2 shown]
	v_and_b32_e32 v2, 0xffff, v1
	v_lshrrev_b32_e32 v1, 16, v1
	;;#ASMSTART
	v_cvt_f32_f16 v80, v2;
	;;#ASMEND
	;;#ASMSTART
	v_cvt_f32_f16 v81, v1;
	;;#ASMEND
	global_load_b128 v[1:4], v[5:6], off offset:6144
	s_wait_loadcnt 0x0
	v_lshrrev_b32_e32 v84, 16, v1
	v_lshrrev_b32_e32 v83, 16, v2
	;; [unrolled: 1-line block ×3, first 2 shown]
	s_and_saveexec_b32 s7, vcc_lo
	s_cbranch_execz .LBB125_55
; %bb.54:                               ;   in Loop: Header=BB125_29 Depth=1
	v_cmp_gt_i32_e64 s0, s13, v50
	v_and_b32_e32 v85, 0xffff, v4
	v_and_b32_e32 v4, 0xffff0000, v4
	s_wait_alu 0xf1ff
	s_delay_alu instid0(VALU_DEP_3) | instskip(SKIP_2) | instid1(VALU_DEP_1)
	v_cndmask_b32_e64 v1, 0, v1, s0
	v_cmp_gt_i32_e64 s0, s13, v57
	s_wait_alu 0xf1ff
	v_cndmask_b32_e64 v84, 0, v84, s0
	v_cmp_gt_i32_e64 s0, s13, v56
	s_wait_alu 0xf1ff
	s_delay_alu instid0(VALU_DEP_1) | instskip(SKIP_2) | instid1(VALU_DEP_1)
	v_cndmask_b32_e64 v2, 0, v2, s0
	v_cmp_gt_i32_e64 s0, s13, v53
	s_wait_alu 0xf1ff
	v_cndmask_b32_e64 v83, 0, v83, s0
	v_cmp_gt_i32_e64 s0, s13, v54
	s_wait_alu 0xf1ff
	s_delay_alu instid0(VALU_DEP_1) | instskip(SKIP_2) | instid1(VALU_DEP_1)
	v_cndmask_b32_e64 v85, 0, v85, s0
	v_cmp_gt_i32_e64 s0, s13, v55
	s_wait_alu 0xf1ff
	v_cndmask_b32_e64 v4, 0, v4, s0
	v_cmp_gt_i32_e64 s0, s13, v52
	s_delay_alu instid0(VALU_DEP_2) | instskip(SKIP_1) | instid1(VALU_DEP_2)
	v_or_b32_e32 v4, v85, v4
	s_wait_alu 0xf1ff
	v_cndmask_b32_e64 v3, 0, v3, s0
	v_cmp_gt_i32_e64 s0, s13, v51
	s_wait_alu 0xf1ff
	s_delay_alu instid0(VALU_DEP_1)
	v_cndmask_b32_e64 v82, 0, v82, s0
.LBB125_55:                             ;   in Loop: Header=BB125_29 Depth=1
	s_wait_alu 0xfffe
	s_or_b32 exec_lo, exec_lo, s7
	v_lshlrev_b32_e32 v84, 16, v84
	v_lshlrev_b32_e32 v83, 16, v83
	;; [unrolled: 1-line block ×3, first 2 shown]
	s_delay_alu instid0(VALU_DEP_3) | instskip(NEXT) | instid1(VALU_DEP_3)
	v_and_or_b32 v1, 0xffff, v1, v84
	v_and_or_b32 v2, 0xffff, v2, v83
	s_delay_alu instid0(VALU_DEP_3)
	v_and_or_b32 v3, 0xffff, v3, v82
	;;#ASMSTART
	v_pk_mul_f16 v1, v45, v1;

	;;#ASMEND
	;;#ASMSTART
	v_pk_mul_f16 v2, v44, v2;

	;;#ASMEND
	;; [unrolled: 4-line block ×4, first 2 shown]
	;;#ASMSTART
	v_pk_add_f16 v1, v1, v2;

	;;#ASMEND
	;;#ASMSTART
	v_pk_add_f16 v1, v1, v3;

	;;#ASMEND
	;; [unrolled: 4-line block ×3, first 2 shown]
	v_and_b32_e32 v2, 0xffff, v1
	v_lshrrev_b32_e32 v1, 16, v1
	;;#ASMSTART
	v_cvt_f32_f16 v82, v2;
	;;#ASMEND
	;;#ASMSTART
	v_cvt_f32_f16 v83, v1;
	;;#ASMEND
	global_load_b128 v[1:4], v[5:6], off offset:6656
	s_wait_loadcnt 0x0
	v_lshrrev_b32_e32 v86, 16, v1
	v_lshrrev_b32_e32 v85, 16, v2
	;; [unrolled: 1-line block ×3, first 2 shown]
	s_and_saveexec_b32 s7, vcc_lo
	s_cbranch_execz .LBB125_57
; %bb.56:                               ;   in Loop: Header=BB125_29 Depth=1
	v_cmp_gt_i32_e64 s0, s13, v50
	v_and_b32_e32 v87, 0xffff, v4
	v_and_b32_e32 v4, 0xffff0000, v4
	s_wait_alu 0xf1ff
	s_delay_alu instid0(VALU_DEP_3) | instskip(SKIP_2) | instid1(VALU_DEP_1)
	v_cndmask_b32_e64 v1, 0, v1, s0
	v_cmp_gt_i32_e64 s0, s13, v57
	s_wait_alu 0xf1ff
	v_cndmask_b32_e64 v86, 0, v86, s0
	v_cmp_gt_i32_e64 s0, s13, v56
	s_wait_alu 0xf1ff
	s_delay_alu instid0(VALU_DEP_1) | instskip(SKIP_2) | instid1(VALU_DEP_1)
	v_cndmask_b32_e64 v2, 0, v2, s0
	v_cmp_gt_i32_e64 s0, s13, v53
	s_wait_alu 0xf1ff
	v_cndmask_b32_e64 v85, 0, v85, s0
	v_cmp_gt_i32_e64 s0, s13, v54
	s_wait_alu 0xf1ff
	s_delay_alu instid0(VALU_DEP_1) | instskip(SKIP_2) | instid1(VALU_DEP_1)
	v_cndmask_b32_e64 v87, 0, v87, s0
	v_cmp_gt_i32_e64 s0, s13, v55
	s_wait_alu 0xf1ff
	v_cndmask_b32_e64 v4, 0, v4, s0
	v_cmp_gt_i32_e64 s0, s13, v52
	s_delay_alu instid0(VALU_DEP_2) | instskip(SKIP_1) | instid1(VALU_DEP_2)
	v_or_b32_e32 v4, v87, v4
	s_wait_alu 0xf1ff
	v_cndmask_b32_e64 v3, 0, v3, s0
	v_cmp_gt_i32_e64 s0, s13, v51
	s_wait_alu 0xf1ff
	s_delay_alu instid0(VALU_DEP_1)
	v_cndmask_b32_e64 v84, 0, v84, s0
.LBB125_57:                             ;   in Loop: Header=BB125_29 Depth=1
	s_wait_alu 0xfffe
	s_or_b32 exec_lo, exec_lo, s7
	v_lshlrev_b32_e32 v86, 16, v86
	v_lshlrev_b32_e32 v85, 16, v85
	;; [unrolled: 1-line block ×3, first 2 shown]
	s_delay_alu instid0(VALU_DEP_3) | instskip(NEXT) | instid1(VALU_DEP_3)
	v_and_or_b32 v1, 0xffff, v1, v86
	v_and_or_b32 v2, 0xffff, v2, v85
	s_delay_alu instid0(VALU_DEP_3)
	v_and_or_b32 v3, 0xffff, v3, v84
	;;#ASMSTART
	v_pk_mul_f16 v1, v45, v1;

	;;#ASMEND
	;;#ASMSTART
	v_pk_mul_f16 v2, v44, v2;

	;;#ASMEND
	;; [unrolled: 4-line block ×4, first 2 shown]
	;;#ASMSTART
	v_pk_add_f16 v1, v1, v2;

	;;#ASMEND
	;;#ASMSTART
	v_pk_add_f16 v1, v1, v3;

	;;#ASMEND
	;; [unrolled: 4-line block ×3, first 2 shown]
	v_and_b32_e32 v2, 0xffff, v1
	v_lshrrev_b32_e32 v1, 16, v1
	;;#ASMSTART
	v_cvt_f32_f16 v84, v2;
	;;#ASMEND
	;;#ASMSTART
	v_cvt_f32_f16 v85, v1;
	;;#ASMEND
	global_load_b128 v[1:4], v[5:6], off offset:7168
	s_wait_loadcnt 0x0
	v_lshrrev_b32_e32 v88, 16, v1
	v_lshrrev_b32_e32 v87, 16, v2
	v_lshrrev_b32_e32 v86, 16, v3
	s_and_saveexec_b32 s7, vcc_lo
	s_cbranch_execz .LBB125_59
; %bb.58:                               ;   in Loop: Header=BB125_29 Depth=1
	v_cmp_gt_i32_e64 s0, s13, v50
	v_and_b32_e32 v89, 0xffff, v4
	v_and_b32_e32 v4, 0xffff0000, v4
	s_wait_alu 0xf1ff
	s_delay_alu instid0(VALU_DEP_3) | instskip(SKIP_2) | instid1(VALU_DEP_1)
	v_cndmask_b32_e64 v1, 0, v1, s0
	v_cmp_gt_i32_e64 s0, s13, v57
	s_wait_alu 0xf1ff
	v_cndmask_b32_e64 v88, 0, v88, s0
	v_cmp_gt_i32_e64 s0, s13, v56
	s_wait_alu 0xf1ff
	s_delay_alu instid0(VALU_DEP_1) | instskip(SKIP_2) | instid1(VALU_DEP_1)
	v_cndmask_b32_e64 v2, 0, v2, s0
	v_cmp_gt_i32_e64 s0, s13, v53
	s_wait_alu 0xf1ff
	v_cndmask_b32_e64 v87, 0, v87, s0
	v_cmp_gt_i32_e64 s0, s13, v54
	s_wait_alu 0xf1ff
	s_delay_alu instid0(VALU_DEP_1) | instskip(SKIP_2) | instid1(VALU_DEP_1)
	v_cndmask_b32_e64 v89, 0, v89, s0
	v_cmp_gt_i32_e64 s0, s13, v55
	s_wait_alu 0xf1ff
	v_cndmask_b32_e64 v4, 0, v4, s0
	v_cmp_gt_i32_e64 s0, s13, v52
	s_delay_alu instid0(VALU_DEP_2) | instskip(SKIP_1) | instid1(VALU_DEP_2)
	v_or_b32_e32 v4, v89, v4
	s_wait_alu 0xf1ff
	v_cndmask_b32_e64 v3, 0, v3, s0
	v_cmp_gt_i32_e64 s0, s13, v51
	s_wait_alu 0xf1ff
	s_delay_alu instid0(VALU_DEP_1)
	v_cndmask_b32_e64 v86, 0, v86, s0
.LBB125_59:                             ;   in Loop: Header=BB125_29 Depth=1
	s_wait_alu 0xfffe
	s_or_b32 exec_lo, exec_lo, s7
	v_lshlrev_b32_e32 v88, 16, v88
	v_lshlrev_b32_e32 v87, 16, v87
	;; [unrolled: 1-line block ×3, first 2 shown]
	s_delay_alu instid0(VALU_DEP_3) | instskip(NEXT) | instid1(VALU_DEP_3)
	v_and_or_b32 v1, 0xffff, v1, v88
	v_and_or_b32 v2, 0xffff, v2, v87
	s_delay_alu instid0(VALU_DEP_3)
	v_and_or_b32 v3, 0xffff, v3, v86
	;;#ASMSTART
	v_pk_mul_f16 v1, v45, v1;

	;;#ASMEND
	;;#ASMSTART
	v_pk_mul_f16 v2, v44, v2;

	;;#ASMEND
	;; [unrolled: 4-line block ×4, first 2 shown]
	;;#ASMSTART
	v_pk_add_f16 v1, v1, v2;

	;;#ASMEND
	;;#ASMSTART
	v_pk_add_f16 v1, v1, v3;

	;;#ASMEND
	;; [unrolled: 4-line block ×3, first 2 shown]
	v_and_b32_e32 v2, 0xffff, v1
	v_lshrrev_b32_e32 v1, 16, v1
	;;#ASMSTART
	v_cvt_f32_f16 v86, v2;
	;;#ASMEND
	;;#ASMSTART
	v_cvt_f32_f16 v87, v1;
	;;#ASMEND
	global_load_b128 v[1:4], v[5:6], off offset:7680
	s_wait_loadcnt 0x0
	v_lshrrev_b32_e32 v90, 16, v1
	v_lshrrev_b32_e32 v89, 16, v2
	;; [unrolled: 1-line block ×3, first 2 shown]
	s_and_saveexec_b32 s7, vcc_lo
	s_cbranch_execz .LBB125_61
; %bb.60:                               ;   in Loop: Header=BB125_29 Depth=1
	v_cmp_gt_i32_e64 s0, s13, v50
	v_and_b32_e32 v91, 0xffff, v4
	v_and_b32_e32 v4, 0xffff0000, v4
	s_wait_alu 0xf1ff
	s_delay_alu instid0(VALU_DEP_3) | instskip(SKIP_2) | instid1(VALU_DEP_1)
	v_cndmask_b32_e64 v1, 0, v1, s0
	v_cmp_gt_i32_e64 s0, s13, v57
	s_wait_alu 0xf1ff
	v_cndmask_b32_e64 v90, 0, v90, s0
	v_cmp_gt_i32_e64 s0, s13, v56
	s_wait_alu 0xf1ff
	s_delay_alu instid0(VALU_DEP_1) | instskip(SKIP_2) | instid1(VALU_DEP_1)
	v_cndmask_b32_e64 v2, 0, v2, s0
	v_cmp_gt_i32_e64 s0, s13, v53
	s_wait_alu 0xf1ff
	v_cndmask_b32_e64 v89, 0, v89, s0
	v_cmp_gt_i32_e64 s0, s13, v54
	s_wait_alu 0xf1ff
	s_delay_alu instid0(VALU_DEP_1) | instskip(SKIP_2) | instid1(VALU_DEP_1)
	v_cndmask_b32_e64 v91, 0, v91, s0
	v_cmp_gt_i32_e64 s0, s13, v55
	s_wait_alu 0xf1ff
	v_cndmask_b32_e64 v4, 0, v4, s0
	v_cmp_gt_i32_e64 s0, s13, v52
	s_delay_alu instid0(VALU_DEP_2) | instskip(SKIP_1) | instid1(VALU_DEP_2)
	v_or_b32_e32 v4, v91, v4
	s_wait_alu 0xf1ff
	v_cndmask_b32_e64 v3, 0, v3, s0
	v_cmp_gt_i32_e64 s0, s13, v51
	s_wait_alu 0xf1ff
	s_delay_alu instid0(VALU_DEP_1)
	v_cndmask_b32_e64 v88, 0, v88, s0
.LBB125_61:                             ;   in Loop: Header=BB125_29 Depth=1
	s_wait_alu 0xfffe
	s_or_b32 exec_lo, exec_lo, s7
	v_lshlrev_b32_e32 v90, 16, v90
	v_lshlrev_b32_e32 v89, 16, v89
	;; [unrolled: 1-line block ×3, first 2 shown]
	s_delay_alu instid0(VALU_DEP_3) | instskip(NEXT) | instid1(VALU_DEP_3)
	v_and_or_b32 v1, 0xffff, v1, v90
	v_and_or_b32 v2, 0xffff, v2, v89
	s_delay_alu instid0(VALU_DEP_3)
	v_and_or_b32 v3, 0xffff, v3, v88
	;;#ASMSTART
	v_pk_mul_f16 v1, v45, v1;

	;;#ASMEND
	;;#ASMSTART
	v_pk_mul_f16 v2, v44, v2;

	;;#ASMEND
	;; [unrolled: 4-line block ×4, first 2 shown]
	;;#ASMSTART
	v_pk_add_f16 v1, v1, v2;

	;;#ASMEND
	;;#ASMSTART
	v_pk_add_f16 v1, v1, v3;

	;;#ASMEND
	;; [unrolled: 4-line block ×3, first 2 shown]
	v_and_b32_e32 v2, 0xffff, v1
	v_lshrrev_b32_e32 v1, 16, v1
	;;#ASMSTART
	v_cvt_f32_f16 v88, v2;
	;;#ASMEND
	;;#ASMSTART
	v_cvt_f32_f16 v89, v1;
	;;#ASMEND
	global_load_b128 v[1:4], v[5:6], off offset:8192
	s_wait_loadcnt 0x0
	v_lshrrev_b32_e32 v92, 16, v1
	v_lshrrev_b32_e32 v91, 16, v2
	;; [unrolled: 1-line block ×3, first 2 shown]
	s_and_saveexec_b32 s7, vcc_lo
	s_cbranch_execz .LBB125_63
; %bb.62:                               ;   in Loop: Header=BB125_29 Depth=1
	v_cmp_gt_i32_e64 s0, s13, v50
	v_and_b32_e32 v93, 0xffff, v4
	v_and_b32_e32 v4, 0xffff0000, v4
	s_wait_alu 0xf1ff
	s_delay_alu instid0(VALU_DEP_3) | instskip(SKIP_2) | instid1(VALU_DEP_1)
	v_cndmask_b32_e64 v1, 0, v1, s0
	v_cmp_gt_i32_e64 s0, s13, v57
	s_wait_alu 0xf1ff
	v_cndmask_b32_e64 v92, 0, v92, s0
	v_cmp_gt_i32_e64 s0, s13, v56
	s_wait_alu 0xf1ff
	s_delay_alu instid0(VALU_DEP_1) | instskip(SKIP_2) | instid1(VALU_DEP_1)
	v_cndmask_b32_e64 v2, 0, v2, s0
	v_cmp_gt_i32_e64 s0, s13, v53
	s_wait_alu 0xf1ff
	v_cndmask_b32_e64 v91, 0, v91, s0
	v_cmp_gt_i32_e64 s0, s13, v54
	s_wait_alu 0xf1ff
	s_delay_alu instid0(VALU_DEP_1) | instskip(SKIP_2) | instid1(VALU_DEP_1)
	v_cndmask_b32_e64 v93, 0, v93, s0
	v_cmp_gt_i32_e64 s0, s13, v55
	s_wait_alu 0xf1ff
	v_cndmask_b32_e64 v4, 0, v4, s0
	v_cmp_gt_i32_e64 s0, s13, v52
	s_delay_alu instid0(VALU_DEP_2) | instskip(SKIP_1) | instid1(VALU_DEP_2)
	v_or_b32_e32 v4, v93, v4
	s_wait_alu 0xf1ff
	v_cndmask_b32_e64 v3, 0, v3, s0
	v_cmp_gt_i32_e64 s0, s13, v51
	s_wait_alu 0xf1ff
	s_delay_alu instid0(VALU_DEP_1)
	v_cndmask_b32_e64 v90, 0, v90, s0
.LBB125_63:                             ;   in Loop: Header=BB125_29 Depth=1
	s_wait_alu 0xfffe
	s_or_b32 exec_lo, exec_lo, s7
	v_lshlrev_b32_e32 v92, 16, v92
	v_lshlrev_b32_e32 v91, 16, v91
	;; [unrolled: 1-line block ×3, first 2 shown]
	s_delay_alu instid0(VALU_DEP_3) | instskip(NEXT) | instid1(VALU_DEP_3)
	v_and_or_b32 v1, 0xffff, v1, v92
	v_and_or_b32 v2, 0xffff, v2, v91
	s_delay_alu instid0(VALU_DEP_3)
	v_and_or_b32 v3, 0xffff, v3, v90
	;;#ASMSTART
	v_pk_mul_f16 v1, v45, v1;

	;;#ASMEND
	;;#ASMSTART
	v_pk_mul_f16 v2, v44, v2;

	;;#ASMEND
	;; [unrolled: 4-line block ×4, first 2 shown]
	;;#ASMSTART
	v_pk_add_f16 v1, v1, v2;

	;;#ASMEND
	;;#ASMSTART
	v_pk_add_f16 v1, v1, v3;

	;;#ASMEND
	;; [unrolled: 4-line block ×3, first 2 shown]
	v_and_b32_e32 v2, 0xffff, v1
	v_lshrrev_b32_e32 v1, 16, v1
	;;#ASMSTART
	v_cvt_f32_f16 v90, v2;
	;;#ASMEND
	;;#ASMSTART
	v_cvt_f32_f16 v91, v1;
	;;#ASMEND
	global_load_b128 v[1:4], v[5:6], off offset:8704
	s_wait_loadcnt 0x0
	v_lshrrev_b32_e32 v94, 16, v1
	v_lshrrev_b32_e32 v93, 16, v2
	v_lshrrev_b32_e32 v92, 16, v3
	s_and_saveexec_b32 s7, vcc_lo
	s_cbranch_execz .LBB125_65
; %bb.64:                               ;   in Loop: Header=BB125_29 Depth=1
	v_cmp_gt_i32_e64 s0, s13, v50
	v_and_b32_e32 v95, 0xffff, v4
	v_and_b32_e32 v4, 0xffff0000, v4
	s_wait_alu 0xf1ff
	s_delay_alu instid0(VALU_DEP_3) | instskip(SKIP_2) | instid1(VALU_DEP_1)
	v_cndmask_b32_e64 v1, 0, v1, s0
	v_cmp_gt_i32_e64 s0, s13, v57
	s_wait_alu 0xf1ff
	v_cndmask_b32_e64 v94, 0, v94, s0
	v_cmp_gt_i32_e64 s0, s13, v56
	s_wait_alu 0xf1ff
	s_delay_alu instid0(VALU_DEP_1) | instskip(SKIP_2) | instid1(VALU_DEP_1)
	v_cndmask_b32_e64 v2, 0, v2, s0
	v_cmp_gt_i32_e64 s0, s13, v53
	s_wait_alu 0xf1ff
	v_cndmask_b32_e64 v93, 0, v93, s0
	v_cmp_gt_i32_e64 s0, s13, v54
	s_wait_alu 0xf1ff
	s_delay_alu instid0(VALU_DEP_1) | instskip(SKIP_2) | instid1(VALU_DEP_1)
	v_cndmask_b32_e64 v95, 0, v95, s0
	v_cmp_gt_i32_e64 s0, s13, v55
	s_wait_alu 0xf1ff
	v_cndmask_b32_e64 v4, 0, v4, s0
	v_cmp_gt_i32_e64 s0, s13, v52
	s_delay_alu instid0(VALU_DEP_2) | instskip(SKIP_1) | instid1(VALU_DEP_2)
	v_or_b32_e32 v4, v95, v4
	s_wait_alu 0xf1ff
	v_cndmask_b32_e64 v3, 0, v3, s0
	v_cmp_gt_i32_e64 s0, s13, v51
	s_wait_alu 0xf1ff
	s_delay_alu instid0(VALU_DEP_1)
	v_cndmask_b32_e64 v92, 0, v92, s0
.LBB125_65:                             ;   in Loop: Header=BB125_29 Depth=1
	s_wait_alu 0xfffe
	s_or_b32 exec_lo, exec_lo, s7
	v_lshlrev_b32_e32 v94, 16, v94
	v_lshlrev_b32_e32 v93, 16, v93
	;; [unrolled: 1-line block ×3, first 2 shown]
	s_delay_alu instid0(VALU_DEP_3) | instskip(NEXT) | instid1(VALU_DEP_3)
	v_and_or_b32 v1, 0xffff, v1, v94
	v_and_or_b32 v2, 0xffff, v2, v93
	s_delay_alu instid0(VALU_DEP_3)
	v_and_or_b32 v3, 0xffff, v3, v92
	;;#ASMSTART
	v_pk_mul_f16 v1, v45, v1;

	;;#ASMEND
	;;#ASMSTART
	v_pk_mul_f16 v2, v44, v2;

	;;#ASMEND
	;; [unrolled: 4-line block ×4, first 2 shown]
	;;#ASMSTART
	v_pk_add_f16 v1, v1, v2;

	;;#ASMEND
	;;#ASMSTART
	v_pk_add_f16 v1, v1, v3;

	;;#ASMEND
	;; [unrolled: 4-line block ×3, first 2 shown]
	v_and_b32_e32 v2, 0xffff, v1
	v_lshrrev_b32_e32 v1, 16, v1
	;;#ASMSTART
	v_cvt_f32_f16 v92, v2;
	;;#ASMEND
	;;#ASMSTART
	v_cvt_f32_f16 v93, v1;
	;;#ASMEND
	global_load_b128 v[1:4], v[5:6], off offset:9216
	s_wait_loadcnt 0x0
	v_lshrrev_b32_e32 v96, 16, v1
	v_lshrrev_b32_e32 v95, 16, v2
	;; [unrolled: 1-line block ×3, first 2 shown]
	s_and_saveexec_b32 s7, vcc_lo
	s_cbranch_execz .LBB125_67
; %bb.66:                               ;   in Loop: Header=BB125_29 Depth=1
	v_cmp_gt_i32_e64 s0, s13, v50
	v_and_b32_e32 v97, 0xffff, v4
	v_and_b32_e32 v4, 0xffff0000, v4
	s_wait_alu 0xf1ff
	s_delay_alu instid0(VALU_DEP_3) | instskip(SKIP_2) | instid1(VALU_DEP_1)
	v_cndmask_b32_e64 v1, 0, v1, s0
	v_cmp_gt_i32_e64 s0, s13, v57
	s_wait_alu 0xf1ff
	v_cndmask_b32_e64 v96, 0, v96, s0
	v_cmp_gt_i32_e64 s0, s13, v56
	s_wait_alu 0xf1ff
	s_delay_alu instid0(VALU_DEP_1) | instskip(SKIP_2) | instid1(VALU_DEP_1)
	v_cndmask_b32_e64 v2, 0, v2, s0
	v_cmp_gt_i32_e64 s0, s13, v53
	s_wait_alu 0xf1ff
	v_cndmask_b32_e64 v95, 0, v95, s0
	v_cmp_gt_i32_e64 s0, s13, v54
	s_wait_alu 0xf1ff
	s_delay_alu instid0(VALU_DEP_1) | instskip(SKIP_2) | instid1(VALU_DEP_1)
	v_cndmask_b32_e64 v97, 0, v97, s0
	v_cmp_gt_i32_e64 s0, s13, v55
	s_wait_alu 0xf1ff
	v_cndmask_b32_e64 v4, 0, v4, s0
	v_cmp_gt_i32_e64 s0, s13, v52
	s_delay_alu instid0(VALU_DEP_2) | instskip(SKIP_1) | instid1(VALU_DEP_2)
	v_or_b32_e32 v4, v97, v4
	s_wait_alu 0xf1ff
	v_cndmask_b32_e64 v3, 0, v3, s0
	v_cmp_gt_i32_e64 s0, s13, v51
	s_wait_alu 0xf1ff
	s_delay_alu instid0(VALU_DEP_1)
	v_cndmask_b32_e64 v94, 0, v94, s0
.LBB125_67:                             ;   in Loop: Header=BB125_29 Depth=1
	s_wait_alu 0xfffe
	s_or_b32 exec_lo, exec_lo, s7
	v_lshlrev_b32_e32 v96, 16, v96
	v_lshlrev_b32_e32 v95, 16, v95
	;; [unrolled: 1-line block ×3, first 2 shown]
	s_delay_alu instid0(VALU_DEP_3) | instskip(NEXT) | instid1(VALU_DEP_3)
	v_and_or_b32 v1, 0xffff, v1, v96
	v_and_or_b32 v2, 0xffff, v2, v95
	s_delay_alu instid0(VALU_DEP_3)
	v_and_or_b32 v3, 0xffff, v3, v94
	;;#ASMSTART
	v_pk_mul_f16 v1, v45, v1;

	;;#ASMEND
	;;#ASMSTART
	v_pk_mul_f16 v2, v44, v2;

	;;#ASMEND
	;; [unrolled: 4-line block ×4, first 2 shown]
	;;#ASMSTART
	v_pk_add_f16 v1, v1, v2;

	;;#ASMEND
	;;#ASMSTART
	v_pk_add_f16 v1, v1, v3;

	;;#ASMEND
	;; [unrolled: 4-line block ×3, first 2 shown]
	v_and_b32_e32 v2, 0xffff, v1
	v_lshrrev_b32_e32 v1, 16, v1
	;;#ASMSTART
	v_cvt_f32_f16 v94, v2;
	;;#ASMEND
	;;#ASMSTART
	v_cvt_f32_f16 v95, v1;
	;;#ASMEND
	global_load_b128 v[1:4], v[5:6], off offset:9728
	s_wait_loadcnt 0x0
	v_lshrrev_b32_e32 v98, 16, v1
	v_lshrrev_b32_e32 v97, 16, v2
	;; [unrolled: 1-line block ×3, first 2 shown]
	s_and_saveexec_b32 s7, vcc_lo
	s_cbranch_execz .LBB125_69
; %bb.68:                               ;   in Loop: Header=BB125_29 Depth=1
	v_cmp_gt_i32_e64 s0, s13, v50
	v_and_b32_e32 v99, 0xffff, v4
	v_and_b32_e32 v4, 0xffff0000, v4
	s_wait_alu 0xf1ff
	s_delay_alu instid0(VALU_DEP_3) | instskip(SKIP_2) | instid1(VALU_DEP_1)
	v_cndmask_b32_e64 v1, 0, v1, s0
	v_cmp_gt_i32_e64 s0, s13, v57
	s_wait_alu 0xf1ff
	v_cndmask_b32_e64 v98, 0, v98, s0
	v_cmp_gt_i32_e64 s0, s13, v56
	s_wait_alu 0xf1ff
	s_delay_alu instid0(VALU_DEP_1) | instskip(SKIP_2) | instid1(VALU_DEP_1)
	v_cndmask_b32_e64 v2, 0, v2, s0
	v_cmp_gt_i32_e64 s0, s13, v53
	s_wait_alu 0xf1ff
	v_cndmask_b32_e64 v97, 0, v97, s0
	v_cmp_gt_i32_e64 s0, s13, v54
	s_wait_alu 0xf1ff
	s_delay_alu instid0(VALU_DEP_1) | instskip(SKIP_2) | instid1(VALU_DEP_1)
	v_cndmask_b32_e64 v99, 0, v99, s0
	v_cmp_gt_i32_e64 s0, s13, v55
	s_wait_alu 0xf1ff
	v_cndmask_b32_e64 v4, 0, v4, s0
	v_cmp_gt_i32_e64 s0, s13, v52
	s_delay_alu instid0(VALU_DEP_2) | instskip(SKIP_1) | instid1(VALU_DEP_2)
	v_or_b32_e32 v4, v99, v4
	s_wait_alu 0xf1ff
	v_cndmask_b32_e64 v3, 0, v3, s0
	v_cmp_gt_i32_e64 s0, s13, v51
	s_wait_alu 0xf1ff
	s_delay_alu instid0(VALU_DEP_1)
	v_cndmask_b32_e64 v96, 0, v96, s0
.LBB125_69:                             ;   in Loop: Header=BB125_29 Depth=1
	s_wait_alu 0xfffe
	s_or_b32 exec_lo, exec_lo, s7
	v_lshlrev_b32_e32 v98, 16, v98
	v_lshlrev_b32_e32 v97, 16, v97
	;; [unrolled: 1-line block ×3, first 2 shown]
	s_delay_alu instid0(VALU_DEP_3) | instskip(NEXT) | instid1(VALU_DEP_3)
	v_and_or_b32 v1, 0xffff, v1, v98
	v_and_or_b32 v2, 0xffff, v2, v97
	s_delay_alu instid0(VALU_DEP_3)
	v_and_or_b32 v3, 0xffff, v3, v96
	;;#ASMSTART
	v_pk_mul_f16 v1, v45, v1;

	;;#ASMEND
	;;#ASMSTART
	v_pk_mul_f16 v2, v44, v2;

	;;#ASMEND
	;; [unrolled: 4-line block ×4, first 2 shown]
	;;#ASMSTART
	v_pk_add_f16 v1, v1, v2;

	;;#ASMEND
	;;#ASMSTART
	v_pk_add_f16 v1, v1, v3;

	;;#ASMEND
	;; [unrolled: 4-line block ×3, first 2 shown]
	v_and_b32_e32 v2, 0xffff, v1
	v_lshrrev_b32_e32 v1, 16, v1
	;;#ASMSTART
	v_cvt_f32_f16 v96, v2;
	;;#ASMEND
	;;#ASMSTART
	v_cvt_f32_f16 v97, v1;
	;;#ASMEND
	global_load_b128 v[1:4], v[5:6], off offset:10240
	s_wait_loadcnt 0x0
	v_lshrrev_b32_e32 v100, 16, v1
	v_lshrrev_b32_e32 v99, 16, v2
	;; [unrolled: 1-line block ×3, first 2 shown]
	s_and_saveexec_b32 s7, vcc_lo
	s_cbranch_execz .LBB125_71
; %bb.70:                               ;   in Loop: Header=BB125_29 Depth=1
	v_cmp_gt_i32_e64 s0, s13, v50
	v_and_b32_e32 v101, 0xffff, v4
	v_and_b32_e32 v4, 0xffff0000, v4
	s_wait_alu 0xf1ff
	s_delay_alu instid0(VALU_DEP_3) | instskip(SKIP_2) | instid1(VALU_DEP_1)
	v_cndmask_b32_e64 v1, 0, v1, s0
	v_cmp_gt_i32_e64 s0, s13, v57
	s_wait_alu 0xf1ff
	v_cndmask_b32_e64 v100, 0, v100, s0
	v_cmp_gt_i32_e64 s0, s13, v56
	s_wait_alu 0xf1ff
	s_delay_alu instid0(VALU_DEP_1) | instskip(SKIP_2) | instid1(VALU_DEP_1)
	v_cndmask_b32_e64 v2, 0, v2, s0
	v_cmp_gt_i32_e64 s0, s13, v53
	s_wait_alu 0xf1ff
	v_cndmask_b32_e64 v99, 0, v99, s0
	v_cmp_gt_i32_e64 s0, s13, v54
	s_wait_alu 0xf1ff
	s_delay_alu instid0(VALU_DEP_1) | instskip(SKIP_2) | instid1(VALU_DEP_1)
	v_cndmask_b32_e64 v101, 0, v101, s0
	v_cmp_gt_i32_e64 s0, s13, v55
	s_wait_alu 0xf1ff
	v_cndmask_b32_e64 v4, 0, v4, s0
	v_cmp_gt_i32_e64 s0, s13, v52
	s_delay_alu instid0(VALU_DEP_2) | instskip(SKIP_1) | instid1(VALU_DEP_2)
	v_or_b32_e32 v4, v101, v4
	s_wait_alu 0xf1ff
	v_cndmask_b32_e64 v3, 0, v3, s0
	v_cmp_gt_i32_e64 s0, s13, v51
	s_wait_alu 0xf1ff
	s_delay_alu instid0(VALU_DEP_1)
	v_cndmask_b32_e64 v98, 0, v98, s0
.LBB125_71:                             ;   in Loop: Header=BB125_29 Depth=1
	s_wait_alu 0xfffe
	s_or_b32 exec_lo, exec_lo, s7
	v_lshlrev_b32_e32 v100, 16, v100
	v_lshlrev_b32_e32 v99, 16, v99
	;; [unrolled: 1-line block ×3, first 2 shown]
	s_delay_alu instid0(VALU_DEP_3) | instskip(NEXT) | instid1(VALU_DEP_3)
	v_and_or_b32 v1, 0xffff, v1, v100
	v_and_or_b32 v2, 0xffff, v2, v99
	s_delay_alu instid0(VALU_DEP_3)
	v_and_or_b32 v3, 0xffff, v3, v98
	;;#ASMSTART
	v_pk_mul_f16 v1, v45, v1;

	;;#ASMEND
	;;#ASMSTART
	v_pk_mul_f16 v2, v44, v2;

	;;#ASMEND
	;; [unrolled: 4-line block ×4, first 2 shown]
	;;#ASMSTART
	v_pk_add_f16 v1, v1, v2;

	;;#ASMEND
	;;#ASMSTART
	v_pk_add_f16 v1, v1, v3;

	;;#ASMEND
	;; [unrolled: 4-line block ×3, first 2 shown]
	v_and_b32_e32 v2, 0xffff, v1
	v_lshrrev_b32_e32 v1, 16, v1
	;;#ASMSTART
	v_cvt_f32_f16 v98, v2;
	;;#ASMEND
	;;#ASMSTART
	v_cvt_f32_f16 v99, v1;
	;;#ASMEND
	global_load_b128 v[1:4], v[5:6], off offset:10752
	s_wait_loadcnt 0x0
	v_lshrrev_b32_e32 v102, 16, v1
	v_lshrrev_b32_e32 v101, 16, v2
	;; [unrolled: 1-line block ×3, first 2 shown]
	s_and_saveexec_b32 s7, vcc_lo
	s_cbranch_execz .LBB125_73
; %bb.72:                               ;   in Loop: Header=BB125_29 Depth=1
	v_cmp_gt_i32_e64 s0, s13, v50
	v_and_b32_e32 v103, 0xffff, v4
	v_and_b32_e32 v4, 0xffff0000, v4
	s_wait_alu 0xf1ff
	s_delay_alu instid0(VALU_DEP_3) | instskip(SKIP_2) | instid1(VALU_DEP_1)
	v_cndmask_b32_e64 v1, 0, v1, s0
	v_cmp_gt_i32_e64 s0, s13, v57
	s_wait_alu 0xf1ff
	v_cndmask_b32_e64 v102, 0, v102, s0
	v_cmp_gt_i32_e64 s0, s13, v56
	s_wait_alu 0xf1ff
	s_delay_alu instid0(VALU_DEP_1) | instskip(SKIP_2) | instid1(VALU_DEP_1)
	v_cndmask_b32_e64 v2, 0, v2, s0
	v_cmp_gt_i32_e64 s0, s13, v53
	s_wait_alu 0xf1ff
	v_cndmask_b32_e64 v101, 0, v101, s0
	v_cmp_gt_i32_e64 s0, s13, v54
	s_wait_alu 0xf1ff
	s_delay_alu instid0(VALU_DEP_1) | instskip(SKIP_2) | instid1(VALU_DEP_1)
	v_cndmask_b32_e64 v103, 0, v103, s0
	v_cmp_gt_i32_e64 s0, s13, v55
	s_wait_alu 0xf1ff
	v_cndmask_b32_e64 v4, 0, v4, s0
	v_cmp_gt_i32_e64 s0, s13, v52
	s_delay_alu instid0(VALU_DEP_2) | instskip(SKIP_1) | instid1(VALU_DEP_2)
	v_or_b32_e32 v4, v103, v4
	s_wait_alu 0xf1ff
	v_cndmask_b32_e64 v3, 0, v3, s0
	v_cmp_gt_i32_e64 s0, s13, v51
	s_wait_alu 0xf1ff
	s_delay_alu instid0(VALU_DEP_1)
	v_cndmask_b32_e64 v100, 0, v100, s0
.LBB125_73:                             ;   in Loop: Header=BB125_29 Depth=1
	s_wait_alu 0xfffe
	s_or_b32 exec_lo, exec_lo, s7
	v_lshlrev_b32_e32 v102, 16, v102
	v_lshlrev_b32_e32 v101, 16, v101
	;; [unrolled: 1-line block ×3, first 2 shown]
	s_delay_alu instid0(VALU_DEP_3) | instskip(NEXT) | instid1(VALU_DEP_3)
	v_and_or_b32 v1, 0xffff, v1, v102
	v_and_or_b32 v2, 0xffff, v2, v101
	s_delay_alu instid0(VALU_DEP_3)
	v_and_or_b32 v3, 0xffff, v3, v100
	;;#ASMSTART
	v_pk_mul_f16 v1, v45, v1;

	;;#ASMEND
	;;#ASMSTART
	v_pk_mul_f16 v2, v44, v2;

	;;#ASMEND
	;;#ASMSTART
	v_pk_mul_f16 v3, v46, v3;

	;;#ASMEND
	;;#ASMSTART
	v_pk_mul_f16 v4, v47, v4;

	;;#ASMEND
	;;#ASMSTART
	v_pk_add_f16 v1, v1, v2;

	;;#ASMEND
	;;#ASMSTART
	v_pk_add_f16 v1, v1, v3;

	;;#ASMEND
	;; [unrolled: 4-line block ×3, first 2 shown]
	v_and_b32_e32 v2, 0xffff, v1
	v_lshrrev_b32_e32 v1, 16, v1
	;;#ASMSTART
	v_cvt_f32_f16 v100, v2;
	;;#ASMEND
	;;#ASMSTART
	v_cvt_f32_f16 v101, v1;
	;;#ASMEND
	global_load_b128 v[1:4], v[5:6], off offset:11264
	s_wait_loadcnt 0x0
	v_lshrrev_b32_e32 v104, 16, v1
	v_lshrrev_b32_e32 v103, 16, v2
	;; [unrolled: 1-line block ×3, first 2 shown]
	s_and_saveexec_b32 s7, vcc_lo
	s_cbranch_execz .LBB125_75
; %bb.74:                               ;   in Loop: Header=BB125_29 Depth=1
	v_cmp_gt_i32_e64 s0, s13, v50
	v_and_b32_e32 v105, 0xffff, v4
	v_and_b32_e32 v4, 0xffff0000, v4
	s_wait_alu 0xf1ff
	s_delay_alu instid0(VALU_DEP_3) | instskip(SKIP_2) | instid1(VALU_DEP_1)
	v_cndmask_b32_e64 v1, 0, v1, s0
	v_cmp_gt_i32_e64 s0, s13, v57
	s_wait_alu 0xf1ff
	v_cndmask_b32_e64 v104, 0, v104, s0
	v_cmp_gt_i32_e64 s0, s13, v56
	s_wait_alu 0xf1ff
	s_delay_alu instid0(VALU_DEP_1) | instskip(SKIP_2) | instid1(VALU_DEP_1)
	v_cndmask_b32_e64 v2, 0, v2, s0
	v_cmp_gt_i32_e64 s0, s13, v53
	s_wait_alu 0xf1ff
	v_cndmask_b32_e64 v103, 0, v103, s0
	v_cmp_gt_i32_e64 s0, s13, v54
	s_wait_alu 0xf1ff
	s_delay_alu instid0(VALU_DEP_1) | instskip(SKIP_2) | instid1(VALU_DEP_1)
	v_cndmask_b32_e64 v105, 0, v105, s0
	v_cmp_gt_i32_e64 s0, s13, v55
	s_wait_alu 0xf1ff
	v_cndmask_b32_e64 v4, 0, v4, s0
	v_cmp_gt_i32_e64 s0, s13, v52
	s_delay_alu instid0(VALU_DEP_2) | instskip(SKIP_1) | instid1(VALU_DEP_2)
	v_or_b32_e32 v4, v105, v4
	s_wait_alu 0xf1ff
	v_cndmask_b32_e64 v3, 0, v3, s0
	v_cmp_gt_i32_e64 s0, s13, v51
	s_wait_alu 0xf1ff
	s_delay_alu instid0(VALU_DEP_1)
	v_cndmask_b32_e64 v102, 0, v102, s0
.LBB125_75:                             ;   in Loop: Header=BB125_29 Depth=1
	s_wait_alu 0xfffe
	s_or_b32 exec_lo, exec_lo, s7
	v_lshlrev_b32_e32 v104, 16, v104
	v_lshlrev_b32_e32 v103, 16, v103
	;; [unrolled: 1-line block ×3, first 2 shown]
	s_delay_alu instid0(VALU_DEP_3) | instskip(NEXT) | instid1(VALU_DEP_3)
	v_and_or_b32 v1, 0xffff, v1, v104
	v_and_or_b32 v2, 0xffff, v2, v103
	s_delay_alu instid0(VALU_DEP_3)
	v_and_or_b32 v3, 0xffff, v3, v102
	;;#ASMSTART
	v_pk_mul_f16 v1, v45, v1;

	;;#ASMEND
	;;#ASMSTART
	v_pk_mul_f16 v2, v44, v2;

	;;#ASMEND
	;;#ASMSTART
	v_pk_mul_f16 v3, v46, v3;

	;;#ASMEND
	;;#ASMSTART
	v_pk_mul_f16 v4, v47, v4;

	;;#ASMEND
	;;#ASMSTART
	v_pk_add_f16 v1, v1, v2;

	;;#ASMEND
	;;#ASMSTART
	v_pk_add_f16 v1, v1, v3;

	;;#ASMEND
	;; [unrolled: 4-line block ×3, first 2 shown]
	v_and_b32_e32 v2, 0xffff, v1
	v_lshrrev_b32_e32 v1, 16, v1
	;;#ASMSTART
	v_cvt_f32_f16 v102, v2;
	;;#ASMEND
	;;#ASMSTART
	v_cvt_f32_f16 v103, v1;
	;;#ASMEND
	global_load_b128 v[1:4], v[5:6], off offset:11776
	s_wait_loadcnt 0x0
	v_lshrrev_b32_e32 v106, 16, v1
	v_lshrrev_b32_e32 v105, 16, v2
	;; [unrolled: 1-line block ×3, first 2 shown]
	s_and_saveexec_b32 s7, vcc_lo
	s_cbranch_execz .LBB125_77
; %bb.76:                               ;   in Loop: Header=BB125_29 Depth=1
	v_cmp_gt_i32_e64 s0, s13, v50
	v_and_b32_e32 v107, 0xffff, v4
	v_and_b32_e32 v4, 0xffff0000, v4
	s_wait_alu 0xf1ff
	s_delay_alu instid0(VALU_DEP_3) | instskip(SKIP_2) | instid1(VALU_DEP_1)
	v_cndmask_b32_e64 v1, 0, v1, s0
	v_cmp_gt_i32_e64 s0, s13, v57
	s_wait_alu 0xf1ff
	v_cndmask_b32_e64 v106, 0, v106, s0
	v_cmp_gt_i32_e64 s0, s13, v56
	s_wait_alu 0xf1ff
	s_delay_alu instid0(VALU_DEP_1) | instskip(SKIP_2) | instid1(VALU_DEP_1)
	v_cndmask_b32_e64 v2, 0, v2, s0
	v_cmp_gt_i32_e64 s0, s13, v53
	s_wait_alu 0xf1ff
	v_cndmask_b32_e64 v105, 0, v105, s0
	v_cmp_gt_i32_e64 s0, s13, v54
	s_wait_alu 0xf1ff
	s_delay_alu instid0(VALU_DEP_1) | instskip(SKIP_2) | instid1(VALU_DEP_1)
	v_cndmask_b32_e64 v107, 0, v107, s0
	v_cmp_gt_i32_e64 s0, s13, v55
	s_wait_alu 0xf1ff
	v_cndmask_b32_e64 v4, 0, v4, s0
	v_cmp_gt_i32_e64 s0, s13, v52
	s_delay_alu instid0(VALU_DEP_2) | instskip(SKIP_1) | instid1(VALU_DEP_2)
	v_or_b32_e32 v4, v107, v4
	s_wait_alu 0xf1ff
	v_cndmask_b32_e64 v3, 0, v3, s0
	v_cmp_gt_i32_e64 s0, s13, v51
	s_wait_alu 0xf1ff
	s_delay_alu instid0(VALU_DEP_1)
	v_cndmask_b32_e64 v104, 0, v104, s0
.LBB125_77:                             ;   in Loop: Header=BB125_29 Depth=1
	s_wait_alu 0xfffe
	s_or_b32 exec_lo, exec_lo, s7
	v_lshlrev_b32_e32 v106, 16, v106
	v_lshlrev_b32_e32 v105, 16, v105
	;; [unrolled: 1-line block ×3, first 2 shown]
	s_delay_alu instid0(VALU_DEP_3) | instskip(NEXT) | instid1(VALU_DEP_3)
	v_and_or_b32 v1, 0xffff, v1, v106
	v_and_or_b32 v2, 0xffff, v2, v105
	s_delay_alu instid0(VALU_DEP_3)
	v_and_or_b32 v3, 0xffff, v3, v104
	;;#ASMSTART
	v_pk_mul_f16 v1, v45, v1;

	;;#ASMEND
	;;#ASMSTART
	v_pk_mul_f16 v2, v44, v2;

	;;#ASMEND
	;; [unrolled: 4-line block ×4, first 2 shown]
	;;#ASMSTART
	v_pk_add_f16 v1, v1, v2;

	;;#ASMEND
	;;#ASMSTART
	v_pk_add_f16 v1, v1, v3;

	;;#ASMEND
	;; [unrolled: 4-line block ×3, first 2 shown]
	v_and_b32_e32 v2, 0xffff, v1
	v_lshrrev_b32_e32 v1, 16, v1
	;;#ASMSTART
	v_cvt_f32_f16 v104, v2;
	;;#ASMEND
	;;#ASMSTART
	v_cvt_f32_f16 v105, v1;
	;;#ASMEND
	global_load_b128 v[1:4], v[5:6], off offset:12288
	s_wait_loadcnt 0x0
	v_lshrrev_b32_e32 v108, 16, v1
	v_lshrrev_b32_e32 v107, 16, v2
	v_lshrrev_b32_e32 v106, 16, v3
	s_and_saveexec_b32 s7, vcc_lo
	s_cbranch_execz .LBB125_79
; %bb.78:                               ;   in Loop: Header=BB125_29 Depth=1
	v_cmp_gt_i32_e64 s0, s13, v50
	v_and_b32_e32 v109, 0xffff, v4
	v_and_b32_e32 v4, 0xffff0000, v4
	s_wait_alu 0xf1ff
	s_delay_alu instid0(VALU_DEP_3) | instskip(SKIP_2) | instid1(VALU_DEP_1)
	v_cndmask_b32_e64 v1, 0, v1, s0
	v_cmp_gt_i32_e64 s0, s13, v57
	s_wait_alu 0xf1ff
	v_cndmask_b32_e64 v108, 0, v108, s0
	v_cmp_gt_i32_e64 s0, s13, v56
	s_wait_alu 0xf1ff
	s_delay_alu instid0(VALU_DEP_1) | instskip(SKIP_2) | instid1(VALU_DEP_1)
	v_cndmask_b32_e64 v2, 0, v2, s0
	v_cmp_gt_i32_e64 s0, s13, v53
	s_wait_alu 0xf1ff
	v_cndmask_b32_e64 v107, 0, v107, s0
	v_cmp_gt_i32_e64 s0, s13, v54
	s_wait_alu 0xf1ff
	s_delay_alu instid0(VALU_DEP_1) | instskip(SKIP_2) | instid1(VALU_DEP_1)
	v_cndmask_b32_e64 v109, 0, v109, s0
	v_cmp_gt_i32_e64 s0, s13, v55
	s_wait_alu 0xf1ff
	v_cndmask_b32_e64 v4, 0, v4, s0
	v_cmp_gt_i32_e64 s0, s13, v52
	s_delay_alu instid0(VALU_DEP_2) | instskip(SKIP_1) | instid1(VALU_DEP_2)
	v_or_b32_e32 v4, v109, v4
	s_wait_alu 0xf1ff
	v_cndmask_b32_e64 v3, 0, v3, s0
	v_cmp_gt_i32_e64 s0, s13, v51
	s_wait_alu 0xf1ff
	s_delay_alu instid0(VALU_DEP_1)
	v_cndmask_b32_e64 v106, 0, v106, s0
.LBB125_79:                             ;   in Loop: Header=BB125_29 Depth=1
	s_wait_alu 0xfffe
	s_or_b32 exec_lo, exec_lo, s7
	v_lshlrev_b32_e32 v108, 16, v108
	v_lshlrev_b32_e32 v107, 16, v107
	;; [unrolled: 1-line block ×3, first 2 shown]
	s_delay_alu instid0(VALU_DEP_3) | instskip(NEXT) | instid1(VALU_DEP_3)
	v_and_or_b32 v1, 0xffff, v1, v108
	v_and_or_b32 v2, 0xffff, v2, v107
	s_delay_alu instid0(VALU_DEP_3)
	v_and_or_b32 v3, 0xffff, v3, v106
	;;#ASMSTART
	v_pk_mul_f16 v1, v45, v1;

	;;#ASMEND
	;;#ASMSTART
	v_pk_mul_f16 v2, v44, v2;

	;;#ASMEND
	;; [unrolled: 4-line block ×4, first 2 shown]
	;;#ASMSTART
	v_pk_add_f16 v1, v1, v2;

	;;#ASMEND
	;;#ASMSTART
	v_pk_add_f16 v1, v1, v3;

	;;#ASMEND
	;; [unrolled: 4-line block ×3, first 2 shown]
	v_and_b32_e32 v2, 0xffff, v1
	v_lshrrev_b32_e32 v1, 16, v1
	;;#ASMSTART
	v_cvt_f32_f16 v106, v2;
	;;#ASMEND
	;;#ASMSTART
	v_cvt_f32_f16 v107, v1;
	;;#ASMEND
	global_load_b128 v[1:4], v[5:6], off offset:12800
	s_wait_loadcnt 0x0
	v_lshrrev_b32_e32 v110, 16, v1
	v_lshrrev_b32_e32 v109, 16, v2
	;; [unrolled: 1-line block ×3, first 2 shown]
	s_and_saveexec_b32 s7, vcc_lo
	s_cbranch_execz .LBB125_81
; %bb.80:                               ;   in Loop: Header=BB125_29 Depth=1
	v_cmp_gt_i32_e64 s0, s13, v50
	v_and_b32_e32 v111, 0xffff, v4
	v_and_b32_e32 v4, 0xffff0000, v4
	s_wait_alu 0xf1ff
	s_delay_alu instid0(VALU_DEP_3) | instskip(SKIP_2) | instid1(VALU_DEP_1)
	v_cndmask_b32_e64 v1, 0, v1, s0
	v_cmp_gt_i32_e64 s0, s13, v57
	s_wait_alu 0xf1ff
	v_cndmask_b32_e64 v110, 0, v110, s0
	v_cmp_gt_i32_e64 s0, s13, v56
	s_wait_alu 0xf1ff
	s_delay_alu instid0(VALU_DEP_1) | instskip(SKIP_2) | instid1(VALU_DEP_1)
	v_cndmask_b32_e64 v2, 0, v2, s0
	v_cmp_gt_i32_e64 s0, s13, v53
	s_wait_alu 0xf1ff
	v_cndmask_b32_e64 v109, 0, v109, s0
	v_cmp_gt_i32_e64 s0, s13, v54
	s_wait_alu 0xf1ff
	s_delay_alu instid0(VALU_DEP_1) | instskip(SKIP_2) | instid1(VALU_DEP_1)
	v_cndmask_b32_e64 v111, 0, v111, s0
	v_cmp_gt_i32_e64 s0, s13, v55
	s_wait_alu 0xf1ff
	v_cndmask_b32_e64 v4, 0, v4, s0
	v_cmp_gt_i32_e64 s0, s13, v52
	s_delay_alu instid0(VALU_DEP_2) | instskip(SKIP_1) | instid1(VALU_DEP_2)
	v_or_b32_e32 v4, v111, v4
	s_wait_alu 0xf1ff
	v_cndmask_b32_e64 v3, 0, v3, s0
	v_cmp_gt_i32_e64 s0, s13, v51
	s_wait_alu 0xf1ff
	s_delay_alu instid0(VALU_DEP_1)
	v_cndmask_b32_e64 v108, 0, v108, s0
.LBB125_81:                             ;   in Loop: Header=BB125_29 Depth=1
	s_wait_alu 0xfffe
	s_or_b32 exec_lo, exec_lo, s7
	v_lshlrev_b32_e32 v110, 16, v110
	v_lshlrev_b32_e32 v109, 16, v109
	;; [unrolled: 1-line block ×3, first 2 shown]
	s_delay_alu instid0(VALU_DEP_3) | instskip(NEXT) | instid1(VALU_DEP_3)
	v_and_or_b32 v1, 0xffff, v1, v110
	v_and_or_b32 v2, 0xffff, v2, v109
	s_delay_alu instid0(VALU_DEP_3)
	v_and_or_b32 v3, 0xffff, v3, v108
	;;#ASMSTART
	v_pk_mul_f16 v1, v45, v1;

	;;#ASMEND
	;;#ASMSTART
	v_pk_mul_f16 v2, v44, v2;

	;;#ASMEND
	;;#ASMSTART
	v_pk_mul_f16 v3, v46, v3;

	;;#ASMEND
	;;#ASMSTART
	v_pk_mul_f16 v4, v47, v4;

	;;#ASMEND
	;;#ASMSTART
	v_pk_add_f16 v1, v1, v2;

	;;#ASMEND
	;;#ASMSTART
	v_pk_add_f16 v1, v1, v3;

	;;#ASMEND
	;; [unrolled: 4-line block ×3, first 2 shown]
	v_and_b32_e32 v2, 0xffff, v1
	v_lshrrev_b32_e32 v1, 16, v1
	;;#ASMSTART
	v_cvt_f32_f16 v108, v2;
	;;#ASMEND
	;;#ASMSTART
	v_cvt_f32_f16 v109, v1;
	;;#ASMEND
	global_load_b128 v[1:4], v[5:6], off offset:13312
	s_wait_loadcnt 0x0
	v_lshrrev_b32_e32 v112, 16, v1
	v_lshrrev_b32_e32 v111, 16, v2
	;; [unrolled: 1-line block ×3, first 2 shown]
	s_and_saveexec_b32 s7, vcc_lo
	s_cbranch_execz .LBB125_83
; %bb.82:                               ;   in Loop: Header=BB125_29 Depth=1
	v_cmp_gt_i32_e64 s0, s13, v50
	v_and_b32_e32 v113, 0xffff, v4
	v_and_b32_e32 v4, 0xffff0000, v4
	s_wait_alu 0xf1ff
	s_delay_alu instid0(VALU_DEP_3) | instskip(SKIP_2) | instid1(VALU_DEP_1)
	v_cndmask_b32_e64 v1, 0, v1, s0
	v_cmp_gt_i32_e64 s0, s13, v57
	s_wait_alu 0xf1ff
	v_cndmask_b32_e64 v112, 0, v112, s0
	v_cmp_gt_i32_e64 s0, s13, v56
	s_wait_alu 0xf1ff
	s_delay_alu instid0(VALU_DEP_1) | instskip(SKIP_2) | instid1(VALU_DEP_1)
	v_cndmask_b32_e64 v2, 0, v2, s0
	v_cmp_gt_i32_e64 s0, s13, v53
	s_wait_alu 0xf1ff
	v_cndmask_b32_e64 v111, 0, v111, s0
	v_cmp_gt_i32_e64 s0, s13, v54
	s_wait_alu 0xf1ff
	s_delay_alu instid0(VALU_DEP_1) | instskip(SKIP_2) | instid1(VALU_DEP_1)
	v_cndmask_b32_e64 v113, 0, v113, s0
	v_cmp_gt_i32_e64 s0, s13, v55
	s_wait_alu 0xf1ff
	v_cndmask_b32_e64 v4, 0, v4, s0
	v_cmp_gt_i32_e64 s0, s13, v52
	s_delay_alu instid0(VALU_DEP_2) | instskip(SKIP_1) | instid1(VALU_DEP_2)
	v_or_b32_e32 v4, v113, v4
	s_wait_alu 0xf1ff
	v_cndmask_b32_e64 v3, 0, v3, s0
	v_cmp_gt_i32_e64 s0, s13, v51
	s_wait_alu 0xf1ff
	s_delay_alu instid0(VALU_DEP_1)
	v_cndmask_b32_e64 v110, 0, v110, s0
.LBB125_83:                             ;   in Loop: Header=BB125_29 Depth=1
	s_wait_alu 0xfffe
	s_or_b32 exec_lo, exec_lo, s7
	v_lshlrev_b32_e32 v112, 16, v112
	v_lshlrev_b32_e32 v111, 16, v111
	;; [unrolled: 1-line block ×3, first 2 shown]
	s_delay_alu instid0(VALU_DEP_3) | instskip(NEXT) | instid1(VALU_DEP_3)
	v_and_or_b32 v1, 0xffff, v1, v112
	v_and_or_b32 v2, 0xffff, v2, v111
	s_delay_alu instid0(VALU_DEP_3)
	v_and_or_b32 v3, 0xffff, v3, v110
	;;#ASMSTART
	v_pk_mul_f16 v1, v45, v1;

	;;#ASMEND
	;;#ASMSTART
	v_pk_mul_f16 v2, v44, v2;

	;;#ASMEND
	;; [unrolled: 4-line block ×4, first 2 shown]
	;;#ASMSTART
	v_pk_add_f16 v1, v1, v2;

	;;#ASMEND
	;;#ASMSTART
	v_pk_add_f16 v1, v1, v3;

	;;#ASMEND
	;; [unrolled: 4-line block ×3, first 2 shown]
	v_and_b32_e32 v2, 0xffff, v1
	v_lshrrev_b32_e32 v1, 16, v1
	;;#ASMSTART
	v_cvt_f32_f16 v110, v2;
	;;#ASMEND
	;;#ASMSTART
	v_cvt_f32_f16 v111, v1;
	;;#ASMEND
	global_load_b128 v[1:4], v[5:6], off offset:13824
	s_wait_loadcnt 0x0
	v_lshrrev_b32_e32 v114, 16, v1
	v_lshrrev_b32_e32 v113, 16, v2
	;; [unrolled: 1-line block ×3, first 2 shown]
	s_and_saveexec_b32 s7, vcc_lo
	s_cbranch_execz .LBB125_85
; %bb.84:                               ;   in Loop: Header=BB125_29 Depth=1
	v_cmp_gt_i32_e64 s0, s13, v50
	v_and_b32_e32 v115, 0xffff, v4
	v_and_b32_e32 v4, 0xffff0000, v4
	s_wait_alu 0xf1ff
	s_delay_alu instid0(VALU_DEP_3) | instskip(SKIP_2) | instid1(VALU_DEP_1)
	v_cndmask_b32_e64 v1, 0, v1, s0
	v_cmp_gt_i32_e64 s0, s13, v57
	s_wait_alu 0xf1ff
	v_cndmask_b32_e64 v114, 0, v114, s0
	v_cmp_gt_i32_e64 s0, s13, v56
	s_wait_alu 0xf1ff
	s_delay_alu instid0(VALU_DEP_1) | instskip(SKIP_2) | instid1(VALU_DEP_1)
	v_cndmask_b32_e64 v2, 0, v2, s0
	v_cmp_gt_i32_e64 s0, s13, v53
	s_wait_alu 0xf1ff
	v_cndmask_b32_e64 v113, 0, v113, s0
	v_cmp_gt_i32_e64 s0, s13, v54
	s_wait_alu 0xf1ff
	s_delay_alu instid0(VALU_DEP_1) | instskip(SKIP_2) | instid1(VALU_DEP_1)
	v_cndmask_b32_e64 v115, 0, v115, s0
	v_cmp_gt_i32_e64 s0, s13, v55
	s_wait_alu 0xf1ff
	v_cndmask_b32_e64 v4, 0, v4, s0
	v_cmp_gt_i32_e64 s0, s13, v52
	s_delay_alu instid0(VALU_DEP_2) | instskip(SKIP_1) | instid1(VALU_DEP_2)
	v_or_b32_e32 v4, v115, v4
	s_wait_alu 0xf1ff
	v_cndmask_b32_e64 v3, 0, v3, s0
	v_cmp_gt_i32_e64 s0, s13, v51
	s_wait_alu 0xf1ff
	s_delay_alu instid0(VALU_DEP_1)
	v_cndmask_b32_e64 v112, 0, v112, s0
.LBB125_85:                             ;   in Loop: Header=BB125_29 Depth=1
	s_wait_alu 0xfffe
	s_or_b32 exec_lo, exec_lo, s7
	v_lshlrev_b32_e32 v114, 16, v114
	v_lshlrev_b32_e32 v113, 16, v113
	;; [unrolled: 1-line block ×3, first 2 shown]
	s_delay_alu instid0(VALU_DEP_3) | instskip(NEXT) | instid1(VALU_DEP_3)
	v_and_or_b32 v1, 0xffff, v1, v114
	v_and_or_b32 v2, 0xffff, v2, v113
	s_delay_alu instid0(VALU_DEP_3)
	v_and_or_b32 v3, 0xffff, v3, v112
	;;#ASMSTART
	v_pk_mul_f16 v1, v45, v1;

	;;#ASMEND
	;;#ASMSTART
	v_pk_mul_f16 v2, v44, v2;

	;;#ASMEND
	;; [unrolled: 4-line block ×4, first 2 shown]
	;;#ASMSTART
	v_pk_add_f16 v1, v1, v2;

	;;#ASMEND
	;;#ASMSTART
	v_pk_add_f16 v1, v1, v3;

	;;#ASMEND
	;; [unrolled: 4-line block ×3, first 2 shown]
	v_and_b32_e32 v2, 0xffff, v1
	v_lshrrev_b32_e32 v1, 16, v1
	;;#ASMSTART
	v_cvt_f32_f16 v112, v2;
	;;#ASMEND
	;;#ASMSTART
	v_cvt_f32_f16 v113, v1;
	;;#ASMEND
	global_load_b128 v[1:4], v[5:6], off offset:14336
	s_wait_loadcnt 0x0
	v_lshrrev_b32_e32 v116, 16, v1
	v_lshrrev_b32_e32 v115, 16, v2
	;; [unrolled: 1-line block ×3, first 2 shown]
	s_and_saveexec_b32 s7, vcc_lo
	s_cbranch_execz .LBB125_87
; %bb.86:                               ;   in Loop: Header=BB125_29 Depth=1
	v_cmp_gt_i32_e64 s0, s13, v50
	v_and_b32_e32 v117, 0xffff, v4
	v_and_b32_e32 v4, 0xffff0000, v4
	s_wait_alu 0xf1ff
	s_delay_alu instid0(VALU_DEP_3) | instskip(SKIP_2) | instid1(VALU_DEP_1)
	v_cndmask_b32_e64 v1, 0, v1, s0
	v_cmp_gt_i32_e64 s0, s13, v57
	s_wait_alu 0xf1ff
	v_cndmask_b32_e64 v116, 0, v116, s0
	v_cmp_gt_i32_e64 s0, s13, v56
	s_wait_alu 0xf1ff
	s_delay_alu instid0(VALU_DEP_1) | instskip(SKIP_2) | instid1(VALU_DEP_1)
	v_cndmask_b32_e64 v2, 0, v2, s0
	v_cmp_gt_i32_e64 s0, s13, v53
	s_wait_alu 0xf1ff
	v_cndmask_b32_e64 v115, 0, v115, s0
	v_cmp_gt_i32_e64 s0, s13, v54
	s_wait_alu 0xf1ff
	s_delay_alu instid0(VALU_DEP_1) | instskip(SKIP_2) | instid1(VALU_DEP_1)
	v_cndmask_b32_e64 v117, 0, v117, s0
	v_cmp_gt_i32_e64 s0, s13, v55
	s_wait_alu 0xf1ff
	v_cndmask_b32_e64 v4, 0, v4, s0
	v_cmp_gt_i32_e64 s0, s13, v52
	s_delay_alu instid0(VALU_DEP_2) | instskip(SKIP_1) | instid1(VALU_DEP_2)
	v_or_b32_e32 v4, v117, v4
	s_wait_alu 0xf1ff
	v_cndmask_b32_e64 v3, 0, v3, s0
	v_cmp_gt_i32_e64 s0, s13, v51
	s_wait_alu 0xf1ff
	s_delay_alu instid0(VALU_DEP_1)
	v_cndmask_b32_e64 v114, 0, v114, s0
.LBB125_87:                             ;   in Loop: Header=BB125_29 Depth=1
	s_wait_alu 0xfffe
	s_or_b32 exec_lo, exec_lo, s7
	v_lshlrev_b32_e32 v116, 16, v116
	v_lshlrev_b32_e32 v115, 16, v115
	;; [unrolled: 1-line block ×3, first 2 shown]
	s_delay_alu instid0(VALU_DEP_3) | instskip(NEXT) | instid1(VALU_DEP_3)
	v_and_or_b32 v1, 0xffff, v1, v116
	v_and_or_b32 v2, 0xffff, v2, v115
	s_delay_alu instid0(VALU_DEP_3)
	v_and_or_b32 v3, 0xffff, v3, v114
	;;#ASMSTART
	v_pk_mul_f16 v1, v45, v1;

	;;#ASMEND
	;;#ASMSTART
	v_pk_mul_f16 v2, v44, v2;

	;;#ASMEND
	;; [unrolled: 4-line block ×4, first 2 shown]
	;;#ASMSTART
	v_pk_add_f16 v1, v1, v2;

	;;#ASMEND
	;;#ASMSTART
	v_pk_add_f16 v1, v1, v3;

	;;#ASMEND
	;;#ASMSTART
	v_pk_add_f16 v1, v1, v4;

	;;#ASMEND
	v_and_b32_e32 v2, 0xffff, v1
	v_lshrrev_b32_e32 v1, 16, v1
	;;#ASMSTART
	v_cvt_f32_f16 v114, v2;
	;;#ASMEND
	;;#ASMSTART
	v_cvt_f32_f16 v115, v1;
	;;#ASMEND
	global_load_b128 v[1:4], v[5:6], off offset:14848
	s_wait_loadcnt 0x0
	v_lshrrev_b32_e32 v118, 16, v1
	v_lshrrev_b32_e32 v117, 16, v2
	;; [unrolled: 1-line block ×3, first 2 shown]
	s_and_saveexec_b32 s7, vcc_lo
	s_cbranch_execz .LBB125_89
; %bb.88:                               ;   in Loop: Header=BB125_29 Depth=1
	v_cmp_gt_i32_e64 s0, s13, v50
	v_and_b32_e32 v119, 0xffff, v4
	v_and_b32_e32 v4, 0xffff0000, v4
	s_wait_alu 0xf1ff
	s_delay_alu instid0(VALU_DEP_3) | instskip(SKIP_2) | instid1(VALU_DEP_1)
	v_cndmask_b32_e64 v1, 0, v1, s0
	v_cmp_gt_i32_e64 s0, s13, v57
	s_wait_alu 0xf1ff
	v_cndmask_b32_e64 v118, 0, v118, s0
	v_cmp_gt_i32_e64 s0, s13, v56
	s_wait_alu 0xf1ff
	s_delay_alu instid0(VALU_DEP_1) | instskip(SKIP_2) | instid1(VALU_DEP_1)
	v_cndmask_b32_e64 v2, 0, v2, s0
	v_cmp_gt_i32_e64 s0, s13, v53
	s_wait_alu 0xf1ff
	v_cndmask_b32_e64 v117, 0, v117, s0
	v_cmp_gt_i32_e64 s0, s13, v54
	s_wait_alu 0xf1ff
	s_delay_alu instid0(VALU_DEP_1) | instskip(SKIP_2) | instid1(VALU_DEP_1)
	v_cndmask_b32_e64 v119, 0, v119, s0
	v_cmp_gt_i32_e64 s0, s13, v55
	s_wait_alu 0xf1ff
	v_cndmask_b32_e64 v4, 0, v4, s0
	v_cmp_gt_i32_e64 s0, s13, v52
	s_delay_alu instid0(VALU_DEP_2) | instskip(SKIP_1) | instid1(VALU_DEP_2)
	v_or_b32_e32 v4, v119, v4
	s_wait_alu 0xf1ff
	v_cndmask_b32_e64 v3, 0, v3, s0
	v_cmp_gt_i32_e64 s0, s13, v51
	s_wait_alu 0xf1ff
	s_delay_alu instid0(VALU_DEP_1)
	v_cndmask_b32_e64 v116, 0, v116, s0
.LBB125_89:                             ;   in Loop: Header=BB125_29 Depth=1
	s_wait_alu 0xfffe
	s_or_b32 exec_lo, exec_lo, s7
	v_lshlrev_b32_e32 v118, 16, v118
	v_lshlrev_b32_e32 v117, 16, v117
	;; [unrolled: 1-line block ×3, first 2 shown]
	s_delay_alu instid0(VALU_DEP_3) | instskip(NEXT) | instid1(VALU_DEP_3)
	v_and_or_b32 v1, 0xffff, v1, v118
	v_and_or_b32 v2, 0xffff, v2, v117
	s_delay_alu instid0(VALU_DEP_3)
	v_and_or_b32 v3, 0xffff, v3, v116
	;;#ASMSTART
	v_pk_mul_f16 v1, v45, v1;

	;;#ASMEND
	;;#ASMSTART
	v_pk_mul_f16 v2, v44, v2;

	;;#ASMEND
	;; [unrolled: 4-line block ×4, first 2 shown]
	;;#ASMSTART
	v_pk_add_f16 v1, v1, v2;

	;;#ASMEND
	;;#ASMSTART
	v_pk_add_f16 v1, v1, v3;

	;;#ASMEND
	;; [unrolled: 4-line block ×3, first 2 shown]
	v_and_b32_e32 v2, 0xffff, v1
	v_lshrrev_b32_e32 v1, 16, v1
	;;#ASMSTART
	v_cvt_f32_f16 v116, v2;
	;;#ASMEND
	;;#ASMSTART
	v_cvt_f32_f16 v117, v1;
	;;#ASMEND
	global_load_b128 v[1:4], v[5:6], off offset:15360
	s_wait_loadcnt 0x0
	v_lshrrev_b32_e32 v118, 16, v1
	v_lshrrev_b32_e32 v6, 16, v2
	;; [unrolled: 1-line block ×3, first 2 shown]
	s_and_saveexec_b32 s7, vcc_lo
	s_cbranch_execz .LBB125_91
; %bb.90:                               ;   in Loop: Header=BB125_29 Depth=1
	v_cmp_gt_i32_e64 s0, s13, v50
	v_and_b32_e32 v119, 0xffff, v4
	v_and_b32_e32 v4, 0xffff0000, v4
	s_wait_alu 0xf1ff
	s_delay_alu instid0(VALU_DEP_3) | instskip(SKIP_2) | instid1(VALU_DEP_1)
	v_cndmask_b32_e64 v1, 0, v1, s0
	v_cmp_gt_i32_e64 s0, s13, v57
	s_wait_alu 0xf1ff
	v_cndmask_b32_e64 v118, 0, v118, s0
	v_cmp_gt_i32_e64 s0, s13, v56
	s_wait_alu 0xf1ff
	s_delay_alu instid0(VALU_DEP_1) | instskip(SKIP_2) | instid1(VALU_DEP_1)
	v_cndmask_b32_e64 v2, 0, v2, s0
	v_cmp_gt_i32_e64 s0, s13, v53
	s_wait_alu 0xf1ff
	v_cndmask_b32_e64 v6, 0, v6, s0
	v_cmp_gt_i32_e64 s0, s13, v54
	s_wait_alu 0xf1ff
	s_delay_alu instid0(VALU_DEP_1) | instskip(SKIP_2) | instid1(VALU_DEP_1)
	v_cndmask_b32_e64 v119, 0, v119, s0
	v_cmp_gt_i32_e64 s0, s13, v55
	s_wait_alu 0xf1ff
	v_cndmask_b32_e64 v4, 0, v4, s0
	v_cmp_gt_i32_e64 s0, s13, v52
	s_delay_alu instid0(VALU_DEP_2) | instskip(SKIP_1) | instid1(VALU_DEP_2)
	v_or_b32_e32 v4, v119, v4
	s_wait_alu 0xf1ff
	v_cndmask_b32_e64 v3, 0, v3, s0
	v_cmp_gt_i32_e64 s0, s13, v51
	s_wait_alu 0xf1ff
	s_delay_alu instid0(VALU_DEP_1)
	v_cndmask_b32_e64 v5, 0, v5, s0
.LBB125_91:                             ;   in Loop: Header=BB125_29 Depth=1
	s_wait_alu 0xfffe
	s_or_b32 exec_lo, exec_lo, s7
	v_lshlrev_b32_e32 v118, 16, v118
	v_lshlrev_b32_e32 v6, 16, v6
	;; [unrolled: 1-line block ×3, first 2 shown]
	s_delay_alu instid0(VALU_DEP_3) | instskip(NEXT) | instid1(VALU_DEP_3)
	v_and_or_b32 v1, 0xffff, v1, v118
	v_and_or_b32 v2, 0xffff, v2, v6
	s_delay_alu instid0(VALU_DEP_3)
	v_and_or_b32 v3, 0xffff, v3, v5
	;;#ASMSTART
	v_pk_mul_f16 v1, v45, v1;

	;;#ASMEND
	;;#ASMSTART
	v_pk_mul_f16 v2, v44, v2;

	;;#ASMEND
	;; [unrolled: 4-line block ×4, first 2 shown]
	;;#ASMSTART
	v_pk_add_f16 v1, v1, v2;

	;;#ASMEND
	;;#ASMSTART
	v_pk_add_f16 v1, v1, v3;

	;;#ASMEND
	;; [unrolled: 4-line block ×3, first 2 shown]
	v_lshrrev_b32_e32 v3, 16, v1
	v_and_b32_e32 v4, 0xffff, v1
	v_add_co_u32 v1, s0, v58, v43
	s_wait_alu 0xf1ff
	v_add_co_ci_u32_e64 v2, null, 0, v59, s0
	;;#ASMSTART
	v_cvt_f32_f16 v59, v4;
	;;#ASMEND
	;;#ASMSTART
	v_cvt_f32_f16 v118, v3;
	;;#ASMEND
	global_load_b128 v[1:4], v[1:2], off
	s_wait_loadcnt 0x0
	v_lshrrev_b32_e32 v58, 16, v1
	v_lshrrev_b32_e32 v6, 16, v2
	v_lshrrev_b32_e32 v5, 16, v3
	s_and_saveexec_b32 s0, vcc_lo
	s_cbranch_execz .LBB125_28
; %bb.92:                               ;   in Loop: Header=BB125_29 Depth=1
	v_cmp_gt_i32_e32 vcc_lo, s13, v50
	v_and_b32_e32 v50, 0xffff, v4
	s_wait_alu 0xfffd
	v_dual_cndmask_b32 v1, 0, v1 :: v_dual_and_b32 v4, 0xffff0000, v4
	v_cmp_gt_i32_e32 vcc_lo, s13, v57
	s_wait_alu 0xfffd
	v_cndmask_b32_e32 v58, 0, v58, vcc_lo
	v_cmp_gt_i32_e32 vcc_lo, s13, v56
	s_wait_alu 0xfffd
	v_cndmask_b32_e32 v2, 0, v2, vcc_lo
	;; [unrolled: 3-line block ×5, first 2 shown]
	v_cmp_gt_i32_e32 vcc_lo, s13, v52
	s_delay_alu instid0(VALU_DEP_2)
	v_or_b32_e32 v4, v50, v4
	s_wait_alu 0xfffd
	v_cndmask_b32_e32 v3, 0, v3, vcc_lo
	v_cmp_gt_i32_e32 vcc_lo, s13, v51
	s_wait_alu 0xfffd
	v_cndmask_b32_e32 v5, 0, v5, vcc_lo
	s_branch .LBB125_28
.LBB125_93:
	s_or_b32 exec_lo, exec_lo, s6
.LBB125_94:
	s_wait_alu 0xfffe
	s_or_b32 exec_lo, exec_lo, s1
	ds_bpermute_b32 v1, v8, v39
	ds_bpermute_b32 v3, v8, v38
	;; [unrolled: 1-line block ×16, first 2 shown]
	s_mov_b32 s0, exec_lo
	s_wait_storecnt 0x0
	s_wait_loadcnt_dscnt 0x0
	s_barrier_signal -1
	s_barrier_wait -1
	v_add_f32_e32 v1, v39, v1
	v_dual_add_f32 v3, v38, v3 :: v_dual_add_f32 v4, v37, v4
	v_dual_add_f32 v5, v36, v5 :: v_dual_add_f32 v6, v35, v6
	v_dual_add_f32 v34, v34, v41 :: v_dual_add_f32 v35, v33, v42
	v_add_f32_e32 v36, v32, v43
	v_add_f32_e32 v2, v40, v2
	ds_bpermute_b32 v32, v7, v1
	ds_bpermute_b32 v38, v7, v3
	;; [unrolled: 1-line block ×5, first 2 shown]
	v_add_f32_e32 v43, v31, v44
	ds_bpermute_b32 v31, v7, v35
	v_dual_add_f32 v44, v30, v45 :: v_dual_add_f32 v45, v29, v46
	ds_bpermute_b32 v46, v7, v36
	ds_bpermute_b32 v37, v7, v2
	;; [unrolled: 1-line block ×6, first 2 shown]
	s_wait_dscnt 0x0
	global_inv scope:SCOPE_SE
	v_dual_add_f32 v33, v1, v32 :: v_dual_add_f32 v30, v3, v38
	v_add_f32_e32 v29, v4, v39
	v_add_f32_e32 v5, v5, v40
	;; [unrolled: 1-line block ×3, first 2 shown]
	ds_bpermute_b32 v34, v8, v24
	v_add_f32_e32 v3, v35, v31
	ds_bpermute_b32 v35, v8, v23
	ds_bpermute_b32 v38, v8, v22
	v_dual_add_f32 v31, v36, v46 :: v_dual_add_f32 v40, v25, v53
	v_add_f32_e32 v39, v26, v52
	ds_bpermute_b32 v26, v8, v21
	ds_bpermute_b32 v25, v8, v20
	v_dual_add_f32 v32, v2, v37 :: v_dual_add_f32 v37, v28, v47
	v_add_f32_e32 v4, v45, v50
	ds_bpermute_b32 v47, v8, v14
	v_add_f32_e32 v2, v6, v41
	v_dual_add_f32 v6, v44, v49 :: v_dual_add_f32 v27, v27, v51
	ds_bpermute_b32 v42, v8, v19
	ds_bpermute_b32 v45, v8, v18
	;; [unrolled: 1-line block ×4, first 2 shown]
	s_wait_dscnt 0x9
	v_add_f32_e32 v34, v24, v34
	ds_bpermute_b32 v24, v8, v17
	s_wait_dscnt 0x8
	v_dual_add_f32 v35, v23, v35 :: v_dual_add_f32 v38, v22, v38
	ds_bpermute_b32 v23, v8, v16
	ds_bpermute_b32 v22, v8, v15
	;; [unrolled: 1-line block ×3, first 2 shown]
	s_wait_dscnt 0xa
	v_add_f32_e32 v52, v21, v26
	ds_bpermute_b32 v21, v8, v11
	s_wait_dscnt 0xa
	v_add_f32_e32 v53, v20, v25
	ds_bpermute_b32 v20, v8, v10
	ds_bpermute_b32 v8, v8, v9
	ds_bpermute_b32 v41, v7, v27
	s_wait_dscnt 0xc
	v_add_f32_e32 v47, v14, v47
	ds_bpermute_b32 v46, v7, v34
	v_add_f32_e32 v28, v43, v48
	s_wait_dscnt 0xb
	v_dual_add_f32 v42, v19, v42 :: v_dual_add_f32 v45, v18, v45
	s_wait_dscnt 0x9
	v_dual_add_f32 v49, v13, v49 :: v_dual_add_f32 v12, v12, v51
	ds_bpermute_b32 v43, v7, v39
	s_wait_dscnt 0x9
	v_add_f32_e32 v54, v17, v24
	ds_bpermute_b32 v44, v7, v40
	ds_bpermute_b32 v48, v7, v35
	s_wait_dscnt 0x9
	v_dual_add_f32 v55, v16, v23 :: v_dual_add_f32 v56, v15, v22
	ds_bpermute_b32 v50, v7, v38
	ds_bpermute_b32 v19, v7, v52
	s_wait_dscnt 0x9
	v_add_f32_e32 v57, v11, v21
	ds_bpermute_b32 v18, v7, v53
	s_wait_dscnt 0x9
	v_add_f32_e32 v10, v10, v20
	s_wait_dscnt 0x8
	v_add_f32_e32 v60, v9, v8
	ds_bpermute_b32 v51, v7, v47
	ds_bpermute_b32 v17, v7, v42
	;; [unrolled: 1-line block ×9, first 2 shown]
	s_wait_dscnt 0x10
	v_dual_add_f32 v26, v37, v36 :: v_dual_add_f32 v25, v27, v41
	ds_bpermute_b32 v36, v7, v10
	ds_bpermute_b32 v27, v7, v60
	s_wait_dscnt 0xe
	v_dual_add_f32 v22, v34, v46 :: v_dual_add_f32 v21, v35, v48
	v_and_b32_e32 v34, 28, v129
	v_dual_add_f32 v24, v39, v43 :: v_dual_add_f32 v23, v40, v44
	s_wait_dscnt 0xc
	v_dual_add_f32 v20, v38, v50 :: v_dual_add_f32 v19, v52, v19
	s_wait_dscnt 0xa
	v_dual_add_f32 v11, v47, v51 :: v_dual_add_f32 v18, v53, v18
	s_wait_dscnt 0x8
	v_dual_add_f32 v17, v42, v17 :: v_dual_add_f32 v16, v45, v16
	s_wait_dscnt 0x6
	v_dual_add_f32 v15, v54, v15 :: v_dual_add_f32 v14, v55, v14
	s_wait_dscnt 0x5
	v_add_f32_e32 v13, v56, v13
	s_wait_dscnt 0x3
	v_dual_add_f32 v9, v49, v58 :: v_dual_add_f32 v8, v12, v59
	s_wait_dscnt 0x2
	v_dual_add_f32 v7, v57, v61 :: v_dual_add_nc_u32 v34, 0x220, v34
	s_wait_dscnt 0x1
	v_add_f32_e32 v10, v10, v36
	v_and_b32_e32 v36, 0x3c3, v0
	s_wait_dscnt 0x0
	v_dual_add_f32 v12, v60, v27 :: v_dual_lshlrev_b32 v35, 10, v128
	v_lshrrev_b32_e32 v27, 2, v129
	s_delay_alu instid0(VALU_DEP_3)
	v_cmpx_eq_u32_e32 64, v36
	s_cbranch_execz .LBB125_96
; %bb.95:
	s_delay_alu instid0(VALU_DEP_3) | instskip(NEXT) | instid1(VALU_DEP_1)
	v_add_nc_u32_e32 v36, v34, v35
	v_add_nc_u32_e32 v37, 0xfffff800, v36
	;; [unrolled: 1-line block ×9, first 2 shown]
	ds_store_b32 v37, v33
	ds_store_b32 v38, v32
	ds_store_b32 v39, v30
	ds_store_b32 v40, v29
	ds_store_b32 v41, v5
	ds_store_b32 v42, v2
	ds_store_b32 v43, v1
	ds_store_b32 v44, v3
	v_add_nc_u32_e32 v37, 0xfffff900, v36
	v_add_nc_u32_e32 v38, 0xfffff920, v36
	v_add_nc_u32_e32 v39, 0xfffff940, v36
	v_add_nc_u32_e32 v40, 0xfffff960, v36
	v_add_nc_u32_e32 v41, 0xfffff980, v36
	v_add_nc_u32_e32 v42, 0xfffff9a0, v36
	v_add_nc_u32_e32 v43, 0xfffff9c0, v36
	v_add_nc_u32_e32 v44, 0xfffff9e0, v36
	ds_store_b32 v37, v31
	ds_store_b32 v38, v28
	ds_store_b32 v39, v6
	ds_store_b32 v40, v4
	ds_store_b32 v41, v26
	ds_store_b32 v42, v25
	ds_store_b32 v43, v24
	ds_store_b32 v44, v23
	v_add_nc_u32_e32 v37, 0xfffffa00, v36
	v_add_nc_u32_e32 v38, 0xfffffa20, v36
	v_add_nc_u32_e32 v39, 0xfffffa40, v36
	v_add_nc_u32_e32 v40, 0xfffffa60, v36
	v_add_nc_u32_e32 v41, 0xfffffa80, v36
	v_add_nc_u32_e32 v42, 0xfffffaa0, v36
	v_add_nc_u32_e32 v43, 0xfffffac0, v36
	v_add_nc_u32_e32 v44, 0xfffffae0, v36
	;; [unrolled: 16-line block ×3, first 2 shown]
	ds_store_b32 v37, v14
	ds_store_b32 v38, v13
	;; [unrolled: 1-line block ×8, first 2 shown]
.LBB125_96:
	s_wait_alu 0xfffe
	s_or_b32 exec_lo, exec_lo, s0
	v_lshlrev_b32_e32 v27, 2, v27
	v_and_b32_e32 v36, 3, v0
	s_mov_b32 s1, exec_lo
	s_wait_loadcnt_dscnt 0x0
	s_barrier_signal -1
	v_add3_u32 v27, 0x220, v35, v27
	v_cmp_eq_u32_e32 vcc_lo, 0, v36
	s_barrier_wait -1
	global_inv scope:SCOPE_SE
	v_cmpx_gt_u32_e32 64, v0
	s_cbranch_execz .LBB125_131
; %bb.97:
	s_and_saveexec_b32 s0, vcc_lo
	s_cbranch_execnz .LBB125_171
; %bb.98:
	s_wait_alu 0xfffe
	s_or_b32 exec_lo, exec_lo, s0
	s_and_saveexec_b32 s0, vcc_lo
	s_cbranch_execnz .LBB125_172
.LBB125_99:
	s_wait_alu 0xfffe
	s_or_b32 exec_lo, exec_lo, s0
	s_and_saveexec_b32 s0, vcc_lo
	s_cbranch_execnz .LBB125_173
.LBB125_100:
	s_wait_alu 0xfffe
	s_or_b32 exec_lo, exec_lo, s0
	s_and_saveexec_b32 s0, vcc_lo
	s_cbranch_execnz .LBB125_174
.LBB125_101:
	s_wait_alu 0xfffe
	s_or_b32 exec_lo, exec_lo, s0
	s_and_saveexec_b32 s0, vcc_lo
	s_cbranch_execnz .LBB125_175
.LBB125_102:
	s_wait_alu 0xfffe
	s_or_b32 exec_lo, exec_lo, s0
	s_and_saveexec_b32 s0, vcc_lo
	s_cbranch_execnz .LBB125_176
.LBB125_103:
	s_wait_alu 0xfffe
	s_or_b32 exec_lo, exec_lo, s0
	s_and_saveexec_b32 s0, vcc_lo
	s_cbranch_execnz .LBB125_177
.LBB125_104:
	s_wait_alu 0xfffe
	s_or_b32 exec_lo, exec_lo, s0
	s_and_saveexec_b32 s0, vcc_lo
	s_cbranch_execnz .LBB125_178
.LBB125_105:
	s_wait_alu 0xfffe
	s_or_b32 exec_lo, exec_lo, s0
	s_and_saveexec_b32 s0, vcc_lo
	s_cbranch_execnz .LBB125_179
.LBB125_106:
	s_wait_alu 0xfffe
	s_or_b32 exec_lo, exec_lo, s0
	s_and_saveexec_b32 s0, vcc_lo
	s_cbranch_execnz .LBB125_180
.LBB125_107:
	s_wait_alu 0xfffe
	s_or_b32 exec_lo, exec_lo, s0
	s_and_saveexec_b32 s0, vcc_lo
	s_cbranch_execnz .LBB125_181
.LBB125_108:
	s_wait_alu 0xfffe
	s_or_b32 exec_lo, exec_lo, s0
	s_and_saveexec_b32 s0, vcc_lo
	s_cbranch_execnz .LBB125_182
.LBB125_109:
	s_wait_alu 0xfffe
	s_or_b32 exec_lo, exec_lo, s0
	s_and_saveexec_b32 s0, vcc_lo
	s_cbranch_execnz .LBB125_183
.LBB125_110:
	s_wait_alu 0xfffe
	s_or_b32 exec_lo, exec_lo, s0
	s_and_saveexec_b32 s0, vcc_lo
	s_cbranch_execnz .LBB125_184
.LBB125_111:
	s_wait_alu 0xfffe
	s_or_b32 exec_lo, exec_lo, s0
	s_and_saveexec_b32 s0, vcc_lo
	s_cbranch_execnz .LBB125_185
.LBB125_112:
	s_wait_alu 0xfffe
	s_or_b32 exec_lo, exec_lo, s0
	s_and_saveexec_b32 s0, vcc_lo
	s_cbranch_execnz .LBB125_186
.LBB125_113:
	s_wait_alu 0xfffe
	s_or_b32 exec_lo, exec_lo, s0
	s_and_saveexec_b32 s0, vcc_lo
	s_cbranch_execnz .LBB125_187
.LBB125_114:
	s_wait_alu 0xfffe
	s_or_b32 exec_lo, exec_lo, s0
	s_and_saveexec_b32 s0, vcc_lo
	s_cbranch_execnz .LBB125_188
.LBB125_115:
	s_wait_alu 0xfffe
	s_or_b32 exec_lo, exec_lo, s0
	s_and_saveexec_b32 s0, vcc_lo
	s_cbranch_execnz .LBB125_189
.LBB125_116:
	s_wait_alu 0xfffe
	s_or_b32 exec_lo, exec_lo, s0
	s_and_saveexec_b32 s0, vcc_lo
	s_cbranch_execnz .LBB125_190
.LBB125_117:
	s_wait_alu 0xfffe
	s_or_b32 exec_lo, exec_lo, s0
	s_and_saveexec_b32 s0, vcc_lo
	s_cbranch_execnz .LBB125_191
.LBB125_118:
	s_wait_alu 0xfffe
	s_or_b32 exec_lo, exec_lo, s0
	s_and_saveexec_b32 s0, vcc_lo
	s_cbranch_execnz .LBB125_192
.LBB125_119:
	s_wait_alu 0xfffe
	s_or_b32 exec_lo, exec_lo, s0
	s_and_saveexec_b32 s0, vcc_lo
	s_cbranch_execnz .LBB125_193
.LBB125_120:
	s_wait_alu 0xfffe
	s_or_b32 exec_lo, exec_lo, s0
	s_and_saveexec_b32 s0, vcc_lo
	s_cbranch_execnz .LBB125_194
.LBB125_121:
	s_wait_alu 0xfffe
	s_or_b32 exec_lo, exec_lo, s0
	s_and_saveexec_b32 s0, vcc_lo
	s_cbranch_execnz .LBB125_195
.LBB125_122:
	s_wait_alu 0xfffe
	s_or_b32 exec_lo, exec_lo, s0
	s_and_saveexec_b32 s0, vcc_lo
	s_cbranch_execnz .LBB125_196
.LBB125_123:
	s_wait_alu 0xfffe
	s_or_b32 exec_lo, exec_lo, s0
	s_and_saveexec_b32 s0, vcc_lo
	s_cbranch_execnz .LBB125_197
.LBB125_124:
	s_wait_alu 0xfffe
	s_or_b32 exec_lo, exec_lo, s0
	s_and_saveexec_b32 s0, vcc_lo
	s_cbranch_execnz .LBB125_198
.LBB125_125:
	s_wait_alu 0xfffe
	s_or_b32 exec_lo, exec_lo, s0
	s_and_saveexec_b32 s0, vcc_lo
	s_cbranch_execnz .LBB125_199
.LBB125_126:
	s_wait_alu 0xfffe
	s_or_b32 exec_lo, exec_lo, s0
	s_and_saveexec_b32 s0, vcc_lo
	s_cbranch_execnz .LBB125_200
.LBB125_127:
	s_wait_alu 0xfffe
	s_or_b32 exec_lo, exec_lo, s0
	s_and_saveexec_b32 s0, vcc_lo
	s_cbranch_execnz .LBB125_201
.LBB125_128:
	s_wait_alu 0xfffe
	s_or_b32 exec_lo, exec_lo, s0
	s_and_saveexec_b32 s0, vcc_lo
	s_cbranch_execz .LBB125_130
.LBB125_129:
	ds_load_b32 v35, v27 offset:992
	s_wait_dscnt 0x0
	v_add_f32_e32 v12, v12, v35
.LBB125_130:
	s_wait_alu 0xfffe
	s_or_b32 exec_lo, exec_lo, s0
.LBB125_131:
	s_wait_alu 0xfffe
	s_or_b32 exec_lo, exec_lo, s1
	v_and_b32_e32 v35, 0x3e3, v0
	s_mov_b32 s1, exec_lo
	s_wait_loadcnt 0x0
	s_barrier_signal -1
	s_barrier_wait -1
	global_inv scope:SCOPE_SE
	v_cmpx_eq_u32_e32 32, v35
	s_cbranch_execz .LBB125_133
; %bb.132:
	ds_store_2addr_b32 v34, v33, v32 offset1:8
	ds_store_2addr_b32 v34, v30, v29 offset0:16 offset1:24
	ds_store_2addr_b32 v34, v5, v2 offset0:32 offset1:40
	ds_store_2addr_b32 v34, v1, v3 offset0:48 offset1:56
	ds_store_2addr_b32 v34, v31, v28 offset0:64 offset1:72
	ds_store_2addr_b32 v34, v6, v4 offset0:80 offset1:88
	ds_store_2addr_b32 v34, v26, v25 offset0:96 offset1:104
	ds_store_2addr_b32 v34, v24, v23 offset0:112 offset1:120
	ds_store_2addr_b32 v34, v22, v21 offset0:128 offset1:136
	ds_store_2addr_b32 v34, v20, v19 offset0:144 offset1:152
	ds_store_2addr_b32 v34, v18, v17 offset0:160 offset1:168
	ds_store_2addr_b32 v34, v16, v15 offset0:176 offset1:184
	ds_store_2addr_b32 v34, v14, v13 offset0:192 offset1:200
	ds_store_2addr_b32 v34, v11, v9 offset0:208 offset1:216
	ds_store_2addr_b32 v34, v8, v7 offset0:224 offset1:232
	ds_store_2addr_b32 v34, v10, v12 offset0:240 offset1:248
.LBB125_133:
	s_wait_alu 0xfffe
	s_or_b32 exec_lo, exec_lo, s1
	s_wait_loadcnt_dscnt 0x0
	s_barrier_signal -1
	s_barrier_wait -1
	global_inv scope:SCOPE_SE
	s_and_saveexec_b32 s0, s2
	s_cbranch_execz .LBB125_168
; %bb.134:
	s_and_saveexec_b32 s1, vcc_lo
	s_cbranch_execnz .LBB125_202
; %bb.135:
	s_wait_alu 0xfffe
	s_or_b32 exec_lo, exec_lo, s1
	s_and_saveexec_b32 s1, vcc_lo
	s_cbranch_execnz .LBB125_203
.LBB125_136:
	s_wait_alu 0xfffe
	s_or_b32 exec_lo, exec_lo, s1
	s_and_saveexec_b32 s1, vcc_lo
	s_cbranch_execnz .LBB125_204
.LBB125_137:
	s_wait_alu 0xfffe
	s_or_b32 exec_lo, exec_lo, s1
	s_and_saveexec_b32 s1, vcc_lo
	s_cbranch_execnz .LBB125_205
.LBB125_138:
	s_wait_alu 0xfffe
	s_or_b32 exec_lo, exec_lo, s1
	s_and_saveexec_b32 s1, vcc_lo
	s_cbranch_execnz .LBB125_206
.LBB125_139:
	s_wait_alu 0xfffe
	s_or_b32 exec_lo, exec_lo, s1
	s_and_saveexec_b32 s1, vcc_lo
	s_cbranch_execnz .LBB125_207
.LBB125_140:
	s_wait_alu 0xfffe
	s_or_b32 exec_lo, exec_lo, s1
	s_and_saveexec_b32 s1, vcc_lo
	s_cbranch_execnz .LBB125_208
.LBB125_141:
	s_wait_alu 0xfffe
	s_or_b32 exec_lo, exec_lo, s1
	s_and_saveexec_b32 s1, vcc_lo
	s_cbranch_execnz .LBB125_209
.LBB125_142:
	s_wait_alu 0xfffe
	s_or_b32 exec_lo, exec_lo, s1
	s_and_saveexec_b32 s1, vcc_lo
	s_cbranch_execnz .LBB125_210
.LBB125_143:
	s_wait_alu 0xfffe
	s_or_b32 exec_lo, exec_lo, s1
	s_and_saveexec_b32 s1, vcc_lo
	s_cbranch_execnz .LBB125_211
.LBB125_144:
	s_wait_alu 0xfffe
	s_or_b32 exec_lo, exec_lo, s1
	s_and_saveexec_b32 s1, vcc_lo
	s_cbranch_execnz .LBB125_212
.LBB125_145:
	s_wait_alu 0xfffe
	s_or_b32 exec_lo, exec_lo, s1
	s_and_saveexec_b32 s1, vcc_lo
	s_cbranch_execnz .LBB125_213
.LBB125_146:
	s_wait_alu 0xfffe
	s_or_b32 exec_lo, exec_lo, s1
	s_and_saveexec_b32 s1, vcc_lo
	s_cbranch_execnz .LBB125_214
.LBB125_147:
	s_wait_alu 0xfffe
	s_or_b32 exec_lo, exec_lo, s1
	s_and_saveexec_b32 s1, vcc_lo
	s_cbranch_execnz .LBB125_215
.LBB125_148:
	s_wait_alu 0xfffe
	s_or_b32 exec_lo, exec_lo, s1
	s_and_saveexec_b32 s1, vcc_lo
	s_cbranch_execnz .LBB125_216
.LBB125_149:
	s_wait_alu 0xfffe
	s_or_b32 exec_lo, exec_lo, s1
	s_and_saveexec_b32 s1, vcc_lo
	s_cbranch_execnz .LBB125_217
.LBB125_150:
	s_wait_alu 0xfffe
	s_or_b32 exec_lo, exec_lo, s1
	s_and_saveexec_b32 s1, vcc_lo
	s_cbranch_execnz .LBB125_218
.LBB125_151:
	s_wait_alu 0xfffe
	s_or_b32 exec_lo, exec_lo, s1
	s_and_saveexec_b32 s1, vcc_lo
	s_cbranch_execnz .LBB125_219
.LBB125_152:
	s_wait_alu 0xfffe
	s_or_b32 exec_lo, exec_lo, s1
	s_and_saveexec_b32 s1, vcc_lo
	s_cbranch_execnz .LBB125_220
.LBB125_153:
	s_wait_alu 0xfffe
	s_or_b32 exec_lo, exec_lo, s1
	s_and_saveexec_b32 s1, vcc_lo
	s_cbranch_execnz .LBB125_221
.LBB125_154:
	s_wait_alu 0xfffe
	s_or_b32 exec_lo, exec_lo, s1
	s_and_saveexec_b32 s1, vcc_lo
	s_cbranch_execnz .LBB125_222
.LBB125_155:
	s_wait_alu 0xfffe
	s_or_b32 exec_lo, exec_lo, s1
	s_and_saveexec_b32 s1, vcc_lo
	s_cbranch_execnz .LBB125_223
.LBB125_156:
	s_wait_alu 0xfffe
	s_or_b32 exec_lo, exec_lo, s1
	s_and_saveexec_b32 s1, vcc_lo
	s_cbranch_execnz .LBB125_224
.LBB125_157:
	s_wait_alu 0xfffe
	s_or_b32 exec_lo, exec_lo, s1
	s_and_saveexec_b32 s1, vcc_lo
	s_cbranch_execnz .LBB125_225
.LBB125_158:
	s_wait_alu 0xfffe
	s_or_b32 exec_lo, exec_lo, s1
	s_and_saveexec_b32 s1, vcc_lo
	s_cbranch_execnz .LBB125_226
.LBB125_159:
	s_wait_alu 0xfffe
	s_or_b32 exec_lo, exec_lo, s1
	s_and_saveexec_b32 s1, vcc_lo
	s_cbranch_execnz .LBB125_227
.LBB125_160:
	s_wait_alu 0xfffe
	s_or_b32 exec_lo, exec_lo, s1
	s_and_saveexec_b32 s1, vcc_lo
	s_cbranch_execnz .LBB125_228
.LBB125_161:
	s_wait_alu 0xfffe
	s_or_b32 exec_lo, exec_lo, s1
	s_and_saveexec_b32 s1, vcc_lo
	s_cbranch_execnz .LBB125_229
.LBB125_162:
	s_wait_alu 0xfffe
	s_or_b32 exec_lo, exec_lo, s1
	s_and_saveexec_b32 s1, vcc_lo
	s_cbranch_execnz .LBB125_230
.LBB125_163:
	s_wait_alu 0xfffe
	s_or_b32 exec_lo, exec_lo, s1
	s_and_saveexec_b32 s1, vcc_lo
	s_cbranch_execnz .LBB125_231
.LBB125_164:
	s_wait_alu 0xfffe
	s_or_b32 exec_lo, exec_lo, s1
	s_and_saveexec_b32 s1, vcc_lo
	s_cbranch_execnz .LBB125_232
.LBB125_165:
	s_wait_alu 0xfffe
	s_or_b32 exec_lo, exec_lo, s1
	s_and_saveexec_b32 s1, vcc_lo
	s_cbranch_execz .LBB125_167
.LBB125_166:
	ds_load_b32 v27, v27 offset:992
	s_wait_dscnt 0x0
	v_add_f32_e32 v12, v12, v27
.LBB125_167:
	s_wait_alu 0xfffe
	s_or_b32 exec_lo, exec_lo, s1
.LBB125_168:
	s_wait_alu 0xfffe
	s_or_b32 exec_lo, exec_lo, s0
	s_mov_b32 s13, 0
	s_wait_loadcnt 0x0
	s_barrier_signal -1
	s_barrier_wait -1
	global_inv scope:SCOPE_SE
	s_mov_b32 s0, exec_lo
	v_cmpx_eq_u32_e32 0, v35
	s_cbranch_execz .LBB125_170
; %bb.169:
	s_lshl_b32 s0, s22, 8
	s_mul_i32 s2, s15, s14
	s_wait_alu 0xfffe
	s_ashr_i32 s1, s0, 31
	s_ashr_i32 s3, s2, 31
	s_wait_alu 0xfffe
	s_lshl_b64 s[0:1], s[0:1], 1
	s_lshl_b64 s[2:3], s[2:3], 1
	s_wait_kmcnt 0x0
	s_wait_alu 0xfffe
	s_add_nc_u64 s[0:1], s[20:21], s[0:1]
	v_lshrrev_b32_e32 v0, 1, v0
	s_wait_alu 0xfffe
	s_add_nc_u64 s[0:1], s[0:1], s[2:3]
	;;#ASMSTART
	v_cvt_f16_f32 v27, v33;

	;;#ASMEND
	s_wait_alu 0xfffe
	s_add_nc_u64 s[0:1], s[0:1], s[12:13]
	global_store_b16 v0, v27, s[0:1]
	;;#ASMSTART
	v_cvt_f16_f32 v27, v32;

	;;#ASMEND
	global_store_b16 v0, v27, s[0:1] offset:16
	;;#ASMSTART
	v_cvt_f16_f32 v27, v30;

	;;#ASMEND
	global_store_b16 v0, v27, s[0:1] offset:32
	;; [unrolled: 5-line block ×31, first 2 shown]
.LBB125_170:
	s_nop 0
	s_sendmsg sendmsg(MSG_DEALLOC_VGPRS)
	s_endpgm
.LBB125_171:
	ds_load_b32 v35, v27
	s_wait_dscnt 0x0
	v_add_f32_e32 v33, v33, v35
	s_wait_alu 0xfffe
	s_or_b32 exec_lo, exec_lo, s0
	s_and_saveexec_b32 s0, vcc_lo
	s_cbranch_execz .LBB125_99
.LBB125_172:
	ds_load_b32 v35, v27 offset:32
	s_wait_dscnt 0x0
	v_add_f32_e32 v32, v32, v35
	s_wait_alu 0xfffe
	s_or_b32 exec_lo, exec_lo, s0
	s_and_saveexec_b32 s0, vcc_lo
	s_cbranch_execz .LBB125_100
.LBB125_173:
	ds_load_b32 v35, v27 offset:64
	s_wait_dscnt 0x0
	v_add_f32_e32 v30, v30, v35
	s_wait_alu 0xfffe
	s_or_b32 exec_lo, exec_lo, s0
	s_and_saveexec_b32 s0, vcc_lo
	s_cbranch_execz .LBB125_101
.LBB125_174:
	ds_load_b32 v35, v27 offset:96
	s_wait_dscnt 0x0
	v_add_f32_e32 v29, v29, v35
	s_wait_alu 0xfffe
	s_or_b32 exec_lo, exec_lo, s0
	s_and_saveexec_b32 s0, vcc_lo
	s_cbranch_execz .LBB125_102
.LBB125_175:
	ds_load_b32 v35, v27 offset:128
	s_wait_dscnt 0x0
	v_add_f32_e32 v5, v5, v35
	s_wait_alu 0xfffe
	s_or_b32 exec_lo, exec_lo, s0
	s_and_saveexec_b32 s0, vcc_lo
	s_cbranch_execz .LBB125_103
.LBB125_176:
	ds_load_b32 v35, v27 offset:160
	s_wait_dscnt 0x0
	v_add_f32_e32 v2, v2, v35
	s_wait_alu 0xfffe
	s_or_b32 exec_lo, exec_lo, s0
	s_and_saveexec_b32 s0, vcc_lo
	s_cbranch_execz .LBB125_104
.LBB125_177:
	ds_load_b32 v35, v27 offset:192
	s_wait_dscnt 0x0
	v_add_f32_e32 v1, v1, v35
	s_wait_alu 0xfffe
	s_or_b32 exec_lo, exec_lo, s0
	s_and_saveexec_b32 s0, vcc_lo
	s_cbranch_execz .LBB125_105
.LBB125_178:
	ds_load_b32 v35, v27 offset:224
	s_wait_dscnt 0x0
	v_add_f32_e32 v3, v3, v35
	s_wait_alu 0xfffe
	s_or_b32 exec_lo, exec_lo, s0
	s_and_saveexec_b32 s0, vcc_lo
	s_cbranch_execz .LBB125_106
.LBB125_179:
	ds_load_b32 v35, v27 offset:256
	s_wait_dscnt 0x0
	v_add_f32_e32 v31, v31, v35
	s_wait_alu 0xfffe
	s_or_b32 exec_lo, exec_lo, s0
	s_and_saveexec_b32 s0, vcc_lo
	s_cbranch_execz .LBB125_107
.LBB125_180:
	ds_load_b32 v35, v27 offset:288
	s_wait_dscnt 0x0
	v_add_f32_e32 v28, v28, v35
	s_wait_alu 0xfffe
	s_or_b32 exec_lo, exec_lo, s0
	s_and_saveexec_b32 s0, vcc_lo
	s_cbranch_execz .LBB125_108
.LBB125_181:
	ds_load_b32 v35, v27 offset:320
	s_wait_dscnt 0x0
	v_add_f32_e32 v6, v6, v35
	s_wait_alu 0xfffe
	s_or_b32 exec_lo, exec_lo, s0
	s_and_saveexec_b32 s0, vcc_lo
	s_cbranch_execz .LBB125_109
.LBB125_182:
	ds_load_b32 v35, v27 offset:352
	s_wait_dscnt 0x0
	v_add_f32_e32 v4, v4, v35
	s_wait_alu 0xfffe
	s_or_b32 exec_lo, exec_lo, s0
	s_and_saveexec_b32 s0, vcc_lo
	s_cbranch_execz .LBB125_110
.LBB125_183:
	ds_load_b32 v35, v27 offset:384
	s_wait_dscnt 0x0
	v_add_f32_e32 v26, v26, v35
	s_wait_alu 0xfffe
	s_or_b32 exec_lo, exec_lo, s0
	s_and_saveexec_b32 s0, vcc_lo
	s_cbranch_execz .LBB125_111
.LBB125_184:
	ds_load_b32 v35, v27 offset:416
	s_wait_dscnt 0x0
	v_add_f32_e32 v25, v25, v35
	s_wait_alu 0xfffe
	s_or_b32 exec_lo, exec_lo, s0
	s_and_saveexec_b32 s0, vcc_lo
	s_cbranch_execz .LBB125_112
.LBB125_185:
	ds_load_b32 v35, v27 offset:448
	s_wait_dscnt 0x0
	v_add_f32_e32 v24, v24, v35
	s_wait_alu 0xfffe
	s_or_b32 exec_lo, exec_lo, s0
	s_and_saveexec_b32 s0, vcc_lo
	s_cbranch_execz .LBB125_113
.LBB125_186:
	ds_load_b32 v35, v27 offset:480
	s_wait_dscnt 0x0
	v_add_f32_e32 v23, v23, v35
	s_wait_alu 0xfffe
	s_or_b32 exec_lo, exec_lo, s0
	s_and_saveexec_b32 s0, vcc_lo
	s_cbranch_execz .LBB125_114
.LBB125_187:
	ds_load_b32 v35, v27 offset:512
	s_wait_dscnt 0x0
	v_add_f32_e32 v22, v22, v35
	s_wait_alu 0xfffe
	s_or_b32 exec_lo, exec_lo, s0
	s_and_saveexec_b32 s0, vcc_lo
	s_cbranch_execz .LBB125_115
.LBB125_188:
	ds_load_b32 v35, v27 offset:544
	s_wait_dscnt 0x0
	v_add_f32_e32 v21, v21, v35
	s_wait_alu 0xfffe
	s_or_b32 exec_lo, exec_lo, s0
	s_and_saveexec_b32 s0, vcc_lo
	s_cbranch_execz .LBB125_116
.LBB125_189:
	ds_load_b32 v35, v27 offset:576
	s_wait_dscnt 0x0
	v_add_f32_e32 v20, v20, v35
	s_wait_alu 0xfffe
	s_or_b32 exec_lo, exec_lo, s0
	s_and_saveexec_b32 s0, vcc_lo
	s_cbranch_execz .LBB125_117
.LBB125_190:
	ds_load_b32 v35, v27 offset:608
	s_wait_dscnt 0x0
	v_add_f32_e32 v19, v19, v35
	s_wait_alu 0xfffe
	s_or_b32 exec_lo, exec_lo, s0
	s_and_saveexec_b32 s0, vcc_lo
	s_cbranch_execz .LBB125_118
.LBB125_191:
	ds_load_b32 v35, v27 offset:640
	s_wait_dscnt 0x0
	v_add_f32_e32 v18, v18, v35
	s_wait_alu 0xfffe
	s_or_b32 exec_lo, exec_lo, s0
	s_and_saveexec_b32 s0, vcc_lo
	s_cbranch_execz .LBB125_119
.LBB125_192:
	ds_load_b32 v35, v27 offset:672
	s_wait_dscnt 0x0
	v_add_f32_e32 v17, v17, v35
	s_wait_alu 0xfffe
	s_or_b32 exec_lo, exec_lo, s0
	s_and_saveexec_b32 s0, vcc_lo
	s_cbranch_execz .LBB125_120
.LBB125_193:
	ds_load_b32 v35, v27 offset:704
	s_wait_dscnt 0x0
	v_add_f32_e32 v16, v16, v35
	s_wait_alu 0xfffe
	s_or_b32 exec_lo, exec_lo, s0
	s_and_saveexec_b32 s0, vcc_lo
	s_cbranch_execz .LBB125_121
.LBB125_194:
	ds_load_b32 v35, v27 offset:736
	s_wait_dscnt 0x0
	v_add_f32_e32 v15, v15, v35
	s_wait_alu 0xfffe
	s_or_b32 exec_lo, exec_lo, s0
	s_and_saveexec_b32 s0, vcc_lo
	s_cbranch_execz .LBB125_122
.LBB125_195:
	ds_load_b32 v35, v27 offset:768
	s_wait_dscnt 0x0
	v_add_f32_e32 v14, v14, v35
	s_wait_alu 0xfffe
	s_or_b32 exec_lo, exec_lo, s0
	s_and_saveexec_b32 s0, vcc_lo
	s_cbranch_execz .LBB125_123
.LBB125_196:
	ds_load_b32 v35, v27 offset:800
	s_wait_dscnt 0x0
	v_add_f32_e32 v13, v13, v35
	s_wait_alu 0xfffe
	s_or_b32 exec_lo, exec_lo, s0
	s_and_saveexec_b32 s0, vcc_lo
	s_cbranch_execz .LBB125_124
.LBB125_197:
	ds_load_b32 v35, v27 offset:832
	s_wait_dscnt 0x0
	v_add_f32_e32 v11, v11, v35
	s_wait_alu 0xfffe
	s_or_b32 exec_lo, exec_lo, s0
	s_and_saveexec_b32 s0, vcc_lo
	s_cbranch_execz .LBB125_125
.LBB125_198:
	ds_load_b32 v35, v27 offset:864
	s_wait_dscnt 0x0
	v_add_f32_e32 v9, v9, v35
	s_wait_alu 0xfffe
	s_or_b32 exec_lo, exec_lo, s0
	s_and_saveexec_b32 s0, vcc_lo
	s_cbranch_execz .LBB125_126
.LBB125_199:
	ds_load_b32 v35, v27 offset:896
	s_wait_dscnt 0x0
	v_add_f32_e32 v8, v8, v35
	s_wait_alu 0xfffe
	s_or_b32 exec_lo, exec_lo, s0
	s_and_saveexec_b32 s0, vcc_lo
	s_cbranch_execz .LBB125_127
.LBB125_200:
	ds_load_b32 v35, v27 offset:928
	s_wait_dscnt 0x0
	v_add_f32_e32 v7, v7, v35
	s_wait_alu 0xfffe
	s_or_b32 exec_lo, exec_lo, s0
	s_and_saveexec_b32 s0, vcc_lo
	s_cbranch_execz .LBB125_128
.LBB125_201:
	ds_load_b32 v35, v27 offset:960
	s_wait_dscnt 0x0
	v_add_f32_e32 v10, v10, v35
	s_wait_alu 0xfffe
	s_or_b32 exec_lo, exec_lo, s0
	s_and_saveexec_b32 s0, vcc_lo
	s_cbranch_execnz .LBB125_129
	s_branch .LBB125_130
.LBB125_202:
	ds_load_b32 v34, v27
	s_wait_dscnt 0x0
	v_add_f32_e32 v33, v33, v34
	s_wait_alu 0xfffe
	s_or_b32 exec_lo, exec_lo, s1
	s_and_saveexec_b32 s1, vcc_lo
	s_cbranch_execz .LBB125_136
.LBB125_203:
	ds_load_b32 v34, v27 offset:32
	s_wait_dscnt 0x0
	v_add_f32_e32 v32, v32, v34
	s_wait_alu 0xfffe
	s_or_b32 exec_lo, exec_lo, s1
	s_and_saveexec_b32 s1, vcc_lo
	s_cbranch_execz .LBB125_137
.LBB125_204:
	ds_load_b32 v34, v27 offset:64
	s_wait_dscnt 0x0
	v_add_f32_e32 v30, v30, v34
	s_wait_alu 0xfffe
	s_or_b32 exec_lo, exec_lo, s1
	s_and_saveexec_b32 s1, vcc_lo
	s_cbranch_execz .LBB125_138
.LBB125_205:
	ds_load_b32 v34, v27 offset:96
	s_wait_dscnt 0x0
	v_add_f32_e32 v29, v29, v34
	s_wait_alu 0xfffe
	s_or_b32 exec_lo, exec_lo, s1
	s_and_saveexec_b32 s1, vcc_lo
	s_cbranch_execz .LBB125_139
.LBB125_206:
	ds_load_b32 v34, v27 offset:128
	s_wait_dscnt 0x0
	v_add_f32_e32 v5, v5, v34
	s_wait_alu 0xfffe
	s_or_b32 exec_lo, exec_lo, s1
	s_and_saveexec_b32 s1, vcc_lo
	s_cbranch_execz .LBB125_140
.LBB125_207:
	ds_load_b32 v34, v27 offset:160
	s_wait_dscnt 0x0
	v_add_f32_e32 v2, v2, v34
	s_wait_alu 0xfffe
	s_or_b32 exec_lo, exec_lo, s1
	s_and_saveexec_b32 s1, vcc_lo
	s_cbranch_execz .LBB125_141
.LBB125_208:
	ds_load_b32 v34, v27 offset:192
	s_wait_dscnt 0x0
	v_add_f32_e32 v1, v1, v34
	s_wait_alu 0xfffe
	s_or_b32 exec_lo, exec_lo, s1
	s_and_saveexec_b32 s1, vcc_lo
	s_cbranch_execz .LBB125_142
.LBB125_209:
	ds_load_b32 v34, v27 offset:224
	s_wait_dscnt 0x0
	v_add_f32_e32 v3, v3, v34
	s_wait_alu 0xfffe
	s_or_b32 exec_lo, exec_lo, s1
	s_and_saveexec_b32 s1, vcc_lo
	s_cbranch_execz .LBB125_143
.LBB125_210:
	ds_load_b32 v34, v27 offset:256
	s_wait_dscnt 0x0
	v_add_f32_e32 v31, v31, v34
	s_wait_alu 0xfffe
	s_or_b32 exec_lo, exec_lo, s1
	s_and_saveexec_b32 s1, vcc_lo
	s_cbranch_execz .LBB125_144
.LBB125_211:
	ds_load_b32 v34, v27 offset:288
	s_wait_dscnt 0x0
	v_add_f32_e32 v28, v28, v34
	s_wait_alu 0xfffe
	s_or_b32 exec_lo, exec_lo, s1
	s_and_saveexec_b32 s1, vcc_lo
	s_cbranch_execz .LBB125_145
.LBB125_212:
	ds_load_b32 v34, v27 offset:320
	s_wait_dscnt 0x0
	v_add_f32_e32 v6, v6, v34
	s_wait_alu 0xfffe
	s_or_b32 exec_lo, exec_lo, s1
	s_and_saveexec_b32 s1, vcc_lo
	s_cbranch_execz .LBB125_146
.LBB125_213:
	ds_load_b32 v34, v27 offset:352
	s_wait_dscnt 0x0
	v_add_f32_e32 v4, v4, v34
	s_wait_alu 0xfffe
	s_or_b32 exec_lo, exec_lo, s1
	s_and_saveexec_b32 s1, vcc_lo
	s_cbranch_execz .LBB125_147
.LBB125_214:
	ds_load_b32 v34, v27 offset:384
	s_wait_dscnt 0x0
	v_add_f32_e32 v26, v26, v34
	s_wait_alu 0xfffe
	s_or_b32 exec_lo, exec_lo, s1
	s_and_saveexec_b32 s1, vcc_lo
	s_cbranch_execz .LBB125_148
.LBB125_215:
	ds_load_b32 v34, v27 offset:416
	s_wait_dscnt 0x0
	v_add_f32_e32 v25, v25, v34
	s_wait_alu 0xfffe
	s_or_b32 exec_lo, exec_lo, s1
	s_and_saveexec_b32 s1, vcc_lo
	s_cbranch_execz .LBB125_149
.LBB125_216:
	ds_load_b32 v34, v27 offset:448
	s_wait_dscnt 0x0
	v_add_f32_e32 v24, v24, v34
	s_wait_alu 0xfffe
	s_or_b32 exec_lo, exec_lo, s1
	s_and_saveexec_b32 s1, vcc_lo
	s_cbranch_execz .LBB125_150
.LBB125_217:
	ds_load_b32 v34, v27 offset:480
	s_wait_dscnt 0x0
	v_add_f32_e32 v23, v23, v34
	s_wait_alu 0xfffe
	s_or_b32 exec_lo, exec_lo, s1
	s_and_saveexec_b32 s1, vcc_lo
	s_cbranch_execz .LBB125_151
.LBB125_218:
	ds_load_b32 v34, v27 offset:512
	s_wait_dscnt 0x0
	v_add_f32_e32 v22, v22, v34
	s_wait_alu 0xfffe
	s_or_b32 exec_lo, exec_lo, s1
	s_and_saveexec_b32 s1, vcc_lo
	s_cbranch_execz .LBB125_152
.LBB125_219:
	ds_load_b32 v34, v27 offset:544
	s_wait_dscnt 0x0
	v_add_f32_e32 v21, v21, v34
	s_wait_alu 0xfffe
	s_or_b32 exec_lo, exec_lo, s1
	s_and_saveexec_b32 s1, vcc_lo
	s_cbranch_execz .LBB125_153
.LBB125_220:
	ds_load_b32 v34, v27 offset:576
	s_wait_dscnt 0x0
	v_add_f32_e32 v20, v20, v34
	s_wait_alu 0xfffe
	s_or_b32 exec_lo, exec_lo, s1
	s_and_saveexec_b32 s1, vcc_lo
	s_cbranch_execz .LBB125_154
.LBB125_221:
	ds_load_b32 v34, v27 offset:608
	s_wait_dscnt 0x0
	v_add_f32_e32 v19, v19, v34
	s_wait_alu 0xfffe
	s_or_b32 exec_lo, exec_lo, s1
	s_and_saveexec_b32 s1, vcc_lo
	s_cbranch_execz .LBB125_155
.LBB125_222:
	ds_load_b32 v34, v27 offset:640
	s_wait_dscnt 0x0
	v_add_f32_e32 v18, v18, v34
	s_wait_alu 0xfffe
	s_or_b32 exec_lo, exec_lo, s1
	s_and_saveexec_b32 s1, vcc_lo
	s_cbranch_execz .LBB125_156
.LBB125_223:
	ds_load_b32 v34, v27 offset:672
	s_wait_dscnt 0x0
	v_add_f32_e32 v17, v17, v34
	s_wait_alu 0xfffe
	s_or_b32 exec_lo, exec_lo, s1
	s_and_saveexec_b32 s1, vcc_lo
	s_cbranch_execz .LBB125_157
.LBB125_224:
	ds_load_b32 v34, v27 offset:704
	s_wait_dscnt 0x0
	v_add_f32_e32 v16, v16, v34
	s_wait_alu 0xfffe
	s_or_b32 exec_lo, exec_lo, s1
	s_and_saveexec_b32 s1, vcc_lo
	s_cbranch_execz .LBB125_158
.LBB125_225:
	ds_load_b32 v34, v27 offset:736
	s_wait_dscnt 0x0
	v_add_f32_e32 v15, v15, v34
	s_wait_alu 0xfffe
	s_or_b32 exec_lo, exec_lo, s1
	s_and_saveexec_b32 s1, vcc_lo
	s_cbranch_execz .LBB125_159
.LBB125_226:
	ds_load_b32 v34, v27 offset:768
	s_wait_dscnt 0x0
	v_add_f32_e32 v14, v14, v34
	s_wait_alu 0xfffe
	s_or_b32 exec_lo, exec_lo, s1
	s_and_saveexec_b32 s1, vcc_lo
	s_cbranch_execz .LBB125_160
.LBB125_227:
	ds_load_b32 v34, v27 offset:800
	s_wait_dscnt 0x0
	v_add_f32_e32 v13, v13, v34
	s_wait_alu 0xfffe
	s_or_b32 exec_lo, exec_lo, s1
	s_and_saveexec_b32 s1, vcc_lo
	s_cbranch_execz .LBB125_161
.LBB125_228:
	ds_load_b32 v34, v27 offset:832
	s_wait_dscnt 0x0
	v_add_f32_e32 v11, v11, v34
	s_wait_alu 0xfffe
	s_or_b32 exec_lo, exec_lo, s1
	s_and_saveexec_b32 s1, vcc_lo
	s_cbranch_execz .LBB125_162
.LBB125_229:
	ds_load_b32 v34, v27 offset:864
	s_wait_dscnt 0x0
	v_add_f32_e32 v9, v9, v34
	s_wait_alu 0xfffe
	s_or_b32 exec_lo, exec_lo, s1
	s_and_saveexec_b32 s1, vcc_lo
	s_cbranch_execz .LBB125_163
.LBB125_230:
	ds_load_b32 v34, v27 offset:896
	s_wait_dscnt 0x0
	v_add_f32_e32 v8, v8, v34
	s_wait_alu 0xfffe
	s_or_b32 exec_lo, exec_lo, s1
	s_and_saveexec_b32 s1, vcc_lo
	s_cbranch_execz .LBB125_164
.LBB125_231:
	ds_load_b32 v34, v27 offset:928
	s_wait_dscnt 0x0
	v_add_f32_e32 v7, v7, v34
	s_wait_alu 0xfffe
	s_or_b32 exec_lo, exec_lo, s1
	s_and_saveexec_b32 s1, vcc_lo
	s_cbranch_execz .LBB125_165
.LBB125_232:
	ds_load_b32 v34, v27 offset:960
	s_wait_dscnt 0x0
	v_add_f32_e32 v10, v10, v34
	s_wait_alu 0xfffe
	s_or_b32 exec_lo, exec_lo, s1
	s_and_saveexec_b32 s1, vcc_lo
	s_cbranch_execnz .LBB125_166
	s_branch .LBB125_167
	.section	.rodata,"a",@progbits
	.p2align	6, 0x0
	.amdhsa_kernel _ZN4vllm25paged_attention_v2_kernelIttLi256ELi32ELi128ELNS_18Fp8KVCacheDataTypeE0ELb0ELi512EEEvPfS2_PT_PKS3_PKT0_S9_ifPKiSB_iPKfiiiSD_SD_iiiii
		.amdhsa_group_segment_fixed_size 544
		.amdhsa_private_segment_fixed_size 0
		.amdhsa_kernarg_size 400
		.amdhsa_user_sgpr_count 2
		.amdhsa_user_sgpr_dispatch_ptr 0
		.amdhsa_user_sgpr_queue_ptr 0
		.amdhsa_user_sgpr_kernarg_segment_ptr 1
		.amdhsa_user_sgpr_dispatch_id 0
		.amdhsa_user_sgpr_private_segment_size 0
		.amdhsa_wavefront_size32 1
		.amdhsa_uses_dynamic_stack 0
		.amdhsa_enable_private_segment 0
		.amdhsa_system_sgpr_workgroup_id_x 1
		.amdhsa_system_sgpr_workgroup_id_y 1
		.amdhsa_system_sgpr_workgroup_id_z 1
		.amdhsa_system_sgpr_workgroup_info 0
		.amdhsa_system_vgpr_workitem_id 0
		.amdhsa_next_free_vgpr 161
		.amdhsa_next_free_sgpr 36
		.amdhsa_reserve_vcc 1
		.amdhsa_float_round_mode_32 0
		.amdhsa_float_round_mode_16_64 0
		.amdhsa_float_denorm_mode_32 3
		.amdhsa_float_denorm_mode_16_64 3
		.amdhsa_fp16_overflow 0
		.amdhsa_workgroup_processor_mode 1
		.amdhsa_memory_ordered 1
		.amdhsa_forward_progress 1
		.amdhsa_inst_pref_size 184
		.amdhsa_round_robin_scheduling 0
		.amdhsa_exception_fp_ieee_invalid_op 0
		.amdhsa_exception_fp_denorm_src 0
		.amdhsa_exception_fp_ieee_div_zero 0
		.amdhsa_exception_fp_ieee_overflow 0
		.amdhsa_exception_fp_ieee_underflow 0
		.amdhsa_exception_fp_ieee_inexact 0
		.amdhsa_exception_int_div_zero 0
	.end_amdhsa_kernel
	.section	.text._ZN4vllm25paged_attention_v2_kernelIttLi256ELi32ELi128ELNS_18Fp8KVCacheDataTypeE0ELb0ELi512EEEvPfS2_PT_PKS3_PKT0_S9_ifPKiSB_iPKfiiiSD_SD_iiiii,"axG",@progbits,_ZN4vllm25paged_attention_v2_kernelIttLi256ELi32ELi128ELNS_18Fp8KVCacheDataTypeE0ELb0ELi512EEEvPfS2_PT_PKS3_PKT0_S9_ifPKiSB_iPKfiiiSD_SD_iiiii,comdat
.Lfunc_end125:
	.size	_ZN4vllm25paged_attention_v2_kernelIttLi256ELi32ELi128ELNS_18Fp8KVCacheDataTypeE0ELb0ELi512EEEvPfS2_PT_PKS3_PKT0_S9_ifPKiSB_iPKfiiiSD_SD_iiiii, .Lfunc_end125-_ZN4vllm25paged_attention_v2_kernelIttLi256ELi32ELi128ELNS_18Fp8KVCacheDataTypeE0ELb0ELi512EEEvPfS2_PT_PKS3_PKT0_S9_ifPKiSB_iPKfiiiSD_SD_iiiii
                                        ; -- End function
	.set _ZN4vllm25paged_attention_v2_kernelIttLi256ELi32ELi128ELNS_18Fp8KVCacheDataTypeE0ELb0ELi512EEEvPfS2_PT_PKS3_PKT0_S9_ifPKiSB_iPKfiiiSD_SD_iiiii.num_vgpr, 161
	.set _ZN4vllm25paged_attention_v2_kernelIttLi256ELi32ELi128ELNS_18Fp8KVCacheDataTypeE0ELb0ELi512EEEvPfS2_PT_PKS3_PKT0_S9_ifPKiSB_iPKfiiiSD_SD_iiiii.num_agpr, 0
	.set _ZN4vllm25paged_attention_v2_kernelIttLi256ELi32ELi128ELNS_18Fp8KVCacheDataTypeE0ELb0ELi512EEEvPfS2_PT_PKS3_PKT0_S9_ifPKiSB_iPKfiiiSD_SD_iiiii.numbered_sgpr, 36
	.set _ZN4vllm25paged_attention_v2_kernelIttLi256ELi32ELi128ELNS_18Fp8KVCacheDataTypeE0ELb0ELi512EEEvPfS2_PT_PKS3_PKT0_S9_ifPKiSB_iPKfiiiSD_SD_iiiii.num_named_barrier, 0
	.set _ZN4vllm25paged_attention_v2_kernelIttLi256ELi32ELi128ELNS_18Fp8KVCacheDataTypeE0ELb0ELi512EEEvPfS2_PT_PKS3_PKT0_S9_ifPKiSB_iPKfiiiSD_SD_iiiii.private_seg_size, 0
	.set _ZN4vllm25paged_attention_v2_kernelIttLi256ELi32ELi128ELNS_18Fp8KVCacheDataTypeE0ELb0ELi512EEEvPfS2_PT_PKS3_PKT0_S9_ifPKiSB_iPKfiiiSD_SD_iiiii.uses_vcc, 1
	.set _ZN4vllm25paged_attention_v2_kernelIttLi256ELi32ELi128ELNS_18Fp8KVCacheDataTypeE0ELb0ELi512EEEvPfS2_PT_PKS3_PKT0_S9_ifPKiSB_iPKfiiiSD_SD_iiiii.uses_flat_scratch, 0
	.set _ZN4vllm25paged_attention_v2_kernelIttLi256ELi32ELi128ELNS_18Fp8KVCacheDataTypeE0ELb0ELi512EEEvPfS2_PT_PKS3_PKT0_S9_ifPKiSB_iPKfiiiSD_SD_iiiii.has_dyn_sized_stack, 0
	.set _ZN4vllm25paged_attention_v2_kernelIttLi256ELi32ELi128ELNS_18Fp8KVCacheDataTypeE0ELb0ELi512EEEvPfS2_PT_PKS3_PKT0_S9_ifPKiSB_iPKfiiiSD_SD_iiiii.has_recursion, 0
	.set _ZN4vllm25paged_attention_v2_kernelIttLi256ELi32ELi128ELNS_18Fp8KVCacheDataTypeE0ELb0ELi512EEEvPfS2_PT_PKS3_PKT0_S9_ifPKiSB_iPKfiiiSD_SD_iiiii.has_indirect_call, 0
	.section	.AMDGPU.csdata,"",@progbits
; Kernel info:
; codeLenInByte = 23516
; TotalNumSgprs: 38
; NumVgprs: 161
; ScratchSize: 0
; MemoryBound: 0
; FloatMode: 240
; IeeeMode: 1
; LDSByteSize: 544 bytes/workgroup (compile time only)
; SGPRBlocks: 0
; VGPRBlocks: 20
; NumSGPRsForWavesPerEU: 38
; NumVGPRsForWavesPerEU: 161
; Occupancy: 9
; WaveLimiterHint : 1
; COMPUTE_PGM_RSRC2:SCRATCH_EN: 0
; COMPUTE_PGM_RSRC2:USER_SGPR: 2
; COMPUTE_PGM_RSRC2:TRAP_HANDLER: 0
; COMPUTE_PGM_RSRC2:TGID_X_EN: 1
; COMPUTE_PGM_RSRC2:TGID_Y_EN: 1
; COMPUTE_PGM_RSRC2:TGID_Z_EN: 1
; COMPUTE_PGM_RSRC2:TIDIG_COMP_CNT: 0
	.section	.text._ZN4vllm25paged_attention_v2_kernelI14__hip_bfloat16S1_Li32ELi8ELi128ELNS_18Fp8KVCacheDataTypeE0ELb1ELi512EEEvPfS3_PT_PKS4_PKT0_SA_ifPKiSC_iPKfiiiSE_SE_iiiii,"axG",@progbits,_ZN4vllm25paged_attention_v2_kernelI14__hip_bfloat16S1_Li32ELi8ELi128ELNS_18Fp8KVCacheDataTypeE0ELb1ELi512EEEvPfS3_PT_PKS4_PKT0_SA_ifPKiSC_iPKfiiiSE_SE_iiiii,comdat
	.protected	_ZN4vllm25paged_attention_v2_kernelI14__hip_bfloat16S1_Li32ELi8ELi128ELNS_18Fp8KVCacheDataTypeE0ELb1ELi512EEEvPfS3_PT_PKS4_PKT0_SA_ifPKiSC_iPKfiiiSE_SE_iiiii ; -- Begin function _ZN4vllm25paged_attention_v2_kernelI14__hip_bfloat16S1_Li32ELi8ELi128ELNS_18Fp8KVCacheDataTypeE0ELb1ELi512EEEvPfS3_PT_PKS4_PKT0_SA_ifPKiSC_iPKfiiiSE_SE_iiiii
	.globl	_ZN4vllm25paged_attention_v2_kernelI14__hip_bfloat16S1_Li32ELi8ELi128ELNS_18Fp8KVCacheDataTypeE0ELb1ELi512EEEvPfS3_PT_PKS4_PKT0_SA_ifPKiSC_iPKfiiiSE_SE_iiiii
	.p2align	8
	.type	_ZN4vllm25paged_attention_v2_kernelI14__hip_bfloat16S1_Li32ELi8ELi128ELNS_18Fp8KVCacheDataTypeE0ELb1ELi512EEEvPfS3_PT_PKS4_PKT0_SA_ifPKiSC_iPKfiiiSE_SE_iiiii,@function
_ZN4vllm25paged_attention_v2_kernelI14__hip_bfloat16S1_Li32ELi8ELi128ELNS_18Fp8KVCacheDataTypeE0ELb1ELi512EEEvPfS3_PT_PKS4_PKT0_SA_ifPKiSC_iPKfiiiSE_SE_iiiii: ; @_ZN4vllm25paged_attention_v2_kernelI14__hip_bfloat16S1_Li32ELi8ELi128ELNS_18Fp8KVCacheDataTypeE0ELb1ELi512EEEvPfS3_PT_PKS4_PKT0_SA_ifPKiSC_iPKfiiiSE_SE_iiiii
; %bb.0:
	s_load_b64 s[2:3], s[0:1], 0x40
	s_and_b32 s26, ttmp7, 0xffff
	s_lshr_b32 s33, ttmp7, 16
	s_lshl_b32 s4, s26, 2
	s_lshl_b32 s34, s33, 9
	s_wait_kmcnt 0x0
	s_load_b32 s30, s[2:3], s4 offset:0x0
	s_wait_kmcnt 0x0
	s_cmp_ge_i32 s34, s30
	s_cbranch_scc1 .LBB126_56
; %bb.1:
	s_clause 0x1
	s_load_b32 s27, s[0:1], 0x90
	s_load_b64 s[6:7], s[0:1], 0x30
	s_wait_kmcnt 0x0
	s_abs_i32 s5, s27
	s_abs_i32 s2, s6
	s_delay_alu instid0(SALU_CYCLE_1) | instskip(SKIP_1) | instid1(SALU_CYCLE_2)
	s_cvt_f32_u32 s3, s2
	s_sub_co_i32 s4, 0, s2
	v_rcp_iflag_f32_e32 v1, s3
	s_delay_alu instid0(TRANS32_DEP_1) | instskip(SKIP_2) | instid1(SALU_CYCLE_2)
	v_readfirstlane_b32 s3, v1
	s_mul_f32 s3, s3, 0x4f7ffffe
	s_wait_alu 0xfffe
	s_cvt_u32_f32 s3, s3
	s_wait_alu 0xfffe
	s_delay_alu instid0(SALU_CYCLE_2) | instskip(NEXT) | instid1(SALU_CYCLE_1)
	s_mul_i32 s4, s4, s3
	s_mul_hi_u32 s4, s3, s4
	s_delay_alu instid0(SALU_CYCLE_1)
	s_add_co_i32 s3, s3, s4
	s_xor_b32 s4, s27, s6
	s_wait_alu 0xfffe
	s_mul_hi_u32 s3, s5, s3
	s_ashr_i32 s4, s4, 31
	s_wait_alu 0xfffe
	s_mul_i32 s8, s3, s2
	s_delay_alu instid0(SALU_CYCLE_1)
	s_sub_co_i32 s5, s5, s8
	s_add_co_i32 s8, s3, 1
	s_sub_co_i32 s9, s5, s2
	s_cmp_ge_u32 s5, s2
	s_cselect_b32 s3, s8, s3
	s_cselect_b32 s5, s9, s5
	s_wait_alu 0xfffe
	s_add_co_i32 s8, s3, 1
	s_cmp_ge_u32 s5, s2
	s_cselect_b32 s2, s8, s3
	s_load_b64 s[8:9], s[0:1], 0x50
	s_xor_b32 s2, s2, s4
	s_mov_b32 s3, 0
	s_wait_alu 0xfffe
	s_sub_co_i32 s10, s2, s4
	s_mov_b32 s15, s3
	s_abs_i32 s18, s10
	s_delay_alu instid0(SALU_CYCLE_1) | instskip(SKIP_1) | instid1(SALU_CYCLE_2)
	s_cvt_f32_u32 s2, s18
	s_wait_alu 0xfffe
	v_rcp_iflag_f32_e32 v1, s2
	s_delay_alu instid0(TRANS32_DEP_1) | instskip(SKIP_2) | instid1(SALU_CYCLE_2)
	v_readfirstlane_b32 s2, v1
	s_mul_f32 s2, s2, 0x4f7ffffe
	s_wait_alu 0xfffe
	s_cvt_u32_f32 s4, s2
	s_sub_co_i32 s2, 0, s18
	s_wait_alu 0xfffe
	s_delay_alu instid0(SALU_CYCLE_1)
	s_mul_i32 s2, s2, s4
	s_wait_alu 0xfffe
	s_mul_hi_u32 s5, s4, s2
	s_abs_i32 s2, ttmp9
	s_add_co_i32 s4, s4, s5
	s_mov_b32 s5, s3
	s_wait_kmcnt 0x0
	s_cmp_eq_u64 s[8:9], 0
	s_cbranch_scc1 .LBB126_3
; %bb.2:
	s_mov_b32 s12, ttmp9
	s_ashr_i32 s13, ttmp9, 31
	s_delay_alu instid0(SALU_CYCLE_1) | instskip(NEXT) | instid1(SALU_CYCLE_1)
	s_lshl_b64 s[12:13], s[12:13], 2
	s_add_nc_u64 s[8:9], s[8:9], s[12:13]
	s_load_b32 s15, s[8:9], 0x0
.LBB126_3:
	s_load_b96 s[12:14], s[0:1], 0x58
	v_and_b32_e32 v1, 3, v0
	v_lshlrev_b32_e32 v2, 2, v0
	s_mul_u64 s[4:5], s[2:3], s[4:5]
	s_ashr_i32 s3, ttmp9, 31
	s_ashr_i32 s4, s10, 31
	s_lshl_b32 s16, ttmp9, 5
	s_mov_b32 s8, exec_lo
	v_cmpx_gt_u32_e32 16, v0
	s_cbranch_execz .LBB126_5
; %bb.4:
	s_load_b64 s[10:11], s[0:1], 0x18
	s_wait_kmcnt 0x0
	s_mul_i32 s20, s12, s26
	s_ashr_i32 s17, s16, 31
	s_ashr_i32 s21, s20, 31
	v_and_b32_e32 v4, 0x3fc, v0
	s_lshl_b64 s[20:21], s[20:21], 1
	s_delay_alu instid0(VALU_DEP_1) | instskip(SKIP_2) | instid1(SALU_CYCLE_1)
	v_lshl_add_u32 v4, v1, 4, v4
	s_add_nc_u64 s[10:11], s[10:11], s[20:21]
	s_lshl_b64 s[20:21], s[16:17], 1
	s_add_nc_u64 s[10:11], s[10:11], s[20:21]
	global_load_b32 v3, v2, s[10:11]
	s_wait_loadcnt 0x0
	ds_store_b32 v4, v3
.LBB126_5:
	s_or_b32 exec_lo, exec_lo, s8
	s_clause 0x1
	s_load_b128 s[8:11], s[0:1], 0x78
	s_load_b32 s20, s[0:1], 0x88
	s_wait_kmcnt 0x0
	s_mul_i32 s12, s5, s18
	s_xor_b32 s3, s3, s4
	s_sub_co_i32 s2, s2, s12
	s_add_co_i32 s4, s5, 1
	s_wait_alu 0xfffe
	s_sub_co_i32 s12, s2, s18
	s_cmp_ge_u32 s2, s18
	s_mov_b32 s22, -1
	s_cselect_b32 s4, s4, s5
	s_cselect_b32 s2, s12, s2
	s_add_co_i32 s5, s4, 1
	s_wait_alu 0xfffe
	s_cmp_ge_u32 s2, s18
	s_wait_dscnt 0x0
	s_cselect_b32 s2, s5, s4
	s_add_co_i32 s21, s30, -1
	s_wait_alu 0xfffe
	s_xor_b32 s2, s2, s3
	s_barrier_signal -1
	s_wait_alu 0xfffe
	s_sub_co_i32 s24, s2, s3
	s_barrier_wait -1
	s_abs_i32 s12, s11
	global_inv scope:SCOPE_SE
	s_cvt_f32_u32 s4, s12
                                        ; implicit-def: $sgpr17
	s_delay_alu instid0(SALU_CYCLE_3) | instskip(NEXT) | instid1(TRANS32_DEP_1)
	v_rcp_iflag_f32_e32 v3, s4
	v_readfirstlane_b32 s4, v3
	s_mul_f32 s2, s4, 0x4f7ffffe
	s_wait_alu 0xfffe
	s_delay_alu instid0(SALU_CYCLE_2) | instskip(SKIP_2) | instid1(SALU_CYCLE_1)
	s_cvt_u32_f32 s4, s2
	s_sub_co_i32 s2, 0, s12
	s_wait_alu 0xfffe
	s_mul_i32 s3, s2, s4
	s_abs_i32 s2, s21
	s_wait_alu 0xfffe
	s_mul_hi_u32 s5, s4, s3
	s_mov_b32 s3, 0
	s_wait_alu 0xfffe
	s_add_co_i32 s18, s4, s5
	s_cmp_lt_i32 s20, 0
	s_mov_b32 s19, s3
	s_cbranch_scc0 .LBB126_7
; %bb.6:
	s_mul_i32 s4, s8, s6
	s_mov_b32 s22, s3
	s_wait_alu 0xfffe
	s_add_co_i32 s4, s24, s4
	s_wait_alu 0xfffe
	s_mul_i32 s4, s4, s20
	s_wait_alu 0xfffe
	s_sub_co_i32 s17, 1, s4
.LBB126_7:
	s_mul_u64 s[4:5], s[2:3], s[18:19]
	s_ashr_i32 s3, s21, 31
	s_and_not1_b32 vcc_lo, exec_lo, s22
	s_ashr_i32 s19, s11, 31
	s_cbranch_vccnz .LBB126_9
; %bb.8:
	s_mul_i32 s4, s27, s8
	s_wait_alu 0xfffe
	s_add_co_i32 s4, s4, ttmp9
	s_wait_alu 0xfffe
	s_mul_i32 s4, s4, s20
	s_wait_alu 0xfffe
	s_add_co_i32 s17, s4, 1
.LBB126_9:
	s_clause 0x2
	s_load_b32 s4, s[0:1], 0x48
	s_load_b64 s[20:21], s[0:1], 0x38
	s_load_b32 s11, s[0:1], 0x98
	s_mul_i32 s6, s5, s12
	s_xor_b32 s3, s3, s19
	s_sub_co_i32 s2, s2, s6
	s_add_co_i32 s8, s5, 1
	v_lshrrev_b32_e32 v15, 5, v0
	v_mbcnt_lo_u32_b32 v4, -1, 0
	s_mul_i32 s24, s24, s14
	s_delay_alu instid0(VALU_DEP_2)
	v_lshl_add_u32 v16, v15, 3, s34
	s_wait_kmcnt 0x0
	s_mul_i32 s22, s4, s26
	s_wait_alu 0xfffe
	s_sub_co_i32 s4, s2, s12
	s_ashr_i32 s23, s22, 31
	s_cmp_ge_u32 s2, s12
	s_cselect_b32 s5, s8, s5
	s_wait_alu 0xfffe
	s_cselect_b32 s2, s4, s2
	s_add_co_i32 s4, s5, 1
	s_wait_alu 0xfffe
	s_cmp_ge_u32 s2, s12
	s_cselect_b32 s2, s4, s5
	s_add_co_i32 s4, s30, 7
	s_lshl_b32 s8, s33, 6
	s_wait_alu 0xfffe
	s_ashr_i32 s5, s4, 31
	v_or_b32_e32 v17, s8, v15
	s_wait_alu 0xfffe
	s_lshr_b32 s5, s5, 29
	v_mov_b32_e32 v6, 0xff7fffff
	s_wait_alu 0xfffe
	s_add_co_i32 s4, s4, s5
	s_add_co_i32 s5, s8, 64
	s_wait_alu 0xfffe
	s_ashr_i32 s35, s4, 3
	s_xor_b32 s4, s2, s3
	s_wait_alu 0xfffe
	s_min_i32 s31, s5, s35
	v_lshlrev_b32_e32 v3, 2, v17
	v_cmp_gt_i32_e64 s2, s31, v17
	s_sub_co_i32 s36, s4, s3
	s_and_saveexec_b32 s6, s2
	s_cbranch_execz .LBB126_21
; %bb.10:
	s_ashr_i32 s25, s24, 31
	s_sub_co_i32 s14, s36, s9
	s_lshl_b64 s[4:5], s[24:25], 1
	s_cmp_neq_f32 s15, 0
	s_load_b64 s[38:39], s[0:1], 0x20
	v_bfe_u32 v5, v0, 2, 3
	v_lshlrev_b32_e32 v7, 4, v1
	s_cselect_b32 vcc_lo, -1, 0
	s_abs_i32 s25, s10
	v_dual_mov_b32 v13, 0xff7fffff :: v_dual_and_b32 v2, 12, v2
	s_cvt_f32_u32 s3, s25
	v_dual_mov_b32 v19, v17 :: v_dual_lshlrev_b32 v8, 2, v5
	s_lshl_b64 s[40:41], s[22:23], 2
	s_wait_alu 0xfffe
	v_rcp_iflag_f32_e32 v6, s3
	v_cmp_eq_u32_e64 s3, 0, v1
	v_lshlrev_b32_e32 v1, 4, v5
	v_subrev_nc_u32_e32 v11, s30, v5
	s_add_nc_u64 s[40:41], s[20:21], s[40:41]
	s_sub_co_i32 s37, 0, s25
	v_lshl_add_u32 v10, v15, 3, s34
	v_xor_b32_e32 v14, 2, v4
	v_add_nc_u32_e32 v11, 1, v11
	s_wait_kmcnt 0x0
	s_add_nc_u64 s[4:5], s[38:39], s[4:5]
	v_readfirstlane_b32 s29, v6
	s_wait_alu 0xfffe
	v_add_co_u32 v1, s4, s4, v1
	s_wait_alu 0xf1ff
	v_add_co_ci_u32_e64 v9, null, s5, 0, s4
	s_mul_f32 s29, s29, 0x4f7ffffe
	v_lshl_or_b32 v6, v15, 5, v8
	v_add_co_u32 v8, s4, v1, v2
	s_delay_alu instid0(SALU_CYCLE_1)
	s_cvt_u32_f32 s5, s29
	s_wait_alu 0xf1ff
	v_add_co_ci_u32_e64 v9, null, 0, v9, s4
	v_add_co_u32 v1, s4, s40, v3
	s_wait_alu 0xfffe
	s_mul_i32 s37, s37, s5
	v_add_co_ci_u32_e64 v2, null, s41, 0, s4
	v_add_nc_u32_e32 v12, 0x60, v6
	v_xor_b32_e32 v18, 1, v4
	v_mov_b32_e32 v6, 0xff7fffff
	s_mul_hi_u32 s4, s5, s37
	s_mov_b32 s28, 0
	s_mov_b32 s29, s13
	s_wait_alu 0xfffe
	s_add_co_i32 s37, s5, s4
	s_branch .LBB126_13
.LBB126_11:                             ;   in Loop: Header=BB126_13 Depth=1
	s_or_b32 exec_lo, exec_lo, s38
.LBB126_12:                             ;   in Loop: Header=BB126_13 Depth=1
	s_wait_alu 0xfffe
	s_or_b32 exec_lo, exec_lo, s5
	v_add_nc_u32_e32 v19, 4, v19
	v_add_co_u32 v1, s5, v1, 16
	s_wait_alu 0xf1ff
	v_add_co_ci_u32_e64 v2, null, 0, v2, s5
	s_delay_alu instid0(VALU_DEP_3)
	v_cmp_le_i32_e64 s4, s31, v19
	v_add_nc_u32_e32 v10, 32, v10
	v_add_nc_u32_e32 v12, 0x80, v12
	s_or_b32 s28, s4, s28
	s_wait_alu 0xfffe
	s_and_not1_b32 exec_lo, exec_lo, s28
	s_cbranch_execz .LBB126_20
.LBB126_13:                             ; =>This Inner Loop Header: Depth=1
	v_sub_nc_u32_e32 v20, 0, v10
	s_delay_alu instid0(VALU_DEP_1) | instskip(SKIP_1) | instid1(VALU_DEP_1)
	v_max_i32_e32 v20, v10, v20
	s_wait_dscnt 0x0
	v_mul_hi_u32 v21, v20, s18
	s_delay_alu instid0(VALU_DEP_1) | instskip(NEXT) | instid1(VALU_DEP_1)
	v_mul_lo_u32 v22, v21, s12
	v_sub_nc_u32_e32 v20, v20, v22
	v_add_nc_u32_e32 v22, 1, v21
	s_delay_alu instid0(VALU_DEP_2) | instskip(SKIP_2) | instid1(VALU_DEP_1)
	v_subrev_nc_u32_e32 v23, s12, v20
	v_cmp_le_u32_e64 s4, s12, v20
	s_wait_alu 0xf1ff
	v_cndmask_b32_e64 v21, v21, v22, s4
	s_delay_alu instid0(VALU_DEP_3) | instskip(SKIP_1) | instid1(VALU_DEP_3)
	v_cndmask_b32_e64 v20, v20, v23, s4
	v_ashrrev_i32_e32 v22, 31, v10
	v_add_nc_u32_e32 v23, 1, v21
	s_delay_alu instid0(VALU_DEP_3) | instskip(NEXT) | instid1(VALU_DEP_3)
	v_cmp_le_u32_e64 s4, s12, v20
	v_xor_b32_e32 v22, s19, v22
	s_wait_alu 0xf1ff
	s_delay_alu instid0(VALU_DEP_2) | instskip(NEXT) | instid1(VALU_DEP_1)
	v_cndmask_b32_e64 v20, v21, v23, s4
	v_xor_b32_e32 v20, v20, v22
	s_delay_alu instid0(VALU_DEP_1) | instskip(NEXT) | instid1(VALU_DEP_1)
	v_sub_nc_u32_e32 v20, v20, v22
	v_add_nc_u32_e32 v21, s17, v20
	v_cmp_ge_i32_e64 s5, s14, v20
	s_delay_alu instid0(VALU_DEP_2) | instskip(NEXT) | instid1(VALU_DEP_1)
	v_sub_nc_u32_e32 v22, 0, v21
	v_max_i32_e32 v22, v21, v22
	v_ashrrev_i32_e32 v21, 31, v21
	s_delay_alu instid0(VALU_DEP_2) | instskip(NEXT) | instid1(VALU_DEP_1)
	v_mul_hi_u32 v23, v22, s37
	v_mul_lo_u32 v23, v23, s25
	s_delay_alu instid0(VALU_DEP_1) | instskip(NEXT) | instid1(VALU_DEP_1)
	v_sub_nc_u32_e32 v22, v22, v23
	v_subrev_nc_u32_e32 v23, s25, v22
	v_cmp_le_u32_e64 s4, s25, v22
	s_wait_alu 0xf1ff
	s_delay_alu instid0(VALU_DEP_1) | instskip(NEXT) | instid1(VALU_DEP_1)
	v_cndmask_b32_e64 v22, v22, v23, s4
	v_subrev_nc_u32_e32 v23, s25, v22
	v_cmp_le_u32_e64 s4, s25, v22
	s_wait_alu 0xf1ff
	s_delay_alu instid0(VALU_DEP_1) | instskip(NEXT) | instid1(VALU_DEP_1)
	v_cndmask_b32_e64 v22, v22, v23, s4
	v_xor_b32_e32 v22, v22, v21
	s_delay_alu instid0(VALU_DEP_1) | instskip(NEXT) | instid1(VALU_DEP_1)
	v_sub_nc_u32_e32 v21, v22, v21
	v_cmp_ne_u32_e64 s4, 0, v21
	s_and_b32 s4, s4, s5
	s_wait_alu 0xfffe
	s_and_saveexec_b32 s5, s4
	s_wait_alu 0xfffe
	s_xor_b32 s4, exec_lo, s5
	s_cbranch_execz .LBB126_17
; %bb.14:                               ;   in Loop: Header=BB126_13 Depth=1
	s_and_saveexec_b32 s5, s3
; %bb.15:                               ;   in Loop: Header=BB126_13 Depth=1
	ds_store_b32 v12, v13
; %bb.16:                               ;   in Loop: Header=BB126_13 Depth=1
	s_wait_alu 0xfffe
	s_or_b32 exec_lo, exec_lo, s5
.LBB126_17:                             ;   in Loop: Header=BB126_13 Depth=1
	s_wait_alu 0xfffe
	s_and_not1_saveexec_b32 s5, s4
	s_cbranch_execz .LBB126_12
; %bb.18:                               ;   in Loop: Header=BB126_13 Depth=1
	global_load_b32 v20, v[1:2], off
	s_wait_loadcnt 0x0
	v_mad_co_i64_i32 v[20:21], null, v20, s29, 0
	s_delay_alu instid0(VALU_DEP_1) | instskip(NEXT) | instid1(VALU_DEP_1)
	v_lshlrev_b64_e32 v[20:21], 1, v[20:21]
	v_add_co_u32 v20, s4, v8, v20
	s_wait_alu 0xf1ff
	s_delay_alu instid0(VALU_DEP_2)
	v_add_co_ci_u32_e64 v21, null, v9, v21, s4
	v_cmp_gt_i32_e64 s4, 32, v14
	s_clause 0x3
	global_load_b32 v24, v[20:21], off offset:128
	global_load_b32 v25, v[20:21], off
	global_load_b32 v26, v[20:21], off offset:256
	global_load_b32 v27, v[20:21], off offset:384
	ds_load_b128 v[20:23], v7
	s_wait_dscnt 0x0
	v_lshlrev_b32_e32 v29, 16, v21
	v_and_b32_e32 v21, 0xffff0000, v21
	v_lshlrev_b32_e32 v31, 16, v23
	s_wait_loadcnt 0x2
	v_lshlrev_b32_e32 v33, 16, v25
	v_lshlrev_b32_e32 v32, 16, v24
	;; [unrolled: 1-line block ×3, first 2 shown]
	v_and_b32_e32 v25, 0xffff0000, v25
	s_delay_alu instid0(VALU_DEP_3) | instskip(SKIP_2) | instid1(VALU_DEP_1)
	v_dual_mul_f32 v29, v29, v32 :: v_dual_and_b32 v22, 0xffff0000, v22
	v_and_b32_e32 v24, 0xffff0000, v24
	s_wait_loadcnt 0x1
	v_dual_mul_f32 v21, v21, v24 :: v_dual_lshlrev_b32 v24, 16, v26
	v_lshlrev_b32_e32 v28, 16, v20
	v_and_b32_e32 v20, 0xffff0000, v20
	s_delay_alu instid0(VALU_DEP_1) | instskip(NEXT) | instid1(VALU_DEP_3)
	v_fmac_f32_e32 v21, v20, v25
	v_dual_fmac_f32 v29, v28, v33 :: v_dual_and_b32 v20, 0xffff0000, v23
	s_wait_loadcnt 0x0
	v_and_b32_e32 v25, 0xffff0000, v27
	v_and_b32_e32 v26, 0xffff0000, v26
	v_lshlrev_b32_e32 v23, 16, v27
	v_fmac_f32_e32 v29, v30, v24
	s_delay_alu instid0(VALU_DEP_3) | instskip(SKIP_2) | instid1(VALU_DEP_3)
	v_fmac_f32_e32 v21, v22, v26
	s_wait_alu 0xf1ff
	v_cndmask_b32_e64 v22, v4, v14, s4
	v_fmac_f32_e32 v29, v31, v23
	v_cmp_gt_i32_e64 s4, 32, v18
	s_delay_alu instid0(VALU_DEP_3) | instskip(SKIP_1) | instid1(VALU_DEP_2)
	v_dual_fmac_f32 v21, v20, v25 :: v_dual_lshlrev_b32 v20, 2, v22
	s_wait_alu 0xf1ff
	v_cndmask_b32_e64 v22, v4, v18, s4
	s_delay_alu instid0(VALU_DEP_1)
	v_dual_add_f32 v21, v29, v21 :: v_dual_lshlrev_b32 v22, 2, v22
	ds_bpermute_b32 v20, v20, v21
	s_wait_dscnt 0x0
	v_add_f32_e32 v20, v21, v20
	ds_bpermute_b32 v21, v22, v20
	s_and_saveexec_b32 s38, s3
	s_cbranch_execz .LBB126_11
; %bb.19:                               ;   in Loop: Header=BB126_13 Depth=1
	s_wait_dscnt 0x0
	v_add_f32_e32 v20, v20, v21
	v_add_nc_u32_e32 v22, v11, v10
	s_delay_alu instid0(VALU_DEP_1) | instskip(NEXT) | instid1(VALU_DEP_1)
	v_cvt_f32_i32_e32 v22, v22
	v_mul_f32_e32 v22, s15, v22
	s_delay_alu instid0(VALU_DEP_1) | instskip(NEXT) | instid1(VALU_DEP_1)
	v_cndmask_b32_e32 v21, 0, v22, vcc_lo
	v_dual_max_num_f32 v22, v6, v6 :: v_dual_fmac_f32 v21, s7, v20
	v_add_nc_u32_e32 v20, v5, v10
	s_delay_alu instid0(VALU_DEP_2) | instskip(NEXT) | instid1(VALU_DEP_2)
	v_max_num_f32_e32 v22, v22, v21
	v_cmp_gt_i32_e64 s4, s30, v20
	s_wait_alu 0xf1ff
	s_delay_alu instid0(VALU_DEP_1) | instskip(NEXT) | instid1(VALU_DEP_3)
	v_cndmask_b32_e64 v20, 0, v21, s4
	v_cndmask_b32_e64 v6, v6, v22, s4
	ds_store_b32 v12, v20
	s_branch .LBB126_11
.LBB126_20:
	s_or_b32 exec_lo, exec_lo, s28
.LBB126_21:
	s_delay_alu instid0(SALU_CYCLE_1)
	s_or_b32 exec_lo, exec_lo, s6
	v_xor_b32_e32 v1, 16, v4
	v_xor_b32_e32 v5, 8, v4
	v_xor_b32_e32 v7, 4, v4
	s_clause 0x2
	s_load_b128 s[4:7], s[0:1], 0x0
	s_load_b64 s[14:15], s[0:1], 0x10
	s_load_b64 s[28:29], s[0:1], 0x28
	v_and_b32_e32 v18, 31, v0
	v_cmp_gt_i32_e32 vcc_lo, 32, v1
	s_wait_alu 0xfffd
	v_cndmask_b32_e32 v1, v4, v1, vcc_lo
	v_cmp_gt_i32_e32 vcc_lo, 32, v5
	s_wait_alu 0xfffd
	v_cndmask_b32_e32 v5, v4, v5, vcc_lo
	v_cmp_gt_i32_e32 vcc_lo, 32, v7
	v_lshlrev_b32_e32 v2, 2, v1
	s_delay_alu instid0(VALU_DEP_3)
	v_lshlrev_b32_e32 v5, 2, v5
	s_wait_alu 0xfffd
	v_cndmask_b32_e32 v7, v4, v7, vcc_lo
	ds_bpermute_b32 v1, v2, v6
	v_max_num_f32_e32 v6, v6, v6
	v_cmp_eq_u32_e32 vcc_lo, 0, v18
	s_wait_dscnt 0x0
	v_dual_max_num_f32 v1, v1, v1 :: v_dual_lshlrev_b32 v8, 2, v7
	s_delay_alu instid0(VALU_DEP_1) | instskip(SKIP_3) | instid1(VALU_DEP_1)
	v_max_num_f32_e32 v1, v6, v1
	ds_bpermute_b32 v6, v5, v1
	s_wait_dscnt 0x0
	v_max_num_f32_e32 v6, v6, v6
	v_dual_max_num_f32 v1, v1, v6 :: v_dual_lshlrev_b32 v6, 2, v15
	ds_bpermute_b32 v7, v8, v1
	s_and_saveexec_b32 s0, vcc_lo
	s_cbranch_execz .LBB126_23
; %bb.22:
	s_wait_dscnt 0x0
	v_max_num_f32_e32 v7, v7, v7
	v_max_num_f32_e32 v1, v1, v1
	s_delay_alu instid0(VALU_DEP_1)
	v_max_num_f32_e32 v1, v1, v7
	ds_store_b32 v6, v1 offset:64
.LBB126_23:
	s_or_b32 exec_lo, exec_lo, s0
	v_cmp_gt_u32_e64 s0, 4, v18
	v_mov_b32_e32 v1, 0xff7fffff
	s_wait_dscnt 0x0
	v_lshlrev_b32_e32 v7, 2, v18
	s_wait_loadcnt 0x0
	s_barrier_signal -1
	s_barrier_wait -1
	global_inv scope:SCOPE_SE
	s_and_saveexec_b32 s1, s0
; %bb.24:
	ds_load_b32 v1, v7 offset:64
; %bb.25:
	s_or_b32 exec_lo, exec_lo, s1
	v_xor_b32_e32 v9, 2, v4
	v_xor_b32_e32 v11, 1, v4
	s_delay_alu instid0(VALU_DEP_2) | instskip(NEXT) | instid1(VALU_DEP_1)
	v_cmp_gt_i32_e64 s1, 32, v9
	v_cndmask_b32_e64 v9, v4, v9, s1
	s_delay_alu instid0(VALU_DEP_3) | instskip(NEXT) | instid1(VALU_DEP_2)
	v_cmp_gt_i32_e64 s1, 32, v11
	v_lshlrev_b32_e32 v9, 2, v9
	s_wait_alu 0xf1ff
	s_delay_alu instid0(VALU_DEP_2)
	v_cndmask_b32_e64 v4, v4, v11, s1
	s_sub_co_i32 s1, s31, s8
	s_wait_alu 0xfffe
	s_lshl_b32 s1, s1, 3
	s_wait_dscnt 0x0
	ds_bpermute_b32 v10, v9, v1
	v_max_num_f32_e32 v1, v1, v1
	s_wait_alu 0xfffe
	s_add_co_i32 s1, s1, s34
	s_wait_alu 0xfffe
	s_min_i32 s1, s1, s30
	s_wait_alu 0xfffe
	s_sub_co_i32 s25, s1, s34
	s_wait_alu 0xfffe
	v_cmp_gt_i32_e64 s1, s25, v0
	s_wait_dscnt 0x0
	v_dual_max_num_f32 v11, v10, v10 :: v_dual_lshlrev_b32 v10, 2, v4
	s_delay_alu instid0(VALU_DEP_1) | instskip(SKIP_4) | instid1(VALU_DEP_1)
	v_max_num_f32_e32 v1, v1, v11
	v_mov_b32_e32 v11, 0
	ds_bpermute_b32 v4, v10, v1
	s_wait_dscnt 0x0
	v_max_num_f32_e32 v4, v4, v4
	v_max_num_f32_e32 v1, v1, v4
	v_lshl_add_u32 v4, v0, 2, 0x60
	ds_bpermute_b32 v1, v11, v1
	s_and_saveexec_b32 s34, s1
	s_cbranch_execz .LBB126_29
; %bb.26:
	v_lshl_add_u32 v12, v0, 2, 0x60
	v_mov_b32_e32 v11, 0
	v_mov_b32_e32 v13, v0
	s_mov_b32 s37, 0
.LBB126_27:                             ; =>This Inner Loop Header: Depth=1
	ds_load_b32 v14, v12
	v_add_nc_u32_e32 v13, 0x80, v13
	s_delay_alu instid0(VALU_DEP_1) | instskip(SKIP_4) | instid1(VALU_DEP_1)
	v_cmp_le_i32_e64 s3, s25, v13
	s_wait_alu 0xfffe
	s_or_b32 s37, s3, s37
	s_wait_dscnt 0x0
	v_sub_f32_e32 v14, v14, v1
	v_mul_f32_e32 v14, 0x3fb8aa3b, v14
	s_delay_alu instid0(VALU_DEP_1)
	v_exp_f32_e32 v14, v14
	ds_store_b32 v12, v14
	v_dual_add_f32 v11, v11, v14 :: v_dual_add_nc_u32 v12, 0x200, v12
	s_wait_alu 0xfffe
	s_and_not1_b32 exec_lo, exec_lo, s37
	s_cbranch_execnz .LBB126_27
; %bb.28:
	s_or_b32 exec_lo, exec_lo, s37
.LBB126_29:
	s_wait_alu 0xfffe
	s_or_b32 exec_lo, exec_lo, s34
	ds_bpermute_b32 v2, v2, v11
	s_wait_dscnt 0x0
	v_add_f32_e32 v2, v11, v2
	ds_bpermute_b32 v5, v5, v2
	s_wait_dscnt 0x0
	v_add_f32_e32 v2, v2, v5
	;; [unrolled: 3-line block ×5, first 2 shown]
	s_and_saveexec_b32 s3, vcc_lo
; %bb.30:
	ds_store_b32 v6, v2 offset:80
; %bb.31:
	s_wait_alu 0xfffe
	s_or_b32 exec_lo, exec_lo, s3
	s_wait_loadcnt_dscnt 0x0
	s_barrier_signal -1
	s_barrier_wait -1
	global_inv scope:SCOPE_SE
	s_and_saveexec_b32 s3, s0
; %bb.32:
	ds_load_b32 v2, v7 offset:80
; %bb.33:
	s_wait_alu 0xfffe
	s_or_b32 exec_lo, exec_lo, s3
	s_wait_dscnt 0x0
	ds_bpermute_b32 v5, v9, v2
	s_wait_dscnt 0x0
	v_add_f32_e32 v2, v2, v5
	ds_bpermute_b32 v5, v10, v2
	s_wait_dscnt 0x0
	v_dual_add_f32 v2, v2, v5 :: v_dual_mov_b32 v5, 0
	ds_bpermute_b32 v2, v5, v2
	s_and_saveexec_b32 s0, s1
	s_cbranch_execz .LBB126_36
; %bb.34:
	s_wait_dscnt 0x0
	v_add_f32_e32 v5, 0x358637bd, v2
	s_mov_b32 s1, 0
	s_delay_alu instid0(VALU_DEP_1) | instskip(SKIP_1) | instid1(VALU_DEP_2)
	v_div_scale_f32 v6, null, v5, v5, 1.0
	v_div_scale_f32 v9, vcc_lo, 1.0, v5, 1.0
	v_rcp_f32_e32 v7, v6
	s_delay_alu instid0(TRANS32_DEP_1) | instskip(NEXT) | instid1(VALU_DEP_1)
	v_fma_f32 v8, -v6, v7, 1.0
	v_fmac_f32_e32 v7, v8, v7
	s_delay_alu instid0(VALU_DEP_1) | instskip(NEXT) | instid1(VALU_DEP_1)
	v_mul_f32_e32 v8, v9, v7
	v_fma_f32 v10, -v6, v8, v9
	s_delay_alu instid0(VALU_DEP_1) | instskip(NEXT) | instid1(VALU_DEP_1)
	v_fmac_f32_e32 v8, v10, v7
	v_fma_f32 v6, -v6, v8, v9
	s_wait_alu 0xfffd
	s_delay_alu instid0(VALU_DEP_1) | instskip(NEXT) | instid1(VALU_DEP_1)
	v_div_fmas_f32 v6, v6, v7, v8
	v_div_fixup_f32 v5, v6, v5, 1.0
	v_mov_b32_e32 v6, v0
.LBB126_35:                             ; =>This Inner Loop Header: Depth=1
	ds_load_b32 v7, v4
	s_wait_dscnt 0x0
	v_dual_mul_f32 v7, v5, v7 :: v_dual_add_nc_u32 v6, 0x80, v6
	s_delay_alu instid0(VALU_DEP_1)
	v_cmp_le_i32_e32 vcc_lo, s25, v6
	ds_store_b32 v4, v7
	v_add_nc_u32_e32 v4, 0x200, v4
	s_wait_alu 0xfffe
	s_or_b32 s1, vcc_lo, s1
	s_wait_alu 0xfffe
	s_and_not1_b32 exec_lo, exec_lo, s1
	s_cbranch_execnz .LBB126_35
.LBB126_36:
	s_wait_alu 0xfffe
	s_or_b32 exec_lo, exec_lo, s0
	s_mul_i32 s0, s11, s26
	s_wait_loadcnt_dscnt 0x0
	s_wait_alu 0xfffe
	s_mul_i32 s26, s0, s27
	s_mov_b32 s0, exec_lo
	s_barrier_signal -1
	s_barrier_wait -1
	global_inv scope:SCOPE_SE
	v_cmpx_eq_u32_e32 0, v0
	s_cbranch_execz .LBB126_38
; %bb.37:
	s_ashr_i32 s27, s26, 31
	s_wait_alu 0xfffe
	s_mul_i32 s38, s11, ttmp9
	s_lshl_b32 s1, s33, 2
	s_lshl_b64 s[40:41], s[26:27], 2
	s_ashr_i32 s39, s38, 31
	s_wait_alu 0xfffe
	v_mov_b32_e32 v4, s1
	s_wait_kmcnt 0x0
	s_add_nc_u64 s[6:7], s[6:7], s[40:41]
	s_lshl_b64 s[38:39], s[38:39], 2
	s_add_nc_u64 s[4:5], s[4:5], s[40:41]
	s_wait_alu 0xfffe
	s_add_nc_u64 s[6:7], s[6:7], s[38:39]
	s_add_nc_u64 s[4:5], s[4:5], s[38:39]
	s_clause 0x1
	global_store_b32 v4, v1, s[6:7]
	global_store_b32 v4, v2, s[4:5]
.LBB126_38:
	s_wait_alu 0xfffe
	s_or_b32 exec_lo, exec_lo, s0
	v_mov_b32_e32 v19, 0
	s_and_saveexec_b32 s1, s2
	s_cbranch_execz .LBB126_46
; %bb.39:
	s_abs_i32 s2, s10
	s_ashr_i32 s25, s24, 31
	s_wait_alu 0xfffe
	s_cvt_f32_u32 s0, s2
	v_dual_mov_b32 v19, 0 :: v_dual_lshlrev_b32 v2, 4, v18
	s_wait_kmcnt 0x0
	s_lshl_b64 s[6:7], s[22:23], 2
	s_wait_alu 0xfffe
	v_rcp_iflag_f32_e32 v1, s0
	s_lshl_b64 s[22:23], s[24:25], 1
	s_add_nc_u64 s[6:7], s[20:21], s[6:7]
	s_add_nc_u64 s[20:21], s[28:29], s[22:23]
	s_sub_co_i32 s3, s36, s9
	s_sub_co_i32 s9, 0, s2
	v_add_co_u32 v20, s10, s20, v2
	s_wait_alu 0xfffe
	v_add_co_u32 v13, s6, s6, v3
	s_delay_alu instid0(TRANS32_DEP_1)
	v_readfirstlane_b32 s0, v1
	v_add_co_ci_u32_e64 v21, null, s21, 0, s10
	s_wait_alu 0xf1ff
	v_add_co_ci_u32_e64 v14, null, s7, 0, s6
	s_mul_f32 s0, s0, 0x4f7ffffe
	v_lshl_add_u32 v22, v15, 5, 0x60
	s_mov_b32 s4, s13
	s_mov_b32 s5, 0
	s_wait_alu 0xfffe
	s_cvt_u32_f32 s0, s0
	s_add_co_i32 s35, s35, -1
	s_mov_b32 s6, s30
	s_wait_alu 0xfffe
	s_mul_i32 s9, s9, s0
	s_wait_alu 0xfffe
	s_mul_hi_u32 s7, s0, s9
	s_wait_alu 0xfffe
	s_add_co_i32 s7, s0, s7
	s_branch .LBB126_42
.LBB126_40:                             ;   in Loop: Header=BB126_42 Depth=1
	s_wait_alu 0xfffe
	s_or_b32 exec_lo, exec_lo, s9
	s_wait_dscnt 0x1
	v_bfe_u32 v23, v9, 16, 1
	v_or_b32_e32 v24, 0x400000, v9
	v_bfe_u32 v25, v10, 16, 1
	v_cmp_u_f32_e32 vcc_lo, v9, v9
	v_bfe_u32 v26, v11, 16, 1
	v_add3_u32 v23, v23, v9, 0x7fff
	v_or_b32_e32 v27, 0x400000, v10
	v_add3_u32 v25, v25, v10, 0x7fff
	v_or_b32_e32 v28, 0x400000, v11
	v_add3_u32 v26, v26, v11, 0x7fff
	s_wait_alu 0xfffd
	v_cndmask_b32_e32 v9, v23, v24, vcc_lo
	v_cmp_u_f32_e32 vcc_lo, v10, v10
	v_bfe_u32 v23, v12, 16, 1
	s_wait_dscnt 0x0
	v_bfe_u32 v24, v5, 16, 1
	s_wait_alu 0xfffd
	v_cndmask_b32_e32 v10, v25, v27, vcc_lo
	v_cmp_u_f32_e32 vcc_lo, v11, v11
	v_add3_u32 v23, v23, v12, 0x7fff
	v_or_b32_e32 v25, 0x400000, v12
	v_add3_u32 v24, v24, v5, 0x7fff
	v_bfe_u32 v27, v6, 16, 1
	s_wait_alu 0xfffd
	v_cndmask_b32_e32 v11, v26, v28, vcc_lo
	v_cmp_u_f32_e32 vcc_lo, v12, v12
	v_or_b32_e32 v26, 0x400000, v5
	s_wait_alu 0xfffd
	v_cndmask_b32_e32 v12, v23, v25, vcc_lo
	v_cmp_u_f32_e32 vcc_lo, v5, v5
	v_add3_u32 v23, v27, v6, 0x7fff
	v_bfe_u32 v25, v7, 16, 1
	s_wait_loadcnt 0x0
	s_wait_alu 0xfffd
	v_dual_cndmask_b32 v5, v24, v26 :: v_dual_lshlrev_b32 v26, 16, v1
	v_or_b32_e32 v24, 0x400000, v6
	v_cmp_u_f32_e32 vcc_lo, v6, v6
	v_and_b32_e32 v9, 0xffff0000, v9
	s_wait_alu 0xfffd
	s_delay_alu instid0(VALU_DEP_3)
	v_dual_cndmask_b32 v6, v23, v24 :: v_dual_and_b32 v5, 0xffff0000, v5
	v_add3_u32 v23, v25, v7, 0x7fff
	v_or_b32_e32 v24, 0x400000, v7
	v_bfe_u32 v25, v8, 16, 1
	v_cmp_u_f32_e32 vcc_lo, v7, v7
	v_mul_f32_e32 v9, v9, v26
	v_and_b32_e32 v10, 0xffff0000, v10
	s_wait_alu 0xfffd
	v_dual_cndmask_b32 v7, v23, v24 :: v_dual_and_b32 v6, 0xffff0000, v6
	v_add3_u32 v23, v25, v8, 0x7fff
	v_or_b32_e32 v24, 0x400000, v8
	v_cmp_u_f32_e32 vcc_lo, v8, v8
	s_wait_alu 0xfffd
	s_delay_alu instid0(VALU_DEP_2) | instskip(NEXT) | instid1(VALU_DEP_1)
	v_dual_cndmask_b32 v8, v23, v24 :: v_dual_and_b32 v1, 0xffff0000, v1
	v_dual_mul_f32 v1, v10, v1 :: v_dual_and_b32 v10, 0xffff0000, v11
	v_bfe_u32 v25, v9, 16, 1
	v_lshlrev_b32_e32 v11, 16, v2
	v_or_b32_e32 v24, 0x400000, v9
	v_and_b32_e32 v2, 0xffff0000, v2
	v_cmp_u_f32_e32 vcc_lo, v9, v9
	v_add3_u32 v23, v25, v9, 0x7fff
	v_bfe_u32 v25, v1, 16, 1
	v_dual_mul_f32 v10, v10, v11 :: v_dual_and_b32 v11, 0xffff0000, v12
	v_and_b32_e32 v8, 0xffff0000, v8
	s_wait_alu 0xfffd
	v_cndmask_b32_e32 v9, v23, v24, vcc_lo
	v_add3_u32 v12, v25, v1, 0x7fff
	v_or_b32_e32 v23, 0x400000, v1
	v_bfe_u32 v24, v10, 16, 1
	v_cmp_u_f32_e32 vcc_lo, v1, v1
	v_dual_mul_f32 v2, v11, v2 :: v_dual_lshlrev_b32 v11, 16, v3
	v_and_b32_e32 v9, 0xffff0000, v9
	s_wait_alu 0xfffd
	v_cndmask_b32_e32 v1, v12, v23, vcc_lo
	v_add3_u32 v12, v24, v10, 0x7fff
	v_or_b32_e32 v23, 0x400000, v10
	v_cmp_u_f32_e32 vcc_lo, v10, v10
	v_bfe_u32 v24, v2, 16, 1
	s_wait_alu 0xfffd
	s_delay_alu instid0(VALU_DEP_3) | instskip(SKIP_2) | instid1(VALU_DEP_3)
	v_dual_cndmask_b32 v10, v12, v23 :: v_dual_and_b32 v1, 0xffff0000, v1
	v_or_b32_e32 v12, 0x400000, v2
	v_cmp_u_f32_e32 vcc_lo, v2, v2
	v_dual_add_f32 v1, v9, v1 :: v_dual_and_b32 v10, 0xffff0000, v10
	v_and_b32_e32 v3, 0xffff0000, v3
	s_delay_alu instid0(VALU_DEP_1) | instskip(SKIP_3) | instid1(VALU_DEP_2)
	v_mul_f32_e32 v3, v6, v3
	v_and_b32_e32 v6, 0xffff0000, v7
	v_lshlrev_b32_e32 v7, 16, v4
	v_and_b32_e32 v4, 0xffff0000, v4
	v_mul_f32_e32 v6, v6, v7
	s_delay_alu instid0(VALU_DEP_2) | instskip(SKIP_1) | instid1(VALU_DEP_2)
	v_dual_mul_f32 v4, v8, v4 :: v_dual_mul_f32 v5, v5, v11
	v_add3_u32 v11, v24, v2, 0x7fff
	v_bfe_u32 v24, v4, 16, 1
	s_wait_alu 0xfffd
	s_delay_alu instid0(VALU_DEP_2)
	v_cndmask_b32_e32 v2, v11, v12, vcc_lo
	v_bfe_u32 v23, v5, 16, 1
	v_or_b32_e32 v7, 0x400000, v5
	v_cmp_u_f32_e32 vcc_lo, v5, v5
	v_bfe_u32 v11, v3, 16, 1
	v_and_b32_e32 v2, 0xffff0000, v2
	v_add3_u32 v12, v23, v5, 0x7fff
	s_delay_alu instid0(VALU_DEP_3) | instskip(SKIP_2) | instid1(VALU_DEP_3)
	v_add3_u32 v8, v11, v3, 0x7fff
	v_or_b32_e32 v11, 0x400000, v3
	s_wait_alu 0xfffd
	v_cndmask_b32_e32 v5, v12, v7, vcc_lo
	v_cmp_u_f32_e32 vcc_lo, v3, v3
	s_delay_alu instid0(VALU_DEP_2) | instskip(SKIP_2) | instid1(VALU_DEP_3)
	v_dual_add_f32 v2, v10, v2 :: v_dual_and_b32 v5, 0xffff0000, v5
	v_bfe_u32 v23, v6, 16, 1
	v_or_b32_e32 v12, 0x400000, v6
	v_add_f32_e32 v1, v2, v1
	s_delay_alu instid0(VALU_DEP_3)
	v_add3_u32 v7, v23, v6, 0x7fff
	s_wait_alu 0xfffd
	v_cndmask_b32_e32 v3, v8, v11, vcc_lo
	v_add3_u32 v8, v24, v4, 0x7fff
	v_or_b32_e32 v11, 0x400000, v4
	v_cmp_u_f32_e32 vcc_lo, v4, v4
	s_wait_alu 0xfffd
	s_delay_alu instid0(VALU_DEP_2) | instskip(SKIP_3) | instid1(VALU_DEP_1)
	v_cndmask_b32_e32 v4, v8, v11, vcc_lo
	v_cmp_u_f32_e32 vcc_lo, v6, v6
	s_wait_alu 0xfffd
	v_dual_cndmask_b32 v6, v7, v12 :: v_dual_and_b32 v3, 0xffff0000, v3
	v_dual_add_f32 v2, v5, v3 :: v_dual_and_b32 v3, 0xffff0000, v4
	s_delay_alu instid0(VALU_DEP_1) | instskip(NEXT) | instid1(VALU_DEP_1)
	v_dual_add_f32 v1, v2, v1 :: v_dual_and_b32 v4, 0xffff0000, v6
	v_add_f32_e32 v2, v4, v3
	s_delay_alu instid0(VALU_DEP_1) | instskip(NEXT) | instid1(VALU_DEP_1)
	v_add_f32_e32 v1, v2, v1
	v_add_f32_e32 v19, v19, v1
.LBB126_41:                             ;   in Loop: Header=BB126_42 Depth=1
	s_wait_alu 0xfffe
	s_or_b32 exec_lo, exec_lo, s0
	v_add_nc_u32_e32 v17, 4, v17
	v_add_co_u32 v13, s0, v13, 16
	s_wait_alu 0xf1ff
	v_add_co_ci_u32_e64 v14, null, 0, v14, s0
	s_delay_alu instid0(VALU_DEP_3)
	v_cmp_le_i32_e32 vcc_lo, s31, v17
	v_add_nc_u32_e32 v16, 32, v16
	v_add_nc_u32_e32 v22, 0x80, v22
	s_or_b32 s5, vcc_lo, s5
	s_wait_alu 0xfffe
	s_and_not1_b32 exec_lo, exec_lo, s5
	s_cbranch_execz .LBB126_45
.LBB126_42:                             ; =>This Inner Loop Header: Depth=1
	v_sub_nc_u32_e32 v1, 0, v16
	s_delay_alu instid0(VALU_DEP_1) | instskip(NEXT) | instid1(VALU_DEP_1)
	v_max_i32_e32 v1, v16, v1
	v_mul_hi_u32 v2, v1, s18
	s_delay_alu instid0(VALU_DEP_1) | instskip(NEXT) | instid1(VALU_DEP_1)
	v_mul_lo_u32 v3, v2, s12
	v_sub_nc_u32_e32 v1, v1, v3
	v_add_nc_u32_e32 v3, 1, v2
	s_delay_alu instid0(VALU_DEP_2) | instskip(SKIP_2) | instid1(VALU_DEP_2)
	v_subrev_nc_u32_e32 v4, s12, v1
	v_cmp_le_u32_e32 vcc_lo, s12, v1
	s_wait_alu 0xfffd
	v_dual_cndmask_b32 v2, v2, v3 :: v_dual_cndmask_b32 v1, v1, v4
	v_ashrrev_i32_e32 v3, 31, v16
	s_delay_alu instid0(VALU_DEP_2) | instskip(NEXT) | instid1(VALU_DEP_3)
	v_add_nc_u32_e32 v4, 1, v2
	v_cmp_le_u32_e32 vcc_lo, s12, v1
	s_delay_alu instid0(VALU_DEP_3) | instskip(SKIP_1) | instid1(VALU_DEP_3)
	v_xor_b32_e32 v3, s19, v3
	s_wait_alu 0xfffd
	v_cndmask_b32_e32 v1, v2, v4, vcc_lo
	s_delay_alu instid0(VALU_DEP_1) | instskip(NEXT) | instid1(VALU_DEP_1)
	v_xor_b32_e32 v1, v1, v3
	v_sub_nc_u32_e32 v1, v1, v3
	s_delay_alu instid0(VALU_DEP_1) | instskip(SKIP_1) | instid1(VALU_DEP_2)
	v_add_nc_u32_e32 v2, s17, v1
	v_cmp_lt_i32_e64 s0, s3, v1
	v_sub_nc_u32_e32 v3, 0, v2
	s_delay_alu instid0(VALU_DEP_1) | instskip(SKIP_1) | instid1(VALU_DEP_1)
	v_max_i32_e32 v3, v2, v3
	s_wait_alu 0xfffe
	v_mul_hi_u32 v4, v3, s7
	s_delay_alu instid0(VALU_DEP_1) | instskip(NEXT) | instid1(VALU_DEP_1)
	v_mul_lo_u32 v4, v4, s2
	v_sub_nc_u32_e32 v3, v3, v4
	s_delay_alu instid0(VALU_DEP_1) | instskip(SKIP_2) | instid1(VALU_DEP_2)
	v_subrev_nc_u32_e32 v4, s2, v3
	v_cmp_le_u32_e32 vcc_lo, s2, v3
	s_wait_alu 0xfffd
	v_cndmask_b32_e32 v3, v3, v4, vcc_lo
	v_ashrrev_i32_e32 v2, 31, v2
	s_delay_alu instid0(VALU_DEP_2) | instskip(SKIP_2) | instid1(VALU_DEP_2)
	v_subrev_nc_u32_e32 v4, s2, v3
	v_cmp_le_u32_e32 vcc_lo, s2, v3
	s_wait_alu 0xfffd
	v_cndmask_b32_e32 v3, v3, v4, vcc_lo
	s_delay_alu instid0(VALU_DEP_1) | instskip(NEXT) | instid1(VALU_DEP_1)
	v_xor_b32_e32 v3, v3, v2
	v_sub_nc_u32_e32 v2, v3, v2
	s_delay_alu instid0(VALU_DEP_1)
	v_cmp_eq_u32_e32 vcc_lo, 0, v2
	s_or_b32 s9, vcc_lo, s0
	s_wait_alu 0xfffe
	s_and_saveexec_b32 s0, s9
	s_cbranch_execz .LBB126_41
; %bb.43:                               ;   in Loop: Header=BB126_42 Depth=1
	global_load_b32 v1, v[13:14], off
	s_mov_b32 s9, exec_lo
	s_wait_loadcnt 0x0
	v_mad_co_i64_i32 v[1:2], null, v1, s4, 0
	s_delay_alu instid0(VALU_DEP_1) | instskip(NEXT) | instid1(VALU_DEP_1)
	v_lshlrev_b64_e32 v[1:2], 1, v[1:2]
	v_add_co_u32 v1, vcc_lo, v20, v1
	s_wait_alu 0xfffd
	s_delay_alu instid0(VALU_DEP_2)
	v_add_co_ci_u32_e64 v2, null, v21, v2, vcc_lo
	global_load_b128 v[1:4], v[1:2], off
	ds_load_2addr_b64 v[9:12], v22 offset1:1
	ds_load_2addr_b64 v[5:8], v22 offset0:2 offset1:3
	v_cmpx_eq_u32_e64 s35, v17
	s_cbranch_execz .LBB126_40
; %bb.44:                               ;   in Loop: Header=BB126_42 Depth=1
	v_add_nc_u32_e32 v23, 1, v16
	s_wait_loadcnt 0x0
	v_lshrrev_b32_e32 v24, 16, v1
	v_or_b32_e32 v25, 2, v16
	v_lshrrev_b32_e32 v26, 16, v2
	v_or_b32_e32 v27, 4, v16
	v_cmp_gt_i32_e32 vcc_lo, s6, v23
	v_or_b32_e32 v28, 7, v16
	v_lshrrev_b32_e32 v29, 16, v4
	s_wait_alu 0xfffd
	v_cndmask_b32_e32 v23, 0, v24, vcc_lo
	v_cmp_gt_i32_e32 vcc_lo, s30, v16
	v_or_b32_e32 v24, 3, v16
	s_wait_alu 0xfffd
	v_cndmask_b32_e32 v1, 0, v1, vcc_lo
	v_cmp_gt_i32_e32 vcc_lo, s30, v25
	v_or_b32_e32 v25, 5, v16
	s_wait_alu 0xfffd
	v_cndmask_b32_e32 v2, 0, v2, vcc_lo
	v_cmp_gt_i32_e32 vcc_lo, s6, v24
	s_wait_alu 0xfffd
	v_cndmask_b32_e32 v24, 0, v26, vcc_lo
	v_cmp_gt_i32_e32 vcc_lo, s30, v27
	v_or_b32_e32 v27, 6, v16
	s_delay_alu instid0(VALU_DEP_3)
	v_perm_b32 v2, v24, v2, 0x5040100
	s_wait_alu 0xfffd
	v_cndmask_b32_e32 v26, 0, v3, vcc_lo
	v_lshrrev_b32_e32 v3, 16, v3
	v_cmp_gt_i32_e32 vcc_lo, s6, v25
	v_perm_b32 v1, v23, v1, 0x5040100
	s_wait_alu 0xfffd
	s_delay_alu instid0(VALU_DEP_3)
	v_cndmask_b32_e32 v3, 0, v3, vcc_lo
	v_cmp_gt_i32_e32 vcc_lo, s30, v27
	s_wait_alu 0xfffd
	v_cndmask_b32_e32 v4, 0, v4, vcc_lo
	v_cmp_gt_i32_e32 vcc_lo, s6, v28
	v_perm_b32 v3, v3, v26, 0x5040100
	s_wait_alu 0xfffd
	v_cndmask_b32_e32 v25, 0, v29, vcc_lo
	s_delay_alu instid0(VALU_DEP_1)
	v_perm_b32 v4, v25, v4, 0x5040100
	s_branch .LBB126_40
.LBB126_45:
	s_or_b32 exec_lo, exec_lo, s5
.LBB126_46:
	s_wait_alu 0xfffe
	s_or_b32 exec_lo, exec_lo, s1
	v_and_b32_e32 v1, 0x3c0, v0
	v_lshl_add_u32 v2, v18, 2, 0x60
	s_mov_b32 s0, exec_lo
	s_wait_loadcnt 0x0
	s_wait_storecnt 0x0
	s_barrier_signal -1
	s_barrier_wait -1
	global_inv scope:SCOPE_SE
	v_cmpx_eq_u32_e32 64, v1
; %bb.47:
	v_lshlrev_b32_e32 v1, 7, v15
	s_delay_alu instid0(VALU_DEP_1)
	v_add3_u32 v1, v2, v1, 0xffffff00
	ds_store_b32 v1, v19
; %bb.48:
	s_wait_alu 0xfffe
	s_or_b32 exec_lo, exec_lo, s0
	v_and_b32_e32 v3, 0x3e0, v0
	s_mov_b32 s0, exec_lo
	s_wait_loadcnt_dscnt 0x0
	s_barrier_signal -1
	s_barrier_wait -1
	v_lshl_add_u32 v1, v3, 2, v2
	global_inv scope:SCOPE_SE
	v_cmpx_gt_u32_e32 64, v0
	s_cbranch_execz .LBB126_50
; %bb.49:
	ds_load_b32 v4, v1
	s_wait_dscnt 0x0
	v_add_f32_e32 v19, v19, v4
.LBB126_50:
	s_wait_alu 0xfffe
	s_or_b32 exec_lo, exec_lo, s0
	s_delay_alu instid0(SALU_CYCLE_1)
	s_mov_b32 s0, exec_lo
	s_wait_loadcnt 0x0
	s_barrier_signal -1
	s_barrier_wait -1
	global_inv scope:SCOPE_SE
	v_cmpx_eq_u32_e32 32, v3
; %bb.51:
	ds_store_b32 v2, v19
; %bb.52:
	s_wait_alu 0xfffe
	s_or_b32 exec_lo, exec_lo, s0
	v_cmp_gt_u32_e32 vcc_lo, 32, v0
	s_wait_loadcnt_dscnt 0x0
	s_barrier_signal -1
	s_barrier_wait -1
	global_inv scope:SCOPE_SE
	s_and_saveexec_b32 s0, vcc_lo
	s_cbranch_execz .LBB126_54
; %bb.53:
	ds_load_b32 v0, v1
	s_wait_dscnt 0x0
	v_add_f32_e32 v19, v19, v0
.LBB126_54:
	s_wait_alu 0xfffe
	s_or_b32 exec_lo, exec_lo, s0
	s_wait_loadcnt 0x0
	s_barrier_signal -1
	s_barrier_wait -1
	global_inv scope:SCOPE_SE
	s_and_saveexec_b32 s0, vcc_lo
	s_cbranch_execz .LBB126_56
; %bb.55:
	v_bfe_u32 v0, v19, 16, 1
	s_lshl_b32 s0, s26, 5
	s_mul_i32 s2, s11, s16
	s_wait_alu 0xfffe
	s_ashr_i32 s1, s0, 31
	v_or_b32_e32 v1, 0x400000, v19
	v_add3_u32 v0, v0, v19, 0x7fff
	v_cmp_u_f32_e32 vcc_lo, v19, v19
	s_wait_alu 0xfffe
	s_lshl_b64 s[0:1], s[0:1], 1
	s_ashr_i32 s3, s2, 31
	s_wait_kmcnt 0x0
	s_wait_alu 0xfffe
	s_add_nc_u64 s[0:1], s[14:15], s[0:1]
	s_lshl_b64 s[2:3], s[2:3], 1
	v_lshlrev_b32_e32 v2, 1, v18
	s_wait_alu 0xfffd
	v_cndmask_b32_e32 v0, v0, v1, vcc_lo
	s_wait_alu 0xfffe
	s_add_nc_u64 s[0:1], s[0:1], s[2:3]
	s_mov_b32 s9, 0
	s_wait_alu 0xfffe
	s_add_nc_u64 s[0:1], s[0:1], s[8:9]
	global_store_d16_hi_b16 v2, v0, s[0:1]
.LBB126_56:
	s_endpgm
	.section	.rodata,"a",@progbits
	.p2align	6, 0x0
	.amdhsa_kernel _ZN4vllm25paged_attention_v2_kernelI14__hip_bfloat16S1_Li32ELi8ELi128ELNS_18Fp8KVCacheDataTypeE0ELb1ELi512EEEvPfS3_PT_PKS4_PKT0_SA_ifPKiSC_iPKfiiiSE_SE_iiiii
		.amdhsa_group_segment_fixed_size 96
		.amdhsa_private_segment_fixed_size 0
		.amdhsa_kernarg_size 400
		.amdhsa_user_sgpr_count 2
		.amdhsa_user_sgpr_dispatch_ptr 0
		.amdhsa_user_sgpr_queue_ptr 0
		.amdhsa_user_sgpr_kernarg_segment_ptr 1
		.amdhsa_user_sgpr_dispatch_id 0
		.amdhsa_user_sgpr_private_segment_size 0
		.amdhsa_wavefront_size32 1
		.amdhsa_uses_dynamic_stack 0
		.amdhsa_enable_private_segment 0
		.amdhsa_system_sgpr_workgroup_id_x 1
		.amdhsa_system_sgpr_workgroup_id_y 1
		.amdhsa_system_sgpr_workgroup_id_z 1
		.amdhsa_system_sgpr_workgroup_info 0
		.amdhsa_system_vgpr_workitem_id 0
		.amdhsa_next_free_vgpr 34
		.amdhsa_next_free_sgpr 42
		.amdhsa_reserve_vcc 1
		.amdhsa_float_round_mode_32 0
		.amdhsa_float_round_mode_16_64 0
		.amdhsa_float_denorm_mode_32 3
		.amdhsa_float_denorm_mode_16_64 3
		.amdhsa_fp16_overflow 0
		.amdhsa_workgroup_processor_mode 1
		.amdhsa_memory_ordered 1
		.amdhsa_forward_progress 1
		.amdhsa_inst_pref_size 43
		.amdhsa_round_robin_scheduling 0
		.amdhsa_exception_fp_ieee_invalid_op 0
		.amdhsa_exception_fp_denorm_src 0
		.amdhsa_exception_fp_ieee_div_zero 0
		.amdhsa_exception_fp_ieee_overflow 0
		.amdhsa_exception_fp_ieee_underflow 0
		.amdhsa_exception_fp_ieee_inexact 0
		.amdhsa_exception_int_div_zero 0
	.end_amdhsa_kernel
	.section	.text._ZN4vllm25paged_attention_v2_kernelI14__hip_bfloat16S1_Li32ELi8ELi128ELNS_18Fp8KVCacheDataTypeE0ELb1ELi512EEEvPfS3_PT_PKS4_PKT0_SA_ifPKiSC_iPKfiiiSE_SE_iiiii,"axG",@progbits,_ZN4vllm25paged_attention_v2_kernelI14__hip_bfloat16S1_Li32ELi8ELi128ELNS_18Fp8KVCacheDataTypeE0ELb1ELi512EEEvPfS3_PT_PKS4_PKT0_SA_ifPKiSC_iPKfiiiSE_SE_iiiii,comdat
.Lfunc_end126:
	.size	_ZN4vllm25paged_attention_v2_kernelI14__hip_bfloat16S1_Li32ELi8ELi128ELNS_18Fp8KVCacheDataTypeE0ELb1ELi512EEEvPfS3_PT_PKS4_PKT0_SA_ifPKiSC_iPKfiiiSE_SE_iiiii, .Lfunc_end126-_ZN4vllm25paged_attention_v2_kernelI14__hip_bfloat16S1_Li32ELi8ELi128ELNS_18Fp8KVCacheDataTypeE0ELb1ELi512EEEvPfS3_PT_PKS4_PKT0_SA_ifPKiSC_iPKfiiiSE_SE_iiiii
                                        ; -- End function
	.set _ZN4vllm25paged_attention_v2_kernelI14__hip_bfloat16S1_Li32ELi8ELi128ELNS_18Fp8KVCacheDataTypeE0ELb1ELi512EEEvPfS3_PT_PKS4_PKT0_SA_ifPKiSC_iPKfiiiSE_SE_iiiii.num_vgpr, 34
	.set _ZN4vllm25paged_attention_v2_kernelI14__hip_bfloat16S1_Li32ELi8ELi128ELNS_18Fp8KVCacheDataTypeE0ELb1ELi512EEEvPfS3_PT_PKS4_PKT0_SA_ifPKiSC_iPKfiiiSE_SE_iiiii.num_agpr, 0
	.set _ZN4vllm25paged_attention_v2_kernelI14__hip_bfloat16S1_Li32ELi8ELi128ELNS_18Fp8KVCacheDataTypeE0ELb1ELi512EEEvPfS3_PT_PKS4_PKT0_SA_ifPKiSC_iPKfiiiSE_SE_iiiii.numbered_sgpr, 42
	.set _ZN4vllm25paged_attention_v2_kernelI14__hip_bfloat16S1_Li32ELi8ELi128ELNS_18Fp8KVCacheDataTypeE0ELb1ELi512EEEvPfS3_PT_PKS4_PKT0_SA_ifPKiSC_iPKfiiiSE_SE_iiiii.num_named_barrier, 0
	.set _ZN4vllm25paged_attention_v2_kernelI14__hip_bfloat16S1_Li32ELi8ELi128ELNS_18Fp8KVCacheDataTypeE0ELb1ELi512EEEvPfS3_PT_PKS4_PKT0_SA_ifPKiSC_iPKfiiiSE_SE_iiiii.private_seg_size, 0
	.set _ZN4vllm25paged_attention_v2_kernelI14__hip_bfloat16S1_Li32ELi8ELi128ELNS_18Fp8KVCacheDataTypeE0ELb1ELi512EEEvPfS3_PT_PKS4_PKT0_SA_ifPKiSC_iPKfiiiSE_SE_iiiii.uses_vcc, 1
	.set _ZN4vllm25paged_attention_v2_kernelI14__hip_bfloat16S1_Li32ELi8ELi128ELNS_18Fp8KVCacheDataTypeE0ELb1ELi512EEEvPfS3_PT_PKS4_PKT0_SA_ifPKiSC_iPKfiiiSE_SE_iiiii.uses_flat_scratch, 0
	.set _ZN4vllm25paged_attention_v2_kernelI14__hip_bfloat16S1_Li32ELi8ELi128ELNS_18Fp8KVCacheDataTypeE0ELb1ELi512EEEvPfS3_PT_PKS4_PKT0_SA_ifPKiSC_iPKfiiiSE_SE_iiiii.has_dyn_sized_stack, 0
	.set _ZN4vllm25paged_attention_v2_kernelI14__hip_bfloat16S1_Li32ELi8ELi128ELNS_18Fp8KVCacheDataTypeE0ELb1ELi512EEEvPfS3_PT_PKS4_PKT0_SA_ifPKiSC_iPKfiiiSE_SE_iiiii.has_recursion, 0
	.set _ZN4vllm25paged_attention_v2_kernelI14__hip_bfloat16S1_Li32ELi8ELi128ELNS_18Fp8KVCacheDataTypeE0ELb1ELi512EEEvPfS3_PT_PKS4_PKT0_SA_ifPKiSC_iPKfiiiSE_SE_iiiii.has_indirect_call, 0
	.section	.AMDGPU.csdata,"",@progbits
; Kernel info:
; codeLenInByte = 5476
; TotalNumSgprs: 44
; NumVgprs: 34
; ScratchSize: 0
; MemoryBound: 0
; FloatMode: 240
; IeeeMode: 1
; LDSByteSize: 96 bytes/workgroup (compile time only)
; SGPRBlocks: 0
; VGPRBlocks: 4
; NumSGPRsForWavesPerEU: 44
; NumVGPRsForWavesPerEU: 34
; Occupancy: 16
; WaveLimiterHint : 1
; COMPUTE_PGM_RSRC2:SCRATCH_EN: 0
; COMPUTE_PGM_RSRC2:USER_SGPR: 2
; COMPUTE_PGM_RSRC2:TRAP_HANDLER: 0
; COMPUTE_PGM_RSRC2:TGID_X_EN: 1
; COMPUTE_PGM_RSRC2:TGID_Y_EN: 1
; COMPUTE_PGM_RSRC2:TGID_Z_EN: 1
; COMPUTE_PGM_RSRC2:TIDIG_COMP_CNT: 0
	.section	.text._ZN4vllm32paged_attention_v2_reduce_kernelI14__hip_bfloat16Li32ELi128ELi512EEEvPT_PKfS5_PKS2_PKii,"axG",@progbits,_ZN4vllm32paged_attention_v2_reduce_kernelI14__hip_bfloat16Li32ELi128ELi512EEEvPT_PKfS5_PKS2_PKii,comdat
	.protected	_ZN4vllm32paged_attention_v2_reduce_kernelI14__hip_bfloat16Li32ELi128ELi512EEEvPT_PKfS5_PKS2_PKii ; -- Begin function _ZN4vllm32paged_attention_v2_reduce_kernelI14__hip_bfloat16Li32ELi128ELi512EEEvPT_PKfS5_PKS2_PKii
	.globl	_ZN4vllm32paged_attention_v2_reduce_kernelI14__hip_bfloat16Li32ELi128ELi512EEEvPT_PKfS5_PKS2_PKii
	.p2align	8
	.type	_ZN4vllm32paged_attention_v2_reduce_kernelI14__hip_bfloat16Li32ELi128ELi512EEEvPT_PKfS5_PKS2_PKii,@function
_ZN4vllm32paged_attention_v2_reduce_kernelI14__hip_bfloat16Li32ELi128ELi512EEEvPT_PKfS5_PKS2_PKii: ; @_ZN4vllm32paged_attention_v2_reduce_kernelI14__hip_bfloat16Li32ELi128ELi512EEEvPT_PKfS5_PKS2_PKii
; %bb.0:
	s_load_b128 s[4:7], s[0:1], 0x18
	s_mov_b32 s2, ttmp7
	s_ashr_i32 s3, ttmp7, 31
	s_add_nc_u64 s[8:9], s[0:1], 48
	s_lshl_b64 s[2:3], s[2:3], 2
	s_wait_kmcnt 0x0
	s_add_nc_u64 s[2:3], s[6:7], s[2:3]
	s_load_b32 s18, s[2:3], 0x0
	s_clause 0x2
	s_load_b64 s[6:7], s[0:1], 0x0
	s_load_b32 s14, s[0:1], 0x28
	s_load_b32 s15, s[0:1], 0x30
	s_wait_kmcnt 0x0
	s_add_co_i32 s2, s18, -1
	s_delay_alu instid0(SALU_CYCLE_1)
	s_cmp_gt_u32 s2, 0x1ff
	s_mov_b32 s2, -1
	s_cbranch_scc0 .LBB127_26
; %bb.1:
	s_add_co_i32 s2, s18, 0x1ff
	s_mul_i32 s16, s15, ttmp7
	s_ashr_i32 s3, s2, 31
	v_dual_mov_b32 v4, 0xff7fffff :: v_dual_lshlrev_b32 v3, 2, v0
	s_lshr_b32 s3, s3, 23
	s_mul_i32 s12, s16, s14
	s_add_co_i32 s2, s2, s3
	s_mul_i32 s10, s14, ttmp9
	s_ashr_i32 s17, s2, 9
	s_ashr_i32 s13, s12, 31
	v_cmp_gt_i32_e32 vcc_lo, s17, v0
	s_ashr_i32 s11, s10, 31
	s_and_saveexec_b32 s3, vcc_lo
	s_cbranch_execz .LBB127_5
; %bb.2:
	s_load_b64 s[20:21], s[0:1], 0x10
	s_load_b32 s2, s[8:9], 0xc
	s_lshl_b64 s[22:23], s[12:13], 2
	s_lshl_b64 s[24:25], s[10:11], 2
	v_dual_mov_b32 v4, 0xff7fffff :: v_dual_add_nc_u32 v5, 32, v3
	s_add_nc_u64 s[22:23], s[22:23], s[24:25]
	v_mov_b32_e32 v6, v0
	s_wait_kmcnt 0x0
	s_add_nc_u64 s[20:21], s[20:21], s[22:23]
	s_delay_alu instid0(SALU_CYCLE_1) | instskip(NEXT) | instid1(VALU_DEP_1)
	v_add_co_u32 v1, s19, s20, v3
	v_add_co_ci_u32_e64 v2, null, s21, 0, s19
	s_and_b32 s20, s2, 0xffff
	s_mov_b32 s19, 0
	s_wait_alu 0xfffe
	s_lshl_b32 s21, s20, 2
.LBB127_3:                              ; =>This Inner Loop Header: Depth=1
	global_load_b32 v7, v[1:2], off
	v_add_nc_u32_e32 v6, s20, v6
	v_max_num_f32_e32 v4, v4, v4
	s_wait_alu 0xfffe
	v_add_co_u32 v1, s2, v1, s21
	s_wait_alu 0xf1ff
	v_add_co_ci_u32_e64 v2, null, 0, v2, s2
	v_cmp_le_i32_e64 s2, s17, v6
	s_or_b32 s19, s2, s19
	s_wait_loadcnt 0x0
	v_max_num_f32_e32 v8, v7, v7
	ds_store_b32 v5, v7
	v_dual_max_num_f32 v4, v4, v8 :: v_dual_add_nc_u32 v5, s21, v5
	s_wait_alu 0xfffe
	s_and_not1_b32 exec_lo, exec_lo, s19
	s_cbranch_execnz .LBB127_3
; %bb.4:
	s_or_b32 exec_lo, exec_lo, s19
.LBB127_5:
	s_delay_alu instid0(SALU_CYCLE_1)
	s_or_b32 exec_lo, exec_lo, s3
	v_mbcnt_lo_u32_b32 v1, -1, 0
	s_load_b64 s[2:3], s[0:1], 0x8
	s_wait_dscnt 0x0
	s_barrier_signal -1
	s_barrier_wait -1
	v_xor_b32_e32 v2, 16, v1
	v_xor_b32_e32 v5, 8, v1
	global_inv scope:SCOPE_SE
	v_cmp_gt_i32_e64 s0, 32, v2
	s_delay_alu instid0(VALU_DEP_1) | instskip(SKIP_1) | instid1(VALU_DEP_2)
	v_cndmask_b32_e64 v2, v1, v2, s0
	v_cmp_gt_i32_e64 s0, 32, v5
	v_lshlrev_b32_e32 v6, 2, v2
	s_wait_alu 0xf1ff
	s_delay_alu instid0(VALU_DEP_2) | instskip(SKIP_3) | instid1(VALU_DEP_1)
	v_cndmask_b32_e64 v5, v1, v5, s0
	ds_bpermute_b32 v2, v6, v4
	v_dual_max_num_f32 v4, v4, v4 :: v_dual_lshlrev_b32 v7, 2, v5
	v_xor_b32_e32 v5, 4, v1
	v_cmp_gt_i32_e64 s0, 32, v5
	s_wait_alu 0xf1ff
	s_delay_alu instid0(VALU_DEP_1) | instskip(NEXT) | instid1(VALU_DEP_1)
	v_cndmask_b32_e64 v5, v1, v5, s0
	v_lshlrev_b32_e32 v8, 2, v5
	v_xor_b32_e32 v5, 2, v1
	s_wait_dscnt 0x0
	v_max_num_f32_e32 v2, v2, v2
	s_delay_alu instid0(VALU_DEP_2) | instskip(NEXT) | instid1(VALU_DEP_2)
	v_cmp_gt_i32_e64 s0, 32, v5
	v_max_num_f32_e32 v2, v4, v2
	s_wait_alu 0xf1ff
	s_delay_alu instid0(VALU_DEP_2) | instskip(SKIP_3) | instid1(VALU_DEP_1)
	v_cndmask_b32_e64 v5, v1, v5, s0
	ds_bpermute_b32 v4, v7, v2
	s_wait_dscnt 0x0
	v_max_num_f32_e32 v4, v4, v4
	v_max_num_f32_e32 v2, v2, v4
	ds_bpermute_b32 v4, v8, v2
	s_wait_dscnt 0x0
	v_dual_max_num_f32 v9, v4, v4 :: v_dual_lshlrev_b32 v4, 2, v5
	s_delay_alu instid0(VALU_DEP_1) | instskip(SKIP_4) | instid1(VALU_DEP_1)
	v_max_num_f32_e32 v2, v2, v9
	v_xor_b32_e32 v9, 1, v1
	ds_bpermute_b32 v5, v4, v2
	v_cmp_gt_i32_e64 s0, 32, v9
	s_wait_alu 0xf1ff
	v_cndmask_b32_e64 v1, v1, v9, s0
	v_lshrrev_b32_e32 v9, 5, v0
	s_delay_alu instid0(VALU_DEP_1) | instskip(SKIP_2) | instid1(VALU_DEP_1)
	v_lshlrev_b32_e32 v9, 2, v9
	s_wait_dscnt 0x0
	v_max_num_f32_e32 v5, v5, v5
	v_max_num_f32_e32 v2, v2, v5
	v_lshlrev_b32_e32 v5, 2, v1
	v_and_b32_e32 v1, 31, v0
	ds_bpermute_b32 v10, v5, v2
	v_cmp_eq_u32_e64 s0, 0, v1
	s_and_saveexec_b32 s1, s0
	s_cbranch_execz .LBB127_7
; %bb.6:
	s_wait_dscnt 0x0
	v_max_num_f32_e32 v10, v10, v10
	v_max_num_f32_e32 v2, v2, v2
	s_delay_alu instid0(VALU_DEP_1)
	v_max_num_f32_e32 v2, v2, v10
	ds_store_b32 v9, v2
.LBB127_7:
	s_wait_alu 0xfffe
	s_or_b32 exec_lo, exec_lo, s1
	v_cmp_gt_u32_e64 s1, 4, v1
	v_mov_b32_e32 v2, 0xff7fffff
	s_wait_dscnt 0x0
	v_lshlrev_b32_e32 v10, 2, v1
	s_wait_loadcnt 0x0
	s_barrier_signal -1
	s_barrier_wait -1
	global_inv scope:SCOPE_SE
	s_and_saveexec_b32 s19, s1
; %bb.8:
	ds_load_b32 v2, v10
; %bb.9:
	s_wait_alu 0xfffe
	s_or_b32 exec_lo, exec_lo, s19
	s_wait_dscnt 0x0
	ds_bpermute_b32 v1, v4, v2
	v_max_num_f32_e32 v2, v2, v2
	s_lshl_b32 s19, s17, 2
	v_mov_b32_e32 v11, 0
	s_wait_dscnt 0x0
	v_max_num_f32_e32 v1, v1, v1
	s_delay_alu instid0(VALU_DEP_1) | instskip(SKIP_3) | instid1(VALU_DEP_1)
	v_max_num_f32_e32 v1, v2, v1
	ds_bpermute_b32 v2, v5, v1
	s_wait_dscnt 0x0
	v_max_num_f32_e32 v2, v2, v2
	v_max_num_f32_e32 v1, v1, v2
	ds_bpermute_b32 v12, v11, v1
	s_and_saveexec_b32 s20, vcc_lo
	s_cbranch_execz .LBB127_13
; %bb.10:
	s_load_b32 s21, s[8:9], 0xc
	s_lshl_b64 s[22:23], s[12:13], 2
	s_lshl_b64 s[24:25], s[10:11], 2
	v_mov_b32_e32 v11, 0
	s_add_nc_u64 s[22:23], s[22:23], s[24:25]
	v_mov_b32_e32 v13, v0
	s_wait_kmcnt 0x0
	s_add_nc_u64 s[2:3], s[2:3], s[22:23]
	s_wait_alu 0xfffe
	v_add_co_u32 v1, s2, s2, v3
	s_wait_alu 0xf1ff
	v_add_co_ci_u32_e64 v2, null, s3, 0, s2
	v_add_nc_u32_e32 v3, 32, v3
	s_mov_b32 s3, 0
	s_and_b32 s11, s21, 0xffff
	s_delay_alu instid0(SALU_CYCLE_1)
	s_lshl_b32 s13, s11, 2
.LBB127_11:                             ; =>This Inner Loop Header: Depth=1
	global_load_b32 v14, v[1:2], off
	ds_load_b32 v15, v3
	v_add_nc_u32_e32 v13, s11, v13
	s_wait_dscnt 0x0
	v_sub_f32_e32 v15, v15, v12
	s_delay_alu instid0(VALU_DEP_1) | instskip(NEXT) | instid1(VALU_DEP_1)
	v_mul_f32_e32 v16, 0x3fb8aa3b, v15
	v_fma_f32 v17, 0x3fb8aa3b, v15, -v16
	v_rndne_f32_e32 v18, v16
	s_delay_alu instid0(VALU_DEP_1) | instskip(SKIP_1) | instid1(VALU_DEP_4)
	v_sub_f32_e32 v16, v16, v18
	v_cmp_ngt_f32_e32 vcc_lo, 0xc2ce8ed0, v15
	v_fmac_f32_e32 v17, 0x32a5705f, v15
	v_cmp_nlt_f32_e64 s2, 0x42b17218, v15
	s_delay_alu instid0(VALU_DEP_2) | instskip(SKIP_1) | instid1(VALU_DEP_2)
	v_add_f32_e32 v16, v16, v17
	v_cvt_i32_f32_e32 v17, v18
	v_exp_f32_e32 v16, v16
	s_delay_alu instid0(TRANS32_DEP_1) | instskip(SKIP_2) | instid1(VALU_DEP_2)
	v_ldexp_f32 v16, v16, v17
	v_add_nc_u32_e32 v17, s19, v3
	s_wait_alu 0xfffd
	v_dual_cndmask_b32 v16, 0, v16 :: v_dual_add_nc_u32 v3, s13, v3
	v_add_co_u32 v1, vcc_lo, v1, s13
	s_wait_alu 0xfffd
	v_add_co_ci_u32_e64 v2, null, 0, v2, vcc_lo
	s_wait_alu 0xf1ff
	v_cndmask_b32_e64 v15, 0x7f800000, v16, s2
	v_cmp_le_i32_e32 vcc_lo, s17, v13
	s_wait_alu 0xfffe
	s_or_b32 s3, vcc_lo, s3
	s_wait_loadcnt 0x0
	v_mul_f32_e32 v16, v14, v15
	v_fmac_f32_e32 v11, v14, v15
	ds_store_b32 v17, v16
	s_wait_alu 0xfffe
	s_and_not1_b32 exec_lo, exec_lo, s3
	s_cbranch_execnz .LBB127_11
; %bb.12:
	s_or_b32 exec_lo, exec_lo, s3
.LBB127_13:
	s_wait_alu 0xfffe
	s_or_b32 exec_lo, exec_lo, s20
	ds_bpermute_b32 v1, v6, v11
	s_wait_loadcnt_dscnt 0x0
	s_barrier_signal -1
	s_barrier_wait -1
	global_inv scope:SCOPE_SE
	v_add_f32_e32 v1, v11, v1
	ds_bpermute_b32 v2, v7, v1
	s_wait_dscnt 0x0
	v_add_f32_e32 v1, v1, v2
	ds_bpermute_b32 v2, v8, v1
	s_wait_dscnt 0x0
	;; [unrolled: 3-line block ×4, first 2 shown]
	v_add_f32_e32 v1, v1, v2
	s_wait_kmcnt 0x0
	s_and_saveexec_b32 s2, s0
; %bb.14:
	ds_store_b32 v9, v1 offset:16
; %bb.15:
	s_wait_alu 0xfffe
	s_or_b32 exec_lo, exec_lo, s2
	s_wait_loadcnt_dscnt 0x0
	s_barrier_signal -1
	s_barrier_wait -1
	global_inv scope:SCOPE_SE
	s_and_saveexec_b32 s0, s1
; %bb.16:
	ds_load_b32 v1, v10 offset:16
; %bb.17:
	s_wait_alu 0xfffe
	s_or_b32 exec_lo, exec_lo, s0
	s_wait_dscnt 0x0
	ds_bpermute_b32 v2, v4, v1
	s_mov_b32 s0, exec_lo
	s_wait_dscnt 0x0
	v_add_f32_e32 v1, v1, v2
	ds_bpermute_b32 v2, v5, v1
	s_wait_dscnt 0x0
	v_dual_add_f32 v1, v1, v2 :: v_dual_mov_b32 v2, 0
	ds_bpermute_b32 v2, v2, v1
	v_cmpx_gt_u32_e32 32, v0
	s_cbranch_execz .LBB127_25
; %bb.18:
	s_cmp_gt_i32 s18, 0
	s_mov_b32 s1, 0
	s_cbranch_scc1 .LBB127_20
; %bb.19:
	v_mov_b32_e32 v1, 0
	v_mov_b32_e32 v3, 0
	s_wait_alu 0xfffe
	s_and_not1_b32 vcc_lo, exec_lo, s1
	s_wait_alu 0xfffe
	s_cbranch_vccz .LBB127_21
	s_branch .LBB127_24
.LBB127_20:
	v_mov_b32_e32 v3, 0
.LBB127_21:
	s_wait_dscnt 0x0
	v_add_f32_e32 v4, 0x358637bd, v2
	s_lshl_b32 s2, s12, 5
	s_lshl_b32 s10, s10, 5
	s_wait_alu 0xfffe
	s_ashr_i32 s3, s2, 31
	s_ashr_i32 s11, s10, 31
	v_div_scale_f32 v2, null, v4, v4, 1.0
	s_wait_alu 0xfffe
	s_lshl_b64 s[2:3], s[2:3], 1
	s_lshl_b64 s[10:11], s[10:11], 1
	s_wait_alu 0xfffe
	s_add_nc_u64 s[2:3], s[2:3], s[10:11]
	v_rcp_f32_e32 v3, v2
	s_wait_alu 0xfffe
	s_add_nc_u64 s[2:3], s[4:5], s[2:3]
	s_delay_alu instid0(TRANS32_DEP_1) | instskip(NEXT) | instid1(VALU_DEP_1)
	v_fma_f32 v1, -v2, v3, 1.0
	v_fmac_f32_e32 v3, v1, v3
	v_div_scale_f32 v5, vcc_lo, 1.0, v4, 1.0
	s_delay_alu instid0(VALU_DEP_1) | instskip(NEXT) | instid1(VALU_DEP_1)
	v_mul_f32_e32 v6, v5, v3
	v_fma_f32 v1, -v2, v6, v5
	s_delay_alu instid0(VALU_DEP_1) | instskip(NEXT) | instid1(VALU_DEP_1)
	v_dual_fmac_f32 v6, v1, v3 :: v_dual_mov_b32 v1, 0
	v_fma_f32 v2, -v2, v6, v5
	v_lshlrev_b32_e32 v5, 1, v0
	s_wait_alu 0xfffd
	s_delay_alu instid0(VALU_DEP_2) | instskip(SKIP_1) | instid1(VALU_DEP_2)
	v_div_fmas_f32 v6, v2, v3, v6
	s_wait_alu 0xfffe
	v_add_co_u32 v2, s1, s2, v5
	s_wait_alu 0xf1ff
	v_add_co_ci_u32_e64 v3, null, s3, 0, s1
	v_div_fixup_f32 v4, v6, v4, 1.0
	v_mov_b32_e32 v5, v1
	s_max_i32 s1, s17, 1
	s_add_co_i32 s2, s19, 32
.LBB127_22:                             ; =>This Inner Loop Header: Depth=1
	global_load_u16 v6, v[2:3], off
	s_wait_alu 0xfffe
	v_mov_b32_e32 v7, s2
	v_add_co_u32 v2, vcc_lo, v2, 64
	s_wait_alu 0xfffd
	v_add_co_ci_u32_e64 v3, null, 0, v3, vcc_lo
	s_add_co_i32 s1, s1, -1
	s_add_co_i32 s2, s2, 4
	s_wait_alu 0xfffe
	s_cmp_eq_u32 s1, 0
	s_wait_loadcnt 0x0
	v_lshlrev_b32_e32 v6, 16, v6
	ds_load_b32 v7, v7
	s_wait_dscnt 0x0
	v_mul_f32_e32 v6, v7, v6
	s_delay_alu instid0(VALU_DEP_1)
	v_fmac_f32_e32 v5, v4, v6
	s_cbranch_scc0 .LBB127_22
; %bb.23:
	s_delay_alu instid0(VALU_DEP_1) | instskip(SKIP_2) | instid1(VALU_DEP_3)
	v_bfe_u32 v2, v5, 16, 1
	v_or_b32_e32 v3, 0x400000, v5
	v_cmp_u_f32_e32 vcc_lo, v5, v5
	v_add3_u32 v2, v2, v5, 0x7fff
	s_wait_alu 0xfffd
	s_delay_alu instid0(VALU_DEP_1) | instskip(NEXT) | instid1(VALU_DEP_1)
	v_cndmask_b32_e32 v2, v2, v3, vcc_lo
	v_lshrrev_b32_e32 v3, 16, v2
.LBB127_24:
	s_lshl_b32 s2, s16, 5
	s_lshl_b32 s10, ttmp9, 5
	s_wait_alu 0xfffe
	s_ashr_i32 s3, s2, 31
	s_ashr_i32 s11, s10, 31
	s_wait_alu 0xfffe
	s_lshl_b64 s[2:3], s[2:3], 1
	s_wait_dscnt 0x0
	v_lshlrev_b64_e32 v[1:2], 1, v[0:1]
	s_lshl_b64 s[10:11], s[10:11], 1
	s_wait_alu 0xfffe
	s_add_nc_u64 s[2:3], s[6:7], s[2:3]
	s_wait_alu 0xfffe
	s_add_nc_u64 s[2:3], s[2:3], s[10:11]
	s_wait_alu 0xfffe
	v_add_co_u32 v1, vcc_lo, s2, v1
	s_wait_alu 0xfffd
	v_add_co_ci_u32_e64 v2, null, s3, v2, vcc_lo
	global_store_b16 v[1:2], v3, off
.LBB127_25:
	s_wait_alu 0xfffe
	s_or_b32 exec_lo, exec_lo, s0
	s_mov_b32 s2, 0
.LBB127_26:
	s_wait_alu 0xfffe
	s_and_b32 vcc_lo, exec_lo, s2
	s_wait_alu 0xfffe
	s_cbranch_vccz .LBB127_35
; %bb.27:
	s_mov_b32 s0, exec_lo
	v_cmpx_gt_u32_e32 32, v0
	s_cbranch_execz .LBB127_35
; %bb.28:
	s_load_b32 s0, s[8:9], 0xc
	s_mul_i32 s15, s15, ttmp7
	s_mul_i32 s1, s14, ttmp9
	s_mul_i32 s14, s14, s15
	s_lshl_b32 s2, ttmp9, 5
	s_lshl_b32 s10, s15, 5
	s_wait_alu 0xfffe
	s_lshl_b32 s8, s1, 5
	s_lshl_b32 s12, s14, 5
	v_cmp_gt_u32_e32 vcc_lo, 29, v0
	s_ashr_i32 s3, s2, 31
	s_ashr_i32 s11, s10, 31
	;; [unrolled: 1-line block ×3, first 2 shown]
	s_wait_alu 0xfffe
	s_ashr_i32 s13, s12, 31
	s_wait_kmcnt 0x0
	s_and_b32 s1, s0, 0xffff
	s_wait_alu 0xfffe
	s_cmp_eq_u32 s1, 1
	s_cselect_b32 s0, -1, 0
	s_wait_alu 0xfffe
	s_and_b32 s15, vcc_lo, s0
	s_mov_b32 s0, -1
	s_and_saveexec_b32 s14, s15
	s_cbranch_execz .LBB127_32
; %bb.29:
	s_lshl_b64 s[16:17], s[12:13], 1
	s_lshl_b64 s[18:19], s[8:9], 1
	v_lshlrev_b32_e32 v1, 1, v0
	s_wait_alu 0xfffe
	s_add_nc_u64 s[16:17], s[16:17], s[18:19]
	s_lshl_b64 s[18:19], s[10:11], 1
	s_lshl_b64 s[20:21], s[2:3], 1
	s_wait_alu 0xfffe
	s_add_nc_u64 s[16:17], s[4:5], s[16:17]
	s_add_nc_u64 s[18:19], s[18:19], s[20:21]
	s_wait_dscnt 0x0
	s_wait_alu 0xfffe
	v_add_co_u32 v2, s0, s16, v1
	v_sub_nc_u32_e32 v5, 32, v0
	s_wait_alu 0xf1ff
	v_add_co_ci_u32_e64 v3, null, s17, 0, s0
	s_add_nc_u64 s[16:17], s[6:7], s[18:19]
	s_mov_b32 s15, 0
	s_wait_alu 0xfffe
	v_add_co_u32 v4, s0, s16, v1
	v_and_b32_e32 v6, 60, v5
	s_wait_alu 0xf1ff
	v_add_co_ci_u32_e64 v7, null, s17, 0, s0
	v_add_co_u32 v1, vcc_lo, v2, 4
	s_wait_alu 0xfffd
	v_add_co_ci_u32_e64 v2, null, 0, v3, vcc_lo
	v_add_co_u32 v3, vcc_lo, v4, 4
	s_wait_alu 0xfffd
	v_add_co_ci_u32_e64 v4, null, 0, v7, vcc_lo
	v_mov_b32_e32 v7, v6
.LBB127_30:                             ; =>This Inner Loop Header: Depth=1
	global_load_b64 v[8:9], v[1:2], off offset:-4
	v_add_nc_u32_e32 v7, -4, v7
	v_add_co_u32 v1, vcc_lo, v1, 8
	s_wait_alu 0xfffd
	v_add_co_ci_u32_e64 v2, null, 0, v2, vcc_lo
	s_delay_alu instid0(VALU_DEP_3)
	v_cmp_eq_u32_e32 vcc_lo, 0, v7
	s_or_b32 s15, vcc_lo, s15
	s_wait_loadcnt 0x0
	global_store_b64 v[3:4], v[8:9], off offset:-4
	v_add_co_u32 v3, s0, v3, 8
	s_wait_alu 0xf1ff
	v_add_co_ci_u32_e64 v4, null, 0, v4, s0
	s_and_not1_b32 exec_lo, exec_lo, s15
	s_cbranch_execnz .LBB127_30
; %bb.31:
	s_or_b32 exec_lo, exec_lo, s15
	v_cmp_ne_u32_e32 vcc_lo, v5, v6
	v_add_nc_u32_e32 v0, v0, v6
	s_or_not1_b32 s0, vcc_lo, exec_lo
.LBB127_32:
	s_or_b32 exec_lo, exec_lo, s14
	s_wait_alu 0xfffe
	s_and_b32 exec_lo, exec_lo, s0
	s_cbranch_execz .LBB127_35
; %bb.33:
	s_lshl_b64 s[10:11], s[10:11], 1
	s_lshl_b64 s[2:3], s[2:3], 1
	s_wait_alu 0xfffe
	s_add_nc_u64 s[6:7], s[6:7], s[10:11]
	s_lshl_b64 s[10:11], s[12:13], 1
	s_wait_dscnt 0x0
	v_dual_mov_b32 v2, 0 :: v_dual_lshlrev_b32 v1, 1, v0
	s_add_nc_u64 s[2:3], s[6:7], s[2:3]
	s_wait_alu 0xfffe
	s_add_nc_u64 s[4:5], s[4:5], s[10:11]
	s_lshl_b64 s[6:7], s[8:9], 1
	s_delay_alu instid0(SALU_CYCLE_1)
	s_add_nc_u64 s[4:5], s[4:5], s[6:7]
	s_mov_b32 s6, 0
	s_lshl_b32 s7, s1, 1
.LBB127_34:                             ; =>This Inner Loop Header: Depth=1
	v_add_co_u32 v3, vcc_lo, s4, v1
	s_wait_alu 0xfffd
	v_add_co_ci_u32_e64 v4, null, s5, v2, vcc_lo
	v_add_nc_u32_e32 v0, s1, v0
	global_load_u16 v5, v[3:4], off
	v_add_co_u32 v3, vcc_lo, s2, v1
	s_wait_alu 0xfffd
	v_add_co_ci_u32_e64 v4, null, s3, v2, vcc_lo
	v_cmp_lt_u32_e32 vcc_lo, 31, v0
	v_add_co_u32 v1, s0, v1, s7
	s_wait_alu 0xf1ff
	v_add_co_ci_u32_e64 v2, null, 0, v2, s0
	s_or_b32 s6, vcc_lo, s6
	s_wait_loadcnt 0x0
	global_store_b16 v[3:4], v5, off
	s_wait_alu 0xfffe
	s_and_not1_b32 exec_lo, exec_lo, s6
	s_cbranch_execnz .LBB127_34
.LBB127_35:
	s_endpgm
	.section	.rodata,"a",@progbits
	.p2align	6, 0x0
	.amdhsa_kernel _ZN4vllm32paged_attention_v2_reduce_kernelI14__hip_bfloat16Li32ELi128ELi512EEEvPT_PKfS5_PKS2_PKii
		.amdhsa_group_segment_fixed_size 32
		.amdhsa_private_segment_fixed_size 0
		.amdhsa_kernarg_size 304
		.amdhsa_user_sgpr_count 2
		.amdhsa_user_sgpr_dispatch_ptr 0
		.amdhsa_user_sgpr_queue_ptr 0
		.amdhsa_user_sgpr_kernarg_segment_ptr 1
		.amdhsa_user_sgpr_dispatch_id 0
		.amdhsa_user_sgpr_private_segment_size 0
		.amdhsa_wavefront_size32 1
		.amdhsa_uses_dynamic_stack 0
		.amdhsa_enable_private_segment 0
		.amdhsa_system_sgpr_workgroup_id_x 1
		.amdhsa_system_sgpr_workgroup_id_y 1
		.amdhsa_system_sgpr_workgroup_id_z 0
		.amdhsa_system_sgpr_workgroup_info 0
		.amdhsa_system_vgpr_workitem_id 0
		.amdhsa_next_free_vgpr 19
		.amdhsa_next_free_sgpr 26
		.amdhsa_reserve_vcc 1
		.amdhsa_float_round_mode_32 0
		.amdhsa_float_round_mode_16_64 0
		.amdhsa_float_denorm_mode_32 3
		.amdhsa_float_denorm_mode_16_64 3
		.amdhsa_fp16_overflow 0
		.amdhsa_workgroup_processor_mode 1
		.amdhsa_memory_ordered 1
		.amdhsa_forward_progress 1
		.amdhsa_inst_pref_size 20
		.amdhsa_round_robin_scheduling 0
		.amdhsa_exception_fp_ieee_invalid_op 0
		.amdhsa_exception_fp_denorm_src 0
		.amdhsa_exception_fp_ieee_div_zero 0
		.amdhsa_exception_fp_ieee_overflow 0
		.amdhsa_exception_fp_ieee_underflow 0
		.amdhsa_exception_fp_ieee_inexact 0
		.amdhsa_exception_int_div_zero 0
	.end_amdhsa_kernel
	.section	.text._ZN4vllm32paged_attention_v2_reduce_kernelI14__hip_bfloat16Li32ELi128ELi512EEEvPT_PKfS5_PKS2_PKii,"axG",@progbits,_ZN4vllm32paged_attention_v2_reduce_kernelI14__hip_bfloat16Li32ELi128ELi512EEEvPT_PKfS5_PKS2_PKii,comdat
.Lfunc_end127:
	.size	_ZN4vllm32paged_attention_v2_reduce_kernelI14__hip_bfloat16Li32ELi128ELi512EEEvPT_PKfS5_PKS2_PKii, .Lfunc_end127-_ZN4vllm32paged_attention_v2_reduce_kernelI14__hip_bfloat16Li32ELi128ELi512EEEvPT_PKfS5_PKS2_PKii
                                        ; -- End function
	.set _ZN4vllm32paged_attention_v2_reduce_kernelI14__hip_bfloat16Li32ELi128ELi512EEEvPT_PKfS5_PKS2_PKii.num_vgpr, 19
	.set _ZN4vllm32paged_attention_v2_reduce_kernelI14__hip_bfloat16Li32ELi128ELi512EEEvPT_PKfS5_PKS2_PKii.num_agpr, 0
	.set _ZN4vllm32paged_attention_v2_reduce_kernelI14__hip_bfloat16Li32ELi128ELi512EEEvPT_PKfS5_PKS2_PKii.numbered_sgpr, 26
	.set _ZN4vllm32paged_attention_v2_reduce_kernelI14__hip_bfloat16Li32ELi128ELi512EEEvPT_PKfS5_PKS2_PKii.num_named_barrier, 0
	.set _ZN4vllm32paged_attention_v2_reduce_kernelI14__hip_bfloat16Li32ELi128ELi512EEEvPT_PKfS5_PKS2_PKii.private_seg_size, 0
	.set _ZN4vllm32paged_attention_v2_reduce_kernelI14__hip_bfloat16Li32ELi128ELi512EEEvPT_PKfS5_PKS2_PKii.uses_vcc, 1
	.set _ZN4vllm32paged_attention_v2_reduce_kernelI14__hip_bfloat16Li32ELi128ELi512EEEvPT_PKfS5_PKS2_PKii.uses_flat_scratch, 0
	.set _ZN4vllm32paged_attention_v2_reduce_kernelI14__hip_bfloat16Li32ELi128ELi512EEEvPT_PKfS5_PKS2_PKii.has_dyn_sized_stack, 0
	.set _ZN4vllm32paged_attention_v2_reduce_kernelI14__hip_bfloat16Li32ELi128ELi512EEEvPT_PKfS5_PKS2_PKii.has_recursion, 0
	.set _ZN4vllm32paged_attention_v2_reduce_kernelI14__hip_bfloat16Li32ELi128ELi512EEEvPT_PKfS5_PKS2_PKii.has_indirect_call, 0
	.section	.AMDGPU.csdata,"",@progbits
; Kernel info:
; codeLenInByte = 2488
; TotalNumSgprs: 28
; NumVgprs: 19
; ScratchSize: 0
; MemoryBound: 0
; FloatMode: 240
; IeeeMode: 1
; LDSByteSize: 32 bytes/workgroup (compile time only)
; SGPRBlocks: 0
; VGPRBlocks: 2
; NumSGPRsForWavesPerEU: 28
; NumVGPRsForWavesPerEU: 19
; Occupancy: 16
; WaveLimiterHint : 0
; COMPUTE_PGM_RSRC2:SCRATCH_EN: 0
; COMPUTE_PGM_RSRC2:USER_SGPR: 2
; COMPUTE_PGM_RSRC2:TRAP_HANDLER: 0
; COMPUTE_PGM_RSRC2:TGID_X_EN: 1
; COMPUTE_PGM_RSRC2:TGID_Y_EN: 1
; COMPUTE_PGM_RSRC2:TGID_Z_EN: 0
; COMPUTE_PGM_RSRC2:TIDIG_COMP_CNT: 0
	.section	.text._ZN4vllm25paged_attention_v2_kernelI14__hip_bfloat16S1_Li64ELi8ELi128ELNS_18Fp8KVCacheDataTypeE0ELb1ELi512EEEvPfS3_PT_PKS4_PKT0_SA_ifPKiSC_iPKfiiiSE_SE_iiiii,"axG",@progbits,_ZN4vllm25paged_attention_v2_kernelI14__hip_bfloat16S1_Li64ELi8ELi128ELNS_18Fp8KVCacheDataTypeE0ELb1ELi512EEEvPfS3_PT_PKS4_PKT0_SA_ifPKiSC_iPKfiiiSE_SE_iiiii,comdat
	.protected	_ZN4vllm25paged_attention_v2_kernelI14__hip_bfloat16S1_Li64ELi8ELi128ELNS_18Fp8KVCacheDataTypeE0ELb1ELi512EEEvPfS3_PT_PKS4_PKT0_SA_ifPKiSC_iPKfiiiSE_SE_iiiii ; -- Begin function _ZN4vllm25paged_attention_v2_kernelI14__hip_bfloat16S1_Li64ELi8ELi128ELNS_18Fp8KVCacheDataTypeE0ELb1ELi512EEEvPfS3_PT_PKS4_PKT0_SA_ifPKiSC_iPKfiiiSE_SE_iiiii
	.globl	_ZN4vllm25paged_attention_v2_kernelI14__hip_bfloat16S1_Li64ELi8ELi128ELNS_18Fp8KVCacheDataTypeE0ELb1ELi512EEEvPfS3_PT_PKS4_PKT0_SA_ifPKiSC_iPKfiiiSE_SE_iiiii
	.p2align	8
	.type	_ZN4vllm25paged_attention_v2_kernelI14__hip_bfloat16S1_Li64ELi8ELi128ELNS_18Fp8KVCacheDataTypeE0ELb1ELi512EEEvPfS3_PT_PKS4_PKT0_SA_ifPKiSC_iPKfiiiSE_SE_iiiii,@function
_ZN4vllm25paged_attention_v2_kernelI14__hip_bfloat16S1_Li64ELi8ELi128ELNS_18Fp8KVCacheDataTypeE0ELb1ELi512EEEvPfS3_PT_PKS4_PKT0_SA_ifPKiSC_iPKfiiiSE_SE_iiiii: ; @_ZN4vllm25paged_attention_v2_kernelI14__hip_bfloat16S1_Li64ELi8ELi128ELNS_18Fp8KVCacheDataTypeE0ELb1ELi512EEEvPfS3_PT_PKS4_PKT0_SA_ifPKiSC_iPKfiiiSE_SE_iiiii
; %bb.0:
	s_load_b64 s[2:3], s[0:1], 0x40
	s_and_b32 s34, ttmp7, 0xffff
	s_lshr_b32 s33, ttmp7, 16
	s_lshl_b32 s4, s34, 2
	s_lshl_b32 s36, s33, 9
	s_wait_kmcnt 0x0
	s_load_b32 s30, s[2:3], s4 offset:0x0
	s_wait_kmcnt 0x0
	s_cmp_ge_i32 s36, s30
	s_cbranch_scc1 .LBB128_58
; %bb.1:
	s_clause 0x1
	s_load_b32 s35, s[0:1], 0x90
	s_load_b64 s[6:7], s[0:1], 0x30
	s_wait_kmcnt 0x0
	s_abs_i32 s5, s35
	s_abs_i32 s2, s6
	s_delay_alu instid0(SALU_CYCLE_1) | instskip(SKIP_1) | instid1(SALU_CYCLE_2)
	s_cvt_f32_u32 s3, s2
	s_sub_co_i32 s4, 0, s2
	v_rcp_iflag_f32_e32 v1, s3
	s_delay_alu instid0(TRANS32_DEP_1) | instskip(SKIP_2) | instid1(SALU_CYCLE_2)
	v_readfirstlane_b32 s3, v1
	s_mul_f32 s3, s3, 0x4f7ffffe
	s_wait_alu 0xfffe
	s_cvt_u32_f32 s3, s3
	s_wait_alu 0xfffe
	s_delay_alu instid0(SALU_CYCLE_2) | instskip(NEXT) | instid1(SALU_CYCLE_1)
	s_mul_i32 s4, s4, s3
	s_mul_hi_u32 s4, s3, s4
	s_delay_alu instid0(SALU_CYCLE_1)
	s_add_co_i32 s3, s3, s4
	s_xor_b32 s4, s35, s6
	s_wait_alu 0xfffe
	s_mul_hi_u32 s3, s5, s3
	s_ashr_i32 s4, s4, 31
	s_wait_alu 0xfffe
	s_mul_i32 s8, s3, s2
	s_delay_alu instid0(SALU_CYCLE_1)
	s_sub_co_i32 s5, s5, s8
	s_add_co_i32 s8, s3, 1
	s_sub_co_i32 s9, s5, s2
	s_cmp_ge_u32 s5, s2
	s_cselect_b32 s3, s8, s3
	s_cselect_b32 s5, s9, s5
	s_wait_alu 0xfffe
	s_add_co_i32 s8, s3, 1
	s_cmp_ge_u32 s5, s2
	s_mov_b32 s5, 0
	s_cselect_b32 s2, s8, s3
	s_load_b64 s[8:9], s[0:1], 0x50
	s_xor_b32 s2, s2, s4
	s_mov_b32 s14, s5
	s_wait_alu 0xfffe
	s_sub_co_i32 s10, s2, s4
	s_abs_i32 s4, ttmp9
	s_abs_i32 s12, s10
	s_delay_alu instid0(SALU_CYCLE_1) | instskip(SKIP_2) | instid1(SALU_CYCLE_1)
	s_cvt_f32_u32 s2, s12
	s_sub_co_i32 s3, 0, s12
	s_wait_alu 0xfffe
	v_rcp_iflag_f32_e32 v1, s2
	s_delay_alu instid0(TRANS32_DEP_1) | instskip(SKIP_2) | instid1(SALU_CYCLE_2)
	v_readfirstlane_b32 s2, v1
	s_mul_f32 s2, s2, 0x4f7ffffe
	s_wait_alu 0xfffe
	s_cvt_u32_f32 s2, s2
	s_wait_alu 0xfffe
	s_delay_alu instid0(SALU_CYCLE_2)
	s_mul_i32 s3, s3, s2
	s_wait_alu 0xfffe
	s_mul_hi_u32 s3, s2, s3
	s_wait_alu 0xfffe
	s_add_co_i32 s2, s2, s3
	s_mov_b32 s3, s5
	s_wait_kmcnt 0x0
	s_cmp_eq_u64 s[8:9], 0
	s_cbranch_scc1 .LBB128_3
; %bb.2:
	s_mov_b32 s14, ttmp9
	s_ashr_i32 s15, ttmp9, 31
	s_delay_alu instid0(SALU_CYCLE_1) | instskip(NEXT) | instid1(SALU_CYCLE_1)
	s_lshl_b64 s[14:15], s[14:15], 2
	s_add_nc_u64 s[8:9], s[8:9], s[14:15]
	s_load_b32 s14, s[8:9], 0x0
.LBB128_3:
	s_load_b96 s[16:18], s[0:1], 0x58
	s_mul_u64 s[2:3], s[4:5], s[2:3]
	v_and_b32_e32 v1, 3, v0
	v_cmp_gt_u32_e64 s2, 32, v0
	v_lshlrev_b32_e32 v2, 2, v0
	s_ashr_i32 s5, ttmp9, 31
	s_ashr_i32 s13, s10, 31
	s_lshl_b32 s20, ttmp9, 6
	s_wait_alu 0xfffe
	s_and_saveexec_b32 s8, s2
	s_cbranch_execz .LBB128_5
; %bb.4:
	s_load_b64 s[10:11], s[0:1], 0x18
	s_wait_kmcnt 0x0
	s_mul_i32 s22, s16, s34
	s_ashr_i32 s21, s20, 31
	s_ashr_i32 s23, s22, 31
	v_and_b32_e32 v4, 0x3fc, v0
	s_lshl_b64 s[22:23], s[22:23], 1
	s_delay_alu instid0(VALU_DEP_1) | instskip(SKIP_2) | instid1(SALU_CYCLE_1)
	v_lshl_add_u32 v4, v1, 5, v4
	s_add_nc_u64 s[10:11], s[10:11], s[22:23]
	s_lshl_b64 s[22:23], s[20:21], 1
	s_add_nc_u64 s[10:11], s[10:11], s[22:23]
	global_load_b32 v3, v2, s[10:11]
	s_wait_loadcnt 0x0
	ds_store_b32 v4, v3
.LBB128_5:
	s_or_b32 exec_lo, exec_lo, s8
	s_load_b128 s[8:11], s[0:1], 0x78
	s_mul_i32 s15, s3, s12
	s_xor_b32 s5, s5, s13
	s_sub_co_i32 s4, s4, s15
	s_add_co_i32 s13, s3, 1
	s_sub_co_i32 s15, s4, s12
	s_cmp_ge_u32 s4, s12
	s_mov_b32 s24, -1
	s_cselect_b32 s3, s13, s3
	s_cselect_b32 s4, s15, s4
	s_wait_alu 0xfffe
	s_add_co_i32 s13, s3, 1
	s_cmp_ge_u32 s4, s12
                                        ; implicit-def: $sgpr21
	s_cselect_b32 s4, s13, s3
	s_load_b32 s3, s[0:1], 0x88
	s_xor_b32 s4, s4, s5
	s_add_co_i32 s19, s30, -1
	s_sub_co_i32 s15, s4, s5
	s_wait_dscnt 0x0
	s_barrier_signal -1
	s_wait_kmcnt 0x0
	s_abs_i32 s16, s11
	s_barrier_wait -1
	s_cvt_f32_u32 s12, s16
	global_inv scope:SCOPE_SE
	v_rcp_iflag_f32_e32 v3, s12
	s_delay_alu instid0(TRANS32_DEP_1) | instskip(SKIP_1) | instid1(SALU_CYCLE_3)
	v_readfirstlane_b32 s12, v3
	s_mul_f32 s4, s12, 0x4f7ffffe
	s_cvt_u32_f32 s12, s4
	s_sub_co_i32 s4, 0, s16
	s_wait_alu 0xfffe
	s_delay_alu instid0(SALU_CYCLE_1)
	s_mul_i32 s5, s4, s12
	s_abs_i32 s4, s19
	s_mul_hi_u32 s13, s12, s5
	s_mov_b32 s5, 0
	s_wait_alu 0xfffe
	s_add_co_i32 s22, s12, s13
	s_cmp_lt_i32 s3, 0
	s_mov_b32 s23, s5
	s_cbranch_scc0 .LBB128_7
; %bb.6:
	s_mul_i32 s6, s8, s6
	s_mov_b32 s24, s5
	s_add_co_i32 s6, s15, s6
	s_delay_alu instid0(SALU_CYCLE_1) | instskip(NEXT) | instid1(SALU_CYCLE_1)
	s_mul_i32 s6, s6, s3
	s_sub_co_i32 s21, 1, s6
.LBB128_7:
	s_mul_u64 s[12:13], s[4:5], s[22:23]
	s_ashr_i32 s5, s19, 31
	s_and_not1_b32 vcc_lo, exec_lo, s24
	s_ashr_i32 s23, s11, 31
	s_cbranch_vccnz .LBB128_9
; %bb.8:
	s_mul_i32 s6, s35, s8
	s_delay_alu instid0(SALU_CYCLE_1) | instskip(NEXT) | instid1(SALU_CYCLE_1)
	s_add_co_i32 s6, s6, ttmp9
	s_mul_i32 s3, s6, s3
	s_wait_alu 0xfffe
	s_add_co_i32 s21, s3, 1
.LBB128_9:
	s_clause 0x2
	s_load_b32 s3, s[0:1], 0x48
	s_load_b64 s[24:25], s[0:1], 0x38
	s_load_b32 s8, s[0:1], 0x98
	s_mul_i32 s6, s13, s16
	s_xor_b32 s5, s5, s23
	s_sub_co_i32 s4, s4, s6
	s_add_co_i32 s11, s13, 1
	v_lshrrev_b32_e32 v19, 5, v0
	v_mbcnt_lo_u32_b32 v4, -1, 0
	s_mul_i32 s18, s15, s18
	s_delay_alu instid0(VALU_DEP_2)
	v_lshl_add_u32 v20, v19, 3, s36
	s_wait_kmcnt 0x0
	s_mul_i32 s26, s3, s34
	s_sub_co_i32 s3, s4, s16
	s_ashr_i32 s27, s26, 31
	s_cmp_ge_u32 s4, s16
	s_cselect_b32 s6, s11, s13
	s_wait_alu 0xfffe
	s_cselect_b32 s3, s3, s4
	s_add_co_i32 s4, s6, 1
	s_wait_alu 0xfffe
	s_cmp_ge_u32 s3, s16
	s_cselect_b32 s3, s4, s6
	s_add_co_i32 s4, s30, 7
	s_lshl_b32 s11, s33, 6
	s_ashr_i32 s6, s4, 31
	v_or_b32_e32 v21, s11, v19
	s_lshr_b32 s6, s6, 29
	v_mov_b32_e32 v6, 0xff7fffff
	s_add_co_i32 s4, s4, s6
	s_add_co_i32 s6, s11, 64
	s_ashr_i32 s37, s4, 3
	s_wait_alu 0xfffe
	s_xor_b32 s4, s3, s5
	s_min_i32 s31, s6, s37
	v_lshlrev_b32_e32 v3, 2, v21
	v_cmp_gt_i32_e64 s3, s31, v21
	s_sub_co_i32 s38, s4, s5
	s_and_saveexec_b32 s12, s3
	s_cbranch_execz .LBB128_21
; %bb.10:
	s_ashr_i32 s19, s18, 31
	s_sub_co_i32 s13, s38, s9
	s_lshl_b64 s[28:29], s[18:19], 1
	s_cmp_neq_f32 s14, 0
	s_load_b64 s[40:41], s[0:1], 0x20
	v_bfe_u32 v5, v0, 2, 3
	v_lshlrev_b32_e32 v7, 5, v1
	s_cselect_b32 vcc_lo, -1, 0
	s_abs_i32 s15, s10
	v_dual_mov_b32 v13, 0xff7fffff :: v_dual_and_b32 v2, 12, v2
	s_cvt_f32_u32 s4, s15
	v_lshlrev_b32_e32 v8, 2, v5
	v_mov_b32_e32 v16, v21
	s_lshl_b64 s[42:43], s[26:27], 2
	v_rcp_iflag_f32_e32 v6, s4
	v_cmp_eq_u32_e64 s4, 0, v1
	v_lshlrev_b32_e32 v1, 4, v5
	v_subrev_nc_u32_e32 v11, s30, v5
	s_add_nc_u64 s[42:43], s[24:25], s[42:43]
	s_sub_co_i32 s6, 0, s15
	v_lshl_add_u32 v10, v19, 3, s36
	v_xor_b32_e32 v14, 2, v4
	v_add_nc_u32_e32 v11, 1, v11
	s_wait_kmcnt 0x0
	s_add_nc_u64 s[28:29], s[40:41], s[28:29]
	v_readfirstlane_b32 s5, v6
	v_add_co_u32 v1, s28, s28, v1
	s_wait_alu 0xf1ff
	v_add_co_ci_u32_e64 v9, null, s29, 0, s28
	s_mul_f32 s5, s5, 0x4f7ffffe
	v_lshl_or_b32 v6, v19, 5, v8
	v_xor_b32_e32 v15, 1, v4
	s_mov_b32 s19, 0
	s_wait_alu 0xfffe
	s_cvt_u32_f32 s29, s5
	v_add_co_u32 v8, s5, v1, v2
	s_wait_alu 0xf1ff
	v_add_co_ci_u32_e64 v9, null, 0, v9, s5
	v_add_co_u32 v1, s5, s42, v3
	s_wait_alu 0xfffe
	s_mul_i32 s6, s6, s29
	v_add_co_ci_u32_e64 v2, null, s43, 0, s5
	v_add_nc_u32_e32 v12, 0xa0, v6
	v_mov_b32_e32 v6, 0xff7fffff
	s_mul_hi_u32 s5, s29, s6
	s_mov_b32 s28, s17
	s_wait_alu 0xfffe
	s_add_co_i32 s29, s29, s5
	s_branch .LBB128_13
.LBB128_11:                             ;   in Loop: Header=BB128_13 Depth=1
	s_or_b32 exec_lo, exec_lo, s39
.LBB128_12:                             ;   in Loop: Header=BB128_13 Depth=1
	s_wait_alu 0xfffe
	s_or_b32 exec_lo, exec_lo, s6
	v_add_nc_u32_e32 v16, 4, v16
	v_add_co_u32 v1, s6, v1, 16
	s_wait_alu 0xf1ff
	v_add_co_ci_u32_e64 v2, null, 0, v2, s6
	s_delay_alu instid0(VALU_DEP_3) | instskip(SKIP_3) | instid1(SALU_CYCLE_1)
	v_cmp_le_i32_e64 s5, s31, v16
	v_add_nc_u32_e32 v10, 32, v10
	v_add_nc_u32_e32 v12, 0x80, v12
	s_or_b32 s19, s5, s19
	s_and_not1_b32 exec_lo, exec_lo, s19
	s_cbranch_execz .LBB128_20
.LBB128_13:                             ; =>This Inner Loop Header: Depth=1
	v_sub_nc_u32_e32 v17, 0, v10
	s_delay_alu instid0(VALU_DEP_1) | instskip(SKIP_1) | instid1(VALU_DEP_1)
	v_max_i32_e32 v17, v10, v17
	s_wait_dscnt 0x0
	v_mul_hi_u32 v18, v17, s22
	s_delay_alu instid0(VALU_DEP_1) | instskip(NEXT) | instid1(VALU_DEP_1)
	v_mul_lo_u32 v22, v18, s16
	v_sub_nc_u32_e32 v17, v17, v22
	v_add_nc_u32_e32 v22, 1, v18
	s_delay_alu instid0(VALU_DEP_2) | instskip(SKIP_2) | instid1(VALU_DEP_1)
	v_subrev_nc_u32_e32 v23, s16, v17
	v_cmp_le_u32_e64 s5, s16, v17
	s_wait_alu 0xf1ff
	v_cndmask_b32_e64 v18, v18, v22, s5
	s_delay_alu instid0(VALU_DEP_3) | instskip(SKIP_1) | instid1(VALU_DEP_3)
	v_cndmask_b32_e64 v17, v17, v23, s5
	v_ashrrev_i32_e32 v22, 31, v10
	v_add_nc_u32_e32 v23, 1, v18
	s_delay_alu instid0(VALU_DEP_3) | instskip(NEXT) | instid1(VALU_DEP_3)
	v_cmp_le_u32_e64 s5, s16, v17
	v_xor_b32_e32 v22, s23, v22
	s_wait_alu 0xf1ff
	s_delay_alu instid0(VALU_DEP_2) | instskip(NEXT) | instid1(VALU_DEP_1)
	v_cndmask_b32_e64 v17, v18, v23, s5
	v_xor_b32_e32 v17, v17, v22
	s_delay_alu instid0(VALU_DEP_1) | instskip(NEXT) | instid1(VALU_DEP_1)
	v_sub_nc_u32_e32 v17, v17, v22
	v_add_nc_u32_e32 v18, s21, v17
	v_cmp_ge_i32_e64 s6, s13, v17
	s_delay_alu instid0(VALU_DEP_2) | instskip(NEXT) | instid1(VALU_DEP_1)
	v_sub_nc_u32_e32 v22, 0, v18
	v_max_i32_e32 v22, v18, v22
	v_ashrrev_i32_e32 v18, 31, v18
	s_wait_alu 0xfffe
	s_delay_alu instid0(VALU_DEP_2) | instskip(NEXT) | instid1(VALU_DEP_1)
	v_mul_hi_u32 v23, v22, s29
	v_mul_lo_u32 v23, v23, s15
	s_delay_alu instid0(VALU_DEP_1) | instskip(NEXT) | instid1(VALU_DEP_1)
	v_sub_nc_u32_e32 v22, v22, v23
	v_subrev_nc_u32_e32 v23, s15, v22
	v_cmp_le_u32_e64 s5, s15, v22
	s_wait_alu 0xf1ff
	s_delay_alu instid0(VALU_DEP_1) | instskip(NEXT) | instid1(VALU_DEP_1)
	v_cndmask_b32_e64 v22, v22, v23, s5
	v_subrev_nc_u32_e32 v23, s15, v22
	v_cmp_le_u32_e64 s5, s15, v22
	s_wait_alu 0xf1ff
	s_delay_alu instid0(VALU_DEP_1) | instskip(NEXT) | instid1(VALU_DEP_1)
	v_cndmask_b32_e64 v22, v22, v23, s5
	v_xor_b32_e32 v22, v22, v18
	s_delay_alu instid0(VALU_DEP_1) | instskip(NEXT) | instid1(VALU_DEP_1)
	v_sub_nc_u32_e32 v18, v22, v18
	v_cmp_ne_u32_e64 s5, 0, v18
	s_and_b32 s5, s5, s6
	s_wait_alu 0xfffe
	s_and_saveexec_b32 s6, s5
	s_wait_alu 0xfffe
	s_xor_b32 s5, exec_lo, s6
	s_cbranch_execz .LBB128_17
; %bb.14:                               ;   in Loop: Header=BB128_13 Depth=1
	s_and_saveexec_b32 s6, s4
; %bb.15:                               ;   in Loop: Header=BB128_13 Depth=1
	ds_store_b32 v12, v13
; %bb.16:                               ;   in Loop: Header=BB128_13 Depth=1
	s_wait_alu 0xfffe
	s_or_b32 exec_lo, exec_lo, s6
.LBB128_17:                             ;   in Loop: Header=BB128_13 Depth=1
	s_wait_alu 0xfffe
	s_and_not1_saveexec_b32 s6, s5
	s_cbranch_execz .LBB128_12
; %bb.18:                               ;   in Loop: Header=BB128_13 Depth=1
	global_load_b32 v17, v[1:2], off
	s_wait_loadcnt 0x0
	v_mad_co_i64_i32 v[17:18], null, v17, s28, 0
	s_delay_alu instid0(VALU_DEP_1) | instskip(NEXT) | instid1(VALU_DEP_1)
	v_lshlrev_b64_e32 v[17:18], 1, v[17:18]
	v_add_co_u32 v17, s5, v8, v17
	s_wait_alu 0xf1ff
	s_delay_alu instid0(VALU_DEP_2)
	v_add_co_ci_u32_e64 v18, null, v9, v18, s5
	v_cmp_gt_i32_e64 s5, 32, v14
	s_clause 0x7
	global_load_b32 v30, v[17:18], off offset:128
	global_load_b32 v31, v[17:18], off
	global_load_b32 v32, v[17:18], off offset:256
	global_load_b32 v33, v[17:18], off offset:384
	global_load_b32 v34, v[17:18], off offset:512
	global_load_b32 v35, v[17:18], off offset:640
	global_load_b32 v36, v[17:18], off offset:768
	global_load_b32 v17, v[17:18], off offset:896
	ds_load_b128 v[22:25], v7
	ds_load_b128 v[26:29], v7 offset:16
	s_wait_dscnt 0x1
	v_lshlrev_b32_e32 v37, 16, v23
	v_and_b32_e32 v23, 0xffff0000, v23
	v_lshlrev_b32_e32 v39, 16, v25
	s_wait_dscnt 0x0
	v_lshlrev_b32_e32 v41, 16, v27
	v_lshlrev_b32_e32 v43, 16, v29
	s_wait_loadcnt 0x7
	v_lshlrev_b32_e32 v44, 16, v30
	v_and_b32_e32 v30, 0xffff0000, v30
	v_lshlrev_b32_e32 v18, 16, v22
	v_lshlrev_b32_e32 v38, 16, v24
	v_and_b32_e32 v22, 0xffff0000, v22
	s_wait_loadcnt 0x6
	v_lshlrev_b32_e32 v45, 16, v31
	v_and_b32_e32 v31, 0xffff0000, v31
	v_dual_mul_f32 v23, v23, v30 :: v_dual_lshlrev_b32 v42, 16, v28
	s_wait_loadcnt 0x4
	s_delay_alu instid0(VALU_DEP_1) | instskip(SKIP_3) | instid1(VALU_DEP_1)
	v_dual_fmac_f32 v23, v22, v31 :: v_dual_lshlrev_b32 v22, 16, v33
	v_lshlrev_b32_e32 v30, 16, v32
	v_and_b32_e32 v24, 0xffff0000, v24
	v_and_b32_e32 v32, 0xffff0000, v32
	v_fmac_f32_e32 v23, v24, v32
	v_dual_mul_f32 v37, v37, v44 :: v_dual_lshlrev_b32 v40, 16, v26
	s_delay_alu instid0(VALU_DEP_1) | instskip(NEXT) | instid1(VALU_DEP_1)
	v_dual_fmac_f32 v37, v18, v45 :: v_dual_and_b32 v24, 0xffff0000, v26
	v_fmac_f32_e32 v37, v38, v30
	s_wait_loadcnt 0x3
	v_and_b32_e32 v30, 0xffff0000, v34
	v_and_b32_e32 v18, 0xffff0000, v25
	;; [unrolled: 1-line block ×3, first 2 shown]
	s_wait_loadcnt 0x2
	v_dual_fmac_f32 v37, v39, v22 :: v_dual_lshlrev_b32 v22, 16, v35
	s_delay_alu instid0(VALU_DEP_2) | instskip(SKIP_3) | instid1(VALU_DEP_3)
	v_dual_fmac_f32 v23, v18, v25 :: v_dual_and_b32 v18, 0xffff0000, v27
	v_and_b32_e32 v25, 0xffff0000, v35
	s_wait_loadcnt 0x1
	v_and_b32_e32 v27, 0xffff0000, v36
	v_dual_fmac_f32 v23, v24, v30 :: v_dual_and_b32 v24, 0xffff0000, v28
	s_delay_alu instid0(VALU_DEP_1) | instskip(NEXT) | instid1(VALU_DEP_1)
	v_dual_fmac_f32 v23, v18, v25 :: v_dual_lshlrev_b32 v26, 16, v34
	v_dual_fmac_f32 v23, v24, v27 :: v_dual_and_b32 v18, 0xffff0000, v29
	s_delay_alu instid0(VALU_DEP_2)
	v_dual_fmac_f32 v37, v40, v26 :: v_dual_lshlrev_b32 v26, 16, v36
	s_wait_alu 0xf1ff
	v_cndmask_b32_e64 v24, v4, v14, s5
	v_cmp_gt_i32_e64 s5, 32, v15
	s_wait_loadcnt 0x0
	v_dual_fmac_f32 v37, v41, v22 :: v_dual_lshlrev_b32 v22, 16, v17
	v_and_b32_e32 v17, 0xffff0000, v17
	s_delay_alu instid0(VALU_DEP_2) | instskip(NEXT) | instid1(VALU_DEP_2)
	v_fmac_f32_e32 v37, v42, v26
	v_fmac_f32_e32 v23, v18, v17
	v_lshlrev_b32_e32 v17, 2, v24
	s_delay_alu instid0(VALU_DEP_3) | instskip(SKIP_2) | instid1(VALU_DEP_2)
	v_fmac_f32_e32 v37, v43, v22
	s_wait_alu 0xf1ff
	v_cndmask_b32_e64 v22, v4, v15, s5
	v_add_f32_e32 v18, v37, v23
	s_delay_alu instid0(VALU_DEP_2)
	v_lshlrev_b32_e32 v22, 2, v22
	ds_bpermute_b32 v17, v17, v18
	s_wait_dscnt 0x0
	v_add_f32_e32 v17, v18, v17
	ds_bpermute_b32 v18, v22, v17
	s_and_saveexec_b32 s39, s4
	s_cbranch_execz .LBB128_11
; %bb.19:                               ;   in Loop: Header=BB128_13 Depth=1
	v_add_nc_u32_e32 v22, v11, v10
	s_wait_dscnt 0x0
	v_add_f32_e32 v17, v17, v18
	s_delay_alu instid0(VALU_DEP_2) | instskip(NEXT) | instid1(VALU_DEP_1)
	v_cvt_f32_i32_e32 v22, v22
	v_mul_f32_e32 v22, s14, v22
	s_delay_alu instid0(VALU_DEP_1) | instskip(SKIP_1) | instid1(VALU_DEP_2)
	v_cndmask_b32_e32 v18, 0, v22, vcc_lo
	v_max_num_f32_e32 v22, v6, v6
	v_dual_fmac_f32 v18, s7, v17 :: v_dual_add_nc_u32 v17, v5, v10
	s_delay_alu instid0(VALU_DEP_1) | instskip(NEXT) | instid1(VALU_DEP_2)
	v_max_num_f32_e32 v22, v22, v18
	v_cmp_gt_i32_e64 s5, s30, v17
	s_wait_alu 0xf1ff
	s_delay_alu instid0(VALU_DEP_1) | instskip(NEXT) | instid1(VALU_DEP_3)
	v_cndmask_b32_e64 v17, 0, v18, s5
	v_cndmask_b32_e64 v6, v6, v22, s5
	ds_store_b32 v12, v17
	s_branch .LBB128_11
.LBB128_20:
	s_or_b32 exec_lo, exec_lo, s19
.LBB128_21:
	s_wait_alu 0xfffe
	s_or_b32 exec_lo, exec_lo, s12
	v_xor_b32_e32 v1, 16, v4
	v_xor_b32_e32 v5, 8, v4
	;; [unrolled: 1-line block ×3, first 2 shown]
	s_clause 0x2
	s_load_b128 s[12:15], s[0:1], 0x0
	s_load_b64 s[6:7], s[0:1], 0x10
	s_load_b64 s[28:29], s[0:1], 0x28
	v_and_b32_e32 v22, 31, v0
	v_cmp_gt_i32_e32 vcc_lo, 32, v1
	s_wait_alu 0xfffd
	v_cndmask_b32_e32 v1, v4, v1, vcc_lo
	v_cmp_gt_i32_e32 vcc_lo, 32, v5
	s_wait_alu 0xfffd
	v_cndmask_b32_e32 v5, v4, v5, vcc_lo
	v_cmp_gt_i32_e32 vcc_lo, 32, v7
	v_lshlrev_b32_e32 v2, 2, v1
	s_delay_alu instid0(VALU_DEP_3)
	v_lshlrev_b32_e32 v5, 2, v5
	s_wait_alu 0xfffd
	v_cndmask_b32_e32 v7, v4, v7, vcc_lo
	ds_bpermute_b32 v1, v2, v6
	v_max_num_f32_e32 v6, v6, v6
	v_cmp_eq_u32_e32 vcc_lo, 0, v22
	s_wait_dscnt 0x0
	v_dual_max_num_f32 v1, v1, v1 :: v_dual_lshlrev_b32 v8, 2, v7
	s_delay_alu instid0(VALU_DEP_1) | instskip(SKIP_3) | instid1(VALU_DEP_1)
	v_max_num_f32_e32 v1, v6, v1
	ds_bpermute_b32 v6, v5, v1
	s_wait_dscnt 0x0
	v_max_num_f32_e32 v6, v6, v6
	v_dual_max_num_f32 v1, v1, v6 :: v_dual_lshlrev_b32 v6, 2, v19
	ds_bpermute_b32 v7, v8, v1
	s_and_saveexec_b32 s0, vcc_lo
	s_cbranch_execz .LBB128_23
; %bb.22:
	s_wait_dscnt 0x0
	v_max_num_f32_e32 v7, v7, v7
	v_max_num_f32_e32 v1, v1, v1
	s_delay_alu instid0(VALU_DEP_1)
	v_max_num_f32_e32 v1, v1, v7
	ds_store_b32 v6, v1 offset:128
.LBB128_23:
	s_or_b32 exec_lo, exec_lo, s0
	v_cmp_gt_u32_e64 s0, 4, v22
	v_mov_b32_e32 v1, 0xff7fffff
	s_wait_dscnt 0x0
	v_lshlrev_b32_e32 v7, 2, v22
	s_wait_loadcnt 0x0
	s_barrier_signal -1
	s_barrier_wait -1
	global_inv scope:SCOPE_SE
	s_and_saveexec_b32 s1, s0
; %bb.24:
	ds_load_b32 v1, v7 offset:128
; %bb.25:
	s_or_b32 exec_lo, exec_lo, s1
	v_xor_b32_e32 v9, 2, v4
	v_xor_b32_e32 v11, 1, v4
	s_delay_alu instid0(VALU_DEP_2) | instskip(NEXT) | instid1(VALU_DEP_1)
	v_cmp_gt_i32_e64 s1, 32, v9
	v_cndmask_b32_e64 v9, v4, v9, s1
	s_delay_alu instid0(VALU_DEP_3) | instskip(NEXT) | instid1(VALU_DEP_2)
	v_cmp_gt_i32_e64 s1, 32, v11
	v_lshlrev_b32_e32 v9, 2, v9
	s_wait_alu 0xf1ff
	s_delay_alu instid0(VALU_DEP_2)
	v_cndmask_b32_e64 v4, v4, v11, s1
	s_sub_co_i32 s1, s31, s11
	s_wait_alu 0xfffe
	s_lshl_b32 s1, s1, 3
	s_wait_dscnt 0x0
	ds_bpermute_b32 v10, v9, v1
	v_max_num_f32_e32 v1, v1, v1
	s_wait_alu 0xfffe
	s_add_co_i32 s1, s1, s36
	s_wait_alu 0xfffe
	s_min_i32 s1, s1, s30
	s_wait_alu 0xfffe
	s_sub_co_i32 s5, s1, s36
	s_wait_alu 0xfffe
	v_cmp_gt_i32_e64 s1, s5, v0
	s_wait_dscnt 0x0
	v_dual_max_num_f32 v11, v10, v10 :: v_dual_lshlrev_b32 v10, 2, v4
	s_delay_alu instid0(VALU_DEP_1) | instskip(SKIP_4) | instid1(VALU_DEP_1)
	v_max_num_f32_e32 v1, v1, v11
	v_mov_b32_e32 v11, 0
	ds_bpermute_b32 v4, v10, v1
	s_wait_dscnt 0x0
	v_max_num_f32_e32 v4, v4, v4
	v_max_num_f32_e32 v1, v1, v4
	v_lshl_add_u32 v4, v0, 2, 0xa0
	ds_bpermute_b32 v1, v11, v1
	s_and_saveexec_b32 s19, s1
	s_cbranch_execz .LBB128_29
; %bb.26:
	v_lshl_add_u32 v12, v0, 2, 0xa0
	v_mov_b32_e32 v11, 0
	v_mov_b32_e32 v13, v0
	s_mov_b32 s36, 0
.LBB128_27:                             ; =>This Inner Loop Header: Depth=1
	ds_load_b32 v14, v12
	v_add_nc_u32_e32 v13, 0x80, v13
	s_delay_alu instid0(VALU_DEP_1) | instskip(SKIP_4) | instid1(VALU_DEP_1)
	v_cmp_le_i32_e64 s4, s5, v13
	s_wait_alu 0xfffe
	s_or_b32 s36, s4, s36
	s_wait_dscnt 0x0
	v_sub_f32_e32 v14, v14, v1
	v_mul_f32_e32 v14, 0x3fb8aa3b, v14
	s_delay_alu instid0(VALU_DEP_1)
	v_exp_f32_e32 v14, v14
	ds_store_b32 v12, v14
	v_dual_add_f32 v11, v11, v14 :: v_dual_add_nc_u32 v12, 0x200, v12
	s_wait_alu 0xfffe
	s_and_not1_b32 exec_lo, exec_lo, s36
	s_cbranch_execnz .LBB128_27
; %bb.28:
	s_or_b32 exec_lo, exec_lo, s36
.LBB128_29:
	s_delay_alu instid0(SALU_CYCLE_1)
	s_or_b32 exec_lo, exec_lo, s19
	ds_bpermute_b32 v2, v2, v11
	s_wait_dscnt 0x0
	v_add_f32_e32 v2, v11, v2
	ds_bpermute_b32 v5, v5, v2
	s_wait_dscnt 0x0
	v_add_f32_e32 v2, v2, v5
	;; [unrolled: 3-line block ×5, first 2 shown]
	s_and_saveexec_b32 s4, vcc_lo
; %bb.30:
	ds_store_b32 v6, v2 offset:144
; %bb.31:
	s_wait_alu 0xfffe
	s_or_b32 exec_lo, exec_lo, s4
	s_wait_loadcnt_dscnt 0x0
	s_barrier_signal -1
	s_barrier_wait -1
	global_inv scope:SCOPE_SE
	s_and_saveexec_b32 s4, s0
; %bb.32:
	ds_load_b32 v2, v7 offset:144
; %bb.33:
	s_wait_alu 0xfffe
	s_or_b32 exec_lo, exec_lo, s4
	s_wait_dscnt 0x0
	ds_bpermute_b32 v5, v9, v2
	s_wait_dscnt 0x0
	v_add_f32_e32 v2, v2, v5
	ds_bpermute_b32 v5, v10, v2
	s_wait_dscnt 0x0
	v_dual_add_f32 v2, v2, v5 :: v_dual_mov_b32 v5, 0
	ds_bpermute_b32 v2, v5, v2
	s_and_saveexec_b32 s0, s1
	s_cbranch_execz .LBB128_36
; %bb.34:
	s_wait_dscnt 0x0
	v_add_f32_e32 v5, 0x358637bd, v2
	s_mov_b32 s1, 0
	s_delay_alu instid0(VALU_DEP_1) | instskip(SKIP_1) | instid1(VALU_DEP_2)
	v_div_scale_f32 v6, null, v5, v5, 1.0
	v_div_scale_f32 v9, vcc_lo, 1.0, v5, 1.0
	v_rcp_f32_e32 v7, v6
	s_delay_alu instid0(TRANS32_DEP_1) | instskip(NEXT) | instid1(VALU_DEP_1)
	v_fma_f32 v8, -v6, v7, 1.0
	v_fmac_f32_e32 v7, v8, v7
	s_delay_alu instid0(VALU_DEP_1) | instskip(NEXT) | instid1(VALU_DEP_1)
	v_mul_f32_e32 v8, v9, v7
	v_fma_f32 v10, -v6, v8, v9
	s_delay_alu instid0(VALU_DEP_1) | instskip(NEXT) | instid1(VALU_DEP_1)
	v_fmac_f32_e32 v8, v10, v7
	v_fma_f32 v6, -v6, v8, v9
	s_wait_alu 0xfffd
	s_delay_alu instid0(VALU_DEP_1) | instskip(NEXT) | instid1(VALU_DEP_1)
	v_div_fmas_f32 v6, v6, v7, v8
	v_div_fixup_f32 v5, v6, v5, 1.0
	v_mov_b32_e32 v6, v0
.LBB128_35:                             ; =>This Inner Loop Header: Depth=1
	ds_load_b32 v7, v4
	s_wait_dscnt 0x0
	v_dual_mul_f32 v7, v5, v7 :: v_dual_add_nc_u32 v6, 0x80, v6
	s_delay_alu instid0(VALU_DEP_1)
	v_cmp_le_i32_e32 vcc_lo, s5, v6
	ds_store_b32 v4, v7
	v_add_nc_u32_e32 v4, 0x200, v4
	s_wait_alu 0xfffe
	s_or_b32 s1, vcc_lo, s1
	s_wait_alu 0xfffe
	s_and_not1_b32 exec_lo, exec_lo, s1
	s_cbranch_execnz .LBB128_35
.LBB128_36:
	s_wait_alu 0xfffe
	s_or_b32 exec_lo, exec_lo, s0
	s_mul_i32 s0, s8, s34
	s_wait_loadcnt_dscnt 0x0
	s_wait_alu 0xfffe
	s_mul_i32 s4, s0, s35
	s_mov_b32 s0, exec_lo
	s_barrier_signal -1
	s_barrier_wait -1
	global_inv scope:SCOPE_SE
	v_cmpx_eq_u32_e32 0, v0
	s_cbranch_execz .LBB128_38
; %bb.37:
	s_wait_alu 0xfffe
	s_ashr_i32 s5, s4, 31
	s_mul_i32 s34, s8, ttmp9
	s_lshl_b32 s1, s33, 2
	s_wait_alu 0xfffe
	s_lshl_b64 s[40:41], s[4:5], 2
	s_ashr_i32 s35, s34, 31
	v_mov_b32_e32 v4, s1
	s_wait_kmcnt 0x0
	s_add_nc_u64 s[14:15], s[14:15], s[40:41]
	s_lshl_b64 s[34:35], s[34:35], 2
	s_add_nc_u64 s[12:13], s[12:13], s[40:41]
	s_wait_alu 0xfffe
	s_add_nc_u64 s[14:15], s[14:15], s[34:35]
	s_add_nc_u64 s[12:13], s[12:13], s[34:35]
	s_clause 0x1
	global_store_b32 v4, v1, s[14:15]
	global_store_b32 v4, v2, s[12:13]
.LBB128_38:
	s_wait_alu 0xfffe
	s_or_b32 exec_lo, exec_lo, s0
	v_dual_mov_b32 v24, 0 :: v_dual_mov_b32 v23, 0
	s_and_saveexec_b32 s1, s3
	s_cbranch_execz .LBB128_48
; %bb.39:
	s_abs_i32 s3, s10
	s_ashr_i32 s19, s18, 31
	s_wait_alu 0xfffe
	s_cvt_f32_u32 s0, s3
	s_wait_kmcnt 0x0
	s_lshl_b64 s[12:13], s[26:27], 2
	v_dual_mov_b32 v23, 0 :: v_dual_lshlrev_b32 v2, 4, v22
	s_wait_alu 0xfffe
	v_rcp_iflag_f32_e32 v1, s0
	s_lshl_b64 s[14:15], s[18:19], 1
	s_add_nc_u64 s[12:13], s[24:25], s[12:13]
	s_wait_alu 0xfffe
	s_add_nc_u64 s[14:15], s[28:29], s[14:15]
	v_add_co_u32 v17, s12, s12, v3
	s_sub_co_i32 s5, s38, s9
	s_mov_b32 s9, s17
	s_sub_co_i32 s17, 0, s3
	v_add_co_ci_u32_e64 v18, null, s13, 0, s12
	v_readfirstlane_b32 s0, v1
	s_wait_alu 0xfffe
	v_add_co_u32 v25, s12, s14, v2
	s_wait_alu 0xf1ff
	v_add_co_ci_u32_e64 v26, null, s15, 0, s12
	s_mul_f32 s0, s0, 0x4f7ffffe
	v_lshl_add_u32 v27, v19, 5, 0xa0
	v_mov_b32_e32 v24, 0
	s_add_co_i32 s37, s37, -1
	s_wait_alu 0xfffe
	s_cvt_u32_f32 s0, s0
	s_mov_b32 s10, 0
	s_mov_b32 s12, s30
	s_wait_alu 0xfffe
	s_mul_i32 s17, s17, s0
	s_wait_alu 0xfffe
	s_mul_hi_u32 s13, s0, s17
	s_wait_alu 0xfffe
	s_add_co_i32 s13, s0, s13
	s_branch .LBB128_42
.LBB128_40:                             ;   in Loop: Header=BB128_42 Depth=1
	s_wait_alu 0xfffe
	s_or_b32 exec_lo, exec_lo, s0
	s_wait_dscnt 0x1
	v_bfe_u32 v28, v13, 16, 1
	v_or_b32_e32 v29, 0x400000, v13
	v_bfe_u32 v30, v14, 16, 1
	v_cmp_u_f32_e32 vcc_lo, v13, v13
	v_bfe_u32 v31, v15, 16, 1
	v_add3_u32 v28, v28, v13, 0x7fff
	v_or_b32_e32 v32, 0x400000, v14
	v_add3_u32 v30, v30, v14, 0x7fff
	v_or_b32_e32 v33, 0x400000, v15
	v_add3_u32 v31, v31, v15, 0x7fff
	s_wait_alu 0xfffd
	v_cndmask_b32_e32 v13, v28, v29, vcc_lo
	v_cmp_u_f32_e32 vcc_lo, v14, v14
	v_bfe_u32 v28, v16, 16, 1
	s_wait_dscnt 0x0
	v_bfe_u32 v29, v9, 16, 1
	s_wait_alu 0xfffd
	v_cndmask_b32_e32 v14, v30, v32, vcc_lo
	v_cmp_u_f32_e32 vcc_lo, v15, v15
	v_add3_u32 v28, v28, v16, 0x7fff
	v_or_b32_e32 v30, 0x400000, v16
	v_add3_u32 v29, v29, v9, 0x7fff
	v_bfe_u32 v32, v10, 16, 1
	s_wait_alu 0xfffd
	v_cndmask_b32_e32 v15, v31, v33, vcc_lo
	v_cmp_u_f32_e32 vcc_lo, v16, v16
	v_or_b32_e32 v31, 0x400000, v9
	v_and_b32_e32 v14, 0xffff0000, v14
	s_wait_alu 0xfffd
	v_cndmask_b32_e32 v16, v28, v30, vcc_lo
	v_cmp_u_f32_e32 vcc_lo, v9, v9
	v_add3_u32 v28, v32, v10, 0x7fff
	v_bfe_u32 v30, v11, 16, 1
	s_wait_loadcnt 0x1
	v_lshlrev_b32_e32 v32, 16, v6
	s_wait_alu 0xfffd
	v_dual_cndmask_b32 v9, v29, v31 :: v_dual_and_b32 v6, 0xffff0000, v6
	v_or_b32_e32 v29, 0x400000, v10
	v_cmp_u_f32_e32 vcc_lo, v10, v10
	s_wait_alu 0xfffd
	s_delay_alu instid0(VALU_DEP_2)
	v_cndmask_b32_e32 v10, v28, v29, vcc_lo
	v_add3_u32 v28, v30, v11, 0x7fff
	v_or_b32_e32 v29, 0x400000, v11
	v_bfe_u32 v30, v12, 16, 1
	v_cmp_u_f32_e32 vcc_lo, v11, v11
	s_wait_alu 0xfffd
	s_delay_alu instid0(VALU_DEP_3) | instskip(NEXT) | instid1(VALU_DEP_3)
	v_dual_cndmask_b32 v11, v28, v29 :: v_dual_and_b32 v10, 0xffff0000, v10
	v_add3_u32 v28, v30, v12, 0x7fff
	v_or_b32_e32 v29, 0x400000, v12
	v_cmp_u_f32_e32 vcc_lo, v12, v12
	v_and_b32_e32 v15, 0xffff0000, v15
	s_wait_alu 0xfffd
	s_delay_alu instid0(VALU_DEP_3) | instskip(NEXT) | instid1(VALU_DEP_2)
	v_dual_cndmask_b32 v12, v28, v29 :: v_dual_and_b32 v11, 0xffff0000, v11
	v_dual_mul_f32 v32, v15, v32 :: v_dual_and_b32 v13, 0xffff0000, v13
	s_delay_alu instid0(VALU_DEP_2)
	v_and_b32_e32 v12, 0xffff0000, v12
	v_and_b32_e32 v9, 0xffff0000, v9
	;; [unrolled: 1-line block ×3, first 2 shown]
	v_lshlrev_b32_e32 v31, 16, v5
	v_and_b32_e32 v5, 0xffff0000, v5
	v_or_b32_e32 v34, 0x400000, v32
	s_delay_alu instid0(VALU_DEP_3) | instskip(NEXT) | instid1(VALU_DEP_3)
	v_dual_mul_f32 v6, v16, v6 :: v_dual_mul_f32 v31, v13, v31
	v_mul_f32_e32 v5, v14, v5
	s_delay_alu instid0(VALU_DEP_2) | instskip(NEXT) | instid1(VALU_DEP_3)
	v_bfe_u32 v35, v6, 16, 1
	v_bfe_u32 v30, v31, 16, 1
	v_or_b32_e32 v29, 0x400000, v31
	v_cmp_u_f32_e32 vcc_lo, v31, v31
	v_or_b32_e32 v33, 0x400000, v5
	s_delay_alu instid0(VALU_DEP_4) | instskip(SKIP_2) | instid1(VALU_DEP_2)
	v_add3_u32 v28, v30, v31, 0x7fff
	v_bfe_u32 v30, v5, 16, 1
	s_wait_alu 0xfffd
	v_dual_cndmask_b32 v28, v28, v29 :: v_dual_lshlrev_b32 v31, 16, v7
	s_delay_alu instid0(VALU_DEP_2) | instskip(SKIP_2) | instid1(VALU_DEP_4)
	v_add3_u32 v29, v30, v5, 0x7fff
	v_bfe_u32 v30, v32, 16, 1
	v_cmp_u_f32_e32 vcc_lo, v5, v5
	v_and_b32_e32 v28, 0xffff0000, v28
	s_delay_alu instid0(VALU_DEP_3)
	v_add3_u32 v30, v30, v32, 0x7fff
	s_wait_alu 0xfffd
	v_cndmask_b32_e32 v5, v29, v33, vcc_lo
	v_cmp_u_f32_e32 vcc_lo, v32, v32
	v_lshlrev_b32_e32 v33, 16, v8
	s_wait_alu 0xfffd
	v_dual_cndmask_b32 v29, v30, v34 :: v_dual_and_b32 v8, 0xffff0000, v8
	v_add3_u32 v30, v35, v6, 0x7fff
	v_or_b32_e32 v34, 0x400000, v6
	v_cmp_u_f32_e32 vcc_lo, v6, v6
	s_delay_alu instid0(VALU_DEP_4) | instskip(SKIP_1) | instid1(VALU_DEP_3)
	v_dual_mul_f32 v8, v12, v8 :: v_dual_mul_f32 v31, v9, v31
	s_wait_alu 0xfffd
	v_dual_cndmask_b32 v6, v30, v34 :: v_dual_and_b32 v29, 0xffff0000, v29
	v_mul_f32_e32 v33, v11, v33
	s_delay_alu instid0(VALU_DEP_3)
	v_bfe_u32 v32, v31, 16, 1
	v_or_b32_e32 v35, 0x400000, v31
	v_cmp_u_f32_e32 vcc_lo, v31, v31
	v_and_b32_e32 v6, 0xffff0000, v6
	v_and_b32_e32 v7, 0xffff0000, v7
	v_add3_u32 v32, v32, v31, 0x7fff
	s_delay_alu instid0(VALU_DEP_2) | instskip(SKIP_1) | instid1(VALU_DEP_2)
	v_dual_add_f32 v6, v29, v6 :: v_dual_mul_f32 v7, v10, v7
	s_wait_alu 0xfffd
	v_cndmask_b32_e32 v31, v32, v35, vcc_lo
	v_bfe_u32 v32, v33, 16, 1
	v_or_b32_e32 v35, 0x400000, v33
	v_bfe_u32 v30, v7, 16, 1
	v_or_b32_e32 v34, 0x400000, v7
	v_cmp_u_f32_e32 vcc_lo, v7, v7
	v_add3_u32 v32, v32, v33, 0x7fff
	s_delay_alu instid0(VALU_DEP_4) | instskip(SKIP_1) | instid1(VALU_DEP_1)
	v_add3_u32 v30, v30, v7, 0x7fff
	s_wait_alu 0xfffd
	v_cndmask_b32_e32 v7, v30, v34, vcc_lo
	v_cmp_u_f32_e32 vcc_lo, v33, v33
	s_wait_loadcnt 0x0
	v_lshlrev_b32_e32 v34, 16, v1
	v_and_b32_e32 v1, 0xffff0000, v1
	v_or_b32_e32 v33, 0x400000, v8
	s_wait_alu 0xfffd
	v_cndmask_b32_e32 v30, v32, v35, vcc_lo
	v_bfe_u32 v32, v8, 16, 1
	v_cmp_u_f32_e32 vcc_lo, v8, v8
	v_dual_mul_f32 v1, v14, v1 :: v_dual_lshlrev_b32 v14, 16, v2
	v_and_b32_e32 v5, 0xffff0000, v5
	s_delay_alu instid0(VALU_DEP_4) | instskip(SKIP_1) | instid1(VALU_DEP_4)
	v_add3_u32 v32, v32, v8, 0x7fff
	v_and_b32_e32 v2, 0xffff0000, v2
	v_dual_mul_f32 v14, v15, v14 :: v_dual_and_b32 v7, 0xffff0000, v7
	s_delay_alu instid0(VALU_DEP_4) | instskip(SKIP_3) | instid1(VALU_DEP_3)
	v_dual_add_f32 v5, v28, v5 :: v_dual_and_b32 v28, 0xffff0000, v31
	s_wait_alu 0xfffd
	v_dual_cndmask_b32 v8, v32, v33 :: v_dual_mul_f32 v13, v13, v34
	v_bfe_u32 v29, v1, 16, 1
	v_dual_add_f32 v5, v6, v5 :: v_dual_mul_f32 v2, v16, v2
	s_delay_alu instid0(VALU_DEP_3) | instskip(NEXT) | instid1(VALU_DEP_4)
	v_and_b32_e32 v8, 0xffff0000, v8
	v_bfe_u32 v6, v13, 16, 1
	v_add_f32_e32 v7, v28, v7
	v_or_b32_e32 v28, 0x400000, v13
	v_cmp_u_f32_e32 vcc_lo, v13, v13
	v_or_b32_e32 v15, 0x400000, v1
	v_add3_u32 v6, v6, v13, 0x7fff
	v_add3_u32 v13, v29, v1, 0x7fff
	v_lshlrev_b32_e32 v16, 16, v3
	s_wait_alu 0xfffd
	s_delay_alu instid0(VALU_DEP_3) | instskip(SKIP_3) | instid1(VALU_DEP_3)
	v_dual_cndmask_b32 v6, v6, v28 :: v_dual_and_b32 v3, 0xffff0000, v3
	v_bfe_u32 v28, v14, 16, 1
	v_cmp_u_f32_e32 vcc_lo, v1, v1
	s_wait_alu 0xfffd
	v_dual_cndmask_b32 v1, v13, v15 :: v_dual_and_b32 v6, 0xffff0000, v6
	s_delay_alu instid0(VALU_DEP_3) | instskip(SKIP_3) | instid1(VALU_DEP_2)
	v_add3_u32 v13, v28, v14, 0x7fff
	v_or_b32_e32 v15, 0x400000, v14
	v_bfe_u32 v28, v2, 16, 1
	v_cmp_u_f32_e32 vcc_lo, v14, v14
	v_add3_u32 v14, v28, v2, 0x7fff
	s_wait_alu 0xfffd
	v_cndmask_b32_e32 v13, v13, v15, vcc_lo
	v_or_b32_e32 v15, 0x400000, v2
	v_cmp_u_f32_e32 vcc_lo, v2, v2
	s_wait_alu 0xfffd
	s_delay_alu instid0(VALU_DEP_2) | instskip(SKIP_3) | instid1(VALU_DEP_4)
	v_cndmask_b32_e32 v2, v14, v15, vcc_lo
	v_dual_mul_f32 v3, v10, v3 :: v_dual_lshlrev_b32 v10, 16, v4
	v_mul_f32_e32 v9, v9, v16
	v_and_b32_e32 v4, 0xffff0000, v4
	v_and_b32_e32 v2, 0xffff0000, v2
	s_delay_alu instid0(VALU_DEP_4)
	v_bfe_u32 v14, v3, 16, 1
	v_mul_f32_e32 v10, v11, v10
	v_bfe_u32 v16, v9, 16, 1
	v_mul_f32_e32 v4, v12, v4
	v_or_b32_e32 v11, 0x400000, v9
	v_cmp_u_f32_e32 vcc_lo, v9, v9
	v_add3_u32 v12, v14, v3, 0x7fff
	v_add3_u32 v15, v16, v9, 0x7fff
	v_or_b32_e32 v14, 0x400000, v3
	v_bfe_u32 v28, v4, 16, 1
	v_bfe_u32 v16, v10, 16, 1
	v_add_f32_e32 v5, v7, v5
	s_wait_alu 0xfffd
	v_cndmask_b32_e32 v9, v15, v11, vcc_lo
	v_cmp_u_f32_e32 vcc_lo, v3, v3
	v_or_b32_e32 v15, 0x400000, v10
	v_add3_u32 v11, v16, v10, 0x7fff
	s_wait_alu 0xfffd
	v_cndmask_b32_e32 v3, v12, v14, vcc_lo
	v_add3_u32 v12, v28, v4, 0x7fff
	v_or_b32_e32 v14, 0x400000, v4
	v_cmp_u_f32_e32 vcc_lo, v4, v4
	s_delay_alu instid0(VALU_DEP_4)
	v_and_b32_e32 v3, 0xffff0000, v3
	v_and_b32_e32 v13, 0xffff0000, v13
	s_wait_alu 0xfffd
	v_dual_cndmask_b32 v4, v12, v14 :: v_dual_and_b32 v1, 0xffff0000, v1
	v_cmp_u_f32_e32 vcc_lo, v10, v10
	v_and_b32_e32 v10, 0xffff0000, v30
	s_delay_alu instid0(VALU_DEP_3) | instskip(SKIP_2) | instid1(VALU_DEP_2)
	v_dual_add_f32 v2, v13, v2 :: v_dual_add_f32 v1, v6, v1
	s_wait_alu 0xfffd
	v_dual_cndmask_b32 v9, v11, v15 :: v_dual_and_b32 v6, 0xffff0000, v9
	v_add_f32_e32 v1, v2, v1
	s_delay_alu instid0(VALU_DEP_2) | instskip(NEXT) | instid1(VALU_DEP_3)
	v_dual_add_f32 v2, v6, v3 :: v_dual_and_b32 v3, 0xffff0000, v4
	v_and_b32_e32 v4, 0xffff0000, v9
	v_add_f32_e32 v6, v10, v8
	s_delay_alu instid0(VALU_DEP_2) | instskip(NEXT) | instid1(VALU_DEP_2)
	v_dual_add_f32 v1, v2, v1 :: v_dual_add_f32 v2, v4, v3
	v_add_f32_e32 v3, v6, v5
	s_delay_alu instid0(VALU_DEP_2) | instskip(NEXT) | instid1(VALU_DEP_1)
	v_add_f32_e32 v1, v2, v1
	v_dual_add_f32 v23, v23, v3 :: v_dual_add_f32 v24, v24, v1
.LBB128_41:                             ;   in Loop: Header=BB128_42 Depth=1
	s_wait_alu 0xfffe
	s_or_b32 exec_lo, exec_lo, s14
	v_add_nc_u32_e32 v21, 4, v21
	v_add_co_u32 v17, s0, v17, 16
	s_wait_alu 0xf1ff
	v_add_co_ci_u32_e64 v18, null, 0, v18, s0
	s_delay_alu instid0(VALU_DEP_3)
	v_cmp_le_i32_e32 vcc_lo, s31, v21
	v_add_nc_u32_e32 v20, 32, v20
	v_add_nc_u32_e32 v27, 0x80, v27
	s_or_b32 s10, vcc_lo, s10
	s_wait_alu 0xfffe
	s_and_not1_b32 exec_lo, exec_lo, s10
	s_cbranch_execz .LBB128_47
.LBB128_42:                             ; =>This Inner Loop Header: Depth=1
	v_sub_nc_u32_e32 v1, 0, v20
	s_delay_alu instid0(VALU_DEP_1) | instskip(NEXT) | instid1(VALU_DEP_1)
	v_max_i32_e32 v1, v20, v1
	v_mul_hi_u32 v2, v1, s22
	s_delay_alu instid0(VALU_DEP_1) | instskip(NEXT) | instid1(VALU_DEP_1)
	v_mul_lo_u32 v3, v2, s16
	v_sub_nc_u32_e32 v1, v1, v3
	v_add_nc_u32_e32 v3, 1, v2
	s_delay_alu instid0(VALU_DEP_2) | instskip(SKIP_2) | instid1(VALU_DEP_2)
	v_subrev_nc_u32_e32 v4, s16, v1
	v_cmp_le_u32_e32 vcc_lo, s16, v1
	s_wait_alu 0xfffd
	v_dual_cndmask_b32 v2, v2, v3 :: v_dual_cndmask_b32 v1, v1, v4
	v_ashrrev_i32_e32 v3, 31, v20
	s_delay_alu instid0(VALU_DEP_2) | instskip(NEXT) | instid1(VALU_DEP_3)
	v_add_nc_u32_e32 v4, 1, v2
	v_cmp_le_u32_e32 vcc_lo, s16, v1
	s_delay_alu instid0(VALU_DEP_3) | instskip(SKIP_1) | instid1(VALU_DEP_3)
	v_xor_b32_e32 v3, s23, v3
	s_wait_alu 0xfffd
	v_cndmask_b32_e32 v1, v2, v4, vcc_lo
	s_delay_alu instid0(VALU_DEP_1) | instskip(NEXT) | instid1(VALU_DEP_1)
	v_xor_b32_e32 v1, v1, v3
	v_sub_nc_u32_e32 v1, v1, v3
	s_delay_alu instid0(VALU_DEP_1) | instskip(SKIP_1) | instid1(VALU_DEP_2)
	v_add_nc_u32_e32 v2, s21, v1
	v_cmp_lt_i32_e64 s0, s5, v1
	v_sub_nc_u32_e32 v3, 0, v2
	s_delay_alu instid0(VALU_DEP_1) | instskip(SKIP_1) | instid1(VALU_DEP_1)
	v_max_i32_e32 v3, v2, v3
	s_wait_alu 0xfffe
	v_mul_hi_u32 v4, v3, s13
	s_delay_alu instid0(VALU_DEP_1) | instskip(NEXT) | instid1(VALU_DEP_1)
	v_mul_lo_u32 v4, v4, s3
	v_sub_nc_u32_e32 v3, v3, v4
	s_delay_alu instid0(VALU_DEP_1) | instskip(SKIP_2) | instid1(VALU_DEP_2)
	v_subrev_nc_u32_e32 v4, s3, v3
	v_cmp_le_u32_e32 vcc_lo, s3, v3
	s_wait_alu 0xfffd
	v_cndmask_b32_e32 v3, v3, v4, vcc_lo
	v_ashrrev_i32_e32 v2, 31, v2
	s_delay_alu instid0(VALU_DEP_2) | instskip(SKIP_2) | instid1(VALU_DEP_2)
	v_subrev_nc_u32_e32 v4, s3, v3
	v_cmp_le_u32_e32 vcc_lo, s3, v3
	s_wait_alu 0xfffd
	v_cndmask_b32_e32 v3, v3, v4, vcc_lo
	s_delay_alu instid0(VALU_DEP_1) | instskip(NEXT) | instid1(VALU_DEP_1)
	v_xor_b32_e32 v3, v3, v2
	v_sub_nc_u32_e32 v2, v3, v2
	s_delay_alu instid0(VALU_DEP_1)
	v_cmp_eq_u32_e32 vcc_lo, 0, v2
	s_or_b32 s0, vcc_lo, s0
	s_wait_alu 0xfffe
	s_and_saveexec_b32 s14, s0
	s_cbranch_execz .LBB128_41
; %bb.43:                               ;   in Loop: Header=BB128_42 Depth=1
	global_load_b32 v1, v[17:18], off
	v_add_nc_u32_e32 v33, 1, v20
	v_or_b32_e32 v32, 3, v20
	v_or_b32_e32 v34, 2, v20
	;; [unrolled: 1-line block ×6, first 2 shown]
	s_wait_loadcnt 0x0
	v_mad_co_i64_i32 v[1:2], null, v1, s9, 0
	s_delay_alu instid0(VALU_DEP_1) | instskip(NEXT) | instid1(VALU_DEP_1)
	v_lshlrev_b64_e32 v[1:2], 1, v[1:2]
	v_add_co_u32 v1, vcc_lo, v25, v1
	s_wait_alu 0xfffd
	s_delay_alu instid0(VALU_DEP_2)
	v_add_co_ci_u32_e64 v2, null, v26, v2, vcc_lo
	v_cmp_eq_u32_e32 vcc_lo, s37, v21
	global_load_b128 v[5:8], v[1:2], off
	ds_load_2addr_b64 v[13:16], v27 offset1:1
	ds_load_2addr_b64 v[9:12], v27 offset0:2 offset1:3
	s_and_saveexec_b32 s15, vcc_lo
	s_cbranch_execz .LBB128_45
; %bb.44:                               ;   in Loop: Header=BB128_42 Depth=1
	v_cmp_gt_i32_e64 s0, s30, v20
	s_wait_loadcnt 0x0
	v_lshrrev_b32_e32 v3, 16, v5
	v_lshrrev_b32_e32 v36, 16, v8
	s_wait_alu 0xf1ff
	v_cndmask_b32_e64 v4, 0, v5, s0
	v_cmp_gt_i32_e64 s0, s12, v33
	v_lshrrev_b32_e32 v5, 16, v6
	s_wait_alu 0xf1ff
	s_delay_alu instid0(VALU_DEP_2) | instskip(SKIP_2) | instid1(VALU_DEP_1)
	v_cndmask_b32_e64 v3, 0, v3, s0
	v_cmp_gt_i32_e64 s0, s30, v34
	s_wait_alu 0xf1ff
	v_cndmask_b32_e64 v6, 0, v6, s0
	v_cmp_gt_i32_e64 s0, s12, v32
	s_wait_alu 0xf1ff
	s_delay_alu instid0(VALU_DEP_1) | instskip(SKIP_2) | instid1(VALU_DEP_3)
	v_cndmask_b32_e64 v35, 0, v5, s0
	v_cmp_gt_i32_e64 s0, s30, v31
	v_lshrrev_b32_e32 v5, 16, v7
	v_perm_b32 v6, v35, v6, 0x5040100
	s_wait_alu 0xf1ff
	s_delay_alu instid0(VALU_DEP_3) | instskip(SKIP_2) | instid1(VALU_DEP_1)
	v_cndmask_b32_e64 v7, 0, v7, s0
	v_cmp_gt_i32_e64 s0, s12, v29
	s_wait_alu 0xf1ff
	v_cndmask_b32_e64 v37, 0, v5, s0
	v_cmp_gt_i32_e64 s0, s30, v30
	v_perm_b32 v5, v3, v4, 0x5040100
	s_delay_alu instid0(VALU_DEP_3) | instskip(SKIP_1) | instid1(VALU_DEP_3)
	v_perm_b32 v7, v37, v7, 0x5040100
	s_wait_alu 0xf1ff
	v_cndmask_b32_e64 v8, 0, v8, s0
	v_cmp_gt_i32_e64 s0, s12, v28
	s_wait_alu 0xf1ff
	s_delay_alu instid0(VALU_DEP_1) | instskip(NEXT) | instid1(VALU_DEP_1)
	v_cndmask_b32_e64 v36, 0, v36, s0
	v_perm_b32 v8, v36, v8, 0x5040100
.LBB128_45:                             ;   in Loop: Header=BB128_42 Depth=1
	s_wait_alu 0xfffe
	s_or_b32 exec_lo, exec_lo, s15
	global_load_b128 v[1:4], v[1:2], off offset:512
	s_and_saveexec_b32 s0, vcc_lo
	s_cbranch_execz .LBB128_40
; %bb.46:                               ;   in Loop: Header=BB128_42 Depth=1
	v_cmp_gt_i32_e32 vcc_lo, s30, v20
	s_wait_loadcnt 0x0
	v_lshrrev_b32_e32 v35, 16, v1
	v_lshrrev_b32_e32 v36, 16, v2
	s_wait_alu 0xfffd
	v_cndmask_b32_e32 v1, 0, v1, vcc_lo
	v_cmp_gt_i32_e32 vcc_lo, s12, v33
	s_wait_alu 0xfffd
	v_cndmask_b32_e32 v33, 0, v35, vcc_lo
	v_cmp_gt_i32_e32 vcc_lo, s30, v34
	v_lshrrev_b32_e32 v34, 16, v3
	s_wait_alu 0xfffd
	v_cndmask_b32_e32 v2, 0, v2, vcc_lo
	v_cmp_gt_i32_e32 vcc_lo, s12, v32
	s_wait_alu 0xfffd
	v_cndmask_b32_e32 v32, 0, v36, vcc_lo
	v_cmp_gt_i32_e32 vcc_lo, s30, v31
	v_lshrrev_b32_e32 v31, 16, v4
	v_perm_b32 v1, v33, v1, 0x5040100
	s_delay_alu instid0(VALU_DEP_4)
	v_perm_b32 v2, v32, v2, 0x5040100
	s_wait_alu 0xfffd
	v_cndmask_b32_e32 v3, 0, v3, vcc_lo
	v_cmp_gt_i32_e32 vcc_lo, s12, v29
	s_wait_alu 0xfffd
	v_cndmask_b32_e32 v29, 0, v34, vcc_lo
	v_cmp_gt_i32_e32 vcc_lo, s30, v30
	;; [unrolled: 3-line block ×3, first 2 shown]
	s_wait_alu 0xfffd
	v_cndmask_b32_e32 v28, 0, v31, vcc_lo
	v_perm_b32 v3, v29, v3, 0x5040100
	s_delay_alu instid0(VALU_DEP_2)
	v_perm_b32 v4, v28, v4, 0x5040100
	s_branch .LBB128_40
.LBB128_47:
	s_or_b32 exec_lo, exec_lo, s10
.LBB128_48:
	s_wait_alu 0xfffe
	s_or_b32 exec_lo, exec_lo, s1
	v_lshl_add_u32 v2, v22, 2, 0xa0
	v_and_b32_e32 v3, 0x3c0, v0
	s_mov_b32 s0, exec_lo
	s_wait_loadcnt 0x0
	s_wait_storecnt 0x0
	s_barrier_signal -1
	v_lshl_add_u32 v1, v19, 8, v2
	s_barrier_wait -1
	global_inv scope:SCOPE_SE
	v_cmpx_eq_u32_e32 64, v3
	s_cbranch_execz .LBB128_50
; %bb.49:
	v_add_nc_u32_e32 v3, 0xfffffe00, v1
	v_add_nc_u32_e32 v4, 0xfffffe80, v1
	ds_store_b32 v3, v23
	ds_store_b32 v4, v24
.LBB128_50:
	s_wait_alu 0xfffe
	s_or_b32 exec_lo, exec_lo, s0
	s_delay_alu instid0(SALU_CYCLE_1)
	s_mov_b32 s0, exec_lo
	s_wait_loadcnt_dscnt 0x0
	s_barrier_signal -1
	s_barrier_wait -1
	global_inv scope:SCOPE_SE
	v_cmpx_gt_u32_e32 64, v0
	s_cbranch_execz .LBB128_52
; %bb.51:
	ds_load_2addr_b32 v[3:4], v1 offset1:32
	s_wait_dscnt 0x0
	v_dual_add_f32 v23, v23, v3 :: v_dual_add_f32 v24, v24, v4
.LBB128_52:
	s_wait_alu 0xfffe
	s_or_b32 exec_lo, exec_lo, s0
	v_and_b32_e32 v3, 0x3e0, v0
	s_mov_b32 s0, exec_lo
	s_wait_loadcnt 0x0
	s_barrier_signal -1
	s_barrier_wait -1
	global_inv scope:SCOPE_SE
	v_cmpx_eq_u32_e32 32, v3
; %bb.53:
	ds_store_2addr_b32 v2, v23, v24 offset1:32
; %bb.54:
	s_wait_alu 0xfffe
	s_or_b32 exec_lo, exec_lo, s0
	s_wait_loadcnt_dscnt 0x0
	s_barrier_signal -1
	s_barrier_wait -1
	global_inv scope:SCOPE_SE
	s_and_saveexec_b32 s0, s2
	s_cbranch_execz .LBB128_56
; %bb.55:
	ds_load_2addr_b32 v[1:2], v1 offset1:32
	s_wait_dscnt 0x0
	v_dual_add_f32 v23, v23, v1 :: v_dual_add_f32 v24, v24, v2
.LBB128_56:
	s_wait_alu 0xfffe
	s_or_b32 exec_lo, exec_lo, s0
	s_wait_loadcnt 0x0
	s_barrier_signal -1
	s_barrier_wait -1
	global_inv scope:SCOPE_SE
	s_and_saveexec_b32 s0, s2
	s_cbranch_execz .LBB128_58
; %bb.57:
	v_bfe_u32 v1, v23, 16, 1
	v_bfe_u32 v2, v24, 16, 1
	v_or_b32_e32 v3, 0x400000, v23
	v_cmp_u_f32_e32 vcc_lo, v23, v23
	s_lshl_b32 s0, s4, 6
	v_add3_u32 v1, v1, v23, 0x7fff
	s_mul_i32 s2, s8, s20
	s_wait_alu 0xfffe
	s_ashr_i32 s1, s0, 31
	v_add3_u32 v2, v2, v24, 0x7fff
	v_or_b32_e32 v4, 0x400000, v24
	s_wait_alu 0xfffd
	v_dual_cndmask_b32 v1, v1, v3 :: v_dual_lshlrev_b32 v0, 1, v0
	v_cmp_u_f32_e32 vcc_lo, v24, v24
	s_ashr_i32 s3, s2, 31
	s_wait_alu 0xfffe
	s_lshl_b64 s[0:1], s[0:1], 1
	s_lshl_b64 s[2:3], s[2:3], 1
	s_wait_kmcnt 0x0
	s_wait_alu 0xfffe
	s_add_nc_u64 s[0:1], s[6:7], s[0:1]
	s_wait_alu 0xfffd
	v_cndmask_b32_e32 v2, v2, v4, vcc_lo
	s_wait_alu 0xfffe
	s_add_nc_u64 s[0:1], s[0:1], s[2:3]
	s_lshl_b32 s2, s11, 1
	s_mov_b32 s3, 0
	s_wait_alu 0xfffe
	s_add_nc_u64 s[0:1], s[0:1], s[2:3]
	s_clause 0x1
	global_store_d16_hi_b16 v0, v1, s[0:1]
	global_store_d16_hi_b16 v0, v2, s[0:1] offset:64
.LBB128_58:
	s_endpgm
	.section	.rodata,"a",@progbits
	.p2align	6, 0x0
	.amdhsa_kernel _ZN4vllm25paged_attention_v2_kernelI14__hip_bfloat16S1_Li64ELi8ELi128ELNS_18Fp8KVCacheDataTypeE0ELb1ELi512EEEvPfS3_PT_PKS4_PKT0_SA_ifPKiSC_iPKfiiiSE_SE_iiiii
		.amdhsa_group_segment_fixed_size 160
		.amdhsa_private_segment_fixed_size 0
		.amdhsa_kernarg_size 400
		.amdhsa_user_sgpr_count 2
		.amdhsa_user_sgpr_dispatch_ptr 0
		.amdhsa_user_sgpr_queue_ptr 0
		.amdhsa_user_sgpr_kernarg_segment_ptr 1
		.amdhsa_user_sgpr_dispatch_id 0
		.amdhsa_user_sgpr_private_segment_size 0
		.amdhsa_wavefront_size32 1
		.amdhsa_uses_dynamic_stack 0
		.amdhsa_enable_private_segment 0
		.amdhsa_system_sgpr_workgroup_id_x 1
		.amdhsa_system_sgpr_workgroup_id_y 1
		.amdhsa_system_sgpr_workgroup_id_z 1
		.amdhsa_system_sgpr_workgroup_info 0
		.amdhsa_system_vgpr_workitem_id 0
		.amdhsa_next_free_vgpr 46
		.amdhsa_next_free_sgpr 44
		.amdhsa_reserve_vcc 1
		.amdhsa_float_round_mode_32 0
		.amdhsa_float_round_mode_16_64 0
		.amdhsa_float_denorm_mode_32 3
		.amdhsa_float_denorm_mode_16_64 3
		.amdhsa_fp16_overflow 0
		.amdhsa_workgroup_processor_mode 1
		.amdhsa_memory_ordered 1
		.amdhsa_forward_progress 1
		.amdhsa_inst_pref_size 52
		.amdhsa_round_robin_scheduling 0
		.amdhsa_exception_fp_ieee_invalid_op 0
		.amdhsa_exception_fp_denorm_src 0
		.amdhsa_exception_fp_ieee_div_zero 0
		.amdhsa_exception_fp_ieee_overflow 0
		.amdhsa_exception_fp_ieee_underflow 0
		.amdhsa_exception_fp_ieee_inexact 0
		.amdhsa_exception_int_div_zero 0
	.end_amdhsa_kernel
	.section	.text._ZN4vllm25paged_attention_v2_kernelI14__hip_bfloat16S1_Li64ELi8ELi128ELNS_18Fp8KVCacheDataTypeE0ELb1ELi512EEEvPfS3_PT_PKS4_PKT0_SA_ifPKiSC_iPKfiiiSE_SE_iiiii,"axG",@progbits,_ZN4vllm25paged_attention_v2_kernelI14__hip_bfloat16S1_Li64ELi8ELi128ELNS_18Fp8KVCacheDataTypeE0ELb1ELi512EEEvPfS3_PT_PKS4_PKT0_SA_ifPKiSC_iPKfiiiSE_SE_iiiii,comdat
.Lfunc_end128:
	.size	_ZN4vllm25paged_attention_v2_kernelI14__hip_bfloat16S1_Li64ELi8ELi128ELNS_18Fp8KVCacheDataTypeE0ELb1ELi512EEEvPfS3_PT_PKS4_PKT0_SA_ifPKiSC_iPKfiiiSE_SE_iiiii, .Lfunc_end128-_ZN4vllm25paged_attention_v2_kernelI14__hip_bfloat16S1_Li64ELi8ELi128ELNS_18Fp8KVCacheDataTypeE0ELb1ELi512EEEvPfS3_PT_PKS4_PKT0_SA_ifPKiSC_iPKfiiiSE_SE_iiiii
                                        ; -- End function
	.set _ZN4vllm25paged_attention_v2_kernelI14__hip_bfloat16S1_Li64ELi8ELi128ELNS_18Fp8KVCacheDataTypeE0ELb1ELi512EEEvPfS3_PT_PKS4_PKT0_SA_ifPKiSC_iPKfiiiSE_SE_iiiii.num_vgpr, 46
	.set _ZN4vllm25paged_attention_v2_kernelI14__hip_bfloat16S1_Li64ELi8ELi128ELNS_18Fp8KVCacheDataTypeE0ELb1ELi512EEEvPfS3_PT_PKS4_PKT0_SA_ifPKiSC_iPKfiiiSE_SE_iiiii.num_agpr, 0
	.set _ZN4vllm25paged_attention_v2_kernelI14__hip_bfloat16S1_Li64ELi8ELi128ELNS_18Fp8KVCacheDataTypeE0ELb1ELi512EEEvPfS3_PT_PKS4_PKT0_SA_ifPKiSC_iPKfiiiSE_SE_iiiii.numbered_sgpr, 44
	.set _ZN4vllm25paged_attention_v2_kernelI14__hip_bfloat16S1_Li64ELi8ELi128ELNS_18Fp8KVCacheDataTypeE0ELb1ELi512EEEvPfS3_PT_PKS4_PKT0_SA_ifPKiSC_iPKfiiiSE_SE_iiiii.num_named_barrier, 0
	.set _ZN4vllm25paged_attention_v2_kernelI14__hip_bfloat16S1_Li64ELi8ELi128ELNS_18Fp8KVCacheDataTypeE0ELb1ELi512EEEvPfS3_PT_PKS4_PKT0_SA_ifPKiSC_iPKfiiiSE_SE_iiiii.private_seg_size, 0
	.set _ZN4vllm25paged_attention_v2_kernelI14__hip_bfloat16S1_Li64ELi8ELi128ELNS_18Fp8KVCacheDataTypeE0ELb1ELi512EEEvPfS3_PT_PKS4_PKT0_SA_ifPKiSC_iPKfiiiSE_SE_iiiii.uses_vcc, 1
	.set _ZN4vllm25paged_attention_v2_kernelI14__hip_bfloat16S1_Li64ELi8ELi128ELNS_18Fp8KVCacheDataTypeE0ELb1ELi512EEEvPfS3_PT_PKS4_PKT0_SA_ifPKiSC_iPKfiiiSE_SE_iiiii.uses_flat_scratch, 0
	.set _ZN4vllm25paged_attention_v2_kernelI14__hip_bfloat16S1_Li64ELi8ELi128ELNS_18Fp8KVCacheDataTypeE0ELb1ELi512EEEvPfS3_PT_PKS4_PKT0_SA_ifPKiSC_iPKfiiiSE_SE_iiiii.has_dyn_sized_stack, 0
	.set _ZN4vllm25paged_attention_v2_kernelI14__hip_bfloat16S1_Li64ELi8ELi128ELNS_18Fp8KVCacheDataTypeE0ELb1ELi512EEEvPfS3_PT_PKS4_PKT0_SA_ifPKiSC_iPKfiiiSE_SE_iiiii.has_recursion, 0
	.set _ZN4vllm25paged_attention_v2_kernelI14__hip_bfloat16S1_Li64ELi8ELi128ELNS_18Fp8KVCacheDataTypeE0ELb1ELi512EEEvPfS3_PT_PKS4_PKT0_SA_ifPKiSC_iPKfiiiSE_SE_iiiii.has_indirect_call, 0
	.section	.AMDGPU.csdata,"",@progbits
; Kernel info:
; codeLenInByte = 6540
; TotalNumSgprs: 46
; NumVgprs: 46
; ScratchSize: 0
; MemoryBound: 0
; FloatMode: 240
; IeeeMode: 1
; LDSByteSize: 160 bytes/workgroup (compile time only)
; SGPRBlocks: 0
; VGPRBlocks: 5
; NumSGPRsForWavesPerEU: 46
; NumVGPRsForWavesPerEU: 46
; Occupancy: 16
; WaveLimiterHint : 1
; COMPUTE_PGM_RSRC2:SCRATCH_EN: 0
; COMPUTE_PGM_RSRC2:USER_SGPR: 2
; COMPUTE_PGM_RSRC2:TRAP_HANDLER: 0
; COMPUTE_PGM_RSRC2:TGID_X_EN: 1
; COMPUTE_PGM_RSRC2:TGID_Y_EN: 1
; COMPUTE_PGM_RSRC2:TGID_Z_EN: 1
; COMPUTE_PGM_RSRC2:TIDIG_COMP_CNT: 0
	.section	.text._ZN4vllm32paged_attention_v2_reduce_kernelI14__hip_bfloat16Li64ELi128ELi512EEEvPT_PKfS5_PKS2_PKii,"axG",@progbits,_ZN4vllm32paged_attention_v2_reduce_kernelI14__hip_bfloat16Li64ELi128ELi512EEEvPT_PKfS5_PKS2_PKii,comdat
	.protected	_ZN4vllm32paged_attention_v2_reduce_kernelI14__hip_bfloat16Li64ELi128ELi512EEEvPT_PKfS5_PKS2_PKii ; -- Begin function _ZN4vllm32paged_attention_v2_reduce_kernelI14__hip_bfloat16Li64ELi128ELi512EEEvPT_PKfS5_PKS2_PKii
	.globl	_ZN4vllm32paged_attention_v2_reduce_kernelI14__hip_bfloat16Li64ELi128ELi512EEEvPT_PKfS5_PKS2_PKii
	.p2align	8
	.type	_ZN4vllm32paged_attention_v2_reduce_kernelI14__hip_bfloat16Li64ELi128ELi512EEEvPT_PKfS5_PKS2_PKii,@function
_ZN4vllm32paged_attention_v2_reduce_kernelI14__hip_bfloat16Li64ELi128ELi512EEEvPT_PKfS5_PKS2_PKii: ; @_ZN4vllm32paged_attention_v2_reduce_kernelI14__hip_bfloat16Li64ELi128ELi512EEEvPT_PKfS5_PKS2_PKii
; %bb.0:
	s_load_b128 s[4:7], s[0:1], 0x18
	s_mov_b32 s2, ttmp7
	s_ashr_i32 s3, ttmp7, 31
	s_add_nc_u64 s[8:9], s[0:1], 48
	s_lshl_b64 s[2:3], s[2:3], 2
	s_wait_kmcnt 0x0
	s_add_nc_u64 s[2:3], s[6:7], s[2:3]
	s_load_b32 s18, s[2:3], 0x0
	s_clause 0x2
	s_load_b64 s[6:7], s[0:1], 0x0
	s_load_b32 s14, s[0:1], 0x28
	s_load_b32 s15, s[0:1], 0x30
	s_wait_kmcnt 0x0
	s_add_co_i32 s2, s18, -1
	s_delay_alu instid0(SALU_CYCLE_1)
	s_cmp_gt_u32 s2, 0x1ff
	s_mov_b32 s2, -1
	s_cbranch_scc0 .LBB129_26
; %bb.1:
	s_add_co_i32 s2, s18, 0x1ff
	s_mul_i32 s16, s15, ttmp7
	s_ashr_i32 s3, s2, 31
	v_dual_mov_b32 v4, 0xff7fffff :: v_dual_lshlrev_b32 v3, 2, v0
	s_lshr_b32 s3, s3, 23
	s_mul_i32 s12, s16, s14
	s_add_co_i32 s2, s2, s3
	s_mul_i32 s10, s14, ttmp9
	s_ashr_i32 s17, s2, 9
	s_ashr_i32 s13, s12, 31
	v_cmp_gt_i32_e32 vcc_lo, s17, v0
	s_ashr_i32 s11, s10, 31
	s_and_saveexec_b32 s3, vcc_lo
	s_cbranch_execz .LBB129_5
; %bb.2:
	s_load_b64 s[20:21], s[0:1], 0x10
	s_load_b32 s2, s[8:9], 0xc
	s_lshl_b64 s[22:23], s[12:13], 2
	s_lshl_b64 s[24:25], s[10:11], 2
	v_dual_mov_b32 v4, 0xff7fffff :: v_dual_add_nc_u32 v5, 32, v3
	s_add_nc_u64 s[22:23], s[22:23], s[24:25]
	v_mov_b32_e32 v6, v0
	s_wait_kmcnt 0x0
	s_add_nc_u64 s[20:21], s[20:21], s[22:23]
	s_delay_alu instid0(SALU_CYCLE_1) | instskip(NEXT) | instid1(VALU_DEP_1)
	v_add_co_u32 v1, s19, s20, v3
	v_add_co_ci_u32_e64 v2, null, s21, 0, s19
	s_and_b32 s20, s2, 0xffff
	s_mov_b32 s19, 0
	s_wait_alu 0xfffe
	s_lshl_b32 s21, s20, 2
.LBB129_3:                              ; =>This Inner Loop Header: Depth=1
	global_load_b32 v7, v[1:2], off
	v_add_nc_u32_e32 v6, s20, v6
	v_max_num_f32_e32 v4, v4, v4
	s_wait_alu 0xfffe
	v_add_co_u32 v1, s2, v1, s21
	s_wait_alu 0xf1ff
	v_add_co_ci_u32_e64 v2, null, 0, v2, s2
	v_cmp_le_i32_e64 s2, s17, v6
	s_or_b32 s19, s2, s19
	s_wait_loadcnt 0x0
	v_max_num_f32_e32 v8, v7, v7
	ds_store_b32 v5, v7
	v_dual_max_num_f32 v4, v4, v8 :: v_dual_add_nc_u32 v5, s21, v5
	s_wait_alu 0xfffe
	s_and_not1_b32 exec_lo, exec_lo, s19
	s_cbranch_execnz .LBB129_3
; %bb.4:
	s_or_b32 exec_lo, exec_lo, s19
.LBB129_5:
	s_delay_alu instid0(SALU_CYCLE_1)
	s_or_b32 exec_lo, exec_lo, s3
	v_mbcnt_lo_u32_b32 v1, -1, 0
	s_load_b64 s[2:3], s[0:1], 0x8
	s_wait_dscnt 0x0
	s_barrier_signal -1
	s_barrier_wait -1
	v_xor_b32_e32 v2, 16, v1
	v_xor_b32_e32 v5, 8, v1
	global_inv scope:SCOPE_SE
	v_cmp_gt_i32_e64 s0, 32, v2
	s_delay_alu instid0(VALU_DEP_1) | instskip(SKIP_1) | instid1(VALU_DEP_2)
	v_cndmask_b32_e64 v2, v1, v2, s0
	v_cmp_gt_i32_e64 s0, 32, v5
	v_lshlrev_b32_e32 v6, 2, v2
	s_wait_alu 0xf1ff
	s_delay_alu instid0(VALU_DEP_2) | instskip(SKIP_3) | instid1(VALU_DEP_1)
	v_cndmask_b32_e64 v5, v1, v5, s0
	ds_bpermute_b32 v2, v6, v4
	v_dual_max_num_f32 v4, v4, v4 :: v_dual_lshlrev_b32 v7, 2, v5
	v_xor_b32_e32 v5, 4, v1
	v_cmp_gt_i32_e64 s0, 32, v5
	s_wait_alu 0xf1ff
	s_delay_alu instid0(VALU_DEP_1) | instskip(NEXT) | instid1(VALU_DEP_1)
	v_cndmask_b32_e64 v5, v1, v5, s0
	v_lshlrev_b32_e32 v8, 2, v5
	v_xor_b32_e32 v5, 2, v1
	s_wait_dscnt 0x0
	v_max_num_f32_e32 v2, v2, v2
	s_delay_alu instid0(VALU_DEP_2) | instskip(NEXT) | instid1(VALU_DEP_2)
	v_cmp_gt_i32_e64 s0, 32, v5
	v_max_num_f32_e32 v2, v4, v2
	s_wait_alu 0xf1ff
	s_delay_alu instid0(VALU_DEP_2) | instskip(SKIP_3) | instid1(VALU_DEP_1)
	v_cndmask_b32_e64 v5, v1, v5, s0
	ds_bpermute_b32 v4, v7, v2
	s_wait_dscnt 0x0
	v_max_num_f32_e32 v4, v4, v4
	v_max_num_f32_e32 v2, v2, v4
	ds_bpermute_b32 v4, v8, v2
	s_wait_dscnt 0x0
	v_dual_max_num_f32 v9, v4, v4 :: v_dual_lshlrev_b32 v4, 2, v5
	s_delay_alu instid0(VALU_DEP_1) | instskip(SKIP_4) | instid1(VALU_DEP_1)
	v_max_num_f32_e32 v2, v2, v9
	v_xor_b32_e32 v9, 1, v1
	ds_bpermute_b32 v5, v4, v2
	v_cmp_gt_i32_e64 s0, 32, v9
	s_wait_alu 0xf1ff
	v_cndmask_b32_e64 v1, v1, v9, s0
	v_lshrrev_b32_e32 v9, 5, v0
	s_delay_alu instid0(VALU_DEP_1) | instskip(SKIP_2) | instid1(VALU_DEP_1)
	v_lshlrev_b32_e32 v9, 2, v9
	s_wait_dscnt 0x0
	v_max_num_f32_e32 v5, v5, v5
	v_max_num_f32_e32 v2, v2, v5
	v_lshlrev_b32_e32 v5, 2, v1
	v_and_b32_e32 v1, 31, v0
	ds_bpermute_b32 v10, v5, v2
	v_cmp_eq_u32_e64 s0, 0, v1
	s_and_saveexec_b32 s1, s0
	s_cbranch_execz .LBB129_7
; %bb.6:
	s_wait_dscnt 0x0
	v_max_num_f32_e32 v10, v10, v10
	v_max_num_f32_e32 v2, v2, v2
	s_delay_alu instid0(VALU_DEP_1)
	v_max_num_f32_e32 v2, v2, v10
	ds_store_b32 v9, v2
.LBB129_7:
	s_wait_alu 0xfffe
	s_or_b32 exec_lo, exec_lo, s1
	v_cmp_gt_u32_e64 s1, 4, v1
	v_mov_b32_e32 v2, 0xff7fffff
	s_wait_dscnt 0x0
	v_lshlrev_b32_e32 v10, 2, v1
	s_wait_loadcnt 0x0
	s_barrier_signal -1
	s_barrier_wait -1
	global_inv scope:SCOPE_SE
	s_and_saveexec_b32 s19, s1
; %bb.8:
	ds_load_b32 v2, v10
; %bb.9:
	s_wait_alu 0xfffe
	s_or_b32 exec_lo, exec_lo, s19
	s_wait_dscnt 0x0
	ds_bpermute_b32 v1, v4, v2
	v_max_num_f32_e32 v2, v2, v2
	s_lshl_b32 s19, s17, 2
	v_mov_b32_e32 v11, 0
	s_wait_dscnt 0x0
	v_max_num_f32_e32 v1, v1, v1
	s_delay_alu instid0(VALU_DEP_1) | instskip(SKIP_3) | instid1(VALU_DEP_1)
	v_max_num_f32_e32 v1, v2, v1
	ds_bpermute_b32 v2, v5, v1
	s_wait_dscnt 0x0
	v_max_num_f32_e32 v2, v2, v2
	v_max_num_f32_e32 v1, v1, v2
	ds_bpermute_b32 v12, v11, v1
	s_and_saveexec_b32 s20, vcc_lo
	s_cbranch_execz .LBB129_13
; %bb.10:
	s_load_b32 s21, s[8:9], 0xc
	s_lshl_b64 s[22:23], s[12:13], 2
	s_lshl_b64 s[24:25], s[10:11], 2
	v_mov_b32_e32 v11, 0
	s_add_nc_u64 s[22:23], s[22:23], s[24:25]
	v_mov_b32_e32 v13, v0
	s_wait_kmcnt 0x0
	s_add_nc_u64 s[2:3], s[2:3], s[22:23]
	s_wait_alu 0xfffe
	v_add_co_u32 v1, s2, s2, v3
	s_wait_alu 0xf1ff
	v_add_co_ci_u32_e64 v2, null, s3, 0, s2
	v_add_nc_u32_e32 v3, 32, v3
	s_mov_b32 s3, 0
	s_and_b32 s11, s21, 0xffff
	s_delay_alu instid0(SALU_CYCLE_1)
	s_lshl_b32 s13, s11, 2
.LBB129_11:                             ; =>This Inner Loop Header: Depth=1
	global_load_b32 v14, v[1:2], off
	ds_load_b32 v15, v3
	v_add_nc_u32_e32 v13, s11, v13
	s_wait_dscnt 0x0
	v_sub_f32_e32 v15, v15, v12
	s_delay_alu instid0(VALU_DEP_1) | instskip(NEXT) | instid1(VALU_DEP_1)
	v_mul_f32_e32 v16, 0x3fb8aa3b, v15
	v_fma_f32 v17, 0x3fb8aa3b, v15, -v16
	v_rndne_f32_e32 v18, v16
	s_delay_alu instid0(VALU_DEP_1) | instskip(SKIP_1) | instid1(VALU_DEP_4)
	v_sub_f32_e32 v16, v16, v18
	v_cmp_ngt_f32_e32 vcc_lo, 0xc2ce8ed0, v15
	v_fmac_f32_e32 v17, 0x32a5705f, v15
	v_cmp_nlt_f32_e64 s2, 0x42b17218, v15
	s_delay_alu instid0(VALU_DEP_2) | instskip(SKIP_1) | instid1(VALU_DEP_2)
	v_add_f32_e32 v16, v16, v17
	v_cvt_i32_f32_e32 v17, v18
	v_exp_f32_e32 v16, v16
	s_delay_alu instid0(TRANS32_DEP_1) | instskip(SKIP_2) | instid1(VALU_DEP_2)
	v_ldexp_f32 v16, v16, v17
	v_add_nc_u32_e32 v17, s19, v3
	s_wait_alu 0xfffd
	v_dual_cndmask_b32 v16, 0, v16 :: v_dual_add_nc_u32 v3, s13, v3
	v_add_co_u32 v1, vcc_lo, v1, s13
	s_wait_alu 0xfffd
	v_add_co_ci_u32_e64 v2, null, 0, v2, vcc_lo
	s_wait_alu 0xf1ff
	v_cndmask_b32_e64 v15, 0x7f800000, v16, s2
	v_cmp_le_i32_e32 vcc_lo, s17, v13
	s_wait_alu 0xfffe
	s_or_b32 s3, vcc_lo, s3
	s_wait_loadcnt 0x0
	v_mul_f32_e32 v16, v14, v15
	v_fmac_f32_e32 v11, v14, v15
	ds_store_b32 v17, v16
	s_wait_alu 0xfffe
	s_and_not1_b32 exec_lo, exec_lo, s3
	s_cbranch_execnz .LBB129_11
; %bb.12:
	s_or_b32 exec_lo, exec_lo, s3
.LBB129_13:
	s_wait_alu 0xfffe
	s_or_b32 exec_lo, exec_lo, s20
	ds_bpermute_b32 v1, v6, v11
	s_wait_loadcnt_dscnt 0x0
	s_barrier_signal -1
	s_barrier_wait -1
	global_inv scope:SCOPE_SE
	v_add_f32_e32 v1, v11, v1
	ds_bpermute_b32 v2, v7, v1
	s_wait_dscnt 0x0
	v_add_f32_e32 v1, v1, v2
	ds_bpermute_b32 v2, v8, v1
	s_wait_dscnt 0x0
	;; [unrolled: 3-line block ×4, first 2 shown]
	v_add_f32_e32 v1, v1, v2
	s_wait_kmcnt 0x0
	s_and_saveexec_b32 s2, s0
; %bb.14:
	ds_store_b32 v9, v1 offset:16
; %bb.15:
	s_wait_alu 0xfffe
	s_or_b32 exec_lo, exec_lo, s2
	s_wait_loadcnt_dscnt 0x0
	s_barrier_signal -1
	s_barrier_wait -1
	global_inv scope:SCOPE_SE
	s_and_saveexec_b32 s0, s1
; %bb.16:
	ds_load_b32 v1, v10 offset:16
; %bb.17:
	s_wait_alu 0xfffe
	s_or_b32 exec_lo, exec_lo, s0
	s_wait_dscnt 0x0
	ds_bpermute_b32 v2, v4, v1
	s_mov_b32 s0, exec_lo
	s_wait_dscnt 0x0
	v_add_f32_e32 v1, v1, v2
	ds_bpermute_b32 v2, v5, v1
	s_wait_dscnt 0x0
	v_dual_add_f32 v1, v1, v2 :: v_dual_mov_b32 v2, 0
	ds_bpermute_b32 v2, v2, v1
	v_cmpx_gt_u32_e32 64, v0
	s_cbranch_execz .LBB129_25
; %bb.18:
	s_cmp_gt_i32 s18, 0
	s_mov_b32 s1, 0
	s_cbranch_scc1 .LBB129_20
; %bb.19:
	v_mov_b32_e32 v1, 0
	v_mov_b32_e32 v3, 0
	s_wait_alu 0xfffe
	s_and_not1_b32 vcc_lo, exec_lo, s1
	s_wait_alu 0xfffe
	s_cbranch_vccz .LBB129_21
	s_branch .LBB129_24
.LBB129_20:
	v_mov_b32_e32 v3, 0
.LBB129_21:
	s_wait_dscnt 0x0
	v_add_f32_e32 v4, 0x358637bd, v2
	s_lshl_b32 s2, s12, 6
	s_lshl_b32 s10, s10, 6
	s_wait_alu 0xfffe
	s_ashr_i32 s3, s2, 31
	s_ashr_i32 s11, s10, 31
	v_div_scale_f32 v2, null, v4, v4, 1.0
	s_wait_alu 0xfffe
	s_lshl_b64 s[2:3], s[2:3], 1
	s_lshl_b64 s[10:11], s[10:11], 1
	s_wait_alu 0xfffe
	s_add_nc_u64 s[2:3], s[2:3], s[10:11]
	v_rcp_f32_e32 v3, v2
	s_wait_alu 0xfffe
	s_add_nc_u64 s[2:3], s[4:5], s[2:3]
	s_delay_alu instid0(TRANS32_DEP_1) | instskip(NEXT) | instid1(VALU_DEP_1)
	v_fma_f32 v1, -v2, v3, 1.0
	v_fmac_f32_e32 v3, v1, v3
	v_div_scale_f32 v5, vcc_lo, 1.0, v4, 1.0
	s_delay_alu instid0(VALU_DEP_1) | instskip(NEXT) | instid1(VALU_DEP_1)
	v_mul_f32_e32 v6, v5, v3
	v_fma_f32 v1, -v2, v6, v5
	s_delay_alu instid0(VALU_DEP_1) | instskip(NEXT) | instid1(VALU_DEP_1)
	v_dual_fmac_f32 v6, v1, v3 :: v_dual_mov_b32 v1, 0
	v_fma_f32 v2, -v2, v6, v5
	v_lshlrev_b32_e32 v5, 1, v0
	s_wait_alu 0xfffd
	s_delay_alu instid0(VALU_DEP_2) | instskip(SKIP_1) | instid1(VALU_DEP_2)
	v_div_fmas_f32 v6, v2, v3, v6
	s_wait_alu 0xfffe
	v_add_co_u32 v2, s1, s2, v5
	s_wait_alu 0xf1ff
	v_add_co_ci_u32_e64 v3, null, s3, 0, s1
	v_div_fixup_f32 v4, v6, v4, 1.0
	v_mov_b32_e32 v5, v1
	s_max_i32 s1, s17, 1
	s_add_co_i32 s2, s19, 32
.LBB129_22:                             ; =>This Inner Loop Header: Depth=1
	global_load_u16 v6, v[2:3], off
	s_wait_alu 0xfffe
	v_mov_b32_e32 v7, s2
	v_add_co_u32 v2, vcc_lo, 0x80, v2
	s_wait_alu 0xfffd
	v_add_co_ci_u32_e64 v3, null, 0, v3, vcc_lo
	s_add_co_i32 s1, s1, -1
	s_add_co_i32 s2, s2, 4
	s_wait_alu 0xfffe
	s_cmp_eq_u32 s1, 0
	s_wait_loadcnt 0x0
	v_lshlrev_b32_e32 v6, 16, v6
	ds_load_b32 v7, v7
	s_wait_dscnt 0x0
	v_mul_f32_e32 v6, v7, v6
	s_delay_alu instid0(VALU_DEP_1)
	v_fmac_f32_e32 v5, v4, v6
	s_cbranch_scc0 .LBB129_22
; %bb.23:
	s_delay_alu instid0(VALU_DEP_1) | instskip(SKIP_2) | instid1(VALU_DEP_3)
	v_bfe_u32 v2, v5, 16, 1
	v_or_b32_e32 v3, 0x400000, v5
	v_cmp_u_f32_e32 vcc_lo, v5, v5
	v_add3_u32 v2, v2, v5, 0x7fff
	s_wait_alu 0xfffd
	s_delay_alu instid0(VALU_DEP_1) | instskip(NEXT) | instid1(VALU_DEP_1)
	v_cndmask_b32_e32 v2, v2, v3, vcc_lo
	v_lshrrev_b32_e32 v3, 16, v2
.LBB129_24:
	s_lshl_b32 s2, s16, 6
	s_lshl_b32 s10, ttmp9, 6
	s_wait_alu 0xfffe
	s_ashr_i32 s3, s2, 31
	s_ashr_i32 s11, s10, 31
	s_wait_alu 0xfffe
	s_lshl_b64 s[2:3], s[2:3], 1
	s_wait_dscnt 0x0
	v_lshlrev_b64_e32 v[1:2], 1, v[0:1]
	s_lshl_b64 s[10:11], s[10:11], 1
	s_wait_alu 0xfffe
	s_add_nc_u64 s[2:3], s[6:7], s[2:3]
	s_wait_alu 0xfffe
	s_add_nc_u64 s[2:3], s[2:3], s[10:11]
	s_wait_alu 0xfffe
	v_add_co_u32 v1, vcc_lo, s2, v1
	s_wait_alu 0xfffd
	v_add_co_ci_u32_e64 v2, null, s3, v2, vcc_lo
	global_store_b16 v[1:2], v3, off
.LBB129_25:
	s_wait_alu 0xfffe
	s_or_b32 exec_lo, exec_lo, s0
	s_mov_b32 s2, 0
.LBB129_26:
	s_wait_alu 0xfffe
	s_and_b32 vcc_lo, exec_lo, s2
	s_wait_alu 0xfffe
	s_cbranch_vccz .LBB129_35
; %bb.27:
	s_mov_b32 s0, exec_lo
	v_cmpx_gt_u32_e32 64, v0
	s_cbranch_execz .LBB129_35
; %bb.28:
	s_load_b32 s0, s[8:9], 0xc
	s_mul_i32 s15, s15, ttmp7
	s_mul_i32 s1, s14, ttmp9
	s_mul_i32 s14, s14, s15
	s_lshl_b32 s2, ttmp9, 6
	s_lshl_b32 s10, s15, 6
	s_wait_alu 0xfffe
	s_lshl_b32 s8, s1, 6
	s_lshl_b32 s12, s14, 6
	v_cmp_gt_u32_e32 vcc_lo, 61, v0
	s_ashr_i32 s3, s2, 31
	s_ashr_i32 s11, s10, 31
	;; [unrolled: 1-line block ×3, first 2 shown]
	s_wait_alu 0xfffe
	s_ashr_i32 s13, s12, 31
	s_wait_kmcnt 0x0
	s_and_b32 s1, s0, 0xffff
	s_wait_alu 0xfffe
	s_cmp_eq_u32 s1, 1
	s_cselect_b32 s0, -1, 0
	s_wait_alu 0xfffe
	s_and_b32 s15, vcc_lo, s0
	s_mov_b32 s0, -1
	s_and_saveexec_b32 s14, s15
	s_cbranch_execz .LBB129_32
; %bb.29:
	s_lshl_b64 s[16:17], s[12:13], 1
	s_lshl_b64 s[18:19], s[8:9], 1
	v_lshlrev_b32_e32 v1, 1, v0
	s_wait_alu 0xfffe
	s_add_nc_u64 s[16:17], s[16:17], s[18:19]
	s_lshl_b64 s[18:19], s[10:11], 1
	s_lshl_b64 s[20:21], s[2:3], 1
	s_wait_alu 0xfffe
	s_add_nc_u64 s[16:17], s[4:5], s[16:17]
	s_add_nc_u64 s[18:19], s[18:19], s[20:21]
	s_wait_dscnt 0x0
	s_wait_alu 0xfffe
	v_add_co_u32 v2, s0, s16, v1
	v_sub_nc_u32_e32 v5, 64, v0
	s_wait_alu 0xf1ff
	v_add_co_ci_u32_e64 v3, null, s17, 0, s0
	s_add_nc_u64 s[16:17], s[6:7], s[18:19]
	s_mov_b32 s15, 0
	s_wait_alu 0xfffe
	v_add_co_u32 v4, s0, s16, v1
	v_and_b32_e32 v6, 0x7c, v5
	s_wait_alu 0xf1ff
	v_add_co_ci_u32_e64 v7, null, s17, 0, s0
	v_add_co_u32 v1, vcc_lo, v2, 4
	s_wait_alu 0xfffd
	v_add_co_ci_u32_e64 v2, null, 0, v3, vcc_lo
	v_add_co_u32 v3, vcc_lo, v4, 4
	s_wait_alu 0xfffd
	v_add_co_ci_u32_e64 v4, null, 0, v7, vcc_lo
	v_mov_b32_e32 v7, v6
.LBB129_30:                             ; =>This Inner Loop Header: Depth=1
	global_load_b64 v[8:9], v[1:2], off offset:-4
	v_add_nc_u32_e32 v7, -4, v7
	v_add_co_u32 v1, vcc_lo, v1, 8
	s_wait_alu 0xfffd
	v_add_co_ci_u32_e64 v2, null, 0, v2, vcc_lo
	s_delay_alu instid0(VALU_DEP_3)
	v_cmp_eq_u32_e32 vcc_lo, 0, v7
	s_or_b32 s15, vcc_lo, s15
	s_wait_loadcnt 0x0
	global_store_b64 v[3:4], v[8:9], off offset:-4
	v_add_co_u32 v3, s0, v3, 8
	s_wait_alu 0xf1ff
	v_add_co_ci_u32_e64 v4, null, 0, v4, s0
	s_and_not1_b32 exec_lo, exec_lo, s15
	s_cbranch_execnz .LBB129_30
; %bb.31:
	s_or_b32 exec_lo, exec_lo, s15
	v_cmp_ne_u32_e32 vcc_lo, v5, v6
	v_add_nc_u32_e32 v0, v0, v6
	s_or_not1_b32 s0, vcc_lo, exec_lo
.LBB129_32:
	s_or_b32 exec_lo, exec_lo, s14
	s_wait_alu 0xfffe
	s_and_b32 exec_lo, exec_lo, s0
	s_cbranch_execz .LBB129_35
; %bb.33:
	s_lshl_b64 s[10:11], s[10:11], 1
	s_lshl_b64 s[2:3], s[2:3], 1
	s_wait_alu 0xfffe
	s_add_nc_u64 s[6:7], s[6:7], s[10:11]
	s_lshl_b64 s[10:11], s[12:13], 1
	s_wait_dscnt 0x0
	v_dual_mov_b32 v2, 0 :: v_dual_lshlrev_b32 v1, 1, v0
	s_add_nc_u64 s[2:3], s[6:7], s[2:3]
	s_wait_alu 0xfffe
	s_add_nc_u64 s[4:5], s[4:5], s[10:11]
	s_lshl_b64 s[6:7], s[8:9], 1
	s_delay_alu instid0(SALU_CYCLE_1)
	s_add_nc_u64 s[4:5], s[4:5], s[6:7]
	s_mov_b32 s6, 0
	s_lshl_b32 s7, s1, 1
.LBB129_34:                             ; =>This Inner Loop Header: Depth=1
	v_add_co_u32 v3, vcc_lo, s4, v1
	s_wait_alu 0xfffd
	v_add_co_ci_u32_e64 v4, null, s5, v2, vcc_lo
	v_add_nc_u32_e32 v0, s1, v0
	global_load_u16 v5, v[3:4], off
	v_add_co_u32 v3, vcc_lo, s2, v1
	s_wait_alu 0xfffd
	v_add_co_ci_u32_e64 v4, null, s3, v2, vcc_lo
	v_cmp_lt_u32_e32 vcc_lo, 63, v0
	v_add_co_u32 v1, s0, v1, s7
	s_wait_alu 0xf1ff
	v_add_co_ci_u32_e64 v2, null, 0, v2, s0
	s_or_b32 s6, vcc_lo, s6
	s_wait_loadcnt 0x0
	global_store_b16 v[3:4], v5, off
	s_wait_alu 0xfffe
	s_and_not1_b32 exec_lo, exec_lo, s6
	s_cbranch_execnz .LBB129_34
.LBB129_35:
	s_endpgm
	.section	.rodata,"a",@progbits
	.p2align	6, 0x0
	.amdhsa_kernel _ZN4vllm32paged_attention_v2_reduce_kernelI14__hip_bfloat16Li64ELi128ELi512EEEvPT_PKfS5_PKS2_PKii
		.amdhsa_group_segment_fixed_size 32
		.amdhsa_private_segment_fixed_size 0
		.amdhsa_kernarg_size 304
		.amdhsa_user_sgpr_count 2
		.amdhsa_user_sgpr_dispatch_ptr 0
		.amdhsa_user_sgpr_queue_ptr 0
		.amdhsa_user_sgpr_kernarg_segment_ptr 1
		.amdhsa_user_sgpr_dispatch_id 0
		.amdhsa_user_sgpr_private_segment_size 0
		.amdhsa_wavefront_size32 1
		.amdhsa_uses_dynamic_stack 0
		.amdhsa_enable_private_segment 0
		.amdhsa_system_sgpr_workgroup_id_x 1
		.amdhsa_system_sgpr_workgroup_id_y 1
		.amdhsa_system_sgpr_workgroup_id_z 0
		.amdhsa_system_sgpr_workgroup_info 0
		.amdhsa_system_vgpr_workitem_id 0
		.amdhsa_next_free_vgpr 19
		.amdhsa_next_free_sgpr 26
		.amdhsa_reserve_vcc 1
		.amdhsa_float_round_mode_32 0
		.amdhsa_float_round_mode_16_64 0
		.amdhsa_float_denorm_mode_32 3
		.amdhsa_float_denorm_mode_16_64 3
		.amdhsa_fp16_overflow 0
		.amdhsa_workgroup_processor_mode 1
		.amdhsa_memory_ordered 1
		.amdhsa_forward_progress 1
		.amdhsa_inst_pref_size 20
		.amdhsa_round_robin_scheduling 0
		.amdhsa_exception_fp_ieee_invalid_op 0
		.amdhsa_exception_fp_denorm_src 0
		.amdhsa_exception_fp_ieee_div_zero 0
		.amdhsa_exception_fp_ieee_overflow 0
		.amdhsa_exception_fp_ieee_underflow 0
		.amdhsa_exception_fp_ieee_inexact 0
		.amdhsa_exception_int_div_zero 0
	.end_amdhsa_kernel
	.section	.text._ZN4vllm32paged_attention_v2_reduce_kernelI14__hip_bfloat16Li64ELi128ELi512EEEvPT_PKfS5_PKS2_PKii,"axG",@progbits,_ZN4vllm32paged_attention_v2_reduce_kernelI14__hip_bfloat16Li64ELi128ELi512EEEvPT_PKfS5_PKS2_PKii,comdat
.Lfunc_end129:
	.size	_ZN4vllm32paged_attention_v2_reduce_kernelI14__hip_bfloat16Li64ELi128ELi512EEEvPT_PKfS5_PKS2_PKii, .Lfunc_end129-_ZN4vllm32paged_attention_v2_reduce_kernelI14__hip_bfloat16Li64ELi128ELi512EEEvPT_PKfS5_PKS2_PKii
                                        ; -- End function
	.set _ZN4vllm32paged_attention_v2_reduce_kernelI14__hip_bfloat16Li64ELi128ELi512EEEvPT_PKfS5_PKS2_PKii.num_vgpr, 19
	.set _ZN4vllm32paged_attention_v2_reduce_kernelI14__hip_bfloat16Li64ELi128ELi512EEEvPT_PKfS5_PKS2_PKii.num_agpr, 0
	.set _ZN4vllm32paged_attention_v2_reduce_kernelI14__hip_bfloat16Li64ELi128ELi512EEEvPT_PKfS5_PKS2_PKii.numbered_sgpr, 26
	.set _ZN4vllm32paged_attention_v2_reduce_kernelI14__hip_bfloat16Li64ELi128ELi512EEEvPT_PKfS5_PKS2_PKii.num_named_barrier, 0
	.set _ZN4vllm32paged_attention_v2_reduce_kernelI14__hip_bfloat16Li64ELi128ELi512EEEvPT_PKfS5_PKS2_PKii.private_seg_size, 0
	.set _ZN4vllm32paged_attention_v2_reduce_kernelI14__hip_bfloat16Li64ELi128ELi512EEEvPT_PKfS5_PKS2_PKii.uses_vcc, 1
	.set _ZN4vllm32paged_attention_v2_reduce_kernelI14__hip_bfloat16Li64ELi128ELi512EEEvPT_PKfS5_PKS2_PKii.uses_flat_scratch, 0
	.set _ZN4vllm32paged_attention_v2_reduce_kernelI14__hip_bfloat16Li64ELi128ELi512EEEvPT_PKfS5_PKS2_PKii.has_dyn_sized_stack, 0
	.set _ZN4vllm32paged_attention_v2_reduce_kernelI14__hip_bfloat16Li64ELi128ELi512EEEvPT_PKfS5_PKS2_PKii.has_recursion, 0
	.set _ZN4vllm32paged_attention_v2_reduce_kernelI14__hip_bfloat16Li64ELi128ELi512EEEvPT_PKfS5_PKS2_PKii.has_indirect_call, 0
	.section	.AMDGPU.csdata,"",@progbits
; Kernel info:
; codeLenInByte = 2496
; TotalNumSgprs: 28
; NumVgprs: 19
; ScratchSize: 0
; MemoryBound: 0
; FloatMode: 240
; IeeeMode: 1
; LDSByteSize: 32 bytes/workgroup (compile time only)
; SGPRBlocks: 0
; VGPRBlocks: 2
; NumSGPRsForWavesPerEU: 28
; NumVGPRsForWavesPerEU: 19
; Occupancy: 16
; WaveLimiterHint : 0
; COMPUTE_PGM_RSRC2:SCRATCH_EN: 0
; COMPUTE_PGM_RSRC2:USER_SGPR: 2
; COMPUTE_PGM_RSRC2:TRAP_HANDLER: 0
; COMPUTE_PGM_RSRC2:TGID_X_EN: 1
; COMPUTE_PGM_RSRC2:TGID_Y_EN: 1
; COMPUTE_PGM_RSRC2:TGID_Z_EN: 0
; COMPUTE_PGM_RSRC2:TIDIG_COMP_CNT: 0
	.section	.text._ZN4vllm25paged_attention_v2_kernelI14__hip_bfloat16S1_Li80ELi8ELi128ELNS_18Fp8KVCacheDataTypeE0ELb1ELi512EEEvPfS3_PT_PKS4_PKT0_SA_ifPKiSC_iPKfiiiSE_SE_iiiii,"axG",@progbits,_ZN4vllm25paged_attention_v2_kernelI14__hip_bfloat16S1_Li80ELi8ELi128ELNS_18Fp8KVCacheDataTypeE0ELb1ELi512EEEvPfS3_PT_PKS4_PKT0_SA_ifPKiSC_iPKfiiiSE_SE_iiiii,comdat
	.protected	_ZN4vllm25paged_attention_v2_kernelI14__hip_bfloat16S1_Li80ELi8ELi128ELNS_18Fp8KVCacheDataTypeE0ELb1ELi512EEEvPfS3_PT_PKS4_PKT0_SA_ifPKiSC_iPKfiiiSE_SE_iiiii ; -- Begin function _ZN4vllm25paged_attention_v2_kernelI14__hip_bfloat16S1_Li80ELi8ELi128ELNS_18Fp8KVCacheDataTypeE0ELb1ELi512EEEvPfS3_PT_PKS4_PKT0_SA_ifPKiSC_iPKfiiiSE_SE_iiiii
	.globl	_ZN4vllm25paged_attention_v2_kernelI14__hip_bfloat16S1_Li80ELi8ELi128ELNS_18Fp8KVCacheDataTypeE0ELb1ELi512EEEvPfS3_PT_PKS4_PKT0_SA_ifPKiSC_iPKfiiiSE_SE_iiiii
	.p2align	8
	.type	_ZN4vllm25paged_attention_v2_kernelI14__hip_bfloat16S1_Li80ELi8ELi128ELNS_18Fp8KVCacheDataTypeE0ELb1ELi512EEEvPfS3_PT_PKS4_PKT0_SA_ifPKiSC_iPKfiiiSE_SE_iiiii,@function
_ZN4vllm25paged_attention_v2_kernelI14__hip_bfloat16S1_Li80ELi8ELi128ELNS_18Fp8KVCacheDataTypeE0ELb1ELi512EEEvPfS3_PT_PKS4_PKT0_SA_ifPKiSC_iPKfiiiSE_SE_iiiii: ; @_ZN4vllm25paged_attention_v2_kernelI14__hip_bfloat16S1_Li80ELi8ELi128ELNS_18Fp8KVCacheDataTypeE0ELb1ELi512EEEvPfS3_PT_PKS4_PKT0_SA_ifPKiSC_iPKfiiiSE_SE_iiiii
; %bb.0:
	s_load_b64 s[2:3], s[0:1], 0x40
	s_and_b32 s24, ttmp7, 0xffff
	s_lshr_b32 s30, ttmp7, 16
	s_lshl_b32 s4, s24, 2
	s_lshl_b32 s36, s30, 9
	s_wait_kmcnt 0x0
	s_load_b32 s31, s[2:3], s4 offset:0x0
	s_wait_kmcnt 0x0
	s_cmp_ge_i32 s36, s31
	s_cbranch_scc1 .LBB130_69
; %bb.1:
	s_clause 0x1
	s_load_b32 s25, s[0:1], 0x90
	s_load_b64 s[6:7], s[0:1], 0x30
	s_wait_kmcnt 0x0
	s_abs_i32 s5, s25
	s_abs_i32 s2, s6
	s_delay_alu instid0(SALU_CYCLE_1) | instskip(SKIP_1) | instid1(SALU_CYCLE_2)
	s_cvt_f32_u32 s3, s2
	s_sub_co_i32 s4, 0, s2
	v_rcp_iflag_f32_e32 v1, s3
	s_delay_alu instid0(TRANS32_DEP_1) | instskip(SKIP_2) | instid1(SALU_CYCLE_2)
	v_readfirstlane_b32 s3, v1
	s_mul_f32 s3, s3, 0x4f7ffffe
	s_wait_alu 0xfffe
	s_cvt_u32_f32 s3, s3
	s_wait_alu 0xfffe
	s_delay_alu instid0(SALU_CYCLE_2) | instskip(NEXT) | instid1(SALU_CYCLE_1)
	s_mul_i32 s4, s4, s3
	s_mul_hi_u32 s4, s3, s4
	s_delay_alu instid0(SALU_CYCLE_1)
	s_add_co_i32 s3, s3, s4
	s_xor_b32 s4, s25, s6
	s_wait_alu 0xfffe
	s_mul_hi_u32 s3, s5, s3
	s_ashr_i32 s4, s4, 31
	s_wait_alu 0xfffe
	s_mul_i32 s8, s3, s2
	s_delay_alu instid0(SALU_CYCLE_1)
	s_sub_co_i32 s5, s5, s8
	s_add_co_i32 s8, s3, 1
	s_sub_co_i32 s9, s5, s2
	s_cmp_ge_u32 s5, s2
	s_cselect_b32 s3, s8, s3
	s_cselect_b32 s5, s9, s5
	s_wait_alu 0xfffe
	s_add_co_i32 s8, s3, 1
	s_cmp_ge_u32 s5, s2
	s_cselect_b32 s2, s8, s3
	s_load_b64 s[8:9], s[0:1], 0x50
	s_xor_b32 s2, s2, s4
	s_mov_b32 s3, 0
	s_wait_alu 0xfffe
	s_sub_co_i32 s10, s2, s4
	s_mov_b32 s22, s3
	s_abs_i32 s15, s10
	s_delay_alu instid0(SALU_CYCLE_1) | instskip(SKIP_1) | instid1(SALU_CYCLE_2)
	s_cvt_f32_u32 s2, s15
	s_wait_alu 0xfffe
	v_rcp_iflag_f32_e32 v1, s2
	s_delay_alu instid0(TRANS32_DEP_1) | instskip(SKIP_2) | instid1(SALU_CYCLE_2)
	v_readfirstlane_b32 s2, v1
	s_mul_f32 s2, s2, 0x4f7ffffe
	s_wait_alu 0xfffe
	s_cvt_u32_f32 s4, s2
	s_sub_co_i32 s2, 0, s15
	s_wait_alu 0xfffe
	s_delay_alu instid0(SALU_CYCLE_1)
	s_mul_i32 s2, s2, s4
	s_wait_alu 0xfffe
	s_mul_hi_u32 s5, s4, s2
	s_abs_i32 s2, ttmp9
	s_add_co_i32 s4, s4, s5
	s_mov_b32 s5, s3
	s_wait_kmcnt 0x0
	s_cmp_eq_u64 s[8:9], 0
	s_cbranch_scc1 .LBB130_3
; %bb.2:
	s_mov_b32 s12, ttmp9
	s_ashr_i32 s13, ttmp9, 31
	s_delay_alu instid0(SALU_CYCLE_1) | instskip(NEXT) | instid1(SALU_CYCLE_1)
	s_lshl_b64 s[12:13], s[12:13], 2
	s_add_nc_u64 s[8:9], s[8:9], s[12:13]
	s_load_b32 s22, s[8:9], 0x0
.LBB130_3:
	s_load_b96 s[12:14], s[0:1], 0x58
	v_and_b32_e32 v1, 3, v0
	v_lshlrev_b32_e32 v2, 2, v0
	s_mul_u64 s[4:5], s[2:3], s[4:5]
	s_ashr_i32 s3, ttmp9, 31
	s_ashr_i32 s4, s10, 31
	s_mul_i32 s18, ttmp9, 0x50
	s_mov_b32 s8, exec_lo
	v_cmpx_gt_u32_e32 40, v0
	s_cbranch_execz .LBB130_5
; %bb.4:
	s_load_b64 s[10:11], s[0:1], 0x18
	s_wait_kmcnt 0x0
	s_mul_i32 s16, s12, s24
	s_ashr_i32 s19, s18, 31
	s_ashr_i32 s17, s16, 31
	v_and_b32_e32 v4, 0x3fc, v0
	s_lshl_b64 s[16:17], s[16:17], 1
	s_delay_alu instid0(VALU_DEP_1) | instskip(SKIP_2) | instid1(SALU_CYCLE_1)
	v_mad_u32_u24 v4, v1, 40, v4
	s_add_nc_u64 s[10:11], s[10:11], s[16:17]
	s_lshl_b64 s[16:17], s[18:19], 1
	s_add_nc_u64 s[10:11], s[10:11], s[16:17]
	global_load_b32 v3, v2, s[10:11]
	s_wait_loadcnt 0x0
	ds_store_b32 v4, v3
.LBB130_5:
	s_or_b32 exec_lo, exec_lo, s8
	s_load_b128 s[8:11], s[0:1], 0x78
	s_wait_kmcnt 0x0
	s_mul_i32 s12, s5, s15
	s_xor_b32 s3, s3, s4
	s_sub_co_i32 s2, s2, s12
	s_add_co_i32 s4, s5, 1
	s_wait_alu 0xfffe
	s_sub_co_i32 s12, s2, s15
	s_cmp_ge_u32 s2, s15
	s_mov_b32 s17, -1
	s_cselect_b32 s4, s4, s5
	s_cselect_b32 s2, s12, s2
	s_add_co_i32 s5, s4, 1
	s_wait_alu 0xfffe
	s_cmp_ge_u32 s2, s15
	s_load_b32 s15, s[0:1], 0x88
	s_cselect_b32 s2, s5, s4
	s_add_co_i32 s16, s31, -1
	s_wait_alu 0xfffe
	s_xor_b32 s2, s2, s3
	s_wait_dscnt 0x0
	s_wait_alu 0xfffe
	s_sub_co_i32 s12, s2, s3
	s_barrier_signal -1
	s_barrier_wait -1
	s_abs_i32 s33, s11
	global_inv scope:SCOPE_SE
	s_cvt_f32_u32 s4, s33
                                        ; implicit-def: $sgpr34
	s_delay_alu instid0(SALU_CYCLE_3) | instskip(NEXT) | instid1(TRANS32_DEP_1)
	v_rcp_iflag_f32_e32 v3, s4
	v_readfirstlane_b32 s4, v3
	s_mul_f32 s2, s4, 0x4f7ffffe
	s_wait_alu 0xfffe
	s_delay_alu instid0(SALU_CYCLE_2) | instskip(SKIP_2) | instid1(SALU_CYCLE_1)
	s_cvt_u32_f32 s4, s2
	s_sub_co_i32 s2, 0, s33
	s_wait_alu 0xfffe
	s_mul_i32 s3, s2, s4
	s_abs_i32 s2, s16
	s_wait_alu 0xfffe
	s_mul_hi_u32 s5, s4, s3
	s_mov_b32 s3, 0
	s_wait_alu 0xfffe
	s_add_co_i32 s20, s4, s5
	s_wait_kmcnt 0x0
	s_cmp_lt_i32 s15, 0
	s_mov_b32 s21, s3
	s_cbranch_scc0 .LBB130_7
; %bb.6:
	s_mul_i32 s4, s8, s6
	s_mov_b32 s17, s3
	s_wait_alu 0xfffe
	s_add_co_i32 s4, s12, s4
	s_wait_alu 0xfffe
	s_mul_i32 s4, s4, s15
	s_wait_alu 0xfffe
	s_sub_co_i32 s34, 1, s4
.LBB130_7:
	s_mul_u64 s[4:5], s[2:3], s[20:21]
	s_ashr_i32 s3, s16, 31
	s_and_not1_b32 vcc_lo, exec_lo, s17
	s_ashr_i32 s21, s11, 31
	s_cbranch_vccnz .LBB130_9
; %bb.8:
	s_mul_i32 s4, s25, s8
	s_wait_alu 0xfffe
	s_add_co_i32 s4, s4, ttmp9
	s_wait_alu 0xfffe
	s_mul_i32 s4, s4, s15
	s_wait_alu 0xfffe
	s_add_co_i32 s34, s4, 1
.LBB130_9:
	s_clause 0x2
	s_load_b32 s4, s[0:1], 0x48
	s_load_b64 s[16:17], s[0:1], 0x38
	s_load_b32 s19, s[0:1], 0x98
	s_mul_i32 s6, s5, s33
	s_xor_b32 s3, s3, s21
	s_sub_co_i32 s2, s2, s6
	s_add_co_i32 s8, s5, 1
	v_lshrrev_b32_e32 v19, 5, v0
	v_mbcnt_lo_u32_b32 v4, -1, 0
	s_mul_i32 s14, s12, s14
	s_delay_alu instid0(VALU_DEP_2)
	v_lshl_add_u32 v20, v19, 3, s36
	s_wait_kmcnt 0x0
	s_mul_i32 s26, s4, s24
	s_wait_alu 0xfffe
	s_sub_co_i32 s4, s2, s33
	s_ashr_i32 s27, s26, 31
	s_cmp_ge_u32 s2, s33
	s_cselect_b32 s5, s8, s5
	s_wait_alu 0xfffe
	s_cselect_b32 s2, s4, s2
	s_add_co_i32 s4, s5, 1
	s_wait_alu 0xfffe
	s_cmp_ge_u32 s2, s33
	s_cselect_b32 s2, s4, s5
	s_add_co_i32 s4, s31, 7
	s_lshl_b32 s11, s30, 6
	s_wait_alu 0xfffe
	s_ashr_i32 s5, s4, 31
	v_or_b32_e32 v21, s11, v19
	s_wait_alu 0xfffe
	s_lshr_b32 s5, s5, 29
	v_mov_b32_e32 v6, 0xff7fffff
	s_wait_alu 0xfffe
	s_add_co_i32 s4, s4, s5
	s_add_co_i32 s5, s11, 64
	s_wait_alu 0xfffe
	s_ashr_i32 s39, s4, 3
	s_xor_b32 s4, s2, s3
	s_min_i32 s35, s5, s39
	v_lshlrev_b32_e32 v3, 2, v21
	v_cmp_gt_i32_e64 s2, s35, v21
	s_wait_alu 0xfffe
	s_sub_co_i32 s8, s4, s3
	s_and_saveexec_b32 s6, s2
	s_cbranch_execz .LBB130_21
; %bb.10:
	s_ashr_i32 s15, s14, 31
	s_sub_co_i32 s12, s8, s9
	s_lshl_b64 s[4:5], s[14:15], 1
	s_cmp_neq_f32 s22, 0
	s_load_b64 s[28:29], s[0:1], 0x20
	v_bfe_u32 v5, v0, 2, 3
	v_mul_u32_u24_e32 v7, 40, v1
	s_cselect_b32 vcc_lo, -1, 0
	s_abs_i32 s15, s10
	v_dual_mov_b32 v13, 0xff7fffff :: v_dual_and_b32 v2, 12, v2
	s_cvt_f32_u32 s3, s15
	v_lshlrev_b32_e32 v8, 2, v5
	s_lshl_b64 s[40:41], s[26:27], 2
	v_subrev_nc_u32_e32 v11, s31, v5
	s_wait_alu 0xfffe
	v_rcp_iflag_f32_e32 v6, s3
	v_cmp_eq_u32_e64 s3, 0, v1
	v_lshlrev_b32_e32 v1, 4, v5
	s_add_nc_u64 s[40:41], s[16:17], s[40:41]
	s_sub_co_i32 s38, 0, s15
	v_lshl_add_u32 v10, v19, 3, s36
	v_dual_mov_b32 v16, v21 :: v_dual_add_nc_u32 v11, 1, v11
	v_xor_b32_e32 v14, 2, v4
	s_wait_kmcnt 0x0
	s_add_nc_u64 s[4:5], s[28:29], s[4:5]
	v_readfirstlane_b32 s37, v6
	v_lshl_or_b32 v6, v19, 5, v8
	v_xor_b32_e32 v15, 1, v4
	s_mov_b32 s23, 0
	s_mul_f32 s28, s37, 0x4f7ffffe
	s_delay_alu instid0(VALU_DEP_2)
	v_add_nc_u32_e32 v12, 0xc0, v6
	v_mov_b32_e32 v6, 0xff7fffff
	s_wait_alu 0xfffe
	v_add_co_u32 v1, s4, s4, v1
	s_wait_alu 0xf1ff
	v_add_co_ci_u32_e64 v9, null, s5, 0, s4
	s_cvt_u32_f32 s5, s28
	v_add_co_u32 v8, s4, v1, v2
	s_wait_alu 0xf1ff
	v_add_co_ci_u32_e64 v9, null, 0, v9, s4
	v_add_co_u32 v1, s4, s40, v3
	s_wait_alu 0xfffe
	s_mul_i32 s38, s38, s5
	v_add_co_ci_u32_e64 v2, null, s41, 0, s4
	s_mul_hi_u32 s4, s5, s38
	s_mov_b32 s28, s13
	s_wait_alu 0xfffe
	s_add_co_i32 s29, s5, s4
	s_branch .LBB130_13
.LBB130_11:                             ;   in Loop: Header=BB130_13 Depth=1
	s_wait_alu 0xfffe
	s_or_b32 exec_lo, exec_lo, s37
.LBB130_12:                             ;   in Loop: Header=BB130_13 Depth=1
	s_wait_alu 0xfffe
	s_or_b32 exec_lo, exec_lo, s5
	v_add_nc_u32_e32 v16, 4, v16
	v_add_co_u32 v1, s5, v1, 16
	s_wait_alu 0xf1ff
	v_add_co_ci_u32_e64 v2, null, 0, v2, s5
	s_delay_alu instid0(VALU_DEP_3)
	v_cmp_le_i32_e64 s4, s35, v16
	v_add_nc_u32_e32 v10, 32, v10
	v_add_nc_u32_e32 v12, 0x80, v12
	s_or_b32 s23, s4, s23
	s_wait_alu 0xfffe
	s_and_not1_b32 exec_lo, exec_lo, s23
	s_cbranch_execz .LBB130_20
.LBB130_13:                             ; =>This Inner Loop Header: Depth=1
	v_sub_nc_u32_e32 v17, 0, v10
	s_delay_alu instid0(VALU_DEP_1) | instskip(SKIP_1) | instid1(VALU_DEP_1)
	v_max_i32_e32 v17, v10, v17
	s_wait_dscnt 0x0
	v_mul_hi_u32 v18, v17, s20
	s_delay_alu instid0(VALU_DEP_1) | instskip(NEXT) | instid1(VALU_DEP_1)
	v_mul_lo_u32 v22, v18, s33
	v_sub_nc_u32_e32 v17, v17, v22
	v_add_nc_u32_e32 v22, 1, v18
	s_delay_alu instid0(VALU_DEP_2) | instskip(SKIP_2) | instid1(VALU_DEP_1)
	v_subrev_nc_u32_e32 v23, s33, v17
	v_cmp_le_u32_e64 s4, s33, v17
	s_wait_alu 0xf1ff
	v_cndmask_b32_e64 v18, v18, v22, s4
	s_delay_alu instid0(VALU_DEP_3) | instskip(SKIP_1) | instid1(VALU_DEP_3)
	v_cndmask_b32_e64 v17, v17, v23, s4
	v_ashrrev_i32_e32 v22, 31, v10
	v_add_nc_u32_e32 v23, 1, v18
	s_delay_alu instid0(VALU_DEP_3) | instskip(NEXT) | instid1(VALU_DEP_3)
	v_cmp_le_u32_e64 s4, s33, v17
	v_xor_b32_e32 v22, s21, v22
	s_wait_alu 0xf1ff
	s_delay_alu instid0(VALU_DEP_2) | instskip(NEXT) | instid1(VALU_DEP_1)
	v_cndmask_b32_e64 v17, v18, v23, s4
	v_xor_b32_e32 v17, v17, v22
	s_delay_alu instid0(VALU_DEP_1) | instskip(NEXT) | instid1(VALU_DEP_1)
	v_sub_nc_u32_e32 v17, v17, v22
	v_add_nc_u32_e32 v18, s34, v17
	v_cmp_ge_i32_e64 s5, s12, v17
	s_delay_alu instid0(VALU_DEP_2) | instskip(NEXT) | instid1(VALU_DEP_1)
	v_sub_nc_u32_e32 v22, 0, v18
	v_max_i32_e32 v22, v18, v22
	v_ashrrev_i32_e32 v18, 31, v18
	s_delay_alu instid0(VALU_DEP_2) | instskip(NEXT) | instid1(VALU_DEP_1)
	v_mul_hi_u32 v23, v22, s29
	v_mul_lo_u32 v23, v23, s15
	s_delay_alu instid0(VALU_DEP_1) | instskip(NEXT) | instid1(VALU_DEP_1)
	v_sub_nc_u32_e32 v22, v22, v23
	v_subrev_nc_u32_e32 v23, s15, v22
	v_cmp_le_u32_e64 s4, s15, v22
	s_wait_alu 0xf1ff
	s_delay_alu instid0(VALU_DEP_1) | instskip(NEXT) | instid1(VALU_DEP_1)
	v_cndmask_b32_e64 v22, v22, v23, s4
	v_subrev_nc_u32_e32 v23, s15, v22
	v_cmp_le_u32_e64 s4, s15, v22
	s_wait_alu 0xf1ff
	s_delay_alu instid0(VALU_DEP_1) | instskip(NEXT) | instid1(VALU_DEP_1)
	v_cndmask_b32_e64 v22, v22, v23, s4
	v_xor_b32_e32 v22, v22, v18
	s_delay_alu instid0(VALU_DEP_1) | instskip(NEXT) | instid1(VALU_DEP_1)
	v_sub_nc_u32_e32 v18, v22, v18
	v_cmp_ne_u32_e64 s4, 0, v18
	s_and_b32 s4, s4, s5
	s_wait_alu 0xfffe
	s_and_saveexec_b32 s5, s4
	s_wait_alu 0xfffe
	s_xor_b32 s4, exec_lo, s5
	s_cbranch_execz .LBB130_17
; %bb.14:                               ;   in Loop: Header=BB130_13 Depth=1
	s_and_saveexec_b32 s5, s3
; %bb.15:                               ;   in Loop: Header=BB130_13 Depth=1
	ds_store_b32 v12, v13
; %bb.16:                               ;   in Loop: Header=BB130_13 Depth=1
	s_wait_alu 0xfffe
	s_or_b32 exec_lo, exec_lo, s5
.LBB130_17:                             ;   in Loop: Header=BB130_13 Depth=1
	s_wait_alu 0xfffe
	s_and_not1_saveexec_b32 s5, s4
	s_cbranch_execz .LBB130_12
; %bb.18:                               ;   in Loop: Header=BB130_13 Depth=1
	global_load_b32 v17, v[1:2], off
	s_wait_loadcnt 0x0
	v_mad_co_i64_i32 v[17:18], null, v17, s28, 0
	s_delay_alu instid0(VALU_DEP_1) | instskip(NEXT) | instid1(VALU_DEP_1)
	v_lshlrev_b64_e32 v[17:18], 1, v[17:18]
	v_add_co_u32 v17, s4, v8, v17
	s_wait_alu 0xf1ff
	s_delay_alu instid0(VALU_DEP_2)
	v_add_co_ci_u32_e64 v18, null, v9, v18, s4
	v_cmp_gt_i32_e64 s4, 32, v14
	s_clause 0x9
	global_load_b32 v30, v[17:18], off offset:128
	global_load_b32 v31, v[17:18], off
	global_load_b32 v32, v[17:18], off offset:256
	global_load_b32 v33, v[17:18], off offset:384
	;; [unrolled: 1-line block ×8, first 2 shown]
	ds_load_2addr_b64 v[22:25], v7 offset1:1
	ds_load_2addr_b64 v[26:29], v7 offset0:2 offset1:3
	ds_load_b64 v[17:18], v7 offset:32
	s_wait_dscnt 0x2
	v_lshlrev_b32_e32 v41, 16, v23
	v_lshlrev_b32_e32 v43, 16, v25
	v_and_b32_e32 v23, 0xffff0000, v23
	s_wait_dscnt 0x1
	v_lshlrev_b32_e32 v45, 16, v27
	s_wait_dscnt 0x0
	v_lshlrev_b32_e32 v49, 16, v18
	v_lshlrev_b32_e32 v47, 16, v29
	v_and_b32_e32 v18, 0xffff0000, v18
	s_wait_loadcnt 0x9
	v_lshlrev_b32_e32 v50, 16, v30
	v_and_b32_e32 v30, 0xffff0000, v30
	v_lshlrev_b32_e32 v46, 16, v28
	s_wait_loadcnt 0x8
	v_lshlrev_b32_e32 v51, 16, v31
	v_and_b32_e32 v31, 0xffff0000, v31
	v_dual_mul_f32 v23, v23, v30 :: v_dual_lshlrev_b32 v42, 16, v24
	v_lshlrev_b32_e32 v40, 16, v22
	v_and_b32_e32 v22, 0xffff0000, v22
	s_wait_loadcnt 0x7
	v_lshlrev_b32_e32 v30, 16, v32
	s_delay_alu instid0(VALU_DEP_2)
	v_dual_fmac_f32 v23, v22, v31 :: v_dual_and_b32 v32, 0xffff0000, v32
	v_and_b32_e32 v22, 0xffff0000, v25
	s_wait_loadcnt 0x6
	v_and_b32_e32 v31, 0xffff0000, v33
	v_and_b32_e32 v24, 0xffff0000, v24
	v_lshlrev_b32_e32 v25, 16, v33
	s_delay_alu instid0(VALU_DEP_2) | instskip(SKIP_4) | instid1(VALU_DEP_3)
	v_fmac_f32_e32 v23, v24, v32
	v_mul_f32_e32 v41, v41, v50
	v_lshlrev_b32_e32 v44, 16, v26
	v_and_b32_e32 v24, 0xffff0000, v26
	s_wait_loadcnt 0x5
	v_dual_fmac_f32 v41, v40, v51 :: v_dual_lshlrev_b32 v26, 16, v34
	v_lshlrev_b32_e32 v48, 16, v17
	v_and_b32_e32 v17, 0xffff0000, v17
	s_delay_alu instid0(VALU_DEP_3) | instskip(NEXT) | instid1(VALU_DEP_1)
	v_fmac_f32_e32 v41, v42, v30
	v_fmac_f32_e32 v41, v43, v25
	s_wait_loadcnt 0x4
	v_lshlrev_b32_e32 v25, 16, v35
	s_wait_loadcnt 0x3
	s_delay_alu instid0(VALU_DEP_2) | instskip(NEXT) | instid1(VALU_DEP_1)
	v_dual_fmac_f32 v41, v44, v26 :: v_dual_lshlrev_b32 v26, 16, v36
	v_fmac_f32_e32 v41, v45, v25
	s_wait_loadcnt 0x2
	v_lshlrev_b32_e32 v25, 16, v37
	s_delay_alu instid0(VALU_DEP_2) | instskip(SKIP_2) | instid1(VALU_DEP_2)
	v_fmac_f32_e32 v41, v46, v26
	v_dual_fmac_f32 v23, v22, v31 :: v_dual_and_b32 v30, 0xffff0000, v34
	s_wait_loadcnt 0x1
	v_dual_fmac_f32 v41, v47, v25 :: v_dual_and_b32 v26, 0xffff0000, v38
	v_and_b32_e32 v22, 0xffff0000, v27
	v_and_b32_e32 v27, 0xffff0000, v35
	v_fmac_f32_e32 v23, v24, v30
	s_wait_loadcnt 0x0
	v_and_b32_e32 v25, 0xffff0000, v39
	s_delay_alu instid0(VALU_DEP_2) | instskip(SKIP_3) | instid1(VALU_DEP_1)
	v_dual_fmac_f32 v23, v22, v27 :: v_dual_and_b32 v22, 0xffff0000, v29
	v_and_b32_e32 v27, 0xffff0000, v37
	v_and_b32_e32 v24, 0xffff0000, v28
	;; [unrolled: 1-line block ×3, first 2 shown]
	v_fmac_f32_e32 v23, v24, v28
	s_delay_alu instid0(VALU_DEP_1) | instskip(NEXT) | instid1(VALU_DEP_1)
	v_fmac_f32_e32 v23, v22, v27
	v_dual_fmac_f32 v23, v17, v26 :: v_dual_lshlrev_b32 v22, 16, v39
	v_lshlrev_b32_e32 v24, 16, v38
	s_wait_alu 0xf1ff
	v_cndmask_b32_e64 v17, v4, v14, s4
	v_cmp_gt_i32_e64 s4, 32, v15
	v_fmac_f32_e32 v23, v18, v25
	v_fmac_f32_e32 v41, v48, v24
	s_delay_alu instid0(VALU_DEP_4) | instskip(NEXT) | instid1(VALU_DEP_2)
	v_lshlrev_b32_e32 v17, 2, v17
	v_fmac_f32_e32 v41, v49, v22
	s_wait_alu 0xf1ff
	v_cndmask_b32_e64 v22, v4, v15, s4
	s_delay_alu instid0(VALU_DEP_2) | instskip(NEXT) | instid1(VALU_DEP_2)
	v_add_f32_e32 v18, v41, v23
	v_lshlrev_b32_e32 v22, 2, v22
	ds_bpermute_b32 v17, v17, v18
	s_wait_dscnt 0x0
	v_add_f32_e32 v17, v18, v17
	ds_bpermute_b32 v18, v22, v17
	s_and_saveexec_b32 s37, s3
	s_cbranch_execz .LBB130_11
; %bb.19:                               ;   in Loop: Header=BB130_13 Depth=1
	v_add_nc_u32_e32 v22, v11, v10
	s_wait_dscnt 0x0
	v_add_f32_e32 v17, v17, v18
	s_delay_alu instid0(VALU_DEP_2) | instskip(NEXT) | instid1(VALU_DEP_1)
	v_cvt_f32_i32_e32 v22, v22
	v_mul_f32_e32 v22, s22, v22
	s_delay_alu instid0(VALU_DEP_1) | instskip(SKIP_1) | instid1(VALU_DEP_2)
	v_cndmask_b32_e32 v18, 0, v22, vcc_lo
	v_max_num_f32_e32 v22, v6, v6
	v_dual_fmac_f32 v18, s7, v17 :: v_dual_add_nc_u32 v17, v5, v10
	s_delay_alu instid0(VALU_DEP_1) | instskip(NEXT) | instid1(VALU_DEP_2)
	v_max_num_f32_e32 v22, v22, v18
	v_cmp_gt_i32_e64 s4, s31, v17
	s_wait_alu 0xf1ff
	s_delay_alu instid0(VALU_DEP_1) | instskip(NEXT) | instid1(VALU_DEP_3)
	v_cndmask_b32_e64 v17, 0, v18, s4
	v_cndmask_b32_e64 v6, v6, v22, s4
	ds_store_b32 v12, v17
	s_branch .LBB130_11
.LBB130_20:
	s_or_b32 exec_lo, exec_lo, s23
.LBB130_21:
	s_delay_alu instid0(SALU_CYCLE_1)
	s_or_b32 exec_lo, exec_lo, s6
	v_xor_b32_e32 v1, 16, v4
	v_xor_b32_e32 v5, 8, v4
	v_xor_b32_e32 v7, 4, v4
	s_clause 0x2
	s_load_b128 s[4:7], s[0:1], 0x0
	s_load_b64 s[22:23], s[0:1], 0x10
	s_load_b64 s[28:29], s[0:1], 0x28
	v_and_b32_e32 v22, 31, v0
	v_cmp_gt_i32_e32 vcc_lo, 32, v1
	s_wait_alu 0xfffd
	v_cndmask_b32_e32 v1, v4, v1, vcc_lo
	v_cmp_gt_i32_e32 vcc_lo, 32, v5
	s_wait_alu 0xfffd
	v_cndmask_b32_e32 v5, v4, v5, vcc_lo
	v_cmp_gt_i32_e32 vcc_lo, 32, v7
	v_lshlrev_b32_e32 v2, 2, v1
	s_delay_alu instid0(VALU_DEP_3)
	v_lshlrev_b32_e32 v5, 2, v5
	s_wait_alu 0xfffd
	v_cndmask_b32_e32 v7, v4, v7, vcc_lo
	ds_bpermute_b32 v1, v2, v6
	v_max_num_f32_e32 v6, v6, v6
	v_cmp_eq_u32_e32 vcc_lo, 0, v22
	s_wait_dscnt 0x0
	v_dual_max_num_f32 v1, v1, v1 :: v_dual_lshlrev_b32 v8, 2, v7
	s_delay_alu instid0(VALU_DEP_1) | instskip(SKIP_3) | instid1(VALU_DEP_1)
	v_max_num_f32_e32 v1, v6, v1
	ds_bpermute_b32 v6, v5, v1
	s_wait_dscnt 0x0
	v_max_num_f32_e32 v6, v6, v6
	v_dual_max_num_f32 v1, v1, v6 :: v_dual_lshlrev_b32 v6, 2, v19
	ds_bpermute_b32 v7, v8, v1
	s_and_saveexec_b32 s0, vcc_lo
	s_cbranch_execz .LBB130_23
; %bb.22:
	s_wait_dscnt 0x0
	v_max_num_f32_e32 v7, v7, v7
	v_max_num_f32_e32 v1, v1, v1
	s_delay_alu instid0(VALU_DEP_1)
	v_max_num_f32_e32 v1, v1, v7
	ds_store_b32 v6, v1 offset:160
.LBB130_23:
	s_or_b32 exec_lo, exec_lo, s0
	v_cmp_gt_u32_e64 s0, 4, v22
	v_mov_b32_e32 v1, 0xff7fffff
	s_wait_dscnt 0x0
	v_lshlrev_b32_e32 v7, 2, v22
	s_wait_loadcnt 0x0
	s_barrier_signal -1
	s_barrier_wait -1
	global_inv scope:SCOPE_SE
	s_and_saveexec_b32 s1, s0
; %bb.24:
	ds_load_b32 v1, v7 offset:160
; %bb.25:
	s_or_b32 exec_lo, exec_lo, s1
	v_xor_b32_e32 v9, 2, v4
	v_xor_b32_e32 v11, 1, v4
	v_lshl_add_u32 v23, v0, 2, 0xc0
	s_delay_alu instid0(VALU_DEP_3) | instskip(NEXT) | instid1(VALU_DEP_1)
	v_cmp_gt_i32_e64 s1, 32, v9
	v_cndmask_b32_e64 v9, v4, v9, s1
	s_delay_alu instid0(VALU_DEP_4) | instskip(NEXT) | instid1(VALU_DEP_2)
	v_cmp_gt_i32_e64 s1, 32, v11
	v_lshlrev_b32_e32 v9, 2, v9
	s_wait_alu 0xf1ff
	s_delay_alu instid0(VALU_DEP_2)
	v_cndmask_b32_e64 v4, v4, v11, s1
	s_sub_co_i32 s1, s35, s11
	s_wait_alu 0xfffe
	s_lshl_b32 s1, s1, 3
	s_wait_dscnt 0x0
	ds_bpermute_b32 v10, v9, v1
	v_dual_max_num_f32 v1, v1, v1 :: v_dual_lshlrev_b32 v4, 2, v4
	s_wait_alu 0xfffe
	s_add_co_i32 s1, s1, s36
	s_wait_alu 0xfffe
	s_min_i32 s1, s1, s31
	s_wait_alu 0xfffe
	s_sub_co_i32 s11, s1, s36
	s_wait_alu 0xfffe
	v_cmp_gt_i32_e64 s1, s11, v0
	s_wait_dscnt 0x0
	v_max_num_f32_e32 v10, v10, v10
	s_delay_alu instid0(VALU_DEP_1) | instskip(SKIP_3) | instid1(VALU_DEP_1)
	v_max_num_f32_e32 v1, v1, v10
	ds_bpermute_b32 v10, v4, v1
	s_wait_dscnt 0x0
	v_max_num_f32_e32 v10, v10, v10
	v_dual_max_num_f32 v1, v1, v10 :: v_dual_mov_b32 v10, 0
	ds_bpermute_b32 v1, v10, v1
	s_and_saveexec_b32 s12, s1
	s_cbranch_execz .LBB130_29
; %bb.26:
	v_lshl_add_u32 v11, v0, 2, 0xc0
	v_mov_b32_e32 v10, 0
	v_mov_b32_e32 v12, v0
	s_mov_b32 s15, 0
.LBB130_27:                             ; =>This Inner Loop Header: Depth=1
	ds_load_b32 v13, v11
	v_add_nc_u32_e32 v12, 0x80, v12
	s_delay_alu instid0(VALU_DEP_1) | instskip(SKIP_4) | instid1(VALU_DEP_1)
	v_cmp_le_i32_e64 s3, s11, v12
	s_wait_alu 0xfffe
	s_or_b32 s15, s3, s15
	s_wait_dscnt 0x0
	v_sub_f32_e32 v13, v13, v1
	v_mul_f32_e32 v13, 0x3fb8aa3b, v13
	s_delay_alu instid0(VALU_DEP_1)
	v_exp_f32_e32 v13, v13
	ds_store_b32 v11, v13
	v_dual_add_f32 v10, v10, v13 :: v_dual_add_nc_u32 v11, 0x200, v11
	s_wait_alu 0xfffe
	s_and_not1_b32 exec_lo, exec_lo, s15
	s_cbranch_execnz .LBB130_27
; %bb.28:
	s_or_b32 exec_lo, exec_lo, s15
.LBB130_29:
	s_wait_alu 0xfffe
	s_or_b32 exec_lo, exec_lo, s12
	ds_bpermute_b32 v2, v2, v10
	s_wait_dscnt 0x0
	v_add_f32_e32 v2, v10, v2
	ds_bpermute_b32 v5, v5, v2
	s_wait_dscnt 0x0
	v_add_f32_e32 v2, v2, v5
	;; [unrolled: 3-line block ×5, first 2 shown]
	s_and_saveexec_b32 s3, vcc_lo
; %bb.30:
	ds_store_b32 v6, v2 offset:176
; %bb.31:
	s_wait_alu 0xfffe
	s_or_b32 exec_lo, exec_lo, s3
	s_wait_loadcnt_dscnt 0x0
	s_barrier_signal -1
	s_barrier_wait -1
	global_inv scope:SCOPE_SE
	s_and_saveexec_b32 s3, s0
; %bb.32:
	ds_load_b32 v2, v7 offset:176
; %bb.33:
	s_wait_alu 0xfffe
	s_or_b32 exec_lo, exec_lo, s3
	s_wait_dscnt 0x0
	ds_bpermute_b32 v5, v9, v2
	s_wait_dscnt 0x0
	v_add_f32_e32 v2, v2, v5
	ds_bpermute_b32 v4, v4, v2
	s_wait_dscnt 0x0
	v_add_f32_e32 v2, v2, v4
	v_mov_b32_e32 v4, 0
	ds_bpermute_b32 v2, v4, v2
	s_and_saveexec_b32 s0, s1
	s_cbranch_execz .LBB130_36
; %bb.34:
	s_wait_dscnt 0x0
	v_add_f32_e32 v5, 0x358637bd, v2
	s_mov_b32 s1, 0
	s_delay_alu instid0(VALU_DEP_1) | instskip(SKIP_1) | instid1(VALU_DEP_2)
	v_div_scale_f32 v4, null, v5, v5, 1.0
	v_div_scale_f32 v8, vcc_lo, 1.0, v5, 1.0
	v_rcp_f32_e32 v6, v4
	s_delay_alu instid0(TRANS32_DEP_1) | instskip(NEXT) | instid1(VALU_DEP_1)
	v_fma_f32 v7, -v4, v6, 1.0
	v_fmac_f32_e32 v6, v7, v6
	s_delay_alu instid0(VALU_DEP_1) | instskip(NEXT) | instid1(VALU_DEP_1)
	v_mul_f32_e32 v7, v8, v6
	v_fma_f32 v9, -v4, v7, v8
	s_delay_alu instid0(VALU_DEP_1) | instskip(NEXT) | instid1(VALU_DEP_1)
	v_fmac_f32_e32 v7, v9, v6
	v_fma_f32 v4, -v4, v7, v8
	s_wait_alu 0xfffd
	s_delay_alu instid0(VALU_DEP_1) | instskip(SKIP_1) | instid1(VALU_DEP_2)
	v_div_fmas_f32 v6, v4, v6, v7
	v_mov_b32_e32 v4, v23
	v_div_fixup_f32 v5, v6, v5, 1.0
	v_mov_b32_e32 v6, v0
.LBB130_35:                             ; =>This Inner Loop Header: Depth=1
	ds_load_b32 v7, v4
	s_wait_dscnt 0x0
	v_dual_mul_f32 v7, v5, v7 :: v_dual_add_nc_u32 v6, 0x80, v6
	s_delay_alu instid0(VALU_DEP_1)
	v_cmp_le_i32_e32 vcc_lo, s11, v6
	ds_store_b32 v4, v7
	v_add_nc_u32_e32 v4, 0x200, v4
	s_wait_alu 0xfffe
	s_or_b32 s1, vcc_lo, s1
	s_wait_alu 0xfffe
	s_and_not1_b32 exec_lo, exec_lo, s1
	s_cbranch_execnz .LBB130_35
.LBB130_36:
	s_wait_alu 0xfffe
	s_or_b32 exec_lo, exec_lo, s0
	s_mul_i32 s0, s19, s24
	s_wait_loadcnt_dscnt 0x0
	s_wait_alu 0xfffe
	s_mul_i32 s24, s0, s25
	s_mov_b32 s0, exec_lo
	s_barrier_signal -1
	s_barrier_wait -1
	global_inv scope:SCOPE_SE
	v_cmpx_eq_u32_e32 0, v0
	s_cbranch_execz .LBB130_38
; %bb.37:
	s_ashr_i32 s25, s24, 31
	s_wait_alu 0xfffe
	s_mul_i32 s36, s19, ttmp9
	s_lshl_b32 s1, s30, 2
	s_lshl_b64 s[40:41], s[24:25], 2
	s_wait_alu 0xfffe
	s_ashr_i32 s37, s36, 31
	v_mov_b32_e32 v4, s1
	s_wait_kmcnt 0x0
	s_add_nc_u64 s[6:7], s[6:7], s[40:41]
	s_wait_alu 0xfffe
	s_lshl_b64 s[36:37], s[36:37], 2
	s_add_nc_u64 s[4:5], s[4:5], s[40:41]
	s_wait_alu 0xfffe
	s_add_nc_u64 s[6:7], s[6:7], s[36:37]
	s_add_nc_u64 s[4:5], s[4:5], s[36:37]
	s_clause 0x1
	global_store_b32 v4, v1, s[6:7]
	global_store_b32 v4, v2, s[4:5]
.LBB130_38:
	s_wait_alu 0xfffe
	s_or_b32 exec_lo, exec_lo, s0
	v_dual_mov_b32 v26, 0 :: v_dual_mov_b32 v25, 0
	v_or_b32_e32 v27, 64, v22
	v_mov_b32_e32 v24, 0
	s_and_saveexec_b32 s25, s2
	s_cbranch_execz .LBB130_52
; %bb.39:
	s_abs_i32 s36, s10
	s_ashr_i32 s15, s14, 31
	s_wait_alu 0xfffe
	s_cvt_f32_u32 s0, s36
	s_lshl_b64 s[2:3], s[14:15], 1
	v_dual_mov_b32 v25, 0 :: v_dual_lshlrev_b32 v2, 3, v22
	s_wait_alu 0xfffe
	v_rcp_iflag_f32_e32 v1, s0
	s_lshl_b64 s[0:1], s[26:27], 2
	v_mov_b32_e32 v24, 0
	s_wait_kmcnt 0x0
	s_add_nc_u64 s[26:27], s[28:29], s[2:3]
	s_wait_alu 0xfffe
	s_add_nc_u64 s[0:1], s[16:17], s[0:1]
	s_sub_co_i32 s5, 0, s36
	s_wait_alu 0xfffe
	v_add_co_u32 v17, s0, s0, v3
	v_lshl_add_u32 v28, v19, 5, 0xc0
	s_wait_alu 0xf1ff
	v_add_co_ci_u32_e64 v18, null, s1, 0, s0
	v_readfirstlane_b32 s4, v1
	v_lshlrev_b32_e32 v1, 3, v27
	v_dual_mov_b32 v26, 0 :: v_dual_lshlrev_b32 v29, 1, v2
	s_sub_co_i32 s37, s8, s9
	s_mul_f32 s4, s4, 0x4f7ffffe
	s_delay_alu instid0(VALU_DEP_2)
	v_lshlrev_b32_e32 v30, 1, v1
	s_mov_b32 s38, s13
	s_add_co_i32 s39, s39, -1
	s_wait_alu 0xfffe
	s_cvt_u32_f32 s2, s4
	s_mov_b32 s40, 0
	s_mov_b32 s28, s31
	v_cmp_gt_u32_e32 vcc_lo, 0x50, v27
	s_wait_alu 0xfffe
	s_mul_i32 s5, s5, s2
	s_wait_alu 0xfffe
	s_mul_hi_u32 s0, s2, s5
	s_wait_alu 0xfffe
	s_add_co_i32 s29, s2, s0
	s_branch .LBB130_43
.LBB130_40:                             ;   in Loop: Header=BB130_43 Depth=1
	s_wait_alu 0xfffe
	s_or_b32 exec_lo, exec_lo, s17
	v_perm_b32 v11, v40, v39, 0x7060302
	v_perm_b32 v12, v42, v41, 0x7060302
	s_wait_loadcnt 0x0
	v_and_b32_e32 v41, 0xffff0000, v2
	v_lshlrev_b32_e32 v2, 16, v2
	v_and_b32_e32 v39, 0xffff0000, v1
	v_lshlrev_b32_e32 v1, 16, v1
	;; [unrolled: 2-line block ×3, first 2 shown]
	v_perm_b32 v31, v44, v43, 0x7060302
	v_perm_b32 v32, v46, v45, 0x7060302
	s_delay_alu instid0(VALU_DEP_3)
	v_mul_f32_e32 v1, v11, v1
	v_mul_f32_e32 v39, v40, v39
	v_and_b32_e32 v11, 0xffff0000, v3
	v_and_b32_e32 v40, 0xffff0000, v12
	v_lshlrev_b32_e32 v3, 16, v3
	v_or_b32_e32 v43, 0x400000, v1
	v_bfe_u32 v42, v39, 16, 1
	v_cmp_u_f32_e64 s9, v39, v39
	v_mul_f32_e32 v40, v40, v41
	v_or_b32_e32 v41, 0x400000, v39
	s_delay_alu instid0(VALU_DEP_4) | instskip(NEXT) | instid1(VALU_DEP_3)
	v_add3_u32 v42, v42, v39, 0x7fff
	v_bfe_u32 v44, v40, 16, 1
	s_wait_alu 0xf1ff
	s_delay_alu instid0(VALU_DEP_2)
	v_cndmask_b32_e64 v39, v42, v41, s9
	v_and_b32_e32 v41, 0xffff0000, v31
	v_lshlrev_b32_e32 v31, 16, v31
	v_lshlrev_b32_e32 v12, 16, v12
	v_cmp_u_f32_e64 s9, v1, v1
	v_or_b32_e32 v42, 0x400000, v40
	v_mul_f32_e32 v11, v41, v11
	s_delay_alu instid0(VALU_DEP_4) | instskip(SKIP_3) | instid1(VALU_DEP_4)
	v_dual_mul_f32 v3, v31, v3 :: v_dual_mul_f32 v2, v12, v2
	v_bfe_u32 v12, v1, 16, 1
	v_and_b32_e32 v31, 0xffff0000, v4
	v_and_b32_e32 v39, 0xffff0000, v39
	v_or_b32_e32 v41, 0x400000, v2
	s_delay_alu instid0(VALU_DEP_4) | instskip(SKIP_1) | instid1(VALU_DEP_1)
	v_add3_u32 v12, v12, v1, 0x7fff
	s_wait_alu 0xf1ff
	v_cndmask_b32_e64 v1, v12, v43, s9
	v_add3_u32 v12, v44, v40, 0x7fff
	v_bfe_u32 v43, v2, 16, 1
	v_cmp_u_f32_e64 s9, v40, v40
	s_delay_alu instid0(VALU_DEP_4) | instskip(NEXT) | instid1(VALU_DEP_3)
	v_and_b32_e32 v1, 0xffff0000, v1
	v_add3_u32 v40, v43, v2, 0x7fff
	s_wait_alu 0xf1ff
	s_delay_alu instid0(VALU_DEP_3)
	v_cndmask_b32_e64 v12, v12, v42, s9
	v_bfe_u32 v42, v11, 16, 1
	v_and_b32_e32 v43, 0xffff0000, v32
	v_lshlrev_b32_e32 v4, 16, v4
	v_dual_add_f32 v1, v1, v39 :: v_dual_lshlrev_b32 v32, 16, v32
	v_cmp_u_f32_e64 s9, v2, v2
	v_and_b32_e32 v12, 0xffff0000, v12
	s_delay_alu instid0(VALU_DEP_3)
	v_mul_f32_e32 v4, v32, v4
	v_or_b32_e32 v32, 0x400000, v11
	s_wait_alu 0xf1ff
	v_cndmask_b32_e64 v2, v40, v41, s9
	v_bfe_u32 v40, v3, 16, 1
	v_add3_u32 v41, v42, v11, 0x7fff
	v_cmp_u_f32_e64 s9, v11, v11
	v_or_b32_e32 v42, 0x400000, v3
	v_and_b32_e32 v2, 0xffff0000, v2
	v_add3_u32 v40, v40, v3, 0x7fff
	v_bfe_u32 v44, v4, 16, 1
	s_wait_alu 0xf1ff
	v_cndmask_b32_e64 v11, v41, v32, s9
	v_cmp_u_f32_e64 s9, v3, v3
	v_add_f32_e32 v2, v2, v12
	v_or_b32_e32 v41, 0x400000, v4
	s_delay_alu instid0(VALU_DEP_4)
	v_and_b32_e32 v11, 0xffff0000, v11
	s_wait_alu 0xf1ff
	v_cndmask_b32_e64 v3, v40, v42, s9
	v_add_f32_e32 v1, v2, v1
	v_add3_u32 v40, v44, v4, 0x7fff
	v_cmp_u_f32_e64 s9, v4, v4
	s_delay_alu instid0(VALU_DEP_4) | instskip(SKIP_1) | instid1(VALU_DEP_2)
	v_and_b32_e32 v3, 0xffff0000, v3
	s_wait_alu 0xf1ff
	v_cndmask_b32_e64 v4, v40, v41, s9
	s_delay_alu instid0(VALU_DEP_2) | instskip(SKIP_1) | instid1(VALU_DEP_3)
	v_add_f32_e32 v2, v3, v11
	v_mul_f32_e32 v31, v43, v31
	v_and_b32_e32 v3, 0xffff0000, v4
	s_delay_alu instid0(VALU_DEP_3) | instskip(NEXT) | instid1(VALU_DEP_3)
	v_add_f32_e32 v1, v2, v1
	v_bfe_u32 v43, v31, 16, 1
	v_or_b32_e32 v42, 0x400000, v31
	v_cmp_u_f32_e64 s9, v31, v31
	s_delay_alu instid0(VALU_DEP_3) | instskip(SKIP_1) | instid1(VALU_DEP_1)
	v_add3_u32 v32, v43, v31, 0x7fff
	s_wait_alu 0xf1ff
	v_cndmask_b32_e64 v12, v32, v42, s9
	s_delay_alu instid0(VALU_DEP_1) | instskip(NEXT) | instid1(VALU_DEP_1)
	v_and_b32_e32 v4, 0xffff0000, v12
	v_add_f32_e32 v2, v3, v4
	s_delay_alu instid0(VALU_DEP_1) | instskip(NEXT) | instid1(VALU_DEP_1)
	v_add_f32_e32 v1, v2, v1
	v_add_f32_e32 v24, v24, v1
.LBB130_41:                             ;   in Loop: Header=BB130_43 Depth=1
	s_or_b32 exec_lo, exec_lo, s42
	v_bfe_u32 v1, v16, 16, 1
	v_bfe_u32 v2, v38, 16, 1
	v_or_b32_e32 v3, 0x400000, v16
	v_or_b32_e32 v4, 0x400000, v38
	v_bfe_u32 v11, v37, 16, 1
	v_add3_u32 v1, v1, v16, 0x7fff
	v_add3_u32 v2, v2, v38, 0x7fff
	v_bfe_u32 v12, v36, 16, 1
	v_bfe_u32 v16, v35, 16, 1
	v_or_b32_e32 v31, 0x400000, v35
	s_wait_alu 0xf1ff
	v_cndmask_b32_e64 v1, v1, v3, s10
	v_cndmask_b32_e64 v2, v2, v4, s16
	v_add3_u32 v3, v11, v37, 0x7fff
	v_or_b32_e32 v4, 0x400000, v37
	v_add3_u32 v11, v12, v36, 0x7fff
	v_or_b32_e32 v12, 0x400000, v36
	v_add3_u32 v16, v16, v35, 0x7fff
	v_bfe_u32 v32, v15, 16, 1
	v_cndmask_b32_e64 v3, v3, v4, s15
	v_bfe_u32 v4, v34, 16, 1
	v_cndmask_b32_e64 v11, v11, v12, s11
	v_cndmask_b32_e64 v12, v16, v31, s12
	v_add3_u32 v16, v32, v15, 0x7fff
	v_or_b32_e32 v15, 0x400000, v15
	v_and_b32_e32 v3, 0xffff0000, v3
	v_and_b32_e32 v11, 0xffff0000, v11
	;; [unrolled: 1-line block ×5, first 2 shown]
	v_bfe_u32 v31, v33, 16, 1
	v_add3_u32 v4, v4, v34, 0x7fff
	v_or_b32_e32 v32, 0x400000, v34
	s_delay_alu instid0(VALU_DEP_4)
	v_dual_add_f32 v1, v2, v1 :: v_dual_add_f32 v2, v11, v3
	v_cndmask_b32_e64 v3, v16, v15, s8
	v_bfe_u32 v15, v14, 16, 1
	v_add3_u32 v31, v31, v33, 0x7fff
	v_or_b32_e32 v33, 0x400000, v33
	v_bfe_u32 v16, v8, 16, 1
	v_and_b32_e32 v3, 0xffff0000, v3
	v_add3_u32 v15, v15, v14, 0x7fff
	v_or_b32_e32 v14, 0x400000, v14
	v_cndmask_b32_e64 v11, v31, v33, s14
	v_bfe_u32 v31, v6, 16, 1
	v_add_f32_e32 v3, v3, v12
	v_bfe_u32 v12, v7, 16, 1
	v_cndmask_b32_e64 v14, v15, v14, s6
	v_add_f32_e32 v1, v2, v1
	v_bfe_u32 v2, v13, 16, 1
	v_bfe_u32 v15, v9, 16, 1
	v_add3_u32 v12, v12, v7, 0x7fff
	v_or_b32_e32 v7, 0x400000, v7
	v_add3_u32 v16, v16, v8, 0x7fff
	v_add3_u32 v2, v2, v13, 0x7fff
	v_or_b32_e32 v13, 0x400000, v13
	v_or_b32_e32 v8, 0x400000, v8
	v_cndmask_b32_e64 v7, v12, v7, s2
	v_add3_u32 v12, v31, v6, 0x7fff
	v_or_b32_e32 v6, 0x400000, v6
	v_cndmask_b32_e64 v2, v2, v13, s7
	v_bfe_u32 v13, v10, 16, 1
	v_cndmask_b32_e64 v4, v4, v32, s13
	v_add3_u32 v15, v15, v9, 0x7fff
	v_or_b32_e32 v9, 0x400000, v9
	v_cndmask_b32_e64 v8, v16, v8, s5
	v_add3_u32 v13, v13, v10, 0x7fff
	v_or_b32_e32 v10, 0x400000, v10
	v_cndmask_b32_e64 v6, v12, v6, s0
	v_cndmask_b32_e64 v9, v15, v9, s4
	v_and_b32_e32 v14, 0xffff0000, v14
	v_dual_add_f32 v1, v3, v1 :: v_dual_and_b32 v8, 0xffff0000, v8
	v_cndmask_b32_e64 v10, v13, v10, s3
	v_bfe_u32 v13, v5, 16, 1
	v_and_b32_e32 v4, 0xffff0000, v4
	v_and_b32_e32 v6, 0xffff0000, v6
	;; [unrolled: 1-line block ×4, first 2 shown]
	v_add3_u32 v13, v13, v5, 0x7fff
	v_or_b32_e32 v5, 0x400000, v5
	v_and_b32_e32 v10, 0xffff0000, v10
	v_add_f32_e32 v2, v2, v14
	s_delay_alu instid0(VALU_DEP_3) | instskip(NEXT) | instid1(VALU_DEP_1)
	v_cndmask_b32_e64 v5, v13, v5, s1
	v_and_b32_e32 v5, 0xffff0000, v5
	v_and_b32_e32 v11, 0xffff0000, v11
	s_delay_alu instid0(VALU_DEP_1) | instskip(SKIP_1) | instid1(VALU_DEP_2)
	v_dual_add_f32 v3, v11, v4 :: v_dual_add_f32 v4, v5, v6
	v_and_b32_e32 v7, 0xffff0000, v7
	v_add_f32_e32 v1, v3, v1
	s_delay_alu instid0(VALU_DEP_2) | instskip(NEXT) | instid1(VALU_DEP_1)
	v_add_f32_e32 v7, v10, v7
	v_dual_add_f32 v2, v7, v2 :: v_dual_add_f32 v7, v8, v9
	s_delay_alu instid0(VALU_DEP_1) | instskip(NEXT) | instid1(VALU_DEP_1)
	v_add_f32_e32 v2, v7, v2
	v_add_f32_e32 v2, v4, v2
	s_delay_alu instid0(VALU_DEP_1)
	v_dual_add_f32 v26, v26, v1 :: v_dual_add_f32 v25, v25, v2
.LBB130_42:                             ;   in Loop: Header=BB130_43 Depth=1
	s_wait_alu 0xfffe
	s_or_b32 exec_lo, exec_lo, s41
	v_add_nc_u32_e32 v21, 4, v21
	v_add_co_u32 v17, s1, v17, 16
	s_wait_alu 0xf1ff
	v_add_co_ci_u32_e64 v18, null, 0, v18, s1
	s_delay_alu instid0(VALU_DEP_3)
	v_cmp_le_i32_e64 s0, s35, v21
	v_add_nc_u32_e32 v20, 32, v20
	v_add_nc_u32_e32 v28, 0x80, v28
	s_or_b32 s40, s0, s40
	s_wait_alu 0xfffe
	s_and_not1_b32 exec_lo, exec_lo, s40
	s_cbranch_execz .LBB130_51
.LBB130_43:                             ; =>This Inner Loop Header: Depth=1
	v_sub_nc_u32_e32 v1, 0, v20
	s_delay_alu instid0(VALU_DEP_1) | instskip(NEXT) | instid1(VALU_DEP_1)
	v_max_i32_e32 v1, v20, v1
	v_mul_hi_u32 v2, v1, s20
	s_delay_alu instid0(VALU_DEP_1) | instskip(NEXT) | instid1(VALU_DEP_1)
	v_mul_lo_u32 v3, v2, s33
	v_sub_nc_u32_e32 v1, v1, v3
	v_add_nc_u32_e32 v3, 1, v2
	s_delay_alu instid0(VALU_DEP_2) | instskip(SKIP_2) | instid1(VALU_DEP_1)
	v_subrev_nc_u32_e32 v4, s33, v1
	v_cmp_le_u32_e64 s0, s33, v1
	s_wait_alu 0xf1ff
	v_cndmask_b32_e64 v2, v2, v3, s0
	s_delay_alu instid0(VALU_DEP_3) | instskip(SKIP_1) | instid1(VALU_DEP_3)
	v_cndmask_b32_e64 v1, v1, v4, s0
	v_ashrrev_i32_e32 v3, 31, v20
	v_add_nc_u32_e32 v4, 1, v2
	s_delay_alu instid0(VALU_DEP_3) | instskip(NEXT) | instid1(VALU_DEP_3)
	v_cmp_le_u32_e64 s0, s33, v1
	v_xor_b32_e32 v3, s21, v3
	s_wait_alu 0xf1ff
	s_delay_alu instid0(VALU_DEP_2) | instskip(NEXT) | instid1(VALU_DEP_1)
	v_cndmask_b32_e64 v1, v2, v4, s0
	v_xor_b32_e32 v1, v1, v3
	s_delay_alu instid0(VALU_DEP_1) | instskip(NEXT) | instid1(VALU_DEP_1)
	v_sub_nc_u32_e32 v1, v1, v3
	v_add_nc_u32_e32 v2, s34, v1
	v_cmp_lt_i32_e64 s1, s37, v1
	s_delay_alu instid0(VALU_DEP_2) | instskip(NEXT) | instid1(VALU_DEP_1)
	v_sub_nc_u32_e32 v3, 0, v2
	v_max_i32_e32 v3, v2, v3
	v_ashrrev_i32_e32 v2, 31, v2
	s_wait_alu 0xfffe
	s_delay_alu instid0(VALU_DEP_2) | instskip(NEXT) | instid1(VALU_DEP_1)
	v_mul_hi_u32 v4, v3, s29
	v_mul_lo_u32 v4, v4, s36
	s_delay_alu instid0(VALU_DEP_1) | instskip(NEXT) | instid1(VALU_DEP_1)
	v_sub_nc_u32_e32 v3, v3, v4
	v_subrev_nc_u32_e32 v4, s36, v3
	v_cmp_le_u32_e64 s0, s36, v3
	s_wait_alu 0xf1ff
	s_delay_alu instid0(VALU_DEP_1) | instskip(NEXT) | instid1(VALU_DEP_1)
	v_cndmask_b32_e64 v3, v3, v4, s0
	v_subrev_nc_u32_e32 v4, s36, v3
	v_cmp_le_u32_e64 s0, s36, v3
	s_wait_alu 0xf1ff
	s_delay_alu instid0(VALU_DEP_1) | instskip(NEXT) | instid1(VALU_DEP_1)
	v_cndmask_b32_e64 v3, v3, v4, s0
	v_xor_b32_e32 v3, v3, v2
	s_delay_alu instid0(VALU_DEP_1) | instskip(NEXT) | instid1(VALU_DEP_1)
	v_sub_nc_u32_e32 v2, v3, v2
	v_cmp_eq_u32_e64 s0, 0, v2
	s_or_b32 s0, s0, s1
	s_wait_alu 0xfffe
	s_and_saveexec_b32 s41, s0
	s_cbranch_execz .LBB130_42
; %bb.44:                               ;   in Loop: Header=BB130_43 Depth=1
	global_load_b32 v1, v[17:18], off
	v_cmp_eq_u32_e64 s9, s39, v21
	s_wait_loadcnt 0x0
	v_mad_co_i64_i32 v[1:2], null, v1, s38, 0
	s_delay_alu instid0(VALU_DEP_1) | instskip(NEXT) | instid1(VALU_DEP_1)
	v_lshlrev_b64_e32 v[1:2], 1, v[1:2]
	v_add_co_u32 v31, s0, s26, v1
	s_wait_alu 0xf1ff
	s_delay_alu instid0(VALU_DEP_2) | instskip(NEXT) | instid1(VALU_DEP_2)
	v_add_co_ci_u32_e64 v32, null, s27, v2, s0
	v_add_co_u32 v9, s0, v31, v29
	s_wait_alu 0xf1ff
	s_delay_alu instid0(VALU_DEP_2)
	v_add_co_ci_u32_e64 v10, null, 0, v32, s0
	global_load_b128 v[1:4], v[9:10], off
	ds_load_2addr_b64 v[13:16], v28 offset1:1
	ds_load_2addr_b64 v[5:8], v28 offset0:2 offset1:3
	s_and_saveexec_b32 s1, s9
	s_cbranch_execz .LBB130_46
; %bb.45:                               ;   in Loop: Header=BB130_43 Depth=1
	v_add_nc_u32_e32 v11, 1, v20
	s_wait_loadcnt 0x0
	v_lshrrev_b32_e32 v12, 16, v1
	v_or_b32_e32 v33, 2, v20
	v_lshrrev_b32_e32 v34, 16, v2
	v_or_b32_e32 v35, 4, v20
	v_cmp_gt_i32_e64 s0, s28, v11
	v_or_b32_e32 v36, 7, v20
	v_lshrrev_b32_e32 v37, 16, v4
	s_wait_alu 0xf1ff
	s_delay_alu instid0(VALU_DEP_3) | instskip(SKIP_3) | instid1(VALU_DEP_2)
	v_cndmask_b32_e64 v11, 0, v12, s0
	v_cmp_gt_i32_e64 s0, s31, v20
	v_or_b32_e32 v12, 3, v20
	s_wait_alu 0xf1ff
	v_cndmask_b32_e64 v1, 0, v1, s0
	v_cmp_gt_i32_e64 s0, s31, v33
	v_or_b32_e32 v33, 5, v20
	s_delay_alu instid0(VALU_DEP_3) | instskip(SKIP_1) | instid1(VALU_DEP_3)
	v_perm_b32 v1, v11, v1, 0x5040100
	s_wait_alu 0xf1ff
	v_cndmask_b32_e64 v2, 0, v2, s0
	v_cmp_gt_i32_e64 s0, s28, v12
	s_wait_alu 0xf1ff
	s_delay_alu instid0(VALU_DEP_1) | instskip(SKIP_2) | instid1(VALU_DEP_3)
	v_cndmask_b32_e64 v12, 0, v34, s0
	v_cmp_gt_i32_e64 s0, s31, v35
	v_or_b32_e32 v35, 6, v20
	v_perm_b32 v2, v12, v2, 0x5040100
	s_wait_alu 0xf1ff
	s_delay_alu instid0(VALU_DEP_3) | instskip(SKIP_3) | instid1(VALU_DEP_1)
	v_cndmask_b32_e64 v34, 0, v3, s0
	v_lshrrev_b32_e32 v3, 16, v3
	v_cmp_gt_i32_e64 s0, s28, v33
	s_wait_alu 0xf1ff
	v_cndmask_b32_e64 v3, 0, v3, s0
	v_cmp_gt_i32_e64 s0, s31, v35
	s_delay_alu instid0(VALU_DEP_2) | instskip(SKIP_1) | instid1(VALU_DEP_2)
	v_perm_b32 v3, v3, v34, 0x5040100
	s_wait_alu 0xf1ff
	v_cndmask_b32_e64 v4, 0, v4, s0
	v_cmp_gt_i32_e64 s0, s28, v36
	s_wait_alu 0xf1ff
	s_delay_alu instid0(VALU_DEP_1) | instskip(NEXT) | instid1(VALU_DEP_1)
	v_cndmask_b32_e64 v33, 0, v37, s0
	v_perm_b32 v4, v33, v4, 0x5040100
.LBB130_46:                             ;   in Loop: Header=BB130_43 Depth=1
	s_wait_alu 0xfffe
	s_or_b32 exec_lo, exec_lo, s1
	global_load_b128 v[9:12], v[9:10], off offset:512
	s_and_saveexec_b32 s1, s9
	s_cbranch_execz .LBB130_48
; %bb.47:                               ;   in Loop: Header=BB130_43 Depth=1
	v_add_nc_u32_e32 v33, 1, v20
	s_wait_loadcnt 0x0
	v_lshrrev_b32_e32 v34, 16, v9
	v_or_b32_e32 v35, 2, v20
	v_lshrrev_b32_e32 v36, 16, v10
	v_or_b32_e32 v37, 4, v20
	v_cmp_gt_i32_e64 s0, s28, v33
	v_or_b32_e32 v38, 7, v20
	v_lshrrev_b32_e32 v39, 16, v12
	s_wait_alu 0xf1ff
	s_delay_alu instid0(VALU_DEP_3) | instskip(SKIP_3) | instid1(VALU_DEP_2)
	v_cndmask_b32_e64 v33, 0, v34, s0
	v_cmp_gt_i32_e64 s0, s31, v20
	v_or_b32_e32 v34, 3, v20
	s_wait_alu 0xf1ff
	v_cndmask_b32_e64 v9, 0, v9, s0
	v_cmp_gt_i32_e64 s0, s31, v35
	v_or_b32_e32 v35, 5, v20
	s_delay_alu instid0(VALU_DEP_3) | instskip(SKIP_1) | instid1(VALU_DEP_3)
	v_perm_b32 v9, v33, v9, 0x5040100
	s_wait_alu 0xf1ff
	v_cndmask_b32_e64 v10, 0, v10, s0
	v_cmp_gt_i32_e64 s0, s28, v34
	s_wait_alu 0xf1ff
	s_delay_alu instid0(VALU_DEP_1) | instskip(SKIP_2) | instid1(VALU_DEP_3)
	v_cndmask_b32_e64 v34, 0, v36, s0
	v_cmp_gt_i32_e64 s0, s31, v37
	v_or_b32_e32 v37, 6, v20
	v_perm_b32 v10, v34, v10, 0x5040100
	s_wait_alu 0xf1ff
	s_delay_alu instid0(VALU_DEP_3) | instskip(SKIP_3) | instid1(VALU_DEP_1)
	v_cndmask_b32_e64 v36, 0, v11, s0
	v_lshrrev_b32_e32 v11, 16, v11
	v_cmp_gt_i32_e64 s0, s28, v35
	s_wait_alu 0xf1ff
	v_cndmask_b32_e64 v11, 0, v11, s0
	v_cmp_gt_i32_e64 s0, s31, v37
	s_delay_alu instid0(VALU_DEP_2) | instskip(SKIP_1) | instid1(VALU_DEP_2)
	v_perm_b32 v11, v11, v36, 0x5040100
	s_wait_alu 0xf1ff
	v_cndmask_b32_e64 v12, 0, v12, s0
	v_cmp_gt_i32_e64 s0, s28, v38
	s_wait_alu 0xf1ff
	s_delay_alu instid0(VALU_DEP_1) | instskip(NEXT) | instid1(VALU_DEP_1)
	v_cndmask_b32_e64 v35, 0, v39, s0
	v_perm_b32 v12, v35, v12, 0x5040100
.LBB130_48:                             ;   in Loop: Header=BB130_43 Depth=1
	s_wait_alu 0xfffe
	s_or_b32 exec_lo, exec_lo, s1
	s_wait_dscnt 0x1
	v_bfe_u32 v33, v13, 16, 1
	v_or_b32_e32 v34, 0x400000, v13
	v_bfe_u32 v35, v14, 16, 1
	v_cmp_u_f32_e64 s0, v13, v13
	v_bfe_u32 v36, v15, 16, 1
	v_add3_u32 v33, v33, v13, 0x7fff
	v_or_b32_e32 v37, 0x400000, v14
	v_add3_u32 v35, v35, v14, 0x7fff
	v_or_b32_e32 v38, 0x400000, v15
	v_add3_u32 v36, v36, v15, 0x7fff
	s_wait_alu 0xf1ff
	v_cndmask_b32_e64 v39, v33, v34, s0
	v_cmp_u_f32_e64 s0, v14, v14
	v_bfe_u32 v13, v16, 16, 1
	s_wait_dscnt 0x0
	v_bfe_u32 v14, v5, 16, 1
	v_bfe_u32 v33, v6, 16, 1
	v_or_b32_e32 v34, 0x400000, v5
	s_wait_alu 0xf1ff
	v_cndmask_b32_e64 v40, v35, v37, s0
	v_cmp_u_f32_e64 s0, v15, v15
	v_add3_u32 v13, v13, v16, 0x7fff
	v_or_b32_e32 v15, 0x400000, v16
	v_add3_u32 v14, v14, v5, 0x7fff
	s_wait_loadcnt 0x0
	v_and_b32_e32 v49, 0xffff0000, v10
	s_wait_alu 0xf1ff
	v_cndmask_b32_e64 v41, v36, v38, s0
	v_cmp_u_f32_e64 s0, v16, v16
	s_wait_alu 0xf1ff
	s_delay_alu instid0(VALU_DEP_1)
	v_cndmask_b32_e64 v42, v13, v15, s0
	v_cmp_u_f32_e64 s0, v5, v5
	v_add3_u32 v13, v33, v6, 0x7fff
	v_or_b32_e32 v15, 0x400000, v6
	v_bfe_u32 v5, v7, 16, 1
	v_or_b32_e32 v33, 0x400000, v8
	s_wait_alu 0xf1ff
	v_cndmask_b32_e64 v43, v14, v34, s0
	v_cmp_u_f32_e64 s0, v6, v6
	v_bfe_u32 v6, v8, 16, 1
	v_add3_u32 v5, v5, v7, 0x7fff
	s_delay_alu instid0(VALU_DEP_4)
	v_and_b32_e32 v48, 0xffff0000, v43
	s_wait_alu 0xf1ff
	v_cndmask_b32_e64 v44, v13, v15, s0
	v_or_b32_e32 v15, 0x400000, v7
	v_cmp_u_f32_e64 s0, v7, v7
	v_add3_u32 v6, v6, v8, 0x7fff
	v_and_b32_e32 v7, 0xffff0000, v2
	v_lshlrev_b32_e32 v2, 16, v2
	v_and_b32_e32 v47, 0xffff0000, v44
	s_wait_alu 0xf1ff
	v_cndmask_b32_e64 v45, v5, v15, s0
	v_cmp_u_f32_e64 s0, v8, v8
	v_and_b32_e32 v8, 0xffff0000, v41
	v_and_b32_e32 v5, 0xffff0000, v39
	s_wait_alu 0xf1ff
	s_delay_alu instid0(VALU_DEP_3) | instskip(SKIP_4) | instid1(VALU_DEP_4)
	v_cndmask_b32_e64 v46, v6, v33, s0
	v_and_b32_e32 v6, 0xffff0000, v42
	v_and_b32_e32 v14, 0xffff0000, v1
	v_mul_f32_e32 v36, v8, v2
	v_and_b32_e32 v2, 0xffff0000, v4
	v_dual_mul_f32 v37, v6, v7 :: v_dual_lshlrev_b32 v4, 16, v4
	v_and_b32_e32 v7, 0xffff0000, v9
	v_lshlrev_b32_e32 v1, 16, v1
	v_and_b32_e32 v13, 0xffff0000, v40
	v_lshlrev_b32_e32 v9, 16, v9
	v_cmp_u_f32_e64 s15, v37, v37
	v_cmp_u_f32_e64 s11, v36, v36
	v_mul_f32_e32 v38, v5, v1
	v_mul_f32_e32 v16, v13, v14
	v_and_b32_e32 v14, 0xffff0000, v3
	v_and_b32_e32 v1, 0xffff0000, v46
	v_lshlrev_b32_e32 v3, 16, v3
	v_cmp_u_f32_e64 s16, v38, v38
	v_cmp_u_f32_e64 s10, v16, v16
	v_mul_f32_e32 v35, v47, v14
	s_delay_alu instid0(VALU_DEP_4)
	v_dual_mul_f32 v34, v1, v2 :: v_dual_mul_f32 v15, v48, v3
	v_lshlrev_b32_e32 v2, 16, v10
	v_dual_mul_f32 v14, v13, v7 :: v_dual_and_b32 v3, 0xffff0000, v45
	v_mul_f32_e32 v13, v5, v9
	v_mul_f32_e32 v7, v6, v49
	v_lshlrev_b32_e32 v5, 16, v11
	v_and_b32_e32 v6, 0xffff0000, v12
	v_dual_mul_f32 v10, v8, v2 :: v_dual_mul_f32 v33, v3, v4
	v_and_b32_e32 v4, 0xffff0000, v11
	s_delay_alu instid0(VALU_DEP_4) | instskip(NEXT) | instid1(VALU_DEP_4)
	v_dual_mul_f32 v8, v48, v5 :: v_dual_lshlrev_b32 v11, 16, v12
	v_mul_f32_e32 v6, v1, v6
	v_cmp_u_f32_e64 s12, v35, v35
	s_delay_alu instid0(VALU_DEP_4) | instskip(NEXT) | instid1(VALU_DEP_4)
	v_mul_f32_e32 v9, v47, v4
	v_mul_f32_e32 v5, v3, v11
	v_cmp_u_f32_e64 s8, v15, v15
	v_cmp_u_f32_e64 s13, v34, v34
	;; [unrolled: 1-line block ×11, first 2 shown]
	s_and_saveexec_b32 s42, vcc_lo
	s_cbranch_execz .LBB130_41
; %bb.49:                               ;   in Loop: Header=BB130_43 Depth=1
	v_add_co_u32 v1, s17, v31, v30
	s_wait_alu 0xf1ff
	v_add_co_ci_u32_e64 v2, null, 0, v32, s17
	global_load_b128 v[1:4], v[1:2], off
	s_and_saveexec_b32 s17, s9
	s_cbranch_execz .LBB130_40
; %bb.50:                               ;   in Loop: Header=BB130_43 Depth=1
	v_add_nc_u32_e32 v11, 1, v20
	s_wait_loadcnt 0x0
	v_lshrrev_b32_e32 v12, 16, v1
	v_or_b32_e32 v31, 2, v20
	v_lshrrev_b32_e32 v32, 16, v2
	v_or_b32_e32 v47, 4, v20
	v_cmp_gt_i32_e64 s9, s28, v11
	v_or_b32_e32 v48, 7, v20
	v_lshrrev_b32_e32 v49, 16, v4
	s_wait_alu 0xf1ff
	s_delay_alu instid0(VALU_DEP_3) | instskip(SKIP_3) | instid1(VALU_DEP_2)
	v_cndmask_b32_e64 v11, 0, v12, s9
	v_cmp_gt_i32_e64 s9, s31, v20
	v_or_b32_e32 v12, 3, v20
	s_wait_alu 0xf1ff
	v_cndmask_b32_e64 v1, 0, v1, s9
	v_cmp_gt_i32_e64 s9, s31, v31
	v_or_b32_e32 v31, 5, v20
	s_delay_alu instid0(VALU_DEP_3) | instskip(SKIP_1) | instid1(VALU_DEP_3)
	v_perm_b32 v1, v11, v1, 0x5040100
	s_wait_alu 0xf1ff
	v_cndmask_b32_e64 v2, 0, v2, s9
	v_cmp_gt_i32_e64 s9, s28, v12
	s_wait_alu 0xf1ff
	s_delay_alu instid0(VALU_DEP_1) | instskip(SKIP_2) | instid1(VALU_DEP_3)
	v_cndmask_b32_e64 v12, 0, v32, s9
	v_cmp_gt_i32_e64 s9, s31, v47
	v_or_b32_e32 v47, 6, v20
	v_perm_b32 v2, v12, v2, 0x5040100
	s_wait_alu 0xf1ff
	s_delay_alu instid0(VALU_DEP_3) | instskip(SKIP_3) | instid1(VALU_DEP_1)
	v_cndmask_b32_e64 v32, 0, v3, s9
	v_lshrrev_b32_e32 v3, 16, v3
	v_cmp_gt_i32_e64 s9, s28, v31
	s_wait_alu 0xf1ff
	v_cndmask_b32_e64 v3, 0, v3, s9
	v_cmp_gt_i32_e64 s9, s31, v47
	s_delay_alu instid0(VALU_DEP_2) | instskip(SKIP_1) | instid1(VALU_DEP_2)
	v_perm_b32 v3, v3, v32, 0x5040100
	s_wait_alu 0xf1ff
	v_cndmask_b32_e64 v4, 0, v4, s9
	v_cmp_gt_i32_e64 s9, s28, v48
	s_wait_alu 0xf1ff
	s_delay_alu instid0(VALU_DEP_1) | instskip(NEXT) | instid1(VALU_DEP_1)
	v_cndmask_b32_e64 v31, 0, v49, s9
	v_perm_b32 v4, v31, v4, 0x5040100
	s_branch .LBB130_40
.LBB130_51:
	s_or_b32 exec_lo, exec_lo, s40
.LBB130_52:
	s_delay_alu instid0(SALU_CYCLE_1)
	s_or_b32 exec_lo, exec_lo, s25
	s_movk_i32 s0, 0x140
	v_and_b32_e32 v2, 0x3c0, v0
	s_wait_alu 0xfffe
	v_mad_u32_u24 v1, v19, s0, 0xc0
	s_mov_b32 s0, exec_lo
	s_wait_loadcnt 0x0
	s_wait_storecnt 0x0
	s_barrier_signal -1
	s_barrier_wait -1
	global_inv scope:SCOPE_SE
	v_cmpx_eq_u32_e32 64, v2
	s_cbranch_execz .LBB130_55
; %bb.53:
	v_add_nc_u32_e32 v2, 0xfffffd80, v1
	v_cmp_gt_u32_e32 vcc_lo, 0x50, v27
	s_delay_alu instid0(VALU_DEP_2)
	v_lshl_add_u32 v3, v22, 2, v2
	ds_store_2addr_b32 v3, v26, v25 offset1:32
	s_and_b32 exec_lo, exec_lo, vcc_lo
; %bb.54:
	v_lshl_add_u32 v2, v27, 2, v2
	ds_store_b32 v2, v24
.LBB130_55:
	s_wait_alu 0xfffe
	s_or_b32 exec_lo, exec_lo, s0
	v_lshl_add_u32 v2, v22, 2, v1
	s_mov_b32 s0, exec_lo
	s_wait_loadcnt_dscnt 0x0
	s_barrier_signal -1
	s_barrier_wait -1
	global_inv scope:SCOPE_SE
	v_cmpx_gt_u32_e32 64, v0
	s_cbranch_execz .LBB130_59
; %bb.56:
	v_lshl_or_b32 v3, v0, 2, 0x80
	s_mov_b32 s1, exec_lo
	s_delay_alu instid0(VALU_DEP_1)
	v_add_nc_u32_e32 v4, v1, v3
	ds_load_b32 v3, v2
	ds_load_b32 v4, v4
	v_cmpx_gt_u32_e32 0x50, v27
	s_cbranch_execz .LBB130_58
; %bb.57:
	ds_load_b32 v5, v2 offset:256
	s_wait_dscnt 0x0
	v_add_f32_e32 v24, v24, v5
.LBB130_58:
	s_wait_alu 0xfffe
	s_or_b32 exec_lo, exec_lo, s1
	s_wait_dscnt 0x0
	v_dual_add_f32 v26, v26, v3 :: v_dual_add_f32 v25, v25, v4
.LBB130_59:
	s_wait_alu 0xfffe
	s_or_b32 exec_lo, exec_lo, s0
	v_and_b32_e32 v3, 0x3e0, v0
	s_mov_b32 s0, exec_lo
	s_wait_loadcnt 0x0
	s_barrier_signal -1
	s_barrier_wait -1
	global_inv scope:SCOPE_SE
	v_cmpx_eq_u32_e32 32, v3
	s_cbranch_execz .LBB130_62
; %bb.60:
	v_lshl_add_u32 v3, v22, 2, 0xc0
	v_cmp_gt_u32_e32 vcc_lo, 0x50, v27
	ds_store_b32 v3, v26
	ds_store_b32 v23, v25
	s_and_b32 exec_lo, exec_lo, vcc_lo
; %bb.61:
	ds_store_b32 v3, v24 offset:256
.LBB130_62:
	s_wait_alu 0xfffe
	s_or_b32 exec_lo, exec_lo, s0
	v_cmp_gt_u32_e32 vcc_lo, 32, v0
	v_or_b32_e32 v3, 64, v0
	s_wait_loadcnt_dscnt 0x0
	s_barrier_signal -1
	s_barrier_wait -1
	global_inv scope:SCOPE_SE
	s_and_saveexec_b32 s1, vcc_lo
	s_cbranch_execz .LBB130_66
; %bb.63:
	v_lshl_add_u32 v4, v0, 2, v1
	s_mov_b32 s2, exec_lo
	ds_load_b32 v1, v2
	ds_load_b32 v2, v4 offset:128
	v_cmpx_gt_u32_e32 0x50, v3
	s_cbranch_execz .LBB130_65
; %bb.64:
	ds_load_b32 v4, v4 offset:256
	s_wait_dscnt 0x0
	v_add_f32_e32 v24, v24, v4
.LBB130_65:
	s_wait_alu 0xfffe
	s_or_b32 exec_lo, exec_lo, s2
	s_wait_dscnt 0x0
	v_dual_add_f32 v26, v26, v1 :: v_dual_add_f32 v25, v25, v2
.LBB130_66:
	s_wait_alu 0xfffe
	s_or_b32 exec_lo, exec_lo, s1
	s_wait_loadcnt 0x0
	s_barrier_signal -1
	s_barrier_wait -1
	global_inv scope:SCOPE_SE
	s_and_saveexec_b32 s0, vcc_lo
	s_cbranch_execz .LBB130_69
; %bb.67:
	v_bfe_u32 v1, v26, 16, 1
	v_bfe_u32 v2, v25, 16, 1
	v_or_b32_e32 v4, 0x400000, v26
	v_cmp_u_f32_e32 vcc_lo, v26, v26
	s_mul_i32 s0, s24, 0x50
	v_add3_u32 v1, v1, v26, 0x7fff
	s_mul_i32 s2, s19, s18
	s_wait_alu 0xfffe
	s_ashr_i32 s1, s0, 31
	v_add3_u32 v2, v2, v25, 0x7fff
	v_or_b32_e32 v5, 0x400000, v25
	s_wait_alu 0xfffd
	v_cndmask_b32_e32 v1, v1, v4, vcc_lo
	v_cmp_u_f32_e32 vcc_lo, v25, v25
	s_ashr_i32 s3, s2, 31
	s_wait_alu 0xfffe
	s_lshl_b64 s[0:1], s[0:1], 1
	s_lshl_b64 s[2:3], s[2:3], 1
	s_wait_kmcnt 0x0
	s_wait_alu 0xfffe
	s_add_nc_u64 s[0:1], s[22:23], s[0:1]
	v_lshlrev_b32_e32 v0, 1, v0
	s_wait_alu 0xfffd
	v_cndmask_b32_e32 v2, v2, v5, vcc_lo
	v_cmp_gt_u32_e32 vcc_lo, 0x50, v3
	s_wait_alu 0xfffe
	s_add_nc_u64 s[0:1], s[0:1], s[2:3]
	s_mul_i32 s2, s30, 0xa0
	s_mov_b32 s3, 0
	s_wait_alu 0xfffe
	s_add_nc_u64 s[0:1], s[0:1], s[2:3]
	s_clause 0x1
	global_store_d16_hi_b16 v0, v1, s[0:1]
	global_store_d16_hi_b16 v0, v2, s[0:1] offset:64
	s_and_b32 exec_lo, exec_lo, vcc_lo
	s_cbranch_execz .LBB130_69
; %bb.68:
	v_bfe_u32 v1, v24, 16, 1
	v_or_b32_e32 v2, 0x400000, v24
	v_cmp_u_f32_e32 vcc_lo, v24, v24
	s_wait_alu 0xfffe
	v_add_co_u32 v0, s0, s0, v0
	v_add3_u32 v3, v1, v24, 0x7fff
	s_wait_alu 0xf1ff
	v_add_co_ci_u32_e64 v1, null, s1, 0, s0
	s_wait_alu 0xfffd
	s_delay_alu instid0(VALU_DEP_2)
	v_cndmask_b32_e32 v2, v3, v2, vcc_lo
	global_store_d16_hi_b16 v[0:1], v2, off offset:128
.LBB130_69:
	s_endpgm
	.section	.rodata,"a",@progbits
	.p2align	6, 0x0
	.amdhsa_kernel _ZN4vllm25paged_attention_v2_kernelI14__hip_bfloat16S1_Li80ELi8ELi128ELNS_18Fp8KVCacheDataTypeE0ELb1ELi512EEEvPfS3_PT_PKS4_PKT0_SA_ifPKiSC_iPKfiiiSE_SE_iiiii
		.amdhsa_group_segment_fixed_size 192
		.amdhsa_private_segment_fixed_size 0
		.amdhsa_kernarg_size 400
		.amdhsa_user_sgpr_count 2
		.amdhsa_user_sgpr_dispatch_ptr 0
		.amdhsa_user_sgpr_queue_ptr 0
		.amdhsa_user_sgpr_kernarg_segment_ptr 1
		.amdhsa_user_sgpr_dispatch_id 0
		.amdhsa_user_sgpr_private_segment_size 0
		.amdhsa_wavefront_size32 1
		.amdhsa_uses_dynamic_stack 0
		.amdhsa_enable_private_segment 0
		.amdhsa_system_sgpr_workgroup_id_x 1
		.amdhsa_system_sgpr_workgroup_id_y 1
		.amdhsa_system_sgpr_workgroup_id_z 1
		.amdhsa_system_sgpr_workgroup_info 0
		.amdhsa_system_vgpr_workitem_id 0
		.amdhsa_next_free_vgpr 52
		.amdhsa_next_free_sgpr 43
		.amdhsa_reserve_vcc 1
		.amdhsa_float_round_mode_32 0
		.amdhsa_float_round_mode_16_64 0
		.amdhsa_float_denorm_mode_32 3
		.amdhsa_float_denorm_mode_16_64 3
		.amdhsa_fp16_overflow 0
		.amdhsa_workgroup_processor_mode 1
		.amdhsa_memory_ordered 1
		.amdhsa_forward_progress 1
		.amdhsa_inst_pref_size 66
		.amdhsa_round_robin_scheduling 0
		.amdhsa_exception_fp_ieee_invalid_op 0
		.amdhsa_exception_fp_denorm_src 0
		.amdhsa_exception_fp_ieee_div_zero 0
		.amdhsa_exception_fp_ieee_overflow 0
		.amdhsa_exception_fp_ieee_underflow 0
		.amdhsa_exception_fp_ieee_inexact 0
		.amdhsa_exception_int_div_zero 0
	.end_amdhsa_kernel
	.section	.text._ZN4vllm25paged_attention_v2_kernelI14__hip_bfloat16S1_Li80ELi8ELi128ELNS_18Fp8KVCacheDataTypeE0ELb1ELi512EEEvPfS3_PT_PKS4_PKT0_SA_ifPKiSC_iPKfiiiSE_SE_iiiii,"axG",@progbits,_ZN4vllm25paged_attention_v2_kernelI14__hip_bfloat16S1_Li80ELi8ELi128ELNS_18Fp8KVCacheDataTypeE0ELb1ELi512EEEvPfS3_PT_PKS4_PKT0_SA_ifPKiSC_iPKfiiiSE_SE_iiiii,comdat
.Lfunc_end130:
	.size	_ZN4vllm25paged_attention_v2_kernelI14__hip_bfloat16S1_Li80ELi8ELi128ELNS_18Fp8KVCacheDataTypeE0ELb1ELi512EEEvPfS3_PT_PKS4_PKT0_SA_ifPKiSC_iPKfiiiSE_SE_iiiii, .Lfunc_end130-_ZN4vllm25paged_attention_v2_kernelI14__hip_bfloat16S1_Li80ELi8ELi128ELNS_18Fp8KVCacheDataTypeE0ELb1ELi512EEEvPfS3_PT_PKS4_PKT0_SA_ifPKiSC_iPKfiiiSE_SE_iiiii
                                        ; -- End function
	.set _ZN4vllm25paged_attention_v2_kernelI14__hip_bfloat16S1_Li80ELi8ELi128ELNS_18Fp8KVCacheDataTypeE0ELb1ELi512EEEvPfS3_PT_PKS4_PKT0_SA_ifPKiSC_iPKfiiiSE_SE_iiiii.num_vgpr, 52
	.set _ZN4vllm25paged_attention_v2_kernelI14__hip_bfloat16S1_Li80ELi8ELi128ELNS_18Fp8KVCacheDataTypeE0ELb1ELi512EEEvPfS3_PT_PKS4_PKT0_SA_ifPKiSC_iPKfiiiSE_SE_iiiii.num_agpr, 0
	.set _ZN4vllm25paged_attention_v2_kernelI14__hip_bfloat16S1_Li80ELi8ELi128ELNS_18Fp8KVCacheDataTypeE0ELb1ELi512EEEvPfS3_PT_PKS4_PKT0_SA_ifPKiSC_iPKfiiiSE_SE_iiiii.numbered_sgpr, 43
	.set _ZN4vllm25paged_attention_v2_kernelI14__hip_bfloat16S1_Li80ELi8ELi128ELNS_18Fp8KVCacheDataTypeE0ELb1ELi512EEEvPfS3_PT_PKS4_PKT0_SA_ifPKiSC_iPKfiiiSE_SE_iiiii.num_named_barrier, 0
	.set _ZN4vllm25paged_attention_v2_kernelI14__hip_bfloat16S1_Li80ELi8ELi128ELNS_18Fp8KVCacheDataTypeE0ELb1ELi512EEEvPfS3_PT_PKS4_PKT0_SA_ifPKiSC_iPKfiiiSE_SE_iiiii.private_seg_size, 0
	.set _ZN4vllm25paged_attention_v2_kernelI14__hip_bfloat16S1_Li80ELi8ELi128ELNS_18Fp8KVCacheDataTypeE0ELb1ELi512EEEvPfS3_PT_PKS4_PKT0_SA_ifPKiSC_iPKfiiiSE_SE_iiiii.uses_vcc, 1
	.set _ZN4vllm25paged_attention_v2_kernelI14__hip_bfloat16S1_Li80ELi8ELi128ELNS_18Fp8KVCacheDataTypeE0ELb1ELi512EEEvPfS3_PT_PKS4_PKT0_SA_ifPKiSC_iPKfiiiSE_SE_iiiii.uses_flat_scratch, 0
	.set _ZN4vllm25paged_attention_v2_kernelI14__hip_bfloat16S1_Li80ELi8ELi128ELNS_18Fp8KVCacheDataTypeE0ELb1ELi512EEEvPfS3_PT_PKS4_PKT0_SA_ifPKiSC_iPKfiiiSE_SE_iiiii.has_dyn_sized_stack, 0
	.set _ZN4vllm25paged_attention_v2_kernelI14__hip_bfloat16S1_Li80ELi8ELi128ELNS_18Fp8KVCacheDataTypeE0ELb1ELi512EEEvPfS3_PT_PKS4_PKT0_SA_ifPKiSC_iPKfiiiSE_SE_iiiii.has_recursion, 0
	.set _ZN4vllm25paged_attention_v2_kernelI14__hip_bfloat16S1_Li80ELi8ELi128ELNS_18Fp8KVCacheDataTypeE0ELb1ELi512EEEvPfS3_PT_PKS4_PKT0_SA_ifPKiSC_iPKfiiiSE_SE_iiiii.has_indirect_call, 0
	.section	.AMDGPU.csdata,"",@progbits
; Kernel info:
; codeLenInByte = 8372
; TotalNumSgprs: 45
; NumVgprs: 52
; ScratchSize: 0
; MemoryBound: 0
; FloatMode: 240
; IeeeMode: 1
; LDSByteSize: 192 bytes/workgroup (compile time only)
; SGPRBlocks: 0
; VGPRBlocks: 6
; NumSGPRsForWavesPerEU: 45
; NumVGPRsForWavesPerEU: 52
; Occupancy: 16
; WaveLimiterHint : 1
; COMPUTE_PGM_RSRC2:SCRATCH_EN: 0
; COMPUTE_PGM_RSRC2:USER_SGPR: 2
; COMPUTE_PGM_RSRC2:TRAP_HANDLER: 0
; COMPUTE_PGM_RSRC2:TGID_X_EN: 1
; COMPUTE_PGM_RSRC2:TGID_Y_EN: 1
; COMPUTE_PGM_RSRC2:TGID_Z_EN: 1
; COMPUTE_PGM_RSRC2:TIDIG_COMP_CNT: 0
	.section	.text._ZN4vllm32paged_attention_v2_reduce_kernelI14__hip_bfloat16Li80ELi128ELi512EEEvPT_PKfS5_PKS2_PKii,"axG",@progbits,_ZN4vllm32paged_attention_v2_reduce_kernelI14__hip_bfloat16Li80ELi128ELi512EEEvPT_PKfS5_PKS2_PKii,comdat
	.protected	_ZN4vllm32paged_attention_v2_reduce_kernelI14__hip_bfloat16Li80ELi128ELi512EEEvPT_PKfS5_PKS2_PKii ; -- Begin function _ZN4vllm32paged_attention_v2_reduce_kernelI14__hip_bfloat16Li80ELi128ELi512EEEvPT_PKfS5_PKS2_PKii
	.globl	_ZN4vllm32paged_attention_v2_reduce_kernelI14__hip_bfloat16Li80ELi128ELi512EEEvPT_PKfS5_PKS2_PKii
	.p2align	8
	.type	_ZN4vllm32paged_attention_v2_reduce_kernelI14__hip_bfloat16Li80ELi128ELi512EEEvPT_PKfS5_PKS2_PKii,@function
_ZN4vllm32paged_attention_v2_reduce_kernelI14__hip_bfloat16Li80ELi128ELi512EEEvPT_PKfS5_PKS2_PKii: ; @_ZN4vllm32paged_attention_v2_reduce_kernelI14__hip_bfloat16Li80ELi128ELi512EEEvPT_PKfS5_PKS2_PKii
; %bb.0:
	s_load_b128 s[4:7], s[0:1], 0x18
	s_mov_b32 s2, ttmp7
	s_ashr_i32 s3, ttmp7, 31
	s_add_nc_u64 s[8:9], s[0:1], 48
	s_lshl_b64 s[2:3], s[2:3], 2
	s_wait_kmcnt 0x0
	s_add_nc_u64 s[2:3], s[6:7], s[2:3]
	s_load_b32 s18, s[2:3], 0x0
	s_clause 0x2
	s_load_b64 s[6:7], s[0:1], 0x0
	s_load_b32 s14, s[0:1], 0x28
	s_load_b32 s15, s[0:1], 0x30
	s_wait_kmcnt 0x0
	s_add_co_i32 s2, s18, -1
	s_delay_alu instid0(SALU_CYCLE_1)
	s_cmp_gt_u32 s2, 0x1ff
	s_mov_b32 s2, -1
	s_cbranch_scc0 .LBB131_26
; %bb.1:
	s_add_co_i32 s2, s18, 0x1ff
	s_mul_i32 s16, s15, ttmp7
	s_ashr_i32 s3, s2, 31
	v_dual_mov_b32 v4, 0xff7fffff :: v_dual_lshlrev_b32 v3, 2, v0
	s_lshr_b32 s3, s3, 23
	s_mul_i32 s12, s16, s14
	s_add_co_i32 s2, s2, s3
	s_mul_i32 s10, s14, ttmp9
	s_ashr_i32 s17, s2, 9
	s_ashr_i32 s13, s12, 31
	v_cmp_gt_i32_e32 vcc_lo, s17, v0
	s_ashr_i32 s11, s10, 31
	s_and_saveexec_b32 s3, vcc_lo
	s_cbranch_execz .LBB131_5
; %bb.2:
	s_load_b64 s[20:21], s[0:1], 0x10
	s_load_b32 s2, s[8:9], 0xc
	s_lshl_b64 s[22:23], s[12:13], 2
	s_lshl_b64 s[24:25], s[10:11], 2
	v_dual_mov_b32 v4, 0xff7fffff :: v_dual_add_nc_u32 v5, 32, v3
	s_add_nc_u64 s[22:23], s[22:23], s[24:25]
	v_mov_b32_e32 v6, v0
	s_wait_kmcnt 0x0
	s_add_nc_u64 s[20:21], s[20:21], s[22:23]
	s_delay_alu instid0(SALU_CYCLE_1) | instskip(NEXT) | instid1(VALU_DEP_1)
	v_add_co_u32 v1, s19, s20, v3
	v_add_co_ci_u32_e64 v2, null, s21, 0, s19
	s_and_b32 s20, s2, 0xffff
	s_mov_b32 s19, 0
	s_wait_alu 0xfffe
	s_lshl_b32 s21, s20, 2
.LBB131_3:                              ; =>This Inner Loop Header: Depth=1
	global_load_b32 v7, v[1:2], off
	v_add_nc_u32_e32 v6, s20, v6
	v_max_num_f32_e32 v4, v4, v4
	s_wait_alu 0xfffe
	v_add_co_u32 v1, s2, v1, s21
	s_wait_alu 0xf1ff
	v_add_co_ci_u32_e64 v2, null, 0, v2, s2
	v_cmp_le_i32_e64 s2, s17, v6
	s_or_b32 s19, s2, s19
	s_wait_loadcnt 0x0
	v_max_num_f32_e32 v8, v7, v7
	ds_store_b32 v5, v7
	v_dual_max_num_f32 v4, v4, v8 :: v_dual_add_nc_u32 v5, s21, v5
	s_wait_alu 0xfffe
	s_and_not1_b32 exec_lo, exec_lo, s19
	s_cbranch_execnz .LBB131_3
; %bb.4:
	s_or_b32 exec_lo, exec_lo, s19
.LBB131_5:
	s_delay_alu instid0(SALU_CYCLE_1)
	s_or_b32 exec_lo, exec_lo, s3
	v_mbcnt_lo_u32_b32 v1, -1, 0
	s_load_b64 s[2:3], s[0:1], 0x8
	s_wait_dscnt 0x0
	s_barrier_signal -1
	s_barrier_wait -1
	v_xor_b32_e32 v2, 16, v1
	v_xor_b32_e32 v5, 8, v1
	global_inv scope:SCOPE_SE
	v_cmp_gt_i32_e64 s0, 32, v2
	s_delay_alu instid0(VALU_DEP_1) | instskip(SKIP_1) | instid1(VALU_DEP_2)
	v_cndmask_b32_e64 v2, v1, v2, s0
	v_cmp_gt_i32_e64 s0, 32, v5
	v_lshlrev_b32_e32 v6, 2, v2
	s_wait_alu 0xf1ff
	s_delay_alu instid0(VALU_DEP_2) | instskip(SKIP_3) | instid1(VALU_DEP_1)
	v_cndmask_b32_e64 v5, v1, v5, s0
	ds_bpermute_b32 v2, v6, v4
	v_dual_max_num_f32 v4, v4, v4 :: v_dual_lshlrev_b32 v7, 2, v5
	v_xor_b32_e32 v5, 4, v1
	v_cmp_gt_i32_e64 s0, 32, v5
	s_wait_alu 0xf1ff
	s_delay_alu instid0(VALU_DEP_1) | instskip(NEXT) | instid1(VALU_DEP_1)
	v_cndmask_b32_e64 v5, v1, v5, s0
	v_lshlrev_b32_e32 v8, 2, v5
	v_xor_b32_e32 v5, 2, v1
	s_wait_dscnt 0x0
	v_max_num_f32_e32 v2, v2, v2
	s_delay_alu instid0(VALU_DEP_2) | instskip(NEXT) | instid1(VALU_DEP_2)
	v_cmp_gt_i32_e64 s0, 32, v5
	v_max_num_f32_e32 v2, v4, v2
	s_wait_alu 0xf1ff
	s_delay_alu instid0(VALU_DEP_2) | instskip(SKIP_3) | instid1(VALU_DEP_1)
	v_cndmask_b32_e64 v5, v1, v5, s0
	ds_bpermute_b32 v4, v7, v2
	s_wait_dscnt 0x0
	v_max_num_f32_e32 v4, v4, v4
	v_max_num_f32_e32 v2, v2, v4
	ds_bpermute_b32 v4, v8, v2
	s_wait_dscnt 0x0
	v_dual_max_num_f32 v9, v4, v4 :: v_dual_lshlrev_b32 v4, 2, v5
	s_delay_alu instid0(VALU_DEP_1) | instskip(SKIP_4) | instid1(VALU_DEP_1)
	v_max_num_f32_e32 v2, v2, v9
	v_xor_b32_e32 v9, 1, v1
	ds_bpermute_b32 v5, v4, v2
	v_cmp_gt_i32_e64 s0, 32, v9
	s_wait_alu 0xf1ff
	v_cndmask_b32_e64 v1, v1, v9, s0
	v_lshrrev_b32_e32 v9, 5, v0
	s_delay_alu instid0(VALU_DEP_1) | instskip(SKIP_2) | instid1(VALU_DEP_1)
	v_lshlrev_b32_e32 v9, 2, v9
	s_wait_dscnt 0x0
	v_max_num_f32_e32 v5, v5, v5
	v_max_num_f32_e32 v2, v2, v5
	v_lshlrev_b32_e32 v5, 2, v1
	v_and_b32_e32 v1, 31, v0
	ds_bpermute_b32 v10, v5, v2
	v_cmp_eq_u32_e64 s0, 0, v1
	s_and_saveexec_b32 s1, s0
	s_cbranch_execz .LBB131_7
; %bb.6:
	s_wait_dscnt 0x0
	v_max_num_f32_e32 v10, v10, v10
	v_max_num_f32_e32 v2, v2, v2
	s_delay_alu instid0(VALU_DEP_1)
	v_max_num_f32_e32 v2, v2, v10
	ds_store_b32 v9, v2
.LBB131_7:
	s_wait_alu 0xfffe
	s_or_b32 exec_lo, exec_lo, s1
	v_cmp_gt_u32_e64 s1, 4, v1
	v_mov_b32_e32 v2, 0xff7fffff
	s_wait_dscnt 0x0
	v_lshlrev_b32_e32 v10, 2, v1
	s_wait_loadcnt 0x0
	s_barrier_signal -1
	s_barrier_wait -1
	global_inv scope:SCOPE_SE
	s_and_saveexec_b32 s19, s1
; %bb.8:
	ds_load_b32 v2, v10
; %bb.9:
	s_wait_alu 0xfffe
	s_or_b32 exec_lo, exec_lo, s19
	s_wait_dscnt 0x0
	ds_bpermute_b32 v1, v4, v2
	v_max_num_f32_e32 v2, v2, v2
	s_lshl_b32 s19, s17, 2
	v_mov_b32_e32 v11, 0
	s_wait_dscnt 0x0
	v_max_num_f32_e32 v1, v1, v1
	s_delay_alu instid0(VALU_DEP_1) | instskip(SKIP_3) | instid1(VALU_DEP_1)
	v_max_num_f32_e32 v1, v2, v1
	ds_bpermute_b32 v2, v5, v1
	s_wait_dscnt 0x0
	v_max_num_f32_e32 v2, v2, v2
	v_max_num_f32_e32 v1, v1, v2
	ds_bpermute_b32 v12, v11, v1
	s_and_saveexec_b32 s20, vcc_lo
	s_cbranch_execz .LBB131_13
; %bb.10:
	s_load_b32 s21, s[8:9], 0xc
	s_lshl_b64 s[22:23], s[12:13], 2
	s_lshl_b64 s[24:25], s[10:11], 2
	v_mov_b32_e32 v11, 0
	s_add_nc_u64 s[22:23], s[22:23], s[24:25]
	v_mov_b32_e32 v13, v0
	s_wait_kmcnt 0x0
	s_add_nc_u64 s[2:3], s[2:3], s[22:23]
	s_wait_alu 0xfffe
	v_add_co_u32 v1, s2, s2, v3
	s_wait_alu 0xf1ff
	v_add_co_ci_u32_e64 v2, null, s3, 0, s2
	v_add_nc_u32_e32 v3, 32, v3
	s_mov_b32 s3, 0
	s_and_b32 s11, s21, 0xffff
	s_delay_alu instid0(SALU_CYCLE_1)
	s_lshl_b32 s13, s11, 2
.LBB131_11:                             ; =>This Inner Loop Header: Depth=1
	global_load_b32 v14, v[1:2], off
	ds_load_b32 v15, v3
	v_add_nc_u32_e32 v13, s11, v13
	s_wait_dscnt 0x0
	v_sub_f32_e32 v15, v15, v12
	s_delay_alu instid0(VALU_DEP_1) | instskip(NEXT) | instid1(VALU_DEP_1)
	v_mul_f32_e32 v16, 0x3fb8aa3b, v15
	v_fma_f32 v17, 0x3fb8aa3b, v15, -v16
	v_rndne_f32_e32 v18, v16
	s_delay_alu instid0(VALU_DEP_1) | instskip(SKIP_1) | instid1(VALU_DEP_4)
	v_sub_f32_e32 v16, v16, v18
	v_cmp_ngt_f32_e32 vcc_lo, 0xc2ce8ed0, v15
	v_fmac_f32_e32 v17, 0x32a5705f, v15
	v_cmp_nlt_f32_e64 s2, 0x42b17218, v15
	s_delay_alu instid0(VALU_DEP_2) | instskip(SKIP_1) | instid1(VALU_DEP_2)
	v_add_f32_e32 v16, v16, v17
	v_cvt_i32_f32_e32 v17, v18
	v_exp_f32_e32 v16, v16
	s_delay_alu instid0(TRANS32_DEP_1) | instskip(SKIP_2) | instid1(VALU_DEP_2)
	v_ldexp_f32 v16, v16, v17
	v_add_nc_u32_e32 v17, s19, v3
	s_wait_alu 0xfffd
	v_dual_cndmask_b32 v16, 0, v16 :: v_dual_add_nc_u32 v3, s13, v3
	v_add_co_u32 v1, vcc_lo, v1, s13
	s_wait_alu 0xfffd
	v_add_co_ci_u32_e64 v2, null, 0, v2, vcc_lo
	s_wait_alu 0xf1ff
	v_cndmask_b32_e64 v15, 0x7f800000, v16, s2
	v_cmp_le_i32_e32 vcc_lo, s17, v13
	s_wait_alu 0xfffe
	s_or_b32 s3, vcc_lo, s3
	s_wait_loadcnt 0x0
	v_mul_f32_e32 v16, v14, v15
	v_fmac_f32_e32 v11, v14, v15
	ds_store_b32 v17, v16
	s_wait_alu 0xfffe
	s_and_not1_b32 exec_lo, exec_lo, s3
	s_cbranch_execnz .LBB131_11
; %bb.12:
	s_or_b32 exec_lo, exec_lo, s3
.LBB131_13:
	s_wait_alu 0xfffe
	s_or_b32 exec_lo, exec_lo, s20
	ds_bpermute_b32 v1, v6, v11
	s_wait_loadcnt_dscnt 0x0
	s_barrier_signal -1
	s_barrier_wait -1
	global_inv scope:SCOPE_SE
	v_add_f32_e32 v1, v11, v1
	ds_bpermute_b32 v2, v7, v1
	s_wait_dscnt 0x0
	v_add_f32_e32 v1, v1, v2
	ds_bpermute_b32 v2, v8, v1
	s_wait_dscnt 0x0
	;; [unrolled: 3-line block ×4, first 2 shown]
	v_add_f32_e32 v1, v1, v2
	s_wait_kmcnt 0x0
	s_and_saveexec_b32 s2, s0
; %bb.14:
	ds_store_b32 v9, v1 offset:16
; %bb.15:
	s_wait_alu 0xfffe
	s_or_b32 exec_lo, exec_lo, s2
	s_wait_loadcnt_dscnt 0x0
	s_barrier_signal -1
	s_barrier_wait -1
	global_inv scope:SCOPE_SE
	s_and_saveexec_b32 s0, s1
; %bb.16:
	ds_load_b32 v1, v10 offset:16
; %bb.17:
	s_wait_alu 0xfffe
	s_or_b32 exec_lo, exec_lo, s0
	s_wait_dscnt 0x0
	ds_bpermute_b32 v2, v4, v1
	s_mov_b32 s0, exec_lo
	s_wait_dscnt 0x0
	v_add_f32_e32 v1, v1, v2
	ds_bpermute_b32 v2, v5, v1
	s_wait_dscnt 0x0
	v_dual_add_f32 v1, v1, v2 :: v_dual_mov_b32 v2, 0
	ds_bpermute_b32 v2, v2, v1
	v_cmpx_gt_u32_e32 0x50, v0
	s_cbranch_execz .LBB131_25
; %bb.18:
	s_cmp_gt_i32 s18, 0
	s_mov_b32 s1, 0
	s_cbranch_scc1 .LBB131_20
; %bb.19:
	v_mov_b32_e32 v1, 0
	v_mov_b32_e32 v3, 0
	s_wait_alu 0xfffe
	s_and_not1_b32 vcc_lo, exec_lo, s1
	s_wait_alu 0xfffe
	s_cbranch_vccz .LBB131_21
	s_branch .LBB131_24
.LBB131_20:
	v_mov_b32_e32 v3, 0
.LBB131_21:
	s_wait_dscnt 0x0
	v_add_f32_e32 v4, 0x358637bd, v2
	s_mul_i32 s2, s12, 0x50
	s_mulk_i32 s10, 0x50
	s_wait_alu 0xfffe
	s_ashr_i32 s3, s2, 31
	s_ashr_i32 s11, s10, 31
	v_div_scale_f32 v2, null, v4, v4, 1.0
	s_wait_alu 0xfffe
	s_lshl_b64 s[2:3], s[2:3], 1
	s_lshl_b64 s[10:11], s[10:11], 1
	s_wait_alu 0xfffe
	s_add_nc_u64 s[2:3], s[2:3], s[10:11]
	v_rcp_f32_e32 v3, v2
	s_wait_alu 0xfffe
	s_add_nc_u64 s[2:3], s[4:5], s[2:3]
	s_delay_alu instid0(TRANS32_DEP_1) | instskip(NEXT) | instid1(VALU_DEP_1)
	v_fma_f32 v1, -v2, v3, 1.0
	v_fmac_f32_e32 v3, v1, v3
	v_div_scale_f32 v5, vcc_lo, 1.0, v4, 1.0
	s_delay_alu instid0(VALU_DEP_1) | instskip(NEXT) | instid1(VALU_DEP_1)
	v_mul_f32_e32 v6, v5, v3
	v_fma_f32 v1, -v2, v6, v5
	s_delay_alu instid0(VALU_DEP_1) | instskip(NEXT) | instid1(VALU_DEP_1)
	v_dual_fmac_f32 v6, v1, v3 :: v_dual_mov_b32 v1, 0
	v_fma_f32 v2, -v2, v6, v5
	v_lshlrev_b32_e32 v5, 1, v0
	s_wait_alu 0xfffd
	s_delay_alu instid0(VALU_DEP_2) | instskip(SKIP_1) | instid1(VALU_DEP_2)
	v_div_fmas_f32 v6, v2, v3, v6
	s_wait_alu 0xfffe
	v_add_co_u32 v2, s1, s2, v5
	s_wait_alu 0xf1ff
	v_add_co_ci_u32_e64 v3, null, s3, 0, s1
	v_div_fixup_f32 v4, v6, v4, 1.0
	v_mov_b32_e32 v5, v1
	s_max_i32 s1, s17, 1
	s_add_co_i32 s2, s19, 32
.LBB131_22:                             ; =>This Inner Loop Header: Depth=1
	global_load_u16 v6, v[2:3], off
	s_wait_alu 0xfffe
	v_mov_b32_e32 v7, s2
	v_add_co_u32 v2, vcc_lo, 0xa0, v2
	s_wait_alu 0xfffd
	v_add_co_ci_u32_e64 v3, null, 0, v3, vcc_lo
	s_add_co_i32 s1, s1, -1
	s_add_co_i32 s2, s2, 4
	s_wait_alu 0xfffe
	s_cmp_eq_u32 s1, 0
	s_wait_loadcnt 0x0
	v_lshlrev_b32_e32 v6, 16, v6
	ds_load_b32 v7, v7
	s_wait_dscnt 0x0
	v_mul_f32_e32 v6, v7, v6
	s_delay_alu instid0(VALU_DEP_1)
	v_fmac_f32_e32 v5, v4, v6
	s_cbranch_scc0 .LBB131_22
; %bb.23:
	s_delay_alu instid0(VALU_DEP_1) | instskip(SKIP_2) | instid1(VALU_DEP_3)
	v_bfe_u32 v2, v5, 16, 1
	v_or_b32_e32 v3, 0x400000, v5
	v_cmp_u_f32_e32 vcc_lo, v5, v5
	v_add3_u32 v2, v2, v5, 0x7fff
	s_wait_alu 0xfffd
	s_delay_alu instid0(VALU_DEP_1) | instskip(NEXT) | instid1(VALU_DEP_1)
	v_cndmask_b32_e32 v2, v2, v3, vcc_lo
	v_lshrrev_b32_e32 v3, 16, v2
.LBB131_24:
	s_mul_i32 s2, s16, 0x50
	s_mul_i32 s10, ttmp9, 0x50
	s_wait_alu 0xfffe
	s_ashr_i32 s3, s2, 31
	s_ashr_i32 s11, s10, 31
	s_wait_alu 0xfffe
	s_lshl_b64 s[2:3], s[2:3], 1
	s_wait_dscnt 0x0
	v_lshlrev_b64_e32 v[1:2], 1, v[0:1]
	s_lshl_b64 s[10:11], s[10:11], 1
	s_wait_alu 0xfffe
	s_add_nc_u64 s[2:3], s[6:7], s[2:3]
	s_wait_alu 0xfffe
	s_add_nc_u64 s[2:3], s[2:3], s[10:11]
	s_wait_alu 0xfffe
	v_add_co_u32 v1, vcc_lo, s2, v1
	s_wait_alu 0xfffd
	v_add_co_ci_u32_e64 v2, null, s3, v2, vcc_lo
	global_store_b16 v[1:2], v3, off
.LBB131_25:
	s_wait_alu 0xfffe
	s_or_b32 exec_lo, exec_lo, s0
	s_mov_b32 s2, 0
.LBB131_26:
	s_wait_alu 0xfffe
	s_and_b32 vcc_lo, exec_lo, s2
	s_wait_alu 0xfffe
	s_cbranch_vccz .LBB131_35
; %bb.27:
	s_mov_b32 s0, exec_lo
	v_cmpx_gt_u32_e32 0x50, v0
	s_cbranch_execz .LBB131_35
; %bb.28:
	s_load_b32 s0, s[8:9], 0xc
	s_mul_i32 s1, s15, ttmp7
	s_mul_i32 s8, ttmp9, 0x50
	s_wait_alu 0xfffe
	s_mul_i32 s12, s1, 0x50
	s_mul_i32 s2, s8, s14
	s_wait_alu 0xfffe
	s_mul_i32 s10, s12, s14
	v_cmp_gt_u32_e32 vcc_lo, 0x4d, v0
	s_ashr_i32 s9, s8, 31
	s_ashr_i32 s13, s12, 31
	;; [unrolled: 1-line block ×3, first 2 shown]
	s_wait_alu 0xfffe
	s_ashr_i32 s11, s10, 31
	s_wait_kmcnt 0x0
	s_and_b32 s1, s0, 0xffff
	s_wait_alu 0xfffe
	s_cmp_eq_u32 s1, 1
	s_cselect_b32 s0, -1, 0
	s_wait_alu 0xfffe
	s_and_b32 s15, vcc_lo, s0
	s_mov_b32 s0, -1
	s_and_saveexec_b32 s14, s15
	s_cbranch_execz .LBB131_32
; %bb.29:
	s_lshl_b64 s[16:17], s[10:11], 1
	s_lshl_b64 s[18:19], s[2:3], 1
	v_lshlrev_b32_e32 v1, 1, v0
	s_wait_alu 0xfffe
	s_add_nc_u64 s[16:17], s[16:17], s[18:19]
	s_lshl_b64 s[18:19], s[12:13], 1
	s_lshl_b64 s[20:21], s[8:9], 1
	s_wait_alu 0xfffe
	s_add_nc_u64 s[16:17], s[4:5], s[16:17]
	s_add_nc_u64 s[18:19], s[18:19], s[20:21]
	s_wait_dscnt 0x0
	s_wait_alu 0xfffe
	v_add_co_u32 v2, s0, s16, v1
	v_sub_nc_u32_e32 v5, 0x50, v0
	s_wait_alu 0xf1ff
	v_add_co_ci_u32_e64 v3, null, s17, 0, s0
	s_add_nc_u64 s[16:17], s[6:7], s[18:19]
	s_mov_b32 s15, 0
	s_wait_alu 0xfffe
	v_add_co_u32 v4, s0, s16, v1
	v_and_b32_e32 v6, 0x7c, v5
	s_wait_alu 0xf1ff
	v_add_co_ci_u32_e64 v7, null, s17, 0, s0
	v_add_co_u32 v1, vcc_lo, v2, 4
	s_wait_alu 0xfffd
	v_add_co_ci_u32_e64 v2, null, 0, v3, vcc_lo
	v_add_co_u32 v3, vcc_lo, v4, 4
	s_wait_alu 0xfffd
	v_add_co_ci_u32_e64 v4, null, 0, v7, vcc_lo
	v_mov_b32_e32 v7, v6
.LBB131_30:                             ; =>This Inner Loop Header: Depth=1
	global_load_b64 v[8:9], v[1:2], off offset:-4
	v_add_nc_u32_e32 v7, -4, v7
	v_add_co_u32 v1, vcc_lo, v1, 8
	s_wait_alu 0xfffd
	v_add_co_ci_u32_e64 v2, null, 0, v2, vcc_lo
	s_delay_alu instid0(VALU_DEP_3)
	v_cmp_eq_u32_e32 vcc_lo, 0, v7
	s_or_b32 s15, vcc_lo, s15
	s_wait_loadcnt 0x0
	global_store_b64 v[3:4], v[8:9], off offset:-4
	v_add_co_u32 v3, s0, v3, 8
	s_wait_alu 0xf1ff
	v_add_co_ci_u32_e64 v4, null, 0, v4, s0
	s_and_not1_b32 exec_lo, exec_lo, s15
	s_cbranch_execnz .LBB131_30
; %bb.31:
	s_or_b32 exec_lo, exec_lo, s15
	v_cmp_ne_u32_e32 vcc_lo, v5, v6
	v_add_nc_u32_e32 v0, v0, v6
	s_or_not1_b32 s0, vcc_lo, exec_lo
.LBB131_32:
	s_or_b32 exec_lo, exec_lo, s14
	s_wait_alu 0xfffe
	s_and_b32 exec_lo, exec_lo, s0
	s_cbranch_execz .LBB131_35
; %bb.33:
	s_lshl_b64 s[12:13], s[12:13], 1
	s_lshl_b64 s[10:11], s[10:11], 1
	s_wait_dscnt 0x0
	v_dual_mov_b32 v2, 0 :: v_dual_lshlrev_b32 v1, 1, v0
	s_lshl_b64 s[8:9], s[8:9], 1
	s_wait_alu 0xfffe
	s_add_nc_u64 s[6:7], s[6:7], s[12:13]
	s_add_nc_u64 s[4:5], s[4:5], s[10:11]
	s_lshl_b64 s[2:3], s[2:3], 1
	s_add_nc_u64 s[6:7], s[6:7], s[8:9]
	s_wait_alu 0xfffe
	s_add_nc_u64 s[2:3], s[4:5], s[2:3]
	s_mov_b32 s4, 0
	s_lshl_b32 s5, s1, 1
.LBB131_34:                             ; =>This Inner Loop Header: Depth=1
	s_wait_alu 0xfffe
	v_add_co_u32 v3, vcc_lo, s2, v1
	s_wait_alu 0xfffd
	v_add_co_ci_u32_e64 v4, null, s3, v2, vcc_lo
	v_add_nc_u32_e32 v0, s1, v0
	global_load_u16 v5, v[3:4], off
	v_add_co_u32 v3, vcc_lo, s6, v1
	s_wait_alu 0xfffd
	v_add_co_ci_u32_e64 v4, null, s7, v2, vcc_lo
	v_cmp_lt_u32_e32 vcc_lo, 0x4f, v0
	v_add_co_u32 v1, s0, v1, s5
	s_wait_alu 0xf1ff
	v_add_co_ci_u32_e64 v2, null, 0, v2, s0
	s_or_b32 s4, vcc_lo, s4
	s_wait_loadcnt 0x0
	global_store_b16 v[3:4], v5, off
	s_wait_alu 0xfffe
	s_and_not1_b32 exec_lo, exec_lo, s4
	s_cbranch_execnz .LBB131_34
.LBB131_35:
	s_endpgm
	.section	.rodata,"a",@progbits
	.p2align	6, 0x0
	.amdhsa_kernel _ZN4vllm32paged_attention_v2_reduce_kernelI14__hip_bfloat16Li80ELi128ELi512EEEvPT_PKfS5_PKS2_PKii
		.amdhsa_group_segment_fixed_size 32
		.amdhsa_private_segment_fixed_size 0
		.amdhsa_kernarg_size 304
		.amdhsa_user_sgpr_count 2
		.amdhsa_user_sgpr_dispatch_ptr 0
		.amdhsa_user_sgpr_queue_ptr 0
		.amdhsa_user_sgpr_kernarg_segment_ptr 1
		.amdhsa_user_sgpr_dispatch_id 0
		.amdhsa_user_sgpr_private_segment_size 0
		.amdhsa_wavefront_size32 1
		.amdhsa_uses_dynamic_stack 0
		.amdhsa_enable_private_segment 0
		.amdhsa_system_sgpr_workgroup_id_x 1
		.amdhsa_system_sgpr_workgroup_id_y 1
		.amdhsa_system_sgpr_workgroup_id_z 0
		.amdhsa_system_sgpr_workgroup_info 0
		.amdhsa_system_vgpr_workitem_id 0
		.amdhsa_next_free_vgpr 19
		.amdhsa_next_free_sgpr 26
		.amdhsa_reserve_vcc 1
		.amdhsa_float_round_mode_32 0
		.amdhsa_float_round_mode_16_64 0
		.amdhsa_float_denorm_mode_32 3
		.amdhsa_float_denorm_mode_16_64 3
		.amdhsa_fp16_overflow 0
		.amdhsa_workgroup_processor_mode 1
		.amdhsa_memory_ordered 1
		.amdhsa_forward_progress 1
		.amdhsa_inst_pref_size 20
		.amdhsa_round_robin_scheduling 0
		.amdhsa_exception_fp_ieee_invalid_op 0
		.amdhsa_exception_fp_denorm_src 0
		.amdhsa_exception_fp_ieee_div_zero 0
		.amdhsa_exception_fp_ieee_overflow 0
		.amdhsa_exception_fp_ieee_underflow 0
		.amdhsa_exception_fp_ieee_inexact 0
		.amdhsa_exception_int_div_zero 0
	.end_amdhsa_kernel
	.section	.text._ZN4vllm32paged_attention_v2_reduce_kernelI14__hip_bfloat16Li80ELi128ELi512EEEvPT_PKfS5_PKS2_PKii,"axG",@progbits,_ZN4vllm32paged_attention_v2_reduce_kernelI14__hip_bfloat16Li80ELi128ELi512EEEvPT_PKfS5_PKS2_PKii,comdat
.Lfunc_end131:
	.size	_ZN4vllm32paged_attention_v2_reduce_kernelI14__hip_bfloat16Li80ELi128ELi512EEEvPT_PKfS5_PKS2_PKii, .Lfunc_end131-_ZN4vllm32paged_attention_v2_reduce_kernelI14__hip_bfloat16Li80ELi128ELi512EEEvPT_PKfS5_PKS2_PKii
                                        ; -- End function
	.set _ZN4vllm32paged_attention_v2_reduce_kernelI14__hip_bfloat16Li80ELi128ELi512EEEvPT_PKfS5_PKS2_PKii.num_vgpr, 19
	.set _ZN4vllm32paged_attention_v2_reduce_kernelI14__hip_bfloat16Li80ELi128ELi512EEEvPT_PKfS5_PKS2_PKii.num_agpr, 0
	.set _ZN4vllm32paged_attention_v2_reduce_kernelI14__hip_bfloat16Li80ELi128ELi512EEEvPT_PKfS5_PKS2_PKii.numbered_sgpr, 26
	.set _ZN4vllm32paged_attention_v2_reduce_kernelI14__hip_bfloat16Li80ELi128ELi512EEEvPT_PKfS5_PKS2_PKii.num_named_barrier, 0
	.set _ZN4vllm32paged_attention_v2_reduce_kernelI14__hip_bfloat16Li80ELi128ELi512EEEvPT_PKfS5_PKS2_PKii.private_seg_size, 0
	.set _ZN4vllm32paged_attention_v2_reduce_kernelI14__hip_bfloat16Li80ELi128ELi512EEEvPT_PKfS5_PKS2_PKii.uses_vcc, 1
	.set _ZN4vllm32paged_attention_v2_reduce_kernelI14__hip_bfloat16Li80ELi128ELi512EEEvPT_PKfS5_PKS2_PKii.uses_flat_scratch, 0
	.set _ZN4vllm32paged_attention_v2_reduce_kernelI14__hip_bfloat16Li80ELi128ELi512EEEvPT_PKfS5_PKS2_PKii.has_dyn_sized_stack, 0
	.set _ZN4vllm32paged_attention_v2_reduce_kernelI14__hip_bfloat16Li80ELi128ELi512EEEvPT_PKfS5_PKS2_PKii.has_recursion, 0
	.set _ZN4vllm32paged_attention_v2_reduce_kernelI14__hip_bfloat16Li80ELi128ELi512EEEvPT_PKfS5_PKS2_PKii.has_indirect_call, 0
	.section	.AMDGPU.csdata,"",@progbits
; Kernel info:
; codeLenInByte = 2532
; TotalNumSgprs: 28
; NumVgprs: 19
; ScratchSize: 0
; MemoryBound: 0
; FloatMode: 240
; IeeeMode: 1
; LDSByteSize: 32 bytes/workgroup (compile time only)
; SGPRBlocks: 0
; VGPRBlocks: 2
; NumSGPRsForWavesPerEU: 28
; NumVGPRsForWavesPerEU: 19
; Occupancy: 16
; WaveLimiterHint : 0
; COMPUTE_PGM_RSRC2:SCRATCH_EN: 0
; COMPUTE_PGM_RSRC2:USER_SGPR: 2
; COMPUTE_PGM_RSRC2:TRAP_HANDLER: 0
; COMPUTE_PGM_RSRC2:TGID_X_EN: 1
; COMPUTE_PGM_RSRC2:TGID_Y_EN: 1
; COMPUTE_PGM_RSRC2:TGID_Z_EN: 0
; COMPUTE_PGM_RSRC2:TIDIG_COMP_CNT: 0
	.section	.text._ZN4vllm25paged_attention_v2_kernelI14__hip_bfloat16S1_Li96ELi8ELi128ELNS_18Fp8KVCacheDataTypeE0ELb1ELi512EEEvPfS3_PT_PKS4_PKT0_SA_ifPKiSC_iPKfiiiSE_SE_iiiii,"axG",@progbits,_ZN4vllm25paged_attention_v2_kernelI14__hip_bfloat16S1_Li96ELi8ELi128ELNS_18Fp8KVCacheDataTypeE0ELb1ELi512EEEvPfS3_PT_PKS4_PKT0_SA_ifPKiSC_iPKfiiiSE_SE_iiiii,comdat
	.protected	_ZN4vllm25paged_attention_v2_kernelI14__hip_bfloat16S1_Li96ELi8ELi128ELNS_18Fp8KVCacheDataTypeE0ELb1ELi512EEEvPfS3_PT_PKS4_PKT0_SA_ifPKiSC_iPKfiiiSE_SE_iiiii ; -- Begin function _ZN4vllm25paged_attention_v2_kernelI14__hip_bfloat16S1_Li96ELi8ELi128ELNS_18Fp8KVCacheDataTypeE0ELb1ELi512EEEvPfS3_PT_PKS4_PKT0_SA_ifPKiSC_iPKfiiiSE_SE_iiiii
	.globl	_ZN4vllm25paged_attention_v2_kernelI14__hip_bfloat16S1_Li96ELi8ELi128ELNS_18Fp8KVCacheDataTypeE0ELb1ELi512EEEvPfS3_PT_PKS4_PKT0_SA_ifPKiSC_iPKfiiiSE_SE_iiiii
	.p2align	8
	.type	_ZN4vllm25paged_attention_v2_kernelI14__hip_bfloat16S1_Li96ELi8ELi128ELNS_18Fp8KVCacheDataTypeE0ELb1ELi512EEEvPfS3_PT_PKS4_PKT0_SA_ifPKiSC_iPKfiiiSE_SE_iiiii,@function
_ZN4vllm25paged_attention_v2_kernelI14__hip_bfloat16S1_Li96ELi8ELi128ELNS_18Fp8KVCacheDataTypeE0ELb1ELi512EEEvPfS3_PT_PKS4_PKT0_SA_ifPKiSC_iPKfiiiSE_SE_iiiii: ; @_ZN4vllm25paged_attention_v2_kernelI14__hip_bfloat16S1_Li96ELi8ELi128ELNS_18Fp8KVCacheDataTypeE0ELb1ELi512EEEvPfS3_PT_PKS4_PKT0_SA_ifPKiSC_iPKfiiiSE_SE_iiiii
; %bb.0:
	s_load_b64 s[2:3], s[0:1], 0x40
	s_and_b32 s20, ttmp7, 0xffff
	s_lshr_b32 s30, ttmp7, 16
	s_lshl_b32 s4, s20, 2
	s_lshl_b32 s33, s30, 9
	s_wait_kmcnt 0x0
	s_load_b32 s31, s[2:3], s4 offset:0x0
	s_wait_kmcnt 0x0
	s_cmp_ge_i32 s33, s31
	s_cbranch_scc1 .LBB132_60
; %bb.1:
	s_clause 0x1
	s_load_b32 s21, s[0:1], 0x90
	s_load_b64 s[6:7], s[0:1], 0x30
	s_wait_kmcnt 0x0
	s_abs_i32 s5, s21
	s_abs_i32 s2, s6
	s_delay_alu instid0(SALU_CYCLE_1) | instskip(SKIP_1) | instid1(SALU_CYCLE_2)
	s_cvt_f32_u32 s3, s2
	s_sub_co_i32 s4, 0, s2
	v_rcp_iflag_f32_e32 v1, s3
	s_delay_alu instid0(TRANS32_DEP_1) | instskip(SKIP_2) | instid1(SALU_CYCLE_2)
	v_readfirstlane_b32 s3, v1
	s_mul_f32 s3, s3, 0x4f7ffffe
	s_wait_alu 0xfffe
	s_cvt_u32_f32 s3, s3
	s_wait_alu 0xfffe
	s_delay_alu instid0(SALU_CYCLE_2) | instskip(NEXT) | instid1(SALU_CYCLE_1)
	s_mul_i32 s4, s4, s3
	s_mul_hi_u32 s4, s3, s4
	s_delay_alu instid0(SALU_CYCLE_1)
	s_add_co_i32 s3, s3, s4
	s_xor_b32 s4, s21, s6
	s_wait_alu 0xfffe
	s_mul_hi_u32 s3, s5, s3
	s_ashr_i32 s4, s4, 31
	s_wait_alu 0xfffe
	s_mul_i32 s8, s3, s2
	s_delay_alu instid0(SALU_CYCLE_1)
	s_sub_co_i32 s5, s5, s8
	s_add_co_i32 s8, s3, 1
	s_sub_co_i32 s9, s5, s2
	s_cmp_ge_u32 s5, s2
	s_cselect_b32 s3, s8, s3
	s_cselect_b32 s5, s9, s5
	s_wait_alu 0xfffe
	s_add_co_i32 s8, s3, 1
	s_cmp_ge_u32 s5, s2
	s_cselect_b32 s2, s8, s3
	s_load_b64 s[8:9], s[0:1], 0x50
	s_xor_b32 s2, s2, s4
	s_mov_b32 s3, 0
	s_wait_alu 0xfffe
	s_sub_co_i32 s10, s2, s4
	s_mov_b32 s15, s3
	s_abs_i32 s18, s10
	s_delay_alu instid0(SALU_CYCLE_1) | instskip(SKIP_1) | instid1(SALU_CYCLE_2)
	s_cvt_f32_u32 s2, s18
	s_wait_alu 0xfffe
	v_rcp_iflag_f32_e32 v1, s2
	s_delay_alu instid0(TRANS32_DEP_1) | instskip(SKIP_2) | instid1(SALU_CYCLE_2)
	v_readfirstlane_b32 s2, v1
	s_mul_f32 s2, s2, 0x4f7ffffe
	s_wait_alu 0xfffe
	s_cvt_u32_f32 s4, s2
	s_sub_co_i32 s2, 0, s18
	s_wait_alu 0xfffe
	s_delay_alu instid0(SALU_CYCLE_1)
	s_mul_i32 s2, s2, s4
	s_wait_alu 0xfffe
	s_mul_hi_u32 s5, s4, s2
	s_abs_i32 s2, ttmp9
	s_add_co_i32 s4, s4, s5
	s_mov_b32 s5, s3
	s_wait_kmcnt 0x0
	s_cmp_eq_u64 s[8:9], 0
	s_cbranch_scc1 .LBB132_3
; %bb.2:
	s_mov_b32 s12, ttmp9
	s_ashr_i32 s13, ttmp9, 31
	s_delay_alu instid0(SALU_CYCLE_1) | instskip(NEXT) | instid1(SALU_CYCLE_1)
	s_lshl_b64 s[12:13], s[12:13], 2
	s_add_nc_u64 s[8:9], s[8:9], s[12:13]
	s_load_b32 s15, s[8:9], 0x0
.LBB132_3:
	s_load_b96 s[12:14], s[0:1], 0x58
	v_and_b32_e32 v1, 3, v0
	v_lshlrev_b32_e32 v2, 2, v0
	s_mul_u64 s[4:5], s[2:3], s[4:5]
	s_ashr_i32 s3, ttmp9, 31
	s_ashr_i32 s4, s10, 31
	s_mul_i32 s16, ttmp9, 0x60
	s_mov_b32 s8, exec_lo
	v_cmpx_gt_u32_e32 48, v0
	s_cbranch_execz .LBB132_5
; %bb.4:
	s_load_b64 s[10:11], s[0:1], 0x18
	s_wait_kmcnt 0x0
	s_mul_i32 s22, s12, s20
	s_ashr_i32 s17, s16, 31
	s_ashr_i32 s23, s22, 31
	v_and_b32_e32 v4, 0x3fc, v0
	s_lshl_b64 s[22:23], s[22:23], 1
	s_delay_alu instid0(VALU_DEP_1) | instskip(SKIP_2) | instid1(SALU_CYCLE_1)
	v_mad_u32_u24 v4, v1, 48, v4
	s_add_nc_u64 s[10:11], s[10:11], s[22:23]
	s_lshl_b64 s[22:23], s[16:17], 1
	s_add_nc_u64 s[10:11], s[10:11], s[22:23]
	global_load_b32 v3, v2, s[10:11]
	s_wait_loadcnt 0x0
	ds_store_b32 v4, v3
.LBB132_5:
	s_or_b32 exec_lo, exec_lo, s8
	s_clause 0x1
	s_load_b128 s[8:11], s[0:1], 0x78
	s_load_b32 s22, s[0:1], 0x88
	s_wait_kmcnt 0x0
	s_mul_i32 s12, s5, s18
	s_xor_b32 s3, s3, s4
	s_sub_co_i32 s2, s2, s12
	s_add_co_i32 s4, s5, 1
	s_wait_alu 0xfffe
	s_sub_co_i32 s12, s2, s18
	s_cmp_ge_u32 s2, s18
	s_mov_b32 s24, -1
	s_cselect_b32 s4, s4, s5
	s_cselect_b32 s2, s12, s2
	s_add_co_i32 s5, s4, 1
	s_wait_alu 0xfffe
	s_cmp_ge_u32 s2, s18
	s_wait_dscnt 0x0
	s_cselect_b32 s2, s5, s4
	s_add_co_i32 s23, s31, -1
	s_wait_alu 0xfffe
	s_xor_b32 s2, s2, s3
	s_barrier_signal -1
	s_wait_alu 0xfffe
	s_sub_co_i32 s26, s2, s3
	s_barrier_wait -1
	s_abs_i32 s12, s11
	global_inv scope:SCOPE_SE
	s_cvt_f32_u32 s4, s12
                                        ; implicit-def: $sgpr17
	s_delay_alu instid0(SALU_CYCLE_3) | instskip(NEXT) | instid1(TRANS32_DEP_1)
	v_rcp_iflag_f32_e32 v3, s4
	v_readfirstlane_b32 s4, v3
	s_mul_f32 s2, s4, 0x4f7ffffe
	s_wait_alu 0xfffe
	s_delay_alu instid0(SALU_CYCLE_2) | instskip(SKIP_2) | instid1(SALU_CYCLE_1)
	s_cvt_u32_f32 s4, s2
	s_sub_co_i32 s2, 0, s12
	s_wait_alu 0xfffe
	s_mul_i32 s3, s2, s4
	s_abs_i32 s2, s23
	s_wait_alu 0xfffe
	s_mul_hi_u32 s5, s4, s3
	s_mov_b32 s3, 0
	s_wait_alu 0xfffe
	s_add_co_i32 s18, s4, s5
	s_cmp_lt_i32 s22, 0
	s_mov_b32 s19, s3
	s_cbranch_scc0 .LBB132_7
; %bb.6:
	s_mul_i32 s4, s8, s6
	s_mov_b32 s24, s3
	s_wait_alu 0xfffe
	s_add_co_i32 s4, s26, s4
	s_wait_alu 0xfffe
	s_mul_i32 s4, s4, s22
	s_wait_alu 0xfffe
	s_sub_co_i32 s17, 1, s4
.LBB132_7:
	s_mul_u64 s[4:5], s[2:3], s[18:19]
	s_ashr_i32 s3, s23, 31
	s_and_not1_b32 vcc_lo, exec_lo, s24
	s_ashr_i32 s11, s11, 31
	s_cbranch_vccnz .LBB132_9
; %bb.8:
	s_mul_i32 s4, s21, s8
	s_wait_alu 0xfffe
	s_add_co_i32 s4, s4, ttmp9
	s_wait_alu 0xfffe
	s_mul_i32 s4, s4, s22
	s_wait_alu 0xfffe
	s_add_co_i32 s17, s4, 1
.LBB132_9:
	s_clause 0x2
	s_load_b32 s4, s[0:1], 0x48
	s_load_b64 s[22:23], s[0:1], 0x38
	s_load_b32 s8, s[0:1], 0x98
	s_mul_i32 s6, s5, s12
	s_xor_b32 s3, s3, s11
	s_sub_co_i32 s2, s2, s6
	s_add_co_i32 s19, s5, 1
	v_lshrrev_b32_e32 v23, 5, v0
	v_mbcnt_lo_u32_b32 v4, -1, 0
	s_mul_i32 s26, s26, s14
	s_delay_alu instid0(VALU_DEP_2)
	v_lshl_add_u32 v24, v23, 3, s33
	s_wait_kmcnt 0x0
	s_mul_i32 s24, s4, s20
	s_wait_alu 0xfffe
	s_sub_co_i32 s4, s2, s12
	s_ashr_i32 s25, s24, 31
	s_cmp_ge_u32 s2, s12
	s_cselect_b32 s5, s19, s5
	s_wait_alu 0xfffe
	s_cselect_b32 s2, s4, s2
	s_add_co_i32 s4, s5, 1
	s_wait_alu 0xfffe
	s_cmp_ge_u32 s2, s12
	s_cselect_b32 s2, s4, s5
	s_add_co_i32 s4, s31, 7
	s_lshl_b32 s36, s30, 6
	s_wait_alu 0xfffe
	s_ashr_i32 s5, s4, 31
	v_or_b32_e32 v25, s36, v23
	s_wait_alu 0xfffe
	s_lshr_b32 s5, s5, 29
	v_mov_b32_e32 v6, 0xff7fffff
	s_wait_alu 0xfffe
	s_add_co_i32 s4, s4, s5
	s_add_co_i32 s5, s36, 64
	s_wait_alu 0xfffe
	s_ashr_i32 s34, s4, 3
	s_xor_b32 s4, s2, s3
	s_min_i32 s19, s5, s34
	v_lshlrev_b32_e32 v3, 2, v25
	v_cmp_gt_i32_e64 s2, s19, v25
	s_wait_alu 0xfffe
	s_sub_co_i32 s35, s4, s3
	s_and_saveexec_b32 s6, s2
	s_cbranch_execz .LBB132_21
; %bb.10:
	s_ashr_i32 s27, s26, 31
	s_sub_co_i32 s14, s35, s9
	s_lshl_b64 s[4:5], s[26:27], 1
	s_cmp_neq_f32 s15, 0
	s_load_b64 s[38:39], s[0:1], 0x20
	v_bfe_u32 v5, v0, 2, 3
	v_mul_u32_u24_e32 v7, 48, v1
	s_cselect_b32 vcc_lo, -1, 0
	s_abs_i32 s27, s10
	v_dual_mov_b32 v13, 0xff7fffff :: v_dual_and_b32 v2, 12, v2
	s_cvt_f32_u32 s3, s27
	v_lshlrev_b32_e32 v8, 2, v5
	s_lshl_b64 s[40:41], s[24:25], 2
	v_subrev_nc_u32_e32 v11, s31, v5
	s_wait_alu 0xfffe
	v_rcp_iflag_f32_e32 v6, s3
	v_cmp_eq_u32_e64 s3, 0, v1
	v_lshlrev_b32_e32 v1, 4, v5
	s_add_nc_u64 s[40:41], s[22:23], s[40:41]
	s_sub_co_i32 s37, 0, s27
	v_lshl_add_u32 v10, v23, 3, s33
	v_dual_mov_b32 v16, v25 :: v_dual_add_nc_u32 v11, 1, v11
	v_xor_b32_e32 v14, 2, v4
	s_wait_kmcnt 0x0
	s_add_nc_u64 s[4:5], s[38:39], s[4:5]
	v_readfirstlane_b32 s29, v6
	v_lshl_or_b32 v6, v23, 5, v8
	v_xor_b32_e32 v15, 1, v4
	s_mov_b32 s28, 0
	s_mul_f32 s29, s29, 0x4f7ffffe
	s_delay_alu instid0(VALU_DEP_2)
	v_add_nc_u32_e32 v12, 0xe0, v6
	v_mov_b32_e32 v6, 0xff7fffff
	s_wait_alu 0xfffe
	v_add_co_u32 v1, s4, s4, v1
	s_wait_alu 0xf1ff
	v_add_co_ci_u32_e64 v9, null, s5, 0, s4
	s_cvt_u32_f32 s5, s29
	v_add_co_u32 v8, s4, v1, v2
	s_wait_alu 0xf1ff
	v_add_co_ci_u32_e64 v9, null, 0, v9, s4
	v_add_co_u32 v1, s4, s40, v3
	s_wait_alu 0xfffe
	s_mul_i32 s37, s37, s5
	v_add_co_ci_u32_e64 v2, null, s41, 0, s4
	s_wait_alu 0xfffe
	s_mul_hi_u32 s4, s5, s37
	s_mov_b32 s29, s13
	s_wait_alu 0xfffe
	s_add_co_i32 s37, s5, s4
	s_branch .LBB132_13
.LBB132_11:                             ;   in Loop: Header=BB132_13 Depth=1
	s_or_b32 exec_lo, exec_lo, s38
.LBB132_12:                             ;   in Loop: Header=BB132_13 Depth=1
	s_wait_alu 0xfffe
	s_or_b32 exec_lo, exec_lo, s5
	v_add_nc_u32_e32 v16, 4, v16
	v_add_co_u32 v1, s5, v1, 16
	s_wait_alu 0xf1ff
	v_add_co_ci_u32_e64 v2, null, 0, v2, s5
	s_delay_alu instid0(VALU_DEP_3)
	v_cmp_le_i32_e64 s4, s19, v16
	v_add_nc_u32_e32 v10, 32, v10
	v_add_nc_u32_e32 v12, 0x80, v12
	s_or_b32 s28, s4, s28
	s_wait_alu 0xfffe
	s_and_not1_b32 exec_lo, exec_lo, s28
	s_cbranch_execz .LBB132_20
.LBB132_13:                             ; =>This Inner Loop Header: Depth=1
	v_sub_nc_u32_e32 v17, 0, v10
	s_delay_alu instid0(VALU_DEP_1) | instskip(SKIP_1) | instid1(VALU_DEP_1)
	v_max_i32_e32 v17, v10, v17
	s_wait_dscnt 0x0
	v_mul_hi_u32 v18, v17, s18
	s_delay_alu instid0(VALU_DEP_1) | instskip(NEXT) | instid1(VALU_DEP_1)
	v_mul_lo_u32 v19, v18, s12
	v_sub_nc_u32_e32 v17, v17, v19
	v_add_nc_u32_e32 v19, 1, v18
	s_delay_alu instid0(VALU_DEP_2) | instskip(SKIP_2) | instid1(VALU_DEP_1)
	v_subrev_nc_u32_e32 v20, s12, v17
	v_cmp_le_u32_e64 s4, s12, v17
	s_wait_alu 0xf1ff
	v_cndmask_b32_e64 v18, v18, v19, s4
	s_delay_alu instid0(VALU_DEP_3) | instskip(SKIP_1) | instid1(VALU_DEP_3)
	v_cndmask_b32_e64 v17, v17, v20, s4
	v_ashrrev_i32_e32 v19, 31, v10
	v_add_nc_u32_e32 v20, 1, v18
	s_delay_alu instid0(VALU_DEP_3) | instskip(NEXT) | instid1(VALU_DEP_3)
	v_cmp_le_u32_e64 s4, s12, v17
	v_xor_b32_e32 v19, s11, v19
	s_wait_alu 0xf1ff
	s_delay_alu instid0(VALU_DEP_2) | instskip(NEXT) | instid1(VALU_DEP_1)
	v_cndmask_b32_e64 v17, v18, v20, s4
	v_xor_b32_e32 v17, v17, v19
	s_delay_alu instid0(VALU_DEP_1) | instskip(NEXT) | instid1(VALU_DEP_1)
	v_sub_nc_u32_e32 v17, v17, v19
	v_add_nc_u32_e32 v18, s17, v17
	v_cmp_ge_i32_e64 s5, s14, v17
	s_delay_alu instid0(VALU_DEP_2) | instskip(NEXT) | instid1(VALU_DEP_1)
	v_sub_nc_u32_e32 v19, 0, v18
	v_max_i32_e32 v19, v18, v19
	v_ashrrev_i32_e32 v18, 31, v18
	s_wait_alu 0xfffe
	s_delay_alu instid0(VALU_DEP_2) | instskip(NEXT) | instid1(VALU_DEP_1)
	v_mul_hi_u32 v20, v19, s37
	v_mul_lo_u32 v20, v20, s27
	s_delay_alu instid0(VALU_DEP_1) | instskip(NEXT) | instid1(VALU_DEP_1)
	v_sub_nc_u32_e32 v19, v19, v20
	v_subrev_nc_u32_e32 v20, s27, v19
	v_cmp_le_u32_e64 s4, s27, v19
	s_wait_alu 0xf1ff
	s_delay_alu instid0(VALU_DEP_1) | instskip(NEXT) | instid1(VALU_DEP_1)
	v_cndmask_b32_e64 v19, v19, v20, s4
	v_subrev_nc_u32_e32 v20, s27, v19
	v_cmp_le_u32_e64 s4, s27, v19
	s_wait_alu 0xf1ff
	s_delay_alu instid0(VALU_DEP_1) | instskip(NEXT) | instid1(VALU_DEP_1)
	v_cndmask_b32_e64 v19, v19, v20, s4
	v_xor_b32_e32 v19, v19, v18
	s_delay_alu instid0(VALU_DEP_1) | instskip(NEXT) | instid1(VALU_DEP_1)
	v_sub_nc_u32_e32 v18, v19, v18
	v_cmp_ne_u32_e64 s4, 0, v18
	s_and_b32 s4, s4, s5
	s_wait_alu 0xfffe
	s_and_saveexec_b32 s5, s4
	s_wait_alu 0xfffe
	s_xor_b32 s4, exec_lo, s5
	s_cbranch_execz .LBB132_17
; %bb.14:                               ;   in Loop: Header=BB132_13 Depth=1
	s_and_saveexec_b32 s5, s3
; %bb.15:                               ;   in Loop: Header=BB132_13 Depth=1
	ds_store_b32 v12, v13
; %bb.16:                               ;   in Loop: Header=BB132_13 Depth=1
	s_wait_alu 0xfffe
	s_or_b32 exec_lo, exec_lo, s5
.LBB132_17:                             ;   in Loop: Header=BB132_13 Depth=1
	s_wait_alu 0xfffe
	s_and_not1_saveexec_b32 s5, s4
	s_cbranch_execz .LBB132_12
; %bb.18:                               ;   in Loop: Header=BB132_13 Depth=1
	global_load_b32 v17, v[1:2], off
	s_wait_loadcnt 0x0
	v_mad_co_i64_i32 v[17:18], null, v17, s29, 0
	s_delay_alu instid0(VALU_DEP_1) | instskip(NEXT) | instid1(VALU_DEP_1)
	v_lshlrev_b64_e32 v[17:18], 1, v[17:18]
	v_add_co_u32 v17, s4, v8, v17
	s_wait_alu 0xf1ff
	s_delay_alu instid0(VALU_DEP_2)
	v_add_co_ci_u32_e64 v18, null, v9, v18, s4
	v_cmp_gt_i32_e64 s4, 32, v14
	s_clause 0xb
	global_load_b32 v21, v[17:18], off offset:128
	global_load_b32 v22, v[17:18], off
	global_load_b32 v34, v[17:18], off offset:256
	global_load_b32 v35, v[17:18], off offset:384
	;; [unrolled: 1-line block ×10, first 2 shown]
	ds_load_b128 v[17:20], v7
	ds_load_b128 v[26:29], v7 offset:16
	ds_load_b128 v[30:33], v7 offset:32
	s_wait_loadcnt 0xb
	v_lshlrev_b32_e32 v56, 16, v21
	v_and_b32_e32 v21, 0xffff0000, v21
	s_wait_dscnt 0x2
	v_lshlrev_b32_e32 v45, 16, v18
	v_and_b32_e32 v18, 0xffff0000, v18
	s_wait_loadcnt 0xa
	v_lshlrev_b32_e32 v57, 16, v22
	v_and_b32_e32 v22, 0xffff0000, v22
	s_delay_alu instid0(VALU_DEP_3)
	v_mul_f32_e32 v18, v18, v21
	v_dual_mul_f32 v45, v45, v56 :: v_dual_lshlrev_b32 v44, 16, v17
	v_and_b32_e32 v17, 0xffff0000, v17
	v_lshlrev_b32_e32 v46, 16, v19
	v_lshlrev_b32_e32 v47, 16, v20
	v_and_b32_e32 v19, 0xffff0000, v19
	s_wait_loadcnt 0x9
	v_lshlrev_b32_e32 v21, 16, v34
	v_and_b32_e32 v34, 0xffff0000, v34
	s_wait_dscnt 0x1
	v_dual_fmac_f32 v18, v17, v22 :: v_dual_lshlrev_b32 v49, 16, v27
	v_and_b32_e32 v17, 0xffff0000, v20
	s_wait_loadcnt 0x8
	v_dual_fmac_f32 v45, v44, v57 :: v_dual_and_b32 v22, 0xffff0000, v35
	s_delay_alu instid0(VALU_DEP_3)
	v_fmac_f32_e32 v18, v19, v34
	v_lshlrev_b32_e32 v48, 16, v26
	v_lshlrev_b32_e32 v51, 16, v29
	v_and_b32_e32 v19, 0xffff0000, v26
	s_wait_loadcnt 0x7
	v_and_b32_e32 v26, 0xffff0000, v36
	s_wait_dscnt 0x0
	v_dual_fmac_f32 v18, v17, v22 :: v_dual_lshlrev_b32 v53, 16, v31
	v_and_b32_e32 v17, 0xffff0000, v27
	s_wait_loadcnt 0x6
	v_and_b32_e32 v22, 0xffff0000, v37
	v_lshlrev_b32_e32 v20, 16, v35
	v_dual_fmac_f32 v18, v19, v26 :: v_dual_lshlrev_b32 v55, 16, v33
	v_and_b32_e32 v19, 0xffff0000, v28
	s_wait_loadcnt 0x5
	v_dual_fmac_f32 v45, v46, v21 :: v_dual_and_b32 v26, 0xffff0000, v38
	s_delay_alu instid0(VALU_DEP_3) | instskip(SKIP_2) | instid1(VALU_DEP_3)
	v_dual_fmac_f32 v18, v17, v22 :: v_dual_and_b32 v17, 0xffff0000, v29
	s_wait_loadcnt 0x4
	v_and_b32_e32 v22, 0xffff0000, v39
	v_dual_fmac_f32 v45, v47, v20 :: v_dual_lshlrev_b32 v52, 16, v30
	s_delay_alu instid0(VALU_DEP_3)
	v_fmac_f32_e32 v18, v19, v26
	v_and_b32_e32 v19, 0xffff0000, v30
	s_wait_loadcnt 0x3
	v_and_b32_e32 v26, 0xffff0000, v40
	v_lshlrev_b32_e32 v20, 16, v37
	v_dual_fmac_f32 v18, v17, v22 :: v_dual_and_b32 v17, 0xffff0000, v31
	s_wait_loadcnt 0x2
	v_and_b32_e32 v22, 0xffff0000, v41
	s_delay_alu instid0(VALU_DEP_2) | instskip(SKIP_3) | instid1(VALU_DEP_3)
	v_dual_fmac_f32 v18, v19, v26 :: v_dual_lshlrev_b32 v21, 16, v36
	v_and_b32_e32 v19, 0xffff0000, v32
	s_wait_loadcnt 0x1
	v_and_b32_e32 v26, 0xffff0000, v42
	v_fmac_f32_e32 v18, v17, v22
	v_dual_fmac_f32 v45, v48, v21 :: v_dual_lshlrev_b32 v50, 16, v28
	v_lshlrev_b32_e32 v21, 16, v38
	v_and_b32_e32 v17, 0xffff0000, v33
	s_wait_loadcnt 0x0
	v_and_b32_e32 v22, 0xffff0000, v43
	v_dual_fmac_f32 v18, v19, v26 :: v_dual_fmac_f32 v45, v49, v20
	v_lshlrev_b32_e32 v54, 16, v32
	v_lshlrev_b32_e32 v20, 16, v39
	s_wait_alu 0xf1ff
	v_cndmask_b32_e64 v19, v4, v14, s4
	v_dual_fmac_f32 v18, v17, v22 :: v_dual_fmac_f32 v45, v50, v21
	v_lshlrev_b32_e32 v21, 16, v40
	v_cmp_gt_i32_e64 s4, 32, v15
	s_delay_alu instid0(VALU_DEP_4) | instskip(NEXT) | instid1(VALU_DEP_4)
	v_lshlrev_b32_e32 v17, 2, v19
	v_dual_fmac_f32 v45, v51, v20 :: v_dual_lshlrev_b32 v20, 16, v41
	s_wait_alu 0xf1ff
	s_delay_alu instid0(VALU_DEP_3) | instskip(NEXT) | instid1(VALU_DEP_2)
	v_cndmask_b32_e64 v19, v4, v15, s4
	v_fmac_f32_e32 v45, v52, v21
	v_lshlrev_b32_e32 v21, 16, v42
	s_delay_alu instid0(VALU_DEP_3) | instskip(NEXT) | instid1(VALU_DEP_3)
	v_lshlrev_b32_e32 v19, 2, v19
	v_dual_fmac_f32 v45, v53, v20 :: v_dual_lshlrev_b32 v20, 16, v43
	s_delay_alu instid0(VALU_DEP_1) | instskip(NEXT) | instid1(VALU_DEP_1)
	v_fmac_f32_e32 v45, v54, v21
	v_fmac_f32_e32 v45, v55, v20
	s_delay_alu instid0(VALU_DEP_1)
	v_add_f32_e32 v18, v45, v18
	ds_bpermute_b32 v17, v17, v18
	s_wait_dscnt 0x0
	v_add_f32_e32 v17, v18, v17
	ds_bpermute_b32 v18, v19, v17
	s_and_saveexec_b32 s38, s3
	s_cbranch_execz .LBB132_11
; %bb.19:                               ;   in Loop: Header=BB132_13 Depth=1
	s_wait_dscnt 0x0
	v_add_f32_e32 v17, v17, v18
	v_add_nc_u32_e32 v19, v11, v10
	s_delay_alu instid0(VALU_DEP_1) | instskip(NEXT) | instid1(VALU_DEP_1)
	v_cvt_f32_i32_e32 v19, v19
	v_mul_f32_e32 v19, s15, v19
	s_delay_alu instid0(VALU_DEP_1) | instskip(NEXT) | instid1(VALU_DEP_1)
	v_dual_cndmask_b32 v18, 0, v19 :: v_dual_max_num_f32 v19, v6, v6
	v_dual_fmac_f32 v18, s7, v17 :: v_dual_add_nc_u32 v17, v5, v10
	s_delay_alu instid0(VALU_DEP_1) | instskip(NEXT) | instid1(VALU_DEP_2)
	v_max_num_f32_e32 v19, v19, v18
	v_cmp_gt_i32_e64 s4, s31, v17
	s_wait_alu 0xf1ff
	s_delay_alu instid0(VALU_DEP_1) | instskip(NEXT) | instid1(VALU_DEP_3)
	v_cndmask_b32_e64 v17, 0, v18, s4
	v_cndmask_b32_e64 v6, v6, v19, s4
	ds_store_b32 v12, v17
	s_branch .LBB132_11
.LBB132_20:
	s_or_b32 exec_lo, exec_lo, s28
.LBB132_21:
	s_delay_alu instid0(SALU_CYCLE_1)
	s_or_b32 exec_lo, exec_lo, s6
	v_xor_b32_e32 v1, 16, v4
	v_xor_b32_e32 v5, 8, v4
	;; [unrolled: 1-line block ×3, first 2 shown]
	s_clause 0x2
	s_load_b128 s[4:7], s[0:1], 0x0
	s_load_b64 s[14:15], s[0:1], 0x10
	s_load_b64 s[28:29], s[0:1], 0x28
	v_and_b32_e32 v26, 31, v0
	v_cmp_gt_i32_e32 vcc_lo, 32, v1
	s_wait_alu 0xfffd
	v_cndmask_b32_e32 v1, v4, v1, vcc_lo
	v_cmp_gt_i32_e32 vcc_lo, 32, v5
	s_wait_alu 0xfffd
	v_cndmask_b32_e32 v5, v4, v5, vcc_lo
	v_cmp_gt_i32_e32 vcc_lo, 32, v7
	v_lshlrev_b32_e32 v2, 2, v1
	s_delay_alu instid0(VALU_DEP_3)
	v_lshlrev_b32_e32 v5, 2, v5
	s_wait_alu 0xfffd
	v_cndmask_b32_e32 v7, v4, v7, vcc_lo
	ds_bpermute_b32 v1, v2, v6
	v_max_num_f32_e32 v6, v6, v6
	v_cmp_eq_u32_e32 vcc_lo, 0, v26
	s_wait_dscnt 0x0
	v_dual_max_num_f32 v1, v1, v1 :: v_dual_lshlrev_b32 v8, 2, v7
	s_delay_alu instid0(VALU_DEP_1) | instskip(SKIP_3) | instid1(VALU_DEP_1)
	v_max_num_f32_e32 v1, v6, v1
	ds_bpermute_b32 v6, v5, v1
	s_wait_dscnt 0x0
	v_max_num_f32_e32 v6, v6, v6
	v_dual_max_num_f32 v1, v1, v6 :: v_dual_lshlrev_b32 v6, 2, v23
	ds_bpermute_b32 v7, v8, v1
	s_and_saveexec_b32 s0, vcc_lo
	s_cbranch_execz .LBB132_23
; %bb.22:
	s_wait_dscnt 0x0
	v_max_num_f32_e32 v7, v7, v7
	v_max_num_f32_e32 v1, v1, v1
	s_delay_alu instid0(VALU_DEP_1)
	v_max_num_f32_e32 v1, v1, v7
	ds_store_b32 v6, v1 offset:192
.LBB132_23:
	s_or_b32 exec_lo, exec_lo, s0
	v_cmp_gt_u32_e64 s0, 4, v26
	v_mov_b32_e32 v1, 0xff7fffff
	s_wait_dscnt 0x0
	v_lshlrev_b32_e32 v7, 2, v26
	s_wait_loadcnt 0x0
	s_barrier_signal -1
	s_barrier_wait -1
	global_inv scope:SCOPE_SE
	s_and_saveexec_b32 s1, s0
; %bb.24:
	ds_load_b32 v1, v7 offset:192
; %bb.25:
	s_or_b32 exec_lo, exec_lo, s1
	v_xor_b32_e32 v9, 2, v4
	v_xor_b32_e32 v11, 1, v4
	s_delay_alu instid0(VALU_DEP_2) | instskip(NEXT) | instid1(VALU_DEP_1)
	v_cmp_gt_i32_e64 s1, 32, v9
	v_cndmask_b32_e64 v9, v4, v9, s1
	s_delay_alu instid0(VALU_DEP_3) | instskip(NEXT) | instid1(VALU_DEP_2)
	v_cmp_gt_i32_e64 s1, 32, v11
	v_lshlrev_b32_e32 v9, 2, v9
	s_wait_alu 0xf1ff
	s_delay_alu instid0(VALU_DEP_2)
	v_cndmask_b32_e64 v4, v4, v11, s1
	s_sub_co_i32 s1, s19, s36
	s_wait_alu 0xfffe
	s_lshl_b32 s1, s1, 3
	s_wait_dscnt 0x0
	ds_bpermute_b32 v10, v9, v1
	v_max_num_f32_e32 v1, v1, v1
	s_wait_alu 0xfffe
	s_add_co_i32 s1, s1, s33
	s_wait_alu 0xfffe
	s_min_i32 s1, s1, s31
	s_wait_alu 0xfffe
	s_sub_co_i32 s27, s1, s33
	s_wait_alu 0xfffe
	v_cmp_gt_i32_e64 s1, s27, v0
	s_wait_dscnt 0x0
	v_dual_max_num_f32 v11, v10, v10 :: v_dual_lshlrev_b32 v10, 2, v4
	s_delay_alu instid0(VALU_DEP_1) | instskip(SKIP_4) | instid1(VALU_DEP_1)
	v_max_num_f32_e32 v1, v1, v11
	v_mov_b32_e32 v11, 0
	ds_bpermute_b32 v4, v10, v1
	s_wait_dscnt 0x0
	v_max_num_f32_e32 v4, v4, v4
	v_max_num_f32_e32 v1, v1, v4
	v_lshl_add_u32 v4, v0, 2, 0xe0
	ds_bpermute_b32 v1, v11, v1
	s_and_saveexec_b32 s33, s1
	s_cbranch_execz .LBB132_29
; %bb.26:
	v_lshl_add_u32 v12, v0, 2, 0xe0
	v_mov_b32_e32 v11, 0
	v_mov_b32_e32 v13, v0
	s_mov_b32 s36, 0
.LBB132_27:                             ; =>This Inner Loop Header: Depth=1
	ds_load_b32 v14, v12
	v_add_nc_u32_e32 v13, 0x80, v13
	s_delay_alu instid0(VALU_DEP_1) | instskip(SKIP_4) | instid1(VALU_DEP_1)
	v_cmp_le_i32_e64 s3, s27, v13
	s_wait_alu 0xfffe
	s_or_b32 s36, s3, s36
	s_wait_dscnt 0x0
	v_sub_f32_e32 v14, v14, v1
	v_mul_f32_e32 v14, 0x3fb8aa3b, v14
	s_delay_alu instid0(VALU_DEP_1)
	v_exp_f32_e32 v14, v14
	ds_store_b32 v12, v14
	v_dual_add_f32 v11, v11, v14 :: v_dual_add_nc_u32 v12, 0x200, v12
	s_wait_alu 0xfffe
	s_and_not1_b32 exec_lo, exec_lo, s36
	s_cbranch_execnz .LBB132_27
; %bb.28:
	s_or_b32 exec_lo, exec_lo, s36
.LBB132_29:
	s_wait_alu 0xfffe
	s_or_b32 exec_lo, exec_lo, s33
	ds_bpermute_b32 v2, v2, v11
	s_wait_dscnt 0x0
	v_add_f32_e32 v2, v11, v2
	ds_bpermute_b32 v5, v5, v2
	s_wait_dscnt 0x0
	v_add_f32_e32 v2, v2, v5
	;; [unrolled: 3-line block ×5, first 2 shown]
	s_and_saveexec_b32 s3, vcc_lo
; %bb.30:
	ds_store_b32 v6, v2 offset:208
; %bb.31:
	s_wait_alu 0xfffe
	s_or_b32 exec_lo, exec_lo, s3
	s_wait_loadcnt_dscnt 0x0
	s_barrier_signal -1
	s_barrier_wait -1
	global_inv scope:SCOPE_SE
	s_and_saveexec_b32 s3, s0
; %bb.32:
	ds_load_b32 v2, v7 offset:208
; %bb.33:
	s_wait_alu 0xfffe
	s_or_b32 exec_lo, exec_lo, s3
	s_wait_dscnt 0x0
	ds_bpermute_b32 v5, v9, v2
	s_wait_dscnt 0x0
	v_add_f32_e32 v2, v2, v5
	ds_bpermute_b32 v5, v10, v2
	s_wait_dscnt 0x0
	v_dual_add_f32 v2, v2, v5 :: v_dual_mov_b32 v5, 0
	ds_bpermute_b32 v2, v5, v2
	s_and_saveexec_b32 s0, s1
	s_cbranch_execz .LBB132_36
; %bb.34:
	s_wait_dscnt 0x0
	v_add_f32_e32 v5, 0x358637bd, v2
	s_mov_b32 s1, 0
	s_delay_alu instid0(VALU_DEP_1) | instskip(SKIP_1) | instid1(VALU_DEP_2)
	v_div_scale_f32 v6, null, v5, v5, 1.0
	v_div_scale_f32 v9, vcc_lo, 1.0, v5, 1.0
	v_rcp_f32_e32 v7, v6
	s_delay_alu instid0(TRANS32_DEP_1) | instskip(NEXT) | instid1(VALU_DEP_1)
	v_fma_f32 v8, -v6, v7, 1.0
	v_fmac_f32_e32 v7, v8, v7
	s_delay_alu instid0(VALU_DEP_1) | instskip(NEXT) | instid1(VALU_DEP_1)
	v_mul_f32_e32 v8, v9, v7
	v_fma_f32 v10, -v6, v8, v9
	s_delay_alu instid0(VALU_DEP_1) | instskip(NEXT) | instid1(VALU_DEP_1)
	v_fmac_f32_e32 v8, v10, v7
	v_fma_f32 v6, -v6, v8, v9
	s_wait_alu 0xfffd
	s_delay_alu instid0(VALU_DEP_1) | instskip(NEXT) | instid1(VALU_DEP_1)
	v_div_fmas_f32 v6, v6, v7, v8
	v_div_fixup_f32 v5, v6, v5, 1.0
	v_mov_b32_e32 v6, v0
.LBB132_35:                             ; =>This Inner Loop Header: Depth=1
	ds_load_b32 v7, v4
	s_wait_dscnt 0x0
	v_dual_mul_f32 v7, v5, v7 :: v_dual_add_nc_u32 v6, 0x80, v6
	s_delay_alu instid0(VALU_DEP_1)
	v_cmp_le_i32_e32 vcc_lo, s27, v6
	ds_store_b32 v4, v7
	v_add_nc_u32_e32 v4, 0x200, v4
	s_wait_alu 0xfffe
	s_or_b32 s1, vcc_lo, s1
	s_wait_alu 0xfffe
	s_and_not1_b32 exec_lo, exec_lo, s1
	s_cbranch_execnz .LBB132_35
.LBB132_36:
	s_wait_alu 0xfffe
	s_or_b32 exec_lo, exec_lo, s0
	s_mul_i32 s0, s8, s20
	s_wait_loadcnt_dscnt 0x0
	s_wait_alu 0xfffe
	s_mul_i32 s20, s0, s21
	s_mov_b32 s0, exec_lo
	s_barrier_signal -1
	s_barrier_wait -1
	global_inv scope:SCOPE_SE
	v_cmpx_eq_u32_e32 0, v0
	s_cbranch_execz .LBB132_38
; %bb.37:
	s_ashr_i32 s21, s20, 31
	s_wait_alu 0xfffe
	s_mul_i32 s36, s8, ttmp9
	s_lshl_b32 s1, s30, 2
	s_lshl_b64 s[38:39], s[20:21], 2
	s_wait_alu 0xfffe
	s_ashr_i32 s37, s36, 31
	v_mov_b32_e32 v4, s1
	s_wait_kmcnt 0x0
	s_add_nc_u64 s[6:7], s[6:7], s[38:39]
	s_wait_alu 0xfffe
	s_lshl_b64 s[36:37], s[36:37], 2
	s_add_nc_u64 s[4:5], s[4:5], s[38:39]
	s_wait_alu 0xfffe
	s_add_nc_u64 s[6:7], s[6:7], s[36:37]
	s_add_nc_u64 s[4:5], s[4:5], s[36:37]
	s_clause 0x1
	global_store_b32 v4, v1, s[6:7]
	global_store_b32 v4, v2, s[4:5]
.LBB132_38:
	s_wait_alu 0xfffe
	s_or_b32 exec_lo, exec_lo, s0
	v_dual_mov_b32 v29, 0 :: v_dual_mov_b32 v28, 0
	v_mov_b32_e32 v27, 0
	s_and_saveexec_b32 s1, s2
	s_cbranch_execz .LBB132_50
; %bb.39:
	s_abs_i32 s2, s10
	s_ashr_i32 s27, s26, 31
	s_wait_alu 0xfffe
	s_cvt_f32_u32 s0, s2
	s_lshl_b64 s[24:25], s[24:25], 2
	v_dual_mov_b32 v27, 0 :: v_dual_lshlrev_b32 v2, 4, v26
	s_wait_alu 0xfffe
	v_rcp_iflag_f32_e32 v1, s0
	s_lshl_b64 s[26:27], s[26:27], 1
	s_add_nc_u64 s[22:23], s[22:23], s[24:25]
	s_sub_co_i32 s3, s35, s9
	s_wait_kmcnt 0x0
	s_wait_alu 0xfffe
	s_add_nc_u64 s[24:25], s[28:29], s[26:27]
	v_add_co_u32 v21, s9, s22, v3
	s_sub_co_i32 s7, 0, s2
	v_add_co_ci_u32_e64 v22, null, s23, 0, s9
	v_readfirstlane_b32 s0, v1
	v_add_co_u32 v31, s9, s24, v2
	v_lshl_add_u32 v30, v23, 5, 0xe0
	s_wait_alu 0xf1ff
	v_add_co_ci_u32_e64 v32, null, s25, 0, s9
	s_mul_f32 s0, s0, 0x4f7ffffe
	v_dual_mov_b32 v28, 0 :: v_dual_mov_b32 v29, 0
	s_mov_b32 s4, s13
	s_wait_alu 0xfffe
	s_cvt_u32_f32 s0, s0
	s_add_co_i32 s5, s34, -1
	s_mov_b32 s6, 0
	s_wait_alu 0xfffe
	s_mul_i32 s7, s7, s0
	s_wait_alu 0xfffe
	s_mul_hi_u32 s9, s0, s7
	s_mov_b32 s7, s31
	s_wait_alu 0xfffe
	s_add_co_i32 s9, s0, s9
	s_branch .LBB132_42
.LBB132_40:                             ;   in Loop: Header=BB132_42 Depth=1
	s_wait_alu 0xfffe
	s_or_b32 exec_lo, exec_lo, s0
	s_wait_dscnt 0x1
	v_bfe_u32 v33, v17, 16, 1
	v_bfe_u32 v34, v18, 16, 1
	v_or_b32_e32 v35, 0x400000, v17
	v_cmp_u_f32_e32 vcc_lo, v17, v17
	v_or_b32_e32 v36, 0x400000, v18
	v_add3_u32 v33, v33, v17, 0x7fff
	v_bfe_u32 v37, v19, 16, 1
	v_add3_u32 v34, v34, v18, 0x7fff
	v_bfe_u32 v38, v20, 16, 1
	s_wait_alu 0xfffd
	v_cndmask_b32_e32 v17, v33, v35, vcc_lo
	v_cmp_u_f32_e32 vcc_lo, v18, v18
	v_add3_u32 v33, v37, v19, 0x7fff
	s_wait_dscnt 0x0
	v_bfe_u32 v35, v9, 16, 1
	v_or_b32_e32 v37, 0x400000, v20
	s_wait_alu 0xfffd
	v_cndmask_b32_e32 v18, v34, v36, vcc_lo
	v_or_b32_e32 v34, 0x400000, v19
	v_cmp_u_f32_e32 vcc_lo, v19, v19
	v_add3_u32 v36, v38, v20, 0x7fff
	v_and_b32_e32 v17, 0xffff0000, v17
	s_wait_alu 0xfffd
	v_cndmask_b32_e32 v19, v33, v34, vcc_lo
	v_cmp_u_f32_e32 vcc_lo, v20, v20
	v_add3_u32 v33, v35, v9, 0x7fff
	v_or_b32_e32 v34, 0x400000, v9
	v_bfe_u32 v35, v10, 16, 1
	s_wait_alu 0xfffd
	v_cndmask_b32_e32 v20, v36, v37, vcc_lo
	v_cmp_u_f32_e32 vcc_lo, v9, v9
	v_or_b32_e32 v36, 0x400000, v10
	v_add3_u32 v35, v35, v10, 0x7fff
	v_or_b32_e32 v37, 0x400000, v11
	s_wait_alu 0xfffd
	v_dual_cndmask_b32 v9, v33, v34 :: v_dual_and_b32 v20, 0xffff0000, v20
	s_wait_loadcnt 0x1
	v_and_b32_e32 v34, 0xffff0000, v13
	v_bfe_u32 v33, v11, 16, 1
	v_cmp_u_f32_e32 vcc_lo, v10, v10
	v_lshlrev_b32_e32 v13, 16, v13
	v_and_b32_e32 v9, 0xffff0000, v9
	s_delay_alu instid0(VALU_DEP_4)
	v_add3_u32 v33, v33, v11, 0x7fff
	s_wait_alu 0xfffd
	v_cndmask_b32_e32 v10, v35, v36, vcc_lo
	v_cmp_u_f32_e32 vcc_lo, v11, v11
	v_and_b32_e32 v18, 0xffff0000, v18
	v_bfe_u32 v35, v12, 16, 1
	v_or_b32_e32 v36, 0x400000, v12
	v_mul_f32_e32 v13, v17, v13
	s_wait_alu 0xfffd
	v_dual_cndmask_b32 v11, v33, v37 :: v_dual_mul_f32 v34, v18, v34
	v_add3_u32 v35, v35, v12, 0x7fff
	v_cmp_u_f32_e32 vcc_lo, v12, v12
	s_delay_alu instid0(VALU_DEP_3)
	v_bfe_u32 v33, v34, 16, 1
	v_or_b32_e32 v37, 0x400000, v34
	s_wait_alu 0xfffd
	v_cndmask_b32_e32 v12, v35, v36, vcc_lo
	v_cmp_u_f32_e32 vcc_lo, v34, v34
	v_and_b32_e32 v36, 0xffff0000, v15
	v_add3_u32 v33, v33, v34, 0x7fff
	v_and_b32_e32 v38, 0xffff0000, v14
	v_bfe_u32 v34, v13, 16, 1
	s_wait_alu 0xfffd
	s_delay_alu instid0(VALU_DEP_3) | instskip(NEXT) | instid1(VALU_DEP_3)
	v_cndmask_b32_e32 v33, v33, v37, vcc_lo
	v_mul_f32_e32 v35, v20, v38
	s_delay_alu instid0(VALU_DEP_3)
	v_add3_u32 v34, v34, v13, 0x7fff
	v_or_b32_e32 v37, 0x400000, v13
	v_cmp_u_f32_e32 vcc_lo, v13, v13
	v_lshlrev_b32_e32 v14, 16, v14
	v_bfe_u32 v38, v35, 16, 1
	s_wait_alu 0xfffd
	v_dual_cndmask_b32 v13, v34, v37 :: v_dual_and_b32 v12, 0xffff0000, v12
	v_or_b32_e32 v37, 0x400000, v35
	s_delay_alu instid0(VALU_DEP_3)
	v_add3_u32 v34, v38, v35, 0x7fff
	v_cmp_u_f32_e32 vcc_lo, v35, v35
	v_lshlrev_b32_e32 v15, 16, v15
	v_and_b32_e32 v13, 0xffff0000, v13
	s_wait_alu 0xfffd
	v_cndmask_b32_e32 v34, v34, v37, vcc_lo
	s_delay_alu instid0(VALU_DEP_3) | instskip(NEXT) | instid1(VALU_DEP_1)
	v_dual_mul_f32 v15, v9, v15 :: v_dual_and_b32 v10, 0xffff0000, v10
	v_dual_mul_f32 v36, v10, v36 :: v_dual_and_b32 v19, 0xffff0000, v19
	s_delay_alu instid0(VALU_DEP_2) | instskip(NEXT) | instid1(VALU_DEP_2)
	v_bfe_u32 v41, v15, 16, 1
	v_dual_mul_f32 v14, v19, v14 :: v_dual_and_b32 v33, 0xffff0000, v33
	s_delay_alu instid0(VALU_DEP_3) | instskip(SKIP_1) | instid1(VALU_DEP_3)
	v_bfe_u32 v39, v36, 16, 1
	v_or_b32_e32 v40, 0x400000, v36
	v_bfe_u32 v38, v14, 16, 1
	s_delay_alu instid0(VALU_DEP_4) | instskip(SKIP_2) | instid1(VALU_DEP_4)
	v_dual_add_f32 v13, v13, v33 :: v_dual_and_b32 v34, 0xffff0000, v34
	v_and_b32_e32 v33, 0xffff0000, v1
	v_lshlrev_b32_e32 v1, 16, v1
	v_add3_u32 v35, v38, v14, 0x7fff
	v_add3_u32 v38, v39, v36, 0x7fff
	v_and_b32_e32 v39, 0xffff0000, v16
	v_or_b32_e32 v37, 0x400000, v14
	v_cmp_u_f32_e32 vcc_lo, v14, v14
	v_dual_mul_f32 v1, v17, v1 :: v_dual_lshlrev_b32 v16, 16, v16
	s_wait_alu 0xfffd
	s_delay_alu instid0(VALU_DEP_3) | instskip(SKIP_2) | instid1(VALU_DEP_3)
	v_dual_cndmask_b32 v14, v35, v37 :: v_dual_mul_f32 v35, v12, v39
	v_cmp_u_f32_e32 vcc_lo, v36, v36
	v_add3_u32 v37, v41, v15, 0x7fff
	v_and_b32_e32 v14, 0xffff0000, v14
	s_delay_alu instid0(VALU_DEP_4)
	v_bfe_u32 v39, v35, 16, 1
	s_wait_alu 0xfffd
	v_cndmask_b32_e32 v36, v38, v40, vcc_lo
	v_or_b32_e32 v38, 0x400000, v15
	v_dual_add_f32 v14, v14, v34 :: v_dual_and_b32 v11, 0xffff0000, v11
	v_cmp_u_f32_e32 vcc_lo, v15, v15
	s_delay_alu instid0(VALU_DEP_2)
	v_dual_add_f32 v13, v14, v13 :: v_dual_and_b32 v34, 0xffff0000, v36
	s_wait_alu 0xfffd
	v_cndmask_b32_e32 v15, v37, v38, vcc_lo
	v_add3_u32 v37, v39, v35, 0x7fff
	v_or_b32_e32 v38, 0x400000, v35
	v_mul_f32_e32 v16, v11, v16
	v_cmp_u_f32_e32 vcc_lo, v35, v35
	v_dual_mul_f32 v14, v18, v33 :: v_dual_and_b32 v15, 0xffff0000, v15
	s_wait_alu 0xfffd
	v_cndmask_b32_e32 v35, v37, v38, vcc_lo
	v_bfe_u32 v37, v16, 16, 1
	s_delay_alu instid0(VALU_DEP_3)
	v_add_f32_e32 v15, v15, v34
	v_cmp_u_f32_e32 vcc_lo, v16, v16
	v_bfe_u32 v33, v14, 16, 1
	v_or_b32_e32 v34, 0x400000, v14
	v_add3_u32 v36, v37, v16, 0x7fff
	v_or_b32_e32 v37, 0x400000, v16
	v_add_f32_e32 v13, v15, v13
	v_and_b32_e32 v15, 0xffff0000, v2
	v_add3_u32 v33, v33, v14, 0x7fff
	s_wait_alu 0xfffd
	v_cndmask_b32_e32 v16, v36, v37, vcc_lo
	v_bfe_u32 v36, v1, 16, 1
	v_mul_f32_e32 v15, v20, v15
	v_cmp_u_f32_e32 vcc_lo, v14, v14
	v_or_b32_e32 v37, 0x400000, v1
	v_and_b32_e32 v16, 0xffff0000, v16
	s_delay_alu instid0(VALU_DEP_4)
	v_or_b32_e32 v38, 0x400000, v15
	s_wait_alu 0xfffd
	v_cndmask_b32_e32 v14, v33, v34, vcc_lo
	v_bfe_u32 v33, v15, 16, 1
	v_add3_u32 v34, v36, v1, 0x7fff
	v_cmp_u_f32_e32 vcc_lo, v1, v1
	v_lshlrev_b32_e32 v2, 16, v2
	v_and_b32_e32 v14, 0xffff0000, v14
	v_add3_u32 v33, v33, v15, 0x7fff
	s_wait_alu 0xfffd
	s_delay_alu instid0(VALU_DEP_3)
	v_dual_cndmask_b32 v1, v34, v37 :: v_dual_mul_f32 v2, v19, v2
	v_cmp_u_f32_e32 vcc_lo, v15, v15
	v_and_b32_e32 v36, 0xffff0000, v3
	v_lshlrev_b32_e32 v3, 16, v3
	v_and_b32_e32 v37, 0xffff0000, v4
	v_bfe_u32 v34, v2, 16, 1
	s_wait_alu 0xfffd
	v_dual_cndmask_b32 v15, v33, v38 :: v_dual_mul_f32 v36, v10, v36
	v_or_b32_e32 v38, 0x400000, v2
	v_dual_mul_f32 v3, v9, v3 :: v_dual_lshlrev_b32 v4, 16, v4
	v_add3_u32 v34, v34, v2, 0x7fff
	s_delay_alu instid0(VALU_DEP_4)
	v_bfe_u32 v33, v36, 16, 1
	v_cmp_u_f32_e32 vcc_lo, v2, v2
	v_mul_f32_e32 v37, v12, v37
	v_or_b32_e32 v39, 0x400000, v36
	v_dual_mul_f32 v4, v11, v4 :: v_dual_and_b32 v35, 0xffff0000, v35
	v_add3_u32 v33, v33, v36, 0x7fff
	s_wait_alu 0xfffd
	v_cndmask_b32_e32 v2, v34, v38, vcc_lo
	v_bfe_u32 v34, v3, 16, 1
	v_cmp_u_f32_e32 vcc_lo, v36, v36
	v_bfe_u32 v38, v37, 16, 1
	v_or_b32_e32 v36, 0x400000, v3
	v_and_b32_e32 v2, 0xffff0000, v2
	v_add3_u32 v34, v34, v3, 0x7fff
	s_wait_alu 0xfffd
	v_cndmask_b32_e32 v33, v33, v39, vcc_lo
	v_cmp_u_f32_e32 vcc_lo, v3, v3
	v_add3_u32 v38, v38, v37, 0x7fff
	v_or_b32_e32 v39, 0x400000, v37
	v_and_b32_e32 v15, 0xffff0000, v15
	v_and_b32_e32 v1, 0xffff0000, v1
	s_wait_alu 0xfffd
	v_cndmask_b32_e32 v3, v34, v36, vcc_lo
	v_cmp_u_f32_e32 vcc_lo, v37, v37
	v_bfe_u32 v36, v4, 16, 1
	v_or_b32_e32 v37, 0x400000, v4
	v_dual_add_f32 v2, v2, v15 :: v_dual_add_f32 v1, v1, v14
	v_and_b32_e32 v14, 0xffff0000, v33
	s_wait_alu 0xfffd
	v_cndmask_b32_e32 v34, v38, v39, vcc_lo
	v_add3_u32 v36, v36, v4, 0x7fff
	s_wait_loadcnt 0x0
	v_and_b32_e32 v38, 0xffff0000, v5
	v_cmp_u_f32_e32 vcc_lo, v4, v4
	v_lshlrev_b32_e32 v5, 16, v5
	v_add_f32_e32 v1, v2, v1
	s_wait_alu 0xfffd
	v_dual_cndmask_b32 v4, v36, v37 :: v_dual_mul_f32 v15, v18, v38
	s_delay_alu instid0(VALU_DEP_1) | instskip(NEXT) | instid1(VALU_DEP_2)
	v_dual_mul_f32 v5, v17, v5 :: v_dual_and_b32 v4, 0xffff0000, v4
	v_bfe_u32 v2, v15, 16, 1
	v_or_b32_e32 v17, 0x400000, v15
	v_cmp_u_f32_e32 vcc_lo, v15, v15
	s_delay_alu instid0(VALU_DEP_3) | instskip(SKIP_1) | instid1(VALU_DEP_1)
	v_add3_u32 v2, v2, v15, 0x7fff
	s_wait_alu 0xfffd
	v_dual_cndmask_b32 v2, v2, v17 :: v_dual_and_b32 v3, 0xffff0000, v3
	s_delay_alu instid0(VALU_DEP_1)
	v_add_f32_e32 v3, v3, v14
	v_and_b32_e32 v14, 0xffff0000, v6
	v_lshlrev_b32_e32 v6, 16, v6
	v_bfe_u32 v18, v5, 16, 1
	v_or_b32_e32 v17, 0x400000, v5
	v_cmp_u_f32_e32 vcc_lo, v5, v5
	v_mul_f32_e32 v14, v20, v14
	v_mul_f32_e32 v6, v19, v6
	v_add3_u32 v15, v18, v5, 0x7fff
	v_and_b32_e32 v2, 0xffff0000, v2
	s_delay_alu instid0(VALU_DEP_4) | instskip(SKIP_1) | instid1(VALU_DEP_3)
	v_bfe_u32 v18, v14, 16, 1
	s_wait_alu 0xfffd
	v_cndmask_b32_e32 v5, v15, v17, vcc_lo
	v_or_b32_e32 v17, 0x400000, v14
	v_cmp_u_f32_e32 vcc_lo, v14, v14
	v_add3_u32 v15, v18, v14, 0x7fff
	v_and_b32_e32 v19, 0xffff0000, v7
	v_bfe_u32 v18, v6, 16, 1
	s_wait_alu 0xfffd
	s_delay_alu instid0(VALU_DEP_3) | instskip(NEXT) | instid1(VALU_DEP_3)
	v_cndmask_b32_e32 v14, v15, v17, vcc_lo
	v_mul_f32_e32 v10, v10, v19
	s_delay_alu instid0(VALU_DEP_3)
	v_add3_u32 v15, v18, v6, 0x7fff
	v_or_b32_e32 v17, 0x400000, v6
	v_cmp_u_f32_e32 vcc_lo, v6, v6
	v_lshlrev_b32_e32 v7, 16, v7
	v_bfe_u32 v18, v10, 16, 1
	v_add_f32_e32 v1, v3, v1
	s_wait_alu 0xfffd
	s_delay_alu instid0(VALU_DEP_3) | instskip(NEXT) | instid1(VALU_DEP_3)
	v_dual_cndmask_b32 v6, v15, v17 :: v_dual_mul_f32 v7, v9, v7
	v_add3_u32 v17, v18, v10, 0x7fff
	v_cmp_u_f32_e32 vcc_lo, v10, v10
	v_and_b32_e32 v9, 0xffff0000, v8
	v_lshlrev_b32_e32 v8, 16, v8
	v_and_b32_e32 v6, 0xffff0000, v6
	s_delay_alu instid0(VALU_DEP_2) | instskip(SKIP_2) | instid1(VALU_DEP_3)
	v_mul_f32_e32 v8, v11, v8
	v_bfe_u32 v15, v7, 16, 1
	v_or_b32_e32 v11, 0x400000, v10
	v_bfe_u32 v19, v8, 16, 1
	s_wait_alu 0xfffd
	s_delay_alu instid0(VALU_DEP_2) | instskip(SKIP_3) | instid1(VALU_DEP_4)
	v_dual_cndmask_b32 v10, v17, v11 :: v_dual_mul_f32 v9, v12, v9
	v_add3_u32 v12, v15, v7, 0x7fff
	v_or_b32_e32 v15, 0x400000, v7
	v_cmp_u_f32_e32 vcc_lo, v7, v7
	v_bfe_u32 v18, v9, 16, 1
	v_or_b32_e32 v17, 0x400000, v9
	s_wait_alu 0xfffd
	v_cndmask_b32_e32 v7, v12, v15, vcc_lo
	v_add3_u32 v12, v19, v8, 0x7fff
	v_or_b32_e32 v15, 0x400000, v8
	v_cmp_u_f32_e32 vcc_lo, v8, v8
	v_add3_u32 v11, v18, v9, 0x7fff
	s_wait_alu 0xfffd
	s_delay_alu instid0(VALU_DEP_3) | instskip(SKIP_3) | instid1(VALU_DEP_3)
	v_dual_cndmask_b32 v8, v12, v15 :: v_dual_and_b32 v5, 0xffff0000, v5
	v_cmp_u_f32_e32 vcc_lo, v9, v9
	v_and_b32_e32 v14, 0xffff0000, v14
	s_wait_alu 0xfffd
	v_dual_add_f32 v2, v5, v2 :: v_dual_cndmask_b32 v9, v11, v17
	s_delay_alu instid0(VALU_DEP_2) | instskip(SKIP_2) | instid1(VALU_DEP_2)
	v_dual_add_f32 v5, v6, v14 :: v_dual_and_b32 v6, 0xffff0000, v7
	v_and_b32_e32 v7, 0xffff0000, v10
	v_and_b32_e32 v10, 0xffff0000, v34
	v_dual_add_f32 v2, v5, v2 :: v_dual_add_f32 v5, v6, v7
	s_delay_alu instid0(VALU_DEP_2) | instskip(SKIP_1) | instid1(VALU_DEP_2)
	v_dual_add_f32 v3, v4, v10 :: v_dual_and_b32 v6, 0xffff0000, v8
	v_dual_add_f32 v8, v16, v35 :: v_dual_and_b32 v7, 0xffff0000, v9
	v_dual_add_f32 v2, v5, v2 :: v_dual_add_f32 v1, v3, v1
	s_delay_alu instid0(VALU_DEP_2) | instskip(NEXT) | instid1(VALU_DEP_1)
	v_dual_add_f32 v4, v6, v7 :: v_dual_add_f32 v5, v8, v13
	v_dual_add_f32 v29, v29, v1 :: v_dual_add_f32 v2, v4, v2
	s_delay_alu instid0(VALU_DEP_1)
	v_dual_add_f32 v28, v28, v5 :: v_dual_add_f32 v27, v27, v2
.LBB132_41:                             ;   in Loop: Header=BB132_42 Depth=1
	s_wait_alu 0xfffe
	s_or_b32 exec_lo, exec_lo, s10
	v_add_nc_u32_e32 v25, 4, v25
	v_add_co_u32 v21, s0, v21, 16
	s_wait_alu 0xf1ff
	v_add_co_ci_u32_e64 v22, null, 0, v22, s0
	s_delay_alu instid0(VALU_DEP_3)
	v_cmp_le_i32_e32 vcc_lo, s19, v25
	v_add_nc_u32_e32 v24, 32, v24
	v_add_nc_u32_e32 v30, 0x80, v30
	s_or_b32 s6, vcc_lo, s6
	s_wait_alu 0xfffe
	s_and_not1_b32 exec_lo, exec_lo, s6
	s_cbranch_execz .LBB132_49
.LBB132_42:                             ; =>This Inner Loop Header: Depth=1
	v_sub_nc_u32_e32 v1, 0, v24
	s_delay_alu instid0(VALU_DEP_1) | instskip(NEXT) | instid1(VALU_DEP_1)
	v_max_i32_e32 v1, v24, v1
	v_mul_hi_u32 v2, v1, s18
	s_delay_alu instid0(VALU_DEP_1) | instskip(NEXT) | instid1(VALU_DEP_1)
	v_mul_lo_u32 v3, v2, s12
	v_sub_nc_u32_e32 v1, v1, v3
	v_add_nc_u32_e32 v3, 1, v2
	s_delay_alu instid0(VALU_DEP_2) | instskip(SKIP_2) | instid1(VALU_DEP_2)
	v_subrev_nc_u32_e32 v4, s12, v1
	v_cmp_le_u32_e32 vcc_lo, s12, v1
	s_wait_alu 0xfffd
	v_dual_cndmask_b32 v2, v2, v3 :: v_dual_cndmask_b32 v1, v1, v4
	v_ashrrev_i32_e32 v3, 31, v24
	s_delay_alu instid0(VALU_DEP_2) | instskip(NEXT) | instid1(VALU_DEP_3)
	v_add_nc_u32_e32 v4, 1, v2
	v_cmp_le_u32_e32 vcc_lo, s12, v1
	s_delay_alu instid0(VALU_DEP_3) | instskip(SKIP_1) | instid1(VALU_DEP_3)
	v_xor_b32_e32 v3, s11, v3
	s_wait_alu 0xfffd
	v_cndmask_b32_e32 v1, v2, v4, vcc_lo
	s_delay_alu instid0(VALU_DEP_1) | instskip(NEXT) | instid1(VALU_DEP_1)
	v_xor_b32_e32 v1, v1, v3
	v_sub_nc_u32_e32 v1, v1, v3
	s_delay_alu instid0(VALU_DEP_1) | instskip(SKIP_1) | instid1(VALU_DEP_2)
	v_add_nc_u32_e32 v2, s17, v1
	v_cmp_lt_i32_e64 s0, s3, v1
	v_sub_nc_u32_e32 v3, 0, v2
	s_delay_alu instid0(VALU_DEP_1) | instskip(SKIP_1) | instid1(VALU_DEP_1)
	v_max_i32_e32 v3, v2, v3
	s_wait_alu 0xfffe
	v_mul_hi_u32 v4, v3, s9
	s_delay_alu instid0(VALU_DEP_1) | instskip(NEXT) | instid1(VALU_DEP_1)
	v_mul_lo_u32 v4, v4, s2
	v_sub_nc_u32_e32 v3, v3, v4
	s_delay_alu instid0(VALU_DEP_1) | instskip(SKIP_2) | instid1(VALU_DEP_2)
	v_subrev_nc_u32_e32 v4, s2, v3
	v_cmp_le_u32_e32 vcc_lo, s2, v3
	s_wait_alu 0xfffd
	v_cndmask_b32_e32 v3, v3, v4, vcc_lo
	v_ashrrev_i32_e32 v2, 31, v2
	s_delay_alu instid0(VALU_DEP_2) | instskip(SKIP_2) | instid1(VALU_DEP_2)
	v_subrev_nc_u32_e32 v4, s2, v3
	v_cmp_le_u32_e32 vcc_lo, s2, v3
	s_wait_alu 0xfffd
	v_cndmask_b32_e32 v3, v3, v4, vcc_lo
	s_delay_alu instid0(VALU_DEP_1) | instskip(NEXT) | instid1(VALU_DEP_1)
	v_xor_b32_e32 v3, v3, v2
	v_sub_nc_u32_e32 v2, v3, v2
	s_delay_alu instid0(VALU_DEP_1)
	v_cmp_eq_u32_e32 vcc_lo, 0, v2
	s_or_b32 s0, vcc_lo, s0
	s_wait_alu 0xfffe
	s_and_saveexec_b32 s10, s0
	s_cbranch_execz .LBB132_41
; %bb.43:                               ;   in Loop: Header=BB132_42 Depth=1
	global_load_b32 v1, v[21:22], off
	v_add_nc_u32_e32 v38, 1, v24
	v_or_b32_e32 v37, 3, v24
	v_or_b32_e32 v39, 2, v24
	v_or_b32_e32 v34, 5, v24
	v_or_b32_e32 v36, 4, v24
	v_or_b32_e32 v33, 7, v24
	v_or_b32_e32 v35, 6, v24
	s_wait_loadcnt 0x0
	v_mad_co_i64_i32 v[1:2], null, v1, s4, 0
	s_delay_alu instid0(VALU_DEP_1) | instskip(NEXT) | instid1(VALU_DEP_1)
	v_lshlrev_b64_e32 v[1:2], 1, v[1:2]
	v_add_co_u32 v5, vcc_lo, v31, v1
	s_wait_alu 0xfffd
	s_delay_alu instid0(VALU_DEP_2)
	v_add_co_ci_u32_e64 v6, null, v32, v2, vcc_lo
	v_cmp_eq_u32_e32 vcc_lo, s5, v25
	global_load_b128 v[1:4], v[5:6], off
	ds_load_2addr_b64 v[17:20], v30 offset1:1
	ds_load_2addr_b64 v[9:12], v30 offset0:2 offset1:3
	s_and_saveexec_b32 s13, vcc_lo
	s_cbranch_execnz .LBB132_46
; %bb.44:                               ;   in Loop: Header=BB132_42 Depth=1
	s_wait_alu 0xfffe
	s_or_b32 exec_lo, exec_lo, s13
	global_load_b128 v[13:16], v[5:6], off offset:512
	s_and_saveexec_b32 s13, vcc_lo
	s_cbranch_execnz .LBB132_47
.LBB132_45:                             ;   in Loop: Header=BB132_42 Depth=1
	s_wait_alu 0xfffe
	s_or_b32 exec_lo, exec_lo, s13
	global_load_b128 v[5:8], v[5:6], off offset:1024
	s_and_saveexec_b32 s0, vcc_lo
	s_cbranch_execz .LBB132_40
	s_branch .LBB132_48
.LBB132_46:                             ;   in Loop: Header=BB132_42 Depth=1
	v_cmp_gt_i32_e64 s0, s31, v24
	s_wait_loadcnt 0x0
	v_lshrrev_b32_e32 v7, 16, v1
	v_lshrrev_b32_e32 v8, 16, v2
	;; [unrolled: 1-line block ×4, first 2 shown]
	s_wait_alu 0xf1ff
	v_cndmask_b32_e64 v1, 0, v1, s0
	v_cmp_gt_i32_e64 s0, s7, v38
	s_wait_alu 0xf1ff
	s_delay_alu instid0(VALU_DEP_1) | instskip(SKIP_1) | instid1(VALU_DEP_2)
	v_cndmask_b32_e64 v7, 0, v7, s0
	v_cmp_gt_i32_e64 s0, s31, v39
	v_perm_b32 v1, v7, v1, 0x5040100
	s_wait_alu 0xf1ff
	s_delay_alu instid0(VALU_DEP_2) | instskip(SKIP_2) | instid1(VALU_DEP_1)
	v_cndmask_b32_e64 v2, 0, v2, s0
	v_cmp_gt_i32_e64 s0, s7, v37
	s_wait_alu 0xf1ff
	v_cndmask_b32_e64 v8, 0, v8, s0
	v_cmp_gt_i32_e64 s0, s31, v36
	s_delay_alu instid0(VALU_DEP_2) | instskip(SKIP_1) | instid1(VALU_DEP_2)
	v_perm_b32 v2, v8, v2, 0x5040100
	s_wait_alu 0xf1ff
	v_cndmask_b32_e64 v3, 0, v3, s0
	v_cmp_gt_i32_e64 s0, s7, v34
	s_wait_alu 0xf1ff
	s_delay_alu instid0(VALU_DEP_1) | instskip(SKIP_1) | instid1(VALU_DEP_2)
	v_cndmask_b32_e64 v13, 0, v13, s0
	v_cmp_gt_i32_e64 s0, s31, v35
	v_perm_b32 v3, v13, v3, 0x5040100
	s_wait_alu 0xf1ff
	s_delay_alu instid0(VALU_DEP_2) | instskip(SKIP_2) | instid1(VALU_DEP_1)
	v_cndmask_b32_e64 v4, 0, v4, s0
	v_cmp_gt_i32_e64 s0, s7, v33
	s_wait_alu 0xf1ff
	v_cndmask_b32_e64 v14, 0, v14, s0
	s_delay_alu instid0(VALU_DEP_1)
	v_perm_b32 v4, v14, v4, 0x5040100
	s_wait_alu 0xfffe
	s_or_b32 exec_lo, exec_lo, s13
	global_load_b128 v[13:16], v[5:6], off offset:512
	s_and_saveexec_b32 s13, vcc_lo
	s_cbranch_execz .LBB132_45
.LBB132_47:                             ;   in Loop: Header=BB132_42 Depth=1
	v_cmp_gt_i32_e64 s0, s31, v24
	s_wait_loadcnt 0x0
	v_lshrrev_b32_e32 v7, 16, v13
	v_lshrrev_b32_e32 v41, 16, v16
	s_wait_alu 0xf1ff
	v_cndmask_b32_e64 v8, 0, v13, s0
	v_cmp_gt_i32_e64 s0, s7, v38
	v_lshrrev_b32_e32 v13, 16, v14
	s_wait_alu 0xf1ff
	s_delay_alu instid0(VALU_DEP_2) | instskip(SKIP_2) | instid1(VALU_DEP_1)
	v_cndmask_b32_e64 v7, 0, v7, s0
	v_cmp_gt_i32_e64 s0, s31, v39
	s_wait_alu 0xf1ff
	v_cndmask_b32_e64 v14, 0, v14, s0
	v_cmp_gt_i32_e64 s0, s7, v37
	s_wait_alu 0xf1ff
	s_delay_alu instid0(VALU_DEP_1) | instskip(SKIP_2) | instid1(VALU_DEP_3)
	v_cndmask_b32_e64 v40, 0, v13, s0
	v_cmp_gt_i32_e64 s0, s31, v36
	v_lshrrev_b32_e32 v13, 16, v15
	v_perm_b32 v14, v40, v14, 0x5040100
	s_wait_alu 0xf1ff
	s_delay_alu instid0(VALU_DEP_3) | instskip(SKIP_2) | instid1(VALU_DEP_1)
	v_cndmask_b32_e64 v15, 0, v15, s0
	v_cmp_gt_i32_e64 s0, s7, v34
	s_wait_alu 0xf1ff
	v_cndmask_b32_e64 v42, 0, v13, s0
	v_cmp_gt_i32_e64 s0, s31, v35
	v_perm_b32 v13, v7, v8, 0x5040100
	s_delay_alu instid0(VALU_DEP_3) | instskip(SKIP_1) | instid1(VALU_DEP_3)
	v_perm_b32 v15, v42, v15, 0x5040100
	s_wait_alu 0xf1ff
	v_cndmask_b32_e64 v16, 0, v16, s0
	v_cmp_gt_i32_e64 s0, s7, v33
	s_wait_alu 0xf1ff
	s_delay_alu instid0(VALU_DEP_1) | instskip(NEXT) | instid1(VALU_DEP_1)
	v_cndmask_b32_e64 v41, 0, v41, s0
	v_perm_b32 v16, v41, v16, 0x5040100
	s_wait_alu 0xfffe
	s_or_b32 exec_lo, exec_lo, s13
	global_load_b128 v[5:8], v[5:6], off offset:1024
	s_and_saveexec_b32 s0, vcc_lo
	s_cbranch_execz .LBB132_40
.LBB132_48:                             ;   in Loop: Header=BB132_42 Depth=1
	v_cmp_gt_i32_e32 vcc_lo, s31, v24
	s_wait_loadcnt 0x0
	v_lshrrev_b32_e32 v40, 16, v5
	v_lshrrev_b32_e32 v41, 16, v6
	s_wait_alu 0xfffd
	v_cndmask_b32_e32 v5, 0, v5, vcc_lo
	v_cmp_gt_i32_e32 vcc_lo, s7, v38
	s_wait_alu 0xfffd
	v_cndmask_b32_e32 v38, 0, v40, vcc_lo
	v_cmp_gt_i32_e32 vcc_lo, s31, v39
	v_lshrrev_b32_e32 v39, 16, v7
	s_delay_alu instid0(VALU_DEP_3)
	v_perm_b32 v5, v38, v5, 0x5040100
	s_wait_alu 0xfffd
	v_cndmask_b32_e32 v6, 0, v6, vcc_lo
	v_cmp_gt_i32_e32 vcc_lo, s7, v37
	s_wait_alu 0xfffd
	v_cndmask_b32_e32 v37, 0, v41, vcc_lo
	v_cmp_gt_i32_e32 vcc_lo, s31, v36
	v_lshrrev_b32_e32 v36, 16, v8
	s_delay_alu instid0(VALU_DEP_3)
	v_perm_b32 v6, v37, v6, 0x5040100
	s_wait_alu 0xfffd
	v_cndmask_b32_e32 v7, 0, v7, vcc_lo
	v_cmp_gt_i32_e32 vcc_lo, s7, v34
	s_wait_alu 0xfffd
	v_cndmask_b32_e32 v34, 0, v39, vcc_lo
	v_cmp_gt_i32_e32 vcc_lo, s31, v35
	;; [unrolled: 3-line block ×3, first 2 shown]
	s_wait_alu 0xfffd
	v_cndmask_b32_e32 v33, 0, v36, vcc_lo
	v_perm_b32 v7, v34, v7, 0x5040100
	s_delay_alu instid0(VALU_DEP_2)
	v_perm_b32 v8, v33, v8, 0x5040100
	s_branch .LBB132_40
.LBB132_49:
	s_or_b32 exec_lo, exec_lo, s6
.LBB132_50:
	s_wait_alu 0xfffe
	s_or_b32 exec_lo, exec_lo, s1
	v_lshl_add_u32 v2, v26, 2, 0xe0
	v_and_b32_e32 v3, 0x3c0, v0
	s_mov_b32 s0, exec_lo
	s_wait_loadcnt 0x0
	s_wait_storecnt 0x0
	s_barrier_signal -1
	v_mad_u32_u24 v1, 0x180, v23, v2
	s_barrier_wait -1
	global_inv scope:SCOPE_SE
	v_cmpx_eq_u32_e32 64, v3
	s_cbranch_execz .LBB132_52
; %bb.51:
	v_add_nc_u32_e32 v3, 0xfffffd00, v1
	v_add_nc_u32_e32 v4, 0xfffffd80, v1
	;; [unrolled: 1-line block ×3, first 2 shown]
	ds_store_b32 v3, v29
	ds_store_b32 v4, v28
	;; [unrolled: 1-line block ×3, first 2 shown]
.LBB132_52:
	s_wait_alu 0xfffe
	s_or_b32 exec_lo, exec_lo, s0
	s_delay_alu instid0(SALU_CYCLE_1)
	s_mov_b32 s0, exec_lo
	s_wait_loadcnt_dscnt 0x0
	s_barrier_signal -1
	s_barrier_wait -1
	global_inv scope:SCOPE_SE
	v_cmpx_gt_u32_e32 64, v0
	s_cbranch_execz .LBB132_54
; %bb.53:
	ds_load_2addr_b32 v[3:4], v1 offset1:32
	ds_load_b32 v5, v1 offset:256
	s_wait_dscnt 0x1
	v_dual_add_f32 v29, v29, v3 :: v_dual_add_f32 v28, v28, v4
	s_wait_dscnt 0x0
	v_add_f32_e32 v27, v27, v5
.LBB132_54:
	s_wait_alu 0xfffe
	s_or_b32 exec_lo, exec_lo, s0
	v_and_b32_e32 v3, 0x3e0, v0
	s_mov_b32 s0, exec_lo
	s_wait_loadcnt 0x0
	s_barrier_signal -1
	s_barrier_wait -1
	global_inv scope:SCOPE_SE
	v_cmpx_eq_u32_e32 32, v3
	s_cbranch_execz .LBB132_56
; %bb.55:
	ds_store_2addr_b32 v2, v29, v28 offset1:32
	ds_store_b32 v2, v27 offset:256
.LBB132_56:
	s_wait_alu 0xfffe
	s_or_b32 exec_lo, exec_lo, s0
	v_cmp_gt_u32_e32 vcc_lo, 32, v0
	s_wait_loadcnt_dscnt 0x0
	s_barrier_signal -1
	s_barrier_wait -1
	global_inv scope:SCOPE_SE
	s_and_saveexec_b32 s0, vcc_lo
	s_cbranch_execz .LBB132_58
; %bb.57:
	ds_load_2addr_b32 v[2:3], v1 offset1:32
	ds_load_b32 v1, v1 offset:256
	s_wait_dscnt 0x1
	v_dual_add_f32 v29, v29, v2 :: v_dual_add_f32 v28, v28, v3
	s_wait_dscnt 0x0
	v_add_f32_e32 v27, v27, v1
.LBB132_58:
	s_wait_alu 0xfffe
	s_or_b32 exec_lo, exec_lo, s0
	s_wait_loadcnt 0x0
	s_barrier_signal -1
	s_barrier_wait -1
	global_inv scope:SCOPE_SE
	s_and_saveexec_b32 s0, vcc_lo
	s_cbranch_execz .LBB132_60
; %bb.59:
	v_bfe_u32 v1, v29, 16, 1
	v_bfe_u32 v2, v28, 16, 1
	v_or_b32_e32 v4, 0x400000, v29
	v_cmp_u_f32_e32 vcc_lo, v29, v29
	v_bfe_u32 v3, v27, 16, 1
	v_add3_u32 v1, v1, v29, 0x7fff
	v_add3_u32 v2, v2, v28, 0x7fff
	v_or_b32_e32 v5, 0x400000, v28
	s_mul_i32 s0, s20, 0x60
	s_mul_i32 s2, s8, s16
	s_wait_alu 0xfffd
	v_cndmask_b32_e32 v1, v1, v4, vcc_lo
	v_cmp_u_f32_e32 vcc_lo, v28, v28
	s_wait_alu 0xfffe
	s_ashr_i32 s1, s0, 31
	s_ashr_i32 s3, s2, 31
	s_wait_alu 0xfffe
	s_lshl_b64 s[0:1], s[0:1], 1
	v_add3_u32 v3, v3, v27, 0x7fff
	v_or_b32_e32 v6, 0x400000, v27
	s_wait_alu 0xfffd
	v_cndmask_b32_e32 v2, v2, v5, vcc_lo
	v_cmp_u_f32_e32 vcc_lo, v27, v27
	s_lshl_b64 s[2:3], s[2:3], 1
	s_wait_kmcnt 0x0
	s_wait_alu 0xfffe
	s_add_nc_u64 s[0:1], s[14:15], s[0:1]
	v_lshlrev_b32_e32 v0, 1, v0
	s_mul_i32 s4, s30, 0xc0
	s_wait_alu 0xfffe
	s_add_nc_u64 s[0:1], s[0:1], s[2:3]
	s_mov_b32 s5, 0
	s_wait_alu 0xfffd
	v_cndmask_b32_e32 v3, v3, v6, vcc_lo
	s_wait_alu 0xfffe
	s_add_nc_u64 s[0:1], s[0:1], s[4:5]
	s_clause 0x2
	global_store_d16_hi_b16 v0, v1, s[0:1]
	global_store_d16_hi_b16 v0, v2, s[0:1] offset:64
	global_store_d16_hi_b16 v0, v3, s[0:1] offset:128
.LBB132_60:
	s_endpgm
	.section	.rodata,"a",@progbits
	.p2align	6, 0x0
	.amdhsa_kernel _ZN4vllm25paged_attention_v2_kernelI14__hip_bfloat16S1_Li96ELi8ELi128ELNS_18Fp8KVCacheDataTypeE0ELb1ELi512EEEvPfS3_PT_PKS4_PKT0_SA_ifPKiSC_iPKfiiiSE_SE_iiiii
		.amdhsa_group_segment_fixed_size 224
		.amdhsa_private_segment_fixed_size 0
		.amdhsa_kernarg_size 400
		.amdhsa_user_sgpr_count 2
		.amdhsa_user_sgpr_dispatch_ptr 0
		.amdhsa_user_sgpr_queue_ptr 0
		.amdhsa_user_sgpr_kernarg_segment_ptr 1
		.amdhsa_user_sgpr_dispatch_id 0
		.amdhsa_user_sgpr_private_segment_size 0
		.amdhsa_wavefront_size32 1
		.amdhsa_uses_dynamic_stack 0
		.amdhsa_enable_private_segment 0
		.amdhsa_system_sgpr_workgroup_id_x 1
		.amdhsa_system_sgpr_workgroup_id_y 1
		.amdhsa_system_sgpr_workgroup_id_z 1
		.amdhsa_system_sgpr_workgroup_info 0
		.amdhsa_system_vgpr_workitem_id 0
		.amdhsa_next_free_vgpr 58
		.amdhsa_next_free_sgpr 42
		.amdhsa_reserve_vcc 1
		.amdhsa_float_round_mode_32 0
		.amdhsa_float_round_mode_16_64 0
		.amdhsa_float_denorm_mode_32 3
		.amdhsa_float_denorm_mode_16_64 3
		.amdhsa_fp16_overflow 0
		.amdhsa_workgroup_processor_mode 1
		.amdhsa_memory_ordered 1
		.amdhsa_forward_progress 1
		.amdhsa_inst_pref_size 62
		.amdhsa_round_robin_scheduling 0
		.amdhsa_exception_fp_ieee_invalid_op 0
		.amdhsa_exception_fp_denorm_src 0
		.amdhsa_exception_fp_ieee_div_zero 0
		.amdhsa_exception_fp_ieee_overflow 0
		.amdhsa_exception_fp_ieee_underflow 0
		.amdhsa_exception_fp_ieee_inexact 0
		.amdhsa_exception_int_div_zero 0
	.end_amdhsa_kernel
	.section	.text._ZN4vllm25paged_attention_v2_kernelI14__hip_bfloat16S1_Li96ELi8ELi128ELNS_18Fp8KVCacheDataTypeE0ELb1ELi512EEEvPfS3_PT_PKS4_PKT0_SA_ifPKiSC_iPKfiiiSE_SE_iiiii,"axG",@progbits,_ZN4vllm25paged_attention_v2_kernelI14__hip_bfloat16S1_Li96ELi8ELi128ELNS_18Fp8KVCacheDataTypeE0ELb1ELi512EEEvPfS3_PT_PKS4_PKT0_SA_ifPKiSC_iPKfiiiSE_SE_iiiii,comdat
.Lfunc_end132:
	.size	_ZN4vllm25paged_attention_v2_kernelI14__hip_bfloat16S1_Li96ELi8ELi128ELNS_18Fp8KVCacheDataTypeE0ELb1ELi512EEEvPfS3_PT_PKS4_PKT0_SA_ifPKiSC_iPKfiiiSE_SE_iiiii, .Lfunc_end132-_ZN4vllm25paged_attention_v2_kernelI14__hip_bfloat16S1_Li96ELi8ELi128ELNS_18Fp8KVCacheDataTypeE0ELb1ELi512EEEvPfS3_PT_PKS4_PKT0_SA_ifPKiSC_iPKfiiiSE_SE_iiiii
                                        ; -- End function
	.set _ZN4vllm25paged_attention_v2_kernelI14__hip_bfloat16S1_Li96ELi8ELi128ELNS_18Fp8KVCacheDataTypeE0ELb1ELi512EEEvPfS3_PT_PKS4_PKT0_SA_ifPKiSC_iPKfiiiSE_SE_iiiii.num_vgpr, 58
	.set _ZN4vllm25paged_attention_v2_kernelI14__hip_bfloat16S1_Li96ELi8ELi128ELNS_18Fp8KVCacheDataTypeE0ELb1ELi512EEEvPfS3_PT_PKS4_PKT0_SA_ifPKiSC_iPKfiiiSE_SE_iiiii.num_agpr, 0
	.set _ZN4vllm25paged_attention_v2_kernelI14__hip_bfloat16S1_Li96ELi8ELi128ELNS_18Fp8KVCacheDataTypeE0ELb1ELi512EEEvPfS3_PT_PKS4_PKT0_SA_ifPKiSC_iPKfiiiSE_SE_iiiii.numbered_sgpr, 42
	.set _ZN4vllm25paged_attention_v2_kernelI14__hip_bfloat16S1_Li96ELi8ELi128ELNS_18Fp8KVCacheDataTypeE0ELb1ELi512EEEvPfS3_PT_PKS4_PKT0_SA_ifPKiSC_iPKfiiiSE_SE_iiiii.num_named_barrier, 0
	.set _ZN4vllm25paged_attention_v2_kernelI14__hip_bfloat16S1_Li96ELi8ELi128ELNS_18Fp8KVCacheDataTypeE0ELb1ELi512EEEvPfS3_PT_PKS4_PKT0_SA_ifPKiSC_iPKfiiiSE_SE_iiiii.private_seg_size, 0
	.set _ZN4vllm25paged_attention_v2_kernelI14__hip_bfloat16S1_Li96ELi8ELi128ELNS_18Fp8KVCacheDataTypeE0ELb1ELi512EEEvPfS3_PT_PKS4_PKT0_SA_ifPKiSC_iPKfiiiSE_SE_iiiii.uses_vcc, 1
	.set _ZN4vllm25paged_attention_v2_kernelI14__hip_bfloat16S1_Li96ELi8ELi128ELNS_18Fp8KVCacheDataTypeE0ELb1ELi512EEEvPfS3_PT_PKS4_PKT0_SA_ifPKiSC_iPKfiiiSE_SE_iiiii.uses_flat_scratch, 0
	.set _ZN4vllm25paged_attention_v2_kernelI14__hip_bfloat16S1_Li96ELi8ELi128ELNS_18Fp8KVCacheDataTypeE0ELb1ELi512EEEvPfS3_PT_PKS4_PKT0_SA_ifPKiSC_iPKfiiiSE_SE_iiiii.has_dyn_sized_stack, 0
	.set _ZN4vllm25paged_attention_v2_kernelI14__hip_bfloat16S1_Li96ELi8ELi128ELNS_18Fp8KVCacheDataTypeE0ELb1ELi512EEEvPfS3_PT_PKS4_PKT0_SA_ifPKiSC_iPKfiiiSE_SE_iiiii.has_recursion, 0
	.set _ZN4vllm25paged_attention_v2_kernelI14__hip_bfloat16S1_Li96ELi8ELi128ELNS_18Fp8KVCacheDataTypeE0ELb1ELi512EEEvPfS3_PT_PKS4_PKT0_SA_ifPKiSC_iPKfiiiSE_SE_iiiii.has_indirect_call, 0
	.section	.AMDGPU.csdata,"",@progbits
; Kernel info:
; codeLenInByte = 7816
; TotalNumSgprs: 44
; NumVgprs: 58
; ScratchSize: 0
; MemoryBound: 0
; FloatMode: 240
; IeeeMode: 1
; LDSByteSize: 224 bytes/workgroup (compile time only)
; SGPRBlocks: 0
; VGPRBlocks: 7
; NumSGPRsForWavesPerEU: 44
; NumVGPRsForWavesPerEU: 58
; Occupancy: 16
; WaveLimiterHint : 1
; COMPUTE_PGM_RSRC2:SCRATCH_EN: 0
; COMPUTE_PGM_RSRC2:USER_SGPR: 2
; COMPUTE_PGM_RSRC2:TRAP_HANDLER: 0
; COMPUTE_PGM_RSRC2:TGID_X_EN: 1
; COMPUTE_PGM_RSRC2:TGID_Y_EN: 1
; COMPUTE_PGM_RSRC2:TGID_Z_EN: 1
; COMPUTE_PGM_RSRC2:TIDIG_COMP_CNT: 0
	.section	.text._ZN4vllm32paged_attention_v2_reduce_kernelI14__hip_bfloat16Li96ELi128ELi512EEEvPT_PKfS5_PKS2_PKii,"axG",@progbits,_ZN4vllm32paged_attention_v2_reduce_kernelI14__hip_bfloat16Li96ELi128ELi512EEEvPT_PKfS5_PKS2_PKii,comdat
	.protected	_ZN4vllm32paged_attention_v2_reduce_kernelI14__hip_bfloat16Li96ELi128ELi512EEEvPT_PKfS5_PKS2_PKii ; -- Begin function _ZN4vllm32paged_attention_v2_reduce_kernelI14__hip_bfloat16Li96ELi128ELi512EEEvPT_PKfS5_PKS2_PKii
	.globl	_ZN4vllm32paged_attention_v2_reduce_kernelI14__hip_bfloat16Li96ELi128ELi512EEEvPT_PKfS5_PKS2_PKii
	.p2align	8
	.type	_ZN4vllm32paged_attention_v2_reduce_kernelI14__hip_bfloat16Li96ELi128ELi512EEEvPT_PKfS5_PKS2_PKii,@function
_ZN4vllm32paged_attention_v2_reduce_kernelI14__hip_bfloat16Li96ELi128ELi512EEEvPT_PKfS5_PKS2_PKii: ; @_ZN4vllm32paged_attention_v2_reduce_kernelI14__hip_bfloat16Li96ELi128ELi512EEEvPT_PKfS5_PKS2_PKii
; %bb.0:
	s_load_b128 s[4:7], s[0:1], 0x18
	s_mov_b32 s2, ttmp7
	s_ashr_i32 s3, ttmp7, 31
	s_add_nc_u64 s[8:9], s[0:1], 48
	s_lshl_b64 s[2:3], s[2:3], 2
	s_wait_kmcnt 0x0
	s_add_nc_u64 s[2:3], s[6:7], s[2:3]
	s_load_b32 s18, s[2:3], 0x0
	s_clause 0x2
	s_load_b64 s[6:7], s[0:1], 0x0
	s_load_b32 s14, s[0:1], 0x28
	s_load_b32 s15, s[0:1], 0x30
	s_wait_kmcnt 0x0
	s_add_co_i32 s2, s18, -1
	s_delay_alu instid0(SALU_CYCLE_1)
	s_cmp_gt_u32 s2, 0x1ff
	s_mov_b32 s2, -1
	s_cbranch_scc0 .LBB133_26
; %bb.1:
	s_add_co_i32 s2, s18, 0x1ff
	s_mul_i32 s16, s15, ttmp7
	s_ashr_i32 s3, s2, 31
	v_dual_mov_b32 v4, 0xff7fffff :: v_dual_lshlrev_b32 v3, 2, v0
	s_lshr_b32 s3, s3, 23
	s_mul_i32 s12, s16, s14
	s_add_co_i32 s2, s2, s3
	s_mul_i32 s10, s14, ttmp9
	s_ashr_i32 s17, s2, 9
	s_ashr_i32 s13, s12, 31
	v_cmp_gt_i32_e32 vcc_lo, s17, v0
	s_ashr_i32 s11, s10, 31
	s_and_saveexec_b32 s3, vcc_lo
	s_cbranch_execz .LBB133_5
; %bb.2:
	s_load_b64 s[20:21], s[0:1], 0x10
	s_load_b32 s2, s[8:9], 0xc
	s_lshl_b64 s[22:23], s[12:13], 2
	s_lshl_b64 s[24:25], s[10:11], 2
	v_dual_mov_b32 v4, 0xff7fffff :: v_dual_add_nc_u32 v5, 32, v3
	s_add_nc_u64 s[22:23], s[22:23], s[24:25]
	v_mov_b32_e32 v6, v0
	s_wait_kmcnt 0x0
	s_add_nc_u64 s[20:21], s[20:21], s[22:23]
	s_delay_alu instid0(SALU_CYCLE_1) | instskip(NEXT) | instid1(VALU_DEP_1)
	v_add_co_u32 v1, s19, s20, v3
	v_add_co_ci_u32_e64 v2, null, s21, 0, s19
	s_and_b32 s20, s2, 0xffff
	s_mov_b32 s19, 0
	s_wait_alu 0xfffe
	s_lshl_b32 s21, s20, 2
.LBB133_3:                              ; =>This Inner Loop Header: Depth=1
	global_load_b32 v7, v[1:2], off
	v_add_nc_u32_e32 v6, s20, v6
	v_max_num_f32_e32 v4, v4, v4
	s_wait_alu 0xfffe
	v_add_co_u32 v1, s2, v1, s21
	s_wait_alu 0xf1ff
	v_add_co_ci_u32_e64 v2, null, 0, v2, s2
	v_cmp_le_i32_e64 s2, s17, v6
	s_or_b32 s19, s2, s19
	s_wait_loadcnt 0x0
	v_max_num_f32_e32 v8, v7, v7
	ds_store_b32 v5, v7
	v_dual_max_num_f32 v4, v4, v8 :: v_dual_add_nc_u32 v5, s21, v5
	s_wait_alu 0xfffe
	s_and_not1_b32 exec_lo, exec_lo, s19
	s_cbranch_execnz .LBB133_3
; %bb.4:
	s_or_b32 exec_lo, exec_lo, s19
.LBB133_5:
	s_delay_alu instid0(SALU_CYCLE_1)
	s_or_b32 exec_lo, exec_lo, s3
	v_mbcnt_lo_u32_b32 v1, -1, 0
	s_load_b64 s[2:3], s[0:1], 0x8
	s_wait_dscnt 0x0
	s_barrier_signal -1
	s_barrier_wait -1
	v_xor_b32_e32 v2, 16, v1
	v_xor_b32_e32 v5, 8, v1
	global_inv scope:SCOPE_SE
	v_cmp_gt_i32_e64 s0, 32, v2
	s_delay_alu instid0(VALU_DEP_1) | instskip(SKIP_1) | instid1(VALU_DEP_2)
	v_cndmask_b32_e64 v2, v1, v2, s0
	v_cmp_gt_i32_e64 s0, 32, v5
	v_lshlrev_b32_e32 v6, 2, v2
	s_wait_alu 0xf1ff
	s_delay_alu instid0(VALU_DEP_2) | instskip(SKIP_3) | instid1(VALU_DEP_1)
	v_cndmask_b32_e64 v5, v1, v5, s0
	ds_bpermute_b32 v2, v6, v4
	v_dual_max_num_f32 v4, v4, v4 :: v_dual_lshlrev_b32 v7, 2, v5
	v_xor_b32_e32 v5, 4, v1
	v_cmp_gt_i32_e64 s0, 32, v5
	s_wait_alu 0xf1ff
	s_delay_alu instid0(VALU_DEP_1) | instskip(NEXT) | instid1(VALU_DEP_1)
	v_cndmask_b32_e64 v5, v1, v5, s0
	v_lshlrev_b32_e32 v8, 2, v5
	v_xor_b32_e32 v5, 2, v1
	s_wait_dscnt 0x0
	v_max_num_f32_e32 v2, v2, v2
	s_delay_alu instid0(VALU_DEP_2) | instskip(NEXT) | instid1(VALU_DEP_2)
	v_cmp_gt_i32_e64 s0, 32, v5
	v_max_num_f32_e32 v2, v4, v2
	s_wait_alu 0xf1ff
	s_delay_alu instid0(VALU_DEP_2) | instskip(SKIP_3) | instid1(VALU_DEP_1)
	v_cndmask_b32_e64 v5, v1, v5, s0
	ds_bpermute_b32 v4, v7, v2
	s_wait_dscnt 0x0
	v_max_num_f32_e32 v4, v4, v4
	v_max_num_f32_e32 v2, v2, v4
	ds_bpermute_b32 v4, v8, v2
	s_wait_dscnt 0x0
	v_dual_max_num_f32 v9, v4, v4 :: v_dual_lshlrev_b32 v4, 2, v5
	s_delay_alu instid0(VALU_DEP_1) | instskip(SKIP_4) | instid1(VALU_DEP_1)
	v_max_num_f32_e32 v2, v2, v9
	v_xor_b32_e32 v9, 1, v1
	ds_bpermute_b32 v5, v4, v2
	v_cmp_gt_i32_e64 s0, 32, v9
	s_wait_alu 0xf1ff
	v_cndmask_b32_e64 v1, v1, v9, s0
	v_lshrrev_b32_e32 v9, 5, v0
	s_delay_alu instid0(VALU_DEP_1) | instskip(SKIP_2) | instid1(VALU_DEP_1)
	v_lshlrev_b32_e32 v9, 2, v9
	s_wait_dscnt 0x0
	v_max_num_f32_e32 v5, v5, v5
	v_max_num_f32_e32 v2, v2, v5
	v_lshlrev_b32_e32 v5, 2, v1
	v_and_b32_e32 v1, 31, v0
	ds_bpermute_b32 v10, v5, v2
	v_cmp_eq_u32_e64 s0, 0, v1
	s_and_saveexec_b32 s1, s0
	s_cbranch_execz .LBB133_7
; %bb.6:
	s_wait_dscnt 0x0
	v_max_num_f32_e32 v10, v10, v10
	v_max_num_f32_e32 v2, v2, v2
	s_delay_alu instid0(VALU_DEP_1)
	v_max_num_f32_e32 v2, v2, v10
	ds_store_b32 v9, v2
.LBB133_7:
	s_wait_alu 0xfffe
	s_or_b32 exec_lo, exec_lo, s1
	v_cmp_gt_u32_e64 s1, 4, v1
	v_mov_b32_e32 v2, 0xff7fffff
	s_wait_dscnt 0x0
	v_lshlrev_b32_e32 v10, 2, v1
	s_wait_loadcnt 0x0
	s_barrier_signal -1
	s_barrier_wait -1
	global_inv scope:SCOPE_SE
	s_and_saveexec_b32 s19, s1
; %bb.8:
	ds_load_b32 v2, v10
; %bb.9:
	s_wait_alu 0xfffe
	s_or_b32 exec_lo, exec_lo, s19
	s_wait_dscnt 0x0
	ds_bpermute_b32 v1, v4, v2
	v_max_num_f32_e32 v2, v2, v2
	s_lshl_b32 s19, s17, 2
	v_mov_b32_e32 v11, 0
	s_wait_dscnt 0x0
	v_max_num_f32_e32 v1, v1, v1
	s_delay_alu instid0(VALU_DEP_1) | instskip(SKIP_3) | instid1(VALU_DEP_1)
	v_max_num_f32_e32 v1, v2, v1
	ds_bpermute_b32 v2, v5, v1
	s_wait_dscnt 0x0
	v_max_num_f32_e32 v2, v2, v2
	v_max_num_f32_e32 v1, v1, v2
	ds_bpermute_b32 v12, v11, v1
	s_and_saveexec_b32 s20, vcc_lo
	s_cbranch_execz .LBB133_13
; %bb.10:
	s_load_b32 s21, s[8:9], 0xc
	s_lshl_b64 s[22:23], s[12:13], 2
	s_lshl_b64 s[24:25], s[10:11], 2
	v_mov_b32_e32 v11, 0
	s_add_nc_u64 s[22:23], s[22:23], s[24:25]
	v_mov_b32_e32 v13, v0
	s_wait_kmcnt 0x0
	s_add_nc_u64 s[2:3], s[2:3], s[22:23]
	s_wait_alu 0xfffe
	v_add_co_u32 v1, s2, s2, v3
	s_wait_alu 0xf1ff
	v_add_co_ci_u32_e64 v2, null, s3, 0, s2
	v_add_nc_u32_e32 v3, 32, v3
	s_mov_b32 s3, 0
	s_and_b32 s11, s21, 0xffff
	s_delay_alu instid0(SALU_CYCLE_1)
	s_lshl_b32 s13, s11, 2
.LBB133_11:                             ; =>This Inner Loop Header: Depth=1
	global_load_b32 v14, v[1:2], off
	ds_load_b32 v15, v3
	v_add_nc_u32_e32 v13, s11, v13
	s_wait_dscnt 0x0
	v_sub_f32_e32 v15, v15, v12
	s_delay_alu instid0(VALU_DEP_1) | instskip(NEXT) | instid1(VALU_DEP_1)
	v_mul_f32_e32 v16, 0x3fb8aa3b, v15
	v_fma_f32 v17, 0x3fb8aa3b, v15, -v16
	v_rndne_f32_e32 v18, v16
	s_delay_alu instid0(VALU_DEP_1) | instskip(SKIP_1) | instid1(VALU_DEP_4)
	v_sub_f32_e32 v16, v16, v18
	v_cmp_ngt_f32_e32 vcc_lo, 0xc2ce8ed0, v15
	v_fmac_f32_e32 v17, 0x32a5705f, v15
	v_cmp_nlt_f32_e64 s2, 0x42b17218, v15
	s_delay_alu instid0(VALU_DEP_2) | instskip(SKIP_1) | instid1(VALU_DEP_2)
	v_add_f32_e32 v16, v16, v17
	v_cvt_i32_f32_e32 v17, v18
	v_exp_f32_e32 v16, v16
	s_delay_alu instid0(TRANS32_DEP_1) | instskip(SKIP_2) | instid1(VALU_DEP_2)
	v_ldexp_f32 v16, v16, v17
	v_add_nc_u32_e32 v17, s19, v3
	s_wait_alu 0xfffd
	v_dual_cndmask_b32 v16, 0, v16 :: v_dual_add_nc_u32 v3, s13, v3
	v_add_co_u32 v1, vcc_lo, v1, s13
	s_wait_alu 0xfffd
	v_add_co_ci_u32_e64 v2, null, 0, v2, vcc_lo
	s_wait_alu 0xf1ff
	v_cndmask_b32_e64 v15, 0x7f800000, v16, s2
	v_cmp_le_i32_e32 vcc_lo, s17, v13
	s_wait_alu 0xfffe
	s_or_b32 s3, vcc_lo, s3
	s_wait_loadcnt 0x0
	v_mul_f32_e32 v16, v14, v15
	v_fmac_f32_e32 v11, v14, v15
	ds_store_b32 v17, v16
	s_wait_alu 0xfffe
	s_and_not1_b32 exec_lo, exec_lo, s3
	s_cbranch_execnz .LBB133_11
; %bb.12:
	s_or_b32 exec_lo, exec_lo, s3
.LBB133_13:
	s_wait_alu 0xfffe
	s_or_b32 exec_lo, exec_lo, s20
	ds_bpermute_b32 v1, v6, v11
	s_wait_loadcnt_dscnt 0x0
	s_barrier_signal -1
	s_barrier_wait -1
	global_inv scope:SCOPE_SE
	v_add_f32_e32 v1, v11, v1
	ds_bpermute_b32 v2, v7, v1
	s_wait_dscnt 0x0
	v_add_f32_e32 v1, v1, v2
	ds_bpermute_b32 v2, v8, v1
	s_wait_dscnt 0x0
	;; [unrolled: 3-line block ×4, first 2 shown]
	v_add_f32_e32 v1, v1, v2
	s_wait_kmcnt 0x0
	s_and_saveexec_b32 s2, s0
; %bb.14:
	ds_store_b32 v9, v1 offset:16
; %bb.15:
	s_wait_alu 0xfffe
	s_or_b32 exec_lo, exec_lo, s2
	s_wait_loadcnt_dscnt 0x0
	s_barrier_signal -1
	s_barrier_wait -1
	global_inv scope:SCOPE_SE
	s_and_saveexec_b32 s0, s1
; %bb.16:
	ds_load_b32 v1, v10 offset:16
; %bb.17:
	s_wait_alu 0xfffe
	s_or_b32 exec_lo, exec_lo, s0
	s_wait_dscnt 0x0
	ds_bpermute_b32 v2, v4, v1
	s_mov_b32 s0, exec_lo
	s_wait_dscnt 0x0
	v_add_f32_e32 v1, v1, v2
	ds_bpermute_b32 v2, v5, v1
	s_wait_dscnt 0x0
	v_dual_add_f32 v1, v1, v2 :: v_dual_mov_b32 v2, 0
	ds_bpermute_b32 v2, v2, v1
	v_cmpx_gt_u32_e32 0x60, v0
	s_cbranch_execz .LBB133_25
; %bb.18:
	s_cmp_gt_i32 s18, 0
	s_mov_b32 s1, 0
	s_cbranch_scc1 .LBB133_20
; %bb.19:
	v_mov_b32_e32 v1, 0
	v_mov_b32_e32 v3, 0
	s_wait_alu 0xfffe
	s_and_not1_b32 vcc_lo, exec_lo, s1
	s_wait_alu 0xfffe
	s_cbranch_vccz .LBB133_21
	s_branch .LBB133_24
.LBB133_20:
	v_mov_b32_e32 v3, 0
.LBB133_21:
	s_wait_dscnt 0x0
	v_add_f32_e32 v4, 0x358637bd, v2
	s_mul_i32 s2, s12, 0x60
	s_mulk_i32 s10, 0x60
	s_wait_alu 0xfffe
	s_ashr_i32 s3, s2, 31
	s_ashr_i32 s11, s10, 31
	v_div_scale_f32 v2, null, v4, v4, 1.0
	s_wait_alu 0xfffe
	s_lshl_b64 s[2:3], s[2:3], 1
	s_lshl_b64 s[10:11], s[10:11], 1
	s_wait_alu 0xfffe
	s_add_nc_u64 s[2:3], s[2:3], s[10:11]
	v_rcp_f32_e32 v3, v2
	s_wait_alu 0xfffe
	s_add_nc_u64 s[2:3], s[4:5], s[2:3]
	s_delay_alu instid0(TRANS32_DEP_1) | instskip(NEXT) | instid1(VALU_DEP_1)
	v_fma_f32 v1, -v2, v3, 1.0
	v_fmac_f32_e32 v3, v1, v3
	v_div_scale_f32 v5, vcc_lo, 1.0, v4, 1.0
	s_delay_alu instid0(VALU_DEP_1) | instskip(NEXT) | instid1(VALU_DEP_1)
	v_mul_f32_e32 v6, v5, v3
	v_fma_f32 v1, -v2, v6, v5
	s_delay_alu instid0(VALU_DEP_1) | instskip(NEXT) | instid1(VALU_DEP_1)
	v_dual_fmac_f32 v6, v1, v3 :: v_dual_mov_b32 v1, 0
	v_fma_f32 v2, -v2, v6, v5
	v_lshlrev_b32_e32 v5, 1, v0
	s_wait_alu 0xfffd
	s_delay_alu instid0(VALU_DEP_2) | instskip(SKIP_1) | instid1(VALU_DEP_2)
	v_div_fmas_f32 v6, v2, v3, v6
	s_wait_alu 0xfffe
	v_add_co_u32 v2, s1, s2, v5
	s_wait_alu 0xf1ff
	v_add_co_ci_u32_e64 v3, null, s3, 0, s1
	v_div_fixup_f32 v4, v6, v4, 1.0
	v_mov_b32_e32 v5, v1
	s_max_i32 s1, s17, 1
	s_add_co_i32 s2, s19, 32
.LBB133_22:                             ; =>This Inner Loop Header: Depth=1
	global_load_u16 v6, v[2:3], off
	s_wait_alu 0xfffe
	v_mov_b32_e32 v7, s2
	v_add_co_u32 v2, vcc_lo, 0xc0, v2
	s_wait_alu 0xfffd
	v_add_co_ci_u32_e64 v3, null, 0, v3, vcc_lo
	s_add_co_i32 s1, s1, -1
	s_add_co_i32 s2, s2, 4
	s_wait_alu 0xfffe
	s_cmp_eq_u32 s1, 0
	s_wait_loadcnt 0x0
	v_lshlrev_b32_e32 v6, 16, v6
	ds_load_b32 v7, v7
	s_wait_dscnt 0x0
	v_mul_f32_e32 v6, v7, v6
	s_delay_alu instid0(VALU_DEP_1)
	v_fmac_f32_e32 v5, v4, v6
	s_cbranch_scc0 .LBB133_22
; %bb.23:
	s_delay_alu instid0(VALU_DEP_1) | instskip(SKIP_2) | instid1(VALU_DEP_3)
	v_bfe_u32 v2, v5, 16, 1
	v_or_b32_e32 v3, 0x400000, v5
	v_cmp_u_f32_e32 vcc_lo, v5, v5
	v_add3_u32 v2, v2, v5, 0x7fff
	s_wait_alu 0xfffd
	s_delay_alu instid0(VALU_DEP_1) | instskip(NEXT) | instid1(VALU_DEP_1)
	v_cndmask_b32_e32 v2, v2, v3, vcc_lo
	v_lshrrev_b32_e32 v3, 16, v2
.LBB133_24:
	s_mul_i32 s2, s16, 0x60
	s_mul_i32 s10, ttmp9, 0x60
	s_wait_alu 0xfffe
	s_ashr_i32 s3, s2, 31
	s_ashr_i32 s11, s10, 31
	s_wait_alu 0xfffe
	s_lshl_b64 s[2:3], s[2:3], 1
	s_wait_dscnt 0x0
	v_lshlrev_b64_e32 v[1:2], 1, v[0:1]
	s_lshl_b64 s[10:11], s[10:11], 1
	s_wait_alu 0xfffe
	s_add_nc_u64 s[2:3], s[6:7], s[2:3]
	s_wait_alu 0xfffe
	s_add_nc_u64 s[2:3], s[2:3], s[10:11]
	s_wait_alu 0xfffe
	v_add_co_u32 v1, vcc_lo, s2, v1
	s_wait_alu 0xfffd
	v_add_co_ci_u32_e64 v2, null, s3, v2, vcc_lo
	global_store_b16 v[1:2], v3, off
.LBB133_25:
	s_wait_alu 0xfffe
	s_or_b32 exec_lo, exec_lo, s0
	s_mov_b32 s2, 0
.LBB133_26:
	s_wait_alu 0xfffe
	s_and_b32 vcc_lo, exec_lo, s2
	s_wait_alu 0xfffe
	s_cbranch_vccz .LBB133_35
; %bb.27:
	s_mov_b32 s0, exec_lo
	v_cmpx_gt_u32_e32 0x60, v0
	s_cbranch_execz .LBB133_35
; %bb.28:
	s_load_b32 s0, s[8:9], 0xc
	s_mul_i32 s1, s15, ttmp7
	s_mul_i32 s8, ttmp9, 0x60
	s_wait_alu 0xfffe
	s_mul_i32 s12, s1, 0x60
	s_mul_i32 s2, s8, s14
	s_wait_alu 0xfffe
	s_mul_i32 s10, s12, s14
	v_cmp_gt_u32_e32 vcc_lo, 0x5d, v0
	s_ashr_i32 s9, s8, 31
	s_ashr_i32 s13, s12, 31
	;; [unrolled: 1-line block ×3, first 2 shown]
	s_wait_alu 0xfffe
	s_ashr_i32 s11, s10, 31
	s_wait_kmcnt 0x0
	s_and_b32 s1, s0, 0xffff
	s_wait_alu 0xfffe
	s_cmp_eq_u32 s1, 1
	s_cselect_b32 s0, -1, 0
	s_wait_alu 0xfffe
	s_and_b32 s15, vcc_lo, s0
	s_mov_b32 s0, -1
	s_and_saveexec_b32 s14, s15
	s_cbranch_execz .LBB133_32
; %bb.29:
	s_lshl_b64 s[16:17], s[10:11], 1
	s_lshl_b64 s[18:19], s[2:3], 1
	v_lshlrev_b32_e32 v1, 1, v0
	s_wait_alu 0xfffe
	s_add_nc_u64 s[16:17], s[16:17], s[18:19]
	s_lshl_b64 s[18:19], s[12:13], 1
	s_lshl_b64 s[20:21], s[8:9], 1
	s_wait_alu 0xfffe
	s_add_nc_u64 s[16:17], s[4:5], s[16:17]
	s_add_nc_u64 s[18:19], s[18:19], s[20:21]
	s_wait_dscnt 0x0
	s_wait_alu 0xfffe
	v_add_co_u32 v2, s0, s16, v1
	v_sub_nc_u32_e32 v5, 0x60, v0
	s_wait_alu 0xf1ff
	v_add_co_ci_u32_e64 v3, null, s17, 0, s0
	s_add_nc_u64 s[16:17], s[6:7], s[18:19]
	s_mov_b32 s15, 0
	s_wait_alu 0xfffe
	v_add_co_u32 v4, s0, s16, v1
	v_and_b32_e32 v6, 0x7c, v5
	s_wait_alu 0xf1ff
	v_add_co_ci_u32_e64 v7, null, s17, 0, s0
	v_add_co_u32 v1, vcc_lo, v2, 4
	s_wait_alu 0xfffd
	v_add_co_ci_u32_e64 v2, null, 0, v3, vcc_lo
	v_add_co_u32 v3, vcc_lo, v4, 4
	s_wait_alu 0xfffd
	v_add_co_ci_u32_e64 v4, null, 0, v7, vcc_lo
	v_mov_b32_e32 v7, v6
.LBB133_30:                             ; =>This Inner Loop Header: Depth=1
	global_load_b64 v[8:9], v[1:2], off offset:-4
	v_add_nc_u32_e32 v7, -4, v7
	v_add_co_u32 v1, vcc_lo, v1, 8
	s_wait_alu 0xfffd
	v_add_co_ci_u32_e64 v2, null, 0, v2, vcc_lo
	s_delay_alu instid0(VALU_DEP_3)
	v_cmp_eq_u32_e32 vcc_lo, 0, v7
	s_or_b32 s15, vcc_lo, s15
	s_wait_loadcnt 0x0
	global_store_b64 v[3:4], v[8:9], off offset:-4
	v_add_co_u32 v3, s0, v3, 8
	s_wait_alu 0xf1ff
	v_add_co_ci_u32_e64 v4, null, 0, v4, s0
	s_and_not1_b32 exec_lo, exec_lo, s15
	s_cbranch_execnz .LBB133_30
; %bb.31:
	s_or_b32 exec_lo, exec_lo, s15
	v_cmp_ne_u32_e32 vcc_lo, v5, v6
	v_add_nc_u32_e32 v0, v0, v6
	s_or_not1_b32 s0, vcc_lo, exec_lo
.LBB133_32:
	s_or_b32 exec_lo, exec_lo, s14
	s_wait_alu 0xfffe
	s_and_b32 exec_lo, exec_lo, s0
	s_cbranch_execz .LBB133_35
; %bb.33:
	s_lshl_b64 s[12:13], s[12:13], 1
	s_lshl_b64 s[10:11], s[10:11], 1
	s_wait_dscnt 0x0
	v_dual_mov_b32 v2, 0 :: v_dual_lshlrev_b32 v1, 1, v0
	s_lshl_b64 s[8:9], s[8:9], 1
	s_wait_alu 0xfffe
	s_add_nc_u64 s[6:7], s[6:7], s[12:13]
	s_add_nc_u64 s[4:5], s[4:5], s[10:11]
	s_lshl_b64 s[2:3], s[2:3], 1
	s_add_nc_u64 s[6:7], s[6:7], s[8:9]
	s_wait_alu 0xfffe
	s_add_nc_u64 s[2:3], s[4:5], s[2:3]
	s_mov_b32 s4, 0
	s_lshl_b32 s5, s1, 1
.LBB133_34:                             ; =>This Inner Loop Header: Depth=1
	s_wait_alu 0xfffe
	v_add_co_u32 v3, vcc_lo, s2, v1
	s_wait_alu 0xfffd
	v_add_co_ci_u32_e64 v4, null, s3, v2, vcc_lo
	v_add_nc_u32_e32 v0, s1, v0
	global_load_u16 v5, v[3:4], off
	v_add_co_u32 v3, vcc_lo, s6, v1
	s_wait_alu 0xfffd
	v_add_co_ci_u32_e64 v4, null, s7, v2, vcc_lo
	v_cmp_lt_u32_e32 vcc_lo, 0x5f, v0
	v_add_co_u32 v1, s0, v1, s5
	s_wait_alu 0xf1ff
	v_add_co_ci_u32_e64 v2, null, 0, v2, s0
	s_or_b32 s4, vcc_lo, s4
	s_wait_loadcnt 0x0
	global_store_b16 v[3:4], v5, off
	s_wait_alu 0xfffe
	s_and_not1_b32 exec_lo, exec_lo, s4
	s_cbranch_execnz .LBB133_34
.LBB133_35:
	s_endpgm
	.section	.rodata,"a",@progbits
	.p2align	6, 0x0
	.amdhsa_kernel _ZN4vllm32paged_attention_v2_reduce_kernelI14__hip_bfloat16Li96ELi128ELi512EEEvPT_PKfS5_PKS2_PKii
		.amdhsa_group_segment_fixed_size 32
		.amdhsa_private_segment_fixed_size 0
		.amdhsa_kernarg_size 304
		.amdhsa_user_sgpr_count 2
		.amdhsa_user_sgpr_dispatch_ptr 0
		.amdhsa_user_sgpr_queue_ptr 0
		.amdhsa_user_sgpr_kernarg_segment_ptr 1
		.amdhsa_user_sgpr_dispatch_id 0
		.amdhsa_user_sgpr_private_segment_size 0
		.amdhsa_wavefront_size32 1
		.amdhsa_uses_dynamic_stack 0
		.amdhsa_enable_private_segment 0
		.amdhsa_system_sgpr_workgroup_id_x 1
		.amdhsa_system_sgpr_workgroup_id_y 1
		.amdhsa_system_sgpr_workgroup_id_z 0
		.amdhsa_system_sgpr_workgroup_info 0
		.amdhsa_system_vgpr_workitem_id 0
		.amdhsa_next_free_vgpr 19
		.amdhsa_next_free_sgpr 26
		.amdhsa_reserve_vcc 1
		.amdhsa_float_round_mode_32 0
		.amdhsa_float_round_mode_16_64 0
		.amdhsa_float_denorm_mode_32 3
		.amdhsa_float_denorm_mode_16_64 3
		.amdhsa_fp16_overflow 0
		.amdhsa_workgroup_processor_mode 1
		.amdhsa_memory_ordered 1
		.amdhsa_forward_progress 1
		.amdhsa_inst_pref_size 20
		.amdhsa_round_robin_scheduling 0
		.amdhsa_exception_fp_ieee_invalid_op 0
		.amdhsa_exception_fp_denorm_src 0
		.amdhsa_exception_fp_ieee_div_zero 0
		.amdhsa_exception_fp_ieee_overflow 0
		.amdhsa_exception_fp_ieee_underflow 0
		.amdhsa_exception_fp_ieee_inexact 0
		.amdhsa_exception_int_div_zero 0
	.end_amdhsa_kernel
	.section	.text._ZN4vllm32paged_attention_v2_reduce_kernelI14__hip_bfloat16Li96ELi128ELi512EEEvPT_PKfS5_PKS2_PKii,"axG",@progbits,_ZN4vllm32paged_attention_v2_reduce_kernelI14__hip_bfloat16Li96ELi128ELi512EEEvPT_PKfS5_PKS2_PKii,comdat
.Lfunc_end133:
	.size	_ZN4vllm32paged_attention_v2_reduce_kernelI14__hip_bfloat16Li96ELi128ELi512EEEvPT_PKfS5_PKS2_PKii, .Lfunc_end133-_ZN4vllm32paged_attention_v2_reduce_kernelI14__hip_bfloat16Li96ELi128ELi512EEEvPT_PKfS5_PKS2_PKii
                                        ; -- End function
	.set _ZN4vllm32paged_attention_v2_reduce_kernelI14__hip_bfloat16Li96ELi128ELi512EEEvPT_PKfS5_PKS2_PKii.num_vgpr, 19
	.set _ZN4vllm32paged_attention_v2_reduce_kernelI14__hip_bfloat16Li96ELi128ELi512EEEvPT_PKfS5_PKS2_PKii.num_agpr, 0
	.set _ZN4vllm32paged_attention_v2_reduce_kernelI14__hip_bfloat16Li96ELi128ELi512EEEvPT_PKfS5_PKS2_PKii.numbered_sgpr, 26
	.set _ZN4vllm32paged_attention_v2_reduce_kernelI14__hip_bfloat16Li96ELi128ELi512EEEvPT_PKfS5_PKS2_PKii.num_named_barrier, 0
	.set _ZN4vllm32paged_attention_v2_reduce_kernelI14__hip_bfloat16Li96ELi128ELi512EEEvPT_PKfS5_PKS2_PKii.private_seg_size, 0
	.set _ZN4vllm32paged_attention_v2_reduce_kernelI14__hip_bfloat16Li96ELi128ELi512EEEvPT_PKfS5_PKS2_PKii.uses_vcc, 1
	.set _ZN4vllm32paged_attention_v2_reduce_kernelI14__hip_bfloat16Li96ELi128ELi512EEEvPT_PKfS5_PKS2_PKii.uses_flat_scratch, 0
	.set _ZN4vllm32paged_attention_v2_reduce_kernelI14__hip_bfloat16Li96ELi128ELi512EEEvPT_PKfS5_PKS2_PKii.has_dyn_sized_stack, 0
	.set _ZN4vllm32paged_attention_v2_reduce_kernelI14__hip_bfloat16Li96ELi128ELi512EEEvPT_PKfS5_PKS2_PKii.has_recursion, 0
	.set _ZN4vllm32paged_attention_v2_reduce_kernelI14__hip_bfloat16Li96ELi128ELi512EEEvPT_PKfS5_PKS2_PKii.has_indirect_call, 0
	.section	.AMDGPU.csdata,"",@progbits
; Kernel info:
; codeLenInByte = 2532
; TotalNumSgprs: 28
; NumVgprs: 19
; ScratchSize: 0
; MemoryBound: 0
; FloatMode: 240
; IeeeMode: 1
; LDSByteSize: 32 bytes/workgroup (compile time only)
; SGPRBlocks: 0
; VGPRBlocks: 2
; NumSGPRsForWavesPerEU: 28
; NumVGPRsForWavesPerEU: 19
; Occupancy: 16
; WaveLimiterHint : 0
; COMPUTE_PGM_RSRC2:SCRATCH_EN: 0
; COMPUTE_PGM_RSRC2:USER_SGPR: 2
; COMPUTE_PGM_RSRC2:TRAP_HANDLER: 0
; COMPUTE_PGM_RSRC2:TGID_X_EN: 1
; COMPUTE_PGM_RSRC2:TGID_Y_EN: 1
; COMPUTE_PGM_RSRC2:TGID_Z_EN: 0
; COMPUTE_PGM_RSRC2:TIDIG_COMP_CNT: 0
	.section	.text._ZN4vllm25paged_attention_v2_kernelI14__hip_bfloat16S1_Li112ELi8ELi128ELNS_18Fp8KVCacheDataTypeE0ELb1ELi512EEEvPfS3_PT_PKS4_PKT0_SA_ifPKiSC_iPKfiiiSE_SE_iiiii,"axG",@progbits,_ZN4vllm25paged_attention_v2_kernelI14__hip_bfloat16S1_Li112ELi8ELi128ELNS_18Fp8KVCacheDataTypeE0ELb1ELi512EEEvPfS3_PT_PKS4_PKT0_SA_ifPKiSC_iPKfiiiSE_SE_iiiii,comdat
	.protected	_ZN4vllm25paged_attention_v2_kernelI14__hip_bfloat16S1_Li112ELi8ELi128ELNS_18Fp8KVCacheDataTypeE0ELb1ELi512EEEvPfS3_PT_PKS4_PKT0_SA_ifPKiSC_iPKfiiiSE_SE_iiiii ; -- Begin function _ZN4vllm25paged_attention_v2_kernelI14__hip_bfloat16S1_Li112ELi8ELi128ELNS_18Fp8KVCacheDataTypeE0ELb1ELi512EEEvPfS3_PT_PKS4_PKT0_SA_ifPKiSC_iPKfiiiSE_SE_iiiii
	.globl	_ZN4vllm25paged_attention_v2_kernelI14__hip_bfloat16S1_Li112ELi8ELi128ELNS_18Fp8KVCacheDataTypeE0ELb1ELi512EEEvPfS3_PT_PKS4_PKT0_SA_ifPKiSC_iPKfiiiSE_SE_iiiii
	.p2align	8
	.type	_ZN4vllm25paged_attention_v2_kernelI14__hip_bfloat16S1_Li112ELi8ELi128ELNS_18Fp8KVCacheDataTypeE0ELb1ELi512EEEvPfS3_PT_PKS4_PKT0_SA_ifPKiSC_iPKfiiiSE_SE_iiiii,@function
_ZN4vllm25paged_attention_v2_kernelI14__hip_bfloat16S1_Li112ELi8ELi128ELNS_18Fp8KVCacheDataTypeE0ELb1ELi512EEEvPfS3_PT_PKS4_PKT0_SA_ifPKiSC_iPKfiiiSE_SE_iiiii: ; @_ZN4vllm25paged_attention_v2_kernelI14__hip_bfloat16S1_Li112ELi8ELi128ELNS_18Fp8KVCacheDataTypeE0ELb1ELi512EEEvPfS3_PT_PKS4_PKT0_SA_ifPKiSC_iPKfiiiSE_SE_iiiii
; %bb.0:
	s_load_b64 s[2:3], s[0:1], 0x40
	s_and_b32 s22, ttmp7, 0xffff
	s_lshr_b32 s33, ttmp7, 16
	s_lshl_b32 s4, s22, 2
	s_lshl_b32 s24, s33, 9
	s_wait_kmcnt 0x0
	s_load_b32 s38, s[2:3], s4 offset:0x0
	s_wait_kmcnt 0x0
	s_cmp_ge_i32 s24, s38
	s_cbranch_scc1 .LBB134_71
; %bb.1:
	s_clause 0x1
	s_load_b32 s23, s[0:1], 0x90
	s_load_b64 s[6:7], s[0:1], 0x30
	s_wait_kmcnt 0x0
	s_abs_i32 s5, s23
	s_abs_i32 s2, s6
	s_delay_alu instid0(SALU_CYCLE_1) | instskip(SKIP_1) | instid1(SALU_CYCLE_2)
	s_cvt_f32_u32 s3, s2
	s_sub_co_i32 s4, 0, s2
	v_rcp_iflag_f32_e32 v1, s3
	s_delay_alu instid0(TRANS32_DEP_1) | instskip(SKIP_2) | instid1(SALU_CYCLE_2)
	v_readfirstlane_b32 s3, v1
	s_mul_f32 s3, s3, 0x4f7ffffe
	s_wait_alu 0xfffe
	s_cvt_u32_f32 s3, s3
	s_wait_alu 0xfffe
	s_delay_alu instid0(SALU_CYCLE_2) | instskip(NEXT) | instid1(SALU_CYCLE_1)
	s_mul_i32 s4, s4, s3
	s_mul_hi_u32 s4, s3, s4
	s_delay_alu instid0(SALU_CYCLE_1)
	s_add_co_i32 s3, s3, s4
	s_xor_b32 s4, s23, s6
	s_wait_alu 0xfffe
	s_mul_hi_u32 s3, s5, s3
	s_ashr_i32 s4, s4, 31
	s_wait_alu 0xfffe
	s_mul_i32 s8, s3, s2
	s_delay_alu instid0(SALU_CYCLE_1)
	s_sub_co_i32 s5, s5, s8
	s_add_co_i32 s8, s3, 1
	s_sub_co_i32 s9, s5, s2
	s_cmp_ge_u32 s5, s2
	s_cselect_b32 s3, s8, s3
	s_cselect_b32 s5, s9, s5
	s_wait_alu 0xfffe
	s_add_co_i32 s8, s3, 1
	s_cmp_ge_u32 s5, s2
	s_cselect_b32 s2, s8, s3
	s_load_b64 s[8:9], s[0:1], 0x50
	s_xor_b32 s2, s2, s4
	s_mov_b32 s3, 0
	s_wait_alu 0xfffe
	s_sub_co_i32 s10, s2, s4
	s_mov_b32 s20, s3
	s_abs_i32 s15, s10
	s_delay_alu instid0(SALU_CYCLE_1) | instskip(SKIP_1) | instid1(SALU_CYCLE_2)
	s_cvt_f32_u32 s2, s15
	s_wait_alu 0xfffe
	v_rcp_iflag_f32_e32 v1, s2
	s_delay_alu instid0(TRANS32_DEP_1) | instskip(SKIP_2) | instid1(SALU_CYCLE_2)
	v_readfirstlane_b32 s2, v1
	s_mul_f32 s2, s2, 0x4f7ffffe
	s_wait_alu 0xfffe
	s_cvt_u32_f32 s4, s2
	s_sub_co_i32 s2, 0, s15
	s_wait_alu 0xfffe
	s_delay_alu instid0(SALU_CYCLE_1)
	s_mul_i32 s2, s2, s4
	s_wait_alu 0xfffe
	s_mul_hi_u32 s5, s4, s2
	s_abs_i32 s2, ttmp9
	s_add_co_i32 s4, s4, s5
	s_mov_b32 s5, s3
	s_wait_kmcnt 0x0
	s_cmp_eq_u64 s[8:9], 0
	s_cbranch_scc1 .LBB134_3
; %bb.2:
	s_mov_b32 s12, ttmp9
	s_ashr_i32 s13, ttmp9, 31
	s_delay_alu instid0(SALU_CYCLE_1) | instskip(NEXT) | instid1(SALU_CYCLE_1)
	s_lshl_b64 s[12:13], s[12:13], 2
	s_add_nc_u64 s[8:9], s[8:9], s[12:13]
	s_load_b32 s20, s[8:9], 0x0
.LBB134_3:
	s_load_b96 s[12:14], s[0:1], 0x58
	v_and_b32_e32 v1, 3, v0
	v_lshlrev_b32_e32 v2, 2, v0
	s_mul_u64 s[4:5], s[2:3], s[4:5]
	s_ashr_i32 s3, ttmp9, 31
	s_ashr_i32 s4, s10, 31
	s_mul_i32 s26, ttmp9, 0x70
	s_mov_b32 s8, exec_lo
	v_cmpx_gt_u32_e32 56, v0
	s_cbranch_execz .LBB134_5
; %bb.4:
	s_load_b64 s[10:11], s[0:1], 0x18
	s_wait_kmcnt 0x0
	s_mul_i32 s16, s12, s22
	s_ashr_i32 s27, s26, 31
	s_ashr_i32 s17, s16, 31
	v_and_b32_e32 v4, 0x3fc, v0
	s_lshl_b64 s[16:17], s[16:17], 1
	s_delay_alu instid0(VALU_DEP_1) | instskip(SKIP_2) | instid1(SALU_CYCLE_1)
	v_mad_u32_u24 v4, v1, 56, v4
	s_add_nc_u64 s[10:11], s[10:11], s[16:17]
	s_lshl_b64 s[16:17], s[26:27], 1
	s_add_nc_u64 s[10:11], s[10:11], s[16:17]
	global_load_b32 v3, v2, s[10:11]
	s_wait_loadcnt 0x0
	ds_store_b32 v4, v3
.LBB134_5:
	s_or_b32 exec_lo, exec_lo, s8
	s_load_b128 s[8:11], s[0:1], 0x78
	s_wait_kmcnt 0x0
	s_mul_i32 s12, s5, s15
	s_xor_b32 s3, s3, s4
	s_sub_co_i32 s2, s2, s12
	s_add_co_i32 s4, s5, 1
	s_wait_alu 0xfffe
	s_sub_co_i32 s12, s2, s15
	s_cmp_ge_u32 s2, s15
	s_mov_b32 s17, -1
	s_cselect_b32 s4, s4, s5
	s_cselect_b32 s2, s12, s2
	s_add_co_i32 s5, s4, 1
	s_wait_alu 0xfffe
	s_cmp_ge_u32 s2, s15
	s_load_b32 s15, s[0:1], 0x88
	s_cselect_b32 s2, s5, s4
	s_add_co_i32 s16, s38, -1
	s_wait_alu 0xfffe
	s_xor_b32 s2, s2, s3
	s_wait_dscnt 0x0
	s_wait_alu 0xfffe
	s_sub_co_i32 s12, s2, s3
	s_barrier_signal -1
	s_barrier_wait -1
	s_abs_i32 s39, s11
	global_inv scope:SCOPE_SE
	s_cvt_f32_u32 s4, s39
                                        ; implicit-def: $sgpr40
	s_delay_alu instid0(SALU_CYCLE_3) | instskip(NEXT) | instid1(TRANS32_DEP_1)
	v_rcp_iflag_f32_e32 v3, s4
	v_readfirstlane_b32 s4, v3
	s_mul_f32 s2, s4, 0x4f7ffffe
	s_wait_alu 0xfffe
	s_delay_alu instid0(SALU_CYCLE_2) | instskip(SKIP_2) | instid1(SALU_CYCLE_1)
	s_cvt_u32_f32 s4, s2
	s_sub_co_i32 s2, 0, s39
	s_wait_alu 0xfffe
	s_mul_i32 s3, s2, s4
	s_abs_i32 s2, s16
	s_wait_alu 0xfffe
	s_mul_hi_u32 s5, s4, s3
	s_mov_b32 s3, 0
	s_wait_alu 0xfffe
	s_add_co_i32 s28, s4, s5
	s_wait_kmcnt 0x0
	s_cmp_lt_i32 s15, 0
	s_mov_b32 s29, s3
	s_cbranch_scc0 .LBB134_7
; %bb.6:
	s_mul_i32 s4, s8, s6
	s_mov_b32 s17, s3
	s_wait_alu 0xfffe
	s_add_co_i32 s4, s12, s4
	s_wait_alu 0xfffe
	s_mul_i32 s4, s4, s15
	s_wait_alu 0xfffe
	s_sub_co_i32 s40, 1, s4
.LBB134_7:
	s_mul_u64 s[4:5], s[2:3], s[28:29]
	s_ashr_i32 s3, s16, 31
	s_and_not1_b32 vcc_lo, exec_lo, s17
	s_ashr_i32 s29, s11, 31
	s_cbranch_vccnz .LBB134_9
; %bb.8:
	s_mul_i32 s4, s23, s8
	s_wait_alu 0xfffe
	s_add_co_i32 s4, s4, ttmp9
	s_wait_alu 0xfffe
	s_mul_i32 s4, s4, s15
	s_wait_alu 0xfffe
	s_add_co_i32 s40, s4, 1
.LBB134_9:
	s_clause 0x2
	s_load_b32 s4, s[0:1], 0x48
	s_load_b64 s[16:17], s[0:1], 0x38
	s_load_b32 s27, s[0:1], 0x98
	s_mul_i32 s6, s5, s39
	s_xor_b32 s3, s3, s29
	s_sub_co_i32 s2, s2, s6
	s_add_co_i32 s8, s5, 1
	v_lshrrev_b32_e32 v23, 5, v0
	v_mbcnt_lo_u32_b32 v4, -1, 0
	s_mul_i32 s14, s12, s14
	s_delay_alu instid0(VALU_DEP_2)
	v_lshl_add_u32 v24, v23, 3, s24
	s_wait_kmcnt 0x0
	s_mul_i32 s18, s4, s22
	s_wait_alu 0xfffe
	s_sub_co_i32 s4, s2, s39
	s_ashr_i32 s19, s18, 31
	s_cmp_ge_u32 s2, s39
	s_cselect_b32 s5, s8, s5
	s_wait_alu 0xfffe
	s_cselect_b32 s2, s4, s2
	s_add_co_i32 s4, s5, 1
	s_wait_alu 0xfffe
	s_cmp_ge_u32 s2, s39
	s_cselect_b32 s2, s4, s5
	s_add_co_i32 s4, s38, 7
	s_lshl_b32 s11, s33, 6
	s_wait_alu 0xfffe
	s_ashr_i32 s5, s4, 31
	v_or_b32_e32 v25, s11, v23
	s_wait_alu 0xfffe
	s_lshr_b32 s5, s5, 29
	v_mov_b32_e32 v6, 0xff7fffff
	s_wait_alu 0xfffe
	s_add_co_i32 s4, s4, s5
	s_add_co_i32 s5, s11, 64
	s_wait_alu 0xfffe
	s_ashr_i32 s45, s4, 3
	s_xor_b32 s4, s2, s3
	s_min_i32 s41, s5, s45
	v_lshlrev_b32_e32 v3, 2, v25
	v_cmp_gt_i32_e64 s2, s41, v25
	s_wait_alu 0xfffe
	s_sub_co_i32 s8, s4, s3
	s_and_saveexec_b32 s6, s2
	s_cbranch_execz .LBB134_21
; %bb.10:
	s_ashr_i32 s15, s14, 31
	s_sub_co_i32 s12, s8, s9
	s_lshl_b64 s[4:5], s[14:15], 1
	s_cmp_neq_f32 s20, 0
	s_load_b64 s[30:31], s[0:1], 0x20
	v_bfe_u32 v5, v0, 2, 3
	v_mul_u32_u24_e32 v7, 56, v1
	s_cselect_b32 vcc_lo, -1, 0
	s_abs_i32 s15, s10
	v_dual_mov_b32 v13, 0xff7fffff :: v_dual_and_b32 v2, 12, v2
	s_cvt_f32_u32 s3, s15
	v_lshlrev_b32_e32 v8, 2, v5
	s_lshl_b64 s[34:35], s[18:19], 2
	v_subrev_nc_u32_e32 v11, s38, v5
	s_wait_alu 0xfffe
	v_rcp_iflag_f32_e32 v6, s3
	v_cmp_eq_u32_e64 s3, 0, v1
	v_lshlrev_b32_e32 v1, 4, v5
	s_add_nc_u64 s[34:35], s[16:17], s[34:35]
	s_sub_co_i32 s36, 0, s15
	v_lshl_add_u32 v10, v23, 3, s24
	v_dual_mov_b32 v16, v25 :: v_dual_add_nc_u32 v11, 1, v11
	v_xor_b32_e32 v14, 2, v4
	s_wait_kmcnt 0x0
	s_add_nc_u64 s[4:5], s[30:31], s[4:5]
	v_readfirstlane_b32 s25, v6
	v_lshl_or_b32 v6, v23, 5, v8
	v_xor_b32_e32 v15, 1, v4
	s_mov_b32 s21, 0
	s_mul_f32 s25, s25, 0x4f7ffffe
	s_delay_alu instid0(VALU_DEP_2)
	v_add_nc_u32_e32 v12, 0x100, v6
	v_mov_b32_e32 v6, 0xff7fffff
	s_wait_alu 0xfffe
	v_add_co_u32 v1, s4, s4, v1
	s_wait_alu 0xf1ff
	v_add_co_ci_u32_e64 v9, null, s5, 0, s4
	s_cvt_u32_f32 s5, s25
	v_add_co_u32 v8, s4, v1, v2
	s_wait_alu 0xf1ff
	v_add_co_ci_u32_e64 v9, null, 0, v9, s4
	v_add_co_u32 v1, s4, s34, v3
	s_wait_alu 0xfffe
	s_mul_i32 s36, s36, s5
	v_add_co_ci_u32_e64 v2, null, s35, 0, s4
	s_mul_hi_u32 s4, s5, s36
	s_mov_b32 s25, s13
	s_wait_alu 0xfffe
	s_add_co_i32 s30, s5, s4
	s_branch .LBB134_13
.LBB134_11:                             ;   in Loop: Header=BB134_13 Depth=1
	s_wait_alu 0xfffe
	s_or_b32 exec_lo, exec_lo, s31
.LBB134_12:                             ;   in Loop: Header=BB134_13 Depth=1
	s_wait_alu 0xfffe
	s_or_b32 exec_lo, exec_lo, s5
	v_add_nc_u32_e32 v16, 4, v16
	v_add_co_u32 v1, s5, v1, 16
	s_wait_alu 0xf1ff
	v_add_co_ci_u32_e64 v2, null, 0, v2, s5
	s_delay_alu instid0(VALU_DEP_3)
	v_cmp_le_i32_e64 s4, s41, v16
	v_add_nc_u32_e32 v10, 32, v10
	v_add_nc_u32_e32 v12, 0x80, v12
	s_or_b32 s21, s4, s21
	s_wait_alu 0xfffe
	s_and_not1_b32 exec_lo, exec_lo, s21
	s_cbranch_execz .LBB134_20
.LBB134_13:                             ; =>This Inner Loop Header: Depth=1
	v_sub_nc_u32_e32 v17, 0, v10
	s_delay_alu instid0(VALU_DEP_1) | instskip(SKIP_1) | instid1(VALU_DEP_1)
	v_max_i32_e32 v17, v10, v17
	s_wait_dscnt 0x0
	v_mul_hi_u32 v18, v17, s28
	s_delay_alu instid0(VALU_DEP_1) | instskip(NEXT) | instid1(VALU_DEP_1)
	v_mul_lo_u32 v19, v18, s39
	v_sub_nc_u32_e32 v17, v17, v19
	v_add_nc_u32_e32 v19, 1, v18
	s_delay_alu instid0(VALU_DEP_2) | instskip(SKIP_2) | instid1(VALU_DEP_1)
	v_subrev_nc_u32_e32 v20, s39, v17
	v_cmp_le_u32_e64 s4, s39, v17
	s_wait_alu 0xf1ff
	v_cndmask_b32_e64 v18, v18, v19, s4
	s_delay_alu instid0(VALU_DEP_3) | instskip(SKIP_1) | instid1(VALU_DEP_3)
	v_cndmask_b32_e64 v17, v17, v20, s4
	v_ashrrev_i32_e32 v19, 31, v10
	v_add_nc_u32_e32 v20, 1, v18
	s_delay_alu instid0(VALU_DEP_3) | instskip(NEXT) | instid1(VALU_DEP_3)
	v_cmp_le_u32_e64 s4, s39, v17
	v_xor_b32_e32 v19, s29, v19
	s_wait_alu 0xf1ff
	s_delay_alu instid0(VALU_DEP_2) | instskip(NEXT) | instid1(VALU_DEP_1)
	v_cndmask_b32_e64 v17, v18, v20, s4
	v_xor_b32_e32 v17, v17, v19
	s_delay_alu instid0(VALU_DEP_1) | instskip(NEXT) | instid1(VALU_DEP_1)
	v_sub_nc_u32_e32 v17, v17, v19
	v_add_nc_u32_e32 v18, s40, v17
	v_cmp_ge_i32_e64 s5, s12, v17
	s_delay_alu instid0(VALU_DEP_2) | instskip(NEXT) | instid1(VALU_DEP_1)
	v_sub_nc_u32_e32 v19, 0, v18
	v_max_i32_e32 v19, v18, v19
	v_ashrrev_i32_e32 v18, 31, v18
	s_delay_alu instid0(VALU_DEP_2) | instskip(NEXT) | instid1(VALU_DEP_1)
	v_mul_hi_u32 v20, v19, s30
	v_mul_lo_u32 v20, v20, s15
	s_delay_alu instid0(VALU_DEP_1) | instskip(NEXT) | instid1(VALU_DEP_1)
	v_sub_nc_u32_e32 v19, v19, v20
	v_subrev_nc_u32_e32 v20, s15, v19
	v_cmp_le_u32_e64 s4, s15, v19
	s_wait_alu 0xf1ff
	s_delay_alu instid0(VALU_DEP_1) | instskip(NEXT) | instid1(VALU_DEP_1)
	v_cndmask_b32_e64 v19, v19, v20, s4
	v_subrev_nc_u32_e32 v20, s15, v19
	v_cmp_le_u32_e64 s4, s15, v19
	s_wait_alu 0xf1ff
	s_delay_alu instid0(VALU_DEP_1) | instskip(NEXT) | instid1(VALU_DEP_1)
	v_cndmask_b32_e64 v19, v19, v20, s4
	v_xor_b32_e32 v19, v19, v18
	s_delay_alu instid0(VALU_DEP_1) | instskip(NEXT) | instid1(VALU_DEP_1)
	v_sub_nc_u32_e32 v18, v19, v18
	v_cmp_ne_u32_e64 s4, 0, v18
	s_and_b32 s4, s4, s5
	s_wait_alu 0xfffe
	s_and_saveexec_b32 s5, s4
	s_wait_alu 0xfffe
	s_xor_b32 s4, exec_lo, s5
	s_cbranch_execz .LBB134_17
; %bb.14:                               ;   in Loop: Header=BB134_13 Depth=1
	s_and_saveexec_b32 s5, s3
; %bb.15:                               ;   in Loop: Header=BB134_13 Depth=1
	ds_store_b32 v12, v13
; %bb.16:                               ;   in Loop: Header=BB134_13 Depth=1
	s_wait_alu 0xfffe
	s_or_b32 exec_lo, exec_lo, s5
.LBB134_17:                             ;   in Loop: Header=BB134_13 Depth=1
	s_wait_alu 0xfffe
	s_and_not1_saveexec_b32 s5, s4
	s_cbranch_execz .LBB134_12
; %bb.18:                               ;   in Loop: Header=BB134_13 Depth=1
	global_load_b32 v17, v[1:2], off
	s_wait_loadcnt 0x0
	v_mad_co_i64_i32 v[17:18], null, v17, s25, 0
	s_delay_alu instid0(VALU_DEP_1) | instskip(NEXT) | instid1(VALU_DEP_1)
	v_lshlrev_b64_e32 v[17:18], 1, v[17:18]
	v_add_co_u32 v17, s4, v8, v17
	s_wait_alu 0xf1ff
	s_delay_alu instid0(VALU_DEP_2)
	v_add_co_ci_u32_e64 v18, null, v9, v18, s4
	v_cmp_gt_i32_e64 s4, 32, v14
	s_clause 0xd
	global_load_b32 v34, v[17:18], off offset:128
	global_load_b32 v35, v[17:18], off
	global_load_b32 v36, v[17:18], off offset:256
	global_load_b32 v37, v[17:18], off offset:384
	;; [unrolled: 1-line block ×12, first 2 shown]
	ds_load_2addr_b64 v[17:20], v7 offset1:1
	ds_load_2addr_b64 v[26:29], v7 offset0:2 offset1:3
	ds_load_2addr_b64 v[30:33], v7 offset0:4 offset1:5
	ds_load_b64 v[21:22], v7 offset:48
	s_wait_loadcnt 0xd
	v_lshlrev_b32_e32 v62, 16, v34
	v_and_b32_e32 v34, 0xffff0000, v34
	s_wait_loadcnt 0xc
	v_lshlrev_b32_e32 v63, 16, v35
	v_and_b32_e32 v35, 0xffff0000, v35
	s_wait_dscnt 0x3
	v_lshlrev_b32_e32 v49, 16, v18
	v_and_b32_e32 v18, 0xffff0000, v18
	v_lshlrev_b32_e32 v48, 16, v17
	v_lshlrev_b32_e32 v51, 16, v20
	s_delay_alu instid0(VALU_DEP_3) | instskip(SKIP_3) | instid1(VALU_DEP_3)
	v_dual_mul_f32 v18, v18, v34 :: v_dual_and_b32 v17, 0xffff0000, v17
	s_wait_loadcnt 0xb
	v_lshlrev_b32_e32 v34, 16, v36
	v_and_b32_e32 v36, 0xffff0000, v36
	v_fmac_f32_e32 v18, v17, v35
	v_mul_f32_e32 v49, v49, v62
	s_wait_dscnt 0x2
	v_lshlrev_b32_e32 v52, 16, v26
	v_and_b32_e32 v17, 0xffff0000, v20
	s_wait_loadcnt 0xa
	v_lshlrev_b32_e32 v20, 16, v37
	v_lshlrev_b32_e32 v50, 16, v19
	v_and_b32_e32 v19, 0xffff0000, v19
	v_fmac_f32_e32 v49, v48, v63
	v_lshlrev_b32_e32 v53, 16, v27
	v_lshlrev_b32_e32 v54, 16, v28
	s_delay_alu instid0(VALU_DEP_4) | instskip(NEXT) | instid1(VALU_DEP_4)
	v_dual_fmac_f32 v18, v19, v36 :: v_dual_and_b32 v35, 0xffff0000, v37
	v_fmac_f32_e32 v49, v50, v34
	v_lshlrev_b32_e32 v55, 16, v29
	v_and_b32_e32 v19, 0xffff0000, v26
	s_wait_loadcnt 0x9
	v_lshlrev_b32_e32 v26, 16, v38
	v_dual_fmac_f32 v49, v51, v20 :: v_dual_and_b32 v34, 0xffff0000, v38
	v_fmac_f32_e32 v18, v17, v35
	s_wait_dscnt 0x1
	v_lshlrev_b32_e32 v57, 16, v31
	v_lshlrev_b32_e32 v58, 16, v32
	v_and_b32_e32 v17, 0xffff0000, v27
	s_wait_loadcnt 0x8
	v_lshlrev_b32_e32 v20, 16, v39
	v_and_b32_e32 v27, 0xffff0000, v39
	v_fmac_f32_e32 v49, v52, v26
	v_fmac_f32_e32 v18, v19, v34
	v_lshlrev_b32_e32 v56, 16, v30
	v_lshlrev_b32_e32 v59, 16, v33
	v_and_b32_e32 v19, 0xffff0000, v28
	s_wait_loadcnt 0x7
	v_lshlrev_b32_e32 v26, 16, v40
	v_and_b32_e32 v28, 0xffff0000, v40
	v_fmac_f32_e32 v49, v53, v20
	v_fmac_f32_e32 v18, v17, v27
	s_wait_dscnt 0x0
	v_lshlrev_b32_e32 v60, 16, v21
	v_lshlrev_b32_e32 v61, 16, v22
	v_and_b32_e32 v17, 0xffff0000, v29
	s_wait_loadcnt 0x6
	v_lshlrev_b32_e32 v20, 16, v41
	v_and_b32_e32 v27, 0xffff0000, v41
	v_dual_fmac_f32 v49, v54, v26 :: v_dual_fmac_f32 v18, v19, v28
	v_and_b32_e32 v19, 0xffff0000, v30
	s_wait_loadcnt 0x5
	v_lshlrev_b32_e32 v26, 16, v42
	s_delay_alu instid0(VALU_DEP_3)
	v_dual_fmac_f32 v49, v55, v20 :: v_dual_and_b32 v28, 0xffff0000, v42
	v_fmac_f32_e32 v18, v17, v27
	v_and_b32_e32 v17, 0xffff0000, v31
	s_wait_loadcnt 0x4
	v_lshlrev_b32_e32 v20, 16, v43
	v_and_b32_e32 v27, 0xffff0000, v43
	v_dual_fmac_f32 v49, v56, v26 :: v_dual_fmac_f32 v18, v19, v28
	v_and_b32_e32 v19, 0xffff0000, v32
	s_wait_loadcnt 0x3
	v_lshlrev_b32_e32 v26, 16, v44
	v_and_b32_e32 v28, 0xffff0000, v44
	v_fmac_f32_e32 v49, v57, v20
	v_dual_fmac_f32 v18, v17, v27 :: v_dual_and_b32 v17, 0xffff0000, v33
	s_wait_loadcnt 0x2
	v_lshlrev_b32_e32 v20, 16, v45
	v_and_b32_e32 v27, 0xffff0000, v45
	s_delay_alu instid0(VALU_DEP_3) | instskip(SKIP_3) | instid1(VALU_DEP_3)
	v_dual_fmac_f32 v49, v58, v26 :: v_dual_fmac_f32 v18, v19, v28
	v_and_b32_e32 v19, 0xffff0000, v21
	s_wait_loadcnt 0x1
	v_lshlrev_b32_e32 v21, 16, v46
	v_dual_fmac_f32 v49, v59, v20 :: v_dual_and_b32 v26, 0xffff0000, v46
	v_dual_fmac_f32 v18, v17, v27 :: v_dual_and_b32 v17, 0xffff0000, v22
	s_wait_loadcnt 0x0
	v_lshlrev_b32_e32 v20, 16, v47
	s_delay_alu instid0(VALU_DEP_3) | instskip(NEXT) | instid1(VALU_DEP_3)
	v_dual_fmac_f32 v49, v60, v21 :: v_dual_and_b32 v22, 0xffff0000, v47
	v_fmac_f32_e32 v18, v19, v26
	s_wait_alu 0xf1ff
	v_cndmask_b32_e64 v19, v4, v14, s4
	v_cmp_gt_i32_e64 s4, 32, v15
	v_fmac_f32_e32 v49, v61, v20
	s_delay_alu instid0(VALU_DEP_3) | instskip(SKIP_1) | instid1(VALU_DEP_3)
	v_dual_fmac_f32 v18, v17, v22 :: v_dual_lshlrev_b32 v17, 2, v19
	s_wait_alu 0xf1ff
	v_cndmask_b32_e64 v19, v4, v15, s4
	s_delay_alu instid0(VALU_DEP_1)
	v_dual_add_f32 v18, v49, v18 :: v_dual_lshlrev_b32 v19, 2, v19
	ds_bpermute_b32 v17, v17, v18
	s_wait_dscnt 0x0
	v_add_f32_e32 v17, v18, v17
	ds_bpermute_b32 v18, v19, v17
	s_and_saveexec_b32 s31, s3
	s_cbranch_execz .LBB134_11
; %bb.19:                               ;   in Loop: Header=BB134_13 Depth=1
	s_wait_dscnt 0x0
	v_add_f32_e32 v17, v17, v18
	v_add_nc_u32_e32 v19, v11, v10
	s_delay_alu instid0(VALU_DEP_1) | instskip(NEXT) | instid1(VALU_DEP_1)
	v_cvt_f32_i32_e32 v19, v19
	v_mul_f32_e32 v19, s20, v19
	s_delay_alu instid0(VALU_DEP_1) | instskip(NEXT) | instid1(VALU_DEP_1)
	v_dual_cndmask_b32 v18, 0, v19 :: v_dual_max_num_f32 v19, v6, v6
	v_dual_fmac_f32 v18, s7, v17 :: v_dual_add_nc_u32 v17, v5, v10
	s_delay_alu instid0(VALU_DEP_1) | instskip(NEXT) | instid1(VALU_DEP_2)
	v_max_num_f32_e32 v19, v19, v18
	v_cmp_gt_i32_e64 s4, s38, v17
	s_wait_alu 0xf1ff
	s_delay_alu instid0(VALU_DEP_1) | instskip(NEXT) | instid1(VALU_DEP_3)
	v_cndmask_b32_e64 v17, 0, v18, s4
	v_cndmask_b32_e64 v6, v6, v19, s4
	ds_store_b32 v12, v17
	s_branch .LBB134_11
.LBB134_20:
	s_or_b32 exec_lo, exec_lo, s21
.LBB134_21:
	s_delay_alu instid0(SALU_CYCLE_1)
	s_or_b32 exec_lo, exec_lo, s6
	v_xor_b32_e32 v1, 16, v4
	v_xor_b32_e32 v5, 8, v4
	;; [unrolled: 1-line block ×3, first 2 shown]
	s_clause 0x2
	s_load_b128 s[4:7], s[0:1], 0x0
	s_load_b64 s[30:31], s[0:1], 0x10
	s_load_b64 s[20:21], s[0:1], 0x28
	v_and_b32_e32 v26, 31, v0
	v_cmp_gt_i32_e32 vcc_lo, 32, v1
	s_wait_alu 0xfffd
	v_cndmask_b32_e32 v1, v4, v1, vcc_lo
	v_cmp_gt_i32_e32 vcc_lo, 32, v5
	s_wait_alu 0xfffd
	v_cndmask_b32_e32 v5, v4, v5, vcc_lo
	v_cmp_gt_i32_e32 vcc_lo, 32, v7
	v_lshlrev_b32_e32 v2, 2, v1
	s_delay_alu instid0(VALU_DEP_3)
	v_lshlrev_b32_e32 v5, 2, v5
	s_wait_alu 0xfffd
	v_cndmask_b32_e32 v7, v4, v7, vcc_lo
	ds_bpermute_b32 v1, v2, v6
	v_max_num_f32_e32 v6, v6, v6
	v_cmp_eq_u32_e32 vcc_lo, 0, v26
	s_wait_dscnt 0x0
	v_dual_max_num_f32 v1, v1, v1 :: v_dual_lshlrev_b32 v8, 2, v7
	s_delay_alu instid0(VALU_DEP_1) | instskip(SKIP_3) | instid1(VALU_DEP_1)
	v_max_num_f32_e32 v1, v6, v1
	ds_bpermute_b32 v6, v5, v1
	s_wait_dscnt 0x0
	v_max_num_f32_e32 v6, v6, v6
	v_dual_max_num_f32 v1, v1, v6 :: v_dual_lshlrev_b32 v6, 2, v23
	ds_bpermute_b32 v7, v8, v1
	s_and_saveexec_b32 s0, vcc_lo
	s_cbranch_execz .LBB134_23
; %bb.22:
	s_wait_dscnt 0x0
	v_max_num_f32_e32 v7, v7, v7
	v_max_num_f32_e32 v1, v1, v1
	s_delay_alu instid0(VALU_DEP_1)
	v_max_num_f32_e32 v1, v1, v7
	ds_store_b32 v6, v1 offset:224
.LBB134_23:
	s_or_b32 exec_lo, exec_lo, s0
	v_cmp_gt_u32_e64 s0, 4, v26
	v_mov_b32_e32 v1, 0xff7fffff
	s_wait_dscnt 0x0
	v_lshlrev_b32_e32 v7, 2, v26
	s_wait_loadcnt 0x0
	s_barrier_signal -1
	s_barrier_wait -1
	global_inv scope:SCOPE_SE
	s_and_saveexec_b32 s1, s0
; %bb.24:
	ds_load_b32 v1, v7 offset:224
; %bb.25:
	s_or_b32 exec_lo, exec_lo, s1
	v_xor_b32_e32 v9, 2, v4
	v_xor_b32_e32 v11, 1, v4
	v_lshl_add_u32 v27, v0, 2, 0x100
	s_delay_alu instid0(VALU_DEP_3) | instskip(NEXT) | instid1(VALU_DEP_1)
	v_cmp_gt_i32_e64 s1, 32, v9
	v_cndmask_b32_e64 v9, v4, v9, s1
	s_delay_alu instid0(VALU_DEP_4) | instskip(NEXT) | instid1(VALU_DEP_2)
	v_cmp_gt_i32_e64 s1, 32, v11
	v_lshlrev_b32_e32 v9, 2, v9
	s_wait_alu 0xf1ff
	s_delay_alu instid0(VALU_DEP_2)
	v_cndmask_b32_e64 v4, v4, v11, s1
	s_sub_co_i32 s1, s41, s11
	s_wait_alu 0xfffe
	s_lshl_b32 s1, s1, 3
	s_wait_dscnt 0x0
	ds_bpermute_b32 v10, v9, v1
	v_dual_max_num_f32 v1, v1, v1 :: v_dual_lshlrev_b32 v4, 2, v4
	s_wait_alu 0xfffe
	s_add_co_i32 s1, s1, s24
	s_wait_alu 0xfffe
	s_min_i32 s1, s1, s38
	s_wait_alu 0xfffe
	s_sub_co_i32 s11, s1, s24
	s_wait_alu 0xfffe
	v_cmp_gt_i32_e64 s1, s11, v0
	s_wait_dscnt 0x0
	v_max_num_f32_e32 v10, v10, v10
	s_delay_alu instid0(VALU_DEP_1) | instskip(SKIP_3) | instid1(VALU_DEP_1)
	v_max_num_f32_e32 v1, v1, v10
	ds_bpermute_b32 v10, v4, v1
	s_wait_dscnt 0x0
	v_max_num_f32_e32 v10, v10, v10
	v_dual_max_num_f32 v1, v1, v10 :: v_dual_mov_b32 v10, 0
	ds_bpermute_b32 v1, v10, v1
	s_and_saveexec_b32 s12, s1
	s_cbranch_execz .LBB134_29
; %bb.26:
	v_lshl_add_u32 v11, v0, 2, 0x100
	v_mov_b32_e32 v10, 0
	v_mov_b32_e32 v12, v0
	s_mov_b32 s15, 0
.LBB134_27:                             ; =>This Inner Loop Header: Depth=1
	ds_load_b32 v13, v11
	v_add_nc_u32_e32 v12, 0x80, v12
	s_delay_alu instid0(VALU_DEP_1) | instskip(SKIP_4) | instid1(VALU_DEP_1)
	v_cmp_le_i32_e64 s3, s11, v12
	s_wait_alu 0xfffe
	s_or_b32 s15, s3, s15
	s_wait_dscnt 0x0
	v_sub_f32_e32 v13, v13, v1
	v_mul_f32_e32 v13, 0x3fb8aa3b, v13
	s_delay_alu instid0(VALU_DEP_1)
	v_exp_f32_e32 v13, v13
	ds_store_b32 v11, v13
	v_dual_add_f32 v10, v10, v13 :: v_dual_add_nc_u32 v11, 0x200, v11
	s_wait_alu 0xfffe
	s_and_not1_b32 exec_lo, exec_lo, s15
	s_cbranch_execnz .LBB134_27
; %bb.28:
	s_or_b32 exec_lo, exec_lo, s15
.LBB134_29:
	s_wait_alu 0xfffe
	s_or_b32 exec_lo, exec_lo, s12
	ds_bpermute_b32 v2, v2, v10
	s_wait_dscnt 0x0
	v_add_f32_e32 v2, v10, v2
	ds_bpermute_b32 v5, v5, v2
	s_wait_dscnt 0x0
	v_add_f32_e32 v2, v2, v5
	;; [unrolled: 3-line block ×5, first 2 shown]
	s_and_saveexec_b32 s3, vcc_lo
; %bb.30:
	ds_store_b32 v6, v2 offset:240
; %bb.31:
	s_wait_alu 0xfffe
	s_or_b32 exec_lo, exec_lo, s3
	s_wait_loadcnt_dscnt 0x0
	s_barrier_signal -1
	s_barrier_wait -1
	global_inv scope:SCOPE_SE
	s_and_saveexec_b32 s3, s0
; %bb.32:
	ds_load_b32 v2, v7 offset:240
; %bb.33:
	s_wait_alu 0xfffe
	s_or_b32 exec_lo, exec_lo, s3
	s_wait_dscnt 0x0
	ds_bpermute_b32 v5, v9, v2
	s_wait_dscnt 0x0
	v_add_f32_e32 v2, v2, v5
	ds_bpermute_b32 v4, v4, v2
	s_wait_dscnt 0x0
	v_add_f32_e32 v2, v2, v4
	v_mov_b32_e32 v4, 0
	ds_bpermute_b32 v2, v4, v2
	s_and_saveexec_b32 s0, s1
	s_cbranch_execz .LBB134_36
; %bb.34:
	s_wait_dscnt 0x0
	v_add_f32_e32 v5, 0x358637bd, v2
	s_mov_b32 s1, 0
	s_delay_alu instid0(VALU_DEP_1) | instskip(SKIP_1) | instid1(VALU_DEP_2)
	v_div_scale_f32 v4, null, v5, v5, 1.0
	v_div_scale_f32 v8, vcc_lo, 1.0, v5, 1.0
	v_rcp_f32_e32 v6, v4
	s_delay_alu instid0(TRANS32_DEP_1) | instskip(NEXT) | instid1(VALU_DEP_1)
	v_fma_f32 v7, -v4, v6, 1.0
	v_fmac_f32_e32 v6, v7, v6
	s_delay_alu instid0(VALU_DEP_1) | instskip(NEXT) | instid1(VALU_DEP_1)
	v_mul_f32_e32 v7, v8, v6
	v_fma_f32 v9, -v4, v7, v8
	s_delay_alu instid0(VALU_DEP_1) | instskip(NEXT) | instid1(VALU_DEP_1)
	v_fmac_f32_e32 v7, v9, v6
	v_fma_f32 v4, -v4, v7, v8
	s_wait_alu 0xfffd
	s_delay_alu instid0(VALU_DEP_1) | instskip(SKIP_1) | instid1(VALU_DEP_2)
	v_div_fmas_f32 v6, v4, v6, v7
	v_mov_b32_e32 v4, v27
	v_div_fixup_f32 v5, v6, v5, 1.0
	v_mov_b32_e32 v6, v0
.LBB134_35:                             ; =>This Inner Loop Header: Depth=1
	ds_load_b32 v7, v4
	s_wait_dscnt 0x0
	v_dual_mul_f32 v7, v5, v7 :: v_dual_add_nc_u32 v6, 0x80, v6
	s_delay_alu instid0(VALU_DEP_1)
	v_cmp_le_i32_e32 vcc_lo, s11, v6
	ds_store_b32 v4, v7
	v_add_nc_u32_e32 v4, 0x200, v4
	s_wait_alu 0xfffe
	s_or_b32 s1, vcc_lo, s1
	s_wait_alu 0xfffe
	s_and_not1_b32 exec_lo, exec_lo, s1
	s_cbranch_execnz .LBB134_35
.LBB134_36:
	s_wait_alu 0xfffe
	s_or_b32 exec_lo, exec_lo, s0
	s_mul_i32 s0, s27, s22
	s_wait_loadcnt_dscnt 0x0
	s_wait_alu 0xfffe
	s_mul_i32 s34, s0, s23
	s_mov_b32 s0, exec_lo
	s_barrier_signal -1
	s_barrier_wait -1
	global_inv scope:SCOPE_SE
	v_cmpx_eq_u32_e32 0, v0
	s_cbranch_execz .LBB134_38
; %bb.37:
	s_wait_alu 0xfffe
	s_ashr_i32 s35, s34, 31
	s_mul_i32 s22, s27, ttmp9
	s_lshl_b32 s1, s33, 2
	s_wait_alu 0xfffe
	s_lshl_b64 s[24:25], s[34:35], 2
	s_ashr_i32 s23, s22, 31
	v_mov_b32_e32 v4, s1
	s_wait_kmcnt 0x0
	s_wait_alu 0xfffe
	s_add_nc_u64 s[6:7], s[6:7], s[24:25]
	s_lshl_b64 s[22:23], s[22:23], 2
	s_add_nc_u64 s[4:5], s[4:5], s[24:25]
	s_wait_alu 0xfffe
	s_add_nc_u64 s[6:7], s[6:7], s[22:23]
	s_add_nc_u64 s[4:5], s[4:5], s[22:23]
	s_clause 0x1
	global_store_b32 v4, v1, s[6:7]
	global_store_b32 v4, v2, s[4:5]
.LBB134_38:
	s_wait_alu 0xfffe
	s_or_b32 exec_lo, exec_lo, s0
	v_dual_mov_b32 v31, 0 :: v_dual_mov_b32 v30, 0
	v_dual_mov_b32 v29, 0 :: v_dual_mov_b32 v28, 0
	s_and_saveexec_b32 s35, s2
	s_cbranch_execz .LBB134_54
; %bb.39:
	s_abs_i32 s42, s10
	s_ashr_i32 s15, s14, 31
	s_cvt_f32_u32 s0, s42
	s_wait_alu 0xfffe
	s_lshl_b64 s[2:3], s[14:15], 1
	v_or_b32_e32 v4, 0x60, v26
	s_wait_kmcnt 0x0
	s_wait_alu 0xfffe
	s_add_nc_u64 s[36:37], s[20:21], s[2:3]
	v_rcp_iflag_f32_e32 v1, s0
	s_lshl_b64 s[0:1], s[18:19], 2
	v_dual_mov_b32 v29, 0 :: v_dual_lshlrev_b32 v2, 3, v26
	s_wait_alu 0xfffe
	s_add_nc_u64 s[0:1], s[16:17], s[0:1]
	v_mov_b32_e32 v28, 0
	s_wait_alu 0xfffe
	v_add_co_u32 v21, s0, s0, v3
	s_wait_alu 0xf1ff
	v_add_co_ci_u32_e64 v22, null, s1, 0, s0
	v_readfirstlane_b32 s4, v1
	v_lshlrev_b32_e32 v1, 3, v4
	s_sub_co_i32 s5, 0, s42
	v_lshl_add_u32 v32, v23, 5, 0x100
	v_dual_mov_b32 v30, 0 :: v_dual_lshlrev_b32 v33, 1, v2
	s_mul_f32 s2, s4, 0x4f7ffffe
	v_dual_mov_b32 v31, 0 :: v_dual_lshlrev_b32 v34, 1, v1
	s_sub_co_i32 s43, s8, s9
	s_wait_alu 0xfffe
	s_cvt_u32_f32 s0, s2
	s_mov_b32 s44, s13
	s_add_co_i32 s45, s45, -1
	s_mov_b32 s46, 0
	s_wait_alu 0xfffe
	s_mul_i32 s5, s5, s0
	s_mov_b32 s47, s38
	s_wait_alu 0xfffe
	s_mul_hi_u32 s1, s0, s5
	v_cmp_gt_u32_e32 vcc_lo, 0x70, v4
	s_wait_alu 0xfffe
	s_add_co_i32 s48, s0, s1
	s_branch .LBB134_43
.LBB134_40:                             ;   in Loop: Header=BB134_43 Depth=1
	s_wait_alu 0xfffe
	s_or_b32 exec_lo, exec_lo, s25
	v_perm_b32 v17, v50, v49, 0x7060302
	s_wait_loadcnt 0x0
	v_and_b32_e32 v49, 0xffff0000, v2
	v_perm_b32 v18, v52, v51, 0x7060302
	v_perm_b32 v19, v54, v53, 0x7060302
	;; [unrolled: 1-line block ×3, first 2 shown]
	v_and_b32_e32 v36, 0xffff0000, v17
	v_lshlrev_b32_e32 v2, 16, v2
	v_and_b32_e32 v35, 0xffff0000, v1
	v_lshlrev_b32_e32 v1, 16, v1
	v_lshlrev_b32_e32 v17, 16, v17
	s_delay_alu instid0(VALU_DEP_3) | instskip(NEXT) | instid1(VALU_DEP_2)
	v_dual_mul_f32 v35, v36, v35 :: v_dual_and_b32 v36, 0xffff0000, v18
	v_mul_f32_e32 v1, v17, v1
	v_and_b32_e32 v17, 0xffff0000, v3
	v_lshlrev_b32_e32 v3, 16, v3
	s_delay_alu instid0(VALU_DEP_4)
	v_bfe_u32 v50, v35, 16, 1
	v_mul_f32_e32 v36, v36, v49
	v_or_b32_e32 v49, 0x400000, v35
	v_cmp_u_f32_e64 s0, v35, v35
	v_or_b32_e32 v51, 0x400000, v1
	v_add3_u32 v50, v50, v35, 0x7fff
	v_bfe_u32 v52, v36, 16, 1
	s_wait_alu 0xf1ff
	s_delay_alu instid0(VALU_DEP_2)
	v_cndmask_b32_e64 v35, v50, v49, s0
	v_and_b32_e32 v49, 0xffff0000, v19
	v_lshlrev_b32_e32 v18, 16, v18
	v_cmp_u_f32_e64 s0, v1, v1
	v_or_b32_e32 v50, 0x400000, v36
	v_lshlrev_b32_e32 v19, 16, v19
	s_delay_alu instid0(VALU_DEP_4) | instskip(SKIP_2) | instid1(VALU_DEP_4)
	v_dual_mul_f32 v17, v49, v17 :: v_dual_mul_f32 v2, v18, v2
	v_bfe_u32 v18, v1, 16, 1
	v_and_b32_e32 v35, 0xffff0000, v35
	v_mul_f32_e32 v3, v19, v3
	v_and_b32_e32 v19, 0xffff0000, v4
	v_or_b32_e32 v49, 0x400000, v2
	v_add3_u32 v18, v18, v1, 0x7fff
	s_wait_alu 0xf1ff
	s_delay_alu instid0(VALU_DEP_1) | instskip(SKIP_3) | instid1(VALU_DEP_4)
	v_cndmask_b32_e64 v1, v18, v51, s0
	v_add3_u32 v18, v52, v36, 0x7fff
	v_bfe_u32 v51, v2, 16, 1
	v_cmp_u_f32_e64 s0, v36, v36
	v_and_b32_e32 v1, 0xffff0000, v1
	s_delay_alu instid0(VALU_DEP_3) | instskip(SKIP_1) | instid1(VALU_DEP_3)
	v_add3_u32 v36, v51, v2, 0x7fff
	s_wait_alu 0xf1ff
	v_cndmask_b32_e64 v18, v18, v50, s0
	v_bfe_u32 v50, v17, 16, 1
	v_and_b32_e32 v51, 0xffff0000, v20
	v_lshlrev_b32_e32 v4, 16, v4
	v_dual_add_f32 v1, v1, v35 :: v_dual_lshlrev_b32 v20, 16, v20
	v_cmp_u_f32_e64 s0, v2, v2
	s_delay_alu instid0(VALU_DEP_4) | instskip(NEXT) | instid1(VALU_DEP_3)
	v_dual_mul_f32 v19, v51, v19 :: v_dual_and_b32 v18, 0xffff0000, v18
	v_mul_f32_e32 v4, v20, v4
	v_or_b32_e32 v20, 0x400000, v17
	s_wait_alu 0xf1ff
	v_cndmask_b32_e64 v2, v36, v49, s0
	v_bfe_u32 v36, v3, 16, 1
	v_add3_u32 v49, v50, v17, 0x7fff
	v_cmp_u_f32_e64 s0, v17, v17
	v_or_b32_e32 v50, 0x400000, v3
	v_bfe_u32 v52, v4, 16, 1
	v_add3_u32 v36, v36, v3, 0x7fff
	v_bfe_u32 v51, v19, 16, 1
	s_wait_alu 0xf1ff
	v_cndmask_b32_e64 v17, v49, v20, s0
	v_cmp_u_f32_e64 s0, v3, v3
	v_or_b32_e32 v49, 0x400000, v4
	v_and_b32_e32 v2, 0xffff0000, v2
	v_add3_u32 v20, v51, v19, 0x7fff
	v_and_b32_e32 v17, 0xffff0000, v17
	s_wait_alu 0xf1ff
	v_cndmask_b32_e64 v3, v36, v50, s0
	v_add3_u32 v36, v52, v4, 0x7fff
	v_cmp_u_f32_e64 s0, v4, v4
	v_or_b32_e32 v50, 0x400000, v19
	s_delay_alu instid0(VALU_DEP_4) | instskip(SKIP_1) | instid1(VALU_DEP_3)
	v_dual_add_f32 v2, v2, v18 :: v_dual_and_b32 v3, 0xffff0000, v3
	s_wait_alu 0xf1ff
	v_cndmask_b32_e64 v4, v36, v49, s0
	v_cmp_u_f32_e64 s0, v19, v19
	s_delay_alu instid0(VALU_DEP_3) | instskip(NEXT) | instid1(VALU_DEP_3)
	v_add_f32_e32 v1, v2, v1
	v_dual_add_f32 v2, v3, v17 :: v_dual_and_b32 v3, 0xffff0000, v4
	s_wait_alu 0xf1ff
	s_delay_alu instid0(VALU_DEP_3) | instskip(NEXT) | instid1(VALU_DEP_1)
	v_cndmask_b32_e64 v18, v20, v50, s0
	v_dual_add_f32 v1, v2, v1 :: v_dual_and_b32 v4, 0xffff0000, v18
	s_delay_alu instid0(VALU_DEP_1) | instskip(NEXT) | instid1(VALU_DEP_1)
	v_add_f32_e32 v2, v3, v4
	v_add_f32_e32 v1, v2, v1
	s_delay_alu instid0(VALU_DEP_1)
	v_add_f32_e32 v28, v28, v1
.LBB134_41:                             ;   in Loop: Header=BB134_43 Depth=1
	s_or_b32 exec_lo, exec_lo, s50
	v_bfe_u32 v1, v46, 16, 1
	v_or_b32_e32 v2, 0x400000, v46
	v_bfe_u32 v3, v45, 16, 1
	v_bfe_u32 v17, v44, 16, 1
	;; [unrolled: 1-line block ×3, first 2 shown]
	v_add3_u32 v1, v1, v46, 0x7fff
	v_or_b32_e32 v4, 0x400000, v45
	v_bfe_u32 v19, v48, 16, 1
	v_add3_u32 v3, v3, v45, 0x7fff
	v_add3_u32 v17, v17, v44, 0x7fff
	s_wait_alu 0xf1ff
	v_cndmask_b32_e64 v1, v1, v2, s23
	v_or_b32_e32 v2, 0x400000, v44
	v_add3_u32 v18, v18, v43, 0x7fff
	v_or_b32_e32 v20, 0x400000, v43
	v_add3_u32 v19, v19, v48, 0x7fff
	v_or_b32_e32 v35, 0x400000, v48
	v_bfe_u32 v36, v47, 16, 1
	v_cndmask_b32_e64 v3, v3, v4, s19
	v_cndmask_b32_e64 v2, v17, v2, s20
	;; [unrolled: 1-line block ×4, first 2 shown]
	v_add3_u32 v18, v36, v47, 0x7fff
	v_or_b32_e32 v19, 0x400000, v47
	v_and_b32_e32 v2, 0xffff0000, v2
	v_and_b32_e32 v4, 0xffff0000, v4
	v_bfe_u32 v20, v42, 16, 1
	v_and_b32_e32 v3, 0xffff0000, v3
	v_cndmask_b32_e64 v18, v18, v19, s22
	v_bfe_u32 v19, v40, 16, 1
	v_add_f32_e32 v2, v4, v2
	v_and_b32_e32 v4, 0xffff0000, v17
	v_and_b32_e32 v1, 0xffff0000, v1
	v_add3_u32 v20, v20, v42, 0x7fff
	v_or_b32_e32 v17, 0x400000, v42
	v_or_b32_e32 v35, 0x400000, v38
	;; [unrolled: 1-line block ×3, first 2 shown]
	v_add_f32_e32 v1, v3, v1
	v_and_b32_e32 v3, 0xffff0000, v18
	v_add3_u32 v18, v19, v40, 0x7fff
	v_or_b32_e32 v19, 0x400000, v40
	s_delay_alu instid0(VALU_DEP_3) | instskip(SKIP_2) | instid1(VALU_DEP_4)
	v_dual_add_f32 v1, v2, v1 :: v_dual_add_f32 v2, v3, v4
	v_cndmask_b32_e64 v3, v20, v17, s18
	v_bfe_u32 v4, v16, 16, 1
	v_cndmask_b32_e64 v17, v18, v19, s16
	v_bfe_u32 v18, v41, 16, 1
	s_delay_alu instid0(VALU_DEP_4) | instskip(NEXT) | instid1(VALU_DEP_4)
	v_dual_add_f32 v1, v2, v1 :: v_dual_and_b32 v2, 0xffff0000, v3
	v_add3_u32 v3, v4, v16, 0x7fff
	v_or_b32_e32 v4, 0x400000, v16
	s_delay_alu instid0(VALU_DEP_4)
	v_add3_u32 v16, v18, v41, 0x7fff
	v_or_b32_e32 v18, 0x400000, v41
	v_bfe_u32 v19, v39, 16, 1
	v_or_b32_e32 v20, 0x400000, v39
	v_cndmask_b32_e64 v3, v3, v4, s14
	v_bfe_u32 v4, v38, 16, 1
	v_cndmask_b32_e64 v16, v16, v18, s17
	v_bfe_u32 v18, v37, 16, 1
	v_add3_u32 v19, v19, v39, 0x7fff
	v_and_b32_e32 v3, 0xffff0000, v3
	v_add3_u32 v4, v4, v38, 0x7fff
	v_and_b32_e32 v16, 0xffff0000, v16
	v_add3_u32 v18, v18, v37, 0x7fff
	v_bfe_u32 v37, v13, 16, 1
	v_cndmask_b32_e64 v19, v19, v20, s15
	v_cndmask_b32_e64 v4, v4, v35, s12
	v_add_f32_e32 v3, v16, v3
	v_cndmask_b32_e64 v18, v18, v36, s13
	v_add3_u32 v35, v37, v13, 0x7fff
	v_or_b32_e32 v13, 0x400000, v13
	v_bfe_u32 v16, v12, 16, 1
	v_bfe_u32 v36, v14, 16, 1
	v_and_b32_e32 v18, 0xffff0000, v18
	v_and_b32_e32 v19, 0xffff0000, v19
	v_cndmask_b32_e64 v13, v35, v13, s9
	v_add3_u32 v16, v16, v12, 0x7fff
	v_or_b32_e32 v12, 0x400000, v12
	v_add3_u32 v36, v36, v14, 0x7fff
	v_or_b32_e32 v14, 0x400000, v14
	v_and_b32_e32 v13, 0xffff0000, v13
	v_bfe_u32 v20, v15, 16, 1
	v_cndmask_b32_e64 v12, v16, v12, s7
	s_delay_alu instid0(VALU_DEP_4) | instskip(NEXT) | instid1(VALU_DEP_4)
	v_cndmask_b32_e64 v14, v36, v14, s11
	v_add_f32_e32 v13, v13, v18
	v_bfe_u32 v18, v7, 16, 1
	v_add3_u32 v20, v20, v15, 0x7fff
	v_or_b32_e32 v15, 0x400000, v15
	v_and_b32_e32 v14, 0xffff0000, v14
	s_delay_alu instid0(VALU_DEP_4) | instskip(SKIP_1) | instid1(VALU_DEP_4)
	v_add3_u32 v16, v18, v7, 0x7fff
	v_or_b32_e32 v7, 0x400000, v7
	v_cndmask_b32_e64 v15, v20, v15, s10
	v_bfe_u32 v20, v6, 16, 1
	v_bfe_u32 v18, v9, 16, 1
	s_delay_alu instid0(VALU_DEP_4) | instskip(SKIP_1) | instid1(VALU_DEP_3)
	v_cndmask_b32_e64 v7, v16, v7, s3
	v_bfe_u32 v16, v5, 16, 1
	v_add3_u32 v18, v18, v9, 0x7fff
	v_or_b32_e32 v9, 0x400000, v9
	s_delay_alu instid0(VALU_DEP_4) | instskip(SKIP_4) | instid1(VALU_DEP_4)
	v_and_b32_e32 v7, 0xffff0000, v7
	v_and_b32_e32 v4, 0xffff0000, v4
	v_add3_u32 v16, v16, v5, 0x7fff
	v_or_b32_e32 v5, 0x400000, v5
	v_cndmask_b32_e64 v9, v18, v9, s5
	v_add_f32_e32 v4, v4, v19
	v_bfe_u32 v19, v8, 16, 1
	s_delay_alu instid0(VALU_DEP_4) | instskip(NEXT) | instid1(VALU_DEP_3)
	v_cndmask_b32_e64 v5, v16, v5, s2
	v_add_f32_e32 v3, v4, v3
	v_bfe_u32 v4, v11, 16, 1
	s_delay_alu instid0(VALU_DEP_4) | instskip(SKIP_1) | instid1(VALU_DEP_4)
	v_add3_u32 v19, v19, v8, 0x7fff
	v_or_b32_e32 v8, 0x400000, v8
	v_add_f32_e32 v3, v13, v3
	s_delay_alu instid0(VALU_DEP_4) | instskip(SKIP_3) | instid1(VALU_DEP_3)
	v_add3_u32 v4, v4, v11, 0x7fff
	v_or_b32_e32 v11, 0x400000, v11
	v_and_b32_e32 v5, 0xffff0000, v5
	v_cndmask_b32_e64 v8, v19, v8, s6
	v_cndmask_b32_e64 v4, v4, v11, s8
	v_bfe_u32 v11, v10, 16, 1
	s_delay_alu instid0(VALU_DEP_3) | instskip(NEXT) | instid1(VALU_DEP_3)
	v_and_b32_e32 v8, 0xffff0000, v8
	v_and_b32_e32 v4, 0xffff0000, v4
	s_delay_alu instid0(VALU_DEP_3) | instskip(SKIP_1) | instid1(VALU_DEP_1)
	v_add3_u32 v11, v11, v10, 0x7fff
	v_or_b32_e32 v10, 0x400000, v10
	v_cndmask_b32_e64 v10, v11, v10, s4
	v_add3_u32 v11, v20, v6, 0x7fff
	v_or_b32_e32 v6, 0x400000, v6
	s_delay_alu instid0(VALU_DEP_1) | instskip(NEXT) | instid1(VALU_DEP_1)
	v_cndmask_b32_e64 v6, v11, v6, s1
	v_and_b32_e32 v6, 0xffff0000, v6
	s_delay_alu instid0(VALU_DEP_1) | instskip(NEXT) | instid1(VALU_DEP_1)
	v_dual_add_f32 v5, v5, v6 :: v_dual_and_b32 v12, 0xffff0000, v12
	v_dual_add_f32 v4, v4, v12 :: v_dual_and_b32 v17, 0xffff0000, v17
	s_delay_alu instid0(VALU_DEP_1) | instskip(NEXT) | instid1(VALU_DEP_1)
	v_add_f32_e32 v2, v2, v17
	v_dual_add_f32 v1, v2, v1 :: v_dual_and_b32 v10, 0xffff0000, v10
	s_delay_alu instid0(VALU_DEP_1) | instskip(NEXT) | instid1(VALU_DEP_2)
	v_add_f32_e32 v30, v30, v1
	v_add_f32_e32 v7, v10, v7
	s_delay_alu instid0(VALU_DEP_1) | instskip(NEXT) | instid1(VALU_DEP_1)
	v_dual_add_f32 v4, v7, v4 :: v_dual_and_b32 v9, 0xffff0000, v9
	v_add_f32_e32 v7, v8, v9
	s_delay_alu instid0(VALU_DEP_1) | instskip(SKIP_1) | instid1(VALU_DEP_1)
	v_add_f32_e32 v4, v7, v4
	v_and_b32_e32 v10, 0xffff0000, v15
	v_add_f32_e32 v8, v14, v10
	s_delay_alu instid0(VALU_DEP_1) | instskip(NEXT) | instid1(VALU_DEP_1)
	v_dual_add_f32 v2, v8, v3 :: v_dual_add_f32 v3, v5, v4
	v_add_f32_e32 v31, v31, v2
	s_delay_alu instid0(VALU_DEP_2)
	v_add_f32_e32 v29, v29, v3
.LBB134_42:                             ;   in Loop: Header=BB134_43 Depth=1
	s_wait_alu 0xfffe
	s_or_b32 exec_lo, exec_lo, s49
	v_add_nc_u32_e32 v25, 4, v25
	v_add_co_u32 v21, s1, v21, 16
	s_wait_alu 0xf1ff
	v_add_co_ci_u32_e64 v22, null, 0, v22, s1
	s_delay_alu instid0(VALU_DEP_3)
	v_cmp_le_i32_e64 s0, s41, v25
	v_add_nc_u32_e32 v24, 32, v24
	v_add_nc_u32_e32 v32, 0x80, v32
	s_or_b32 s46, s0, s46
	s_wait_alu 0xfffe
	s_and_not1_b32 exec_lo, exec_lo, s46
	s_cbranch_execz .LBB134_53
.LBB134_43:                             ; =>This Inner Loop Header: Depth=1
	v_sub_nc_u32_e32 v1, 0, v24
	s_delay_alu instid0(VALU_DEP_1) | instskip(NEXT) | instid1(VALU_DEP_1)
	v_max_i32_e32 v1, v24, v1
	v_mul_hi_u32 v2, v1, s28
	s_delay_alu instid0(VALU_DEP_1) | instskip(NEXT) | instid1(VALU_DEP_1)
	v_mul_lo_u32 v3, v2, s39
	v_sub_nc_u32_e32 v1, v1, v3
	v_add_nc_u32_e32 v3, 1, v2
	s_delay_alu instid0(VALU_DEP_2) | instskip(SKIP_2) | instid1(VALU_DEP_1)
	v_subrev_nc_u32_e32 v4, s39, v1
	v_cmp_le_u32_e64 s0, s39, v1
	s_wait_alu 0xf1ff
	v_cndmask_b32_e64 v2, v2, v3, s0
	s_delay_alu instid0(VALU_DEP_3) | instskip(SKIP_1) | instid1(VALU_DEP_3)
	v_cndmask_b32_e64 v1, v1, v4, s0
	v_ashrrev_i32_e32 v3, 31, v24
	v_add_nc_u32_e32 v4, 1, v2
	s_delay_alu instid0(VALU_DEP_3) | instskip(NEXT) | instid1(VALU_DEP_3)
	v_cmp_le_u32_e64 s0, s39, v1
	v_xor_b32_e32 v3, s29, v3
	s_wait_alu 0xf1ff
	s_delay_alu instid0(VALU_DEP_2) | instskip(NEXT) | instid1(VALU_DEP_1)
	v_cndmask_b32_e64 v1, v2, v4, s0
	v_xor_b32_e32 v1, v1, v3
	s_delay_alu instid0(VALU_DEP_1) | instskip(NEXT) | instid1(VALU_DEP_1)
	v_sub_nc_u32_e32 v1, v1, v3
	v_add_nc_u32_e32 v2, s40, v1
	v_cmp_lt_i32_e64 s1, s43, v1
	s_delay_alu instid0(VALU_DEP_2) | instskip(NEXT) | instid1(VALU_DEP_1)
	v_sub_nc_u32_e32 v3, 0, v2
	v_max_i32_e32 v3, v2, v3
	v_ashrrev_i32_e32 v2, 31, v2
	s_delay_alu instid0(VALU_DEP_2) | instskip(NEXT) | instid1(VALU_DEP_1)
	v_mul_hi_u32 v4, v3, s48
	v_mul_lo_u32 v4, v4, s42
	s_delay_alu instid0(VALU_DEP_1) | instskip(NEXT) | instid1(VALU_DEP_1)
	v_sub_nc_u32_e32 v3, v3, v4
	v_subrev_nc_u32_e32 v4, s42, v3
	v_cmp_le_u32_e64 s0, s42, v3
	s_wait_alu 0xf1ff
	s_delay_alu instid0(VALU_DEP_1) | instskip(NEXT) | instid1(VALU_DEP_1)
	v_cndmask_b32_e64 v3, v3, v4, s0
	v_subrev_nc_u32_e32 v4, s42, v3
	v_cmp_le_u32_e64 s0, s42, v3
	s_wait_alu 0xf1ff
	s_delay_alu instid0(VALU_DEP_1) | instskip(NEXT) | instid1(VALU_DEP_1)
	v_cndmask_b32_e64 v3, v3, v4, s0
	v_xor_b32_e32 v3, v3, v2
	s_delay_alu instid0(VALU_DEP_1) | instskip(NEXT) | instid1(VALU_DEP_1)
	v_sub_nc_u32_e32 v2, v3, v2
	v_cmp_eq_u32_e64 s0, 0, v2
	s_or_b32 s0, s0, s1
	s_wait_alu 0xfffe
	s_and_saveexec_b32 s49, s0
	s_cbranch_execz .LBB134_42
; %bb.44:                               ;   in Loop: Header=BB134_43 Depth=1
	global_load_b32 v1, v[21:22], off
	s_wait_loadcnt 0x0
	v_mad_co_i64_i32 v[1:2], null, v1, s44, 0
	s_delay_alu instid0(VALU_DEP_1) | instskip(NEXT) | instid1(VALU_DEP_1)
	v_lshlrev_b64_e32 v[1:2], 1, v[1:2]
	v_add_co_u32 v35, s0, s36, v1
	s_wait_alu 0xf1ff
	s_delay_alu instid0(VALU_DEP_2) | instskip(NEXT) | instid1(VALU_DEP_2)
	v_add_co_ci_u32_e64 v36, null, s37, v2, s0
	v_add_co_u32 v17, s0, v35, v33
	s_wait_alu 0xf1ff
	s_delay_alu instid0(VALU_DEP_2)
	v_add_co_ci_u32_e64 v18, null, 0, v36, s0
	v_cmp_eq_u32_e64 s0, s45, v25
	global_load_b128 v[1:4], v[17:18], off
	ds_load_2addr_b64 v[9:12], v32 offset1:1
	ds_load_2addr_b64 v[5:8], v32 offset0:2 offset1:3
	s_and_saveexec_b32 s2, s0
	s_cbranch_execnz .LBB134_51
; %bb.45:                               ;   in Loop: Header=BB134_43 Depth=1
	s_wait_alu 0xfffe
	s_or_b32 exec_lo, exec_lo, s2
	global_load_b128 v[13:16], v[17:18], off offset:512
	s_and_saveexec_b32 s2, s0
	s_cbranch_execnz .LBB134_52
.LBB134_46:                             ;   in Loop: Header=BB134_43 Depth=1
	s_wait_alu 0xfffe
	s_or_b32 exec_lo, exec_lo, s2
	global_load_b128 v[17:20], v[17:18], off offset:1024
	s_and_saveexec_b32 s2, s0
	s_cbranch_execz .LBB134_48
.LBB134_47:                             ;   in Loop: Header=BB134_43 Depth=1
	v_add_nc_u32_e32 v37, 1, v24
	s_wait_loadcnt 0x0
	v_lshrrev_b32_e32 v38, 16, v17
	v_or_b32_e32 v39, 2, v24
	v_lshrrev_b32_e32 v40, 16, v18
	v_or_b32_e32 v41, 4, v24
	v_cmp_gt_i32_e64 s1, s47, v37
	v_or_b32_e32 v42, 7, v24
	v_lshrrev_b32_e32 v43, 16, v20
	s_wait_alu 0xf1ff
	s_delay_alu instid0(VALU_DEP_3) | instskip(SKIP_3) | instid1(VALU_DEP_2)
	v_cndmask_b32_e64 v37, 0, v38, s1
	v_cmp_gt_i32_e64 s1, s38, v24
	v_or_b32_e32 v38, 3, v24
	s_wait_alu 0xf1ff
	v_cndmask_b32_e64 v17, 0, v17, s1
	v_cmp_gt_i32_e64 s1, s38, v39
	v_or_b32_e32 v39, 5, v24
	s_delay_alu instid0(VALU_DEP_3) | instskip(SKIP_1) | instid1(VALU_DEP_3)
	v_perm_b32 v17, v37, v17, 0x5040100
	s_wait_alu 0xf1ff
	v_cndmask_b32_e64 v18, 0, v18, s1
	v_cmp_gt_i32_e64 s1, s47, v38
	s_wait_alu 0xf1ff
	s_delay_alu instid0(VALU_DEP_1) | instskip(SKIP_2) | instid1(VALU_DEP_3)
	v_cndmask_b32_e64 v38, 0, v40, s1
	v_cmp_gt_i32_e64 s1, s38, v41
	v_or_b32_e32 v41, 6, v24
	v_perm_b32 v18, v38, v18, 0x5040100
	s_wait_alu 0xf1ff
	s_delay_alu instid0(VALU_DEP_3) | instskip(SKIP_3) | instid1(VALU_DEP_1)
	v_cndmask_b32_e64 v40, 0, v19, s1
	v_lshrrev_b32_e32 v19, 16, v19
	v_cmp_gt_i32_e64 s1, s47, v39
	s_wait_alu 0xf1ff
	v_cndmask_b32_e64 v19, 0, v19, s1
	v_cmp_gt_i32_e64 s1, s38, v41
	s_delay_alu instid0(VALU_DEP_2) | instskip(SKIP_1) | instid1(VALU_DEP_2)
	v_perm_b32 v19, v19, v40, 0x5040100
	s_wait_alu 0xf1ff
	v_cndmask_b32_e64 v20, 0, v20, s1
	v_cmp_gt_i32_e64 s1, s47, v42
	s_wait_alu 0xf1ff
	s_delay_alu instid0(VALU_DEP_1) | instskip(NEXT) | instid1(VALU_DEP_1)
	v_cndmask_b32_e64 v39, 0, v43, s1
	v_perm_b32 v20, v39, v20, 0x5040100
.LBB134_48:                             ;   in Loop: Header=BB134_43 Depth=1
	s_wait_alu 0xfffe
	s_or_b32 exec_lo, exec_lo, s2
	s_wait_dscnt 0x1
	v_bfe_u32 v37, v9, 16, 1
	v_or_b32_e32 v38, 0x400000, v9
	v_bfe_u32 v39, v10, 16, 1
	v_cmp_u_f32_e64 s1, v9, v9
	v_bfe_u32 v40, v11, 16, 1
	v_add3_u32 v37, v37, v9, 0x7fff
	v_or_b32_e32 v41, 0x400000, v10
	v_add3_u32 v39, v39, v10, 0x7fff
	v_or_b32_e32 v42, 0x400000, v11
	v_add3_u32 v40, v40, v11, 0x7fff
	s_wait_alu 0xf1ff
	v_cndmask_b32_e64 v49, v37, v38, s1
	v_cmp_u_f32_e64 s1, v10, v10
	v_bfe_u32 v9, v12, 16, 1
	s_wait_dscnt 0x0
	v_bfe_u32 v10, v5, 16, 1
	v_or_b32_e32 v37, 0x400000, v5
	v_bfe_u32 v38, v6, 16, 1
	s_wait_alu 0xf1ff
	v_cndmask_b32_e64 v50, v39, v41, s1
	v_cmp_u_f32_e64 s1, v11, v11
	v_add3_u32 v9, v9, v12, 0x7fff
	v_or_b32_e32 v11, 0x400000, v12
	v_add3_u32 v10, v10, v5, 0x7fff
	s_wait_alu 0xf1ff
	v_cndmask_b32_e64 v51, v40, v42, s1
	v_cmp_u_f32_e64 s1, v12, v12
	v_bfe_u32 v12, v8, 16, 1
	s_wait_alu 0xf1ff
	s_delay_alu instid0(VALU_DEP_2)
	v_cndmask_b32_e64 v52, v9, v11, s1
	v_cmp_u_f32_e64 s1, v5, v5
	v_bfe_u32 v9, v7, 16, 1
	v_add3_u32 v5, v38, v6, 0x7fff
	v_or_b32_e32 v11, 0x400000, v7
	v_and_b32_e32 v57, 0xffff0000, v52
	s_wait_alu 0xf1ff
	v_cndmask_b32_e64 v53, v10, v37, s1
	v_or_b32_e32 v10, 0x400000, v6
	v_cmp_u_f32_e64 s1, v6, v6
	v_add3_u32 v9, v9, v7, 0x7fff
	s_wait_alu 0xf1ff
	s_delay_alu instid0(VALU_DEP_2)
	v_cndmask_b32_e64 v54, v5, v10, s1
	v_cmp_u_f32_e64 s1, v7, v7
	v_add3_u32 v5, v12, v8, 0x7fff
	s_wait_loadcnt 0x1
	v_lshlrev_b32_e32 v10, 16, v13
	v_and_b32_e32 v58, 0xffff0000, v51
	v_lshlrev_b32_e32 v12, 16, v14
	s_wait_alu 0xf1ff
	v_cndmask_b32_e64 v55, v9, v11, s1
	v_and_b32_e32 v6, 0xffff0000, v50
	v_cmp_u_f32_e64 s1, v8, v8
	s_delay_alu instid0(VALU_DEP_3) | instskip(SKIP_2) | instid1(VALU_DEP_3)
	v_dual_mul_f32 v43, v58, v12 :: v_dual_and_b32 v60, 0xffff0000, v55
	v_lshlrev_b32_e32 v12, 16, v16
	v_and_b32_e32 v11, 0xffff0000, v14
	v_cmp_u_f32_e64 s21, v43, v43
	s_delay_alu instid0(VALU_DEP_3) | instskip(NEXT) | instid1(VALU_DEP_3)
	v_dual_mul_f32 v42, v60, v12 :: v_dual_and_b32 v7, 0xffff0000, v13
	v_mul_f32_e32 v44, v57, v11
	v_or_b32_e32 v13, 0x400000, v8
	v_and_b32_e32 v9, 0xffff0000, v49
	s_delay_alu instid0(VALU_DEP_4) | instskip(NEXT) | instid1(VALU_DEP_4)
	v_dual_mul_f32 v46, v6, v7 :: v_dual_and_b32 v11, 0xffff0000, v16
	v_cmp_u_f32_e64 s20, v44, v44
	s_wait_alu 0xf1ff
	v_cndmask_b32_e64 v56, v5, v13, s1
	v_and_b32_e32 v13, 0xffff0000, v1
	v_and_b32_e32 v7, 0xffff0000, v15
	v_cmp_u_f32_e64 s23, v46, v46
	v_cmp_u_f32_e64 s18, v42, v42
	v_and_b32_e32 v59, 0xffff0000, v56
	v_dual_mul_f32 v16, v6, v13 :: v_dual_and_b32 v5, 0xffff0000, v54
	s_delay_alu instid0(VALU_DEP_2) | instskip(SKIP_1) | instid1(VALU_DEP_3)
	v_mul_f32_e32 v40, v59, v11
	v_and_b32_e32 v8, 0xffff0000, v53
	v_dual_mul_f32 v48, v5, v7 :: v_dual_lshlrev_b32 v1, 16, v1
	v_and_b32_e32 v7, 0xffff0000, v2
	v_lshlrev_b32_e32 v2, 16, v2
	v_cmp_u_f32_e64 s16, v40, v40
	s_delay_alu instid0(VALU_DEP_4)
	v_cmp_u_f32_e64 s24, v48, v48
	v_mul_f32_e32 v41, v9, v1
	v_mul_f32_e32 v39, v57, v7
	;; [unrolled: 1-line block ×3, first 2 shown]
	v_dual_mul_f32 v38, v58, v2 :: v_dual_and_b32 v1, 0xffff0000, v4
	v_lshlrev_b32_e32 v10, 16, v15
	s_wait_loadcnt 0x0
	v_and_b32_e32 v7, 0xffff0000, v18
	v_lshlrev_b32_e32 v2, 16, v4
	v_lshlrev_b32_e32 v4, 16, v17
	v_mul_f32_e32 v15, v59, v1
	v_mul_f32_e32 v47, v8, v10
	s_delay_alu instid0(VALU_DEP_4) | instskip(NEXT) | instid1(VALU_DEP_4)
	v_dual_mul_f32 v7, v57, v7 :: v_dual_mul_f32 v14, v60, v2
	v_dual_mul_f32 v11, v9, v4 :: v_dual_and_b32 v2, 0xffff0000, v19
	v_and_b32_e32 v10, 0xffff0000, v3
	v_and_b32_e32 v4, 0xffff0000, v20
	v_lshlrev_b32_e32 v3, 16, v3
	v_lshlrev_b32_e32 v1, 16, v18
	v_mul_f32_e32 v9, v5, v2
	v_mul_f32_e32 v37, v5, v10
	v_cmp_u_f32_e64 s19, v45, v45
	v_mul_f32_e32 v13, v8, v3
	v_and_b32_e32 v3, 0xffff0000, v17
	v_dual_mul_f32 v10, v58, v1 :: v_dual_lshlrev_b32 v17, 16, v20
	v_cmp_u_f32_e64 s22, v47, v47
	v_cmp_u_f32_e64 s14, v16, v16
	s_delay_alu instid0(VALU_DEP_4) | instskip(SKIP_4) | instid1(VALU_DEP_4)
	v_mul_f32_e32 v12, v6, v3
	v_dual_mul_f32 v6, v59, v4 :: v_dual_lshlrev_b32 v3, 16, v19
	v_mul_f32_e32 v5, v60, v17
	v_cmp_u_f32_e64 s17, v41, v41
	v_cmp_u_f32_e64 s15, v39, v39
	v_mul_f32_e32 v8, v8, v3
	v_cmp_u_f32_e64 s12, v38, v38
	v_cmp_u_f32_e64 s13, v37, v37
	;; [unrolled: 1-line block ×13, first 2 shown]
	s_and_saveexec_b32 s50, vcc_lo
	s_cbranch_execz .LBB134_41
; %bb.49:                               ;   in Loop: Header=BB134_43 Depth=1
	v_add_co_u32 v1, s25, v35, v34
	s_wait_alu 0xf1ff
	v_add_co_ci_u32_e64 v2, null, 0, v36, s25
	global_load_b128 v[1:4], v[1:2], off
	s_and_saveexec_b32 s25, s0
	s_cbranch_execz .LBB134_40
; %bb.50:                               ;   in Loop: Header=BB134_43 Depth=1
	v_add_nc_u32_e32 v17, 1, v24
	s_wait_loadcnt 0x0
	v_lshrrev_b32_e32 v18, 16, v1
	v_or_b32_e32 v19, 2, v24
	v_lshrrev_b32_e32 v20, 16, v2
	v_or_b32_e32 v35, 4, v24
	v_cmp_gt_i32_e64 s0, s47, v17
	v_or_b32_e32 v36, 7, v24
	v_lshrrev_b32_e32 v57, 16, v4
	s_wait_alu 0xf1ff
	s_delay_alu instid0(VALU_DEP_3) | instskip(SKIP_3) | instid1(VALU_DEP_2)
	v_cndmask_b32_e64 v17, 0, v18, s0
	v_cmp_gt_i32_e64 s0, s38, v24
	v_or_b32_e32 v18, 3, v24
	s_wait_alu 0xf1ff
	v_cndmask_b32_e64 v1, 0, v1, s0
	v_cmp_gt_i32_e64 s0, s38, v19
	v_or_b32_e32 v19, 5, v24
	s_delay_alu instid0(VALU_DEP_3) | instskip(SKIP_1) | instid1(VALU_DEP_3)
	v_perm_b32 v1, v17, v1, 0x5040100
	s_wait_alu 0xf1ff
	v_cndmask_b32_e64 v2, 0, v2, s0
	v_cmp_gt_i32_e64 s0, s47, v18
	s_wait_alu 0xf1ff
	s_delay_alu instid0(VALU_DEP_1) | instskip(SKIP_2) | instid1(VALU_DEP_3)
	v_cndmask_b32_e64 v18, 0, v20, s0
	v_cmp_gt_i32_e64 s0, s38, v35
	v_or_b32_e32 v35, 6, v24
	v_perm_b32 v2, v18, v2, 0x5040100
	s_wait_alu 0xf1ff
	s_delay_alu instid0(VALU_DEP_3) | instskip(SKIP_3) | instid1(VALU_DEP_1)
	v_cndmask_b32_e64 v20, 0, v3, s0
	v_lshrrev_b32_e32 v3, 16, v3
	v_cmp_gt_i32_e64 s0, s47, v19
	s_wait_alu 0xf1ff
	v_cndmask_b32_e64 v3, 0, v3, s0
	v_cmp_gt_i32_e64 s0, s38, v35
	s_delay_alu instid0(VALU_DEP_2) | instskip(SKIP_1) | instid1(VALU_DEP_2)
	v_perm_b32 v3, v3, v20, 0x5040100
	s_wait_alu 0xf1ff
	v_cndmask_b32_e64 v4, 0, v4, s0
	v_cmp_gt_i32_e64 s0, s47, v36
	s_wait_alu 0xf1ff
	s_delay_alu instid0(VALU_DEP_1) | instskip(NEXT) | instid1(VALU_DEP_1)
	v_cndmask_b32_e64 v19, 0, v57, s0
	v_perm_b32 v4, v19, v4, 0x5040100
	s_branch .LBB134_40
.LBB134_51:                             ;   in Loop: Header=BB134_43 Depth=1
	v_add_nc_u32_e32 v13, 1, v24
	s_wait_loadcnt 0x0
	v_lshrrev_b32_e32 v14, 16, v1
	v_or_b32_e32 v15, 2, v24
	v_lshrrev_b32_e32 v16, 16, v2
	v_or_b32_e32 v19, 4, v24
	v_cmp_gt_i32_e64 s1, s47, v13
	v_or_b32_e32 v20, 7, v24
	v_lshrrev_b32_e32 v37, 16, v4
	s_wait_alu 0xf1ff
	s_delay_alu instid0(VALU_DEP_3) | instskip(SKIP_3) | instid1(VALU_DEP_2)
	v_cndmask_b32_e64 v13, 0, v14, s1
	v_cmp_gt_i32_e64 s1, s38, v24
	v_or_b32_e32 v14, 3, v24
	s_wait_alu 0xf1ff
	v_cndmask_b32_e64 v1, 0, v1, s1
	v_cmp_gt_i32_e64 s1, s38, v15
	v_or_b32_e32 v15, 5, v24
	s_delay_alu instid0(VALU_DEP_3) | instskip(SKIP_1) | instid1(VALU_DEP_3)
	v_perm_b32 v1, v13, v1, 0x5040100
	s_wait_alu 0xf1ff
	v_cndmask_b32_e64 v2, 0, v2, s1
	v_cmp_gt_i32_e64 s1, s47, v14
	s_wait_alu 0xf1ff
	s_delay_alu instid0(VALU_DEP_1) | instskip(SKIP_2) | instid1(VALU_DEP_3)
	v_cndmask_b32_e64 v14, 0, v16, s1
	v_cmp_gt_i32_e64 s1, s38, v19
	v_or_b32_e32 v19, 6, v24
	v_perm_b32 v2, v14, v2, 0x5040100
	s_wait_alu 0xf1ff
	s_delay_alu instid0(VALU_DEP_3) | instskip(SKIP_3) | instid1(VALU_DEP_1)
	v_cndmask_b32_e64 v16, 0, v3, s1
	v_lshrrev_b32_e32 v3, 16, v3
	v_cmp_gt_i32_e64 s1, s47, v15
	s_wait_alu 0xf1ff
	v_cndmask_b32_e64 v3, 0, v3, s1
	v_cmp_gt_i32_e64 s1, s38, v19
	s_delay_alu instid0(VALU_DEP_2) | instskip(SKIP_1) | instid1(VALU_DEP_2)
	v_perm_b32 v3, v3, v16, 0x5040100
	s_wait_alu 0xf1ff
	v_cndmask_b32_e64 v4, 0, v4, s1
	v_cmp_gt_i32_e64 s1, s47, v20
	s_wait_alu 0xf1ff
	s_delay_alu instid0(VALU_DEP_1) | instskip(NEXT) | instid1(VALU_DEP_1)
	v_cndmask_b32_e64 v15, 0, v37, s1
	v_perm_b32 v4, v15, v4, 0x5040100
	s_wait_alu 0xfffe
	s_or_b32 exec_lo, exec_lo, s2
	global_load_b128 v[13:16], v[17:18], off offset:512
	s_and_saveexec_b32 s2, s0
	s_cbranch_execz .LBB134_46
.LBB134_52:                             ;   in Loop: Header=BB134_43 Depth=1
	v_add_nc_u32_e32 v19, 1, v24
	s_wait_loadcnt 0x0
	v_lshrrev_b32_e32 v20, 16, v13
	v_or_b32_e32 v37, 2, v24
	v_lshrrev_b32_e32 v38, 16, v14
	v_or_b32_e32 v39, 4, v24
	v_cmp_gt_i32_e64 s1, s47, v19
	v_or_b32_e32 v40, 7, v24
	v_lshrrev_b32_e32 v41, 16, v16
	s_wait_alu 0xf1ff
	s_delay_alu instid0(VALU_DEP_3) | instskip(SKIP_3) | instid1(VALU_DEP_2)
	v_cndmask_b32_e64 v19, 0, v20, s1
	v_cmp_gt_i32_e64 s1, s38, v24
	v_or_b32_e32 v20, 3, v24
	s_wait_alu 0xf1ff
	v_cndmask_b32_e64 v13, 0, v13, s1
	v_cmp_gt_i32_e64 s1, s38, v37
	v_or_b32_e32 v37, 5, v24
	s_delay_alu instid0(VALU_DEP_3) | instskip(SKIP_1) | instid1(VALU_DEP_3)
	v_perm_b32 v13, v19, v13, 0x5040100
	s_wait_alu 0xf1ff
	v_cndmask_b32_e64 v14, 0, v14, s1
	v_cmp_gt_i32_e64 s1, s47, v20
	s_wait_alu 0xf1ff
	s_delay_alu instid0(VALU_DEP_1) | instskip(SKIP_2) | instid1(VALU_DEP_3)
	v_cndmask_b32_e64 v20, 0, v38, s1
	v_cmp_gt_i32_e64 s1, s38, v39
	v_or_b32_e32 v39, 6, v24
	v_perm_b32 v14, v20, v14, 0x5040100
	s_wait_alu 0xf1ff
	s_delay_alu instid0(VALU_DEP_3) | instskip(SKIP_3) | instid1(VALU_DEP_1)
	v_cndmask_b32_e64 v38, 0, v15, s1
	v_lshrrev_b32_e32 v15, 16, v15
	v_cmp_gt_i32_e64 s1, s47, v37
	s_wait_alu 0xf1ff
	v_cndmask_b32_e64 v15, 0, v15, s1
	v_cmp_gt_i32_e64 s1, s38, v39
	s_delay_alu instid0(VALU_DEP_2) | instskip(SKIP_1) | instid1(VALU_DEP_2)
	v_perm_b32 v15, v15, v38, 0x5040100
	s_wait_alu 0xf1ff
	v_cndmask_b32_e64 v16, 0, v16, s1
	v_cmp_gt_i32_e64 s1, s47, v40
	s_wait_alu 0xf1ff
	s_delay_alu instid0(VALU_DEP_1) | instskip(NEXT) | instid1(VALU_DEP_1)
	v_cndmask_b32_e64 v37, 0, v41, s1
	v_perm_b32 v16, v37, v16, 0x5040100
	s_wait_alu 0xfffe
	s_or_b32 exec_lo, exec_lo, s2
	global_load_b128 v[17:20], v[17:18], off offset:1024
	s_and_saveexec_b32 s2, s0
	s_cbranch_execnz .LBB134_47
	s_branch .LBB134_48
.LBB134_53:
	s_or_b32 exec_lo, exec_lo, s46
.LBB134_54:
	s_wait_alu 0xfffe
	s_or_b32 exec_lo, exec_lo, s35
	s_movk_i32 s0, 0x1c0
	v_and_b32_e32 v1, 0x3c0, v0
	s_wait_alu 0xfffe
	v_mad_u32_u24 v4, v23, s0, 0x100
	v_or_b32_e32 v3, 0x60, v0
	s_mov_b32 s0, exec_lo
	s_wait_loadcnt 0x0
	s_wait_storecnt 0x0
	s_barrier_signal -1
	s_barrier_wait -1
	global_inv scope:SCOPE_SE
	v_cmpx_eq_u32_e32 64, v1
	s_cbranch_execz .LBB134_57
; %bb.55:
	v_add_nc_u32_e32 v1, 0xfffffc80, v4
	v_cmp_gt_u32_e32 vcc_lo, 0x70, v3
	s_delay_alu instid0(VALU_DEP_2)
	v_lshl_add_u32 v2, v26, 2, v1
	ds_store_2addr_b32 v2, v31, v30 offset1:32
	ds_store_b32 v2, v29 offset:256
	s_and_b32 exec_lo, exec_lo, vcc_lo
; %bb.56:
	v_lshl_add_u32 v1, v3, 2, v1
	ds_store_b32 v1, v28
.LBB134_57:
	s_wait_alu 0xfffe
	s_or_b32 exec_lo, exec_lo, s0
	v_lshl_add_u32 v5, v26, 2, v4
	s_mov_b32 s0, exec_lo
	s_wait_loadcnt_dscnt 0x0
	s_barrier_signal -1
	s_barrier_wait -1
	global_inv scope:SCOPE_SE
	v_cmpx_gt_u32_e32 64, v0
	s_cbranch_execz .LBB134_61
; %bb.58:
	v_lshl_or_b32 v1, v0, 2, 0x80
	s_mov_b32 s1, exec_lo
	s_delay_alu instid0(VALU_DEP_1)
	v_add_nc_u32_e32 v6, v4, v1
	ds_load_2addr_stride64_b32 v[1:2], v5 offset1:1
	ds_load_b32 v6, v6
	v_cmpx_gt_u32_e32 0x70, v3
	s_cbranch_execz .LBB134_60
; %bb.59:
	v_lshl_add_u32 v7, v3, 2, v4
	ds_load_b32 v7, v7
	s_wait_dscnt 0x0
	v_add_f32_e32 v28, v28, v7
.LBB134_60:
	s_wait_alu 0xfffe
	s_or_b32 exec_lo, exec_lo, s1
	s_wait_dscnt 0x0
	v_dual_add_f32 v31, v31, v1 :: v_dual_add_f32 v30, v30, v6
	v_add_f32_e32 v29, v29, v2
.LBB134_61:
	s_wait_alu 0xfffe
	s_or_b32 exec_lo, exec_lo, s0
	v_and_b32_e32 v1, 0x3e0, v0
	s_mov_b32 s0, exec_lo
	s_wait_loadcnt 0x0
	s_barrier_signal -1
	s_barrier_wait -1
	global_inv scope:SCOPE_SE
	v_cmpx_eq_u32_e32 32, v1
	s_cbranch_execz .LBB134_64
; %bb.62:
	v_lshl_add_u32 v1, v26, 2, 0x100
	v_cmp_gt_u32_e32 vcc_lo, 0x70, v3
	ds_store_b32 v1, v31
	ds_store_b32 v27, v30
	ds_store_b32 v1, v29 offset:256
	s_and_b32 exec_lo, exec_lo, vcc_lo
; %bb.63:
	v_lshl_add_u32 v1, v3, 2, 0x100
	ds_store_b32 v1, v28
.LBB134_64:
	s_wait_alu 0xfffe
	s_or_b32 exec_lo, exec_lo, s0
	v_cmp_gt_u32_e32 vcc_lo, 32, v0
	s_wait_loadcnt_dscnt 0x0
	s_barrier_signal -1
	s_barrier_wait -1
	global_inv scope:SCOPE_SE
	s_and_saveexec_b32 s1, vcc_lo
	s_cbranch_execz .LBB134_68
; %bb.65:
	v_lshl_add_u32 v6, v0, 2, v4
	s_mov_b32 s2, exec_lo
	ds_load_b32 v4, v5
	ds_load_2addr_b32 v[1:2], v6 offset0:32 offset1:64
	v_cmpx_gt_u32_e32 0x70, v3
	s_cbranch_execz .LBB134_67
; %bb.66:
	ds_load_b32 v5, v6 offset:384
	s_wait_dscnt 0x0
	v_add_f32_e32 v28, v28, v5
.LBB134_67:
	s_wait_alu 0xfffe
	s_or_b32 exec_lo, exec_lo, s2
	s_wait_dscnt 0x0
	v_dual_add_f32 v31, v31, v4 :: v_dual_add_f32 v30, v30, v1
	v_add_f32_e32 v29, v29, v2
.LBB134_68:
	s_wait_alu 0xfffe
	s_or_b32 exec_lo, exec_lo, s1
	s_wait_loadcnt 0x0
	s_barrier_signal -1
	s_barrier_wait -1
	global_inv scope:SCOPE_SE
	s_and_saveexec_b32 s0, vcc_lo
	s_cbranch_execz .LBB134_71
; %bb.69:
	v_bfe_u32 v1, v31, 16, 1
	v_bfe_u32 v2, v30, 16, 1
	v_or_b32_e32 v5, 0x400000, v31
	v_cmp_u_f32_e32 vcc_lo, v31, v31
	v_bfe_u32 v4, v29, 16, 1
	v_add3_u32 v1, v1, v31, 0x7fff
	v_lshlrev_b32_e32 v0, 1, v0
	v_add3_u32 v2, v2, v30, 0x7fff
	v_or_b32_e32 v6, 0x400000, v30
	s_mul_i32 s0, s34, 0x70
	s_wait_alu 0xfffd
	v_cndmask_b32_e32 v1, v1, v5, vcc_lo
	v_cmp_u_f32_e32 vcc_lo, v30, v30
	s_mul_i32 s2, s27, s26
	s_wait_alu 0xfffe
	s_ashr_i32 s1, s0, 31
	v_add3_u32 v4, v4, v29, 0x7fff
	v_or_b32_e32 v7, 0x400000, v29
	s_wait_alu 0xfffd
	v_cndmask_b32_e32 v2, v2, v6, vcc_lo
	v_cmp_u_f32_e32 vcc_lo, v29, v29
	s_ashr_i32 s3, s2, 31
	s_wait_alu 0xfffe
	s_lshl_b64 s[0:1], s[0:1], 1
	s_lshl_b64 s[2:3], s[2:3], 1
	s_wait_kmcnt 0x0
	s_wait_alu 0xfffe
	s_add_nc_u64 s[0:1], s[30:31], s[0:1]
	s_wait_alu 0xfffd
	v_cndmask_b32_e32 v4, v4, v7, vcc_lo
	v_cmp_gt_u32_e32 vcc_lo, 0x70, v3
	s_mul_i32 s4, s33, 0xe0
	s_wait_alu 0xfffe
	s_add_nc_u64 s[0:1], s[0:1], s[2:3]
	s_mov_b32 s5, 0
	s_wait_alu 0xfffe
	s_add_nc_u64 s[0:1], s[0:1], s[4:5]
	s_clause 0x2
	global_store_d16_hi_b16 v0, v1, s[0:1]
	global_store_d16_hi_b16 v0, v2, s[0:1] offset:64
	global_store_d16_hi_b16 v0, v4, s[0:1] offset:128
	s_and_b32 exec_lo, exec_lo, vcc_lo
	s_cbranch_execz .LBB134_71
; %bb.70:
	v_bfe_u32 v1, v28, 16, 1
	v_or_b32_e32 v2, 0x400000, v28
	v_cmp_u_f32_e32 vcc_lo, v28, v28
	s_wait_alu 0xfffe
	v_add_co_u32 v0, s0, s0, v0
	v_add3_u32 v3, v1, v28, 0x7fff
	s_wait_alu 0xf1ff
	v_add_co_ci_u32_e64 v1, null, s1, 0, s0
	s_wait_alu 0xfffd
	s_delay_alu instid0(VALU_DEP_2)
	v_cndmask_b32_e32 v2, v3, v2, vcc_lo
	global_store_d16_hi_b16 v[0:1], v2, off offset:192
.LBB134_71:
	s_endpgm
	.section	.rodata,"a",@progbits
	.p2align	6, 0x0
	.amdhsa_kernel _ZN4vllm25paged_attention_v2_kernelI14__hip_bfloat16S1_Li112ELi8ELi128ELNS_18Fp8KVCacheDataTypeE0ELb1ELi512EEEvPfS3_PT_PKS4_PKT0_SA_ifPKiSC_iPKfiiiSE_SE_iiiii
		.amdhsa_group_segment_fixed_size 256
		.amdhsa_private_segment_fixed_size 0
		.amdhsa_kernarg_size 400
		.amdhsa_user_sgpr_count 2
		.amdhsa_user_sgpr_dispatch_ptr 0
		.amdhsa_user_sgpr_queue_ptr 0
		.amdhsa_user_sgpr_kernarg_segment_ptr 1
		.amdhsa_user_sgpr_dispatch_id 0
		.amdhsa_user_sgpr_private_segment_size 0
		.amdhsa_wavefront_size32 1
		.amdhsa_uses_dynamic_stack 0
		.amdhsa_enable_private_segment 0
		.amdhsa_system_sgpr_workgroup_id_x 1
		.amdhsa_system_sgpr_workgroup_id_y 1
		.amdhsa_system_sgpr_workgroup_id_z 1
		.amdhsa_system_sgpr_workgroup_info 0
		.amdhsa_system_vgpr_workitem_id 0
		.amdhsa_next_free_vgpr 64
		.amdhsa_next_free_sgpr 51
		.amdhsa_reserve_vcc 1
		.amdhsa_float_round_mode_32 0
		.amdhsa_float_round_mode_16_64 0
		.amdhsa_float_denorm_mode_32 3
		.amdhsa_float_denorm_mode_16_64 3
		.amdhsa_fp16_overflow 0
		.amdhsa_workgroup_processor_mode 1
		.amdhsa_memory_ordered 1
		.amdhsa_forward_progress 1
		.amdhsa_inst_pref_size 76
		.amdhsa_round_robin_scheduling 0
		.amdhsa_exception_fp_ieee_invalid_op 0
		.amdhsa_exception_fp_denorm_src 0
		.amdhsa_exception_fp_ieee_div_zero 0
		.amdhsa_exception_fp_ieee_overflow 0
		.amdhsa_exception_fp_ieee_underflow 0
		.amdhsa_exception_fp_ieee_inexact 0
		.amdhsa_exception_int_div_zero 0
	.end_amdhsa_kernel
	.section	.text._ZN4vllm25paged_attention_v2_kernelI14__hip_bfloat16S1_Li112ELi8ELi128ELNS_18Fp8KVCacheDataTypeE0ELb1ELi512EEEvPfS3_PT_PKS4_PKT0_SA_ifPKiSC_iPKfiiiSE_SE_iiiii,"axG",@progbits,_ZN4vllm25paged_attention_v2_kernelI14__hip_bfloat16S1_Li112ELi8ELi128ELNS_18Fp8KVCacheDataTypeE0ELb1ELi512EEEvPfS3_PT_PKS4_PKT0_SA_ifPKiSC_iPKfiiiSE_SE_iiiii,comdat
.Lfunc_end134:
	.size	_ZN4vllm25paged_attention_v2_kernelI14__hip_bfloat16S1_Li112ELi8ELi128ELNS_18Fp8KVCacheDataTypeE0ELb1ELi512EEEvPfS3_PT_PKS4_PKT0_SA_ifPKiSC_iPKfiiiSE_SE_iiiii, .Lfunc_end134-_ZN4vllm25paged_attention_v2_kernelI14__hip_bfloat16S1_Li112ELi8ELi128ELNS_18Fp8KVCacheDataTypeE0ELb1ELi512EEEvPfS3_PT_PKS4_PKT0_SA_ifPKiSC_iPKfiiiSE_SE_iiiii
                                        ; -- End function
	.set _ZN4vllm25paged_attention_v2_kernelI14__hip_bfloat16S1_Li112ELi8ELi128ELNS_18Fp8KVCacheDataTypeE0ELb1ELi512EEEvPfS3_PT_PKS4_PKT0_SA_ifPKiSC_iPKfiiiSE_SE_iiiii.num_vgpr, 64
	.set _ZN4vllm25paged_attention_v2_kernelI14__hip_bfloat16S1_Li112ELi8ELi128ELNS_18Fp8KVCacheDataTypeE0ELb1ELi512EEEvPfS3_PT_PKS4_PKT0_SA_ifPKiSC_iPKfiiiSE_SE_iiiii.num_agpr, 0
	.set _ZN4vllm25paged_attention_v2_kernelI14__hip_bfloat16S1_Li112ELi8ELi128ELNS_18Fp8KVCacheDataTypeE0ELb1ELi512EEEvPfS3_PT_PKS4_PKT0_SA_ifPKiSC_iPKfiiiSE_SE_iiiii.numbered_sgpr, 51
	.set _ZN4vllm25paged_attention_v2_kernelI14__hip_bfloat16S1_Li112ELi8ELi128ELNS_18Fp8KVCacheDataTypeE0ELb1ELi512EEEvPfS3_PT_PKS4_PKT0_SA_ifPKiSC_iPKfiiiSE_SE_iiiii.num_named_barrier, 0
	.set _ZN4vllm25paged_attention_v2_kernelI14__hip_bfloat16S1_Li112ELi8ELi128ELNS_18Fp8KVCacheDataTypeE0ELb1ELi512EEEvPfS3_PT_PKS4_PKT0_SA_ifPKiSC_iPKfiiiSE_SE_iiiii.private_seg_size, 0
	.set _ZN4vllm25paged_attention_v2_kernelI14__hip_bfloat16S1_Li112ELi8ELi128ELNS_18Fp8KVCacheDataTypeE0ELb1ELi512EEEvPfS3_PT_PKS4_PKT0_SA_ifPKiSC_iPKfiiiSE_SE_iiiii.uses_vcc, 1
	.set _ZN4vllm25paged_attention_v2_kernelI14__hip_bfloat16S1_Li112ELi8ELi128ELNS_18Fp8KVCacheDataTypeE0ELb1ELi512EEEvPfS3_PT_PKS4_PKT0_SA_ifPKiSC_iPKfiiiSE_SE_iiiii.uses_flat_scratch, 0
	.set _ZN4vllm25paged_attention_v2_kernelI14__hip_bfloat16S1_Li112ELi8ELi128ELNS_18Fp8KVCacheDataTypeE0ELb1ELi512EEEvPfS3_PT_PKS4_PKT0_SA_ifPKiSC_iPKfiiiSE_SE_iiiii.has_dyn_sized_stack, 0
	.set _ZN4vllm25paged_attention_v2_kernelI14__hip_bfloat16S1_Li112ELi8ELi128ELNS_18Fp8KVCacheDataTypeE0ELb1ELi512EEEvPfS3_PT_PKS4_PKT0_SA_ifPKiSC_iPKfiiiSE_SE_iiiii.has_recursion, 0
	.set _ZN4vllm25paged_attention_v2_kernelI14__hip_bfloat16S1_Li112ELi8ELi128ELNS_18Fp8KVCacheDataTypeE0ELb1ELi512EEEvPfS3_PT_PKS4_PKT0_SA_ifPKiSC_iPKfiiiSE_SE_iiiii.has_indirect_call, 0
	.section	.AMDGPU.csdata,"",@progbits
; Kernel info:
; codeLenInByte = 9628
; TotalNumSgprs: 53
; NumVgprs: 64
; ScratchSize: 0
; MemoryBound: 0
; FloatMode: 240
; IeeeMode: 1
; LDSByteSize: 256 bytes/workgroup (compile time only)
; SGPRBlocks: 0
; VGPRBlocks: 7
; NumSGPRsForWavesPerEU: 53
; NumVGPRsForWavesPerEU: 64
; Occupancy: 16
; WaveLimiterHint : 1
; COMPUTE_PGM_RSRC2:SCRATCH_EN: 0
; COMPUTE_PGM_RSRC2:USER_SGPR: 2
; COMPUTE_PGM_RSRC2:TRAP_HANDLER: 0
; COMPUTE_PGM_RSRC2:TGID_X_EN: 1
; COMPUTE_PGM_RSRC2:TGID_Y_EN: 1
; COMPUTE_PGM_RSRC2:TGID_Z_EN: 1
; COMPUTE_PGM_RSRC2:TIDIG_COMP_CNT: 0
	.section	.text._ZN4vllm32paged_attention_v2_reduce_kernelI14__hip_bfloat16Li112ELi128ELi512EEEvPT_PKfS5_PKS2_PKii,"axG",@progbits,_ZN4vllm32paged_attention_v2_reduce_kernelI14__hip_bfloat16Li112ELi128ELi512EEEvPT_PKfS5_PKS2_PKii,comdat
	.protected	_ZN4vllm32paged_attention_v2_reduce_kernelI14__hip_bfloat16Li112ELi128ELi512EEEvPT_PKfS5_PKS2_PKii ; -- Begin function _ZN4vllm32paged_attention_v2_reduce_kernelI14__hip_bfloat16Li112ELi128ELi512EEEvPT_PKfS5_PKS2_PKii
	.globl	_ZN4vllm32paged_attention_v2_reduce_kernelI14__hip_bfloat16Li112ELi128ELi512EEEvPT_PKfS5_PKS2_PKii
	.p2align	8
	.type	_ZN4vllm32paged_attention_v2_reduce_kernelI14__hip_bfloat16Li112ELi128ELi512EEEvPT_PKfS5_PKS2_PKii,@function
_ZN4vllm32paged_attention_v2_reduce_kernelI14__hip_bfloat16Li112ELi128ELi512EEEvPT_PKfS5_PKS2_PKii: ; @_ZN4vllm32paged_attention_v2_reduce_kernelI14__hip_bfloat16Li112ELi128ELi512EEEvPT_PKfS5_PKS2_PKii
; %bb.0:
	s_load_b128 s[4:7], s[0:1], 0x18
	s_mov_b32 s2, ttmp7
	s_ashr_i32 s3, ttmp7, 31
	s_add_nc_u64 s[8:9], s[0:1], 48
	s_lshl_b64 s[2:3], s[2:3], 2
	s_wait_kmcnt 0x0
	s_add_nc_u64 s[2:3], s[6:7], s[2:3]
	s_load_b32 s18, s[2:3], 0x0
	s_clause 0x2
	s_load_b64 s[6:7], s[0:1], 0x0
	s_load_b32 s14, s[0:1], 0x28
	s_load_b32 s15, s[0:1], 0x30
	s_wait_kmcnt 0x0
	s_add_co_i32 s2, s18, -1
	s_delay_alu instid0(SALU_CYCLE_1)
	s_cmp_gt_u32 s2, 0x1ff
	s_mov_b32 s2, -1
	s_cbranch_scc0 .LBB135_26
; %bb.1:
	s_add_co_i32 s2, s18, 0x1ff
	s_mul_i32 s16, s15, ttmp7
	s_ashr_i32 s3, s2, 31
	v_dual_mov_b32 v4, 0xff7fffff :: v_dual_lshlrev_b32 v3, 2, v0
	s_lshr_b32 s3, s3, 23
	s_mul_i32 s12, s16, s14
	s_add_co_i32 s2, s2, s3
	s_mul_i32 s10, s14, ttmp9
	s_ashr_i32 s17, s2, 9
	s_ashr_i32 s13, s12, 31
	v_cmp_gt_i32_e32 vcc_lo, s17, v0
	s_ashr_i32 s11, s10, 31
	s_and_saveexec_b32 s3, vcc_lo
	s_cbranch_execz .LBB135_5
; %bb.2:
	s_load_b64 s[20:21], s[0:1], 0x10
	s_load_b32 s2, s[8:9], 0xc
	s_lshl_b64 s[22:23], s[12:13], 2
	s_lshl_b64 s[24:25], s[10:11], 2
	v_dual_mov_b32 v4, 0xff7fffff :: v_dual_add_nc_u32 v5, 32, v3
	s_add_nc_u64 s[22:23], s[22:23], s[24:25]
	v_mov_b32_e32 v6, v0
	s_wait_kmcnt 0x0
	s_add_nc_u64 s[20:21], s[20:21], s[22:23]
	s_delay_alu instid0(SALU_CYCLE_1) | instskip(NEXT) | instid1(VALU_DEP_1)
	v_add_co_u32 v1, s19, s20, v3
	v_add_co_ci_u32_e64 v2, null, s21, 0, s19
	s_and_b32 s20, s2, 0xffff
	s_mov_b32 s19, 0
	s_wait_alu 0xfffe
	s_lshl_b32 s21, s20, 2
.LBB135_3:                              ; =>This Inner Loop Header: Depth=1
	global_load_b32 v7, v[1:2], off
	v_add_nc_u32_e32 v6, s20, v6
	v_max_num_f32_e32 v4, v4, v4
	s_wait_alu 0xfffe
	v_add_co_u32 v1, s2, v1, s21
	s_wait_alu 0xf1ff
	v_add_co_ci_u32_e64 v2, null, 0, v2, s2
	v_cmp_le_i32_e64 s2, s17, v6
	s_or_b32 s19, s2, s19
	s_wait_loadcnt 0x0
	v_max_num_f32_e32 v8, v7, v7
	ds_store_b32 v5, v7
	v_dual_max_num_f32 v4, v4, v8 :: v_dual_add_nc_u32 v5, s21, v5
	s_wait_alu 0xfffe
	s_and_not1_b32 exec_lo, exec_lo, s19
	s_cbranch_execnz .LBB135_3
; %bb.4:
	s_or_b32 exec_lo, exec_lo, s19
.LBB135_5:
	s_delay_alu instid0(SALU_CYCLE_1)
	s_or_b32 exec_lo, exec_lo, s3
	v_mbcnt_lo_u32_b32 v1, -1, 0
	s_load_b64 s[2:3], s[0:1], 0x8
	s_wait_dscnt 0x0
	s_barrier_signal -1
	s_barrier_wait -1
	v_xor_b32_e32 v2, 16, v1
	v_xor_b32_e32 v5, 8, v1
	global_inv scope:SCOPE_SE
	v_cmp_gt_i32_e64 s0, 32, v2
	s_delay_alu instid0(VALU_DEP_1) | instskip(SKIP_1) | instid1(VALU_DEP_2)
	v_cndmask_b32_e64 v2, v1, v2, s0
	v_cmp_gt_i32_e64 s0, 32, v5
	v_lshlrev_b32_e32 v6, 2, v2
	s_wait_alu 0xf1ff
	s_delay_alu instid0(VALU_DEP_2) | instskip(SKIP_3) | instid1(VALU_DEP_1)
	v_cndmask_b32_e64 v5, v1, v5, s0
	ds_bpermute_b32 v2, v6, v4
	v_dual_max_num_f32 v4, v4, v4 :: v_dual_lshlrev_b32 v7, 2, v5
	v_xor_b32_e32 v5, 4, v1
	v_cmp_gt_i32_e64 s0, 32, v5
	s_wait_alu 0xf1ff
	s_delay_alu instid0(VALU_DEP_1) | instskip(NEXT) | instid1(VALU_DEP_1)
	v_cndmask_b32_e64 v5, v1, v5, s0
	v_lshlrev_b32_e32 v8, 2, v5
	v_xor_b32_e32 v5, 2, v1
	s_wait_dscnt 0x0
	v_max_num_f32_e32 v2, v2, v2
	s_delay_alu instid0(VALU_DEP_2) | instskip(NEXT) | instid1(VALU_DEP_2)
	v_cmp_gt_i32_e64 s0, 32, v5
	v_max_num_f32_e32 v2, v4, v2
	s_wait_alu 0xf1ff
	s_delay_alu instid0(VALU_DEP_2) | instskip(SKIP_3) | instid1(VALU_DEP_1)
	v_cndmask_b32_e64 v5, v1, v5, s0
	ds_bpermute_b32 v4, v7, v2
	s_wait_dscnt 0x0
	v_max_num_f32_e32 v4, v4, v4
	v_max_num_f32_e32 v2, v2, v4
	ds_bpermute_b32 v4, v8, v2
	s_wait_dscnt 0x0
	v_dual_max_num_f32 v9, v4, v4 :: v_dual_lshlrev_b32 v4, 2, v5
	s_delay_alu instid0(VALU_DEP_1) | instskip(SKIP_4) | instid1(VALU_DEP_1)
	v_max_num_f32_e32 v2, v2, v9
	v_xor_b32_e32 v9, 1, v1
	ds_bpermute_b32 v5, v4, v2
	v_cmp_gt_i32_e64 s0, 32, v9
	s_wait_alu 0xf1ff
	v_cndmask_b32_e64 v1, v1, v9, s0
	v_lshrrev_b32_e32 v9, 5, v0
	s_delay_alu instid0(VALU_DEP_1) | instskip(SKIP_2) | instid1(VALU_DEP_1)
	v_lshlrev_b32_e32 v9, 2, v9
	s_wait_dscnt 0x0
	v_max_num_f32_e32 v5, v5, v5
	v_max_num_f32_e32 v2, v2, v5
	v_lshlrev_b32_e32 v5, 2, v1
	v_and_b32_e32 v1, 31, v0
	ds_bpermute_b32 v10, v5, v2
	v_cmp_eq_u32_e64 s0, 0, v1
	s_and_saveexec_b32 s1, s0
	s_cbranch_execz .LBB135_7
; %bb.6:
	s_wait_dscnt 0x0
	v_max_num_f32_e32 v10, v10, v10
	v_max_num_f32_e32 v2, v2, v2
	s_delay_alu instid0(VALU_DEP_1)
	v_max_num_f32_e32 v2, v2, v10
	ds_store_b32 v9, v2
.LBB135_7:
	s_wait_alu 0xfffe
	s_or_b32 exec_lo, exec_lo, s1
	v_cmp_gt_u32_e64 s1, 4, v1
	v_mov_b32_e32 v2, 0xff7fffff
	s_wait_dscnt 0x0
	v_lshlrev_b32_e32 v10, 2, v1
	s_wait_loadcnt 0x0
	s_barrier_signal -1
	s_barrier_wait -1
	global_inv scope:SCOPE_SE
	s_and_saveexec_b32 s19, s1
; %bb.8:
	ds_load_b32 v2, v10
; %bb.9:
	s_wait_alu 0xfffe
	s_or_b32 exec_lo, exec_lo, s19
	s_wait_dscnt 0x0
	ds_bpermute_b32 v1, v4, v2
	v_max_num_f32_e32 v2, v2, v2
	s_lshl_b32 s19, s17, 2
	v_mov_b32_e32 v11, 0
	s_wait_dscnt 0x0
	v_max_num_f32_e32 v1, v1, v1
	s_delay_alu instid0(VALU_DEP_1) | instskip(SKIP_3) | instid1(VALU_DEP_1)
	v_max_num_f32_e32 v1, v2, v1
	ds_bpermute_b32 v2, v5, v1
	s_wait_dscnt 0x0
	v_max_num_f32_e32 v2, v2, v2
	v_max_num_f32_e32 v1, v1, v2
	ds_bpermute_b32 v12, v11, v1
	s_and_saveexec_b32 s20, vcc_lo
	s_cbranch_execz .LBB135_13
; %bb.10:
	s_load_b32 s21, s[8:9], 0xc
	s_lshl_b64 s[22:23], s[12:13], 2
	s_lshl_b64 s[24:25], s[10:11], 2
	v_mov_b32_e32 v11, 0
	s_add_nc_u64 s[22:23], s[22:23], s[24:25]
	v_mov_b32_e32 v13, v0
	s_wait_kmcnt 0x0
	s_add_nc_u64 s[2:3], s[2:3], s[22:23]
	s_wait_alu 0xfffe
	v_add_co_u32 v1, s2, s2, v3
	s_wait_alu 0xf1ff
	v_add_co_ci_u32_e64 v2, null, s3, 0, s2
	v_add_nc_u32_e32 v3, 32, v3
	s_mov_b32 s3, 0
	s_and_b32 s11, s21, 0xffff
	s_delay_alu instid0(SALU_CYCLE_1)
	s_lshl_b32 s13, s11, 2
.LBB135_11:                             ; =>This Inner Loop Header: Depth=1
	global_load_b32 v14, v[1:2], off
	ds_load_b32 v15, v3
	v_add_nc_u32_e32 v13, s11, v13
	s_wait_dscnt 0x0
	v_sub_f32_e32 v15, v15, v12
	s_delay_alu instid0(VALU_DEP_1) | instskip(NEXT) | instid1(VALU_DEP_1)
	v_mul_f32_e32 v16, 0x3fb8aa3b, v15
	v_fma_f32 v17, 0x3fb8aa3b, v15, -v16
	v_rndne_f32_e32 v18, v16
	s_delay_alu instid0(VALU_DEP_1) | instskip(SKIP_1) | instid1(VALU_DEP_4)
	v_sub_f32_e32 v16, v16, v18
	v_cmp_ngt_f32_e32 vcc_lo, 0xc2ce8ed0, v15
	v_fmac_f32_e32 v17, 0x32a5705f, v15
	v_cmp_nlt_f32_e64 s2, 0x42b17218, v15
	s_delay_alu instid0(VALU_DEP_2) | instskip(SKIP_1) | instid1(VALU_DEP_2)
	v_add_f32_e32 v16, v16, v17
	v_cvt_i32_f32_e32 v17, v18
	v_exp_f32_e32 v16, v16
	s_delay_alu instid0(TRANS32_DEP_1) | instskip(SKIP_2) | instid1(VALU_DEP_2)
	v_ldexp_f32 v16, v16, v17
	v_add_nc_u32_e32 v17, s19, v3
	s_wait_alu 0xfffd
	v_dual_cndmask_b32 v16, 0, v16 :: v_dual_add_nc_u32 v3, s13, v3
	v_add_co_u32 v1, vcc_lo, v1, s13
	s_wait_alu 0xfffd
	v_add_co_ci_u32_e64 v2, null, 0, v2, vcc_lo
	s_wait_alu 0xf1ff
	v_cndmask_b32_e64 v15, 0x7f800000, v16, s2
	v_cmp_le_i32_e32 vcc_lo, s17, v13
	s_wait_alu 0xfffe
	s_or_b32 s3, vcc_lo, s3
	s_wait_loadcnt 0x0
	v_mul_f32_e32 v16, v14, v15
	v_fmac_f32_e32 v11, v14, v15
	ds_store_b32 v17, v16
	s_wait_alu 0xfffe
	s_and_not1_b32 exec_lo, exec_lo, s3
	s_cbranch_execnz .LBB135_11
; %bb.12:
	s_or_b32 exec_lo, exec_lo, s3
.LBB135_13:
	s_wait_alu 0xfffe
	s_or_b32 exec_lo, exec_lo, s20
	ds_bpermute_b32 v1, v6, v11
	s_wait_loadcnt_dscnt 0x0
	s_barrier_signal -1
	s_barrier_wait -1
	global_inv scope:SCOPE_SE
	v_add_f32_e32 v1, v11, v1
	ds_bpermute_b32 v2, v7, v1
	s_wait_dscnt 0x0
	v_add_f32_e32 v1, v1, v2
	ds_bpermute_b32 v2, v8, v1
	s_wait_dscnt 0x0
	;; [unrolled: 3-line block ×4, first 2 shown]
	v_add_f32_e32 v1, v1, v2
	s_wait_kmcnt 0x0
	s_and_saveexec_b32 s2, s0
; %bb.14:
	ds_store_b32 v9, v1 offset:16
; %bb.15:
	s_wait_alu 0xfffe
	s_or_b32 exec_lo, exec_lo, s2
	s_wait_loadcnt_dscnt 0x0
	s_barrier_signal -1
	s_barrier_wait -1
	global_inv scope:SCOPE_SE
	s_and_saveexec_b32 s0, s1
; %bb.16:
	ds_load_b32 v1, v10 offset:16
; %bb.17:
	s_wait_alu 0xfffe
	s_or_b32 exec_lo, exec_lo, s0
	s_wait_dscnt 0x0
	ds_bpermute_b32 v2, v4, v1
	s_mov_b32 s0, exec_lo
	s_wait_dscnt 0x0
	v_add_f32_e32 v1, v1, v2
	ds_bpermute_b32 v2, v5, v1
	s_wait_dscnt 0x0
	v_dual_add_f32 v1, v1, v2 :: v_dual_mov_b32 v2, 0
	ds_bpermute_b32 v2, v2, v1
	v_cmpx_gt_u32_e32 0x70, v0
	s_cbranch_execz .LBB135_25
; %bb.18:
	s_cmp_gt_i32 s18, 0
	s_mov_b32 s1, 0
	s_cbranch_scc1 .LBB135_20
; %bb.19:
	v_mov_b32_e32 v1, 0
	v_mov_b32_e32 v3, 0
	s_wait_alu 0xfffe
	s_and_not1_b32 vcc_lo, exec_lo, s1
	s_wait_alu 0xfffe
	s_cbranch_vccz .LBB135_21
	s_branch .LBB135_24
.LBB135_20:
	v_mov_b32_e32 v3, 0
.LBB135_21:
	s_wait_dscnt 0x0
	v_add_f32_e32 v4, 0x358637bd, v2
	s_mul_i32 s2, s12, 0x70
	s_mulk_i32 s10, 0x70
	s_wait_alu 0xfffe
	s_ashr_i32 s3, s2, 31
	s_ashr_i32 s11, s10, 31
	v_div_scale_f32 v2, null, v4, v4, 1.0
	s_wait_alu 0xfffe
	s_lshl_b64 s[2:3], s[2:3], 1
	s_lshl_b64 s[10:11], s[10:11], 1
	s_wait_alu 0xfffe
	s_add_nc_u64 s[2:3], s[2:3], s[10:11]
	v_rcp_f32_e32 v3, v2
	s_wait_alu 0xfffe
	s_add_nc_u64 s[2:3], s[4:5], s[2:3]
	s_delay_alu instid0(TRANS32_DEP_1) | instskip(NEXT) | instid1(VALU_DEP_1)
	v_fma_f32 v1, -v2, v3, 1.0
	v_fmac_f32_e32 v3, v1, v3
	v_div_scale_f32 v5, vcc_lo, 1.0, v4, 1.0
	s_delay_alu instid0(VALU_DEP_1) | instskip(NEXT) | instid1(VALU_DEP_1)
	v_mul_f32_e32 v6, v5, v3
	v_fma_f32 v1, -v2, v6, v5
	s_delay_alu instid0(VALU_DEP_1) | instskip(NEXT) | instid1(VALU_DEP_1)
	v_dual_fmac_f32 v6, v1, v3 :: v_dual_mov_b32 v1, 0
	v_fma_f32 v2, -v2, v6, v5
	v_lshlrev_b32_e32 v5, 1, v0
	s_wait_alu 0xfffd
	s_delay_alu instid0(VALU_DEP_2) | instskip(SKIP_1) | instid1(VALU_DEP_2)
	v_div_fmas_f32 v6, v2, v3, v6
	s_wait_alu 0xfffe
	v_add_co_u32 v2, s1, s2, v5
	s_wait_alu 0xf1ff
	v_add_co_ci_u32_e64 v3, null, s3, 0, s1
	v_div_fixup_f32 v4, v6, v4, 1.0
	v_mov_b32_e32 v5, v1
	s_max_i32 s1, s17, 1
	s_add_co_i32 s2, s19, 32
.LBB135_22:                             ; =>This Inner Loop Header: Depth=1
	global_load_u16 v6, v[2:3], off
	s_wait_alu 0xfffe
	v_mov_b32_e32 v7, s2
	v_add_co_u32 v2, vcc_lo, 0xe0, v2
	s_wait_alu 0xfffd
	v_add_co_ci_u32_e64 v3, null, 0, v3, vcc_lo
	s_add_co_i32 s1, s1, -1
	s_add_co_i32 s2, s2, 4
	s_wait_alu 0xfffe
	s_cmp_eq_u32 s1, 0
	s_wait_loadcnt 0x0
	v_lshlrev_b32_e32 v6, 16, v6
	ds_load_b32 v7, v7
	s_wait_dscnt 0x0
	v_mul_f32_e32 v6, v7, v6
	s_delay_alu instid0(VALU_DEP_1)
	v_fmac_f32_e32 v5, v4, v6
	s_cbranch_scc0 .LBB135_22
; %bb.23:
	s_delay_alu instid0(VALU_DEP_1) | instskip(SKIP_2) | instid1(VALU_DEP_3)
	v_bfe_u32 v2, v5, 16, 1
	v_or_b32_e32 v3, 0x400000, v5
	v_cmp_u_f32_e32 vcc_lo, v5, v5
	v_add3_u32 v2, v2, v5, 0x7fff
	s_wait_alu 0xfffd
	s_delay_alu instid0(VALU_DEP_1) | instskip(NEXT) | instid1(VALU_DEP_1)
	v_cndmask_b32_e32 v2, v2, v3, vcc_lo
	v_lshrrev_b32_e32 v3, 16, v2
.LBB135_24:
	s_mul_i32 s2, s16, 0x70
	s_mul_i32 s10, ttmp9, 0x70
	s_wait_alu 0xfffe
	s_ashr_i32 s3, s2, 31
	s_ashr_i32 s11, s10, 31
	s_wait_alu 0xfffe
	s_lshl_b64 s[2:3], s[2:3], 1
	s_wait_dscnt 0x0
	v_lshlrev_b64_e32 v[1:2], 1, v[0:1]
	s_lshl_b64 s[10:11], s[10:11], 1
	s_wait_alu 0xfffe
	s_add_nc_u64 s[2:3], s[6:7], s[2:3]
	s_wait_alu 0xfffe
	s_add_nc_u64 s[2:3], s[2:3], s[10:11]
	s_wait_alu 0xfffe
	v_add_co_u32 v1, vcc_lo, s2, v1
	s_wait_alu 0xfffd
	v_add_co_ci_u32_e64 v2, null, s3, v2, vcc_lo
	global_store_b16 v[1:2], v3, off
.LBB135_25:
	s_wait_alu 0xfffe
	s_or_b32 exec_lo, exec_lo, s0
	s_mov_b32 s2, 0
.LBB135_26:
	s_wait_alu 0xfffe
	s_and_b32 vcc_lo, exec_lo, s2
	s_wait_alu 0xfffe
	s_cbranch_vccz .LBB135_35
; %bb.27:
	s_mov_b32 s0, exec_lo
	v_cmpx_gt_u32_e32 0x70, v0
	s_cbranch_execz .LBB135_35
; %bb.28:
	s_load_b32 s0, s[8:9], 0xc
	s_mul_i32 s1, s15, ttmp7
	s_mul_i32 s8, ttmp9, 0x70
	s_wait_alu 0xfffe
	s_mul_i32 s12, s1, 0x70
	s_mul_i32 s2, s8, s14
	s_wait_alu 0xfffe
	s_mul_i32 s10, s12, s14
	v_cmp_gt_u32_e32 vcc_lo, 0x6d, v0
	s_ashr_i32 s9, s8, 31
	s_ashr_i32 s13, s12, 31
	;; [unrolled: 1-line block ×3, first 2 shown]
	s_wait_alu 0xfffe
	s_ashr_i32 s11, s10, 31
	s_wait_kmcnt 0x0
	s_and_b32 s1, s0, 0xffff
	s_wait_alu 0xfffe
	s_cmp_eq_u32 s1, 1
	s_cselect_b32 s0, -1, 0
	s_wait_alu 0xfffe
	s_and_b32 s15, vcc_lo, s0
	s_mov_b32 s0, -1
	s_and_saveexec_b32 s14, s15
	s_cbranch_execz .LBB135_32
; %bb.29:
	s_lshl_b64 s[16:17], s[10:11], 1
	s_lshl_b64 s[18:19], s[2:3], 1
	v_lshlrev_b32_e32 v1, 1, v0
	s_wait_alu 0xfffe
	s_add_nc_u64 s[16:17], s[16:17], s[18:19]
	s_lshl_b64 s[18:19], s[12:13], 1
	s_lshl_b64 s[20:21], s[8:9], 1
	s_wait_alu 0xfffe
	s_add_nc_u64 s[16:17], s[4:5], s[16:17]
	s_add_nc_u64 s[18:19], s[18:19], s[20:21]
	s_wait_dscnt 0x0
	s_wait_alu 0xfffe
	v_add_co_u32 v2, s0, s16, v1
	v_sub_nc_u32_e32 v5, 0x70, v0
	s_wait_alu 0xf1ff
	v_add_co_ci_u32_e64 v3, null, s17, 0, s0
	s_add_nc_u64 s[16:17], s[6:7], s[18:19]
	s_mov_b32 s15, 0
	s_wait_alu 0xfffe
	v_add_co_u32 v4, s0, s16, v1
	v_and_b32_e32 v6, 0x7c, v5
	s_wait_alu 0xf1ff
	v_add_co_ci_u32_e64 v7, null, s17, 0, s0
	v_add_co_u32 v1, vcc_lo, v2, 4
	s_wait_alu 0xfffd
	v_add_co_ci_u32_e64 v2, null, 0, v3, vcc_lo
	v_add_co_u32 v3, vcc_lo, v4, 4
	s_wait_alu 0xfffd
	v_add_co_ci_u32_e64 v4, null, 0, v7, vcc_lo
	v_mov_b32_e32 v7, v6
.LBB135_30:                             ; =>This Inner Loop Header: Depth=1
	global_load_b64 v[8:9], v[1:2], off offset:-4
	v_add_nc_u32_e32 v7, -4, v7
	v_add_co_u32 v1, vcc_lo, v1, 8
	s_wait_alu 0xfffd
	v_add_co_ci_u32_e64 v2, null, 0, v2, vcc_lo
	s_delay_alu instid0(VALU_DEP_3)
	v_cmp_eq_u32_e32 vcc_lo, 0, v7
	s_or_b32 s15, vcc_lo, s15
	s_wait_loadcnt 0x0
	global_store_b64 v[3:4], v[8:9], off offset:-4
	v_add_co_u32 v3, s0, v3, 8
	s_wait_alu 0xf1ff
	v_add_co_ci_u32_e64 v4, null, 0, v4, s0
	s_and_not1_b32 exec_lo, exec_lo, s15
	s_cbranch_execnz .LBB135_30
; %bb.31:
	s_or_b32 exec_lo, exec_lo, s15
	v_cmp_ne_u32_e32 vcc_lo, v5, v6
	v_add_nc_u32_e32 v0, v0, v6
	s_or_not1_b32 s0, vcc_lo, exec_lo
.LBB135_32:
	s_or_b32 exec_lo, exec_lo, s14
	s_wait_alu 0xfffe
	s_and_b32 exec_lo, exec_lo, s0
	s_cbranch_execz .LBB135_35
; %bb.33:
	s_lshl_b64 s[12:13], s[12:13], 1
	s_lshl_b64 s[10:11], s[10:11], 1
	s_wait_dscnt 0x0
	v_dual_mov_b32 v2, 0 :: v_dual_lshlrev_b32 v1, 1, v0
	s_lshl_b64 s[8:9], s[8:9], 1
	s_wait_alu 0xfffe
	s_add_nc_u64 s[6:7], s[6:7], s[12:13]
	s_add_nc_u64 s[4:5], s[4:5], s[10:11]
	s_lshl_b64 s[2:3], s[2:3], 1
	s_add_nc_u64 s[6:7], s[6:7], s[8:9]
	s_wait_alu 0xfffe
	s_add_nc_u64 s[2:3], s[4:5], s[2:3]
	s_mov_b32 s4, 0
	s_lshl_b32 s5, s1, 1
.LBB135_34:                             ; =>This Inner Loop Header: Depth=1
	s_wait_alu 0xfffe
	v_add_co_u32 v3, vcc_lo, s2, v1
	s_wait_alu 0xfffd
	v_add_co_ci_u32_e64 v4, null, s3, v2, vcc_lo
	v_add_nc_u32_e32 v0, s1, v0
	global_load_u16 v5, v[3:4], off
	v_add_co_u32 v3, vcc_lo, s6, v1
	s_wait_alu 0xfffd
	v_add_co_ci_u32_e64 v4, null, s7, v2, vcc_lo
	v_cmp_lt_u32_e32 vcc_lo, 0x6f, v0
	v_add_co_u32 v1, s0, v1, s5
	s_wait_alu 0xf1ff
	v_add_co_ci_u32_e64 v2, null, 0, v2, s0
	s_or_b32 s4, vcc_lo, s4
	s_wait_loadcnt 0x0
	global_store_b16 v[3:4], v5, off
	s_wait_alu 0xfffe
	s_and_not1_b32 exec_lo, exec_lo, s4
	s_cbranch_execnz .LBB135_34
.LBB135_35:
	s_endpgm
	.section	.rodata,"a",@progbits
	.p2align	6, 0x0
	.amdhsa_kernel _ZN4vllm32paged_attention_v2_reduce_kernelI14__hip_bfloat16Li112ELi128ELi512EEEvPT_PKfS5_PKS2_PKii
		.amdhsa_group_segment_fixed_size 32
		.amdhsa_private_segment_fixed_size 0
		.amdhsa_kernarg_size 304
		.amdhsa_user_sgpr_count 2
		.amdhsa_user_sgpr_dispatch_ptr 0
		.amdhsa_user_sgpr_queue_ptr 0
		.amdhsa_user_sgpr_kernarg_segment_ptr 1
		.amdhsa_user_sgpr_dispatch_id 0
		.amdhsa_user_sgpr_private_segment_size 0
		.amdhsa_wavefront_size32 1
		.amdhsa_uses_dynamic_stack 0
		.amdhsa_enable_private_segment 0
		.amdhsa_system_sgpr_workgroup_id_x 1
		.amdhsa_system_sgpr_workgroup_id_y 1
		.amdhsa_system_sgpr_workgroup_id_z 0
		.amdhsa_system_sgpr_workgroup_info 0
		.amdhsa_system_vgpr_workitem_id 0
		.amdhsa_next_free_vgpr 19
		.amdhsa_next_free_sgpr 26
		.amdhsa_reserve_vcc 1
		.amdhsa_float_round_mode_32 0
		.amdhsa_float_round_mode_16_64 0
		.amdhsa_float_denorm_mode_32 3
		.amdhsa_float_denorm_mode_16_64 3
		.amdhsa_fp16_overflow 0
		.amdhsa_workgroup_processor_mode 1
		.amdhsa_memory_ordered 1
		.amdhsa_forward_progress 1
		.amdhsa_inst_pref_size 20
		.amdhsa_round_robin_scheduling 0
		.amdhsa_exception_fp_ieee_invalid_op 0
		.amdhsa_exception_fp_denorm_src 0
		.amdhsa_exception_fp_ieee_div_zero 0
		.amdhsa_exception_fp_ieee_overflow 0
		.amdhsa_exception_fp_ieee_underflow 0
		.amdhsa_exception_fp_ieee_inexact 0
		.amdhsa_exception_int_div_zero 0
	.end_amdhsa_kernel
	.section	.text._ZN4vllm32paged_attention_v2_reduce_kernelI14__hip_bfloat16Li112ELi128ELi512EEEvPT_PKfS5_PKS2_PKii,"axG",@progbits,_ZN4vllm32paged_attention_v2_reduce_kernelI14__hip_bfloat16Li112ELi128ELi512EEEvPT_PKfS5_PKS2_PKii,comdat
.Lfunc_end135:
	.size	_ZN4vllm32paged_attention_v2_reduce_kernelI14__hip_bfloat16Li112ELi128ELi512EEEvPT_PKfS5_PKS2_PKii, .Lfunc_end135-_ZN4vllm32paged_attention_v2_reduce_kernelI14__hip_bfloat16Li112ELi128ELi512EEEvPT_PKfS5_PKS2_PKii
                                        ; -- End function
	.set _ZN4vllm32paged_attention_v2_reduce_kernelI14__hip_bfloat16Li112ELi128ELi512EEEvPT_PKfS5_PKS2_PKii.num_vgpr, 19
	.set _ZN4vllm32paged_attention_v2_reduce_kernelI14__hip_bfloat16Li112ELi128ELi512EEEvPT_PKfS5_PKS2_PKii.num_agpr, 0
	.set _ZN4vllm32paged_attention_v2_reduce_kernelI14__hip_bfloat16Li112ELi128ELi512EEEvPT_PKfS5_PKS2_PKii.numbered_sgpr, 26
	.set _ZN4vllm32paged_attention_v2_reduce_kernelI14__hip_bfloat16Li112ELi128ELi512EEEvPT_PKfS5_PKS2_PKii.num_named_barrier, 0
	.set _ZN4vllm32paged_attention_v2_reduce_kernelI14__hip_bfloat16Li112ELi128ELi512EEEvPT_PKfS5_PKS2_PKii.private_seg_size, 0
	.set _ZN4vllm32paged_attention_v2_reduce_kernelI14__hip_bfloat16Li112ELi128ELi512EEEvPT_PKfS5_PKS2_PKii.uses_vcc, 1
	.set _ZN4vllm32paged_attention_v2_reduce_kernelI14__hip_bfloat16Li112ELi128ELi512EEEvPT_PKfS5_PKS2_PKii.uses_flat_scratch, 0
	.set _ZN4vllm32paged_attention_v2_reduce_kernelI14__hip_bfloat16Li112ELi128ELi512EEEvPT_PKfS5_PKS2_PKii.has_dyn_sized_stack, 0
	.set _ZN4vllm32paged_attention_v2_reduce_kernelI14__hip_bfloat16Li112ELi128ELi512EEEvPT_PKfS5_PKS2_PKii.has_recursion, 0
	.set _ZN4vllm32paged_attention_v2_reduce_kernelI14__hip_bfloat16Li112ELi128ELi512EEEvPT_PKfS5_PKS2_PKii.has_indirect_call, 0
	.section	.AMDGPU.csdata,"",@progbits
; Kernel info:
; codeLenInByte = 2532
; TotalNumSgprs: 28
; NumVgprs: 19
; ScratchSize: 0
; MemoryBound: 0
; FloatMode: 240
; IeeeMode: 1
; LDSByteSize: 32 bytes/workgroup (compile time only)
; SGPRBlocks: 0
; VGPRBlocks: 2
; NumSGPRsForWavesPerEU: 28
; NumVGPRsForWavesPerEU: 19
; Occupancy: 16
; WaveLimiterHint : 0
; COMPUTE_PGM_RSRC2:SCRATCH_EN: 0
; COMPUTE_PGM_RSRC2:USER_SGPR: 2
; COMPUTE_PGM_RSRC2:TRAP_HANDLER: 0
; COMPUTE_PGM_RSRC2:TGID_X_EN: 1
; COMPUTE_PGM_RSRC2:TGID_Y_EN: 1
; COMPUTE_PGM_RSRC2:TGID_Z_EN: 0
; COMPUTE_PGM_RSRC2:TIDIG_COMP_CNT: 0
	.section	.text._ZN4vllm25paged_attention_v2_kernelI14__hip_bfloat16S1_Li120ELi8ELi128ELNS_18Fp8KVCacheDataTypeE0ELb1ELi512EEEvPfS3_PT_PKS4_PKT0_SA_ifPKiSC_iPKfiiiSE_SE_iiiii,"axG",@progbits,_ZN4vllm25paged_attention_v2_kernelI14__hip_bfloat16S1_Li120ELi8ELi128ELNS_18Fp8KVCacheDataTypeE0ELb1ELi512EEEvPfS3_PT_PKS4_PKT0_SA_ifPKiSC_iPKfiiiSE_SE_iiiii,comdat
	.protected	_ZN4vllm25paged_attention_v2_kernelI14__hip_bfloat16S1_Li120ELi8ELi128ELNS_18Fp8KVCacheDataTypeE0ELb1ELi512EEEvPfS3_PT_PKS4_PKT0_SA_ifPKiSC_iPKfiiiSE_SE_iiiii ; -- Begin function _ZN4vllm25paged_attention_v2_kernelI14__hip_bfloat16S1_Li120ELi8ELi128ELNS_18Fp8KVCacheDataTypeE0ELb1ELi512EEEvPfS3_PT_PKS4_PKT0_SA_ifPKiSC_iPKfiiiSE_SE_iiiii
	.globl	_ZN4vllm25paged_attention_v2_kernelI14__hip_bfloat16S1_Li120ELi8ELi128ELNS_18Fp8KVCacheDataTypeE0ELb1ELi512EEEvPfS3_PT_PKS4_PKT0_SA_ifPKiSC_iPKfiiiSE_SE_iiiii
	.p2align	8
	.type	_ZN4vllm25paged_attention_v2_kernelI14__hip_bfloat16S1_Li120ELi8ELi128ELNS_18Fp8KVCacheDataTypeE0ELb1ELi512EEEvPfS3_PT_PKS4_PKT0_SA_ifPKiSC_iPKfiiiSE_SE_iiiii,@function
_ZN4vllm25paged_attention_v2_kernelI14__hip_bfloat16S1_Li120ELi8ELi128ELNS_18Fp8KVCacheDataTypeE0ELb1ELi512EEEvPfS3_PT_PKS4_PKT0_SA_ifPKiSC_iPKfiiiSE_SE_iiiii: ; @_ZN4vllm25paged_attention_v2_kernelI14__hip_bfloat16S1_Li120ELi8ELi128ELNS_18Fp8KVCacheDataTypeE0ELb1ELi512EEEvPfS3_PT_PKS4_PKT0_SA_ifPKiSC_iPKfiiiSE_SE_iiiii
; %bb.0:
	s_load_b64 s[2:3], s[0:1], 0x40
	s_and_b32 s22, ttmp7, 0xffff
	s_lshr_b32 s33, ttmp7, 16
	s_lshl_b32 s4, s22, 2
	s_lshl_b32 s24, s33, 9
	s_wait_kmcnt 0x0
	s_load_b32 s38, s[2:3], s4 offset:0x0
	s_wait_kmcnt 0x0
	s_cmp_ge_i32 s24, s38
	s_cbranch_scc1 .LBB136_71
; %bb.1:
	s_clause 0x1
	s_load_b32 s23, s[0:1], 0x90
	s_load_b64 s[6:7], s[0:1], 0x30
	s_wait_kmcnt 0x0
	s_abs_i32 s5, s23
	s_abs_i32 s2, s6
	s_delay_alu instid0(SALU_CYCLE_1) | instskip(SKIP_1) | instid1(SALU_CYCLE_2)
	s_cvt_f32_u32 s3, s2
	s_sub_co_i32 s4, 0, s2
	v_rcp_iflag_f32_e32 v1, s3
	s_delay_alu instid0(TRANS32_DEP_1) | instskip(SKIP_2) | instid1(SALU_CYCLE_2)
	v_readfirstlane_b32 s3, v1
	s_mul_f32 s3, s3, 0x4f7ffffe
	s_wait_alu 0xfffe
	s_cvt_u32_f32 s3, s3
	s_wait_alu 0xfffe
	s_delay_alu instid0(SALU_CYCLE_2) | instskip(NEXT) | instid1(SALU_CYCLE_1)
	s_mul_i32 s4, s4, s3
	s_mul_hi_u32 s4, s3, s4
	s_delay_alu instid0(SALU_CYCLE_1)
	s_add_co_i32 s3, s3, s4
	s_xor_b32 s4, s23, s6
	s_wait_alu 0xfffe
	s_mul_hi_u32 s3, s5, s3
	s_ashr_i32 s4, s4, 31
	s_wait_alu 0xfffe
	s_mul_i32 s8, s3, s2
	s_delay_alu instid0(SALU_CYCLE_1)
	s_sub_co_i32 s5, s5, s8
	s_add_co_i32 s8, s3, 1
	s_sub_co_i32 s9, s5, s2
	s_cmp_ge_u32 s5, s2
	s_cselect_b32 s3, s8, s3
	s_cselect_b32 s5, s9, s5
	s_wait_alu 0xfffe
	s_add_co_i32 s8, s3, 1
	s_cmp_ge_u32 s5, s2
	s_cselect_b32 s2, s8, s3
	s_load_b64 s[8:9], s[0:1], 0x50
	s_xor_b32 s2, s2, s4
	s_mov_b32 s3, 0
	s_wait_alu 0xfffe
	s_sub_co_i32 s10, s2, s4
	s_mov_b32 s20, s3
	s_abs_i32 s15, s10
	s_delay_alu instid0(SALU_CYCLE_1) | instskip(SKIP_1) | instid1(SALU_CYCLE_2)
	s_cvt_f32_u32 s2, s15
	s_wait_alu 0xfffe
	v_rcp_iflag_f32_e32 v1, s2
	s_delay_alu instid0(TRANS32_DEP_1) | instskip(SKIP_2) | instid1(SALU_CYCLE_2)
	v_readfirstlane_b32 s2, v1
	s_mul_f32 s2, s2, 0x4f7ffffe
	s_wait_alu 0xfffe
	s_cvt_u32_f32 s4, s2
	s_sub_co_i32 s2, 0, s15
	s_wait_alu 0xfffe
	s_delay_alu instid0(SALU_CYCLE_1)
	s_mul_i32 s2, s2, s4
	s_wait_alu 0xfffe
	s_mul_hi_u32 s5, s4, s2
	s_abs_i32 s2, ttmp9
	s_add_co_i32 s4, s4, s5
	s_mov_b32 s5, s3
	s_wait_kmcnt 0x0
	s_cmp_eq_u64 s[8:9], 0
	s_cbranch_scc1 .LBB136_3
; %bb.2:
	s_mov_b32 s12, ttmp9
	s_ashr_i32 s13, ttmp9, 31
	s_delay_alu instid0(SALU_CYCLE_1) | instskip(NEXT) | instid1(SALU_CYCLE_1)
	s_lshl_b64 s[12:13], s[12:13], 2
	s_add_nc_u64 s[8:9], s[8:9], s[12:13]
	s_load_b32 s20, s[8:9], 0x0
.LBB136_3:
	s_load_b96 s[12:14], s[0:1], 0x58
	v_and_b32_e32 v1, 3, v0
	v_lshlrev_b32_e32 v2, 2, v0
	s_mul_u64 s[4:5], s[2:3], s[4:5]
	s_ashr_i32 s3, ttmp9, 31
	s_ashr_i32 s4, s10, 31
	s_mul_i32 s26, ttmp9, 0x78
	s_mov_b32 s8, exec_lo
	v_cmpx_gt_u32_e32 60, v0
	s_cbranch_execz .LBB136_5
; %bb.4:
	s_load_b64 s[10:11], s[0:1], 0x18
	s_wait_kmcnt 0x0
	s_mul_i32 s16, s12, s22
	s_ashr_i32 s27, s26, 31
	s_ashr_i32 s17, s16, 31
	v_and_b32_e32 v4, 0x3fc, v0
	s_lshl_b64 s[16:17], s[16:17], 1
	s_delay_alu instid0(VALU_DEP_1) | instskip(SKIP_2) | instid1(SALU_CYCLE_1)
	v_mad_u32_u24 v4, v1, 60, v4
	s_add_nc_u64 s[10:11], s[10:11], s[16:17]
	s_lshl_b64 s[16:17], s[26:27], 1
	s_add_nc_u64 s[10:11], s[10:11], s[16:17]
	global_load_b32 v3, v2, s[10:11]
	s_wait_loadcnt 0x0
	ds_store_b32 v4, v3
.LBB136_5:
	s_or_b32 exec_lo, exec_lo, s8
	s_load_b128 s[8:11], s[0:1], 0x78
	s_wait_kmcnt 0x0
	s_mul_i32 s12, s5, s15
	s_xor_b32 s3, s3, s4
	s_sub_co_i32 s2, s2, s12
	s_add_co_i32 s4, s5, 1
	s_wait_alu 0xfffe
	s_sub_co_i32 s12, s2, s15
	s_cmp_ge_u32 s2, s15
	s_mov_b32 s17, -1
	s_cselect_b32 s4, s4, s5
	s_cselect_b32 s2, s12, s2
	s_add_co_i32 s5, s4, 1
	s_wait_alu 0xfffe
	s_cmp_ge_u32 s2, s15
	s_load_b32 s15, s[0:1], 0x88
	s_cselect_b32 s2, s5, s4
	s_add_co_i32 s16, s38, -1
	s_wait_alu 0xfffe
	s_xor_b32 s2, s2, s3
	s_wait_dscnt 0x0
	s_wait_alu 0xfffe
	s_sub_co_i32 s12, s2, s3
	s_barrier_signal -1
	s_barrier_wait -1
	s_abs_i32 s39, s11
	global_inv scope:SCOPE_SE
	s_cvt_f32_u32 s4, s39
                                        ; implicit-def: $sgpr40
	s_delay_alu instid0(SALU_CYCLE_3) | instskip(NEXT) | instid1(TRANS32_DEP_1)
	v_rcp_iflag_f32_e32 v3, s4
	v_readfirstlane_b32 s4, v3
	s_mul_f32 s2, s4, 0x4f7ffffe
	s_wait_alu 0xfffe
	s_delay_alu instid0(SALU_CYCLE_2) | instskip(SKIP_2) | instid1(SALU_CYCLE_1)
	s_cvt_u32_f32 s4, s2
	s_sub_co_i32 s2, 0, s39
	s_wait_alu 0xfffe
	s_mul_i32 s3, s2, s4
	s_abs_i32 s2, s16
	s_wait_alu 0xfffe
	s_mul_hi_u32 s5, s4, s3
	s_mov_b32 s3, 0
	s_wait_alu 0xfffe
	s_add_co_i32 s28, s4, s5
	s_wait_kmcnt 0x0
	s_cmp_lt_i32 s15, 0
	s_mov_b32 s29, s3
	s_cbranch_scc0 .LBB136_7
; %bb.6:
	s_mul_i32 s4, s8, s6
	s_mov_b32 s17, s3
	s_wait_alu 0xfffe
	s_add_co_i32 s4, s12, s4
	s_wait_alu 0xfffe
	s_mul_i32 s4, s4, s15
	s_wait_alu 0xfffe
	s_sub_co_i32 s40, 1, s4
.LBB136_7:
	s_mul_u64 s[4:5], s[2:3], s[28:29]
	s_ashr_i32 s3, s16, 31
	s_and_not1_b32 vcc_lo, exec_lo, s17
	s_ashr_i32 s29, s11, 31
	s_cbranch_vccnz .LBB136_9
; %bb.8:
	s_mul_i32 s4, s23, s8
	s_wait_alu 0xfffe
	s_add_co_i32 s4, s4, ttmp9
	s_wait_alu 0xfffe
	s_mul_i32 s4, s4, s15
	s_wait_alu 0xfffe
	s_add_co_i32 s40, s4, 1
.LBB136_9:
	s_clause 0x2
	s_load_b32 s4, s[0:1], 0x48
	s_load_b64 s[16:17], s[0:1], 0x38
	s_load_b32 s27, s[0:1], 0x98
	s_mul_i32 s6, s5, s39
	s_xor_b32 s3, s3, s29
	s_sub_co_i32 s2, s2, s6
	s_add_co_i32 s8, s5, 1
	v_lshrrev_b32_e32 v23, 5, v0
	v_mbcnt_lo_u32_b32 v4, -1, 0
	s_mul_i32 s14, s12, s14
	s_delay_alu instid0(VALU_DEP_2)
	v_lshl_add_u32 v24, v23, 3, s24
	s_wait_kmcnt 0x0
	s_mul_i32 s18, s4, s22
	s_wait_alu 0xfffe
	s_sub_co_i32 s4, s2, s39
	s_ashr_i32 s19, s18, 31
	s_cmp_ge_u32 s2, s39
	s_cselect_b32 s5, s8, s5
	s_wait_alu 0xfffe
	s_cselect_b32 s2, s4, s2
	s_add_co_i32 s4, s5, 1
	s_wait_alu 0xfffe
	s_cmp_ge_u32 s2, s39
	s_cselect_b32 s2, s4, s5
	s_add_co_i32 s4, s38, 7
	s_lshl_b32 s11, s33, 6
	s_wait_alu 0xfffe
	s_ashr_i32 s5, s4, 31
	v_or_b32_e32 v25, s11, v23
	s_wait_alu 0xfffe
	s_lshr_b32 s5, s5, 29
	v_mov_b32_e32 v6, 0xff7fffff
	s_wait_alu 0xfffe
	s_add_co_i32 s4, s4, s5
	s_add_co_i32 s5, s11, 64
	s_wait_alu 0xfffe
	s_ashr_i32 s45, s4, 3
	s_xor_b32 s4, s2, s3
	s_min_i32 s41, s5, s45
	v_lshlrev_b32_e32 v3, 2, v25
	v_cmp_gt_i32_e64 s2, s41, v25
	s_wait_alu 0xfffe
	s_sub_co_i32 s8, s4, s3
	s_and_saveexec_b32 s6, s2
	s_cbranch_execz .LBB136_21
; %bb.10:
	s_ashr_i32 s15, s14, 31
	s_sub_co_i32 s12, s8, s9
	s_lshl_b64 s[4:5], s[14:15], 1
	s_cmp_neq_f32 s20, 0
	s_load_b64 s[30:31], s[0:1], 0x20
	v_bfe_u32 v5, v0, 2, 3
	v_mul_u32_u24_e32 v7, 60, v1
	s_cselect_b32 vcc_lo, -1, 0
	s_abs_i32 s15, s10
	v_dual_mov_b32 v13, 0xff7fffff :: v_dual_and_b32 v2, 12, v2
	s_cvt_f32_u32 s3, s15
	v_lshlrev_b32_e32 v8, 2, v5
	s_lshl_b64 s[34:35], s[18:19], 2
	v_subrev_nc_u32_e32 v11, s38, v5
	s_wait_alu 0xfffe
	v_rcp_iflag_f32_e32 v6, s3
	v_cmp_eq_u32_e64 s3, 0, v1
	v_lshlrev_b32_e32 v1, 4, v5
	s_add_nc_u64 s[34:35], s[16:17], s[34:35]
	s_sub_co_i32 s36, 0, s15
	v_lshl_add_u32 v10, v23, 3, s24
	v_dual_mov_b32 v16, v25 :: v_dual_add_nc_u32 v11, 1, v11
	v_xor_b32_e32 v14, 2, v4
	s_wait_kmcnt 0x0
	s_add_nc_u64 s[4:5], s[30:31], s[4:5]
	v_readfirstlane_b32 s25, v6
	v_lshl_or_b32 v6, v23, 5, v8
	v_xor_b32_e32 v15, 1, v4
	s_mov_b32 s21, 0
	s_mul_f32 s25, s25, 0x4f7ffffe
	s_delay_alu instid0(VALU_DEP_2)
	v_add_nc_u32_e32 v12, 0x110, v6
	v_mov_b32_e32 v6, 0xff7fffff
	s_wait_alu 0xfffe
	v_add_co_u32 v1, s4, s4, v1
	s_wait_alu 0xf1ff
	v_add_co_ci_u32_e64 v9, null, s5, 0, s4
	s_cvt_u32_f32 s5, s25
	v_add_co_u32 v8, s4, v1, v2
	s_wait_alu 0xf1ff
	v_add_co_ci_u32_e64 v9, null, 0, v9, s4
	v_add_co_u32 v1, s4, s34, v3
	s_wait_alu 0xfffe
	s_mul_i32 s36, s36, s5
	v_add_co_ci_u32_e64 v2, null, s35, 0, s4
	s_mul_hi_u32 s4, s5, s36
	s_mov_b32 s25, s13
	s_wait_alu 0xfffe
	s_add_co_i32 s30, s5, s4
	s_branch .LBB136_13
.LBB136_11:                             ;   in Loop: Header=BB136_13 Depth=1
	s_wait_alu 0xfffe
	s_or_b32 exec_lo, exec_lo, s31
.LBB136_12:                             ;   in Loop: Header=BB136_13 Depth=1
	s_wait_alu 0xfffe
	s_or_b32 exec_lo, exec_lo, s5
	v_add_nc_u32_e32 v16, 4, v16
	v_add_co_u32 v1, s5, v1, 16
	s_wait_alu 0xf1ff
	v_add_co_ci_u32_e64 v2, null, 0, v2, s5
	s_delay_alu instid0(VALU_DEP_3)
	v_cmp_le_i32_e64 s4, s41, v16
	v_add_nc_u32_e32 v10, 32, v10
	v_add_nc_u32_e32 v12, 0x80, v12
	s_or_b32 s21, s4, s21
	s_wait_alu 0xfffe
	s_and_not1_b32 exec_lo, exec_lo, s21
	s_cbranch_execz .LBB136_20
.LBB136_13:                             ; =>This Inner Loop Header: Depth=1
	v_sub_nc_u32_e32 v17, 0, v10
	s_delay_alu instid0(VALU_DEP_1) | instskip(SKIP_1) | instid1(VALU_DEP_1)
	v_max_i32_e32 v17, v10, v17
	s_wait_dscnt 0x0
	v_mul_hi_u32 v18, v17, s28
	s_delay_alu instid0(VALU_DEP_1) | instskip(NEXT) | instid1(VALU_DEP_1)
	v_mul_lo_u32 v19, v18, s39
	v_sub_nc_u32_e32 v17, v17, v19
	v_add_nc_u32_e32 v19, 1, v18
	s_delay_alu instid0(VALU_DEP_2) | instskip(SKIP_2) | instid1(VALU_DEP_1)
	v_subrev_nc_u32_e32 v20, s39, v17
	v_cmp_le_u32_e64 s4, s39, v17
	s_wait_alu 0xf1ff
	v_cndmask_b32_e64 v18, v18, v19, s4
	s_delay_alu instid0(VALU_DEP_3) | instskip(SKIP_1) | instid1(VALU_DEP_3)
	v_cndmask_b32_e64 v17, v17, v20, s4
	v_ashrrev_i32_e32 v19, 31, v10
	v_add_nc_u32_e32 v20, 1, v18
	s_delay_alu instid0(VALU_DEP_3) | instskip(NEXT) | instid1(VALU_DEP_3)
	v_cmp_le_u32_e64 s4, s39, v17
	v_xor_b32_e32 v19, s29, v19
	s_wait_alu 0xf1ff
	s_delay_alu instid0(VALU_DEP_2) | instskip(NEXT) | instid1(VALU_DEP_1)
	v_cndmask_b32_e64 v17, v18, v20, s4
	v_xor_b32_e32 v17, v17, v19
	s_delay_alu instid0(VALU_DEP_1) | instskip(NEXT) | instid1(VALU_DEP_1)
	v_sub_nc_u32_e32 v17, v17, v19
	v_add_nc_u32_e32 v18, s40, v17
	v_cmp_ge_i32_e64 s5, s12, v17
	s_delay_alu instid0(VALU_DEP_2) | instskip(NEXT) | instid1(VALU_DEP_1)
	v_sub_nc_u32_e32 v19, 0, v18
	v_max_i32_e32 v19, v18, v19
	v_ashrrev_i32_e32 v18, 31, v18
	s_delay_alu instid0(VALU_DEP_2) | instskip(NEXT) | instid1(VALU_DEP_1)
	v_mul_hi_u32 v20, v19, s30
	v_mul_lo_u32 v20, v20, s15
	s_delay_alu instid0(VALU_DEP_1) | instskip(NEXT) | instid1(VALU_DEP_1)
	v_sub_nc_u32_e32 v19, v19, v20
	v_subrev_nc_u32_e32 v20, s15, v19
	v_cmp_le_u32_e64 s4, s15, v19
	s_wait_alu 0xf1ff
	s_delay_alu instid0(VALU_DEP_1) | instskip(NEXT) | instid1(VALU_DEP_1)
	v_cndmask_b32_e64 v19, v19, v20, s4
	v_subrev_nc_u32_e32 v20, s15, v19
	v_cmp_le_u32_e64 s4, s15, v19
	s_wait_alu 0xf1ff
	s_delay_alu instid0(VALU_DEP_1) | instskip(NEXT) | instid1(VALU_DEP_1)
	v_cndmask_b32_e64 v19, v19, v20, s4
	v_xor_b32_e32 v19, v19, v18
	s_delay_alu instid0(VALU_DEP_1) | instskip(NEXT) | instid1(VALU_DEP_1)
	v_sub_nc_u32_e32 v18, v19, v18
	v_cmp_ne_u32_e64 s4, 0, v18
	s_and_b32 s4, s4, s5
	s_wait_alu 0xfffe
	s_and_saveexec_b32 s5, s4
	s_wait_alu 0xfffe
	s_xor_b32 s4, exec_lo, s5
	s_cbranch_execz .LBB136_17
; %bb.14:                               ;   in Loop: Header=BB136_13 Depth=1
	s_and_saveexec_b32 s5, s3
; %bb.15:                               ;   in Loop: Header=BB136_13 Depth=1
	ds_store_b32 v12, v13
; %bb.16:                               ;   in Loop: Header=BB136_13 Depth=1
	s_wait_alu 0xfffe
	s_or_b32 exec_lo, exec_lo, s5
.LBB136_17:                             ;   in Loop: Header=BB136_13 Depth=1
	s_wait_alu 0xfffe
	s_and_not1_saveexec_b32 s5, s4
	s_cbranch_execz .LBB136_12
; %bb.18:                               ;   in Loop: Header=BB136_13 Depth=1
	global_load_b32 v17, v[1:2], off
	s_wait_loadcnt 0x0
	v_mad_co_i64_i32 v[17:18], null, v17, s25, 0
	s_delay_alu instid0(VALU_DEP_1) | instskip(NEXT) | instid1(VALU_DEP_1)
	v_lshlrev_b64_e32 v[17:18], 1, v[17:18]
	v_add_co_u32 v17, s4, v8, v17
	s_wait_alu 0xf1ff
	s_delay_alu instid0(VALU_DEP_2)
	v_add_co_ci_u32_e64 v18, null, v9, v18, s4
	v_cmp_gt_i32_e64 s4, 32, v14
	s_clause 0xe
	global_load_b32 v34, v[17:18], off offset:128
	global_load_b32 v35, v[17:18], off
	global_load_b32 v36, v[17:18], off offset:256
	global_load_b32 v37, v[17:18], off offset:384
	;; [unrolled: 1-line block ×13, first 2 shown]
	ds_load_2addr_b32 v[17:18], v7 offset1:1
	ds_load_2addr_b32 v[19:20], v7 offset0:2 offset1:3
	ds_load_2addr_b32 v[21:22], v7 offset0:4 offset1:5
	;; [unrolled: 1-line block ×6, first 2 shown]
	ds_load_b32 v49, v7 offset:56
	s_wait_loadcnt 0xe
	v_lshlrev_b32_e32 v65, 16, v34
	v_and_b32_e32 v34, 0xffff0000, v34
	s_wait_loadcnt 0xd
	v_lshlrev_b32_e32 v66, 16, v35
	v_and_b32_e32 v35, 0xffff0000, v35
	s_wait_dscnt 0x7
	v_lshlrev_b32_e32 v51, 16, v18
	v_and_b32_e32 v18, 0xffff0000, v18
	s_wait_dscnt 0x6
	v_lshlrev_b32_e32 v52, 16, v19
	v_lshlrev_b32_e32 v53, 16, v20
	s_delay_alu instid0(VALU_DEP_3)
	v_dual_mul_f32 v18, v18, v34 :: v_dual_and_b32 v19, 0xffff0000, v19
	s_wait_loadcnt 0xc
	v_lshlrev_b32_e32 v34, 16, v36
	v_lshlrev_b32_e32 v50, 16, v17
	v_and_b32_e32 v17, 0xffff0000, v17
	v_and_b32_e32 v36, 0xffff0000, v36
	s_delay_alu instid0(VALU_DEP_2)
	v_dual_fmac_f32 v18, v17, v35 :: v_dual_mul_f32 v51, v51, v65
	s_wait_dscnt 0x5
	v_lshlrev_b32_e32 v54, 16, v21
	v_lshlrev_b32_e32 v55, 16, v22
	v_and_b32_e32 v17, 0xffff0000, v20
	s_wait_loadcnt 0xb
	v_and_b32_e32 v35, 0xffff0000, v37
	v_dual_fmac_f32 v51, v50, v66 :: v_dual_fmac_f32 v18, v19, v36
	s_wait_dscnt 0x3
	v_lshlrev_b32_e32 v59, 16, v29
	v_and_b32_e32 v19, 0xffff0000, v21
	s_delay_alu instid0(VALU_DEP_3)
	v_dual_fmac_f32 v51, v52, v34 :: v_dual_lshlrev_b32 v20, 16, v37
	s_wait_loadcnt 0xa
	v_and_b32_e32 v34, 0xffff0000, v38
	v_fmac_f32_e32 v18, v17, v35
	v_lshlrev_b32_e32 v57, 16, v27
	v_and_b32_e32 v17, 0xffff0000, v22
	s_wait_loadcnt 0x9
	v_and_b32_e32 v22, 0xffff0000, v39
	v_dual_fmac_f32 v51, v53, v20 :: v_dual_lshlrev_b32 v56, 16, v26
	s_wait_dscnt 0x2
	v_dual_fmac_f32 v18, v19, v34 :: v_dual_lshlrev_b32 v61, 16, v31
	v_and_b32_e32 v19, 0xffff0000, v26
	s_wait_loadcnt 0x8
	v_and_b32_e32 v26, 0xffff0000, v40
	v_lshlrev_b32_e32 v21, 16, v38
	s_wait_dscnt 0x1
	v_dual_fmac_f32 v18, v17, v22 :: v_dual_lshlrev_b32 v63, 16, v33
	v_and_b32_e32 v17, 0xffff0000, v27
	s_wait_loadcnt 0x7
	v_and_b32_e32 v22, 0xffff0000, v41
	v_dual_fmac_f32 v51, v54, v21 :: v_dual_lshlrev_b32 v58, 16, v28
	v_dual_fmac_f32 v18, v19, v26 :: v_dual_and_b32 v19, 0xffff0000, v28
	s_wait_loadcnt 0x6
	v_and_b32_e32 v26, 0xffff0000, v42
	v_lshlrev_b32_e32 v20, 16, v39
	v_lshlrev_b32_e32 v60, 16, v30
	v_dual_fmac_f32 v18, v17, v22 :: v_dual_and_b32 v17, 0xffff0000, v29
	s_wait_loadcnt 0x5
	s_delay_alu instid0(VALU_DEP_3) | instskip(SKIP_1) | instid1(VALU_DEP_3)
	v_dual_fmac_f32 v51, v55, v20 :: v_dual_and_b32 v22, 0xffff0000, v43
	v_lshlrev_b32_e32 v20, 16, v41
	v_fmac_f32_e32 v18, v19, v26
	v_and_b32_e32 v19, 0xffff0000, v30
	s_wait_loadcnt 0x4
	v_and_b32_e32 v26, 0xffff0000, v44
	s_delay_alu instid0(VALU_DEP_3) | instskip(SKIP_2) | instid1(VALU_DEP_2)
	v_dual_fmac_f32 v18, v17, v22 :: v_dual_and_b32 v17, 0xffff0000, v31
	s_wait_loadcnt 0x3
	v_and_b32_e32 v22, 0xffff0000, v45
	v_dual_fmac_f32 v18, v19, v26 :: v_dual_and_b32 v19, 0xffff0000, v32
	s_wait_loadcnt 0x2
	v_and_b32_e32 v26, 0xffff0000, v46
	s_delay_alu instid0(VALU_DEP_2) | instskip(SKIP_3) | instid1(VALU_DEP_3)
	v_dual_fmac_f32 v18, v17, v22 :: v_dual_lshlrev_b32 v21, 16, v40
	v_and_b32_e32 v17, 0xffff0000, v33
	s_wait_loadcnt 0x1
	v_and_b32_e32 v22, 0xffff0000, v47
	v_fmac_f32_e32 v18, v19, v26
	v_dual_fmac_f32 v51, v56, v21 :: v_dual_lshlrev_b32 v62, 16, v32
	s_wait_dscnt 0x0
	v_lshlrev_b32_e32 v64, 16, v49
	v_lshlrev_b32_e32 v21, 16, v42
	v_and_b32_e32 v19, 0xffff0000, v49
	s_wait_loadcnt 0x0
	v_and_b32_e32 v26, 0xffff0000, v48
	v_dual_fmac_f32 v51, v57, v20 :: v_dual_lshlrev_b32 v20, 16, v43
	v_fmac_f32_e32 v18, v17, v22
	s_wait_alu 0xf1ff
	v_cndmask_b32_e64 v17, v4, v14, s4
	v_cmp_gt_i32_e64 s4, 32, v15
	v_fmac_f32_e32 v51, v58, v21
	v_dual_fmac_f32 v18, v19, v26 :: v_dual_lshlrev_b32 v21, 16, v44
	s_delay_alu instid0(VALU_DEP_4) | instskip(SKIP_3) | instid1(VALU_DEP_2)
	v_lshlrev_b32_e32 v17, 2, v17
	s_wait_alu 0xf1ff
	v_cndmask_b32_e64 v19, v4, v15, s4
	v_dual_fmac_f32 v51, v59, v20 :: v_dual_lshlrev_b32 v20, 16, v45
	v_lshlrev_b32_e32 v19, 2, v19
	s_delay_alu instid0(VALU_DEP_2) | instskip(SKIP_1) | instid1(VALU_DEP_2)
	v_fmac_f32_e32 v51, v60, v21
	v_lshlrev_b32_e32 v21, 16, v46
	v_dual_fmac_f32 v51, v61, v20 :: v_dual_lshlrev_b32 v20, 16, v47
	s_delay_alu instid0(VALU_DEP_1) | instskip(SKIP_1) | instid1(VALU_DEP_2)
	v_fmac_f32_e32 v51, v62, v21
	v_lshlrev_b32_e32 v21, 16, v48
	v_fmac_f32_e32 v51, v63, v20
	s_delay_alu instid0(VALU_DEP_1) | instskip(NEXT) | instid1(VALU_DEP_1)
	v_fmac_f32_e32 v51, v64, v21
	v_add_f32_e32 v18, v51, v18
	ds_bpermute_b32 v17, v17, v18
	s_wait_dscnt 0x0
	v_add_f32_e32 v17, v18, v17
	ds_bpermute_b32 v18, v19, v17
	s_and_saveexec_b32 s31, s3
	s_cbranch_execz .LBB136_11
; %bb.19:                               ;   in Loop: Header=BB136_13 Depth=1
	s_wait_dscnt 0x0
	v_add_f32_e32 v17, v17, v18
	v_add_nc_u32_e32 v19, v11, v10
	s_delay_alu instid0(VALU_DEP_1) | instskip(NEXT) | instid1(VALU_DEP_1)
	v_cvt_f32_i32_e32 v19, v19
	v_mul_f32_e32 v19, s20, v19
	s_delay_alu instid0(VALU_DEP_1) | instskip(NEXT) | instid1(VALU_DEP_1)
	v_dual_cndmask_b32 v18, 0, v19 :: v_dual_max_num_f32 v19, v6, v6
	v_dual_fmac_f32 v18, s7, v17 :: v_dual_add_nc_u32 v17, v5, v10
	s_delay_alu instid0(VALU_DEP_1) | instskip(NEXT) | instid1(VALU_DEP_2)
	v_max_num_f32_e32 v19, v19, v18
	v_cmp_gt_i32_e64 s4, s38, v17
	s_wait_alu 0xf1ff
	s_delay_alu instid0(VALU_DEP_1) | instskip(NEXT) | instid1(VALU_DEP_3)
	v_cndmask_b32_e64 v17, 0, v18, s4
	v_cndmask_b32_e64 v6, v6, v19, s4
	ds_store_b32 v12, v17
	s_branch .LBB136_11
.LBB136_20:
	s_or_b32 exec_lo, exec_lo, s21
.LBB136_21:
	s_delay_alu instid0(SALU_CYCLE_1)
	s_or_b32 exec_lo, exec_lo, s6
	v_xor_b32_e32 v1, 16, v4
	v_xor_b32_e32 v5, 8, v4
	;; [unrolled: 1-line block ×3, first 2 shown]
	s_clause 0x2
	s_load_b128 s[4:7], s[0:1], 0x0
	s_load_b64 s[30:31], s[0:1], 0x10
	s_load_b64 s[20:21], s[0:1], 0x28
	v_and_b32_e32 v26, 31, v0
	v_cmp_gt_i32_e32 vcc_lo, 32, v1
	s_wait_alu 0xfffd
	v_cndmask_b32_e32 v1, v4, v1, vcc_lo
	v_cmp_gt_i32_e32 vcc_lo, 32, v5
	s_wait_alu 0xfffd
	v_cndmask_b32_e32 v5, v4, v5, vcc_lo
	v_cmp_gt_i32_e32 vcc_lo, 32, v7
	v_lshlrev_b32_e32 v2, 2, v1
	s_delay_alu instid0(VALU_DEP_3)
	v_lshlrev_b32_e32 v5, 2, v5
	s_wait_alu 0xfffd
	v_cndmask_b32_e32 v7, v4, v7, vcc_lo
	ds_bpermute_b32 v1, v2, v6
	v_max_num_f32_e32 v6, v6, v6
	v_cmp_eq_u32_e32 vcc_lo, 0, v26
	s_wait_dscnt 0x0
	v_dual_max_num_f32 v1, v1, v1 :: v_dual_lshlrev_b32 v8, 2, v7
	s_delay_alu instid0(VALU_DEP_1) | instskip(SKIP_3) | instid1(VALU_DEP_1)
	v_max_num_f32_e32 v1, v6, v1
	ds_bpermute_b32 v6, v5, v1
	s_wait_dscnt 0x0
	v_max_num_f32_e32 v6, v6, v6
	v_dual_max_num_f32 v1, v1, v6 :: v_dual_lshlrev_b32 v6, 2, v23
	ds_bpermute_b32 v7, v8, v1
	s_and_saveexec_b32 s0, vcc_lo
	s_cbranch_execz .LBB136_23
; %bb.22:
	s_wait_dscnt 0x0
	v_max_num_f32_e32 v7, v7, v7
	v_max_num_f32_e32 v1, v1, v1
	s_delay_alu instid0(VALU_DEP_1)
	v_max_num_f32_e32 v1, v1, v7
	ds_store_b32 v6, v1 offset:240
.LBB136_23:
	s_or_b32 exec_lo, exec_lo, s0
	v_cmp_gt_u32_e64 s0, 4, v26
	v_mov_b32_e32 v1, 0xff7fffff
	s_wait_dscnt 0x0
	v_lshlrev_b32_e32 v7, 2, v26
	s_wait_loadcnt 0x0
	s_barrier_signal -1
	s_barrier_wait -1
	global_inv scope:SCOPE_SE
	s_and_saveexec_b32 s1, s0
; %bb.24:
	ds_load_b32 v1, v7 offset:240
; %bb.25:
	s_or_b32 exec_lo, exec_lo, s1
	v_xor_b32_e32 v9, 2, v4
	v_xor_b32_e32 v11, 1, v4
	v_lshl_add_u32 v27, v0, 2, 0x110
	s_delay_alu instid0(VALU_DEP_3) | instskip(NEXT) | instid1(VALU_DEP_1)
	v_cmp_gt_i32_e64 s1, 32, v9
	v_cndmask_b32_e64 v9, v4, v9, s1
	s_delay_alu instid0(VALU_DEP_4) | instskip(NEXT) | instid1(VALU_DEP_2)
	v_cmp_gt_i32_e64 s1, 32, v11
	v_lshlrev_b32_e32 v9, 2, v9
	s_wait_alu 0xf1ff
	s_delay_alu instid0(VALU_DEP_2)
	v_cndmask_b32_e64 v4, v4, v11, s1
	s_sub_co_i32 s1, s41, s11
	s_wait_alu 0xfffe
	s_lshl_b32 s1, s1, 3
	s_wait_dscnt 0x0
	ds_bpermute_b32 v10, v9, v1
	v_dual_max_num_f32 v1, v1, v1 :: v_dual_lshlrev_b32 v4, 2, v4
	s_wait_alu 0xfffe
	s_add_co_i32 s1, s1, s24
	s_wait_alu 0xfffe
	s_min_i32 s1, s1, s38
	s_wait_alu 0xfffe
	s_sub_co_i32 s11, s1, s24
	s_wait_alu 0xfffe
	v_cmp_gt_i32_e64 s1, s11, v0
	s_wait_dscnt 0x0
	v_max_num_f32_e32 v10, v10, v10
	s_delay_alu instid0(VALU_DEP_1) | instskip(SKIP_3) | instid1(VALU_DEP_1)
	v_max_num_f32_e32 v1, v1, v10
	ds_bpermute_b32 v10, v4, v1
	s_wait_dscnt 0x0
	v_max_num_f32_e32 v10, v10, v10
	v_dual_max_num_f32 v1, v1, v10 :: v_dual_mov_b32 v10, 0
	ds_bpermute_b32 v1, v10, v1
	s_and_saveexec_b32 s12, s1
	s_cbranch_execz .LBB136_29
; %bb.26:
	v_lshl_add_u32 v11, v0, 2, 0x110
	v_mov_b32_e32 v10, 0
	v_mov_b32_e32 v12, v0
	s_mov_b32 s15, 0
.LBB136_27:                             ; =>This Inner Loop Header: Depth=1
	ds_load_b32 v13, v11
	v_add_nc_u32_e32 v12, 0x80, v12
	s_delay_alu instid0(VALU_DEP_1) | instskip(SKIP_4) | instid1(VALU_DEP_1)
	v_cmp_le_i32_e64 s3, s11, v12
	s_wait_alu 0xfffe
	s_or_b32 s15, s3, s15
	s_wait_dscnt 0x0
	v_sub_f32_e32 v13, v13, v1
	v_mul_f32_e32 v13, 0x3fb8aa3b, v13
	s_delay_alu instid0(VALU_DEP_1)
	v_exp_f32_e32 v13, v13
	ds_store_b32 v11, v13
	v_dual_add_f32 v10, v10, v13 :: v_dual_add_nc_u32 v11, 0x200, v11
	s_wait_alu 0xfffe
	s_and_not1_b32 exec_lo, exec_lo, s15
	s_cbranch_execnz .LBB136_27
; %bb.28:
	s_or_b32 exec_lo, exec_lo, s15
.LBB136_29:
	s_wait_alu 0xfffe
	s_or_b32 exec_lo, exec_lo, s12
	ds_bpermute_b32 v2, v2, v10
	s_wait_dscnt 0x0
	v_add_f32_e32 v2, v10, v2
	ds_bpermute_b32 v5, v5, v2
	s_wait_dscnt 0x0
	v_add_f32_e32 v2, v2, v5
	;; [unrolled: 3-line block ×5, first 2 shown]
	s_and_saveexec_b32 s3, vcc_lo
; %bb.30:
	ds_store_b32 v6, v2 offset:256
; %bb.31:
	s_wait_alu 0xfffe
	s_or_b32 exec_lo, exec_lo, s3
	s_wait_loadcnt_dscnt 0x0
	s_barrier_signal -1
	s_barrier_wait -1
	global_inv scope:SCOPE_SE
	s_and_saveexec_b32 s3, s0
; %bb.32:
	ds_load_b32 v2, v7 offset:256
; %bb.33:
	s_wait_alu 0xfffe
	s_or_b32 exec_lo, exec_lo, s3
	s_wait_dscnt 0x0
	ds_bpermute_b32 v5, v9, v2
	s_wait_dscnt 0x0
	v_add_f32_e32 v2, v2, v5
	ds_bpermute_b32 v4, v4, v2
	s_wait_dscnt 0x0
	v_add_f32_e32 v2, v2, v4
	v_mov_b32_e32 v4, 0
	ds_bpermute_b32 v2, v4, v2
	s_and_saveexec_b32 s0, s1
	s_cbranch_execz .LBB136_36
; %bb.34:
	s_wait_dscnt 0x0
	v_add_f32_e32 v5, 0x358637bd, v2
	s_mov_b32 s1, 0
	s_delay_alu instid0(VALU_DEP_1) | instskip(SKIP_1) | instid1(VALU_DEP_2)
	v_div_scale_f32 v4, null, v5, v5, 1.0
	v_div_scale_f32 v8, vcc_lo, 1.0, v5, 1.0
	v_rcp_f32_e32 v6, v4
	s_delay_alu instid0(TRANS32_DEP_1) | instskip(NEXT) | instid1(VALU_DEP_1)
	v_fma_f32 v7, -v4, v6, 1.0
	v_fmac_f32_e32 v6, v7, v6
	s_delay_alu instid0(VALU_DEP_1) | instskip(NEXT) | instid1(VALU_DEP_1)
	v_mul_f32_e32 v7, v8, v6
	v_fma_f32 v9, -v4, v7, v8
	s_delay_alu instid0(VALU_DEP_1) | instskip(NEXT) | instid1(VALU_DEP_1)
	v_fmac_f32_e32 v7, v9, v6
	v_fma_f32 v4, -v4, v7, v8
	s_wait_alu 0xfffd
	s_delay_alu instid0(VALU_DEP_1) | instskip(SKIP_1) | instid1(VALU_DEP_2)
	v_div_fmas_f32 v6, v4, v6, v7
	v_mov_b32_e32 v4, v27
	v_div_fixup_f32 v5, v6, v5, 1.0
	v_mov_b32_e32 v6, v0
.LBB136_35:                             ; =>This Inner Loop Header: Depth=1
	ds_load_b32 v7, v4
	s_wait_dscnt 0x0
	v_dual_mul_f32 v7, v5, v7 :: v_dual_add_nc_u32 v6, 0x80, v6
	s_delay_alu instid0(VALU_DEP_1)
	v_cmp_le_i32_e32 vcc_lo, s11, v6
	ds_store_b32 v4, v7
	v_add_nc_u32_e32 v4, 0x200, v4
	s_wait_alu 0xfffe
	s_or_b32 s1, vcc_lo, s1
	s_wait_alu 0xfffe
	s_and_not1_b32 exec_lo, exec_lo, s1
	s_cbranch_execnz .LBB136_35
.LBB136_36:
	s_wait_alu 0xfffe
	s_or_b32 exec_lo, exec_lo, s0
	s_mul_i32 s0, s27, s22
	s_wait_loadcnt_dscnt 0x0
	s_wait_alu 0xfffe
	s_mul_i32 s34, s0, s23
	s_mov_b32 s0, exec_lo
	s_barrier_signal -1
	s_barrier_wait -1
	global_inv scope:SCOPE_SE
	v_cmpx_eq_u32_e32 0, v0
	s_cbranch_execz .LBB136_38
; %bb.37:
	s_wait_alu 0xfffe
	s_ashr_i32 s35, s34, 31
	s_mul_i32 s22, s27, ttmp9
	s_lshl_b32 s1, s33, 2
	s_wait_alu 0xfffe
	s_lshl_b64 s[24:25], s[34:35], 2
	s_ashr_i32 s23, s22, 31
	v_mov_b32_e32 v4, s1
	s_wait_kmcnt 0x0
	s_wait_alu 0xfffe
	s_add_nc_u64 s[6:7], s[6:7], s[24:25]
	s_lshl_b64 s[22:23], s[22:23], 2
	s_add_nc_u64 s[4:5], s[4:5], s[24:25]
	s_wait_alu 0xfffe
	s_add_nc_u64 s[6:7], s[6:7], s[22:23]
	s_add_nc_u64 s[4:5], s[4:5], s[22:23]
	s_clause 0x1
	global_store_b32 v4, v1, s[6:7]
	global_store_b32 v4, v2, s[4:5]
.LBB136_38:
	s_wait_alu 0xfffe
	s_or_b32 exec_lo, exec_lo, s0
	v_dual_mov_b32 v31, 0 :: v_dual_mov_b32 v30, 0
	v_dual_mov_b32 v29, 0 :: v_dual_mov_b32 v28, 0
	s_and_saveexec_b32 s35, s2
	s_cbranch_execz .LBB136_54
; %bb.39:
	s_abs_i32 s42, s10
	s_ashr_i32 s15, s14, 31
	s_cvt_f32_u32 s0, s42
	s_wait_alu 0xfffe
	s_lshl_b64 s[2:3], s[14:15], 1
	v_or_b32_e32 v4, 0x60, v26
	s_wait_kmcnt 0x0
	s_wait_alu 0xfffe
	s_add_nc_u64 s[36:37], s[20:21], s[2:3]
	v_rcp_iflag_f32_e32 v1, s0
	s_lshl_b64 s[0:1], s[18:19], 2
	v_dual_mov_b32 v29, 0 :: v_dual_lshlrev_b32 v2, 3, v26
	s_wait_alu 0xfffe
	s_add_nc_u64 s[0:1], s[16:17], s[0:1]
	v_mov_b32_e32 v28, 0
	s_wait_alu 0xfffe
	v_add_co_u32 v21, s0, s0, v3
	s_wait_alu 0xf1ff
	v_add_co_ci_u32_e64 v22, null, s1, 0, s0
	v_readfirstlane_b32 s4, v1
	v_lshlrev_b32_e32 v1, 3, v4
	s_sub_co_i32 s5, 0, s42
	v_lshl_add_u32 v32, v23, 5, 0x110
	v_dual_mov_b32 v30, 0 :: v_dual_lshlrev_b32 v33, 1, v2
	s_mul_f32 s2, s4, 0x4f7ffffe
	v_dual_mov_b32 v31, 0 :: v_dual_lshlrev_b32 v34, 1, v1
	s_sub_co_i32 s43, s8, s9
	s_wait_alu 0xfffe
	s_cvt_u32_f32 s0, s2
	s_mov_b32 s44, s13
	s_add_co_i32 s45, s45, -1
	s_mov_b32 s46, 0
	s_wait_alu 0xfffe
	s_mul_i32 s5, s5, s0
	s_mov_b32 s47, s38
	s_wait_alu 0xfffe
	s_mul_hi_u32 s1, s0, s5
	v_cmp_gt_u32_e32 vcc_lo, 0x78, v4
	s_wait_alu 0xfffe
	s_add_co_i32 s48, s0, s1
	s_branch .LBB136_43
.LBB136_40:                             ;   in Loop: Header=BB136_43 Depth=1
	s_wait_alu 0xfffe
	s_or_b32 exec_lo, exec_lo, s25
	v_perm_b32 v17, v50, v49, 0x7060302
	s_wait_loadcnt 0x0
	v_and_b32_e32 v49, 0xffff0000, v2
	v_perm_b32 v18, v52, v51, 0x7060302
	v_perm_b32 v19, v54, v53, 0x7060302
	v_perm_b32 v20, v56, v55, 0x7060302
	v_and_b32_e32 v36, 0xffff0000, v17
	v_lshlrev_b32_e32 v2, 16, v2
	v_and_b32_e32 v35, 0xffff0000, v1
	v_lshlrev_b32_e32 v1, 16, v1
	v_lshlrev_b32_e32 v17, 16, v17
	s_delay_alu instid0(VALU_DEP_3) | instskip(NEXT) | instid1(VALU_DEP_2)
	v_dual_mul_f32 v35, v36, v35 :: v_dual_and_b32 v36, 0xffff0000, v18
	v_mul_f32_e32 v1, v17, v1
	v_and_b32_e32 v17, 0xffff0000, v3
	v_lshlrev_b32_e32 v3, 16, v3
	s_delay_alu instid0(VALU_DEP_4)
	v_bfe_u32 v50, v35, 16, 1
	v_mul_f32_e32 v36, v36, v49
	v_or_b32_e32 v49, 0x400000, v35
	v_cmp_u_f32_e64 s0, v35, v35
	v_or_b32_e32 v51, 0x400000, v1
	v_add3_u32 v50, v50, v35, 0x7fff
	v_bfe_u32 v52, v36, 16, 1
	s_wait_alu 0xf1ff
	s_delay_alu instid0(VALU_DEP_2)
	v_cndmask_b32_e64 v35, v50, v49, s0
	v_and_b32_e32 v49, 0xffff0000, v19
	v_lshlrev_b32_e32 v18, 16, v18
	v_cmp_u_f32_e64 s0, v1, v1
	v_or_b32_e32 v50, 0x400000, v36
	v_lshlrev_b32_e32 v19, 16, v19
	s_delay_alu instid0(VALU_DEP_4) | instskip(SKIP_2) | instid1(VALU_DEP_4)
	v_dual_mul_f32 v17, v49, v17 :: v_dual_mul_f32 v2, v18, v2
	v_bfe_u32 v18, v1, 16, 1
	v_and_b32_e32 v35, 0xffff0000, v35
	v_mul_f32_e32 v3, v19, v3
	v_and_b32_e32 v19, 0xffff0000, v4
	v_or_b32_e32 v49, 0x400000, v2
	v_add3_u32 v18, v18, v1, 0x7fff
	s_wait_alu 0xf1ff
	s_delay_alu instid0(VALU_DEP_1) | instskip(SKIP_3) | instid1(VALU_DEP_4)
	v_cndmask_b32_e64 v1, v18, v51, s0
	v_add3_u32 v18, v52, v36, 0x7fff
	v_bfe_u32 v51, v2, 16, 1
	v_cmp_u_f32_e64 s0, v36, v36
	v_and_b32_e32 v1, 0xffff0000, v1
	s_delay_alu instid0(VALU_DEP_3) | instskip(SKIP_1) | instid1(VALU_DEP_3)
	v_add3_u32 v36, v51, v2, 0x7fff
	s_wait_alu 0xf1ff
	v_cndmask_b32_e64 v18, v18, v50, s0
	v_bfe_u32 v50, v17, 16, 1
	v_and_b32_e32 v51, 0xffff0000, v20
	v_lshlrev_b32_e32 v4, 16, v4
	v_dual_add_f32 v1, v1, v35 :: v_dual_lshlrev_b32 v20, 16, v20
	v_cmp_u_f32_e64 s0, v2, v2
	s_delay_alu instid0(VALU_DEP_4) | instskip(NEXT) | instid1(VALU_DEP_3)
	v_dual_mul_f32 v19, v51, v19 :: v_dual_and_b32 v18, 0xffff0000, v18
	v_mul_f32_e32 v4, v20, v4
	v_or_b32_e32 v20, 0x400000, v17
	s_wait_alu 0xf1ff
	v_cndmask_b32_e64 v2, v36, v49, s0
	v_bfe_u32 v36, v3, 16, 1
	v_add3_u32 v49, v50, v17, 0x7fff
	v_cmp_u_f32_e64 s0, v17, v17
	v_or_b32_e32 v50, 0x400000, v3
	v_bfe_u32 v52, v4, 16, 1
	v_add3_u32 v36, v36, v3, 0x7fff
	v_bfe_u32 v51, v19, 16, 1
	s_wait_alu 0xf1ff
	v_cndmask_b32_e64 v17, v49, v20, s0
	v_cmp_u_f32_e64 s0, v3, v3
	v_or_b32_e32 v49, 0x400000, v4
	v_and_b32_e32 v2, 0xffff0000, v2
	v_add3_u32 v20, v51, v19, 0x7fff
	v_and_b32_e32 v17, 0xffff0000, v17
	s_wait_alu 0xf1ff
	v_cndmask_b32_e64 v3, v36, v50, s0
	v_add3_u32 v36, v52, v4, 0x7fff
	v_cmp_u_f32_e64 s0, v4, v4
	v_or_b32_e32 v50, 0x400000, v19
	s_delay_alu instid0(VALU_DEP_4) | instskip(SKIP_1) | instid1(VALU_DEP_3)
	v_dual_add_f32 v2, v2, v18 :: v_dual_and_b32 v3, 0xffff0000, v3
	s_wait_alu 0xf1ff
	v_cndmask_b32_e64 v4, v36, v49, s0
	v_cmp_u_f32_e64 s0, v19, v19
	s_delay_alu instid0(VALU_DEP_3) | instskip(NEXT) | instid1(VALU_DEP_3)
	v_add_f32_e32 v1, v2, v1
	v_dual_add_f32 v2, v3, v17 :: v_dual_and_b32 v3, 0xffff0000, v4
	s_wait_alu 0xf1ff
	s_delay_alu instid0(VALU_DEP_3) | instskip(NEXT) | instid1(VALU_DEP_1)
	v_cndmask_b32_e64 v18, v20, v50, s0
	v_dual_add_f32 v1, v2, v1 :: v_dual_and_b32 v4, 0xffff0000, v18
	s_delay_alu instid0(VALU_DEP_1) | instskip(NEXT) | instid1(VALU_DEP_1)
	v_add_f32_e32 v2, v3, v4
	v_add_f32_e32 v1, v2, v1
	s_delay_alu instid0(VALU_DEP_1)
	v_add_f32_e32 v28, v28, v1
.LBB136_41:                             ;   in Loop: Header=BB136_43 Depth=1
	s_or_b32 exec_lo, exec_lo, s50
	v_bfe_u32 v1, v46, 16, 1
	v_or_b32_e32 v2, 0x400000, v46
	v_bfe_u32 v3, v45, 16, 1
	v_bfe_u32 v17, v44, 16, 1
	;; [unrolled: 1-line block ×3, first 2 shown]
	v_add3_u32 v1, v1, v46, 0x7fff
	v_or_b32_e32 v4, 0x400000, v45
	v_bfe_u32 v19, v48, 16, 1
	v_add3_u32 v3, v3, v45, 0x7fff
	v_add3_u32 v17, v17, v44, 0x7fff
	s_wait_alu 0xf1ff
	v_cndmask_b32_e64 v1, v1, v2, s23
	v_or_b32_e32 v2, 0x400000, v44
	v_add3_u32 v18, v18, v43, 0x7fff
	v_or_b32_e32 v20, 0x400000, v43
	v_add3_u32 v19, v19, v48, 0x7fff
	v_or_b32_e32 v35, 0x400000, v48
	v_bfe_u32 v36, v47, 16, 1
	v_cndmask_b32_e64 v3, v3, v4, s19
	v_cndmask_b32_e64 v2, v17, v2, s20
	;; [unrolled: 1-line block ×4, first 2 shown]
	v_add3_u32 v18, v36, v47, 0x7fff
	v_or_b32_e32 v19, 0x400000, v47
	v_and_b32_e32 v2, 0xffff0000, v2
	v_and_b32_e32 v4, 0xffff0000, v4
	v_bfe_u32 v20, v42, 16, 1
	v_and_b32_e32 v3, 0xffff0000, v3
	v_cndmask_b32_e64 v18, v18, v19, s22
	v_bfe_u32 v19, v40, 16, 1
	v_add_f32_e32 v2, v4, v2
	v_and_b32_e32 v4, 0xffff0000, v17
	v_and_b32_e32 v1, 0xffff0000, v1
	v_add3_u32 v20, v20, v42, 0x7fff
	v_or_b32_e32 v17, 0x400000, v42
	v_or_b32_e32 v35, 0x400000, v38
	;; [unrolled: 1-line block ×3, first 2 shown]
	v_add_f32_e32 v1, v3, v1
	v_and_b32_e32 v3, 0xffff0000, v18
	v_add3_u32 v18, v19, v40, 0x7fff
	v_or_b32_e32 v19, 0x400000, v40
	s_delay_alu instid0(VALU_DEP_3) | instskip(SKIP_2) | instid1(VALU_DEP_4)
	v_dual_add_f32 v1, v2, v1 :: v_dual_add_f32 v2, v3, v4
	v_cndmask_b32_e64 v3, v20, v17, s18
	v_bfe_u32 v4, v16, 16, 1
	v_cndmask_b32_e64 v17, v18, v19, s16
	v_bfe_u32 v18, v41, 16, 1
	s_delay_alu instid0(VALU_DEP_4) | instskip(NEXT) | instid1(VALU_DEP_4)
	v_dual_add_f32 v1, v2, v1 :: v_dual_and_b32 v2, 0xffff0000, v3
	v_add3_u32 v3, v4, v16, 0x7fff
	v_or_b32_e32 v4, 0x400000, v16
	s_delay_alu instid0(VALU_DEP_4)
	v_add3_u32 v16, v18, v41, 0x7fff
	v_or_b32_e32 v18, 0x400000, v41
	v_bfe_u32 v19, v39, 16, 1
	v_or_b32_e32 v20, 0x400000, v39
	v_cndmask_b32_e64 v3, v3, v4, s14
	v_bfe_u32 v4, v38, 16, 1
	v_cndmask_b32_e64 v16, v16, v18, s17
	v_bfe_u32 v18, v37, 16, 1
	v_add3_u32 v19, v19, v39, 0x7fff
	v_and_b32_e32 v3, 0xffff0000, v3
	v_add3_u32 v4, v4, v38, 0x7fff
	v_and_b32_e32 v16, 0xffff0000, v16
	v_add3_u32 v18, v18, v37, 0x7fff
	v_bfe_u32 v37, v13, 16, 1
	v_cndmask_b32_e64 v19, v19, v20, s15
	v_cndmask_b32_e64 v4, v4, v35, s12
	v_add_f32_e32 v3, v16, v3
	v_cndmask_b32_e64 v18, v18, v36, s13
	v_add3_u32 v35, v37, v13, 0x7fff
	v_or_b32_e32 v13, 0x400000, v13
	v_bfe_u32 v16, v12, 16, 1
	v_bfe_u32 v36, v14, 16, 1
	v_and_b32_e32 v18, 0xffff0000, v18
	v_and_b32_e32 v19, 0xffff0000, v19
	v_cndmask_b32_e64 v13, v35, v13, s9
	v_add3_u32 v16, v16, v12, 0x7fff
	v_or_b32_e32 v12, 0x400000, v12
	v_add3_u32 v36, v36, v14, 0x7fff
	v_or_b32_e32 v14, 0x400000, v14
	v_and_b32_e32 v13, 0xffff0000, v13
	v_bfe_u32 v20, v15, 16, 1
	v_cndmask_b32_e64 v12, v16, v12, s7
	s_delay_alu instid0(VALU_DEP_4) | instskip(NEXT) | instid1(VALU_DEP_4)
	v_cndmask_b32_e64 v14, v36, v14, s11
	v_add_f32_e32 v13, v13, v18
	v_bfe_u32 v18, v7, 16, 1
	v_add3_u32 v20, v20, v15, 0x7fff
	v_or_b32_e32 v15, 0x400000, v15
	v_and_b32_e32 v14, 0xffff0000, v14
	s_delay_alu instid0(VALU_DEP_4) | instskip(SKIP_1) | instid1(VALU_DEP_4)
	v_add3_u32 v16, v18, v7, 0x7fff
	v_or_b32_e32 v7, 0x400000, v7
	v_cndmask_b32_e64 v15, v20, v15, s10
	v_bfe_u32 v20, v6, 16, 1
	v_bfe_u32 v18, v9, 16, 1
	s_delay_alu instid0(VALU_DEP_4) | instskip(SKIP_1) | instid1(VALU_DEP_3)
	v_cndmask_b32_e64 v7, v16, v7, s3
	v_bfe_u32 v16, v5, 16, 1
	v_add3_u32 v18, v18, v9, 0x7fff
	v_or_b32_e32 v9, 0x400000, v9
	s_delay_alu instid0(VALU_DEP_4) | instskip(SKIP_4) | instid1(VALU_DEP_4)
	v_and_b32_e32 v7, 0xffff0000, v7
	v_and_b32_e32 v4, 0xffff0000, v4
	v_add3_u32 v16, v16, v5, 0x7fff
	v_or_b32_e32 v5, 0x400000, v5
	v_cndmask_b32_e64 v9, v18, v9, s5
	v_add_f32_e32 v4, v4, v19
	v_bfe_u32 v19, v8, 16, 1
	s_delay_alu instid0(VALU_DEP_4) | instskip(NEXT) | instid1(VALU_DEP_3)
	v_cndmask_b32_e64 v5, v16, v5, s2
	v_add_f32_e32 v3, v4, v3
	v_bfe_u32 v4, v11, 16, 1
	s_delay_alu instid0(VALU_DEP_4) | instskip(SKIP_1) | instid1(VALU_DEP_4)
	v_add3_u32 v19, v19, v8, 0x7fff
	v_or_b32_e32 v8, 0x400000, v8
	v_add_f32_e32 v3, v13, v3
	s_delay_alu instid0(VALU_DEP_4) | instskip(SKIP_3) | instid1(VALU_DEP_3)
	v_add3_u32 v4, v4, v11, 0x7fff
	v_or_b32_e32 v11, 0x400000, v11
	v_and_b32_e32 v5, 0xffff0000, v5
	v_cndmask_b32_e64 v8, v19, v8, s6
	v_cndmask_b32_e64 v4, v4, v11, s8
	v_bfe_u32 v11, v10, 16, 1
	s_delay_alu instid0(VALU_DEP_3) | instskip(NEXT) | instid1(VALU_DEP_3)
	v_and_b32_e32 v8, 0xffff0000, v8
	v_and_b32_e32 v4, 0xffff0000, v4
	s_delay_alu instid0(VALU_DEP_3) | instskip(SKIP_1) | instid1(VALU_DEP_1)
	v_add3_u32 v11, v11, v10, 0x7fff
	v_or_b32_e32 v10, 0x400000, v10
	v_cndmask_b32_e64 v10, v11, v10, s4
	v_add3_u32 v11, v20, v6, 0x7fff
	v_or_b32_e32 v6, 0x400000, v6
	s_delay_alu instid0(VALU_DEP_1) | instskip(NEXT) | instid1(VALU_DEP_1)
	v_cndmask_b32_e64 v6, v11, v6, s1
	v_and_b32_e32 v6, 0xffff0000, v6
	s_delay_alu instid0(VALU_DEP_1) | instskip(NEXT) | instid1(VALU_DEP_1)
	v_dual_add_f32 v5, v5, v6 :: v_dual_and_b32 v12, 0xffff0000, v12
	v_dual_add_f32 v4, v4, v12 :: v_dual_and_b32 v17, 0xffff0000, v17
	s_delay_alu instid0(VALU_DEP_1) | instskip(NEXT) | instid1(VALU_DEP_1)
	v_add_f32_e32 v2, v2, v17
	v_dual_add_f32 v1, v2, v1 :: v_dual_and_b32 v10, 0xffff0000, v10
	s_delay_alu instid0(VALU_DEP_1) | instskip(NEXT) | instid1(VALU_DEP_2)
	v_add_f32_e32 v30, v30, v1
	v_add_f32_e32 v7, v10, v7
	s_delay_alu instid0(VALU_DEP_1) | instskip(NEXT) | instid1(VALU_DEP_1)
	v_dual_add_f32 v4, v7, v4 :: v_dual_and_b32 v9, 0xffff0000, v9
	v_add_f32_e32 v7, v8, v9
	s_delay_alu instid0(VALU_DEP_1) | instskip(SKIP_1) | instid1(VALU_DEP_1)
	v_add_f32_e32 v4, v7, v4
	v_and_b32_e32 v10, 0xffff0000, v15
	v_add_f32_e32 v8, v14, v10
	s_delay_alu instid0(VALU_DEP_1) | instskip(NEXT) | instid1(VALU_DEP_1)
	v_dual_add_f32 v2, v8, v3 :: v_dual_add_f32 v3, v5, v4
	v_add_f32_e32 v31, v31, v2
	s_delay_alu instid0(VALU_DEP_2)
	v_add_f32_e32 v29, v29, v3
.LBB136_42:                             ;   in Loop: Header=BB136_43 Depth=1
	s_wait_alu 0xfffe
	s_or_b32 exec_lo, exec_lo, s49
	v_add_nc_u32_e32 v25, 4, v25
	v_add_co_u32 v21, s1, v21, 16
	s_wait_alu 0xf1ff
	v_add_co_ci_u32_e64 v22, null, 0, v22, s1
	s_delay_alu instid0(VALU_DEP_3)
	v_cmp_le_i32_e64 s0, s41, v25
	v_add_nc_u32_e32 v24, 32, v24
	v_add_nc_u32_e32 v32, 0x80, v32
	s_or_b32 s46, s0, s46
	s_wait_alu 0xfffe
	s_and_not1_b32 exec_lo, exec_lo, s46
	s_cbranch_execz .LBB136_53
.LBB136_43:                             ; =>This Inner Loop Header: Depth=1
	v_sub_nc_u32_e32 v1, 0, v24
	s_delay_alu instid0(VALU_DEP_1) | instskip(NEXT) | instid1(VALU_DEP_1)
	v_max_i32_e32 v1, v24, v1
	v_mul_hi_u32 v2, v1, s28
	s_delay_alu instid0(VALU_DEP_1) | instskip(NEXT) | instid1(VALU_DEP_1)
	v_mul_lo_u32 v3, v2, s39
	v_sub_nc_u32_e32 v1, v1, v3
	v_add_nc_u32_e32 v3, 1, v2
	s_delay_alu instid0(VALU_DEP_2) | instskip(SKIP_2) | instid1(VALU_DEP_1)
	v_subrev_nc_u32_e32 v4, s39, v1
	v_cmp_le_u32_e64 s0, s39, v1
	s_wait_alu 0xf1ff
	v_cndmask_b32_e64 v2, v2, v3, s0
	s_delay_alu instid0(VALU_DEP_3) | instskip(SKIP_1) | instid1(VALU_DEP_3)
	v_cndmask_b32_e64 v1, v1, v4, s0
	v_ashrrev_i32_e32 v3, 31, v24
	v_add_nc_u32_e32 v4, 1, v2
	s_delay_alu instid0(VALU_DEP_3) | instskip(NEXT) | instid1(VALU_DEP_3)
	v_cmp_le_u32_e64 s0, s39, v1
	v_xor_b32_e32 v3, s29, v3
	s_wait_alu 0xf1ff
	s_delay_alu instid0(VALU_DEP_2) | instskip(NEXT) | instid1(VALU_DEP_1)
	v_cndmask_b32_e64 v1, v2, v4, s0
	v_xor_b32_e32 v1, v1, v3
	s_delay_alu instid0(VALU_DEP_1) | instskip(NEXT) | instid1(VALU_DEP_1)
	v_sub_nc_u32_e32 v1, v1, v3
	v_add_nc_u32_e32 v2, s40, v1
	v_cmp_lt_i32_e64 s1, s43, v1
	s_delay_alu instid0(VALU_DEP_2) | instskip(NEXT) | instid1(VALU_DEP_1)
	v_sub_nc_u32_e32 v3, 0, v2
	v_max_i32_e32 v3, v2, v3
	v_ashrrev_i32_e32 v2, 31, v2
	s_delay_alu instid0(VALU_DEP_2) | instskip(NEXT) | instid1(VALU_DEP_1)
	v_mul_hi_u32 v4, v3, s48
	v_mul_lo_u32 v4, v4, s42
	s_delay_alu instid0(VALU_DEP_1) | instskip(NEXT) | instid1(VALU_DEP_1)
	v_sub_nc_u32_e32 v3, v3, v4
	v_subrev_nc_u32_e32 v4, s42, v3
	v_cmp_le_u32_e64 s0, s42, v3
	s_wait_alu 0xf1ff
	s_delay_alu instid0(VALU_DEP_1) | instskip(NEXT) | instid1(VALU_DEP_1)
	v_cndmask_b32_e64 v3, v3, v4, s0
	v_subrev_nc_u32_e32 v4, s42, v3
	v_cmp_le_u32_e64 s0, s42, v3
	s_wait_alu 0xf1ff
	s_delay_alu instid0(VALU_DEP_1) | instskip(NEXT) | instid1(VALU_DEP_1)
	v_cndmask_b32_e64 v3, v3, v4, s0
	v_xor_b32_e32 v3, v3, v2
	s_delay_alu instid0(VALU_DEP_1) | instskip(NEXT) | instid1(VALU_DEP_1)
	v_sub_nc_u32_e32 v2, v3, v2
	v_cmp_eq_u32_e64 s0, 0, v2
	s_or_b32 s0, s0, s1
	s_wait_alu 0xfffe
	s_and_saveexec_b32 s49, s0
	s_cbranch_execz .LBB136_42
; %bb.44:                               ;   in Loop: Header=BB136_43 Depth=1
	global_load_b32 v1, v[21:22], off
	s_wait_loadcnt 0x0
	v_mad_co_i64_i32 v[1:2], null, v1, s44, 0
	s_delay_alu instid0(VALU_DEP_1) | instskip(NEXT) | instid1(VALU_DEP_1)
	v_lshlrev_b64_e32 v[1:2], 1, v[1:2]
	v_add_co_u32 v35, s0, s36, v1
	s_wait_alu 0xf1ff
	s_delay_alu instid0(VALU_DEP_2) | instskip(NEXT) | instid1(VALU_DEP_2)
	v_add_co_ci_u32_e64 v36, null, s37, v2, s0
	v_add_co_u32 v17, s0, v35, v33
	s_wait_alu 0xf1ff
	s_delay_alu instid0(VALU_DEP_2)
	v_add_co_ci_u32_e64 v18, null, 0, v36, s0
	v_cmp_eq_u32_e64 s0, s45, v25
	global_load_b128 v[1:4], v[17:18], off
	ds_load_2addr_b64 v[9:12], v32 offset1:1
	ds_load_2addr_b64 v[5:8], v32 offset0:2 offset1:3
	s_and_saveexec_b32 s2, s0
	s_cbranch_execnz .LBB136_51
; %bb.45:                               ;   in Loop: Header=BB136_43 Depth=1
	s_wait_alu 0xfffe
	s_or_b32 exec_lo, exec_lo, s2
	global_load_b128 v[13:16], v[17:18], off offset:512
	s_and_saveexec_b32 s2, s0
	s_cbranch_execnz .LBB136_52
.LBB136_46:                             ;   in Loop: Header=BB136_43 Depth=1
	s_wait_alu 0xfffe
	s_or_b32 exec_lo, exec_lo, s2
	global_load_b128 v[17:20], v[17:18], off offset:1024
	s_and_saveexec_b32 s2, s0
	s_cbranch_execz .LBB136_48
.LBB136_47:                             ;   in Loop: Header=BB136_43 Depth=1
	v_add_nc_u32_e32 v37, 1, v24
	s_wait_loadcnt 0x0
	v_lshrrev_b32_e32 v38, 16, v17
	v_or_b32_e32 v39, 2, v24
	v_lshrrev_b32_e32 v40, 16, v18
	v_or_b32_e32 v41, 4, v24
	v_cmp_gt_i32_e64 s1, s47, v37
	v_or_b32_e32 v42, 7, v24
	v_lshrrev_b32_e32 v43, 16, v20
	s_wait_alu 0xf1ff
	s_delay_alu instid0(VALU_DEP_3) | instskip(SKIP_3) | instid1(VALU_DEP_2)
	v_cndmask_b32_e64 v37, 0, v38, s1
	v_cmp_gt_i32_e64 s1, s38, v24
	v_or_b32_e32 v38, 3, v24
	s_wait_alu 0xf1ff
	v_cndmask_b32_e64 v17, 0, v17, s1
	v_cmp_gt_i32_e64 s1, s38, v39
	v_or_b32_e32 v39, 5, v24
	s_delay_alu instid0(VALU_DEP_3) | instskip(SKIP_1) | instid1(VALU_DEP_3)
	v_perm_b32 v17, v37, v17, 0x5040100
	s_wait_alu 0xf1ff
	v_cndmask_b32_e64 v18, 0, v18, s1
	v_cmp_gt_i32_e64 s1, s47, v38
	s_wait_alu 0xf1ff
	s_delay_alu instid0(VALU_DEP_1) | instskip(SKIP_2) | instid1(VALU_DEP_3)
	v_cndmask_b32_e64 v38, 0, v40, s1
	v_cmp_gt_i32_e64 s1, s38, v41
	v_or_b32_e32 v41, 6, v24
	v_perm_b32 v18, v38, v18, 0x5040100
	s_wait_alu 0xf1ff
	s_delay_alu instid0(VALU_DEP_3) | instskip(SKIP_3) | instid1(VALU_DEP_1)
	v_cndmask_b32_e64 v40, 0, v19, s1
	v_lshrrev_b32_e32 v19, 16, v19
	v_cmp_gt_i32_e64 s1, s47, v39
	s_wait_alu 0xf1ff
	v_cndmask_b32_e64 v19, 0, v19, s1
	v_cmp_gt_i32_e64 s1, s38, v41
	s_delay_alu instid0(VALU_DEP_2) | instskip(SKIP_1) | instid1(VALU_DEP_2)
	v_perm_b32 v19, v19, v40, 0x5040100
	s_wait_alu 0xf1ff
	v_cndmask_b32_e64 v20, 0, v20, s1
	v_cmp_gt_i32_e64 s1, s47, v42
	s_wait_alu 0xf1ff
	s_delay_alu instid0(VALU_DEP_1) | instskip(NEXT) | instid1(VALU_DEP_1)
	v_cndmask_b32_e64 v39, 0, v43, s1
	v_perm_b32 v20, v39, v20, 0x5040100
.LBB136_48:                             ;   in Loop: Header=BB136_43 Depth=1
	s_wait_alu 0xfffe
	s_or_b32 exec_lo, exec_lo, s2
	s_wait_dscnt 0x1
	v_bfe_u32 v37, v9, 16, 1
	v_or_b32_e32 v38, 0x400000, v9
	v_bfe_u32 v39, v10, 16, 1
	v_cmp_u_f32_e64 s1, v9, v9
	v_bfe_u32 v40, v11, 16, 1
	v_add3_u32 v37, v37, v9, 0x7fff
	v_or_b32_e32 v41, 0x400000, v10
	v_add3_u32 v39, v39, v10, 0x7fff
	v_or_b32_e32 v42, 0x400000, v11
	v_add3_u32 v40, v40, v11, 0x7fff
	s_wait_alu 0xf1ff
	v_cndmask_b32_e64 v49, v37, v38, s1
	v_cmp_u_f32_e64 s1, v10, v10
	v_bfe_u32 v9, v12, 16, 1
	s_wait_dscnt 0x0
	v_bfe_u32 v10, v5, 16, 1
	v_or_b32_e32 v37, 0x400000, v5
	v_bfe_u32 v38, v6, 16, 1
	s_wait_alu 0xf1ff
	v_cndmask_b32_e64 v50, v39, v41, s1
	v_cmp_u_f32_e64 s1, v11, v11
	v_add3_u32 v9, v9, v12, 0x7fff
	v_or_b32_e32 v11, 0x400000, v12
	v_add3_u32 v10, v10, v5, 0x7fff
	s_wait_alu 0xf1ff
	v_cndmask_b32_e64 v51, v40, v42, s1
	v_cmp_u_f32_e64 s1, v12, v12
	v_bfe_u32 v12, v8, 16, 1
	s_wait_alu 0xf1ff
	s_delay_alu instid0(VALU_DEP_2)
	v_cndmask_b32_e64 v52, v9, v11, s1
	v_cmp_u_f32_e64 s1, v5, v5
	v_bfe_u32 v9, v7, 16, 1
	v_add3_u32 v5, v38, v6, 0x7fff
	v_or_b32_e32 v11, 0x400000, v7
	v_and_b32_e32 v57, 0xffff0000, v52
	s_wait_alu 0xf1ff
	v_cndmask_b32_e64 v53, v10, v37, s1
	v_or_b32_e32 v10, 0x400000, v6
	v_cmp_u_f32_e64 s1, v6, v6
	v_add3_u32 v9, v9, v7, 0x7fff
	s_wait_alu 0xf1ff
	s_delay_alu instid0(VALU_DEP_2)
	v_cndmask_b32_e64 v54, v5, v10, s1
	v_cmp_u_f32_e64 s1, v7, v7
	v_add3_u32 v5, v12, v8, 0x7fff
	s_wait_loadcnt 0x1
	v_lshlrev_b32_e32 v10, 16, v13
	v_and_b32_e32 v58, 0xffff0000, v51
	v_lshlrev_b32_e32 v12, 16, v14
	s_wait_alu 0xf1ff
	v_cndmask_b32_e64 v55, v9, v11, s1
	v_and_b32_e32 v6, 0xffff0000, v50
	v_cmp_u_f32_e64 s1, v8, v8
	s_delay_alu instid0(VALU_DEP_3) | instskip(SKIP_2) | instid1(VALU_DEP_3)
	v_dual_mul_f32 v43, v58, v12 :: v_dual_and_b32 v60, 0xffff0000, v55
	v_lshlrev_b32_e32 v12, 16, v16
	v_and_b32_e32 v11, 0xffff0000, v14
	v_cmp_u_f32_e64 s21, v43, v43
	s_delay_alu instid0(VALU_DEP_3) | instskip(NEXT) | instid1(VALU_DEP_3)
	v_dual_mul_f32 v42, v60, v12 :: v_dual_and_b32 v7, 0xffff0000, v13
	v_mul_f32_e32 v44, v57, v11
	v_or_b32_e32 v13, 0x400000, v8
	v_and_b32_e32 v9, 0xffff0000, v49
	s_delay_alu instid0(VALU_DEP_4) | instskip(NEXT) | instid1(VALU_DEP_4)
	v_dual_mul_f32 v46, v6, v7 :: v_dual_and_b32 v11, 0xffff0000, v16
	v_cmp_u_f32_e64 s20, v44, v44
	s_wait_alu 0xf1ff
	v_cndmask_b32_e64 v56, v5, v13, s1
	v_and_b32_e32 v13, 0xffff0000, v1
	v_and_b32_e32 v7, 0xffff0000, v15
	v_cmp_u_f32_e64 s23, v46, v46
	v_cmp_u_f32_e64 s18, v42, v42
	v_and_b32_e32 v59, 0xffff0000, v56
	v_dual_mul_f32 v16, v6, v13 :: v_dual_and_b32 v5, 0xffff0000, v54
	s_delay_alu instid0(VALU_DEP_2) | instskip(SKIP_1) | instid1(VALU_DEP_3)
	v_mul_f32_e32 v40, v59, v11
	v_and_b32_e32 v8, 0xffff0000, v53
	v_dual_mul_f32 v48, v5, v7 :: v_dual_lshlrev_b32 v1, 16, v1
	v_and_b32_e32 v7, 0xffff0000, v2
	v_lshlrev_b32_e32 v2, 16, v2
	v_cmp_u_f32_e64 s16, v40, v40
	s_delay_alu instid0(VALU_DEP_4)
	v_cmp_u_f32_e64 s24, v48, v48
	v_mul_f32_e32 v41, v9, v1
	v_mul_f32_e32 v39, v57, v7
	;; [unrolled: 1-line block ×3, first 2 shown]
	v_dual_mul_f32 v38, v58, v2 :: v_dual_and_b32 v1, 0xffff0000, v4
	v_lshlrev_b32_e32 v10, 16, v15
	s_wait_loadcnt 0x0
	v_and_b32_e32 v7, 0xffff0000, v18
	v_lshlrev_b32_e32 v2, 16, v4
	v_lshlrev_b32_e32 v4, 16, v17
	v_mul_f32_e32 v15, v59, v1
	v_mul_f32_e32 v47, v8, v10
	s_delay_alu instid0(VALU_DEP_4) | instskip(NEXT) | instid1(VALU_DEP_4)
	v_dual_mul_f32 v7, v57, v7 :: v_dual_mul_f32 v14, v60, v2
	v_dual_mul_f32 v11, v9, v4 :: v_dual_and_b32 v2, 0xffff0000, v19
	v_and_b32_e32 v10, 0xffff0000, v3
	v_and_b32_e32 v4, 0xffff0000, v20
	v_lshlrev_b32_e32 v3, 16, v3
	v_lshlrev_b32_e32 v1, 16, v18
	v_mul_f32_e32 v9, v5, v2
	v_mul_f32_e32 v37, v5, v10
	v_cmp_u_f32_e64 s19, v45, v45
	v_mul_f32_e32 v13, v8, v3
	v_and_b32_e32 v3, 0xffff0000, v17
	v_dual_mul_f32 v10, v58, v1 :: v_dual_lshlrev_b32 v17, 16, v20
	v_cmp_u_f32_e64 s22, v47, v47
	v_cmp_u_f32_e64 s14, v16, v16
	s_delay_alu instid0(VALU_DEP_4) | instskip(SKIP_4) | instid1(VALU_DEP_4)
	v_mul_f32_e32 v12, v6, v3
	v_dual_mul_f32 v6, v59, v4 :: v_dual_lshlrev_b32 v3, 16, v19
	v_mul_f32_e32 v5, v60, v17
	v_cmp_u_f32_e64 s17, v41, v41
	v_cmp_u_f32_e64 s15, v39, v39
	v_mul_f32_e32 v8, v8, v3
	v_cmp_u_f32_e64 s12, v38, v38
	v_cmp_u_f32_e64 s13, v37, v37
	;; [unrolled: 1-line block ×13, first 2 shown]
	s_and_saveexec_b32 s50, vcc_lo
	s_cbranch_execz .LBB136_41
; %bb.49:                               ;   in Loop: Header=BB136_43 Depth=1
	v_add_co_u32 v1, s25, v35, v34
	s_wait_alu 0xf1ff
	v_add_co_ci_u32_e64 v2, null, 0, v36, s25
	global_load_b128 v[1:4], v[1:2], off
	s_and_saveexec_b32 s25, s0
	s_cbranch_execz .LBB136_40
; %bb.50:                               ;   in Loop: Header=BB136_43 Depth=1
	v_add_nc_u32_e32 v17, 1, v24
	s_wait_loadcnt 0x0
	v_lshrrev_b32_e32 v18, 16, v1
	v_or_b32_e32 v19, 2, v24
	v_lshrrev_b32_e32 v20, 16, v2
	v_or_b32_e32 v35, 4, v24
	v_cmp_gt_i32_e64 s0, s47, v17
	v_or_b32_e32 v36, 7, v24
	v_lshrrev_b32_e32 v57, 16, v4
	s_wait_alu 0xf1ff
	s_delay_alu instid0(VALU_DEP_3) | instskip(SKIP_3) | instid1(VALU_DEP_2)
	v_cndmask_b32_e64 v17, 0, v18, s0
	v_cmp_gt_i32_e64 s0, s38, v24
	v_or_b32_e32 v18, 3, v24
	s_wait_alu 0xf1ff
	v_cndmask_b32_e64 v1, 0, v1, s0
	v_cmp_gt_i32_e64 s0, s38, v19
	v_or_b32_e32 v19, 5, v24
	s_delay_alu instid0(VALU_DEP_3) | instskip(SKIP_1) | instid1(VALU_DEP_3)
	v_perm_b32 v1, v17, v1, 0x5040100
	s_wait_alu 0xf1ff
	v_cndmask_b32_e64 v2, 0, v2, s0
	v_cmp_gt_i32_e64 s0, s47, v18
	s_wait_alu 0xf1ff
	s_delay_alu instid0(VALU_DEP_1) | instskip(SKIP_2) | instid1(VALU_DEP_3)
	v_cndmask_b32_e64 v18, 0, v20, s0
	v_cmp_gt_i32_e64 s0, s38, v35
	v_or_b32_e32 v35, 6, v24
	v_perm_b32 v2, v18, v2, 0x5040100
	s_wait_alu 0xf1ff
	s_delay_alu instid0(VALU_DEP_3) | instskip(SKIP_3) | instid1(VALU_DEP_1)
	v_cndmask_b32_e64 v20, 0, v3, s0
	v_lshrrev_b32_e32 v3, 16, v3
	v_cmp_gt_i32_e64 s0, s47, v19
	s_wait_alu 0xf1ff
	v_cndmask_b32_e64 v3, 0, v3, s0
	v_cmp_gt_i32_e64 s0, s38, v35
	s_delay_alu instid0(VALU_DEP_2) | instskip(SKIP_1) | instid1(VALU_DEP_2)
	v_perm_b32 v3, v3, v20, 0x5040100
	s_wait_alu 0xf1ff
	v_cndmask_b32_e64 v4, 0, v4, s0
	v_cmp_gt_i32_e64 s0, s47, v36
	s_wait_alu 0xf1ff
	s_delay_alu instid0(VALU_DEP_1) | instskip(NEXT) | instid1(VALU_DEP_1)
	v_cndmask_b32_e64 v19, 0, v57, s0
	v_perm_b32 v4, v19, v4, 0x5040100
	s_branch .LBB136_40
.LBB136_51:                             ;   in Loop: Header=BB136_43 Depth=1
	v_add_nc_u32_e32 v13, 1, v24
	s_wait_loadcnt 0x0
	v_lshrrev_b32_e32 v14, 16, v1
	v_or_b32_e32 v15, 2, v24
	v_lshrrev_b32_e32 v16, 16, v2
	v_or_b32_e32 v19, 4, v24
	v_cmp_gt_i32_e64 s1, s47, v13
	v_or_b32_e32 v20, 7, v24
	v_lshrrev_b32_e32 v37, 16, v4
	s_wait_alu 0xf1ff
	s_delay_alu instid0(VALU_DEP_3) | instskip(SKIP_3) | instid1(VALU_DEP_2)
	v_cndmask_b32_e64 v13, 0, v14, s1
	v_cmp_gt_i32_e64 s1, s38, v24
	v_or_b32_e32 v14, 3, v24
	s_wait_alu 0xf1ff
	v_cndmask_b32_e64 v1, 0, v1, s1
	v_cmp_gt_i32_e64 s1, s38, v15
	v_or_b32_e32 v15, 5, v24
	s_delay_alu instid0(VALU_DEP_3) | instskip(SKIP_1) | instid1(VALU_DEP_3)
	v_perm_b32 v1, v13, v1, 0x5040100
	s_wait_alu 0xf1ff
	v_cndmask_b32_e64 v2, 0, v2, s1
	v_cmp_gt_i32_e64 s1, s47, v14
	s_wait_alu 0xf1ff
	s_delay_alu instid0(VALU_DEP_1) | instskip(SKIP_2) | instid1(VALU_DEP_3)
	v_cndmask_b32_e64 v14, 0, v16, s1
	v_cmp_gt_i32_e64 s1, s38, v19
	v_or_b32_e32 v19, 6, v24
	v_perm_b32 v2, v14, v2, 0x5040100
	s_wait_alu 0xf1ff
	s_delay_alu instid0(VALU_DEP_3) | instskip(SKIP_3) | instid1(VALU_DEP_1)
	v_cndmask_b32_e64 v16, 0, v3, s1
	v_lshrrev_b32_e32 v3, 16, v3
	v_cmp_gt_i32_e64 s1, s47, v15
	s_wait_alu 0xf1ff
	v_cndmask_b32_e64 v3, 0, v3, s1
	v_cmp_gt_i32_e64 s1, s38, v19
	s_delay_alu instid0(VALU_DEP_2) | instskip(SKIP_1) | instid1(VALU_DEP_2)
	v_perm_b32 v3, v3, v16, 0x5040100
	s_wait_alu 0xf1ff
	v_cndmask_b32_e64 v4, 0, v4, s1
	v_cmp_gt_i32_e64 s1, s47, v20
	s_wait_alu 0xf1ff
	s_delay_alu instid0(VALU_DEP_1) | instskip(NEXT) | instid1(VALU_DEP_1)
	v_cndmask_b32_e64 v15, 0, v37, s1
	v_perm_b32 v4, v15, v4, 0x5040100
	s_wait_alu 0xfffe
	s_or_b32 exec_lo, exec_lo, s2
	global_load_b128 v[13:16], v[17:18], off offset:512
	s_and_saveexec_b32 s2, s0
	s_cbranch_execz .LBB136_46
.LBB136_52:                             ;   in Loop: Header=BB136_43 Depth=1
	v_add_nc_u32_e32 v19, 1, v24
	s_wait_loadcnt 0x0
	v_lshrrev_b32_e32 v20, 16, v13
	v_or_b32_e32 v37, 2, v24
	v_lshrrev_b32_e32 v38, 16, v14
	v_or_b32_e32 v39, 4, v24
	v_cmp_gt_i32_e64 s1, s47, v19
	v_or_b32_e32 v40, 7, v24
	v_lshrrev_b32_e32 v41, 16, v16
	s_wait_alu 0xf1ff
	s_delay_alu instid0(VALU_DEP_3) | instskip(SKIP_3) | instid1(VALU_DEP_2)
	v_cndmask_b32_e64 v19, 0, v20, s1
	v_cmp_gt_i32_e64 s1, s38, v24
	v_or_b32_e32 v20, 3, v24
	s_wait_alu 0xf1ff
	v_cndmask_b32_e64 v13, 0, v13, s1
	v_cmp_gt_i32_e64 s1, s38, v37
	v_or_b32_e32 v37, 5, v24
	s_delay_alu instid0(VALU_DEP_3) | instskip(SKIP_1) | instid1(VALU_DEP_3)
	v_perm_b32 v13, v19, v13, 0x5040100
	s_wait_alu 0xf1ff
	v_cndmask_b32_e64 v14, 0, v14, s1
	v_cmp_gt_i32_e64 s1, s47, v20
	s_wait_alu 0xf1ff
	s_delay_alu instid0(VALU_DEP_1) | instskip(SKIP_2) | instid1(VALU_DEP_3)
	v_cndmask_b32_e64 v20, 0, v38, s1
	v_cmp_gt_i32_e64 s1, s38, v39
	v_or_b32_e32 v39, 6, v24
	v_perm_b32 v14, v20, v14, 0x5040100
	s_wait_alu 0xf1ff
	s_delay_alu instid0(VALU_DEP_3) | instskip(SKIP_3) | instid1(VALU_DEP_1)
	v_cndmask_b32_e64 v38, 0, v15, s1
	v_lshrrev_b32_e32 v15, 16, v15
	v_cmp_gt_i32_e64 s1, s47, v37
	s_wait_alu 0xf1ff
	v_cndmask_b32_e64 v15, 0, v15, s1
	v_cmp_gt_i32_e64 s1, s38, v39
	s_delay_alu instid0(VALU_DEP_2) | instskip(SKIP_1) | instid1(VALU_DEP_2)
	v_perm_b32 v15, v15, v38, 0x5040100
	s_wait_alu 0xf1ff
	v_cndmask_b32_e64 v16, 0, v16, s1
	v_cmp_gt_i32_e64 s1, s47, v40
	s_wait_alu 0xf1ff
	s_delay_alu instid0(VALU_DEP_1) | instskip(NEXT) | instid1(VALU_DEP_1)
	v_cndmask_b32_e64 v37, 0, v41, s1
	v_perm_b32 v16, v37, v16, 0x5040100
	s_wait_alu 0xfffe
	s_or_b32 exec_lo, exec_lo, s2
	global_load_b128 v[17:20], v[17:18], off offset:1024
	s_and_saveexec_b32 s2, s0
	s_cbranch_execnz .LBB136_47
	s_branch .LBB136_48
.LBB136_53:
	s_or_b32 exec_lo, exec_lo, s46
.LBB136_54:
	s_wait_alu 0xfffe
	s_or_b32 exec_lo, exec_lo, s35
	s_movk_i32 s0, 0x1e0
	v_and_b32_e32 v1, 0x3c0, v0
	s_wait_alu 0xfffe
	v_mad_u32_u24 v4, v23, s0, 0x110
	v_or_b32_e32 v3, 0x60, v0
	s_mov_b32 s0, exec_lo
	s_wait_loadcnt 0x0
	s_wait_storecnt 0x0
	s_barrier_signal -1
	s_barrier_wait -1
	global_inv scope:SCOPE_SE
	v_cmpx_eq_u32_e32 64, v1
	s_cbranch_execz .LBB136_57
; %bb.55:
	v_add_nc_u32_e32 v1, 0xfffffc40, v4
	v_cmp_gt_u32_e32 vcc_lo, 0x78, v3
	s_delay_alu instid0(VALU_DEP_2)
	v_lshl_add_u32 v2, v26, 2, v1
	ds_store_2addr_b32 v2, v31, v30 offset1:32
	ds_store_b32 v2, v29 offset:256
	s_and_b32 exec_lo, exec_lo, vcc_lo
; %bb.56:
	v_lshl_add_u32 v1, v3, 2, v1
	ds_store_b32 v1, v28
.LBB136_57:
	s_wait_alu 0xfffe
	s_or_b32 exec_lo, exec_lo, s0
	v_lshl_add_u32 v5, v26, 2, v4
	s_mov_b32 s0, exec_lo
	s_wait_loadcnt_dscnt 0x0
	s_barrier_signal -1
	s_barrier_wait -1
	global_inv scope:SCOPE_SE
	v_cmpx_gt_u32_e32 64, v0
	s_cbranch_execz .LBB136_61
; %bb.58:
	v_lshl_or_b32 v1, v0, 2, 0x80
	s_mov_b32 s1, exec_lo
	s_delay_alu instid0(VALU_DEP_1)
	v_add_nc_u32_e32 v6, v4, v1
	ds_load_2addr_stride64_b32 v[1:2], v5 offset1:1
	ds_load_b32 v6, v6
	v_cmpx_gt_u32_e32 0x78, v3
	s_cbranch_execz .LBB136_60
; %bb.59:
	v_lshl_add_u32 v7, v3, 2, v4
	ds_load_b32 v7, v7
	s_wait_dscnt 0x0
	v_add_f32_e32 v28, v28, v7
.LBB136_60:
	s_wait_alu 0xfffe
	s_or_b32 exec_lo, exec_lo, s1
	s_wait_dscnt 0x0
	v_dual_add_f32 v31, v31, v1 :: v_dual_add_f32 v30, v30, v6
	v_add_f32_e32 v29, v29, v2
.LBB136_61:
	s_wait_alu 0xfffe
	s_or_b32 exec_lo, exec_lo, s0
	v_and_b32_e32 v1, 0x3e0, v0
	s_mov_b32 s0, exec_lo
	s_wait_loadcnt 0x0
	s_barrier_signal -1
	s_barrier_wait -1
	global_inv scope:SCOPE_SE
	v_cmpx_eq_u32_e32 32, v1
	s_cbranch_execz .LBB136_64
; %bb.62:
	v_lshl_add_u32 v1, v26, 2, 0x110
	v_cmp_gt_u32_e32 vcc_lo, 0x78, v3
	ds_store_b32 v1, v31
	ds_store_b32 v27, v30
	ds_store_b32 v1, v29 offset:256
	s_and_b32 exec_lo, exec_lo, vcc_lo
; %bb.63:
	v_lshl_add_u32 v1, v3, 2, 0x110
	ds_store_b32 v1, v28
.LBB136_64:
	s_wait_alu 0xfffe
	s_or_b32 exec_lo, exec_lo, s0
	v_cmp_gt_u32_e32 vcc_lo, 32, v0
	s_wait_loadcnt_dscnt 0x0
	s_barrier_signal -1
	s_barrier_wait -1
	global_inv scope:SCOPE_SE
	s_and_saveexec_b32 s1, vcc_lo
	s_cbranch_execz .LBB136_68
; %bb.65:
	v_lshl_add_u32 v6, v0, 2, v4
	s_mov_b32 s2, exec_lo
	ds_load_b32 v4, v5
	ds_load_2addr_b32 v[1:2], v6 offset0:32 offset1:64
	v_cmpx_gt_u32_e32 0x78, v3
	s_cbranch_execz .LBB136_67
; %bb.66:
	ds_load_b32 v5, v6 offset:384
	s_wait_dscnt 0x0
	v_add_f32_e32 v28, v28, v5
.LBB136_67:
	s_wait_alu 0xfffe
	s_or_b32 exec_lo, exec_lo, s2
	s_wait_dscnt 0x0
	v_dual_add_f32 v31, v31, v4 :: v_dual_add_f32 v30, v30, v1
	v_add_f32_e32 v29, v29, v2
.LBB136_68:
	s_wait_alu 0xfffe
	s_or_b32 exec_lo, exec_lo, s1
	s_wait_loadcnt 0x0
	s_barrier_signal -1
	s_barrier_wait -1
	global_inv scope:SCOPE_SE
	s_and_saveexec_b32 s0, vcc_lo
	s_cbranch_execz .LBB136_71
; %bb.69:
	v_bfe_u32 v1, v31, 16, 1
	v_bfe_u32 v2, v30, 16, 1
	v_or_b32_e32 v5, 0x400000, v31
	v_cmp_u_f32_e32 vcc_lo, v31, v31
	v_bfe_u32 v4, v29, 16, 1
	v_add3_u32 v1, v1, v31, 0x7fff
	v_lshlrev_b32_e32 v0, 1, v0
	v_add3_u32 v2, v2, v30, 0x7fff
	v_or_b32_e32 v6, 0x400000, v30
	s_mul_i32 s0, s34, 0x78
	s_wait_alu 0xfffd
	v_cndmask_b32_e32 v1, v1, v5, vcc_lo
	v_cmp_u_f32_e32 vcc_lo, v30, v30
	s_mul_i32 s2, s27, s26
	s_wait_alu 0xfffe
	s_ashr_i32 s1, s0, 31
	v_add3_u32 v4, v4, v29, 0x7fff
	v_or_b32_e32 v7, 0x400000, v29
	s_wait_alu 0xfffd
	v_cndmask_b32_e32 v2, v2, v6, vcc_lo
	v_cmp_u_f32_e32 vcc_lo, v29, v29
	s_ashr_i32 s3, s2, 31
	s_wait_alu 0xfffe
	s_lshl_b64 s[0:1], s[0:1], 1
	s_lshl_b64 s[2:3], s[2:3], 1
	s_wait_kmcnt 0x0
	s_wait_alu 0xfffe
	s_add_nc_u64 s[0:1], s[30:31], s[0:1]
	s_wait_alu 0xfffd
	v_cndmask_b32_e32 v4, v4, v7, vcc_lo
	v_cmp_gt_u32_e32 vcc_lo, 0x78, v3
	s_mul_i32 s4, s33, 0xf0
	s_wait_alu 0xfffe
	s_add_nc_u64 s[0:1], s[0:1], s[2:3]
	s_mov_b32 s5, 0
	s_wait_alu 0xfffe
	s_add_nc_u64 s[0:1], s[0:1], s[4:5]
	s_clause 0x2
	global_store_d16_hi_b16 v0, v1, s[0:1]
	global_store_d16_hi_b16 v0, v2, s[0:1] offset:64
	global_store_d16_hi_b16 v0, v4, s[0:1] offset:128
	s_and_b32 exec_lo, exec_lo, vcc_lo
	s_cbranch_execz .LBB136_71
; %bb.70:
	v_bfe_u32 v1, v28, 16, 1
	v_or_b32_e32 v2, 0x400000, v28
	v_cmp_u_f32_e32 vcc_lo, v28, v28
	s_wait_alu 0xfffe
	v_add_co_u32 v0, s0, s0, v0
	v_add3_u32 v3, v1, v28, 0x7fff
	s_wait_alu 0xf1ff
	v_add_co_ci_u32_e64 v1, null, s1, 0, s0
	s_wait_alu 0xfffd
	s_delay_alu instid0(VALU_DEP_2)
	v_cndmask_b32_e32 v2, v3, v2, vcc_lo
	global_store_d16_hi_b16 v[0:1], v2, off offset:192
.LBB136_71:
	s_endpgm
	.section	.rodata,"a",@progbits
	.p2align	6, 0x0
	.amdhsa_kernel _ZN4vllm25paged_attention_v2_kernelI14__hip_bfloat16S1_Li120ELi8ELi128ELNS_18Fp8KVCacheDataTypeE0ELb1ELi512EEEvPfS3_PT_PKS4_PKT0_SA_ifPKiSC_iPKfiiiSE_SE_iiiii
		.amdhsa_group_segment_fixed_size 272
		.amdhsa_private_segment_fixed_size 0
		.amdhsa_kernarg_size 400
		.amdhsa_user_sgpr_count 2
		.amdhsa_user_sgpr_dispatch_ptr 0
		.amdhsa_user_sgpr_queue_ptr 0
		.amdhsa_user_sgpr_kernarg_segment_ptr 1
		.amdhsa_user_sgpr_dispatch_id 0
		.amdhsa_user_sgpr_private_segment_size 0
		.amdhsa_wavefront_size32 1
		.amdhsa_uses_dynamic_stack 0
		.amdhsa_enable_private_segment 0
		.amdhsa_system_sgpr_workgroup_id_x 1
		.amdhsa_system_sgpr_workgroup_id_y 1
		.amdhsa_system_sgpr_workgroup_id_z 1
		.amdhsa_system_sgpr_workgroup_info 0
		.amdhsa_system_vgpr_workitem_id 0
		.amdhsa_next_free_vgpr 67
		.amdhsa_next_free_sgpr 51
		.amdhsa_reserve_vcc 1
		.amdhsa_float_round_mode_32 0
		.amdhsa_float_round_mode_16_64 0
		.amdhsa_float_denorm_mode_32 3
		.amdhsa_float_denorm_mode_16_64 3
		.amdhsa_fp16_overflow 0
		.amdhsa_workgroup_processor_mode 1
		.amdhsa_memory_ordered 1
		.amdhsa_forward_progress 1
		.amdhsa_inst_pref_size 77
		.amdhsa_round_robin_scheduling 0
		.amdhsa_exception_fp_ieee_invalid_op 0
		.amdhsa_exception_fp_denorm_src 0
		.amdhsa_exception_fp_ieee_div_zero 0
		.amdhsa_exception_fp_ieee_overflow 0
		.amdhsa_exception_fp_ieee_underflow 0
		.amdhsa_exception_fp_ieee_inexact 0
		.amdhsa_exception_int_div_zero 0
	.end_amdhsa_kernel
	.section	.text._ZN4vllm25paged_attention_v2_kernelI14__hip_bfloat16S1_Li120ELi8ELi128ELNS_18Fp8KVCacheDataTypeE0ELb1ELi512EEEvPfS3_PT_PKS4_PKT0_SA_ifPKiSC_iPKfiiiSE_SE_iiiii,"axG",@progbits,_ZN4vllm25paged_attention_v2_kernelI14__hip_bfloat16S1_Li120ELi8ELi128ELNS_18Fp8KVCacheDataTypeE0ELb1ELi512EEEvPfS3_PT_PKS4_PKT0_SA_ifPKiSC_iPKfiiiSE_SE_iiiii,comdat
.Lfunc_end136:
	.size	_ZN4vllm25paged_attention_v2_kernelI14__hip_bfloat16S1_Li120ELi8ELi128ELNS_18Fp8KVCacheDataTypeE0ELb1ELi512EEEvPfS3_PT_PKS4_PKT0_SA_ifPKiSC_iPKfiiiSE_SE_iiiii, .Lfunc_end136-_ZN4vllm25paged_attention_v2_kernelI14__hip_bfloat16S1_Li120ELi8ELi128ELNS_18Fp8KVCacheDataTypeE0ELb1ELi512EEEvPfS3_PT_PKS4_PKT0_SA_ifPKiSC_iPKfiiiSE_SE_iiiii
                                        ; -- End function
	.set _ZN4vllm25paged_attention_v2_kernelI14__hip_bfloat16S1_Li120ELi8ELi128ELNS_18Fp8KVCacheDataTypeE0ELb1ELi512EEEvPfS3_PT_PKS4_PKT0_SA_ifPKiSC_iPKfiiiSE_SE_iiiii.num_vgpr, 67
	.set _ZN4vllm25paged_attention_v2_kernelI14__hip_bfloat16S1_Li120ELi8ELi128ELNS_18Fp8KVCacheDataTypeE0ELb1ELi512EEEvPfS3_PT_PKS4_PKT0_SA_ifPKiSC_iPKfiiiSE_SE_iiiii.num_agpr, 0
	.set _ZN4vllm25paged_attention_v2_kernelI14__hip_bfloat16S1_Li120ELi8ELi128ELNS_18Fp8KVCacheDataTypeE0ELb1ELi512EEEvPfS3_PT_PKS4_PKT0_SA_ifPKiSC_iPKfiiiSE_SE_iiiii.numbered_sgpr, 51
	.set _ZN4vllm25paged_attention_v2_kernelI14__hip_bfloat16S1_Li120ELi8ELi128ELNS_18Fp8KVCacheDataTypeE0ELb1ELi512EEEvPfS3_PT_PKS4_PKT0_SA_ifPKiSC_iPKfiiiSE_SE_iiiii.num_named_barrier, 0
	.set _ZN4vllm25paged_attention_v2_kernelI14__hip_bfloat16S1_Li120ELi8ELi128ELNS_18Fp8KVCacheDataTypeE0ELb1ELi512EEEvPfS3_PT_PKS4_PKT0_SA_ifPKiSC_iPKfiiiSE_SE_iiiii.private_seg_size, 0
	.set _ZN4vllm25paged_attention_v2_kernelI14__hip_bfloat16S1_Li120ELi8ELi128ELNS_18Fp8KVCacheDataTypeE0ELb1ELi512EEEvPfS3_PT_PKS4_PKT0_SA_ifPKiSC_iPKfiiiSE_SE_iiiii.uses_vcc, 1
	.set _ZN4vllm25paged_attention_v2_kernelI14__hip_bfloat16S1_Li120ELi8ELi128ELNS_18Fp8KVCacheDataTypeE0ELb1ELi512EEEvPfS3_PT_PKS4_PKT0_SA_ifPKiSC_iPKfiiiSE_SE_iiiii.uses_flat_scratch, 0
	.set _ZN4vllm25paged_attention_v2_kernelI14__hip_bfloat16S1_Li120ELi8ELi128ELNS_18Fp8KVCacheDataTypeE0ELb1ELi512EEEvPfS3_PT_PKS4_PKT0_SA_ifPKiSC_iPKfiiiSE_SE_iiiii.has_dyn_sized_stack, 0
	.set _ZN4vllm25paged_attention_v2_kernelI14__hip_bfloat16S1_Li120ELi8ELi128ELNS_18Fp8KVCacheDataTypeE0ELb1ELi512EEEvPfS3_PT_PKS4_PKT0_SA_ifPKiSC_iPKfiiiSE_SE_iiiii.has_recursion, 0
	.set _ZN4vllm25paged_attention_v2_kernelI14__hip_bfloat16S1_Li120ELi8ELi128ELNS_18Fp8KVCacheDataTypeE0ELb1ELi512EEEvPfS3_PT_PKS4_PKT0_SA_ifPKiSC_iPKfiiiSE_SE_iiiii.has_indirect_call, 0
	.section	.AMDGPU.csdata,"",@progbits
; Kernel info:
; codeLenInByte = 9732
; TotalNumSgprs: 53
; NumVgprs: 67
; ScratchSize: 0
; MemoryBound: 0
; FloatMode: 240
; IeeeMode: 1
; LDSByteSize: 272 bytes/workgroup (compile time only)
; SGPRBlocks: 0
; VGPRBlocks: 8
; NumSGPRsForWavesPerEU: 53
; NumVGPRsForWavesPerEU: 67
; Occupancy: 16
; WaveLimiterHint : 1
; COMPUTE_PGM_RSRC2:SCRATCH_EN: 0
; COMPUTE_PGM_RSRC2:USER_SGPR: 2
; COMPUTE_PGM_RSRC2:TRAP_HANDLER: 0
; COMPUTE_PGM_RSRC2:TGID_X_EN: 1
; COMPUTE_PGM_RSRC2:TGID_Y_EN: 1
; COMPUTE_PGM_RSRC2:TGID_Z_EN: 1
; COMPUTE_PGM_RSRC2:TIDIG_COMP_CNT: 0
	.section	.text._ZN4vllm32paged_attention_v2_reduce_kernelI14__hip_bfloat16Li120ELi128ELi512EEEvPT_PKfS5_PKS2_PKii,"axG",@progbits,_ZN4vllm32paged_attention_v2_reduce_kernelI14__hip_bfloat16Li120ELi128ELi512EEEvPT_PKfS5_PKS2_PKii,comdat
	.protected	_ZN4vllm32paged_attention_v2_reduce_kernelI14__hip_bfloat16Li120ELi128ELi512EEEvPT_PKfS5_PKS2_PKii ; -- Begin function _ZN4vllm32paged_attention_v2_reduce_kernelI14__hip_bfloat16Li120ELi128ELi512EEEvPT_PKfS5_PKS2_PKii
	.globl	_ZN4vllm32paged_attention_v2_reduce_kernelI14__hip_bfloat16Li120ELi128ELi512EEEvPT_PKfS5_PKS2_PKii
	.p2align	8
	.type	_ZN4vllm32paged_attention_v2_reduce_kernelI14__hip_bfloat16Li120ELi128ELi512EEEvPT_PKfS5_PKS2_PKii,@function
_ZN4vllm32paged_attention_v2_reduce_kernelI14__hip_bfloat16Li120ELi128ELi512EEEvPT_PKfS5_PKS2_PKii: ; @_ZN4vllm32paged_attention_v2_reduce_kernelI14__hip_bfloat16Li120ELi128ELi512EEEvPT_PKfS5_PKS2_PKii
; %bb.0:
	s_load_b128 s[4:7], s[0:1], 0x18
	s_mov_b32 s2, ttmp7
	s_ashr_i32 s3, ttmp7, 31
	s_add_nc_u64 s[8:9], s[0:1], 48
	s_lshl_b64 s[2:3], s[2:3], 2
	s_wait_kmcnt 0x0
	s_add_nc_u64 s[2:3], s[6:7], s[2:3]
	s_load_b32 s18, s[2:3], 0x0
	s_clause 0x2
	s_load_b64 s[6:7], s[0:1], 0x0
	s_load_b32 s14, s[0:1], 0x28
	s_load_b32 s15, s[0:1], 0x30
	s_wait_kmcnt 0x0
	s_add_co_i32 s2, s18, -1
	s_delay_alu instid0(SALU_CYCLE_1)
	s_cmp_gt_u32 s2, 0x1ff
	s_mov_b32 s2, -1
	s_cbranch_scc0 .LBB137_26
; %bb.1:
	s_add_co_i32 s2, s18, 0x1ff
	s_mul_i32 s16, s15, ttmp7
	s_ashr_i32 s3, s2, 31
	v_dual_mov_b32 v4, 0xff7fffff :: v_dual_lshlrev_b32 v3, 2, v0
	s_lshr_b32 s3, s3, 23
	s_mul_i32 s12, s16, s14
	s_add_co_i32 s2, s2, s3
	s_mul_i32 s10, s14, ttmp9
	s_ashr_i32 s17, s2, 9
	s_ashr_i32 s13, s12, 31
	v_cmp_gt_i32_e32 vcc_lo, s17, v0
	s_ashr_i32 s11, s10, 31
	s_and_saveexec_b32 s3, vcc_lo
	s_cbranch_execz .LBB137_5
; %bb.2:
	s_load_b64 s[20:21], s[0:1], 0x10
	s_load_b32 s2, s[8:9], 0xc
	s_lshl_b64 s[22:23], s[12:13], 2
	s_lshl_b64 s[24:25], s[10:11], 2
	v_dual_mov_b32 v4, 0xff7fffff :: v_dual_add_nc_u32 v5, 32, v3
	s_add_nc_u64 s[22:23], s[22:23], s[24:25]
	v_mov_b32_e32 v6, v0
	s_wait_kmcnt 0x0
	s_add_nc_u64 s[20:21], s[20:21], s[22:23]
	s_delay_alu instid0(SALU_CYCLE_1) | instskip(NEXT) | instid1(VALU_DEP_1)
	v_add_co_u32 v1, s19, s20, v3
	v_add_co_ci_u32_e64 v2, null, s21, 0, s19
	s_and_b32 s20, s2, 0xffff
	s_mov_b32 s19, 0
	s_wait_alu 0xfffe
	s_lshl_b32 s21, s20, 2
.LBB137_3:                              ; =>This Inner Loop Header: Depth=1
	global_load_b32 v7, v[1:2], off
	v_add_nc_u32_e32 v6, s20, v6
	v_max_num_f32_e32 v4, v4, v4
	s_wait_alu 0xfffe
	v_add_co_u32 v1, s2, v1, s21
	s_wait_alu 0xf1ff
	v_add_co_ci_u32_e64 v2, null, 0, v2, s2
	v_cmp_le_i32_e64 s2, s17, v6
	s_or_b32 s19, s2, s19
	s_wait_loadcnt 0x0
	v_max_num_f32_e32 v8, v7, v7
	ds_store_b32 v5, v7
	v_dual_max_num_f32 v4, v4, v8 :: v_dual_add_nc_u32 v5, s21, v5
	s_wait_alu 0xfffe
	s_and_not1_b32 exec_lo, exec_lo, s19
	s_cbranch_execnz .LBB137_3
; %bb.4:
	s_or_b32 exec_lo, exec_lo, s19
.LBB137_5:
	s_delay_alu instid0(SALU_CYCLE_1)
	s_or_b32 exec_lo, exec_lo, s3
	v_mbcnt_lo_u32_b32 v1, -1, 0
	s_load_b64 s[2:3], s[0:1], 0x8
	s_wait_dscnt 0x0
	s_barrier_signal -1
	s_barrier_wait -1
	v_xor_b32_e32 v2, 16, v1
	v_xor_b32_e32 v5, 8, v1
	global_inv scope:SCOPE_SE
	v_cmp_gt_i32_e64 s0, 32, v2
	s_delay_alu instid0(VALU_DEP_1) | instskip(SKIP_1) | instid1(VALU_DEP_2)
	v_cndmask_b32_e64 v2, v1, v2, s0
	v_cmp_gt_i32_e64 s0, 32, v5
	v_lshlrev_b32_e32 v6, 2, v2
	s_wait_alu 0xf1ff
	s_delay_alu instid0(VALU_DEP_2) | instskip(SKIP_3) | instid1(VALU_DEP_1)
	v_cndmask_b32_e64 v5, v1, v5, s0
	ds_bpermute_b32 v2, v6, v4
	v_dual_max_num_f32 v4, v4, v4 :: v_dual_lshlrev_b32 v7, 2, v5
	v_xor_b32_e32 v5, 4, v1
	v_cmp_gt_i32_e64 s0, 32, v5
	s_wait_alu 0xf1ff
	s_delay_alu instid0(VALU_DEP_1) | instskip(NEXT) | instid1(VALU_DEP_1)
	v_cndmask_b32_e64 v5, v1, v5, s0
	v_lshlrev_b32_e32 v8, 2, v5
	v_xor_b32_e32 v5, 2, v1
	s_wait_dscnt 0x0
	v_max_num_f32_e32 v2, v2, v2
	s_delay_alu instid0(VALU_DEP_2) | instskip(NEXT) | instid1(VALU_DEP_2)
	v_cmp_gt_i32_e64 s0, 32, v5
	v_max_num_f32_e32 v2, v4, v2
	s_wait_alu 0xf1ff
	s_delay_alu instid0(VALU_DEP_2) | instskip(SKIP_3) | instid1(VALU_DEP_1)
	v_cndmask_b32_e64 v5, v1, v5, s0
	ds_bpermute_b32 v4, v7, v2
	s_wait_dscnt 0x0
	v_max_num_f32_e32 v4, v4, v4
	v_max_num_f32_e32 v2, v2, v4
	ds_bpermute_b32 v4, v8, v2
	s_wait_dscnt 0x0
	v_dual_max_num_f32 v9, v4, v4 :: v_dual_lshlrev_b32 v4, 2, v5
	s_delay_alu instid0(VALU_DEP_1) | instskip(SKIP_4) | instid1(VALU_DEP_1)
	v_max_num_f32_e32 v2, v2, v9
	v_xor_b32_e32 v9, 1, v1
	ds_bpermute_b32 v5, v4, v2
	v_cmp_gt_i32_e64 s0, 32, v9
	s_wait_alu 0xf1ff
	v_cndmask_b32_e64 v1, v1, v9, s0
	v_lshrrev_b32_e32 v9, 5, v0
	s_delay_alu instid0(VALU_DEP_1) | instskip(SKIP_2) | instid1(VALU_DEP_1)
	v_lshlrev_b32_e32 v9, 2, v9
	s_wait_dscnt 0x0
	v_max_num_f32_e32 v5, v5, v5
	v_max_num_f32_e32 v2, v2, v5
	v_lshlrev_b32_e32 v5, 2, v1
	v_and_b32_e32 v1, 31, v0
	ds_bpermute_b32 v10, v5, v2
	v_cmp_eq_u32_e64 s0, 0, v1
	s_and_saveexec_b32 s1, s0
	s_cbranch_execz .LBB137_7
; %bb.6:
	s_wait_dscnt 0x0
	v_max_num_f32_e32 v10, v10, v10
	v_max_num_f32_e32 v2, v2, v2
	s_delay_alu instid0(VALU_DEP_1)
	v_max_num_f32_e32 v2, v2, v10
	ds_store_b32 v9, v2
.LBB137_7:
	s_wait_alu 0xfffe
	s_or_b32 exec_lo, exec_lo, s1
	v_cmp_gt_u32_e64 s1, 4, v1
	v_mov_b32_e32 v2, 0xff7fffff
	s_wait_dscnt 0x0
	v_lshlrev_b32_e32 v10, 2, v1
	s_wait_loadcnt 0x0
	s_barrier_signal -1
	s_barrier_wait -1
	global_inv scope:SCOPE_SE
	s_and_saveexec_b32 s19, s1
; %bb.8:
	ds_load_b32 v2, v10
; %bb.9:
	s_wait_alu 0xfffe
	s_or_b32 exec_lo, exec_lo, s19
	s_wait_dscnt 0x0
	ds_bpermute_b32 v1, v4, v2
	v_max_num_f32_e32 v2, v2, v2
	s_lshl_b32 s19, s17, 2
	v_mov_b32_e32 v11, 0
	s_wait_dscnt 0x0
	v_max_num_f32_e32 v1, v1, v1
	s_delay_alu instid0(VALU_DEP_1) | instskip(SKIP_3) | instid1(VALU_DEP_1)
	v_max_num_f32_e32 v1, v2, v1
	ds_bpermute_b32 v2, v5, v1
	s_wait_dscnt 0x0
	v_max_num_f32_e32 v2, v2, v2
	v_max_num_f32_e32 v1, v1, v2
	ds_bpermute_b32 v12, v11, v1
	s_and_saveexec_b32 s20, vcc_lo
	s_cbranch_execz .LBB137_13
; %bb.10:
	s_load_b32 s21, s[8:9], 0xc
	s_lshl_b64 s[22:23], s[12:13], 2
	s_lshl_b64 s[24:25], s[10:11], 2
	v_mov_b32_e32 v11, 0
	s_add_nc_u64 s[22:23], s[22:23], s[24:25]
	v_mov_b32_e32 v13, v0
	s_wait_kmcnt 0x0
	s_add_nc_u64 s[2:3], s[2:3], s[22:23]
	s_wait_alu 0xfffe
	v_add_co_u32 v1, s2, s2, v3
	s_wait_alu 0xf1ff
	v_add_co_ci_u32_e64 v2, null, s3, 0, s2
	v_add_nc_u32_e32 v3, 32, v3
	s_mov_b32 s3, 0
	s_and_b32 s11, s21, 0xffff
	s_delay_alu instid0(SALU_CYCLE_1)
	s_lshl_b32 s13, s11, 2
.LBB137_11:                             ; =>This Inner Loop Header: Depth=1
	global_load_b32 v14, v[1:2], off
	ds_load_b32 v15, v3
	v_add_nc_u32_e32 v13, s11, v13
	s_wait_dscnt 0x0
	v_sub_f32_e32 v15, v15, v12
	s_delay_alu instid0(VALU_DEP_1) | instskip(NEXT) | instid1(VALU_DEP_1)
	v_mul_f32_e32 v16, 0x3fb8aa3b, v15
	v_fma_f32 v17, 0x3fb8aa3b, v15, -v16
	v_rndne_f32_e32 v18, v16
	s_delay_alu instid0(VALU_DEP_1) | instskip(SKIP_1) | instid1(VALU_DEP_4)
	v_sub_f32_e32 v16, v16, v18
	v_cmp_ngt_f32_e32 vcc_lo, 0xc2ce8ed0, v15
	v_fmac_f32_e32 v17, 0x32a5705f, v15
	v_cmp_nlt_f32_e64 s2, 0x42b17218, v15
	s_delay_alu instid0(VALU_DEP_2) | instskip(SKIP_1) | instid1(VALU_DEP_2)
	v_add_f32_e32 v16, v16, v17
	v_cvt_i32_f32_e32 v17, v18
	v_exp_f32_e32 v16, v16
	s_delay_alu instid0(TRANS32_DEP_1) | instskip(SKIP_2) | instid1(VALU_DEP_2)
	v_ldexp_f32 v16, v16, v17
	v_add_nc_u32_e32 v17, s19, v3
	s_wait_alu 0xfffd
	v_dual_cndmask_b32 v16, 0, v16 :: v_dual_add_nc_u32 v3, s13, v3
	v_add_co_u32 v1, vcc_lo, v1, s13
	s_wait_alu 0xfffd
	v_add_co_ci_u32_e64 v2, null, 0, v2, vcc_lo
	s_wait_alu 0xf1ff
	v_cndmask_b32_e64 v15, 0x7f800000, v16, s2
	v_cmp_le_i32_e32 vcc_lo, s17, v13
	s_wait_alu 0xfffe
	s_or_b32 s3, vcc_lo, s3
	s_wait_loadcnt 0x0
	v_mul_f32_e32 v16, v14, v15
	v_fmac_f32_e32 v11, v14, v15
	ds_store_b32 v17, v16
	s_wait_alu 0xfffe
	s_and_not1_b32 exec_lo, exec_lo, s3
	s_cbranch_execnz .LBB137_11
; %bb.12:
	s_or_b32 exec_lo, exec_lo, s3
.LBB137_13:
	s_wait_alu 0xfffe
	s_or_b32 exec_lo, exec_lo, s20
	ds_bpermute_b32 v1, v6, v11
	s_wait_loadcnt_dscnt 0x0
	s_barrier_signal -1
	s_barrier_wait -1
	global_inv scope:SCOPE_SE
	v_add_f32_e32 v1, v11, v1
	ds_bpermute_b32 v2, v7, v1
	s_wait_dscnt 0x0
	v_add_f32_e32 v1, v1, v2
	ds_bpermute_b32 v2, v8, v1
	s_wait_dscnt 0x0
	;; [unrolled: 3-line block ×4, first 2 shown]
	v_add_f32_e32 v1, v1, v2
	s_wait_kmcnt 0x0
	s_and_saveexec_b32 s2, s0
; %bb.14:
	ds_store_b32 v9, v1 offset:16
; %bb.15:
	s_wait_alu 0xfffe
	s_or_b32 exec_lo, exec_lo, s2
	s_wait_loadcnt_dscnt 0x0
	s_barrier_signal -1
	s_barrier_wait -1
	global_inv scope:SCOPE_SE
	s_and_saveexec_b32 s0, s1
; %bb.16:
	ds_load_b32 v1, v10 offset:16
; %bb.17:
	s_wait_alu 0xfffe
	s_or_b32 exec_lo, exec_lo, s0
	s_wait_dscnt 0x0
	ds_bpermute_b32 v2, v4, v1
	s_mov_b32 s0, exec_lo
	s_wait_dscnt 0x0
	v_add_f32_e32 v1, v1, v2
	ds_bpermute_b32 v2, v5, v1
	s_wait_dscnt 0x0
	v_dual_add_f32 v1, v1, v2 :: v_dual_mov_b32 v2, 0
	ds_bpermute_b32 v2, v2, v1
	v_cmpx_gt_u32_e32 0x78, v0
	s_cbranch_execz .LBB137_25
; %bb.18:
	s_cmp_gt_i32 s18, 0
	s_mov_b32 s1, 0
	s_cbranch_scc1 .LBB137_20
; %bb.19:
	v_mov_b32_e32 v1, 0
	v_mov_b32_e32 v3, 0
	s_wait_alu 0xfffe
	s_and_not1_b32 vcc_lo, exec_lo, s1
	s_wait_alu 0xfffe
	s_cbranch_vccz .LBB137_21
	s_branch .LBB137_24
.LBB137_20:
	v_mov_b32_e32 v3, 0
.LBB137_21:
	s_wait_dscnt 0x0
	v_add_f32_e32 v4, 0x358637bd, v2
	s_mul_i32 s2, s12, 0x78
	s_mulk_i32 s10, 0x78
	s_wait_alu 0xfffe
	s_ashr_i32 s3, s2, 31
	s_ashr_i32 s11, s10, 31
	v_div_scale_f32 v2, null, v4, v4, 1.0
	s_wait_alu 0xfffe
	s_lshl_b64 s[2:3], s[2:3], 1
	s_lshl_b64 s[10:11], s[10:11], 1
	s_wait_alu 0xfffe
	s_add_nc_u64 s[2:3], s[2:3], s[10:11]
	v_rcp_f32_e32 v3, v2
	s_wait_alu 0xfffe
	s_add_nc_u64 s[2:3], s[4:5], s[2:3]
	s_delay_alu instid0(TRANS32_DEP_1) | instskip(NEXT) | instid1(VALU_DEP_1)
	v_fma_f32 v1, -v2, v3, 1.0
	v_fmac_f32_e32 v3, v1, v3
	v_div_scale_f32 v5, vcc_lo, 1.0, v4, 1.0
	s_delay_alu instid0(VALU_DEP_1) | instskip(NEXT) | instid1(VALU_DEP_1)
	v_mul_f32_e32 v6, v5, v3
	v_fma_f32 v1, -v2, v6, v5
	s_delay_alu instid0(VALU_DEP_1) | instskip(NEXT) | instid1(VALU_DEP_1)
	v_dual_fmac_f32 v6, v1, v3 :: v_dual_mov_b32 v1, 0
	v_fma_f32 v2, -v2, v6, v5
	v_lshlrev_b32_e32 v5, 1, v0
	s_wait_alu 0xfffd
	s_delay_alu instid0(VALU_DEP_2) | instskip(SKIP_1) | instid1(VALU_DEP_2)
	v_div_fmas_f32 v6, v2, v3, v6
	s_wait_alu 0xfffe
	v_add_co_u32 v2, s1, s2, v5
	s_wait_alu 0xf1ff
	v_add_co_ci_u32_e64 v3, null, s3, 0, s1
	v_div_fixup_f32 v4, v6, v4, 1.0
	v_mov_b32_e32 v5, v1
	s_max_i32 s1, s17, 1
	s_add_co_i32 s2, s19, 32
.LBB137_22:                             ; =>This Inner Loop Header: Depth=1
	global_load_u16 v6, v[2:3], off
	s_wait_alu 0xfffe
	v_mov_b32_e32 v7, s2
	v_add_co_u32 v2, vcc_lo, 0xf0, v2
	s_wait_alu 0xfffd
	v_add_co_ci_u32_e64 v3, null, 0, v3, vcc_lo
	s_add_co_i32 s1, s1, -1
	s_add_co_i32 s2, s2, 4
	s_wait_alu 0xfffe
	s_cmp_eq_u32 s1, 0
	s_wait_loadcnt 0x0
	v_lshlrev_b32_e32 v6, 16, v6
	ds_load_b32 v7, v7
	s_wait_dscnt 0x0
	v_mul_f32_e32 v6, v7, v6
	s_delay_alu instid0(VALU_DEP_1)
	v_fmac_f32_e32 v5, v4, v6
	s_cbranch_scc0 .LBB137_22
; %bb.23:
	s_delay_alu instid0(VALU_DEP_1) | instskip(SKIP_2) | instid1(VALU_DEP_3)
	v_bfe_u32 v2, v5, 16, 1
	v_or_b32_e32 v3, 0x400000, v5
	v_cmp_u_f32_e32 vcc_lo, v5, v5
	v_add3_u32 v2, v2, v5, 0x7fff
	s_wait_alu 0xfffd
	s_delay_alu instid0(VALU_DEP_1) | instskip(NEXT) | instid1(VALU_DEP_1)
	v_cndmask_b32_e32 v2, v2, v3, vcc_lo
	v_lshrrev_b32_e32 v3, 16, v2
.LBB137_24:
	s_mul_i32 s2, s16, 0x78
	s_mul_i32 s10, ttmp9, 0x78
	s_wait_alu 0xfffe
	s_ashr_i32 s3, s2, 31
	s_ashr_i32 s11, s10, 31
	s_wait_alu 0xfffe
	s_lshl_b64 s[2:3], s[2:3], 1
	s_wait_dscnt 0x0
	v_lshlrev_b64_e32 v[1:2], 1, v[0:1]
	s_lshl_b64 s[10:11], s[10:11], 1
	s_wait_alu 0xfffe
	s_add_nc_u64 s[2:3], s[6:7], s[2:3]
	s_wait_alu 0xfffe
	s_add_nc_u64 s[2:3], s[2:3], s[10:11]
	s_wait_alu 0xfffe
	v_add_co_u32 v1, vcc_lo, s2, v1
	s_wait_alu 0xfffd
	v_add_co_ci_u32_e64 v2, null, s3, v2, vcc_lo
	global_store_b16 v[1:2], v3, off
.LBB137_25:
	s_wait_alu 0xfffe
	s_or_b32 exec_lo, exec_lo, s0
	s_mov_b32 s2, 0
.LBB137_26:
	s_wait_alu 0xfffe
	s_and_b32 vcc_lo, exec_lo, s2
	s_wait_alu 0xfffe
	s_cbranch_vccz .LBB137_35
; %bb.27:
	s_mov_b32 s0, exec_lo
	v_cmpx_gt_u32_e32 0x78, v0
	s_cbranch_execz .LBB137_35
; %bb.28:
	s_load_b32 s0, s[8:9], 0xc
	s_mul_i32 s1, s15, ttmp7
	s_mul_i32 s8, ttmp9, 0x78
	s_wait_alu 0xfffe
	s_mul_i32 s12, s1, 0x78
	s_mul_i32 s2, s8, s14
	s_wait_alu 0xfffe
	s_mul_i32 s10, s12, s14
	v_cmp_gt_u32_e32 vcc_lo, 0x75, v0
	s_ashr_i32 s9, s8, 31
	s_ashr_i32 s13, s12, 31
	;; [unrolled: 1-line block ×3, first 2 shown]
	s_wait_alu 0xfffe
	s_ashr_i32 s11, s10, 31
	s_wait_kmcnt 0x0
	s_and_b32 s1, s0, 0xffff
	s_wait_alu 0xfffe
	s_cmp_eq_u32 s1, 1
	s_cselect_b32 s0, -1, 0
	s_wait_alu 0xfffe
	s_and_b32 s15, vcc_lo, s0
	s_mov_b32 s0, -1
	s_and_saveexec_b32 s14, s15
	s_cbranch_execz .LBB137_32
; %bb.29:
	s_lshl_b64 s[16:17], s[10:11], 1
	s_lshl_b64 s[18:19], s[2:3], 1
	v_lshlrev_b32_e32 v1, 1, v0
	s_wait_alu 0xfffe
	s_add_nc_u64 s[16:17], s[16:17], s[18:19]
	s_lshl_b64 s[18:19], s[12:13], 1
	s_lshl_b64 s[20:21], s[8:9], 1
	s_wait_alu 0xfffe
	s_add_nc_u64 s[16:17], s[4:5], s[16:17]
	s_add_nc_u64 s[18:19], s[18:19], s[20:21]
	s_wait_dscnt 0x0
	s_wait_alu 0xfffe
	v_add_co_u32 v2, s0, s16, v1
	v_sub_nc_u32_e32 v5, 0x78, v0
	s_wait_alu 0xf1ff
	v_add_co_ci_u32_e64 v3, null, s17, 0, s0
	s_add_nc_u64 s[16:17], s[6:7], s[18:19]
	s_mov_b32 s15, 0
	s_wait_alu 0xfffe
	v_add_co_u32 v4, s0, s16, v1
	v_and_b32_e32 v6, 0x7c, v5
	s_wait_alu 0xf1ff
	v_add_co_ci_u32_e64 v7, null, s17, 0, s0
	v_add_co_u32 v1, vcc_lo, v2, 4
	s_wait_alu 0xfffd
	v_add_co_ci_u32_e64 v2, null, 0, v3, vcc_lo
	v_add_co_u32 v3, vcc_lo, v4, 4
	s_wait_alu 0xfffd
	v_add_co_ci_u32_e64 v4, null, 0, v7, vcc_lo
	v_mov_b32_e32 v7, v6
.LBB137_30:                             ; =>This Inner Loop Header: Depth=1
	global_load_b64 v[8:9], v[1:2], off offset:-4
	v_add_nc_u32_e32 v7, -4, v7
	v_add_co_u32 v1, vcc_lo, v1, 8
	s_wait_alu 0xfffd
	v_add_co_ci_u32_e64 v2, null, 0, v2, vcc_lo
	s_delay_alu instid0(VALU_DEP_3)
	v_cmp_eq_u32_e32 vcc_lo, 0, v7
	s_or_b32 s15, vcc_lo, s15
	s_wait_loadcnt 0x0
	global_store_b64 v[3:4], v[8:9], off offset:-4
	v_add_co_u32 v3, s0, v3, 8
	s_wait_alu 0xf1ff
	v_add_co_ci_u32_e64 v4, null, 0, v4, s0
	s_and_not1_b32 exec_lo, exec_lo, s15
	s_cbranch_execnz .LBB137_30
; %bb.31:
	s_or_b32 exec_lo, exec_lo, s15
	v_cmp_ne_u32_e32 vcc_lo, v5, v6
	v_add_nc_u32_e32 v0, v0, v6
	s_or_not1_b32 s0, vcc_lo, exec_lo
.LBB137_32:
	s_or_b32 exec_lo, exec_lo, s14
	s_wait_alu 0xfffe
	s_and_b32 exec_lo, exec_lo, s0
	s_cbranch_execz .LBB137_35
; %bb.33:
	s_lshl_b64 s[12:13], s[12:13], 1
	s_lshl_b64 s[10:11], s[10:11], 1
	s_wait_dscnt 0x0
	v_dual_mov_b32 v2, 0 :: v_dual_lshlrev_b32 v1, 1, v0
	s_lshl_b64 s[8:9], s[8:9], 1
	s_wait_alu 0xfffe
	s_add_nc_u64 s[6:7], s[6:7], s[12:13]
	s_add_nc_u64 s[4:5], s[4:5], s[10:11]
	s_lshl_b64 s[2:3], s[2:3], 1
	s_add_nc_u64 s[6:7], s[6:7], s[8:9]
	s_wait_alu 0xfffe
	s_add_nc_u64 s[2:3], s[4:5], s[2:3]
	s_mov_b32 s4, 0
	s_lshl_b32 s5, s1, 1
.LBB137_34:                             ; =>This Inner Loop Header: Depth=1
	s_wait_alu 0xfffe
	v_add_co_u32 v3, vcc_lo, s2, v1
	s_wait_alu 0xfffd
	v_add_co_ci_u32_e64 v4, null, s3, v2, vcc_lo
	v_add_nc_u32_e32 v0, s1, v0
	global_load_u16 v5, v[3:4], off
	v_add_co_u32 v3, vcc_lo, s6, v1
	s_wait_alu 0xfffd
	v_add_co_ci_u32_e64 v4, null, s7, v2, vcc_lo
	v_cmp_lt_u32_e32 vcc_lo, 0x77, v0
	v_add_co_u32 v1, s0, v1, s5
	s_wait_alu 0xf1ff
	v_add_co_ci_u32_e64 v2, null, 0, v2, s0
	s_or_b32 s4, vcc_lo, s4
	s_wait_loadcnt 0x0
	global_store_b16 v[3:4], v5, off
	s_wait_alu 0xfffe
	s_and_not1_b32 exec_lo, exec_lo, s4
	s_cbranch_execnz .LBB137_34
.LBB137_35:
	s_endpgm
	.section	.rodata,"a",@progbits
	.p2align	6, 0x0
	.amdhsa_kernel _ZN4vllm32paged_attention_v2_reduce_kernelI14__hip_bfloat16Li120ELi128ELi512EEEvPT_PKfS5_PKS2_PKii
		.amdhsa_group_segment_fixed_size 32
		.amdhsa_private_segment_fixed_size 0
		.amdhsa_kernarg_size 304
		.amdhsa_user_sgpr_count 2
		.amdhsa_user_sgpr_dispatch_ptr 0
		.amdhsa_user_sgpr_queue_ptr 0
		.amdhsa_user_sgpr_kernarg_segment_ptr 1
		.amdhsa_user_sgpr_dispatch_id 0
		.amdhsa_user_sgpr_private_segment_size 0
		.amdhsa_wavefront_size32 1
		.amdhsa_uses_dynamic_stack 0
		.amdhsa_enable_private_segment 0
		.amdhsa_system_sgpr_workgroup_id_x 1
		.amdhsa_system_sgpr_workgroup_id_y 1
		.amdhsa_system_sgpr_workgroup_id_z 0
		.amdhsa_system_sgpr_workgroup_info 0
		.amdhsa_system_vgpr_workitem_id 0
		.amdhsa_next_free_vgpr 19
		.amdhsa_next_free_sgpr 26
		.amdhsa_reserve_vcc 1
		.amdhsa_float_round_mode_32 0
		.amdhsa_float_round_mode_16_64 0
		.amdhsa_float_denorm_mode_32 3
		.amdhsa_float_denorm_mode_16_64 3
		.amdhsa_fp16_overflow 0
		.amdhsa_workgroup_processor_mode 1
		.amdhsa_memory_ordered 1
		.amdhsa_forward_progress 1
		.amdhsa_inst_pref_size 20
		.amdhsa_round_robin_scheduling 0
		.amdhsa_exception_fp_ieee_invalid_op 0
		.amdhsa_exception_fp_denorm_src 0
		.amdhsa_exception_fp_ieee_div_zero 0
		.amdhsa_exception_fp_ieee_overflow 0
		.amdhsa_exception_fp_ieee_underflow 0
		.amdhsa_exception_fp_ieee_inexact 0
		.amdhsa_exception_int_div_zero 0
	.end_amdhsa_kernel
	.section	.text._ZN4vllm32paged_attention_v2_reduce_kernelI14__hip_bfloat16Li120ELi128ELi512EEEvPT_PKfS5_PKS2_PKii,"axG",@progbits,_ZN4vllm32paged_attention_v2_reduce_kernelI14__hip_bfloat16Li120ELi128ELi512EEEvPT_PKfS5_PKS2_PKii,comdat
.Lfunc_end137:
	.size	_ZN4vllm32paged_attention_v2_reduce_kernelI14__hip_bfloat16Li120ELi128ELi512EEEvPT_PKfS5_PKS2_PKii, .Lfunc_end137-_ZN4vllm32paged_attention_v2_reduce_kernelI14__hip_bfloat16Li120ELi128ELi512EEEvPT_PKfS5_PKS2_PKii
                                        ; -- End function
	.set _ZN4vllm32paged_attention_v2_reduce_kernelI14__hip_bfloat16Li120ELi128ELi512EEEvPT_PKfS5_PKS2_PKii.num_vgpr, 19
	.set _ZN4vllm32paged_attention_v2_reduce_kernelI14__hip_bfloat16Li120ELi128ELi512EEEvPT_PKfS5_PKS2_PKii.num_agpr, 0
	.set _ZN4vllm32paged_attention_v2_reduce_kernelI14__hip_bfloat16Li120ELi128ELi512EEEvPT_PKfS5_PKS2_PKii.numbered_sgpr, 26
	.set _ZN4vllm32paged_attention_v2_reduce_kernelI14__hip_bfloat16Li120ELi128ELi512EEEvPT_PKfS5_PKS2_PKii.num_named_barrier, 0
	.set _ZN4vllm32paged_attention_v2_reduce_kernelI14__hip_bfloat16Li120ELi128ELi512EEEvPT_PKfS5_PKS2_PKii.private_seg_size, 0
	.set _ZN4vllm32paged_attention_v2_reduce_kernelI14__hip_bfloat16Li120ELi128ELi512EEEvPT_PKfS5_PKS2_PKii.uses_vcc, 1
	.set _ZN4vllm32paged_attention_v2_reduce_kernelI14__hip_bfloat16Li120ELi128ELi512EEEvPT_PKfS5_PKS2_PKii.uses_flat_scratch, 0
	.set _ZN4vllm32paged_attention_v2_reduce_kernelI14__hip_bfloat16Li120ELi128ELi512EEEvPT_PKfS5_PKS2_PKii.has_dyn_sized_stack, 0
	.set _ZN4vllm32paged_attention_v2_reduce_kernelI14__hip_bfloat16Li120ELi128ELi512EEEvPT_PKfS5_PKS2_PKii.has_recursion, 0
	.set _ZN4vllm32paged_attention_v2_reduce_kernelI14__hip_bfloat16Li120ELi128ELi512EEEvPT_PKfS5_PKS2_PKii.has_indirect_call, 0
	.section	.AMDGPU.csdata,"",@progbits
; Kernel info:
; codeLenInByte = 2532
; TotalNumSgprs: 28
; NumVgprs: 19
; ScratchSize: 0
; MemoryBound: 0
; FloatMode: 240
; IeeeMode: 1
; LDSByteSize: 32 bytes/workgroup (compile time only)
; SGPRBlocks: 0
; VGPRBlocks: 2
; NumSGPRsForWavesPerEU: 28
; NumVGPRsForWavesPerEU: 19
; Occupancy: 16
; WaveLimiterHint : 0
; COMPUTE_PGM_RSRC2:SCRATCH_EN: 0
; COMPUTE_PGM_RSRC2:USER_SGPR: 2
; COMPUTE_PGM_RSRC2:TRAP_HANDLER: 0
; COMPUTE_PGM_RSRC2:TGID_X_EN: 1
; COMPUTE_PGM_RSRC2:TGID_Y_EN: 1
; COMPUTE_PGM_RSRC2:TGID_Z_EN: 0
; COMPUTE_PGM_RSRC2:TIDIG_COMP_CNT: 0
	.section	.text._ZN4vllm25paged_attention_v2_kernelI14__hip_bfloat16S1_Li128ELi8ELi128ELNS_18Fp8KVCacheDataTypeE0ELb1ELi512EEEvPfS3_PT_PKS4_PKT0_SA_ifPKiSC_iPKfiiiSE_SE_iiiii,"axG",@progbits,_ZN4vllm25paged_attention_v2_kernelI14__hip_bfloat16S1_Li128ELi8ELi128ELNS_18Fp8KVCacheDataTypeE0ELb1ELi512EEEvPfS3_PT_PKS4_PKT0_SA_ifPKiSC_iPKfiiiSE_SE_iiiii,comdat
	.protected	_ZN4vllm25paged_attention_v2_kernelI14__hip_bfloat16S1_Li128ELi8ELi128ELNS_18Fp8KVCacheDataTypeE0ELb1ELi512EEEvPfS3_PT_PKS4_PKT0_SA_ifPKiSC_iPKfiiiSE_SE_iiiii ; -- Begin function _ZN4vllm25paged_attention_v2_kernelI14__hip_bfloat16S1_Li128ELi8ELi128ELNS_18Fp8KVCacheDataTypeE0ELb1ELi512EEEvPfS3_PT_PKS4_PKT0_SA_ifPKiSC_iPKfiiiSE_SE_iiiii
	.globl	_ZN4vllm25paged_attention_v2_kernelI14__hip_bfloat16S1_Li128ELi8ELi128ELNS_18Fp8KVCacheDataTypeE0ELb1ELi512EEEvPfS3_PT_PKS4_PKT0_SA_ifPKiSC_iPKfiiiSE_SE_iiiii
	.p2align	8
	.type	_ZN4vllm25paged_attention_v2_kernelI14__hip_bfloat16S1_Li128ELi8ELi128ELNS_18Fp8KVCacheDataTypeE0ELb1ELi512EEEvPfS3_PT_PKS4_PKT0_SA_ifPKiSC_iPKfiiiSE_SE_iiiii,@function
_ZN4vllm25paged_attention_v2_kernelI14__hip_bfloat16S1_Li128ELi8ELi128ELNS_18Fp8KVCacheDataTypeE0ELb1ELi512EEEvPfS3_PT_PKS4_PKT0_SA_ifPKiSC_iPKfiiiSE_SE_iiiii: ; @_ZN4vllm25paged_attention_v2_kernelI14__hip_bfloat16S1_Li128ELi8ELi128ELNS_18Fp8KVCacheDataTypeE0ELb1ELi512EEEvPfS3_PT_PKS4_PKT0_SA_ifPKiSC_iPKfiiiSE_SE_iiiii
; %bb.0:
	s_load_b64 s[2:3], s[0:1], 0x40
	s_and_b32 s33, ttmp7, 0xffff
	s_lshr_b32 s30, ttmp7, 16
	s_lshl_b32 s4, s33, 2
	s_lshl_b32 s35, s30, 9
	s_wait_kmcnt 0x0
	s_load_b32 s31, s[2:3], s4 offset:0x0
	s_wait_kmcnt 0x0
	s_cmp_ge_i32 s35, s31
	s_cbranch_scc1 .LBB138_62
; %bb.1:
	s_clause 0x1
	s_load_b32 s34, s[0:1], 0x90
	s_load_b64 s[6:7], s[0:1], 0x30
	s_wait_kmcnt 0x0
	s_abs_i32 s5, s34
	s_abs_i32 s2, s6
	s_delay_alu instid0(SALU_CYCLE_1) | instskip(SKIP_1) | instid1(SALU_CYCLE_2)
	s_cvt_f32_u32 s3, s2
	s_sub_co_i32 s4, 0, s2
	v_rcp_iflag_f32_e32 v1, s3
	s_delay_alu instid0(TRANS32_DEP_1) | instskip(SKIP_2) | instid1(SALU_CYCLE_2)
	v_readfirstlane_b32 s3, v1
	s_mul_f32 s3, s3, 0x4f7ffffe
	s_wait_alu 0xfffe
	s_cvt_u32_f32 s3, s3
	s_wait_alu 0xfffe
	s_delay_alu instid0(SALU_CYCLE_2) | instskip(NEXT) | instid1(SALU_CYCLE_1)
	s_mul_i32 s4, s4, s3
	s_mul_hi_u32 s4, s3, s4
	s_delay_alu instid0(SALU_CYCLE_1)
	s_add_co_i32 s3, s3, s4
	s_xor_b32 s4, s34, s6
	s_wait_alu 0xfffe
	s_mul_hi_u32 s3, s5, s3
	s_ashr_i32 s4, s4, 31
	s_wait_alu 0xfffe
	s_mul_i32 s8, s3, s2
	s_delay_alu instid0(SALU_CYCLE_1)
	s_sub_co_i32 s5, s5, s8
	s_add_co_i32 s8, s3, 1
	s_sub_co_i32 s9, s5, s2
	s_cmp_ge_u32 s5, s2
	s_cselect_b32 s3, s8, s3
	s_cselect_b32 s5, s9, s5
	s_wait_alu 0xfffe
	s_add_co_i32 s8, s3, 1
	s_cmp_ge_u32 s5, s2
	s_mov_b32 s5, 0
	s_cselect_b32 s2, s8, s3
	s_load_b64 s[8:9], s[0:1], 0x50
	s_xor_b32 s2, s2, s4
	s_mov_b32 s14, s5
	s_wait_alu 0xfffe
	s_sub_co_i32 s10, s2, s4
	s_abs_i32 s4, ttmp9
	s_abs_i32 s12, s10
	s_delay_alu instid0(SALU_CYCLE_1) | instskip(SKIP_2) | instid1(SALU_CYCLE_1)
	s_cvt_f32_u32 s2, s12
	s_sub_co_i32 s3, 0, s12
	s_wait_alu 0xfffe
	v_rcp_iflag_f32_e32 v1, s2
	s_delay_alu instid0(TRANS32_DEP_1) | instskip(SKIP_2) | instid1(SALU_CYCLE_2)
	v_readfirstlane_b32 s2, v1
	s_mul_f32 s2, s2, 0x4f7ffffe
	s_wait_alu 0xfffe
	s_cvt_u32_f32 s2, s2
	s_wait_alu 0xfffe
	s_delay_alu instid0(SALU_CYCLE_2)
	s_mul_i32 s3, s3, s2
	s_wait_alu 0xfffe
	s_mul_hi_u32 s3, s2, s3
	s_wait_alu 0xfffe
	s_add_co_i32 s2, s2, s3
	s_mov_b32 s3, s5
	s_wait_kmcnt 0x0
	s_cmp_eq_u64 s[8:9], 0
	s_cbranch_scc1 .LBB138_3
; %bb.2:
	s_mov_b32 s14, ttmp9
	s_ashr_i32 s15, ttmp9, 31
	s_delay_alu instid0(SALU_CYCLE_1) | instskip(NEXT) | instid1(SALU_CYCLE_1)
	s_lshl_b64 s[14:15], s[14:15], 2
	s_add_nc_u64 s[8:9], s[8:9], s[14:15]
	s_load_b32 s14, s[8:9], 0x0
.LBB138_3:
	s_load_b96 s[16:18], s[0:1], 0x58
	s_mul_u64 s[2:3], s[4:5], s[2:3]
	v_and_b32_e32 v1, 3, v0
	v_cmp_gt_u32_e64 s2, 64, v0
	v_lshlrev_b32_e32 v2, 2, v0
	s_ashr_i32 s5, ttmp9, 31
	s_ashr_i32 s13, s10, 31
	s_lshl_b32 s20, ttmp9, 7
	s_wait_alu 0xfffe
	s_and_saveexec_b32 s8, s2
	s_cbranch_execz .LBB138_5
; %bb.4:
	s_load_b64 s[10:11], s[0:1], 0x18
	s_wait_kmcnt 0x0
	s_mul_i32 s22, s16, s33
	s_ashr_i32 s21, s20, 31
	s_ashr_i32 s23, s22, 31
	v_and_b32_e32 v4, 0x3fc, v0
	s_lshl_b64 s[22:23], s[22:23], 1
	s_delay_alu instid0(VALU_DEP_1) | instskip(SKIP_2) | instid1(SALU_CYCLE_1)
	v_lshl_add_u32 v4, v1, 6, v4
	s_add_nc_u64 s[10:11], s[10:11], s[22:23]
	s_lshl_b64 s[22:23], s[20:21], 1
	s_add_nc_u64 s[10:11], s[10:11], s[22:23]
	global_load_b32 v3, v2, s[10:11]
	s_wait_loadcnt 0x0
	ds_store_b32 v4, v3
.LBB138_5:
	s_or_b32 exec_lo, exec_lo, s8
	s_load_b128 s[8:11], s[0:1], 0x78
	s_mul_i32 s15, s3, s12
	s_xor_b32 s5, s5, s13
	s_sub_co_i32 s4, s4, s15
	s_add_co_i32 s13, s3, 1
	s_sub_co_i32 s15, s4, s12
	s_cmp_ge_u32 s4, s12
	s_mov_b32 s24, -1
	s_cselect_b32 s3, s13, s3
	s_cselect_b32 s4, s15, s4
	s_wait_alu 0xfffe
	s_add_co_i32 s13, s3, 1
	s_cmp_ge_u32 s4, s12
                                        ; implicit-def: $sgpr21
	s_cselect_b32 s4, s13, s3
	s_load_b32 s3, s[0:1], 0x88
	s_xor_b32 s4, s4, s5
	s_add_co_i32 s19, s31, -1
	s_sub_co_i32 s15, s4, s5
	s_wait_dscnt 0x0
	s_barrier_signal -1
	s_wait_kmcnt 0x0
	s_abs_i32 s16, s11
	s_barrier_wait -1
	s_cvt_f32_u32 s12, s16
	global_inv scope:SCOPE_SE
	v_rcp_iflag_f32_e32 v3, s12
	s_delay_alu instid0(TRANS32_DEP_1) | instskip(SKIP_1) | instid1(SALU_CYCLE_3)
	v_readfirstlane_b32 s12, v3
	s_mul_f32 s4, s12, 0x4f7ffffe
	s_cvt_u32_f32 s12, s4
	s_sub_co_i32 s4, 0, s16
	s_wait_alu 0xfffe
	s_delay_alu instid0(SALU_CYCLE_1)
	s_mul_i32 s5, s4, s12
	s_abs_i32 s4, s19
	s_mul_hi_u32 s13, s12, s5
	s_mov_b32 s5, 0
	s_wait_alu 0xfffe
	s_add_co_i32 s22, s12, s13
	s_cmp_lt_i32 s3, 0
	s_mov_b32 s23, s5
	s_cbranch_scc0 .LBB138_7
; %bb.6:
	s_mul_i32 s6, s8, s6
	s_mov_b32 s24, s5
	s_add_co_i32 s6, s15, s6
	s_delay_alu instid0(SALU_CYCLE_1) | instskip(NEXT) | instid1(SALU_CYCLE_1)
	s_mul_i32 s6, s6, s3
	s_sub_co_i32 s21, 1, s6
.LBB138_7:
	s_mul_u64 s[12:13], s[4:5], s[22:23]
	s_ashr_i32 s5, s19, 31
	s_and_not1_b32 vcc_lo, exec_lo, s24
	s_ashr_i32 s11, s11, 31
	s_cbranch_vccnz .LBB138_9
; %bb.8:
	s_mul_i32 s6, s34, s8
	s_delay_alu instid0(SALU_CYCLE_1) | instskip(NEXT) | instid1(SALU_CYCLE_1)
	s_add_co_i32 s6, s6, ttmp9
	s_mul_i32 s3, s6, s3
	s_wait_alu 0xfffe
	s_add_co_i32 s21, s3, 1
.LBB138_9:
	s_clause 0x2
	s_load_b32 s3, s[0:1], 0x48
	s_load_b64 s[24:25], s[0:1], 0x38
	s_load_b32 s8, s[0:1], 0x98
	s_mul_i32 s6, s13, s16
	s_xor_b32 s5, s5, s11
	s_sub_co_i32 s4, s4, s6
	s_add_co_i32 s12, s13, 1
	v_lshrrev_b32_e32 v27, 5, v0
	v_mbcnt_lo_u32_b32 v4, -1, 0
	s_mul_i32 s18, s15, s18
	s_delay_alu instid0(VALU_DEP_2)
	v_lshl_add_u32 v28, v27, 3, s35
	s_wait_kmcnt 0x0
	s_mul_i32 s26, s3, s33
	s_sub_co_i32 s3, s4, s16
	s_ashr_i32 s27, s26, 31
	s_cmp_ge_u32 s4, s16
	s_wait_alu 0xfffe
	s_cselect_b32 s6, s12, s13
	s_cselect_b32 s3, s3, s4
	s_add_co_i32 s4, s6, 1
	s_wait_alu 0xfffe
	s_cmp_ge_u32 s3, s16
	s_cselect_b32 s3, s4, s6
	s_add_co_i32 s4, s31, 7
	s_lshl_b32 s38, s30, 6
	s_ashr_i32 s6, s4, 31
	v_or_b32_e32 v29, s38, v27
	s_lshr_b32 s6, s6, 29
	v_mov_b32_e32 v6, 0xff7fffff
	s_add_co_i32 s4, s4, s6
	s_add_co_i32 s6, s38, 64
	s_ashr_i32 s36, s4, 3
	s_wait_alu 0xfffe
	s_xor_b32 s4, s3, s5
	s_min_i32 s23, s6, s36
	v_lshlrev_b32_e32 v3, 2, v29
	v_cmp_gt_i32_e64 s3, s23, v29
	s_sub_co_i32 s37, s4, s5
	s_and_saveexec_b32 s12, s3
	s_cbranch_execz .LBB138_21
; %bb.10:
	s_ashr_i32 s19, s18, 31
	s_sub_co_i32 s13, s37, s9
	s_lshl_b64 s[28:29], s[18:19], 1
	s_cmp_neq_f32 s14, 0
	s_load_b64 s[40:41], s[0:1], 0x20
	v_bfe_u32 v5, v0, 2, 3
	v_lshlrev_b32_e32 v7, 6, v1
	s_cselect_b32 vcc_lo, -1, 0
	s_abs_i32 s15, s10
	v_dual_mov_b32 v13, 0xff7fffff :: v_dual_and_b32 v2, 12, v2
	s_cvt_f32_u32 s4, s15
	v_lshlrev_b32_e32 v8, 2, v5
	v_mov_b32_e32 v16, v29
	s_lshl_b64 s[42:43], s[26:27], 2
	v_rcp_iflag_f32_e32 v6, s4
	v_cmp_eq_u32_e64 s4, 0, v1
	v_lshlrev_b32_e32 v1, 4, v5
	v_subrev_nc_u32_e32 v11, s31, v5
	s_add_nc_u64 s[42:43], s[24:25], s[42:43]
	s_sub_co_i32 s6, 0, s15
	v_lshl_add_u32 v10, v27, 3, s35
	v_xor_b32_e32 v14, 2, v4
	v_add_nc_u32_e32 v11, 1, v11
	s_wait_kmcnt 0x0
	s_add_nc_u64 s[28:29], s[40:41], s[28:29]
	v_readfirstlane_b32 s5, v6
	v_add_co_u32 v1, s28, s28, v1
	s_wait_alu 0xf1ff
	v_add_co_ci_u32_e64 v9, null, s29, 0, s28
	s_mul_f32 s5, s5, 0x4f7ffffe
	v_lshl_or_b32 v6, v27, 5, v8
	v_xor_b32_e32 v15, 1, v4
	s_mov_b32 s19, 0
	s_wait_alu 0xfffe
	s_cvt_u32_f32 s29, s5
	v_add_co_u32 v8, s5, v1, v2
	s_wait_alu 0xf1ff
	v_add_co_ci_u32_e64 v9, null, 0, v9, s5
	v_add_co_u32 v1, s5, s42, v3
	s_wait_alu 0xfffe
	s_mul_i32 s6, s6, s29
	v_add_co_ci_u32_e64 v2, null, s43, 0, s5
	v_add_nc_u32_e32 v12, 0x120, v6
	v_mov_b32_e32 v6, 0xff7fffff
	s_mul_hi_u32 s5, s29, s6
	s_mov_b32 s28, s17
	s_wait_alu 0xfffe
	s_add_co_i32 s29, s29, s5
	s_branch .LBB138_13
.LBB138_11:                             ;   in Loop: Header=BB138_13 Depth=1
	s_wait_alu 0xfffe
	s_or_b32 exec_lo, exec_lo, s39
.LBB138_12:                             ;   in Loop: Header=BB138_13 Depth=1
	s_wait_alu 0xfffe
	s_or_b32 exec_lo, exec_lo, s6
	v_add_nc_u32_e32 v16, 4, v16
	v_add_co_u32 v1, s6, v1, 16
	s_wait_alu 0xf1ff
	v_add_co_ci_u32_e64 v2, null, 0, v2, s6
	s_delay_alu instid0(VALU_DEP_3) | instskip(SKIP_3) | instid1(SALU_CYCLE_1)
	v_cmp_le_i32_e64 s5, s23, v16
	v_add_nc_u32_e32 v10, 32, v10
	v_add_nc_u32_e32 v12, 0x80, v12
	s_or_b32 s19, s5, s19
	s_and_not1_b32 exec_lo, exec_lo, s19
	s_cbranch_execz .LBB138_20
.LBB138_13:                             ; =>This Inner Loop Header: Depth=1
	v_sub_nc_u32_e32 v17, 0, v10
	s_delay_alu instid0(VALU_DEP_1) | instskip(SKIP_1) | instid1(VALU_DEP_1)
	v_max_i32_e32 v17, v10, v17
	s_wait_dscnt 0x0
	v_mul_hi_u32 v18, v17, s22
	s_delay_alu instid0(VALU_DEP_1) | instskip(NEXT) | instid1(VALU_DEP_1)
	v_mul_lo_u32 v19, v18, s16
	v_sub_nc_u32_e32 v17, v17, v19
	v_add_nc_u32_e32 v19, 1, v18
	s_delay_alu instid0(VALU_DEP_2) | instskip(SKIP_2) | instid1(VALU_DEP_1)
	v_subrev_nc_u32_e32 v20, s16, v17
	v_cmp_le_u32_e64 s5, s16, v17
	s_wait_alu 0xf1ff
	v_cndmask_b32_e64 v18, v18, v19, s5
	s_delay_alu instid0(VALU_DEP_3) | instskip(SKIP_1) | instid1(VALU_DEP_3)
	v_cndmask_b32_e64 v17, v17, v20, s5
	v_ashrrev_i32_e32 v19, 31, v10
	v_add_nc_u32_e32 v20, 1, v18
	s_delay_alu instid0(VALU_DEP_3) | instskip(NEXT) | instid1(VALU_DEP_3)
	v_cmp_le_u32_e64 s5, s16, v17
	v_xor_b32_e32 v19, s11, v19
	s_wait_alu 0xf1ff
	s_delay_alu instid0(VALU_DEP_2) | instskip(NEXT) | instid1(VALU_DEP_1)
	v_cndmask_b32_e64 v17, v18, v20, s5
	v_xor_b32_e32 v17, v17, v19
	s_delay_alu instid0(VALU_DEP_1) | instskip(NEXT) | instid1(VALU_DEP_1)
	v_sub_nc_u32_e32 v17, v17, v19
	v_add_nc_u32_e32 v18, s21, v17
	v_cmp_ge_i32_e64 s6, s13, v17
	s_delay_alu instid0(VALU_DEP_2) | instskip(NEXT) | instid1(VALU_DEP_1)
	v_sub_nc_u32_e32 v19, 0, v18
	v_max_i32_e32 v19, v18, v19
	v_ashrrev_i32_e32 v18, 31, v18
	s_wait_alu 0xfffe
	s_delay_alu instid0(VALU_DEP_2) | instskip(NEXT) | instid1(VALU_DEP_1)
	v_mul_hi_u32 v20, v19, s29
	v_mul_lo_u32 v20, v20, s15
	s_delay_alu instid0(VALU_DEP_1) | instskip(NEXT) | instid1(VALU_DEP_1)
	v_sub_nc_u32_e32 v19, v19, v20
	v_subrev_nc_u32_e32 v20, s15, v19
	v_cmp_le_u32_e64 s5, s15, v19
	s_wait_alu 0xf1ff
	s_delay_alu instid0(VALU_DEP_1) | instskip(NEXT) | instid1(VALU_DEP_1)
	v_cndmask_b32_e64 v19, v19, v20, s5
	v_subrev_nc_u32_e32 v20, s15, v19
	v_cmp_le_u32_e64 s5, s15, v19
	s_wait_alu 0xf1ff
	s_delay_alu instid0(VALU_DEP_1) | instskip(NEXT) | instid1(VALU_DEP_1)
	v_cndmask_b32_e64 v19, v19, v20, s5
	v_xor_b32_e32 v19, v19, v18
	s_delay_alu instid0(VALU_DEP_1) | instskip(NEXT) | instid1(VALU_DEP_1)
	v_sub_nc_u32_e32 v18, v19, v18
	v_cmp_ne_u32_e64 s5, 0, v18
	s_and_b32 s5, s5, s6
	s_wait_alu 0xfffe
	s_and_saveexec_b32 s6, s5
	s_wait_alu 0xfffe
	s_xor_b32 s5, exec_lo, s6
	s_cbranch_execz .LBB138_17
; %bb.14:                               ;   in Loop: Header=BB138_13 Depth=1
	s_and_saveexec_b32 s6, s4
; %bb.15:                               ;   in Loop: Header=BB138_13 Depth=1
	ds_store_b32 v12, v13
; %bb.16:                               ;   in Loop: Header=BB138_13 Depth=1
	s_wait_alu 0xfffe
	s_or_b32 exec_lo, exec_lo, s6
.LBB138_17:                             ;   in Loop: Header=BB138_13 Depth=1
	s_wait_alu 0xfffe
	s_and_not1_saveexec_b32 s6, s5
	s_cbranch_execz .LBB138_12
; %bb.18:                               ;   in Loop: Header=BB138_13 Depth=1
	global_load_b32 v17, v[1:2], off
	s_wait_loadcnt 0x0
	v_mad_co_i64_i32 v[17:18], null, v17, s28, 0
	s_delay_alu instid0(VALU_DEP_1) | instskip(NEXT) | instid1(VALU_DEP_1)
	v_lshlrev_b64_e32 v[17:18], 1, v[17:18]
	v_add_co_u32 v17, s5, v8, v17
	s_wait_alu 0xf1ff
	s_delay_alu instid0(VALU_DEP_2)
	v_add_co_ci_u32_e64 v18, null, v9, v18, s5
	v_cmp_gt_i32_e64 s5, 32, v14
	s_clause 0xf
	global_load_b32 v25, v[17:18], off offset:128
	global_load_b32 v26, v[17:18], off
	global_load_b32 v38, v[17:18], off offset:256
	global_load_b32 v39, v[17:18], off offset:384
	;; [unrolled: 1-line block ×14, first 2 shown]
	ds_load_b128 v[17:20], v7
	ds_load_b128 v[21:24], v7 offset:16
	ds_load_b128 v[30:33], v7 offset:32
	;; [unrolled: 1-line block ×3, first 2 shown]
	s_wait_loadcnt 0xf
	v_lshlrev_b32_e32 v68, 16, v25
	v_and_b32_e32 v25, 0xffff0000, v25
	s_wait_dscnt 0x3
	v_lshlrev_b32_e32 v53, 16, v18
	v_and_b32_e32 v18, 0xffff0000, v18
	s_wait_loadcnt 0xe
	v_lshlrev_b32_e32 v69, 16, v26
	v_and_b32_e32 v26, 0xffff0000, v26
	s_delay_alu instid0(VALU_DEP_3)
	v_mul_f32_e32 v18, v18, v25
	v_dual_mul_f32 v53, v53, v68 :: v_dual_lshlrev_b32 v52, 16, v17
	v_and_b32_e32 v17, 0xffff0000, v17
	v_lshlrev_b32_e32 v54, 16, v19
	v_lshlrev_b32_e32 v55, 16, v20
	v_and_b32_e32 v19, 0xffff0000, v19
	s_wait_loadcnt 0xd
	v_lshlrev_b32_e32 v25, 16, v38
	v_and_b32_e32 v38, 0xffff0000, v38
	s_wait_dscnt 0x2
	v_dual_fmac_f32 v18, v17, v26 :: v_dual_lshlrev_b32 v59, 16, v24
	v_fmac_f32_e32 v53, v52, v69
	v_and_b32_e32 v17, 0xffff0000, v20
	s_wait_loadcnt 0xc
	v_and_b32_e32 v26, 0xffff0000, v39
	v_fmac_f32_e32 v18, v19, v38
	v_dual_fmac_f32 v53, v54, v25 :: v_dual_lshlrev_b32 v58, 16, v23
	s_wait_dscnt 0x1
	v_lshlrev_b32_e32 v61, 16, v31
	v_and_b32_e32 v19, 0xffff0000, v21
	s_wait_loadcnt 0xb
	v_dual_fmac_f32 v18, v17, v26 :: v_dual_and_b32 v25, 0xffff0000, v40
	v_lshlrev_b32_e32 v57, 16, v22
	v_and_b32_e32 v17, 0xffff0000, v22
	s_wait_loadcnt 0xa
	v_and_b32_e32 v22, 0xffff0000, v41
	v_lshlrev_b32_e32 v20, 16, v39
	v_fmac_f32_e32 v18, v19, v25
	v_lshlrev_b32_e32 v63, 16, v33
	v_and_b32_e32 v19, 0xffff0000, v23
	s_wait_loadcnt 0x9
	v_and_b32_e32 v23, 0xffff0000, v42
	v_dual_fmac_f32 v53, v55, v20 :: v_dual_lshlrev_b32 v56, 16, v21
	s_wait_dscnt 0x0
	v_dual_fmac_f32 v18, v17, v22 :: v_dual_lshlrev_b32 v67, 16, v37
	v_and_b32_e32 v17, 0xffff0000, v24
	s_wait_loadcnt 0x8
	v_and_b32_e32 v22, 0xffff0000, v43
	v_lshlrev_b32_e32 v20, 16, v41
	v_fmac_f32_e32 v18, v19, v23
	v_lshlrev_b32_e32 v65, 16, v35
	v_and_b32_e32 v19, 0xffff0000, v30
	s_wait_loadcnt 0x7
	s_delay_alu instid0(VALU_DEP_3) | instskip(SKIP_3) | instid1(VALU_DEP_3)
	v_dual_fmac_f32 v18, v17, v22 :: v_dual_and_b32 v23, 0xffff0000, v44
	v_and_b32_e32 v17, 0xffff0000, v31
	s_wait_loadcnt 0x6
	v_and_b32_e32 v22, 0xffff0000, v45
	v_dual_fmac_f32 v18, v19, v23 :: v_dual_and_b32 v19, 0xffff0000, v32
	s_wait_loadcnt 0x5
	v_and_b32_e32 v23, 0xffff0000, v46
	s_delay_alu instid0(VALU_DEP_2) | instskip(SKIP_2) | instid1(VALU_DEP_2)
	v_dual_fmac_f32 v18, v17, v22 :: v_dual_and_b32 v17, 0xffff0000, v33
	s_wait_loadcnt 0x4
	v_and_b32_e32 v22, 0xffff0000, v47
	v_dual_fmac_f32 v18, v19, v23 :: v_dual_and_b32 v19, 0xffff0000, v34
	s_wait_loadcnt 0x3
	s_delay_alu instid0(VALU_DEP_1) | instskip(SKIP_3) | instid1(VALU_DEP_3)
	v_dual_fmac_f32 v18, v17, v22 :: v_dual_and_b32 v23, 0xffff0000, v48
	v_and_b32_e32 v17, 0xffff0000, v35
	s_wait_loadcnt 0x2
	v_and_b32_e32 v22, 0xffff0000, v49
	v_dual_fmac_f32 v18, v19, v23 :: v_dual_lshlrev_b32 v21, 16, v40
	v_and_b32_e32 v19, 0xffff0000, v36
	s_wait_loadcnt 0x1
	v_and_b32_e32 v23, 0xffff0000, v50
	s_delay_alu instid0(VALU_DEP_3)
	v_fmac_f32_e32 v18, v17, v22
	v_dual_fmac_f32 v53, v56, v21 :: v_dual_lshlrev_b32 v60, 16, v30
	v_lshlrev_b32_e32 v64, 16, v34
	v_lshlrev_b32_e32 v21, 16, v42
	v_and_b32_e32 v17, 0xffff0000, v37
	s_wait_loadcnt 0x0
	v_dual_fmac_f32 v53, v57, v20 :: v_dual_and_b32 v22, 0xffff0000, v51
	v_lshlrev_b32_e32 v62, 16, v32
	v_lshlrev_b32_e32 v20, 16, v43
	v_fmac_f32_e32 v18, v19, v23
	s_wait_alu 0xf1ff
	v_cndmask_b32_e64 v19, v4, v14, s5
	v_fmac_f32_e32 v53, v58, v21
	v_lshlrev_b32_e32 v21, 16, v44
	v_cmp_gt_i32_e64 s5, 32, v15
	s_delay_alu instid0(VALU_DEP_4) | instskip(NEXT) | instid1(VALU_DEP_4)
	v_dual_fmac_f32 v18, v17, v22 :: v_dual_lshlrev_b32 v17, 2, v19
	v_fmac_f32_e32 v53, v59, v20
	v_lshlrev_b32_e32 v66, 16, v36
	v_lshlrev_b32_e32 v20, 16, v45
	s_wait_alu 0xf1ff
	v_cndmask_b32_e64 v19, v4, v15, s5
	v_fmac_f32_e32 v53, v60, v21
	v_lshlrev_b32_e32 v21, 16, v46
	s_delay_alu instid0(VALU_DEP_3) | instskip(NEXT) | instid1(VALU_DEP_3)
	v_lshlrev_b32_e32 v19, 2, v19
	v_dual_fmac_f32 v53, v61, v20 :: v_dual_lshlrev_b32 v20, 16, v47
	s_delay_alu instid0(VALU_DEP_1) | instskip(SKIP_1) | instid1(VALU_DEP_2)
	v_fmac_f32_e32 v53, v62, v21
	v_lshlrev_b32_e32 v21, 16, v48
	v_dual_fmac_f32 v53, v63, v20 :: v_dual_lshlrev_b32 v20, 16, v49
	s_delay_alu instid0(VALU_DEP_1) | instskip(SKIP_1) | instid1(VALU_DEP_2)
	v_fmac_f32_e32 v53, v64, v21
	v_lshlrev_b32_e32 v21, 16, v50
	v_dual_fmac_f32 v53, v65, v20 :: v_dual_lshlrev_b32 v20, 16, v51
	s_delay_alu instid0(VALU_DEP_1) | instskip(NEXT) | instid1(VALU_DEP_1)
	v_fmac_f32_e32 v53, v66, v21
	v_fmac_f32_e32 v53, v67, v20
	s_delay_alu instid0(VALU_DEP_1)
	v_add_f32_e32 v18, v53, v18
	ds_bpermute_b32 v17, v17, v18
	s_wait_dscnt 0x0
	v_add_f32_e32 v17, v18, v17
	ds_bpermute_b32 v18, v19, v17
	s_and_saveexec_b32 s39, s4
	s_cbranch_execz .LBB138_11
; %bb.19:                               ;   in Loop: Header=BB138_13 Depth=1
	s_wait_dscnt 0x0
	v_add_f32_e32 v17, v17, v18
	v_add_nc_u32_e32 v19, v11, v10
	s_delay_alu instid0(VALU_DEP_1) | instskip(NEXT) | instid1(VALU_DEP_1)
	v_cvt_f32_i32_e32 v19, v19
	v_mul_f32_e32 v19, s14, v19
	s_delay_alu instid0(VALU_DEP_1) | instskip(NEXT) | instid1(VALU_DEP_1)
	v_dual_cndmask_b32 v18, 0, v19 :: v_dual_max_num_f32 v19, v6, v6
	v_dual_fmac_f32 v18, s7, v17 :: v_dual_add_nc_u32 v17, v5, v10
	s_delay_alu instid0(VALU_DEP_1) | instskip(NEXT) | instid1(VALU_DEP_2)
	v_max_num_f32_e32 v19, v19, v18
	v_cmp_gt_i32_e64 s5, s31, v17
	s_wait_alu 0xf1ff
	s_delay_alu instid0(VALU_DEP_1) | instskip(NEXT) | instid1(VALU_DEP_3)
	v_cndmask_b32_e64 v17, 0, v18, s5
	v_cndmask_b32_e64 v6, v6, v19, s5
	ds_store_b32 v12, v17
	s_branch .LBB138_11
.LBB138_20:
	s_or_b32 exec_lo, exec_lo, s19
.LBB138_21:
	s_wait_alu 0xfffe
	s_or_b32 exec_lo, exec_lo, s12
	v_xor_b32_e32 v1, 16, v4
	v_xor_b32_e32 v5, 8, v4
	;; [unrolled: 1-line block ×3, first 2 shown]
	s_clause 0x2
	s_load_b128 s[12:15], s[0:1], 0x0
	s_load_b64 s[6:7], s[0:1], 0x10
	s_load_b64 s[28:29], s[0:1], 0x28
	v_and_b32_e32 v30, 31, v0
	v_cmp_gt_i32_e32 vcc_lo, 32, v1
	s_wait_alu 0xfffd
	v_cndmask_b32_e32 v1, v4, v1, vcc_lo
	v_cmp_gt_i32_e32 vcc_lo, 32, v5
	s_wait_alu 0xfffd
	v_cndmask_b32_e32 v5, v4, v5, vcc_lo
	v_cmp_gt_i32_e32 vcc_lo, 32, v7
	v_lshlrev_b32_e32 v2, 2, v1
	s_delay_alu instid0(VALU_DEP_3)
	v_lshlrev_b32_e32 v5, 2, v5
	s_wait_alu 0xfffd
	v_cndmask_b32_e32 v7, v4, v7, vcc_lo
	ds_bpermute_b32 v1, v2, v6
	v_max_num_f32_e32 v6, v6, v6
	v_cmp_eq_u32_e32 vcc_lo, 0, v30
	s_wait_dscnt 0x0
	v_dual_max_num_f32 v1, v1, v1 :: v_dual_lshlrev_b32 v8, 2, v7
	s_delay_alu instid0(VALU_DEP_1) | instskip(SKIP_3) | instid1(VALU_DEP_1)
	v_max_num_f32_e32 v1, v6, v1
	ds_bpermute_b32 v6, v5, v1
	s_wait_dscnt 0x0
	v_max_num_f32_e32 v6, v6, v6
	v_dual_max_num_f32 v1, v1, v6 :: v_dual_lshlrev_b32 v6, 2, v27
	ds_bpermute_b32 v7, v8, v1
	s_and_saveexec_b32 s0, vcc_lo
	s_cbranch_execz .LBB138_23
; %bb.22:
	s_wait_dscnt 0x0
	v_max_num_f32_e32 v7, v7, v7
	v_max_num_f32_e32 v1, v1, v1
	s_delay_alu instid0(VALU_DEP_1)
	v_max_num_f32_e32 v1, v1, v7
	ds_store_b32 v6, v1 offset:256
.LBB138_23:
	s_or_b32 exec_lo, exec_lo, s0
	v_cmp_gt_u32_e64 s0, 4, v30
	v_mov_b32_e32 v1, 0xff7fffff
	s_wait_dscnt 0x0
	v_lshlrev_b32_e32 v7, 2, v30
	s_wait_loadcnt 0x0
	s_barrier_signal -1
	s_barrier_wait -1
	global_inv scope:SCOPE_SE
	s_and_saveexec_b32 s1, s0
; %bb.24:
	ds_load_b32 v1, v7 offset:256
; %bb.25:
	s_or_b32 exec_lo, exec_lo, s1
	v_xor_b32_e32 v9, 2, v4
	v_xor_b32_e32 v11, 1, v4
	s_delay_alu instid0(VALU_DEP_2) | instskip(NEXT) | instid1(VALU_DEP_1)
	v_cmp_gt_i32_e64 s1, 32, v9
	v_cndmask_b32_e64 v9, v4, v9, s1
	s_delay_alu instid0(VALU_DEP_3) | instskip(NEXT) | instid1(VALU_DEP_2)
	v_cmp_gt_i32_e64 s1, 32, v11
	v_lshlrev_b32_e32 v9, 2, v9
	s_wait_alu 0xf1ff
	s_delay_alu instid0(VALU_DEP_2)
	v_cndmask_b32_e64 v4, v4, v11, s1
	s_sub_co_i32 s1, s23, s38
	s_wait_alu 0xfffe
	s_lshl_b32 s1, s1, 3
	s_wait_dscnt 0x0
	ds_bpermute_b32 v10, v9, v1
	v_max_num_f32_e32 v1, v1, v1
	s_wait_alu 0xfffe
	s_add_co_i32 s1, s1, s35
	s_wait_alu 0xfffe
	s_min_i32 s1, s1, s31
	s_wait_alu 0xfffe
	s_sub_co_i32 s5, s1, s35
	s_wait_alu 0xfffe
	v_cmp_gt_i32_e64 s1, s5, v0
	s_wait_dscnt 0x0
	v_dual_max_num_f32 v11, v10, v10 :: v_dual_lshlrev_b32 v10, 2, v4
	s_delay_alu instid0(VALU_DEP_1) | instskip(SKIP_4) | instid1(VALU_DEP_1)
	v_max_num_f32_e32 v1, v1, v11
	v_mov_b32_e32 v11, 0
	ds_bpermute_b32 v4, v10, v1
	s_wait_dscnt 0x0
	v_max_num_f32_e32 v4, v4, v4
	v_max_num_f32_e32 v1, v1, v4
	v_lshl_add_u32 v4, v0, 2, 0x120
	ds_bpermute_b32 v1, v11, v1
	s_and_saveexec_b32 s19, s1
	s_cbranch_execz .LBB138_29
; %bb.26:
	v_lshl_add_u32 v12, v0, 2, 0x120
	v_mov_b32_e32 v11, 0
	v_mov_b32_e32 v13, v0
	s_mov_b32 s35, 0
.LBB138_27:                             ; =>This Inner Loop Header: Depth=1
	ds_load_b32 v14, v12
	v_add_nc_u32_e32 v13, 0x80, v13
	s_delay_alu instid0(VALU_DEP_1) | instskip(SKIP_4) | instid1(VALU_DEP_1)
	v_cmp_le_i32_e64 s4, s5, v13
	s_wait_alu 0xfffe
	s_or_b32 s35, s4, s35
	s_wait_dscnt 0x0
	v_sub_f32_e32 v14, v14, v1
	v_mul_f32_e32 v14, 0x3fb8aa3b, v14
	s_delay_alu instid0(VALU_DEP_1)
	v_exp_f32_e32 v14, v14
	ds_store_b32 v12, v14
	v_dual_add_f32 v11, v11, v14 :: v_dual_add_nc_u32 v12, 0x200, v12
	s_wait_alu 0xfffe
	s_and_not1_b32 exec_lo, exec_lo, s35
	s_cbranch_execnz .LBB138_27
; %bb.28:
	s_or_b32 exec_lo, exec_lo, s35
.LBB138_29:
	s_delay_alu instid0(SALU_CYCLE_1)
	s_or_b32 exec_lo, exec_lo, s19
	ds_bpermute_b32 v2, v2, v11
	s_wait_dscnt 0x0
	v_add_f32_e32 v2, v11, v2
	ds_bpermute_b32 v5, v5, v2
	s_wait_dscnt 0x0
	v_add_f32_e32 v2, v2, v5
	;; [unrolled: 3-line block ×5, first 2 shown]
	s_and_saveexec_b32 s4, vcc_lo
; %bb.30:
	ds_store_b32 v6, v2 offset:272
; %bb.31:
	s_wait_alu 0xfffe
	s_or_b32 exec_lo, exec_lo, s4
	s_wait_loadcnt_dscnt 0x0
	s_barrier_signal -1
	s_barrier_wait -1
	global_inv scope:SCOPE_SE
	s_and_saveexec_b32 s4, s0
; %bb.32:
	ds_load_b32 v2, v7 offset:272
; %bb.33:
	s_wait_alu 0xfffe
	s_or_b32 exec_lo, exec_lo, s4
	s_wait_dscnt 0x0
	ds_bpermute_b32 v5, v9, v2
	s_wait_dscnt 0x0
	v_add_f32_e32 v2, v2, v5
	ds_bpermute_b32 v5, v10, v2
	s_wait_dscnt 0x0
	v_dual_add_f32 v2, v2, v5 :: v_dual_mov_b32 v5, 0
	ds_bpermute_b32 v2, v5, v2
	s_and_saveexec_b32 s0, s1
	s_cbranch_execz .LBB138_36
; %bb.34:
	s_wait_dscnt 0x0
	v_add_f32_e32 v5, 0x358637bd, v2
	s_mov_b32 s1, 0
	s_delay_alu instid0(VALU_DEP_1) | instskip(SKIP_1) | instid1(VALU_DEP_2)
	v_div_scale_f32 v6, null, v5, v5, 1.0
	v_div_scale_f32 v9, vcc_lo, 1.0, v5, 1.0
	v_rcp_f32_e32 v7, v6
	s_delay_alu instid0(TRANS32_DEP_1) | instskip(NEXT) | instid1(VALU_DEP_1)
	v_fma_f32 v8, -v6, v7, 1.0
	v_fmac_f32_e32 v7, v8, v7
	s_delay_alu instid0(VALU_DEP_1) | instskip(NEXT) | instid1(VALU_DEP_1)
	v_mul_f32_e32 v8, v9, v7
	v_fma_f32 v10, -v6, v8, v9
	s_delay_alu instid0(VALU_DEP_1) | instskip(NEXT) | instid1(VALU_DEP_1)
	v_fmac_f32_e32 v8, v10, v7
	v_fma_f32 v6, -v6, v8, v9
	s_wait_alu 0xfffd
	s_delay_alu instid0(VALU_DEP_1) | instskip(NEXT) | instid1(VALU_DEP_1)
	v_div_fmas_f32 v6, v6, v7, v8
	v_div_fixup_f32 v5, v6, v5, 1.0
	v_mov_b32_e32 v6, v0
.LBB138_35:                             ; =>This Inner Loop Header: Depth=1
	ds_load_b32 v7, v4
	s_wait_dscnt 0x0
	v_dual_mul_f32 v7, v5, v7 :: v_dual_add_nc_u32 v6, 0x80, v6
	s_delay_alu instid0(VALU_DEP_1)
	v_cmp_le_i32_e32 vcc_lo, s5, v6
	ds_store_b32 v4, v7
	v_add_nc_u32_e32 v4, 0x200, v4
	s_wait_alu 0xfffe
	s_or_b32 s1, vcc_lo, s1
	s_wait_alu 0xfffe
	s_and_not1_b32 exec_lo, exec_lo, s1
	s_cbranch_execnz .LBB138_35
.LBB138_36:
	s_wait_alu 0xfffe
	s_or_b32 exec_lo, exec_lo, s0
	s_mul_i32 s0, s8, s33
	s_wait_loadcnt_dscnt 0x0
	s_wait_alu 0xfffe
	s_mul_i32 s4, s0, s34
	s_mov_b32 s0, exec_lo
	s_barrier_signal -1
	s_barrier_wait -1
	global_inv scope:SCOPE_SE
	v_cmpx_eq_u32_e32 0, v0
	s_cbranch_execz .LBB138_38
; %bb.37:
	s_wait_alu 0xfffe
	s_ashr_i32 s5, s4, 31
	s_mul_i32 s34, s8, ttmp9
	s_lshl_b32 s1, s30, 2
	s_wait_alu 0xfffe
	s_lshl_b64 s[38:39], s[4:5], 2
	s_ashr_i32 s35, s34, 31
	v_mov_b32_e32 v4, s1
	s_wait_kmcnt 0x0
	s_wait_alu 0xfffe
	s_add_nc_u64 s[14:15], s[14:15], s[38:39]
	s_lshl_b64 s[34:35], s[34:35], 2
	s_add_nc_u64 s[12:13], s[12:13], s[38:39]
	s_wait_alu 0xfffe
	s_add_nc_u64 s[14:15], s[14:15], s[34:35]
	s_add_nc_u64 s[12:13], s[12:13], s[34:35]
	s_clause 0x1
	global_store_b32 v4, v1, s[14:15]
	global_store_b32 v4, v2, s[12:13]
.LBB138_38:
	s_wait_alu 0xfffe
	s_or_b32 exec_lo, exec_lo, s0
	v_dual_mov_b32 v34, 0 :: v_dual_mov_b32 v33, 0
	v_dual_mov_b32 v32, 0 :: v_dual_mov_b32 v31, 0
	s_and_saveexec_b32 s1, s3
	s_cbranch_execz .LBB138_52
; %bb.39:
	s_abs_i32 s3, s10
	s_ashr_i32 s19, s18, 31
	s_wait_alu 0xfffe
	s_cvt_f32_u32 s0, s3
	s_wait_kmcnt 0x0
	s_lshl_b64 s[14:15], s[26:27], 2
	v_dual_mov_b32 v31, 0 :: v_dual_lshlrev_b32 v2, 4, v30
	s_wait_alu 0xfffe
	v_rcp_iflag_f32_e32 v1, s0
	s_lshl_b64 s[18:19], s[18:19], 1
	s_add_nc_u64 s[14:15], s[24:25], s[14:15]
	s_add_nc_u64 s[18:19], s[28:29], s[18:19]
	s_wait_alu 0xfffe
	v_add_co_u32 v25, s14, s14, v3
	s_sub_co_i32 s13, 0, s3
	v_add_co_ci_u32_e64 v26, null, s15, 0, s14
	v_add_co_u32 v36, s14, s18, v2
	s_delay_alu instid0(TRANS32_DEP_1)
	v_readfirstlane_b32 s0, v1
	v_lshl_add_u32 v35, v27, 5, 0x120
	v_dual_mov_b32 v32, 0 :: v_dual_mov_b32 v33, 0
	s_wait_alu 0xf1ff
	v_add_co_ci_u32_e64 v37, null, s19, 0, s14
	s_mul_f32 s0, s0, 0x4f7ffffe
	v_mov_b32_e32 v34, 0
	s_sub_co_i32 s5, s37, s9
	s_mov_b32 s9, s17
	s_wait_alu 0xfffe
	s_cvt_u32_f32 s0, s0
	s_add_co_i32 s10, s36, -1
	s_mov_b32 s12, 0
	s_wait_alu 0xfffe
	s_mul_i32 s13, s13, s0
	s_wait_alu 0xfffe
	s_mul_hi_u32 s14, s0, s13
	s_mov_b32 s13, s31
	s_wait_alu 0xfffe
	s_add_co_i32 s14, s0, s14
	s_branch .LBB138_42
.LBB138_40:                             ;   in Loop: Header=BB138_42 Depth=1
	s_wait_alu 0xfffe
	s_or_b32 exec_lo, exec_lo, s0
	s_wait_dscnt 0x1
	v_bfe_u32 v38, v17, 16, 1
	v_bfe_u32 v39, v18, 16, 1
	v_or_b32_e32 v40, 0x400000, v17
	v_cmp_u_f32_e32 vcc_lo, v17, v17
	v_or_b32_e32 v41, 0x400000, v18
	v_add3_u32 v38, v38, v17, 0x7fff
	v_bfe_u32 v42, v19, 16, 1
	v_add3_u32 v39, v39, v18, 0x7fff
	v_bfe_u32 v43, v20, 16, 1
	s_wait_alu 0xfffd
	v_cndmask_b32_e32 v17, v38, v40, vcc_lo
	v_cmp_u_f32_e32 vcc_lo, v18, v18
	v_add3_u32 v38, v42, v19, 0x7fff
	v_add3_u32 v40, v43, v20, 0x7fff
	s_wait_dscnt 0x0
	v_bfe_u32 v42, v13, 16, 1
	s_wait_alu 0xfffd
	v_cndmask_b32_e32 v18, v39, v41, vcc_lo
	v_or_b32_e32 v39, 0x400000, v19
	v_cmp_u_f32_e32 vcc_lo, v19, v19
	v_or_b32_e32 v41, 0x400000, v20
	s_wait_alu 0xfffd
	s_delay_alu instid0(VALU_DEP_3)
	v_cndmask_b32_e32 v19, v38, v39, vcc_lo
	v_cmp_u_f32_e32 vcc_lo, v20, v20
	v_bfe_u32 v38, v14, 16, 1
	v_add3_u32 v39, v42, v13, 0x7fff
	v_bfe_u32 v42, v15, 16, 1
	s_wait_alu 0xfffd
	v_cndmask_b32_e32 v20, v40, v41, vcc_lo
	v_or_b32_e32 v40, 0x400000, v13
	v_cmp_u_f32_e32 vcc_lo, v13, v13
	v_add3_u32 v38, v38, v14, 0x7fff
	v_or_b32_e32 v41, 0x400000, v14
	v_and_b32_e32 v20, 0xffff0000, v20
	s_wait_alu 0xfffd
	v_cndmask_b32_e32 v13, v39, v40, vcc_lo
	v_cmp_u_f32_e32 vcc_lo, v14, v14
	v_bfe_u32 v39, v16, 16, 1
	s_wait_loadcnt 0x1
	v_and_b32_e32 v40, 0xffff0000, v21
	v_and_b32_e32 v17, 0xffff0000, v17
	s_wait_alu 0xfffd
	v_cndmask_b32_e32 v14, v38, v41, vcc_lo
	v_add3_u32 v38, v42, v15, 0x7fff
	v_or_b32_e32 v41, 0x400000, v15
	v_cmp_u_f32_e32 vcc_lo, v15, v15
	v_add3_u32 v39, v39, v16, 0x7fff
	v_or_b32_e32 v42, 0x400000, v16
	v_and_b32_e32 v13, 0xffff0000, v13
	s_wait_alu 0xfffd
	v_cndmask_b32_e32 v15, v38, v41, vcc_lo
	v_cmp_u_f32_e32 vcc_lo, v16, v16
	s_wait_alu 0xfffd
	v_dual_cndmask_b32 v16, v39, v42 :: v_dual_lshlrev_b32 v21, 16, v21
	s_delay_alu instid0(VALU_DEP_1) | instskip(NEXT) | instid1(VALU_DEP_1)
	v_dual_mul_f32 v21, v17, v21 :: v_dual_and_b32 v18, 0xffff0000, v18
	v_mul_f32_e32 v40, v18, v40
	s_delay_alu instid0(VALU_DEP_2) | instskip(SKIP_1) | instid1(VALU_DEP_3)
	v_bfe_u32 v39, v21, 16, 1
	v_or_b32_e32 v43, 0x400000, v21
	v_bfe_u32 v38, v40, 16, 1
	v_or_b32_e32 v42, 0x400000, v40
	v_cmp_u_f32_e32 vcc_lo, v40, v40
	v_add3_u32 v39, v39, v21, 0x7fff
	s_delay_alu instid0(VALU_DEP_4)
	v_add3_u32 v38, v38, v40, 0x7fff
	v_and_b32_e32 v40, 0xffff0000, v23
	v_lshlrev_b32_e32 v23, 16, v23
	v_and_b32_e32 v14, 0xffff0000, v14
	v_and_b32_e32 v41, 0xffff0000, v22
	s_wait_alu 0xfffd
	v_dual_cndmask_b32 v38, v38, v42 :: v_dual_and_b32 v19, 0xffff0000, v19
	v_lshlrev_b32_e32 v22, 16, v22
	v_cmp_u_f32_e32 vcc_lo, v21, v21
	v_dual_mul_f32 v40, v14, v40 :: v_dual_mul_f32 v41, v20, v41
	s_delay_alu instid0(VALU_DEP_3) | instskip(SKIP_2) | instid1(VALU_DEP_3)
	v_mul_f32_e32 v22, v19, v22
	s_wait_alu 0xfffd
	v_cndmask_b32_e32 v21, v39, v43, vcc_lo
	v_bfe_u32 v39, v41, 16, 1
	v_or_b32_e32 v42, 0x400000, v41
	v_bfe_u32 v43, v22, 16, 1
	v_cmp_u_f32_e32 vcc_lo, v41, v41
	s_delay_alu instid0(VALU_DEP_4) | instskip(NEXT) | instid1(VALU_DEP_3)
	v_add3_u32 v39, v39, v41, 0x7fff
	v_add3_u32 v41, v43, v22, 0x7fff
	v_bfe_u32 v43, v40, 16, 1
	s_wait_alu 0xfffd
	s_delay_alu instid0(VALU_DEP_3) | instskip(SKIP_3) | instid1(VALU_DEP_2)
	v_cndmask_b32_e32 v39, v39, v42, vcc_lo
	v_or_b32_e32 v42, 0x400000, v22
	v_cmp_u_f32_e32 vcc_lo, v22, v22
	s_wait_alu 0xfffd
	v_dual_cndmask_b32 v22, v41, v42 :: v_dual_and_b32 v39, 0xffff0000, v39
	v_mul_f32_e32 v23, v13, v23
	v_add3_u32 v41, v43, v40, 0x7fff
	v_or_b32_e32 v42, 0x400000, v40
	v_cmp_u_f32_e32 vcc_lo, v40, v40
	v_and_b32_e32 v45, 0xffff0000, v24
	v_bfe_u32 v44, v23, 16, 1
	v_and_b32_e32 v22, 0xffff0000, v22
	s_wait_alu 0xfffd
	v_dual_cndmask_b32 v40, v41, v42 :: v_dual_and_b32 v21, 0xffff0000, v21
	v_cmp_u_f32_e32 vcc_lo, v23, v23
	v_add3_u32 v44, v44, v23, 0x7fff
	v_and_b32_e32 v16, 0xffff0000, v16
	v_add_f32_e32 v22, v22, v39
	v_and_b32_e32 v38, 0xffff0000, v38
	s_delay_alu instid0(VALU_DEP_3) | instskip(SKIP_1) | instid1(VALU_DEP_3)
	v_dual_mul_f32 v43, v16, v45 :: v_dual_lshlrev_b32 v24, 16, v24
	v_or_b32_e32 v45, 0x400000, v23
	v_dual_add_f32 v21, v21, v38 :: v_dual_and_b32 v38, 0xffff0000, v40
	s_delay_alu instid0(VALU_DEP_3) | instskip(SKIP_1) | instid1(VALU_DEP_3)
	v_bfe_u32 v46, v43, 16, 1
	s_wait_alu 0xfffd
	v_cndmask_b32_e32 v23, v44, v45, vcc_lo
	v_or_b32_e32 v42, 0x400000, v43
	v_cmp_u_f32_e32 vcc_lo, v43, v43
	v_add_f32_e32 v21, v22, v21
	v_add3_u32 v41, v46, v43, 0x7fff
	v_and_b32_e32 v23, 0xffff0000, v23
	v_and_b32_e32 v15, 0xffff0000, v15
	s_wait_alu 0xfffd
	s_delay_alu instid0(VALU_DEP_3) | instskip(NEXT) | instid1(VALU_DEP_3)
	v_cndmask_b32_e32 v41, v41, v42, vcc_lo
	v_add_f32_e32 v22, v23, v38
	s_delay_alu instid0(VALU_DEP_1) | instskip(NEXT) | instid1(VALU_DEP_1)
	v_dual_mul_f32 v24, v15, v24 :: v_dual_add_f32 v21, v22, v21
	v_bfe_u32 v44, v24, 16, 1
	v_or_b32_e32 v43, 0x400000, v24
	v_cmp_u_f32_e32 vcc_lo, v24, v24
	s_delay_alu instid0(VALU_DEP_3) | instskip(SKIP_1) | instid1(VALU_DEP_1)
	v_add3_u32 v42, v44, v24, 0x7fff
	s_wait_alu 0xfffd
	v_dual_cndmask_b32 v24, v42, v43 :: v_dual_and_b32 v39, 0xffff0000, v9
	s_delay_alu instid0(VALU_DEP_1)
	v_mul_f32_e32 v23, v18, v39
	v_and_b32_e32 v39, 0xffff0000, v10
	v_lshlrev_b32_e32 v9, 16, v9
	v_lshlrev_b32_e32 v10, 16, v10
	v_and_b32_e32 v24, 0xffff0000, v24
	v_cmp_u_f32_e32 vcc_lo, v23, v23
	v_and_b32_e32 v38, 0xffff0000, v41
	v_bfe_u32 v40, v23, 16, 1
	v_mul_f32_e32 v10, v19, v10
	s_delay_alu instid0(VALU_DEP_3) | instskip(SKIP_1) | instid1(VALU_DEP_4)
	v_add_f32_e32 v24, v24, v38
	v_dual_mul_f32 v38, v20, v39 :: v_dual_mul_f32 v9, v17, v9
	v_add3_u32 v39, v40, v23, 0x7fff
	v_or_b32_e32 v40, 0x400000, v23
	s_delay_alu instid0(VALU_DEP_3) | instskip(NEXT) | instid1(VALU_DEP_4)
	v_bfe_u32 v42, v38, 16, 1
	v_bfe_u32 v22, v9, 16, 1
	v_or_b32_e32 v41, 0x400000, v9
	s_wait_alu 0xfffd
	v_cndmask_b32_e32 v23, v39, v40, vcc_lo
	v_cmp_u_f32_e32 vcc_lo, v9, v9
	v_and_b32_e32 v40, 0xffff0000, v11
	v_add3_u32 v22, v22, v9, 0x7fff
	v_or_b32_e32 v39, 0x400000, v38
	s_wait_alu 0xfffd
	s_delay_alu instid0(VALU_DEP_2)
	v_cndmask_b32_e32 v9, v22, v41, vcc_lo
	v_add3_u32 v22, v42, v38, 0x7fff
	v_bfe_u32 v41, v10, 16, 1
	v_cmp_u_f32_e32 vcc_lo, v38, v38
	v_mul_f32_e32 v38, v14, v40
	v_or_b32_e32 v40, 0x400000, v10
	s_wait_alu 0xfffd
	v_cndmask_b32_e32 v22, v22, v39, vcc_lo
	v_add3_u32 v39, v41, v10, 0x7fff
	v_and_b32_e32 v41, 0xffff0000, v12
	v_bfe_u32 v42, v38, 16, 1
	v_cmp_u_f32_e32 vcc_lo, v10, v10
	v_lshlrev_b32_e32 v11, 16, v11
	v_lshlrev_b32_e32 v12, 16, v12
	v_and_b32_e32 v22, 0xffff0000, v22
	s_wait_alu 0xfffd
	v_dual_cndmask_b32 v10, v39, v40 :: v_dual_mul_f32 v39, v16, v41
	v_add3_u32 v40, v42, v38, 0x7fff
	v_or_b32_e32 v41, 0x400000, v38
	v_cmp_u_f32_e32 vcc_lo, v38, v38
	v_mul_f32_e32 v11, v13, v11
	v_bfe_u32 v44, v39, 16, 1
	v_mul_f32_e32 v12, v15, v12
	s_wait_alu 0xfffd
	v_cndmask_b32_e32 v38, v40, v41, vcc_lo
	v_bfe_u32 v43, v11, 16, 1
	v_cmp_u_f32_e32 vcc_lo, v11, v11
	v_add3_u32 v40, v44, v39, 0x7fff
	v_or_b32_e32 v41, 0x400000, v39
	s_delay_alu instid0(VALU_DEP_4) | instskip(SKIP_2) | instid1(VALU_DEP_1)
	v_add3_u32 v42, v43, v11, 0x7fff
	v_or_b32_e32 v43, 0x400000, v11
	s_wait_alu 0xfffd
	v_cndmask_b32_e32 v11, v42, v43, vcc_lo
	v_cmp_u_f32_e32 vcc_lo, v39, v39
	s_wait_alu 0xfffd
	v_dual_cndmask_b32 v39, v40, v41 :: v_dual_and_b32 v10, 0xffff0000, v10
	s_delay_alu instid0(VALU_DEP_1) | instskip(SKIP_4) | instid1(VALU_DEP_2)
	v_dual_add_f32 v10, v10, v22 :: v_dual_and_b32 v9, 0xffff0000, v9
	v_bfe_u32 v40, v12, 16, 1
	v_and_b32_e32 v22, 0xffff0000, v1
	v_and_b32_e32 v23, 0xffff0000, v23
	v_cmp_u_f32_e32 vcc_lo, v12, v12
	v_add_f32_e32 v9, v9, v23
	v_and_b32_e32 v23, 0xffff0000, v38
	v_add3_u32 v38, v40, v12, 0x7fff
	v_or_b32_e32 v40, 0x400000, v12
	s_wait_alu 0xfffd
	s_delay_alu instid0(VALU_DEP_1) | instskip(SKIP_1) | instid1(VALU_DEP_2)
	v_dual_cndmask_b32 v12, v38, v40 :: v_dual_and_b32 v11, 0xffff0000, v11
	v_add_f32_e32 v9, v10, v9
	v_dual_add_f32 v11, v11, v23 :: v_dual_mul_f32 v10, v18, v22
	v_and_b32_e32 v38, 0xffff0000, v39
	s_delay_alu instid0(VALU_DEP_2) | instskip(NEXT) | instid1(VALU_DEP_3)
	v_dual_add_f32 v9, v11, v9 :: v_dual_and_b32 v12, 0xffff0000, v12
	v_bfe_u32 v22, v10, 16, 1
	v_or_b32_e32 v23, 0x400000, v10
	v_cmp_u_f32_e32 vcc_lo, v10, v10
	v_and_b32_e32 v11, 0xffff0000, v2
	v_lshlrev_b32_e32 v2, 16, v2
	v_add3_u32 v22, v22, v10, 0x7fff
	v_lshlrev_b32_e32 v1, 16, v1
	s_delay_alu instid0(VALU_DEP_3) | instskip(SKIP_1) | instid1(VALU_DEP_2)
	v_dual_mul_f32 v11, v20, v11 :: v_dual_mul_f32 v2, v19, v2
	s_wait_alu 0xfffd
	v_dual_cndmask_b32 v10, v22, v23 :: v_dual_mul_f32 v1, v17, v1
	s_delay_alu instid0(VALU_DEP_2) | instskip(SKIP_1) | instid1(VALU_DEP_3)
	v_bfe_u32 v22, v11, 16, 1
	v_or_b32_e32 v41, 0x400000, v11
	v_and_b32_e32 v10, 0xffff0000, v10
	s_delay_alu instid0(VALU_DEP_4) | instskip(SKIP_3) | instid1(VALU_DEP_4)
	v_bfe_u32 v39, v1, 16, 1
	v_or_b32_e32 v40, 0x400000, v1
	v_cmp_u_f32_e32 vcc_lo, v1, v1
	v_add3_u32 v22, v22, v11, 0x7fff
	v_add3_u32 v23, v39, v1, 0x7fff
	v_and_b32_e32 v39, 0xffff0000, v3
	s_wait_alu 0xfffd
	s_delay_alu instid0(VALU_DEP_2)
	v_cndmask_b32_e32 v1, v23, v40, vcc_lo
	v_bfe_u32 v23, v2, 16, 1
	v_cmp_u_f32_e32 vcc_lo, v11, v11
	v_dual_mul_f32 v39, v14, v39 :: v_dual_and_b32 v40, 0xffff0000, v4
	v_lshlrev_b32_e32 v4, 16, v4
	v_lshlrev_b32_e32 v3, 16, v3
	s_wait_alu 0xfffd
	v_cndmask_b32_e32 v11, v22, v41, vcc_lo
	v_add3_u32 v23, v23, v2, 0x7fff
	v_or_b32_e32 v41, 0x400000, v2
	v_cmp_u_f32_e32 vcc_lo, v2, v2
	v_bfe_u32 v22, v39, 16, 1
	v_mul_f32_e32 v4, v15, v4
	v_mul_f32_e32 v40, v16, v40
	v_or_b32_e32 v42, 0x400000, v39
	s_wait_alu 0xfffd
	v_dual_cndmask_b32 v2, v23, v41 :: v_dual_mul_f32 v3, v13, v3
	v_add3_u32 v22, v22, v39, 0x7fff
	v_cmp_u_f32_e32 vcc_lo, v39, v39
	v_bfe_u32 v41, v40, 16, 1
	s_delay_alu instid0(VALU_DEP_4)
	v_and_b32_e32 v2, 0xffff0000, v2
	v_bfe_u32 v23, v3, 16, 1
	v_or_b32_e32 v39, 0x400000, v3
	s_wait_alu 0xfffd
	v_cndmask_b32_e32 v22, v22, v42, vcc_lo
	v_cmp_u_f32_e32 vcc_lo, v3, v3
	v_add3_u32 v41, v41, v40, 0x7fff
	v_add3_u32 v23, v23, v3, 0x7fff
	v_or_b32_e32 v42, 0x400000, v40
	v_and_b32_e32 v11, 0xffff0000, v11
	s_wait_alu 0xfffd
	s_delay_alu instid0(VALU_DEP_3)
	v_cndmask_b32_e32 v3, v23, v39, vcc_lo
	v_cmp_u_f32_e32 vcc_lo, v40, v40
	v_bfe_u32 v39, v4, 16, 1
	v_or_b32_e32 v40, 0x400000, v4
	s_wait_alu 0xfffd
	v_cndmask_b32_e32 v23, v41, v42, vcc_lo
	s_delay_alu instid0(VALU_DEP_3) | instskip(SKIP_2) | instid1(VALU_DEP_2)
	v_add3_u32 v39, v39, v4, 0x7fff
	v_cmp_u_f32_e32 vcc_lo, v4, v4
	s_wait_alu 0xfffd
	v_dual_cndmask_b32 v4, v39, v40 :: v_dual_and_b32 v1, 0xffff0000, v1
	s_delay_alu instid0(VALU_DEP_1) | instskip(SKIP_2) | instid1(VALU_DEP_1)
	v_add_f32_e32 v1, v1, v10
	v_and_b32_e32 v10, 0xffff0000, v22
	v_and_b32_e32 v3, 0xffff0000, v3
	v_dual_add_f32 v3, v3, v10 :: v_dual_and_b32 v4, 0xffff0000, v4
	s_wait_loadcnt 0x0
	v_and_b32_e32 v10, 0xffff0000, v6
	v_lshlrev_b32_e32 v6, 16, v6
	s_delay_alu instid0(VALU_DEP_2) | instskip(SKIP_1) | instid1(VALU_DEP_2)
	v_dual_mul_f32 v10, v20, v10 :: v_dual_and_b32 v41, 0xffff0000, v5
	v_add_f32_e32 v2, v2, v11
	v_dual_mul_f32 v6, v19, v6 :: v_dual_mul_f32 v11, v18, v41
	v_and_b32_e32 v19, 0xffff0000, v7
	v_lshlrev_b32_e32 v5, 16, v5
	s_delay_alu instid0(VALU_DEP_4) | instskip(SKIP_1) | instid1(VALU_DEP_4)
	v_add_f32_e32 v1, v2, v1
	v_lshlrev_b32_e32 v7, 16, v7
	v_mul_f32_e32 v14, v14, v19
	s_delay_alu instid0(VALU_DEP_2)
	v_mul_f32_e32 v7, v13, v7
	v_and_b32_e32 v13, 0xffff0000, v8
	v_lshlrev_b32_e32 v8, 16, v8
	v_bfe_u32 v2, v11, 16, 1
	v_mul_f32_e32 v5, v17, v5
	v_or_b32_e32 v17, 0x400000, v11
	v_cmp_u_f32_e32 vcc_lo, v11, v11
	v_mul_f32_e32 v8, v15, v8
	v_add3_u32 v2, v2, v11, 0x7fff
	v_bfe_u32 v18, v5, 16, 1
	v_or_b32_e32 v15, 0x400000, v14
	s_delay_alu instid0(VALU_DEP_4)
	v_bfe_u32 v19, v8, 16, 1
	s_wait_alu 0xfffd
	v_cndmask_b32_e32 v2, v2, v17, vcc_lo
	v_add3_u32 v11, v18, v5, 0x7fff
	v_or_b32_e32 v17, 0x400000, v5
	v_bfe_u32 v18, v10, 16, 1
	v_cmp_u_f32_e32 vcc_lo, v5, v5
	s_wait_alu 0xfffd
	s_delay_alu instid0(VALU_DEP_3) | instskip(NEXT) | instid1(VALU_DEP_3)
	v_dual_cndmask_b32 v5, v11, v17 :: v_dual_and_b32 v2, 0xffff0000, v2
	v_add3_u32 v11, v18, v10, 0x7fff
	v_or_b32_e32 v17, 0x400000, v10
	v_bfe_u32 v18, v6, 16, 1
	v_cmp_u_f32_e32 vcc_lo, v10, v10
	s_wait_alu 0xfffd
	s_delay_alu instid0(VALU_DEP_3) | instskip(NEXT) | instid1(VALU_DEP_3)
	v_cndmask_b32_e32 v10, v11, v17, vcc_lo
	v_add3_u32 v11, v18, v6, 0x7fff
	v_or_b32_e32 v17, 0x400000, v6
	v_bfe_u32 v18, v14, 16, 1
	v_cmp_u_f32_e32 vcc_lo, v6, v6
	v_and_b32_e32 v10, 0xffff0000, v10
	s_wait_alu 0xfffd
	v_cndmask_b32_e32 v6, v11, v17, vcc_lo
	v_add3_u32 v17, v18, v14, 0x7fff
	v_cmp_u_f32_e32 vcc_lo, v14, v14
	v_bfe_u32 v11, v7, 16, 1
	s_delay_alu instid0(VALU_DEP_4)
	v_and_b32_e32 v6, 0xffff0000, v6
	s_wait_alu 0xfffd
	v_cndmask_b32_e32 v14, v17, v15, vcc_lo
	v_add3_u32 v15, v19, v8, 0x7fff
	v_and_b32_e32 v5, 0xffff0000, v5
	v_add3_u32 v11, v11, v7, 0x7fff
	v_cmp_u_f32_e32 vcc_lo, v7, v7
	s_delay_alu instid0(VALU_DEP_3) | instskip(SKIP_2) | instid1(VALU_DEP_2)
	v_dual_add_f32 v1, v3, v1 :: v_dual_add_f32 v2, v5, v2
	v_mul_f32_e32 v13, v16, v13
	v_or_b32_e32 v16, 0x400000, v7
	v_bfe_u32 v18, v13, 16, 1
	s_wait_alu 0xfffd
	s_delay_alu instid0(VALU_DEP_2)
	v_cndmask_b32_e32 v7, v11, v16, vcc_lo
	v_or_b32_e32 v16, 0x400000, v8
	v_cmp_u_f32_e32 vcc_lo, v8, v8
	v_or_b32_e32 v17, 0x400000, v13
	v_add3_u32 v11, v18, v13, 0x7fff
	v_dual_add_f32 v5, v6, v10 :: v_dual_and_b32 v6, 0xffff0000, v7
	s_wait_alu 0xfffd
	v_cndmask_b32_e32 v8, v15, v16, vcc_lo
	v_cmp_u_f32_e32 vcc_lo, v13, v13
	v_and_b32_e32 v7, 0xffff0000, v14
	v_add_f32_e32 v2, v5, v2
	s_wait_alu 0xfffd
	v_dual_cndmask_b32 v10, v11, v17 :: v_dual_and_b32 v11, 0xffff0000, v23
	s_delay_alu instid0(VALU_DEP_3) | instskip(SKIP_1) | instid1(VALU_DEP_3)
	v_dual_add_f32 v5, v6, v7 :: v_dual_and_b32 v6, 0xffff0000, v8
	v_add_f32_e32 v8, v12, v38
	v_and_b32_e32 v7, 0xffff0000, v10
	s_delay_alu instid0(VALU_DEP_3) | instskip(NEXT) | instid1(VALU_DEP_2)
	v_dual_add_f32 v3, v4, v11 :: v_dual_add_f32 v2, v5, v2
	v_dual_add_f32 v5, v24, v21 :: v_dual_add_f32 v4, v6, v7
	s_delay_alu instid0(VALU_DEP_4) | instskip(NEXT) | instid1(VALU_DEP_3)
	v_add_f32_e32 v6, v8, v9
	v_add_f32_e32 v1, v3, v1
	s_delay_alu instid0(VALU_DEP_3) | instskip(NEXT) | instid1(VALU_DEP_4)
	v_add_f32_e32 v32, v32, v5
	v_add_f32_e32 v2, v4, v2
	s_delay_alu instid0(VALU_DEP_3) | instskip(NEXT) | instid1(VALU_DEP_2)
	v_dual_add_f32 v33, v33, v6 :: v_dual_add_f32 v34, v34, v1
	v_add_f32_e32 v31, v31, v2
.LBB138_41:                             ;   in Loop: Header=BB138_42 Depth=1
	s_wait_alu 0xfffe
	s_or_b32 exec_lo, exec_lo, s15
	v_add_nc_u32_e32 v29, 4, v29
	v_add_co_u32 v25, s0, v25, 16
	s_wait_alu 0xf1ff
	v_add_co_ci_u32_e64 v26, null, 0, v26, s0
	s_delay_alu instid0(VALU_DEP_3)
	v_cmp_le_i32_e32 vcc_lo, s23, v29
	v_add_nc_u32_e32 v28, 32, v28
	v_add_nc_u32_e32 v35, 0x80, v35
	s_or_b32 s12, vcc_lo, s12
	s_wait_alu 0xfffe
	s_and_not1_b32 exec_lo, exec_lo, s12
	s_cbranch_execz .LBB138_51
.LBB138_42:                             ; =>This Inner Loop Header: Depth=1
	v_sub_nc_u32_e32 v1, 0, v28
	s_delay_alu instid0(VALU_DEP_1) | instskip(NEXT) | instid1(VALU_DEP_1)
	v_max_i32_e32 v1, v28, v1
	v_mul_hi_u32 v2, v1, s22
	s_delay_alu instid0(VALU_DEP_1) | instskip(NEXT) | instid1(VALU_DEP_1)
	v_mul_lo_u32 v3, v2, s16
	v_sub_nc_u32_e32 v1, v1, v3
	v_add_nc_u32_e32 v3, 1, v2
	s_delay_alu instid0(VALU_DEP_2) | instskip(SKIP_2) | instid1(VALU_DEP_2)
	v_subrev_nc_u32_e32 v4, s16, v1
	v_cmp_le_u32_e32 vcc_lo, s16, v1
	s_wait_alu 0xfffd
	v_dual_cndmask_b32 v2, v2, v3 :: v_dual_cndmask_b32 v1, v1, v4
	v_ashrrev_i32_e32 v3, 31, v28
	s_delay_alu instid0(VALU_DEP_2) | instskip(NEXT) | instid1(VALU_DEP_3)
	v_add_nc_u32_e32 v4, 1, v2
	v_cmp_le_u32_e32 vcc_lo, s16, v1
	s_delay_alu instid0(VALU_DEP_3) | instskip(SKIP_1) | instid1(VALU_DEP_3)
	v_xor_b32_e32 v3, s11, v3
	s_wait_alu 0xfffd
	v_cndmask_b32_e32 v1, v2, v4, vcc_lo
	s_delay_alu instid0(VALU_DEP_1) | instskip(NEXT) | instid1(VALU_DEP_1)
	v_xor_b32_e32 v1, v1, v3
	v_sub_nc_u32_e32 v1, v1, v3
	s_delay_alu instid0(VALU_DEP_1) | instskip(SKIP_1) | instid1(VALU_DEP_2)
	v_add_nc_u32_e32 v2, s21, v1
	v_cmp_lt_i32_e64 s0, s5, v1
	v_sub_nc_u32_e32 v3, 0, v2
	s_delay_alu instid0(VALU_DEP_1) | instskip(SKIP_1) | instid1(VALU_DEP_1)
	v_max_i32_e32 v3, v2, v3
	s_wait_alu 0xfffe
	v_mul_hi_u32 v4, v3, s14
	s_delay_alu instid0(VALU_DEP_1) | instskip(NEXT) | instid1(VALU_DEP_1)
	v_mul_lo_u32 v4, v4, s3
	v_sub_nc_u32_e32 v3, v3, v4
	s_delay_alu instid0(VALU_DEP_1) | instskip(SKIP_2) | instid1(VALU_DEP_2)
	v_subrev_nc_u32_e32 v4, s3, v3
	v_cmp_le_u32_e32 vcc_lo, s3, v3
	s_wait_alu 0xfffd
	v_cndmask_b32_e32 v3, v3, v4, vcc_lo
	v_ashrrev_i32_e32 v2, 31, v2
	s_delay_alu instid0(VALU_DEP_2) | instskip(SKIP_2) | instid1(VALU_DEP_2)
	v_subrev_nc_u32_e32 v4, s3, v3
	v_cmp_le_u32_e32 vcc_lo, s3, v3
	s_wait_alu 0xfffd
	v_cndmask_b32_e32 v3, v3, v4, vcc_lo
	s_delay_alu instid0(VALU_DEP_1) | instskip(NEXT) | instid1(VALU_DEP_1)
	v_xor_b32_e32 v3, v3, v2
	v_sub_nc_u32_e32 v2, v3, v2
	s_delay_alu instid0(VALU_DEP_1)
	v_cmp_eq_u32_e32 vcc_lo, 0, v2
	s_or_b32 s0, vcc_lo, s0
	s_wait_alu 0xfffe
	s_and_saveexec_b32 s15, s0
	s_cbranch_execz .LBB138_41
; %bb.43:                               ;   in Loop: Header=BB138_42 Depth=1
	global_load_b32 v1, v[25:26], off
	v_add_nc_u32_e32 v43, 1, v28
	v_or_b32_e32 v42, 3, v28
	v_or_b32_e32 v44, 2, v28
	;; [unrolled: 1-line block ×6, first 2 shown]
	s_wait_loadcnt 0x0
	v_mad_co_i64_i32 v[1:2], null, v1, s9, 0
	s_delay_alu instid0(VALU_DEP_1) | instskip(NEXT) | instid1(VALU_DEP_1)
	v_lshlrev_b64_e32 v[1:2], 1, v[1:2]
	v_add_co_u32 v5, vcc_lo, v36, v1
	s_wait_alu 0xfffd
	s_delay_alu instid0(VALU_DEP_2)
	v_add_co_ci_u32_e64 v6, null, v37, v2, vcc_lo
	v_cmp_eq_u32_e32 vcc_lo, s10, v29
	global_load_b128 v[1:4], v[5:6], off
	ds_load_2addr_b64 v[17:20], v35 offset1:1
	ds_load_2addr_b64 v[13:16], v35 offset0:2 offset1:3
	s_and_saveexec_b32 s17, vcc_lo
	s_cbranch_execnz .LBB138_47
; %bb.44:                               ;   in Loop: Header=BB138_42 Depth=1
	s_wait_alu 0xfffe
	s_or_b32 exec_lo, exec_lo, s17
	global_load_b128 v[9:12], v[5:6], off offset:512
	s_and_saveexec_b32 s17, vcc_lo
	s_cbranch_execnz .LBB138_48
.LBB138_45:                             ;   in Loop: Header=BB138_42 Depth=1
	s_wait_alu 0xfffe
	s_or_b32 exec_lo, exec_lo, s17
	global_load_b128 v[21:24], v[5:6], off offset:1024
	s_and_saveexec_b32 s17, vcc_lo
	s_cbranch_execnz .LBB138_49
.LBB138_46:                             ;   in Loop: Header=BB138_42 Depth=1
	s_wait_alu 0xfffe
	s_or_b32 exec_lo, exec_lo, s17
	global_load_b128 v[5:8], v[5:6], off offset:1536
	s_and_saveexec_b32 s0, vcc_lo
	s_cbranch_execz .LBB138_40
	s_branch .LBB138_50
.LBB138_47:                             ;   in Loop: Header=BB138_42 Depth=1
	v_cmp_gt_i32_e64 s0, s31, v28
	s_wait_loadcnt 0x0
	v_lshrrev_b32_e32 v7, 16, v1
	v_lshrrev_b32_e32 v8, 16, v2
	;; [unrolled: 1-line block ×4, first 2 shown]
	s_wait_alu 0xf1ff
	v_cndmask_b32_e64 v1, 0, v1, s0
	v_cmp_gt_i32_e64 s0, s13, v43
	s_wait_alu 0xf1ff
	s_delay_alu instid0(VALU_DEP_1) | instskip(SKIP_1) | instid1(VALU_DEP_2)
	v_cndmask_b32_e64 v7, 0, v7, s0
	v_cmp_gt_i32_e64 s0, s31, v44
	v_perm_b32 v1, v7, v1, 0x5040100
	s_wait_alu 0xf1ff
	s_delay_alu instid0(VALU_DEP_2) | instskip(SKIP_2) | instid1(VALU_DEP_1)
	v_cndmask_b32_e64 v2, 0, v2, s0
	v_cmp_gt_i32_e64 s0, s13, v42
	s_wait_alu 0xf1ff
	v_cndmask_b32_e64 v8, 0, v8, s0
	v_cmp_gt_i32_e64 s0, s31, v41
	s_delay_alu instid0(VALU_DEP_2) | instskip(SKIP_1) | instid1(VALU_DEP_2)
	v_perm_b32 v2, v8, v2, 0x5040100
	s_wait_alu 0xf1ff
	v_cndmask_b32_e64 v3, 0, v3, s0
	v_cmp_gt_i32_e64 s0, s13, v39
	s_wait_alu 0xf1ff
	s_delay_alu instid0(VALU_DEP_1) | instskip(SKIP_1) | instid1(VALU_DEP_2)
	v_cndmask_b32_e64 v9, 0, v9, s0
	v_cmp_gt_i32_e64 s0, s31, v40
	v_perm_b32 v3, v9, v3, 0x5040100
	s_wait_alu 0xf1ff
	s_delay_alu instid0(VALU_DEP_2) | instskip(SKIP_2) | instid1(VALU_DEP_1)
	v_cndmask_b32_e64 v4, 0, v4, s0
	v_cmp_gt_i32_e64 s0, s13, v38
	s_wait_alu 0xf1ff
	v_cndmask_b32_e64 v10, 0, v10, s0
	s_delay_alu instid0(VALU_DEP_1)
	v_perm_b32 v4, v10, v4, 0x5040100
	s_wait_alu 0xfffe
	s_or_b32 exec_lo, exec_lo, s17
	global_load_b128 v[9:12], v[5:6], off offset:512
	s_and_saveexec_b32 s17, vcc_lo
	s_cbranch_execz .LBB138_45
.LBB138_48:                             ;   in Loop: Header=BB138_42 Depth=1
	v_cmp_gt_i32_e64 s0, s31, v28
	s_wait_loadcnt 0x0
	v_lshrrev_b32_e32 v7, 16, v9
	v_lshrrev_b32_e32 v22, 16, v12
	s_wait_alu 0xf1ff
	v_cndmask_b32_e64 v8, 0, v9, s0
	v_cmp_gt_i32_e64 s0, s13, v43
	v_lshrrev_b32_e32 v9, 16, v10
	s_wait_alu 0xf1ff
	s_delay_alu instid0(VALU_DEP_2) | instskip(SKIP_2) | instid1(VALU_DEP_1)
	v_cndmask_b32_e64 v7, 0, v7, s0
	v_cmp_gt_i32_e64 s0, s31, v44
	s_wait_alu 0xf1ff
	v_cndmask_b32_e64 v10, 0, v10, s0
	v_cmp_gt_i32_e64 s0, s13, v42
	s_wait_alu 0xf1ff
	s_delay_alu instid0(VALU_DEP_1) | instskip(SKIP_2) | instid1(VALU_DEP_3)
	v_cndmask_b32_e64 v21, 0, v9, s0
	v_cmp_gt_i32_e64 s0, s31, v41
	v_lshrrev_b32_e32 v9, 16, v11
	v_perm_b32 v10, v21, v10, 0x5040100
	s_wait_alu 0xf1ff
	s_delay_alu instid0(VALU_DEP_3) | instskip(SKIP_2) | instid1(VALU_DEP_1)
	v_cndmask_b32_e64 v11, 0, v11, s0
	v_cmp_gt_i32_e64 s0, s13, v39
	s_wait_alu 0xf1ff
	v_cndmask_b32_e64 v23, 0, v9, s0
	v_cmp_gt_i32_e64 s0, s31, v40
	v_perm_b32 v9, v7, v8, 0x5040100
	s_delay_alu instid0(VALU_DEP_3) | instskip(SKIP_1) | instid1(VALU_DEP_3)
	v_perm_b32 v11, v23, v11, 0x5040100
	s_wait_alu 0xf1ff
	v_cndmask_b32_e64 v12, 0, v12, s0
	v_cmp_gt_i32_e64 s0, s13, v38
	s_wait_alu 0xf1ff
	s_delay_alu instid0(VALU_DEP_1) | instskip(NEXT) | instid1(VALU_DEP_1)
	v_cndmask_b32_e64 v22, 0, v22, s0
	v_perm_b32 v12, v22, v12, 0x5040100
	s_wait_alu 0xfffe
	s_or_b32 exec_lo, exec_lo, s17
	global_load_b128 v[21:24], v[5:6], off offset:1024
	s_and_saveexec_b32 s17, vcc_lo
	s_cbranch_execz .LBB138_46
.LBB138_49:                             ;   in Loop: Header=BB138_42 Depth=1
	v_cmp_gt_i32_e64 s0, s31, v28
	s_wait_loadcnt 0x0
	v_lshrrev_b32_e32 v7, 16, v21
	v_lshrrev_b32_e32 v46, 16, v24
	s_wait_alu 0xf1ff
	v_cndmask_b32_e64 v8, 0, v21, s0
	v_cmp_gt_i32_e64 s0, s13, v43
	v_lshrrev_b32_e32 v21, 16, v22
	s_wait_alu 0xf1ff
	s_delay_alu instid0(VALU_DEP_2) | instskip(SKIP_2) | instid1(VALU_DEP_1)
	v_cndmask_b32_e64 v7, 0, v7, s0
	v_cmp_gt_i32_e64 s0, s31, v44
	s_wait_alu 0xf1ff
	v_cndmask_b32_e64 v22, 0, v22, s0
	v_cmp_gt_i32_e64 s0, s13, v42
	s_wait_alu 0xf1ff
	s_delay_alu instid0(VALU_DEP_1) | instskip(SKIP_2) | instid1(VALU_DEP_3)
	v_cndmask_b32_e64 v45, 0, v21, s0
	v_cmp_gt_i32_e64 s0, s31, v41
	v_lshrrev_b32_e32 v21, 16, v23
	v_perm_b32 v22, v45, v22, 0x5040100
	s_wait_alu 0xf1ff
	s_delay_alu instid0(VALU_DEP_3) | instskip(SKIP_2) | instid1(VALU_DEP_1)
	v_cndmask_b32_e64 v23, 0, v23, s0
	v_cmp_gt_i32_e64 s0, s13, v39
	s_wait_alu 0xf1ff
	v_cndmask_b32_e64 v47, 0, v21, s0
	v_cmp_gt_i32_e64 s0, s31, v40
	v_perm_b32 v21, v7, v8, 0x5040100
	s_delay_alu instid0(VALU_DEP_3) | instskip(SKIP_1) | instid1(VALU_DEP_3)
	v_perm_b32 v23, v47, v23, 0x5040100
	s_wait_alu 0xf1ff
	v_cndmask_b32_e64 v24, 0, v24, s0
	v_cmp_gt_i32_e64 s0, s13, v38
	s_wait_alu 0xf1ff
	s_delay_alu instid0(VALU_DEP_1) | instskip(NEXT) | instid1(VALU_DEP_1)
	v_cndmask_b32_e64 v46, 0, v46, s0
	v_perm_b32 v24, v46, v24, 0x5040100
	s_wait_alu 0xfffe
	s_or_b32 exec_lo, exec_lo, s17
	global_load_b128 v[5:8], v[5:6], off offset:1536
	s_and_saveexec_b32 s0, vcc_lo
	s_cbranch_execz .LBB138_40
.LBB138_50:                             ;   in Loop: Header=BB138_42 Depth=1
	v_cmp_gt_i32_e32 vcc_lo, s31, v28
	s_wait_loadcnt 0x0
	v_lshrrev_b32_e32 v45, 16, v5
	v_lshrrev_b32_e32 v46, 16, v6
	s_wait_alu 0xfffd
	v_cndmask_b32_e32 v5, 0, v5, vcc_lo
	v_cmp_gt_i32_e32 vcc_lo, s13, v43
	s_wait_alu 0xfffd
	v_cndmask_b32_e32 v43, 0, v45, vcc_lo
	v_cmp_gt_i32_e32 vcc_lo, s31, v44
	v_lshrrev_b32_e32 v44, 16, v7
	s_wait_alu 0xfffd
	v_cndmask_b32_e32 v6, 0, v6, vcc_lo
	v_cmp_gt_i32_e32 vcc_lo, s13, v42
	s_wait_alu 0xfffd
	v_cndmask_b32_e32 v42, 0, v46, vcc_lo
	v_cmp_gt_i32_e32 vcc_lo, s31, v41
	v_lshrrev_b32_e32 v41, 16, v8
	v_perm_b32 v5, v43, v5, 0x5040100
	s_delay_alu instid0(VALU_DEP_4)
	v_perm_b32 v6, v42, v6, 0x5040100
	s_wait_alu 0xfffd
	v_cndmask_b32_e32 v7, 0, v7, vcc_lo
	v_cmp_gt_i32_e32 vcc_lo, s13, v39
	s_wait_alu 0xfffd
	v_cndmask_b32_e32 v39, 0, v44, vcc_lo
	v_cmp_gt_i32_e32 vcc_lo, s31, v40
	;; [unrolled: 3-line block ×3, first 2 shown]
	s_wait_alu 0xfffd
	v_cndmask_b32_e32 v38, 0, v41, vcc_lo
	v_perm_b32 v7, v39, v7, 0x5040100
	s_delay_alu instid0(VALU_DEP_2)
	v_perm_b32 v8, v38, v8, 0x5040100
	s_branch .LBB138_40
.LBB138_51:
	s_or_b32 exec_lo, exec_lo, s12
.LBB138_52:
	s_wait_alu 0xfffe
	s_or_b32 exec_lo, exec_lo, s1
	v_lshl_add_u32 v2, v30, 2, 0x120
	v_and_b32_e32 v3, 0x3c0, v0
	s_mov_b32 s0, exec_lo
	s_wait_loadcnt 0x0
	s_wait_storecnt 0x0
	s_barrier_signal -1
	v_lshl_add_u32 v1, v27, 9, v2
	s_barrier_wait -1
	global_inv scope:SCOPE_SE
	v_cmpx_eq_u32_e32 64, v3
	s_cbranch_execz .LBB138_54
; %bb.53:
	v_add_nc_u32_e32 v3, 0xfffffc00, v1
	v_add_nc_u32_e32 v4, 0xfffffc80, v1
	;; [unrolled: 1-line block ×4, first 2 shown]
	ds_store_b32 v3, v34
	ds_store_b32 v4, v33
	;; [unrolled: 1-line block ×4, first 2 shown]
.LBB138_54:
	s_wait_alu 0xfffe
	s_or_b32 exec_lo, exec_lo, s0
	s_wait_loadcnt_dscnt 0x0
	s_barrier_signal -1
	s_barrier_wait -1
	global_inv scope:SCOPE_SE
	s_and_saveexec_b32 s0, s2
	s_cbranch_execz .LBB138_56
; %bb.55:
	ds_load_2addr_b32 v[3:4], v1 offset1:32
	ds_load_2addr_b32 v[5:6], v1 offset0:64 offset1:96
	s_wait_dscnt 0x1
	v_dual_add_f32 v34, v34, v3 :: v_dual_add_f32 v33, v33, v4
	s_wait_dscnt 0x0
	v_dual_add_f32 v32, v32, v5 :: v_dual_add_f32 v31, v31, v6
.LBB138_56:
	s_wait_alu 0xfffe
	s_or_b32 exec_lo, exec_lo, s0
	v_and_b32_e32 v3, 0x3e0, v0
	s_mov_b32 s0, exec_lo
	s_wait_loadcnt 0x0
	s_barrier_signal -1
	s_barrier_wait -1
	global_inv scope:SCOPE_SE
	v_cmpx_eq_u32_e32 32, v3
	s_cbranch_execz .LBB138_58
; %bb.57:
	ds_store_2addr_b32 v2, v34, v33 offset1:32
	ds_store_2addr_b32 v2, v32, v31 offset0:64 offset1:96
.LBB138_58:
	s_wait_alu 0xfffe
	s_or_b32 exec_lo, exec_lo, s0
	v_cmp_gt_u32_e32 vcc_lo, 32, v0
	s_wait_loadcnt_dscnt 0x0
	s_barrier_signal -1
	s_barrier_wait -1
	global_inv scope:SCOPE_SE
	s_and_saveexec_b32 s0, vcc_lo
	s_cbranch_execz .LBB138_60
; %bb.59:
	ds_load_2addr_b32 v[2:3], v1 offset1:32
	ds_load_2addr_b32 v[4:5], v1 offset0:64 offset1:96
	s_wait_dscnt 0x1
	v_dual_add_f32 v34, v34, v2 :: v_dual_add_f32 v33, v33, v3
	s_wait_dscnt 0x0
	v_dual_add_f32 v32, v32, v4 :: v_dual_add_f32 v31, v31, v5
.LBB138_60:
	s_wait_alu 0xfffe
	s_or_b32 exec_lo, exec_lo, s0
	s_wait_loadcnt 0x0
	s_barrier_signal -1
	s_barrier_wait -1
	global_inv scope:SCOPE_SE
	s_and_saveexec_b32 s0, vcc_lo
	s_cbranch_execz .LBB138_62
; %bb.61:
	v_bfe_u32 v1, v34, 16, 1
	v_or_b32_e32 v2, 0x400000, v34
	v_bfe_u32 v3, v33, 16, 1
	v_cmp_u_f32_e32 vcc_lo, v34, v34
	v_bfe_u32 v4, v32, 16, 1
	v_add3_u32 v1, v1, v34, 0x7fff
	v_lshlrev_b32_e32 v0, 1, v0
	v_add3_u32 v3, v3, v33, 0x7fff
	v_or_b32_e32 v5, 0x400000, v33
	s_lshl_b32 s0, s4, 7
	s_wait_alu 0xfffd
	v_cndmask_b32_e32 v1, v1, v2, vcc_lo
	v_cmp_u_f32_e32 vcc_lo, v33, v33
	v_bfe_u32 v2, v31, 16, 1
	v_add3_u32 v4, v4, v32, 0x7fff
	v_or_b32_e32 v6, 0x400000, v32
	s_mul_i32 s2, s8, s20
	s_wait_alu 0xfffd
	v_cndmask_b32_e32 v3, v3, v5, vcc_lo
	v_cmp_u_f32_e32 vcc_lo, v32, v32
	s_wait_alu 0xfffe
	s_ashr_i32 s1, s0, 31
	s_ashr_i32 s3, s2, 31
	s_wait_alu 0xfffe
	s_lshl_b64 s[0:1], s[0:1], 1
	v_add3_u32 v2, v2, v31, 0x7fff
	v_or_b32_e32 v7, 0x400000, v31
	s_wait_alu 0xfffd
	v_cndmask_b32_e32 v4, v4, v6, vcc_lo
	v_cmp_u_f32_e32 vcc_lo, v31, v31
	s_lshl_b64 s[2:3], s[2:3], 1
	s_wait_kmcnt 0x0
	s_wait_alu 0xfffe
	s_add_nc_u64 s[0:1], s[6:7], s[0:1]
	s_wait_alu 0xfffe
	s_add_nc_u64 s[0:1], s[0:1], s[2:3]
	s_lshl_b32 s2, s30, 8
	s_mov_b32 s3, 0
	s_wait_alu 0xfffd
	v_cndmask_b32_e32 v2, v2, v7, vcc_lo
	s_wait_alu 0xfffe
	s_add_nc_u64 s[0:1], s[0:1], s[2:3]
	s_clause 0x3
	global_store_d16_hi_b16 v0, v1, s[0:1]
	global_store_d16_hi_b16 v0, v3, s[0:1] offset:64
	global_store_d16_hi_b16 v0, v4, s[0:1] offset:128
	;; [unrolled: 1-line block ×3, first 2 shown]
.LBB138_62:
	s_endpgm
	.section	.rodata,"a",@progbits
	.p2align	6, 0x0
	.amdhsa_kernel _ZN4vllm25paged_attention_v2_kernelI14__hip_bfloat16S1_Li128ELi8ELi128ELNS_18Fp8KVCacheDataTypeE0ELb1ELi512EEEvPfS3_PT_PKS4_PKT0_SA_ifPKiSC_iPKfiiiSE_SE_iiiii
		.amdhsa_group_segment_fixed_size 288
		.amdhsa_private_segment_fixed_size 0
		.amdhsa_kernarg_size 400
		.amdhsa_user_sgpr_count 2
		.amdhsa_user_sgpr_dispatch_ptr 0
		.amdhsa_user_sgpr_queue_ptr 0
		.amdhsa_user_sgpr_kernarg_segment_ptr 1
		.amdhsa_user_sgpr_dispatch_id 0
		.amdhsa_user_sgpr_private_segment_size 0
		.amdhsa_wavefront_size32 1
		.amdhsa_uses_dynamic_stack 0
		.amdhsa_enable_private_segment 0
		.amdhsa_system_sgpr_workgroup_id_x 1
		.amdhsa_system_sgpr_workgroup_id_y 1
		.amdhsa_system_sgpr_workgroup_id_z 1
		.amdhsa_system_sgpr_workgroup_info 0
		.amdhsa_system_vgpr_workitem_id 0
		.amdhsa_next_free_vgpr 70
		.amdhsa_next_free_sgpr 44
		.amdhsa_reserve_vcc 1
		.amdhsa_float_round_mode_32 0
		.amdhsa_float_round_mode_16_64 0
		.amdhsa_float_denorm_mode_32 3
		.amdhsa_float_denorm_mode_16_64 3
		.amdhsa_fp16_overflow 0
		.amdhsa_workgroup_processor_mode 1
		.amdhsa_memory_ordered 1
		.amdhsa_forward_progress 1
		.amdhsa_inst_pref_size 70
		.amdhsa_round_robin_scheduling 0
		.amdhsa_exception_fp_ieee_invalid_op 0
		.amdhsa_exception_fp_denorm_src 0
		.amdhsa_exception_fp_ieee_div_zero 0
		.amdhsa_exception_fp_ieee_overflow 0
		.amdhsa_exception_fp_ieee_underflow 0
		.amdhsa_exception_fp_ieee_inexact 0
		.amdhsa_exception_int_div_zero 0
	.end_amdhsa_kernel
	.section	.text._ZN4vllm25paged_attention_v2_kernelI14__hip_bfloat16S1_Li128ELi8ELi128ELNS_18Fp8KVCacheDataTypeE0ELb1ELi512EEEvPfS3_PT_PKS4_PKT0_SA_ifPKiSC_iPKfiiiSE_SE_iiiii,"axG",@progbits,_ZN4vllm25paged_attention_v2_kernelI14__hip_bfloat16S1_Li128ELi8ELi128ELNS_18Fp8KVCacheDataTypeE0ELb1ELi512EEEvPfS3_PT_PKS4_PKT0_SA_ifPKiSC_iPKfiiiSE_SE_iiiii,comdat
.Lfunc_end138:
	.size	_ZN4vllm25paged_attention_v2_kernelI14__hip_bfloat16S1_Li128ELi8ELi128ELNS_18Fp8KVCacheDataTypeE0ELb1ELi512EEEvPfS3_PT_PKS4_PKT0_SA_ifPKiSC_iPKfiiiSE_SE_iiiii, .Lfunc_end138-_ZN4vllm25paged_attention_v2_kernelI14__hip_bfloat16S1_Li128ELi8ELi128ELNS_18Fp8KVCacheDataTypeE0ELb1ELi512EEEvPfS3_PT_PKS4_PKT0_SA_ifPKiSC_iPKfiiiSE_SE_iiiii
                                        ; -- End function
	.set _ZN4vllm25paged_attention_v2_kernelI14__hip_bfloat16S1_Li128ELi8ELi128ELNS_18Fp8KVCacheDataTypeE0ELb1ELi512EEEvPfS3_PT_PKS4_PKT0_SA_ifPKiSC_iPKfiiiSE_SE_iiiii.num_vgpr, 70
	.set _ZN4vllm25paged_attention_v2_kernelI14__hip_bfloat16S1_Li128ELi8ELi128ELNS_18Fp8KVCacheDataTypeE0ELb1ELi512EEEvPfS3_PT_PKS4_PKT0_SA_ifPKiSC_iPKfiiiSE_SE_iiiii.num_agpr, 0
	.set _ZN4vllm25paged_attention_v2_kernelI14__hip_bfloat16S1_Li128ELi8ELi128ELNS_18Fp8KVCacheDataTypeE0ELb1ELi512EEEvPfS3_PT_PKS4_PKT0_SA_ifPKiSC_iPKfiiiSE_SE_iiiii.numbered_sgpr, 44
	.set _ZN4vllm25paged_attention_v2_kernelI14__hip_bfloat16S1_Li128ELi8ELi128ELNS_18Fp8KVCacheDataTypeE0ELb1ELi512EEEvPfS3_PT_PKS4_PKT0_SA_ifPKiSC_iPKfiiiSE_SE_iiiii.num_named_barrier, 0
	.set _ZN4vllm25paged_attention_v2_kernelI14__hip_bfloat16S1_Li128ELi8ELi128ELNS_18Fp8KVCacheDataTypeE0ELb1ELi512EEEvPfS3_PT_PKS4_PKT0_SA_ifPKiSC_iPKfiiiSE_SE_iiiii.private_seg_size, 0
	.set _ZN4vllm25paged_attention_v2_kernelI14__hip_bfloat16S1_Li128ELi8ELi128ELNS_18Fp8KVCacheDataTypeE0ELb1ELi512EEEvPfS3_PT_PKS4_PKT0_SA_ifPKiSC_iPKfiiiSE_SE_iiiii.uses_vcc, 1
	.set _ZN4vllm25paged_attention_v2_kernelI14__hip_bfloat16S1_Li128ELi8ELi128ELNS_18Fp8KVCacheDataTypeE0ELb1ELi512EEEvPfS3_PT_PKS4_PKT0_SA_ifPKiSC_iPKfiiiSE_SE_iiiii.uses_flat_scratch, 0
	.set _ZN4vllm25paged_attention_v2_kernelI14__hip_bfloat16S1_Li128ELi8ELi128ELNS_18Fp8KVCacheDataTypeE0ELb1ELi512EEEvPfS3_PT_PKS4_PKT0_SA_ifPKiSC_iPKfiiiSE_SE_iiiii.has_dyn_sized_stack, 0
	.set _ZN4vllm25paged_attention_v2_kernelI14__hip_bfloat16S1_Li128ELi8ELi128ELNS_18Fp8KVCacheDataTypeE0ELb1ELi512EEEvPfS3_PT_PKS4_PKT0_SA_ifPKiSC_iPKfiiiSE_SE_iiiii.has_recursion, 0
	.set _ZN4vllm25paged_attention_v2_kernelI14__hip_bfloat16S1_Li128ELi8ELi128ELNS_18Fp8KVCacheDataTypeE0ELb1ELi512EEEvPfS3_PT_PKS4_PKT0_SA_ifPKiSC_iPKfiiiSE_SE_iiiii.has_indirect_call, 0
	.section	.AMDGPU.csdata,"",@progbits
; Kernel info:
; codeLenInByte = 8876
; TotalNumSgprs: 46
; NumVgprs: 70
; ScratchSize: 0
; MemoryBound: 0
; FloatMode: 240
; IeeeMode: 1
; LDSByteSize: 288 bytes/workgroup (compile time only)
; SGPRBlocks: 0
; VGPRBlocks: 8
; NumSGPRsForWavesPerEU: 46
; NumVGPRsForWavesPerEU: 70
; Occupancy: 16
; WaveLimiterHint : 1
; COMPUTE_PGM_RSRC2:SCRATCH_EN: 0
; COMPUTE_PGM_RSRC2:USER_SGPR: 2
; COMPUTE_PGM_RSRC2:TRAP_HANDLER: 0
; COMPUTE_PGM_RSRC2:TGID_X_EN: 1
; COMPUTE_PGM_RSRC2:TGID_Y_EN: 1
; COMPUTE_PGM_RSRC2:TGID_Z_EN: 1
; COMPUTE_PGM_RSRC2:TIDIG_COMP_CNT: 0
	.section	.text._ZN4vllm32paged_attention_v2_reduce_kernelI14__hip_bfloat16Li128ELi128ELi512EEEvPT_PKfS5_PKS2_PKii,"axG",@progbits,_ZN4vllm32paged_attention_v2_reduce_kernelI14__hip_bfloat16Li128ELi128ELi512EEEvPT_PKfS5_PKS2_PKii,comdat
	.protected	_ZN4vllm32paged_attention_v2_reduce_kernelI14__hip_bfloat16Li128ELi128ELi512EEEvPT_PKfS5_PKS2_PKii ; -- Begin function _ZN4vllm32paged_attention_v2_reduce_kernelI14__hip_bfloat16Li128ELi128ELi512EEEvPT_PKfS5_PKS2_PKii
	.globl	_ZN4vllm32paged_attention_v2_reduce_kernelI14__hip_bfloat16Li128ELi128ELi512EEEvPT_PKfS5_PKS2_PKii
	.p2align	8
	.type	_ZN4vllm32paged_attention_v2_reduce_kernelI14__hip_bfloat16Li128ELi128ELi512EEEvPT_PKfS5_PKS2_PKii,@function
_ZN4vllm32paged_attention_v2_reduce_kernelI14__hip_bfloat16Li128ELi128ELi512EEEvPT_PKfS5_PKS2_PKii: ; @_ZN4vllm32paged_attention_v2_reduce_kernelI14__hip_bfloat16Li128ELi128ELi512EEEvPT_PKfS5_PKS2_PKii
; %bb.0:
	s_load_b128 s[4:7], s[0:1], 0x18
	s_mov_b32 s2, ttmp7
	s_ashr_i32 s3, ttmp7, 31
	s_add_nc_u64 s[8:9], s[0:1], 48
	s_lshl_b64 s[2:3], s[2:3], 2
	s_wait_kmcnt 0x0
	s_add_nc_u64 s[2:3], s[6:7], s[2:3]
	s_load_b32 s18, s[2:3], 0x0
	s_clause 0x2
	s_load_b64 s[6:7], s[0:1], 0x0
	s_load_b32 s14, s[0:1], 0x28
	s_load_b32 s15, s[0:1], 0x30
	s_wait_kmcnt 0x0
	s_add_co_i32 s2, s18, -1
	s_delay_alu instid0(SALU_CYCLE_1)
	s_cmp_gt_u32 s2, 0x1ff
	s_mov_b32 s2, -1
	s_cbranch_scc0 .LBB139_26
; %bb.1:
	s_add_co_i32 s2, s18, 0x1ff
	s_mul_i32 s16, s15, ttmp7
	s_ashr_i32 s3, s2, 31
	v_dual_mov_b32 v4, 0xff7fffff :: v_dual_lshlrev_b32 v3, 2, v0
	s_lshr_b32 s3, s3, 23
	s_mul_i32 s12, s16, s14
	s_add_co_i32 s2, s2, s3
	s_mul_i32 s10, s14, ttmp9
	s_ashr_i32 s17, s2, 9
	s_ashr_i32 s13, s12, 31
	v_cmp_gt_i32_e32 vcc_lo, s17, v0
	s_ashr_i32 s11, s10, 31
	s_and_saveexec_b32 s3, vcc_lo
	s_cbranch_execz .LBB139_5
; %bb.2:
	s_load_b64 s[20:21], s[0:1], 0x10
	s_load_b32 s2, s[8:9], 0xc
	s_lshl_b64 s[22:23], s[12:13], 2
	s_lshl_b64 s[24:25], s[10:11], 2
	v_dual_mov_b32 v4, 0xff7fffff :: v_dual_add_nc_u32 v5, 32, v3
	s_add_nc_u64 s[22:23], s[22:23], s[24:25]
	v_mov_b32_e32 v6, v0
	s_wait_kmcnt 0x0
	s_add_nc_u64 s[20:21], s[20:21], s[22:23]
	s_delay_alu instid0(SALU_CYCLE_1) | instskip(NEXT) | instid1(VALU_DEP_1)
	v_add_co_u32 v1, s19, s20, v3
	v_add_co_ci_u32_e64 v2, null, s21, 0, s19
	s_and_b32 s20, s2, 0xffff
	s_mov_b32 s19, 0
	s_wait_alu 0xfffe
	s_lshl_b32 s21, s20, 2
.LBB139_3:                              ; =>This Inner Loop Header: Depth=1
	global_load_b32 v7, v[1:2], off
	v_add_nc_u32_e32 v6, s20, v6
	v_max_num_f32_e32 v4, v4, v4
	s_wait_alu 0xfffe
	v_add_co_u32 v1, s2, v1, s21
	s_wait_alu 0xf1ff
	v_add_co_ci_u32_e64 v2, null, 0, v2, s2
	v_cmp_le_i32_e64 s2, s17, v6
	s_or_b32 s19, s2, s19
	s_wait_loadcnt 0x0
	v_max_num_f32_e32 v8, v7, v7
	ds_store_b32 v5, v7
	v_dual_max_num_f32 v4, v4, v8 :: v_dual_add_nc_u32 v5, s21, v5
	s_wait_alu 0xfffe
	s_and_not1_b32 exec_lo, exec_lo, s19
	s_cbranch_execnz .LBB139_3
; %bb.4:
	s_or_b32 exec_lo, exec_lo, s19
.LBB139_5:
	s_delay_alu instid0(SALU_CYCLE_1)
	s_or_b32 exec_lo, exec_lo, s3
	v_mbcnt_lo_u32_b32 v1, -1, 0
	s_load_b64 s[2:3], s[0:1], 0x8
	s_wait_dscnt 0x0
	s_barrier_signal -1
	s_barrier_wait -1
	v_xor_b32_e32 v2, 16, v1
	v_xor_b32_e32 v5, 8, v1
	global_inv scope:SCOPE_SE
	v_cmp_gt_i32_e64 s0, 32, v2
	s_delay_alu instid0(VALU_DEP_1) | instskip(SKIP_1) | instid1(VALU_DEP_2)
	v_cndmask_b32_e64 v2, v1, v2, s0
	v_cmp_gt_i32_e64 s0, 32, v5
	v_lshlrev_b32_e32 v6, 2, v2
	s_wait_alu 0xf1ff
	s_delay_alu instid0(VALU_DEP_2) | instskip(SKIP_3) | instid1(VALU_DEP_1)
	v_cndmask_b32_e64 v5, v1, v5, s0
	ds_bpermute_b32 v2, v6, v4
	v_dual_max_num_f32 v4, v4, v4 :: v_dual_lshlrev_b32 v7, 2, v5
	v_xor_b32_e32 v5, 4, v1
	v_cmp_gt_i32_e64 s0, 32, v5
	s_wait_alu 0xf1ff
	s_delay_alu instid0(VALU_DEP_1) | instskip(NEXT) | instid1(VALU_DEP_1)
	v_cndmask_b32_e64 v5, v1, v5, s0
	v_lshlrev_b32_e32 v8, 2, v5
	v_xor_b32_e32 v5, 2, v1
	s_wait_dscnt 0x0
	v_max_num_f32_e32 v2, v2, v2
	s_delay_alu instid0(VALU_DEP_2) | instskip(NEXT) | instid1(VALU_DEP_2)
	v_cmp_gt_i32_e64 s0, 32, v5
	v_max_num_f32_e32 v2, v4, v2
	s_wait_alu 0xf1ff
	s_delay_alu instid0(VALU_DEP_2) | instskip(SKIP_3) | instid1(VALU_DEP_1)
	v_cndmask_b32_e64 v5, v1, v5, s0
	ds_bpermute_b32 v4, v7, v2
	s_wait_dscnt 0x0
	v_max_num_f32_e32 v4, v4, v4
	v_max_num_f32_e32 v2, v2, v4
	ds_bpermute_b32 v4, v8, v2
	s_wait_dscnt 0x0
	v_dual_max_num_f32 v9, v4, v4 :: v_dual_lshlrev_b32 v4, 2, v5
	s_delay_alu instid0(VALU_DEP_1) | instskip(SKIP_4) | instid1(VALU_DEP_1)
	v_max_num_f32_e32 v2, v2, v9
	v_xor_b32_e32 v9, 1, v1
	ds_bpermute_b32 v5, v4, v2
	v_cmp_gt_i32_e64 s0, 32, v9
	s_wait_alu 0xf1ff
	v_cndmask_b32_e64 v1, v1, v9, s0
	v_lshrrev_b32_e32 v9, 5, v0
	s_delay_alu instid0(VALU_DEP_1) | instskip(SKIP_2) | instid1(VALU_DEP_1)
	v_lshlrev_b32_e32 v9, 2, v9
	s_wait_dscnt 0x0
	v_max_num_f32_e32 v5, v5, v5
	v_max_num_f32_e32 v2, v2, v5
	v_lshlrev_b32_e32 v5, 2, v1
	v_and_b32_e32 v1, 31, v0
	ds_bpermute_b32 v10, v5, v2
	v_cmp_eq_u32_e64 s0, 0, v1
	s_and_saveexec_b32 s1, s0
	s_cbranch_execz .LBB139_7
; %bb.6:
	s_wait_dscnt 0x0
	v_max_num_f32_e32 v10, v10, v10
	v_max_num_f32_e32 v2, v2, v2
	s_delay_alu instid0(VALU_DEP_1)
	v_max_num_f32_e32 v2, v2, v10
	ds_store_b32 v9, v2
.LBB139_7:
	s_wait_alu 0xfffe
	s_or_b32 exec_lo, exec_lo, s1
	v_cmp_gt_u32_e64 s1, 4, v1
	v_mov_b32_e32 v2, 0xff7fffff
	s_wait_dscnt 0x0
	v_lshlrev_b32_e32 v10, 2, v1
	s_wait_loadcnt 0x0
	s_barrier_signal -1
	s_barrier_wait -1
	global_inv scope:SCOPE_SE
	s_and_saveexec_b32 s19, s1
; %bb.8:
	ds_load_b32 v2, v10
; %bb.9:
	s_wait_alu 0xfffe
	s_or_b32 exec_lo, exec_lo, s19
	s_wait_dscnt 0x0
	ds_bpermute_b32 v1, v4, v2
	v_max_num_f32_e32 v2, v2, v2
	s_lshl_b32 s19, s17, 2
	v_mov_b32_e32 v11, 0
	s_wait_dscnt 0x0
	v_max_num_f32_e32 v1, v1, v1
	s_delay_alu instid0(VALU_DEP_1) | instskip(SKIP_3) | instid1(VALU_DEP_1)
	v_max_num_f32_e32 v1, v2, v1
	ds_bpermute_b32 v2, v5, v1
	s_wait_dscnt 0x0
	v_max_num_f32_e32 v2, v2, v2
	v_max_num_f32_e32 v1, v1, v2
	ds_bpermute_b32 v12, v11, v1
	s_and_saveexec_b32 s20, vcc_lo
	s_cbranch_execz .LBB139_13
; %bb.10:
	s_load_b32 s21, s[8:9], 0xc
	s_lshl_b64 s[22:23], s[12:13], 2
	s_lshl_b64 s[24:25], s[10:11], 2
	v_mov_b32_e32 v11, 0
	s_add_nc_u64 s[22:23], s[22:23], s[24:25]
	v_mov_b32_e32 v13, v0
	s_wait_kmcnt 0x0
	s_add_nc_u64 s[2:3], s[2:3], s[22:23]
	s_wait_alu 0xfffe
	v_add_co_u32 v1, s2, s2, v3
	s_wait_alu 0xf1ff
	v_add_co_ci_u32_e64 v2, null, s3, 0, s2
	v_add_nc_u32_e32 v3, 32, v3
	s_mov_b32 s3, 0
	s_and_b32 s11, s21, 0xffff
	s_delay_alu instid0(SALU_CYCLE_1)
	s_lshl_b32 s13, s11, 2
.LBB139_11:                             ; =>This Inner Loop Header: Depth=1
	global_load_b32 v14, v[1:2], off
	ds_load_b32 v15, v3
	v_add_nc_u32_e32 v13, s11, v13
	s_wait_dscnt 0x0
	v_sub_f32_e32 v15, v15, v12
	s_delay_alu instid0(VALU_DEP_1) | instskip(NEXT) | instid1(VALU_DEP_1)
	v_mul_f32_e32 v16, 0x3fb8aa3b, v15
	v_fma_f32 v17, 0x3fb8aa3b, v15, -v16
	v_rndne_f32_e32 v18, v16
	s_delay_alu instid0(VALU_DEP_1) | instskip(SKIP_1) | instid1(VALU_DEP_4)
	v_sub_f32_e32 v16, v16, v18
	v_cmp_ngt_f32_e32 vcc_lo, 0xc2ce8ed0, v15
	v_fmac_f32_e32 v17, 0x32a5705f, v15
	v_cmp_nlt_f32_e64 s2, 0x42b17218, v15
	s_delay_alu instid0(VALU_DEP_2) | instskip(SKIP_1) | instid1(VALU_DEP_2)
	v_add_f32_e32 v16, v16, v17
	v_cvt_i32_f32_e32 v17, v18
	v_exp_f32_e32 v16, v16
	s_delay_alu instid0(TRANS32_DEP_1) | instskip(SKIP_2) | instid1(VALU_DEP_2)
	v_ldexp_f32 v16, v16, v17
	v_add_nc_u32_e32 v17, s19, v3
	s_wait_alu 0xfffd
	v_dual_cndmask_b32 v16, 0, v16 :: v_dual_add_nc_u32 v3, s13, v3
	v_add_co_u32 v1, vcc_lo, v1, s13
	s_wait_alu 0xfffd
	v_add_co_ci_u32_e64 v2, null, 0, v2, vcc_lo
	s_wait_alu 0xf1ff
	v_cndmask_b32_e64 v15, 0x7f800000, v16, s2
	v_cmp_le_i32_e32 vcc_lo, s17, v13
	s_wait_alu 0xfffe
	s_or_b32 s3, vcc_lo, s3
	s_wait_loadcnt 0x0
	v_mul_f32_e32 v16, v14, v15
	v_fmac_f32_e32 v11, v14, v15
	ds_store_b32 v17, v16
	s_wait_alu 0xfffe
	s_and_not1_b32 exec_lo, exec_lo, s3
	s_cbranch_execnz .LBB139_11
; %bb.12:
	s_or_b32 exec_lo, exec_lo, s3
.LBB139_13:
	s_wait_alu 0xfffe
	s_or_b32 exec_lo, exec_lo, s20
	ds_bpermute_b32 v1, v6, v11
	s_wait_loadcnt_dscnt 0x0
	s_barrier_signal -1
	s_barrier_wait -1
	global_inv scope:SCOPE_SE
	v_add_f32_e32 v1, v11, v1
	ds_bpermute_b32 v2, v7, v1
	s_wait_dscnt 0x0
	v_add_f32_e32 v1, v1, v2
	ds_bpermute_b32 v2, v8, v1
	s_wait_dscnt 0x0
	;; [unrolled: 3-line block ×4, first 2 shown]
	v_add_f32_e32 v1, v1, v2
	s_wait_kmcnt 0x0
	s_and_saveexec_b32 s2, s0
; %bb.14:
	ds_store_b32 v9, v1 offset:16
; %bb.15:
	s_wait_alu 0xfffe
	s_or_b32 exec_lo, exec_lo, s2
	s_wait_loadcnt_dscnt 0x0
	s_barrier_signal -1
	s_barrier_wait -1
	global_inv scope:SCOPE_SE
	s_and_saveexec_b32 s0, s1
; %bb.16:
	ds_load_b32 v1, v10 offset:16
; %bb.17:
	s_wait_alu 0xfffe
	s_or_b32 exec_lo, exec_lo, s0
	s_wait_dscnt 0x0
	ds_bpermute_b32 v2, v4, v1
	s_mov_b32 s0, exec_lo
	s_wait_dscnt 0x0
	v_add_f32_e32 v1, v1, v2
	ds_bpermute_b32 v2, v5, v1
	s_wait_dscnt 0x0
	v_dual_add_f32 v1, v1, v2 :: v_dual_mov_b32 v2, 0
	ds_bpermute_b32 v2, v2, v1
	v_cmpx_gt_u32_e32 0x80, v0
	s_cbranch_execz .LBB139_25
; %bb.18:
	s_cmp_gt_i32 s18, 0
	s_mov_b32 s1, 0
	s_cbranch_scc1 .LBB139_20
; %bb.19:
	v_mov_b32_e32 v1, 0
	v_mov_b32_e32 v3, 0
	s_wait_alu 0xfffe
	s_and_not1_b32 vcc_lo, exec_lo, s1
	s_wait_alu 0xfffe
	s_cbranch_vccz .LBB139_21
	s_branch .LBB139_24
.LBB139_20:
	v_mov_b32_e32 v3, 0
.LBB139_21:
	s_wait_dscnt 0x0
	v_add_f32_e32 v4, 0x358637bd, v2
	s_lshl_b32 s2, s12, 7
	s_lshl_b32 s10, s10, 7
	s_wait_alu 0xfffe
	s_ashr_i32 s3, s2, 31
	s_ashr_i32 s11, s10, 31
	v_div_scale_f32 v2, null, v4, v4, 1.0
	s_wait_alu 0xfffe
	s_lshl_b64 s[2:3], s[2:3], 1
	s_lshl_b64 s[10:11], s[10:11], 1
	s_wait_alu 0xfffe
	s_add_nc_u64 s[2:3], s[2:3], s[10:11]
	v_rcp_f32_e32 v3, v2
	s_wait_alu 0xfffe
	s_add_nc_u64 s[2:3], s[4:5], s[2:3]
	s_delay_alu instid0(TRANS32_DEP_1) | instskip(NEXT) | instid1(VALU_DEP_1)
	v_fma_f32 v1, -v2, v3, 1.0
	v_fmac_f32_e32 v3, v1, v3
	v_div_scale_f32 v5, vcc_lo, 1.0, v4, 1.0
	s_delay_alu instid0(VALU_DEP_1) | instskip(NEXT) | instid1(VALU_DEP_1)
	v_mul_f32_e32 v6, v5, v3
	v_fma_f32 v1, -v2, v6, v5
	s_delay_alu instid0(VALU_DEP_1) | instskip(NEXT) | instid1(VALU_DEP_1)
	v_dual_fmac_f32 v6, v1, v3 :: v_dual_mov_b32 v1, 0
	v_fma_f32 v2, -v2, v6, v5
	v_lshlrev_b32_e32 v5, 1, v0
	s_wait_alu 0xfffd
	s_delay_alu instid0(VALU_DEP_2) | instskip(SKIP_1) | instid1(VALU_DEP_2)
	v_div_fmas_f32 v6, v2, v3, v6
	s_wait_alu 0xfffe
	v_add_co_u32 v2, s1, s2, v5
	s_wait_alu 0xf1ff
	v_add_co_ci_u32_e64 v3, null, s3, 0, s1
	v_div_fixup_f32 v4, v6, v4, 1.0
	v_mov_b32_e32 v5, v1
	s_max_i32 s1, s17, 1
	s_add_co_i32 s2, s19, 32
.LBB139_22:                             ; =>This Inner Loop Header: Depth=1
	global_load_u16 v6, v[2:3], off
	s_wait_alu 0xfffe
	v_mov_b32_e32 v7, s2
	v_add_co_u32 v2, vcc_lo, 0x100, v2
	s_wait_alu 0xfffd
	v_add_co_ci_u32_e64 v3, null, 0, v3, vcc_lo
	s_add_co_i32 s1, s1, -1
	s_add_co_i32 s2, s2, 4
	s_wait_alu 0xfffe
	s_cmp_eq_u32 s1, 0
	s_wait_loadcnt 0x0
	v_lshlrev_b32_e32 v6, 16, v6
	ds_load_b32 v7, v7
	s_wait_dscnt 0x0
	v_mul_f32_e32 v6, v7, v6
	s_delay_alu instid0(VALU_DEP_1)
	v_fmac_f32_e32 v5, v4, v6
	s_cbranch_scc0 .LBB139_22
; %bb.23:
	s_delay_alu instid0(VALU_DEP_1) | instskip(SKIP_2) | instid1(VALU_DEP_3)
	v_bfe_u32 v2, v5, 16, 1
	v_or_b32_e32 v3, 0x400000, v5
	v_cmp_u_f32_e32 vcc_lo, v5, v5
	v_add3_u32 v2, v2, v5, 0x7fff
	s_wait_alu 0xfffd
	s_delay_alu instid0(VALU_DEP_1) | instskip(NEXT) | instid1(VALU_DEP_1)
	v_cndmask_b32_e32 v2, v2, v3, vcc_lo
	v_lshrrev_b32_e32 v3, 16, v2
.LBB139_24:
	s_lshl_b32 s2, s16, 7
	s_lshl_b32 s10, ttmp9, 7
	s_wait_alu 0xfffe
	s_ashr_i32 s3, s2, 31
	s_ashr_i32 s11, s10, 31
	s_wait_alu 0xfffe
	s_lshl_b64 s[2:3], s[2:3], 1
	s_wait_dscnt 0x0
	v_lshlrev_b64_e32 v[1:2], 1, v[0:1]
	s_lshl_b64 s[10:11], s[10:11], 1
	s_wait_alu 0xfffe
	s_add_nc_u64 s[2:3], s[6:7], s[2:3]
	s_wait_alu 0xfffe
	s_add_nc_u64 s[2:3], s[2:3], s[10:11]
	s_wait_alu 0xfffe
	v_add_co_u32 v1, vcc_lo, s2, v1
	s_wait_alu 0xfffd
	v_add_co_ci_u32_e64 v2, null, s3, v2, vcc_lo
	global_store_b16 v[1:2], v3, off
.LBB139_25:
	s_wait_alu 0xfffe
	s_or_b32 exec_lo, exec_lo, s0
	s_mov_b32 s2, 0
.LBB139_26:
	s_wait_alu 0xfffe
	s_and_b32 vcc_lo, exec_lo, s2
	s_wait_alu 0xfffe
	s_cbranch_vccz .LBB139_35
; %bb.27:
	s_mov_b32 s0, exec_lo
	v_cmpx_gt_u32_e32 0x80, v0
	s_cbranch_execz .LBB139_35
; %bb.28:
	s_load_b32 s0, s[8:9], 0xc
	s_mul_i32 s15, s15, ttmp7
	s_mul_i32 s1, s14, ttmp9
	s_mul_i32 s14, s14, s15
	s_lshl_b32 s2, ttmp9, 7
	s_lshl_b32 s10, s15, 7
	s_wait_alu 0xfffe
	s_lshl_b32 s8, s1, 7
	s_lshl_b32 s12, s14, 7
	v_cmp_gt_u32_e32 vcc_lo, 0x7d, v0
	s_ashr_i32 s3, s2, 31
	s_ashr_i32 s11, s10, 31
	;; [unrolled: 1-line block ×3, first 2 shown]
	s_wait_alu 0xfffe
	s_ashr_i32 s13, s12, 31
	s_wait_kmcnt 0x0
	s_and_b32 s1, s0, 0xffff
	s_wait_alu 0xfffe
	s_cmp_eq_u32 s1, 1
	s_cselect_b32 s0, -1, 0
	s_wait_alu 0xfffe
	s_and_b32 s15, vcc_lo, s0
	s_mov_b32 s0, -1
	s_and_saveexec_b32 s14, s15
	s_cbranch_execz .LBB139_32
; %bb.29:
	s_lshl_b64 s[16:17], s[12:13], 1
	s_lshl_b64 s[18:19], s[8:9], 1
	v_lshlrev_b32_e32 v1, 1, v0
	s_wait_alu 0xfffe
	s_add_nc_u64 s[16:17], s[16:17], s[18:19]
	s_lshl_b64 s[18:19], s[10:11], 1
	s_lshl_b64 s[20:21], s[2:3], 1
	s_wait_alu 0xfffe
	s_add_nc_u64 s[16:17], s[4:5], s[16:17]
	s_add_nc_u64 s[18:19], s[18:19], s[20:21]
	s_wait_dscnt 0x0
	s_wait_alu 0xfffe
	v_add_co_u32 v2, s0, s16, v1
	v_sub_nc_u32_e32 v5, 0x80, v0
	s_wait_alu 0xf1ff
	v_add_co_ci_u32_e64 v3, null, s17, 0, s0
	s_add_nc_u64 s[16:17], s[6:7], s[18:19]
	s_mov_b32 s15, 0
	s_wait_alu 0xfffe
	v_add_co_u32 v4, s0, s16, v1
	v_and_b32_e32 v6, 0xfc, v5
	s_wait_alu 0xf1ff
	v_add_co_ci_u32_e64 v7, null, s17, 0, s0
	v_add_co_u32 v1, vcc_lo, v2, 4
	s_wait_alu 0xfffd
	v_add_co_ci_u32_e64 v2, null, 0, v3, vcc_lo
	v_add_co_u32 v3, vcc_lo, v4, 4
	s_wait_alu 0xfffd
	v_add_co_ci_u32_e64 v4, null, 0, v7, vcc_lo
	v_mov_b32_e32 v7, v6
.LBB139_30:                             ; =>This Inner Loop Header: Depth=1
	global_load_b64 v[8:9], v[1:2], off offset:-4
	v_add_nc_u32_e32 v7, -4, v7
	v_add_co_u32 v1, vcc_lo, v1, 8
	s_wait_alu 0xfffd
	v_add_co_ci_u32_e64 v2, null, 0, v2, vcc_lo
	s_delay_alu instid0(VALU_DEP_3)
	v_cmp_eq_u32_e32 vcc_lo, 0, v7
	s_or_b32 s15, vcc_lo, s15
	s_wait_loadcnt 0x0
	global_store_b64 v[3:4], v[8:9], off offset:-4
	v_add_co_u32 v3, s0, v3, 8
	s_wait_alu 0xf1ff
	v_add_co_ci_u32_e64 v4, null, 0, v4, s0
	s_and_not1_b32 exec_lo, exec_lo, s15
	s_cbranch_execnz .LBB139_30
; %bb.31:
	s_or_b32 exec_lo, exec_lo, s15
	v_cmp_ne_u32_e32 vcc_lo, v5, v6
	v_add_nc_u32_e32 v0, v0, v6
	s_or_not1_b32 s0, vcc_lo, exec_lo
.LBB139_32:
	s_or_b32 exec_lo, exec_lo, s14
	s_wait_alu 0xfffe
	s_and_b32 exec_lo, exec_lo, s0
	s_cbranch_execz .LBB139_35
; %bb.33:
	s_lshl_b64 s[10:11], s[10:11], 1
	s_lshl_b64 s[2:3], s[2:3], 1
	s_wait_alu 0xfffe
	s_add_nc_u64 s[6:7], s[6:7], s[10:11]
	s_lshl_b64 s[10:11], s[12:13], 1
	s_wait_dscnt 0x0
	v_dual_mov_b32 v2, 0 :: v_dual_lshlrev_b32 v1, 1, v0
	s_add_nc_u64 s[2:3], s[6:7], s[2:3]
	s_wait_alu 0xfffe
	s_add_nc_u64 s[4:5], s[4:5], s[10:11]
	s_lshl_b64 s[6:7], s[8:9], 1
	s_delay_alu instid0(SALU_CYCLE_1)
	s_add_nc_u64 s[4:5], s[4:5], s[6:7]
	s_mov_b32 s6, 0
	s_lshl_b32 s7, s1, 1
.LBB139_34:                             ; =>This Inner Loop Header: Depth=1
	v_add_co_u32 v3, vcc_lo, s4, v1
	s_wait_alu 0xfffd
	v_add_co_ci_u32_e64 v4, null, s5, v2, vcc_lo
	v_add_nc_u32_e32 v0, s1, v0
	global_load_u16 v5, v[3:4], off
	v_add_co_u32 v3, vcc_lo, s2, v1
	s_wait_alu 0xfffd
	v_add_co_ci_u32_e64 v4, null, s3, v2, vcc_lo
	v_cmp_lt_u32_e32 vcc_lo, 0x7f, v0
	v_add_co_u32 v1, s0, v1, s7
	s_wait_alu 0xf1ff
	v_add_co_ci_u32_e64 v2, null, 0, v2, s0
	s_or_b32 s6, vcc_lo, s6
	s_wait_loadcnt 0x0
	global_store_b16 v[3:4], v5, off
	s_wait_alu 0xfffe
	s_and_not1_b32 exec_lo, exec_lo, s6
	s_cbranch_execnz .LBB139_34
.LBB139_35:
	s_endpgm
	.section	.rodata,"a",@progbits
	.p2align	6, 0x0
	.amdhsa_kernel _ZN4vllm32paged_attention_v2_reduce_kernelI14__hip_bfloat16Li128ELi128ELi512EEEvPT_PKfS5_PKS2_PKii
		.amdhsa_group_segment_fixed_size 32
		.amdhsa_private_segment_fixed_size 0
		.amdhsa_kernarg_size 304
		.amdhsa_user_sgpr_count 2
		.amdhsa_user_sgpr_dispatch_ptr 0
		.amdhsa_user_sgpr_queue_ptr 0
		.amdhsa_user_sgpr_kernarg_segment_ptr 1
		.amdhsa_user_sgpr_dispatch_id 0
		.amdhsa_user_sgpr_private_segment_size 0
		.amdhsa_wavefront_size32 1
		.amdhsa_uses_dynamic_stack 0
		.amdhsa_enable_private_segment 0
		.amdhsa_system_sgpr_workgroup_id_x 1
		.amdhsa_system_sgpr_workgroup_id_y 1
		.amdhsa_system_sgpr_workgroup_id_z 0
		.amdhsa_system_sgpr_workgroup_info 0
		.amdhsa_system_vgpr_workitem_id 0
		.amdhsa_next_free_vgpr 19
		.amdhsa_next_free_sgpr 26
		.amdhsa_reserve_vcc 1
		.amdhsa_float_round_mode_32 0
		.amdhsa_float_round_mode_16_64 0
		.amdhsa_float_denorm_mode_32 3
		.amdhsa_float_denorm_mode_16_64 3
		.amdhsa_fp16_overflow 0
		.amdhsa_workgroup_processor_mode 1
		.amdhsa_memory_ordered 1
		.amdhsa_forward_progress 1
		.amdhsa_inst_pref_size 20
		.amdhsa_round_robin_scheduling 0
		.amdhsa_exception_fp_ieee_invalid_op 0
		.amdhsa_exception_fp_denorm_src 0
		.amdhsa_exception_fp_ieee_div_zero 0
		.amdhsa_exception_fp_ieee_overflow 0
		.amdhsa_exception_fp_ieee_underflow 0
		.amdhsa_exception_fp_ieee_inexact 0
		.amdhsa_exception_int_div_zero 0
	.end_amdhsa_kernel
	.section	.text._ZN4vllm32paged_attention_v2_reduce_kernelI14__hip_bfloat16Li128ELi128ELi512EEEvPT_PKfS5_PKS2_PKii,"axG",@progbits,_ZN4vllm32paged_attention_v2_reduce_kernelI14__hip_bfloat16Li128ELi128ELi512EEEvPT_PKfS5_PKS2_PKii,comdat
.Lfunc_end139:
	.size	_ZN4vllm32paged_attention_v2_reduce_kernelI14__hip_bfloat16Li128ELi128ELi512EEEvPT_PKfS5_PKS2_PKii, .Lfunc_end139-_ZN4vllm32paged_attention_v2_reduce_kernelI14__hip_bfloat16Li128ELi128ELi512EEEvPT_PKfS5_PKS2_PKii
                                        ; -- End function
	.set _ZN4vllm32paged_attention_v2_reduce_kernelI14__hip_bfloat16Li128ELi128ELi512EEEvPT_PKfS5_PKS2_PKii.num_vgpr, 19
	.set _ZN4vllm32paged_attention_v2_reduce_kernelI14__hip_bfloat16Li128ELi128ELi512EEEvPT_PKfS5_PKS2_PKii.num_agpr, 0
	.set _ZN4vllm32paged_attention_v2_reduce_kernelI14__hip_bfloat16Li128ELi128ELi512EEEvPT_PKfS5_PKS2_PKii.numbered_sgpr, 26
	.set _ZN4vllm32paged_attention_v2_reduce_kernelI14__hip_bfloat16Li128ELi128ELi512EEEvPT_PKfS5_PKS2_PKii.num_named_barrier, 0
	.set _ZN4vllm32paged_attention_v2_reduce_kernelI14__hip_bfloat16Li128ELi128ELi512EEEvPT_PKfS5_PKS2_PKii.private_seg_size, 0
	.set _ZN4vllm32paged_attention_v2_reduce_kernelI14__hip_bfloat16Li128ELi128ELi512EEEvPT_PKfS5_PKS2_PKii.uses_vcc, 1
	.set _ZN4vllm32paged_attention_v2_reduce_kernelI14__hip_bfloat16Li128ELi128ELi512EEEvPT_PKfS5_PKS2_PKii.uses_flat_scratch, 0
	.set _ZN4vllm32paged_attention_v2_reduce_kernelI14__hip_bfloat16Li128ELi128ELi512EEEvPT_PKfS5_PKS2_PKii.has_dyn_sized_stack, 0
	.set _ZN4vllm32paged_attention_v2_reduce_kernelI14__hip_bfloat16Li128ELi128ELi512EEEvPT_PKfS5_PKS2_PKii.has_recursion, 0
	.set _ZN4vllm32paged_attention_v2_reduce_kernelI14__hip_bfloat16Li128ELi128ELi512EEEvPT_PKfS5_PKS2_PKii.has_indirect_call, 0
	.section	.AMDGPU.csdata,"",@progbits
; Kernel info:
; codeLenInByte = 2516
; TotalNumSgprs: 28
; NumVgprs: 19
; ScratchSize: 0
; MemoryBound: 0
; FloatMode: 240
; IeeeMode: 1
; LDSByteSize: 32 bytes/workgroup (compile time only)
; SGPRBlocks: 0
; VGPRBlocks: 2
; NumSGPRsForWavesPerEU: 28
; NumVGPRsForWavesPerEU: 19
; Occupancy: 16
; WaveLimiterHint : 0
; COMPUTE_PGM_RSRC2:SCRATCH_EN: 0
; COMPUTE_PGM_RSRC2:USER_SGPR: 2
; COMPUTE_PGM_RSRC2:TRAP_HANDLER: 0
; COMPUTE_PGM_RSRC2:TGID_X_EN: 1
; COMPUTE_PGM_RSRC2:TGID_Y_EN: 1
; COMPUTE_PGM_RSRC2:TGID_Z_EN: 0
; COMPUTE_PGM_RSRC2:TIDIG_COMP_CNT: 0
	.section	.text._ZN4vllm25paged_attention_v2_kernelI14__hip_bfloat16S1_Li192ELi8ELi128ELNS_18Fp8KVCacheDataTypeE0ELb1ELi512EEEvPfS3_PT_PKS4_PKT0_SA_ifPKiSC_iPKfiiiSE_SE_iiiii,"axG",@progbits,_ZN4vllm25paged_attention_v2_kernelI14__hip_bfloat16S1_Li192ELi8ELi128ELNS_18Fp8KVCacheDataTypeE0ELb1ELi512EEEvPfS3_PT_PKS4_PKT0_SA_ifPKiSC_iPKfiiiSE_SE_iiiii,comdat
	.protected	_ZN4vllm25paged_attention_v2_kernelI14__hip_bfloat16S1_Li192ELi8ELi128ELNS_18Fp8KVCacheDataTypeE0ELb1ELi512EEEvPfS3_PT_PKS4_PKT0_SA_ifPKiSC_iPKfiiiSE_SE_iiiii ; -- Begin function _ZN4vllm25paged_attention_v2_kernelI14__hip_bfloat16S1_Li192ELi8ELi128ELNS_18Fp8KVCacheDataTypeE0ELb1ELi512EEEvPfS3_PT_PKS4_PKT0_SA_ifPKiSC_iPKfiiiSE_SE_iiiii
	.globl	_ZN4vllm25paged_attention_v2_kernelI14__hip_bfloat16S1_Li192ELi8ELi128ELNS_18Fp8KVCacheDataTypeE0ELb1ELi512EEEvPfS3_PT_PKS4_PKT0_SA_ifPKiSC_iPKfiiiSE_SE_iiiii
	.p2align	8
	.type	_ZN4vllm25paged_attention_v2_kernelI14__hip_bfloat16S1_Li192ELi8ELi128ELNS_18Fp8KVCacheDataTypeE0ELb1ELi512EEEvPfS3_PT_PKS4_PKT0_SA_ifPKiSC_iPKfiiiSE_SE_iiiii,@function
_ZN4vllm25paged_attention_v2_kernelI14__hip_bfloat16S1_Li192ELi8ELi128ELNS_18Fp8KVCacheDataTypeE0ELb1ELi512EEEvPfS3_PT_PKS4_PKT0_SA_ifPKiSC_iPKfiiiSE_SE_iiiii: ; @_ZN4vllm25paged_attention_v2_kernelI14__hip_bfloat16S1_Li192ELi8ELi128ELNS_18Fp8KVCacheDataTypeE0ELb1ELi512EEEvPfS3_PT_PKS4_PKT0_SA_ifPKiSC_iPKfiiiSE_SE_iiiii
; %bb.0:
	s_load_b64 s[2:3], s[0:1], 0x40
	s_and_b32 s20, ttmp7, 0xffff
	s_lshr_b32 s30, ttmp7, 16
	s_lshl_b32 s4, s20, 2
	s_lshl_b32 s33, s30, 9
	s_wait_kmcnt 0x0
	s_load_b32 s31, s[2:3], s4 offset:0x0
	s_wait_kmcnt 0x0
	s_cmp_ge_i32 s33, s31
	s_cbranch_scc1 .LBB140_66
; %bb.1:
	s_clause 0x1
	s_load_b32 s21, s[0:1], 0x90
	s_load_b64 s[6:7], s[0:1], 0x30
	s_wait_kmcnt 0x0
	s_abs_i32 s5, s21
	s_abs_i32 s2, s6
	s_delay_alu instid0(SALU_CYCLE_1) | instskip(SKIP_1) | instid1(SALU_CYCLE_2)
	s_cvt_f32_u32 s3, s2
	s_sub_co_i32 s4, 0, s2
	v_rcp_iflag_f32_e32 v1, s3
	s_delay_alu instid0(TRANS32_DEP_1) | instskip(SKIP_2) | instid1(SALU_CYCLE_2)
	v_readfirstlane_b32 s3, v1
	s_mul_f32 s3, s3, 0x4f7ffffe
	s_wait_alu 0xfffe
	s_cvt_u32_f32 s3, s3
	s_wait_alu 0xfffe
	s_delay_alu instid0(SALU_CYCLE_2) | instskip(NEXT) | instid1(SALU_CYCLE_1)
	s_mul_i32 s4, s4, s3
	s_mul_hi_u32 s4, s3, s4
	s_delay_alu instid0(SALU_CYCLE_1)
	s_add_co_i32 s3, s3, s4
	s_xor_b32 s4, s21, s6
	s_wait_alu 0xfffe
	s_mul_hi_u32 s3, s5, s3
	s_ashr_i32 s4, s4, 31
	s_wait_alu 0xfffe
	s_mul_i32 s8, s3, s2
	s_delay_alu instid0(SALU_CYCLE_1)
	s_sub_co_i32 s5, s5, s8
	s_add_co_i32 s8, s3, 1
	s_sub_co_i32 s9, s5, s2
	s_cmp_ge_u32 s5, s2
	s_cselect_b32 s3, s8, s3
	s_cselect_b32 s5, s9, s5
	s_wait_alu 0xfffe
	s_add_co_i32 s8, s3, 1
	s_cmp_ge_u32 s5, s2
	s_cselect_b32 s2, s8, s3
	s_load_b64 s[8:9], s[0:1], 0x50
	s_xor_b32 s2, s2, s4
	s_mov_b32 s3, 0
	s_wait_alu 0xfffe
	s_sub_co_i32 s10, s2, s4
	s_mov_b32 s15, s3
	s_abs_i32 s18, s10
	s_delay_alu instid0(SALU_CYCLE_1) | instskip(SKIP_1) | instid1(SALU_CYCLE_2)
	s_cvt_f32_u32 s2, s18
	s_wait_alu 0xfffe
	v_rcp_iflag_f32_e32 v1, s2
	s_delay_alu instid0(TRANS32_DEP_1) | instskip(SKIP_2) | instid1(SALU_CYCLE_2)
	v_readfirstlane_b32 s2, v1
	s_mul_f32 s2, s2, 0x4f7ffffe
	s_wait_alu 0xfffe
	s_cvt_u32_f32 s4, s2
	s_sub_co_i32 s2, 0, s18
	s_wait_alu 0xfffe
	s_delay_alu instid0(SALU_CYCLE_1)
	s_mul_i32 s2, s2, s4
	s_wait_alu 0xfffe
	s_mul_hi_u32 s5, s4, s2
	s_abs_i32 s2, ttmp9
	s_add_co_i32 s4, s4, s5
	s_mov_b32 s5, s3
	s_wait_kmcnt 0x0
	s_cmp_eq_u64 s[8:9], 0
	s_cbranch_scc1 .LBB140_3
; %bb.2:
	s_mov_b32 s12, ttmp9
	s_ashr_i32 s13, ttmp9, 31
	s_delay_alu instid0(SALU_CYCLE_1) | instskip(NEXT) | instid1(SALU_CYCLE_1)
	s_lshl_b64 s[12:13], s[12:13], 2
	s_add_nc_u64 s[8:9], s[8:9], s[12:13]
	s_load_b32 s15, s[8:9], 0x0
.LBB140_3:
	s_load_b96 s[12:14], s[0:1], 0x58
	v_and_b32_e32 v1, 3, v0
	v_lshlrev_b32_e32 v2, 2, v0
	s_mul_u64 s[4:5], s[2:3], s[4:5]
	s_ashr_i32 s3, ttmp9, 31
	s_ashr_i32 s4, s10, 31
	s_mul_i32 s16, ttmp9, 0xc0
	s_mov_b32 s8, exec_lo
	v_cmpx_gt_u32_e32 0x60, v0
	s_cbranch_execz .LBB140_5
; %bb.4:
	s_load_b64 s[10:11], s[0:1], 0x18
	s_wait_kmcnt 0x0
	s_mul_i32 s22, s12, s20
	s_ashr_i32 s17, s16, 31
	s_ashr_i32 s23, s22, 31
	v_and_b32_e32 v4, 0x3fc, v0
	s_lshl_b64 s[22:23], s[22:23], 1
	s_delay_alu instid0(VALU_DEP_1) | instskip(SKIP_2) | instid1(SALU_CYCLE_1)
	v_mad_u32_u24 v4, 0x60, v1, v4
	s_add_nc_u64 s[10:11], s[10:11], s[22:23]
	s_lshl_b64 s[22:23], s[16:17], 1
	s_add_nc_u64 s[10:11], s[10:11], s[22:23]
	global_load_b32 v3, v2, s[10:11]
	s_wait_loadcnt 0x0
	ds_store_b32 v4, v3
.LBB140_5:
	s_or_b32 exec_lo, exec_lo, s8
	s_clause 0x1
	s_load_b128 s[8:11], s[0:1], 0x78
	s_load_b32 s22, s[0:1], 0x88
	s_wait_kmcnt 0x0
	s_mul_i32 s12, s5, s18
	s_xor_b32 s3, s3, s4
	s_sub_co_i32 s2, s2, s12
	s_add_co_i32 s4, s5, 1
	s_wait_alu 0xfffe
	s_sub_co_i32 s12, s2, s18
	s_cmp_ge_u32 s2, s18
	s_mov_b32 s24, -1
	s_cselect_b32 s4, s4, s5
	s_cselect_b32 s2, s12, s2
	s_add_co_i32 s5, s4, 1
	s_wait_alu 0xfffe
	s_cmp_ge_u32 s2, s18
	s_wait_dscnt 0x0
	s_cselect_b32 s2, s5, s4
	s_add_co_i32 s23, s31, -1
	s_wait_alu 0xfffe
	s_xor_b32 s2, s2, s3
	s_barrier_signal -1
	s_wait_alu 0xfffe
	s_sub_co_i32 s26, s2, s3
	s_barrier_wait -1
	s_abs_i32 s12, s11
	global_inv scope:SCOPE_SE
	s_cvt_f32_u32 s4, s12
                                        ; implicit-def: $sgpr17
	s_delay_alu instid0(SALU_CYCLE_3) | instskip(NEXT) | instid1(TRANS32_DEP_1)
	v_rcp_iflag_f32_e32 v3, s4
	v_readfirstlane_b32 s4, v3
	s_mul_f32 s2, s4, 0x4f7ffffe
	s_wait_alu 0xfffe
	s_delay_alu instid0(SALU_CYCLE_2) | instskip(SKIP_2) | instid1(SALU_CYCLE_1)
	s_cvt_u32_f32 s4, s2
	s_sub_co_i32 s2, 0, s12
	s_wait_alu 0xfffe
	s_mul_i32 s3, s2, s4
	s_abs_i32 s2, s23
	s_wait_alu 0xfffe
	s_mul_hi_u32 s5, s4, s3
	s_mov_b32 s3, 0
	s_wait_alu 0xfffe
	s_add_co_i32 s18, s4, s5
	s_cmp_lt_i32 s22, 0
	s_mov_b32 s19, s3
	s_cbranch_scc0 .LBB140_7
; %bb.6:
	s_mul_i32 s4, s8, s6
	s_mov_b32 s24, s3
	s_wait_alu 0xfffe
	s_add_co_i32 s4, s26, s4
	s_wait_alu 0xfffe
	s_mul_i32 s4, s4, s22
	s_wait_alu 0xfffe
	s_sub_co_i32 s17, 1, s4
.LBB140_7:
	s_mul_u64 s[4:5], s[2:3], s[18:19]
	s_ashr_i32 s3, s23, 31
	s_and_not1_b32 vcc_lo, exec_lo, s24
	s_ashr_i32 s11, s11, 31
	s_cbranch_vccnz .LBB140_9
; %bb.8:
	s_mul_i32 s4, s21, s8
	s_wait_alu 0xfffe
	s_add_co_i32 s4, s4, ttmp9
	s_wait_alu 0xfffe
	s_mul_i32 s4, s4, s22
	s_wait_alu 0xfffe
	s_add_co_i32 s17, s4, 1
.LBB140_9:
	s_clause 0x2
	s_load_b32 s4, s[0:1], 0x48
	s_load_b64 s[22:23], s[0:1], 0x38
	s_load_b32 s8, s[0:1], 0x98
	s_mul_i32 s6, s5, s12
	s_xor_b32 s3, s3, s11
	s_sub_co_i32 s2, s2, s6
	s_add_co_i32 s19, s5, 1
	v_lshrrev_b32_e32 v35, 5, v0
	v_mbcnt_lo_u32_b32 v4, -1, 0
	s_mul_i32 s26, s26, s14
	s_delay_alu instid0(VALU_DEP_2)
	v_lshl_add_u32 v36, v35, 3, s33
	s_wait_kmcnt 0x0
	s_mul_i32 s24, s4, s20
	s_wait_alu 0xfffe
	s_sub_co_i32 s4, s2, s12
	s_ashr_i32 s25, s24, 31
	s_cmp_ge_u32 s2, s12
	s_cselect_b32 s5, s19, s5
	s_wait_alu 0xfffe
	s_cselect_b32 s2, s4, s2
	s_add_co_i32 s4, s5, 1
	s_wait_alu 0xfffe
	s_cmp_ge_u32 s2, s12
	s_cselect_b32 s2, s4, s5
	s_add_co_i32 s4, s31, 7
	s_lshl_b32 s36, s30, 6
	s_wait_alu 0xfffe
	s_ashr_i32 s5, s4, 31
	v_or_b32_e32 v37, s36, v35
	s_wait_alu 0xfffe
	s_lshr_b32 s5, s5, 29
	v_mov_b32_e32 v6, 0xff7fffff
	s_wait_alu 0xfffe
	s_add_co_i32 s4, s4, s5
	s_add_co_i32 s5, s36, 64
	s_wait_alu 0xfffe
	s_ashr_i32 s34, s4, 3
	s_xor_b32 s4, s2, s3
	s_min_i32 s19, s5, s34
	v_lshlrev_b32_e32 v3, 2, v37
	v_cmp_gt_i32_e64 s2, s19, v37
	s_wait_alu 0xfffe
	s_sub_co_i32 s35, s4, s3
	s_and_saveexec_b32 s6, s2
	s_cbranch_execz .LBB140_21
; %bb.10:
	s_ashr_i32 s27, s26, 31
	s_sub_co_i32 s14, s35, s9
	s_lshl_b64 s[4:5], s[26:27], 1
	s_cmp_neq_f32 s15, 0
	s_load_b64 s[38:39], s[0:1], 0x20
	v_bfe_u32 v5, v0, 2, 3
	v_mul_u32_u24_e32 v7, 0x60, v1
	s_cselect_b32 vcc_lo, -1, 0
	s_abs_i32 s27, s10
	v_dual_mov_b32 v13, 0xff7fffff :: v_dual_and_b32 v2, 12, v2
	s_cvt_f32_u32 s3, s27
	v_lshlrev_b32_e32 v8, 2, v5
	s_lshl_b64 s[40:41], s[24:25], 2
	v_subrev_nc_u32_e32 v11, s31, v5
	s_wait_alu 0xfffe
	v_rcp_iflag_f32_e32 v6, s3
	v_cmp_eq_u32_e64 s3, 0, v1
	v_lshlrev_b32_e32 v1, 4, v5
	s_add_nc_u64 s[40:41], s[22:23], s[40:41]
	s_sub_co_i32 s37, 0, s27
	v_lshl_add_u32 v10, v35, 3, s33
	v_dual_mov_b32 v16, v37 :: v_dual_add_nc_u32 v11, 1, v11
	v_xor_b32_e32 v14, 2, v4
	s_wait_kmcnt 0x0
	s_add_nc_u64 s[4:5], s[38:39], s[4:5]
	v_readfirstlane_b32 s29, v6
	v_lshl_or_b32 v6, v35, 5, v8
	v_xor_b32_e32 v15, 1, v4
	s_mov_b32 s28, 0
	s_mul_f32 s29, s29, 0x4f7ffffe
	s_delay_alu instid0(VALU_DEP_2)
	v_add_nc_u32_e32 v12, 0x1a0, v6
	v_mov_b32_e32 v6, 0xff7fffff
	s_wait_alu 0xfffe
	v_add_co_u32 v1, s4, s4, v1
	s_wait_alu 0xf1ff
	v_add_co_ci_u32_e64 v9, null, s5, 0, s4
	s_cvt_u32_f32 s5, s29
	v_add_co_u32 v8, s4, v1, v2
	s_wait_alu 0xf1ff
	v_add_co_ci_u32_e64 v9, null, 0, v9, s4
	v_add_co_u32 v1, s4, s40, v3
	s_wait_alu 0xfffe
	s_mul_i32 s37, s37, s5
	v_add_co_ci_u32_e64 v2, null, s41, 0, s4
	s_wait_alu 0xfffe
	s_mul_hi_u32 s4, s5, s37
	s_mov_b32 s29, s13
	s_wait_alu 0xfffe
	s_add_co_i32 s37, s5, s4
	s_branch .LBB140_13
.LBB140_11:                             ;   in Loop: Header=BB140_13 Depth=1
	s_or_b32 exec_lo, exec_lo, s38
.LBB140_12:                             ;   in Loop: Header=BB140_13 Depth=1
	s_wait_alu 0xfffe
	s_or_b32 exec_lo, exec_lo, s5
	v_add_nc_u32_e32 v16, 4, v16
	v_add_co_u32 v1, s5, v1, 16
	s_wait_alu 0xf1ff
	v_add_co_ci_u32_e64 v2, null, 0, v2, s5
	s_delay_alu instid0(VALU_DEP_3)
	v_cmp_le_i32_e64 s4, s19, v16
	v_add_nc_u32_e32 v10, 32, v10
	v_add_nc_u32_e32 v12, 0x80, v12
	s_or_b32 s28, s4, s28
	s_wait_alu 0xfffe
	s_and_not1_b32 exec_lo, exec_lo, s28
	s_cbranch_execz .LBB140_20
.LBB140_13:                             ; =>This Inner Loop Header: Depth=1
	v_sub_nc_u32_e32 v17, 0, v10
	s_delay_alu instid0(VALU_DEP_1) | instskip(SKIP_1) | instid1(VALU_DEP_1)
	v_max_i32_e32 v17, v10, v17
	s_wait_dscnt 0x0
	v_mul_hi_u32 v18, v17, s18
	s_delay_alu instid0(VALU_DEP_1) | instskip(NEXT) | instid1(VALU_DEP_1)
	v_mul_lo_u32 v19, v18, s12
	v_sub_nc_u32_e32 v17, v17, v19
	v_add_nc_u32_e32 v19, 1, v18
	s_delay_alu instid0(VALU_DEP_2) | instskip(SKIP_2) | instid1(VALU_DEP_1)
	v_subrev_nc_u32_e32 v20, s12, v17
	v_cmp_le_u32_e64 s4, s12, v17
	s_wait_alu 0xf1ff
	v_cndmask_b32_e64 v18, v18, v19, s4
	s_delay_alu instid0(VALU_DEP_3) | instskip(SKIP_1) | instid1(VALU_DEP_3)
	v_cndmask_b32_e64 v17, v17, v20, s4
	v_ashrrev_i32_e32 v19, 31, v10
	v_add_nc_u32_e32 v20, 1, v18
	s_delay_alu instid0(VALU_DEP_3) | instskip(NEXT) | instid1(VALU_DEP_3)
	v_cmp_le_u32_e64 s4, s12, v17
	v_xor_b32_e32 v19, s11, v19
	s_wait_alu 0xf1ff
	s_delay_alu instid0(VALU_DEP_2) | instskip(NEXT) | instid1(VALU_DEP_1)
	v_cndmask_b32_e64 v17, v18, v20, s4
	v_xor_b32_e32 v17, v17, v19
	s_delay_alu instid0(VALU_DEP_1) | instskip(NEXT) | instid1(VALU_DEP_1)
	v_sub_nc_u32_e32 v17, v17, v19
	v_add_nc_u32_e32 v18, s17, v17
	v_cmp_ge_i32_e64 s5, s14, v17
	s_delay_alu instid0(VALU_DEP_2) | instskip(NEXT) | instid1(VALU_DEP_1)
	v_sub_nc_u32_e32 v19, 0, v18
	v_max_i32_e32 v19, v18, v19
	v_ashrrev_i32_e32 v18, 31, v18
	s_wait_alu 0xfffe
	s_delay_alu instid0(VALU_DEP_2) | instskip(NEXT) | instid1(VALU_DEP_1)
	v_mul_hi_u32 v20, v19, s37
	v_mul_lo_u32 v20, v20, s27
	s_delay_alu instid0(VALU_DEP_1) | instskip(NEXT) | instid1(VALU_DEP_1)
	v_sub_nc_u32_e32 v19, v19, v20
	v_subrev_nc_u32_e32 v20, s27, v19
	v_cmp_le_u32_e64 s4, s27, v19
	s_wait_alu 0xf1ff
	s_delay_alu instid0(VALU_DEP_1) | instskip(NEXT) | instid1(VALU_DEP_1)
	v_cndmask_b32_e64 v19, v19, v20, s4
	v_subrev_nc_u32_e32 v20, s27, v19
	v_cmp_le_u32_e64 s4, s27, v19
	s_wait_alu 0xf1ff
	s_delay_alu instid0(VALU_DEP_1) | instskip(NEXT) | instid1(VALU_DEP_1)
	v_cndmask_b32_e64 v19, v19, v20, s4
	v_xor_b32_e32 v19, v19, v18
	s_delay_alu instid0(VALU_DEP_1) | instskip(NEXT) | instid1(VALU_DEP_1)
	v_sub_nc_u32_e32 v18, v19, v18
	v_cmp_ne_u32_e64 s4, 0, v18
	s_and_b32 s4, s4, s5
	s_wait_alu 0xfffe
	s_and_saveexec_b32 s5, s4
	s_wait_alu 0xfffe
	s_xor_b32 s4, exec_lo, s5
	s_cbranch_execz .LBB140_17
; %bb.14:                               ;   in Loop: Header=BB140_13 Depth=1
	s_and_saveexec_b32 s5, s3
; %bb.15:                               ;   in Loop: Header=BB140_13 Depth=1
	ds_store_b32 v12, v13
; %bb.16:                               ;   in Loop: Header=BB140_13 Depth=1
	s_wait_alu 0xfffe
	s_or_b32 exec_lo, exec_lo, s5
.LBB140_17:                             ;   in Loop: Header=BB140_13 Depth=1
	s_wait_alu 0xfffe
	s_and_not1_saveexec_b32 s5, s4
	s_cbranch_execz .LBB140_12
; %bb.18:                               ;   in Loop: Header=BB140_13 Depth=1
	global_load_b32 v17, v[1:2], off
	s_wait_loadcnt 0x0
	v_mad_co_i64_i32 v[17:18], null, v17, s29, 0
	s_delay_alu instid0(VALU_DEP_1) | instskip(NEXT) | instid1(VALU_DEP_1)
	v_lshlrev_b64_e32 v[17:18], 1, v[17:18]
	v_add_co_u32 v17, s4, v8, v17
	s_wait_alu 0xf1ff
	s_delay_alu instid0(VALU_DEP_2)
	v_add_co_ci_u32_e64 v18, null, v9, v18, s4
	v_cmp_gt_i32_e64 s4, 32, v14
	s_clause 0x17
	global_load_b32 v33, v[17:18], off offset:128
	global_load_b32 v34, v[17:18], off
	global_load_b32 v46, v[17:18], off offset:256
	global_load_b32 v47, v[17:18], off offset:384
	;; [unrolled: 1-line block ×22, first 2 shown]
	ds_load_b128 v[17:20], v7
	ds_load_b128 v[21:24], v7 offset:16
	ds_load_b128 v[25:28], v7 offset:32
	;; [unrolled: 1-line block ×5, first 2 shown]
	s_wait_loadcnt 0x17
	v_lshlrev_b32_e32 v92, 16, v33
	v_and_b32_e32 v33, 0xffff0000, v33
	s_wait_dscnt 0x5
	v_lshlrev_b32_e32 v69, 16, v18
	v_and_b32_e32 v18, 0xffff0000, v18
	s_wait_loadcnt 0x16
	v_lshlrev_b32_e32 v93, 16, v34
	v_and_b32_e32 v34, 0xffff0000, v34
	s_delay_alu instid0(VALU_DEP_3)
	v_mul_f32_e32 v18, v18, v33
	v_dual_mul_f32 v69, v69, v92 :: v_dual_lshlrev_b32 v68, 16, v17
	v_and_b32_e32 v17, 0xffff0000, v17
	v_lshlrev_b32_e32 v70, 16, v19
	v_lshlrev_b32_e32 v71, 16, v20
	v_and_b32_e32 v19, 0xffff0000, v19
	s_wait_loadcnt 0x15
	v_lshlrev_b32_e32 v33, 16, v46
	v_and_b32_e32 v46, 0xffff0000, v46
	s_wait_dscnt 0x4
	v_dual_fmac_f32 v18, v17, v34 :: v_dual_lshlrev_b32 v75, 16, v24
	v_fmac_f32_e32 v69, v68, v93
	v_and_b32_e32 v17, 0xffff0000, v20
	s_wait_loadcnt 0x14
	v_and_b32_e32 v34, 0xffff0000, v47
	v_fmac_f32_e32 v18, v19, v46
	v_dual_fmac_f32 v69, v70, v33 :: v_dual_lshlrev_b32 v74, 16, v23
	s_wait_dscnt 0x3
	v_lshlrev_b32_e32 v79, 16, v28
	v_and_b32_e32 v19, 0xffff0000, v21
	s_wait_loadcnt 0x13
	v_dual_fmac_f32 v18, v17, v34 :: v_dual_and_b32 v33, 0xffff0000, v48
	v_lshlrev_b32_e32 v73, 16, v22
	v_and_b32_e32 v17, 0xffff0000, v22
	s_wait_loadcnt 0x12
	v_and_b32_e32 v22, 0xffff0000, v49
	v_lshlrev_b32_e32 v20, 16, v47
	s_wait_dscnt 0x2
	v_dual_fmac_f32 v18, v19, v33 :: v_dual_lshlrev_b32 v83, 16, v32
	v_and_b32_e32 v19, 0xffff0000, v23
	s_wait_loadcnt 0x11
	v_and_b32_e32 v23, 0xffff0000, v50
	v_dual_fmac_f32 v69, v71, v20 :: v_dual_lshlrev_b32 v72, 16, v21
	v_fmac_f32_e32 v18, v17, v22
	v_lshlrev_b32_e32 v77, 16, v26
	v_and_b32_e32 v17, 0xffff0000, v24
	s_wait_loadcnt 0x10
	v_and_b32_e32 v22, 0xffff0000, v51
	v_lshlrev_b32_e32 v20, 16, v49
	v_fmac_f32_e32 v18, v19, v23
	s_wait_dscnt 0x1
	v_lshlrev_b32_e32 v85, 16, v39
	v_and_b32_e32 v19, 0xffff0000, v25
	s_wait_loadcnt 0xf
	v_dual_fmac_f32 v18, v17, v22 :: v_dual_and_b32 v23, 0xffff0000, v52
	v_lshlrev_b32_e32 v81, 16, v30
	v_and_b32_e32 v17, 0xffff0000, v26
	s_wait_loadcnt 0xe
	v_and_b32_e32 v22, 0xffff0000, v53
	v_dual_fmac_f32 v18, v19, v23 :: v_dual_lshlrev_b32 v87, 16, v41
	v_and_b32_e32 v19, 0xffff0000, v27
	s_wait_loadcnt 0xd
	v_and_b32_e32 v23, 0xffff0000, v54
	s_wait_dscnt 0x0
	v_dual_fmac_f32 v18, v17, v22 :: v_dual_lshlrev_b32 v91, 16, v45
	s_delay_alu instid0(VALU_DEP_1)
	v_dual_fmac_f32 v18, v19, v23 :: v_dual_and_b32 v17, 0xffff0000, v28
	s_wait_loadcnt 0xc
	v_and_b32_e32 v22, 0xffff0000, v55
	v_lshlrev_b32_e32 v89, 16, v43
	v_and_b32_e32 v19, 0xffff0000, v29
	s_wait_loadcnt 0xb
	s_delay_alu instid0(VALU_DEP_3) | instskip(SKIP_3) | instid1(VALU_DEP_3)
	v_dual_fmac_f32 v18, v17, v22 :: v_dual_and_b32 v23, 0xffff0000, v56
	v_and_b32_e32 v17, 0xffff0000, v30
	s_wait_loadcnt 0xa
	v_and_b32_e32 v22, 0xffff0000, v57
	v_fmac_f32_e32 v18, v19, v23
	v_and_b32_e32 v19, 0xffff0000, v31
	s_wait_loadcnt 0x9
	v_and_b32_e32 v23, 0xffff0000, v58
	s_delay_alu instid0(VALU_DEP_3) | instskip(SKIP_2) | instid1(VALU_DEP_2)
	v_dual_fmac_f32 v18, v17, v22 :: v_dual_and_b32 v17, 0xffff0000, v32
	s_wait_loadcnt 0x8
	v_and_b32_e32 v22, 0xffff0000, v59
	v_dual_fmac_f32 v18, v19, v23 :: v_dual_and_b32 v19, 0xffff0000, v38
	s_wait_loadcnt 0x7
	s_delay_alu instid0(VALU_DEP_1) | instskip(SKIP_3) | instid1(VALU_DEP_3)
	v_dual_fmac_f32 v18, v17, v22 :: v_dual_and_b32 v23, 0xffff0000, v60
	v_and_b32_e32 v17, 0xffff0000, v39
	s_wait_loadcnt 0x6
	v_and_b32_e32 v22, 0xffff0000, v61
	v_dual_fmac_f32 v18, v19, v23 :: v_dual_lshlrev_b32 v21, 16, v48
	v_and_b32_e32 v19, 0xffff0000, v40
	s_wait_loadcnt 0x5
	v_and_b32_e32 v23, 0xffff0000, v62
	s_delay_alu instid0(VALU_DEP_3)
	v_fmac_f32_e32 v18, v17, v22
	v_dual_fmac_f32 v69, v72, v21 :: v_dual_lshlrev_b32 v78, 16, v27
	v_lshlrev_b32_e32 v76, 16, v25
	v_lshlrev_b32_e32 v21, 16, v50
	v_and_b32_e32 v17, 0xffff0000, v41
	s_wait_loadcnt 0x4
	v_dual_fmac_f32 v69, v73, v20 :: v_dual_and_b32 v22, 0xffff0000, v63
	v_lshlrev_b32_e32 v82, 16, v31
	v_lshlrev_b32_e32 v20, 16, v51
	v_dual_fmac_f32 v18, v19, v23 :: v_dual_and_b32 v19, 0xffff0000, v42
	s_delay_alu instid0(VALU_DEP_4)
	v_fmac_f32_e32 v69, v74, v21
	v_lshlrev_b32_e32 v80, 16, v29
	v_lshlrev_b32_e32 v21, 16, v52
	s_wait_loadcnt 0x3
	v_dual_fmac_f32 v18, v17, v22 :: v_dual_and_b32 v23, 0xffff0000, v64
	v_dual_fmac_f32 v69, v75, v20 :: v_dual_lshlrev_b32 v84, 16, v38
	v_lshlrev_b32_e32 v20, 16, v53
	v_and_b32_e32 v17, 0xffff0000, v43
	s_wait_loadcnt 0x2
	v_and_b32_e32 v22, 0xffff0000, v65
	v_dual_fmac_f32 v69, v76, v21 :: v_dual_lshlrev_b32 v88, 16, v42
	v_dual_fmac_f32 v18, v19, v23 :: v_dual_lshlrev_b32 v21, 16, v54
	v_and_b32_e32 v19, 0xffff0000, v44
	s_delay_alu instid0(VALU_DEP_3)
	v_fmac_f32_e32 v69, v77, v20
	v_lshlrev_b32_e32 v86, 16, v40
	v_lshlrev_b32_e32 v20, 16, v55
	s_wait_loadcnt 0x1
	v_and_b32_e32 v23, 0xffff0000, v66
	v_dual_fmac_f32 v18, v17, v22 :: v_dual_fmac_f32 v69, v78, v21
	v_lshlrev_b32_e32 v21, 16, v56
	v_and_b32_e32 v17, 0xffff0000, v45
	s_wait_loadcnt 0x0
	v_and_b32_e32 v22, 0xffff0000, v67
	v_fmac_f32_e32 v18, v19, v23
	v_fmac_f32_e32 v69, v79, v20
	v_lshlrev_b32_e32 v90, 16, v44
	v_lshlrev_b32_e32 v20, 16, v57
	s_wait_alu 0xf1ff
	v_cndmask_b32_e64 v19, v4, v14, s4
	v_dual_fmac_f32 v18, v17, v22 :: v_dual_fmac_f32 v69, v80, v21
	v_lshlrev_b32_e32 v21, 16, v58
	v_cmp_gt_i32_e64 s4, 32, v15
	s_delay_alu instid0(VALU_DEP_4) | instskip(NEXT) | instid1(VALU_DEP_4)
	v_lshlrev_b32_e32 v17, 2, v19
	v_dual_fmac_f32 v69, v81, v20 :: v_dual_lshlrev_b32 v20, 16, v59
	s_wait_alu 0xf1ff
	s_delay_alu instid0(VALU_DEP_3) | instskip(NEXT) | instid1(VALU_DEP_2)
	v_cndmask_b32_e64 v19, v4, v15, s4
	v_fmac_f32_e32 v69, v82, v21
	v_lshlrev_b32_e32 v21, 16, v60
	s_delay_alu instid0(VALU_DEP_3) | instskip(NEXT) | instid1(VALU_DEP_3)
	v_lshlrev_b32_e32 v19, 2, v19
	v_dual_fmac_f32 v69, v83, v20 :: v_dual_lshlrev_b32 v20, 16, v61
	s_delay_alu instid0(VALU_DEP_1) | instskip(SKIP_1) | instid1(VALU_DEP_2)
	v_fmac_f32_e32 v69, v84, v21
	v_lshlrev_b32_e32 v21, 16, v62
	v_dual_fmac_f32 v69, v85, v20 :: v_dual_lshlrev_b32 v20, 16, v63
	s_delay_alu instid0(VALU_DEP_1) | instskip(SKIP_1) | instid1(VALU_DEP_2)
	v_fmac_f32_e32 v69, v86, v21
	;; [unrolled: 4-line block ×3, first 2 shown]
	v_lshlrev_b32_e32 v21, 16, v66
	v_dual_fmac_f32 v69, v89, v20 :: v_dual_lshlrev_b32 v20, 16, v67
	s_delay_alu instid0(VALU_DEP_1) | instskip(NEXT) | instid1(VALU_DEP_1)
	v_fmac_f32_e32 v69, v90, v21
	v_fmac_f32_e32 v69, v91, v20
	s_delay_alu instid0(VALU_DEP_1)
	v_add_f32_e32 v18, v69, v18
	ds_bpermute_b32 v17, v17, v18
	s_wait_dscnt 0x0
	v_add_f32_e32 v17, v18, v17
	ds_bpermute_b32 v18, v19, v17
	s_and_saveexec_b32 s38, s3
	s_cbranch_execz .LBB140_11
; %bb.19:                               ;   in Loop: Header=BB140_13 Depth=1
	s_wait_dscnt 0x0
	v_add_f32_e32 v17, v17, v18
	v_add_nc_u32_e32 v19, v11, v10
	s_delay_alu instid0(VALU_DEP_1) | instskip(NEXT) | instid1(VALU_DEP_1)
	v_cvt_f32_i32_e32 v19, v19
	v_mul_f32_e32 v19, s15, v19
	s_delay_alu instid0(VALU_DEP_1) | instskip(NEXT) | instid1(VALU_DEP_1)
	v_dual_cndmask_b32 v18, 0, v19 :: v_dual_max_num_f32 v19, v6, v6
	v_dual_fmac_f32 v18, s7, v17 :: v_dual_add_nc_u32 v17, v5, v10
	s_delay_alu instid0(VALU_DEP_1) | instskip(NEXT) | instid1(VALU_DEP_2)
	v_max_num_f32_e32 v19, v19, v18
	v_cmp_gt_i32_e64 s4, s31, v17
	s_wait_alu 0xf1ff
	s_delay_alu instid0(VALU_DEP_1) | instskip(NEXT) | instid1(VALU_DEP_3)
	v_cndmask_b32_e64 v17, 0, v18, s4
	v_cndmask_b32_e64 v6, v6, v19, s4
	ds_store_b32 v12, v17
	s_branch .LBB140_11
.LBB140_20:
	s_or_b32 exec_lo, exec_lo, s28
.LBB140_21:
	s_delay_alu instid0(SALU_CYCLE_1)
	s_or_b32 exec_lo, exec_lo, s6
	v_xor_b32_e32 v1, 16, v4
	v_xor_b32_e32 v5, 8, v4
	;; [unrolled: 1-line block ×3, first 2 shown]
	s_clause 0x2
	s_load_b128 s[4:7], s[0:1], 0x0
	s_load_b64 s[14:15], s[0:1], 0x10
	s_load_b64 s[28:29], s[0:1], 0x28
	v_and_b32_e32 v38, 31, v0
	v_cmp_gt_i32_e32 vcc_lo, 32, v1
	s_wait_alu 0xfffd
	v_cndmask_b32_e32 v1, v4, v1, vcc_lo
	v_cmp_gt_i32_e32 vcc_lo, 32, v5
	s_wait_alu 0xfffd
	v_cndmask_b32_e32 v5, v4, v5, vcc_lo
	v_cmp_gt_i32_e32 vcc_lo, 32, v7
	v_lshlrev_b32_e32 v2, 2, v1
	s_delay_alu instid0(VALU_DEP_3)
	v_lshlrev_b32_e32 v5, 2, v5
	s_wait_alu 0xfffd
	v_cndmask_b32_e32 v7, v4, v7, vcc_lo
	ds_bpermute_b32 v1, v2, v6
	v_max_num_f32_e32 v6, v6, v6
	v_cmp_eq_u32_e32 vcc_lo, 0, v38
	s_wait_dscnt 0x0
	v_dual_max_num_f32 v1, v1, v1 :: v_dual_lshlrev_b32 v8, 2, v7
	s_delay_alu instid0(VALU_DEP_1) | instskip(SKIP_3) | instid1(VALU_DEP_1)
	v_max_num_f32_e32 v1, v6, v1
	ds_bpermute_b32 v6, v5, v1
	s_wait_dscnt 0x0
	v_max_num_f32_e32 v6, v6, v6
	v_dual_max_num_f32 v1, v1, v6 :: v_dual_lshlrev_b32 v6, 2, v35
	ds_bpermute_b32 v7, v8, v1
	s_and_saveexec_b32 s0, vcc_lo
	s_cbranch_execz .LBB140_23
; %bb.22:
	s_wait_dscnt 0x0
	v_max_num_f32_e32 v7, v7, v7
	v_max_num_f32_e32 v1, v1, v1
	s_delay_alu instid0(VALU_DEP_1)
	v_max_num_f32_e32 v1, v1, v7
	ds_store_b32 v6, v1 offset:384
.LBB140_23:
	s_or_b32 exec_lo, exec_lo, s0
	v_cmp_gt_u32_e64 s0, 4, v38
	v_mov_b32_e32 v1, 0xff7fffff
	s_wait_dscnt 0x0
	v_lshlrev_b32_e32 v7, 2, v38
	s_wait_loadcnt 0x0
	s_barrier_signal -1
	s_barrier_wait -1
	global_inv scope:SCOPE_SE
	s_and_saveexec_b32 s1, s0
; %bb.24:
	ds_load_b32 v1, v7 offset:384
; %bb.25:
	s_or_b32 exec_lo, exec_lo, s1
	v_xor_b32_e32 v9, 2, v4
	v_xor_b32_e32 v11, 1, v4
	s_delay_alu instid0(VALU_DEP_2) | instskip(NEXT) | instid1(VALU_DEP_1)
	v_cmp_gt_i32_e64 s1, 32, v9
	v_cndmask_b32_e64 v9, v4, v9, s1
	s_delay_alu instid0(VALU_DEP_3) | instskip(NEXT) | instid1(VALU_DEP_2)
	v_cmp_gt_i32_e64 s1, 32, v11
	v_lshlrev_b32_e32 v9, 2, v9
	s_wait_alu 0xf1ff
	s_delay_alu instid0(VALU_DEP_2)
	v_cndmask_b32_e64 v4, v4, v11, s1
	s_sub_co_i32 s1, s19, s36
	s_wait_alu 0xfffe
	s_lshl_b32 s1, s1, 3
	s_wait_dscnt 0x0
	ds_bpermute_b32 v10, v9, v1
	v_max_num_f32_e32 v1, v1, v1
	s_wait_alu 0xfffe
	s_add_co_i32 s1, s1, s33
	s_wait_alu 0xfffe
	s_min_i32 s1, s1, s31
	s_wait_alu 0xfffe
	s_sub_co_i32 s27, s1, s33
	s_wait_alu 0xfffe
	v_cmp_gt_i32_e64 s1, s27, v0
	s_wait_dscnt 0x0
	v_dual_max_num_f32 v11, v10, v10 :: v_dual_lshlrev_b32 v10, 2, v4
	s_delay_alu instid0(VALU_DEP_1) | instskip(SKIP_4) | instid1(VALU_DEP_1)
	v_max_num_f32_e32 v1, v1, v11
	v_mov_b32_e32 v11, 0
	ds_bpermute_b32 v4, v10, v1
	s_wait_dscnt 0x0
	v_max_num_f32_e32 v4, v4, v4
	v_max_num_f32_e32 v1, v1, v4
	v_lshl_add_u32 v4, v0, 2, 0x1a0
	ds_bpermute_b32 v1, v11, v1
	s_and_saveexec_b32 s33, s1
	s_cbranch_execz .LBB140_29
; %bb.26:
	v_lshl_add_u32 v12, v0, 2, 0x1a0
	v_mov_b32_e32 v11, 0
	v_mov_b32_e32 v13, v0
	s_mov_b32 s36, 0
.LBB140_27:                             ; =>This Inner Loop Header: Depth=1
	ds_load_b32 v14, v12
	v_add_nc_u32_e32 v13, 0x80, v13
	s_delay_alu instid0(VALU_DEP_1) | instskip(SKIP_4) | instid1(VALU_DEP_1)
	v_cmp_le_i32_e64 s3, s27, v13
	s_wait_alu 0xfffe
	s_or_b32 s36, s3, s36
	s_wait_dscnt 0x0
	v_sub_f32_e32 v14, v14, v1
	v_mul_f32_e32 v14, 0x3fb8aa3b, v14
	s_delay_alu instid0(VALU_DEP_1)
	v_exp_f32_e32 v14, v14
	ds_store_b32 v12, v14
	v_dual_add_f32 v11, v11, v14 :: v_dual_add_nc_u32 v12, 0x200, v12
	s_wait_alu 0xfffe
	s_and_not1_b32 exec_lo, exec_lo, s36
	s_cbranch_execnz .LBB140_27
; %bb.28:
	s_or_b32 exec_lo, exec_lo, s36
.LBB140_29:
	s_wait_alu 0xfffe
	s_or_b32 exec_lo, exec_lo, s33
	ds_bpermute_b32 v2, v2, v11
	s_wait_dscnt 0x0
	v_add_f32_e32 v2, v11, v2
	ds_bpermute_b32 v5, v5, v2
	s_wait_dscnt 0x0
	v_add_f32_e32 v2, v2, v5
	;; [unrolled: 3-line block ×5, first 2 shown]
	s_and_saveexec_b32 s3, vcc_lo
; %bb.30:
	ds_store_b32 v6, v2 offset:400
; %bb.31:
	s_wait_alu 0xfffe
	s_or_b32 exec_lo, exec_lo, s3
	s_wait_loadcnt_dscnt 0x0
	s_barrier_signal -1
	s_barrier_wait -1
	global_inv scope:SCOPE_SE
	s_and_saveexec_b32 s3, s0
; %bb.32:
	ds_load_b32 v2, v7 offset:400
; %bb.33:
	s_wait_alu 0xfffe
	s_or_b32 exec_lo, exec_lo, s3
	s_wait_dscnt 0x0
	ds_bpermute_b32 v5, v9, v2
	s_wait_dscnt 0x0
	v_add_f32_e32 v2, v2, v5
	ds_bpermute_b32 v5, v10, v2
	s_wait_dscnt 0x0
	v_dual_add_f32 v2, v2, v5 :: v_dual_mov_b32 v5, 0
	ds_bpermute_b32 v2, v5, v2
	s_and_saveexec_b32 s0, s1
	s_cbranch_execz .LBB140_36
; %bb.34:
	s_wait_dscnt 0x0
	v_add_f32_e32 v5, 0x358637bd, v2
	s_mov_b32 s1, 0
	s_delay_alu instid0(VALU_DEP_1) | instskip(SKIP_1) | instid1(VALU_DEP_2)
	v_div_scale_f32 v6, null, v5, v5, 1.0
	v_div_scale_f32 v9, vcc_lo, 1.0, v5, 1.0
	v_rcp_f32_e32 v7, v6
	s_delay_alu instid0(TRANS32_DEP_1) | instskip(NEXT) | instid1(VALU_DEP_1)
	v_fma_f32 v8, -v6, v7, 1.0
	v_fmac_f32_e32 v7, v8, v7
	s_delay_alu instid0(VALU_DEP_1) | instskip(NEXT) | instid1(VALU_DEP_1)
	v_mul_f32_e32 v8, v9, v7
	v_fma_f32 v10, -v6, v8, v9
	s_delay_alu instid0(VALU_DEP_1) | instskip(NEXT) | instid1(VALU_DEP_1)
	v_fmac_f32_e32 v8, v10, v7
	v_fma_f32 v6, -v6, v8, v9
	s_wait_alu 0xfffd
	s_delay_alu instid0(VALU_DEP_1) | instskip(NEXT) | instid1(VALU_DEP_1)
	v_div_fmas_f32 v6, v6, v7, v8
	v_div_fixup_f32 v5, v6, v5, 1.0
	v_mov_b32_e32 v6, v0
.LBB140_35:                             ; =>This Inner Loop Header: Depth=1
	ds_load_b32 v7, v4
	s_wait_dscnt 0x0
	v_dual_mul_f32 v7, v5, v7 :: v_dual_add_nc_u32 v6, 0x80, v6
	s_delay_alu instid0(VALU_DEP_1)
	v_cmp_le_i32_e32 vcc_lo, s27, v6
	ds_store_b32 v4, v7
	v_add_nc_u32_e32 v4, 0x200, v4
	s_wait_alu 0xfffe
	s_or_b32 s1, vcc_lo, s1
	s_wait_alu 0xfffe
	s_and_not1_b32 exec_lo, exec_lo, s1
	s_cbranch_execnz .LBB140_35
.LBB140_36:
	s_wait_alu 0xfffe
	s_or_b32 exec_lo, exec_lo, s0
	s_mul_i32 s0, s8, s20
	s_wait_loadcnt_dscnt 0x0
	s_wait_alu 0xfffe
	s_mul_i32 s20, s0, s21
	s_mov_b32 s0, exec_lo
	s_barrier_signal -1
	s_barrier_wait -1
	global_inv scope:SCOPE_SE
	v_cmpx_eq_u32_e32 0, v0
	s_cbranch_execz .LBB140_38
; %bb.37:
	s_ashr_i32 s21, s20, 31
	s_wait_alu 0xfffe
	s_mul_i32 s36, s8, ttmp9
	s_lshl_b32 s1, s30, 2
	s_lshl_b64 s[38:39], s[20:21], 2
	s_wait_alu 0xfffe
	s_ashr_i32 s37, s36, 31
	v_mov_b32_e32 v4, s1
	s_wait_kmcnt 0x0
	s_add_nc_u64 s[6:7], s[6:7], s[38:39]
	s_wait_alu 0xfffe
	s_lshl_b64 s[36:37], s[36:37], 2
	s_add_nc_u64 s[4:5], s[4:5], s[38:39]
	s_wait_alu 0xfffe
	s_add_nc_u64 s[6:7], s[6:7], s[36:37]
	s_add_nc_u64 s[4:5], s[4:5], s[36:37]
	s_clause 0x1
	global_store_b32 v4, v1, s[6:7]
	global_store_b32 v4, v2, s[4:5]
.LBB140_38:
	s_wait_alu 0xfffe
	s_or_b32 exec_lo, exec_lo, s0
	v_dual_mov_b32 v44, 0 :: v_dual_mov_b32 v43, 0
	v_dual_mov_b32 v42, 0 :: v_dual_mov_b32 v41, 0
	v_dual_mov_b32 v40, 0 :: v_dual_mov_b32 v39, 0
	s_and_saveexec_b32 s1, s2
	s_cbranch_execz .LBB140_56
; %bb.39:
	s_abs_i32 s2, s10
	s_ashr_i32 s27, s26, 31
	s_wait_alu 0xfffe
	s_cvt_f32_u32 s0, s2
	s_lshl_b64 s[24:25], s[24:25], 2
	v_dual_mov_b32 v39, 0 :: v_dual_lshlrev_b32 v2, 4, v38
	s_wait_alu 0xfffe
	v_rcp_iflag_f32_e32 v1, s0
	s_lshl_b64 s[26:27], s[26:27], 1
	s_add_nc_u64 s[22:23], s[22:23], s[24:25]
	s_sub_co_i32 s3, s35, s9
	s_wait_kmcnt 0x0
	s_wait_alu 0xfffe
	s_add_nc_u64 s[24:25], s[28:29], s[26:27]
	v_add_co_u32 v33, s9, s22, v3
	s_sub_co_i32 s7, 0, s2
	v_add_co_ci_u32_e64 v34, null, s23, 0, s9
	v_readfirstlane_b32 s0, v1
	v_add_co_u32 v46, s9, s24, v2
	v_lshl_add_u32 v45, v35, 5, 0x1a0
	v_dual_mov_b32 v40, 0 :: v_dual_mov_b32 v41, 0
	s_delay_alu instid0(VALU_DEP_4)
	s_mul_f32 s0, s0, 0x4f7ffffe
	v_add_co_ci_u32_e64 v47, null, s25, 0, s9
	v_dual_mov_b32 v42, 0 :: v_dual_mov_b32 v43, 0
	s_wait_alu 0xfffe
	s_cvt_u32_f32 s0, s0
	v_mov_b32_e32 v44, 0
	s_mov_b32 s4, s13
	s_add_co_i32 s5, s34, -1
	s_wait_alu 0xfffe
	s_mul_i32 s7, s7, s0
	s_mov_b32 s6, 0
	s_wait_alu 0xfffe
	s_mul_hi_u32 s9, s0, s7
	s_mov_b32 s7, s31
	s_wait_alu 0xfffe
	s_add_co_i32 s9, s0, s9
	s_branch .LBB140_42
.LBB140_40:                             ;   in Loop: Header=BB140_42 Depth=1
	s_wait_alu 0xfffe
	s_or_b32 exec_lo, exec_lo, s0
	s_wait_dscnt 0x1
	v_bfe_u32 v48, v25, 16, 1
	v_or_b32_e32 v49, 0x400000, v25
	v_bfe_u32 v50, v26, 16, 1
	v_cmp_u_f32_e32 vcc_lo, v25, v25
	v_bfe_u32 v51, v27, 16, 1
	v_add3_u32 v48, v48, v25, 0x7fff
	v_or_b32_e32 v52, 0x400000, v26
	v_add3_u32 v50, v50, v26, 0x7fff
	v_or_b32_e32 v53, 0x400000, v27
	v_add3_u32 v51, v51, v27, 0x7fff
	s_wait_alu 0xfffd
	v_cndmask_b32_e32 v25, v48, v49, vcc_lo
	v_cmp_u_f32_e32 vcc_lo, v26, v26
	v_bfe_u32 v48, v28, 16, 1
	s_wait_dscnt 0x0
	v_bfe_u32 v49, v17, 16, 1
	s_wait_loadcnt 0x1
	v_and_b32_e32 v55, 0xffff0000, v32
	s_wait_alu 0xfffd
	v_cndmask_b32_e32 v26, v50, v52, vcc_lo
	v_cmp_u_f32_e32 vcc_lo, v27, v27
	v_add3_u32 v48, v48, v28, 0x7fff
	v_or_b32_e32 v50, 0x400000, v28
	v_add3_u32 v49, v49, v17, 0x7fff
	v_bfe_u32 v52, v18, 16, 1
	s_wait_alu 0xfffd
	v_cndmask_b32_e32 v27, v51, v53, vcc_lo
	v_cmp_u_f32_e32 vcc_lo, v28, v28
	v_or_b32_e32 v51, 0x400000, v17
	s_wait_alu 0xfffd
	v_cndmask_b32_e32 v28, v48, v50, vcc_lo
	v_cmp_u_f32_e32 vcc_lo, v17, v17
	v_or_b32_e32 v50, 0x400000, v18
	s_wait_alu 0xfffd
	v_dual_cndmask_b32 v48, v49, v51 :: v_dual_and_b32 v17, 0xffff0000, v26
	v_add3_u32 v49, v52, v18, 0x7fff
	v_bfe_u32 v51, v19, 16, 1
	v_cmp_u_f32_e32 vcc_lo, v18, v18
	v_and_b32_e32 v26, 0xffff0000, v29
	v_bfe_u32 v52, v20, 16, 1
	s_wait_alu 0xfffd
	v_cndmask_b32_e32 v49, v49, v50, vcc_lo
	v_add3_u32 v50, v51, v19, 0x7fff
	v_or_b32_e32 v51, 0x400000, v19
	v_mul_f32_e32 v26, v17, v26
	v_cmp_u_f32_e32 vcc_lo, v19, v19
	v_and_b32_e32 v18, 0xffff0000, v25
	v_lshlrev_b32_e32 v25, 16, v29
	v_add3_u32 v19, v52, v20, 0x7fff
	s_wait_alu 0xfffd
	v_cndmask_b32_e32 v29, v50, v51, vcc_lo
	v_or_b32_e32 v50, 0x400000, v20
	v_bfe_u32 v51, v26, 16, 1
	v_dual_mul_f32 v52, v18, v25 :: v_dual_and_b32 v25, 0xffff0000, v28
	v_cmp_u_f32_e32 vcc_lo, v20, v20
	v_and_b32_e32 v28, 0xffff0000, v30
	v_and_b32_e32 v20, 0xffff0000, v27
	s_delay_alu instid0(VALU_DEP_4)
	v_bfe_u32 v53, v52, 16, 1
	s_wait_alu 0xfffd
	v_cndmask_b32_e32 v19, v19, v50, vcc_lo
	v_add3_u32 v50, v51, v26, 0x7fff
	v_or_b32_e32 v51, 0x400000, v26
	v_cmp_u_f32_e32 vcc_lo, v26, v26
	v_lshlrev_b32_e32 v27, 16, v30
	v_and_b32_e32 v26, 0xffff0000, v49
	s_wait_alu 0xfffd
	v_cndmask_b32_e32 v30, v50, v51, vcc_lo
	v_add3_u32 v50, v53, v52, 0x7fff
	v_or_b32_e32 v51, 0x400000, v52
	v_cmp_u_f32_e32 vcc_lo, v52, v52
	s_wait_alu 0xfffd
	s_delay_alu instid0(VALU_DEP_2) | instskip(NEXT) | instid1(VALU_DEP_1)
	v_dual_cndmask_b32 v49, v50, v51 :: v_dual_and_b32 v30, 0xffff0000, v30
	v_dual_mul_f32 v28, v25, v28 :: v_dual_and_b32 v49, 0xffff0000, v49
	s_delay_alu instid0(VALU_DEP_1) | instskip(SKIP_2) | instid1(VALU_DEP_4)
	v_bfe_u32 v53, v28, 16, 1
	v_or_b32_e32 v51, 0x400000, v28
	v_cmp_u_f32_e32 vcc_lo, v28, v28
	v_add_f32_e32 v30, v49, v30
	s_delay_alu instid0(VALU_DEP_4) | instskip(SKIP_2) | instid1(VALU_DEP_1)
	v_add3_u32 v50, v53, v28, 0x7fff
	v_and_b32_e32 v28, 0xffff0000, v29
	v_lshlrev_b32_e32 v29, 16, v32
	v_mul_f32_e32 v29, v28, v29
	v_mul_f32_e32 v54, v20, v27
	v_and_b32_e32 v27, 0xffff0000, v31
	s_delay_alu instid0(VALU_DEP_3) | instskip(NEXT) | instid1(VALU_DEP_2)
	v_bfe_u32 v57, v29, 16, 1
	v_mul_f32_e32 v53, v26, v27
	v_and_b32_e32 v27, 0xffff0000, v48
	v_bfe_u32 v52, v54, 16, 1
	s_wait_alu 0xfffd
	v_cndmask_b32_e32 v48, v50, v51, vcc_lo
	v_or_b32_e32 v51, 0x400000, v54
	v_cmp_u_f32_e32 vcc_lo, v54, v54
	v_add3_u32 v50, v52, v54, 0x7fff
	s_delay_alu instid0(VALU_DEP_4) | instskip(SKIP_1) | instid1(VALU_DEP_2)
	v_and_b32_e32 v48, 0xffff0000, v48
	s_wait_alu 0xfffd
	v_cndmask_b32_e32 v32, v50, v51, vcc_lo
	s_delay_alu instid0(VALU_DEP_1) | instskip(SKIP_4) | instid1(VALU_DEP_4)
	v_and_b32_e32 v32, 0xffff0000, v32
	v_lshlrev_b32_e32 v31, 16, v31
	v_bfe_u32 v52, v53, 16, 1
	v_or_b32_e32 v54, 0x400000, v53
	v_cmp_u_f32_e32 vcc_lo, v53, v53
	v_dual_add_f32 v32, v32, v48 :: v_dual_mul_f32 v31, v27, v31
	v_and_b32_e32 v19, 0xffff0000, v19
	v_add3_u32 v51, v52, v53, 0x7fff
	v_add3_u32 v53, v57, v29, 0x7fff
	s_delay_alu instid0(VALU_DEP_4)
	v_add_f32_e32 v30, v32, v30
	v_bfe_u32 v50, v31, 16, 1
	s_wait_alu 0xfffd
	v_cndmask_b32_e32 v51, v51, v54, vcc_lo
	v_cmp_u_f32_e32 vcc_lo, v31, v31
	v_or_b32_e32 v54, 0x400000, v29
	v_mul_f32_e32 v52, v19, v55
	v_add3_u32 v50, v50, v31, 0x7fff
	v_or_b32_e32 v55, 0x400000, v31
	s_wait_alu 0xfffd
	s_delay_alu instid0(VALU_DEP_1)
	v_cndmask_b32_e32 v31, v50, v55, vcc_lo
	v_cmp_u_f32_e32 vcc_lo, v29, v29
	s_wait_alu 0xfffd
	v_cndmask_b32_e32 v29, v53, v54, vcc_lo
	v_bfe_u32 v56, v52, 16, 1
	v_or_b32_e32 v55, 0x400000, v52
	v_cmp_u_f32_e32 vcc_lo, v52, v52
	s_delay_alu instid0(VALU_DEP_4) | instskip(NEXT) | instid1(VALU_DEP_4)
	v_and_b32_e32 v29, 0xffff0000, v29
	v_add3_u32 v50, v56, v52, 0x7fff
	s_wait_alu 0xfffd
	s_delay_alu instid0(VALU_DEP_1) | instskip(SKIP_1) | instid1(VALU_DEP_2)
	v_dual_cndmask_b32 v49, v50, v55 :: v_dual_and_b32 v50, 0xffff0000, v24
	v_lshlrev_b32_e32 v24, 16, v24
	v_and_b32_e32 v32, 0xffff0000, v49
	v_and_b32_e32 v31, 0xffff0000, v31
	v_and_b32_e32 v48, 0xffff0000, v51
	s_delay_alu instid0(VALU_DEP_4) | instskip(NEXT) | instid1(VALU_DEP_4)
	v_mul_f32_e32 v24, v28, v24
	v_add_f32_e32 v29, v29, v32
	s_delay_alu instid0(VALU_DEP_3) | instskip(NEXT) | instid1(VALU_DEP_1)
	v_dual_add_f32 v31, v31, v48 :: v_dual_and_b32 v48, 0xffff0000, v21
	v_dual_add_f32 v30, v31, v30 :: v_dual_mul_f32 v31, v17, v48
	v_and_b32_e32 v48, 0xffff0000, v22
	v_lshlrev_b32_e32 v22, 16, v22
	v_lshlrev_b32_e32 v21, 16, v21
	s_delay_alu instid0(VALU_DEP_4) | instskip(SKIP_2) | instid1(VALU_DEP_4)
	v_add_f32_e32 v29, v29, v30
	v_bfe_u32 v30, v31, 16, 1
	v_mul_f32_e32 v48, v25, v48
	v_dual_mul_f32 v22, v20, v22 :: v_dual_mul_f32 v21, v18, v21
	s_delay_alu instid0(VALU_DEP_4) | instskip(NEXT) | instid1(VALU_DEP_4)
	v_add_f32_e32 v40, v40, v29
	v_add3_u32 v29, v30, v31, 0x7fff
	v_or_b32_e32 v30, 0x400000, v31
	v_cmp_u_f32_e32 vcc_lo, v31, v31
	v_bfe_u32 v32, v21, 16, 1
	v_or_b32_e32 v49, 0x400000, v21
	s_wait_alu 0xfffd
	v_cndmask_b32_e32 v29, v29, v30, vcc_lo
	s_delay_alu instid0(VALU_DEP_3) | instskip(SKIP_2) | instid1(VALU_DEP_2)
	v_add3_u32 v32, v32, v21, 0x7fff
	v_bfe_u32 v30, v48, 16, 1
	v_cmp_u_f32_e32 vcc_lo, v21, v21
	v_add3_u32 v30, v30, v48, 0x7fff
	s_wait_alu 0xfffd
	v_cndmask_b32_e32 v21, v32, v49, vcc_lo
	v_or_b32_e32 v32, 0x400000, v48
	v_bfe_u32 v49, v22, 16, 1
	v_cmp_u_f32_e32 vcc_lo, v48, v48
	v_or_b32_e32 v48, 0x400000, v22
	s_wait_alu 0xfffd
	v_cndmask_b32_e32 v30, v30, v32, vcc_lo
	v_add3_u32 v32, v49, v22, 0x7fff
	v_cmp_u_f32_e32 vcc_lo, v22, v22
	v_and_b32_e32 v31, 0xffff0000, v23
	v_lshlrev_b32_e32 v23, 16, v23
	v_and_b32_e32 v30, 0xffff0000, v30
	s_wait_alu 0xfffd
	s_delay_alu instid0(VALU_DEP_3) | instskip(SKIP_1) | instid1(VALU_DEP_2)
	v_dual_cndmask_b32 v22, v32, v48 :: v_dual_mul_f32 v31, v26, v31
	v_mul_f32_e32 v48, v19, v50
	v_dual_mul_f32 v23, v27, v23 :: v_dual_and_b32 v22, 0xffff0000, v22
	s_delay_alu instid0(VALU_DEP_3) | instskip(SKIP_1) | instid1(VALU_DEP_3)
	v_bfe_u32 v49, v31, 16, 1
	v_cmp_u_f32_e32 vcc_lo, v31, v31
	v_bfe_u32 v51, v23, 16, 1
	v_bfe_u32 v52, v48, 16, 1
	v_dual_add_f32 v22, v22, v30 :: v_dual_and_b32 v21, 0xffff0000, v21
	v_add3_u32 v32, v49, v31, 0x7fff
	v_or_b32_e32 v49, 0x400000, v31
	v_add3_u32 v50, v51, v23, 0x7fff
	v_or_b32_e32 v51, 0x400000, v23
	v_and_b32_e32 v30, 0xffff0000, v13
	v_and_b32_e32 v29, 0xffff0000, v29
	s_wait_alu 0xfffd
	v_cndmask_b32_e32 v31, v32, v49, vcc_lo
	v_cmp_u_f32_e32 vcc_lo, v23, v23
	v_add3_u32 v32, v52, v48, 0x7fff
	v_or_b32_e32 v49, 0x400000, v48
	s_wait_alu 0xfffd
	v_cndmask_b32_e32 v23, v50, v51, vcc_lo
	v_bfe_u32 v50, v24, 16, 1
	v_cmp_u_f32_e32 vcc_lo, v48, v48
	s_delay_alu instid0(VALU_DEP_3) | instskip(NEXT) | instid1(VALU_DEP_3)
	v_and_b32_e32 v23, 0xffff0000, v23
	v_add3_u32 v48, v50, v24, 0x7fff
	s_wait_alu 0xfffd
	v_cndmask_b32_e32 v32, v32, v49, vcc_lo
	v_or_b32_e32 v49, 0x400000, v24
	v_cmp_u_f32_e32 vcc_lo, v24, v24
	s_wait_alu 0xfffd
	s_delay_alu instid0(VALU_DEP_2) | instskip(SKIP_2) | instid1(VALU_DEP_2)
	v_cndmask_b32_e32 v24, v48, v49, vcc_lo
	v_dual_add_f32 v21, v21, v29 :: v_dual_and_b32 v48, 0xffff0000, v16
	v_lshlrev_b32_e32 v16, 16, v16
	v_dual_add_f32 v21, v22, v21 :: v_dual_and_b32 v24, 0xffff0000, v24
	v_mul_f32_e32 v22, v17, v30
	v_and_b32_e32 v30, 0xffff0000, v32
	v_and_b32_e32 v32, 0xffff0000, v14
	v_lshlrev_b32_e32 v14, 16, v14
	v_lshlrev_b32_e32 v13, 16, v13
	v_cmp_u_f32_e32 vcc_lo, v22, v22
	v_and_b32_e32 v29, 0xffff0000, v31
	v_bfe_u32 v31, v22, 16, 1
	v_mul_f32_e32 v14, v20, v14
	s_delay_alu instid0(VALU_DEP_3) | instskip(SKIP_1) | instid1(VALU_DEP_2)
	v_dual_mul_f32 v16, v28, v16 :: v_dual_add_f32 v23, v23, v29
	v_mul_f32_e32 v29, v18, v13
	v_add_f32_e32 v13, v23, v21
	s_delay_alu instid0(VALU_DEP_2)
	v_bfe_u32 v23, v29, 16, 1
	v_add_f32_e32 v21, v24, v30
	v_add3_u32 v24, v31, v22, 0x7fff
	v_or_b32_e32 v30, 0x400000, v22
	v_mul_f32_e32 v31, v25, v32
	v_add3_u32 v23, v23, v29, 0x7fff
	v_or_b32_e32 v32, 0x400000, v29
	s_wait_alu 0xfffd
	v_cndmask_b32_e32 v22, v24, v30, vcc_lo
	v_bfe_u32 v24, v31, 16, 1
	v_cmp_u_f32_e32 vcc_lo, v29, v29
	v_and_b32_e32 v29, 0xffff0000, v15
	v_or_b32_e32 v30, 0x400000, v31
	v_and_b32_e32 v22, 0xffff0000, v22
	v_add3_u32 v24, v24, v31, 0x7fff
	s_wait_alu 0xfffd
	v_cndmask_b32_e32 v23, v23, v32, vcc_lo
	v_bfe_u32 v32, v14, 16, 1
	v_cmp_u_f32_e32 vcc_lo, v31, v31
	v_mul_f32_e32 v29, v26, v29
	v_or_b32_e32 v31, 0x400000, v14
	s_wait_alu 0xfffd
	v_cndmask_b32_e32 v24, v24, v30, vcc_lo
	v_add3_u32 v30, v32, v14, 0x7fff
	v_cmp_u_f32_e32 vcc_lo, v14, v14
	v_bfe_u32 v32, v29, 16, 1
	s_delay_alu instid0(VALU_DEP_4) | instskip(SKIP_2) | instid1(VALU_DEP_3)
	v_and_b32_e32 v24, 0xffff0000, v24
	s_wait_alu 0xfffd
	v_dual_cndmask_b32 v14, v30, v31 :: v_dual_mul_f32 v31, v19, v48
	v_add3_u32 v30, v32, v29, 0x7fff
	v_or_b32_e32 v32, 0x400000, v29
	v_cmp_u_f32_e32 vcc_lo, v29, v29
	s_delay_alu instid0(VALU_DEP_4) | instskip(SKIP_1) | instid1(VALU_DEP_2)
	v_and_b32_e32 v14, 0xffff0000, v14
	v_bfe_u32 v50, v31, 16, 1
	v_dual_add_f32 v14, v14, v24 :: v_dual_and_b32 v23, 0xffff0000, v23
	s_wait_alu 0xfffd
	s_delay_alu instid0(VALU_DEP_1) | instskip(NEXT) | instid1(VALU_DEP_3)
	v_dual_cndmask_b32 v29, v30, v32 :: v_dual_add_f32 v22, v23, v22
	v_add3_u32 v30, v50, v31, 0x7fff
	v_or_b32_e32 v32, 0x400000, v31
	v_lshlrev_b32_e32 v15, 16, v15
	v_and_b32_e32 v24, 0xffff0000, v5
	v_dual_add_f32 v14, v14, v22 :: v_dual_and_b32 v23, 0xffff0000, v29
	v_lshlrev_b32_e32 v5, 16, v5
	s_delay_alu instid0(VALU_DEP_3) | instskip(NEXT) | instid1(VALU_DEP_2)
	v_dual_mul_f32 v15, v27, v15 :: v_dual_mul_f32 v22, v17, v24
	v_dual_mul_f32 v5, v18, v5 :: v_dual_and_b32 v24, 0xffff0000, v6
	s_delay_alu instid0(VALU_DEP_2) | instskip(SKIP_1) | instid1(VALU_DEP_4)
	v_bfe_u32 v49, v15, 16, 1
	v_cmp_u_f32_e32 vcc_lo, v15, v15
	v_bfe_u32 v29, v22, 16, 1
	s_delay_alu instid0(VALU_DEP_3) | instskip(SKIP_2) | instid1(VALU_DEP_1)
	v_add3_u32 v48, v49, v15, 0x7fff
	v_or_b32_e32 v49, 0x400000, v15
	s_wait_alu 0xfffd
	v_cndmask_b32_e32 v15, v48, v49, vcc_lo
	v_bfe_u32 v48, v16, 16, 1
	v_cmp_u_f32_e32 vcc_lo, v31, v31
	s_delay_alu instid0(VALU_DEP_2)
	v_add3_u32 v31, v48, v16, 0x7fff
	s_wait_alu 0xfffd
	v_cndmask_b32_e32 v30, v30, v32, vcc_lo
	v_or_b32_e32 v32, 0x400000, v16
	v_cmp_u_f32_e32 vcc_lo, v16, v16
	s_wait_alu 0xfffd
	s_delay_alu instid0(VALU_DEP_2) | instskip(NEXT) | instid1(VALU_DEP_1)
	v_dual_cndmask_b32 v16, v31, v32 :: v_dual_and_b32 v15, 0xffff0000, v15
	v_add_f32_e32 v15, v15, v23
	v_cmp_u_f32_e32 vcc_lo, v22, v22
	v_and_b32_e32 v23, 0xffff0000, v30
	v_or_b32_e32 v30, 0x400000, v5
	v_and_b32_e32 v16, 0xffff0000, v16
	v_add_f32_e32 v14, v15, v14
	v_bfe_u32 v15, v5, 16, 1
	s_delay_alu instid0(VALU_DEP_3) | instskip(SKIP_2) | instid1(VALU_DEP_4)
	v_dual_add_f32 v16, v16, v23 :: v_dual_mul_f32 v23, v25, v24
	v_add3_u32 v24, v29, v22, 0x7fff
	v_or_b32_e32 v29, 0x400000, v22
	v_add3_u32 v15, v15, v5, 0x7fff
	s_delay_alu instid0(VALU_DEP_4) | instskip(SKIP_1) | instid1(VALU_DEP_3)
	v_bfe_u32 v31, v23, 16, 1
	s_wait_alu 0xfffd
	v_dual_cndmask_b32 v22, v24, v29 :: v_dual_and_b32 v29, 0xffff0000, v7
	v_lshlrev_b32_e32 v7, 16, v7
	v_lshlrev_b32_e32 v6, 16, v6
	v_cmp_u_f32_e32 vcc_lo, v5, v5
	v_or_b32_e32 v24, 0x400000, v23
	s_delay_alu instid0(VALU_DEP_4) | instskip(NEXT) | instid1(VALU_DEP_4)
	v_dual_mul_f32 v7, v27, v7 :: v_dual_and_b32 v22, 0xffff0000, v22
	v_mul_f32_e32 v6, v20, v6
	s_wait_alu 0xfffd
	v_cndmask_b32_e32 v5, v15, v30, vcc_lo
	v_add3_u32 v15, v31, v23, 0x7fff
	v_cmp_u_f32_e32 vcc_lo, v23, v23
	v_mul_f32_e32 v23, v26, v29
	v_bfe_u32 v30, v6, 16, 1
	v_or_b32_e32 v29, 0x400000, v6
	v_and_b32_e32 v5, 0xffff0000, v5
	s_wait_alu 0xfffd
	v_cndmask_b32_e32 v15, v15, v24, vcc_lo
	v_bfe_u32 v31, v23, 16, 1
	v_add3_u32 v24, v30, v6, 0x7fff
	v_dual_add_f32 v5, v5, v22 :: v_dual_and_b32 v30, 0xffff0000, v8
	v_cmp_u_f32_e32 vcc_lo, v6, v6
	v_bfe_u32 v32, v7, 16, 1
	v_lshlrev_b32_e32 v8, 16, v8
	s_wait_alu 0xfffd
	v_dual_cndmask_b32 v6, v24, v29 :: v_dual_and_b32 v15, 0xffff0000, v15
	v_mul_f32_e32 v24, v19, v30
	v_add3_u32 v29, v31, v23, 0x7fff
	v_or_b32_e32 v30, 0x400000, v23
	v_cmp_u_f32_e32 vcc_lo, v23, v23
	v_add3_u32 v31, v32, v7, 0x7fff
	v_or_b32_e32 v32, 0x400000, v7
	v_bfe_u32 v48, v24, 16, 1
	s_wait_alu 0xfffd
	v_dual_mul_f32 v8, v28, v8 :: v_dual_cndmask_b32 v23, v29, v30
	v_cmp_u_f32_e32 vcc_lo, v7, v7
	v_or_b32_e32 v30, 0x400000, v24
	v_add3_u32 v29, v48, v24, 0x7fff
	s_wait_alu 0xfffd
	v_dual_cndmask_b32 v7, v31, v32 :: v_dual_and_b32 v22, 0xffff0000, v23
	v_cmp_u_f32_e32 vcc_lo, v24, v24
	s_wait_alu 0xfffd
	v_cndmask_b32_e32 v24, v29, v30, vcc_lo
	v_bfe_u32 v29, v8, 16, 1
	v_cmp_u_f32_e32 vcc_lo, v8, v8
	s_delay_alu instid0(VALU_DEP_2) | instskip(SKIP_2) | instid1(VALU_DEP_1)
	v_add3_u32 v23, v29, v8, 0x7fff
	v_or_b32_e32 v29, 0x400000, v8
	s_wait_alu 0xfffd
	v_dual_cndmask_b32 v8, v23, v29 :: v_dual_and_b32 v7, 0xffff0000, v7
	s_delay_alu instid0(VALU_DEP_1) | instskip(SKIP_1) | instid1(VALU_DEP_1)
	v_dual_add_f32 v7, v7, v22 :: v_dual_and_b32 v8, 0xffff0000, v8
	v_and_b32_e32 v6, 0xffff0000, v6
	v_dual_add_f32 v6, v6, v15 :: v_dual_and_b32 v15, 0xffff0000, v1
	v_lshlrev_b32_e32 v1, 16, v1
	s_delay_alu instid0(VALU_DEP_2) | instskip(NEXT) | instid1(VALU_DEP_2)
	v_dual_add_f32 v5, v6, v5 :: v_dual_mul_f32 v6, v17, v15
	v_mul_f32_e32 v1, v18, v1
	s_delay_alu instid0(VALU_DEP_2) | instskip(NEXT) | instid1(VALU_DEP_3)
	v_add_f32_e32 v5, v7, v5
	v_bfe_u32 v15, v6, 16, 1
	v_or_b32_e32 v22, 0x400000, v6
	v_cmp_u_f32_e32 vcc_lo, v6, v6
	v_or_b32_e32 v29, 0x400000, v1
	s_delay_alu instid0(VALU_DEP_4) | instskip(SKIP_3) | instid1(VALU_DEP_3)
	v_add3_u32 v15, v15, v6, 0x7fff
	v_and_b32_e32 v23, 0xffff0000, v24
	v_bfe_u32 v24, v1, 16, 1
	s_wait_alu 0xfffd
	v_cndmask_b32_e32 v6, v15, v22, vcc_lo
	v_cmp_u_f32_e32 vcc_lo, v1, v1
	s_delay_alu instid0(VALU_DEP_3) | instskip(SKIP_3) | instid1(VALU_DEP_3)
	v_add3_u32 v22, v24, v1, 0x7fff
	v_and_b32_e32 v24, 0xffff0000, v3
	v_lshlrev_b32_e32 v3, 16, v3
	s_wait_alu 0xfffd
	v_dual_cndmask_b32 v1, v22, v29 :: v_dual_and_b32 v6, 0xffff0000, v6
	s_delay_alu instid0(VALU_DEP_3) | instskip(NEXT) | instid1(VALU_DEP_1)
	v_dual_mul_f32 v24, v26, v24 :: v_dual_and_b32 v7, 0xffff0000, v2
	v_dual_mul_f32 v7, v25, v7 :: v_dual_lshlrev_b32 v2, 16, v2
	s_delay_alu instid0(VALU_DEP_2) | instskip(NEXT) | instid1(VALU_DEP_2)
	v_or_b32_e32 v31, 0x400000, v24
	v_mul_f32_e32 v2, v20, v2
	s_delay_alu instid0(VALU_DEP_3) | instskip(SKIP_1) | instid1(VALU_DEP_3)
	v_bfe_u32 v15, v7, 16, 1
	v_or_b32_e32 v30, 0x400000, v7
	v_bfe_u32 v22, v2, 16, 1
	v_cmp_u_f32_e32 vcc_lo, v7, v7
	s_delay_alu instid0(VALU_DEP_4) | instskip(NEXT) | instid1(VALU_DEP_3)
	v_add3_u32 v15, v15, v7, 0x7fff
	v_add3_u32 v22, v22, v2, 0x7fff
	s_wait_alu 0xfffd
	s_delay_alu instid0(VALU_DEP_2)
	v_cndmask_b32_e32 v7, v15, v30, vcc_lo
	v_bfe_u32 v15, v24, 16, 1
	v_or_b32_e32 v30, 0x400000, v2
	v_cmp_u_f32_e32 vcc_lo, v2, v2
	v_and_b32_e32 v29, 0xffff0000, v4
	v_dual_mul_f32 v3, v27, v3 :: v_dual_lshlrev_b32 v4, 16, v4
	v_add3_u32 v15, v15, v24, 0x7fff
	s_wait_alu 0xfffd
	s_delay_alu instid0(VALU_DEP_3)
	v_dual_cndmask_b32 v2, v22, v30 :: v_dual_mul_f32 v29, v19, v29
	v_cmp_u_f32_e32 vcc_lo, v24, v24
	v_mul_f32_e32 v4, v28, v4
	v_bfe_u32 v22, v3, 16, 1
	v_or_b32_e32 v24, 0x400000, v3
	v_bfe_u32 v30, v29, 16, 1
	s_wait_alu 0xfffd
	v_cndmask_b32_e32 v15, v15, v31, vcc_lo
	v_cmp_u_f32_e32 vcc_lo, v3, v3
	v_add3_u32 v22, v22, v3, 0x7fff
	v_or_b32_e32 v31, 0x400000, v29
	v_add3_u32 v30, v30, v29, 0x7fff
	s_wait_alu 0xfffd
	s_delay_alu instid0(VALU_DEP_3)
	v_dual_cndmask_b32 v3, v22, v24 :: v_dual_and_b32 v2, 0xffff0000, v2
	v_cmp_u_f32_e32 vcc_lo, v29, v29
	v_bfe_u32 v24, v4, 16, 1
	v_or_b32_e32 v29, 0x400000, v4
	s_wait_alu 0xfffd
	v_cndmask_b32_e32 v22, v30, v31, vcc_lo
	s_delay_alu instid0(VALU_DEP_3) | instskip(SKIP_2) | instid1(VALU_DEP_2)
	v_add3_u32 v24, v24, v4, 0x7fff
	v_cmp_u_f32_e32 vcc_lo, v4, v4
	s_wait_alu 0xfffd
	v_dual_cndmask_b32 v4, v24, v29 :: v_dual_and_b32 v7, 0xffff0000, v7
	s_delay_alu instid0(VALU_DEP_1) | instskip(SKIP_2) | instid1(VALU_DEP_2)
	v_dual_add_f32 v2, v2, v7 :: v_dual_and_b32 v1, 0xffff0000, v1
	s_wait_loadcnt 0x0
	v_and_b32_e32 v30, 0xffff0000, v9
	v_dual_add_f32 v1, v1, v6 :: v_dual_and_b32 v4, 0xffff0000, v4
	s_delay_alu instid0(VALU_DEP_2) | instskip(NEXT) | instid1(VALU_DEP_2)
	v_dual_mul_f32 v7, v17, v30 :: v_dual_and_b32 v6, 0xffff0000, v15
	v_add_f32_e32 v1, v2, v1
	s_delay_alu instid0(VALU_DEP_2) | instskip(SKIP_2) | instid1(VALU_DEP_3)
	v_bfe_u32 v2, v7, 16, 1
	v_or_b32_e32 v15, 0x400000, v7
	v_cmp_u_f32_e32 vcc_lo, v7, v7
	v_add3_u32 v2, v2, v7, 0x7fff
	s_wait_alu 0xfffd
	s_delay_alu instid0(VALU_DEP_1) | instskip(SKIP_1) | instid1(VALU_DEP_1)
	v_dual_cndmask_b32 v2, v2, v15 :: v_dual_lshlrev_b32 v9, 16, v9
	v_and_b32_e32 v3, 0xffff0000, v3
	v_dual_add_f32 v3, v3, v6 :: v_dual_mul_f32 v6, v18, v9
	v_and_b32_e32 v18, 0xffff0000, v11
	v_lshlrev_b32_e32 v11, 16, v11
	s_delay_alu instid0(VALU_DEP_3) | instskip(NEXT) | instid1(VALU_DEP_4)
	v_dual_add_f32 v1, v3, v1 :: v_dual_and_b32 v2, 0xffff0000, v2
	v_bfe_u32 v17, v6, 16, 1
	v_or_b32_e32 v15, 0x400000, v6
	v_cmp_u_f32_e32 vcc_lo, v6, v6
	v_mul_f32_e32 v11, v27, v11
	s_delay_alu instid0(VALU_DEP_4) | instskip(SKIP_3) | instid1(VALU_DEP_2)
	v_add3_u32 v7, v17, v6, 0x7fff
	v_and_b32_e32 v9, 0xffff0000, v10
	v_lshlrev_b32_e32 v10, 16, v10
	s_wait_alu 0xfffd
	v_dual_cndmask_b32 v6, v7, v15 :: v_dual_mul_f32 v9, v25, v9
	s_delay_alu instid0(VALU_DEP_2) | instskip(SKIP_1) | instid1(VALU_DEP_3)
	v_mul_f32_e32 v10, v20, v10
	v_and_b32_e32 v20, 0xffff0000, v12
	v_and_b32_e32 v6, 0xffff0000, v6
	s_delay_alu instid0(VALU_DEP_4) | instskip(SKIP_2) | instid1(VALU_DEP_4)
	v_bfe_u32 v17, v9, 16, 1
	v_or_b32_e32 v15, 0x400000, v9
	v_cmp_u_f32_e32 vcc_lo, v9, v9
	v_add_f32_e32 v2, v6, v2
	s_delay_alu instid0(VALU_DEP_4) | instskip(SKIP_2) | instid1(VALU_DEP_2)
	v_add3_u32 v7, v17, v9, 0x7fff
	v_bfe_u32 v17, v10, 16, 1
	s_wait_alu 0xfffd
	v_dual_mul_f32 v18, v26, v18 :: v_dual_cndmask_b32 v7, v7, v15
	s_delay_alu instid0(VALU_DEP_2) | instskip(SKIP_1) | instid1(VALU_DEP_3)
	v_add3_u32 v9, v17, v10, 0x7fff
	v_or_b32_e32 v15, 0x400000, v10
	v_bfe_u32 v17, v18, 16, 1
	v_cmp_u_f32_e32 vcc_lo, v10, v10
	v_lshlrev_b32_e32 v12, 16, v12
	v_bfe_u32 v10, v11, 16, 1
	v_and_b32_e32 v7, 0xffff0000, v7
	s_wait_alu 0xfffd
	v_cndmask_b32_e32 v9, v9, v15, vcc_lo
	v_add3_u32 v15, v17, v18, 0x7fff
	v_mul_f32_e32 v17, v19, v20
	v_or_b32_e32 v19, 0x400000, v18
	v_cmp_u_f32_e32 vcc_lo, v18, v18
	v_mul_f32_e32 v12, v28, v12
	v_add3_u32 v10, v10, v11, 0x7fff
	v_or_b32_e32 v20, 0x400000, v11
	v_bfe_u32 v24, v17, 16, 1
	s_wait_alu 0xfffd
	v_cndmask_b32_e32 v15, v15, v19, vcc_lo
	v_bfe_u32 v25, v12, 16, 1
	v_cmp_u_f32_e32 vcc_lo, v11, v11
	v_or_b32_e32 v19, 0x400000, v12
	v_and_b32_e32 v9, 0xffff0000, v9
	v_add3_u32 v11, v24, v17, 0x7fff
	v_add3_u32 v18, v25, v12, 0x7fff
	s_wait_alu 0xfffd
	v_cndmask_b32_e32 v10, v10, v20, vcc_lo
	v_cmp_u_f32_e32 vcc_lo, v12, v12
	v_or_b32_e32 v20, 0x400000, v17
	s_delay_alu instid0(VALU_DEP_3)
	v_dual_add_f32 v6, v9, v7 :: v_dual_and_b32 v7, 0xffff0000, v10
	s_wait_alu 0xfffd
	v_cndmask_b32_e32 v12, v18, v19, vcc_lo
	v_cmp_u_f32_e32 vcc_lo, v17, v17
	s_wait_alu 0xfffd
	v_dual_cndmask_b32 v10, v11, v20 :: v_dual_and_b32 v9, 0xffff0000, v15
	v_and_b32_e32 v11, 0xffff0000, v22
	v_add_f32_e32 v2, v6, v2
	s_delay_alu instid0(VALU_DEP_3) | instskip(NEXT) | instid1(VALU_DEP_4)
	v_dual_add_f32 v6, v7, v9 :: v_dual_and_b32 v7, 0xffff0000, v12
	v_and_b32_e32 v9, 0xffff0000, v10
	s_delay_alu instid0(VALU_DEP_2) | instskip(SKIP_1) | instid1(VALU_DEP_3)
	v_dual_add_f32 v3, v4, v11 :: v_dual_add_f32 v2, v6, v2
	v_add_f32_e32 v8, v8, v23
	v_dual_add_f32 v4, v7, v9 :: v_dual_add_f32 v7, v16, v14
	s_delay_alu instid0(VALU_DEP_3) | instskip(NEXT) | instid1(VALU_DEP_2)
	v_add_f32_e32 v1, v3, v1
	v_dual_add_f32 v5, v8, v5 :: v_dual_add_f32 v42, v42, v7
	s_delay_alu instid0(VALU_DEP_3) | instskip(NEXT) | instid1(VALU_DEP_3)
	v_add_f32_e32 v2, v4, v2
	v_add_f32_e32 v44, v44, v1
	s_delay_alu instid0(VALU_DEP_3) | instskip(NEXT) | instid1(VALU_DEP_3)
	v_add_f32_e32 v43, v43, v5
	v_dual_add_f32 v6, v21, v13 :: v_dual_add_f32 v39, v39, v2
	s_delay_alu instid0(VALU_DEP_1)
	v_add_f32_e32 v41, v41, v6
.LBB140_41:                             ;   in Loop: Header=BB140_42 Depth=1
	s_wait_alu 0xfffe
	s_or_b32 exec_lo, exec_lo, s10
	v_add_nc_u32_e32 v37, 4, v37
	v_add_co_u32 v33, s0, v33, 16
	s_wait_alu 0xf1ff
	v_add_co_ci_u32_e64 v34, null, 0, v34, s0
	s_delay_alu instid0(VALU_DEP_3)
	v_cmp_le_i32_e32 vcc_lo, s19, v37
	v_add_nc_u32_e32 v36, 32, v36
	v_add_nc_u32_e32 v45, 0x80, v45
	s_or_b32 s6, vcc_lo, s6
	s_wait_alu 0xfffe
	s_and_not1_b32 exec_lo, exec_lo, s6
	s_cbranch_execz .LBB140_55
.LBB140_42:                             ; =>This Inner Loop Header: Depth=1
	v_sub_nc_u32_e32 v1, 0, v36
	s_delay_alu instid0(VALU_DEP_1) | instskip(NEXT) | instid1(VALU_DEP_1)
	v_max_i32_e32 v1, v36, v1
	v_mul_hi_u32 v2, v1, s18
	s_delay_alu instid0(VALU_DEP_1) | instskip(NEXT) | instid1(VALU_DEP_1)
	v_mul_lo_u32 v3, v2, s12
	v_sub_nc_u32_e32 v1, v1, v3
	v_add_nc_u32_e32 v3, 1, v2
	s_delay_alu instid0(VALU_DEP_2) | instskip(SKIP_2) | instid1(VALU_DEP_2)
	v_subrev_nc_u32_e32 v4, s12, v1
	v_cmp_le_u32_e32 vcc_lo, s12, v1
	s_wait_alu 0xfffd
	v_dual_cndmask_b32 v2, v2, v3 :: v_dual_cndmask_b32 v1, v1, v4
	v_ashrrev_i32_e32 v3, 31, v36
	s_delay_alu instid0(VALU_DEP_2) | instskip(NEXT) | instid1(VALU_DEP_3)
	v_add_nc_u32_e32 v4, 1, v2
	v_cmp_le_u32_e32 vcc_lo, s12, v1
	s_delay_alu instid0(VALU_DEP_3) | instskip(SKIP_1) | instid1(VALU_DEP_3)
	v_xor_b32_e32 v3, s11, v3
	s_wait_alu 0xfffd
	v_cndmask_b32_e32 v1, v2, v4, vcc_lo
	s_delay_alu instid0(VALU_DEP_1) | instskip(NEXT) | instid1(VALU_DEP_1)
	v_xor_b32_e32 v1, v1, v3
	v_sub_nc_u32_e32 v1, v1, v3
	s_delay_alu instid0(VALU_DEP_1) | instskip(SKIP_1) | instid1(VALU_DEP_2)
	v_add_nc_u32_e32 v2, s17, v1
	v_cmp_lt_i32_e64 s0, s3, v1
	v_sub_nc_u32_e32 v3, 0, v2
	s_delay_alu instid0(VALU_DEP_1) | instskip(SKIP_1) | instid1(VALU_DEP_1)
	v_max_i32_e32 v3, v2, v3
	s_wait_alu 0xfffe
	v_mul_hi_u32 v4, v3, s9
	s_delay_alu instid0(VALU_DEP_1) | instskip(NEXT) | instid1(VALU_DEP_1)
	v_mul_lo_u32 v4, v4, s2
	v_sub_nc_u32_e32 v3, v3, v4
	s_delay_alu instid0(VALU_DEP_1) | instskip(SKIP_2) | instid1(VALU_DEP_2)
	v_subrev_nc_u32_e32 v4, s2, v3
	v_cmp_le_u32_e32 vcc_lo, s2, v3
	s_wait_alu 0xfffd
	v_cndmask_b32_e32 v3, v3, v4, vcc_lo
	v_ashrrev_i32_e32 v2, 31, v2
	s_delay_alu instid0(VALU_DEP_2) | instskip(SKIP_2) | instid1(VALU_DEP_2)
	v_subrev_nc_u32_e32 v4, s2, v3
	v_cmp_le_u32_e32 vcc_lo, s2, v3
	s_wait_alu 0xfffd
	v_cndmask_b32_e32 v3, v3, v4, vcc_lo
	s_delay_alu instid0(VALU_DEP_1) | instskip(NEXT) | instid1(VALU_DEP_1)
	v_xor_b32_e32 v3, v3, v2
	v_sub_nc_u32_e32 v2, v3, v2
	s_delay_alu instid0(VALU_DEP_1)
	v_cmp_eq_u32_e32 vcc_lo, 0, v2
	s_or_b32 s0, vcc_lo, s0
	s_wait_alu 0xfffe
	s_and_saveexec_b32 s10, s0
	s_cbranch_execz .LBB140_41
; %bb.43:                               ;   in Loop: Header=BB140_42 Depth=1
	global_load_b32 v1, v[33:34], off
	v_add_nc_u32_e32 v53, 1, v36
	v_or_b32_e32 v52, 3, v36
	v_or_b32_e32 v54, 2, v36
	;; [unrolled: 1-line block ×6, first 2 shown]
	s_wait_loadcnt 0x0
	v_mad_co_i64_i32 v[1:2], null, v1, s4, 0
	s_delay_alu instid0(VALU_DEP_1) | instskip(NEXT) | instid1(VALU_DEP_1)
	v_lshlrev_b64_e32 v[1:2], 1, v[1:2]
	v_add_co_u32 v9, vcc_lo, v46, v1
	s_wait_alu 0xfffd
	s_delay_alu instid0(VALU_DEP_2)
	v_add_co_ci_u32_e64 v10, null, v47, v2, vcc_lo
	v_cmp_eq_u32_e32 vcc_lo, s5, v37
	global_load_b128 v[1:4], v[9:10], off
	ds_load_2addr_b64 v[25:28], v45 offset1:1
	ds_load_2addr_b64 v[17:20], v45 offset0:2 offset1:3
	s_and_saveexec_b32 s13, vcc_lo
	s_cbranch_execnz .LBB140_49
; %bb.44:                               ;   in Loop: Header=BB140_42 Depth=1
	s_wait_alu 0xfffe
	s_or_b32 exec_lo, exec_lo, s13
	global_load_b128 v[5:8], v[9:10], off offset:512
	s_and_saveexec_b32 s13, vcc_lo
	s_cbranch_execnz .LBB140_50
.LBB140_45:                             ;   in Loop: Header=BB140_42 Depth=1
	s_wait_alu 0xfffe
	s_or_b32 exec_lo, exec_lo, s13
	global_load_b128 v[13:16], v[9:10], off offset:1024
	s_and_saveexec_b32 s13, vcc_lo
	s_cbranch_execnz .LBB140_51
.LBB140_46:                             ;   in Loop: Header=BB140_42 Depth=1
	s_wait_alu 0xfffe
	s_or_b32 exec_lo, exec_lo, s13
	global_load_b128 v[21:24], v[9:10], off offset:1536
	s_and_saveexec_b32 s13, vcc_lo
	s_cbranch_execnz .LBB140_52
.LBB140_47:                             ;   in Loop: Header=BB140_42 Depth=1
	s_wait_alu 0xfffe
	s_or_b32 exec_lo, exec_lo, s13
	global_load_b128 v[29:32], v[9:10], off offset:2048
	s_and_saveexec_b32 s13, vcc_lo
	s_cbranch_execnz .LBB140_53
.LBB140_48:                             ;   in Loop: Header=BB140_42 Depth=1
	s_wait_alu 0xfffe
	s_or_b32 exec_lo, exec_lo, s13
	global_load_b128 v[9:12], v[9:10], off offset:2560
	s_and_saveexec_b32 s0, vcc_lo
	s_cbranch_execz .LBB140_40
	s_branch .LBB140_54
.LBB140_49:                             ;   in Loop: Header=BB140_42 Depth=1
	v_cmp_gt_i32_e64 s0, s31, v36
	s_wait_loadcnt 0x0
	v_lshrrev_b32_e32 v5, 16, v1
	v_lshrrev_b32_e32 v6, 16, v2
	;; [unrolled: 1-line block ×4, first 2 shown]
	s_wait_alu 0xf1ff
	v_cndmask_b32_e64 v1, 0, v1, s0
	v_cmp_gt_i32_e64 s0, s7, v53
	s_wait_alu 0xf1ff
	s_delay_alu instid0(VALU_DEP_1) | instskip(SKIP_1) | instid1(VALU_DEP_2)
	v_cndmask_b32_e64 v5, 0, v5, s0
	v_cmp_gt_i32_e64 s0, s31, v54
	v_perm_b32 v1, v5, v1, 0x5040100
	s_wait_alu 0xf1ff
	s_delay_alu instid0(VALU_DEP_2) | instskip(SKIP_2) | instid1(VALU_DEP_1)
	v_cndmask_b32_e64 v2, 0, v2, s0
	v_cmp_gt_i32_e64 s0, s7, v52
	s_wait_alu 0xf1ff
	v_cndmask_b32_e64 v6, 0, v6, s0
	v_cmp_gt_i32_e64 s0, s31, v51
	s_delay_alu instid0(VALU_DEP_2) | instskip(SKIP_1) | instid1(VALU_DEP_2)
	v_perm_b32 v2, v6, v2, 0x5040100
	s_wait_alu 0xf1ff
	v_cndmask_b32_e64 v3, 0, v3, s0
	v_cmp_gt_i32_e64 s0, s7, v49
	s_wait_alu 0xf1ff
	s_delay_alu instid0(VALU_DEP_1) | instskip(SKIP_1) | instid1(VALU_DEP_2)
	v_cndmask_b32_e64 v7, 0, v7, s0
	v_cmp_gt_i32_e64 s0, s31, v50
	v_perm_b32 v3, v7, v3, 0x5040100
	s_wait_alu 0xf1ff
	s_delay_alu instid0(VALU_DEP_2) | instskip(SKIP_2) | instid1(VALU_DEP_1)
	v_cndmask_b32_e64 v4, 0, v4, s0
	v_cmp_gt_i32_e64 s0, s7, v48
	s_wait_alu 0xf1ff
	v_cndmask_b32_e64 v8, 0, v8, s0
	s_delay_alu instid0(VALU_DEP_1)
	v_perm_b32 v4, v8, v4, 0x5040100
	s_wait_alu 0xfffe
	s_or_b32 exec_lo, exec_lo, s13
	global_load_b128 v[5:8], v[9:10], off offset:512
	s_and_saveexec_b32 s13, vcc_lo
	s_cbranch_execz .LBB140_45
.LBB140_50:                             ;   in Loop: Header=BB140_42 Depth=1
	v_cmp_gt_i32_e64 s0, s31, v36
	s_wait_loadcnt 0x0
	v_lshrrev_b32_e32 v11, 16, v5
	v_lshrrev_b32_e32 v12, 16, v6
	;; [unrolled: 1-line block ×4, first 2 shown]
	s_wait_alu 0xf1ff
	v_cndmask_b32_e64 v5, 0, v5, s0
	v_cmp_gt_i32_e64 s0, s7, v53
	s_wait_alu 0xf1ff
	s_delay_alu instid0(VALU_DEP_1) | instskip(SKIP_1) | instid1(VALU_DEP_2)
	v_cndmask_b32_e64 v11, 0, v11, s0
	v_cmp_gt_i32_e64 s0, s31, v54
	v_perm_b32 v5, v11, v5, 0x5040100
	s_wait_alu 0xf1ff
	s_delay_alu instid0(VALU_DEP_2) | instskip(SKIP_2) | instid1(VALU_DEP_1)
	v_cndmask_b32_e64 v6, 0, v6, s0
	v_cmp_gt_i32_e64 s0, s7, v52
	s_wait_alu 0xf1ff
	v_cndmask_b32_e64 v12, 0, v12, s0
	v_cmp_gt_i32_e64 s0, s31, v51
	s_delay_alu instid0(VALU_DEP_2) | instskip(SKIP_1) | instid1(VALU_DEP_2)
	v_perm_b32 v6, v12, v6, 0x5040100
	s_wait_alu 0xf1ff
	v_cndmask_b32_e64 v7, 0, v7, s0
	v_cmp_gt_i32_e64 s0, s7, v49
	s_wait_alu 0xf1ff
	s_delay_alu instid0(VALU_DEP_1) | instskip(SKIP_1) | instid1(VALU_DEP_2)
	v_cndmask_b32_e64 v13, 0, v13, s0
	v_cmp_gt_i32_e64 s0, s31, v50
	v_perm_b32 v7, v13, v7, 0x5040100
	s_wait_alu 0xf1ff
	s_delay_alu instid0(VALU_DEP_2) | instskip(SKIP_2) | instid1(VALU_DEP_1)
	v_cndmask_b32_e64 v8, 0, v8, s0
	v_cmp_gt_i32_e64 s0, s7, v48
	s_wait_alu 0xf1ff
	v_cndmask_b32_e64 v14, 0, v14, s0
	s_delay_alu instid0(VALU_DEP_1)
	v_perm_b32 v8, v14, v8, 0x5040100
	s_wait_alu 0xfffe
	s_or_b32 exec_lo, exec_lo, s13
	global_load_b128 v[13:16], v[9:10], off offset:1024
	s_and_saveexec_b32 s13, vcc_lo
	s_cbranch_execz .LBB140_46
.LBB140_51:                             ;   in Loop: Header=BB140_42 Depth=1
	v_cmp_gt_i32_e64 s0, s31, v36
	s_wait_loadcnt 0x0
	v_lshrrev_b32_e32 v11, 16, v13
	v_lshrrev_b32_e32 v22, 16, v16
	s_wait_alu 0xf1ff
	v_cndmask_b32_e64 v12, 0, v13, s0
	v_cmp_gt_i32_e64 s0, s7, v53
	v_lshrrev_b32_e32 v13, 16, v14
	s_wait_alu 0xf1ff
	s_delay_alu instid0(VALU_DEP_2) | instskip(SKIP_2) | instid1(VALU_DEP_1)
	v_cndmask_b32_e64 v11, 0, v11, s0
	v_cmp_gt_i32_e64 s0, s31, v54
	s_wait_alu 0xf1ff
	v_cndmask_b32_e64 v14, 0, v14, s0
	v_cmp_gt_i32_e64 s0, s7, v52
	s_wait_alu 0xf1ff
	s_delay_alu instid0(VALU_DEP_1) | instskip(SKIP_2) | instid1(VALU_DEP_3)
	v_cndmask_b32_e64 v21, 0, v13, s0
	v_cmp_gt_i32_e64 s0, s31, v51
	v_lshrrev_b32_e32 v13, 16, v15
	v_perm_b32 v14, v21, v14, 0x5040100
	s_wait_alu 0xf1ff
	s_delay_alu instid0(VALU_DEP_3) | instskip(SKIP_2) | instid1(VALU_DEP_1)
	v_cndmask_b32_e64 v15, 0, v15, s0
	v_cmp_gt_i32_e64 s0, s7, v49
	s_wait_alu 0xf1ff
	v_cndmask_b32_e64 v23, 0, v13, s0
	v_cmp_gt_i32_e64 s0, s31, v50
	v_perm_b32 v13, v11, v12, 0x5040100
	s_delay_alu instid0(VALU_DEP_3) | instskip(SKIP_1) | instid1(VALU_DEP_3)
	v_perm_b32 v15, v23, v15, 0x5040100
	s_wait_alu 0xf1ff
	v_cndmask_b32_e64 v16, 0, v16, s0
	v_cmp_gt_i32_e64 s0, s7, v48
	s_wait_alu 0xf1ff
	s_delay_alu instid0(VALU_DEP_1) | instskip(NEXT) | instid1(VALU_DEP_1)
	v_cndmask_b32_e64 v22, 0, v22, s0
	v_perm_b32 v16, v22, v16, 0x5040100
	s_wait_alu 0xfffe
	s_or_b32 exec_lo, exec_lo, s13
	global_load_b128 v[21:24], v[9:10], off offset:1536
	s_and_saveexec_b32 s13, vcc_lo
	s_cbranch_execz .LBB140_47
.LBB140_52:                             ;   in Loop: Header=BB140_42 Depth=1
	v_cmp_gt_i32_e64 s0, s31, v36
	s_wait_loadcnt 0x0
	v_lshrrev_b32_e32 v11, 16, v21
	v_lshrrev_b32_e32 v30, 16, v24
	s_wait_alu 0xf1ff
	v_cndmask_b32_e64 v12, 0, v21, s0
	v_cmp_gt_i32_e64 s0, s7, v53
	v_lshrrev_b32_e32 v21, 16, v22
	s_wait_alu 0xf1ff
	s_delay_alu instid0(VALU_DEP_2) | instskip(SKIP_2) | instid1(VALU_DEP_1)
	v_cndmask_b32_e64 v11, 0, v11, s0
	v_cmp_gt_i32_e64 s0, s31, v54
	s_wait_alu 0xf1ff
	v_cndmask_b32_e64 v22, 0, v22, s0
	v_cmp_gt_i32_e64 s0, s7, v52
	s_wait_alu 0xf1ff
	s_delay_alu instid0(VALU_DEP_1) | instskip(SKIP_2) | instid1(VALU_DEP_3)
	v_cndmask_b32_e64 v29, 0, v21, s0
	v_cmp_gt_i32_e64 s0, s31, v51
	v_lshrrev_b32_e32 v21, 16, v23
	v_perm_b32 v22, v29, v22, 0x5040100
	s_wait_alu 0xf1ff
	s_delay_alu instid0(VALU_DEP_3) | instskip(SKIP_2) | instid1(VALU_DEP_1)
	v_cndmask_b32_e64 v23, 0, v23, s0
	v_cmp_gt_i32_e64 s0, s7, v49
	s_wait_alu 0xf1ff
	v_cndmask_b32_e64 v31, 0, v21, s0
	v_cmp_gt_i32_e64 s0, s31, v50
	v_perm_b32 v21, v11, v12, 0x5040100
	s_delay_alu instid0(VALU_DEP_3) | instskip(SKIP_1) | instid1(VALU_DEP_3)
	v_perm_b32 v23, v31, v23, 0x5040100
	s_wait_alu 0xf1ff
	v_cndmask_b32_e64 v24, 0, v24, s0
	v_cmp_gt_i32_e64 s0, s7, v48
	s_wait_alu 0xf1ff
	s_delay_alu instid0(VALU_DEP_1) | instskip(NEXT) | instid1(VALU_DEP_1)
	v_cndmask_b32_e64 v30, 0, v30, s0
	v_perm_b32 v24, v30, v24, 0x5040100
	s_wait_alu 0xfffe
	s_or_b32 exec_lo, exec_lo, s13
	global_load_b128 v[29:32], v[9:10], off offset:2048
	s_and_saveexec_b32 s13, vcc_lo
	s_cbranch_execz .LBB140_48
.LBB140_53:                             ;   in Loop: Header=BB140_42 Depth=1
	v_cmp_gt_i32_e64 s0, s31, v36
	s_wait_loadcnt 0x0
	v_lshrrev_b32_e32 v11, 16, v29
	v_lshrrev_b32_e32 v56, 16, v32
	s_wait_alu 0xf1ff
	v_cndmask_b32_e64 v12, 0, v29, s0
	v_cmp_gt_i32_e64 s0, s7, v53
	v_lshrrev_b32_e32 v29, 16, v30
	s_wait_alu 0xf1ff
	s_delay_alu instid0(VALU_DEP_2) | instskip(SKIP_2) | instid1(VALU_DEP_1)
	v_cndmask_b32_e64 v11, 0, v11, s0
	v_cmp_gt_i32_e64 s0, s31, v54
	s_wait_alu 0xf1ff
	v_cndmask_b32_e64 v30, 0, v30, s0
	v_cmp_gt_i32_e64 s0, s7, v52
	s_wait_alu 0xf1ff
	s_delay_alu instid0(VALU_DEP_1) | instskip(SKIP_2) | instid1(VALU_DEP_3)
	v_cndmask_b32_e64 v55, 0, v29, s0
	v_cmp_gt_i32_e64 s0, s31, v51
	v_lshrrev_b32_e32 v29, 16, v31
	v_perm_b32 v30, v55, v30, 0x5040100
	s_wait_alu 0xf1ff
	s_delay_alu instid0(VALU_DEP_3) | instskip(SKIP_2) | instid1(VALU_DEP_1)
	v_cndmask_b32_e64 v31, 0, v31, s0
	v_cmp_gt_i32_e64 s0, s7, v49
	s_wait_alu 0xf1ff
	v_cndmask_b32_e64 v57, 0, v29, s0
	v_cmp_gt_i32_e64 s0, s31, v50
	v_perm_b32 v29, v11, v12, 0x5040100
	s_delay_alu instid0(VALU_DEP_3) | instskip(SKIP_1) | instid1(VALU_DEP_3)
	v_perm_b32 v31, v57, v31, 0x5040100
	s_wait_alu 0xf1ff
	v_cndmask_b32_e64 v32, 0, v32, s0
	v_cmp_gt_i32_e64 s0, s7, v48
	s_wait_alu 0xf1ff
	s_delay_alu instid0(VALU_DEP_1) | instskip(NEXT) | instid1(VALU_DEP_1)
	v_cndmask_b32_e64 v56, 0, v56, s0
	v_perm_b32 v32, v56, v32, 0x5040100
	s_wait_alu 0xfffe
	s_or_b32 exec_lo, exec_lo, s13
	global_load_b128 v[9:12], v[9:10], off offset:2560
	s_and_saveexec_b32 s0, vcc_lo
	s_cbranch_execz .LBB140_40
.LBB140_54:                             ;   in Loop: Header=BB140_42 Depth=1
	v_cmp_gt_i32_e32 vcc_lo, s31, v36
	s_wait_loadcnt 0x0
	v_lshrrev_b32_e32 v55, 16, v9
	v_lshrrev_b32_e32 v56, 16, v10
	s_wait_alu 0xfffd
	v_cndmask_b32_e32 v9, 0, v9, vcc_lo
	v_cmp_gt_i32_e32 vcc_lo, s7, v53
	s_wait_alu 0xfffd
	v_cndmask_b32_e32 v53, 0, v55, vcc_lo
	v_cmp_gt_i32_e32 vcc_lo, s31, v54
	v_lshrrev_b32_e32 v54, 16, v11
	s_wait_alu 0xfffd
	v_cndmask_b32_e32 v10, 0, v10, vcc_lo
	v_cmp_gt_i32_e32 vcc_lo, s7, v52
	s_wait_alu 0xfffd
	v_cndmask_b32_e32 v52, 0, v56, vcc_lo
	v_cmp_gt_i32_e32 vcc_lo, s31, v51
	v_lshrrev_b32_e32 v51, 16, v12
	v_perm_b32 v9, v53, v9, 0x5040100
	s_delay_alu instid0(VALU_DEP_4)
	v_perm_b32 v10, v52, v10, 0x5040100
	s_wait_alu 0xfffd
	v_cndmask_b32_e32 v11, 0, v11, vcc_lo
	v_cmp_gt_i32_e32 vcc_lo, s7, v49
	s_wait_alu 0xfffd
	v_cndmask_b32_e32 v49, 0, v54, vcc_lo
	v_cmp_gt_i32_e32 vcc_lo, s31, v50
	;; [unrolled: 3-line block ×3, first 2 shown]
	s_wait_alu 0xfffd
	v_cndmask_b32_e32 v48, 0, v51, vcc_lo
	v_perm_b32 v11, v49, v11, 0x5040100
	s_delay_alu instid0(VALU_DEP_2)
	v_perm_b32 v12, v48, v12, 0x5040100
	s_branch .LBB140_40
.LBB140_55:
	s_or_b32 exec_lo, exec_lo, s6
.LBB140_56:
	s_wait_alu 0xfffe
	s_or_b32 exec_lo, exec_lo, s1
	v_lshl_add_u32 v2, v38, 2, 0x1a0
	v_and_b32_e32 v3, 0x3c0, v0
	s_mov_b32 s0, exec_lo
	s_wait_loadcnt 0x0
	s_wait_storecnt 0x0
	s_barrier_signal -1
	v_mad_u32_u24 v1, 0x300, v35, v2
	s_barrier_wait -1
	global_inv scope:SCOPE_SE
	v_cmpx_eq_u32_e32 64, v3
	s_cbranch_execz .LBB140_58
; %bb.57:
	v_add_nc_u32_e32 v3, 0xfffffa00, v1
	v_add_nc_u32_e32 v4, 0xfffffa80, v1
	;; [unrolled: 1-line block ×6, first 2 shown]
	ds_store_b32 v3, v44
	ds_store_b32 v4, v43
	;; [unrolled: 1-line block ×6, first 2 shown]
.LBB140_58:
	s_wait_alu 0xfffe
	s_or_b32 exec_lo, exec_lo, s0
	s_delay_alu instid0(SALU_CYCLE_1)
	s_mov_b32 s0, exec_lo
	s_wait_loadcnt_dscnt 0x0
	s_barrier_signal -1
	s_barrier_wait -1
	global_inv scope:SCOPE_SE
	v_cmpx_gt_u32_e32 64, v0
	s_cbranch_execz .LBB140_60
; %bb.59:
	ds_load_2addr_b32 v[3:4], v1 offset1:32
	ds_load_2addr_b32 v[5:6], v1 offset0:64 offset1:96
	ds_load_2addr_b32 v[7:8], v1 offset0:128 offset1:160
	s_wait_dscnt 0x2
	v_dual_add_f32 v44, v44, v3 :: v_dual_add_f32 v43, v43, v4
	s_wait_dscnt 0x1
	v_dual_add_f32 v42, v42, v5 :: v_dual_add_f32 v41, v41, v6
	;; [unrolled: 2-line block ×3, first 2 shown]
.LBB140_60:
	s_wait_alu 0xfffe
	s_or_b32 exec_lo, exec_lo, s0
	v_and_b32_e32 v3, 0x3e0, v0
	s_mov_b32 s0, exec_lo
	s_wait_loadcnt 0x0
	s_barrier_signal -1
	s_barrier_wait -1
	global_inv scope:SCOPE_SE
	v_cmpx_eq_u32_e32 32, v3
	s_cbranch_execz .LBB140_62
; %bb.61:
	ds_store_2addr_b32 v2, v44, v43 offset1:32
	ds_store_2addr_b32 v2, v42, v41 offset0:64 offset1:96
	ds_store_2addr_b32 v2, v40, v39 offset0:128 offset1:160
.LBB140_62:
	s_wait_alu 0xfffe
	s_or_b32 exec_lo, exec_lo, s0
	v_cmp_gt_u32_e32 vcc_lo, 32, v0
	s_wait_loadcnt_dscnt 0x0
	s_barrier_signal -1
	s_barrier_wait -1
	global_inv scope:SCOPE_SE
	s_and_saveexec_b32 s0, vcc_lo
	s_cbranch_execz .LBB140_64
; %bb.63:
	ds_load_2addr_b32 v[2:3], v1 offset1:32
	ds_load_2addr_b32 v[4:5], v1 offset0:64 offset1:96
	ds_load_2addr_b32 v[6:7], v1 offset0:128 offset1:160
	s_wait_dscnt 0x2
	v_dual_add_f32 v44, v44, v2 :: v_dual_add_f32 v43, v43, v3
	s_wait_dscnt 0x1
	v_dual_add_f32 v42, v42, v4 :: v_dual_add_f32 v41, v41, v5
	;; [unrolled: 2-line block ×3, first 2 shown]
.LBB140_64:
	s_wait_alu 0xfffe
	s_or_b32 exec_lo, exec_lo, s0
	s_wait_loadcnt 0x0
	s_barrier_signal -1
	s_barrier_wait -1
	global_inv scope:SCOPE_SE
	s_and_saveexec_b32 s0, vcc_lo
	s_cbranch_execz .LBB140_66
; %bb.65:
	v_bfe_u32 v1, v44, 16, 1
	v_bfe_u32 v2, v43, 16, 1
	v_or_b32_e32 v3, 0x400000, v44
	v_cmp_u_f32_e32 vcc_lo, v44, v44
	v_bfe_u32 v4, v42, 16, 1
	v_add3_u32 v1, v1, v44, 0x7fff
	v_lshlrev_b32_e32 v0, 1, v0
	v_add3_u32 v2, v2, v43, 0x7fff
	v_or_b32_e32 v5, 0x400000, v43
	v_bfe_u32 v6, v40, 16, 1
	s_wait_alu 0xfffd
	v_cndmask_b32_e32 v1, v1, v3, vcc_lo
	v_cmp_u_f32_e32 vcc_lo, v43, v43
	v_add3_u32 v3, v4, v42, 0x7fff
	v_or_b32_e32 v4, 0x400000, v42
	v_or_b32_e32 v7, 0x400000, v41
	s_mul_i32 s0, s20, 0xc0
	s_wait_alu 0xfffd
	v_cndmask_b32_e32 v2, v2, v5, vcc_lo
	v_bfe_u32 v5, v41, 16, 1
	v_cmp_u_f32_e32 vcc_lo, v42, v42
	s_mul_i32 s2, s8, s16
	s_wait_alu 0xfffe
	s_ashr_i32 s1, s0, 31
	v_add3_u32 v6, v6, v40, 0x7fff
	v_add3_u32 v5, v5, v41, 0x7fff
	s_wait_alu 0xfffd
	v_cndmask_b32_e32 v3, v3, v4, vcc_lo
	v_cmp_u_f32_e32 vcc_lo, v41, v41
	v_bfe_u32 v4, v39, 16, 1
	v_or_b32_e32 v8, 0x400000, v40
	s_ashr_i32 s3, s2, 31
	s_wait_alu 0xfffe
	s_lshl_b64 s[0:1], s[0:1], 1
	s_wait_alu 0xfffd
	v_cndmask_b32_e32 v5, v5, v7, vcc_lo
	v_cmp_u_f32_e32 vcc_lo, v40, v40
	s_lshl_b64 s[2:3], s[2:3], 1
	s_wait_kmcnt 0x0
	s_wait_alu 0xfffe
	s_add_nc_u64 s[0:1], s[14:15], s[0:1]
	v_add3_u32 v4, v4, v39, 0x7fff
	v_or_b32_e32 v9, 0x400000, v39
	s_wait_alu 0xfffd
	v_cndmask_b32_e32 v6, v6, v8, vcc_lo
	v_cmp_u_f32_e32 vcc_lo, v39, v39
	s_mul_i32 s4, s30, 0x180
	s_wait_alu 0xfffe
	s_add_nc_u64 s[0:1], s[0:1], s[2:3]
	s_mov_b32 s5, 0
	s_wait_alu 0xfffe
	s_add_nc_u64 s[0:1], s[0:1], s[4:5]
	s_wait_alu 0xfffd
	v_cndmask_b32_e32 v4, v4, v9, vcc_lo
	s_clause 0x5
	global_store_d16_hi_b16 v0, v1, s[0:1]
	global_store_d16_hi_b16 v0, v2, s[0:1] offset:64
	global_store_d16_hi_b16 v0, v3, s[0:1] offset:128
	;; [unrolled: 1-line block ×5, first 2 shown]
.LBB140_66:
	s_endpgm
	.section	.rodata,"a",@progbits
	.p2align	6, 0x0
	.amdhsa_kernel _ZN4vllm25paged_attention_v2_kernelI14__hip_bfloat16S1_Li192ELi8ELi128ELNS_18Fp8KVCacheDataTypeE0ELb1ELi512EEEvPfS3_PT_PKS4_PKT0_SA_ifPKiSC_iPKfiiiSE_SE_iiiii
		.amdhsa_group_segment_fixed_size 416
		.amdhsa_private_segment_fixed_size 0
		.amdhsa_kernarg_size 400
		.amdhsa_user_sgpr_count 2
		.amdhsa_user_sgpr_dispatch_ptr 0
		.amdhsa_user_sgpr_queue_ptr 0
		.amdhsa_user_sgpr_kernarg_segment_ptr 1
		.amdhsa_user_sgpr_dispatch_id 0
		.amdhsa_user_sgpr_private_segment_size 0
		.amdhsa_wavefront_size32 1
		.amdhsa_uses_dynamic_stack 0
		.amdhsa_enable_private_segment 0
		.amdhsa_system_sgpr_workgroup_id_x 1
		.amdhsa_system_sgpr_workgroup_id_y 1
		.amdhsa_system_sgpr_workgroup_id_z 1
		.amdhsa_system_sgpr_workgroup_info 0
		.amdhsa_system_vgpr_workitem_id 0
		.amdhsa_next_free_vgpr 94
		.amdhsa_next_free_sgpr 42
		.amdhsa_reserve_vcc 1
		.amdhsa_float_round_mode_32 0
		.amdhsa_float_round_mode_16_64 0
		.amdhsa_float_denorm_mode_32 3
		.amdhsa_float_denorm_mode_16_64 3
		.amdhsa_fp16_overflow 0
		.amdhsa_workgroup_processor_mode 1
		.amdhsa_memory_ordered 1
		.amdhsa_forward_progress 1
		.amdhsa_inst_pref_size 89
		.amdhsa_round_robin_scheduling 0
		.amdhsa_exception_fp_ieee_invalid_op 0
		.amdhsa_exception_fp_denorm_src 0
		.amdhsa_exception_fp_ieee_div_zero 0
		.amdhsa_exception_fp_ieee_overflow 0
		.amdhsa_exception_fp_ieee_underflow 0
		.amdhsa_exception_fp_ieee_inexact 0
		.amdhsa_exception_int_div_zero 0
	.end_amdhsa_kernel
	.section	.text._ZN4vllm25paged_attention_v2_kernelI14__hip_bfloat16S1_Li192ELi8ELi128ELNS_18Fp8KVCacheDataTypeE0ELb1ELi512EEEvPfS3_PT_PKS4_PKT0_SA_ifPKiSC_iPKfiiiSE_SE_iiiii,"axG",@progbits,_ZN4vllm25paged_attention_v2_kernelI14__hip_bfloat16S1_Li192ELi8ELi128ELNS_18Fp8KVCacheDataTypeE0ELb1ELi512EEEvPfS3_PT_PKS4_PKT0_SA_ifPKiSC_iPKfiiiSE_SE_iiiii,comdat
.Lfunc_end140:
	.size	_ZN4vllm25paged_attention_v2_kernelI14__hip_bfloat16S1_Li192ELi8ELi128ELNS_18Fp8KVCacheDataTypeE0ELb1ELi512EEEvPfS3_PT_PKS4_PKT0_SA_ifPKiSC_iPKfiiiSE_SE_iiiii, .Lfunc_end140-_ZN4vllm25paged_attention_v2_kernelI14__hip_bfloat16S1_Li192ELi8ELi128ELNS_18Fp8KVCacheDataTypeE0ELb1ELi512EEEvPfS3_PT_PKS4_PKT0_SA_ifPKiSC_iPKfiiiSE_SE_iiiii
                                        ; -- End function
	.set _ZN4vllm25paged_attention_v2_kernelI14__hip_bfloat16S1_Li192ELi8ELi128ELNS_18Fp8KVCacheDataTypeE0ELb1ELi512EEEvPfS3_PT_PKS4_PKT0_SA_ifPKiSC_iPKfiiiSE_SE_iiiii.num_vgpr, 94
	.set _ZN4vllm25paged_attention_v2_kernelI14__hip_bfloat16S1_Li192ELi8ELi128ELNS_18Fp8KVCacheDataTypeE0ELb1ELi512EEEvPfS3_PT_PKS4_PKT0_SA_ifPKiSC_iPKfiiiSE_SE_iiiii.num_agpr, 0
	.set _ZN4vllm25paged_attention_v2_kernelI14__hip_bfloat16S1_Li192ELi8ELi128ELNS_18Fp8KVCacheDataTypeE0ELb1ELi512EEEvPfS3_PT_PKS4_PKT0_SA_ifPKiSC_iPKfiiiSE_SE_iiiii.numbered_sgpr, 42
	.set _ZN4vllm25paged_attention_v2_kernelI14__hip_bfloat16S1_Li192ELi8ELi128ELNS_18Fp8KVCacheDataTypeE0ELb1ELi512EEEvPfS3_PT_PKS4_PKT0_SA_ifPKiSC_iPKfiiiSE_SE_iiiii.num_named_barrier, 0
	.set _ZN4vllm25paged_attention_v2_kernelI14__hip_bfloat16S1_Li192ELi8ELi128ELNS_18Fp8KVCacheDataTypeE0ELb1ELi512EEEvPfS3_PT_PKS4_PKT0_SA_ifPKiSC_iPKfiiiSE_SE_iiiii.private_seg_size, 0
	.set _ZN4vllm25paged_attention_v2_kernelI14__hip_bfloat16S1_Li192ELi8ELi128ELNS_18Fp8KVCacheDataTypeE0ELb1ELi512EEEvPfS3_PT_PKS4_PKT0_SA_ifPKiSC_iPKfiiiSE_SE_iiiii.uses_vcc, 1
	.set _ZN4vllm25paged_attention_v2_kernelI14__hip_bfloat16S1_Li192ELi8ELi128ELNS_18Fp8KVCacheDataTypeE0ELb1ELi512EEEvPfS3_PT_PKS4_PKT0_SA_ifPKiSC_iPKfiiiSE_SE_iiiii.uses_flat_scratch, 0
	.set _ZN4vllm25paged_attention_v2_kernelI14__hip_bfloat16S1_Li192ELi8ELi128ELNS_18Fp8KVCacheDataTypeE0ELb1ELi512EEEvPfS3_PT_PKS4_PKT0_SA_ifPKiSC_iPKfiiiSE_SE_iiiii.has_dyn_sized_stack, 0
	.set _ZN4vllm25paged_attention_v2_kernelI14__hip_bfloat16S1_Li192ELi8ELi128ELNS_18Fp8KVCacheDataTypeE0ELb1ELi512EEEvPfS3_PT_PKS4_PKT0_SA_ifPKiSC_iPKfiiiSE_SE_iiiii.has_recursion, 0
	.set _ZN4vllm25paged_attention_v2_kernelI14__hip_bfloat16S1_Li192ELi8ELi128ELNS_18Fp8KVCacheDataTypeE0ELb1ELi512EEEvPfS3_PT_PKS4_PKT0_SA_ifPKiSC_iPKfiiiSE_SE_iiiii.has_indirect_call, 0
	.section	.AMDGPU.csdata,"",@progbits
; Kernel info:
; codeLenInByte = 11284
; TotalNumSgprs: 44
; NumVgprs: 94
; ScratchSize: 0
; MemoryBound: 0
; FloatMode: 240
; IeeeMode: 1
; LDSByteSize: 416 bytes/workgroup (compile time only)
; SGPRBlocks: 0
; VGPRBlocks: 11
; NumSGPRsForWavesPerEU: 44
; NumVGPRsForWavesPerEU: 94
; Occupancy: 16
; WaveLimiterHint : 1
; COMPUTE_PGM_RSRC2:SCRATCH_EN: 0
; COMPUTE_PGM_RSRC2:USER_SGPR: 2
; COMPUTE_PGM_RSRC2:TRAP_HANDLER: 0
; COMPUTE_PGM_RSRC2:TGID_X_EN: 1
; COMPUTE_PGM_RSRC2:TGID_Y_EN: 1
; COMPUTE_PGM_RSRC2:TGID_Z_EN: 1
; COMPUTE_PGM_RSRC2:TIDIG_COMP_CNT: 0
	.section	.text._ZN4vllm32paged_attention_v2_reduce_kernelI14__hip_bfloat16Li192ELi128ELi512EEEvPT_PKfS5_PKS2_PKii,"axG",@progbits,_ZN4vllm32paged_attention_v2_reduce_kernelI14__hip_bfloat16Li192ELi128ELi512EEEvPT_PKfS5_PKS2_PKii,comdat
	.protected	_ZN4vllm32paged_attention_v2_reduce_kernelI14__hip_bfloat16Li192ELi128ELi512EEEvPT_PKfS5_PKS2_PKii ; -- Begin function _ZN4vllm32paged_attention_v2_reduce_kernelI14__hip_bfloat16Li192ELi128ELi512EEEvPT_PKfS5_PKS2_PKii
	.globl	_ZN4vllm32paged_attention_v2_reduce_kernelI14__hip_bfloat16Li192ELi128ELi512EEEvPT_PKfS5_PKS2_PKii
	.p2align	8
	.type	_ZN4vllm32paged_attention_v2_reduce_kernelI14__hip_bfloat16Li192ELi128ELi512EEEvPT_PKfS5_PKS2_PKii,@function
_ZN4vllm32paged_attention_v2_reduce_kernelI14__hip_bfloat16Li192ELi128ELi512EEEvPT_PKfS5_PKS2_PKii: ; @_ZN4vllm32paged_attention_v2_reduce_kernelI14__hip_bfloat16Li192ELi128ELi512EEEvPT_PKfS5_PKS2_PKii
; %bb.0:
	s_load_b128 s[4:7], s[0:1], 0x18
	s_mov_b32 s2, ttmp7
	s_ashr_i32 s3, ttmp7, 31
	s_add_nc_u64 s[8:9], s[0:1], 48
	s_lshl_b64 s[2:3], s[2:3], 2
	s_wait_kmcnt 0x0
	s_add_nc_u64 s[2:3], s[6:7], s[2:3]
	s_load_b32 s18, s[2:3], 0x0
	s_clause 0x2
	s_load_b64 s[6:7], s[0:1], 0x0
	s_load_b32 s14, s[0:1], 0x28
	s_load_b32 s15, s[0:1], 0x30
	s_wait_kmcnt 0x0
	s_add_co_i32 s2, s18, -1
	s_delay_alu instid0(SALU_CYCLE_1)
	s_cmp_gt_u32 s2, 0x1ff
	s_mov_b32 s2, -1
	s_cbranch_scc0 .LBB141_33
; %bb.1:
	s_add_co_i32 s2, s18, 0x1ff
	s_mul_i32 s16, s15, ttmp7
	s_ashr_i32 s3, s2, 31
	v_dual_mov_b32 v4, 0xff7fffff :: v_dual_lshlrev_b32 v3, 2, v0
	s_lshr_b32 s3, s3, 23
	s_mul_i32 s10, s16, s14
	s_add_co_i32 s2, s2, s3
	s_mul_i32 s12, s14, ttmp9
	s_ashr_i32 s17, s2, 9
	s_ashr_i32 s11, s10, 31
	v_cmp_gt_i32_e32 vcc_lo, s17, v0
	s_ashr_i32 s13, s12, 31
	s_and_saveexec_b32 s3, vcc_lo
	s_cbranch_execz .LBB141_5
; %bb.2:
	s_load_b64 s[20:21], s[0:1], 0x10
	s_load_b32 s2, s[8:9], 0xc
	s_lshl_b64 s[22:23], s[10:11], 2
	s_lshl_b64 s[24:25], s[12:13], 2
	v_dual_mov_b32 v4, 0xff7fffff :: v_dual_add_nc_u32 v5, 32, v3
	s_add_nc_u64 s[22:23], s[22:23], s[24:25]
	v_mov_b32_e32 v6, v0
	s_wait_kmcnt 0x0
	s_add_nc_u64 s[20:21], s[20:21], s[22:23]
	s_delay_alu instid0(SALU_CYCLE_1) | instskip(NEXT) | instid1(VALU_DEP_1)
	v_add_co_u32 v1, s19, s20, v3
	v_add_co_ci_u32_e64 v2, null, s21, 0, s19
	s_and_b32 s20, s2, 0xffff
	s_mov_b32 s19, 0
	s_wait_alu 0xfffe
	s_lshl_b32 s21, s20, 2
.LBB141_3:                              ; =>This Inner Loop Header: Depth=1
	global_load_b32 v7, v[1:2], off
	v_add_nc_u32_e32 v6, s20, v6
	v_max_num_f32_e32 v4, v4, v4
	s_wait_alu 0xfffe
	v_add_co_u32 v1, s2, v1, s21
	s_wait_alu 0xf1ff
	v_add_co_ci_u32_e64 v2, null, 0, v2, s2
	v_cmp_le_i32_e64 s2, s17, v6
	s_or_b32 s19, s2, s19
	s_wait_loadcnt 0x0
	v_max_num_f32_e32 v8, v7, v7
	ds_store_b32 v5, v7
	v_dual_max_num_f32 v4, v4, v8 :: v_dual_add_nc_u32 v5, s21, v5
	s_wait_alu 0xfffe
	s_and_not1_b32 exec_lo, exec_lo, s19
	s_cbranch_execnz .LBB141_3
; %bb.4:
	s_or_b32 exec_lo, exec_lo, s19
.LBB141_5:
	s_delay_alu instid0(SALU_CYCLE_1)
	s_or_b32 exec_lo, exec_lo, s3
	v_mbcnt_lo_u32_b32 v1, -1, 0
	s_load_b64 s[2:3], s[0:1], 0x8
	s_wait_dscnt 0x0
	s_barrier_signal -1
	s_barrier_wait -1
	v_xor_b32_e32 v2, 16, v1
	v_xor_b32_e32 v5, 8, v1
	global_inv scope:SCOPE_SE
	v_cmp_gt_i32_e64 s0, 32, v2
	s_delay_alu instid0(VALU_DEP_1) | instskip(SKIP_1) | instid1(VALU_DEP_2)
	v_cndmask_b32_e64 v2, v1, v2, s0
	v_cmp_gt_i32_e64 s0, 32, v5
	v_lshlrev_b32_e32 v6, 2, v2
	s_wait_alu 0xf1ff
	s_delay_alu instid0(VALU_DEP_2) | instskip(SKIP_3) | instid1(VALU_DEP_1)
	v_cndmask_b32_e64 v5, v1, v5, s0
	ds_bpermute_b32 v2, v6, v4
	v_dual_max_num_f32 v4, v4, v4 :: v_dual_lshlrev_b32 v7, 2, v5
	v_xor_b32_e32 v5, 4, v1
	v_cmp_gt_i32_e64 s0, 32, v5
	s_wait_alu 0xf1ff
	s_delay_alu instid0(VALU_DEP_1) | instskip(NEXT) | instid1(VALU_DEP_1)
	v_cndmask_b32_e64 v5, v1, v5, s0
	v_lshlrev_b32_e32 v8, 2, v5
	v_xor_b32_e32 v5, 2, v1
	s_wait_dscnt 0x0
	v_max_num_f32_e32 v2, v2, v2
	s_delay_alu instid0(VALU_DEP_2) | instskip(NEXT) | instid1(VALU_DEP_2)
	v_cmp_gt_i32_e64 s0, 32, v5
	v_max_num_f32_e32 v2, v4, v2
	s_wait_alu 0xf1ff
	s_delay_alu instid0(VALU_DEP_2) | instskip(SKIP_3) | instid1(VALU_DEP_1)
	v_cndmask_b32_e64 v5, v1, v5, s0
	ds_bpermute_b32 v4, v7, v2
	s_wait_dscnt 0x0
	v_max_num_f32_e32 v4, v4, v4
	v_max_num_f32_e32 v2, v2, v4
	ds_bpermute_b32 v4, v8, v2
	s_wait_dscnt 0x0
	v_dual_max_num_f32 v9, v4, v4 :: v_dual_lshlrev_b32 v4, 2, v5
	s_delay_alu instid0(VALU_DEP_1) | instskip(SKIP_4) | instid1(VALU_DEP_1)
	v_max_num_f32_e32 v2, v2, v9
	v_xor_b32_e32 v9, 1, v1
	ds_bpermute_b32 v5, v4, v2
	v_cmp_gt_i32_e64 s0, 32, v9
	s_wait_alu 0xf1ff
	v_cndmask_b32_e64 v1, v1, v9, s0
	v_lshrrev_b32_e32 v9, 5, v0
	s_delay_alu instid0(VALU_DEP_1) | instskip(SKIP_2) | instid1(VALU_DEP_1)
	v_lshlrev_b32_e32 v9, 2, v9
	s_wait_dscnt 0x0
	v_max_num_f32_e32 v5, v5, v5
	v_max_num_f32_e32 v2, v2, v5
	v_lshlrev_b32_e32 v5, 2, v1
	v_and_b32_e32 v1, 31, v0
	ds_bpermute_b32 v10, v5, v2
	v_cmp_eq_u32_e64 s0, 0, v1
	s_and_saveexec_b32 s1, s0
	s_cbranch_execz .LBB141_7
; %bb.6:
	s_wait_dscnt 0x0
	v_max_num_f32_e32 v10, v10, v10
	v_max_num_f32_e32 v2, v2, v2
	s_delay_alu instid0(VALU_DEP_1)
	v_max_num_f32_e32 v2, v2, v10
	ds_store_b32 v9, v2
.LBB141_7:
	s_wait_alu 0xfffe
	s_or_b32 exec_lo, exec_lo, s1
	v_cmp_gt_u32_e64 s1, 4, v1
	v_mov_b32_e32 v2, 0xff7fffff
	s_wait_dscnt 0x0
	v_lshlrev_b32_e32 v10, 2, v1
	s_wait_loadcnt 0x0
	s_barrier_signal -1
	s_barrier_wait -1
	global_inv scope:SCOPE_SE
	s_and_saveexec_b32 s19, s1
; %bb.8:
	ds_load_b32 v2, v10
; %bb.9:
	s_wait_alu 0xfffe
	s_or_b32 exec_lo, exec_lo, s19
	s_wait_dscnt 0x0
	ds_bpermute_b32 v1, v4, v2
	v_max_num_f32_e32 v2, v2, v2
	s_lshl_b32 s19, s17, 2
	v_mov_b32_e32 v11, 0
	s_wait_dscnt 0x0
	v_max_num_f32_e32 v1, v1, v1
	s_delay_alu instid0(VALU_DEP_1) | instskip(SKIP_3) | instid1(VALU_DEP_1)
	v_max_num_f32_e32 v1, v2, v1
	ds_bpermute_b32 v2, v5, v1
	s_wait_dscnt 0x0
	v_max_num_f32_e32 v2, v2, v2
	v_max_num_f32_e32 v1, v1, v2
	ds_bpermute_b32 v12, v11, v1
	s_and_saveexec_b32 s20, vcc_lo
	s_cbranch_execz .LBB141_13
; %bb.10:
	s_load_b32 s21, s[8:9], 0xc
	s_lshl_b64 s[22:23], s[10:11], 2
	s_lshl_b64 s[24:25], s[12:13], 2
	v_mov_b32_e32 v11, 0
	s_add_nc_u64 s[22:23], s[22:23], s[24:25]
	v_mov_b32_e32 v13, v0
	s_wait_kmcnt 0x0
	s_add_nc_u64 s[2:3], s[2:3], s[22:23]
	s_wait_alu 0xfffe
	v_add_co_u32 v1, s2, s2, v3
	s_wait_alu 0xf1ff
	v_add_co_ci_u32_e64 v2, null, s3, 0, s2
	v_add_nc_u32_e32 v3, 32, v3
	s_mov_b32 s3, 0
	s_and_b32 s11, s21, 0xffff
	s_delay_alu instid0(SALU_CYCLE_1)
	s_lshl_b32 s13, s11, 2
.LBB141_11:                             ; =>This Inner Loop Header: Depth=1
	global_load_b32 v14, v[1:2], off
	ds_load_b32 v15, v3
	v_add_nc_u32_e32 v13, s11, v13
	s_wait_dscnt 0x0
	v_sub_f32_e32 v15, v15, v12
	s_delay_alu instid0(VALU_DEP_1) | instskip(NEXT) | instid1(VALU_DEP_1)
	v_mul_f32_e32 v16, 0x3fb8aa3b, v15
	v_fma_f32 v17, 0x3fb8aa3b, v15, -v16
	v_rndne_f32_e32 v18, v16
	s_delay_alu instid0(VALU_DEP_1) | instskip(SKIP_1) | instid1(VALU_DEP_4)
	v_sub_f32_e32 v16, v16, v18
	v_cmp_ngt_f32_e32 vcc_lo, 0xc2ce8ed0, v15
	v_fmac_f32_e32 v17, 0x32a5705f, v15
	v_cmp_nlt_f32_e64 s2, 0x42b17218, v15
	s_delay_alu instid0(VALU_DEP_2) | instskip(SKIP_1) | instid1(VALU_DEP_2)
	v_add_f32_e32 v16, v16, v17
	v_cvt_i32_f32_e32 v17, v18
	v_exp_f32_e32 v16, v16
	s_delay_alu instid0(TRANS32_DEP_1) | instskip(SKIP_2) | instid1(VALU_DEP_2)
	v_ldexp_f32 v16, v16, v17
	v_add_nc_u32_e32 v17, s19, v3
	s_wait_alu 0xfffd
	v_dual_cndmask_b32 v16, 0, v16 :: v_dual_add_nc_u32 v3, s13, v3
	v_add_co_u32 v1, vcc_lo, v1, s13
	s_wait_alu 0xfffd
	v_add_co_ci_u32_e64 v2, null, 0, v2, vcc_lo
	s_wait_alu 0xf1ff
	v_cndmask_b32_e64 v15, 0x7f800000, v16, s2
	v_cmp_le_i32_e32 vcc_lo, s17, v13
	s_wait_alu 0xfffe
	s_or_b32 s3, vcc_lo, s3
	s_wait_loadcnt 0x0
	v_mul_f32_e32 v16, v14, v15
	v_fmac_f32_e32 v11, v14, v15
	ds_store_b32 v17, v16
	s_wait_alu 0xfffe
	s_and_not1_b32 exec_lo, exec_lo, s3
	s_cbranch_execnz .LBB141_11
; %bb.12:
	s_or_b32 exec_lo, exec_lo, s3
.LBB141_13:
	s_wait_alu 0xfffe
	s_or_b32 exec_lo, exec_lo, s20
	ds_bpermute_b32 v1, v6, v11
	s_wait_loadcnt_dscnt 0x0
	s_barrier_signal -1
	s_barrier_wait -1
	global_inv scope:SCOPE_SE
	v_add_f32_e32 v1, v11, v1
	ds_bpermute_b32 v2, v7, v1
	s_wait_dscnt 0x0
	v_add_f32_e32 v1, v1, v2
	ds_bpermute_b32 v2, v8, v1
	s_wait_dscnt 0x0
	;; [unrolled: 3-line block ×4, first 2 shown]
	v_add_f32_e32 v1, v1, v2
	s_wait_kmcnt 0x0
	s_and_saveexec_b32 s2, s0
; %bb.14:
	ds_store_b32 v9, v1 offset:16
; %bb.15:
	s_wait_alu 0xfffe
	s_or_b32 exec_lo, exec_lo, s2
	s_wait_loadcnt_dscnt 0x0
	s_barrier_signal -1
	s_barrier_wait -1
	global_inv scope:SCOPE_SE
	s_and_saveexec_b32 s0, s1
; %bb.16:
	ds_load_b32 v1, v10 offset:16
; %bb.17:
	s_wait_alu 0xfffe
	s_or_b32 exec_lo, exec_lo, s0
	s_wait_dscnt 0x0
	ds_bpermute_b32 v2, v4, v1
	s_mov_b32 s11, exec_lo
	s_wait_dscnt 0x0
	v_add_f32_e32 v1, v1, v2
	ds_bpermute_b32 v2, v5, v1
	s_wait_dscnt 0x0
	v_dual_add_f32 v1, v1, v2 :: v_dual_mov_b32 v2, 0
	ds_bpermute_b32 v1, v2, v1
	v_cmpx_gt_u32_e32 0xc0, v0
	s_cbranch_execz .LBB141_32
; %bb.18:
	s_wait_dscnt 0x0
	v_add_f32_e32 v2, 0x358637bd, v1
	s_mul_i32 s0, s10, 0xc0
	s_mul_i32 s2, s12, 0xc0
	s_wait_alu 0xfffe
	s_ashr_i32 s1, s0, 31
	s_ashr_i32 s3, s2, 31
	v_div_scale_f32 v1, null, v2, v2, 1.0
	s_cmp_gt_i32 s18, 0
	s_mov_b32 s12, 0
	s_cselect_b32 s13, -1, 0
	v_rcp_f32_e32 v3, v1
	s_delay_alu instid0(TRANS32_DEP_1) | instskip(NEXT) | instid1(VALU_DEP_1)
	v_fma_f32 v4, -v1, v3, 1.0
	v_fmac_f32_e32 v3, v4, v3
	v_div_scale_f32 v5, vcc_lo, 1.0, v2, 1.0
	s_delay_alu instid0(VALU_DEP_1) | instskip(NEXT) | instid1(VALU_DEP_1)
	v_mul_f32_e32 v4, v5, v3
	v_fma_f32 v6, -v1, v4, v5
	s_delay_alu instid0(VALU_DEP_1) | instskip(NEXT) | instid1(VALU_DEP_1)
	v_fmac_f32_e32 v4, v6, v3
	v_fma_f32 v1, -v1, v4, v5
	s_wait_alu 0xfffd
	s_delay_alu instid0(VALU_DEP_1)
	v_div_fmas_f32 v3, v1, v3, v4
	s_wait_alu 0xfffe
	s_and_b32 vcc_lo, exec_lo, s13
	s_wait_alu 0xfffe
	s_cbranch_vccnz .LBB141_20
; %bb.19:
	v_mov_b32_e32 v1, 0
	s_branch .LBB141_21
.LBB141_20:
	s_mov_b32 s12, -1
.LBB141_21:
	v_div_fixup_f32 v5, v3, v2, 1.0
	v_mov_b32_e32 v6, 0
	s_add_co_i32 s10, s19, 32
	s_wait_alu 0xfffe
	s_and_not1_b32 vcc_lo, exec_lo, s12
	s_max_i32 s12, s17, 1
	s_wait_alu 0xfffe
	s_cbranch_vccnz .LBB141_25
; %bb.22:
	s_lshl_b64 s[18:19], s[0:1], 1
	s_lshl_b64 s[20:21], s[2:3], 1
	v_dual_mov_b32 v1, 0 :: v_dual_lshlrev_b32 v2, 1, v0
	s_wait_alu 0xfffe
	s_add_nc_u64 s[18:19], s[18:19], s[20:21]
	s_wait_alu 0xfffe
	s_add_nc_u64 s[18:19], s[4:5], s[18:19]
	s_wait_alu 0xfffe
	v_add_co_u32 v2, s17, s18, v2
	s_wait_alu 0xf1ff
	v_add_co_ci_u32_e64 v3, null, s19, 0, s17
	v_mov_b32_e32 v4, v1
	s_mov_b32 s17, s10
	s_mov_b32 s18, s12
.LBB141_23:                             ; =>This Inner Loop Header: Depth=1
	global_load_u16 v6, v[2:3], off
	s_wait_alu 0xfffe
	v_mov_b32_e32 v7, s17
	v_add_co_u32 v2, vcc_lo, 0x180, v2
	s_wait_alu 0xfffd
	v_add_co_ci_u32_e64 v3, null, 0, v3, vcc_lo
	s_add_co_i32 s18, s18, -1
	s_add_co_i32 s17, s17, 4
	s_wait_alu 0xfffe
	s_cmp_eq_u32 s18, 0
	s_wait_loadcnt 0x0
	v_lshlrev_b32_e32 v6, 16, v6
	ds_load_b32 v7, v7
	s_wait_dscnt 0x0
	v_mul_f32_e32 v6, v7, v6
	s_delay_alu instid0(VALU_DEP_1)
	v_fmac_f32_e32 v4, v5, v6
	s_cbranch_scc0 .LBB141_23
; %bb.24:
	s_delay_alu instid0(VALU_DEP_1) | instskip(SKIP_2) | instid1(VALU_DEP_3)
	v_bfe_u32 v2, v4, 16, 1
	v_or_b32_e32 v3, 0x400000, v4
	v_cmp_u_f32_e32 vcc_lo, v4, v4
	v_add3_u32 v2, v2, v4, 0x7fff
	s_wait_alu 0xfffd
	s_delay_alu instid0(VALU_DEP_1) | instskip(NEXT) | instid1(VALU_DEP_1)
	v_cndmask_b32_e32 v2, v2, v3, vcc_lo
	v_lshrrev_b32_e32 v6, 16, v2
.LBB141_25:
	s_mulk_i32 s16, 0xc0
	s_mul_i32 s18, ttmp9, 0xc0
	s_wait_alu 0xfffe
	s_ashr_i32 s17, s16, 31
	s_ashr_i32 s19, s18, 31
	s_wait_alu 0xfffe
	s_lshl_b64 s[16:17], s[16:17], 1
	v_lshlrev_b64_e32 v[3:4], 1, v[0:1]
	s_lshl_b64 s[18:19], s[18:19], 1
	s_wait_alu 0xfffe
	s_add_nc_u64 s[16:17], s[6:7], s[16:17]
	s_wait_alu 0xfffe
	s_add_nc_u64 s[16:17], s[16:17], s[18:19]
	s_wait_alu 0xfffe
	v_add_co_u32 v1, vcc_lo, s16, v3
	s_wait_alu 0xfffd
	v_add_co_ci_u32_e64 v2, null, s17, v4, vcc_lo
	v_cmp_gt_u32_e32 vcc_lo, 64, v0
	global_store_b16 v[1:2], v6, off
	s_and_b32 exec_lo, exec_lo, vcc_lo
	s_cbranch_execz .LBB141_32
; %bb.26:
	s_and_not1_b32 vcc_lo, exec_lo, s13
	s_wait_alu 0xfffe
	s_cbranch_vccnz .LBB141_30
; %bb.27:
	s_lshl_b64 s[0:1], s[0:1], 1
	s_lshl_b64 s[2:3], s[2:3], 1
	v_mov_b32_e32 v6, 0
	s_wait_alu 0xfffe
	s_add_nc_u64 s[0:1], s[0:1], s[2:3]
	s_wait_alu 0xfffe
	s_add_nc_u64 s[0:1], s[4:5], s[0:1]
	s_wait_alu 0xfffe
	v_add_co_u32 v3, vcc_lo, s0, v3
	s_wait_alu 0xfffd
	v_add_co_ci_u32_e64 v4, null, s1, v4, vcc_lo
	s_delay_alu instid0(VALU_DEP_2) | instskip(SKIP_1) | instid1(VALU_DEP_2)
	v_add_co_u32 v3, vcc_lo, 0x100, v3
	s_wait_alu 0xfffd
	v_add_co_ci_u32_e64 v4, null, 0, v4, vcc_lo
.LBB141_28:                             ; =>This Inner Loop Header: Depth=1
	global_load_u16 v7, v[3:4], off
	v_mov_b32_e32 v8, s10
	v_add_co_u32 v3, vcc_lo, 0x180, v3
	s_wait_alu 0xfffd
	v_add_co_ci_u32_e64 v4, null, 0, v4, vcc_lo
	s_add_co_i32 s12, s12, -1
	s_add_co_i32 s10, s10, 4
	s_wait_alu 0xfffe
	s_cmp_lg_u32 s12, 0
	s_wait_loadcnt 0x0
	v_lshlrev_b32_e32 v7, 16, v7
	ds_load_b32 v8, v8
	s_wait_dscnt 0x0
	v_mul_f32_e32 v7, v8, v7
	s_delay_alu instid0(VALU_DEP_1)
	v_fmac_f32_e32 v6, v5, v7
	s_cbranch_scc1 .LBB141_28
; %bb.29:
	s_delay_alu instid0(VALU_DEP_1) | instskip(SKIP_2) | instid1(VALU_DEP_3)
	v_bfe_u32 v3, v6, 16, 1
	v_or_b32_e32 v4, 0x400000, v6
	v_cmp_u_f32_e32 vcc_lo, v6, v6
	v_add3_u32 v3, v3, v6, 0x7fff
	s_wait_alu 0xfffd
	s_delay_alu instid0(VALU_DEP_1) | instskip(NEXT) | instid1(VALU_DEP_1)
	v_cndmask_b32_e32 v3, v3, v4, vcc_lo
	v_lshrrev_b32_e32 v3, 16, v3
	s_branch .LBB141_31
.LBB141_30:
	v_mov_b32_e32 v3, 0
.LBB141_31:
	global_store_b16 v[1:2], v3, off offset:256
.LBB141_32:
	s_wait_alu 0xfffe
	s_or_b32 exec_lo, exec_lo, s11
	s_mov_b32 s2, 0
.LBB141_33:
	s_wait_alu 0xfffe
	s_and_b32 vcc_lo, exec_lo, s2
	s_wait_alu 0xfffe
	s_cbranch_vccz .LBB141_42
; %bb.34:
	s_mov_b32 s0, exec_lo
	v_cmpx_gt_u32_e32 0xc0, v0
	s_cbranch_execz .LBB141_42
; %bb.35:
	s_load_b32 s0, s[8:9], 0xc
	s_mul_i32 s1, s15, ttmp7
	s_mul_i32 s8, ttmp9, 0xc0
	s_wait_alu 0xfffe
	s_mul_i32 s12, s1, 0xc0
	s_mul_i32 s2, s8, s14
	s_wait_alu 0xfffe
	s_mul_i32 s10, s12, s14
	v_cmp_gt_u32_e32 vcc_lo, 0xbd, v0
	s_ashr_i32 s9, s8, 31
	s_ashr_i32 s13, s12, 31
	;; [unrolled: 1-line block ×3, first 2 shown]
	s_wait_alu 0xfffe
	s_ashr_i32 s11, s10, 31
	s_wait_kmcnt 0x0
	s_and_b32 s1, s0, 0xffff
	s_wait_alu 0xfffe
	s_cmp_eq_u32 s1, 1
	s_cselect_b32 s0, -1, 0
	s_wait_alu 0xfffe
	s_and_b32 s15, vcc_lo, s0
	s_mov_b32 s0, -1
	s_and_saveexec_b32 s14, s15
	s_cbranch_execz .LBB141_39
; %bb.36:
	s_lshl_b64 s[16:17], s[10:11], 1
	s_lshl_b64 s[18:19], s[2:3], 1
	s_wait_dscnt 0x0
	v_lshlrev_b32_e32 v1, 1, v0
	s_wait_alu 0xfffe
	s_add_nc_u64 s[16:17], s[16:17], s[18:19]
	s_lshl_b64 s[18:19], s[12:13], 1
	s_lshl_b64 s[20:21], s[8:9], 1
	s_wait_alu 0xfffe
	s_add_nc_u64 s[16:17], s[4:5], s[16:17]
	s_add_nc_u64 s[18:19], s[18:19], s[20:21]
	s_wait_alu 0xfffe
	v_add_co_u32 v2, s0, s16, v1
	v_sub_nc_u32_e32 v5, 0xc0, v0
	s_wait_alu 0xf1ff
	v_add_co_ci_u32_e64 v3, null, s17, 0, s0
	s_add_nc_u64 s[16:17], s[6:7], s[18:19]
	s_mov_b32 s15, 0
	s_wait_alu 0xfffe
	v_add_co_u32 v4, s0, s16, v1
	v_and_b32_e32 v6, 0xfc, v5
	s_wait_alu 0xf1ff
	v_add_co_ci_u32_e64 v7, null, s17, 0, s0
	v_add_co_u32 v1, vcc_lo, v2, 4
	s_wait_alu 0xfffd
	v_add_co_ci_u32_e64 v2, null, 0, v3, vcc_lo
	v_add_co_u32 v3, vcc_lo, v4, 4
	s_wait_alu 0xfffd
	v_add_co_ci_u32_e64 v4, null, 0, v7, vcc_lo
	v_mov_b32_e32 v7, v6
.LBB141_37:                             ; =>This Inner Loop Header: Depth=1
	global_load_b64 v[8:9], v[1:2], off offset:-4
	v_add_nc_u32_e32 v7, -4, v7
	v_add_co_u32 v1, vcc_lo, v1, 8
	s_wait_alu 0xfffd
	v_add_co_ci_u32_e64 v2, null, 0, v2, vcc_lo
	s_delay_alu instid0(VALU_DEP_3)
	v_cmp_eq_u32_e32 vcc_lo, 0, v7
	s_or_b32 s15, vcc_lo, s15
	s_wait_loadcnt 0x0
	global_store_b64 v[3:4], v[8:9], off offset:-4
	v_add_co_u32 v3, s0, v3, 8
	s_wait_alu 0xf1ff
	v_add_co_ci_u32_e64 v4, null, 0, v4, s0
	s_and_not1_b32 exec_lo, exec_lo, s15
	s_cbranch_execnz .LBB141_37
; %bb.38:
	s_or_b32 exec_lo, exec_lo, s15
	v_cmp_ne_u32_e32 vcc_lo, v5, v6
	v_add_nc_u32_e32 v0, v0, v6
	s_or_not1_b32 s0, vcc_lo, exec_lo
.LBB141_39:
	s_or_b32 exec_lo, exec_lo, s14
	s_wait_alu 0xfffe
	s_and_b32 exec_lo, exec_lo, s0
	s_cbranch_execz .LBB141_42
; %bb.40:
	s_lshl_b64 s[12:13], s[12:13], 1
	s_lshl_b64 s[10:11], s[10:11], 1
	s_wait_dscnt 0x0
	v_dual_mov_b32 v2, 0 :: v_dual_lshlrev_b32 v1, 1, v0
	s_lshl_b64 s[8:9], s[8:9], 1
	s_wait_alu 0xfffe
	s_add_nc_u64 s[6:7], s[6:7], s[12:13]
	s_add_nc_u64 s[4:5], s[4:5], s[10:11]
	s_lshl_b64 s[2:3], s[2:3], 1
	s_add_nc_u64 s[6:7], s[6:7], s[8:9]
	s_wait_alu 0xfffe
	s_add_nc_u64 s[2:3], s[4:5], s[2:3]
	s_mov_b32 s4, 0
	s_lshl_b32 s5, s1, 1
.LBB141_41:                             ; =>This Inner Loop Header: Depth=1
	s_wait_alu 0xfffe
	v_add_co_u32 v3, vcc_lo, s2, v1
	s_wait_alu 0xfffd
	v_add_co_ci_u32_e64 v4, null, s3, v2, vcc_lo
	v_add_nc_u32_e32 v0, s1, v0
	global_load_u16 v5, v[3:4], off
	v_add_co_u32 v3, vcc_lo, s6, v1
	s_wait_alu 0xfffd
	v_add_co_ci_u32_e64 v4, null, s7, v2, vcc_lo
	v_cmp_lt_u32_e32 vcc_lo, 0xbf, v0
	v_add_co_u32 v1, s0, v1, s5
	s_wait_alu 0xf1ff
	v_add_co_ci_u32_e64 v2, null, 0, v2, s0
	s_or_b32 s4, vcc_lo, s4
	s_wait_loadcnt 0x0
	global_store_b16 v[3:4], v5, off
	s_wait_alu 0xfffe
	s_and_not1_b32 exec_lo, exec_lo, s4
	s_cbranch_execnz .LBB141_41
.LBB141_42:
	s_endpgm
	.section	.rodata,"a",@progbits
	.p2align	6, 0x0
	.amdhsa_kernel _ZN4vllm32paged_attention_v2_reduce_kernelI14__hip_bfloat16Li192ELi128ELi512EEEvPT_PKfS5_PKS2_PKii
		.amdhsa_group_segment_fixed_size 32
		.amdhsa_private_segment_fixed_size 0
		.amdhsa_kernarg_size 304
		.amdhsa_user_sgpr_count 2
		.amdhsa_user_sgpr_dispatch_ptr 0
		.amdhsa_user_sgpr_queue_ptr 0
		.amdhsa_user_sgpr_kernarg_segment_ptr 1
		.amdhsa_user_sgpr_dispatch_id 0
		.amdhsa_user_sgpr_private_segment_size 0
		.amdhsa_wavefront_size32 1
		.amdhsa_uses_dynamic_stack 0
		.amdhsa_enable_private_segment 0
		.amdhsa_system_sgpr_workgroup_id_x 1
		.amdhsa_system_sgpr_workgroup_id_y 1
		.amdhsa_system_sgpr_workgroup_id_z 0
		.amdhsa_system_sgpr_workgroup_info 0
		.amdhsa_system_vgpr_workitem_id 0
		.amdhsa_next_free_vgpr 19
		.amdhsa_next_free_sgpr 26
		.amdhsa_reserve_vcc 1
		.amdhsa_float_round_mode_32 0
		.amdhsa_float_round_mode_16_64 0
		.amdhsa_float_denorm_mode_32 3
		.amdhsa_float_denorm_mode_16_64 3
		.amdhsa_fp16_overflow 0
		.amdhsa_workgroup_processor_mode 1
		.amdhsa_memory_ordered 1
		.amdhsa_forward_progress 1
		.amdhsa_inst_pref_size 22
		.amdhsa_round_robin_scheduling 0
		.amdhsa_exception_fp_ieee_invalid_op 0
		.amdhsa_exception_fp_denorm_src 0
		.amdhsa_exception_fp_ieee_div_zero 0
		.amdhsa_exception_fp_ieee_overflow 0
		.amdhsa_exception_fp_ieee_underflow 0
		.amdhsa_exception_fp_ieee_inexact 0
		.amdhsa_exception_int_div_zero 0
	.end_amdhsa_kernel
	.section	.text._ZN4vllm32paged_attention_v2_reduce_kernelI14__hip_bfloat16Li192ELi128ELi512EEEvPT_PKfS5_PKS2_PKii,"axG",@progbits,_ZN4vllm32paged_attention_v2_reduce_kernelI14__hip_bfloat16Li192ELi128ELi512EEEvPT_PKfS5_PKS2_PKii,comdat
.Lfunc_end141:
	.size	_ZN4vllm32paged_attention_v2_reduce_kernelI14__hip_bfloat16Li192ELi128ELi512EEEvPT_PKfS5_PKS2_PKii, .Lfunc_end141-_ZN4vllm32paged_attention_v2_reduce_kernelI14__hip_bfloat16Li192ELi128ELi512EEEvPT_PKfS5_PKS2_PKii
                                        ; -- End function
	.set _ZN4vllm32paged_attention_v2_reduce_kernelI14__hip_bfloat16Li192ELi128ELi512EEEvPT_PKfS5_PKS2_PKii.num_vgpr, 19
	.set _ZN4vllm32paged_attention_v2_reduce_kernelI14__hip_bfloat16Li192ELi128ELi512EEEvPT_PKfS5_PKS2_PKii.num_agpr, 0
	.set _ZN4vllm32paged_attention_v2_reduce_kernelI14__hip_bfloat16Li192ELi128ELi512EEEvPT_PKfS5_PKS2_PKii.numbered_sgpr, 26
	.set _ZN4vllm32paged_attention_v2_reduce_kernelI14__hip_bfloat16Li192ELi128ELi512EEEvPT_PKfS5_PKS2_PKii.num_named_barrier, 0
	.set _ZN4vllm32paged_attention_v2_reduce_kernelI14__hip_bfloat16Li192ELi128ELi512EEEvPT_PKfS5_PKS2_PKii.private_seg_size, 0
	.set _ZN4vllm32paged_attention_v2_reduce_kernelI14__hip_bfloat16Li192ELi128ELi512EEEvPT_PKfS5_PKS2_PKii.uses_vcc, 1
	.set _ZN4vllm32paged_attention_v2_reduce_kernelI14__hip_bfloat16Li192ELi128ELi512EEEvPT_PKfS5_PKS2_PKii.uses_flat_scratch, 0
	.set _ZN4vllm32paged_attention_v2_reduce_kernelI14__hip_bfloat16Li192ELi128ELi512EEEvPT_PKfS5_PKS2_PKii.has_dyn_sized_stack, 0
	.set _ZN4vllm32paged_attention_v2_reduce_kernelI14__hip_bfloat16Li192ELi128ELi512EEEvPT_PKfS5_PKS2_PKii.has_recursion, 0
	.set _ZN4vllm32paged_attention_v2_reduce_kernelI14__hip_bfloat16Li192ELi128ELi512EEEvPT_PKfS5_PKS2_PKii.has_indirect_call, 0
	.section	.AMDGPU.csdata,"",@progbits
; Kernel info:
; codeLenInByte = 2816
; TotalNumSgprs: 28
; NumVgprs: 19
; ScratchSize: 0
; MemoryBound: 0
; FloatMode: 240
; IeeeMode: 1
; LDSByteSize: 32 bytes/workgroup (compile time only)
; SGPRBlocks: 0
; VGPRBlocks: 2
; NumSGPRsForWavesPerEU: 28
; NumVGPRsForWavesPerEU: 19
; Occupancy: 16
; WaveLimiterHint : 0
; COMPUTE_PGM_RSRC2:SCRATCH_EN: 0
; COMPUTE_PGM_RSRC2:USER_SGPR: 2
; COMPUTE_PGM_RSRC2:TRAP_HANDLER: 0
; COMPUTE_PGM_RSRC2:TGID_X_EN: 1
; COMPUTE_PGM_RSRC2:TGID_Y_EN: 1
; COMPUTE_PGM_RSRC2:TGID_Z_EN: 0
; COMPUTE_PGM_RSRC2:TIDIG_COMP_CNT: 0
	.section	.text._ZN4vllm25paged_attention_v2_kernelI14__hip_bfloat16S1_Li256ELi8ELi128ELNS_18Fp8KVCacheDataTypeE0ELb1ELi512EEEvPfS3_PT_PKS4_PKT0_SA_ifPKiSC_iPKfiiiSE_SE_iiiii,"axG",@progbits,_ZN4vllm25paged_attention_v2_kernelI14__hip_bfloat16S1_Li256ELi8ELi128ELNS_18Fp8KVCacheDataTypeE0ELb1ELi512EEEvPfS3_PT_PKS4_PKT0_SA_ifPKiSC_iPKfiiiSE_SE_iiiii,comdat
	.protected	_ZN4vllm25paged_attention_v2_kernelI14__hip_bfloat16S1_Li256ELi8ELi128ELNS_18Fp8KVCacheDataTypeE0ELb1ELi512EEEvPfS3_PT_PKS4_PKT0_SA_ifPKiSC_iPKfiiiSE_SE_iiiii ; -- Begin function _ZN4vllm25paged_attention_v2_kernelI14__hip_bfloat16S1_Li256ELi8ELi128ELNS_18Fp8KVCacheDataTypeE0ELb1ELi512EEEvPfS3_PT_PKS4_PKT0_SA_ifPKiSC_iPKfiiiSE_SE_iiiii
	.globl	_ZN4vllm25paged_attention_v2_kernelI14__hip_bfloat16S1_Li256ELi8ELi128ELNS_18Fp8KVCacheDataTypeE0ELb1ELi512EEEvPfS3_PT_PKS4_PKT0_SA_ifPKiSC_iPKfiiiSE_SE_iiiii
	.p2align	8
	.type	_ZN4vllm25paged_attention_v2_kernelI14__hip_bfloat16S1_Li256ELi8ELi128ELNS_18Fp8KVCacheDataTypeE0ELb1ELi512EEEvPfS3_PT_PKS4_PKT0_SA_ifPKiSC_iPKfiiiSE_SE_iiiii,@function
_ZN4vllm25paged_attention_v2_kernelI14__hip_bfloat16S1_Li256ELi8ELi128ELNS_18Fp8KVCacheDataTypeE0ELb1ELi512EEEvPfS3_PT_PKS4_PKT0_SA_ifPKiSC_iPKfiiiSE_SE_iiiii: ; @_ZN4vllm25paged_attention_v2_kernelI14__hip_bfloat16S1_Li256ELi8ELi128ELNS_18Fp8KVCacheDataTypeE0ELb1ELi512EEEvPfS3_PT_PKS4_PKT0_SA_ifPKiSC_iPKfiiiSE_SE_iiiii
; %bb.0:
	s_load_b64 s[2:3], s[0:1], 0x40
	s_and_b32 s22, ttmp7, 0xffff
	s_lshr_b32 s33, ttmp7, 16
	s_lshl_b32 s4, s22, 2
	s_lshl_b32 s16, s33, 9
	s_wait_kmcnt 0x0
	s_load_b32 s17, s[2:3], s4 offset:0x0
	s_wait_kmcnt 0x0
	s_cmp_ge_i32 s16, s17
	s_cbranch_scc1 .LBB142_70
; %bb.1:
	s_clause 0x1
	s_load_b32 s23, s[0:1], 0x90
	s_load_b64 s[6:7], s[0:1], 0x30
	s_wait_kmcnt 0x0
	s_abs_i32 s5, s23
	s_abs_i32 s2, s6
	s_delay_alu instid0(SALU_CYCLE_1) | instskip(SKIP_1) | instid1(SALU_CYCLE_2)
	s_cvt_f32_u32 s3, s2
	s_sub_co_i32 s4, 0, s2
	v_rcp_iflag_f32_e32 v1, s3
	s_delay_alu instid0(TRANS32_DEP_1) | instskip(SKIP_2) | instid1(SALU_CYCLE_2)
	v_readfirstlane_b32 s3, v1
	s_mul_f32 s3, s3, 0x4f7ffffe
	s_wait_alu 0xfffe
	s_cvt_u32_f32 s3, s3
	s_wait_alu 0xfffe
	s_delay_alu instid0(SALU_CYCLE_2) | instskip(NEXT) | instid1(SALU_CYCLE_1)
	s_mul_i32 s4, s4, s3
	s_mul_hi_u32 s4, s3, s4
	s_delay_alu instid0(SALU_CYCLE_1)
	s_add_co_i32 s3, s3, s4
	s_xor_b32 s4, s23, s6
	s_wait_alu 0xfffe
	s_mul_hi_u32 s3, s5, s3
	s_ashr_i32 s4, s4, 31
	s_wait_alu 0xfffe
	s_mul_i32 s8, s3, s2
	s_delay_alu instid0(SALU_CYCLE_1)
	s_sub_co_i32 s5, s5, s8
	s_add_co_i32 s8, s3, 1
	s_sub_co_i32 s9, s5, s2
	s_cmp_ge_u32 s5, s2
	s_cselect_b32 s3, s8, s3
	s_cselect_b32 s5, s9, s5
	s_wait_alu 0xfffe
	s_add_co_i32 s8, s3, 1
	s_cmp_ge_u32 s5, s2
	s_cselect_b32 s2, s8, s3
	s_load_b64 s[8:9], s[0:1], 0x50
	s_xor_b32 s2, s2, s4
	s_mov_b32 s3, 0
	s_wait_alu 0xfffe
	s_sub_co_i32 s10, s2, s4
	s_mov_b32 s15, s3
	s_abs_i32 s20, s10
	s_delay_alu instid0(SALU_CYCLE_1) | instskip(SKIP_1) | instid1(SALU_CYCLE_2)
	s_cvt_f32_u32 s2, s20
	s_wait_alu 0xfffe
	v_rcp_iflag_f32_e32 v1, s2
	s_delay_alu instid0(TRANS32_DEP_1) | instskip(SKIP_2) | instid1(SALU_CYCLE_2)
	v_readfirstlane_b32 s2, v1
	s_mul_f32 s2, s2, 0x4f7ffffe
	s_wait_alu 0xfffe
	s_cvt_u32_f32 s4, s2
	s_sub_co_i32 s2, 0, s20
	s_wait_alu 0xfffe
	s_delay_alu instid0(SALU_CYCLE_1)
	s_mul_i32 s2, s2, s4
	s_wait_alu 0xfffe
	s_mul_hi_u32 s5, s4, s2
	s_abs_i32 s2, ttmp9
	s_add_co_i32 s4, s4, s5
	s_mov_b32 s5, s3
	s_wait_kmcnt 0x0
	s_cmp_eq_u64 s[8:9], 0
	s_cbranch_scc1 .LBB142_3
; %bb.2:
	s_mov_b32 s12, ttmp9
	s_ashr_i32 s13, ttmp9, 31
	s_delay_alu instid0(SALU_CYCLE_1) | instskip(NEXT) | instid1(SALU_CYCLE_1)
	s_lshl_b64 s[12:13], s[12:13], 2
	s_add_nc_u64 s[8:9], s[8:9], s[12:13]
	s_load_b32 s15, s[8:9], 0x0
.LBB142_3:
	s_load_b96 s[12:14], s[0:1], 0x58
	v_and_b32_e32 v1, 3, v0
	v_lshlrev_b32_e32 v2, 2, v0
	s_mul_u64 s[4:5], s[2:3], s[4:5]
	s_ashr_i32 s3, ttmp9, 31
	s_ashr_i32 s4, s10, 31
	s_lshl_b32 s18, ttmp9, 8
	s_mov_b32 s8, exec_lo
	v_cmpx_gt_u32_e32 0x80, v0
	s_cbranch_execz .LBB142_5
; %bb.4:
	s_load_b64 s[10:11], s[0:1], 0x18
	s_wait_kmcnt 0x0
	s_mul_i32 s24, s12, s22
	s_ashr_i32 s19, s18, 31
	s_ashr_i32 s25, s24, 31
	v_and_b32_e32 v4, 0x3fc, v0
	s_lshl_b64 s[24:25], s[24:25], 1
	s_delay_alu instid0(VALU_DEP_1) | instskip(SKIP_2) | instid1(SALU_CYCLE_1)
	v_lshl_add_u32 v4, v1, 7, v4
	s_add_nc_u64 s[10:11], s[10:11], s[24:25]
	s_lshl_b64 s[24:25], s[18:19], 1
	s_add_nc_u64 s[10:11], s[10:11], s[24:25]
	global_load_b32 v3, v2, s[10:11]
	s_wait_loadcnt 0x0
	ds_store_b32 v4, v3
.LBB142_5:
	s_or_b32 exec_lo, exec_lo, s8
	s_clause 0x1
	s_load_b128 s[8:11], s[0:1], 0x78
	s_load_b32 s24, s[0:1], 0x88
	s_wait_kmcnt 0x0
	s_mul_i32 s12, s5, s20
	s_xor_b32 s3, s3, s4
	s_sub_co_i32 s2, s2, s12
	s_add_co_i32 s4, s5, 1
	s_wait_alu 0xfffe
	s_sub_co_i32 s12, s2, s20
	s_cmp_ge_u32 s2, s20
	s_mov_b32 s26, -1
	s_cselect_b32 s4, s4, s5
	s_cselect_b32 s2, s12, s2
	s_add_co_i32 s5, s4, 1
	s_wait_alu 0xfffe
	s_cmp_ge_u32 s2, s20
	s_wait_dscnt 0x0
	s_cselect_b32 s2, s5, s4
	s_add_co_i32 s25, s17, -1
	s_wait_alu 0xfffe
	s_xor_b32 s2, s2, s3
	s_barrier_signal -1
	s_wait_alu 0xfffe
	s_sub_co_i32 s28, s2, s3
	s_barrier_wait -1
	s_abs_i32 s12, s11
	global_inv scope:SCOPE_SE
	s_cvt_f32_u32 s4, s12
                                        ; implicit-def: $sgpr19
	s_delay_alu instid0(SALU_CYCLE_3) | instskip(NEXT) | instid1(TRANS32_DEP_1)
	v_rcp_iflag_f32_e32 v3, s4
	v_readfirstlane_b32 s4, v3
	s_mul_f32 s2, s4, 0x4f7ffffe
	s_wait_alu 0xfffe
	s_delay_alu instid0(SALU_CYCLE_2) | instskip(SKIP_2) | instid1(SALU_CYCLE_1)
	s_cvt_u32_f32 s4, s2
	s_sub_co_i32 s2, 0, s12
	s_wait_alu 0xfffe
	s_mul_i32 s3, s2, s4
	s_abs_i32 s2, s25
	s_wait_alu 0xfffe
	s_mul_hi_u32 s5, s4, s3
	s_mov_b32 s3, 0
	s_wait_alu 0xfffe
	s_add_co_i32 s20, s4, s5
	s_cmp_lt_i32 s24, 0
	s_mov_b32 s21, s3
	s_cbranch_scc0 .LBB142_7
; %bb.6:
	s_mul_i32 s4, s8, s6
	s_mov_b32 s26, s3
	s_wait_alu 0xfffe
	s_add_co_i32 s4, s28, s4
	s_wait_alu 0xfffe
	s_mul_i32 s4, s4, s24
	s_wait_alu 0xfffe
	s_sub_co_i32 s19, 1, s4
.LBB142_7:
	s_mul_u64 s[4:5], s[2:3], s[20:21]
	s_ashr_i32 s3, s25, 31
	s_and_not1_b32 vcc_lo, exec_lo, s26
	s_ashr_i32 s11, s11, 31
	s_cbranch_vccnz .LBB142_9
; %bb.8:
	s_mul_i32 s4, s23, s8
	s_wait_alu 0xfffe
	s_add_co_i32 s4, s4, ttmp9
	s_wait_alu 0xfffe
	s_mul_i32 s4, s4, s24
	s_wait_alu 0xfffe
	s_add_co_i32 s19, s4, 1
.LBB142_9:
	s_clause 0x2
	s_load_b32 s4, s[0:1], 0x48
	s_load_b64 s[24:25], s[0:1], 0x38
	s_load_b32 s8, s[0:1], 0x98
	s_mul_i32 s6, s5, s12
	s_xor_b32 s3, s3, s11
	s_sub_co_i32 s2, s2, s6
	s_add_co_i32 s21, s5, 1
	v_lshrrev_b32_e32 v43, 5, v0
	v_mbcnt_lo_u32_b32 v24, -1, 0
	s_mul_i32 s28, s28, s14
	s_delay_alu instid0(VALU_DEP_2)
	v_lshl_add_u32 v44, v43, 3, s16
	s_wait_kmcnt 0x0
	s_mul_i32 s26, s4, s22
	s_wait_alu 0xfffe
	s_sub_co_i32 s4, s2, s12
	s_ashr_i32 s27, s26, 31
	s_cmp_ge_u32 s2, s12
	s_cselect_b32 s5, s21, s5
	s_wait_alu 0xfffe
	s_cselect_b32 s2, s4, s2
	s_add_co_i32 s4, s5, 1
	s_wait_alu 0xfffe
	s_cmp_ge_u32 s2, s12
	s_cselect_b32 s2, s4, s5
	s_add_co_i32 s4, s17, 7
	s_lshl_b32 s36, s33, 6
	s_wait_alu 0xfffe
	s_ashr_i32 s5, s4, 31
	v_or_b32_e32 v45, s36, v43
	s_wait_alu 0xfffe
	s_lshr_b32 s5, s5, 29
	v_mov_b32_e32 v26, 0xff7fffff
	s_wait_alu 0xfffe
	s_add_co_i32 s4, s4, s5
	s_add_co_i32 s5, s36, 64
	s_wait_alu 0xfffe
	s_ashr_i32 s34, s4, 3
	s_xor_b32 s4, s2, s3
	s_min_i32 s21, s5, s34
	v_lshlrev_b32_e32 v23, 2, v45
	v_cmp_gt_i32_e64 s2, s21, v45
	s_wait_alu 0xfffe
	s_sub_co_i32 s35, s4, s3
	s_and_saveexec_b32 s6, s2
	s_cbranch_execz .LBB142_21
; %bb.10:
	s_ashr_i32 s29, s28, 31
	s_sub_co_i32 s14, s35, s9
	s_lshl_b64 s[4:5], s[28:29], 1
	s_cmp_neq_f32 s15, 0
	s_load_b64 s[38:39], s[0:1], 0x20
	v_bfe_u32 v25, v0, 2, 3
	v_dual_mov_b32 v26, 0xff7fffff :: v_dual_lshlrev_b32 v27, 7, v1
	s_cselect_b32 vcc_lo, -1, 0
	s_abs_i32 s29, s10
	s_delay_alu instid0(VALU_DEP_2)
	v_lshlrev_b32_e32 v5, 2, v25
	s_cvt_f32_u32 s3, s29
	v_dual_mov_b32 v33, 0xff7fffff :: v_dual_and_b32 v2, 12, v2
	v_mov_b32_e32 v36, v45
	s_wait_alu 0xfffe
	v_rcp_iflag_f32_e32 v3, s3
	v_cmp_eq_u32_e64 s3, 0, v1
	v_lshlrev_b32_e32 v1, 4, v25
	s_lshl_b64 s[40:41], s[26:27], 2
	v_subrev_nc_u32_e32 v4, s17, v25
	s_add_nc_u64 s[40:41], s[24:25], s[40:41]
	s_sub_co_i32 s37, 0, s29
	v_lshl_add_u32 v30, v43, 3, s16
	v_xor_b32_e32 v34, 2, v24
	s_wait_kmcnt 0x0
	s_add_nc_u64 s[4:5], s[38:39], s[4:5]
	v_readfirstlane_b32 s31, v3
	s_wait_alu 0xfffe
	v_add_co_u32 v1, s4, s4, v1
	v_lshl_or_b32 v3, v43, 5, v5
	s_wait_alu 0xf1ff
	v_add_co_ci_u32_e64 v5, null, s5, 0, s4
	s_mul_f32 s31, s31, 0x4f7ffffe
	v_add_co_u32 v28, s4, v1, v2
	s_wait_alu 0xf1ff
	v_add_co_ci_u32_e64 v29, null, 0, v5, s4
	s_cvt_u32_f32 s5, s31
	v_add_co_u32 v21, s4, s40, v23
	s_wait_alu 0xf1ff
	v_add_co_ci_u32_e64 v22, null, s41, 0, s4
	s_wait_alu 0xfffe
	s_mul_i32 s37, s37, s5
	v_add_nc_u32_e32 v31, 1, v4
	v_add_nc_u32_e32 v32, 0x220, v3
	v_xor_b32_e32 v35, 1, v24
	s_wait_alu 0xfffe
	s_mul_hi_u32 s4, s5, s37
	s_mov_b32 s30, 0
	s_mov_b32 s31, s13
	s_wait_alu 0xfffe
	s_add_co_i32 s37, s5, s4
	s_branch .LBB142_13
.LBB142_11:                             ;   in Loop: Header=BB142_13 Depth=1
	s_or_b32 exec_lo, exec_lo, s38
.LBB142_12:                             ;   in Loop: Header=BB142_13 Depth=1
	s_wait_alu 0xfffe
	s_or_b32 exec_lo, exec_lo, s5
	v_add_nc_u32_e32 v36, 4, v36
	v_add_co_u32 v21, s5, v21, 16
	s_wait_alu 0xf1ff
	v_add_co_ci_u32_e64 v22, null, 0, v22, s5
	s_delay_alu instid0(VALU_DEP_3)
	v_cmp_le_i32_e64 s4, s21, v36
	v_add_nc_u32_e32 v30, 32, v30
	v_add_nc_u32_e32 v32, 0x80, v32
	s_or_b32 s30, s4, s30
	s_wait_alu 0xfffe
	s_and_not1_b32 exec_lo, exec_lo, s30
	s_cbranch_execz .LBB142_20
.LBB142_13:                             ; =>This Inner Loop Header: Depth=1
	v_sub_nc_u32_e32 v1, 0, v30
	s_delay_alu instid0(VALU_DEP_1) | instskip(SKIP_1) | instid1(VALU_DEP_1)
	v_max_i32_e32 v1, v30, v1
	s_wait_dscnt 0x0
	v_mul_hi_u32 v2, v1, s20
	s_delay_alu instid0(VALU_DEP_1) | instskip(NEXT) | instid1(VALU_DEP_1)
	v_mul_lo_u32 v3, v2, s12
	v_sub_nc_u32_e32 v1, v1, v3
	v_add_nc_u32_e32 v3, 1, v2
	s_delay_alu instid0(VALU_DEP_2) | instskip(SKIP_2) | instid1(VALU_DEP_1)
	v_subrev_nc_u32_e32 v4, s12, v1
	v_cmp_le_u32_e64 s4, s12, v1
	s_wait_alu 0xf1ff
	v_cndmask_b32_e64 v2, v2, v3, s4
	s_delay_alu instid0(VALU_DEP_3) | instskip(SKIP_1) | instid1(VALU_DEP_3)
	v_cndmask_b32_e64 v1, v1, v4, s4
	v_ashrrev_i32_e32 v3, 31, v30
	v_add_nc_u32_e32 v4, 1, v2
	s_delay_alu instid0(VALU_DEP_3) | instskip(NEXT) | instid1(VALU_DEP_3)
	v_cmp_le_u32_e64 s4, s12, v1
	v_xor_b32_e32 v3, s11, v3
	s_wait_alu 0xf1ff
	s_delay_alu instid0(VALU_DEP_2) | instskip(NEXT) | instid1(VALU_DEP_1)
	v_cndmask_b32_e64 v1, v2, v4, s4
	v_xor_b32_e32 v1, v1, v3
	s_delay_alu instid0(VALU_DEP_1) | instskip(NEXT) | instid1(VALU_DEP_1)
	v_sub_nc_u32_e32 v1, v1, v3
	v_add_nc_u32_e32 v2, s19, v1
	v_cmp_ge_i32_e64 s5, s14, v1
	s_delay_alu instid0(VALU_DEP_2) | instskip(NEXT) | instid1(VALU_DEP_1)
	v_sub_nc_u32_e32 v3, 0, v2
	v_max_i32_e32 v3, v2, v3
	v_ashrrev_i32_e32 v2, 31, v2
	s_wait_alu 0xfffe
	s_delay_alu instid0(VALU_DEP_2) | instskip(NEXT) | instid1(VALU_DEP_1)
	v_mul_hi_u32 v4, v3, s37
	v_mul_lo_u32 v4, v4, s29
	s_delay_alu instid0(VALU_DEP_1) | instskip(NEXT) | instid1(VALU_DEP_1)
	v_sub_nc_u32_e32 v3, v3, v4
	v_subrev_nc_u32_e32 v4, s29, v3
	v_cmp_le_u32_e64 s4, s29, v3
	s_wait_alu 0xf1ff
	s_delay_alu instid0(VALU_DEP_1) | instskip(NEXT) | instid1(VALU_DEP_1)
	v_cndmask_b32_e64 v3, v3, v4, s4
	v_subrev_nc_u32_e32 v4, s29, v3
	v_cmp_le_u32_e64 s4, s29, v3
	s_wait_alu 0xf1ff
	s_delay_alu instid0(VALU_DEP_1) | instskip(NEXT) | instid1(VALU_DEP_1)
	v_cndmask_b32_e64 v3, v3, v4, s4
	v_xor_b32_e32 v3, v3, v2
	s_delay_alu instid0(VALU_DEP_1) | instskip(NEXT) | instid1(VALU_DEP_1)
	v_sub_nc_u32_e32 v2, v3, v2
	v_cmp_ne_u32_e64 s4, 0, v2
	s_and_b32 s4, s4, s5
	s_wait_alu 0xfffe
	s_and_saveexec_b32 s5, s4
	s_wait_alu 0xfffe
	s_xor_b32 s4, exec_lo, s5
	s_cbranch_execz .LBB142_17
; %bb.14:                               ;   in Loop: Header=BB142_13 Depth=1
	s_and_saveexec_b32 s5, s3
; %bb.15:                               ;   in Loop: Header=BB142_13 Depth=1
	ds_store_b32 v32, v33
; %bb.16:                               ;   in Loop: Header=BB142_13 Depth=1
	s_wait_alu 0xfffe
	s_or_b32 exec_lo, exec_lo, s5
.LBB142_17:                             ;   in Loop: Header=BB142_13 Depth=1
	s_wait_alu 0xfffe
	s_and_not1_saveexec_b32 s5, s4
	s_cbranch_execz .LBB142_12
; %bb.18:                               ;   in Loop: Header=BB142_13 Depth=1
	global_load_b32 v1, v[21:22], off
	s_wait_loadcnt 0x0
	v_mad_co_i64_i32 v[1:2], null, v1, s31, 0
	s_delay_alu instid0(VALU_DEP_1) | instskip(NEXT) | instid1(VALU_DEP_1)
	v_lshlrev_b64_e32 v[1:2], 1, v[1:2]
	v_add_co_u32 v1, s4, v28, v1
	s_wait_alu 0xf1ff
	s_delay_alu instid0(VALU_DEP_2)
	v_add_co_ci_u32_e64 v2, null, v29, v2, s4
	v_cmp_gt_i32_e64 s4, 32, v34
	s_clause 0x1f
	global_load_b32 v70, v[1:2], off offset:128
	global_load_b32 v69, v[1:2], off offset:256
	;; [unrolled: 1-line block ×7, first 2 shown]
	global_load_b32 v71, v[1:2], off
	global_load_b32 v63, v[1:2], off offset:1024
	global_load_b32 v62, v[1:2], off offset:1152
	;; [unrolled: 1-line block ×24, first 2 shown]
	ds_load_b128 v[72:75], v27
	ds_load_b128 v[76:79], v27 offset:16
	ds_load_b128 v[80:83], v27 offset:32
	;; [unrolled: 1-line block ×7, first 2 shown]
	s_wait_loadcnt 0x1f
	v_lshlrev_b32_e32 v105, 16, v70
	v_and_b32_e32 v70, 0xffff0000, v70
	s_wait_dscnt 0x7
	v_lshlrev_b32_e32 v85, 16, v73
	v_and_b32_e32 v73, 0xffff0000, v73
	s_wait_loadcnt 0x18
	s_delay_alu instid0(VALU_DEP_1) | instskip(NEXT) | instid1(VALU_DEP_3)
	v_dual_mul_f32 v70, v73, v70 :: v_dual_lshlrev_b32 v107, 16, v71
	v_dual_mul_f32 v85, v85, v105 :: v_dual_lshlrev_b32 v84, 16, v72
	v_lshlrev_b32_e32 v86, 16, v74
	v_and_b32_e32 v72, 0xffff0000, v72
	v_and_b32_e32 v71, 0xffff0000, v71
	v_lshlrev_b32_e32 v105, 16, v69
	s_wait_dscnt 0x6
	v_dual_fmac_f32 v85, v84, v107 :: v_dual_lshlrev_b32 v88, 16, v76
	s_delay_alu instid0(VALU_DEP_3)
	v_dual_fmac_f32 v70, v72, v71 :: v_dual_lshlrev_b32 v89, 16, v77
	v_and_b32_e32 v74, 0xffff0000, v74
	v_and_b32_e32 v69, 0xffff0000, v69
	v_lshlrev_b32_e32 v87, 16, v75
	v_dual_fmac_f32 v85, v86, v105 :: v_dual_lshlrev_b32 v72, 16, v68
	v_and_b32_e32 v68, 0xffff0000, v68
	s_delay_alu instid0(VALU_DEP_4)
	v_fmac_f32_e32 v70, v74, v69
	v_lshlrev_b32_e32 v90, 16, v78
	v_and_b32_e32 v78, 0xffff0000, v78
	v_and_b32_e32 v75, 0xffff0000, v75
	v_dual_fmac_f32 v85, v87, v72 :: v_dual_lshlrev_b32 v74, 16, v67
	v_lshlrev_b32_e32 v91, 16, v79
	s_wait_dscnt 0x5
	v_lshlrev_b32_e32 v92, 16, v80
	v_dual_fmac_f32 v70, v75, v68 :: v_dual_and_b32 v67, 0xffff0000, v67
	v_and_b32_e32 v76, 0xffff0000, v76
	v_lshlrev_b32_e32 v68, 16, v66
	v_fmac_f32_e32 v85, v88, v74
	v_lshlrev_b32_e32 v93, 16, v81
	v_lshlrev_b32_e32 v94, 16, v82
	v_and_b32_e32 v66, 0xffff0000, v66
	v_dual_fmac_f32 v70, v76, v67 :: v_dual_lshlrev_b32 v67, 16, v65
	v_fmac_f32_e32 v85, v89, v68
	v_and_b32_e32 v80, 0xffff0000, v80
	v_and_b32_e32 v77, 0xffff0000, v77
	v_lshlrev_b32_e32 v95, 16, v83
	v_and_b32_e32 v65, 0xffff0000, v65
	v_fmac_f32_e32 v85, v90, v67
	s_delay_alu instid0(VALU_DEP_4)
	v_dual_fmac_f32 v70, v77, v66 :: v_dual_and_b32 v83, 0xffff0000, v83
	v_lshlrev_b32_e32 v66, 16, v64
	v_and_b32_e32 v81, 0xffff0000, v81
	v_and_b32_e32 v79, 0xffff0000, v79
	;; [unrolled: 1-line block ×3, first 2 shown]
	s_wait_loadcnt 0x17
	v_dual_fmac_f32 v70, v78, v65 :: v_dual_lshlrev_b32 v65, 16, v63
	v_fmac_f32_e32 v85, v91, v66
	s_delay_alu instid0(VALU_DEP_2) | instskip(SKIP_1) | instid1(VALU_DEP_2)
	v_dual_fmac_f32 v70, v79, v64 :: v_dual_and_b32 v63, 0xffff0000, v63
	s_wait_loadcnt 0x16
	v_dual_fmac_f32 v85, v92, v65 :: v_dual_lshlrev_b32 v64, 16, v62
	v_and_b32_e32 v62, 0xffff0000, v62
	s_wait_loadcnt 0x15
	v_dual_fmac_f32 v70, v80, v63 :: v_dual_lshlrev_b32 v63, 16, v61
	s_delay_alu instid0(VALU_DEP_3) | instskip(NEXT) | instid1(VALU_DEP_2)
	v_fmac_f32_e32 v85, v93, v64
	v_dual_fmac_f32 v70, v81, v62 :: v_dual_and_b32 v61, 0xffff0000, v61
	s_wait_loadcnt 0x14
	s_delay_alu instid0(VALU_DEP_2)
	v_dual_fmac_f32 v85, v94, v63 :: v_dual_lshlrev_b32 v62, 16, v60
	s_wait_dscnt 0x4
	v_lshlrev_b32_e32 v96, 16, v13
	v_and_b32_e32 v60, 0xffff0000, v60
	v_and_b32_e32 v13, 0xffff0000, v13
	v_fmac_f32_e32 v85, v95, v62
	v_and_b32_e32 v82, 0xffff0000, v82
	s_wait_loadcnt 0x13
	s_delay_alu instid0(VALU_DEP_1) | instskip(NEXT) | instid1(VALU_DEP_1)
	v_dual_fmac_f32 v70, v82, v61 :: v_dual_lshlrev_b32 v61, 16, v59
	v_dual_fmac_f32 v70, v83, v60 :: v_dual_and_b32 v59, 0xffff0000, v59
	v_lshlrev_b32_e32 v97, 16, v14
	v_and_b32_e32 v14, 0xffff0000, v14
	s_wait_loadcnt 0x12
	v_lshlrev_b32_e32 v60, 16, v58
	v_dual_fmac_f32 v85, v96, v61 :: v_dual_and_b32 v58, 0xffff0000, v58
	v_fmac_f32_e32 v70, v13, v59
	v_lshlrev_b32_e32 v98, 16, v15
	v_lshlrev_b32_e32 v99, 16, v16
	v_and_b32_e32 v15, 0xffff0000, v15
	s_wait_loadcnt 0x11
	v_lshlrev_b32_e32 v13, 16, v57
	v_and_b32_e32 v57, 0xffff0000, v57
	v_dual_fmac_f32 v85, v97, v60 :: v_dual_fmac_f32 v70, v14, v58
	s_wait_dscnt 0x3
	v_lshlrev_b32_e32 v101, 16, v10
	v_lshlrev_b32_e32 v102, 16, v11
	v_and_b32_e32 v16, 0xffff0000, v16
	s_wait_loadcnt 0x10
	v_lshlrev_b32_e32 v14, 16, v56
	v_dual_fmac_f32 v85, v98, v13 :: v_dual_and_b32 v56, 0xffff0000, v56
	v_fmac_f32_e32 v70, v15, v57
	v_lshlrev_b32_e32 v100, 16, v9
	v_and_b32_e32 v9, 0xffff0000, v9
	s_wait_loadcnt 0xf
	v_lshlrev_b32_e32 v13, 16, v55
	v_and_b32_e32 v15, 0xffff0000, v55
	v_dual_fmac_f32 v85, v99, v14 :: v_dual_fmac_f32 v70, v16, v56
	v_lshlrev_b32_e32 v103, 16, v12
	v_and_b32_e32 v10, 0xffff0000, v10
	s_wait_loadcnt 0xe
	v_lshlrev_b32_e32 v14, 16, v54
	v_dual_fmac_f32 v85, v100, v13 :: v_dual_and_b32 v16, 0xffff0000, v54
	v_fmac_f32_e32 v70, v9, v15
	s_wait_dscnt 0x2
	v_lshlrev_b32_e32 v104, 16, v5
	v_and_b32_e32 v11, 0xffff0000, v11
	s_wait_loadcnt 0xd
	v_lshlrev_b32_e32 v13, 16, v53
	v_and_b32_e32 v15, 0xffff0000, v53
	v_dual_fmac_f32 v85, v101, v14 :: v_dual_fmac_f32 v70, v10, v16
	v_lshlrev_b32_e32 v106, 16, v6
	v_and_b32_e32 v12, 0xffff0000, v12
	s_wait_loadcnt 0xc
	v_lshlrev_b32_e32 v10, 16, v52
	v_dual_fmac_f32 v85, v102, v13 :: v_dual_and_b32 v14, 0xffff0000, v52
	v_dual_fmac_f32 v70, v11, v15 :: v_dual_and_b32 v5, 0xffff0000, v5
	s_wait_loadcnt 0xb
	v_lshlrev_b32_e32 v13, 16, v51
	v_and_b32_e32 v15, 0xffff0000, v51
	v_fmac_f32_e32 v85, v103, v10
	v_fmac_f32_e32 v70, v12, v14
	v_and_b32_e32 v6, 0xffff0000, v6
	s_wait_loadcnt 0xa
	v_lshlrev_b32_e32 v10, 16, v50
	v_dual_fmac_f32 v85, v104, v13 :: v_dual_and_b32 v12, 0xffff0000, v50
	v_fmac_f32_e32 v70, v5, v15
	v_lshlrev_b32_e32 v73, 16, v7
	v_and_b32_e32 v7, 0xffff0000, v7
	s_wait_loadcnt 0x9
	v_lshlrev_b32_e32 v13, 16, v49
	v_dual_fmac_f32 v85, v106, v10 :: v_dual_and_b32 v14, 0xffff0000, v49
	v_fmac_f32_e32 v70, v6, v12
	v_lshlrev_b32_e32 v71, 16, v8
	v_and_b32_e32 v8, 0xffff0000, v8
	s_wait_loadcnt 0x8
	v_lshlrev_b32_e32 v6, 16, v48
	v_dual_fmac_f32 v85, v73, v13 :: v_dual_and_b32 v10, 0xffff0000, v48
	s_wait_dscnt 0x1
	v_dual_fmac_f32 v70, v7, v14 :: v_dual_lshlrev_b32 v69, 16, v1
	v_and_b32_e32 v1, 0xffff0000, v1
	s_wait_loadcnt 0x7
	v_lshlrev_b32_e32 v12, 16, v47
	v_and_b32_e32 v13, 0xffff0000, v47
	v_fmac_f32_e32 v85, v71, v6
	v_fmac_f32_e32 v70, v8, v10
	v_lshlrev_b32_e32 v9, 16, v2
	v_and_b32_e32 v2, 0xffff0000, v2
	s_wait_loadcnt 0x6
	v_lshlrev_b32_e32 v8, 16, v46
	v_dual_fmac_f32 v85, v69, v12 :: v_dual_and_b32 v10, 0xffff0000, v46
	v_dual_fmac_f32 v70, v1, v13 :: v_dual_lshlrev_b32 v11, 16, v3
	v_and_b32_e32 v3, 0xffff0000, v3
	s_wait_loadcnt 0x5
	v_lshlrev_b32_e32 v12, 16, v42
	v_and_b32_e32 v13, 0xffff0000, v42
	v_dual_fmac_f32 v85, v8, v9 :: v_dual_fmac_f32 v70, v10, v2
	v_lshlrev_b32_e32 v5, 16, v4
	v_and_b32_e32 v4, 0xffff0000, v4
	s_wait_loadcnt 0x4
	v_lshlrev_b32_e32 v8, 16, v41
	v_and_b32_e32 v9, 0xffff0000, v41
	v_fmac_f32_e32 v85, v12, v11
	s_wait_dscnt 0x0
	v_dual_fmac_f32 v70, v13, v3 :: v_dual_lshlrev_b32 v7, 16, v17
	v_and_b32_e32 v6, 0xffff0000, v17
	s_wait_loadcnt 0x3
	v_lshlrev_b32_e32 v10, 16, v40
	v_and_b32_e32 v11, 0xffff0000, v40
	v_dual_fmac_f32 v85, v8, v5 :: v_dual_fmac_f32 v70, v9, v4
	v_lshlrev_b32_e32 v1, 16, v18
	v_and_b32_e32 v2, 0xffff0000, v18
	s_wait_loadcnt 0x2
	v_lshlrev_b32_e32 v5, 16, v39
	v_and_b32_e32 v8, 0xffff0000, v39
	v_dual_fmac_f32 v85, v10, v7 :: v_dual_fmac_f32 v70, v11, v6
	v_lshlrev_b32_e32 v3, 16, v19
	;; [unrolled: 6-line block ×3, first 2 shown]
	v_and_b32_e32 v1, 0xffff0000, v20
	s_wait_loadcnt 0x0
	v_lshlrev_b32_e32 v2, 16, v37
	v_and_b32_e32 v5, 0xffff0000, v37
	v_dual_fmac_f32 v85, v7, v3 :: v_dual_fmac_f32 v70, v9, v4
	s_wait_alu 0xf1ff
	v_cndmask_b32_e64 v3, v24, v34, s4
	v_cmp_gt_i32_e64 s4, 32, v35
	s_delay_alu instid0(VALU_DEP_3) | instskip(NEXT) | instid1(VALU_DEP_3)
	v_dual_fmac_f32 v85, v2, v6 :: v_dual_fmac_f32 v70, v5, v1
	v_lshlrev_b32_e32 v1, 2, v3
	s_wait_alu 0xf1ff
	s_delay_alu instid0(VALU_DEP_3) | instskip(NEXT) | instid1(VALU_DEP_1)
	v_cndmask_b32_e64 v3, v24, v35, s4
	v_dual_add_f32 v2, v85, v70 :: v_dual_lshlrev_b32 v3, 2, v3
	ds_bpermute_b32 v1, v1, v2
	s_wait_dscnt 0x0
	v_add_f32_e32 v1, v2, v1
	ds_bpermute_b32 v2, v3, v1
	s_and_saveexec_b32 s38, s3
	s_cbranch_execz .LBB142_11
; %bb.19:                               ;   in Loop: Header=BB142_13 Depth=1
	s_wait_dscnt 0x0
	v_add_f32_e32 v1, v1, v2
	v_add_nc_u32_e32 v3, v31, v30
	s_delay_alu instid0(VALU_DEP_1) | instskip(NEXT) | instid1(VALU_DEP_1)
	v_cvt_f32_i32_e32 v3, v3
	v_mul_f32_e32 v3, s15, v3
	s_delay_alu instid0(VALU_DEP_1) | instskip(NEXT) | instid1(VALU_DEP_1)
	v_dual_cndmask_b32 v2, 0, v3 :: v_dual_max_num_f32 v3, v26, v26
	v_dual_fmac_f32 v2, s7, v1 :: v_dual_add_nc_u32 v1, v25, v30
	s_delay_alu instid0(VALU_DEP_1) | instskip(NEXT) | instid1(VALU_DEP_2)
	v_max_num_f32_e32 v3, v3, v2
	v_cmp_gt_i32_e64 s4, s17, v1
	s_wait_alu 0xf1ff
	s_delay_alu instid0(VALU_DEP_1) | instskip(NEXT) | instid1(VALU_DEP_3)
	v_cndmask_b32_e64 v1, 0, v2, s4
	v_cndmask_b32_e64 v26, v26, v3, s4
	ds_store_b32 v32, v1
	s_branch .LBB142_11
.LBB142_20:
	s_or_b32 exec_lo, exec_lo, s30
.LBB142_21:
	s_delay_alu instid0(SALU_CYCLE_1)
	s_or_b32 exec_lo, exec_lo, s6
	v_xor_b32_e32 v1, 16, v24
	v_xor_b32_e32 v3, 8, v24
	s_clause 0x2
	s_load_b128 s[4:7], s[0:1], 0x0
	s_load_b64 s[14:15], s[0:1], 0x10
	s_load_b64 s[30:31], s[0:1], 0x28
	v_dual_max_num_f32 v5, v26, v26 :: v_dual_and_b32 v46, 31, v0
	v_cmp_gt_i32_e32 vcc_lo, 32, v1
	s_wait_alu 0xfffd
	v_cndmask_b32_e32 v1, v24, v1, vcc_lo
	v_cmp_gt_i32_e32 vcc_lo, 32, v3
	s_wait_alu 0xfffd
	v_cndmask_b32_e32 v3, v24, v3, vcc_lo
	s_delay_alu instid0(VALU_DEP_1)
	v_lshlrev_b32_e32 v4, 2, v3
	s_wait_dscnt 0x0
	v_lshlrev_b32_e32 v2, 2, v1
	ds_bpermute_b32 v1, v2, v26
	s_wait_dscnt 0x0
	v_max_num_f32_e32 v1, v1, v1
	s_delay_alu instid0(VALU_DEP_1)
	v_max_num_f32_e32 v1, v5, v1
	v_xor_b32_e32 v5, 4, v24
	ds_bpermute_b32 v3, v4, v1
	v_cmp_gt_i32_e32 vcc_lo, 32, v5
	s_wait_alu 0xfffd
	v_cndmask_b32_e32 v5, v24, v5, vcc_lo
	v_cmp_eq_u32_e32 vcc_lo, 0, v46
	s_delay_alu instid0(VALU_DEP_2) | instskip(SKIP_3) | instid1(VALU_DEP_1)
	v_lshlrev_b32_e32 v7, 2, v5
	v_lshlrev_b32_e32 v5, 2, v43
	s_wait_dscnt 0x0
	v_max_num_f32_e32 v3, v3, v3
	v_max_num_f32_e32 v1, v1, v3
	ds_bpermute_b32 v3, v7, v1
	s_and_saveexec_b32 s0, vcc_lo
	s_cbranch_execz .LBB142_23
; %bb.22:
	s_wait_dscnt 0x0
	v_max_num_f32_e32 v3, v3, v3
	v_max_num_f32_e32 v1, v1, v1
	s_delay_alu instid0(VALU_DEP_1)
	v_max_num_f32_e32 v1, v1, v3
	ds_store_b32 v5, v1 offset:512
.LBB142_23:
	s_or_b32 exec_lo, exec_lo, s0
	v_cmp_gt_u32_e64 s0, 4, v46
	v_dual_mov_b32 v1, 0xff7fffff :: v_dual_lshlrev_b32 v6, 2, v46
	s_wait_loadcnt_dscnt 0x0
	s_barrier_signal -1
	s_barrier_wait -1
	global_inv scope:SCOPE_SE
	s_and_saveexec_b32 s1, s0
; %bb.24:
	ds_load_b32 v1, v6 offset:512
; %bb.25:
	s_or_b32 exec_lo, exec_lo, s1
	v_xor_b32_e32 v3, 2, v24
	v_xor_b32_e32 v9, 1, v24
	v_mov_b32_e32 v10, 0
	s_delay_alu instid0(VALU_DEP_3) | instskip(NEXT) | instid1(VALU_DEP_1)
	v_cmp_gt_i32_e64 s1, 32, v3
	v_cndmask_b32_e64 v3, v24, v3, s1
	s_delay_alu instid0(VALU_DEP_4) | instskip(NEXT) | instid1(VALU_DEP_2)
	v_cmp_gt_i32_e64 s1, 32, v9
	v_lshlrev_b32_e32 v8, 2, v3
	s_wait_alu 0xf1ff
	s_delay_alu instid0(VALU_DEP_2)
	v_cndmask_b32_e64 v9, v24, v9, s1
	s_sub_co_i32 s1, s21, s36
	s_wait_alu 0xfffe
	s_lshl_b32 s1, s1, 3
	s_wait_dscnt 0x0
	ds_bpermute_b32 v3, v8, v1
	v_max_num_f32_e32 v1, v1, v1
	v_lshlrev_b32_e32 v9, 2, v9
	s_wait_alu 0xfffe
	s_add_co_i32 s1, s1, s16
	s_wait_alu 0xfffe
	s_min_i32 s1, s1, s17
	s_wait_alu 0xfffe
	s_sub_co_i32 s29, s1, s16
	s_wait_alu 0xfffe
	v_cmp_gt_i32_e64 s1, s29, v0
	s_wait_dscnt 0x0
	v_max_num_f32_e32 v3, v3, v3
	s_delay_alu instid0(VALU_DEP_1) | instskip(SKIP_3) | instid1(VALU_DEP_1)
	v_max_num_f32_e32 v1, v1, v3
	ds_bpermute_b32 v3, v9, v1
	s_wait_dscnt 0x0
	v_max_num_f32_e32 v3, v3, v3
	v_max_num_f32_e32 v1, v1, v3
	v_lshl_add_u32 v3, v0, 2, 0x220
	ds_bpermute_b32 v1, v10, v1
	s_and_saveexec_b32 s36, s1
	s_cbranch_execz .LBB142_29
; %bb.26:
	v_lshl_add_u32 v11, v0, 2, 0x220
	v_mov_b32_e32 v10, 0
	v_mov_b32_e32 v12, v0
	s_mov_b32 s37, 0
.LBB142_27:                             ; =>This Inner Loop Header: Depth=1
	ds_load_b32 v13, v11
	v_add_nc_u32_e32 v12, 0x80, v12
	s_delay_alu instid0(VALU_DEP_1) | instskip(SKIP_4) | instid1(VALU_DEP_1)
	v_cmp_le_i32_e64 s3, s29, v12
	s_wait_alu 0xfffe
	s_or_b32 s37, s3, s37
	s_wait_dscnt 0x0
	v_sub_f32_e32 v13, v13, v1
	v_mul_f32_e32 v13, 0x3fb8aa3b, v13
	s_delay_alu instid0(VALU_DEP_1)
	v_exp_f32_e32 v13, v13
	ds_store_b32 v11, v13
	v_dual_add_f32 v10, v10, v13 :: v_dual_add_nc_u32 v11, 0x200, v11
	s_wait_alu 0xfffe
	s_and_not1_b32 exec_lo, exec_lo, s37
	s_cbranch_execnz .LBB142_27
; %bb.28:
	s_or_b32 exec_lo, exec_lo, s37
.LBB142_29:
	s_wait_alu 0xfffe
	s_or_b32 exec_lo, exec_lo, s36
	ds_bpermute_b32 v2, v2, v10
	s_wait_dscnt 0x0
	v_add_f32_e32 v2, v10, v2
	ds_bpermute_b32 v4, v4, v2
	s_wait_dscnt 0x0
	v_add_f32_e32 v2, v2, v4
	;; [unrolled: 3-line block ×5, first 2 shown]
	s_and_saveexec_b32 s3, vcc_lo
; %bb.30:
	ds_store_b32 v5, v2 offset:528
; %bb.31:
	s_wait_alu 0xfffe
	s_or_b32 exec_lo, exec_lo, s3
	s_wait_loadcnt_dscnt 0x0
	s_barrier_signal -1
	s_barrier_wait -1
	global_inv scope:SCOPE_SE
	s_and_saveexec_b32 s3, s0
; %bb.32:
	ds_load_b32 v2, v6 offset:528
; %bb.33:
	s_wait_alu 0xfffe
	s_or_b32 exec_lo, exec_lo, s3
	s_wait_dscnt 0x0
	ds_bpermute_b32 v4, v8, v2
	s_wait_dscnt 0x0
	v_add_f32_e32 v2, v2, v4
	ds_bpermute_b32 v4, v9, v2
	s_wait_dscnt 0x0
	v_add_f32_e32 v2, v2, v4
	v_mov_b32_e32 v4, 0
	ds_bpermute_b32 v2, v4, v2
	s_and_saveexec_b32 s0, s1
	s_cbranch_execz .LBB142_36
; %bb.34:
	s_wait_dscnt 0x0
	v_add_f32_e32 v4, 0x358637bd, v2
	s_mov_b32 s1, 0
	s_delay_alu instid0(VALU_DEP_1) | instskip(SKIP_1) | instid1(VALU_DEP_2)
	v_div_scale_f32 v5, null, v4, v4, 1.0
	v_div_scale_f32 v8, vcc_lo, 1.0, v4, 1.0
	v_rcp_f32_e32 v6, v5
	s_delay_alu instid0(TRANS32_DEP_1) | instskip(NEXT) | instid1(VALU_DEP_1)
	v_fma_f32 v7, -v5, v6, 1.0
	v_fmac_f32_e32 v6, v7, v6
	s_delay_alu instid0(VALU_DEP_1) | instskip(NEXT) | instid1(VALU_DEP_1)
	v_mul_f32_e32 v7, v8, v6
	v_fma_f32 v9, -v5, v7, v8
	s_delay_alu instid0(VALU_DEP_1) | instskip(NEXT) | instid1(VALU_DEP_1)
	v_fmac_f32_e32 v7, v9, v6
	v_fma_f32 v5, -v5, v7, v8
	s_wait_alu 0xfffd
	s_delay_alu instid0(VALU_DEP_1) | instskip(NEXT) | instid1(VALU_DEP_1)
	v_div_fmas_f32 v5, v5, v6, v7
	v_div_fixup_f32 v4, v5, v4, 1.0
	v_mov_b32_e32 v5, v0
.LBB142_35:                             ; =>This Inner Loop Header: Depth=1
	ds_load_b32 v6, v3
	s_wait_dscnt 0x0
	v_dual_mul_f32 v6, v4, v6 :: v_dual_add_nc_u32 v5, 0x80, v5
	s_delay_alu instid0(VALU_DEP_1)
	v_cmp_le_i32_e32 vcc_lo, s29, v5
	ds_store_b32 v3, v6
	v_add_nc_u32_e32 v3, 0x200, v3
	s_wait_alu 0xfffe
	s_or_b32 s1, vcc_lo, s1
	s_wait_alu 0xfffe
	s_and_not1_b32 exec_lo, exec_lo, s1
	s_cbranch_execnz .LBB142_35
.LBB142_36:
	s_wait_alu 0xfffe
	s_or_b32 exec_lo, exec_lo, s0
	s_mul_i32 s0, s8, s22
	s_wait_loadcnt_dscnt 0x0
	s_wait_alu 0xfffe
	s_mul_i32 s22, s0, s23
	s_mov_b32 s0, exec_lo
	s_barrier_signal -1
	s_barrier_wait -1
	global_inv scope:SCOPE_SE
	v_cmpx_eq_u32_e32 0, v0
	s_cbranch_execz .LBB142_38
; %bb.37:
	s_ashr_i32 s23, s22, 31
	s_wait_alu 0xfffe
	s_mul_i32 s36, s8, ttmp9
	s_lshl_b32 s1, s33, 2
	s_lshl_b64 s[38:39], s[22:23], 2
	s_wait_alu 0xfffe
	s_ashr_i32 s37, s36, 31
	v_mov_b32_e32 v3, s1
	s_wait_kmcnt 0x0
	s_add_nc_u64 s[6:7], s[6:7], s[38:39]
	s_wait_alu 0xfffe
	s_lshl_b64 s[36:37], s[36:37], 2
	s_add_nc_u64 s[4:5], s[4:5], s[38:39]
	s_wait_alu 0xfffe
	s_add_nc_u64 s[6:7], s[6:7], s[36:37]
	s_add_nc_u64 s[4:5], s[4:5], s[36:37]
	s_clause 0x1
	global_store_b32 v3, v1, s[6:7]
	global_store_b32 v3, v2, s[4:5]
.LBB142_38:
	s_wait_alu 0xfffe
	s_or_b32 exec_lo, exec_lo, s0
	v_dual_mov_b32 v54, 0 :: v_dual_mov_b32 v53, 0
	v_dual_mov_b32 v52, 0 :: v_dual_mov_b32 v51, 0
	;; [unrolled: 1-line block ×4, first 2 shown]
	s_and_saveexec_b32 s1, s2
	s_cbranch_execz .LBB142_60
; %bb.39:
	s_abs_i32 s2, s10
	s_ashr_i32 s29, s28, 31
	s_wait_alu 0xfffe
	s_cvt_f32_u32 s0, s2
	s_lshl_b64 s[26:27], s[26:27], 2
	v_dual_mov_b32 v47, 0 :: v_dual_lshlrev_b32 v2, 4, v46
	s_wait_alu 0xfffe
	v_rcp_iflag_f32_e32 v1, s0
	s_lshl_b64 s[28:29], s[28:29], 1
	s_add_nc_u64 s[24:25], s[24:25], s[26:27]
	s_sub_co_i32 s3, s35, s9
	s_wait_kmcnt 0x0
	s_wait_alu 0xfffe
	s_add_nc_u64 s[26:27], s[30:31], s[28:29]
	v_add_co_u32 v41, s9, s24, v23
	s_sub_co_i32 s7, 0, s2
	v_add_co_ci_u32_e64 v42, null, s25, 0, s9
	v_readfirstlane_b32 s0, v1
	v_add_co_u32 v56, s9, s26, v2
	v_lshl_add_u32 v55, v43, 5, 0x220
	v_dual_mov_b32 v48, 0 :: v_dual_mov_b32 v49, 0
	s_delay_alu instid0(VALU_DEP_4)
	s_mul_f32 s0, s0, 0x4f7ffffe
	v_add_co_ci_u32_e64 v57, null, s27, 0, s9
	v_dual_mov_b32 v50, 0 :: v_dual_mov_b32 v51, 0
	s_wait_alu 0xfffe
	s_cvt_u32_f32 s0, s0
	v_dual_mov_b32 v52, 0 :: v_dual_mov_b32 v53, 0
	v_mov_b32_e32 v54, 0
	s_wait_alu 0xfffe
	s_mul_i32 s7, s7, s0
	s_mov_b32 s4, s13
	s_wait_alu 0xfffe
	s_mul_hi_u32 s9, s0, s7
	s_add_co_i32 s5, s34, -1
	s_mov_b32 s6, 0
	s_mov_b32 s7, s17
	s_wait_alu 0xfffe
	s_add_co_i32 s9, s0, s9
	s_branch .LBB142_42
.LBB142_40:                             ;   in Loop: Header=BB142_42 Depth=1
	s_wait_alu 0xfffe
	s_or_b32 exec_lo, exec_lo, s0
	s_wait_dscnt 0x1
	v_bfe_u32 v58, v29, 16, 1
	v_or_b32_e32 v59, 0x400000, v29
	v_bfe_u32 v60, v30, 16, 1
	v_cmp_u_f32_e32 vcc_lo, v29, v29
	v_bfe_u32 v61, v31, 16, 1
	v_add3_u32 v58, v58, v29, 0x7fff
	v_or_b32_e32 v62, 0x400000, v30
	v_add3_u32 v60, v60, v30, 0x7fff
	v_or_b32_e32 v63, 0x400000, v31
	v_add3_u32 v61, v61, v31, 0x7fff
	s_wait_alu 0xfffd
	v_cndmask_b32_e32 v29, v58, v59, vcc_lo
	v_cmp_u_f32_e32 vcc_lo, v30, v30
	v_bfe_u32 v58, v32, 16, 1
	s_wait_dscnt 0x0
	v_bfe_u32 v59, v25, 16, 1
	s_wait_alu 0xfffd
	v_cndmask_b32_e32 v30, v60, v62, vcc_lo
	v_cmp_u_f32_e32 vcc_lo, v31, v31
	v_add3_u32 v58, v58, v32, 0x7fff
	v_or_b32_e32 v60, 0x400000, v32
	v_add3_u32 v59, v59, v25, 0x7fff
	v_bfe_u32 v62, v26, 16, 1
	s_wait_alu 0xfffd
	v_cndmask_b32_e32 v31, v61, v63, vcc_lo
	v_cmp_u_f32_e32 vcc_lo, v32, v32
	v_or_b32_e32 v61, 0x400000, v25
	s_wait_alu 0xfffd
	v_cndmask_b32_e32 v32, v58, v60, vcc_lo
	v_cmp_u_f32_e32 vcc_lo, v25, v25
	v_or_b32_e32 v60, 0x400000, v26
	s_wait_alu 0xfffd
	v_dual_cndmask_b32 v58, v59, v61 :: v_dual_and_b32 v25, 0xffff0000, v30
	v_add3_u32 v59, v62, v26, 0x7fff
	v_bfe_u32 v61, v27, 16, 1
	v_cmp_u_f32_e32 vcc_lo, v26, v26
	s_wait_loadcnt 0x1
	v_and_b32_e32 v30, 0xffff0000, v37
	v_bfe_u32 v62, v28, 16, 1
	s_wait_alu 0xfffd
	v_cndmask_b32_e32 v59, v59, v60, vcc_lo
	v_add3_u32 v60, v61, v27, 0x7fff
	v_or_b32_e32 v61, 0x400000, v27
	v_cmp_u_f32_e32 vcc_lo, v27, v27
	v_mul_f32_e32 v30, v25, v30
	v_add3_u32 v27, v62, v28, 0x7fff
	v_and_b32_e32 v26, 0xffff0000, v29
	v_lshlrev_b32_e32 v29, 16, v37
	s_wait_alu 0xfffd
	v_cndmask_b32_e32 v37, v60, v61, vcc_lo
	v_or_b32_e32 v60, 0x400000, v28
	v_cmp_u_f32_e32 vcc_lo, v28, v28
	v_bfe_u32 v61, v30, 16, 1
	v_and_b32_e32 v28, 0xffff0000, v31
	v_lshlrev_b32_e32 v31, 16, v38
	s_wait_alu 0xfffd
	v_dual_cndmask_b32 v27, v27, v60 :: v_dual_mul_f32 v62, v26, v29
	v_and_b32_e32 v29, 0xffff0000, v32
	v_and_b32_e32 v32, 0xffff0000, v38
	v_add3_u32 v60, v61, v30, 0x7fff
	v_or_b32_e32 v61, 0x400000, v30
	v_bfe_u32 v63, v62, 16, 1
	v_cmp_u_f32_e32 vcc_lo, v30, v30
	v_mul_f32_e32 v32, v29, v32
	v_and_b32_e32 v30, 0xffff0000, v59
	s_wait_alu 0xfffd
	v_cndmask_b32_e32 v38, v60, v61, vcc_lo
	v_add3_u32 v60, v63, v62, 0x7fff
	v_or_b32_e32 v61, 0x400000, v62
	v_cmp_u_f32_e32 vcc_lo, v62, v62
	v_bfe_u32 v63, v32, 16, 1
	s_wait_alu 0xfffd
	s_delay_alu instid0(VALU_DEP_3)
	v_cndmask_b32_e32 v59, v60, v61, vcc_lo
	v_mul_f32_e32 v64, v28, v31
	v_and_b32_e32 v31, 0xffff0000, v39
	v_add3_u32 v60, v63, v32, 0x7fff
	v_or_b32_e32 v61, 0x400000, v32
	v_cmp_u_f32_e32 vcc_lo, v32, v32
	s_delay_alu instid0(VALU_DEP_4)
	v_dual_mul_f32 v63, v30, v31 :: v_dual_and_b32 v38, 0xffff0000, v38
	v_and_b32_e32 v31, 0xffff0000, v58
	v_bfe_u32 v62, v64, 16, 1
	s_wait_alu 0xfffd
	v_cndmask_b32_e32 v58, v60, v61, vcc_lo
	v_or_b32_e32 v60, 0x400000, v64
	v_cmp_u_f32_e32 vcc_lo, v64, v64
	v_bfe_u32 v61, v63, 16, 1
	v_add3_u32 v32, v62, v64, 0x7fff
	v_lshlrev_b32_e32 v39, 16, v39
	v_and_b32_e32 v58, 0xffff0000, v58
	v_and_b32_e32 v62, 0xffff0000, v40
	v_add3_u32 v61, v61, v63, 0x7fff
	s_wait_alu 0xfffd
	v_dual_cndmask_b32 v60, v32, v60 :: v_dual_mul_f32 v39, v31, v39
	v_and_b32_e32 v32, 0xffff0000, v37
	v_cmp_u_f32_e32 vcc_lo, v63, v63
	s_delay_alu instid0(VALU_DEP_3) | instskip(SKIP_3) | instid1(VALU_DEP_4)
	v_and_b32_e32 v60, 0xffff0000, v60
	v_and_b32_e32 v59, 0xffff0000, v59
	v_bfe_u32 v64, v39, 16, 1
	v_or_b32_e32 v65, 0x400000, v39
	v_dual_add_f32 v58, v60, v58 :: v_dual_lshlrev_b32 v37, 16, v40
	s_delay_alu instid0(VALU_DEP_4) | instskip(SKIP_3) | instid1(VALU_DEP_4)
	v_add_f32_e32 v38, v59, v38
	v_or_b32_e32 v40, 0x400000, v63
	v_and_b32_e32 v27, 0xffff0000, v27
	v_add3_u32 v64, v64, v39, 0x7fff
	v_dual_mul_f32 v37, v32, v37 :: v_dual_add_f32 v38, v58, v38
	s_wait_alu 0xfffd
	v_cndmask_b32_e32 v40, v61, v40, vcc_lo
	v_cmp_u_f32_e32 vcc_lo, v39, v39
	v_mul_f32_e32 v62, v27, v62
	v_bfe_u32 v63, v37, 16, 1
	s_wait_alu 0xfffd
	v_cndmask_b32_e32 v39, v64, v65, vcc_lo
	s_delay_alu instid0(VALU_DEP_3) | instskip(NEXT) | instid1(VALU_DEP_3)
	v_bfe_u32 v66, v62, 16, 1
	v_add3_u32 v63, v63, v37, 0x7fff
	v_or_b32_e32 v65, 0x400000, v37
	v_cmp_u_f32_e32 vcc_lo, v37, v37
	v_or_b32_e32 v64, 0x400000, v62
	v_add3_u32 v61, v66, v62, 0x7fff
	v_and_b32_e32 v39, 0xffff0000, v39
	s_wait_alu 0xfffd
	v_cndmask_b32_e32 v37, v63, v65, vcc_lo
	v_cmp_u_f32_e32 vcc_lo, v62, v62
	s_delay_alu instid0(VALU_DEP_2) | instskip(SKIP_2) | instid1(VALU_DEP_1)
	v_and_b32_e32 v37, 0xffff0000, v37
	s_wait_alu 0xfffd
	v_cndmask_b32_e32 v59, v61, v64, vcc_lo
	v_and_b32_e32 v58, 0xffff0000, v59
	s_delay_alu instid0(VALU_DEP_1) | instskip(NEXT) | instid1(VALU_DEP_1)
	v_dual_add_f32 v37, v37, v58 :: v_dual_and_b32 v40, 0xffff0000, v40
	v_add_f32_e32 v39, v39, v40
	s_delay_alu instid0(VALU_DEP_1) | instskip(SKIP_3) | instid1(VALU_DEP_4)
	v_add_f32_e32 v38, v39, v38
	v_and_b32_e32 v40, 0xffff0000, v33
	v_and_b32_e32 v39, 0xffff0000, v34
	v_lshlrev_b32_e32 v33, 16, v33
	v_add_f32_e32 v37, v37, v38
	s_delay_alu instid0(VALU_DEP_4) | instskip(NEXT) | instid1(VALU_DEP_3)
	v_mul_f32_e32 v40, v25, v40
	v_dual_mul_f32 v38, v29, v39 :: v_dual_mul_f32 v33, v26, v33
	s_delay_alu instid0(VALU_DEP_3) | instskip(NEXT) | instid1(VALU_DEP_3)
	v_add_f32_e32 v48, v48, v37
	v_bfe_u32 v58, v40, 16, 1
	v_cmp_u_f32_e32 vcc_lo, v40, v40
	s_delay_alu instid0(VALU_DEP_4)
	v_bfe_u32 v59, v33, 16, 1
	v_or_b32_e32 v60, 0x400000, v33
	v_bfe_u32 v61, v38, 16, 1
	v_add3_u32 v39, v58, v40, 0x7fff
	v_or_b32_e32 v58, 0x400000, v40
	v_add3_u32 v59, v59, v33, 0x7fff
	s_delay_alu instid0(VALU_DEP_4) | instskip(SKIP_1) | instid1(VALU_DEP_3)
	v_add3_u32 v40, v61, v38, 0x7fff
	s_wait_alu 0xfffd
	v_cndmask_b32_e32 v39, v39, v58, vcc_lo
	v_cmp_u_f32_e32 vcc_lo, v33, v33
	v_or_b32_e32 v58, 0x400000, v38
	s_wait_alu 0xfffd
	v_cndmask_b32_e32 v33, v59, v60, vcc_lo
	v_cmp_u_f32_e32 vcc_lo, v38, v38
	v_and_b32_e32 v59, 0xffff0000, v35
	v_lshlrev_b32_e32 v35, 16, v35
	s_wait_alu 0xfffd
	v_dual_cndmask_b32 v38, v40, v58 :: v_dual_and_b32 v33, 0xffff0000, v33
	s_delay_alu instid0(VALU_DEP_2) | instskip(SKIP_1) | instid1(VALU_DEP_3)
	v_dual_mul_f32 v35, v31, v35 :: v_dual_lshlrev_b32 v34, 16, v34
	v_mul_f32_e32 v40, v30, v59
	v_and_b32_e32 v38, 0xffff0000, v38
	s_delay_alu instid0(VALU_DEP_3) | instskip(NEXT) | instid1(VALU_DEP_4)
	v_mul_f32_e32 v34, v28, v34
	v_bfe_u32 v62, v35, 16, 1
	s_delay_alu instid0(VALU_DEP_4) | instskip(NEXT) | instid1(VALU_DEP_3)
	v_bfe_u32 v61, v40, 16, 1
	v_bfe_u32 v60, v34, 16, 1
	v_or_b32_e32 v59, 0x400000, v34
	v_cmp_u_f32_e32 vcc_lo, v34, v34
	s_delay_alu instid0(VALU_DEP_3) | instskip(SKIP_3) | instid1(VALU_DEP_3)
	v_add3_u32 v58, v60, v34, 0x7fff
	v_and_b32_e32 v60, 0xffff0000, v36
	v_and_b32_e32 v39, 0xffff0000, v39
	s_wait_alu 0xfffd
	v_cndmask_b32_e32 v34, v58, v59, vcc_lo
	s_delay_alu instid0(VALU_DEP_3)
	v_mul_f32_e32 v58, v27, v60
	v_add3_u32 v59, v61, v40, 0x7fff
	v_or_b32_e32 v60, 0x400000, v40
	v_cmp_u_f32_e32 vcc_lo, v40, v40
	v_add3_u32 v61, v62, v35, 0x7fff
	v_or_b32_e32 v62, 0x400000, v35
	v_add_f32_e32 v33, v33, v39
	v_bfe_u32 v63, v58, 16, 1
	s_wait_alu 0xfffd
	v_cndmask_b32_e32 v40, v59, v60, vcc_lo
	v_cmp_u_f32_e32 vcc_lo, v35, v35
	v_or_b32_e32 v60, 0x400000, v58
	v_add3_u32 v59, v63, v58, 0x7fff
	s_delay_alu instid0(VALU_DEP_4) | instskip(SKIP_4) | instid1(VALU_DEP_2)
	v_and_b32_e32 v39, 0xffff0000, v40
	s_wait_alu 0xfffd
	v_cndmask_b32_e32 v35, v61, v62, vcc_lo
	v_and_b32_e32 v34, 0xffff0000, v34
	v_cmp_u_f32_e32 vcc_lo, v58, v58
	v_dual_add_f32 v34, v34, v38 :: v_dual_and_b32 v35, 0xffff0000, v35
	v_lshlrev_b32_e32 v36, 16, v36
	s_wait_alu 0xfffd
	v_cndmask_b32_e32 v58, v59, v60, vcc_lo
	v_and_b32_e32 v60, 0xffff0000, v24
	v_dual_add_f32 v33, v34, v33 :: v_dual_lshlrev_b32 v24, 16, v24
	v_mul_f32_e32 v36, v32, v36
	s_delay_alu instid0(VALU_DEP_1) | instskip(SKIP_1) | instid1(VALU_DEP_2)
	v_bfe_u32 v59, v36, 16, 1
	v_cmp_u_f32_e32 vcc_lo, v36, v36
	v_add3_u32 v40, v59, v36, 0x7fff
	v_or_b32_e32 v59, 0x400000, v36
	s_wait_alu 0xfffd
	s_delay_alu instid0(VALU_DEP_1) | instskip(SKIP_4) | instid1(VALU_DEP_3)
	v_cndmask_b32_e32 v36, v40, v59, vcc_lo
	v_and_b32_e32 v59, 0xffff0000, v23
	v_and_b32_e32 v38, 0xffff0000, v21
	v_lshlrev_b32_e32 v21, 16, v21
	v_lshlrev_b32_e32 v23, 16, v23
	v_dual_mul_f32 v59, v30, v59 :: v_dual_mul_f32 v34, v25, v38
	v_add_f32_e32 v35, v35, v39
	s_delay_alu instid0(VALU_DEP_4) | instskip(NEXT) | instid1(VALU_DEP_4)
	v_mul_f32_e32 v21, v26, v21
	v_mul_f32_e32 v23, v31, v23
	s_delay_alu instid0(VALU_DEP_4) | instskip(NEXT) | instid1(VALU_DEP_4)
	v_bfe_u32 v38, v34, 16, 1
	v_add_f32_e32 v33, v35, v33
	v_or_b32_e32 v39, 0x400000, v34
	v_cmp_u_f32_e32 vcc_lo, v34, v34
	v_bfe_u32 v40, v21, 16, 1
	v_add3_u32 v38, v38, v34, 0x7fff
	v_and_b32_e32 v35, 0xffff0000, v22
	v_or_b32_e32 v61, 0x400000, v23
	s_wait_alu 0xfffd
	s_delay_alu instid0(VALU_DEP_3) | instskip(NEXT) | instid1(VALU_DEP_3)
	v_cndmask_b32_e32 v34, v38, v39, vcc_lo
	v_mul_f32_e32 v35, v29, v35
	v_add3_u32 v38, v40, v21, 0x7fff
	v_or_b32_e32 v39, 0x400000, v21
	v_cmp_u_f32_e32 vcc_lo, v21, v21
	v_and_b32_e32 v36, 0xffff0000, v36
	v_bfe_u32 v40, v35, 16, 1
	s_wait_alu 0xfffd
	v_cndmask_b32_e32 v21, v38, v39, vcc_lo
	v_or_b32_e32 v39, 0x400000, v35
	s_delay_alu instid0(VALU_DEP_3) | instskip(SKIP_4) | instid1(VALU_DEP_2)
	v_add3_u32 v38, v40, v35, 0x7fff
	v_cmp_u_f32_e32 vcc_lo, v35, v35
	v_lshlrev_b32_e32 v22, 16, v22
	v_dual_mul_f32 v24, v32, v24 :: v_dual_and_b32 v21, 0xffff0000, v21
	s_wait_alu 0xfffd
	v_dual_cndmask_b32 v35, v38, v39 :: v_dual_mul_f32 v22, v28, v22
	s_delay_alu instid0(VALU_DEP_2) | instskip(NEXT) | instid1(VALU_DEP_2)
	v_bfe_u32 v63, v24, 16, 1
	v_bfe_u32 v40, v22, 16, 1
	v_or_b32_e32 v39, 0x400000, v22
	v_cmp_u_f32_e32 vcc_lo, v22, v22
	s_delay_alu instid0(VALU_DEP_3) | instskip(SKIP_2) | instid1(VALU_DEP_2)
	v_add3_u32 v38, v40, v22, 0x7fff
	v_bfe_u32 v40, v59, 16, 1
	s_wait_alu 0xfffd
	v_cndmask_b32_e32 v22, v38, v39, vcc_lo
	v_bfe_u32 v38, v23, 16, 1
	s_delay_alu instid0(VALU_DEP_3)
	v_add3_u32 v39, v40, v59, 0x7fff
	v_mul_f32_e32 v40, v27, v60
	v_or_b32_e32 v60, 0x400000, v59
	v_cmp_u_f32_e32 vcc_lo, v59, v59
	v_add3_u32 v38, v38, v23, 0x7fff
	v_add3_u32 v59, v63, v24, 0x7fff
	v_bfe_u32 v62, v40, 16, 1
	s_wait_alu 0xfffd
	v_cndmask_b32_e32 v39, v39, v60, vcc_lo
	v_cmp_u_f32_e32 vcc_lo, v23, v23
	v_or_b32_e32 v60, 0x400000, v24
	s_wait_alu 0xfffd
	v_dual_cndmask_b32 v23, v38, v61 :: v_dual_and_b32 v22, 0xffff0000, v22
	v_cmp_u_f32_e32 vcc_lo, v24, v24
	v_add3_u32 v38, v62, v40, 0x7fff
	v_and_b32_e32 v35, 0xffff0000, v35
	v_or_b32_e32 v61, 0x400000, v40
	s_wait_alu 0xfffd
	v_dual_cndmask_b32 v24, v59, v60 :: v_dual_and_b32 v23, 0xffff0000, v23
	v_cmp_u_f32_e32 vcc_lo, v40, v40
	v_and_b32_e32 v34, 0xffff0000, v34
	v_add_f32_e32 v22, v22, v35
	s_wait_alu 0xfffd
	v_cndmask_b32_e32 v35, v38, v61, vcc_lo
	s_delay_alu instid0(VALU_DEP_3) | instskip(NEXT) | instid1(VALU_DEP_1)
	v_dual_add_f32 v21, v21, v34 :: v_dual_and_b32 v34, 0xffff0000, v39
	v_dual_add_f32 v21, v22, v21 :: v_dual_and_b32 v38, 0xffff0000, v58
	s_delay_alu instid0(VALU_DEP_2) | instskip(NEXT) | instid1(VALU_DEP_2)
	v_dual_add_f32 v22, v23, v34 :: v_dual_and_b32 v23, 0xffff0000, v24
	v_dual_add_f32 v35, v36, v38 :: v_dual_and_b32 v24, 0xffff0000, v35
	v_and_b32_e32 v34, 0xffff0000, v17
	v_lshlrev_b32_e32 v17, 16, v17
	s_delay_alu instid0(VALU_DEP_3) | instskip(NEXT) | instid1(VALU_DEP_4)
	v_dual_add_f32 v21, v22, v21 :: v_dual_add_f32 v22, v23, v24
	v_dual_add_f32 v24, v35, v33 :: v_dual_and_b32 v35, 0xffff0000, v20
	s_delay_alu instid0(VALU_DEP_3) | instskip(NEXT) | instid1(VALU_DEP_3)
	v_dual_mul_f32 v17, v26, v17 :: v_dual_lshlrev_b32 v20, 16, v20
	v_add_f32_e32 v21, v22, v21
	s_delay_alu instid0(VALU_DEP_3)
	v_add_f32_e32 v49, v49, v24
	v_mul_f32_e32 v23, v25, v34
	v_and_b32_e32 v33, 0xffff0000, v18
	v_bfe_u32 v24, v17, 16, 1
	v_lshlrev_b32_e32 v18, 16, v18
	v_add_f32_e32 v50, v50, v21
	v_bfe_u32 v22, v23, 16, 1
	v_mul_f32_e32 v33, v29, v33
	v_cmp_u_f32_e32 vcc_lo, v23, v23
	v_add3_u32 v24, v24, v17, 0x7fff
	v_or_b32_e32 v34, 0x400000, v17
	v_add3_u32 v21, v22, v23, 0x7fff
	v_or_b32_e32 v22, 0x400000, v23
	v_mul_f32_e32 v18, v28, v18
	s_wait_alu 0xfffd
	s_delay_alu instid0(VALU_DEP_2) | instskip(SKIP_2) | instid1(VALU_DEP_2)
	v_dual_mul_f32 v20, v32, v20 :: v_dual_cndmask_b32 v21, v21, v22
	v_bfe_u32 v22, v33, 16, 1
	v_cmp_u_f32_e32 vcc_lo, v17, v17
	v_add3_u32 v22, v22, v33, 0x7fff
	s_wait_alu 0xfffd
	v_cndmask_b32_e32 v17, v24, v34, vcc_lo
	v_or_b32_e32 v24, 0x400000, v33
	v_bfe_u32 v34, v18, 16, 1
	v_cmp_u_f32_e32 vcc_lo, v33, v33
	v_or_b32_e32 v33, 0x400000, v18
	s_wait_alu 0xfffd
	v_cndmask_b32_e32 v22, v22, v24, vcc_lo
	v_add3_u32 v24, v34, v18, 0x7fff
	v_cmp_u_f32_e32 vcc_lo, v18, v18
	v_and_b32_e32 v23, 0xffff0000, v19
	v_lshlrev_b32_e32 v19, 16, v19
	v_and_b32_e32 v22, 0xffff0000, v22
	v_and_b32_e32 v21, 0xffff0000, v21
	s_wait_alu 0xfffd
	v_dual_cndmask_b32 v18, v24, v33 :: v_dual_mul_f32 v23, v30, v23
	s_delay_alu instid0(VALU_DEP_1) | instskip(NEXT) | instid1(VALU_DEP_2)
	v_dual_mul_f32 v19, v31, v19 :: v_dual_and_b32 v18, 0xffff0000, v18
	v_bfe_u32 v34, v23, 16, 1
	s_delay_alu instid0(VALU_DEP_2)
	v_bfe_u32 v36, v19, 16, 1
	v_mul_f32_e32 v33, v27, v35
	v_cmp_u_f32_e32 vcc_lo, v23, v23
	v_add_f32_e32 v18, v18, v22
	v_add3_u32 v24, v34, v23, 0x7fff
	v_or_b32_e32 v34, 0x400000, v23
	v_add3_u32 v35, v36, v19, 0x7fff
	v_or_b32_e32 v36, 0x400000, v19
	v_bfe_u32 v37, v33, 16, 1
	s_wait_alu 0xfffd
	v_dual_cndmask_b32 v23, v24, v34 :: v_dual_and_b32 v22, 0xffff0000, v13
	v_cmp_u_f32_e32 vcc_lo, v19, v19
	v_or_b32_e32 v34, 0x400000, v33
	v_add3_u32 v24, v37, v33, 0x7fff
	v_and_b32_e32 v17, 0xffff0000, v17
	v_lshlrev_b32_e32 v13, 16, v13
	s_wait_alu 0xfffd
	v_cndmask_b32_e32 v19, v35, v36, vcc_lo
	v_bfe_u32 v35, v20, 16, 1
	v_cmp_u_f32_e32 vcc_lo, v33, v33
	s_delay_alu instid0(VALU_DEP_2)
	v_add3_u32 v33, v35, v20, 0x7fff
	s_wait_alu 0xfffd
	v_cndmask_b32_e32 v24, v24, v34, vcc_lo
	v_or_b32_e32 v34, 0x400000, v20
	v_cmp_u_f32_e32 vcc_lo, v20, v20
	s_wait_alu 0xfffd
	s_delay_alu instid0(VALU_DEP_2) | instskip(SKIP_4) | instid1(VALU_DEP_4)
	v_cndmask_b32_e32 v20, v33, v34, vcc_lo
	v_add_f32_e32 v17, v17, v21
	v_and_b32_e32 v21, 0xffff0000, v23
	v_and_b32_e32 v33, 0xffff0000, v16
	v_lshlrev_b32_e32 v16, 16, v16
	v_dual_add_f32 v17, v18, v17 :: v_dual_and_b32 v20, 0xffff0000, v20
	v_mul_f32_e32 v18, v25, v22
	v_and_b32_e32 v22, 0xffff0000, v24
	v_and_b32_e32 v24, 0xffff0000, v14
	v_lshlrev_b32_e32 v14, 16, v14
	v_and_b32_e32 v19, 0xffff0000, v19
	v_bfe_u32 v23, v18, 16, 1
	v_cmp_u_f32_e32 vcc_lo, v18, v18
	v_mul_f32_e32 v16, v32, v16
	s_delay_alu instid0(VALU_DEP_4) | instskip(SKIP_1) | instid1(VALU_DEP_2)
	v_dual_mul_f32 v14, v28, v14 :: v_dual_add_f32 v19, v19, v21
	v_mul_f32_e32 v21, v26, v13
	v_add_f32_e32 v13, v19, v17
	s_delay_alu instid0(VALU_DEP_2)
	v_bfe_u32 v19, v21, 16, 1
	v_add_f32_e32 v17, v20, v22
	v_add3_u32 v20, v23, v18, 0x7fff
	v_or_b32_e32 v22, 0x400000, v18
	v_mul_f32_e32 v23, v29, v24
	v_add3_u32 v19, v19, v21, 0x7fff
	v_or_b32_e32 v24, 0x400000, v21
	s_wait_alu 0xfffd
	v_cndmask_b32_e32 v18, v20, v22, vcc_lo
	v_bfe_u32 v20, v23, 16, 1
	v_cmp_u_f32_e32 vcc_lo, v21, v21
	v_or_b32_e32 v22, 0x400000, v23
	v_and_b32_e32 v21, 0xffff0000, v15
	v_and_b32_e32 v18, 0xffff0000, v18
	v_add3_u32 v20, v20, v23, 0x7fff
	s_wait_alu 0xfffd
	v_cndmask_b32_e32 v19, v19, v24, vcc_lo
	v_bfe_u32 v24, v14, 16, 1
	v_cmp_u_f32_e32 vcc_lo, v23, v23
	v_or_b32_e32 v23, 0x400000, v14
	v_mul_f32_e32 v21, v30, v21
	v_and_b32_e32 v19, 0xffff0000, v19
	s_wait_alu 0xfffd
	v_dual_cndmask_b32 v20, v20, v22 :: v_dual_lshlrev_b32 v15, 16, v15
	v_add3_u32 v22, v24, v14, 0x7fff
	v_cmp_u_f32_e32 vcc_lo, v14, v14
	v_bfe_u32 v24, v21, 16, 1
	v_add_f32_e32 v18, v19, v18
	v_and_b32_e32 v20, 0xffff0000, v20
	s_wait_alu 0xfffd
	v_cndmask_b32_e32 v14, v22, v23, vcc_lo
	v_add3_u32 v22, v24, v21, 0x7fff
	v_or_b32_e32 v24, 0x400000, v21
	v_cmp_u_f32_e32 vcc_lo, v21, v21
	s_delay_alu instid0(VALU_DEP_4) | instskip(SKIP_1) | instid1(VALU_DEP_3)
	v_dual_mul_f32 v15, v31, v15 :: v_dual_and_b32 v14, 0xffff0000, v14
	s_wait_alu 0xfffd
	v_cndmask_b32_e32 v21, v22, v24, vcc_lo
	s_delay_alu instid0(VALU_DEP_2) | instskip(NEXT) | instid1(VALU_DEP_3)
	v_add_f32_e32 v14, v14, v20
	v_bfe_u32 v34, v15, 16, 1
	v_and_b32_e32 v20, 0xffff0000, v5
	v_cmp_u_f32_e32 vcc_lo, v15, v15
	s_delay_alu instid0(VALU_DEP_4) | instskip(NEXT) | instid1(VALU_DEP_3)
	v_dual_add_f32 v14, v14, v18 :: v_dual_mul_f32 v23, v27, v33
	v_mul_f32_e32 v18, v25, v20
	v_add3_u32 v33, v34, v15, 0x7fff
	v_or_b32_e32 v34, 0x400000, v15
	v_and_b32_e32 v20, 0xffff0000, v6
	v_bfe_u32 v35, v23, 16, 1
	v_or_b32_e32 v24, 0x400000, v23
	v_lshlrev_b32_e32 v6, 16, v6
	s_wait_alu 0xfffd
	v_cndmask_b32_e32 v15, v33, v34, vcc_lo
	v_bfe_u32 v33, v16, 16, 1
	v_add3_u32 v22, v35, v23, 0x7fff
	v_cmp_u_f32_e32 vcc_lo, v23, v23
	v_dual_mul_f32 v6, v28, v6 :: v_dual_and_b32 v19, 0xffff0000, v21
	s_delay_alu instid0(VALU_DEP_4)
	v_add3_u32 v23, v33, v16, 0x7fff
	v_bfe_u32 v21, v18, 16, 1
	s_wait_alu 0xfffd
	v_cndmask_b32_e32 v22, v22, v24, vcc_lo
	v_or_b32_e32 v24, 0x400000, v16
	v_cmp_u_f32_e32 vcc_lo, v16, v16
	s_wait_alu 0xfffd
	s_delay_alu instid0(VALU_DEP_2) | instskip(SKIP_2) | instid1(VALU_DEP_1)
	v_cndmask_b32_e32 v16, v23, v24, vcc_lo
	v_cmp_u_f32_e32 vcc_lo, v18, v18
	v_and_b32_e32 v15, 0xffff0000, v15
	v_dual_add_f32 v15, v15, v19 :: v_dual_and_b32 v16, 0xffff0000, v16
	v_and_b32_e32 v19, 0xffff0000, v22
	s_delay_alu instid0(VALU_DEP_2) | instskip(NEXT) | instid1(VALU_DEP_1)
	v_dual_add_f32 v14, v15, v14 :: v_dual_lshlrev_b32 v5, 16, v5
	v_dual_add_f32 v16, v16, v19 :: v_dual_mul_f32 v5, v26, v5
	v_mul_f32_e32 v19, v29, v20
	v_add3_u32 v20, v21, v18, 0x7fff
	v_or_b32_e32 v21, 0x400000, v18
	s_delay_alu instid0(VALU_DEP_4)
	v_bfe_u32 v15, v5, 16, 1
	v_or_b32_e32 v22, 0x400000, v5
	v_bfe_u32 v23, v19, 16, 1
	s_wait_alu 0xfffd
	v_cndmask_b32_e32 v18, v20, v21, vcc_lo
	v_cmp_u_f32_e32 vcc_lo, v5, v5
	v_add3_u32 v15, v15, v5, 0x7fff
	v_or_b32_e32 v20, 0x400000, v19
	s_delay_alu instid0(VALU_DEP_4) | instskip(SKIP_1) | instid1(VALU_DEP_3)
	v_and_b32_e32 v18, 0xffff0000, v18
	s_wait_alu 0xfffd
	v_cndmask_b32_e32 v5, v15, v22, vcc_lo
	v_add3_u32 v15, v23, v19, 0x7fff
	v_bfe_u32 v22, v6, 16, 1
	v_cmp_u_f32_e32 vcc_lo, v19, v19
	s_wait_alu 0xfffd
	s_delay_alu instid0(VALU_DEP_3) | instskip(NEXT) | instid1(VALU_DEP_3)
	v_cndmask_b32_e32 v15, v15, v20, vcc_lo
	v_add3_u32 v20, v22, v6, 0x7fff
	v_and_b32_e32 v22, 0xffff0000, v8
	v_lshlrev_b32_e32 v8, 16, v8
	v_and_b32_e32 v21, 0xffff0000, v7
	v_cmp_u_f32_e32 vcc_lo, v6, v6
	s_delay_alu instid0(VALU_DEP_3) | instskip(NEXT) | instid1(VALU_DEP_3)
	v_dual_mul_f32 v8, v32, v8 :: v_dual_and_b32 v15, 0xffff0000, v15
	v_mul_f32_e32 v19, v30, v21
	v_or_b32_e32 v21, 0x400000, v6
	s_delay_alu instid0(VALU_DEP_2) | instskip(SKIP_1) | instid1(VALU_DEP_2)
	v_bfe_u32 v23, v19, 16, 1
	s_wait_alu 0xfffd
	v_cndmask_b32_e32 v6, v20, v21, vcc_lo
	v_mul_f32_e32 v20, v27, v22
	v_or_b32_e32 v22, 0x400000, v19
	v_cmp_u_f32_e32 vcc_lo, v19, v19
	v_add3_u32 v21, v23, v19, 0x7fff
	v_and_b32_e32 v6, 0xffff0000, v6
	v_bfe_u32 v33, v20, 16, 1
	s_wait_alu 0xfffd
	s_delay_alu instid0(VALU_DEP_2) | instskip(NEXT) | instid1(VALU_DEP_2)
	v_dual_cndmask_b32 v19, v21, v22 :: v_dual_add_f32 v6, v6, v15
	v_add3_u32 v21, v33, v20, 0x7fff
	v_or_b32_e32 v22, 0x400000, v20
	v_lshlrev_b32_e32 v7, 16, v7
	v_and_b32_e32 v15, 0xffff0000, v1
	v_and_b32_e32 v5, 0xffff0000, v5
	v_lshlrev_b32_e32 v1, 16, v1
	s_delay_alu instid0(VALU_DEP_4) | instskip(NEXT) | instid1(VALU_DEP_3)
	v_mul_f32_e32 v7, v31, v7
	v_dual_add_f32 v5, v5, v18 :: v_dual_and_b32 v18, 0xffff0000, v19
	s_delay_alu instid0(VALU_DEP_3) | instskip(NEXT) | instid1(VALU_DEP_3)
	v_mul_f32_e32 v1, v26, v1
	v_bfe_u32 v24, v7, 16, 1
	v_cmp_u_f32_e32 vcc_lo, v7, v7
	s_delay_alu instid0(VALU_DEP_2) | instskip(SKIP_2) | instid1(VALU_DEP_1)
	v_add3_u32 v23, v24, v7, 0x7fff
	v_or_b32_e32 v24, 0x400000, v7
	s_wait_alu 0xfffd
	v_cndmask_b32_e32 v7, v23, v24, vcc_lo
	v_cmp_u_f32_e32 vcc_lo, v20, v20
	s_wait_alu 0xfffd
	v_cndmask_b32_e32 v20, v21, v22, vcc_lo
	v_bfe_u32 v21, v8, 16, 1
	v_cmp_u_f32_e32 vcc_lo, v8, v8
	s_delay_alu instid0(VALU_DEP_2) | instskip(SKIP_2) | instid1(VALU_DEP_1)
	v_add3_u32 v19, v21, v8, 0x7fff
	v_or_b32_e32 v21, 0x400000, v8
	s_wait_alu 0xfffd
	v_dual_cndmask_b32 v8, v19, v21 :: v_dual_and_b32 v19, 0xffff0000, v20
	v_bfe_u32 v20, v1, 16, 1
	v_or_b32_e32 v21, 0x400000, v1
	s_delay_alu instid0(VALU_DEP_3) | instskip(SKIP_1) | instid1(VALU_DEP_1)
	v_dual_add_f32 v5, v6, v5 :: v_dual_and_b32 v8, 0xffff0000, v8
	v_mul_f32_e32 v6, v25, v15
	v_bfe_u32 v15, v6, 16, 1
	v_cmp_u_f32_e32 vcc_lo, v6, v6
	s_delay_alu instid0(VALU_DEP_2) | instskip(SKIP_1) | instid1(VALU_DEP_1)
	v_add3_u32 v15, v15, v6, 0x7fff
	v_and_b32_e32 v7, 0xffff0000, v7
	v_add_f32_e32 v7, v7, v18
	v_or_b32_e32 v18, 0x400000, v6
	s_wait_alu 0xfffd
	s_delay_alu instid0(VALU_DEP_1)
	v_cndmask_b32_e32 v6, v15, v18, vcc_lo
	v_add3_u32 v18, v20, v1, 0x7fff
	v_cmp_u_f32_e32 vcc_lo, v1, v1
	v_dual_add_f32 v5, v7, v5 :: v_dual_and_b32 v20, 0xffff0000, v3
	v_lshlrev_b32_e32 v3, 16, v3
	s_wait_alu 0xfffd
	v_dual_cndmask_b32 v1, v18, v21 :: v_dual_and_b32 v6, 0xffff0000, v6
	v_and_b32_e32 v21, 0xffff0000, v4
	v_lshlrev_b32_e32 v4, 16, v4
	v_and_b32_e32 v7, 0xffff0000, v2
	v_lshlrev_b32_e32 v2, 16, v2
	v_dual_mul_f32 v20, v30, v20 :: v_dual_and_b32 v1, 0xffff0000, v1
	s_delay_alu instid0(VALU_DEP_4) | instskip(NEXT) | instid1(VALU_DEP_3)
	v_mul_f32_e32 v4, v32, v4
	v_mul_f32_e32 v2, v28, v2
	s_delay_alu instid0(VALU_DEP_3) | instskip(NEXT) | instid1(VALU_DEP_4)
	v_or_b32_e32 v23, 0x400000, v20
	v_add_f32_e32 v1, v1, v6
	s_delay_alu instid0(VALU_DEP_3) | instskip(NEXT) | instid1(VALU_DEP_1)
	v_bfe_u32 v18, v2, 16, 1
	v_add3_u32 v18, v18, v2, 0x7fff
	v_mul_f32_e32 v7, v29, v7
	s_delay_alu instid0(VALU_DEP_1) | instskip(SKIP_2) | instid1(VALU_DEP_3)
	v_bfe_u32 v15, v7, 16, 1
	v_or_b32_e32 v22, 0x400000, v7
	v_cmp_u_f32_e32 vcc_lo, v7, v7
	v_add3_u32 v15, v15, v7, 0x7fff
	s_wait_alu 0xfffd
	s_delay_alu instid0(VALU_DEP_1) | instskip(SKIP_3) | instid1(VALU_DEP_3)
	v_cndmask_b32_e32 v7, v15, v22, vcc_lo
	v_bfe_u32 v15, v20, 16, 1
	v_or_b32_e32 v22, 0x400000, v2
	v_cmp_u_f32_e32 vcc_lo, v2, v2
	v_add3_u32 v15, v15, v20, 0x7fff
	s_wait_alu 0xfffd
	s_delay_alu instid0(VALU_DEP_3) | instskip(SKIP_1) | instid1(VALU_DEP_2)
	v_dual_cndmask_b32 v2, v18, v22 :: v_dual_mul_f32 v3, v31, v3
	v_cmp_u_f32_e32 vcc_lo, v20, v20
	v_and_b32_e32 v2, 0xffff0000, v2
	s_delay_alu instid0(VALU_DEP_3)
	v_bfe_u32 v18, v3, 16, 1
	s_wait_alu 0xfffd
	v_cndmask_b32_e32 v15, v15, v23, vcc_lo
	v_mul_f32_e32 v21, v27, v21
	v_or_b32_e32 v20, 0x400000, v3
	v_cmp_u_f32_e32 vcc_lo, v3, v3
	v_add3_u32 v18, v18, v3, 0x7fff
	v_and_b32_e32 v6, 0xffff0000, v15
	v_bfe_u32 v22, v21, 16, 1
	v_or_b32_e32 v23, 0x400000, v21
	s_wait_alu 0xfffd
	v_cndmask_b32_e32 v3, v18, v20, vcc_lo
	v_cmp_u_f32_e32 vcc_lo, v21, v21
	v_add3_u32 v22, v22, v21, 0x7fff
	v_bfe_u32 v20, v4, 16, 1
	v_or_b32_e32 v21, 0x400000, v4
	v_and_b32_e32 v3, 0xffff0000, v3
	s_wait_alu 0xfffd
	v_cndmask_b32_e32 v18, v22, v23, vcc_lo
	v_add3_u32 v20, v20, v4, 0x7fff
	v_cmp_u_f32_e32 vcc_lo, v4, v4
	s_wait_loadcnt 0x0
	v_and_b32_e32 v22, 0xffff0000, v9
	v_lshlrev_b32_e32 v9, 16, v9
	v_dual_add_f32 v3, v3, v6 :: v_dual_add_f32 v8, v8, v19
	s_wait_alu 0xfffd
	v_dual_cndmask_b32 v4, v20, v21 :: v_dual_and_b32 v21, 0xffff0000, v11
	s_delay_alu instid0(VALU_DEP_3) | instskip(NEXT) | instid1(VALU_DEP_2)
	v_dual_mul_f32 v6, v26, v9 :: v_dual_lshlrev_b32 v11, 16, v11
	v_dual_add_f32 v5, v8, v5 :: v_dual_and_b32 v4, 0xffff0000, v4
	s_delay_alu instid0(VALU_DEP_2) | instskip(NEXT) | instid1(VALU_DEP_3)
	v_mul_f32_e32 v11, v31, v11
	v_bfe_u32 v20, v6, 16, 1
	s_delay_alu instid0(VALU_DEP_3) | instskip(NEXT) | instid1(VALU_DEP_3)
	v_add_f32_e32 v53, v53, v5
	v_or_b32_e32 v23, 0x400000, v11
	v_and_b32_e32 v9, 0xffff0000, v10
	v_lshlrev_b32_e32 v10, 16, v10
	s_delay_alu instid0(VALU_DEP_1) | instskip(NEXT) | instid1(VALU_DEP_1)
	v_dual_mul_f32 v10, v28, v10 :: v_dual_and_b32 v7, 0xffff0000, v7
	v_dual_add_f32 v2, v2, v7 :: v_dual_mul_f32 v7, v25, v22
	v_and_b32_e32 v22, 0xffff0000, v12
	s_delay_alu instid0(VALU_DEP_2) | instskip(NEXT) | instid1(VALU_DEP_3)
	v_dual_add_f32 v1, v2, v1 :: v_dual_lshlrev_b32 v12, 16, v12
	v_bfe_u32 v2, v7, 16, 1
	v_or_b32_e32 v15, 0x400000, v7
	v_cmp_u_f32_e32 vcc_lo, v7, v7
	s_delay_alu instid0(VALU_DEP_4) | instskip(NEXT) | instid1(VALU_DEP_4)
	v_dual_mul_f32 v12, v32, v12 :: v_dual_add_f32 v1, v3, v1
	v_add3_u32 v2, v2, v7, 0x7fff
	v_add3_u32 v7, v20, v6, 0x7fff
	s_delay_alu instid0(VALU_DEP_3) | instskip(SKIP_1) | instid1(VALU_DEP_3)
	v_bfe_u32 v25, v12, 16, 1
	s_wait_alu 0xfffd
	v_cndmask_b32_e32 v2, v2, v15, vcc_lo
	v_or_b32_e32 v15, 0x400000, v6
	v_cmp_u_f32_e32 vcc_lo, v6, v6
	s_delay_alu instid0(VALU_DEP_3) | instskip(SKIP_1) | instid1(VALU_DEP_3)
	v_and_b32_e32 v2, 0xffff0000, v2
	s_wait_alu 0xfffd
	v_dual_cndmask_b32 v6, v7, v15 :: v_dual_mul_f32 v9, v29, v9
	s_delay_alu instid0(VALU_DEP_1) | instskip(NEXT) | instid1(VALU_DEP_2)
	v_and_b32_e32 v6, 0xffff0000, v6
	v_bfe_u32 v20, v9, 16, 1
	v_or_b32_e32 v15, 0x400000, v9
	v_cmp_u_f32_e32 vcc_lo, v9, v9
	s_delay_alu instid0(VALU_DEP_4) | instskip(NEXT) | instid1(VALU_DEP_4)
	v_add_f32_e32 v2, v6, v2
	v_add3_u32 v7, v20, v9, 0x7fff
	v_bfe_u32 v20, v10, 16, 1
	s_wait_alu 0xfffd
	s_delay_alu instid0(VALU_DEP_2) | instskip(NEXT) | instid1(VALU_DEP_2)
	v_cndmask_b32_e32 v7, v7, v15, vcc_lo
	v_add3_u32 v9, v20, v10, 0x7fff
	v_or_b32_e32 v15, 0x400000, v10
	v_cmp_u_f32_e32 vcc_lo, v10, v10
	s_delay_alu instid0(VALU_DEP_4) | instskip(SKIP_1) | instid1(VALU_DEP_3)
	v_and_b32_e32 v7, 0xffff0000, v7
	s_wait_alu 0xfffd
	v_cndmask_b32_e32 v9, v9, v15, vcc_lo
	s_delay_alu instid0(VALU_DEP_1) | instskip(NEXT) | instid1(VALU_DEP_1)
	v_and_b32_e32 v9, 0xffff0000, v9
	v_dual_mul_f32 v21, v30, v21 :: v_dual_add_f32 v6, v9, v7
	s_delay_alu instid0(VALU_DEP_1) | instskip(SKIP_1) | instid1(VALU_DEP_3)
	v_bfe_u32 v20, v21, 16, 1
	v_cmp_u_f32_e32 vcc_lo, v21, v21
	v_add_f32_e32 v2, v6, v2
	v_bfe_u32 v10, v11, 16, 1
	s_delay_alu instid0(VALU_DEP_4) | instskip(SKIP_4) | instid1(VALU_DEP_4)
	v_add3_u32 v15, v20, v21, 0x7fff
	v_mul_f32_e32 v20, v27, v22
	v_or_b32_e32 v22, 0x400000, v21
	v_add3_u32 v21, v25, v12, 0x7fff
	v_add3_u32 v10, v10, v11, 0x7fff
	v_bfe_u32 v24, v20, 16, 1
	s_wait_alu 0xfffd
	v_cndmask_b32_e32 v15, v15, v22, vcc_lo
	v_cmp_u_f32_e32 vcc_lo, v11, v11
	v_or_b32_e32 v22, 0x400000, v12
	v_add3_u32 v11, v24, v20, 0x7fff
	s_delay_alu instid0(VALU_DEP_4) | instskip(SKIP_4) | instid1(VALU_DEP_3)
	v_and_b32_e32 v9, 0xffff0000, v15
	s_wait_alu 0xfffd
	v_cndmask_b32_e32 v10, v10, v23, vcc_lo
	v_cmp_u_f32_e32 vcc_lo, v12, v12
	v_or_b32_e32 v23, 0x400000, v20
	v_and_b32_e32 v7, 0xffff0000, v10
	s_wait_alu 0xfffd
	v_cndmask_b32_e32 v12, v21, v22, vcc_lo
	v_cmp_u_f32_e32 vcc_lo, v20, v20
	s_wait_alu 0xfffd
	v_dual_cndmask_b32 v10, v11, v23 :: v_dual_and_b32 v11, 0xffff0000, v18
	s_delay_alu instid0(VALU_DEP_1) | instskip(NEXT) | instid1(VALU_DEP_1)
	v_add_f32_e32 v3, v4, v11
	v_add_f32_e32 v1, v3, v1
	s_delay_alu instid0(VALU_DEP_1) | instskip(SKIP_2) | instid1(VALU_DEP_2)
	v_add_f32_e32 v54, v54, v1
	v_dual_add_f32 v6, v7, v9 :: v_dual_and_b32 v7, 0xffff0000, v12
	v_and_b32_e32 v9, 0xffff0000, v10
	v_add_f32_e32 v2, v6, v2
	v_add_f32_e32 v6, v17, v13
	s_delay_alu instid0(VALU_DEP_3) | instskip(NEXT) | instid1(VALU_DEP_2)
	v_dual_add_f32 v4, v7, v9 :: v_dual_add_f32 v7, v16, v14
	v_add_f32_e32 v51, v51, v6
	s_delay_alu instid0(VALU_DEP_2) | instskip(NEXT) | instid1(VALU_DEP_1)
	v_add_f32_e32 v2, v4, v2
	v_dual_add_f32 v52, v52, v7 :: v_dual_add_f32 v47, v47, v2
.LBB142_41:                             ;   in Loop: Header=BB142_42 Depth=1
	s_wait_alu 0xfffe
	s_or_b32 exec_lo, exec_lo, s10
	v_add_nc_u32_e32 v45, 4, v45
	v_add_co_u32 v41, s0, v41, 16
	s_wait_alu 0xf1ff
	v_add_co_ci_u32_e64 v42, null, 0, v42, s0
	s_delay_alu instid0(VALU_DEP_3)
	v_cmp_le_i32_e32 vcc_lo, s21, v45
	v_add_nc_u32_e32 v44, 32, v44
	v_add_nc_u32_e32 v55, 0x80, v55
	s_or_b32 s6, vcc_lo, s6
	s_wait_alu 0xfffe
	s_and_not1_b32 exec_lo, exec_lo, s6
	s_cbranch_execz .LBB142_59
.LBB142_42:                             ; =>This Inner Loop Header: Depth=1
	v_sub_nc_u32_e32 v1, 0, v44
	s_delay_alu instid0(VALU_DEP_1) | instskip(NEXT) | instid1(VALU_DEP_1)
	v_max_i32_e32 v1, v44, v1
	v_mul_hi_u32 v2, v1, s20
	s_delay_alu instid0(VALU_DEP_1) | instskip(NEXT) | instid1(VALU_DEP_1)
	v_mul_lo_u32 v3, v2, s12
	v_sub_nc_u32_e32 v1, v1, v3
	v_add_nc_u32_e32 v3, 1, v2
	s_delay_alu instid0(VALU_DEP_2) | instskip(SKIP_2) | instid1(VALU_DEP_2)
	v_subrev_nc_u32_e32 v4, s12, v1
	v_cmp_le_u32_e32 vcc_lo, s12, v1
	s_wait_alu 0xfffd
	v_dual_cndmask_b32 v2, v2, v3 :: v_dual_cndmask_b32 v1, v1, v4
	v_ashrrev_i32_e32 v3, 31, v44
	s_delay_alu instid0(VALU_DEP_2) | instskip(NEXT) | instid1(VALU_DEP_3)
	v_add_nc_u32_e32 v4, 1, v2
	v_cmp_le_u32_e32 vcc_lo, s12, v1
	s_delay_alu instid0(VALU_DEP_3) | instskip(SKIP_1) | instid1(VALU_DEP_3)
	v_xor_b32_e32 v3, s11, v3
	s_wait_alu 0xfffd
	v_cndmask_b32_e32 v1, v2, v4, vcc_lo
	s_delay_alu instid0(VALU_DEP_1) | instskip(NEXT) | instid1(VALU_DEP_1)
	v_xor_b32_e32 v1, v1, v3
	v_sub_nc_u32_e32 v1, v1, v3
	s_delay_alu instid0(VALU_DEP_1) | instskip(SKIP_1) | instid1(VALU_DEP_2)
	v_add_nc_u32_e32 v2, s19, v1
	v_cmp_lt_i32_e64 s0, s3, v1
	v_sub_nc_u32_e32 v3, 0, v2
	s_delay_alu instid0(VALU_DEP_1) | instskip(SKIP_1) | instid1(VALU_DEP_1)
	v_max_i32_e32 v3, v2, v3
	s_wait_alu 0xfffe
	v_mul_hi_u32 v4, v3, s9
	s_delay_alu instid0(VALU_DEP_1) | instskip(NEXT) | instid1(VALU_DEP_1)
	v_mul_lo_u32 v4, v4, s2
	v_sub_nc_u32_e32 v3, v3, v4
	s_delay_alu instid0(VALU_DEP_1) | instskip(SKIP_2) | instid1(VALU_DEP_2)
	v_subrev_nc_u32_e32 v4, s2, v3
	v_cmp_le_u32_e32 vcc_lo, s2, v3
	s_wait_alu 0xfffd
	v_cndmask_b32_e32 v3, v3, v4, vcc_lo
	v_ashrrev_i32_e32 v2, 31, v2
	s_delay_alu instid0(VALU_DEP_2) | instskip(SKIP_2) | instid1(VALU_DEP_2)
	v_subrev_nc_u32_e32 v4, s2, v3
	v_cmp_le_u32_e32 vcc_lo, s2, v3
	s_wait_alu 0xfffd
	v_cndmask_b32_e32 v3, v3, v4, vcc_lo
	s_delay_alu instid0(VALU_DEP_1) | instskip(NEXT) | instid1(VALU_DEP_1)
	v_xor_b32_e32 v3, v3, v2
	v_sub_nc_u32_e32 v2, v3, v2
	s_delay_alu instid0(VALU_DEP_1)
	v_cmp_eq_u32_e32 vcc_lo, 0, v2
	s_or_b32 s0, vcc_lo, s0
	s_wait_alu 0xfffe
	s_and_saveexec_b32 s10, s0
	s_cbranch_execz .LBB142_41
; %bb.43:                               ;   in Loop: Header=BB142_42 Depth=1
	global_load_b32 v1, v[41:42], off
	v_add_nc_u32_e32 v63, 1, v44
	v_or_b32_e32 v62, 3, v44
	v_or_b32_e32 v64, 2, v44
	;; [unrolled: 1-line block ×6, first 2 shown]
	s_wait_loadcnt 0x0
	v_mad_co_i64_i32 v[1:2], null, v1, s4, 0
	s_delay_alu instid0(VALU_DEP_1) | instskip(NEXT) | instid1(VALU_DEP_1)
	v_lshlrev_b64_e32 v[1:2], 1, v[1:2]
	v_add_co_u32 v9, vcc_lo, v56, v1
	s_wait_alu 0xfffd
	s_delay_alu instid0(VALU_DEP_2)
	v_add_co_ci_u32_e64 v10, null, v57, v2, vcc_lo
	v_cmp_eq_u32_e32 vcc_lo, s5, v45
	global_load_b128 v[1:4], v[9:10], off
	ds_load_2addr_b64 v[29:32], v55 offset1:1
	ds_load_2addr_b64 v[25:28], v55 offset0:2 offset1:3
	s_and_saveexec_b32 s13, vcc_lo
	s_cbranch_execnz .LBB142_51
; %bb.44:                               ;   in Loop: Header=BB142_42 Depth=1
	s_wait_alu 0xfffe
	s_or_b32 exec_lo, exec_lo, s13
	global_load_b128 v[5:8], v[9:10], off offset:512
	s_and_saveexec_b32 s13, vcc_lo
	s_cbranch_execnz .LBB142_52
.LBB142_45:                             ;   in Loop: Header=BB142_42 Depth=1
	s_wait_alu 0xfffe
	s_or_b32 exec_lo, exec_lo, s13
	global_load_b128 v[13:16], v[9:10], off offset:1024
	s_and_saveexec_b32 s13, vcc_lo
	s_cbranch_execnz .LBB142_53
.LBB142_46:                             ;   in Loop: Header=BB142_42 Depth=1
	s_wait_alu 0xfffe
	s_or_b32 exec_lo, exec_lo, s13
	global_load_b128 v[17:20], v[9:10], off offset:1536
	s_and_saveexec_b32 s13, vcc_lo
	s_cbranch_execnz .LBB142_54
.LBB142_47:                             ;   in Loop: Header=BB142_42 Depth=1
	s_wait_alu 0xfffe
	s_or_b32 exec_lo, exec_lo, s13
	global_load_b128 v[21:24], v[9:10], off offset:2048
	s_and_saveexec_b32 s13, vcc_lo
	s_cbranch_execnz .LBB142_55
.LBB142_48:                             ;   in Loop: Header=BB142_42 Depth=1
	s_wait_alu 0xfffe
	s_or_b32 exec_lo, exec_lo, s13
	global_load_b128 v[33:36], v[9:10], off offset:2560
	s_and_saveexec_b32 s13, vcc_lo
	s_cbranch_execnz .LBB142_56
.LBB142_49:                             ;   in Loop: Header=BB142_42 Depth=1
	s_wait_alu 0xfffe
	s_or_b32 exec_lo, exec_lo, s13
	global_load_b128 v[37:40], v[9:10], off offset:3072
	s_and_saveexec_b32 s13, vcc_lo
	s_cbranch_execnz .LBB142_57
.LBB142_50:                             ;   in Loop: Header=BB142_42 Depth=1
	s_wait_alu 0xfffe
	s_or_b32 exec_lo, exec_lo, s13
	global_load_b128 v[9:12], v[9:10], off offset:3584
	s_and_saveexec_b32 s0, vcc_lo
	s_cbranch_execz .LBB142_40
	s_branch .LBB142_58
.LBB142_51:                             ;   in Loop: Header=BB142_42 Depth=1
	v_cmp_gt_i32_e64 s0, s17, v44
	s_wait_loadcnt 0x0
	v_lshrrev_b32_e32 v5, 16, v1
	v_lshrrev_b32_e32 v6, 16, v2
	;; [unrolled: 1-line block ×4, first 2 shown]
	s_wait_alu 0xf1ff
	v_cndmask_b32_e64 v1, 0, v1, s0
	v_cmp_gt_i32_e64 s0, s7, v63
	s_wait_alu 0xf1ff
	s_delay_alu instid0(VALU_DEP_1) | instskip(SKIP_1) | instid1(VALU_DEP_2)
	v_cndmask_b32_e64 v5, 0, v5, s0
	v_cmp_gt_i32_e64 s0, s17, v64
	v_perm_b32 v1, v5, v1, 0x5040100
	s_wait_alu 0xf1ff
	s_delay_alu instid0(VALU_DEP_2) | instskip(SKIP_2) | instid1(VALU_DEP_1)
	v_cndmask_b32_e64 v2, 0, v2, s0
	v_cmp_gt_i32_e64 s0, s7, v62
	s_wait_alu 0xf1ff
	v_cndmask_b32_e64 v6, 0, v6, s0
	v_cmp_gt_i32_e64 s0, s17, v61
	s_delay_alu instid0(VALU_DEP_2) | instskip(SKIP_1) | instid1(VALU_DEP_2)
	v_perm_b32 v2, v6, v2, 0x5040100
	s_wait_alu 0xf1ff
	v_cndmask_b32_e64 v3, 0, v3, s0
	v_cmp_gt_i32_e64 s0, s7, v59
	s_wait_alu 0xf1ff
	s_delay_alu instid0(VALU_DEP_1) | instskip(SKIP_1) | instid1(VALU_DEP_2)
	v_cndmask_b32_e64 v7, 0, v7, s0
	v_cmp_gt_i32_e64 s0, s17, v60
	v_perm_b32 v3, v7, v3, 0x5040100
	s_wait_alu 0xf1ff
	s_delay_alu instid0(VALU_DEP_2) | instskip(SKIP_2) | instid1(VALU_DEP_1)
	v_cndmask_b32_e64 v4, 0, v4, s0
	v_cmp_gt_i32_e64 s0, s7, v58
	s_wait_alu 0xf1ff
	v_cndmask_b32_e64 v8, 0, v8, s0
	s_delay_alu instid0(VALU_DEP_1)
	v_perm_b32 v4, v8, v4, 0x5040100
	s_wait_alu 0xfffe
	s_or_b32 exec_lo, exec_lo, s13
	global_load_b128 v[5:8], v[9:10], off offset:512
	s_and_saveexec_b32 s13, vcc_lo
	s_cbranch_execz .LBB142_45
.LBB142_52:                             ;   in Loop: Header=BB142_42 Depth=1
	v_cmp_gt_i32_e64 s0, s17, v44
	s_wait_loadcnt 0x0
	v_lshrrev_b32_e32 v11, 16, v5
	v_lshrrev_b32_e32 v12, 16, v6
	;; [unrolled: 1-line block ×4, first 2 shown]
	s_wait_alu 0xf1ff
	v_cndmask_b32_e64 v5, 0, v5, s0
	v_cmp_gt_i32_e64 s0, s7, v63
	s_wait_alu 0xf1ff
	s_delay_alu instid0(VALU_DEP_1) | instskip(SKIP_1) | instid1(VALU_DEP_2)
	v_cndmask_b32_e64 v11, 0, v11, s0
	v_cmp_gt_i32_e64 s0, s17, v64
	v_perm_b32 v5, v11, v5, 0x5040100
	s_wait_alu 0xf1ff
	s_delay_alu instid0(VALU_DEP_2) | instskip(SKIP_2) | instid1(VALU_DEP_1)
	v_cndmask_b32_e64 v6, 0, v6, s0
	v_cmp_gt_i32_e64 s0, s7, v62
	s_wait_alu 0xf1ff
	v_cndmask_b32_e64 v12, 0, v12, s0
	v_cmp_gt_i32_e64 s0, s17, v61
	s_delay_alu instid0(VALU_DEP_2) | instskip(SKIP_1) | instid1(VALU_DEP_2)
	v_perm_b32 v6, v12, v6, 0x5040100
	s_wait_alu 0xf1ff
	v_cndmask_b32_e64 v7, 0, v7, s0
	v_cmp_gt_i32_e64 s0, s7, v59
	s_wait_alu 0xf1ff
	s_delay_alu instid0(VALU_DEP_1) | instskip(SKIP_1) | instid1(VALU_DEP_2)
	v_cndmask_b32_e64 v13, 0, v13, s0
	v_cmp_gt_i32_e64 s0, s17, v60
	v_perm_b32 v7, v13, v7, 0x5040100
	s_wait_alu 0xf1ff
	s_delay_alu instid0(VALU_DEP_2) | instskip(SKIP_2) | instid1(VALU_DEP_1)
	v_cndmask_b32_e64 v8, 0, v8, s0
	v_cmp_gt_i32_e64 s0, s7, v58
	s_wait_alu 0xf1ff
	v_cndmask_b32_e64 v14, 0, v14, s0
	s_delay_alu instid0(VALU_DEP_1)
	v_perm_b32 v8, v14, v8, 0x5040100
	s_wait_alu 0xfffe
	s_or_b32 exec_lo, exec_lo, s13
	global_load_b128 v[13:16], v[9:10], off offset:1024
	s_and_saveexec_b32 s13, vcc_lo
	s_cbranch_execz .LBB142_46
.LBB142_53:                             ;   in Loop: Header=BB142_42 Depth=1
	v_cmp_gt_i32_e64 s0, s17, v44
	s_wait_loadcnt 0x0
	v_lshrrev_b32_e32 v11, 16, v13
	v_lshrrev_b32_e32 v18, 16, v16
	s_wait_alu 0xf1ff
	v_cndmask_b32_e64 v12, 0, v13, s0
	v_cmp_gt_i32_e64 s0, s7, v63
	v_lshrrev_b32_e32 v13, 16, v14
	s_wait_alu 0xf1ff
	s_delay_alu instid0(VALU_DEP_2) | instskip(SKIP_2) | instid1(VALU_DEP_1)
	v_cndmask_b32_e64 v11, 0, v11, s0
	v_cmp_gt_i32_e64 s0, s17, v64
	s_wait_alu 0xf1ff
	v_cndmask_b32_e64 v14, 0, v14, s0
	v_cmp_gt_i32_e64 s0, s7, v62
	s_wait_alu 0xf1ff
	s_delay_alu instid0(VALU_DEP_1) | instskip(SKIP_2) | instid1(VALU_DEP_3)
	v_cndmask_b32_e64 v17, 0, v13, s0
	v_cmp_gt_i32_e64 s0, s17, v61
	v_lshrrev_b32_e32 v13, 16, v15
	v_perm_b32 v14, v17, v14, 0x5040100
	s_wait_alu 0xf1ff
	s_delay_alu instid0(VALU_DEP_3) | instskip(SKIP_2) | instid1(VALU_DEP_1)
	v_cndmask_b32_e64 v15, 0, v15, s0
	v_cmp_gt_i32_e64 s0, s7, v59
	s_wait_alu 0xf1ff
	v_cndmask_b32_e64 v19, 0, v13, s0
	v_cmp_gt_i32_e64 s0, s17, v60
	v_perm_b32 v13, v11, v12, 0x5040100
	s_delay_alu instid0(VALU_DEP_3) | instskip(SKIP_1) | instid1(VALU_DEP_3)
	v_perm_b32 v15, v19, v15, 0x5040100
	s_wait_alu 0xf1ff
	v_cndmask_b32_e64 v16, 0, v16, s0
	v_cmp_gt_i32_e64 s0, s7, v58
	s_wait_alu 0xf1ff
	s_delay_alu instid0(VALU_DEP_1) | instskip(NEXT) | instid1(VALU_DEP_1)
	v_cndmask_b32_e64 v18, 0, v18, s0
	v_perm_b32 v16, v18, v16, 0x5040100
	s_wait_alu 0xfffe
	s_or_b32 exec_lo, exec_lo, s13
	global_load_b128 v[17:20], v[9:10], off offset:1536
	s_and_saveexec_b32 s13, vcc_lo
	s_cbranch_execz .LBB142_47
.LBB142_54:                             ;   in Loop: Header=BB142_42 Depth=1
	v_cmp_gt_i32_e64 s0, s17, v44
	s_wait_loadcnt 0x0
	v_lshrrev_b32_e32 v11, 16, v17
	v_lshrrev_b32_e32 v22, 16, v20
	s_wait_alu 0xf1ff
	v_cndmask_b32_e64 v12, 0, v17, s0
	v_cmp_gt_i32_e64 s0, s7, v63
	v_lshrrev_b32_e32 v17, 16, v18
	s_wait_alu 0xf1ff
	s_delay_alu instid0(VALU_DEP_2) | instskip(SKIP_2) | instid1(VALU_DEP_1)
	v_cndmask_b32_e64 v11, 0, v11, s0
	v_cmp_gt_i32_e64 s0, s17, v64
	s_wait_alu 0xf1ff
	v_cndmask_b32_e64 v18, 0, v18, s0
	v_cmp_gt_i32_e64 s0, s7, v62
	s_wait_alu 0xf1ff
	s_delay_alu instid0(VALU_DEP_1) | instskip(SKIP_2) | instid1(VALU_DEP_3)
	v_cndmask_b32_e64 v21, 0, v17, s0
	v_cmp_gt_i32_e64 s0, s17, v61
	v_lshrrev_b32_e32 v17, 16, v19
	v_perm_b32 v18, v21, v18, 0x5040100
	s_wait_alu 0xf1ff
	s_delay_alu instid0(VALU_DEP_3) | instskip(SKIP_2) | instid1(VALU_DEP_1)
	v_cndmask_b32_e64 v19, 0, v19, s0
	v_cmp_gt_i32_e64 s0, s7, v59
	s_wait_alu 0xf1ff
	v_cndmask_b32_e64 v23, 0, v17, s0
	v_cmp_gt_i32_e64 s0, s17, v60
	v_perm_b32 v17, v11, v12, 0x5040100
	s_delay_alu instid0(VALU_DEP_3) | instskip(SKIP_1) | instid1(VALU_DEP_3)
	v_perm_b32 v19, v23, v19, 0x5040100
	s_wait_alu 0xf1ff
	v_cndmask_b32_e64 v20, 0, v20, s0
	v_cmp_gt_i32_e64 s0, s7, v58
	s_wait_alu 0xf1ff
	s_delay_alu instid0(VALU_DEP_1) | instskip(NEXT) | instid1(VALU_DEP_1)
	v_cndmask_b32_e64 v22, 0, v22, s0
	v_perm_b32 v20, v22, v20, 0x5040100
	s_wait_alu 0xfffe
	s_or_b32 exec_lo, exec_lo, s13
	global_load_b128 v[21:24], v[9:10], off offset:2048
	s_and_saveexec_b32 s13, vcc_lo
	s_cbranch_execz .LBB142_48
.LBB142_55:                             ;   in Loop: Header=BB142_42 Depth=1
	v_cmp_gt_i32_e64 s0, s17, v44
	s_wait_loadcnt 0x0
	v_lshrrev_b32_e32 v11, 16, v21
	v_lshrrev_b32_e32 v34, 16, v24
	s_wait_alu 0xf1ff
	v_cndmask_b32_e64 v12, 0, v21, s0
	v_cmp_gt_i32_e64 s0, s7, v63
	v_lshrrev_b32_e32 v21, 16, v22
	s_wait_alu 0xf1ff
	s_delay_alu instid0(VALU_DEP_2) | instskip(SKIP_2) | instid1(VALU_DEP_1)
	v_cndmask_b32_e64 v11, 0, v11, s0
	v_cmp_gt_i32_e64 s0, s17, v64
	s_wait_alu 0xf1ff
	v_cndmask_b32_e64 v22, 0, v22, s0
	v_cmp_gt_i32_e64 s0, s7, v62
	s_wait_alu 0xf1ff
	s_delay_alu instid0(VALU_DEP_1) | instskip(SKIP_2) | instid1(VALU_DEP_3)
	v_cndmask_b32_e64 v33, 0, v21, s0
	v_cmp_gt_i32_e64 s0, s17, v61
	v_lshrrev_b32_e32 v21, 16, v23
	v_perm_b32 v22, v33, v22, 0x5040100
	s_wait_alu 0xf1ff
	s_delay_alu instid0(VALU_DEP_3) | instskip(SKIP_2) | instid1(VALU_DEP_1)
	v_cndmask_b32_e64 v23, 0, v23, s0
	v_cmp_gt_i32_e64 s0, s7, v59
	s_wait_alu 0xf1ff
	v_cndmask_b32_e64 v35, 0, v21, s0
	v_cmp_gt_i32_e64 s0, s17, v60
	v_perm_b32 v21, v11, v12, 0x5040100
	s_delay_alu instid0(VALU_DEP_3) | instskip(SKIP_1) | instid1(VALU_DEP_3)
	v_perm_b32 v23, v35, v23, 0x5040100
	s_wait_alu 0xf1ff
	v_cndmask_b32_e64 v24, 0, v24, s0
	v_cmp_gt_i32_e64 s0, s7, v58
	s_wait_alu 0xf1ff
	s_delay_alu instid0(VALU_DEP_1) | instskip(NEXT) | instid1(VALU_DEP_1)
	v_cndmask_b32_e64 v34, 0, v34, s0
	v_perm_b32 v24, v34, v24, 0x5040100
	s_wait_alu 0xfffe
	s_or_b32 exec_lo, exec_lo, s13
	global_load_b128 v[33:36], v[9:10], off offset:2560
	s_and_saveexec_b32 s13, vcc_lo
	s_cbranch_execz .LBB142_49
.LBB142_56:                             ;   in Loop: Header=BB142_42 Depth=1
	v_cmp_gt_i32_e64 s0, s17, v44
	s_wait_loadcnt 0x0
	v_lshrrev_b32_e32 v11, 16, v33
	v_lshrrev_b32_e32 v38, 16, v36
	s_wait_alu 0xf1ff
	v_cndmask_b32_e64 v12, 0, v33, s0
	v_cmp_gt_i32_e64 s0, s7, v63
	v_lshrrev_b32_e32 v33, 16, v34
	s_wait_alu 0xf1ff
	s_delay_alu instid0(VALU_DEP_2) | instskip(SKIP_2) | instid1(VALU_DEP_1)
	v_cndmask_b32_e64 v11, 0, v11, s0
	v_cmp_gt_i32_e64 s0, s17, v64
	s_wait_alu 0xf1ff
	v_cndmask_b32_e64 v34, 0, v34, s0
	v_cmp_gt_i32_e64 s0, s7, v62
	s_wait_alu 0xf1ff
	s_delay_alu instid0(VALU_DEP_1) | instskip(SKIP_2) | instid1(VALU_DEP_3)
	v_cndmask_b32_e64 v37, 0, v33, s0
	v_cmp_gt_i32_e64 s0, s17, v61
	v_lshrrev_b32_e32 v33, 16, v35
	v_perm_b32 v34, v37, v34, 0x5040100
	s_wait_alu 0xf1ff
	s_delay_alu instid0(VALU_DEP_3) | instskip(SKIP_2) | instid1(VALU_DEP_1)
	v_cndmask_b32_e64 v35, 0, v35, s0
	v_cmp_gt_i32_e64 s0, s7, v59
	s_wait_alu 0xf1ff
	v_cndmask_b32_e64 v39, 0, v33, s0
	v_cmp_gt_i32_e64 s0, s17, v60
	v_perm_b32 v33, v11, v12, 0x5040100
	s_delay_alu instid0(VALU_DEP_3) | instskip(SKIP_1) | instid1(VALU_DEP_3)
	v_perm_b32 v35, v39, v35, 0x5040100
	s_wait_alu 0xf1ff
	v_cndmask_b32_e64 v36, 0, v36, s0
	v_cmp_gt_i32_e64 s0, s7, v58
	s_wait_alu 0xf1ff
	s_delay_alu instid0(VALU_DEP_1) | instskip(NEXT) | instid1(VALU_DEP_1)
	v_cndmask_b32_e64 v38, 0, v38, s0
	v_perm_b32 v36, v38, v36, 0x5040100
	s_wait_alu 0xfffe
	s_or_b32 exec_lo, exec_lo, s13
	global_load_b128 v[37:40], v[9:10], off offset:3072
	s_and_saveexec_b32 s13, vcc_lo
	s_cbranch_execz .LBB142_50
.LBB142_57:                             ;   in Loop: Header=BB142_42 Depth=1
	v_cmp_gt_i32_e64 s0, s17, v44
	s_wait_loadcnt 0x0
	v_lshrrev_b32_e32 v11, 16, v37
	v_lshrrev_b32_e32 v66, 16, v40
	s_wait_alu 0xf1ff
	v_cndmask_b32_e64 v12, 0, v37, s0
	v_cmp_gt_i32_e64 s0, s7, v63
	v_lshrrev_b32_e32 v37, 16, v38
	s_wait_alu 0xf1ff
	s_delay_alu instid0(VALU_DEP_2) | instskip(SKIP_2) | instid1(VALU_DEP_1)
	v_cndmask_b32_e64 v11, 0, v11, s0
	v_cmp_gt_i32_e64 s0, s17, v64
	s_wait_alu 0xf1ff
	v_cndmask_b32_e64 v38, 0, v38, s0
	v_cmp_gt_i32_e64 s0, s7, v62
	s_wait_alu 0xf1ff
	s_delay_alu instid0(VALU_DEP_1) | instskip(SKIP_2) | instid1(VALU_DEP_3)
	v_cndmask_b32_e64 v65, 0, v37, s0
	v_cmp_gt_i32_e64 s0, s17, v61
	v_lshrrev_b32_e32 v37, 16, v39
	v_perm_b32 v38, v65, v38, 0x5040100
	s_wait_alu 0xf1ff
	s_delay_alu instid0(VALU_DEP_3) | instskip(SKIP_2) | instid1(VALU_DEP_1)
	v_cndmask_b32_e64 v39, 0, v39, s0
	v_cmp_gt_i32_e64 s0, s7, v59
	s_wait_alu 0xf1ff
	v_cndmask_b32_e64 v67, 0, v37, s0
	v_cmp_gt_i32_e64 s0, s17, v60
	v_perm_b32 v37, v11, v12, 0x5040100
	s_delay_alu instid0(VALU_DEP_3) | instskip(SKIP_1) | instid1(VALU_DEP_3)
	v_perm_b32 v39, v67, v39, 0x5040100
	s_wait_alu 0xf1ff
	v_cndmask_b32_e64 v40, 0, v40, s0
	v_cmp_gt_i32_e64 s0, s7, v58
	s_wait_alu 0xf1ff
	s_delay_alu instid0(VALU_DEP_1) | instskip(NEXT) | instid1(VALU_DEP_1)
	v_cndmask_b32_e64 v66, 0, v66, s0
	v_perm_b32 v40, v66, v40, 0x5040100
	s_wait_alu 0xfffe
	s_or_b32 exec_lo, exec_lo, s13
	global_load_b128 v[9:12], v[9:10], off offset:3584
	s_and_saveexec_b32 s0, vcc_lo
	s_cbranch_execz .LBB142_40
.LBB142_58:                             ;   in Loop: Header=BB142_42 Depth=1
	v_cmp_gt_i32_e32 vcc_lo, s17, v44
	s_wait_loadcnt 0x0
	v_lshrrev_b32_e32 v65, 16, v9
	v_lshrrev_b32_e32 v66, 16, v10
	s_wait_alu 0xfffd
	v_cndmask_b32_e32 v9, 0, v9, vcc_lo
	v_cmp_gt_i32_e32 vcc_lo, s7, v63
	s_wait_alu 0xfffd
	v_cndmask_b32_e32 v63, 0, v65, vcc_lo
	v_cmp_gt_i32_e32 vcc_lo, s17, v64
	v_lshrrev_b32_e32 v64, 16, v11
	s_wait_alu 0xfffd
	v_cndmask_b32_e32 v10, 0, v10, vcc_lo
	v_cmp_gt_i32_e32 vcc_lo, s7, v62
	s_wait_alu 0xfffd
	v_cndmask_b32_e32 v62, 0, v66, vcc_lo
	v_cmp_gt_i32_e32 vcc_lo, s17, v61
	v_lshrrev_b32_e32 v61, 16, v12
	v_perm_b32 v9, v63, v9, 0x5040100
	s_delay_alu instid0(VALU_DEP_4)
	v_perm_b32 v10, v62, v10, 0x5040100
	s_wait_alu 0xfffd
	v_cndmask_b32_e32 v11, 0, v11, vcc_lo
	v_cmp_gt_i32_e32 vcc_lo, s7, v59
	s_wait_alu 0xfffd
	v_cndmask_b32_e32 v59, 0, v64, vcc_lo
	v_cmp_gt_i32_e32 vcc_lo, s17, v60
	;; [unrolled: 3-line block ×3, first 2 shown]
	s_wait_alu 0xfffd
	v_cndmask_b32_e32 v58, 0, v61, vcc_lo
	v_perm_b32 v11, v59, v11, 0x5040100
	s_delay_alu instid0(VALU_DEP_2)
	v_perm_b32 v12, v58, v12, 0x5040100
	s_branch .LBB142_40
.LBB142_59:
	s_or_b32 exec_lo, exec_lo, s6
.LBB142_60:
	s_wait_alu 0xfffe
	s_or_b32 exec_lo, exec_lo, s1
	v_lshl_add_u32 v2, v46, 2, 0x220
	v_and_b32_e32 v3, 0x3c0, v0
	s_mov_b32 s0, exec_lo
	s_wait_loadcnt 0x0
	s_wait_storecnt 0x0
	s_barrier_signal -1
	v_lshl_add_u32 v1, v43, 10, v2
	s_barrier_wait -1
	global_inv scope:SCOPE_SE
	v_cmpx_eq_u32_e32 64, v3
	s_cbranch_execz .LBB142_62
; %bb.61:
	v_add_nc_u32_e32 v3, 0xfffff800, v1
	v_add_nc_u32_e32 v4, 0xfffff880, v1
	;; [unrolled: 1-line block ×8, first 2 shown]
	ds_store_b32 v3, v54
	ds_store_b32 v4, v53
	;; [unrolled: 1-line block ×8, first 2 shown]
.LBB142_62:
	s_wait_alu 0xfffe
	s_or_b32 exec_lo, exec_lo, s0
	s_delay_alu instid0(SALU_CYCLE_1)
	s_mov_b32 s0, exec_lo
	s_wait_loadcnt_dscnt 0x0
	s_barrier_signal -1
	s_barrier_wait -1
	global_inv scope:SCOPE_SE
	v_cmpx_gt_u32_e32 64, v0
	s_cbranch_execz .LBB142_64
; %bb.63:
	ds_load_2addr_b32 v[3:4], v1 offset1:32
	ds_load_2addr_b32 v[5:6], v1 offset0:64 offset1:96
	ds_load_2addr_b32 v[7:8], v1 offset0:128 offset1:160
	;; [unrolled: 1-line block ×3, first 2 shown]
	s_wait_dscnt 0x3
	v_dual_add_f32 v54, v54, v3 :: v_dual_add_f32 v53, v53, v4
	s_wait_dscnt 0x2
	v_dual_add_f32 v52, v52, v5 :: v_dual_add_f32 v51, v51, v6
	;; [unrolled: 2-line block ×4, first 2 shown]
.LBB142_64:
	s_wait_alu 0xfffe
	s_or_b32 exec_lo, exec_lo, s0
	v_and_b32_e32 v3, 0x3e0, v0
	s_mov_b32 s0, exec_lo
	s_wait_loadcnt 0x0
	s_barrier_signal -1
	s_barrier_wait -1
	global_inv scope:SCOPE_SE
	v_cmpx_eq_u32_e32 32, v3
	s_cbranch_execz .LBB142_66
; %bb.65:
	ds_store_2addr_b32 v2, v54, v53 offset1:32
	ds_store_2addr_b32 v2, v52, v51 offset0:64 offset1:96
	ds_store_2addr_b32 v2, v50, v49 offset0:128 offset1:160
	;; [unrolled: 1-line block ×3, first 2 shown]
.LBB142_66:
	s_wait_alu 0xfffe
	s_or_b32 exec_lo, exec_lo, s0
	v_cmp_gt_u32_e32 vcc_lo, 32, v0
	s_wait_loadcnt_dscnt 0x0
	s_barrier_signal -1
	s_barrier_wait -1
	global_inv scope:SCOPE_SE
	s_and_saveexec_b32 s0, vcc_lo
	s_cbranch_execz .LBB142_68
; %bb.67:
	ds_load_2addr_b32 v[2:3], v1 offset1:32
	ds_load_2addr_b32 v[4:5], v1 offset0:64 offset1:96
	ds_load_2addr_b32 v[6:7], v1 offset0:128 offset1:160
	;; [unrolled: 1-line block ×3, first 2 shown]
	s_wait_dscnt 0x3
	v_dual_add_f32 v54, v54, v2 :: v_dual_add_f32 v53, v53, v3
	s_wait_dscnt 0x2
	v_dual_add_f32 v52, v52, v4 :: v_dual_add_f32 v51, v51, v5
	;; [unrolled: 2-line block ×4, first 2 shown]
.LBB142_68:
	s_wait_alu 0xfffe
	s_or_b32 exec_lo, exec_lo, s0
	s_wait_loadcnt 0x0
	s_barrier_signal -1
	s_barrier_wait -1
	global_inv scope:SCOPE_SE
	s_and_saveexec_b32 s0, vcc_lo
	s_cbranch_execz .LBB142_70
; %bb.69:
	v_bfe_u32 v1, v54, 16, 1
	v_bfe_u32 v2, v53, 16, 1
	v_or_b32_e32 v3, 0x400000, v54
	v_cmp_u_f32_e32 vcc_lo, v54, v54
	v_or_b32_e32 v4, 0x400000, v53
	v_add3_u32 v1, v1, v54, 0x7fff
	v_lshlrev_b32_e32 v0, 1, v0
	v_add3_u32 v2, v2, v53, 0x7fff
	v_bfe_u32 v5, v52, 16, 1
	v_or_b32_e32 v7, 0x400000, v51
	s_wait_alu 0xfffd
	v_cndmask_b32_e32 v1, v1, v3, vcc_lo
	v_bfe_u32 v3, v51, 16, 1
	v_cmp_u_f32_e32 vcc_lo, v53, v53
	v_bfe_u32 v6, v50, 16, 1
	v_bfe_u32 v8, v48, 16, 1
	v_or_b32_e32 v9, 0x400000, v49
	v_add3_u32 v3, v3, v51, 0x7fff
	s_wait_alu 0xfffd
	v_cndmask_b32_e32 v2, v2, v4, vcc_lo
	v_add3_u32 v4, v5, v52, 0x7fff
	v_or_b32_e32 v5, 0x400000, v52
	v_cmp_u_f32_e32 vcc_lo, v52, v52
	s_lshl_b32 s0, s22, 8
	s_mul_i32 s2, s8, s18
	s_wait_alu 0xfffe
	s_ashr_i32 s1, s0, 31
	v_add3_u32 v8, v8, v48, 0x7fff
	s_wait_alu 0xfffd
	v_cndmask_b32_e32 v4, v4, v5, vcc_lo
	v_cmp_u_f32_e32 vcc_lo, v51, v51
	v_add3_u32 v5, v6, v50, 0x7fff
	v_or_b32_e32 v6, 0x400000, v50
	v_or_b32_e32 v10, 0x400000, v48
	s_ashr_i32 s3, s2, 31
	s_wait_alu 0xfffd
	v_cndmask_b32_e32 v3, v3, v7, vcc_lo
	v_bfe_u32 v7, v49, 16, 1
	v_cmp_u_f32_e32 vcc_lo, v50, v50
	s_wait_alu 0xfffe
	s_lshl_b64 s[0:1], s[0:1], 1
	s_lshl_b64 s[2:3], s[2:3], 1
	s_wait_kmcnt 0x0
	s_wait_alu 0xfffe
	s_add_nc_u64 s[0:1], s[14:15], s[0:1]
	v_add3_u32 v7, v7, v49, 0x7fff
	s_wait_alu 0xfffd
	v_cndmask_b32_e32 v5, v5, v6, vcc_lo
	v_cmp_u_f32_e32 vcc_lo, v49, v49
	v_bfe_u32 v6, v47, 16, 1
	v_or_b32_e32 v11, 0x400000, v47
	s_wait_alu 0xfffe
	s_add_nc_u64 s[0:1], s[0:1], s[2:3]
	s_mov_b32 s17, 0
	s_wait_alu 0xfffd
	v_cndmask_b32_e32 v7, v7, v9, vcc_lo
	v_cmp_u_f32_e32 vcc_lo, v48, v48
	v_add3_u32 v6, v6, v47, 0x7fff
	s_wait_alu 0xfffe
	s_add_nc_u64 s[0:1], s[0:1], s[16:17]
	s_wait_alu 0xfffd
	v_cndmask_b32_e32 v8, v8, v10, vcc_lo
	v_cmp_u_f32_e32 vcc_lo, v47, v47
	s_wait_alu 0xfffd
	v_cndmask_b32_e32 v6, v6, v11, vcc_lo
	s_clause 0x7
	global_store_d16_hi_b16 v0, v1, s[0:1]
	global_store_d16_hi_b16 v0, v2, s[0:1] offset:64
	global_store_d16_hi_b16 v0, v4, s[0:1] offset:128
	;; [unrolled: 1-line block ×7, first 2 shown]
.LBB142_70:
	s_nop 0
	s_sendmsg sendmsg(MSG_DEALLOC_VGPRS)
	s_endpgm
	.section	.rodata,"a",@progbits
	.p2align	6, 0x0
	.amdhsa_kernel _ZN4vllm25paged_attention_v2_kernelI14__hip_bfloat16S1_Li256ELi8ELi128ELNS_18Fp8KVCacheDataTypeE0ELb1ELi512EEEvPfS3_PT_PKS4_PKT0_SA_ifPKiSC_iPKfiiiSE_SE_iiiii
		.amdhsa_group_segment_fixed_size 544
		.amdhsa_private_segment_fixed_size 0
		.amdhsa_kernarg_size 400
		.amdhsa_user_sgpr_count 2
		.amdhsa_user_sgpr_dispatch_ptr 0
		.amdhsa_user_sgpr_queue_ptr 0
		.amdhsa_user_sgpr_kernarg_segment_ptr 1
		.amdhsa_user_sgpr_dispatch_id 0
		.amdhsa_user_sgpr_private_segment_size 0
		.amdhsa_wavefront_size32 1
		.amdhsa_uses_dynamic_stack 0
		.amdhsa_enable_private_segment 0
		.amdhsa_system_sgpr_workgroup_id_x 1
		.amdhsa_system_sgpr_workgroup_id_y 1
		.amdhsa_system_sgpr_workgroup_id_z 1
		.amdhsa_system_sgpr_workgroup_info 0
		.amdhsa_system_vgpr_workitem_id 0
		.amdhsa_next_free_vgpr 108
		.amdhsa_next_free_sgpr 42
		.amdhsa_reserve_vcc 1
		.amdhsa_float_round_mode_32 0
		.amdhsa_float_round_mode_16_64 0
		.amdhsa_float_denorm_mode_32 3
		.amdhsa_float_denorm_mode_16_64 3
		.amdhsa_fp16_overflow 0
		.amdhsa_workgroup_processor_mode 1
		.amdhsa_memory_ordered 1
		.amdhsa_forward_progress 1
		.amdhsa_inst_pref_size 106
		.amdhsa_round_robin_scheduling 0
		.amdhsa_exception_fp_ieee_invalid_op 0
		.amdhsa_exception_fp_denorm_src 0
		.amdhsa_exception_fp_ieee_div_zero 0
		.amdhsa_exception_fp_ieee_overflow 0
		.amdhsa_exception_fp_ieee_underflow 0
		.amdhsa_exception_fp_ieee_inexact 0
		.amdhsa_exception_int_div_zero 0
	.end_amdhsa_kernel
	.section	.text._ZN4vllm25paged_attention_v2_kernelI14__hip_bfloat16S1_Li256ELi8ELi128ELNS_18Fp8KVCacheDataTypeE0ELb1ELi512EEEvPfS3_PT_PKS4_PKT0_SA_ifPKiSC_iPKfiiiSE_SE_iiiii,"axG",@progbits,_ZN4vllm25paged_attention_v2_kernelI14__hip_bfloat16S1_Li256ELi8ELi128ELNS_18Fp8KVCacheDataTypeE0ELb1ELi512EEEvPfS3_PT_PKS4_PKT0_SA_ifPKiSC_iPKfiiiSE_SE_iiiii,comdat
.Lfunc_end142:
	.size	_ZN4vllm25paged_attention_v2_kernelI14__hip_bfloat16S1_Li256ELi8ELi128ELNS_18Fp8KVCacheDataTypeE0ELb1ELi512EEEvPfS3_PT_PKS4_PKT0_SA_ifPKiSC_iPKfiiiSE_SE_iiiii, .Lfunc_end142-_ZN4vllm25paged_attention_v2_kernelI14__hip_bfloat16S1_Li256ELi8ELi128ELNS_18Fp8KVCacheDataTypeE0ELb1ELi512EEEvPfS3_PT_PKS4_PKT0_SA_ifPKiSC_iPKfiiiSE_SE_iiiii
                                        ; -- End function
	.set _ZN4vllm25paged_attention_v2_kernelI14__hip_bfloat16S1_Li256ELi8ELi128ELNS_18Fp8KVCacheDataTypeE0ELb1ELi512EEEvPfS3_PT_PKS4_PKT0_SA_ifPKiSC_iPKfiiiSE_SE_iiiii.num_vgpr, 108
	.set _ZN4vllm25paged_attention_v2_kernelI14__hip_bfloat16S1_Li256ELi8ELi128ELNS_18Fp8KVCacheDataTypeE0ELb1ELi512EEEvPfS3_PT_PKS4_PKT0_SA_ifPKiSC_iPKfiiiSE_SE_iiiii.num_agpr, 0
	.set _ZN4vllm25paged_attention_v2_kernelI14__hip_bfloat16S1_Li256ELi8ELi128ELNS_18Fp8KVCacheDataTypeE0ELb1ELi512EEEvPfS3_PT_PKS4_PKT0_SA_ifPKiSC_iPKfiiiSE_SE_iiiii.numbered_sgpr, 42
	.set _ZN4vllm25paged_attention_v2_kernelI14__hip_bfloat16S1_Li256ELi8ELi128ELNS_18Fp8KVCacheDataTypeE0ELb1ELi512EEEvPfS3_PT_PKS4_PKT0_SA_ifPKiSC_iPKfiiiSE_SE_iiiii.num_named_barrier, 0
	.set _ZN4vllm25paged_attention_v2_kernelI14__hip_bfloat16S1_Li256ELi8ELi128ELNS_18Fp8KVCacheDataTypeE0ELb1ELi512EEEvPfS3_PT_PKS4_PKT0_SA_ifPKiSC_iPKfiiiSE_SE_iiiii.private_seg_size, 0
	.set _ZN4vllm25paged_attention_v2_kernelI14__hip_bfloat16S1_Li256ELi8ELi128ELNS_18Fp8KVCacheDataTypeE0ELb1ELi512EEEvPfS3_PT_PKS4_PKT0_SA_ifPKiSC_iPKfiiiSE_SE_iiiii.uses_vcc, 1
	.set _ZN4vllm25paged_attention_v2_kernelI14__hip_bfloat16S1_Li256ELi8ELi128ELNS_18Fp8KVCacheDataTypeE0ELb1ELi512EEEvPfS3_PT_PKS4_PKT0_SA_ifPKiSC_iPKfiiiSE_SE_iiiii.uses_flat_scratch, 0
	.set _ZN4vllm25paged_attention_v2_kernelI14__hip_bfloat16S1_Li256ELi8ELi128ELNS_18Fp8KVCacheDataTypeE0ELb1ELi512EEEvPfS3_PT_PKS4_PKT0_SA_ifPKiSC_iPKfiiiSE_SE_iiiii.has_dyn_sized_stack, 0
	.set _ZN4vllm25paged_attention_v2_kernelI14__hip_bfloat16S1_Li256ELi8ELi128ELNS_18Fp8KVCacheDataTypeE0ELb1ELi512EEEvPfS3_PT_PKS4_PKT0_SA_ifPKiSC_iPKfiiiSE_SE_iiiii.has_recursion, 0
	.set _ZN4vllm25paged_attention_v2_kernelI14__hip_bfloat16S1_Li256ELi8ELi128ELNS_18Fp8KVCacheDataTypeE0ELb1ELi512EEEvPfS3_PT_PKS4_PKT0_SA_ifPKiSC_iPKfiiiSE_SE_iiiii.has_indirect_call, 0
	.section	.AMDGPU.csdata,"",@progbits
; Kernel info:
; codeLenInByte = 13516
; TotalNumSgprs: 44
; NumVgprs: 108
; ScratchSize: 0
; MemoryBound: 0
; FloatMode: 240
; IeeeMode: 1
; LDSByteSize: 544 bytes/workgroup (compile time only)
; SGPRBlocks: 0
; VGPRBlocks: 13
; NumSGPRsForWavesPerEU: 44
; NumVGPRsForWavesPerEU: 108
; Occupancy: 12
; WaveLimiterHint : 1
; COMPUTE_PGM_RSRC2:SCRATCH_EN: 0
; COMPUTE_PGM_RSRC2:USER_SGPR: 2
; COMPUTE_PGM_RSRC2:TRAP_HANDLER: 0
; COMPUTE_PGM_RSRC2:TGID_X_EN: 1
; COMPUTE_PGM_RSRC2:TGID_Y_EN: 1
; COMPUTE_PGM_RSRC2:TGID_Z_EN: 1
; COMPUTE_PGM_RSRC2:TIDIG_COMP_CNT: 0
	.section	.text._ZN4vllm32paged_attention_v2_reduce_kernelI14__hip_bfloat16Li256ELi128ELi512EEEvPT_PKfS5_PKS2_PKii,"axG",@progbits,_ZN4vllm32paged_attention_v2_reduce_kernelI14__hip_bfloat16Li256ELi128ELi512EEEvPT_PKfS5_PKS2_PKii,comdat
	.protected	_ZN4vllm32paged_attention_v2_reduce_kernelI14__hip_bfloat16Li256ELi128ELi512EEEvPT_PKfS5_PKS2_PKii ; -- Begin function _ZN4vllm32paged_attention_v2_reduce_kernelI14__hip_bfloat16Li256ELi128ELi512EEEvPT_PKfS5_PKS2_PKii
	.globl	_ZN4vllm32paged_attention_v2_reduce_kernelI14__hip_bfloat16Li256ELi128ELi512EEEvPT_PKfS5_PKS2_PKii
	.p2align	8
	.type	_ZN4vllm32paged_attention_v2_reduce_kernelI14__hip_bfloat16Li256ELi128ELi512EEEvPT_PKfS5_PKS2_PKii,@function
_ZN4vllm32paged_attention_v2_reduce_kernelI14__hip_bfloat16Li256ELi128ELi512EEEvPT_PKfS5_PKS2_PKii: ; @_ZN4vllm32paged_attention_v2_reduce_kernelI14__hip_bfloat16Li256ELi128ELi512EEEvPT_PKfS5_PKS2_PKii
; %bb.0:
	s_load_b128 s[4:7], s[0:1], 0x18
	s_mov_b32 s2, ttmp7
	s_ashr_i32 s3, ttmp7, 31
	s_add_nc_u64 s[8:9], s[0:1], 48
	s_lshl_b64 s[2:3], s[2:3], 2
	s_wait_kmcnt 0x0
	s_add_nc_u64 s[2:3], s[6:7], s[2:3]
	s_load_b32 s18, s[2:3], 0x0
	s_clause 0x2
	s_load_b64 s[6:7], s[0:1], 0x0
	s_load_b32 s14, s[0:1], 0x28
	s_load_b32 s15, s[0:1], 0x30
	s_wait_kmcnt 0x0
	s_add_co_i32 s2, s18, -1
	s_delay_alu instid0(SALU_CYCLE_1)
	s_cmp_gt_u32 s2, 0x1ff
	s_mov_b32 s2, -1
	s_cbranch_scc0 .LBB143_33
; %bb.1:
	s_add_co_i32 s2, s18, 0x1ff
	s_mul_i32 s16, s15, ttmp7
	s_ashr_i32 s3, s2, 31
	v_dual_mov_b32 v4, 0xff7fffff :: v_dual_lshlrev_b32 v3, 2, v0
	s_lshr_b32 s3, s3, 23
	s_mul_i32 s10, s16, s14
	s_add_co_i32 s2, s2, s3
	s_mul_i32 s12, s14, ttmp9
	s_ashr_i32 s17, s2, 9
	s_ashr_i32 s11, s10, 31
	v_cmp_gt_i32_e32 vcc_lo, s17, v0
	s_ashr_i32 s13, s12, 31
	s_and_saveexec_b32 s3, vcc_lo
	s_cbranch_execz .LBB143_5
; %bb.2:
	s_load_b64 s[20:21], s[0:1], 0x10
	s_load_b32 s2, s[8:9], 0xc
	s_lshl_b64 s[22:23], s[10:11], 2
	s_lshl_b64 s[24:25], s[12:13], 2
	v_dual_mov_b32 v4, 0xff7fffff :: v_dual_add_nc_u32 v5, 32, v3
	s_add_nc_u64 s[22:23], s[22:23], s[24:25]
	v_mov_b32_e32 v6, v0
	s_wait_kmcnt 0x0
	s_add_nc_u64 s[20:21], s[20:21], s[22:23]
	s_delay_alu instid0(SALU_CYCLE_1) | instskip(NEXT) | instid1(VALU_DEP_1)
	v_add_co_u32 v1, s19, s20, v3
	v_add_co_ci_u32_e64 v2, null, s21, 0, s19
	s_and_b32 s20, s2, 0xffff
	s_mov_b32 s19, 0
	s_wait_alu 0xfffe
	s_lshl_b32 s21, s20, 2
.LBB143_3:                              ; =>This Inner Loop Header: Depth=1
	global_load_b32 v7, v[1:2], off
	v_add_nc_u32_e32 v6, s20, v6
	v_max_num_f32_e32 v4, v4, v4
	s_wait_alu 0xfffe
	v_add_co_u32 v1, s2, v1, s21
	s_wait_alu 0xf1ff
	v_add_co_ci_u32_e64 v2, null, 0, v2, s2
	v_cmp_le_i32_e64 s2, s17, v6
	s_or_b32 s19, s2, s19
	s_wait_loadcnt 0x0
	v_max_num_f32_e32 v8, v7, v7
	ds_store_b32 v5, v7
	v_dual_max_num_f32 v4, v4, v8 :: v_dual_add_nc_u32 v5, s21, v5
	s_wait_alu 0xfffe
	s_and_not1_b32 exec_lo, exec_lo, s19
	s_cbranch_execnz .LBB143_3
; %bb.4:
	s_or_b32 exec_lo, exec_lo, s19
.LBB143_5:
	s_delay_alu instid0(SALU_CYCLE_1)
	s_or_b32 exec_lo, exec_lo, s3
	v_mbcnt_lo_u32_b32 v1, -1, 0
	s_load_b64 s[2:3], s[0:1], 0x8
	s_wait_dscnt 0x0
	s_barrier_signal -1
	s_barrier_wait -1
	v_xor_b32_e32 v2, 16, v1
	v_xor_b32_e32 v5, 8, v1
	global_inv scope:SCOPE_SE
	v_cmp_gt_i32_e64 s0, 32, v2
	s_delay_alu instid0(VALU_DEP_1) | instskip(SKIP_1) | instid1(VALU_DEP_2)
	v_cndmask_b32_e64 v2, v1, v2, s0
	v_cmp_gt_i32_e64 s0, 32, v5
	v_lshlrev_b32_e32 v6, 2, v2
	s_wait_alu 0xf1ff
	s_delay_alu instid0(VALU_DEP_2) | instskip(SKIP_3) | instid1(VALU_DEP_1)
	v_cndmask_b32_e64 v5, v1, v5, s0
	ds_bpermute_b32 v2, v6, v4
	v_dual_max_num_f32 v4, v4, v4 :: v_dual_lshlrev_b32 v7, 2, v5
	v_xor_b32_e32 v5, 4, v1
	v_cmp_gt_i32_e64 s0, 32, v5
	s_wait_alu 0xf1ff
	s_delay_alu instid0(VALU_DEP_1) | instskip(NEXT) | instid1(VALU_DEP_1)
	v_cndmask_b32_e64 v5, v1, v5, s0
	v_lshlrev_b32_e32 v8, 2, v5
	v_xor_b32_e32 v5, 2, v1
	s_wait_dscnt 0x0
	v_max_num_f32_e32 v2, v2, v2
	s_delay_alu instid0(VALU_DEP_2) | instskip(NEXT) | instid1(VALU_DEP_2)
	v_cmp_gt_i32_e64 s0, 32, v5
	v_max_num_f32_e32 v2, v4, v2
	s_wait_alu 0xf1ff
	s_delay_alu instid0(VALU_DEP_2) | instskip(SKIP_3) | instid1(VALU_DEP_1)
	v_cndmask_b32_e64 v5, v1, v5, s0
	ds_bpermute_b32 v4, v7, v2
	s_wait_dscnt 0x0
	v_max_num_f32_e32 v4, v4, v4
	v_max_num_f32_e32 v2, v2, v4
	ds_bpermute_b32 v4, v8, v2
	s_wait_dscnt 0x0
	v_dual_max_num_f32 v9, v4, v4 :: v_dual_lshlrev_b32 v4, 2, v5
	s_delay_alu instid0(VALU_DEP_1) | instskip(SKIP_4) | instid1(VALU_DEP_1)
	v_max_num_f32_e32 v2, v2, v9
	v_xor_b32_e32 v9, 1, v1
	ds_bpermute_b32 v5, v4, v2
	v_cmp_gt_i32_e64 s0, 32, v9
	s_wait_alu 0xf1ff
	v_cndmask_b32_e64 v1, v1, v9, s0
	v_lshrrev_b32_e32 v9, 5, v0
	s_delay_alu instid0(VALU_DEP_1) | instskip(SKIP_2) | instid1(VALU_DEP_1)
	v_lshlrev_b32_e32 v9, 2, v9
	s_wait_dscnt 0x0
	v_max_num_f32_e32 v5, v5, v5
	v_max_num_f32_e32 v2, v2, v5
	v_lshlrev_b32_e32 v5, 2, v1
	v_and_b32_e32 v1, 31, v0
	ds_bpermute_b32 v10, v5, v2
	v_cmp_eq_u32_e64 s0, 0, v1
	s_and_saveexec_b32 s1, s0
	s_cbranch_execz .LBB143_7
; %bb.6:
	s_wait_dscnt 0x0
	v_max_num_f32_e32 v10, v10, v10
	v_max_num_f32_e32 v2, v2, v2
	s_delay_alu instid0(VALU_DEP_1)
	v_max_num_f32_e32 v2, v2, v10
	ds_store_b32 v9, v2
.LBB143_7:
	s_wait_alu 0xfffe
	s_or_b32 exec_lo, exec_lo, s1
	v_cmp_gt_u32_e64 s1, 4, v1
	v_mov_b32_e32 v2, 0xff7fffff
	s_wait_dscnt 0x0
	v_lshlrev_b32_e32 v10, 2, v1
	s_wait_loadcnt 0x0
	s_barrier_signal -1
	s_barrier_wait -1
	global_inv scope:SCOPE_SE
	s_and_saveexec_b32 s19, s1
; %bb.8:
	ds_load_b32 v2, v10
; %bb.9:
	s_wait_alu 0xfffe
	s_or_b32 exec_lo, exec_lo, s19
	s_wait_dscnt 0x0
	ds_bpermute_b32 v1, v4, v2
	v_max_num_f32_e32 v2, v2, v2
	s_lshl_b32 s19, s17, 2
	v_mov_b32_e32 v11, 0
	s_wait_dscnt 0x0
	v_max_num_f32_e32 v1, v1, v1
	s_delay_alu instid0(VALU_DEP_1) | instskip(SKIP_3) | instid1(VALU_DEP_1)
	v_max_num_f32_e32 v1, v2, v1
	ds_bpermute_b32 v2, v5, v1
	s_wait_dscnt 0x0
	v_max_num_f32_e32 v2, v2, v2
	v_max_num_f32_e32 v1, v1, v2
	ds_bpermute_b32 v12, v11, v1
	s_and_saveexec_b32 s20, vcc_lo
	s_cbranch_execz .LBB143_13
; %bb.10:
	s_load_b32 s21, s[8:9], 0xc
	s_lshl_b64 s[22:23], s[10:11], 2
	s_lshl_b64 s[24:25], s[12:13], 2
	v_mov_b32_e32 v11, 0
	s_add_nc_u64 s[22:23], s[22:23], s[24:25]
	v_mov_b32_e32 v13, v0
	s_wait_kmcnt 0x0
	s_add_nc_u64 s[2:3], s[2:3], s[22:23]
	s_wait_alu 0xfffe
	v_add_co_u32 v1, s2, s2, v3
	s_wait_alu 0xf1ff
	v_add_co_ci_u32_e64 v2, null, s3, 0, s2
	v_add_nc_u32_e32 v3, 32, v3
	s_mov_b32 s3, 0
	s_and_b32 s11, s21, 0xffff
	s_delay_alu instid0(SALU_CYCLE_1)
	s_lshl_b32 s13, s11, 2
.LBB143_11:                             ; =>This Inner Loop Header: Depth=1
	global_load_b32 v14, v[1:2], off
	ds_load_b32 v15, v3
	v_add_nc_u32_e32 v13, s11, v13
	s_wait_dscnt 0x0
	v_sub_f32_e32 v15, v15, v12
	s_delay_alu instid0(VALU_DEP_1) | instskip(NEXT) | instid1(VALU_DEP_1)
	v_mul_f32_e32 v16, 0x3fb8aa3b, v15
	v_fma_f32 v17, 0x3fb8aa3b, v15, -v16
	v_rndne_f32_e32 v18, v16
	s_delay_alu instid0(VALU_DEP_1) | instskip(SKIP_1) | instid1(VALU_DEP_4)
	v_sub_f32_e32 v16, v16, v18
	v_cmp_ngt_f32_e32 vcc_lo, 0xc2ce8ed0, v15
	v_fmac_f32_e32 v17, 0x32a5705f, v15
	v_cmp_nlt_f32_e64 s2, 0x42b17218, v15
	s_delay_alu instid0(VALU_DEP_2) | instskip(SKIP_1) | instid1(VALU_DEP_2)
	v_add_f32_e32 v16, v16, v17
	v_cvt_i32_f32_e32 v17, v18
	v_exp_f32_e32 v16, v16
	s_delay_alu instid0(TRANS32_DEP_1) | instskip(SKIP_2) | instid1(VALU_DEP_2)
	v_ldexp_f32 v16, v16, v17
	v_add_nc_u32_e32 v17, s19, v3
	s_wait_alu 0xfffd
	v_dual_cndmask_b32 v16, 0, v16 :: v_dual_add_nc_u32 v3, s13, v3
	v_add_co_u32 v1, vcc_lo, v1, s13
	s_wait_alu 0xfffd
	v_add_co_ci_u32_e64 v2, null, 0, v2, vcc_lo
	s_wait_alu 0xf1ff
	v_cndmask_b32_e64 v15, 0x7f800000, v16, s2
	v_cmp_le_i32_e32 vcc_lo, s17, v13
	s_wait_alu 0xfffe
	s_or_b32 s3, vcc_lo, s3
	s_wait_loadcnt 0x0
	v_mul_f32_e32 v16, v14, v15
	v_fmac_f32_e32 v11, v14, v15
	ds_store_b32 v17, v16
	s_wait_alu 0xfffe
	s_and_not1_b32 exec_lo, exec_lo, s3
	s_cbranch_execnz .LBB143_11
; %bb.12:
	s_or_b32 exec_lo, exec_lo, s3
.LBB143_13:
	s_wait_alu 0xfffe
	s_or_b32 exec_lo, exec_lo, s20
	ds_bpermute_b32 v1, v6, v11
	s_wait_loadcnt_dscnt 0x0
	s_barrier_signal -1
	s_barrier_wait -1
	global_inv scope:SCOPE_SE
	v_add_f32_e32 v1, v11, v1
	ds_bpermute_b32 v2, v7, v1
	s_wait_dscnt 0x0
	v_add_f32_e32 v1, v1, v2
	ds_bpermute_b32 v2, v8, v1
	s_wait_dscnt 0x0
	;; [unrolled: 3-line block ×4, first 2 shown]
	v_add_f32_e32 v1, v1, v2
	s_wait_kmcnt 0x0
	s_and_saveexec_b32 s2, s0
; %bb.14:
	ds_store_b32 v9, v1 offset:16
; %bb.15:
	s_wait_alu 0xfffe
	s_or_b32 exec_lo, exec_lo, s2
	s_wait_loadcnt_dscnt 0x0
	s_barrier_signal -1
	s_barrier_wait -1
	global_inv scope:SCOPE_SE
	s_and_saveexec_b32 s0, s1
; %bb.16:
	ds_load_b32 v1, v10 offset:16
; %bb.17:
	s_wait_alu 0xfffe
	s_or_b32 exec_lo, exec_lo, s0
	s_wait_dscnt 0x0
	ds_bpermute_b32 v2, v4, v1
	s_mov_b32 s11, exec_lo
	s_wait_dscnt 0x0
	v_add_f32_e32 v1, v1, v2
	ds_bpermute_b32 v2, v5, v1
	s_wait_dscnt 0x0
	v_dual_add_f32 v1, v1, v2 :: v_dual_mov_b32 v2, 0
	ds_bpermute_b32 v1, v2, v1
	v_cmpx_gt_u32_e32 0x100, v0
	s_cbranch_execz .LBB143_32
; %bb.18:
	s_wait_dscnt 0x0
	v_add_f32_e32 v2, 0x358637bd, v1
	s_lshl_b32 s0, s10, 8
	s_lshl_b32 s2, s12, 8
	s_wait_alu 0xfffe
	s_ashr_i32 s1, s0, 31
	s_ashr_i32 s3, s2, 31
	v_div_scale_f32 v1, null, v2, v2, 1.0
	s_cmp_gt_i32 s18, 0
	s_mov_b32 s12, 0
	s_cselect_b32 s13, -1, 0
	v_rcp_f32_e32 v3, v1
	s_delay_alu instid0(TRANS32_DEP_1) | instskip(NEXT) | instid1(VALU_DEP_1)
	v_fma_f32 v4, -v1, v3, 1.0
	v_fmac_f32_e32 v3, v4, v3
	v_div_scale_f32 v5, vcc_lo, 1.0, v2, 1.0
	s_delay_alu instid0(VALU_DEP_1) | instskip(NEXT) | instid1(VALU_DEP_1)
	v_mul_f32_e32 v4, v5, v3
	v_fma_f32 v6, -v1, v4, v5
	s_delay_alu instid0(VALU_DEP_1) | instskip(NEXT) | instid1(VALU_DEP_1)
	v_fmac_f32_e32 v4, v6, v3
	v_fma_f32 v1, -v1, v4, v5
	s_wait_alu 0xfffd
	s_delay_alu instid0(VALU_DEP_1)
	v_div_fmas_f32 v3, v1, v3, v4
	s_wait_alu 0xfffe
	s_and_b32 vcc_lo, exec_lo, s13
	s_wait_alu 0xfffe
	s_cbranch_vccnz .LBB143_20
; %bb.19:
	v_mov_b32_e32 v1, 0
	s_branch .LBB143_21
.LBB143_20:
	s_mov_b32 s12, -1
.LBB143_21:
	v_div_fixup_f32 v5, v3, v2, 1.0
	v_mov_b32_e32 v6, 0
	s_add_co_i32 s10, s19, 32
	s_wait_alu 0xfffe
	s_and_not1_b32 vcc_lo, exec_lo, s12
	s_max_i32 s12, s17, 1
	s_wait_alu 0xfffe
	s_cbranch_vccnz .LBB143_25
; %bb.22:
	s_lshl_b64 s[18:19], s[0:1], 1
	s_lshl_b64 s[20:21], s[2:3], 1
	v_dual_mov_b32 v1, 0 :: v_dual_lshlrev_b32 v2, 1, v0
	s_wait_alu 0xfffe
	s_add_nc_u64 s[18:19], s[18:19], s[20:21]
	s_wait_alu 0xfffe
	s_add_nc_u64 s[18:19], s[4:5], s[18:19]
	s_wait_alu 0xfffe
	v_add_co_u32 v2, s17, s18, v2
	s_wait_alu 0xf1ff
	v_add_co_ci_u32_e64 v3, null, s19, 0, s17
	v_mov_b32_e32 v4, v1
	s_mov_b32 s17, s10
	s_mov_b32 s18, s12
.LBB143_23:                             ; =>This Inner Loop Header: Depth=1
	global_load_u16 v6, v[2:3], off
	s_wait_alu 0xfffe
	v_mov_b32_e32 v7, s17
	v_add_co_u32 v2, vcc_lo, 0x200, v2
	s_wait_alu 0xfffd
	v_add_co_ci_u32_e64 v3, null, 0, v3, vcc_lo
	s_add_co_i32 s18, s18, -1
	s_add_co_i32 s17, s17, 4
	s_wait_alu 0xfffe
	s_cmp_eq_u32 s18, 0
	s_wait_loadcnt 0x0
	v_lshlrev_b32_e32 v6, 16, v6
	ds_load_b32 v7, v7
	s_wait_dscnt 0x0
	v_mul_f32_e32 v6, v7, v6
	s_delay_alu instid0(VALU_DEP_1)
	v_fmac_f32_e32 v4, v5, v6
	s_cbranch_scc0 .LBB143_23
; %bb.24:
	s_delay_alu instid0(VALU_DEP_1) | instskip(SKIP_2) | instid1(VALU_DEP_3)
	v_bfe_u32 v2, v4, 16, 1
	v_or_b32_e32 v3, 0x400000, v4
	v_cmp_u_f32_e32 vcc_lo, v4, v4
	v_add3_u32 v2, v2, v4, 0x7fff
	s_wait_alu 0xfffd
	s_delay_alu instid0(VALU_DEP_1) | instskip(NEXT) | instid1(VALU_DEP_1)
	v_cndmask_b32_e32 v2, v2, v3, vcc_lo
	v_lshrrev_b32_e32 v6, 16, v2
.LBB143_25:
	s_lshl_b32 s16, s16, 8
	s_lshl_b32 s18, ttmp9, 8
	s_wait_alu 0xfffe
	s_ashr_i32 s17, s16, 31
	s_ashr_i32 s19, s18, 31
	s_wait_alu 0xfffe
	s_lshl_b64 s[16:17], s[16:17], 1
	v_lshlrev_b64_e32 v[3:4], 1, v[0:1]
	s_lshl_b64 s[18:19], s[18:19], 1
	s_wait_alu 0xfffe
	s_add_nc_u64 s[16:17], s[6:7], s[16:17]
	s_wait_alu 0xfffe
	s_add_nc_u64 s[16:17], s[16:17], s[18:19]
	s_wait_alu 0xfffe
	v_add_co_u32 v1, vcc_lo, s16, v3
	s_wait_alu 0xfffd
	v_add_co_ci_u32_e64 v2, null, s17, v4, vcc_lo
	v_cmp_gt_u32_e32 vcc_lo, 0x80, v0
	global_store_b16 v[1:2], v6, off
	s_and_b32 exec_lo, exec_lo, vcc_lo
	s_cbranch_execz .LBB143_32
; %bb.26:
	s_and_not1_b32 vcc_lo, exec_lo, s13
	s_wait_alu 0xfffe
	s_cbranch_vccnz .LBB143_30
; %bb.27:
	s_lshl_b64 s[0:1], s[0:1], 1
	s_lshl_b64 s[2:3], s[2:3], 1
	v_mov_b32_e32 v6, 0
	s_wait_alu 0xfffe
	s_add_nc_u64 s[0:1], s[0:1], s[2:3]
	s_wait_alu 0xfffe
	s_add_nc_u64 s[0:1], s[4:5], s[0:1]
	s_wait_alu 0xfffe
	v_add_co_u32 v3, vcc_lo, s0, v3
	s_wait_alu 0xfffd
	v_add_co_ci_u32_e64 v4, null, s1, v4, vcc_lo
	s_delay_alu instid0(VALU_DEP_2) | instskip(SKIP_1) | instid1(VALU_DEP_2)
	v_add_co_u32 v3, vcc_lo, 0x100, v3
	s_wait_alu 0xfffd
	v_add_co_ci_u32_e64 v4, null, 0, v4, vcc_lo
.LBB143_28:                             ; =>This Inner Loop Header: Depth=1
	global_load_u16 v7, v[3:4], off
	v_mov_b32_e32 v8, s10
	v_add_co_u32 v3, vcc_lo, 0x200, v3
	s_wait_alu 0xfffd
	v_add_co_ci_u32_e64 v4, null, 0, v4, vcc_lo
	s_add_co_i32 s12, s12, -1
	s_add_co_i32 s10, s10, 4
	s_wait_alu 0xfffe
	s_cmp_lg_u32 s12, 0
	s_wait_loadcnt 0x0
	v_lshlrev_b32_e32 v7, 16, v7
	ds_load_b32 v8, v8
	s_wait_dscnt 0x0
	v_mul_f32_e32 v7, v8, v7
	s_delay_alu instid0(VALU_DEP_1)
	v_fmac_f32_e32 v6, v5, v7
	s_cbranch_scc1 .LBB143_28
; %bb.29:
	s_delay_alu instid0(VALU_DEP_1) | instskip(SKIP_2) | instid1(VALU_DEP_3)
	v_bfe_u32 v3, v6, 16, 1
	v_or_b32_e32 v4, 0x400000, v6
	v_cmp_u_f32_e32 vcc_lo, v6, v6
	v_add3_u32 v3, v3, v6, 0x7fff
	s_wait_alu 0xfffd
	s_delay_alu instid0(VALU_DEP_1) | instskip(NEXT) | instid1(VALU_DEP_1)
	v_cndmask_b32_e32 v3, v3, v4, vcc_lo
	v_lshrrev_b32_e32 v3, 16, v3
	s_branch .LBB143_31
.LBB143_30:
	v_mov_b32_e32 v3, 0
.LBB143_31:
	global_store_b16 v[1:2], v3, off offset:256
.LBB143_32:
	s_wait_alu 0xfffe
	s_or_b32 exec_lo, exec_lo, s11
	s_mov_b32 s2, 0
.LBB143_33:
	s_wait_alu 0xfffe
	s_and_b32 vcc_lo, exec_lo, s2
	s_wait_alu 0xfffe
	s_cbranch_vccz .LBB143_42
; %bb.34:
	s_mov_b32 s0, exec_lo
	v_cmpx_gt_u32_e32 0x100, v0
	s_cbranch_execz .LBB143_42
; %bb.35:
	s_load_b32 s0, s[8:9], 0xc
	s_mul_i32 s15, s15, ttmp7
	s_mul_i32 s1, s14, ttmp9
	s_mul_i32 s14, s14, s15
	s_lshl_b32 s2, ttmp9, 8
	s_lshl_b32 s10, s15, 8
	s_wait_alu 0xfffe
	s_lshl_b32 s8, s1, 8
	s_lshl_b32 s12, s14, 8
	v_cmp_gt_u32_e32 vcc_lo, 0xfd, v0
	s_ashr_i32 s3, s2, 31
	s_ashr_i32 s11, s10, 31
	;; [unrolled: 1-line block ×3, first 2 shown]
	s_wait_alu 0xfffe
	s_ashr_i32 s13, s12, 31
	s_wait_kmcnt 0x0
	s_and_b32 s1, s0, 0xffff
	s_wait_alu 0xfffe
	s_cmp_eq_u32 s1, 1
	s_cselect_b32 s0, -1, 0
	s_wait_alu 0xfffe
	s_and_b32 s15, vcc_lo, s0
	s_mov_b32 s0, -1
	s_and_saveexec_b32 s14, s15
	s_cbranch_execz .LBB143_39
; %bb.36:
	s_lshl_b64 s[16:17], s[12:13], 1
	s_lshl_b64 s[18:19], s[8:9], 1
	s_wait_dscnt 0x0
	v_lshlrev_b32_e32 v1, 1, v0
	s_wait_alu 0xfffe
	s_add_nc_u64 s[16:17], s[16:17], s[18:19]
	s_lshl_b64 s[18:19], s[10:11], 1
	s_lshl_b64 s[20:21], s[2:3], 1
	s_wait_alu 0xfffe
	s_add_nc_u64 s[16:17], s[4:5], s[16:17]
	s_add_nc_u64 s[18:19], s[18:19], s[20:21]
	s_wait_alu 0xfffe
	v_add_co_u32 v2, s0, s16, v1
	v_sub_nc_u32_e32 v5, 0x100, v0
	s_wait_alu 0xf1ff
	v_add_co_ci_u32_e64 v3, null, s17, 0, s0
	s_add_nc_u64 s[16:17], s[6:7], s[18:19]
	s_mov_b32 s15, 0
	s_wait_alu 0xfffe
	v_add_co_u32 v4, s0, s16, v1
	v_and_b32_e32 v6, 0x1fc, v5
	s_wait_alu 0xf1ff
	v_add_co_ci_u32_e64 v7, null, s17, 0, s0
	v_add_co_u32 v1, vcc_lo, v2, 4
	s_wait_alu 0xfffd
	v_add_co_ci_u32_e64 v2, null, 0, v3, vcc_lo
	v_add_co_u32 v3, vcc_lo, v4, 4
	s_wait_alu 0xfffd
	v_add_co_ci_u32_e64 v4, null, 0, v7, vcc_lo
	v_mov_b32_e32 v7, v6
.LBB143_37:                             ; =>This Inner Loop Header: Depth=1
	global_load_b64 v[8:9], v[1:2], off offset:-4
	v_add_nc_u32_e32 v7, -4, v7
	v_add_co_u32 v1, vcc_lo, v1, 8
	s_wait_alu 0xfffd
	v_add_co_ci_u32_e64 v2, null, 0, v2, vcc_lo
	s_delay_alu instid0(VALU_DEP_3)
	v_cmp_eq_u32_e32 vcc_lo, 0, v7
	s_or_b32 s15, vcc_lo, s15
	s_wait_loadcnt 0x0
	global_store_b64 v[3:4], v[8:9], off offset:-4
	v_add_co_u32 v3, s0, v3, 8
	s_wait_alu 0xf1ff
	v_add_co_ci_u32_e64 v4, null, 0, v4, s0
	s_and_not1_b32 exec_lo, exec_lo, s15
	s_cbranch_execnz .LBB143_37
; %bb.38:
	s_or_b32 exec_lo, exec_lo, s15
	v_cmp_ne_u32_e32 vcc_lo, v5, v6
	v_add_nc_u32_e32 v0, v0, v6
	s_or_not1_b32 s0, vcc_lo, exec_lo
.LBB143_39:
	s_or_b32 exec_lo, exec_lo, s14
	s_wait_alu 0xfffe
	s_and_b32 exec_lo, exec_lo, s0
	s_cbranch_execz .LBB143_42
; %bb.40:
	s_lshl_b64 s[10:11], s[10:11], 1
	s_lshl_b64 s[2:3], s[2:3], 1
	s_wait_alu 0xfffe
	s_add_nc_u64 s[6:7], s[6:7], s[10:11]
	s_lshl_b64 s[10:11], s[12:13], 1
	s_wait_dscnt 0x0
	v_dual_mov_b32 v2, 0 :: v_dual_lshlrev_b32 v1, 1, v0
	s_add_nc_u64 s[2:3], s[6:7], s[2:3]
	s_wait_alu 0xfffe
	s_add_nc_u64 s[4:5], s[4:5], s[10:11]
	s_lshl_b64 s[6:7], s[8:9], 1
	s_delay_alu instid0(SALU_CYCLE_1)
	s_add_nc_u64 s[4:5], s[4:5], s[6:7]
	s_mov_b32 s6, 0
	s_lshl_b32 s7, s1, 1
.LBB143_41:                             ; =>This Inner Loop Header: Depth=1
	v_add_co_u32 v3, vcc_lo, s4, v1
	s_wait_alu 0xfffd
	v_add_co_ci_u32_e64 v4, null, s5, v2, vcc_lo
	v_add_nc_u32_e32 v0, s1, v0
	global_load_u16 v5, v[3:4], off
	v_add_co_u32 v3, vcc_lo, s2, v1
	s_wait_alu 0xfffd
	v_add_co_ci_u32_e64 v4, null, s3, v2, vcc_lo
	v_cmp_lt_u32_e32 vcc_lo, 0xff, v0
	v_add_co_u32 v1, s0, v1, s7
	s_wait_alu 0xf1ff
	v_add_co_ci_u32_e64 v2, null, 0, v2, s0
	s_or_b32 s6, vcc_lo, s6
	s_wait_loadcnt 0x0
	global_store_b16 v[3:4], v5, off
	s_wait_alu 0xfffe
	s_and_not1_b32 exec_lo, exec_lo, s6
	s_cbranch_execnz .LBB143_41
.LBB143_42:
	s_endpgm
	.section	.rodata,"a",@progbits
	.p2align	6, 0x0
	.amdhsa_kernel _ZN4vllm32paged_attention_v2_reduce_kernelI14__hip_bfloat16Li256ELi128ELi512EEEvPT_PKfS5_PKS2_PKii
		.amdhsa_group_segment_fixed_size 32
		.amdhsa_private_segment_fixed_size 0
		.amdhsa_kernarg_size 304
		.amdhsa_user_sgpr_count 2
		.amdhsa_user_sgpr_dispatch_ptr 0
		.amdhsa_user_sgpr_queue_ptr 0
		.amdhsa_user_sgpr_kernarg_segment_ptr 1
		.amdhsa_user_sgpr_dispatch_id 0
		.amdhsa_user_sgpr_private_segment_size 0
		.amdhsa_wavefront_size32 1
		.amdhsa_uses_dynamic_stack 0
		.amdhsa_enable_private_segment 0
		.amdhsa_system_sgpr_workgroup_id_x 1
		.amdhsa_system_sgpr_workgroup_id_y 1
		.amdhsa_system_sgpr_workgroup_id_z 0
		.amdhsa_system_sgpr_workgroup_info 0
		.amdhsa_system_vgpr_workitem_id 0
		.amdhsa_next_free_vgpr 19
		.amdhsa_next_free_sgpr 26
		.amdhsa_reserve_vcc 1
		.amdhsa_float_round_mode_32 0
		.amdhsa_float_round_mode_16_64 0
		.amdhsa_float_denorm_mode_32 3
		.amdhsa_float_denorm_mode_16_64 3
		.amdhsa_fp16_overflow 0
		.amdhsa_workgroup_processor_mode 1
		.amdhsa_memory_ordered 1
		.amdhsa_forward_progress 1
		.amdhsa_inst_pref_size 22
		.amdhsa_round_robin_scheduling 0
		.amdhsa_exception_fp_ieee_invalid_op 0
		.amdhsa_exception_fp_denorm_src 0
		.amdhsa_exception_fp_ieee_div_zero 0
		.amdhsa_exception_fp_ieee_overflow 0
		.amdhsa_exception_fp_ieee_underflow 0
		.amdhsa_exception_fp_ieee_inexact 0
		.amdhsa_exception_int_div_zero 0
	.end_amdhsa_kernel
	.section	.text._ZN4vllm32paged_attention_v2_reduce_kernelI14__hip_bfloat16Li256ELi128ELi512EEEvPT_PKfS5_PKS2_PKii,"axG",@progbits,_ZN4vllm32paged_attention_v2_reduce_kernelI14__hip_bfloat16Li256ELi128ELi512EEEvPT_PKfS5_PKS2_PKii,comdat
.Lfunc_end143:
	.size	_ZN4vllm32paged_attention_v2_reduce_kernelI14__hip_bfloat16Li256ELi128ELi512EEEvPT_PKfS5_PKS2_PKii, .Lfunc_end143-_ZN4vllm32paged_attention_v2_reduce_kernelI14__hip_bfloat16Li256ELi128ELi512EEEvPT_PKfS5_PKS2_PKii
                                        ; -- End function
	.set _ZN4vllm32paged_attention_v2_reduce_kernelI14__hip_bfloat16Li256ELi128ELi512EEEvPT_PKfS5_PKS2_PKii.num_vgpr, 19
	.set _ZN4vllm32paged_attention_v2_reduce_kernelI14__hip_bfloat16Li256ELi128ELi512EEEvPT_PKfS5_PKS2_PKii.num_agpr, 0
	.set _ZN4vllm32paged_attention_v2_reduce_kernelI14__hip_bfloat16Li256ELi128ELi512EEEvPT_PKfS5_PKS2_PKii.numbered_sgpr, 26
	.set _ZN4vllm32paged_attention_v2_reduce_kernelI14__hip_bfloat16Li256ELi128ELi512EEEvPT_PKfS5_PKS2_PKii.num_named_barrier, 0
	.set _ZN4vllm32paged_attention_v2_reduce_kernelI14__hip_bfloat16Li256ELi128ELi512EEEvPT_PKfS5_PKS2_PKii.private_seg_size, 0
	.set _ZN4vllm32paged_attention_v2_reduce_kernelI14__hip_bfloat16Li256ELi128ELi512EEEvPT_PKfS5_PKS2_PKii.uses_vcc, 1
	.set _ZN4vllm32paged_attention_v2_reduce_kernelI14__hip_bfloat16Li256ELi128ELi512EEEvPT_PKfS5_PKS2_PKii.uses_flat_scratch, 0
	.set _ZN4vllm32paged_attention_v2_reduce_kernelI14__hip_bfloat16Li256ELi128ELi512EEEvPT_PKfS5_PKS2_PKii.has_dyn_sized_stack, 0
	.set _ZN4vllm32paged_attention_v2_reduce_kernelI14__hip_bfloat16Li256ELi128ELi512EEEvPT_PKfS5_PKS2_PKii.has_recursion, 0
	.set _ZN4vllm32paged_attention_v2_reduce_kernelI14__hip_bfloat16Li256ELi128ELi512EEEvPT_PKfS5_PKS2_PKii.has_indirect_call, 0
	.section	.AMDGPU.csdata,"",@progbits
; Kernel info:
; codeLenInByte = 2804
; TotalNumSgprs: 28
; NumVgprs: 19
; ScratchSize: 0
; MemoryBound: 0
; FloatMode: 240
; IeeeMode: 1
; LDSByteSize: 32 bytes/workgroup (compile time only)
; SGPRBlocks: 0
; VGPRBlocks: 2
; NumSGPRsForWavesPerEU: 28
; NumVGPRsForWavesPerEU: 19
; Occupancy: 16
; WaveLimiterHint : 0
; COMPUTE_PGM_RSRC2:SCRATCH_EN: 0
; COMPUTE_PGM_RSRC2:USER_SGPR: 2
; COMPUTE_PGM_RSRC2:TRAP_HANDLER: 0
; COMPUTE_PGM_RSRC2:TGID_X_EN: 1
; COMPUTE_PGM_RSRC2:TGID_Y_EN: 1
; COMPUTE_PGM_RSRC2:TGID_Z_EN: 0
; COMPUTE_PGM_RSRC2:TIDIG_COMP_CNT: 0
	.section	.text._ZN4vllm25paged_attention_v2_kernelI14__hip_bfloat16S1_Li32ELi8ELi128ELNS_18Fp8KVCacheDataTypeE0ELb0ELi512EEEvPfS3_PT_PKS4_PKT0_SA_ifPKiSC_iPKfiiiSE_SE_iiiii,"axG",@progbits,_ZN4vllm25paged_attention_v2_kernelI14__hip_bfloat16S1_Li32ELi8ELi128ELNS_18Fp8KVCacheDataTypeE0ELb0ELi512EEEvPfS3_PT_PKS4_PKT0_SA_ifPKiSC_iPKfiiiSE_SE_iiiii,comdat
	.protected	_ZN4vllm25paged_attention_v2_kernelI14__hip_bfloat16S1_Li32ELi8ELi128ELNS_18Fp8KVCacheDataTypeE0ELb0ELi512EEEvPfS3_PT_PKS4_PKT0_SA_ifPKiSC_iPKfiiiSE_SE_iiiii ; -- Begin function _ZN4vllm25paged_attention_v2_kernelI14__hip_bfloat16S1_Li32ELi8ELi128ELNS_18Fp8KVCacheDataTypeE0ELb0ELi512EEEvPfS3_PT_PKS4_PKT0_SA_ifPKiSC_iPKfiiiSE_SE_iiiii
	.globl	_ZN4vllm25paged_attention_v2_kernelI14__hip_bfloat16S1_Li32ELi8ELi128ELNS_18Fp8KVCacheDataTypeE0ELb0ELi512EEEvPfS3_PT_PKS4_PKT0_SA_ifPKiSC_iPKfiiiSE_SE_iiiii
	.p2align	8
	.type	_ZN4vllm25paged_attention_v2_kernelI14__hip_bfloat16S1_Li32ELi8ELi128ELNS_18Fp8KVCacheDataTypeE0ELb0ELi512EEEvPfS3_PT_PKS4_PKT0_SA_ifPKiSC_iPKfiiiSE_SE_iiiii,@function
_ZN4vllm25paged_attention_v2_kernelI14__hip_bfloat16S1_Li32ELi8ELi128ELNS_18Fp8KVCacheDataTypeE0ELb0ELi512EEEvPfS3_PT_PKS4_PKT0_SA_ifPKiSC_iPKfiiiSE_SE_iiiii: ; @_ZN4vllm25paged_attention_v2_kernelI14__hip_bfloat16S1_Li32ELi8ELi128ELNS_18Fp8KVCacheDataTypeE0ELb0ELi512EEEvPfS3_PT_PKS4_PKT0_SA_ifPKiSC_iPKfiiiSE_SE_iiiii
; %bb.0:
	s_load_b64 s[2:3], s[0:1], 0x40
	s_and_b32 s20, ttmp7, 0xffff
	s_lshr_b32 s27, ttmp7, 16
	s_lshl_b32 s4, s20, 2
	s_lshl_b32 s26, s27, 9
	s_wait_kmcnt 0x0
	s_load_b32 s24, s[2:3], s4 offset:0x0
	s_wait_kmcnt 0x0
	s_cmp_ge_i32 s26, s24
	s_cbranch_scc1 .LBB144_46
; %bb.1:
	s_clause 0x1
	s_load_b32 s21, s[0:1], 0x90
	s_load_b64 s[6:7], s[0:1], 0x30
	s_wait_kmcnt 0x0
	s_abs_i32 s5, s21
	s_abs_i32 s2, s6
	s_delay_alu instid0(SALU_CYCLE_1) | instskip(SKIP_1) | instid1(SALU_CYCLE_2)
	s_cvt_f32_u32 s3, s2
	s_sub_co_i32 s4, 0, s2
	v_rcp_iflag_f32_e32 v1, s3
	s_delay_alu instid0(TRANS32_DEP_1) | instskip(SKIP_2) | instid1(SALU_CYCLE_2)
	v_readfirstlane_b32 s3, v1
	s_mul_f32 s3, s3, 0x4f7ffffe
	s_wait_alu 0xfffe
	s_cvt_u32_f32 s3, s3
	s_wait_alu 0xfffe
	s_delay_alu instid0(SALU_CYCLE_2) | instskip(NEXT) | instid1(SALU_CYCLE_1)
	s_mul_i32 s4, s4, s3
	s_mul_hi_u32 s4, s3, s4
	s_delay_alu instid0(SALU_CYCLE_1)
	s_add_co_i32 s3, s3, s4
	s_xor_b32 s4, s21, s6
	s_wait_alu 0xfffe
	s_mul_hi_u32 s3, s5, s3
	s_ashr_i32 s4, s4, 31
	s_wait_alu 0xfffe
	s_mul_i32 s6, s3, s2
	s_delay_alu instid0(SALU_CYCLE_1)
	s_sub_co_i32 s5, s5, s6
	s_add_co_i32 s6, s3, 1
	s_sub_co_i32 s8, s5, s2
	s_cmp_ge_u32 s5, s2
	s_cselect_b32 s3, s6, s3
	s_cselect_b32 s5, s8, s5
	s_wait_alu 0xfffe
	s_add_co_i32 s6, s3, 1
	s_cmp_ge_u32 s5, s2
	s_load_b64 s[8:9], s[0:1], 0x50
	s_cselect_b32 s2, s6, s3
	s_mov_b32 s3, 0
	s_wait_alu 0xfffe
	s_xor_b32 s2, s2, s4
	s_mov_b32 s6, s3
	s_wait_alu 0xfffe
	s_sub_co_i32 s12, s2, s4
	s_delay_alu instid0(SALU_CYCLE_1) | instskip(NEXT) | instid1(SALU_CYCLE_1)
	s_abs_i32 s11, s12
	s_cvt_f32_u32 s2, s11
	s_wait_alu 0xfffe
	s_delay_alu instid0(SALU_CYCLE_2) | instskip(NEXT) | instid1(TRANS32_DEP_1)
	v_rcp_iflag_f32_e32 v1, s2
	v_readfirstlane_b32 s2, v1
	s_mul_f32 s2, s2, 0x4f7ffffe
	s_wait_alu 0xfffe
	s_delay_alu instid0(SALU_CYCLE_2) | instskip(SKIP_2) | instid1(SALU_CYCLE_1)
	s_cvt_u32_f32 s4, s2
	s_sub_co_i32 s2, 0, s11
	s_wait_alu 0xfffe
	s_mul_i32 s2, s2, s4
	s_wait_alu 0xfffe
	s_mul_hi_u32 s5, s4, s2
	s_abs_i32 s2, ttmp9
	s_add_co_i32 s4, s4, s5
	s_mov_b32 s5, s3
	s_wait_kmcnt 0x0
	s_cmp_eq_u64 s[8:9], 0
	s_cbranch_scc1 .LBB144_3
; %bb.2:
	s_mov_b32 s14, ttmp9
	s_ashr_i32 s15, ttmp9, 31
	s_delay_alu instid0(SALU_CYCLE_1) | instskip(NEXT) | instid1(SALU_CYCLE_1)
	s_lshl_b64 s[14:15], s[14:15], 2
	s_add_nc_u64 s[8:9], s[8:9], s[14:15]
	s_load_b32 s6, s[8:9], 0x0
.LBB144_3:
	s_load_b96 s[8:10], s[0:1], 0x58
	v_and_b32_e32 v1, 3, v0
	v_lshlrev_b32_e32 v2, 2, v0
	s_mul_u64 s[4:5], s[2:3], s[4:5]
	s_ashr_i32 s3, ttmp9, 31
	s_ashr_i32 s4, s12, 31
	s_lshl_b32 s12, ttmp9, 5
	s_mov_b32 s14, exec_lo
	v_cmpx_gt_u32_e32 16, v0
	s_cbranch_execz .LBB144_5
; %bb.4:
	s_load_b64 s[16:17], s[0:1], 0x18
	s_wait_kmcnt 0x0
	s_mul_i32 s18, s8, s20
	s_ashr_i32 s13, s12, 31
	s_ashr_i32 s19, s18, 31
	v_and_b32_e32 v4, 0x3fc, v0
	s_lshl_b64 s[18:19], s[18:19], 1
	s_delay_alu instid0(VALU_DEP_1) | instskip(SKIP_2) | instid1(SALU_CYCLE_1)
	v_lshl_add_u32 v4, v1, 4, v4
	s_add_nc_u64 s[16:17], s[16:17], s[18:19]
	s_lshl_b64 s[18:19], s[12:13], 1
	s_add_nc_u64 s[16:17], s[16:17], s[18:19]
	global_load_b32 v3, v2, s[16:17]
	s_wait_loadcnt 0x0
	ds_store_b32 v4, v3
.LBB144_5:
	s_or_b32 exec_lo, exec_lo, s14
	s_add_co_i32 s13, s24, 7
	s_wait_alu 0xfffe
	s_xor_b32 s3, s3, s4
	s_ashr_i32 s14, s13, 31
	s_wait_kmcnt 0x0
	s_lshl_b32 s8, s27, 6
	s_lshr_b32 s4, s14, 29
	s_mul_i32 s14, s5, s11
	s_add_co_i32 s13, s13, s4
	s_add_co_i32 s4, s8, 64
	s_ashr_i32 s28, s13, 3
	s_load_b32 s13, s[0:1], 0x48
	s_sub_co_i32 s2, s2, s14
	s_min_i32 s25, s4, s28
	s_add_co_i32 s4, s5, 1
	s_wait_alu 0xfffe
	s_sub_co_i32 s14, s2, s11
	s_cmp_ge_u32 s2, s11
	v_lshrrev_b32_e32 v15, 5, v0
	s_cselect_b32 s4, s4, s5
	s_cselect_b32 s2, s14, s2
	s_add_co_i32 s5, s4, 1
	s_wait_alu 0xfffe
	s_cmp_ge_u32 s2, s11
	v_or_b32_e32 v16, s8, v15
	s_cselect_b32 s2, s5, s4
	v_mbcnt_lo_u32_b32 v4, -1, 0
	s_wait_alu 0xfffe
	s_xor_b32 s2, s2, s3
	s_mov_b32 s4, exec_lo
	s_wait_alu 0xfffe
	s_sub_co_i32 s3, s2, s3
	v_cmp_gt_i32_e64 s2, s25, v16
	s_wait_dscnt 0x0
	s_barrier_signal -1
	s_wait_kmcnt 0x0
	s_mul_i32 s14, s13, s20
	s_barrier_wait -1
	s_ashr_i32 s15, s14, 31
	global_inv scope:SCOPE_SE
                                        ; implicit-def: $vgpr5
                                        ; implicit-def: $vgpr6
	v_cmpx_le_i32_e64 s25, v16
	s_xor_b32 s4, exec_lo, s4
; %bb.6:
	v_dual_mov_b32 v5, 0 :: v_dual_mov_b32 v6, 32
	v_mbcnt_lo_u32_b32 v4, -1, 0
                                        ; implicit-def: $vgpr2
                                        ; implicit-def: $vgpr1
; %bb.7:
	s_or_saveexec_b32 s11, s4
	s_clause 0x1
	s_load_b64 s[16:17], s[0:1], 0x38
	s_load_b32 s13, s[0:1], 0x98
	v_mov_b32_e32 v7, 0xff7fffff
	v_lshlrev_b32_e32 v3, 2, v16
	s_mul_i32 s18, s3, s10
	s_xor_b32 exec_lo, exec_lo, s11
	s_cbranch_execz .LBB144_13
; %bb.8:
	s_load_b64 s[4:5], s[0:1], 0x20
	v_xor_b32_e32 v6, 2, v4
	v_lshlrev_b32_e32 v5, 4, v1
	v_bfe_u32 v7, v0, 2, 3
	s_ashr_i32 s19, s18, 31
	v_xor_b32_e32 v21, 1, v4
	s_lshl_b64 s[22:23], s[18:19], 1
	ds_load_b128 v[17:20], v5
	v_dual_mov_b32 v5, 0 :: v_dual_lshlrev_b32 v8, 4, v7
	v_and_b32_e32 v2, 12, v2
	s_cmp_neq_f32 s6, 0
	s_mov_b32 s19, s9
	s_mov_b32 s10, 0
	v_mov_b32_e32 v24, v16
	s_wait_kmcnt 0x0
	s_add_nc_u64 s[4:5], s[4:5], s[22:23]
	s_delay_alu instid0(SALU_CYCLE_1)
	v_add_co_u32 v22, s3, s4, v8
	s_wait_alu 0xf1ff
	v_add_co_ci_u32_e64 v23, null, s5, 0, s3
	s_cselect_b32 s3, -1, 0
	s_wait_dscnt 0x0
	v_lshlrev_b32_e32 v10, 16, v18
	v_and_b32_e32 v11, 0xffff0000, v18
	v_add_co_u32 v18, vcc_lo, v22, v2
	v_lshlrev_b32_e32 v12, 16, v19
	v_and_b32_e32 v13, 0xffff0000, v19
	v_add_co_ci_u32_e64 v19, null, 0, v23, vcc_lo
	v_cmp_gt_i32_e32 vcc_lo, 32, v6
	v_lshlrev_b32_e32 v22, 2, v7
	s_lshl_b64 s[4:5], s[14:15], 2
	v_lshlrev_b32_e32 v8, 16, v17
	s_wait_alu 0xfffd
	v_dual_cndmask_b32 v2, v4, v6 :: v_dual_and_b32 v9, 0xffff0000, v17
	v_cmp_gt_i32_e32 vcc_lo, 32, v21
	v_lshlrev_b32_e32 v14, 16, v20
	v_and_b32_e32 v17, 0xffff0000, v20
	v_lshl_or_b32 v23, v15, 5, v22
	s_wait_alu 0xfffd
	v_dual_cndmask_b32 v21, v4, v21 :: v_dual_lshlrev_b32 v20, 2, v2
	v_lshlrev_b32_e32 v2, 3, v15
	s_wait_alu 0xfffe
	s_add_nc_u64 s[4:5], s[16:17], s[4:5]
	v_cmp_eq_u32_e32 vcc_lo, 0, v1
	s_wait_alu 0xfffe
	v_add_co_u32 v1, s4, s4, v3
	v_dual_mov_b32 v6, 32 :: v_dual_lshlrev_b32 v21, 2, v21
	v_add3_u32 v22, s26, v2, v7
	v_add_nc_u32_e32 v23, 0x60, v23
	s_wait_alu 0xf1ff
	v_add_co_ci_u32_e64 v2, null, s5, 0, s4
	v_mov_b32_e32 v7, 0xff7fffff
	s_sub_co_i32 s22, 1, s24
	s_branch .LBB144_10
.LBB144_9:                              ;   in Loop: Header=BB144_10 Depth=1
	s_wait_alu 0xfffe
	s_or_b32 exec_lo, exec_lo, s5
	v_add_nc_u32_e32 v24, 4, v24
	v_add_co_u32 v1, s5, v1, 16
	v_add_nc_u32_e32 v22, 32, v22
	v_add_nc_u32_e32 v23, 0x80, v23
	s_delay_alu instid0(VALU_DEP_4) | instskip(SKIP_3) | instid1(SALU_CYCLE_1)
	v_cmp_le_i32_e64 s4, s25, v24
	s_wait_alu 0xf1ff
	v_add_co_ci_u32_e64 v2, null, 0, v2, s5
	s_or_b32 s10, s4, s10
	s_and_not1_b32 exec_lo, exec_lo, s10
	s_cbranch_execz .LBB144_12
.LBB144_10:                             ; =>This Inner Loop Header: Depth=1
	global_load_b32 v25, v[1:2], off
	s_wait_loadcnt_dscnt 0x0
	v_mad_co_i64_i32 v[25:26], null, v25, s19, 0
	s_delay_alu instid0(VALU_DEP_1) | instskip(NEXT) | instid1(VALU_DEP_1)
	v_lshlrev_b64_e32 v[25:26], 1, v[25:26]
	v_add_co_u32 v25, s4, v18, v25
	s_wait_alu 0xf1ff
	s_delay_alu instid0(VALU_DEP_2)
	v_add_co_ci_u32_e64 v26, null, v19, v26, s4
	s_clause 0x3
	global_load_b32 v27, v[25:26], off offset:128
	global_load_b32 v28, v[25:26], off
	global_load_b32 v29, v[25:26], off offset:256
	global_load_b32 v25, v[25:26], off offset:384
	s_wait_loadcnt 0x2
	v_lshlrev_b32_e32 v30, 16, v28
	s_wait_loadcnt 0x1
	v_lshlrev_b32_e32 v31, 16, v29
	v_and_b32_e32 v29, 0xffff0000, v29
	v_and_b32_e32 v28, 0xffff0000, v28
	v_lshlrev_b32_e32 v26, 16, v27
	v_and_b32_e32 v27, 0xffff0000, v27
	s_delay_alu instid0(VALU_DEP_1) | instskip(NEXT) | instid1(VALU_DEP_1)
	v_mul_f32_e32 v27, v11, v27
	v_dual_fmac_f32 v27, v9, v28 :: v_dual_mul_f32 v26, v10, v26
	s_wait_loadcnt 0x0
	v_lshlrev_b32_e32 v28, 16, v25
	s_delay_alu instid0(VALU_DEP_2) | instskip(NEXT) | instid1(VALU_DEP_1)
	v_fmac_f32_e32 v26, v8, v30
	v_dual_fmac_f32 v26, v12, v31 :: v_dual_and_b32 v25, 0xffff0000, v25
	s_delay_alu instid0(VALU_DEP_1) | instskip(NEXT) | instid1(VALU_DEP_1)
	v_dual_fmac_f32 v27, v13, v29 :: v_dual_fmac_f32 v26, v14, v28
	v_fmac_f32_e32 v27, v17, v25
	s_delay_alu instid0(VALU_DEP_1)
	v_add_f32_e32 v25, v26, v27
	ds_bpermute_b32 v26, v20, v25
	s_wait_dscnt 0x0
	v_add_f32_e32 v25, v25, v26
	ds_bpermute_b32 v26, v21, v25
	s_and_saveexec_b32 s5, vcc_lo
	s_cbranch_execz .LBB144_9
; %bb.11:                               ;   in Loop: Header=BB144_10 Depth=1
	s_wait_dscnt 0x0
	v_add_f32_e32 v25, v25, v26
	v_add_nc_u32_e32 v27, s22, v22
	v_cmp_gt_i32_e64 s4, s24, v22
	s_delay_alu instid0(VALU_DEP_2) | instskip(NEXT) | instid1(VALU_DEP_1)
	v_cvt_f32_i32_e32 v27, v27
	v_mul_f32_e32 v27, s6, v27
	s_delay_alu instid0(VALU_DEP_1) | instskip(NEXT) | instid1(VALU_DEP_1)
	v_cndmask_b32_e64 v26, 0, v27, s3
	v_dual_max_num_f32 v27, v7, v7 :: v_dual_fmac_f32 v26, s7, v25
	s_delay_alu instid0(VALU_DEP_1) | instskip(SKIP_2) | instid1(VALU_DEP_2)
	v_max_num_f32_e32 v25, v27, v26
	s_wait_alu 0xf1ff
	v_cndmask_b32_e64 v26, 0, v26, s4
	v_cndmask_b32_e64 v7, v7, v25, s4
	ds_store_b32 v23, v26
	s_branch .LBB144_9
.LBB144_12:
	s_or_b32 exec_lo, exec_lo, s10
.LBB144_13:
	s_delay_alu instid0(SALU_CYCLE_1)
	s_or_b32 exec_lo, exec_lo, s11
	v_xor_b32_e32 v1, 16, v4
	v_xor_b32_e32 v8, 8, v4
	s_clause 0x2
	s_load_b128 s[4:7], s[0:1], 0x0
	s_load_b64 s[10:11], s[0:1], 0x10
	s_load_b64 s[22:23], s[0:1], 0x28
	v_and_b32_e32 v17, 31, v0
	v_max_num_f32_e32 v9, v7, v7
	v_cmp_lt_i32_e32 vcc_lo, v1, v6
	s_wait_alu 0xfffd
	v_cndmask_b32_e32 v1, v4, v1, vcc_lo
	v_cmp_lt_i32_e32 vcc_lo, v8, v6
	s_delay_alu instid0(VALU_DEP_2)
	v_lshlrev_b32_e32 v2, 2, v1
	ds_bpermute_b32 v1, v2, v7
	s_wait_alu 0xfffd
	v_cndmask_b32_e32 v7, v4, v8, vcc_lo
	s_wait_dscnt 0x0
	v_max_num_f32_e32 v1, v1, v1
	s_delay_alu instid0(VALU_DEP_1) | instskip(SKIP_1) | instid1(VALU_DEP_1)
	v_max_num_f32_e32 v1, v9, v1
	v_xor_b32_e32 v9, 4, v4
	v_cmp_lt_i32_e32 vcc_lo, v9, v6
	s_wait_alu 0xfffd
	v_cndmask_b32_e32 v9, v4, v9, vcc_lo
	v_cmp_eq_u32_e32 vcc_lo, 0, v17
	s_delay_alu instid0(VALU_DEP_2) | instskip(SKIP_4) | instid1(VALU_DEP_1)
	v_lshlrev_b32_e32 v10, 2, v9
	v_lshlrev_b32_e32 v7, 2, v7
	ds_bpermute_b32 v8, v7, v1
	s_wait_dscnt 0x0
	v_max_num_f32_e32 v8, v8, v8
	v_dual_max_num_f32 v1, v1, v8 :: v_dual_lshlrev_b32 v8, 2, v15
	ds_bpermute_b32 v9, v10, v1
	s_and_saveexec_b32 s0, vcc_lo
	s_cbranch_execz .LBB144_15
; %bb.14:
	s_wait_dscnt 0x0
	v_max_num_f32_e32 v9, v9, v9
	v_max_num_f32_e32 v1, v1, v1
	s_delay_alu instid0(VALU_DEP_1)
	v_max_num_f32_e32 v1, v1, v9
	ds_store_b32 v8, v1 offset:64
.LBB144_15:
	s_or_b32 exec_lo, exec_lo, s0
	v_cmp_gt_u32_e64 s0, 4, v17
	v_mov_b32_e32 v1, 0xff7fffff
	s_wait_dscnt 0x0
	v_lshlrev_b32_e32 v9, 2, v17
	s_wait_loadcnt 0x0
	s_barrier_signal -1
	s_barrier_wait -1
	global_inv scope:SCOPE_SE
	s_and_saveexec_b32 s1, s0
; %bb.16:
	ds_load_b32 v1, v9 offset:64
; %bb.17:
	s_or_b32 exec_lo, exec_lo, s1
	v_xor_b32_e32 v11, 2, v4
	v_xor_b32_e32 v13, 1, v4
	v_lshlrev_b32_e32 v5, 2, v5
	s_delay_alu instid0(VALU_DEP_3) | instskip(NEXT) | instid1(VALU_DEP_1)
	v_cmp_lt_i32_e64 s1, v11, v6
	v_cndmask_b32_e64 v11, v4, v11, s1
	s_delay_alu instid0(VALU_DEP_4) | instskip(NEXT) | instid1(VALU_DEP_2)
	v_cmp_lt_i32_e64 s1, v13, v6
	v_lshlrev_b32_e32 v11, 2, v11
	s_wait_alu 0xf1ff
	s_delay_alu instid0(VALU_DEP_2)
	v_cndmask_b32_e64 v6, v4, v13, s1
	s_sub_co_i32 s1, s25, s8
	s_wait_alu 0xfffe
	s_lshl_b32 s1, s1, 3
	s_wait_dscnt 0x0
	ds_bpermute_b32 v12, v11, v1
	v_dual_max_num_f32 v1, v1, v1 :: v_dual_lshlrev_b32 v6, 2, v6
	s_wait_alu 0xfffe
	s_add_co_i32 s1, s1, s26
	s_wait_alu 0xfffe
	s_min_i32 s1, s1, s24
	s_wait_alu 0xfffe
	s_sub_co_i32 s19, s1, s26
	s_wait_alu 0xfffe
	v_cmp_gt_i32_e64 s1, s19, v0
	s_wait_dscnt 0x0
	v_max_num_f32_e32 v12, v12, v12
	s_delay_alu instid0(VALU_DEP_1) | instskip(SKIP_3) | instid1(VALU_DEP_1)
	v_max_num_f32_e32 v1, v1, v12
	ds_bpermute_b32 v12, v6, v1
	s_wait_dscnt 0x0
	v_max_num_f32_e32 v12, v12, v12
	v_dual_max_num_f32 v1, v1, v12 :: v_dual_mov_b32 v12, 0
	ds_bpermute_b32 v1, v5, v1
	v_lshl_add_u32 v5, v0, 2, 0x60
	s_and_saveexec_b32 s29, s1
	s_cbranch_execz .LBB144_21
; %bb.18:
	v_lshl_add_u32 v13, v0, 2, 0x60
	v_mov_b32_e32 v12, 0
	v_mov_b32_e32 v14, v0
	s_mov_b32 s30, 0
.LBB144_19:                             ; =>This Inner Loop Header: Depth=1
	ds_load_b32 v18, v13
	v_add_nc_u32_e32 v14, 0x80, v14
	s_delay_alu instid0(VALU_DEP_1) | instskip(SKIP_3) | instid1(VALU_DEP_1)
	v_cmp_le_i32_e64 s3, s19, v14
	s_or_b32 s30, s3, s30
	s_wait_dscnt 0x0
	v_sub_f32_e32 v18, v18, v1
	v_mul_f32_e32 v18, 0x3fb8aa3b, v18
	s_delay_alu instid0(VALU_DEP_1)
	v_exp_f32_e32 v18, v18
	ds_store_b32 v13, v18
	v_dual_add_f32 v12, v12, v18 :: v_dual_add_nc_u32 v13, 0x200, v13
	s_and_not1_b32 exec_lo, exec_lo, s30
	s_cbranch_execnz .LBB144_19
; %bb.20:
	s_or_b32 exec_lo, exec_lo, s30
.LBB144_21:
	s_delay_alu instid0(SALU_CYCLE_1)
	s_or_b32 exec_lo, exec_lo, s29
	ds_bpermute_b32 v2, v2, v12
	s_wait_dscnt 0x0
	v_add_f32_e32 v2, v12, v2
	ds_bpermute_b32 v7, v7, v2
	s_wait_dscnt 0x0
	v_add_f32_e32 v2, v2, v7
	;; [unrolled: 3-line block ×5, first 2 shown]
	s_and_saveexec_b32 s3, vcc_lo
; %bb.22:
	ds_store_b32 v8, v2 offset:80
; %bb.23:
	s_wait_alu 0xfffe
	s_or_b32 exec_lo, exec_lo, s3
	s_wait_loadcnt_dscnt 0x0
	s_barrier_signal -1
	s_barrier_wait -1
	global_inv scope:SCOPE_SE
	s_and_saveexec_b32 s3, s0
; %bb.24:
	ds_load_b32 v2, v9 offset:80
; %bb.25:
	s_wait_alu 0xfffe
	s_or_b32 exec_lo, exec_lo, s3
	s_wait_dscnt 0x0
	ds_bpermute_b32 v7, v11, v2
	v_lshlrev_b32_e32 v4, 2, v4
	s_delay_alu instid0(VALU_DEP_1)
	v_and_b32_e32 v4, 0xffffff80, v4
	s_wait_dscnt 0x0
	v_add_f32_e32 v2, v2, v7
	ds_bpermute_b32 v6, v6, v2
	s_wait_dscnt 0x0
	v_add_f32_e32 v2, v2, v6
	ds_bpermute_b32 v2, v4, v2
	s_and_saveexec_b32 s0, s1
	s_cbranch_execz .LBB144_28
; %bb.26:
	s_wait_dscnt 0x0
	v_add_f32_e32 v4, 0x358637bd, v2
	s_mov_b32 s1, 0
	s_delay_alu instid0(VALU_DEP_1) | instskip(NEXT) | instid1(VALU_DEP_1)
	v_div_scale_f32 v6, null, v4, v4, 1.0
	v_rcp_f32_e32 v7, v6
	s_delay_alu instid0(TRANS32_DEP_1) | instskip(NEXT) | instid1(VALU_DEP_1)
	v_fma_f32 v8, -v6, v7, 1.0
	v_fmac_f32_e32 v7, v8, v7
	v_div_scale_f32 v9, vcc_lo, 1.0, v4, 1.0
	s_delay_alu instid0(VALU_DEP_1) | instskip(NEXT) | instid1(VALU_DEP_1)
	v_mul_f32_e32 v8, v9, v7
	v_fma_f32 v10, -v6, v8, v9
	s_delay_alu instid0(VALU_DEP_1) | instskip(NEXT) | instid1(VALU_DEP_1)
	v_fmac_f32_e32 v8, v10, v7
	v_fma_f32 v6, -v6, v8, v9
	s_wait_alu 0xfffd
	s_delay_alu instid0(VALU_DEP_1) | instskip(NEXT) | instid1(VALU_DEP_1)
	v_div_fmas_f32 v6, v6, v7, v8
	v_div_fixup_f32 v4, v6, v4, 1.0
	v_mov_b32_e32 v6, v0
.LBB144_27:                             ; =>This Inner Loop Header: Depth=1
	ds_load_b32 v7, v5
	s_wait_dscnt 0x0
	v_dual_mul_f32 v7, v4, v7 :: v_dual_add_nc_u32 v6, 0x80, v6
	s_delay_alu instid0(VALU_DEP_1)
	v_cmp_le_i32_e32 vcc_lo, s19, v6
	ds_store_b32 v5, v7
	v_add_nc_u32_e32 v5, 0x200, v5
	s_wait_alu 0xfffe
	s_or_b32 s1, vcc_lo, s1
	s_wait_alu 0xfffe
	s_and_not1_b32 exec_lo, exec_lo, s1
	s_cbranch_execnz .LBB144_27
.LBB144_28:
	s_wait_alu 0xfffe
	s_or_b32 exec_lo, exec_lo, s0
	s_wait_kmcnt 0x0
	s_mul_i32 s0, s13, s20
	s_wait_loadcnt_dscnt 0x0
	s_wait_alu 0xfffe
	s_mul_i32 s20, s0, s21
	s_mov_b32 s0, exec_lo
	s_barrier_signal -1
	s_barrier_wait -1
	global_inv scope:SCOPE_SE
	v_cmpx_eq_u32_e32 0, v0
	s_cbranch_execz .LBB144_30
; %bb.29:
	s_ashr_i32 s21, s20, 31
	s_wait_alu 0xfffe
	s_mul_i32 s30, s13, ttmp9
	s_lshl_b32 s1, s27, 2
	s_lshl_b64 s[34:35], s[20:21], 2
	s_ashr_i32 s31, s30, 31
	s_wait_alu 0xfffe
	v_mov_b32_e32 v4, s1
	s_add_nc_u64 s[6:7], s[6:7], s[34:35]
	s_lshl_b64 s[30:31], s[30:31], 2
	s_add_nc_u64 s[4:5], s[4:5], s[34:35]
	s_wait_alu 0xfffe
	s_add_nc_u64 s[6:7], s[6:7], s[30:31]
	s_add_nc_u64 s[4:5], s[4:5], s[30:31]
	s_clause 0x1
	global_store_b32 v4, v1, s[6:7]
	global_store_b32 v4, v2, s[4:5]
.LBB144_30:
	s_wait_alu 0xfffe
	s_or_b32 exec_lo, exec_lo, s0
	v_mov_b32_e32 v18, 0
	s_and_saveexec_b32 s1, s2
	s_cbranch_execz .LBB144_36
; %bb.31:
	s_ashr_i32 s19, s18, 31
	v_dual_mov_b32 v18, 0 :: v_dual_lshlrev_b32 v1, 4, v17
	s_wait_alu 0xfffe
	s_lshl_b64 s[4:5], s[18:19], 1
	v_lshl_add_u32 v21, v15, 3, s26
	s_wait_alu 0xfffe
	s_add_nc_u64 s[4:5], s[22:23], s[4:5]
	v_lshl_add_u32 v22, v15, 5, 0x60
	s_wait_alu 0xfffe
	v_add_co_u32 v19, s0, s4, v1
	s_wait_alu 0xf1ff
	v_add_co_ci_u32_e64 v20, null, s5, 0, s0
	s_lshl_b64 s[4:5], s[14:15], 2
	s_mov_b32 s2, s9
	s_wait_alu 0xfffe
	s_add_nc_u64 s[4:5], s[16:17], s[4:5]
	s_add_co_i32 s28, s28, -1
	s_wait_alu 0xfffe
	v_add_co_u32 v13, s0, s4, v3
	s_wait_alu 0xf1ff
	v_add_co_ci_u32_e64 v14, null, s5, 0, s0
	s_mov_b32 s3, s24
	s_mov_b32 s4, 0
	s_branch .LBB144_33
.LBB144_32:                             ;   in Loop: Header=BB144_33 Depth=1
	s_wait_alu 0xfffe
	s_or_b32 exec_lo, exec_lo, s0
	s_wait_dscnt 0x1
	v_bfe_u32 v23, v9, 16, 1
	v_or_b32_e32 v24, 0x400000, v9
	v_bfe_u32 v25, v10, 16, 1
	v_cmp_u_f32_e32 vcc_lo, v9, v9
	v_bfe_u32 v26, v11, 16, 1
	v_add3_u32 v23, v23, v9, 0x7fff
	v_or_b32_e32 v27, 0x400000, v10
	v_add3_u32 v25, v25, v10, 0x7fff
	v_or_b32_e32 v28, 0x400000, v11
	v_add3_u32 v26, v26, v11, 0x7fff
	s_wait_alu 0xfffd
	v_cndmask_b32_e32 v9, v23, v24, vcc_lo
	v_cmp_u_f32_e32 vcc_lo, v10, v10
	v_bfe_u32 v23, v12, 16, 1
	s_wait_dscnt 0x0
	v_bfe_u32 v24, v5, 16, 1
	v_add_co_u32 v13, s0, v13, 16
	s_wait_alu 0xfffd
	v_cndmask_b32_e32 v10, v25, v27, vcc_lo
	v_cmp_u_f32_e32 vcc_lo, v11, v11
	v_add3_u32 v23, v23, v12, 0x7fff
	v_or_b32_e32 v25, 0x400000, v12
	v_add3_u32 v24, v24, v5, 0x7fff
	v_bfe_u32 v27, v6, 16, 1
	s_wait_alu 0xfffd
	v_cndmask_b32_e32 v11, v26, v28, vcc_lo
	v_cmp_u_f32_e32 vcc_lo, v12, v12
	v_or_b32_e32 v26, 0x400000, v5
	v_add_nc_u32_e32 v21, 32, v21
	v_add_nc_u32_e32 v22, 0x80, v22
	s_wait_alu 0xf1ff
	v_add_co_ci_u32_e64 v14, null, 0, v14, s0
	s_wait_alu 0xfffd
	v_cndmask_b32_e32 v12, v23, v25, vcc_lo
	v_cmp_u_f32_e32 vcc_lo, v5, v5
	v_add3_u32 v23, v27, v6, 0x7fff
	v_bfe_u32 v25, v7, 16, 1
	s_wait_alu 0xfffd
	v_dual_cndmask_b32 v5, v24, v26 :: v_dual_add_nc_u32 v16, 4, v16
	s_wait_loadcnt 0x0
	v_lshlrev_b32_e32 v26, 16, v1
	v_or_b32_e32 v24, 0x400000, v6
	v_cmp_u_f32_e32 vcc_lo, v6, v6
	v_and_b32_e32 v9, 0xffff0000, v9
	s_wait_alu 0xfffd
	s_delay_alu instid0(VALU_DEP_3)
	v_dual_cndmask_b32 v6, v23, v24 :: v_dual_and_b32 v5, 0xffff0000, v5
	v_add3_u32 v23, v25, v7, 0x7fff
	v_or_b32_e32 v24, 0x400000, v7
	v_bfe_u32 v25, v8, 16, 1
	v_cmp_u_f32_e32 vcc_lo, v7, v7
	v_mul_f32_e32 v9, v9, v26
	v_and_b32_e32 v10, 0xffff0000, v10
	s_wait_alu 0xfffd
	v_dual_cndmask_b32 v7, v23, v24 :: v_dual_and_b32 v6, 0xffff0000, v6
	v_add3_u32 v23, v25, v8, 0x7fff
	v_or_b32_e32 v24, 0x400000, v8
	v_cmp_u_f32_e32 vcc_lo, v8, v8
	s_wait_alu 0xfffd
	s_delay_alu instid0(VALU_DEP_2) | instskip(NEXT) | instid1(VALU_DEP_1)
	v_dual_cndmask_b32 v8, v23, v24 :: v_dual_and_b32 v1, 0xffff0000, v1
	v_dual_mul_f32 v1, v10, v1 :: v_dual_and_b32 v10, 0xffff0000, v11
	v_bfe_u32 v25, v9, 16, 1
	v_lshlrev_b32_e32 v11, 16, v2
	v_or_b32_e32 v24, 0x400000, v9
	v_and_b32_e32 v2, 0xffff0000, v2
	v_cmp_u_f32_e32 vcc_lo, v9, v9
	v_add3_u32 v23, v25, v9, 0x7fff
	v_bfe_u32 v25, v1, 16, 1
	v_dual_mul_f32 v10, v10, v11 :: v_dual_and_b32 v11, 0xffff0000, v12
	v_and_b32_e32 v8, 0xffff0000, v8
	s_wait_alu 0xfffd
	v_cndmask_b32_e32 v9, v23, v24, vcc_lo
	v_add3_u32 v12, v25, v1, 0x7fff
	v_or_b32_e32 v23, 0x400000, v1
	v_bfe_u32 v24, v10, 16, 1
	v_cmp_u_f32_e32 vcc_lo, v1, v1
	v_dual_mul_f32 v2, v11, v2 :: v_dual_lshlrev_b32 v11, 16, v3
	v_and_b32_e32 v9, 0xffff0000, v9
	s_wait_alu 0xfffd
	v_cndmask_b32_e32 v1, v12, v23, vcc_lo
	v_add3_u32 v12, v24, v10, 0x7fff
	v_or_b32_e32 v23, 0x400000, v10
	v_cmp_u_f32_e32 vcc_lo, v10, v10
	v_bfe_u32 v24, v2, 16, 1
	s_wait_alu 0xfffd
	s_delay_alu instid0(VALU_DEP_3) | instskip(SKIP_2) | instid1(VALU_DEP_3)
	v_dual_cndmask_b32 v10, v12, v23 :: v_dual_and_b32 v1, 0xffff0000, v1
	v_or_b32_e32 v12, 0x400000, v2
	v_cmp_u_f32_e32 vcc_lo, v2, v2
	v_dual_add_f32 v1, v9, v1 :: v_dual_and_b32 v10, 0xffff0000, v10
	v_and_b32_e32 v3, 0xffff0000, v3
	s_delay_alu instid0(VALU_DEP_1) | instskip(SKIP_3) | instid1(VALU_DEP_2)
	v_mul_f32_e32 v3, v6, v3
	v_and_b32_e32 v6, 0xffff0000, v7
	v_lshlrev_b32_e32 v7, 16, v4
	v_and_b32_e32 v4, 0xffff0000, v4
	v_mul_f32_e32 v6, v6, v7
	s_delay_alu instid0(VALU_DEP_2) | instskip(SKIP_1) | instid1(VALU_DEP_2)
	v_dual_mul_f32 v4, v8, v4 :: v_dual_mul_f32 v5, v5, v11
	v_add3_u32 v11, v24, v2, 0x7fff
	v_bfe_u32 v24, v4, 16, 1
	s_wait_alu 0xfffd
	s_delay_alu instid0(VALU_DEP_2)
	v_cndmask_b32_e32 v2, v11, v12, vcc_lo
	v_bfe_u32 v23, v5, 16, 1
	v_or_b32_e32 v7, 0x400000, v5
	v_cmp_u_f32_e32 vcc_lo, v5, v5
	v_bfe_u32 v11, v3, 16, 1
	v_and_b32_e32 v2, 0xffff0000, v2
	v_add3_u32 v12, v23, v5, 0x7fff
	s_delay_alu instid0(VALU_DEP_3) | instskip(SKIP_2) | instid1(VALU_DEP_3)
	v_add3_u32 v8, v11, v3, 0x7fff
	v_or_b32_e32 v11, 0x400000, v3
	s_wait_alu 0xfffd
	v_cndmask_b32_e32 v5, v12, v7, vcc_lo
	v_cmp_u_f32_e32 vcc_lo, v3, v3
	s_delay_alu instid0(VALU_DEP_2) | instskip(SKIP_2) | instid1(VALU_DEP_3)
	v_dual_add_f32 v2, v10, v2 :: v_dual_and_b32 v5, 0xffff0000, v5
	v_bfe_u32 v23, v6, 16, 1
	v_or_b32_e32 v12, 0x400000, v6
	v_add_f32_e32 v1, v2, v1
	s_delay_alu instid0(VALU_DEP_3)
	v_add3_u32 v7, v23, v6, 0x7fff
	s_wait_alu 0xfffd
	v_cndmask_b32_e32 v3, v8, v11, vcc_lo
	v_add3_u32 v8, v24, v4, 0x7fff
	v_or_b32_e32 v11, 0x400000, v4
	v_cmp_u_f32_e32 vcc_lo, v4, v4
	s_wait_alu 0xfffd
	s_delay_alu instid0(VALU_DEP_2) | instskip(SKIP_4) | instid1(VALU_DEP_2)
	v_cndmask_b32_e32 v4, v8, v11, vcc_lo
	v_cmp_u_f32_e32 vcc_lo, v6, v6
	s_wait_alu 0xfffd
	v_dual_cndmask_b32 v6, v7, v12 :: v_dual_and_b32 v3, 0xffff0000, v3
	v_cmp_le_i32_e32 vcc_lo, s25, v16
	v_dual_add_f32 v2, v5, v3 :: v_dual_and_b32 v3, 0xffff0000, v4
	s_delay_alu instid0(VALU_DEP_3) | instskip(SKIP_1) | instid1(VALU_DEP_1)
	v_and_b32_e32 v4, 0xffff0000, v6
	s_or_b32 s4, vcc_lo, s4
	v_dual_add_f32 v1, v2, v1 :: v_dual_add_f32 v2, v4, v3
	s_delay_alu instid0(VALU_DEP_1) | instskip(NEXT) | instid1(VALU_DEP_1)
	v_add_f32_e32 v1, v2, v1
	v_add_f32_e32 v18, v18, v1
	s_wait_alu 0xfffe
	s_and_not1_b32 exec_lo, exec_lo, s4
	s_cbranch_execz .LBB144_35
.LBB144_33:                             ; =>This Inner Loop Header: Depth=1
	global_load_b32 v1, v[13:14], off
	s_mov_b32 s0, exec_lo
	s_wait_loadcnt 0x0
	v_mad_co_i64_i32 v[1:2], null, v1, s2, 0
	s_delay_alu instid0(VALU_DEP_1) | instskip(NEXT) | instid1(VALU_DEP_1)
	v_lshlrev_b64_e32 v[1:2], 1, v[1:2]
	v_add_co_u32 v1, vcc_lo, v19, v1
	s_wait_alu 0xfffd
	s_delay_alu instid0(VALU_DEP_2)
	v_add_co_ci_u32_e64 v2, null, v20, v2, vcc_lo
	global_load_b128 v[1:4], v[1:2], off
	ds_load_2addr_b64 v[9:12], v22 offset1:1
	ds_load_2addr_b64 v[5:8], v22 offset0:2 offset1:3
	v_cmpx_eq_u32_e64 s28, v16
	s_cbranch_execz .LBB144_32
; %bb.34:                               ;   in Loop: Header=BB144_33 Depth=1
	v_add_nc_u32_e32 v23, 1, v21
	s_wait_loadcnt 0x0
	v_lshrrev_b32_e32 v24, 16, v1
	v_or_b32_e32 v25, 2, v21
	v_lshrrev_b32_e32 v26, 16, v2
	v_or_b32_e32 v27, 4, v21
	s_wait_alu 0xfffe
	v_cmp_gt_i32_e32 vcc_lo, s3, v23
	v_or_b32_e32 v28, 7, v21
	v_lshrrev_b32_e32 v29, 16, v4
	s_wait_alu 0xfffd
	v_cndmask_b32_e32 v23, 0, v24, vcc_lo
	v_cmp_gt_i32_e32 vcc_lo, s24, v21
	v_or_b32_e32 v24, 3, v21
	s_wait_alu 0xfffd
	v_cndmask_b32_e32 v1, 0, v1, vcc_lo
	v_cmp_gt_i32_e32 vcc_lo, s24, v25
	v_or_b32_e32 v25, 5, v21
	s_wait_alu 0xfffd
	v_cndmask_b32_e32 v2, 0, v2, vcc_lo
	v_cmp_gt_i32_e32 vcc_lo, s3, v24
	s_wait_alu 0xfffd
	v_cndmask_b32_e32 v24, 0, v26, vcc_lo
	v_cmp_gt_i32_e32 vcc_lo, s24, v27
	v_or_b32_e32 v27, 6, v21
	s_delay_alu instid0(VALU_DEP_3)
	v_perm_b32 v2, v24, v2, 0x5040100
	s_wait_alu 0xfffd
	v_cndmask_b32_e32 v26, 0, v3, vcc_lo
	v_lshrrev_b32_e32 v3, 16, v3
	v_cmp_gt_i32_e32 vcc_lo, s3, v25
	v_perm_b32 v1, v23, v1, 0x5040100
	s_wait_alu 0xfffd
	s_delay_alu instid0(VALU_DEP_3)
	v_cndmask_b32_e32 v3, 0, v3, vcc_lo
	v_cmp_gt_i32_e32 vcc_lo, s24, v27
	s_wait_alu 0xfffd
	v_cndmask_b32_e32 v4, 0, v4, vcc_lo
	v_cmp_gt_i32_e32 vcc_lo, s3, v28
	v_perm_b32 v3, v3, v26, 0x5040100
	s_wait_alu 0xfffd
	v_cndmask_b32_e32 v25, 0, v29, vcc_lo
	s_delay_alu instid0(VALU_DEP_1)
	v_perm_b32 v4, v25, v4, 0x5040100
	s_branch .LBB144_32
.LBB144_35:
	s_or_b32 exec_lo, exec_lo, s4
.LBB144_36:
	s_wait_alu 0xfffe
	s_or_b32 exec_lo, exec_lo, s1
	v_and_b32_e32 v1, 0x3c0, v0
	v_lshl_add_u32 v2, v17, 2, 0x60
	s_mov_b32 s0, exec_lo
	s_wait_loadcnt 0x0
	s_wait_storecnt 0x0
	s_barrier_signal -1
	s_barrier_wait -1
	global_inv scope:SCOPE_SE
	v_cmpx_eq_u32_e32 64, v1
; %bb.37:
	v_lshlrev_b32_e32 v1, 7, v15
	s_delay_alu instid0(VALU_DEP_1)
	v_add3_u32 v1, v2, v1, 0xffffff00
	ds_store_b32 v1, v18
; %bb.38:
	s_wait_alu 0xfffe
	s_or_b32 exec_lo, exec_lo, s0
	v_and_b32_e32 v3, 0x3e0, v0
	s_mov_b32 s0, exec_lo
	s_wait_loadcnt_dscnt 0x0
	s_barrier_signal -1
	s_barrier_wait -1
	v_lshl_add_u32 v1, v3, 2, v2
	global_inv scope:SCOPE_SE
	v_cmpx_gt_u32_e32 64, v0
	s_cbranch_execz .LBB144_40
; %bb.39:
	ds_load_b32 v4, v1
	s_wait_dscnt 0x0
	v_add_f32_e32 v18, v18, v4
.LBB144_40:
	s_wait_alu 0xfffe
	s_or_b32 exec_lo, exec_lo, s0
	s_delay_alu instid0(SALU_CYCLE_1)
	s_mov_b32 s0, exec_lo
	s_wait_loadcnt 0x0
	s_barrier_signal -1
	s_barrier_wait -1
	global_inv scope:SCOPE_SE
	v_cmpx_eq_u32_e32 32, v3
; %bb.41:
	ds_store_b32 v2, v18
; %bb.42:
	s_wait_alu 0xfffe
	s_or_b32 exec_lo, exec_lo, s0
	v_cmp_gt_u32_e32 vcc_lo, 32, v0
	s_wait_loadcnt_dscnt 0x0
	s_barrier_signal -1
	s_barrier_wait -1
	global_inv scope:SCOPE_SE
	s_and_saveexec_b32 s0, vcc_lo
	s_cbranch_execz .LBB144_44
; %bb.43:
	ds_load_b32 v0, v1
	s_wait_dscnt 0x0
	v_add_f32_e32 v18, v18, v0
.LBB144_44:
	s_wait_alu 0xfffe
	s_or_b32 exec_lo, exec_lo, s0
	s_wait_loadcnt 0x0
	s_barrier_signal -1
	s_barrier_wait -1
	global_inv scope:SCOPE_SE
	s_and_saveexec_b32 s0, vcc_lo
	s_cbranch_execz .LBB144_46
; %bb.45:
	v_bfe_u32 v0, v18, 16, 1
	s_lshl_b32 s0, s20, 5
	s_mul_i32 s2, s13, s12
	s_wait_alu 0xfffe
	s_ashr_i32 s1, s0, 31
	v_or_b32_e32 v1, 0x400000, v18
	v_add3_u32 v0, v0, v18, 0x7fff
	v_cmp_u_f32_e32 vcc_lo, v18, v18
	s_wait_alu 0xfffe
	s_lshl_b64 s[0:1], s[0:1], 1
	s_ashr_i32 s3, s2, 31
	s_wait_alu 0xfffe
	s_add_nc_u64 s[0:1], s[10:11], s[0:1]
	s_lshl_b64 s[2:3], s[2:3], 1
	v_lshlrev_b32_e32 v2, 1, v17
	s_wait_alu 0xfffd
	v_cndmask_b32_e32 v0, v0, v1, vcc_lo
	s_wait_alu 0xfffe
	s_add_nc_u64 s[0:1], s[0:1], s[2:3]
	s_mov_b32 s9, 0
	s_wait_alu 0xfffe
	s_add_nc_u64 s[0:1], s[0:1], s[8:9]
	global_store_d16_hi_b16 v2, v0, s[0:1]
.LBB144_46:
	s_endpgm
	.section	.rodata,"a",@progbits
	.p2align	6, 0x0
	.amdhsa_kernel _ZN4vllm25paged_attention_v2_kernelI14__hip_bfloat16S1_Li32ELi8ELi128ELNS_18Fp8KVCacheDataTypeE0ELb0ELi512EEEvPfS3_PT_PKS4_PKT0_SA_ifPKiSC_iPKfiiiSE_SE_iiiii
		.amdhsa_group_segment_fixed_size 96
		.amdhsa_private_segment_fixed_size 0
		.amdhsa_kernarg_size 400
		.amdhsa_user_sgpr_count 2
		.amdhsa_user_sgpr_dispatch_ptr 0
		.amdhsa_user_sgpr_queue_ptr 0
		.amdhsa_user_sgpr_kernarg_segment_ptr 1
		.amdhsa_user_sgpr_dispatch_id 0
		.amdhsa_user_sgpr_private_segment_size 0
		.amdhsa_wavefront_size32 1
		.amdhsa_uses_dynamic_stack 0
		.amdhsa_enable_private_segment 0
		.amdhsa_system_sgpr_workgroup_id_x 1
		.amdhsa_system_sgpr_workgroup_id_y 1
		.amdhsa_system_sgpr_workgroup_id_z 1
		.amdhsa_system_sgpr_workgroup_info 0
		.amdhsa_system_vgpr_workitem_id 0
		.amdhsa_next_free_vgpr 32
		.amdhsa_next_free_sgpr 36
		.amdhsa_reserve_vcc 1
		.amdhsa_float_round_mode_32 0
		.amdhsa_float_round_mode_16_64 0
		.amdhsa_float_denorm_mode_32 3
		.amdhsa_float_denorm_mode_16_64 3
		.amdhsa_fp16_overflow 0
		.amdhsa_workgroup_processor_mode 1
		.amdhsa_memory_ordered 1
		.amdhsa_forward_progress 1
		.amdhsa_inst_pref_size 36
		.amdhsa_round_robin_scheduling 0
		.amdhsa_exception_fp_ieee_invalid_op 0
		.amdhsa_exception_fp_denorm_src 0
		.amdhsa_exception_fp_ieee_div_zero 0
		.amdhsa_exception_fp_ieee_overflow 0
		.amdhsa_exception_fp_ieee_underflow 0
		.amdhsa_exception_fp_ieee_inexact 0
		.amdhsa_exception_int_div_zero 0
	.end_amdhsa_kernel
	.section	.text._ZN4vllm25paged_attention_v2_kernelI14__hip_bfloat16S1_Li32ELi8ELi128ELNS_18Fp8KVCacheDataTypeE0ELb0ELi512EEEvPfS3_PT_PKS4_PKT0_SA_ifPKiSC_iPKfiiiSE_SE_iiiii,"axG",@progbits,_ZN4vllm25paged_attention_v2_kernelI14__hip_bfloat16S1_Li32ELi8ELi128ELNS_18Fp8KVCacheDataTypeE0ELb0ELi512EEEvPfS3_PT_PKS4_PKT0_SA_ifPKiSC_iPKfiiiSE_SE_iiiii,comdat
.Lfunc_end144:
	.size	_ZN4vllm25paged_attention_v2_kernelI14__hip_bfloat16S1_Li32ELi8ELi128ELNS_18Fp8KVCacheDataTypeE0ELb0ELi512EEEvPfS3_PT_PKS4_PKT0_SA_ifPKiSC_iPKfiiiSE_SE_iiiii, .Lfunc_end144-_ZN4vllm25paged_attention_v2_kernelI14__hip_bfloat16S1_Li32ELi8ELi128ELNS_18Fp8KVCacheDataTypeE0ELb0ELi512EEEvPfS3_PT_PKS4_PKT0_SA_ifPKiSC_iPKfiiiSE_SE_iiiii
                                        ; -- End function
	.set _ZN4vllm25paged_attention_v2_kernelI14__hip_bfloat16S1_Li32ELi8ELi128ELNS_18Fp8KVCacheDataTypeE0ELb0ELi512EEEvPfS3_PT_PKS4_PKT0_SA_ifPKiSC_iPKfiiiSE_SE_iiiii.num_vgpr, 32
	.set _ZN4vllm25paged_attention_v2_kernelI14__hip_bfloat16S1_Li32ELi8ELi128ELNS_18Fp8KVCacheDataTypeE0ELb0ELi512EEEvPfS3_PT_PKS4_PKT0_SA_ifPKiSC_iPKfiiiSE_SE_iiiii.num_agpr, 0
	.set _ZN4vllm25paged_attention_v2_kernelI14__hip_bfloat16S1_Li32ELi8ELi128ELNS_18Fp8KVCacheDataTypeE0ELb0ELi512EEEvPfS3_PT_PKS4_PKT0_SA_ifPKiSC_iPKfiiiSE_SE_iiiii.numbered_sgpr, 36
	.set _ZN4vllm25paged_attention_v2_kernelI14__hip_bfloat16S1_Li32ELi8ELi128ELNS_18Fp8KVCacheDataTypeE0ELb0ELi512EEEvPfS3_PT_PKS4_PKT0_SA_ifPKiSC_iPKfiiiSE_SE_iiiii.num_named_barrier, 0
	.set _ZN4vllm25paged_attention_v2_kernelI14__hip_bfloat16S1_Li32ELi8ELi128ELNS_18Fp8KVCacheDataTypeE0ELb0ELi512EEEvPfS3_PT_PKS4_PKT0_SA_ifPKiSC_iPKfiiiSE_SE_iiiii.private_seg_size, 0
	.set _ZN4vllm25paged_attention_v2_kernelI14__hip_bfloat16S1_Li32ELi8ELi128ELNS_18Fp8KVCacheDataTypeE0ELb0ELi512EEEvPfS3_PT_PKS4_PKT0_SA_ifPKiSC_iPKfiiiSE_SE_iiiii.uses_vcc, 1
	.set _ZN4vllm25paged_attention_v2_kernelI14__hip_bfloat16S1_Li32ELi8ELi128ELNS_18Fp8KVCacheDataTypeE0ELb0ELi512EEEvPfS3_PT_PKS4_PKT0_SA_ifPKiSC_iPKfiiiSE_SE_iiiii.uses_flat_scratch, 0
	.set _ZN4vllm25paged_attention_v2_kernelI14__hip_bfloat16S1_Li32ELi8ELi128ELNS_18Fp8KVCacheDataTypeE0ELb0ELi512EEEvPfS3_PT_PKS4_PKT0_SA_ifPKiSC_iPKfiiiSE_SE_iiiii.has_dyn_sized_stack, 0
	.set _ZN4vllm25paged_attention_v2_kernelI14__hip_bfloat16S1_Li32ELi8ELi128ELNS_18Fp8KVCacheDataTypeE0ELb0ELi512EEEvPfS3_PT_PKS4_PKT0_SA_ifPKiSC_iPKfiiiSE_SE_iiiii.has_recursion, 0
	.set _ZN4vllm25paged_attention_v2_kernelI14__hip_bfloat16S1_Li32ELi8ELi128ELNS_18Fp8KVCacheDataTypeE0ELb0ELi512EEEvPfS3_PT_PKS4_PKT0_SA_ifPKiSC_iPKfiiiSE_SE_iiiii.has_indirect_call, 0
	.section	.AMDGPU.csdata,"",@progbits
; Kernel info:
; codeLenInByte = 4516
; TotalNumSgprs: 38
; NumVgprs: 32
; ScratchSize: 0
; MemoryBound: 0
; FloatMode: 240
; IeeeMode: 1
; LDSByteSize: 96 bytes/workgroup (compile time only)
; SGPRBlocks: 0
; VGPRBlocks: 3
; NumSGPRsForWavesPerEU: 38
; NumVGPRsForWavesPerEU: 32
; Occupancy: 16
; WaveLimiterHint : 1
; COMPUTE_PGM_RSRC2:SCRATCH_EN: 0
; COMPUTE_PGM_RSRC2:USER_SGPR: 2
; COMPUTE_PGM_RSRC2:TRAP_HANDLER: 0
; COMPUTE_PGM_RSRC2:TGID_X_EN: 1
; COMPUTE_PGM_RSRC2:TGID_Y_EN: 1
; COMPUTE_PGM_RSRC2:TGID_Z_EN: 1
; COMPUTE_PGM_RSRC2:TIDIG_COMP_CNT: 0
	.section	.text._ZN4vllm25paged_attention_v2_kernelI14__hip_bfloat16S1_Li64ELi8ELi128ELNS_18Fp8KVCacheDataTypeE0ELb0ELi512EEEvPfS3_PT_PKS4_PKT0_SA_ifPKiSC_iPKfiiiSE_SE_iiiii,"axG",@progbits,_ZN4vllm25paged_attention_v2_kernelI14__hip_bfloat16S1_Li64ELi8ELi128ELNS_18Fp8KVCacheDataTypeE0ELb0ELi512EEEvPfS3_PT_PKS4_PKT0_SA_ifPKiSC_iPKfiiiSE_SE_iiiii,comdat
	.protected	_ZN4vllm25paged_attention_v2_kernelI14__hip_bfloat16S1_Li64ELi8ELi128ELNS_18Fp8KVCacheDataTypeE0ELb0ELi512EEEvPfS3_PT_PKS4_PKT0_SA_ifPKiSC_iPKfiiiSE_SE_iiiii ; -- Begin function _ZN4vllm25paged_attention_v2_kernelI14__hip_bfloat16S1_Li64ELi8ELi128ELNS_18Fp8KVCacheDataTypeE0ELb0ELi512EEEvPfS3_PT_PKS4_PKT0_SA_ifPKiSC_iPKfiiiSE_SE_iiiii
	.globl	_ZN4vllm25paged_attention_v2_kernelI14__hip_bfloat16S1_Li64ELi8ELi128ELNS_18Fp8KVCacheDataTypeE0ELb0ELi512EEEvPfS3_PT_PKS4_PKT0_SA_ifPKiSC_iPKfiiiSE_SE_iiiii
	.p2align	8
	.type	_ZN4vllm25paged_attention_v2_kernelI14__hip_bfloat16S1_Li64ELi8ELi128ELNS_18Fp8KVCacheDataTypeE0ELb0ELi512EEEvPfS3_PT_PKS4_PKT0_SA_ifPKiSC_iPKfiiiSE_SE_iiiii,@function
_ZN4vllm25paged_attention_v2_kernelI14__hip_bfloat16S1_Li64ELi8ELi128ELNS_18Fp8KVCacheDataTypeE0ELb0ELi512EEEvPfS3_PT_PKS4_PKT0_SA_ifPKiSC_iPKfiiiSE_SE_iiiii: ; @_ZN4vllm25paged_attention_v2_kernelI14__hip_bfloat16S1_Li64ELi8ELi128ELNS_18Fp8KVCacheDataTypeE0ELb0ELi512EEEvPfS3_PT_PKS4_PKT0_SA_ifPKiSC_iPKfiiiSE_SE_iiiii
; %bb.0:
	s_load_b64 s[2:3], s[0:1], 0x40
	s_and_b32 s28, ttmp7, 0xffff
	s_lshr_b32 s27, ttmp7, 16
	s_lshl_b32 s4, s28, 2
	s_lshl_b32 s26, s27, 9
	s_wait_kmcnt 0x0
	s_load_b32 s24, s[2:3], s4 offset:0x0
	s_wait_kmcnt 0x0
	s_cmp_ge_i32 s26, s24
	s_cbranch_scc1 .LBB145_48
; %bb.1:
	s_clause 0x1
	s_load_b32 s29, s[0:1], 0x90
	s_load_b64 s[6:7], s[0:1], 0x30
	s_wait_kmcnt 0x0
	s_abs_i32 s5, s29
	s_abs_i32 s2, s6
	s_delay_alu instid0(SALU_CYCLE_1) | instskip(SKIP_1) | instid1(SALU_CYCLE_2)
	s_cvt_f32_u32 s3, s2
	s_sub_co_i32 s4, 0, s2
	v_rcp_iflag_f32_e32 v1, s3
	s_delay_alu instid0(TRANS32_DEP_1) | instskip(SKIP_2) | instid1(SALU_CYCLE_2)
	v_readfirstlane_b32 s3, v1
	s_mul_f32 s3, s3, 0x4f7ffffe
	s_wait_alu 0xfffe
	s_cvt_u32_f32 s3, s3
	s_wait_alu 0xfffe
	s_delay_alu instid0(SALU_CYCLE_2) | instskip(NEXT) | instid1(SALU_CYCLE_1)
	s_mul_i32 s4, s4, s3
	s_mul_hi_u32 s4, s3, s4
	s_delay_alu instid0(SALU_CYCLE_1)
	s_add_co_i32 s3, s3, s4
	s_xor_b32 s4, s29, s6
	s_wait_alu 0xfffe
	s_mul_hi_u32 s3, s5, s3
	s_ashr_i32 s4, s4, 31
	s_wait_alu 0xfffe
	s_mul_i32 s6, s3, s2
	s_delay_alu instid0(SALU_CYCLE_1)
	s_sub_co_i32 s5, s5, s6
	s_add_co_i32 s6, s3, 1
	s_sub_co_i32 s8, s5, s2
	s_cmp_ge_u32 s5, s2
	s_cselect_b32 s3, s6, s3
	s_cselect_b32 s5, s8, s5
	s_wait_alu 0xfffe
	s_add_co_i32 s6, s3, 1
	s_cmp_ge_u32 s5, s2
	s_load_b64 s[8:9], s[0:1], 0x50
	s_cselect_b32 s2, s6, s3
	s_mov_b32 s5, 0
	s_wait_alu 0xfffe
	s_xor_b32 s2, s2, s4
	s_mov_b32 s10, s5
	s_wait_alu 0xfffe
	s_sub_co_i32 s11, s2, s4
	s_abs_i32 s4, ttmp9
	s_abs_i32 s6, s11
	s_delay_alu instid0(SALU_CYCLE_1) | instskip(SKIP_2) | instid1(SALU_CYCLE_1)
	s_cvt_f32_u32 s2, s6
	s_sub_co_i32 s3, 0, s6
	s_wait_alu 0xfffe
	v_rcp_iflag_f32_e32 v1, s2
	s_delay_alu instid0(TRANS32_DEP_1) | instskip(SKIP_2) | instid1(SALU_CYCLE_2)
	v_readfirstlane_b32 s2, v1
	s_mul_f32 s2, s2, 0x4f7ffffe
	s_wait_alu 0xfffe
	s_cvt_u32_f32 s2, s2
	s_wait_alu 0xfffe
	s_delay_alu instid0(SALU_CYCLE_2)
	s_mul_i32 s3, s3, s2
	s_wait_alu 0xfffe
	s_mul_hi_u32 s3, s2, s3
	s_wait_alu 0xfffe
	s_add_co_i32 s2, s2, s3
	s_mov_b32 s3, s5
	s_wait_kmcnt 0x0
	s_cmp_eq_u64 s[8:9], 0
	s_cbranch_scc1 .LBB145_3
; %bb.2:
	s_mov_b32 s12, ttmp9
	s_ashr_i32 s13, ttmp9, 31
	s_delay_alu instid0(SALU_CYCLE_1) | instskip(NEXT) | instid1(SALU_CYCLE_1)
	s_lshl_b64 s[12:13], s[12:13], 2
	s_add_nc_u64 s[8:9], s[8:9], s[12:13]
	s_load_b32 s10, s[8:9], 0x0
.LBB145_3:
	s_load_b96 s[12:14], s[0:1], 0x58
	s_mul_u64 s[2:3], s[4:5], s[2:3]
	v_and_b32_e32 v1, 3, v0
	v_cmp_gt_u32_e64 s2, 32, v0
	v_lshlrev_b32_e32 v2, 2, v0
	s_ashr_i32 s5, ttmp9, 31
	s_ashr_i32 s8, s11, 31
	s_lshl_b32 s16, ttmp9, 6
	s_wait_alu 0xfffe
	s_and_saveexec_b32 s9, s2
	s_cbranch_execz .LBB145_5
; %bb.4:
	s_load_b64 s[18:19], s[0:1], 0x18
	s_wait_kmcnt 0x0
	s_mul_i32 s20, s12, s28
	s_ashr_i32 s17, s16, 31
	s_ashr_i32 s21, s20, 31
	v_and_b32_e32 v4, 0x3fc, v0
	s_lshl_b64 s[20:21], s[20:21], 1
	s_delay_alu instid0(VALU_DEP_1) | instskip(SKIP_2) | instid1(SALU_CYCLE_1)
	v_lshl_add_u32 v4, v1, 5, v4
	s_add_nc_u64 s[18:19], s[18:19], s[20:21]
	s_lshl_b64 s[20:21], s[16:17], 1
	s_add_nc_u64 s[18:19], s[18:19], s[20:21]
	global_load_b32 v3, v2, s[18:19]
	s_wait_loadcnt 0x0
	ds_store_b32 v4, v3
.LBB145_5:
	s_or_b32 exec_lo, exec_lo, s9
	s_add_co_i32 s9, s24, 7
	s_xor_b32 s5, s5, s8
	s_ashr_i32 s11, s9, 31
	s_wait_kmcnt 0x0
	s_lshl_b32 s12, s27, 6
	s_lshr_b32 s8, s11, 29
	s_mul_i32 s11, s3, s6
	s_add_co_i32 s9, s9, s8
	s_add_co_i32 s8, s12, 64
	s_ashr_i32 s30, s9, 3
	s_load_b32 s9, s[0:1], 0x48
	s_sub_co_i32 s4, s4, s11
	s_min_i32 s25, s8, s30
	s_add_co_i32 s8, s3, 1
	s_sub_co_i32 s11, s4, s6
	s_cmp_ge_u32 s4, s6
	v_lshrrev_b32_e32 v19, 5, v0
	s_cselect_b32 s3, s8, s3
	s_cselect_b32 s4, s11, s4
	s_wait_alu 0xfffe
	s_add_co_i32 s8, s3, 1
	s_cmp_ge_u32 s4, s6
	v_or_b32_e32 v20, s12, v19
	s_cselect_b32 s3, s8, s3
	v_mbcnt_lo_u32_b32 v4, -1, 0
	s_wait_alu 0xfffe
	s_xor_b32 s3, s3, s5
	s_wait_dscnt 0x0
	s_wait_alu 0xfffe
	s_sub_co_i32 s4, s3, s5
	v_cmp_gt_i32_e64 s3, s25, v20
	s_mov_b32 s5, exec_lo
	s_barrier_signal -1
	s_wait_kmcnt 0x0
	s_mul_i32 s18, s9, s28
	s_barrier_wait -1
	s_ashr_i32 s19, s18, 31
	global_inv scope:SCOPE_SE
                                        ; implicit-def: $vgpr5
                                        ; implicit-def: $vgpr6
	v_cmpx_le_i32_e64 s25, v20
	s_xor_b32 s5, exec_lo, s5
; %bb.6:
	v_dual_mov_b32 v5, 0 :: v_dual_mov_b32 v6, 32
	v_mbcnt_lo_u32_b32 v4, -1, 0
                                        ; implicit-def: $vgpr2
                                        ; implicit-def: $vgpr1
; %bb.7:
	s_or_saveexec_b32 s8, s5
	s_clause 0x1
	s_load_b64 s[20:21], s[0:1], 0x38
	s_load_b32 s17, s[0:1], 0x98
	v_dual_mov_b32 v24, 0xff7fffff :: v_dual_lshlrev_b32 v3, 2, v20
	s_mul_i32 s14, s4, s14
	s_xor_b32 exec_lo, exec_lo, s8
	s_cbranch_execz .LBB145_13
; %bb.8:
	s_load_b64 s[4:5], s[0:1], 0x20
	v_bfe_u32 v30, v0, 2, 3
	s_ashr_i32 s15, s14, 31
	v_and_b32_e32 v2, 12, v2
	s_lshl_b64 s[22:23], s[14:15], 1
	s_cmp_neq_f32 s10, 0
	v_lshlrev_b32_e32 v6, 4, v30
	v_lshlrev_b32_e32 v31, 2, v30
	s_mov_b32 s11, s13
	s_mov_b32 s9, 0
	v_mov_b32_e32 v32, v20
	s_wait_kmcnt 0x0
	s_add_nc_u64 s[4:5], s[4:5], s[22:23]
	s_delay_alu instid0(SALU_CYCLE_1)
	v_add_co_u32 v6, s4, s4, v6
	s_wait_alu 0xf1ff
	v_add_co_ci_u32_e64 v17, null, s5, 0, s4
	s_cselect_b32 s4, -1, 0
	v_add_co_u32 v16, vcc_lo, v6, v2
	v_xor_b32_e32 v2, 2, v4
	v_add_co_ci_u32_e64 v17, null, 0, v17, vcc_lo
	s_lshl_b64 s[22:23], s[18:19], 2
	v_mov_b32_e32 v6, 32
	v_cmp_gt_i32_e32 vcc_lo, 32, v2
	v_lshlrev_b32_e32 v5, 5, v1
	s_add_nc_u64 s[22:23], s[20:21], s[22:23]
	s_sub_co_i32 s15, 1, s24
	s_wait_alu 0xfffd
	v_cndmask_b32_e32 v2, v4, v2, vcc_lo
	ds_load_b128 v[11:14], v5
	ds_load_b128 v[24:27], v5 offset:16
	v_dual_mov_b32 v5, 0 :: v_dual_lshlrev_b32 v28, 2, v2
	v_lshlrev_b32_e32 v2, 3, v19
	s_delay_alu instid0(VALU_DEP_1)
	v_add3_u32 v30, s26, v2, v30
	s_wait_dscnt 0x1
	v_lshlrev_b32_e32 v7, 16, v11
	s_wait_dscnt 0x0
	v_lshlrev_b32_e32 v15, 16, v24
	v_and_b32_e32 v18, 0xffff0000, v24
	v_xor_b32_e32 v24, 1, v4
	v_and_b32_e32 v8, 0xffff0000, v11
	v_lshlrev_b32_e32 v9, 16, v12
	v_and_b32_e32 v10, 0xffff0000, v12
	v_and_b32_e32 v12, 0xffff0000, v13
	v_cmp_gt_i32_e32 vcc_lo, 32, v24
	v_lshlrev_b32_e32 v11, 16, v13
	v_lshlrev_b32_e32 v13, 16, v14
	v_and_b32_e32 v14, 0xffff0000, v14
	s_wait_alu 0xfffd
	v_dual_cndmask_b32 v24, v4, v24 :: v_dual_lshlrev_b32 v21, 16, v25
	v_cmp_eq_u32_e32 vcc_lo, 0, v1
	v_add_co_u32 v1, s5, s22, v3
	v_and_b32_e32 v22, 0xffff0000, v25
	s_delay_alu instid0(VALU_DEP_4)
	v_lshlrev_b32_e32 v29, 2, v24
	v_lshl_or_b32 v24, v19, 5, v31
	v_lshlrev_b32_e32 v23, 16, v26
	v_and_b32_e32 v25, 0xffff0000, v26
	v_lshlrev_b32_e32 v26, 16, v27
	v_and_b32_e32 v27, 0xffff0000, v27
	v_add_nc_u32_e32 v31, 0xa0, v24
	s_wait_alu 0xf1ff
	v_add_co_ci_u32_e64 v2, null, s23, 0, s5
	v_mov_b32_e32 v24, 0xff7fffff
	s_branch .LBB145_10
.LBB145_9:                              ;   in Loop: Header=BB145_10 Depth=1
	s_wait_alu 0xfffe
	s_or_b32 exec_lo, exec_lo, s6
	v_add_nc_u32_e32 v32, 4, v32
	v_add_co_u32 v1, s6, v1, 16
	v_add_nc_u32_e32 v30, 32, v30
	v_add_nc_u32_e32 v31, 0x80, v31
	s_delay_alu instid0(VALU_DEP_4) | instskip(SKIP_3) | instid1(SALU_CYCLE_1)
	v_cmp_le_i32_e64 s5, s25, v32
	s_wait_alu 0xf1ff
	v_add_co_ci_u32_e64 v2, null, 0, v2, s6
	s_or_b32 s9, s5, s9
	s_and_not1_b32 exec_lo, exec_lo, s9
	s_cbranch_execz .LBB145_12
.LBB145_10:                             ; =>This Inner Loop Header: Depth=1
	global_load_b32 v33, v[1:2], off
	s_wait_loadcnt_dscnt 0x0
	v_mad_co_i64_i32 v[33:34], null, v33, s11, 0
	s_delay_alu instid0(VALU_DEP_1) | instskip(NEXT) | instid1(VALU_DEP_1)
	v_lshlrev_b64_e32 v[33:34], 1, v[33:34]
	v_add_co_u32 v33, s5, v16, v33
	s_wait_alu 0xf1ff
	s_delay_alu instid0(VALU_DEP_2)
	v_add_co_ci_u32_e64 v34, null, v17, v34, s5
	s_clause 0x7
	global_load_b32 v35, v[33:34], off offset:128
	global_load_b32 v36, v[33:34], off
	global_load_b32 v37, v[33:34], off offset:256
	global_load_b32 v38, v[33:34], off offset:384
	;; [unrolled: 1-line block ×6, first 2 shown]
	s_wait_loadcnt 0x6
	v_lshlrev_b32_e32 v42, 16, v36
	s_wait_loadcnt 0x5
	v_lshlrev_b32_e32 v43, 16, v37
	v_and_b32_e32 v37, 0xffff0000, v37
	v_and_b32_e32 v36, 0xffff0000, v36
	v_lshlrev_b32_e32 v34, 16, v35
	v_and_b32_e32 v35, 0xffff0000, v35
	s_delay_alu instid0(VALU_DEP_1) | instskip(NEXT) | instid1(VALU_DEP_1)
	v_mul_f32_e32 v35, v10, v35
	v_dual_fmac_f32 v35, v8, v36 :: v_dual_mul_f32 v34, v9, v34
	s_delay_alu instid0(VALU_DEP_1) | instskip(NEXT) | instid1(VALU_DEP_1)
	v_fmac_f32_e32 v34, v7, v42
	v_dual_fmac_f32 v34, v11, v43 :: v_dual_fmac_f32 v35, v12, v37
	s_wait_loadcnt 0x3
	v_lshlrev_b32_e32 v37, 16, v39
	v_and_b32_e32 v39, 0xffff0000, v39
	v_lshlrev_b32_e32 v36, 16, v38
	v_and_b32_e32 v38, 0xffff0000, v38
	s_delay_alu instid0(VALU_DEP_1) | instskip(NEXT) | instid1(VALU_DEP_1)
	v_fmac_f32_e32 v35, v14, v38
	v_dual_fmac_f32 v35, v18, v39 :: v_dual_fmac_f32 v34, v13, v36
	s_wait_loadcnt 0x2
	v_lshlrev_b32_e32 v36, 16, v40
	s_delay_alu instid0(VALU_DEP_2) | instskip(SKIP_1) | instid1(VALU_DEP_1)
	v_fmac_f32_e32 v34, v15, v37
	s_wait_loadcnt 0x1
	v_dual_fmac_f32 v34, v21, v36 :: v_dual_lshlrev_b32 v37, 16, v41
	s_wait_loadcnt 0x0
	v_lshlrev_b32_e32 v36, 16, v33
	v_and_b32_e32 v33, 0xffff0000, v33
	v_and_b32_e32 v38, 0xffff0000, v40
	v_fmac_f32_e32 v34, v23, v37
	v_and_b32_e32 v39, 0xffff0000, v41
	s_delay_alu instid0(VALU_DEP_3) | instskip(NEXT) | instid1(VALU_DEP_1)
	v_fmac_f32_e32 v35, v22, v38
	v_dual_fmac_f32 v34, v26, v36 :: v_dual_fmac_f32 v35, v25, v39
	s_delay_alu instid0(VALU_DEP_1) | instskip(NEXT) | instid1(VALU_DEP_1)
	v_fmac_f32_e32 v35, v27, v33
	v_add_f32_e32 v33, v34, v35
	ds_bpermute_b32 v34, v28, v33
	s_wait_dscnt 0x0
	v_add_f32_e32 v33, v33, v34
	ds_bpermute_b32 v34, v29, v33
	s_and_saveexec_b32 s6, vcc_lo
	s_cbranch_execz .LBB145_9
; %bb.11:                               ;   in Loop: Header=BB145_10 Depth=1
	s_wait_dscnt 0x0
	v_add_f32_e32 v33, v33, v34
	v_add_nc_u32_e32 v35, s15, v30
	v_cmp_gt_i32_e64 s5, s24, v30
	s_delay_alu instid0(VALU_DEP_2) | instskip(NEXT) | instid1(VALU_DEP_1)
	v_cvt_f32_i32_e32 v35, v35
	v_mul_f32_e32 v35, s10, v35
	s_wait_alu 0xfffe
	s_delay_alu instid0(VALU_DEP_1) | instskip(NEXT) | instid1(VALU_DEP_1)
	v_cndmask_b32_e64 v34, 0, v35, s4
	v_dual_max_num_f32 v35, v24, v24 :: v_dual_fmac_f32 v34, s7, v33
	s_delay_alu instid0(VALU_DEP_1) | instskip(SKIP_2) | instid1(VALU_DEP_2)
	v_max_num_f32_e32 v33, v35, v34
	s_wait_alu 0xf1ff
	v_cndmask_b32_e64 v34, 0, v34, s5
	v_cndmask_b32_e64 v24, v24, v33, s5
	ds_store_b32 v31, v34
	s_branch .LBB145_9
.LBB145_12:
	s_or_b32 exec_lo, exec_lo, s9
.LBB145_13:
	s_delay_alu instid0(SALU_CYCLE_1)
	s_or_b32 exec_lo, exec_lo, s8
	v_xor_b32_e32 v1, 16, v4
	v_xor_b32_e32 v7, 8, v4
	;; [unrolled: 1-line block ×3, first 2 shown]
	s_clause 0x2
	s_load_b128 s[8:11], s[0:1], 0x0
	s_load_b64 s[6:7], s[0:1], 0x10
	s_load_b64 s[22:23], s[0:1], 0x28
	v_and_b32_e32 v21, 31, v0
	v_cmp_lt_i32_e32 vcc_lo, v1, v6
	s_wait_alu 0xfffd
	v_cndmask_b32_e32 v1, v4, v1, vcc_lo
	v_cmp_lt_i32_e32 vcc_lo, v7, v6
	s_wait_alu 0xfffd
	s_delay_alu instid0(VALU_DEP_2)
	v_dual_cndmask_b32 v7, v4, v7 :: v_dual_lshlrev_b32 v2, 2, v1
	v_cmp_lt_i32_e32 vcc_lo, v9, v6
	ds_bpermute_b32 v1, v2, v24
	v_dual_max_num_f32 v8, v24, v24 :: v_dual_lshlrev_b32 v7, 2, v7
	s_wait_alu 0xfffd
	v_cndmask_b32_e32 v9, v4, v9, vcc_lo
	v_cmp_eq_u32_e32 vcc_lo, 0, v21
	s_delay_alu instid0(VALU_DEP_2) | instskip(SKIP_2) | instid1(VALU_DEP_1)
	v_lshlrev_b32_e32 v10, 2, v9
	s_wait_dscnt 0x0
	v_max_num_f32_e32 v1, v1, v1
	v_max_num_f32_e32 v1, v8, v1
	ds_bpermute_b32 v8, v7, v1
	s_wait_dscnt 0x0
	v_max_num_f32_e32 v8, v8, v8
	s_delay_alu instid0(VALU_DEP_1)
	v_dual_max_num_f32 v1, v1, v8 :: v_dual_lshlrev_b32 v8, 2, v19
	ds_bpermute_b32 v9, v10, v1
	s_and_saveexec_b32 s0, vcc_lo
	s_cbranch_execz .LBB145_15
; %bb.14:
	s_wait_dscnt 0x0
	v_max_num_f32_e32 v9, v9, v9
	v_max_num_f32_e32 v1, v1, v1
	s_delay_alu instid0(VALU_DEP_1)
	v_max_num_f32_e32 v1, v1, v9
	ds_store_b32 v8, v1 offset:128
.LBB145_15:
	s_or_b32 exec_lo, exec_lo, s0
	v_cmp_gt_u32_e64 s0, 4, v21
	v_mov_b32_e32 v1, 0xff7fffff
	s_wait_dscnt 0x0
	v_lshlrev_b32_e32 v9, 2, v21
	s_wait_loadcnt 0x0
	s_barrier_signal -1
	s_barrier_wait -1
	global_inv scope:SCOPE_SE
	s_and_saveexec_b32 s1, s0
; %bb.16:
	ds_load_b32 v1, v9 offset:128
; %bb.17:
	s_or_b32 exec_lo, exec_lo, s1
	v_xor_b32_e32 v11, 2, v4
	v_xor_b32_e32 v13, 1, v4
	v_lshlrev_b32_e32 v5, 2, v5
	s_delay_alu instid0(VALU_DEP_3) | instskip(NEXT) | instid1(VALU_DEP_1)
	v_cmp_lt_i32_e64 s1, v11, v6
	v_cndmask_b32_e64 v11, v4, v11, s1
	s_delay_alu instid0(VALU_DEP_4) | instskip(NEXT) | instid1(VALU_DEP_2)
	v_cmp_lt_i32_e64 s1, v13, v6
	v_lshlrev_b32_e32 v11, 2, v11
	s_wait_alu 0xf1ff
	s_delay_alu instid0(VALU_DEP_2)
	v_cndmask_b32_e64 v6, v4, v13, s1
	s_sub_co_i32 s1, s25, s12
	s_wait_alu 0xfffe
	s_lshl_b32 s1, s1, 3
	s_wait_dscnt 0x0
	ds_bpermute_b32 v12, v11, v1
	v_dual_max_num_f32 v1, v1, v1 :: v_dual_lshlrev_b32 v6, 2, v6
	s_wait_alu 0xfffe
	s_add_co_i32 s1, s1, s26
	s_wait_alu 0xfffe
	s_min_i32 s1, s1, s24
	s_wait_alu 0xfffe
	s_sub_co_i32 s5, s1, s26
	s_wait_alu 0xfffe
	v_cmp_gt_i32_e64 s1, s5, v0
	s_wait_dscnt 0x0
	v_max_num_f32_e32 v12, v12, v12
	s_delay_alu instid0(VALU_DEP_1) | instskip(SKIP_3) | instid1(VALU_DEP_1)
	v_max_num_f32_e32 v1, v1, v12
	ds_bpermute_b32 v12, v6, v1
	s_wait_dscnt 0x0
	v_max_num_f32_e32 v12, v12, v12
	v_dual_max_num_f32 v1, v1, v12 :: v_dual_mov_b32 v12, 0
	ds_bpermute_b32 v1, v5, v1
	v_lshl_add_u32 v5, v0, 2, 0xa0
	s_and_saveexec_b32 s15, s1
	s_cbranch_execz .LBB145_21
; %bb.18:
	v_lshl_add_u32 v13, v0, 2, 0xa0
	v_mov_b32_e32 v12, 0
	v_mov_b32_e32 v14, v0
	s_mov_b32 s31, 0
.LBB145_19:                             ; =>This Inner Loop Header: Depth=1
	ds_load_b32 v15, v13
	v_add_nc_u32_e32 v14, 0x80, v14
	s_delay_alu instid0(VALU_DEP_1) | instskip(SKIP_3) | instid1(VALU_DEP_1)
	v_cmp_le_i32_e64 s4, s5, v14
	s_or_b32 s31, s4, s31
	s_wait_dscnt 0x0
	v_sub_f32_e32 v15, v15, v1
	v_mul_f32_e32 v15, 0x3fb8aa3b, v15
	s_delay_alu instid0(VALU_DEP_1)
	v_exp_f32_e32 v15, v15
	ds_store_b32 v13, v15
	v_dual_add_f32 v12, v12, v15 :: v_dual_add_nc_u32 v13, 0x200, v13
	s_and_not1_b32 exec_lo, exec_lo, s31
	s_cbranch_execnz .LBB145_19
; %bb.20:
	s_or_b32 exec_lo, exec_lo, s31
.LBB145_21:
	s_wait_alu 0xfffe
	s_or_b32 exec_lo, exec_lo, s15
	ds_bpermute_b32 v2, v2, v12
	s_wait_dscnt 0x0
	v_add_f32_e32 v2, v12, v2
	ds_bpermute_b32 v7, v7, v2
	s_wait_dscnt 0x0
	v_add_f32_e32 v2, v2, v7
	;; [unrolled: 3-line block ×5, first 2 shown]
	s_and_saveexec_b32 s4, vcc_lo
; %bb.22:
	ds_store_b32 v8, v2 offset:144
; %bb.23:
	s_wait_alu 0xfffe
	s_or_b32 exec_lo, exec_lo, s4
	s_wait_loadcnt_dscnt 0x0
	s_barrier_signal -1
	s_barrier_wait -1
	global_inv scope:SCOPE_SE
	s_and_saveexec_b32 s4, s0
; %bb.24:
	ds_load_b32 v2, v9 offset:144
; %bb.25:
	s_wait_alu 0xfffe
	s_or_b32 exec_lo, exec_lo, s4
	s_wait_dscnt 0x0
	ds_bpermute_b32 v7, v11, v2
	v_lshlrev_b32_e32 v4, 2, v4
	s_delay_alu instid0(VALU_DEP_1)
	v_and_b32_e32 v4, 0xffffff80, v4
	s_wait_dscnt 0x0
	v_add_f32_e32 v2, v2, v7
	ds_bpermute_b32 v6, v6, v2
	s_wait_dscnt 0x0
	v_add_f32_e32 v2, v2, v6
	ds_bpermute_b32 v2, v4, v2
	s_and_saveexec_b32 s0, s1
	s_cbranch_execz .LBB145_28
; %bb.26:
	s_wait_dscnt 0x0
	v_add_f32_e32 v4, 0x358637bd, v2
	s_mov_b32 s1, 0
	s_delay_alu instid0(VALU_DEP_1) | instskip(NEXT) | instid1(VALU_DEP_1)
	v_div_scale_f32 v6, null, v4, v4, 1.0
	v_rcp_f32_e32 v7, v6
	s_delay_alu instid0(TRANS32_DEP_1) | instskip(NEXT) | instid1(VALU_DEP_1)
	v_fma_f32 v8, -v6, v7, 1.0
	v_fmac_f32_e32 v7, v8, v7
	v_div_scale_f32 v9, vcc_lo, 1.0, v4, 1.0
	s_delay_alu instid0(VALU_DEP_1) | instskip(NEXT) | instid1(VALU_DEP_1)
	v_mul_f32_e32 v8, v9, v7
	v_fma_f32 v10, -v6, v8, v9
	s_delay_alu instid0(VALU_DEP_1) | instskip(NEXT) | instid1(VALU_DEP_1)
	v_fmac_f32_e32 v8, v10, v7
	v_fma_f32 v6, -v6, v8, v9
	s_wait_alu 0xfffd
	s_delay_alu instid0(VALU_DEP_1) | instskip(NEXT) | instid1(VALU_DEP_1)
	v_div_fmas_f32 v6, v6, v7, v8
	v_div_fixup_f32 v4, v6, v4, 1.0
	v_mov_b32_e32 v6, v0
.LBB145_27:                             ; =>This Inner Loop Header: Depth=1
	ds_load_b32 v7, v5
	s_wait_dscnt 0x0
	v_dual_mul_f32 v7, v4, v7 :: v_dual_add_nc_u32 v6, 0x80, v6
	s_delay_alu instid0(VALU_DEP_1)
	v_cmp_le_i32_e32 vcc_lo, s5, v6
	ds_store_b32 v5, v7
	v_add_nc_u32_e32 v5, 0x200, v5
	s_wait_alu 0xfffe
	s_or_b32 s1, vcc_lo, s1
	s_wait_alu 0xfffe
	s_and_not1_b32 exec_lo, exec_lo, s1
	s_cbranch_execnz .LBB145_27
.LBB145_28:
	s_wait_alu 0xfffe
	s_or_b32 exec_lo, exec_lo, s0
	s_wait_kmcnt 0x0
	s_mul_i32 s0, s17, s28
	s_wait_loadcnt_dscnt 0x0
	s_wait_alu 0xfffe
	s_mul_i32 s4, s0, s29
	s_mov_b32 s0, exec_lo
	s_barrier_signal -1
	s_barrier_wait -1
	global_inv scope:SCOPE_SE
	v_cmpx_eq_u32_e32 0, v0
	s_cbranch_execz .LBB145_30
; %bb.29:
	s_wait_alu 0xfffe
	s_ashr_i32 s5, s4, 31
	s_mul_i32 s28, s17, ttmp9
	s_lshl_b32 s1, s27, 2
	s_wait_alu 0xfffe
	s_lshl_b64 s[34:35], s[4:5], 2
	s_ashr_i32 s29, s28, 31
	v_mov_b32_e32 v4, s1
	s_add_nc_u64 s[10:11], s[10:11], s[34:35]
	s_lshl_b64 s[28:29], s[28:29], 2
	s_add_nc_u64 s[8:9], s[8:9], s[34:35]
	s_wait_alu 0xfffe
	s_add_nc_u64 s[10:11], s[10:11], s[28:29]
	s_add_nc_u64 s[8:9], s[8:9], s[28:29]
	s_clause 0x1
	global_store_b32 v4, v1, s[10:11]
	global_store_b32 v4, v2, s[8:9]
.LBB145_30:
	s_wait_alu 0xfffe
	s_or_b32 exec_lo, exec_lo, s0
	v_dual_mov_b32 v23, 0 :: v_dual_mov_b32 v22, 0
	s_and_saveexec_b32 s1, s3
	s_cbranch_execz .LBB145_38
; %bb.31:
	s_ashr_i32 s15, s14, 31
	v_dual_mov_b32 v22, 0 :: v_dual_lshlrev_b32 v1, 4, v21
	s_wait_alu 0xfffe
	s_lshl_b64 s[8:9], s[14:15], 1
	v_lshl_add_u32 v26, v19, 3, s26
	s_add_nc_u64 s[8:9], s[22:23], s[8:9]
	v_lshl_add_u32 v27, v19, 5, 0xa0
	v_add_co_u32 v24, s0, s8, v1
	s_wait_alu 0xf1ff
	v_add_co_ci_u32_e64 v25, null, s9, 0, s0
	s_lshl_b64 s[8:9], s[18:19], 2
	v_mov_b32_e32 v23, 0
	s_wait_alu 0xfffe
	s_add_nc_u64 s[8:9], s[20:21], s[8:9]
	s_mov_b32 s3, s13
	s_wait_alu 0xfffe
	v_add_co_u32 v17, s0, s8, v3
	s_wait_alu 0xf1ff
	v_add_co_ci_u32_e64 v18, null, s9, 0, s0
	s_add_co_i32 s30, s30, -1
	s_mov_b32 s8, s24
	s_mov_b32 s5, 0
	s_branch .LBB145_33
.LBB145_32:                             ;   in Loop: Header=BB145_33 Depth=1
	s_wait_alu 0xfffe
	s_or_b32 exec_lo, exec_lo, s0
	s_wait_dscnt 0x1
	v_bfe_u32 v28, v13, 16, 1
	v_or_b32_e32 v29, 0x400000, v13
	v_bfe_u32 v30, v14, 16, 1
	v_cmp_u_f32_e32 vcc_lo, v13, v13
	v_bfe_u32 v31, v15, 16, 1
	v_add3_u32 v28, v28, v13, 0x7fff
	v_or_b32_e32 v32, 0x400000, v14
	v_add3_u32 v30, v30, v14, 0x7fff
	v_or_b32_e32 v33, 0x400000, v15
	v_add3_u32 v31, v31, v15, 0x7fff
	s_wait_alu 0xfffd
	v_cndmask_b32_e32 v13, v28, v29, vcc_lo
	v_cmp_u_f32_e32 vcc_lo, v14, v14
	v_bfe_u32 v28, v16, 16, 1
	s_wait_dscnt 0x0
	v_bfe_u32 v29, v9, 16, 1
	v_add_co_u32 v17, s0, v17, 16
	s_wait_alu 0xfffd
	v_cndmask_b32_e32 v14, v30, v32, vcc_lo
	v_cmp_u_f32_e32 vcc_lo, v15, v15
	v_add3_u32 v28, v28, v16, 0x7fff
	v_or_b32_e32 v30, 0x400000, v16
	v_add3_u32 v29, v29, v9, 0x7fff
	v_bfe_u32 v32, v10, 16, 1
	s_wait_alu 0xfffd
	v_cndmask_b32_e32 v15, v31, v33, vcc_lo
	v_cmp_u_f32_e32 vcc_lo, v16, v16
	v_or_b32_e32 v31, 0x400000, v9
	v_add_nc_u32_e32 v27, 0x80, v27
	s_wait_alu 0xf1ff
	v_add_co_ci_u32_e64 v18, null, 0, v18, s0
	s_wait_alu 0xfffd
	v_cndmask_b32_e32 v16, v28, v30, vcc_lo
	v_cmp_u_f32_e32 vcc_lo, v9, v9
	v_add3_u32 v28, v32, v10, 0x7fff
	v_bfe_u32 v30, v11, 16, 1
	s_wait_loadcnt 0x1
	v_lshlrev_b32_e32 v32, 16, v6
	s_wait_alu 0xfffd
	v_dual_cndmask_b32 v9, v29, v31 :: v_dual_and_b32 v6, 0xffff0000, v6
	v_or_b32_e32 v29, 0x400000, v10
	v_cmp_u_f32_e32 vcc_lo, v10, v10
	v_and_b32_e32 v14, 0xffff0000, v14
	v_add_nc_u32_e32 v20, 4, v20
	v_add_nc_u32_e32 v26, 32, v26
	s_wait_alu 0xfffd
	v_cndmask_b32_e32 v10, v28, v29, vcc_lo
	v_add3_u32 v28, v30, v11, 0x7fff
	v_or_b32_e32 v29, 0x400000, v11
	v_bfe_u32 v30, v12, 16, 1
	v_cmp_u_f32_e32 vcc_lo, v11, v11
	s_wait_alu 0xfffd
	s_delay_alu instid0(VALU_DEP_3) | instskip(NEXT) | instid1(VALU_DEP_3)
	v_dual_cndmask_b32 v11, v28, v29 :: v_dual_and_b32 v10, 0xffff0000, v10
	v_add3_u32 v28, v30, v12, 0x7fff
	v_or_b32_e32 v29, 0x400000, v12
	v_cmp_u_f32_e32 vcc_lo, v12, v12
	v_and_b32_e32 v15, 0xffff0000, v15
	s_wait_alu 0xfffd
	s_delay_alu instid0(VALU_DEP_3) | instskip(NEXT) | instid1(VALU_DEP_2)
	v_dual_cndmask_b32 v12, v28, v29 :: v_dual_and_b32 v11, 0xffff0000, v11
	v_dual_mul_f32 v32, v15, v32 :: v_dual_and_b32 v13, 0xffff0000, v13
	s_delay_alu instid0(VALU_DEP_2)
	v_and_b32_e32 v12, 0xffff0000, v12
	v_and_b32_e32 v9, 0xffff0000, v9
	;; [unrolled: 1-line block ×3, first 2 shown]
	v_lshlrev_b32_e32 v31, 16, v5
	v_and_b32_e32 v5, 0xffff0000, v5
	v_or_b32_e32 v34, 0x400000, v32
	s_delay_alu instid0(VALU_DEP_3) | instskip(NEXT) | instid1(VALU_DEP_3)
	v_dual_mul_f32 v6, v16, v6 :: v_dual_mul_f32 v31, v13, v31
	v_mul_f32_e32 v5, v14, v5
	s_delay_alu instid0(VALU_DEP_2) | instskip(NEXT) | instid1(VALU_DEP_3)
	v_bfe_u32 v35, v6, 16, 1
	v_bfe_u32 v30, v31, 16, 1
	v_or_b32_e32 v29, 0x400000, v31
	v_cmp_u_f32_e32 vcc_lo, v31, v31
	v_or_b32_e32 v33, 0x400000, v5
	s_delay_alu instid0(VALU_DEP_4) | instskip(SKIP_2) | instid1(VALU_DEP_2)
	v_add3_u32 v28, v30, v31, 0x7fff
	v_bfe_u32 v30, v5, 16, 1
	s_wait_alu 0xfffd
	v_dual_cndmask_b32 v28, v28, v29 :: v_dual_lshlrev_b32 v31, 16, v7
	s_delay_alu instid0(VALU_DEP_2) | instskip(SKIP_2) | instid1(VALU_DEP_4)
	v_add3_u32 v29, v30, v5, 0x7fff
	v_bfe_u32 v30, v32, 16, 1
	v_cmp_u_f32_e32 vcc_lo, v5, v5
	v_and_b32_e32 v28, 0xffff0000, v28
	s_delay_alu instid0(VALU_DEP_3)
	v_add3_u32 v30, v30, v32, 0x7fff
	s_wait_alu 0xfffd
	v_cndmask_b32_e32 v5, v29, v33, vcc_lo
	v_cmp_u_f32_e32 vcc_lo, v32, v32
	v_lshlrev_b32_e32 v33, 16, v8
	s_wait_alu 0xfffd
	v_dual_cndmask_b32 v29, v30, v34 :: v_dual_and_b32 v8, 0xffff0000, v8
	v_add3_u32 v30, v35, v6, 0x7fff
	v_or_b32_e32 v34, 0x400000, v6
	v_cmp_u_f32_e32 vcc_lo, v6, v6
	s_delay_alu instid0(VALU_DEP_4) | instskip(SKIP_1) | instid1(VALU_DEP_3)
	v_dual_mul_f32 v8, v12, v8 :: v_dual_mul_f32 v31, v9, v31
	s_wait_alu 0xfffd
	v_dual_cndmask_b32 v6, v30, v34 :: v_dual_and_b32 v29, 0xffff0000, v29
	v_mul_f32_e32 v33, v11, v33
	s_delay_alu instid0(VALU_DEP_3)
	v_bfe_u32 v32, v31, 16, 1
	v_or_b32_e32 v35, 0x400000, v31
	v_cmp_u_f32_e32 vcc_lo, v31, v31
	v_and_b32_e32 v6, 0xffff0000, v6
	v_and_b32_e32 v7, 0xffff0000, v7
	v_add3_u32 v32, v32, v31, 0x7fff
	s_delay_alu instid0(VALU_DEP_2) | instskip(SKIP_1) | instid1(VALU_DEP_2)
	v_dual_add_f32 v6, v29, v6 :: v_dual_mul_f32 v7, v10, v7
	s_wait_alu 0xfffd
	v_cndmask_b32_e32 v31, v32, v35, vcc_lo
	v_bfe_u32 v32, v33, 16, 1
	v_or_b32_e32 v35, 0x400000, v33
	v_bfe_u32 v30, v7, 16, 1
	v_or_b32_e32 v34, 0x400000, v7
	v_cmp_u_f32_e32 vcc_lo, v7, v7
	v_add3_u32 v32, v32, v33, 0x7fff
	s_delay_alu instid0(VALU_DEP_4) | instskip(SKIP_1) | instid1(VALU_DEP_1)
	v_add3_u32 v30, v30, v7, 0x7fff
	s_wait_alu 0xfffd
	v_cndmask_b32_e32 v7, v30, v34, vcc_lo
	v_cmp_u_f32_e32 vcc_lo, v33, v33
	s_wait_loadcnt 0x0
	v_lshlrev_b32_e32 v34, 16, v1
	v_and_b32_e32 v1, 0xffff0000, v1
	v_or_b32_e32 v33, 0x400000, v8
	s_wait_alu 0xfffd
	v_cndmask_b32_e32 v30, v32, v35, vcc_lo
	v_bfe_u32 v32, v8, 16, 1
	v_cmp_u_f32_e32 vcc_lo, v8, v8
	v_dual_mul_f32 v1, v14, v1 :: v_dual_lshlrev_b32 v14, 16, v2
	v_and_b32_e32 v5, 0xffff0000, v5
	s_delay_alu instid0(VALU_DEP_4) | instskip(SKIP_1) | instid1(VALU_DEP_4)
	v_add3_u32 v32, v32, v8, 0x7fff
	v_and_b32_e32 v2, 0xffff0000, v2
	v_dual_mul_f32 v14, v15, v14 :: v_dual_and_b32 v7, 0xffff0000, v7
	s_delay_alu instid0(VALU_DEP_4) | instskip(SKIP_3) | instid1(VALU_DEP_3)
	v_dual_add_f32 v5, v28, v5 :: v_dual_and_b32 v28, 0xffff0000, v31
	s_wait_alu 0xfffd
	v_dual_cndmask_b32 v8, v32, v33 :: v_dual_mul_f32 v13, v13, v34
	v_bfe_u32 v29, v1, 16, 1
	v_dual_add_f32 v5, v6, v5 :: v_dual_mul_f32 v2, v16, v2
	s_delay_alu instid0(VALU_DEP_3) | instskip(NEXT) | instid1(VALU_DEP_4)
	v_and_b32_e32 v8, 0xffff0000, v8
	v_bfe_u32 v6, v13, 16, 1
	v_add_f32_e32 v7, v28, v7
	v_or_b32_e32 v28, 0x400000, v13
	v_cmp_u_f32_e32 vcc_lo, v13, v13
	v_or_b32_e32 v15, 0x400000, v1
	v_add3_u32 v6, v6, v13, 0x7fff
	v_add3_u32 v13, v29, v1, 0x7fff
	v_lshlrev_b32_e32 v16, 16, v3
	s_wait_alu 0xfffd
	s_delay_alu instid0(VALU_DEP_3) | instskip(SKIP_3) | instid1(VALU_DEP_3)
	v_dual_cndmask_b32 v6, v6, v28 :: v_dual_and_b32 v3, 0xffff0000, v3
	v_bfe_u32 v28, v14, 16, 1
	v_cmp_u_f32_e32 vcc_lo, v1, v1
	s_wait_alu 0xfffd
	v_dual_cndmask_b32 v1, v13, v15 :: v_dual_and_b32 v6, 0xffff0000, v6
	s_delay_alu instid0(VALU_DEP_3) | instskip(SKIP_3) | instid1(VALU_DEP_2)
	v_add3_u32 v13, v28, v14, 0x7fff
	v_or_b32_e32 v15, 0x400000, v14
	v_bfe_u32 v28, v2, 16, 1
	v_cmp_u_f32_e32 vcc_lo, v14, v14
	v_add3_u32 v14, v28, v2, 0x7fff
	s_wait_alu 0xfffd
	v_cndmask_b32_e32 v13, v13, v15, vcc_lo
	v_or_b32_e32 v15, 0x400000, v2
	v_cmp_u_f32_e32 vcc_lo, v2, v2
	s_wait_alu 0xfffd
	s_delay_alu instid0(VALU_DEP_2) | instskip(SKIP_3) | instid1(VALU_DEP_4)
	v_cndmask_b32_e32 v2, v14, v15, vcc_lo
	v_dual_mul_f32 v3, v10, v3 :: v_dual_lshlrev_b32 v10, 16, v4
	v_mul_f32_e32 v9, v9, v16
	v_and_b32_e32 v4, 0xffff0000, v4
	v_and_b32_e32 v2, 0xffff0000, v2
	s_delay_alu instid0(VALU_DEP_4)
	v_bfe_u32 v14, v3, 16, 1
	v_mul_f32_e32 v10, v11, v10
	v_bfe_u32 v16, v9, 16, 1
	v_mul_f32_e32 v4, v12, v4
	v_or_b32_e32 v11, 0x400000, v9
	v_cmp_u_f32_e32 vcc_lo, v9, v9
	v_add3_u32 v12, v14, v3, 0x7fff
	v_add3_u32 v15, v16, v9, 0x7fff
	v_or_b32_e32 v14, 0x400000, v3
	v_bfe_u32 v28, v4, 16, 1
	v_bfe_u32 v16, v10, 16, 1
	v_add_f32_e32 v5, v7, v5
	s_wait_alu 0xfffd
	v_cndmask_b32_e32 v9, v15, v11, vcc_lo
	v_cmp_u_f32_e32 vcc_lo, v3, v3
	v_or_b32_e32 v15, 0x400000, v10
	v_add3_u32 v11, v16, v10, 0x7fff
	s_wait_alu 0xfffd
	v_cndmask_b32_e32 v3, v12, v14, vcc_lo
	v_add3_u32 v12, v28, v4, 0x7fff
	v_or_b32_e32 v14, 0x400000, v4
	v_cmp_u_f32_e32 vcc_lo, v4, v4
	s_delay_alu instid0(VALU_DEP_4)
	v_and_b32_e32 v3, 0xffff0000, v3
	v_and_b32_e32 v13, 0xffff0000, v13
	s_wait_alu 0xfffd
	v_dual_cndmask_b32 v4, v12, v14 :: v_dual_and_b32 v1, 0xffff0000, v1
	v_cmp_u_f32_e32 vcc_lo, v10, v10
	v_and_b32_e32 v10, 0xffff0000, v30
	s_delay_alu instid0(VALU_DEP_3) | instskip(SKIP_3) | instid1(VALU_DEP_3)
	v_dual_add_f32 v2, v13, v2 :: v_dual_add_f32 v1, v6, v1
	s_wait_alu 0xfffd
	v_dual_cndmask_b32 v9, v11, v15 :: v_dual_and_b32 v6, 0xffff0000, v9
	v_cmp_le_i32_e32 vcc_lo, s25, v20
	v_add_f32_e32 v1, v2, v1
	s_delay_alu instid0(VALU_DEP_3) | instskip(NEXT) | instid1(VALU_DEP_4)
	v_dual_add_f32 v2, v6, v3 :: v_dual_and_b32 v3, 0xffff0000, v4
	v_and_b32_e32 v4, 0xffff0000, v9
	v_add_f32_e32 v6, v10, v8
	s_or_b32 s5, vcc_lo, s5
	s_delay_alu instid0(VALU_DEP_2) | instskip(NEXT) | instid1(VALU_DEP_2)
	v_dual_add_f32 v1, v2, v1 :: v_dual_add_f32 v2, v4, v3
	v_add_f32_e32 v3, v6, v5
	s_delay_alu instid0(VALU_DEP_2) | instskip(NEXT) | instid1(VALU_DEP_1)
	v_add_f32_e32 v1, v2, v1
	v_dual_add_f32 v22, v22, v3 :: v_dual_add_f32 v23, v23, v1
	s_wait_alu 0xfffe
	s_and_not1_b32 exec_lo, exec_lo, s5
	s_cbranch_execz .LBB145_37
.LBB145_33:                             ; =>This Inner Loop Header: Depth=1
	global_load_b32 v1, v[17:18], off
	v_add_nc_u32_e32 v33, 1, v26
	v_or_b32_e32 v32, 3, v26
	v_or_b32_e32 v34, 2, v26
	;; [unrolled: 1-line block ×6, first 2 shown]
	s_wait_loadcnt 0x0
	v_mad_co_i64_i32 v[1:2], null, v1, s3, 0
	s_delay_alu instid0(VALU_DEP_1) | instskip(NEXT) | instid1(VALU_DEP_1)
	v_lshlrev_b64_e32 v[1:2], 1, v[1:2]
	v_add_co_u32 v1, vcc_lo, v24, v1
	s_wait_alu 0xfffd
	s_delay_alu instid0(VALU_DEP_2)
	v_add_co_ci_u32_e64 v2, null, v25, v2, vcc_lo
	v_cmp_eq_u32_e32 vcc_lo, s30, v20
	global_load_b128 v[5:8], v[1:2], off
	ds_load_2addr_b64 v[13:16], v27 offset1:1
	ds_load_2addr_b64 v[9:12], v27 offset0:2 offset1:3
	s_and_saveexec_b32 s9, vcc_lo
	s_cbranch_execz .LBB145_35
; %bb.34:                               ;   in Loop: Header=BB145_33 Depth=1
	v_cmp_gt_i32_e64 s0, s24, v26
	s_wait_loadcnt 0x0
	v_lshrrev_b32_e32 v3, 16, v5
	v_lshrrev_b32_e32 v36, 16, v8
	s_wait_alu 0xf1ff
	v_cndmask_b32_e64 v4, 0, v5, s0
	s_wait_alu 0xfffe
	v_cmp_gt_i32_e64 s0, s8, v33
	v_lshrrev_b32_e32 v5, 16, v6
	s_wait_alu 0xf1ff
	s_delay_alu instid0(VALU_DEP_2) | instskip(SKIP_2) | instid1(VALU_DEP_1)
	v_cndmask_b32_e64 v3, 0, v3, s0
	v_cmp_gt_i32_e64 s0, s24, v34
	s_wait_alu 0xf1ff
	v_cndmask_b32_e64 v6, 0, v6, s0
	v_cmp_gt_i32_e64 s0, s8, v32
	s_wait_alu 0xf1ff
	s_delay_alu instid0(VALU_DEP_1) | instskip(SKIP_2) | instid1(VALU_DEP_3)
	v_cndmask_b32_e64 v35, 0, v5, s0
	v_cmp_gt_i32_e64 s0, s24, v31
	v_lshrrev_b32_e32 v5, 16, v7
	v_perm_b32 v6, v35, v6, 0x5040100
	s_wait_alu 0xf1ff
	s_delay_alu instid0(VALU_DEP_3) | instskip(SKIP_2) | instid1(VALU_DEP_1)
	v_cndmask_b32_e64 v7, 0, v7, s0
	v_cmp_gt_i32_e64 s0, s8, v29
	s_wait_alu 0xf1ff
	v_cndmask_b32_e64 v37, 0, v5, s0
	v_cmp_gt_i32_e64 s0, s24, v30
	v_perm_b32 v5, v3, v4, 0x5040100
	s_delay_alu instid0(VALU_DEP_3) | instskip(SKIP_1) | instid1(VALU_DEP_3)
	v_perm_b32 v7, v37, v7, 0x5040100
	s_wait_alu 0xf1ff
	v_cndmask_b32_e64 v8, 0, v8, s0
	v_cmp_gt_i32_e64 s0, s8, v28
	s_wait_alu 0xf1ff
	s_delay_alu instid0(VALU_DEP_1) | instskip(NEXT) | instid1(VALU_DEP_1)
	v_cndmask_b32_e64 v36, 0, v36, s0
	v_perm_b32 v8, v36, v8, 0x5040100
.LBB145_35:                             ;   in Loop: Header=BB145_33 Depth=1
	s_wait_alu 0xfffe
	s_or_b32 exec_lo, exec_lo, s9
	global_load_b128 v[1:4], v[1:2], off offset:512
	s_and_saveexec_b32 s0, vcc_lo
	s_cbranch_execz .LBB145_32
; %bb.36:                               ;   in Loop: Header=BB145_33 Depth=1
	v_cmp_gt_i32_e32 vcc_lo, s24, v26
	s_wait_loadcnt 0x0
	v_lshrrev_b32_e32 v35, 16, v1
	v_lshrrev_b32_e32 v36, 16, v2
	s_wait_alu 0xfffd
	v_cndmask_b32_e32 v1, 0, v1, vcc_lo
	v_cmp_gt_i32_e32 vcc_lo, s8, v33
	s_wait_alu 0xfffd
	v_cndmask_b32_e32 v33, 0, v35, vcc_lo
	v_cmp_gt_i32_e32 vcc_lo, s24, v34
	v_lshrrev_b32_e32 v34, 16, v3
	s_wait_alu 0xfffd
	v_cndmask_b32_e32 v2, 0, v2, vcc_lo
	v_cmp_gt_i32_e32 vcc_lo, s8, v32
	s_wait_alu 0xfffd
	v_cndmask_b32_e32 v32, 0, v36, vcc_lo
	v_cmp_gt_i32_e32 vcc_lo, s24, v31
	v_lshrrev_b32_e32 v31, 16, v4
	v_perm_b32 v1, v33, v1, 0x5040100
	s_delay_alu instid0(VALU_DEP_4)
	v_perm_b32 v2, v32, v2, 0x5040100
	s_wait_alu 0xfffd
	v_cndmask_b32_e32 v3, 0, v3, vcc_lo
	v_cmp_gt_i32_e32 vcc_lo, s8, v29
	s_wait_alu 0xfffd
	v_cndmask_b32_e32 v29, 0, v34, vcc_lo
	v_cmp_gt_i32_e32 vcc_lo, s24, v30
	;; [unrolled: 3-line block ×3, first 2 shown]
	s_wait_alu 0xfffd
	v_cndmask_b32_e32 v28, 0, v31, vcc_lo
	v_perm_b32 v3, v29, v3, 0x5040100
	s_delay_alu instid0(VALU_DEP_2)
	v_perm_b32 v4, v28, v4, 0x5040100
	s_branch .LBB145_32
.LBB145_37:
	s_or_b32 exec_lo, exec_lo, s5
.LBB145_38:
	s_wait_alu 0xfffe
	s_or_b32 exec_lo, exec_lo, s1
	v_lshl_add_u32 v2, v21, 2, 0xa0
	v_and_b32_e32 v3, 0x3c0, v0
	s_mov_b32 s0, exec_lo
	s_wait_loadcnt 0x0
	s_wait_storecnt 0x0
	s_barrier_signal -1
	v_lshl_add_u32 v1, v19, 8, v2
	s_barrier_wait -1
	global_inv scope:SCOPE_SE
	v_cmpx_eq_u32_e32 64, v3
	s_cbranch_execz .LBB145_40
; %bb.39:
	v_add_nc_u32_e32 v3, 0xfffffe00, v1
	v_add_nc_u32_e32 v4, 0xfffffe80, v1
	ds_store_b32 v3, v22
	ds_store_b32 v4, v23
.LBB145_40:
	s_wait_alu 0xfffe
	s_or_b32 exec_lo, exec_lo, s0
	s_delay_alu instid0(SALU_CYCLE_1)
	s_mov_b32 s0, exec_lo
	s_wait_loadcnt_dscnt 0x0
	s_barrier_signal -1
	s_barrier_wait -1
	global_inv scope:SCOPE_SE
	v_cmpx_gt_u32_e32 64, v0
	s_cbranch_execz .LBB145_42
; %bb.41:
	ds_load_2addr_b32 v[3:4], v1 offset1:32
	s_wait_dscnt 0x0
	v_dual_add_f32 v22, v22, v3 :: v_dual_add_f32 v23, v23, v4
.LBB145_42:
	s_wait_alu 0xfffe
	s_or_b32 exec_lo, exec_lo, s0
	v_and_b32_e32 v3, 0x3e0, v0
	s_mov_b32 s0, exec_lo
	s_wait_loadcnt 0x0
	s_barrier_signal -1
	s_barrier_wait -1
	global_inv scope:SCOPE_SE
	v_cmpx_eq_u32_e32 32, v3
; %bb.43:
	ds_store_2addr_b32 v2, v22, v23 offset1:32
; %bb.44:
	s_wait_alu 0xfffe
	s_or_b32 exec_lo, exec_lo, s0
	s_wait_loadcnt_dscnt 0x0
	s_barrier_signal -1
	s_barrier_wait -1
	global_inv scope:SCOPE_SE
	s_and_saveexec_b32 s0, s2
	s_cbranch_execz .LBB145_46
; %bb.45:
	ds_load_2addr_b32 v[1:2], v1 offset1:32
	s_wait_dscnt 0x0
	v_dual_add_f32 v22, v22, v1 :: v_dual_add_f32 v23, v23, v2
.LBB145_46:
	s_wait_alu 0xfffe
	s_or_b32 exec_lo, exec_lo, s0
	s_wait_loadcnt 0x0
	s_barrier_signal -1
	s_barrier_wait -1
	global_inv scope:SCOPE_SE
	s_and_saveexec_b32 s0, s2
	s_cbranch_execz .LBB145_48
; %bb.47:
	v_bfe_u32 v1, v22, 16, 1
	v_bfe_u32 v2, v23, 16, 1
	v_or_b32_e32 v3, 0x400000, v22
	v_cmp_u_f32_e32 vcc_lo, v22, v22
	s_lshl_b32 s0, s4, 6
	v_add3_u32 v1, v1, v22, 0x7fff
	s_mul_i32 s2, s17, s16
	s_wait_alu 0xfffe
	s_ashr_i32 s1, s0, 31
	v_add3_u32 v2, v2, v23, 0x7fff
	v_or_b32_e32 v4, 0x400000, v23
	s_wait_alu 0xfffd
	v_dual_cndmask_b32 v1, v1, v3 :: v_dual_lshlrev_b32 v0, 1, v0
	v_cmp_u_f32_e32 vcc_lo, v23, v23
	s_ashr_i32 s3, s2, 31
	s_wait_alu 0xfffe
	s_lshl_b64 s[0:1], s[0:1], 1
	s_lshl_b64 s[2:3], s[2:3], 1
	s_wait_alu 0xfffe
	s_add_nc_u64 s[0:1], s[6:7], s[0:1]
	s_wait_alu 0xfffd
	v_cndmask_b32_e32 v2, v2, v4, vcc_lo
	s_wait_alu 0xfffe
	s_add_nc_u64 s[0:1], s[0:1], s[2:3]
	s_lshl_b32 s2, s12, 1
	s_mov_b32 s3, 0
	s_wait_alu 0xfffe
	s_add_nc_u64 s[0:1], s[0:1], s[2:3]
	s_clause 0x1
	global_store_d16_hi_b16 v0, v1, s[0:1]
	global_store_d16_hi_b16 v0, v2, s[0:1] offset:64
.LBB145_48:
	s_endpgm
	.section	.rodata,"a",@progbits
	.p2align	6, 0x0
	.amdhsa_kernel _ZN4vllm25paged_attention_v2_kernelI14__hip_bfloat16S1_Li64ELi8ELi128ELNS_18Fp8KVCacheDataTypeE0ELb0ELi512EEEvPfS3_PT_PKS4_PKT0_SA_ifPKiSC_iPKfiiiSE_SE_iiiii
		.amdhsa_group_segment_fixed_size 160
		.amdhsa_private_segment_fixed_size 0
		.amdhsa_kernarg_size 400
		.amdhsa_user_sgpr_count 2
		.amdhsa_user_sgpr_dispatch_ptr 0
		.amdhsa_user_sgpr_queue_ptr 0
		.amdhsa_user_sgpr_kernarg_segment_ptr 1
		.amdhsa_user_sgpr_dispatch_id 0
		.amdhsa_user_sgpr_private_segment_size 0
		.amdhsa_wavefront_size32 1
		.amdhsa_uses_dynamic_stack 0
		.amdhsa_enable_private_segment 0
		.amdhsa_system_sgpr_workgroup_id_x 1
		.amdhsa_system_sgpr_workgroup_id_y 1
		.amdhsa_system_sgpr_workgroup_id_z 1
		.amdhsa_system_sgpr_workgroup_info 0
		.amdhsa_system_vgpr_workitem_id 0
		.amdhsa_next_free_vgpr 44
		.amdhsa_next_free_sgpr 36
		.amdhsa_reserve_vcc 1
		.amdhsa_float_round_mode_32 0
		.amdhsa_float_round_mode_16_64 0
		.amdhsa_float_denorm_mode_32 3
		.amdhsa_float_denorm_mode_16_64 3
		.amdhsa_fp16_overflow 0
		.amdhsa_workgroup_processor_mode 1
		.amdhsa_memory_ordered 1
		.amdhsa_forward_progress 1
		.amdhsa_inst_pref_size 44
		.amdhsa_round_robin_scheduling 0
		.amdhsa_exception_fp_ieee_invalid_op 0
		.amdhsa_exception_fp_denorm_src 0
		.amdhsa_exception_fp_ieee_div_zero 0
		.amdhsa_exception_fp_ieee_overflow 0
		.amdhsa_exception_fp_ieee_underflow 0
		.amdhsa_exception_fp_ieee_inexact 0
		.amdhsa_exception_int_div_zero 0
	.end_amdhsa_kernel
	.section	.text._ZN4vllm25paged_attention_v2_kernelI14__hip_bfloat16S1_Li64ELi8ELi128ELNS_18Fp8KVCacheDataTypeE0ELb0ELi512EEEvPfS3_PT_PKS4_PKT0_SA_ifPKiSC_iPKfiiiSE_SE_iiiii,"axG",@progbits,_ZN4vllm25paged_attention_v2_kernelI14__hip_bfloat16S1_Li64ELi8ELi128ELNS_18Fp8KVCacheDataTypeE0ELb0ELi512EEEvPfS3_PT_PKS4_PKT0_SA_ifPKiSC_iPKfiiiSE_SE_iiiii,comdat
.Lfunc_end145:
	.size	_ZN4vllm25paged_attention_v2_kernelI14__hip_bfloat16S1_Li64ELi8ELi128ELNS_18Fp8KVCacheDataTypeE0ELb0ELi512EEEvPfS3_PT_PKS4_PKT0_SA_ifPKiSC_iPKfiiiSE_SE_iiiii, .Lfunc_end145-_ZN4vllm25paged_attention_v2_kernelI14__hip_bfloat16S1_Li64ELi8ELi128ELNS_18Fp8KVCacheDataTypeE0ELb0ELi512EEEvPfS3_PT_PKS4_PKT0_SA_ifPKiSC_iPKfiiiSE_SE_iiiii
                                        ; -- End function
	.set _ZN4vllm25paged_attention_v2_kernelI14__hip_bfloat16S1_Li64ELi8ELi128ELNS_18Fp8KVCacheDataTypeE0ELb0ELi512EEEvPfS3_PT_PKS4_PKT0_SA_ifPKiSC_iPKfiiiSE_SE_iiiii.num_vgpr, 44
	.set _ZN4vllm25paged_attention_v2_kernelI14__hip_bfloat16S1_Li64ELi8ELi128ELNS_18Fp8KVCacheDataTypeE0ELb0ELi512EEEvPfS3_PT_PKS4_PKT0_SA_ifPKiSC_iPKfiiiSE_SE_iiiii.num_agpr, 0
	.set _ZN4vllm25paged_attention_v2_kernelI14__hip_bfloat16S1_Li64ELi8ELi128ELNS_18Fp8KVCacheDataTypeE0ELb0ELi512EEEvPfS3_PT_PKS4_PKT0_SA_ifPKiSC_iPKfiiiSE_SE_iiiii.numbered_sgpr, 36
	.set _ZN4vllm25paged_attention_v2_kernelI14__hip_bfloat16S1_Li64ELi8ELi128ELNS_18Fp8KVCacheDataTypeE0ELb0ELi512EEEvPfS3_PT_PKS4_PKT0_SA_ifPKiSC_iPKfiiiSE_SE_iiiii.num_named_barrier, 0
	.set _ZN4vllm25paged_attention_v2_kernelI14__hip_bfloat16S1_Li64ELi8ELi128ELNS_18Fp8KVCacheDataTypeE0ELb0ELi512EEEvPfS3_PT_PKS4_PKT0_SA_ifPKiSC_iPKfiiiSE_SE_iiiii.private_seg_size, 0
	.set _ZN4vllm25paged_attention_v2_kernelI14__hip_bfloat16S1_Li64ELi8ELi128ELNS_18Fp8KVCacheDataTypeE0ELb0ELi512EEEvPfS3_PT_PKS4_PKT0_SA_ifPKiSC_iPKfiiiSE_SE_iiiii.uses_vcc, 1
	.set _ZN4vllm25paged_attention_v2_kernelI14__hip_bfloat16S1_Li64ELi8ELi128ELNS_18Fp8KVCacheDataTypeE0ELb0ELi512EEEvPfS3_PT_PKS4_PKT0_SA_ifPKiSC_iPKfiiiSE_SE_iiiii.uses_flat_scratch, 0
	.set _ZN4vllm25paged_attention_v2_kernelI14__hip_bfloat16S1_Li64ELi8ELi128ELNS_18Fp8KVCacheDataTypeE0ELb0ELi512EEEvPfS3_PT_PKS4_PKT0_SA_ifPKiSC_iPKfiiiSE_SE_iiiii.has_dyn_sized_stack, 0
	.set _ZN4vllm25paged_attention_v2_kernelI14__hip_bfloat16S1_Li64ELi8ELi128ELNS_18Fp8KVCacheDataTypeE0ELb0ELi512EEEvPfS3_PT_PKS4_PKT0_SA_ifPKiSC_iPKfiiiSE_SE_iiiii.has_recursion, 0
	.set _ZN4vllm25paged_attention_v2_kernelI14__hip_bfloat16S1_Li64ELi8ELi128ELNS_18Fp8KVCacheDataTypeE0ELb0ELi512EEEvPfS3_PT_PKS4_PKT0_SA_ifPKiSC_iPKfiiiSE_SE_iiiii.has_indirect_call, 0
	.section	.AMDGPU.csdata,"",@progbits
; Kernel info:
; codeLenInByte = 5620
; TotalNumSgprs: 38
; NumVgprs: 44
; ScratchSize: 0
; MemoryBound: 0
; FloatMode: 240
; IeeeMode: 1
; LDSByteSize: 160 bytes/workgroup (compile time only)
; SGPRBlocks: 0
; VGPRBlocks: 5
; NumSGPRsForWavesPerEU: 38
; NumVGPRsForWavesPerEU: 44
; Occupancy: 16
; WaveLimiterHint : 1
; COMPUTE_PGM_RSRC2:SCRATCH_EN: 0
; COMPUTE_PGM_RSRC2:USER_SGPR: 2
; COMPUTE_PGM_RSRC2:TRAP_HANDLER: 0
; COMPUTE_PGM_RSRC2:TGID_X_EN: 1
; COMPUTE_PGM_RSRC2:TGID_Y_EN: 1
; COMPUTE_PGM_RSRC2:TGID_Z_EN: 1
; COMPUTE_PGM_RSRC2:TIDIG_COMP_CNT: 0
	.section	.text._ZN4vllm25paged_attention_v2_kernelI14__hip_bfloat16S1_Li80ELi8ELi128ELNS_18Fp8KVCacheDataTypeE0ELb0ELi512EEEvPfS3_PT_PKS4_PKT0_SA_ifPKiSC_iPKfiiiSE_SE_iiiii,"axG",@progbits,_ZN4vllm25paged_attention_v2_kernelI14__hip_bfloat16S1_Li80ELi8ELi128ELNS_18Fp8KVCacheDataTypeE0ELb0ELi512EEEvPfS3_PT_PKS4_PKT0_SA_ifPKiSC_iPKfiiiSE_SE_iiiii,comdat
	.protected	_ZN4vllm25paged_attention_v2_kernelI14__hip_bfloat16S1_Li80ELi8ELi128ELNS_18Fp8KVCacheDataTypeE0ELb0ELi512EEEvPfS3_PT_PKS4_PKT0_SA_ifPKiSC_iPKfiiiSE_SE_iiiii ; -- Begin function _ZN4vllm25paged_attention_v2_kernelI14__hip_bfloat16S1_Li80ELi8ELi128ELNS_18Fp8KVCacheDataTypeE0ELb0ELi512EEEvPfS3_PT_PKS4_PKT0_SA_ifPKiSC_iPKfiiiSE_SE_iiiii
	.globl	_ZN4vllm25paged_attention_v2_kernelI14__hip_bfloat16S1_Li80ELi8ELi128ELNS_18Fp8KVCacheDataTypeE0ELb0ELi512EEEvPfS3_PT_PKS4_PKT0_SA_ifPKiSC_iPKfiiiSE_SE_iiiii
	.p2align	8
	.type	_ZN4vllm25paged_attention_v2_kernelI14__hip_bfloat16S1_Li80ELi8ELi128ELNS_18Fp8KVCacheDataTypeE0ELb0ELi512EEEvPfS3_PT_PKS4_PKT0_SA_ifPKiSC_iPKfiiiSE_SE_iiiii,@function
_ZN4vllm25paged_attention_v2_kernelI14__hip_bfloat16S1_Li80ELi8ELi128ELNS_18Fp8KVCacheDataTypeE0ELb0ELi512EEEvPfS3_PT_PKS4_PKT0_SA_ifPKiSC_iPKfiiiSE_SE_iiiii: ; @_ZN4vllm25paged_attention_v2_kernelI14__hip_bfloat16S1_Li80ELi8ELi128ELNS_18Fp8KVCacheDataTypeE0ELb0ELi512EEEvPfS3_PT_PKS4_PKT0_SA_ifPKiSC_iPKfiiiSE_SE_iiiii
; %bb.0:
	s_load_b64 s[2:3], s[0:1], 0x40
	s_and_b32 s14, ttmp7, 0xffff
	s_lshr_b32 s24, ttmp7, 16
	s_lshl_b32 s4, s14, 2
	s_lshl_b32 s26, s24, 9
	s_wait_kmcnt 0x0
	s_load_b32 s25, s[2:3], s4 offset:0x0
	s_wait_kmcnt 0x0
	s_cmp_ge_i32 s26, s25
	s_cbranch_scc1 .LBB146_59
; %bb.1:
	s_clause 0x1
	s_load_b32 s15, s[0:1], 0x90
	s_load_b64 s[6:7], s[0:1], 0x30
	s_wait_kmcnt 0x0
	s_abs_i32 s5, s15
	s_abs_i32 s2, s6
	s_delay_alu instid0(SALU_CYCLE_1) | instskip(SKIP_1) | instid1(SALU_CYCLE_2)
	s_cvt_f32_u32 s3, s2
	s_sub_co_i32 s4, 0, s2
	v_rcp_iflag_f32_e32 v1, s3
	s_delay_alu instid0(TRANS32_DEP_1) | instskip(SKIP_2) | instid1(SALU_CYCLE_2)
	v_readfirstlane_b32 s3, v1
	s_mul_f32 s3, s3, 0x4f7ffffe
	s_wait_alu 0xfffe
	s_cvt_u32_f32 s3, s3
	s_wait_alu 0xfffe
	s_delay_alu instid0(SALU_CYCLE_2) | instskip(NEXT) | instid1(SALU_CYCLE_1)
	s_mul_i32 s4, s4, s3
	s_mul_hi_u32 s4, s3, s4
	s_delay_alu instid0(SALU_CYCLE_1)
	s_add_co_i32 s3, s3, s4
	s_xor_b32 s4, s15, s6
	s_wait_alu 0xfffe
	s_mul_hi_u32 s3, s5, s3
	s_ashr_i32 s4, s4, 31
	s_wait_alu 0xfffe
	s_mul_i32 s6, s3, s2
	s_delay_alu instid0(SALU_CYCLE_1)
	s_sub_co_i32 s5, s5, s6
	s_add_co_i32 s6, s3, 1
	s_sub_co_i32 s8, s5, s2
	s_cmp_ge_u32 s5, s2
	s_cselect_b32 s3, s6, s3
	s_cselect_b32 s5, s8, s5
	s_wait_alu 0xfffe
	s_add_co_i32 s6, s3, 1
	s_cmp_ge_u32 s5, s2
	s_load_b64 s[8:9], s[0:1], 0x50
	s_cselect_b32 s2, s6, s3
	s_mov_b32 s3, 0
	s_wait_alu 0xfffe
	s_xor_b32 s2, s2, s4
	s_mov_b32 s6, s3
	s_wait_alu 0xfffe
	s_sub_co_i32 s12, s2, s4
	s_delay_alu instid0(SALU_CYCLE_1) | instskip(NEXT) | instid1(SALU_CYCLE_1)
	s_abs_i32 s11, s12
	s_cvt_f32_u32 s2, s11
	s_wait_alu 0xfffe
	s_delay_alu instid0(SALU_CYCLE_2) | instskip(NEXT) | instid1(TRANS32_DEP_1)
	v_rcp_iflag_f32_e32 v1, s2
	v_readfirstlane_b32 s2, v1
	s_mul_f32 s2, s2, 0x4f7ffffe
	s_wait_alu 0xfffe
	s_delay_alu instid0(SALU_CYCLE_2) | instskip(SKIP_2) | instid1(SALU_CYCLE_1)
	s_cvt_u32_f32 s4, s2
	s_sub_co_i32 s2, 0, s11
	s_wait_alu 0xfffe
	s_mul_i32 s2, s2, s4
	s_wait_alu 0xfffe
	s_mul_hi_u32 s5, s4, s2
	s_abs_i32 s2, ttmp9
	s_add_co_i32 s4, s4, s5
	s_mov_b32 s5, s3
	s_wait_kmcnt 0x0
	s_cmp_eq_u64 s[8:9], 0
	s_cbranch_scc1 .LBB146_3
; %bb.2:
	s_mov_b32 s16, ttmp9
	s_ashr_i32 s17, ttmp9, 31
	s_delay_alu instid0(SALU_CYCLE_1) | instskip(NEXT) | instid1(SALU_CYCLE_1)
	s_lshl_b64 s[16:17], s[16:17], 2
	s_add_nc_u64 s[8:9], s[8:9], s[16:17]
	s_load_b32 s6, s[8:9], 0x0
.LBB146_3:
	s_load_b96 s[8:10], s[0:1], 0x58
	v_and_b32_e32 v1, 3, v0
	v_lshlrev_b32_e32 v2, 2, v0
	s_mul_u64 s[4:5], s[2:3], s[4:5]
	s_ashr_i32 s3, ttmp9, 31
	s_ashr_i32 s4, s12, 31
	s_mul_i32 s12, ttmp9, 0x50
	s_mov_b32 s16, exec_lo
	v_cmpx_gt_u32_e32 40, v0
	s_cbranch_execz .LBB146_5
; %bb.4:
	s_load_b64 s[18:19], s[0:1], 0x18
	s_wait_kmcnt 0x0
	s_mul_i32 s20, s8, s14
	s_ashr_i32 s13, s12, 31
	s_ashr_i32 s21, s20, 31
	v_and_b32_e32 v4, 0x3fc, v0
	s_lshl_b64 s[20:21], s[20:21], 1
	s_delay_alu instid0(VALU_DEP_1) | instskip(SKIP_2) | instid1(SALU_CYCLE_1)
	v_mad_u32_u24 v4, v1, 40, v4
	s_add_nc_u64 s[18:19], s[18:19], s[20:21]
	s_lshl_b64 s[20:21], s[12:13], 1
	s_add_nc_u64 s[18:19], s[18:19], s[20:21]
	global_load_b32 v3, v2, s[18:19]
	s_wait_loadcnt 0x0
	ds_store_b32 v4, v3
.LBB146_5:
	s_or_b32 exec_lo, exec_lo, s16
	s_wait_kmcnt 0x0
	s_add_co_i32 s8, s25, 7
	s_wait_alu 0xfffe
	s_xor_b32 s3, s3, s4
	s_ashr_i32 s13, s8, 31
	s_lshl_b32 s28, s24, 6
	s_lshr_b32 s4, s13, 29
	s_mul_i32 s13, s5, s11
	s_add_co_i32 s8, s8, s4
	s_add_co_i32 s4, s28, 64
	s_ashr_i32 s27, s8, 3
	s_load_b32 s8, s[0:1], 0x48
	s_sub_co_i32 s2, s2, s13
	s_min_i32 s13, s4, s27
	s_add_co_i32 s4, s5, 1
	s_wait_alu 0xfffe
	s_sub_co_i32 s16, s2, s11
	s_cmp_ge_u32 s2, s11
	v_lshrrev_b32_e32 v19, 5, v0
	s_cselect_b32 s4, s4, s5
	s_cselect_b32 s2, s16, s2
	s_add_co_i32 s5, s4, 1
	s_wait_alu 0xfffe
	s_cmp_ge_u32 s2, s11
	v_or_b32_e32 v20, s28, v19
	s_cselect_b32 s2, s5, s4
	v_mbcnt_lo_u32_b32 v4, -1, 0
	s_wait_alu 0xfffe
	s_xor_b32 s2, s2, s3
	s_mov_b32 s4, exec_lo
	s_wait_alu 0xfffe
	s_sub_co_i32 s3, s2, s3
	v_cmp_gt_i32_e64 s2, s13, v20
	s_wait_dscnt 0x0
	s_barrier_signal -1
	s_wait_kmcnt 0x0
	s_mul_i32 s16, s8, s14
	s_barrier_wait -1
	s_ashr_i32 s17, s16, 31
	global_inv scope:SCOPE_SE
                                        ; implicit-def: $vgpr5
                                        ; implicit-def: $vgpr6
	v_cmpx_le_i32_e64 s13, v20
	s_xor_b32 s4, exec_lo, s4
; %bb.6:
	v_dual_mov_b32 v5, 0 :: v_dual_mov_b32 v6, 32
	v_mbcnt_lo_u32_b32 v4, -1, 0
                                        ; implicit-def: $vgpr2
                                        ; implicit-def: $vgpr1
; %bb.7:
	s_or_saveexec_b32 s11, s4
	s_clause 0x1
	s_load_b64 s[18:19], s[0:1], 0x38
	s_load_b32 s8, s[0:1], 0x98
	v_dual_mov_b32 v28, 0xff7fffff :: v_dual_lshlrev_b32 v3, 2, v20
	s_mul_i32 s20, s3, s10
	s_xor_b32 exec_lo, exec_lo, s11
	s_cbranch_execz .LBB146_13
; %bb.8:
	s_load_b64 s[4:5], s[0:1], 0x20
	v_bfe_u32 v28, v0, 2, 3
	s_ashr_i32 s21, s20, 31
	v_mul_u32_u24_e32 v6, 40, v1
	s_lshl_b64 s[22:23], s[20:21], 1
	v_dual_mov_b32 v5, 0 :: v_dual_and_b32 v2, 12, v2
	v_lshlrev_b32_e32 v7, 4, v28
	ds_load_2addr_b64 v[11:14], v6 offset1:1
	ds_load_2addr_b64 v[23:26], v6 offset0:2 offset1:3
	ds_load_b64 v[30:31], v6 offset:32
	v_xor_b32_e32 v32, 1, v4
	v_lshlrev_b32_e32 v34, 2, v28
	s_cmp_neq_f32 s6, 0
	s_mov_b32 s21, s9
	s_mov_b32 s10, 0
	v_mov_b32_e32 v36, v20
	v_lshl_or_b32 v35, v19, 5, v34
	s_wait_kmcnt 0x0
	s_add_nc_u64 s[4:5], s[4:5], s[22:23]
	s_delay_alu instid0(SALU_CYCLE_1)
	v_add_co_u32 v6, s3, s4, v7
	s_wait_alu 0xf1ff
	v_add_co_ci_u32_e64 v16, null, s5, 0, s3
	s_cselect_b32 s3, -1, 0
	v_add_co_u32 v15, vcc_lo, v6, v2
	v_xor_b32_e32 v2, 2, v4
	v_add_co_ci_u32_e64 v16, null, 0, v16, vcc_lo
	s_lshl_b64 s[4:5], s[16:17], 2
	s_wait_dscnt 0x2
	v_dual_mov_b32 v6, 32 :: v_dual_lshlrev_b32 v7, 16, v11
	v_cmp_gt_i32_e32 vcc_lo, 32, v2
	s_wait_alu 0xfffe
	s_add_nc_u64 s[4:5], s[18:19], s[4:5]
	v_lshlrev_b32_e32 v9, 16, v12
	v_and_b32_e32 v10, 0xffff0000, v12
	v_and_b32_e32 v12, 0xffff0000, v13
	s_wait_alu 0xfffd
	v_cndmask_b32_e32 v2, v4, v2, vcc_lo
	v_cmp_gt_i32_e32 vcc_lo, 32, v32
	v_and_b32_e32 v8, 0xffff0000, v11
	v_lshlrev_b32_e32 v11, 16, v13
	v_lshlrev_b32_e32 v13, 16, v14
	s_wait_alu 0xfffd
	v_dual_cndmask_b32 v33, v4, v32 :: v_dual_and_b32 v14, 0xffff0000, v14
	v_lshlrev_b32_e32 v32, 2, v2
	v_lshlrev_b32_e32 v2, 3, v19
	v_cmp_eq_u32_e32 vcc_lo, 0, v1
	s_wait_alu 0xfffe
	v_add_co_u32 v1, s4, s4, v3
	s_wait_dscnt 0x1
	v_lshlrev_b32_e32 v17, 16, v23
	v_and_b32_e32 v18, 0xffff0000, v23
	v_lshlrev_b32_e32 v21, 16, v24
	v_and_b32_e32 v22, 0xffff0000, v24
	v_lshlrev_b32_e32 v23, 16, v25
	v_and_b32_e32 v24, 0xffff0000, v25
	v_lshlrev_b32_e32 v25, 16, v26
	v_and_b32_e32 v26, 0xffff0000, v26
	s_wait_dscnt 0x0
	v_lshlrev_b32_e32 v27, 16, v30
	v_and_b32_e32 v29, 0xffff0000, v30
	v_lshlrev_b32_e32 v30, 16, v31
	v_and_b32_e32 v31, 0xffff0000, v31
	v_lshlrev_b32_e32 v33, 2, v33
	v_add3_u32 v34, s26, v2, v28
	v_add_nc_u32_e32 v35, 0xc0, v35
	s_wait_alu 0xf1ff
	v_add_co_ci_u32_e64 v2, null, s5, 0, s4
	v_mov_b32_e32 v28, 0xff7fffff
	s_sub_co_i32 s22, 1, s25
	s_branch .LBB146_10
.LBB146_9:                              ;   in Loop: Header=BB146_10 Depth=1
	s_wait_alu 0xfffe
	s_or_b32 exec_lo, exec_lo, s5
	v_add_nc_u32_e32 v36, 4, v36
	v_add_co_u32 v1, s5, v1, 16
	v_add_nc_u32_e32 v34, 32, v34
	v_add_nc_u32_e32 v35, 0x80, v35
	s_delay_alu instid0(VALU_DEP_4) | instskip(SKIP_3) | instid1(SALU_CYCLE_1)
	v_cmp_le_i32_e64 s4, s13, v36
	s_wait_alu 0xf1ff
	v_add_co_ci_u32_e64 v2, null, 0, v2, s5
	s_or_b32 s10, s4, s10
	s_and_not1_b32 exec_lo, exec_lo, s10
	s_cbranch_execz .LBB146_12
.LBB146_10:                             ; =>This Inner Loop Header: Depth=1
	global_load_b32 v37, v[1:2], off
	s_wait_loadcnt_dscnt 0x0
	v_mad_co_i64_i32 v[37:38], null, v37, s21, 0
	s_delay_alu instid0(VALU_DEP_1) | instskip(NEXT) | instid1(VALU_DEP_1)
	v_lshlrev_b64_e32 v[37:38], 1, v[37:38]
	v_add_co_u32 v37, s4, v15, v37
	s_wait_alu 0xf1ff
	s_delay_alu instid0(VALU_DEP_2)
	v_add_co_ci_u32_e64 v38, null, v16, v38, s4
	s_clause 0x9
	global_load_b32 v39, v[37:38], off offset:128
	global_load_b32 v40, v[37:38], off
	global_load_b32 v41, v[37:38], off offset:256
	global_load_b32 v42, v[37:38], off offset:384
	;; [unrolled: 1-line block ×8, first 2 shown]
	s_wait_loadcnt 0x8
	v_lshlrev_b32_e32 v48, 16, v40
	s_wait_loadcnt 0x7
	v_lshlrev_b32_e32 v49, 16, v41
	v_and_b32_e32 v41, 0xffff0000, v41
	v_and_b32_e32 v40, 0xffff0000, v40
	v_lshlrev_b32_e32 v38, 16, v39
	v_and_b32_e32 v39, 0xffff0000, v39
	s_delay_alu instid0(VALU_DEP_1) | instskip(NEXT) | instid1(VALU_DEP_1)
	v_mul_f32_e32 v39, v10, v39
	v_dual_fmac_f32 v39, v8, v40 :: v_dual_mul_f32 v38, v9, v38
	s_wait_loadcnt 0x6
	v_lshlrev_b32_e32 v40, 16, v42
	v_and_b32_e32 v42, 0xffff0000, v42
	s_delay_alu instid0(VALU_DEP_3) | instskip(NEXT) | instid1(VALU_DEP_1)
	v_fmac_f32_e32 v38, v7, v48
	v_fmac_f32_e32 v38, v11, v49
	s_delay_alu instid0(VALU_DEP_1)
	v_dual_fmac_f32 v38, v13, v40 :: v_dual_fmac_f32 v39, v12, v41
	s_wait_loadcnt 0x5
	v_lshlrev_b32_e32 v41, 16, v43
	v_and_b32_e32 v43, 0xffff0000, v43
	s_wait_loadcnt 0x4
	v_dual_fmac_f32 v39, v14, v42 :: v_dual_lshlrev_b32 v40, 16, v44
	s_delay_alu instid0(VALU_DEP_3) | instskip(SKIP_3) | instid1(VALU_DEP_3)
	v_fmac_f32_e32 v38, v17, v41
	v_and_b32_e32 v42, 0xffff0000, v44
	s_wait_loadcnt 0x3
	v_lshlrev_b32_e32 v41, 16, v45
	v_dual_fmac_f32 v39, v18, v43 :: v_dual_fmac_f32 v38, v21, v40
	s_wait_loadcnt 0x2
	v_lshlrev_b32_e32 v40, 16, v46
	s_delay_alu instid0(VALU_DEP_2) | instskip(NEXT) | instid1(VALU_DEP_1)
	v_dual_fmac_f32 v39, v22, v42 :: v_dual_fmac_f32 v38, v23, v41
	v_dual_fmac_f32 v38, v25, v40 :: v_dual_and_b32 v43, 0xffff0000, v45
	s_wait_loadcnt 0x0
	v_lshlrev_b32_e32 v40, 16, v37
	v_lshlrev_b32_e32 v41, 16, v47
	s_delay_alu instid0(VALU_DEP_3) | instskip(SKIP_2) | instid1(VALU_DEP_4)
	v_fmac_f32_e32 v39, v24, v43
	v_and_b32_e32 v43, 0xffff0000, v47
	v_and_b32_e32 v37, 0xffff0000, v37
	v_fmac_f32_e32 v38, v27, v41
	s_delay_alu instid0(VALU_DEP_1) | instskip(SKIP_1) | instid1(VALU_DEP_1)
	v_fmac_f32_e32 v38, v30, v40
	v_and_b32_e32 v42, 0xffff0000, v46
	v_fmac_f32_e32 v39, v26, v42
	s_delay_alu instid0(VALU_DEP_1) | instskip(NEXT) | instid1(VALU_DEP_1)
	v_fmac_f32_e32 v39, v29, v43
	v_fmac_f32_e32 v39, v31, v37
	s_delay_alu instid0(VALU_DEP_1)
	v_add_f32_e32 v37, v38, v39
	ds_bpermute_b32 v38, v32, v37
	s_wait_dscnt 0x0
	v_add_f32_e32 v37, v37, v38
	ds_bpermute_b32 v38, v33, v37
	s_and_saveexec_b32 s5, vcc_lo
	s_cbranch_execz .LBB146_9
; %bb.11:                               ;   in Loop: Header=BB146_10 Depth=1
	s_wait_dscnt 0x0
	v_add_f32_e32 v37, v37, v38
	v_add_nc_u32_e32 v39, s22, v34
	v_cmp_gt_i32_e64 s4, s25, v34
	s_delay_alu instid0(VALU_DEP_2) | instskip(NEXT) | instid1(VALU_DEP_1)
	v_cvt_f32_i32_e32 v39, v39
	v_mul_f32_e32 v39, s6, v39
	s_delay_alu instid0(VALU_DEP_1) | instskip(NEXT) | instid1(VALU_DEP_1)
	v_cndmask_b32_e64 v38, 0, v39, s3
	v_dual_max_num_f32 v39, v28, v28 :: v_dual_fmac_f32 v38, s7, v37
	s_delay_alu instid0(VALU_DEP_1) | instskip(SKIP_2) | instid1(VALU_DEP_2)
	v_max_num_f32_e32 v37, v39, v38
	s_wait_alu 0xf1ff
	v_cndmask_b32_e64 v38, 0, v38, s4
	v_cndmask_b32_e64 v28, v28, v37, s4
	ds_store_b32 v35, v38
	s_branch .LBB146_9
.LBB146_12:
	s_or_b32 exec_lo, exec_lo, s10
.LBB146_13:
	s_delay_alu instid0(SALU_CYCLE_1)
	s_or_b32 exec_lo, exec_lo, s11
	v_xor_b32_e32 v1, 16, v4
	v_xor_b32_e32 v7, 8, v4
	;; [unrolled: 1-line block ×3, first 2 shown]
	s_clause 0x2
	s_load_b128 s[4:7], s[0:1], 0x0
	s_load_b64 s[10:11], s[0:1], 0x10
	s_load_b64 s[22:23], s[0:1], 0x28
	v_and_b32_e32 v21, 31, v0
	v_cmp_lt_i32_e32 vcc_lo, v1, v6
	s_wait_alu 0xfffd
	v_cndmask_b32_e32 v1, v4, v1, vcc_lo
	v_cmp_lt_i32_e32 vcc_lo, v7, v6
	s_wait_alu 0xfffd
	s_delay_alu instid0(VALU_DEP_2)
	v_dual_cndmask_b32 v7, v4, v7 :: v_dual_lshlrev_b32 v2, 2, v1
	v_cmp_lt_i32_e32 vcc_lo, v9, v6
	ds_bpermute_b32 v1, v2, v28
	v_dual_max_num_f32 v8, v28, v28 :: v_dual_lshlrev_b32 v7, 2, v7
	s_wait_alu 0xfffd
	v_cndmask_b32_e32 v9, v4, v9, vcc_lo
	v_cmp_eq_u32_e32 vcc_lo, 0, v21
	s_delay_alu instid0(VALU_DEP_2) | instskip(SKIP_2) | instid1(VALU_DEP_1)
	v_lshlrev_b32_e32 v10, 2, v9
	s_wait_dscnt 0x0
	v_max_num_f32_e32 v1, v1, v1
	v_max_num_f32_e32 v1, v8, v1
	ds_bpermute_b32 v8, v7, v1
	s_wait_dscnt 0x0
	v_max_num_f32_e32 v8, v8, v8
	s_delay_alu instid0(VALU_DEP_1)
	v_dual_max_num_f32 v1, v1, v8 :: v_dual_lshlrev_b32 v8, 2, v19
	ds_bpermute_b32 v9, v10, v1
	s_and_saveexec_b32 s0, vcc_lo
	s_cbranch_execz .LBB146_15
; %bb.14:
	s_wait_dscnt 0x0
	v_max_num_f32_e32 v9, v9, v9
	v_max_num_f32_e32 v1, v1, v1
	s_delay_alu instid0(VALU_DEP_1)
	v_max_num_f32_e32 v1, v1, v9
	ds_store_b32 v8, v1 offset:160
.LBB146_15:
	s_or_b32 exec_lo, exec_lo, s0
	v_cmp_gt_u32_e64 s0, 4, v21
	v_mov_b32_e32 v1, 0xff7fffff
	s_wait_dscnt 0x0
	v_lshlrev_b32_e32 v9, 2, v21
	s_wait_loadcnt 0x0
	s_barrier_signal -1
	s_barrier_wait -1
	global_inv scope:SCOPE_SE
	s_and_saveexec_b32 s1, s0
; %bb.16:
	ds_load_b32 v1, v9 offset:160
; %bb.17:
	s_or_b32 exec_lo, exec_lo, s1
	v_xor_b32_e32 v11, 2, v4
	v_xor_b32_e32 v13, 1, v4
	v_lshl_add_u32 v22, v0, 2, 0xc0
	v_lshlrev_b32_e32 v5, 2, v5
	s_delay_alu instid0(VALU_DEP_4) | instskip(NEXT) | instid1(VALU_DEP_1)
	v_cmp_lt_i32_e64 s1, v11, v6
	v_cndmask_b32_e64 v11, v4, v11, s1
	v_cmp_lt_i32_e64 s1, v13, v6
	s_delay_alu instid0(VALU_DEP_2) | instskip(SKIP_1) | instid1(VALU_DEP_2)
	v_lshlrev_b32_e32 v11, 2, v11
	s_wait_alu 0xf1ff
	v_cndmask_b32_e64 v6, v4, v13, s1
	s_sub_co_i32 s1, s13, s28
	s_wait_alu 0xfffe
	s_lshl_b32 s1, s1, 3
	s_wait_dscnt 0x0
	ds_bpermute_b32 v12, v11, v1
	v_dual_max_num_f32 v1, v1, v1 :: v_dual_lshlrev_b32 v6, 2, v6
	s_wait_alu 0xfffe
	s_add_co_i32 s1, s1, s26
	s_wait_alu 0xfffe
	s_min_i32 s1, s1, s25
	s_wait_alu 0xfffe
	s_sub_co_i32 s21, s1, s26
	s_wait_alu 0xfffe
	v_cmp_gt_i32_e64 s1, s21, v0
	s_wait_dscnt 0x0
	v_max_num_f32_e32 v12, v12, v12
	s_delay_alu instid0(VALU_DEP_1) | instskip(SKIP_3) | instid1(VALU_DEP_1)
	v_max_num_f32_e32 v1, v1, v12
	ds_bpermute_b32 v12, v6, v1
	s_wait_dscnt 0x0
	v_max_num_f32_e32 v12, v12, v12
	v_max_num_f32_e32 v1, v1, v12
	ds_bpermute_b32 v1, v5, v1
	v_mov_b32_e32 v5, 0
	s_and_saveexec_b32 s28, s1
	s_cbranch_execz .LBB146_21
; %bb.18:
	v_lshl_add_u32 v12, v0, 2, 0xc0
	v_mov_b32_e32 v5, 0
	v_mov_b32_e32 v13, v0
	s_mov_b32 s29, 0
.LBB146_19:                             ; =>This Inner Loop Header: Depth=1
	ds_load_b32 v14, v12
	v_add_nc_u32_e32 v13, 0x80, v13
	s_delay_alu instid0(VALU_DEP_1) | instskip(SKIP_4) | instid1(VALU_DEP_1)
	v_cmp_le_i32_e64 s3, s21, v13
	s_wait_alu 0xfffe
	s_or_b32 s29, s3, s29
	s_wait_dscnt 0x0
	v_sub_f32_e32 v14, v14, v1
	v_mul_f32_e32 v14, 0x3fb8aa3b, v14
	s_delay_alu instid0(VALU_DEP_1)
	v_exp_f32_e32 v14, v14
	ds_store_b32 v12, v14
	v_dual_add_f32 v5, v5, v14 :: v_dual_add_nc_u32 v12, 0x200, v12
	s_wait_alu 0xfffe
	s_and_not1_b32 exec_lo, exec_lo, s29
	s_cbranch_execnz .LBB146_19
; %bb.20:
	s_or_b32 exec_lo, exec_lo, s29
.LBB146_21:
	s_wait_alu 0xfffe
	s_or_b32 exec_lo, exec_lo, s28
	ds_bpermute_b32 v2, v2, v5
	s_wait_dscnt 0x0
	v_add_f32_e32 v2, v5, v2
	ds_bpermute_b32 v5, v7, v2
	s_wait_dscnt 0x0
	v_add_f32_e32 v2, v2, v5
	;; [unrolled: 3-line block ×5, first 2 shown]
	s_and_saveexec_b32 s3, vcc_lo
; %bb.22:
	ds_store_b32 v8, v2 offset:176
; %bb.23:
	s_wait_alu 0xfffe
	s_or_b32 exec_lo, exec_lo, s3
	s_wait_loadcnt_dscnt 0x0
	s_barrier_signal -1
	s_barrier_wait -1
	global_inv scope:SCOPE_SE
	s_and_saveexec_b32 s3, s0
; %bb.24:
	ds_load_b32 v2, v9 offset:176
; %bb.25:
	s_wait_alu 0xfffe
	s_or_b32 exec_lo, exec_lo, s3
	s_wait_dscnt 0x0
	ds_bpermute_b32 v5, v11, v2
	v_lshlrev_b32_e32 v4, 2, v4
	s_delay_alu instid0(VALU_DEP_1)
	v_and_b32_e32 v4, 0xffffff80, v4
	s_wait_dscnt 0x0
	v_add_f32_e32 v2, v2, v5
	ds_bpermute_b32 v5, v6, v2
	s_wait_dscnt 0x0
	v_add_f32_e32 v2, v2, v5
	ds_bpermute_b32 v2, v4, v2
	s_and_saveexec_b32 s0, s1
	s_cbranch_execz .LBB146_28
; %bb.26:
	s_wait_dscnt 0x0
	v_add_f32_e32 v5, 0x358637bd, v2
	s_mov_b32 s1, 0
	s_delay_alu instid0(VALU_DEP_1) | instskip(SKIP_1) | instid1(VALU_DEP_2)
	v_div_scale_f32 v4, null, v5, v5, 1.0
	v_div_scale_f32 v8, vcc_lo, 1.0, v5, 1.0
	v_rcp_f32_e32 v6, v4
	s_delay_alu instid0(TRANS32_DEP_1) | instskip(NEXT) | instid1(VALU_DEP_1)
	v_fma_f32 v7, -v4, v6, 1.0
	v_fmac_f32_e32 v6, v7, v6
	s_delay_alu instid0(VALU_DEP_1) | instskip(NEXT) | instid1(VALU_DEP_1)
	v_mul_f32_e32 v7, v8, v6
	v_fma_f32 v9, -v4, v7, v8
	s_delay_alu instid0(VALU_DEP_1) | instskip(NEXT) | instid1(VALU_DEP_1)
	v_fmac_f32_e32 v7, v9, v6
	v_fma_f32 v4, -v4, v7, v8
	s_wait_alu 0xfffd
	s_delay_alu instid0(VALU_DEP_1) | instskip(SKIP_1) | instid1(VALU_DEP_2)
	v_div_fmas_f32 v6, v4, v6, v7
	v_mov_b32_e32 v4, v22
	v_div_fixup_f32 v5, v6, v5, 1.0
	v_mov_b32_e32 v6, v0
.LBB146_27:                             ; =>This Inner Loop Header: Depth=1
	ds_load_b32 v7, v4
	s_wait_dscnt 0x0
	v_dual_mul_f32 v7, v5, v7 :: v_dual_add_nc_u32 v6, 0x80, v6
	s_delay_alu instid0(VALU_DEP_1)
	v_cmp_le_i32_e32 vcc_lo, s21, v6
	ds_store_b32 v4, v7
	v_add_nc_u32_e32 v4, 0x200, v4
	s_wait_alu 0xfffe
	s_or_b32 s1, vcc_lo, s1
	s_wait_alu 0xfffe
	s_and_not1_b32 exec_lo, exec_lo, s1
	s_cbranch_execnz .LBB146_27
.LBB146_28:
	s_wait_alu 0xfffe
	s_or_b32 exec_lo, exec_lo, s0
	s_wait_kmcnt 0x0
	s_mul_i32 s0, s8, s14
	s_wait_loadcnt_dscnt 0x0
	s_wait_alu 0xfffe
	s_mul_i32 s14, s0, s15
	s_mov_b32 s0, exec_lo
	s_barrier_signal -1
	s_barrier_wait -1
	global_inv scope:SCOPE_SE
	v_cmpx_eq_u32_e32 0, v0
	s_cbranch_execz .LBB146_30
; %bb.29:
	s_ashr_i32 s15, s14, 31
	s_wait_alu 0xfffe
	s_mul_i32 s28, s8, ttmp9
	s_lshl_b32 s1, s24, 2
	s_lshl_b64 s[30:31], s[14:15], 2
	s_wait_alu 0xfffe
	s_ashr_i32 s29, s28, 31
	v_mov_b32_e32 v4, s1
	s_add_nc_u64 s[6:7], s[6:7], s[30:31]
	s_wait_alu 0xfffe
	s_lshl_b64 s[28:29], s[28:29], 2
	s_add_nc_u64 s[4:5], s[4:5], s[30:31]
	s_wait_alu 0xfffe
	s_add_nc_u64 s[6:7], s[6:7], s[28:29]
	s_add_nc_u64 s[4:5], s[4:5], s[28:29]
	s_clause 0x1
	global_store_b32 v4, v1, s[6:7]
	global_store_b32 v4, v2, s[4:5]
.LBB146_30:
	s_wait_alu 0xfffe
	s_or_b32 exec_lo, exec_lo, s0
	v_dual_mov_b32 v25, 0 :: v_dual_mov_b32 v24, 0
	v_or_b32_e32 v26, 64, v21
	v_mov_b32_e32 v23, 0
	s_and_saveexec_b32 s4, s2
	s_cbranch_execz .LBB146_42
; %bb.31:
	s_ashr_i32 s21, s20, 31
	v_dual_mov_b32 v24, 0 :: v_dual_lshlrev_b32 v1, 3, v21
	s_wait_alu 0xfffe
	s_lshl_b64 s[0:1], s[20:21], 1
	v_dual_mov_b32 v23, 0 :: v_dual_lshlrev_b32 v2, 3, v26
	s_wait_alu 0xfffe
	s_add_nc_u64 s[2:3], s[22:23], s[0:1]
	s_lshl_b64 s[0:1], s[16:17], 2
	v_lshl_add_u32 v27, v19, 3, s26
	s_wait_alu 0xfffe
	s_add_nc_u64 s[0:1], s[18:19], s[0:1]
	v_lshl_add_u32 v28, v19, 5, 0xc0
	s_wait_alu 0xfffe
	v_add_co_u32 v17, s0, s0, v3
	s_wait_alu 0xf1ff
	v_add_co_ci_u32_e64 v18, null, s1, 0, s0
	v_lshlrev_b32_e32 v29, 1, v1
	v_dual_mov_b32 v25, 0 :: v_dual_lshlrev_b32 v30, 1, v2
	s_mov_b32 s5, s9
	s_add_co_i32 s6, s27, -1
	s_mov_b32 s9, s25
	s_mov_b32 s7, 0
	v_cmp_gt_u32_e32 vcc_lo, 0x50, v26
	s_branch .LBB146_34
.LBB146_32:                             ;   in Loop: Header=BB146_34 Depth=1
	s_wait_alu 0xfffe
	s_or_b32 exec_lo, exec_lo, s1
	s_wait_loadcnt 0x0
	v_and_b32_e32 v34, 0xffff0000, v10
	v_lshlrev_b32_e32 v10, 16, v10
	v_lshlrev_b32_e32 v39, 16, v13
	;; [unrolled: 1-line block ×3, first 2 shown]
	v_and_b32_e32 v31, 0xffff0000, v9
	v_lshlrev_b32_e32 v9, 16, v9
	s_delay_alu instid0(VALU_DEP_3) | instskip(NEXT) | instid1(VALU_DEP_1)
	v_dual_mul_f32 v10, v35, v10 :: v_dual_lshlrev_b32 v33, 16, v16
	v_dual_mul_f32 v9, v33, v9 :: v_dual_and_b32 v32, 0xffff0000, v16
	s_delay_alu instid0(VALU_DEP_1) | instskip(NEXT) | instid1(VALU_DEP_2)
	v_mul_f32_e32 v31, v32, v31
	v_or_b32_e32 v36, 0x400000, v9
	s_delay_alu instid0(VALU_DEP_2) | instskip(SKIP_2) | instid1(VALU_DEP_3)
	v_bfe_u32 v33, v31, 16, 1
	v_or_b32_e32 v35, 0x400000, v31
	v_cmp_u_f32_e64 s0, v31, v31
	v_add3_u32 v33, v33, v31, 0x7fff
	s_wait_alu 0xf1ff
	s_delay_alu instid0(VALU_DEP_1)
	v_cndmask_b32_e64 v31, v33, v35, s0
	v_and_b32_e32 v33, 0xffff0000, v11
	v_and_b32_e32 v35, 0xffff0000, v14
	;; [unrolled: 1-line block ×3, first 2 shown]
	v_cmp_u_f32_e64 s0, v9, v9
	v_lshlrev_b32_e32 v11, 16, v11
	v_and_b32_e32 v31, 0xffff0000, v31
	s_delay_alu instid0(VALU_DEP_4) | instskip(SKIP_2) | instid1(VALU_DEP_3)
	v_dual_mul_f32 v33, v35, v33 :: v_dual_mul_f32 v32, v32, v34
	v_bfe_u32 v34, v9, 16, 1
	v_lshlrev_b32_e32 v35, 16, v14
	v_bfe_u32 v37, v32, 16, 1
	s_delay_alu instid0(VALU_DEP_3) | instskip(NEXT) | instid1(VALU_DEP_3)
	v_add3_u32 v34, v34, v9, 0x7fff
	v_mul_f32_e32 v11, v35, v11
	v_and_b32_e32 v35, 0xffff0000, v12
	s_wait_alu 0xf1ff
	s_delay_alu instid0(VALU_DEP_3)
	v_cndmask_b32_e64 v9, v34, v36, s0
	v_add3_u32 v34, v37, v32, 0x7fff
	v_or_b32_e32 v36, 0x400000, v32
	v_bfe_u32 v37, v10, 16, 1
	v_cmp_u_f32_e64 s0, v32, v32
	v_and_b32_e32 v9, 0xffff0000, v9
	v_and_b32_e32 v38, 0xffff0000, v13
	s_wait_alu 0xf1ff
	s_delay_alu instid0(VALU_DEP_3)
	v_cndmask_b32_e64 v32, v34, v36, s0
	v_add3_u32 v34, v37, v10, 0x7fff
	v_or_b32_e32 v36, 0x400000, v10
	v_bfe_u32 v37, v33, 16, 1
	v_cmp_u_f32_e64 s0, v10, v10
	v_dual_add_f32 v9, v9, v31 :: v_dual_lshlrev_b32 v12, 16, v12
	v_mul_f32_e32 v35, v38, v35
	v_or_b32_e32 v38, 0x400000, v11
	s_wait_alu 0xf1ff
	v_cndmask_b32_e64 v10, v34, v36, s0
	v_bfe_u32 v34, v11, 16, 1
	v_add3_u32 v36, v37, v33, 0x7fff
	v_mul_f32_e32 v12, v39, v12
	v_or_b32_e32 v37, 0x400000, v33
	v_cmp_u_f32_e64 s0, v33, v33
	v_add3_u32 v34, v34, v11, 0x7fff
	v_bfe_u32 v39, v35, 16, 1
	v_bfe_u32 v40, v12, 16, 1
	v_and_b32_e32 v10, 0xffff0000, v10
	s_wait_alu 0xf1ff
	v_cndmask_b32_e64 v33, v36, v37, s0
	v_cmp_u_f32_e64 s0, v11, v11
	v_or_b32_e32 v37, 0x400000, v12
	v_add3_u32 v36, v40, v12, 0x7fff
	v_and_b32_e32 v32, 0xffff0000, v32
	v_and_b32_e32 v31, 0xffff0000, v33
	s_wait_alu 0xf1ff
	v_cndmask_b32_e64 v11, v34, v38, s0
	v_cmp_u_f32_e64 s0, v12, v12
	v_add3_u32 v34, v39, v35, 0x7fff
	v_or_b32_e32 v38, 0x400000, v35
	s_delay_alu instid0(VALU_DEP_4) | instskip(SKIP_3) | instid1(VALU_DEP_3)
	v_dual_add_f32 v10, v10, v32 :: v_dual_and_b32 v11, 0xffff0000, v11
	s_wait_alu 0xf1ff
	v_cndmask_b32_e64 v12, v36, v37, s0
	v_cmp_u_f32_e64 s0, v35, v35
	v_dual_add_f32 v9, v10, v9 :: v_dual_add_f32 v10, v11, v31
	s_delay_alu instid0(VALU_DEP_3) | instskip(SKIP_1) | instid1(VALU_DEP_3)
	v_and_b32_e32 v11, 0xffff0000, v12
	s_wait_alu 0xf1ff
	v_cndmask_b32_e64 v32, v34, v38, s0
	s_delay_alu instid0(VALU_DEP_1) | instskip(NEXT) | instid1(VALU_DEP_1)
	v_dual_add_f32 v9, v10, v9 :: v_dual_and_b32 v12, 0xffff0000, v32
	v_add_f32_e32 v10, v11, v12
	s_delay_alu instid0(VALU_DEP_1) | instskip(NEXT) | instid1(VALU_DEP_1)
	v_add_f32_e32 v9, v10, v9
	v_add_f32_e32 v23, v23, v9
.LBB146_33:                             ;   in Loop: Header=BB146_34 Depth=1
	s_or_b32 exec_lo, exec_lo, s15
	v_lshlrev_b32_e32 v11, 16, v16
	v_and_b32_e32 v10, 0xffff0000, v16
	s_wait_loadcnt 0x0
	v_and_b32_e32 v12, 0xffff0000, v6
	v_and_b32_e32 v16, 0xffff0000, v15
	;; [unrolled: 1-line block ×4, first 2 shown]
	v_lshlrev_b32_e32 v15, 16, v15
	v_lshlrev_b32_e32 v7, 16, v7
	;; [unrolled: 1-line block ×3, first 2 shown]
	v_dual_mul_f32 v12, v16, v12 :: v_dual_lshlrev_b32 v5, 16, v5
	v_add_co_u32 v17, s1, v17, 16
	s_delay_alu instid0(VALU_DEP_3) | instskip(NEXT) | instid1(VALU_DEP_3)
	v_mul_f32_e32 v6, v15, v6
	v_mul_f32_e32 v5, v11, v5
	;; [unrolled: 1-line block ×3, first 2 shown]
	v_bfe_u32 v35, v12, 16, 1
	v_or_b32_e32 v36, 0x400000, v12
	v_bfe_u32 v37, v6, 16, 1
	v_bfe_u32 v33, v5, 16, 1
	;; [unrolled: 1-line block ×3, first 2 shown]
	v_or_b32_e32 v34, 0x400000, v9
	v_cmp_u_f32_e64 s0, v9, v9
	v_add3_u32 v35, v35, v12, 0x7fff
	v_add3_u32 v33, v33, v5, 0x7fff
	;; [unrolled: 1-line block ×3, first 2 shown]
	v_add_nc_u32_e32 v27, 32, v27
	v_add_nc_u32_e32 v28, 0x80, v28
	s_wait_alu 0xf1ff
	v_add_co_ci_u32_e64 v18, null, 0, v18, s1
	v_cndmask_b32_e64 v9, v31, v34, s0
	v_or_b32_e32 v34, 0x400000, v5
	v_cmp_u_f32_e64 s0, v5, v5
	s_delay_alu instid0(VALU_DEP_3) | instskip(SKIP_1) | instid1(VALU_DEP_2)
	v_and_b32_e32 v9, 0xffff0000, v9
	s_wait_alu 0xf1ff
	v_cndmask_b32_e64 v5, v33, v34, s0
	v_cmp_u_f32_e64 s0, v12, v12
	v_add3_u32 v33, v37, v6, 0x7fff
	v_or_b32_e32 v37, 0x400000, v6
	s_wait_alu 0xf1ff
	s_delay_alu instid0(VALU_DEP_3)
	v_cndmask_b32_e64 v12, v35, v36, s0
	v_cmp_u_f32_e64 s0, v6, v6
	v_and_b32_e32 v36, 0xffff0000, v13
	v_lshlrev_b32_e32 v13, 16, v13
	v_and_b32_e32 v5, 0xffff0000, v5
	v_and_b32_e32 v35, 0xffff0000, v8
	s_wait_alu 0xf1ff
	v_cndmask_b32_e64 v6, v33, v37, s0
	v_lshlrev_b32_e32 v8, 16, v8
	v_and_b32_e32 v31, 0xffff0000, v14
	v_dual_add_f32 v5, v5, v9 :: v_dual_and_b32 v12, 0xffff0000, v12
	s_delay_alu instid0(VALU_DEP_4) | instskip(SKIP_2) | instid1(VALU_DEP_3)
	v_and_b32_e32 v6, 0xffff0000, v6
	v_dual_mul_f32 v35, v36, v35 :: v_dual_lshlrev_b32 v14, 16, v14
	v_mul_f32_e32 v8, v13, v8
	v_add_f32_e32 v6, v6, v12
	s_delay_alu instid0(VALU_DEP_3) | instskip(NEXT) | instid1(VALU_DEP_2)
	v_mul_f32_e32 v7, v14, v7
	v_dual_add_f32 v5, v6, v5 :: v_dual_mul_f32 v32, v31, v32
	s_delay_alu instid0(VALU_DEP_2) | instskip(SKIP_1) | instid1(VALU_DEP_3)
	v_bfe_u32 v33, v7, 16, 1
	v_or_b32_e32 v37, 0x400000, v7
	v_bfe_u32 v34, v32, 16, 1
	v_or_b32_e32 v38, 0x400000, v32
	v_cmp_u_f32_e64 s0, v32, v32
	v_add3_u32 v33, v33, v7, 0x7fff
	s_delay_alu instid0(VALU_DEP_4) | instskip(SKIP_1) | instid1(VALU_DEP_1)
	v_add3_u32 v34, v34, v32, 0x7fff
	s_wait_alu 0xf1ff
	v_cndmask_b32_e64 v32, v34, v38, s0
	v_bfe_u32 v34, v35, 16, 1
	v_cmp_u_f32_e64 s0, v7, v7
	v_or_b32_e32 v38, 0x400000, v35
	s_delay_alu instid0(VALU_DEP_4) | instskip(NEXT) | instid1(VALU_DEP_4)
	v_and_b32_e32 v9, 0xffff0000, v32
	v_add3_u32 v34, v34, v35, 0x7fff
	s_wait_alu 0xf1ff
	v_cndmask_b32_e64 v7, v33, v37, s0
	v_cmp_u_f32_e64 s0, v35, v35
	v_or_b32_e32 v35, 0x400000, v8
	s_delay_alu instid0(VALU_DEP_3) | instskip(SKIP_1) | instid1(VALU_DEP_3)
	v_and_b32_e32 v7, 0xffff0000, v7
	s_wait_alu 0xf1ff
	v_cndmask_b32_e64 v33, v34, v38, s0
	v_bfe_u32 v34, v8, 16, 1
	v_cmp_u_f32_e64 s0, v8, v8
	v_add_f32_e32 v7, v7, v9
	v_and_b32_e32 v9, 0xffff0000, v2
	s_delay_alu instid0(VALU_DEP_4) | instskip(NEXT) | instid1(VALU_DEP_3)
	v_add3_u32 v34, v34, v8, 0x7fff
	v_dual_add_f32 v5, v7, v5 :: v_dual_lshlrev_b32 v2, 16, v2
	s_delay_alu instid0(VALU_DEP_3) | instskip(SKIP_1) | instid1(VALU_DEP_3)
	v_mul_f32_e32 v9, v16, v9
	s_wait_alu 0xf1ff
	v_cndmask_b32_e64 v8, v34, v35, s0
	s_delay_alu instid0(VALU_DEP_3) | instskip(SKIP_1) | instid1(VALU_DEP_2)
	v_dual_mul_f32 v2, v15, v2 :: v_dual_and_b32 v15, 0xffff0000, v3
	v_lshlrev_b32_e32 v3, 16, v3
	v_dual_mul_f32 v15, v31, v15 :: v_dual_and_b32 v8, 0xffff0000, v8
	s_delay_alu instid0(VALU_DEP_2) | instskip(SKIP_2) | instid1(VALU_DEP_2)
	v_mul_f32_e32 v3, v14, v3
	v_and_b32_e32 v37, 0xffff0000, v1
	v_lshlrev_b32_e32 v1, 16, v1
	v_mul_f32_e32 v10, v10, v37
	s_delay_alu instid0(VALU_DEP_2) | instskip(NEXT) | instid1(VALU_DEP_2)
	v_mul_f32_e32 v1, v11, v1
	v_bfe_u32 v6, v10, 16, 1
	v_or_b32_e32 v11, 0x400000, v10
	s_delay_alu instid0(VALU_DEP_3) | instskip(SKIP_1) | instid1(VALU_DEP_4)
	v_bfe_u32 v12, v1, 16, 1
	v_cmp_u_f32_e64 s0, v10, v10
	v_add3_u32 v6, v6, v10, 0x7fff
	s_delay_alu instid0(VALU_DEP_3) | instskip(SKIP_2) | instid1(VALU_DEP_3)
	v_add3_u32 v10, v12, v1, 0x7fff
	v_bfe_u32 v12, v9, 16, 1
	s_wait_alu 0xf1ff
	v_cndmask_b32_e64 v6, v6, v11, s0
	v_or_b32_e32 v11, 0x400000, v1
	v_cmp_u_f32_e64 s0, v1, v1
	s_delay_alu instid0(VALU_DEP_3) | instskip(SKIP_1) | instid1(VALU_DEP_2)
	v_and_b32_e32 v6, 0xffff0000, v6
	s_wait_alu 0xf1ff
	v_cndmask_b32_e64 v1, v10, v11, s0
	v_add3_u32 v10, v12, v9, 0x7fff
	v_or_b32_e32 v11, 0x400000, v9
	v_bfe_u32 v12, v2, 16, 1
	v_cmp_u_f32_e64 s0, v9, v9
	v_and_b32_e32 v1, 0xffff0000, v1
	v_and_b32_e32 v14, 0xffff0000, v4
	s_wait_alu 0xf1ff
	s_delay_alu instid0(VALU_DEP_3)
	v_cndmask_b32_e64 v9, v10, v11, s0
	v_add3_u32 v10, v12, v2, 0x7fff
	v_or_b32_e32 v11, 0x400000, v2
	v_cmp_u_f32_e64 s0, v2, v2
	v_bfe_u32 v12, v15, 16, 1
	v_and_b32_e32 v9, 0xffff0000, v9
	v_add_f32_e32 v1, v1, v6
	s_wait_alu 0xf1ff
	v_cndmask_b32_e64 v2, v10, v11, s0
	v_bfe_u32 v10, v3, 16, 1
	v_add3_u32 v11, v12, v15, 0x7fff
	v_mul_f32_e32 v12, v36, v14
	v_cmp_u_f32_e64 s0, v15, v15
	v_and_b32_e32 v2, 0xffff0000, v2
	v_add3_u32 v10, v10, v3, 0x7fff
	v_or_b32_e32 v14, 0x400000, v3
	v_bfe_u32 v16, v12, 16, 1
	s_delay_alu instid0(VALU_DEP_4) | instskip(NEXT) | instid1(VALU_DEP_1)
	v_add_f32_e32 v2, v2, v9
	v_dual_add_f32 v1, v2, v1 :: v_dual_lshlrev_b32 v4, 16, v4
	s_delay_alu instid0(VALU_DEP_1) | instskip(SKIP_2) | instid1(VALU_DEP_3)
	v_mul_f32_e32 v4, v13, v4
	v_or_b32_e32 v13, 0x400000, v15
	v_or_b32_e32 v15, 0x400000, v12
	v_bfe_u32 v31, v4, 16, 1
	s_wait_alu 0xf1ff
	s_delay_alu instid0(VALU_DEP_3) | instskip(SKIP_1) | instid1(VALU_DEP_3)
	v_cndmask_b32_e64 v11, v11, v13, s0
	v_cmp_u_f32_e64 s0, v3, v3
	v_add3_u32 v13, v31, v4, 0x7fff
	s_delay_alu instid0(VALU_DEP_3) | instskip(SKIP_1) | instid1(VALU_DEP_3)
	v_and_b32_e32 v6, 0xffff0000, v11
	s_wait_alu 0xf1ff
	v_cndmask_b32_e64 v3, v10, v14, s0
	v_or_b32_e32 v14, 0x400000, v4
	v_cmp_u_f32_e64 s0, v4, v4
	v_add3_u32 v10, v16, v12, 0x7fff
	s_delay_alu instid0(VALU_DEP_4) | instskip(SKIP_1) | instid1(VALU_DEP_3)
	v_and_b32_e32 v3, 0xffff0000, v3
	s_wait_alu 0xf1ff
	v_cndmask_b32_e64 v4, v13, v14, s0
	v_cmp_u_f32_e64 s0, v12, v12
	s_delay_alu instid0(VALU_DEP_2) | instskip(SKIP_1) | instid1(VALU_DEP_2)
	v_dual_add_f32 v2, v3, v6 :: v_dual_and_b32 v3, 0xffff0000, v4
	s_wait_alu 0xf1ff
	v_cndmask_b32_e64 v9, v10, v15, s0
	v_and_b32_e32 v10, 0xffff0000, v33
	s_delay_alu instid0(VALU_DEP_3) | instskip(NEXT) | instid1(VALU_DEP_3)
	v_add_f32_e32 v1, v2, v1
	v_and_b32_e32 v4, 0xffff0000, v9
	s_delay_alu instid0(VALU_DEP_3) | instskip(NEXT) | instid1(VALU_DEP_1)
	v_add_f32_e32 v6, v8, v10
	v_dual_add_f32 v2, v3, v4 :: v_dual_add_f32 v3, v6, v5
	s_delay_alu instid0(VALU_DEP_1) | instskip(NEXT) | instid1(VALU_DEP_1)
	v_dual_add_f32 v1, v2, v1 :: v_dual_add_nc_u32 v20, 4, v20
	v_dual_add_f32 v24, v24, v3 :: v_dual_add_f32 v25, v25, v1
	s_delay_alu instid0(VALU_DEP_2)
	v_cmp_le_i32_e64 s0, s13, v20
	s_or_b32 s7, s0, s7
	s_wait_alu 0xfffe
	s_and_not1_b32 exec_lo, exec_lo, s7
	s_cbranch_execz .LBB146_41
.LBB146_34:                             ; =>This Inner Loop Header: Depth=1
	global_load_b32 v1, v[17:18], off
	s_wait_loadcnt 0x0
	s_wait_alu 0xfffe
	v_mad_co_i64_i32 v[1:2], null, v1, s5, 0
	s_delay_alu instid0(VALU_DEP_1) | instskip(NEXT) | instid1(VALU_DEP_1)
	v_lshlrev_b64_e32 v[1:2], 1, v[1:2]
	v_add_co_u32 v31, s0, s2, v1
	s_wait_alu 0xf1ff
	s_delay_alu instid0(VALU_DEP_2) | instskip(NEXT) | instid1(VALU_DEP_2)
	v_add_co_ci_u32_e64 v32, null, s3, v2, s0
	v_add_co_u32 v5, s0, v31, v29
	s_wait_alu 0xf1ff
	s_delay_alu instid0(VALU_DEP_2)
	v_add_co_ci_u32_e64 v6, null, 0, v32, s0
	v_cmp_eq_u32_e64 s0, s6, v20
	global_load_b128 v[1:4], v[5:6], off
	ds_load_2addr_b64 v[13:16], v28 offset1:1
	ds_load_2addr_b64 v[9:12], v28 offset0:2 offset1:3
	s_and_saveexec_b32 s15, s0
	s_cbranch_execz .LBB146_36
; %bb.35:                               ;   in Loop: Header=BB146_34 Depth=1
	v_add_nc_u32_e32 v7, 1, v27
	s_wait_loadcnt 0x0
	v_lshrrev_b32_e32 v8, 16, v1
	v_or_b32_e32 v33, 2, v27
	v_lshrrev_b32_e32 v34, 16, v2
	v_or_b32_e32 v35, 4, v27
	v_cmp_gt_i32_e64 s1, s9, v7
	v_or_b32_e32 v36, 7, v27
	v_lshrrev_b32_e32 v37, 16, v4
	s_wait_alu 0xf1ff
	s_delay_alu instid0(VALU_DEP_3) | instskip(SKIP_3) | instid1(VALU_DEP_2)
	v_cndmask_b32_e64 v7, 0, v8, s1
	v_cmp_gt_i32_e64 s1, s25, v27
	v_or_b32_e32 v8, 3, v27
	s_wait_alu 0xf1ff
	v_cndmask_b32_e64 v1, 0, v1, s1
	v_cmp_gt_i32_e64 s1, s25, v33
	v_or_b32_e32 v33, 5, v27
	s_delay_alu instid0(VALU_DEP_3) | instskip(SKIP_1) | instid1(VALU_DEP_3)
	v_perm_b32 v1, v7, v1, 0x5040100
	s_wait_alu 0xf1ff
	v_cndmask_b32_e64 v2, 0, v2, s1
	v_cmp_gt_i32_e64 s1, s9, v8
	s_wait_alu 0xf1ff
	s_delay_alu instid0(VALU_DEP_1) | instskip(SKIP_2) | instid1(VALU_DEP_3)
	v_cndmask_b32_e64 v8, 0, v34, s1
	v_cmp_gt_i32_e64 s1, s25, v35
	v_or_b32_e32 v35, 6, v27
	v_perm_b32 v2, v8, v2, 0x5040100
	s_wait_alu 0xf1ff
	s_delay_alu instid0(VALU_DEP_3) | instskip(SKIP_3) | instid1(VALU_DEP_1)
	v_cndmask_b32_e64 v34, 0, v3, s1
	v_lshrrev_b32_e32 v3, 16, v3
	v_cmp_gt_i32_e64 s1, s9, v33
	s_wait_alu 0xf1ff
	v_cndmask_b32_e64 v3, 0, v3, s1
	v_cmp_gt_i32_e64 s1, s25, v35
	s_delay_alu instid0(VALU_DEP_2) | instskip(SKIP_1) | instid1(VALU_DEP_2)
	v_perm_b32 v3, v3, v34, 0x5040100
	s_wait_alu 0xf1ff
	v_cndmask_b32_e64 v4, 0, v4, s1
	v_cmp_gt_i32_e64 s1, s9, v36
	s_wait_alu 0xf1ff
	s_delay_alu instid0(VALU_DEP_1) | instskip(NEXT) | instid1(VALU_DEP_1)
	v_cndmask_b32_e64 v33, 0, v37, s1
	v_perm_b32 v4, v33, v4, 0x5040100
.LBB146_36:                             ;   in Loop: Header=BB146_34 Depth=1
	s_or_b32 exec_lo, exec_lo, s15
	global_load_b128 v[5:8], v[5:6], off offset:512
	s_and_saveexec_b32 s15, s0
	s_cbranch_execz .LBB146_38
; %bb.37:                               ;   in Loop: Header=BB146_34 Depth=1
	v_add_nc_u32_e32 v33, 1, v27
	s_wait_loadcnt 0x0
	v_lshrrev_b32_e32 v34, 16, v5
	v_or_b32_e32 v35, 2, v27
	v_lshrrev_b32_e32 v36, 16, v6
	v_or_b32_e32 v37, 4, v27
	v_cmp_gt_i32_e64 s1, s9, v33
	v_or_b32_e32 v38, 7, v27
	v_lshrrev_b32_e32 v39, 16, v8
	s_wait_alu 0xf1ff
	s_delay_alu instid0(VALU_DEP_3) | instskip(SKIP_3) | instid1(VALU_DEP_2)
	v_cndmask_b32_e64 v33, 0, v34, s1
	v_cmp_gt_i32_e64 s1, s25, v27
	v_or_b32_e32 v34, 3, v27
	s_wait_alu 0xf1ff
	v_cndmask_b32_e64 v5, 0, v5, s1
	v_cmp_gt_i32_e64 s1, s25, v35
	v_or_b32_e32 v35, 5, v27
	s_delay_alu instid0(VALU_DEP_3) | instskip(SKIP_1) | instid1(VALU_DEP_3)
	v_perm_b32 v5, v33, v5, 0x5040100
	s_wait_alu 0xf1ff
	v_cndmask_b32_e64 v6, 0, v6, s1
	v_cmp_gt_i32_e64 s1, s9, v34
	s_wait_alu 0xf1ff
	s_delay_alu instid0(VALU_DEP_1) | instskip(SKIP_2) | instid1(VALU_DEP_3)
	v_cndmask_b32_e64 v34, 0, v36, s1
	v_cmp_gt_i32_e64 s1, s25, v37
	v_or_b32_e32 v37, 6, v27
	v_perm_b32 v6, v34, v6, 0x5040100
	s_wait_alu 0xf1ff
	s_delay_alu instid0(VALU_DEP_3) | instskip(SKIP_3) | instid1(VALU_DEP_1)
	v_cndmask_b32_e64 v36, 0, v7, s1
	v_lshrrev_b32_e32 v7, 16, v7
	v_cmp_gt_i32_e64 s1, s9, v35
	s_wait_alu 0xf1ff
	v_cndmask_b32_e64 v7, 0, v7, s1
	v_cmp_gt_i32_e64 s1, s25, v37
	s_delay_alu instid0(VALU_DEP_2) | instskip(SKIP_1) | instid1(VALU_DEP_2)
	v_perm_b32 v7, v7, v36, 0x5040100
	s_wait_alu 0xf1ff
	v_cndmask_b32_e64 v8, 0, v8, s1
	v_cmp_gt_i32_e64 s1, s9, v38
	s_wait_alu 0xf1ff
	s_delay_alu instid0(VALU_DEP_1) | instskip(NEXT) | instid1(VALU_DEP_1)
	v_cndmask_b32_e64 v35, 0, v39, s1
	v_perm_b32 v8, v35, v8, 0x5040100
.LBB146_38:                             ;   in Loop: Header=BB146_34 Depth=1
	s_or_b32 exec_lo, exec_lo, s15
	s_wait_dscnt 0x1
	v_bfe_u32 v33, v13, 16, 1
	v_bfe_u32 v34, v14, 16, 1
	v_or_b32_e32 v35, 0x400000, v13
	v_cmp_u_f32_e64 s1, v13, v13
	v_or_b32_e32 v36, 0x400000, v14
	v_add3_u32 v33, v33, v13, 0x7fff
	v_bfe_u32 v37, v15, 16, 1
	v_add3_u32 v34, v34, v14, 0x7fff
	v_bfe_u32 v38, v16, 16, 1
	s_wait_alu 0xf1ff
	v_cndmask_b32_e64 v13, v33, v35, s1
	v_cmp_u_f32_e64 s1, v14, v14
	v_add3_u32 v33, v37, v15, 0x7fff
	s_wait_dscnt 0x0
	v_bfe_u32 v35, v9, 16, 1
	v_or_b32_e32 v37, 0x400000, v16
	s_wait_alu 0xf1ff
	v_cndmask_b32_e64 v14, v34, v36, s1
	v_or_b32_e32 v34, 0x400000, v15
	v_cmp_u_f32_e64 s1, v15, v15
	v_add3_u32 v36, v38, v16, 0x7fff
	v_or_b32_e32 v38, 0x400000, v12
	s_wait_alu 0xf1ff
	s_delay_alu instid0(VALU_DEP_3)
	v_cndmask_b32_e64 v15, v33, v34, s1
	v_cmp_u_f32_e64 s1, v16, v16
	v_add3_u32 v33, v35, v9, 0x7fff
	v_or_b32_e32 v34, 0x400000, v9
	v_bfe_u32 v16, v10, 16, 1
	s_wait_alu 0xf1ff
	v_cndmask_b32_e64 v35, v36, v37, s1
	v_cmp_u_f32_e64 s1, v9, v9
	v_bfe_u32 v36, v11, 16, 1
	v_add3_u32 v16, v16, v10, 0x7fff
	v_or_b32_e32 v37, 0x400000, v11
	v_perm_b32 v15, v35, v15, 0x7060302
	s_wait_alu 0xf1ff
	v_cndmask_b32_e64 v9, v33, v34, s1
	v_or_b32_e32 v34, 0x400000, v10
	v_cmp_u_f32_e64 s1, v10, v10
	v_bfe_u32 v33, v12, 16, 1
	v_add3_u32 v36, v36, v11, 0x7fff
	s_wait_alu 0xf1ff
	s_delay_alu instid0(VALU_DEP_3) | instskip(SKIP_3) | instid1(VALU_DEP_4)
	v_cndmask_b32_e64 v10, v16, v34, s1
	v_cmp_u_f32_e64 s1, v11, v11
	v_add3_u32 v33, v33, v12, 0x7fff
	v_perm_b32 v16, v14, v13, 0x7060302
	v_perm_b32 v14, v10, v9, 0x7060302
	s_wait_alu 0xf1ff
	v_cndmask_b32_e64 v11, v36, v37, s1
	v_cmp_u_f32_e64 s1, v12, v12
	s_wait_alu 0xf1ff
	s_delay_alu instid0(VALU_DEP_1) | instskip(NEXT) | instid1(VALU_DEP_1)
	v_cndmask_b32_e64 v12, v33, v38, s1
	v_perm_b32 v13, v12, v11, 0x7060302
	s_and_saveexec_b32 s15, vcc_lo
	s_cbranch_execz .LBB146_33
; %bb.39:                               ;   in Loop: Header=BB146_34 Depth=1
	v_add_co_u32 v9, s1, v31, v30
	s_wait_alu 0xf1ff
	v_add_co_ci_u32_e64 v10, null, 0, v32, s1
	global_load_b128 v[9:12], v[9:10], off
	s_and_saveexec_b32 s1, s0
	s_cbranch_execz .LBB146_32
; %bb.40:                               ;   in Loop: Header=BB146_34 Depth=1
	v_add_nc_u32_e32 v31, 1, v27
	s_wait_loadcnt 0x0
	v_lshrrev_b32_e32 v32, 16, v9
	v_or_b32_e32 v33, 2, v27
	v_lshrrev_b32_e32 v34, 16, v10
	v_or_b32_e32 v35, 4, v27
	v_cmp_gt_i32_e64 s0, s9, v31
	v_or_b32_e32 v36, 7, v27
	v_lshrrev_b32_e32 v37, 16, v12
	s_wait_alu 0xf1ff
	s_delay_alu instid0(VALU_DEP_3) | instskip(SKIP_3) | instid1(VALU_DEP_2)
	v_cndmask_b32_e64 v31, 0, v32, s0
	v_cmp_gt_i32_e64 s0, s25, v27
	v_or_b32_e32 v32, 3, v27
	s_wait_alu 0xf1ff
	v_cndmask_b32_e64 v9, 0, v9, s0
	v_cmp_gt_i32_e64 s0, s25, v33
	v_or_b32_e32 v33, 5, v27
	s_delay_alu instid0(VALU_DEP_3) | instskip(SKIP_1) | instid1(VALU_DEP_3)
	v_perm_b32 v9, v31, v9, 0x5040100
	s_wait_alu 0xf1ff
	v_cndmask_b32_e64 v10, 0, v10, s0
	v_cmp_gt_i32_e64 s0, s9, v32
	s_wait_alu 0xf1ff
	s_delay_alu instid0(VALU_DEP_1) | instskip(SKIP_2) | instid1(VALU_DEP_3)
	v_cndmask_b32_e64 v32, 0, v34, s0
	v_cmp_gt_i32_e64 s0, s25, v35
	v_or_b32_e32 v35, 6, v27
	v_perm_b32 v10, v32, v10, 0x5040100
	s_wait_alu 0xf1ff
	s_delay_alu instid0(VALU_DEP_3) | instskip(SKIP_3) | instid1(VALU_DEP_1)
	v_cndmask_b32_e64 v34, 0, v11, s0
	v_lshrrev_b32_e32 v11, 16, v11
	v_cmp_gt_i32_e64 s0, s9, v33
	s_wait_alu 0xf1ff
	v_cndmask_b32_e64 v11, 0, v11, s0
	v_cmp_gt_i32_e64 s0, s25, v35
	s_delay_alu instid0(VALU_DEP_2) | instskip(SKIP_1) | instid1(VALU_DEP_2)
	v_perm_b32 v11, v11, v34, 0x5040100
	s_wait_alu 0xf1ff
	v_cndmask_b32_e64 v12, 0, v12, s0
	v_cmp_gt_i32_e64 s0, s9, v36
	s_wait_alu 0xf1ff
	s_delay_alu instid0(VALU_DEP_1) | instskip(NEXT) | instid1(VALU_DEP_1)
	v_cndmask_b32_e64 v33, 0, v37, s0
	v_perm_b32 v12, v33, v12, 0x5040100
	s_branch .LBB146_32
.LBB146_41:
	s_or_b32 exec_lo, exec_lo, s7
.LBB146_42:
	s_wait_alu 0xfffe
	s_or_b32 exec_lo, exec_lo, s4
	s_movk_i32 s0, 0x140
	v_and_b32_e32 v2, 0x3c0, v0
	s_wait_alu 0xfffe
	v_mad_u32_u24 v1, v19, s0, 0xc0
	s_mov_b32 s0, exec_lo
	s_wait_loadcnt 0x0
	s_wait_storecnt 0x0
	s_barrier_signal -1
	s_barrier_wait -1
	global_inv scope:SCOPE_SE
	v_cmpx_eq_u32_e32 64, v2
	s_cbranch_execz .LBB146_45
; %bb.43:
	v_add_nc_u32_e32 v2, 0xfffffd80, v1
	v_cmp_gt_u32_e32 vcc_lo, 0x50, v26
	s_delay_alu instid0(VALU_DEP_2)
	v_lshl_add_u32 v3, v21, 2, v2
	ds_store_2addr_b32 v3, v25, v24 offset1:32
	s_and_b32 exec_lo, exec_lo, vcc_lo
; %bb.44:
	v_lshl_add_u32 v2, v26, 2, v2
	ds_store_b32 v2, v23
.LBB146_45:
	s_wait_alu 0xfffe
	s_or_b32 exec_lo, exec_lo, s0
	v_lshl_add_u32 v2, v21, 2, v1
	s_mov_b32 s0, exec_lo
	s_wait_loadcnt_dscnt 0x0
	s_barrier_signal -1
	s_barrier_wait -1
	global_inv scope:SCOPE_SE
	v_cmpx_gt_u32_e32 64, v0
	s_cbranch_execz .LBB146_49
; %bb.46:
	v_lshl_or_b32 v3, v0, 2, 0x80
	s_mov_b32 s1, exec_lo
	s_delay_alu instid0(VALU_DEP_1)
	v_add_nc_u32_e32 v4, v1, v3
	ds_load_b32 v3, v2
	ds_load_b32 v4, v4
	v_cmpx_gt_u32_e32 0x50, v26
	s_cbranch_execz .LBB146_48
; %bb.47:
	ds_load_b32 v5, v2 offset:256
	s_wait_dscnt 0x0
	v_add_f32_e32 v23, v23, v5
.LBB146_48:
	s_wait_alu 0xfffe
	s_or_b32 exec_lo, exec_lo, s1
	s_wait_dscnt 0x0
	v_dual_add_f32 v25, v25, v3 :: v_dual_add_f32 v24, v24, v4
.LBB146_49:
	s_wait_alu 0xfffe
	s_or_b32 exec_lo, exec_lo, s0
	v_and_b32_e32 v3, 0x3e0, v0
	s_mov_b32 s0, exec_lo
	s_wait_loadcnt 0x0
	s_barrier_signal -1
	s_barrier_wait -1
	global_inv scope:SCOPE_SE
	v_cmpx_eq_u32_e32 32, v3
	s_cbranch_execz .LBB146_52
; %bb.50:
	v_lshl_add_u32 v3, v21, 2, 0xc0
	v_cmp_gt_u32_e32 vcc_lo, 0x50, v26
	ds_store_b32 v3, v25
	ds_store_b32 v22, v24
	s_and_b32 exec_lo, exec_lo, vcc_lo
; %bb.51:
	ds_store_b32 v3, v23 offset:256
.LBB146_52:
	s_wait_alu 0xfffe
	s_or_b32 exec_lo, exec_lo, s0
	v_cmp_gt_u32_e32 vcc_lo, 32, v0
	v_or_b32_e32 v3, 64, v0
	s_wait_loadcnt_dscnt 0x0
	s_barrier_signal -1
	s_barrier_wait -1
	global_inv scope:SCOPE_SE
	s_and_saveexec_b32 s1, vcc_lo
	s_cbranch_execz .LBB146_56
; %bb.53:
	v_lshl_add_u32 v4, v0, 2, v1
	s_mov_b32 s2, exec_lo
	ds_load_b32 v1, v2
	ds_load_b32 v2, v4 offset:128
	v_cmpx_gt_u32_e32 0x50, v3
	s_cbranch_execz .LBB146_55
; %bb.54:
	ds_load_b32 v4, v4 offset:256
	s_wait_dscnt 0x0
	v_add_f32_e32 v23, v23, v4
.LBB146_55:
	s_wait_alu 0xfffe
	s_or_b32 exec_lo, exec_lo, s2
	s_wait_dscnt 0x0
	v_dual_add_f32 v25, v25, v1 :: v_dual_add_f32 v24, v24, v2
.LBB146_56:
	s_wait_alu 0xfffe
	s_or_b32 exec_lo, exec_lo, s1
	s_wait_loadcnt 0x0
	s_barrier_signal -1
	s_barrier_wait -1
	global_inv scope:SCOPE_SE
	s_and_saveexec_b32 s0, vcc_lo
	s_cbranch_execz .LBB146_59
; %bb.57:
	v_bfe_u32 v1, v25, 16, 1
	v_bfe_u32 v2, v24, 16, 1
	v_or_b32_e32 v4, 0x400000, v25
	v_cmp_u_f32_e32 vcc_lo, v25, v25
	s_mul_i32 s0, s14, 0x50
	v_add3_u32 v1, v1, v25, 0x7fff
	s_mul_i32 s2, s8, s12
	s_wait_alu 0xfffe
	s_ashr_i32 s1, s0, 31
	v_add3_u32 v2, v2, v24, 0x7fff
	v_or_b32_e32 v5, 0x400000, v24
	s_wait_alu 0xfffd
	v_cndmask_b32_e32 v1, v1, v4, vcc_lo
	v_cmp_u_f32_e32 vcc_lo, v24, v24
	s_ashr_i32 s3, s2, 31
	s_wait_alu 0xfffe
	s_lshl_b64 s[0:1], s[0:1], 1
	s_lshl_b64 s[2:3], s[2:3], 1
	s_wait_alu 0xfffe
	s_add_nc_u64 s[0:1], s[10:11], s[0:1]
	v_lshlrev_b32_e32 v0, 1, v0
	s_wait_alu 0xfffd
	v_cndmask_b32_e32 v2, v2, v5, vcc_lo
	v_cmp_gt_u32_e32 vcc_lo, 0x50, v3
	s_wait_alu 0xfffe
	s_add_nc_u64 s[0:1], s[0:1], s[2:3]
	s_mul_i32 s2, s24, 0xa0
	s_mov_b32 s3, 0
	s_wait_alu 0xfffe
	s_add_nc_u64 s[0:1], s[0:1], s[2:3]
	s_clause 0x1
	global_store_d16_hi_b16 v0, v1, s[0:1]
	global_store_d16_hi_b16 v0, v2, s[0:1] offset:64
	s_and_b32 exec_lo, exec_lo, vcc_lo
	s_cbranch_execz .LBB146_59
; %bb.58:
	v_bfe_u32 v1, v23, 16, 1
	v_or_b32_e32 v2, 0x400000, v23
	v_cmp_u_f32_e32 vcc_lo, v23, v23
	s_wait_alu 0xfffe
	v_add_co_u32 v0, s0, s0, v0
	v_add3_u32 v3, v1, v23, 0x7fff
	s_wait_alu 0xf1ff
	v_add_co_ci_u32_e64 v1, null, s1, 0, s0
	s_wait_alu 0xfffd
	s_delay_alu instid0(VALU_DEP_2)
	v_cndmask_b32_e32 v2, v3, v2, vcc_lo
	global_store_d16_hi_b16 v[0:1], v2, off offset:128
.LBB146_59:
	s_endpgm
	.section	.rodata,"a",@progbits
	.p2align	6, 0x0
	.amdhsa_kernel _ZN4vllm25paged_attention_v2_kernelI14__hip_bfloat16S1_Li80ELi8ELi128ELNS_18Fp8KVCacheDataTypeE0ELb0ELi512EEEvPfS3_PT_PKS4_PKT0_SA_ifPKiSC_iPKfiiiSE_SE_iiiii
		.amdhsa_group_segment_fixed_size 192
		.amdhsa_private_segment_fixed_size 0
		.amdhsa_kernarg_size 400
		.amdhsa_user_sgpr_count 2
		.amdhsa_user_sgpr_dispatch_ptr 0
		.amdhsa_user_sgpr_queue_ptr 0
		.amdhsa_user_sgpr_kernarg_segment_ptr 1
		.amdhsa_user_sgpr_dispatch_id 0
		.amdhsa_user_sgpr_private_segment_size 0
		.amdhsa_wavefront_size32 1
		.amdhsa_uses_dynamic_stack 0
		.amdhsa_enable_private_segment 0
		.amdhsa_system_sgpr_workgroup_id_x 1
		.amdhsa_system_sgpr_workgroup_id_y 1
		.amdhsa_system_sgpr_workgroup_id_z 1
		.amdhsa_system_sgpr_workgroup_info 0
		.amdhsa_system_vgpr_workitem_id 0
		.amdhsa_next_free_vgpr 50
		.amdhsa_next_free_sgpr 32
		.amdhsa_reserve_vcc 1
		.amdhsa_float_round_mode_32 0
		.amdhsa_float_round_mode_16_64 0
		.amdhsa_float_denorm_mode_32 3
		.amdhsa_float_denorm_mode_16_64 3
		.amdhsa_fp16_overflow 0
		.amdhsa_workgroup_processor_mode 1
		.amdhsa_memory_ordered 1
		.amdhsa_forward_progress 1
		.amdhsa_inst_pref_size 59
		.amdhsa_round_robin_scheduling 0
		.amdhsa_exception_fp_ieee_invalid_op 0
		.amdhsa_exception_fp_denorm_src 0
		.amdhsa_exception_fp_ieee_div_zero 0
		.amdhsa_exception_fp_ieee_overflow 0
		.amdhsa_exception_fp_ieee_underflow 0
		.amdhsa_exception_fp_ieee_inexact 0
		.amdhsa_exception_int_div_zero 0
	.end_amdhsa_kernel
	.section	.text._ZN4vllm25paged_attention_v2_kernelI14__hip_bfloat16S1_Li80ELi8ELi128ELNS_18Fp8KVCacheDataTypeE0ELb0ELi512EEEvPfS3_PT_PKS4_PKT0_SA_ifPKiSC_iPKfiiiSE_SE_iiiii,"axG",@progbits,_ZN4vllm25paged_attention_v2_kernelI14__hip_bfloat16S1_Li80ELi8ELi128ELNS_18Fp8KVCacheDataTypeE0ELb0ELi512EEEvPfS3_PT_PKS4_PKT0_SA_ifPKiSC_iPKfiiiSE_SE_iiiii,comdat
.Lfunc_end146:
	.size	_ZN4vllm25paged_attention_v2_kernelI14__hip_bfloat16S1_Li80ELi8ELi128ELNS_18Fp8KVCacheDataTypeE0ELb0ELi512EEEvPfS3_PT_PKS4_PKT0_SA_ifPKiSC_iPKfiiiSE_SE_iiiii, .Lfunc_end146-_ZN4vllm25paged_attention_v2_kernelI14__hip_bfloat16S1_Li80ELi8ELi128ELNS_18Fp8KVCacheDataTypeE0ELb0ELi512EEEvPfS3_PT_PKS4_PKT0_SA_ifPKiSC_iPKfiiiSE_SE_iiiii
                                        ; -- End function
	.set _ZN4vllm25paged_attention_v2_kernelI14__hip_bfloat16S1_Li80ELi8ELi128ELNS_18Fp8KVCacheDataTypeE0ELb0ELi512EEEvPfS3_PT_PKS4_PKT0_SA_ifPKiSC_iPKfiiiSE_SE_iiiii.num_vgpr, 50
	.set _ZN4vllm25paged_attention_v2_kernelI14__hip_bfloat16S1_Li80ELi8ELi128ELNS_18Fp8KVCacheDataTypeE0ELb0ELi512EEEvPfS3_PT_PKS4_PKT0_SA_ifPKiSC_iPKfiiiSE_SE_iiiii.num_agpr, 0
	.set _ZN4vllm25paged_attention_v2_kernelI14__hip_bfloat16S1_Li80ELi8ELi128ELNS_18Fp8KVCacheDataTypeE0ELb0ELi512EEEvPfS3_PT_PKS4_PKT0_SA_ifPKiSC_iPKfiiiSE_SE_iiiii.numbered_sgpr, 32
	.set _ZN4vllm25paged_attention_v2_kernelI14__hip_bfloat16S1_Li80ELi8ELi128ELNS_18Fp8KVCacheDataTypeE0ELb0ELi512EEEvPfS3_PT_PKS4_PKT0_SA_ifPKiSC_iPKfiiiSE_SE_iiiii.num_named_barrier, 0
	.set _ZN4vllm25paged_attention_v2_kernelI14__hip_bfloat16S1_Li80ELi8ELi128ELNS_18Fp8KVCacheDataTypeE0ELb0ELi512EEEvPfS3_PT_PKS4_PKT0_SA_ifPKiSC_iPKfiiiSE_SE_iiiii.private_seg_size, 0
	.set _ZN4vllm25paged_attention_v2_kernelI14__hip_bfloat16S1_Li80ELi8ELi128ELNS_18Fp8KVCacheDataTypeE0ELb0ELi512EEEvPfS3_PT_PKS4_PKT0_SA_ifPKiSC_iPKfiiiSE_SE_iiiii.uses_vcc, 1
	.set _ZN4vllm25paged_attention_v2_kernelI14__hip_bfloat16S1_Li80ELi8ELi128ELNS_18Fp8KVCacheDataTypeE0ELb0ELi512EEEvPfS3_PT_PKS4_PKT0_SA_ifPKiSC_iPKfiiiSE_SE_iiiii.uses_flat_scratch, 0
	.set _ZN4vllm25paged_attention_v2_kernelI14__hip_bfloat16S1_Li80ELi8ELi128ELNS_18Fp8KVCacheDataTypeE0ELb0ELi512EEEvPfS3_PT_PKS4_PKT0_SA_ifPKiSC_iPKfiiiSE_SE_iiiii.has_dyn_sized_stack, 0
	.set _ZN4vllm25paged_attention_v2_kernelI14__hip_bfloat16S1_Li80ELi8ELi128ELNS_18Fp8KVCacheDataTypeE0ELb0ELi512EEEvPfS3_PT_PKS4_PKT0_SA_ifPKiSC_iPKfiiiSE_SE_iiiii.has_recursion, 0
	.set _ZN4vllm25paged_attention_v2_kernelI14__hip_bfloat16S1_Li80ELi8ELi128ELNS_18Fp8KVCacheDataTypeE0ELb0ELi512EEEvPfS3_PT_PKS4_PKT0_SA_ifPKiSC_iPKfiiiSE_SE_iiiii.has_indirect_call, 0
	.section	.AMDGPU.csdata,"",@progbits
; Kernel info:
; codeLenInByte = 7452
; TotalNumSgprs: 34
; NumVgprs: 50
; ScratchSize: 0
; MemoryBound: 0
; FloatMode: 240
; IeeeMode: 1
; LDSByteSize: 192 bytes/workgroup (compile time only)
; SGPRBlocks: 0
; VGPRBlocks: 6
; NumSGPRsForWavesPerEU: 34
; NumVGPRsForWavesPerEU: 50
; Occupancy: 16
; WaveLimiterHint : 1
; COMPUTE_PGM_RSRC2:SCRATCH_EN: 0
; COMPUTE_PGM_RSRC2:USER_SGPR: 2
; COMPUTE_PGM_RSRC2:TRAP_HANDLER: 0
; COMPUTE_PGM_RSRC2:TGID_X_EN: 1
; COMPUTE_PGM_RSRC2:TGID_Y_EN: 1
; COMPUTE_PGM_RSRC2:TGID_Z_EN: 1
; COMPUTE_PGM_RSRC2:TIDIG_COMP_CNT: 0
	.section	.text._ZN4vllm25paged_attention_v2_kernelI14__hip_bfloat16S1_Li96ELi8ELi128ELNS_18Fp8KVCacheDataTypeE0ELb0ELi512EEEvPfS3_PT_PKS4_PKT0_SA_ifPKiSC_iPKfiiiSE_SE_iiiii,"axG",@progbits,_ZN4vllm25paged_attention_v2_kernelI14__hip_bfloat16S1_Li96ELi8ELi128ELNS_18Fp8KVCacheDataTypeE0ELb0ELi512EEEvPfS3_PT_PKS4_PKT0_SA_ifPKiSC_iPKfiiiSE_SE_iiiii,comdat
	.protected	_ZN4vllm25paged_attention_v2_kernelI14__hip_bfloat16S1_Li96ELi8ELi128ELNS_18Fp8KVCacheDataTypeE0ELb0ELi512EEEvPfS3_PT_PKS4_PKT0_SA_ifPKiSC_iPKfiiiSE_SE_iiiii ; -- Begin function _ZN4vllm25paged_attention_v2_kernelI14__hip_bfloat16S1_Li96ELi8ELi128ELNS_18Fp8KVCacheDataTypeE0ELb0ELi512EEEvPfS3_PT_PKS4_PKT0_SA_ifPKiSC_iPKfiiiSE_SE_iiiii
	.globl	_ZN4vllm25paged_attention_v2_kernelI14__hip_bfloat16S1_Li96ELi8ELi128ELNS_18Fp8KVCacheDataTypeE0ELb0ELi512EEEvPfS3_PT_PKS4_PKT0_SA_ifPKiSC_iPKfiiiSE_SE_iiiii
	.p2align	8
	.type	_ZN4vllm25paged_attention_v2_kernelI14__hip_bfloat16S1_Li96ELi8ELi128ELNS_18Fp8KVCacheDataTypeE0ELb0ELi512EEEvPfS3_PT_PKS4_PKT0_SA_ifPKiSC_iPKfiiiSE_SE_iiiii,@function
_ZN4vllm25paged_attention_v2_kernelI14__hip_bfloat16S1_Li96ELi8ELi128ELNS_18Fp8KVCacheDataTypeE0ELb0ELi512EEEvPfS3_PT_PKS4_PKT0_SA_ifPKiSC_iPKfiiiSE_SE_iiiii: ; @_ZN4vllm25paged_attention_v2_kernelI14__hip_bfloat16S1_Li96ELi8ELi128ELNS_18Fp8KVCacheDataTypeE0ELb0ELi512EEEvPfS3_PT_PKS4_PKT0_SA_ifPKiSC_iPKfiiiSE_SE_iiiii
; %bb.0:
	s_load_b64 s[2:3], s[0:1], 0x40
	s_and_b32 s14, ttmp7, 0xffff
	s_lshr_b32 s24, ttmp7, 16
	s_lshl_b32 s4, s14, 2
	s_lshl_b32 s26, s24, 9
	s_wait_kmcnt 0x0
	s_load_b32 s25, s[2:3], s4 offset:0x0
	s_wait_kmcnt 0x0
	s_cmp_ge_i32 s26, s25
	s_cbranch_scc1 .LBB147_50
; %bb.1:
	s_clause 0x1
	s_load_b32 s15, s[0:1], 0x90
	s_load_b64 s[6:7], s[0:1], 0x30
	s_wait_kmcnt 0x0
	s_abs_i32 s5, s15
	s_abs_i32 s2, s6
	s_delay_alu instid0(SALU_CYCLE_1) | instskip(SKIP_1) | instid1(SALU_CYCLE_2)
	s_cvt_f32_u32 s3, s2
	s_sub_co_i32 s4, 0, s2
	v_rcp_iflag_f32_e32 v1, s3
	s_delay_alu instid0(TRANS32_DEP_1) | instskip(SKIP_2) | instid1(SALU_CYCLE_2)
	v_readfirstlane_b32 s3, v1
	s_mul_f32 s3, s3, 0x4f7ffffe
	s_wait_alu 0xfffe
	s_cvt_u32_f32 s3, s3
	s_wait_alu 0xfffe
	s_delay_alu instid0(SALU_CYCLE_2) | instskip(NEXT) | instid1(SALU_CYCLE_1)
	s_mul_i32 s4, s4, s3
	s_mul_hi_u32 s4, s3, s4
	s_delay_alu instid0(SALU_CYCLE_1)
	s_add_co_i32 s3, s3, s4
	s_xor_b32 s4, s15, s6
	s_wait_alu 0xfffe
	s_mul_hi_u32 s3, s5, s3
	s_ashr_i32 s4, s4, 31
	s_wait_alu 0xfffe
	s_mul_i32 s6, s3, s2
	s_delay_alu instid0(SALU_CYCLE_1)
	s_sub_co_i32 s5, s5, s6
	s_add_co_i32 s6, s3, 1
	s_sub_co_i32 s8, s5, s2
	s_cmp_ge_u32 s5, s2
	s_cselect_b32 s3, s6, s3
	s_cselect_b32 s5, s8, s5
	s_wait_alu 0xfffe
	s_add_co_i32 s6, s3, 1
	s_cmp_ge_u32 s5, s2
	s_load_b64 s[8:9], s[0:1], 0x50
	s_cselect_b32 s2, s6, s3
	s_mov_b32 s3, 0
	s_wait_alu 0xfffe
	s_xor_b32 s2, s2, s4
	s_mov_b32 s6, s3
	s_wait_alu 0xfffe
	s_sub_co_i32 s12, s2, s4
	s_delay_alu instid0(SALU_CYCLE_1) | instskip(NEXT) | instid1(SALU_CYCLE_1)
	s_abs_i32 s11, s12
	s_cvt_f32_u32 s2, s11
	s_wait_alu 0xfffe
	s_delay_alu instid0(SALU_CYCLE_2) | instskip(NEXT) | instid1(TRANS32_DEP_1)
	v_rcp_iflag_f32_e32 v1, s2
	v_readfirstlane_b32 s2, v1
	s_mul_f32 s2, s2, 0x4f7ffffe
	s_wait_alu 0xfffe
	s_delay_alu instid0(SALU_CYCLE_2) | instskip(SKIP_2) | instid1(SALU_CYCLE_1)
	s_cvt_u32_f32 s4, s2
	s_sub_co_i32 s2, 0, s11
	s_wait_alu 0xfffe
	s_mul_i32 s2, s2, s4
	s_wait_alu 0xfffe
	s_mul_hi_u32 s5, s4, s2
	s_abs_i32 s2, ttmp9
	s_add_co_i32 s4, s4, s5
	s_mov_b32 s5, s3
	s_wait_kmcnt 0x0
	s_cmp_eq_u64 s[8:9], 0
	s_cbranch_scc1 .LBB147_3
; %bb.2:
	s_mov_b32 s16, ttmp9
	s_ashr_i32 s17, ttmp9, 31
	s_delay_alu instid0(SALU_CYCLE_1) | instskip(NEXT) | instid1(SALU_CYCLE_1)
	s_lshl_b64 s[16:17], s[16:17], 2
	s_add_nc_u64 s[8:9], s[8:9], s[16:17]
	s_load_b32 s6, s[8:9], 0x0
.LBB147_3:
	s_load_b96 s[8:10], s[0:1], 0x58
	v_and_b32_e32 v1, 3, v0
	v_lshlrev_b32_e32 v2, 2, v0
	s_mul_u64 s[4:5], s[2:3], s[4:5]
	s_ashr_i32 s3, ttmp9, 31
	s_ashr_i32 s4, s12, 31
	s_mul_i32 s12, ttmp9, 0x60
	s_mov_b32 s16, exec_lo
	v_cmpx_gt_u32_e32 48, v0
	s_cbranch_execz .LBB147_5
; %bb.4:
	s_load_b64 s[18:19], s[0:1], 0x18
	s_wait_kmcnt 0x0
	s_mul_i32 s20, s8, s14
	s_ashr_i32 s13, s12, 31
	s_ashr_i32 s21, s20, 31
	v_and_b32_e32 v4, 0x3fc, v0
	s_lshl_b64 s[20:21], s[20:21], 1
	s_delay_alu instid0(VALU_DEP_1) | instskip(SKIP_2) | instid1(SALU_CYCLE_1)
	v_mad_u32_u24 v4, v1, 48, v4
	s_add_nc_u64 s[18:19], s[18:19], s[20:21]
	s_lshl_b64 s[20:21], s[12:13], 1
	s_add_nc_u64 s[18:19], s[18:19], s[20:21]
	global_load_b32 v3, v2, s[18:19]
	s_wait_loadcnt 0x0
	ds_store_b32 v4, v3
.LBB147_5:
	s_or_b32 exec_lo, exec_lo, s16
	s_wait_kmcnt 0x0
	s_add_co_i32 s8, s25, 7
	s_wait_alu 0xfffe
	s_xor_b32 s3, s3, s4
	s_ashr_i32 s13, s8, 31
	s_lshl_b32 s28, s24, 6
	s_lshr_b32 s4, s13, 29
	s_mul_i32 s13, s5, s11
	s_add_co_i32 s8, s8, s4
	s_add_co_i32 s4, s28, 64
	s_ashr_i32 s27, s8, 3
	s_load_b32 s8, s[0:1], 0x48
	s_sub_co_i32 s2, s2, s13
	s_min_i32 s13, s4, s27
	s_add_co_i32 s4, s5, 1
	s_wait_alu 0xfffe
	s_sub_co_i32 s16, s2, s11
	s_cmp_ge_u32 s2, s11
	v_lshrrev_b32_e32 v23, 5, v0
	s_cselect_b32 s4, s4, s5
	s_cselect_b32 s2, s16, s2
	s_add_co_i32 s5, s4, 1
	s_wait_alu 0xfffe
	s_cmp_ge_u32 s2, s11
	v_or_b32_e32 v24, s28, v23
	s_cselect_b32 s2, s5, s4
	v_mbcnt_lo_u32_b32 v4, -1, 0
	s_wait_alu 0xfffe
	s_xor_b32 s2, s2, s3
	s_mov_b32 s4, exec_lo
	s_wait_alu 0xfffe
	s_sub_co_i32 s3, s2, s3
	v_cmp_gt_i32_e64 s2, s13, v24
	s_wait_dscnt 0x0
	s_barrier_signal -1
	s_wait_kmcnt 0x0
	s_mul_i32 s16, s8, s14
	s_barrier_wait -1
	s_ashr_i32 s17, s16, 31
	global_inv scope:SCOPE_SE
                                        ; implicit-def: $vgpr5
                                        ; implicit-def: $vgpr6
	v_cmpx_le_i32_e64 s13, v24
	s_xor_b32 s4, exec_lo, s4
; %bb.6:
	v_dual_mov_b32 v5, 0 :: v_dual_mov_b32 v6, 32
	v_mbcnt_lo_u32_b32 v4, -1, 0
                                        ; implicit-def: $vgpr2
                                        ; implicit-def: $vgpr1
; %bb.7:
	s_or_saveexec_b32 s11, s4
	s_clause 0x1
	s_load_b64 s[18:19], s[0:1], 0x38
	s_load_b32 s8, s[0:1], 0x98
	v_dual_mov_b32 v32, 0xff7fffff :: v_dual_lshlrev_b32 v3, 2, v24
	s_mul_i32 s20, s3, s10
	s_xor_b32 exec_lo, exec_lo, s11
	s_cbranch_execz .LBB147_13
; %bb.8:
	s_load_b64 s[4:5], s[0:1], 0x20
	v_mul_u32_u24_e32 v6, 48, v1
	v_bfe_u32 v38, v0, 2, 3
	s_ashr_i32 s21, s20, 31
	v_dual_mov_b32 v5, 0 :: v_dual_and_b32 v2, 12, v2
	ds_load_b128 v[11:14], v6
	ds_load_b128 v[25:28], v6 offset:16
	ds_load_b128 v[32:35], v6 offset:32
	v_lshlrev_b32_e32 v7, 4, v38
	s_lshl_b64 s[22:23], s[20:21], 1
	v_lshlrev_b32_e32 v39, 2, v38
	s_cmp_neq_f32 s6, 0
	s_mov_b32 s21, s9
	s_mov_b32 s10, 0
	v_mov_b32_e32 v40, v24
	s_wait_kmcnt 0x0
	s_add_nc_u64 s[4:5], s[4:5], s[22:23]
	s_delay_alu instid0(SALU_CYCLE_1)
	v_add_co_u32 v6, s3, s4, v7
	s_wait_alu 0xf1ff
	v_add_co_ci_u32_e64 v16, null, s5, 0, s3
	s_wait_dscnt 0x2
	v_and_b32_e32 v8, 0xffff0000, v11
	v_add_co_u32 v15, vcc_lo, v6, v2
	v_xor_b32_e32 v2, 2, v4
	v_add_co_ci_u32_e64 v16, null, 0, v16, vcc_lo
	s_wait_dscnt 0x1
	v_lshlrev_b32_e32 v17, 16, v25
	v_and_b32_e32 v18, 0xffff0000, v25
	v_lshlrev_b32_e32 v19, 16, v26
	v_and_b32_e32 v20, 0xffff0000, v26
	;; [unrolled: 2-line block ×4, first 2 shown]
	s_wait_dscnt 0x0
	v_lshlrev_b32_e32 v27, 16, v32
	v_and_b32_e32 v28, 0xffff0000, v32
	v_xor_b32_e32 v32, 1, v4
	v_cmp_gt_i32_e32 vcc_lo, 32, v2
	v_lshlrev_b32_e32 v7, 16, v11
	s_cselect_b32 s3, -1, 0
	s_lshl_b64 s[4:5], s[16:17], 2
	s_wait_alu 0xfffd
	v_dual_cndmask_b32 v2, v4, v2 :: v_dual_lshlrev_b32 v9, 16, v12
	v_cmp_gt_i32_e32 vcc_lo, 32, v32
	v_lshlrev_b32_e32 v11, 16, v13
	s_wait_alu 0xfffe
	s_add_nc_u64 s[4:5], s[18:19], s[4:5]
	v_and_b32_e32 v10, 0xffff0000, v12
	v_lshlrev_b32_e32 v36, 2, v2
	s_wait_alu 0xfffd
	v_cndmask_b32_e32 v32, v4, v32, vcc_lo
	v_lshlrev_b32_e32 v2, 3, v23
	v_cmp_eq_u32_e32 vcc_lo, 0, v1
	s_wait_alu 0xfffe
	v_add_co_u32 v1, s4, s4, v3
	v_lshlrev_b32_e32 v37, 2, v32
	v_lshl_or_b32 v32, v23, 5, v39
	v_and_b32_e32 v12, 0xffff0000, v13
	v_lshlrev_b32_e32 v13, 16, v14
	v_and_b32_e32 v14, 0xffff0000, v14
	v_lshlrev_b32_e32 v29, 16, v33
	v_and_b32_e32 v30, 0xffff0000, v33
	v_lshlrev_b32_e32 v31, 16, v34
	v_and_b32_e32 v33, 0xffff0000, v34
	v_lshlrev_b32_e32 v34, 16, v35
	v_dual_mov_b32 v6, 32 :: v_dual_and_b32 v35, 0xffff0000, v35
	v_add3_u32 v38, s26, v2, v38
	v_add_nc_u32_e32 v39, 0xe0, v32
	s_wait_alu 0xf1ff
	v_add_co_ci_u32_e64 v2, null, s5, 0, s4
	v_mov_b32_e32 v32, 0xff7fffff
	s_sub_co_i32 s22, 1, s25
	s_branch .LBB147_10
.LBB147_9:                              ;   in Loop: Header=BB147_10 Depth=1
	s_wait_alu 0xfffe
	s_or_b32 exec_lo, exec_lo, s5
	v_add_nc_u32_e32 v40, 4, v40
	v_add_co_u32 v1, s5, v1, 16
	v_add_nc_u32_e32 v38, 32, v38
	v_add_nc_u32_e32 v39, 0x80, v39
	s_delay_alu instid0(VALU_DEP_4) | instskip(SKIP_3) | instid1(SALU_CYCLE_1)
	v_cmp_le_i32_e64 s4, s13, v40
	s_wait_alu 0xf1ff
	v_add_co_ci_u32_e64 v2, null, 0, v2, s5
	s_or_b32 s10, s4, s10
	s_and_not1_b32 exec_lo, exec_lo, s10
	s_cbranch_execz .LBB147_12
.LBB147_10:                             ; =>This Inner Loop Header: Depth=1
	global_load_b32 v41, v[1:2], off
	s_wait_loadcnt_dscnt 0x0
	v_mad_co_i64_i32 v[41:42], null, v41, s21, 0
	s_delay_alu instid0(VALU_DEP_1) | instskip(NEXT) | instid1(VALU_DEP_1)
	v_lshlrev_b64_e32 v[41:42], 1, v[41:42]
	v_add_co_u32 v41, s4, v15, v41
	s_wait_alu 0xf1ff
	s_delay_alu instid0(VALU_DEP_2)
	v_add_co_ci_u32_e64 v42, null, v16, v42, s4
	s_clause 0xb
	global_load_b32 v43, v[41:42], off offset:128
	global_load_b32 v44, v[41:42], off
	global_load_b32 v45, v[41:42], off offset:256
	global_load_b32 v46, v[41:42], off offset:384
	global_load_b32 v47, v[41:42], off offset:512
	global_load_b32 v48, v[41:42], off offset:640
	global_load_b32 v49, v[41:42], off offset:768
	global_load_b32 v50, v[41:42], off offset:896
	global_load_b32 v51, v[41:42], off offset:1024
	global_load_b32 v52, v[41:42], off offset:1152
	global_load_b32 v53, v[41:42], off offset:1280
	global_load_b32 v41, v[41:42], off offset:1408
	s_wait_loadcnt 0xa
	v_lshlrev_b32_e32 v54, 16, v44
	s_wait_loadcnt 0x9
	v_lshlrev_b32_e32 v55, 16, v45
	v_and_b32_e32 v45, 0xffff0000, v45
	v_and_b32_e32 v44, 0xffff0000, v44
	v_lshlrev_b32_e32 v42, 16, v43
	v_and_b32_e32 v43, 0xffff0000, v43
	s_delay_alu instid0(VALU_DEP_1) | instskip(NEXT) | instid1(VALU_DEP_1)
	v_mul_f32_e32 v43, v10, v43
	v_dual_fmac_f32 v43, v8, v44 :: v_dual_mul_f32 v42, v9, v42
	s_delay_alu instid0(VALU_DEP_1) | instskip(NEXT) | instid1(VALU_DEP_1)
	v_fmac_f32_e32 v42, v7, v54
	v_dual_fmac_f32 v42, v11, v55 :: v_dual_fmac_f32 v43, v12, v45
	s_wait_loadcnt 0x7
	v_lshlrev_b32_e32 v45, 16, v47
	v_and_b32_e32 v47, 0xffff0000, v47
	v_lshlrev_b32_e32 v44, 16, v46
	v_and_b32_e32 v46, 0xffff0000, v46
	s_wait_loadcnt 0x6
	s_delay_alu instid0(VALU_DEP_1) | instskip(NEXT) | instid1(VALU_DEP_1)
	v_dual_fmac_f32 v43, v14, v46 :: v_dual_and_b32 v46, 0xffff0000, v48
	v_dual_fmac_f32 v43, v18, v47 :: v_dual_fmac_f32 v42, v13, v44
	v_lshlrev_b32_e32 v44, 16, v48
	s_delay_alu instid0(VALU_DEP_2) | instskip(SKIP_1) | instid1(VALU_DEP_1)
	v_fmac_f32_e32 v42, v17, v45
	s_wait_loadcnt 0x5
	v_dual_fmac_f32 v42, v19, v44 :: v_dual_lshlrev_b32 v45, 16, v49
	v_fmac_f32_e32 v43, v20, v46
	s_wait_loadcnt 0x4
	v_lshlrev_b32_e32 v44, 16, v50
	s_delay_alu instid0(VALU_DEP_3) | instskip(NEXT) | instid1(VALU_DEP_1)
	v_fmac_f32_e32 v42, v21, v45
	v_dual_fmac_f32 v42, v25, v44 :: v_dual_and_b32 v47, 0xffff0000, v49
	s_wait_loadcnt 0x2
	v_lshlrev_b32_e32 v44, 16, v52
	v_lshlrev_b32_e32 v45, 16, v51
	s_delay_alu instid0(VALU_DEP_3) | instskip(NEXT) | instid1(VALU_DEP_2)
	v_fmac_f32_e32 v43, v22, v47
	v_dual_fmac_f32 v42, v27, v45 :: v_dual_and_b32 v47, 0xffff0000, v51
	s_delay_alu instid0(VALU_DEP_1)
	v_fmac_f32_e32 v42, v29, v44
	s_wait_loadcnt 0x0
	v_lshlrev_b32_e32 v44, 16, v41
	v_and_b32_e32 v41, 0xffff0000, v41
	v_and_b32_e32 v46, 0xffff0000, v50
	v_lshlrev_b32_e32 v45, 16, v53
	s_delay_alu instid0(VALU_DEP_2) | instskip(NEXT) | instid1(VALU_DEP_1)
	v_dual_fmac_f32 v43, v26, v46 :: v_dual_and_b32 v46, 0xffff0000, v52
	v_dual_fmac_f32 v42, v31, v45 :: v_dual_fmac_f32 v43, v28, v47
	s_delay_alu instid0(VALU_DEP_1) | instskip(NEXT) | instid1(VALU_DEP_2)
	v_dual_fmac_f32 v42, v34, v44 :: v_dual_and_b32 v47, 0xffff0000, v53
	v_fmac_f32_e32 v43, v30, v46
	s_delay_alu instid0(VALU_DEP_1) | instskip(NEXT) | instid1(VALU_DEP_1)
	v_fmac_f32_e32 v43, v33, v47
	v_fmac_f32_e32 v43, v35, v41
	s_delay_alu instid0(VALU_DEP_1)
	v_add_f32_e32 v41, v42, v43
	ds_bpermute_b32 v42, v36, v41
	s_wait_dscnt 0x0
	v_add_f32_e32 v41, v41, v42
	ds_bpermute_b32 v42, v37, v41
	s_and_saveexec_b32 s5, vcc_lo
	s_cbranch_execz .LBB147_9
; %bb.11:                               ;   in Loop: Header=BB147_10 Depth=1
	s_wait_dscnt 0x0
	v_add_f32_e32 v41, v41, v42
	v_add_nc_u32_e32 v43, s22, v38
	v_cmp_gt_i32_e64 s4, s25, v38
	s_delay_alu instid0(VALU_DEP_2) | instskip(NEXT) | instid1(VALU_DEP_1)
	v_cvt_f32_i32_e32 v43, v43
	v_mul_f32_e32 v43, s6, v43
	s_delay_alu instid0(VALU_DEP_1) | instskip(NEXT) | instid1(VALU_DEP_1)
	v_cndmask_b32_e64 v42, 0, v43, s3
	v_dual_max_num_f32 v43, v32, v32 :: v_dual_fmac_f32 v42, s7, v41
	s_delay_alu instid0(VALU_DEP_1) | instskip(SKIP_2) | instid1(VALU_DEP_2)
	v_max_num_f32_e32 v41, v43, v42
	s_wait_alu 0xf1ff
	v_cndmask_b32_e64 v42, 0, v42, s4
	v_cndmask_b32_e64 v32, v32, v41, s4
	ds_store_b32 v39, v42
	s_branch .LBB147_9
.LBB147_12:
	s_or_b32 exec_lo, exec_lo, s10
.LBB147_13:
	s_delay_alu instid0(SALU_CYCLE_1)
	s_or_b32 exec_lo, exec_lo, s11
	v_xor_b32_e32 v1, 16, v4
	v_xor_b32_e32 v7, 8, v4
	;; [unrolled: 1-line block ×3, first 2 shown]
	s_clause 0x2
	s_load_b128 s[4:7], s[0:1], 0x0
	s_load_b64 s[10:11], s[0:1], 0x10
	s_load_b64 s[22:23], s[0:1], 0x28
	v_and_b32_e32 v25, 31, v0
	v_cmp_lt_i32_e32 vcc_lo, v1, v6
	s_wait_alu 0xfffd
	v_cndmask_b32_e32 v1, v4, v1, vcc_lo
	v_cmp_lt_i32_e32 vcc_lo, v7, v6
	s_wait_alu 0xfffd
	s_delay_alu instid0(VALU_DEP_2)
	v_dual_cndmask_b32 v7, v4, v7 :: v_dual_lshlrev_b32 v2, 2, v1
	v_cmp_lt_i32_e32 vcc_lo, v9, v6
	ds_bpermute_b32 v1, v2, v32
	v_dual_max_num_f32 v8, v32, v32 :: v_dual_lshlrev_b32 v7, 2, v7
	s_wait_alu 0xfffd
	v_cndmask_b32_e32 v9, v4, v9, vcc_lo
	v_cmp_eq_u32_e32 vcc_lo, 0, v25
	s_delay_alu instid0(VALU_DEP_2) | instskip(SKIP_2) | instid1(VALU_DEP_1)
	v_lshlrev_b32_e32 v10, 2, v9
	s_wait_dscnt 0x0
	v_max_num_f32_e32 v1, v1, v1
	v_max_num_f32_e32 v1, v8, v1
	ds_bpermute_b32 v8, v7, v1
	s_wait_dscnt 0x0
	v_max_num_f32_e32 v8, v8, v8
	s_delay_alu instid0(VALU_DEP_1)
	v_dual_max_num_f32 v1, v1, v8 :: v_dual_lshlrev_b32 v8, 2, v23
	ds_bpermute_b32 v9, v10, v1
	s_and_saveexec_b32 s0, vcc_lo
	s_cbranch_execz .LBB147_15
; %bb.14:
	s_wait_dscnt 0x0
	v_max_num_f32_e32 v9, v9, v9
	v_max_num_f32_e32 v1, v1, v1
	s_delay_alu instid0(VALU_DEP_1)
	v_max_num_f32_e32 v1, v1, v9
	ds_store_b32 v8, v1 offset:192
.LBB147_15:
	s_or_b32 exec_lo, exec_lo, s0
	v_cmp_gt_u32_e64 s0, 4, v25
	v_mov_b32_e32 v1, 0xff7fffff
	s_wait_dscnt 0x0
	v_lshlrev_b32_e32 v9, 2, v25
	s_wait_loadcnt 0x0
	s_barrier_signal -1
	s_barrier_wait -1
	global_inv scope:SCOPE_SE
	s_and_saveexec_b32 s1, s0
; %bb.16:
	ds_load_b32 v1, v9 offset:192
; %bb.17:
	s_or_b32 exec_lo, exec_lo, s1
	v_xor_b32_e32 v11, 2, v4
	v_xor_b32_e32 v13, 1, v4
	v_lshlrev_b32_e32 v5, 2, v5
	s_delay_alu instid0(VALU_DEP_3) | instskip(NEXT) | instid1(VALU_DEP_1)
	v_cmp_lt_i32_e64 s1, v11, v6
	v_cndmask_b32_e64 v11, v4, v11, s1
	s_delay_alu instid0(VALU_DEP_4) | instskip(NEXT) | instid1(VALU_DEP_2)
	v_cmp_lt_i32_e64 s1, v13, v6
	v_lshlrev_b32_e32 v11, 2, v11
	s_wait_alu 0xf1ff
	s_delay_alu instid0(VALU_DEP_2)
	v_cndmask_b32_e64 v6, v4, v13, s1
	s_sub_co_i32 s1, s13, s28
	s_wait_alu 0xfffe
	s_lshl_b32 s1, s1, 3
	s_wait_dscnt 0x0
	ds_bpermute_b32 v12, v11, v1
	v_dual_max_num_f32 v1, v1, v1 :: v_dual_lshlrev_b32 v6, 2, v6
	s_wait_alu 0xfffe
	s_add_co_i32 s1, s1, s26
	s_wait_alu 0xfffe
	s_min_i32 s1, s1, s25
	s_wait_alu 0xfffe
	s_sub_co_i32 s21, s1, s26
	s_wait_alu 0xfffe
	v_cmp_gt_i32_e64 s1, s21, v0
	s_wait_dscnt 0x0
	v_max_num_f32_e32 v12, v12, v12
	s_delay_alu instid0(VALU_DEP_1) | instskip(SKIP_3) | instid1(VALU_DEP_1)
	v_max_num_f32_e32 v1, v1, v12
	ds_bpermute_b32 v12, v6, v1
	s_wait_dscnt 0x0
	v_max_num_f32_e32 v12, v12, v12
	v_dual_max_num_f32 v1, v1, v12 :: v_dual_mov_b32 v12, 0
	ds_bpermute_b32 v1, v5, v1
	v_lshl_add_u32 v5, v0, 2, 0xe0
	s_and_saveexec_b32 s28, s1
	s_cbranch_execz .LBB147_21
; %bb.18:
	v_lshl_add_u32 v13, v0, 2, 0xe0
	v_mov_b32_e32 v12, 0
	v_mov_b32_e32 v14, v0
	s_mov_b32 s29, 0
.LBB147_19:                             ; =>This Inner Loop Header: Depth=1
	ds_load_b32 v15, v13
	v_add_nc_u32_e32 v14, 0x80, v14
	s_delay_alu instid0(VALU_DEP_1) | instskip(SKIP_4) | instid1(VALU_DEP_1)
	v_cmp_le_i32_e64 s3, s21, v14
	s_wait_alu 0xfffe
	s_or_b32 s29, s3, s29
	s_wait_dscnt 0x0
	v_sub_f32_e32 v15, v15, v1
	v_mul_f32_e32 v15, 0x3fb8aa3b, v15
	s_delay_alu instid0(VALU_DEP_1)
	v_exp_f32_e32 v15, v15
	ds_store_b32 v13, v15
	v_dual_add_f32 v12, v12, v15 :: v_dual_add_nc_u32 v13, 0x200, v13
	s_wait_alu 0xfffe
	s_and_not1_b32 exec_lo, exec_lo, s29
	s_cbranch_execnz .LBB147_19
; %bb.20:
	s_or_b32 exec_lo, exec_lo, s29
.LBB147_21:
	s_wait_alu 0xfffe
	s_or_b32 exec_lo, exec_lo, s28
	ds_bpermute_b32 v2, v2, v12
	s_wait_dscnt 0x0
	v_add_f32_e32 v2, v12, v2
	ds_bpermute_b32 v7, v7, v2
	s_wait_dscnt 0x0
	v_add_f32_e32 v2, v2, v7
	;; [unrolled: 3-line block ×5, first 2 shown]
	s_and_saveexec_b32 s3, vcc_lo
; %bb.22:
	ds_store_b32 v8, v2 offset:208
; %bb.23:
	s_wait_alu 0xfffe
	s_or_b32 exec_lo, exec_lo, s3
	s_wait_loadcnt_dscnt 0x0
	s_barrier_signal -1
	s_barrier_wait -1
	global_inv scope:SCOPE_SE
	s_and_saveexec_b32 s3, s0
; %bb.24:
	ds_load_b32 v2, v9 offset:208
; %bb.25:
	s_wait_alu 0xfffe
	s_or_b32 exec_lo, exec_lo, s3
	s_wait_dscnt 0x0
	ds_bpermute_b32 v7, v11, v2
	v_lshlrev_b32_e32 v4, 2, v4
	s_delay_alu instid0(VALU_DEP_1)
	v_and_b32_e32 v4, 0xffffff80, v4
	s_wait_dscnt 0x0
	v_add_f32_e32 v2, v2, v7
	ds_bpermute_b32 v6, v6, v2
	s_wait_dscnt 0x0
	v_add_f32_e32 v2, v2, v6
	ds_bpermute_b32 v2, v4, v2
	s_and_saveexec_b32 s0, s1
	s_cbranch_execz .LBB147_28
; %bb.26:
	s_wait_dscnt 0x0
	v_add_f32_e32 v4, 0x358637bd, v2
	s_mov_b32 s1, 0
	s_delay_alu instid0(VALU_DEP_1) | instskip(NEXT) | instid1(VALU_DEP_1)
	v_div_scale_f32 v6, null, v4, v4, 1.0
	v_rcp_f32_e32 v7, v6
	s_delay_alu instid0(TRANS32_DEP_1) | instskip(NEXT) | instid1(VALU_DEP_1)
	v_fma_f32 v8, -v6, v7, 1.0
	v_fmac_f32_e32 v7, v8, v7
	v_div_scale_f32 v9, vcc_lo, 1.0, v4, 1.0
	s_delay_alu instid0(VALU_DEP_1) | instskip(NEXT) | instid1(VALU_DEP_1)
	v_mul_f32_e32 v8, v9, v7
	v_fma_f32 v10, -v6, v8, v9
	s_delay_alu instid0(VALU_DEP_1) | instskip(NEXT) | instid1(VALU_DEP_1)
	v_fmac_f32_e32 v8, v10, v7
	v_fma_f32 v6, -v6, v8, v9
	s_wait_alu 0xfffd
	s_delay_alu instid0(VALU_DEP_1) | instskip(NEXT) | instid1(VALU_DEP_1)
	v_div_fmas_f32 v6, v6, v7, v8
	v_div_fixup_f32 v4, v6, v4, 1.0
	v_mov_b32_e32 v6, v0
.LBB147_27:                             ; =>This Inner Loop Header: Depth=1
	ds_load_b32 v7, v5
	s_wait_dscnt 0x0
	v_dual_mul_f32 v7, v4, v7 :: v_dual_add_nc_u32 v6, 0x80, v6
	s_delay_alu instid0(VALU_DEP_1)
	v_cmp_le_i32_e32 vcc_lo, s21, v6
	ds_store_b32 v5, v7
	v_add_nc_u32_e32 v5, 0x200, v5
	s_wait_alu 0xfffe
	s_or_b32 s1, vcc_lo, s1
	s_wait_alu 0xfffe
	s_and_not1_b32 exec_lo, exec_lo, s1
	s_cbranch_execnz .LBB147_27
.LBB147_28:
	s_wait_alu 0xfffe
	s_or_b32 exec_lo, exec_lo, s0
	s_wait_kmcnt 0x0
	s_mul_i32 s0, s8, s14
	s_wait_loadcnt_dscnt 0x0
	s_wait_alu 0xfffe
	s_mul_i32 s14, s0, s15
	s_mov_b32 s0, exec_lo
	s_barrier_signal -1
	s_barrier_wait -1
	global_inv scope:SCOPE_SE
	v_cmpx_eq_u32_e32 0, v0
	s_cbranch_execz .LBB147_30
; %bb.29:
	s_ashr_i32 s15, s14, 31
	s_wait_alu 0xfffe
	s_mul_i32 s28, s8, ttmp9
	s_lshl_b32 s1, s24, 2
	s_lshl_b64 s[30:31], s[14:15], 2
	s_wait_alu 0xfffe
	s_ashr_i32 s29, s28, 31
	v_mov_b32_e32 v4, s1
	s_add_nc_u64 s[6:7], s[6:7], s[30:31]
	s_wait_alu 0xfffe
	s_lshl_b64 s[28:29], s[28:29], 2
	s_add_nc_u64 s[4:5], s[4:5], s[30:31]
	s_wait_alu 0xfffe
	s_add_nc_u64 s[6:7], s[6:7], s[28:29]
	s_add_nc_u64 s[4:5], s[4:5], s[28:29]
	s_clause 0x1
	global_store_b32 v4, v1, s[6:7]
	global_store_b32 v4, v2, s[4:5]
.LBB147_30:
	s_wait_alu 0xfffe
	s_or_b32 exec_lo, exec_lo, s0
	v_dual_mov_b32 v28, 0 :: v_dual_mov_b32 v27, 0
	v_mov_b32_e32 v26, 0
	s_and_saveexec_b32 s1, s2
	s_cbranch_execz .LBB147_40
; %bb.31:
	s_ashr_i32 s21, s20, 31
	v_dual_mov_b32 v26, 0 :: v_dual_lshlrev_b32 v1, 4, v25
	s_wait_alu 0xfffe
	s_lshl_b64 s[4:5], s[20:21], 1
	v_lshl_add_u32 v31, v23, 3, s26
	s_wait_alu 0xfffe
	s_add_nc_u64 s[4:5], s[22:23], s[4:5]
	v_lshl_add_u32 v32, v23, 5, 0xe0
	s_wait_alu 0xfffe
	v_add_co_u32 v29, s0, s4, v1
	s_wait_alu 0xf1ff
	v_add_co_ci_u32_e64 v30, null, s5, 0, s0
	s_lshl_b64 s[4:5], s[16:17], 2
	v_dual_mov_b32 v27, 0 :: v_dual_mov_b32 v28, 0
	s_wait_alu 0xfffe
	s_add_nc_u64 s[4:5], s[18:19], s[4:5]
	s_mov_b32 s2, s9
	s_wait_alu 0xfffe
	v_add_co_u32 v21, s0, s4, v3
	s_wait_alu 0xf1ff
	v_add_co_ci_u32_e64 v22, null, s5, 0, s0
	s_add_co_i32 s27, s27, -1
	s_mov_b32 s4, s25
	s_mov_b32 s3, 0
	s_branch .LBB147_33
.LBB147_32:                             ;   in Loop: Header=BB147_33 Depth=1
	s_wait_alu 0xfffe
	s_or_b32 exec_lo, exec_lo, s0
	s_wait_dscnt 0x1
	v_bfe_u32 v33, v17, 16, 1
	v_bfe_u32 v34, v18, 16, 1
	v_or_b32_e32 v35, 0x400000, v17
	v_cmp_u_f32_e32 vcc_lo, v17, v17
	v_or_b32_e32 v36, 0x400000, v18
	v_add3_u32 v33, v33, v17, 0x7fff
	v_bfe_u32 v37, v19, 16, 1
	v_add3_u32 v34, v34, v18, 0x7fff
	v_bfe_u32 v38, v20, 16, 1
	v_add_co_u32 v21, s0, v21, 16
	s_wait_alu 0xfffd
	v_cndmask_b32_e32 v17, v33, v35, vcc_lo
	v_cmp_u_f32_e32 vcc_lo, v18, v18
	v_add3_u32 v33, v37, v19, 0x7fff
	s_wait_dscnt 0x0
	v_bfe_u32 v35, v9, 16, 1
	v_or_b32_e32 v37, 0x400000, v20
	v_add_nc_u32_e32 v32, 0x80, v32
	s_wait_alu 0xfffd
	v_cndmask_b32_e32 v18, v34, v36, vcc_lo
	v_or_b32_e32 v34, 0x400000, v19
	v_cmp_u_f32_e32 vcc_lo, v19, v19
	v_add3_u32 v36, v38, v20, 0x7fff
	s_wait_alu 0xf1ff
	v_add_co_ci_u32_e64 v22, null, 0, v22, s0
	v_and_b32_e32 v17, 0xffff0000, v17
	s_wait_alu 0xfffd
	v_cndmask_b32_e32 v19, v33, v34, vcc_lo
	v_cmp_u_f32_e32 vcc_lo, v20, v20
	v_add3_u32 v33, v35, v9, 0x7fff
	v_or_b32_e32 v34, 0x400000, v9
	v_bfe_u32 v35, v10, 16, 1
	s_wait_alu 0xfffd
	v_dual_cndmask_b32 v20, v36, v37 :: v_dual_add_nc_u32 v31, 32, v31
	v_cmp_u_f32_e32 vcc_lo, v9, v9
	v_or_b32_e32 v36, 0x400000, v10
	v_add3_u32 v35, v35, v10, 0x7fff
	v_or_b32_e32 v37, 0x400000, v11
	s_wait_alu 0xfffd
	v_dual_cndmask_b32 v9, v33, v34 :: v_dual_and_b32 v20, 0xffff0000, v20
	s_wait_loadcnt 0x1
	v_and_b32_e32 v34, 0xffff0000, v13
	v_bfe_u32 v33, v11, 16, 1
	v_cmp_u_f32_e32 vcc_lo, v10, v10
	v_lshlrev_b32_e32 v13, 16, v13
	v_and_b32_e32 v9, 0xffff0000, v9
	v_add_nc_u32_e32 v24, 4, v24
	v_add3_u32 v33, v33, v11, 0x7fff
	s_wait_alu 0xfffd
	v_cndmask_b32_e32 v10, v35, v36, vcc_lo
	v_cmp_u_f32_e32 vcc_lo, v11, v11
	v_and_b32_e32 v18, 0xffff0000, v18
	v_bfe_u32 v35, v12, 16, 1
	v_or_b32_e32 v36, 0x400000, v12
	v_mul_f32_e32 v13, v17, v13
	s_wait_alu 0xfffd
	v_dual_cndmask_b32 v11, v33, v37 :: v_dual_mul_f32 v34, v18, v34
	v_add3_u32 v35, v35, v12, 0x7fff
	v_cmp_u_f32_e32 vcc_lo, v12, v12
	s_delay_alu instid0(VALU_DEP_3)
	v_bfe_u32 v33, v34, 16, 1
	v_or_b32_e32 v37, 0x400000, v34
	s_wait_alu 0xfffd
	v_cndmask_b32_e32 v12, v35, v36, vcc_lo
	v_cmp_u_f32_e32 vcc_lo, v34, v34
	v_and_b32_e32 v36, 0xffff0000, v15
	v_add3_u32 v33, v33, v34, 0x7fff
	v_and_b32_e32 v38, 0xffff0000, v14
	v_bfe_u32 v34, v13, 16, 1
	s_wait_alu 0xfffd
	s_delay_alu instid0(VALU_DEP_3) | instskip(NEXT) | instid1(VALU_DEP_3)
	v_cndmask_b32_e32 v33, v33, v37, vcc_lo
	v_mul_f32_e32 v35, v20, v38
	s_delay_alu instid0(VALU_DEP_3)
	v_add3_u32 v34, v34, v13, 0x7fff
	v_or_b32_e32 v37, 0x400000, v13
	v_cmp_u_f32_e32 vcc_lo, v13, v13
	v_lshlrev_b32_e32 v14, 16, v14
	v_bfe_u32 v38, v35, 16, 1
	s_wait_alu 0xfffd
	v_dual_cndmask_b32 v13, v34, v37 :: v_dual_and_b32 v12, 0xffff0000, v12
	v_or_b32_e32 v37, 0x400000, v35
	s_delay_alu instid0(VALU_DEP_3)
	v_add3_u32 v34, v38, v35, 0x7fff
	v_cmp_u_f32_e32 vcc_lo, v35, v35
	v_lshlrev_b32_e32 v15, 16, v15
	v_and_b32_e32 v13, 0xffff0000, v13
	s_wait_alu 0xfffd
	v_cndmask_b32_e32 v34, v34, v37, vcc_lo
	s_delay_alu instid0(VALU_DEP_3) | instskip(NEXT) | instid1(VALU_DEP_1)
	v_dual_mul_f32 v15, v9, v15 :: v_dual_and_b32 v10, 0xffff0000, v10
	v_dual_mul_f32 v36, v10, v36 :: v_dual_and_b32 v19, 0xffff0000, v19
	s_delay_alu instid0(VALU_DEP_2) | instskip(NEXT) | instid1(VALU_DEP_2)
	v_bfe_u32 v41, v15, 16, 1
	v_dual_mul_f32 v14, v19, v14 :: v_dual_and_b32 v33, 0xffff0000, v33
	s_delay_alu instid0(VALU_DEP_3) | instskip(SKIP_1) | instid1(VALU_DEP_3)
	v_bfe_u32 v39, v36, 16, 1
	v_or_b32_e32 v40, 0x400000, v36
	v_bfe_u32 v38, v14, 16, 1
	s_delay_alu instid0(VALU_DEP_4) | instskip(SKIP_2) | instid1(VALU_DEP_4)
	v_dual_add_f32 v13, v13, v33 :: v_dual_and_b32 v34, 0xffff0000, v34
	v_and_b32_e32 v33, 0xffff0000, v1
	v_lshlrev_b32_e32 v1, 16, v1
	v_add3_u32 v35, v38, v14, 0x7fff
	v_add3_u32 v38, v39, v36, 0x7fff
	v_and_b32_e32 v39, 0xffff0000, v16
	v_or_b32_e32 v37, 0x400000, v14
	v_cmp_u_f32_e32 vcc_lo, v14, v14
	v_dual_mul_f32 v1, v17, v1 :: v_dual_lshlrev_b32 v16, 16, v16
	s_wait_alu 0xfffd
	s_delay_alu instid0(VALU_DEP_3) | instskip(SKIP_2) | instid1(VALU_DEP_3)
	v_dual_cndmask_b32 v14, v35, v37 :: v_dual_mul_f32 v35, v12, v39
	v_cmp_u_f32_e32 vcc_lo, v36, v36
	v_add3_u32 v37, v41, v15, 0x7fff
	v_and_b32_e32 v14, 0xffff0000, v14
	s_delay_alu instid0(VALU_DEP_4)
	v_bfe_u32 v39, v35, 16, 1
	s_wait_alu 0xfffd
	v_cndmask_b32_e32 v36, v38, v40, vcc_lo
	v_or_b32_e32 v38, 0x400000, v15
	v_dual_add_f32 v14, v14, v34 :: v_dual_and_b32 v11, 0xffff0000, v11
	v_cmp_u_f32_e32 vcc_lo, v15, v15
	s_delay_alu instid0(VALU_DEP_2)
	v_dual_add_f32 v13, v14, v13 :: v_dual_and_b32 v34, 0xffff0000, v36
	s_wait_alu 0xfffd
	v_cndmask_b32_e32 v15, v37, v38, vcc_lo
	v_add3_u32 v37, v39, v35, 0x7fff
	v_or_b32_e32 v38, 0x400000, v35
	v_mul_f32_e32 v16, v11, v16
	v_cmp_u_f32_e32 vcc_lo, v35, v35
	v_dual_mul_f32 v14, v18, v33 :: v_dual_and_b32 v15, 0xffff0000, v15
	s_wait_alu 0xfffd
	v_cndmask_b32_e32 v35, v37, v38, vcc_lo
	v_bfe_u32 v37, v16, 16, 1
	s_delay_alu instid0(VALU_DEP_3)
	v_add_f32_e32 v15, v15, v34
	v_cmp_u_f32_e32 vcc_lo, v16, v16
	v_bfe_u32 v33, v14, 16, 1
	v_or_b32_e32 v34, 0x400000, v14
	v_add3_u32 v36, v37, v16, 0x7fff
	v_or_b32_e32 v37, 0x400000, v16
	v_add_f32_e32 v13, v15, v13
	v_and_b32_e32 v15, 0xffff0000, v2
	v_add3_u32 v33, v33, v14, 0x7fff
	s_wait_alu 0xfffd
	v_cndmask_b32_e32 v16, v36, v37, vcc_lo
	v_bfe_u32 v36, v1, 16, 1
	v_mul_f32_e32 v15, v20, v15
	v_cmp_u_f32_e32 vcc_lo, v14, v14
	v_or_b32_e32 v37, 0x400000, v1
	v_and_b32_e32 v16, 0xffff0000, v16
	s_delay_alu instid0(VALU_DEP_4)
	v_or_b32_e32 v38, 0x400000, v15
	s_wait_alu 0xfffd
	v_cndmask_b32_e32 v14, v33, v34, vcc_lo
	v_bfe_u32 v33, v15, 16, 1
	v_add3_u32 v34, v36, v1, 0x7fff
	v_cmp_u_f32_e32 vcc_lo, v1, v1
	v_lshlrev_b32_e32 v2, 16, v2
	v_and_b32_e32 v14, 0xffff0000, v14
	v_add3_u32 v33, v33, v15, 0x7fff
	s_wait_alu 0xfffd
	s_delay_alu instid0(VALU_DEP_3)
	v_dual_cndmask_b32 v1, v34, v37 :: v_dual_mul_f32 v2, v19, v2
	v_cmp_u_f32_e32 vcc_lo, v15, v15
	v_and_b32_e32 v36, 0xffff0000, v3
	v_lshlrev_b32_e32 v3, 16, v3
	v_and_b32_e32 v37, 0xffff0000, v4
	v_bfe_u32 v34, v2, 16, 1
	s_wait_alu 0xfffd
	v_dual_cndmask_b32 v15, v33, v38 :: v_dual_mul_f32 v36, v10, v36
	v_or_b32_e32 v38, 0x400000, v2
	v_dual_mul_f32 v3, v9, v3 :: v_dual_lshlrev_b32 v4, 16, v4
	v_add3_u32 v34, v34, v2, 0x7fff
	s_delay_alu instid0(VALU_DEP_4)
	v_bfe_u32 v33, v36, 16, 1
	v_cmp_u_f32_e32 vcc_lo, v2, v2
	v_mul_f32_e32 v37, v12, v37
	v_or_b32_e32 v39, 0x400000, v36
	v_dual_mul_f32 v4, v11, v4 :: v_dual_and_b32 v35, 0xffff0000, v35
	v_add3_u32 v33, v33, v36, 0x7fff
	s_wait_alu 0xfffd
	v_cndmask_b32_e32 v2, v34, v38, vcc_lo
	v_bfe_u32 v34, v3, 16, 1
	v_cmp_u_f32_e32 vcc_lo, v36, v36
	v_bfe_u32 v38, v37, 16, 1
	v_or_b32_e32 v36, 0x400000, v3
	v_and_b32_e32 v2, 0xffff0000, v2
	v_add3_u32 v34, v34, v3, 0x7fff
	s_wait_alu 0xfffd
	v_cndmask_b32_e32 v33, v33, v39, vcc_lo
	v_cmp_u_f32_e32 vcc_lo, v3, v3
	v_add3_u32 v38, v38, v37, 0x7fff
	v_or_b32_e32 v39, 0x400000, v37
	v_and_b32_e32 v15, 0xffff0000, v15
	v_and_b32_e32 v1, 0xffff0000, v1
	s_wait_alu 0xfffd
	v_cndmask_b32_e32 v3, v34, v36, vcc_lo
	v_cmp_u_f32_e32 vcc_lo, v37, v37
	v_bfe_u32 v36, v4, 16, 1
	v_or_b32_e32 v37, 0x400000, v4
	v_dual_add_f32 v2, v2, v15 :: v_dual_add_f32 v1, v1, v14
	v_and_b32_e32 v14, 0xffff0000, v33
	s_wait_alu 0xfffd
	v_cndmask_b32_e32 v34, v38, v39, vcc_lo
	v_add3_u32 v36, v36, v4, 0x7fff
	s_wait_loadcnt 0x0
	v_lshlrev_b32_e32 v38, 16, v5
	v_cmp_u_f32_e32 vcc_lo, v4, v4
	v_add_f32_e32 v1, v2, v1
	s_wait_alu 0xfffd
	s_delay_alu instid0(VALU_DEP_3) | instskip(NEXT) | instid1(VALU_DEP_1)
	v_dual_cndmask_b32 v4, v36, v37 :: v_dual_mul_f32 v15, v17, v38
	v_and_b32_e32 v4, 0xffff0000, v4
	s_delay_alu instid0(VALU_DEP_2) | instskip(SKIP_2) | instid1(VALU_DEP_3)
	v_bfe_u32 v2, v15, 16, 1
	v_or_b32_e32 v17, 0x400000, v15
	v_cmp_u_f32_e32 vcc_lo, v15, v15
	v_add3_u32 v2, v2, v15, 0x7fff
	s_wait_alu 0xfffd
	s_delay_alu instid0(VALU_DEP_1) | instskip(NEXT) | instid1(VALU_DEP_1)
	v_dual_cndmask_b32 v2, v2, v17 :: v_dual_and_b32 v3, 0xffff0000, v3
	v_add_f32_e32 v3, v3, v14
	v_lshlrev_b32_e32 v14, 16, v6
	v_and_b32_e32 v6, 0xffff0000, v6
	v_and_b32_e32 v5, 0xffff0000, v5
	;; [unrolled: 1-line block ×3, first 2 shown]
	s_delay_alu instid0(VALU_DEP_4) | instskip(NEXT) | instid1(VALU_DEP_3)
	v_mul_f32_e32 v14, v19, v14
	v_dual_mul_f32 v6, v20, v6 :: v_dual_mul_f32 v5, v18, v5
	v_lshlrev_b32_e32 v19, 16, v7
	v_and_b32_e32 v7, 0xffff0000, v7
	s_delay_alu instid0(VALU_DEP_1)
	v_dual_mul_f32 v7, v10, v7 :: v_dual_lshlrev_b32 v10, 16, v8
	v_and_b32_e32 v8, 0xffff0000, v8
	v_bfe_u32 v18, v5, 16, 1
	v_or_b32_e32 v17, 0x400000, v5
	v_cmp_u_f32_e32 vcc_lo, v5, v5
	v_mul_f32_e32 v10, v11, v10
	v_mul_f32_e32 v8, v12, v8
	v_add3_u32 v15, v18, v5, 0x7fff
	v_bfe_u32 v18, v14, 16, 1
	v_add_f32_e32 v1, v3, v1
	s_wait_alu 0xfffd
	s_delay_alu instid0(VALU_DEP_3) | instskip(NEXT) | instid1(VALU_DEP_3)
	v_cndmask_b32_e32 v5, v15, v17, vcc_lo
	v_add3_u32 v15, v18, v14, 0x7fff
	v_or_b32_e32 v17, 0x400000, v14
	v_bfe_u32 v18, v6, 16, 1
	v_cmp_u_f32_e32 vcc_lo, v14, v14
	s_wait_alu 0xfffd
	s_delay_alu instid0(VALU_DEP_3) | instskip(NEXT) | instid1(VALU_DEP_3)
	v_cndmask_b32_e32 v14, v15, v17, vcc_lo
	v_add3_u32 v15, v18, v6, 0x7fff
	v_or_b32_e32 v17, 0x400000, v6
	v_cmp_u_f32_e32 vcc_lo, v6, v6
	v_mul_f32_e32 v9, v9, v19
	v_bfe_u32 v19, v8, 16, 1
	s_wait_alu 0xfffd
	v_cndmask_b32_e32 v6, v15, v17, vcc_lo
	s_delay_alu instid0(VALU_DEP_3)
	v_bfe_u32 v18, v9, 16, 1
	v_bfe_u32 v15, v7, 16, 1
	v_or_b32_e32 v11, 0x400000, v9
	v_cmp_u_f32_e32 vcc_lo, v9, v9
	v_and_b32_e32 v6, 0xffff0000, v6
	v_add3_u32 v17, v18, v9, 0x7fff
	v_add3_u32 v12, v15, v7, 0x7fff
	v_or_b32_e32 v15, 0x400000, v7
	v_bfe_u32 v18, v10, 16, 1
	s_wait_alu 0xfffd
	v_cndmask_b32_e32 v9, v17, v11, vcc_lo
	v_cmp_u_f32_e32 vcc_lo, v7, v7
	v_or_b32_e32 v17, 0x400000, v10
	v_add3_u32 v11, v18, v10, 0x7fff
	s_wait_alu 0xfffd
	v_cndmask_b32_e32 v7, v12, v15, vcc_lo
	v_add3_u32 v12, v19, v8, 0x7fff
	v_or_b32_e32 v15, 0x400000, v8
	v_cmp_u_f32_e32 vcc_lo, v8, v8
	s_wait_alu 0xfffd
	s_delay_alu instid0(VALU_DEP_2) | instskip(SKIP_2) | instid1(VALU_DEP_3)
	v_dual_cndmask_b32 v8, v12, v15 :: v_dual_and_b32 v5, 0xffff0000, v5
	v_cmp_u_f32_e32 vcc_lo, v10, v10
	v_and_b32_e32 v14, 0xffff0000, v14
	v_add_f32_e32 v2, v2, v5
	v_and_b32_e32 v10, 0xffff0000, v34
	s_delay_alu instid0(VALU_DEP_3)
	v_dual_add_f32 v5, v14, v6 :: v_dual_and_b32 v6, 0xffff0000, v7
	v_and_b32_e32 v7, 0xffff0000, v9
	s_wait_alu 0xfffd
	v_cndmask_b32_e32 v9, v11, v17, vcc_lo
	v_add_f32_e32 v3, v4, v10
	v_add_f32_e32 v2, v5, v2
	v_cmp_le_i32_e32 vcc_lo, s13, v24
	v_dual_add_f32 v5, v7, v6 :: v_dual_and_b32 v6, 0xffff0000, v8
	v_dual_add_f32 v8, v16, v35 :: v_dual_and_b32 v7, 0xffff0000, v9
	s_or_b32 s3, vcc_lo, s3
	s_delay_alu instid0(VALU_DEP_2) | instskip(NEXT) | instid1(VALU_DEP_2)
	v_add_f32_e32 v2, v5, v2
	v_dual_add_f32 v4, v7, v6 :: v_dual_add_f32 v5, v8, v13
	s_delay_alu instid0(VALU_DEP_1) | instskip(NEXT) | instid1(VALU_DEP_2)
	v_dual_add_f32 v1, v3, v1 :: v_dual_add_f32 v2, v4, v2
	v_add_f32_e32 v27, v27, v5
	s_delay_alu instid0(VALU_DEP_2) | instskip(NEXT) | instid1(VALU_DEP_3)
	v_add_f32_e32 v28, v28, v1
	v_add_f32_e32 v26, v26, v2
	s_wait_alu 0xfffe
	s_and_not1_b32 exec_lo, exec_lo, s3
	s_cbranch_execz .LBB147_39
.LBB147_33:                             ; =>This Inner Loop Header: Depth=1
	global_load_b32 v1, v[21:22], off
	v_add_nc_u32_e32 v38, 1, v31
	v_or_b32_e32 v37, 3, v31
	v_or_b32_e32 v39, 2, v31
	;; [unrolled: 1-line block ×6, first 2 shown]
	s_wait_loadcnt 0x0
	v_mad_co_i64_i32 v[1:2], null, v1, s2, 0
	s_delay_alu instid0(VALU_DEP_1) | instskip(NEXT) | instid1(VALU_DEP_1)
	v_lshlrev_b64_e32 v[1:2], 1, v[1:2]
	v_add_co_u32 v5, vcc_lo, v29, v1
	s_wait_alu 0xfffd
	s_delay_alu instid0(VALU_DEP_2)
	v_add_co_ci_u32_e64 v6, null, v30, v2, vcc_lo
	s_wait_alu 0xfffe
	v_cmp_eq_u32_e32 vcc_lo, s27, v24
	global_load_b128 v[1:4], v[5:6], off
	ds_load_2addr_b64 v[17:20], v32 offset1:1
	ds_load_2addr_b64 v[9:12], v32 offset0:2 offset1:3
	s_and_saveexec_b32 s5, vcc_lo
	s_cbranch_execnz .LBB147_36
; %bb.34:                               ;   in Loop: Header=BB147_33 Depth=1
	s_wait_alu 0xfffe
	s_or_b32 exec_lo, exec_lo, s5
	global_load_b128 v[13:16], v[5:6], off offset:512
	s_and_saveexec_b32 s5, vcc_lo
	s_cbranch_execnz .LBB147_37
.LBB147_35:                             ;   in Loop: Header=BB147_33 Depth=1
	s_wait_alu 0xfffe
	s_or_b32 exec_lo, exec_lo, s5
	global_load_b128 v[5:8], v[5:6], off offset:1024
	s_and_saveexec_b32 s0, vcc_lo
	s_cbranch_execz .LBB147_32
	s_branch .LBB147_38
.LBB147_36:                             ;   in Loop: Header=BB147_33 Depth=1
	v_cmp_gt_i32_e64 s0, s25, v31
	s_wait_loadcnt 0x0
	v_lshrrev_b32_e32 v7, 16, v1
	v_lshrrev_b32_e32 v8, 16, v2
	;; [unrolled: 1-line block ×4, first 2 shown]
	s_wait_alu 0xf1ff
	v_cndmask_b32_e64 v1, 0, v1, s0
	v_cmp_gt_i32_e64 s0, s4, v38
	s_wait_alu 0xf1ff
	s_delay_alu instid0(VALU_DEP_1) | instskip(SKIP_1) | instid1(VALU_DEP_2)
	v_cndmask_b32_e64 v7, 0, v7, s0
	v_cmp_gt_i32_e64 s0, s25, v39
	v_perm_b32 v1, v7, v1, 0x5040100
	s_wait_alu 0xf1ff
	s_delay_alu instid0(VALU_DEP_2) | instskip(SKIP_2) | instid1(VALU_DEP_1)
	v_cndmask_b32_e64 v2, 0, v2, s0
	v_cmp_gt_i32_e64 s0, s4, v37
	s_wait_alu 0xf1ff
	v_cndmask_b32_e64 v8, 0, v8, s0
	v_cmp_gt_i32_e64 s0, s25, v36
	s_delay_alu instid0(VALU_DEP_2) | instskip(SKIP_1) | instid1(VALU_DEP_2)
	v_perm_b32 v2, v8, v2, 0x5040100
	s_wait_alu 0xf1ff
	v_cndmask_b32_e64 v3, 0, v3, s0
	v_cmp_gt_i32_e64 s0, s4, v34
	s_wait_alu 0xf1ff
	s_delay_alu instid0(VALU_DEP_1) | instskip(SKIP_1) | instid1(VALU_DEP_2)
	v_cndmask_b32_e64 v13, 0, v13, s0
	v_cmp_gt_i32_e64 s0, s25, v35
	v_perm_b32 v3, v13, v3, 0x5040100
	s_wait_alu 0xf1ff
	s_delay_alu instid0(VALU_DEP_2) | instskip(SKIP_2) | instid1(VALU_DEP_1)
	v_cndmask_b32_e64 v4, 0, v4, s0
	v_cmp_gt_i32_e64 s0, s4, v33
	s_wait_alu 0xf1ff
	v_cndmask_b32_e64 v14, 0, v14, s0
	s_delay_alu instid0(VALU_DEP_1)
	v_perm_b32 v4, v14, v4, 0x5040100
	s_wait_alu 0xfffe
	s_or_b32 exec_lo, exec_lo, s5
	global_load_b128 v[13:16], v[5:6], off offset:512
	s_and_saveexec_b32 s5, vcc_lo
	s_cbranch_execz .LBB147_35
.LBB147_37:                             ;   in Loop: Header=BB147_33 Depth=1
	v_cmp_gt_i32_e64 s0, s25, v31
	s_wait_loadcnt 0x0
	v_lshrrev_b32_e32 v7, 16, v13
	v_lshrrev_b32_e32 v41, 16, v16
	s_wait_alu 0xf1ff
	v_cndmask_b32_e64 v8, 0, v13, s0
	v_cmp_gt_i32_e64 s0, s4, v38
	v_lshrrev_b32_e32 v13, 16, v14
	s_wait_alu 0xf1ff
	s_delay_alu instid0(VALU_DEP_2) | instskip(SKIP_2) | instid1(VALU_DEP_1)
	v_cndmask_b32_e64 v7, 0, v7, s0
	v_cmp_gt_i32_e64 s0, s25, v39
	s_wait_alu 0xf1ff
	v_cndmask_b32_e64 v14, 0, v14, s0
	v_cmp_gt_i32_e64 s0, s4, v37
	s_wait_alu 0xf1ff
	s_delay_alu instid0(VALU_DEP_1) | instskip(SKIP_2) | instid1(VALU_DEP_3)
	v_cndmask_b32_e64 v40, 0, v13, s0
	v_cmp_gt_i32_e64 s0, s25, v36
	v_lshrrev_b32_e32 v13, 16, v15
	v_perm_b32 v14, v40, v14, 0x5040100
	s_wait_alu 0xf1ff
	s_delay_alu instid0(VALU_DEP_3) | instskip(SKIP_2) | instid1(VALU_DEP_1)
	v_cndmask_b32_e64 v15, 0, v15, s0
	v_cmp_gt_i32_e64 s0, s4, v34
	s_wait_alu 0xf1ff
	v_cndmask_b32_e64 v42, 0, v13, s0
	v_cmp_gt_i32_e64 s0, s25, v35
	v_perm_b32 v13, v7, v8, 0x5040100
	s_delay_alu instid0(VALU_DEP_3) | instskip(SKIP_1) | instid1(VALU_DEP_3)
	v_perm_b32 v15, v42, v15, 0x5040100
	s_wait_alu 0xf1ff
	v_cndmask_b32_e64 v16, 0, v16, s0
	v_cmp_gt_i32_e64 s0, s4, v33
	s_wait_alu 0xf1ff
	s_delay_alu instid0(VALU_DEP_1) | instskip(NEXT) | instid1(VALU_DEP_1)
	v_cndmask_b32_e64 v41, 0, v41, s0
	v_perm_b32 v16, v41, v16, 0x5040100
	s_wait_alu 0xfffe
	s_or_b32 exec_lo, exec_lo, s5
	global_load_b128 v[5:8], v[5:6], off offset:1024
	s_and_saveexec_b32 s0, vcc_lo
	s_cbranch_execz .LBB147_32
.LBB147_38:                             ;   in Loop: Header=BB147_33 Depth=1
	v_cmp_gt_i32_e32 vcc_lo, s25, v31
	s_wait_loadcnt 0x0
	v_lshrrev_b32_e32 v40, 16, v5
	v_lshrrev_b32_e32 v41, 16, v6
	s_wait_alu 0xfffd
	v_cndmask_b32_e32 v5, 0, v5, vcc_lo
	v_cmp_gt_i32_e32 vcc_lo, s4, v38
	s_wait_alu 0xfffd
	v_cndmask_b32_e32 v38, 0, v40, vcc_lo
	v_cmp_gt_i32_e32 vcc_lo, s25, v39
	v_lshrrev_b32_e32 v39, 16, v7
	s_delay_alu instid0(VALU_DEP_3)
	v_perm_b32 v5, v38, v5, 0x5040100
	s_wait_alu 0xfffd
	v_cndmask_b32_e32 v6, 0, v6, vcc_lo
	v_cmp_gt_i32_e32 vcc_lo, s4, v37
	s_wait_alu 0xfffd
	v_cndmask_b32_e32 v37, 0, v41, vcc_lo
	v_cmp_gt_i32_e32 vcc_lo, s25, v36
	v_lshrrev_b32_e32 v36, 16, v8
	s_delay_alu instid0(VALU_DEP_3)
	v_perm_b32 v6, v37, v6, 0x5040100
	s_wait_alu 0xfffd
	v_cndmask_b32_e32 v7, 0, v7, vcc_lo
	v_cmp_gt_i32_e32 vcc_lo, s4, v34
	s_wait_alu 0xfffd
	v_cndmask_b32_e32 v34, 0, v39, vcc_lo
	v_cmp_gt_i32_e32 vcc_lo, s25, v35
	;; [unrolled: 3-line block ×3, first 2 shown]
	s_wait_alu 0xfffd
	v_cndmask_b32_e32 v33, 0, v36, vcc_lo
	v_perm_b32 v7, v34, v7, 0x5040100
	s_delay_alu instid0(VALU_DEP_2)
	v_perm_b32 v8, v33, v8, 0x5040100
	s_branch .LBB147_32
.LBB147_39:
	s_or_b32 exec_lo, exec_lo, s3
.LBB147_40:
	s_wait_alu 0xfffe
	s_or_b32 exec_lo, exec_lo, s1
	v_lshl_add_u32 v2, v25, 2, 0xe0
	v_and_b32_e32 v3, 0x3c0, v0
	s_mov_b32 s0, exec_lo
	s_wait_loadcnt 0x0
	s_wait_storecnt 0x0
	s_barrier_signal -1
	v_mad_u32_u24 v1, 0x180, v23, v2
	s_barrier_wait -1
	global_inv scope:SCOPE_SE
	v_cmpx_eq_u32_e32 64, v3
	s_cbranch_execz .LBB147_42
; %bb.41:
	v_add_nc_u32_e32 v3, 0xfffffd00, v1
	v_add_nc_u32_e32 v4, 0xfffffd80, v1
	v_add_nc_u32_e32 v5, 0xfffffe00, v1
	ds_store_b32 v3, v28
	ds_store_b32 v4, v27
	;; [unrolled: 1-line block ×3, first 2 shown]
.LBB147_42:
	s_wait_alu 0xfffe
	s_or_b32 exec_lo, exec_lo, s0
	s_delay_alu instid0(SALU_CYCLE_1)
	s_mov_b32 s0, exec_lo
	s_wait_loadcnt_dscnt 0x0
	s_barrier_signal -1
	s_barrier_wait -1
	global_inv scope:SCOPE_SE
	v_cmpx_gt_u32_e32 64, v0
	s_cbranch_execz .LBB147_44
; %bb.43:
	ds_load_2addr_b32 v[3:4], v1 offset1:32
	ds_load_b32 v5, v1 offset:256
	s_wait_dscnt 0x1
	v_dual_add_f32 v28, v28, v3 :: v_dual_add_f32 v27, v27, v4
	s_wait_dscnt 0x0
	v_add_f32_e32 v26, v26, v5
.LBB147_44:
	s_wait_alu 0xfffe
	s_or_b32 exec_lo, exec_lo, s0
	v_and_b32_e32 v3, 0x3e0, v0
	s_mov_b32 s0, exec_lo
	s_wait_loadcnt 0x0
	s_barrier_signal -1
	s_barrier_wait -1
	global_inv scope:SCOPE_SE
	v_cmpx_eq_u32_e32 32, v3
	s_cbranch_execz .LBB147_46
; %bb.45:
	ds_store_2addr_b32 v2, v28, v27 offset1:32
	ds_store_b32 v2, v26 offset:256
.LBB147_46:
	s_wait_alu 0xfffe
	s_or_b32 exec_lo, exec_lo, s0
	v_cmp_gt_u32_e32 vcc_lo, 32, v0
	s_wait_loadcnt_dscnt 0x0
	s_barrier_signal -1
	s_barrier_wait -1
	global_inv scope:SCOPE_SE
	s_and_saveexec_b32 s0, vcc_lo
	s_cbranch_execz .LBB147_48
; %bb.47:
	ds_load_2addr_b32 v[2:3], v1 offset1:32
	ds_load_b32 v1, v1 offset:256
	s_wait_dscnt 0x1
	v_dual_add_f32 v28, v28, v2 :: v_dual_add_f32 v27, v27, v3
	s_wait_dscnt 0x0
	v_add_f32_e32 v26, v26, v1
.LBB147_48:
	s_wait_alu 0xfffe
	s_or_b32 exec_lo, exec_lo, s0
	s_wait_loadcnt 0x0
	s_barrier_signal -1
	s_barrier_wait -1
	global_inv scope:SCOPE_SE
	s_and_saveexec_b32 s0, vcc_lo
	s_cbranch_execz .LBB147_50
; %bb.49:
	v_bfe_u32 v1, v28, 16, 1
	v_bfe_u32 v2, v27, 16, 1
	v_or_b32_e32 v4, 0x400000, v28
	v_cmp_u_f32_e32 vcc_lo, v28, v28
	v_bfe_u32 v3, v26, 16, 1
	v_add3_u32 v1, v1, v28, 0x7fff
	v_add3_u32 v2, v2, v27, 0x7fff
	v_or_b32_e32 v5, 0x400000, v27
	s_mul_i32 s0, s14, 0x60
	s_mul_i32 s2, s8, s12
	s_wait_alu 0xfffd
	v_cndmask_b32_e32 v1, v1, v4, vcc_lo
	v_cmp_u_f32_e32 vcc_lo, v27, v27
	s_wait_alu 0xfffe
	s_ashr_i32 s1, s0, 31
	s_ashr_i32 s3, s2, 31
	s_wait_alu 0xfffe
	s_lshl_b64 s[0:1], s[0:1], 1
	v_add3_u32 v3, v3, v26, 0x7fff
	v_or_b32_e32 v6, 0x400000, v26
	s_wait_alu 0xfffd
	v_cndmask_b32_e32 v2, v2, v5, vcc_lo
	v_cmp_u_f32_e32 vcc_lo, v26, v26
	s_lshl_b64 s[2:3], s[2:3], 1
	s_wait_alu 0xfffe
	s_add_nc_u64 s[0:1], s[10:11], s[0:1]
	v_lshlrev_b32_e32 v0, 1, v0
	s_mul_i32 s4, s24, 0xc0
	s_wait_alu 0xfffe
	s_add_nc_u64 s[0:1], s[0:1], s[2:3]
	s_mov_b32 s5, 0
	s_wait_alu 0xfffd
	v_cndmask_b32_e32 v3, v3, v6, vcc_lo
	s_wait_alu 0xfffe
	s_add_nc_u64 s[0:1], s[0:1], s[4:5]
	s_clause 0x2
	global_store_d16_hi_b16 v0, v1, s[0:1]
	global_store_d16_hi_b16 v0, v2, s[0:1] offset:64
	global_store_d16_hi_b16 v0, v3, s[0:1] offset:128
.LBB147_50:
	s_endpgm
	.section	.rodata,"a",@progbits
	.p2align	6, 0x0
	.amdhsa_kernel _ZN4vllm25paged_attention_v2_kernelI14__hip_bfloat16S1_Li96ELi8ELi128ELNS_18Fp8KVCacheDataTypeE0ELb0ELi512EEEvPfS3_PT_PKS4_PKT0_SA_ifPKiSC_iPKfiiiSE_SE_iiiii
		.amdhsa_group_segment_fixed_size 224
		.amdhsa_private_segment_fixed_size 0
		.amdhsa_kernarg_size 400
		.amdhsa_user_sgpr_count 2
		.amdhsa_user_sgpr_dispatch_ptr 0
		.amdhsa_user_sgpr_queue_ptr 0
		.amdhsa_user_sgpr_kernarg_segment_ptr 1
		.amdhsa_user_sgpr_dispatch_id 0
		.amdhsa_user_sgpr_private_segment_size 0
		.amdhsa_wavefront_size32 1
		.amdhsa_uses_dynamic_stack 0
		.amdhsa_enable_private_segment 0
		.amdhsa_system_sgpr_workgroup_id_x 1
		.amdhsa_system_sgpr_workgroup_id_y 1
		.amdhsa_system_sgpr_workgroup_id_z 1
		.amdhsa_system_sgpr_workgroup_info 0
		.amdhsa_system_vgpr_workitem_id 0
		.amdhsa_next_free_vgpr 56
		.amdhsa_next_free_sgpr 32
		.amdhsa_reserve_vcc 1
		.amdhsa_float_round_mode_32 0
		.amdhsa_float_round_mode_16_64 0
		.amdhsa_float_denorm_mode_32 3
		.amdhsa_float_denorm_mode_16_64 3
		.amdhsa_fp16_overflow 0
		.amdhsa_workgroup_processor_mode 1
		.amdhsa_memory_ordered 1
		.amdhsa_forward_progress 1
		.amdhsa_inst_pref_size 54
		.amdhsa_round_robin_scheduling 0
		.amdhsa_exception_fp_ieee_invalid_op 0
		.amdhsa_exception_fp_denorm_src 0
		.amdhsa_exception_fp_ieee_div_zero 0
		.amdhsa_exception_fp_ieee_overflow 0
		.amdhsa_exception_fp_ieee_underflow 0
		.amdhsa_exception_fp_ieee_inexact 0
		.amdhsa_exception_int_div_zero 0
	.end_amdhsa_kernel
	.section	.text._ZN4vllm25paged_attention_v2_kernelI14__hip_bfloat16S1_Li96ELi8ELi128ELNS_18Fp8KVCacheDataTypeE0ELb0ELi512EEEvPfS3_PT_PKS4_PKT0_SA_ifPKiSC_iPKfiiiSE_SE_iiiii,"axG",@progbits,_ZN4vllm25paged_attention_v2_kernelI14__hip_bfloat16S1_Li96ELi8ELi128ELNS_18Fp8KVCacheDataTypeE0ELb0ELi512EEEvPfS3_PT_PKS4_PKT0_SA_ifPKiSC_iPKfiiiSE_SE_iiiii,comdat
.Lfunc_end147:
	.size	_ZN4vllm25paged_attention_v2_kernelI14__hip_bfloat16S1_Li96ELi8ELi128ELNS_18Fp8KVCacheDataTypeE0ELb0ELi512EEEvPfS3_PT_PKS4_PKT0_SA_ifPKiSC_iPKfiiiSE_SE_iiiii, .Lfunc_end147-_ZN4vllm25paged_attention_v2_kernelI14__hip_bfloat16S1_Li96ELi8ELi128ELNS_18Fp8KVCacheDataTypeE0ELb0ELi512EEEvPfS3_PT_PKS4_PKT0_SA_ifPKiSC_iPKfiiiSE_SE_iiiii
                                        ; -- End function
	.set _ZN4vllm25paged_attention_v2_kernelI14__hip_bfloat16S1_Li96ELi8ELi128ELNS_18Fp8KVCacheDataTypeE0ELb0ELi512EEEvPfS3_PT_PKS4_PKT0_SA_ifPKiSC_iPKfiiiSE_SE_iiiii.num_vgpr, 56
	.set _ZN4vllm25paged_attention_v2_kernelI14__hip_bfloat16S1_Li96ELi8ELi128ELNS_18Fp8KVCacheDataTypeE0ELb0ELi512EEEvPfS3_PT_PKS4_PKT0_SA_ifPKiSC_iPKfiiiSE_SE_iiiii.num_agpr, 0
	.set _ZN4vllm25paged_attention_v2_kernelI14__hip_bfloat16S1_Li96ELi8ELi128ELNS_18Fp8KVCacheDataTypeE0ELb0ELi512EEEvPfS3_PT_PKS4_PKT0_SA_ifPKiSC_iPKfiiiSE_SE_iiiii.numbered_sgpr, 32
	.set _ZN4vllm25paged_attention_v2_kernelI14__hip_bfloat16S1_Li96ELi8ELi128ELNS_18Fp8KVCacheDataTypeE0ELb0ELi512EEEvPfS3_PT_PKS4_PKT0_SA_ifPKiSC_iPKfiiiSE_SE_iiiii.num_named_barrier, 0
	.set _ZN4vllm25paged_attention_v2_kernelI14__hip_bfloat16S1_Li96ELi8ELi128ELNS_18Fp8KVCacheDataTypeE0ELb0ELi512EEEvPfS3_PT_PKS4_PKT0_SA_ifPKiSC_iPKfiiiSE_SE_iiiii.private_seg_size, 0
	.set _ZN4vllm25paged_attention_v2_kernelI14__hip_bfloat16S1_Li96ELi8ELi128ELNS_18Fp8KVCacheDataTypeE0ELb0ELi512EEEvPfS3_PT_PKS4_PKT0_SA_ifPKiSC_iPKfiiiSE_SE_iiiii.uses_vcc, 1
	.set _ZN4vllm25paged_attention_v2_kernelI14__hip_bfloat16S1_Li96ELi8ELi128ELNS_18Fp8KVCacheDataTypeE0ELb0ELi512EEEvPfS3_PT_PKS4_PKT0_SA_ifPKiSC_iPKfiiiSE_SE_iiiii.uses_flat_scratch, 0
	.set _ZN4vllm25paged_attention_v2_kernelI14__hip_bfloat16S1_Li96ELi8ELi128ELNS_18Fp8KVCacheDataTypeE0ELb0ELi512EEEvPfS3_PT_PKS4_PKT0_SA_ifPKiSC_iPKfiiiSE_SE_iiiii.has_dyn_sized_stack, 0
	.set _ZN4vllm25paged_attention_v2_kernelI14__hip_bfloat16S1_Li96ELi8ELi128ELNS_18Fp8KVCacheDataTypeE0ELb0ELi512EEEvPfS3_PT_PKS4_PKT0_SA_ifPKiSC_iPKfiiiSE_SE_iiiii.has_recursion, 0
	.set _ZN4vllm25paged_attention_v2_kernelI14__hip_bfloat16S1_Li96ELi8ELi128ELNS_18Fp8KVCacheDataTypeE0ELb0ELi512EEEvPfS3_PT_PKS4_PKT0_SA_ifPKiSC_iPKfiiiSE_SE_iiiii.has_indirect_call, 0
	.section	.AMDGPU.csdata,"",@progbits
; Kernel info:
; codeLenInByte = 6844
; TotalNumSgprs: 34
; NumVgprs: 56
; ScratchSize: 0
; MemoryBound: 0
; FloatMode: 240
; IeeeMode: 1
; LDSByteSize: 224 bytes/workgroup (compile time only)
; SGPRBlocks: 0
; VGPRBlocks: 6
; NumSGPRsForWavesPerEU: 34
; NumVGPRsForWavesPerEU: 56
; Occupancy: 16
; WaveLimiterHint : 1
; COMPUTE_PGM_RSRC2:SCRATCH_EN: 0
; COMPUTE_PGM_RSRC2:USER_SGPR: 2
; COMPUTE_PGM_RSRC2:TRAP_HANDLER: 0
; COMPUTE_PGM_RSRC2:TGID_X_EN: 1
; COMPUTE_PGM_RSRC2:TGID_Y_EN: 1
; COMPUTE_PGM_RSRC2:TGID_Z_EN: 1
; COMPUTE_PGM_RSRC2:TIDIG_COMP_CNT: 0
	.section	.text._ZN4vllm25paged_attention_v2_kernelI14__hip_bfloat16S1_Li112ELi8ELi128ELNS_18Fp8KVCacheDataTypeE0ELb0ELi512EEEvPfS3_PT_PKS4_PKT0_SA_ifPKiSC_iPKfiiiSE_SE_iiiii,"axG",@progbits,_ZN4vllm25paged_attention_v2_kernelI14__hip_bfloat16S1_Li112ELi8ELi128ELNS_18Fp8KVCacheDataTypeE0ELb0ELi512EEEvPfS3_PT_PKS4_PKT0_SA_ifPKiSC_iPKfiiiSE_SE_iiiii,comdat
	.protected	_ZN4vllm25paged_attention_v2_kernelI14__hip_bfloat16S1_Li112ELi8ELi128ELNS_18Fp8KVCacheDataTypeE0ELb0ELi512EEEvPfS3_PT_PKS4_PKT0_SA_ifPKiSC_iPKfiiiSE_SE_iiiii ; -- Begin function _ZN4vllm25paged_attention_v2_kernelI14__hip_bfloat16S1_Li112ELi8ELi128ELNS_18Fp8KVCacheDataTypeE0ELb0ELi512EEEvPfS3_PT_PKS4_PKT0_SA_ifPKiSC_iPKfiiiSE_SE_iiiii
	.globl	_ZN4vllm25paged_attention_v2_kernelI14__hip_bfloat16S1_Li112ELi8ELi128ELNS_18Fp8KVCacheDataTypeE0ELb0ELi512EEEvPfS3_PT_PKS4_PKT0_SA_ifPKiSC_iPKfiiiSE_SE_iiiii
	.p2align	8
	.type	_ZN4vllm25paged_attention_v2_kernelI14__hip_bfloat16S1_Li112ELi8ELi128ELNS_18Fp8KVCacheDataTypeE0ELb0ELi512EEEvPfS3_PT_PKS4_PKT0_SA_ifPKiSC_iPKfiiiSE_SE_iiiii,@function
_ZN4vllm25paged_attention_v2_kernelI14__hip_bfloat16S1_Li112ELi8ELi128ELNS_18Fp8KVCacheDataTypeE0ELb0ELi512EEEvPfS3_PT_PKS4_PKT0_SA_ifPKiSC_iPKfiiiSE_SE_iiiii: ; @_ZN4vllm25paged_attention_v2_kernelI14__hip_bfloat16S1_Li112ELi8ELi128ELNS_18Fp8KVCacheDataTypeE0ELb0ELi512EEEvPfS3_PT_PKS4_PKT0_SA_ifPKiSC_iPKfiiiSE_SE_iiiii
; %bb.0:
	s_load_b64 s[2:3], s[0:1], 0x40
	s_and_b32 s14, ttmp7, 0xffff
	s_lshr_b32 s24, ttmp7, 16
	s_lshl_b32 s4, s14, 2
	s_lshl_b32 s26, s24, 9
	s_wait_kmcnt 0x0
	s_load_b32 s25, s[2:3], s4 offset:0x0
	s_wait_kmcnt 0x0
	s_cmp_ge_i32 s26, s25
	s_cbranch_scc1 .LBB148_61
; %bb.1:
	s_clause 0x1
	s_load_b32 s15, s[0:1], 0x90
	s_load_b64 s[6:7], s[0:1], 0x30
	s_wait_kmcnt 0x0
	s_abs_i32 s5, s15
	s_abs_i32 s2, s6
	s_delay_alu instid0(SALU_CYCLE_1) | instskip(SKIP_1) | instid1(SALU_CYCLE_2)
	s_cvt_f32_u32 s3, s2
	s_sub_co_i32 s4, 0, s2
	v_rcp_iflag_f32_e32 v1, s3
	s_delay_alu instid0(TRANS32_DEP_1) | instskip(SKIP_2) | instid1(SALU_CYCLE_2)
	v_readfirstlane_b32 s3, v1
	s_mul_f32 s3, s3, 0x4f7ffffe
	s_wait_alu 0xfffe
	s_cvt_u32_f32 s3, s3
	s_wait_alu 0xfffe
	s_delay_alu instid0(SALU_CYCLE_2) | instskip(NEXT) | instid1(SALU_CYCLE_1)
	s_mul_i32 s4, s4, s3
	s_mul_hi_u32 s4, s3, s4
	s_delay_alu instid0(SALU_CYCLE_1)
	s_add_co_i32 s3, s3, s4
	s_xor_b32 s4, s15, s6
	s_wait_alu 0xfffe
	s_mul_hi_u32 s3, s5, s3
	s_ashr_i32 s4, s4, 31
	s_wait_alu 0xfffe
	s_mul_i32 s6, s3, s2
	s_delay_alu instid0(SALU_CYCLE_1)
	s_sub_co_i32 s5, s5, s6
	s_add_co_i32 s6, s3, 1
	s_sub_co_i32 s8, s5, s2
	s_cmp_ge_u32 s5, s2
	s_cselect_b32 s3, s6, s3
	s_cselect_b32 s5, s8, s5
	s_wait_alu 0xfffe
	s_add_co_i32 s6, s3, 1
	s_cmp_ge_u32 s5, s2
	s_load_b64 s[8:9], s[0:1], 0x50
	s_cselect_b32 s2, s6, s3
	s_mov_b32 s3, 0
	s_wait_alu 0xfffe
	s_xor_b32 s2, s2, s4
	s_mov_b32 s6, s3
	s_wait_alu 0xfffe
	s_sub_co_i32 s12, s2, s4
	s_delay_alu instid0(SALU_CYCLE_1) | instskip(NEXT) | instid1(SALU_CYCLE_1)
	s_abs_i32 s11, s12
	s_cvt_f32_u32 s2, s11
	s_wait_alu 0xfffe
	s_delay_alu instid0(SALU_CYCLE_2) | instskip(NEXT) | instid1(TRANS32_DEP_1)
	v_rcp_iflag_f32_e32 v1, s2
	v_readfirstlane_b32 s2, v1
	s_mul_f32 s2, s2, 0x4f7ffffe
	s_wait_alu 0xfffe
	s_delay_alu instid0(SALU_CYCLE_2) | instskip(SKIP_2) | instid1(SALU_CYCLE_1)
	s_cvt_u32_f32 s4, s2
	s_sub_co_i32 s2, 0, s11
	s_wait_alu 0xfffe
	s_mul_i32 s2, s2, s4
	s_wait_alu 0xfffe
	s_mul_hi_u32 s5, s4, s2
	s_abs_i32 s2, ttmp9
	s_add_co_i32 s4, s4, s5
	s_mov_b32 s5, s3
	s_wait_kmcnt 0x0
	s_cmp_eq_u64 s[8:9], 0
	s_cbranch_scc1 .LBB148_3
; %bb.2:
	s_mov_b32 s16, ttmp9
	s_ashr_i32 s17, ttmp9, 31
	s_delay_alu instid0(SALU_CYCLE_1) | instskip(NEXT) | instid1(SALU_CYCLE_1)
	s_lshl_b64 s[16:17], s[16:17], 2
	s_add_nc_u64 s[8:9], s[8:9], s[16:17]
	s_load_b32 s6, s[8:9], 0x0
.LBB148_3:
	s_load_b96 s[8:10], s[0:1], 0x58
	v_and_b32_e32 v1, 3, v0
	v_lshlrev_b32_e32 v2, 2, v0
	s_mul_u64 s[4:5], s[2:3], s[4:5]
	s_ashr_i32 s3, ttmp9, 31
	s_ashr_i32 s4, s12, 31
	s_mul_i32 s12, ttmp9, 0x70
	s_mov_b32 s16, exec_lo
	v_cmpx_gt_u32_e32 56, v0
	s_cbranch_execz .LBB148_5
; %bb.4:
	s_load_b64 s[18:19], s[0:1], 0x18
	s_wait_kmcnt 0x0
	s_mul_i32 s20, s8, s14
	s_ashr_i32 s13, s12, 31
	s_ashr_i32 s21, s20, 31
	v_and_b32_e32 v4, 0x3fc, v0
	s_lshl_b64 s[20:21], s[20:21], 1
	s_delay_alu instid0(VALU_DEP_1) | instskip(SKIP_2) | instid1(SALU_CYCLE_1)
	v_mad_u32_u24 v4, v1, 56, v4
	s_add_nc_u64 s[18:19], s[18:19], s[20:21]
	s_lshl_b64 s[20:21], s[12:13], 1
	s_add_nc_u64 s[18:19], s[18:19], s[20:21]
	global_load_b32 v3, v2, s[18:19]
	s_wait_loadcnt 0x0
	ds_store_b32 v4, v3
.LBB148_5:
	s_or_b32 exec_lo, exec_lo, s16
	s_wait_kmcnt 0x0
	s_add_co_i32 s8, s25, 7
	s_wait_alu 0xfffe
	s_xor_b32 s3, s3, s4
	s_ashr_i32 s13, s8, 31
	s_lshl_b32 s28, s24, 6
	s_lshr_b32 s4, s13, 29
	s_mul_i32 s13, s5, s11
	s_add_co_i32 s8, s8, s4
	s_add_co_i32 s4, s28, 64
	s_ashr_i32 s27, s8, 3
	s_load_b32 s8, s[0:1], 0x48
	s_sub_co_i32 s2, s2, s13
	s_min_i32 s13, s4, s27
	s_add_co_i32 s4, s5, 1
	s_wait_alu 0xfffe
	s_sub_co_i32 s16, s2, s11
	s_cmp_ge_u32 s2, s11
	v_lshrrev_b32_e32 v23, 5, v0
	s_cselect_b32 s4, s4, s5
	s_cselect_b32 s2, s16, s2
	s_add_co_i32 s5, s4, 1
	s_wait_alu 0xfffe
	s_cmp_ge_u32 s2, s11
	v_or_b32_e32 v24, s28, v23
	s_cselect_b32 s2, s5, s4
	v_mbcnt_lo_u32_b32 v4, -1, 0
	s_wait_alu 0xfffe
	s_xor_b32 s2, s2, s3
	s_mov_b32 s4, exec_lo
	s_wait_alu 0xfffe
	s_sub_co_i32 s3, s2, s3
	v_cmp_gt_i32_e64 s2, s13, v24
	s_wait_dscnt 0x0
	s_barrier_signal -1
	s_wait_kmcnt 0x0
	s_mul_i32 s16, s8, s14
	s_barrier_wait -1
	s_ashr_i32 s17, s16, 31
	global_inv scope:SCOPE_SE
                                        ; implicit-def: $vgpr5
                                        ; implicit-def: $vgpr6
	v_cmpx_le_i32_e64 s13, v24
	s_xor_b32 s4, exec_lo, s4
; %bb.6:
	v_dual_mov_b32 v5, 0 :: v_dual_mov_b32 v6, 32
	v_mbcnt_lo_u32_b32 v4, -1, 0
                                        ; implicit-def: $vgpr2
                                        ; implicit-def: $vgpr1
; %bb.7:
	s_or_saveexec_b32 s11, s4
	s_clause 0x1
	s_load_b64 s[18:19], s[0:1], 0x38
	s_load_b32 s8, s[0:1], 0x98
	v_dual_mov_b32 v36, 0xff7fffff :: v_dual_lshlrev_b32 v3, 2, v24
	s_mul_i32 s20, s3, s10
	s_xor_b32 exec_lo, exec_lo, s11
	s_cbranch_execz .LBB148_13
; %bb.8:
	s_load_b64 s[4:5], s[0:1], 0x20
	v_mul_u32_u24_e32 v6, 56, v1
	v_bfe_u32 v36, v0, 2, 3
	s_ashr_i32 s21, s20, 31
	v_dual_mov_b32 v5, 0 :: v_dual_and_b32 v2, 12, v2
	ds_load_2addr_b64 v[13:16], v6 offset1:1
	v_lshlrev_b32_e32 v7, 4, v36
	s_lshl_b64 s[22:23], s[20:21], 1
	ds_load_2addr_b64 v[25:28], v6 offset0:2 offset1:3
	ds_load_2addr_b64 v[31:34], v6 offset0:4 offset1:5
	ds_load_b64 v[38:39], v6 offset:48
	v_xor_b32_e32 v40, 1, v4
	v_lshlrev_b32_e32 v42, 2, v36
	s_cmp_neq_f32 s6, 0
	s_mov_b32 s21, s9
	s_mov_b32 s10, 0
	v_mov_b32_e32 v44, v24
	v_lshl_or_b32 v43, v23, 5, v42
	s_wait_kmcnt 0x0
	s_add_nc_u64 s[4:5], s[4:5], s[22:23]
	s_delay_alu instid0(VALU_DEP_1)
	v_add_nc_u32_e32 v43, 0x100, v43
	v_add_co_u32 v6, s3, s4, v7
	s_wait_alu 0xf1ff
	v_add_co_ci_u32_e64 v17, null, s5, 0, s3
	s_wait_dscnt 0x3
	v_lshlrev_b32_e32 v9, 16, v14
	v_and_b32_e32 v10, 0xffff0000, v14
	v_add_co_u32 v14, vcc_lo, v6, v2
	v_xor_b32_e32 v2, 2, v4
	v_lshlrev_b32_e32 v11, 16, v15
	v_and_b32_e32 v12, 0xffff0000, v15
	v_add_co_ci_u32_e64 v15, null, 0, v17, vcc_lo
	s_delay_alu instid0(VALU_DEP_4)
	v_cmp_gt_i32_e32 vcc_lo, 32, v2
	s_cselect_b32 s3, -1, 0
	s_lshl_b64 s[4:5], s[16:17], 2
	v_dual_mov_b32 v6, 32 :: v_dual_lshlrev_b32 v7, 16, v13
	s_wait_alu 0xfffd
	v_cndmask_b32_e32 v2, v4, v2, vcc_lo
	v_cmp_gt_i32_e32 vcc_lo, 32, v40
	v_and_b32_e32 v8, 0xffff0000, v13
	s_wait_alu 0xfffe
	s_add_nc_u64 s[4:5], s[18:19], s[4:5]
	v_lshlrev_b32_e32 v13, 16, v16
	v_and_b32_e32 v16, 0xffff0000, v16
	s_wait_alu 0xfffd
	v_dual_cndmask_b32 v41, v4, v40 :: v_dual_lshlrev_b32 v40, 2, v2
	v_lshlrev_b32_e32 v2, 3, v23
	v_cmp_eq_u32_e32 vcc_lo, 0, v1
	s_wait_alu 0xfffe
	v_add_co_u32 v1, s4, s4, v3
	s_wait_dscnt 0x2
	v_lshlrev_b32_e32 v17, 16, v25
	v_and_b32_e32 v18, 0xffff0000, v25
	v_lshlrev_b32_e32 v19, 16, v26
	v_and_b32_e32 v20, 0xffff0000, v26
	;; [unrolled: 2-line block ×4, first 2 shown]
	s_wait_dscnt 0x1
	v_lshlrev_b32_e32 v27, 16, v31
	v_and_b32_e32 v28, 0xffff0000, v31
	v_lshlrev_b32_e32 v29, 16, v32
	v_and_b32_e32 v30, 0xffff0000, v32
	;; [unrolled: 2-line block ×4, first 2 shown]
	s_wait_dscnt 0x0
	v_lshlrev_b32_e32 v35, 16, v38
	v_and_b32_e32 v37, 0xffff0000, v38
	v_lshlrev_b32_e32 v38, 16, v39
	v_and_b32_e32 v39, 0xffff0000, v39
	v_lshlrev_b32_e32 v41, 2, v41
	v_add3_u32 v42, s26, v2, v36
	s_wait_alu 0xf1ff
	v_add_co_ci_u32_e64 v2, null, s5, 0, s4
	v_mov_b32_e32 v36, 0xff7fffff
	s_sub_co_i32 s22, 1, s25
	s_branch .LBB148_10
.LBB148_9:                              ;   in Loop: Header=BB148_10 Depth=1
	s_wait_alu 0xfffe
	s_or_b32 exec_lo, exec_lo, s5
	v_add_nc_u32_e32 v44, 4, v44
	v_add_co_u32 v1, s5, v1, 16
	v_add_nc_u32_e32 v42, 32, v42
	v_add_nc_u32_e32 v43, 0x80, v43
	s_delay_alu instid0(VALU_DEP_4) | instskip(SKIP_3) | instid1(SALU_CYCLE_1)
	v_cmp_le_i32_e64 s4, s13, v44
	s_wait_alu 0xf1ff
	v_add_co_ci_u32_e64 v2, null, 0, v2, s5
	s_or_b32 s10, s4, s10
	s_and_not1_b32 exec_lo, exec_lo, s10
	s_cbranch_execz .LBB148_12
.LBB148_10:                             ; =>This Inner Loop Header: Depth=1
	global_load_b32 v45, v[1:2], off
	s_wait_loadcnt_dscnt 0x0
	v_mad_co_i64_i32 v[45:46], null, v45, s21, 0
	s_delay_alu instid0(VALU_DEP_1) | instskip(NEXT) | instid1(VALU_DEP_1)
	v_lshlrev_b64_e32 v[45:46], 1, v[45:46]
	v_add_co_u32 v45, s4, v14, v45
	s_wait_alu 0xf1ff
	s_delay_alu instid0(VALU_DEP_2)
	v_add_co_ci_u32_e64 v46, null, v15, v46, s4
	s_clause 0xd
	global_load_b32 v47, v[45:46], off offset:128
	global_load_b32 v48, v[45:46], off
	global_load_b32 v49, v[45:46], off offset:256
	global_load_b32 v50, v[45:46], off offset:384
	global_load_b32 v51, v[45:46], off offset:512
	global_load_b32 v52, v[45:46], off offset:640
	global_load_b32 v53, v[45:46], off offset:768
	global_load_b32 v54, v[45:46], off offset:896
	global_load_b32 v55, v[45:46], off offset:1024
	global_load_b32 v56, v[45:46], off offset:1152
	global_load_b32 v57, v[45:46], off offset:1280
	global_load_b32 v58, v[45:46], off offset:1408
	global_load_b32 v59, v[45:46], off offset:1536
	global_load_b32 v45, v[45:46], off offset:1664
	s_wait_loadcnt 0xc
	v_lshlrev_b32_e32 v60, 16, v48
	s_wait_loadcnt 0xb
	v_lshlrev_b32_e32 v61, 16, v49
	v_and_b32_e32 v49, 0xffff0000, v49
	v_and_b32_e32 v48, 0xffff0000, v48
	v_lshlrev_b32_e32 v46, 16, v47
	v_and_b32_e32 v47, 0xffff0000, v47
	s_delay_alu instid0(VALU_DEP_1) | instskip(NEXT) | instid1(VALU_DEP_1)
	v_mul_f32_e32 v47, v10, v47
	v_dual_fmac_f32 v47, v8, v48 :: v_dual_mul_f32 v46, v9, v46
	s_wait_loadcnt 0xa
	v_lshlrev_b32_e32 v48, 16, v50
	v_and_b32_e32 v50, 0xffff0000, v50
	s_delay_alu instid0(VALU_DEP_3) | instskip(NEXT) | instid1(VALU_DEP_1)
	v_fmac_f32_e32 v46, v7, v60
	v_fmac_f32_e32 v46, v11, v61
	s_delay_alu instid0(VALU_DEP_1)
	v_dual_fmac_f32 v46, v13, v48 :: v_dual_fmac_f32 v47, v12, v49
	s_wait_loadcnt 0x9
	v_lshlrev_b32_e32 v49, 16, v51
	v_and_b32_e32 v51, 0xffff0000, v51
	s_wait_loadcnt 0x8
	v_dual_fmac_f32 v47, v16, v50 :: v_dual_lshlrev_b32 v48, 16, v52
	s_delay_alu instid0(VALU_DEP_3) | instskip(SKIP_3) | instid1(VALU_DEP_3)
	v_fmac_f32_e32 v46, v17, v49
	v_and_b32_e32 v50, 0xffff0000, v52
	s_wait_loadcnt 0x7
	v_lshlrev_b32_e32 v49, 16, v53
	v_dual_fmac_f32 v47, v18, v51 :: v_dual_fmac_f32 v46, v19, v48
	s_wait_loadcnt 0x6
	v_lshlrev_b32_e32 v48, 16, v54
	s_delay_alu instid0(VALU_DEP_2) | instskip(SKIP_2) | instid1(VALU_DEP_2)
	v_dual_fmac_f32 v47, v20, v50 :: v_dual_fmac_f32 v46, v21, v49
	v_and_b32_e32 v51, 0xffff0000, v53
	v_and_b32_e32 v50, 0xffff0000, v54
	v_dual_fmac_f32 v46, v25, v48 :: v_dual_fmac_f32 v47, v22, v51
	s_wait_loadcnt 0x4
	v_lshlrev_b32_e32 v48, 16, v56
	v_lshlrev_b32_e32 v49, 16, v55
	v_and_b32_e32 v51, 0xffff0000, v55
	s_delay_alu instid0(VALU_DEP_2) | instskip(NEXT) | instid1(VALU_DEP_1)
	v_dual_fmac_f32 v47, v26, v50 :: v_dual_fmac_f32 v46, v27, v49
	v_dual_fmac_f32 v47, v28, v51 :: v_dual_fmac_f32 v46, v29, v48
	s_wait_loadcnt 0x2
	v_lshlrev_b32_e32 v48, 16, v58
	v_lshlrev_b32_e32 v49, 16, v57
	s_wait_loadcnt 0x1
	s_delay_alu instid0(VALU_DEP_1) | instskip(NEXT) | instid1(VALU_DEP_1)
	v_dual_fmac_f32 v46, v31, v49 :: v_dual_lshlrev_b32 v49, 16, v59
	v_fmac_f32_e32 v46, v33, v48
	s_wait_loadcnt 0x0
	v_lshlrev_b32_e32 v48, 16, v45
	v_and_b32_e32 v45, 0xffff0000, v45
	v_and_b32_e32 v50, 0xffff0000, v56
	v_fmac_f32_e32 v46, v35, v49
	v_and_b32_e32 v51, 0xffff0000, v57
	s_delay_alu instid0(VALU_DEP_3) | instskip(SKIP_1) | instid1(VALU_DEP_2)
	v_fmac_f32_e32 v47, v30, v50
	v_and_b32_e32 v50, 0xffff0000, v58
	v_dual_fmac_f32 v46, v38, v48 :: v_dual_fmac_f32 v47, v32, v51
	v_and_b32_e32 v51, 0xffff0000, v59
	s_delay_alu instid0(VALU_DEP_2) | instskip(NEXT) | instid1(VALU_DEP_1)
	v_fmac_f32_e32 v47, v34, v50
	v_fmac_f32_e32 v47, v37, v51
	s_delay_alu instid0(VALU_DEP_1) | instskip(NEXT) | instid1(VALU_DEP_1)
	v_fmac_f32_e32 v47, v39, v45
	v_add_f32_e32 v45, v46, v47
	ds_bpermute_b32 v46, v40, v45
	s_wait_dscnt 0x0
	v_add_f32_e32 v45, v45, v46
	ds_bpermute_b32 v46, v41, v45
	s_and_saveexec_b32 s5, vcc_lo
	s_cbranch_execz .LBB148_9
; %bb.11:                               ;   in Loop: Header=BB148_10 Depth=1
	s_wait_dscnt 0x0
	v_add_f32_e32 v45, v45, v46
	v_add_nc_u32_e32 v47, s22, v42
	v_cmp_gt_i32_e64 s4, s25, v42
	s_delay_alu instid0(VALU_DEP_2) | instskip(NEXT) | instid1(VALU_DEP_1)
	v_cvt_f32_i32_e32 v47, v47
	v_mul_f32_e32 v47, s6, v47
	s_delay_alu instid0(VALU_DEP_1) | instskip(NEXT) | instid1(VALU_DEP_1)
	v_cndmask_b32_e64 v46, 0, v47, s3
	v_dual_max_num_f32 v47, v36, v36 :: v_dual_fmac_f32 v46, s7, v45
	s_delay_alu instid0(VALU_DEP_1) | instskip(SKIP_2) | instid1(VALU_DEP_2)
	v_max_num_f32_e32 v45, v47, v46
	s_wait_alu 0xf1ff
	v_cndmask_b32_e64 v46, 0, v46, s4
	v_cndmask_b32_e64 v36, v36, v45, s4
	ds_store_b32 v43, v46
	s_branch .LBB148_9
.LBB148_12:
	s_or_b32 exec_lo, exec_lo, s10
.LBB148_13:
	s_delay_alu instid0(SALU_CYCLE_1)
	s_or_b32 exec_lo, exec_lo, s11
	v_xor_b32_e32 v1, 16, v4
	v_xor_b32_e32 v7, 8, v4
	;; [unrolled: 1-line block ×3, first 2 shown]
	s_clause 0x2
	s_load_b128 s[4:7], s[0:1], 0x0
	s_load_b64 s[10:11], s[0:1], 0x10
	s_load_b64 s[22:23], s[0:1], 0x28
	v_and_b32_e32 v25, 31, v0
	v_cmp_lt_i32_e32 vcc_lo, v1, v6
	s_wait_alu 0xfffd
	v_cndmask_b32_e32 v1, v4, v1, vcc_lo
	v_cmp_lt_i32_e32 vcc_lo, v7, v6
	s_wait_alu 0xfffd
	s_delay_alu instid0(VALU_DEP_2)
	v_dual_cndmask_b32 v7, v4, v7 :: v_dual_lshlrev_b32 v2, 2, v1
	v_cmp_lt_i32_e32 vcc_lo, v9, v6
	ds_bpermute_b32 v1, v2, v36
	v_dual_max_num_f32 v8, v36, v36 :: v_dual_lshlrev_b32 v7, 2, v7
	s_wait_alu 0xfffd
	v_cndmask_b32_e32 v9, v4, v9, vcc_lo
	v_cmp_eq_u32_e32 vcc_lo, 0, v25
	s_delay_alu instid0(VALU_DEP_2) | instskip(SKIP_2) | instid1(VALU_DEP_1)
	v_lshlrev_b32_e32 v10, 2, v9
	s_wait_dscnt 0x0
	v_max_num_f32_e32 v1, v1, v1
	v_max_num_f32_e32 v1, v8, v1
	ds_bpermute_b32 v8, v7, v1
	s_wait_dscnt 0x0
	v_max_num_f32_e32 v8, v8, v8
	s_delay_alu instid0(VALU_DEP_1)
	v_dual_max_num_f32 v1, v1, v8 :: v_dual_lshlrev_b32 v8, 2, v23
	ds_bpermute_b32 v9, v10, v1
	s_and_saveexec_b32 s0, vcc_lo
	s_cbranch_execz .LBB148_15
; %bb.14:
	s_wait_dscnt 0x0
	v_max_num_f32_e32 v9, v9, v9
	v_max_num_f32_e32 v1, v1, v1
	s_delay_alu instid0(VALU_DEP_1)
	v_max_num_f32_e32 v1, v1, v9
	ds_store_b32 v8, v1 offset:224
.LBB148_15:
	s_or_b32 exec_lo, exec_lo, s0
	v_cmp_gt_u32_e64 s0, 4, v25
	v_mov_b32_e32 v1, 0xff7fffff
	s_wait_dscnt 0x0
	v_lshlrev_b32_e32 v9, 2, v25
	s_wait_loadcnt 0x0
	s_barrier_signal -1
	s_barrier_wait -1
	global_inv scope:SCOPE_SE
	s_and_saveexec_b32 s1, s0
; %bb.16:
	ds_load_b32 v1, v9 offset:224
; %bb.17:
	s_or_b32 exec_lo, exec_lo, s1
	v_xor_b32_e32 v11, 2, v4
	v_xor_b32_e32 v13, 1, v4
	v_lshl_add_u32 v26, v0, 2, 0x100
	v_lshlrev_b32_e32 v5, 2, v5
	s_delay_alu instid0(VALU_DEP_4) | instskip(NEXT) | instid1(VALU_DEP_1)
	v_cmp_lt_i32_e64 s1, v11, v6
	v_cndmask_b32_e64 v11, v4, v11, s1
	v_cmp_lt_i32_e64 s1, v13, v6
	s_delay_alu instid0(VALU_DEP_2) | instskip(SKIP_1) | instid1(VALU_DEP_2)
	v_lshlrev_b32_e32 v11, 2, v11
	s_wait_alu 0xf1ff
	v_cndmask_b32_e64 v6, v4, v13, s1
	s_sub_co_i32 s1, s13, s28
	s_wait_alu 0xfffe
	s_lshl_b32 s1, s1, 3
	s_wait_dscnt 0x0
	ds_bpermute_b32 v12, v11, v1
	v_dual_max_num_f32 v1, v1, v1 :: v_dual_lshlrev_b32 v6, 2, v6
	s_wait_alu 0xfffe
	s_add_co_i32 s1, s1, s26
	s_wait_alu 0xfffe
	s_min_i32 s1, s1, s25
	s_wait_alu 0xfffe
	s_sub_co_i32 s21, s1, s26
	s_wait_alu 0xfffe
	v_cmp_gt_i32_e64 s1, s21, v0
	s_wait_dscnt 0x0
	v_max_num_f32_e32 v12, v12, v12
	s_delay_alu instid0(VALU_DEP_1) | instskip(SKIP_3) | instid1(VALU_DEP_1)
	v_max_num_f32_e32 v1, v1, v12
	ds_bpermute_b32 v12, v6, v1
	s_wait_dscnt 0x0
	v_max_num_f32_e32 v12, v12, v12
	v_max_num_f32_e32 v1, v1, v12
	ds_bpermute_b32 v1, v5, v1
	v_mov_b32_e32 v5, 0
	s_and_saveexec_b32 s28, s1
	s_cbranch_execz .LBB148_21
; %bb.18:
	v_lshl_add_u32 v12, v0, 2, 0x100
	v_mov_b32_e32 v5, 0
	v_mov_b32_e32 v13, v0
	s_mov_b32 s29, 0
.LBB148_19:                             ; =>This Inner Loop Header: Depth=1
	ds_load_b32 v14, v12
	v_add_nc_u32_e32 v13, 0x80, v13
	s_delay_alu instid0(VALU_DEP_1) | instskip(SKIP_4) | instid1(VALU_DEP_1)
	v_cmp_le_i32_e64 s3, s21, v13
	s_wait_alu 0xfffe
	s_or_b32 s29, s3, s29
	s_wait_dscnt 0x0
	v_sub_f32_e32 v14, v14, v1
	v_mul_f32_e32 v14, 0x3fb8aa3b, v14
	s_delay_alu instid0(VALU_DEP_1)
	v_exp_f32_e32 v14, v14
	ds_store_b32 v12, v14
	v_dual_add_f32 v5, v5, v14 :: v_dual_add_nc_u32 v12, 0x200, v12
	s_wait_alu 0xfffe
	s_and_not1_b32 exec_lo, exec_lo, s29
	s_cbranch_execnz .LBB148_19
; %bb.20:
	s_or_b32 exec_lo, exec_lo, s29
.LBB148_21:
	s_wait_alu 0xfffe
	s_or_b32 exec_lo, exec_lo, s28
	ds_bpermute_b32 v2, v2, v5
	s_wait_dscnt 0x0
	v_add_f32_e32 v2, v5, v2
	ds_bpermute_b32 v5, v7, v2
	s_wait_dscnt 0x0
	v_add_f32_e32 v2, v2, v5
	;; [unrolled: 3-line block ×5, first 2 shown]
	s_and_saveexec_b32 s3, vcc_lo
; %bb.22:
	ds_store_b32 v8, v2 offset:240
; %bb.23:
	s_wait_alu 0xfffe
	s_or_b32 exec_lo, exec_lo, s3
	s_wait_loadcnt_dscnt 0x0
	s_barrier_signal -1
	s_barrier_wait -1
	global_inv scope:SCOPE_SE
	s_and_saveexec_b32 s3, s0
; %bb.24:
	ds_load_b32 v2, v9 offset:240
; %bb.25:
	s_wait_alu 0xfffe
	s_or_b32 exec_lo, exec_lo, s3
	s_wait_dscnt 0x0
	ds_bpermute_b32 v5, v11, v2
	v_lshlrev_b32_e32 v4, 2, v4
	s_delay_alu instid0(VALU_DEP_1)
	v_and_b32_e32 v4, 0xffffff80, v4
	s_wait_dscnt 0x0
	v_add_f32_e32 v2, v2, v5
	ds_bpermute_b32 v5, v6, v2
	s_wait_dscnt 0x0
	v_add_f32_e32 v2, v2, v5
	ds_bpermute_b32 v2, v4, v2
	s_and_saveexec_b32 s0, s1
	s_cbranch_execz .LBB148_28
; %bb.26:
	s_wait_dscnt 0x0
	v_add_f32_e32 v5, 0x358637bd, v2
	s_mov_b32 s1, 0
	s_delay_alu instid0(VALU_DEP_1) | instskip(SKIP_1) | instid1(VALU_DEP_2)
	v_div_scale_f32 v4, null, v5, v5, 1.0
	v_div_scale_f32 v8, vcc_lo, 1.0, v5, 1.0
	v_rcp_f32_e32 v6, v4
	s_delay_alu instid0(TRANS32_DEP_1) | instskip(NEXT) | instid1(VALU_DEP_1)
	v_fma_f32 v7, -v4, v6, 1.0
	v_fmac_f32_e32 v6, v7, v6
	s_delay_alu instid0(VALU_DEP_1) | instskip(NEXT) | instid1(VALU_DEP_1)
	v_mul_f32_e32 v7, v8, v6
	v_fma_f32 v9, -v4, v7, v8
	s_delay_alu instid0(VALU_DEP_1) | instskip(NEXT) | instid1(VALU_DEP_1)
	v_fmac_f32_e32 v7, v9, v6
	v_fma_f32 v4, -v4, v7, v8
	s_wait_alu 0xfffd
	s_delay_alu instid0(VALU_DEP_1) | instskip(SKIP_1) | instid1(VALU_DEP_2)
	v_div_fmas_f32 v6, v4, v6, v7
	v_mov_b32_e32 v4, v26
	v_div_fixup_f32 v5, v6, v5, 1.0
	v_mov_b32_e32 v6, v0
.LBB148_27:                             ; =>This Inner Loop Header: Depth=1
	ds_load_b32 v7, v4
	s_wait_dscnt 0x0
	v_dual_mul_f32 v7, v5, v7 :: v_dual_add_nc_u32 v6, 0x80, v6
	s_delay_alu instid0(VALU_DEP_1)
	v_cmp_le_i32_e32 vcc_lo, s21, v6
	ds_store_b32 v4, v7
	v_add_nc_u32_e32 v4, 0x200, v4
	s_wait_alu 0xfffe
	s_or_b32 s1, vcc_lo, s1
	s_wait_alu 0xfffe
	s_and_not1_b32 exec_lo, exec_lo, s1
	s_cbranch_execnz .LBB148_27
.LBB148_28:
	s_wait_alu 0xfffe
	s_or_b32 exec_lo, exec_lo, s0
	s_wait_kmcnt 0x0
	s_mul_i32 s0, s8, s14
	s_wait_loadcnt_dscnt 0x0
	s_wait_alu 0xfffe
	s_mul_i32 s14, s0, s15
	s_mov_b32 s0, exec_lo
	s_barrier_signal -1
	s_barrier_wait -1
	global_inv scope:SCOPE_SE
	v_cmpx_eq_u32_e32 0, v0
	s_cbranch_execz .LBB148_30
; %bb.29:
	s_ashr_i32 s15, s14, 31
	s_wait_alu 0xfffe
	s_mul_i32 s28, s8, ttmp9
	s_lshl_b32 s1, s24, 2
	s_lshl_b64 s[30:31], s[14:15], 2
	s_wait_alu 0xfffe
	s_ashr_i32 s29, s28, 31
	v_mov_b32_e32 v4, s1
	s_add_nc_u64 s[6:7], s[6:7], s[30:31]
	s_wait_alu 0xfffe
	s_lshl_b64 s[28:29], s[28:29], 2
	s_add_nc_u64 s[4:5], s[4:5], s[30:31]
	s_wait_alu 0xfffe
	s_add_nc_u64 s[6:7], s[6:7], s[28:29]
	s_add_nc_u64 s[4:5], s[4:5], s[28:29]
	s_clause 0x1
	global_store_b32 v4, v1, s[6:7]
	global_store_b32 v4, v2, s[4:5]
.LBB148_30:
	s_wait_alu 0xfffe
	s_or_b32 exec_lo, exec_lo, s0
	v_dual_mov_b32 v30, 0 :: v_dual_mov_b32 v29, 0
	v_dual_mov_b32 v28, 0 :: v_dual_mov_b32 v27, 0
	s_and_saveexec_b32 s4, s2
	s_cbranch_execz .LBB148_44
; %bb.31:
	s_ashr_i32 s21, s20, 31
	v_or_b32_e32 v1, 0x60, v25
	s_wait_alu 0xfffe
	s_lshl_b64 s[0:1], s[20:21], 1
	v_dual_mov_b32 v27, 0 :: v_dual_lshlrev_b32 v2, 3, v25
	s_wait_alu 0xfffe
	s_add_nc_u64 s[2:3], s[22:23], s[0:1]
	s_lshl_b64 s[0:1], s[16:17], 2
	v_cmp_gt_u32_e32 vcc_lo, 0x70, v1
	v_dual_mov_b32 v28, 0 :: v_dual_lshlrev_b32 v1, 3, v1
	s_wait_alu 0xfffe
	s_add_nc_u64 s[0:1], s[18:19], s[0:1]
	v_lshl_add_u32 v31, v23, 3, s26
	s_wait_alu 0xfffe
	v_add_co_u32 v21, s0, s0, v3
	v_lshl_add_u32 v32, v23, 5, 0x100
	s_wait_alu 0xf1ff
	v_add_co_ci_u32_e64 v22, null, s1, 0, s0
	v_dual_mov_b32 v30, 0 :: v_dual_lshlrev_b32 v33, 1, v2
	v_dual_mov_b32 v29, 0 :: v_dual_lshlrev_b32 v34, 1, v1
	s_mov_b32 s5, s9
	s_add_co_i32 s6, s27, -1
	s_mov_b32 s9, s25
	s_mov_b32 s7, 0
	s_branch .LBB148_34
.LBB148_32:                             ;   in Loop: Header=BB148_34 Depth=1
	s_wait_alu 0xfffe
	s_or_b32 exec_lo, exec_lo, s1
	s_wait_loadcnt 0x0
	v_and_b32_e32 v38, 0xffff0000, v14
	v_lshlrev_b32_e32 v14, 16, v14
	v_lshlrev_b32_e32 v43, 16, v17
	;; [unrolled: 1-line block ×3, first 2 shown]
	v_and_b32_e32 v35, 0xffff0000, v13
	v_lshlrev_b32_e32 v13, 16, v13
	s_delay_alu instid0(VALU_DEP_3) | instskip(NEXT) | instid1(VALU_DEP_1)
	v_dual_mul_f32 v14, v39, v14 :: v_dual_lshlrev_b32 v37, 16, v20
	v_dual_mul_f32 v13, v37, v13 :: v_dual_and_b32 v36, 0xffff0000, v20
	s_delay_alu instid0(VALU_DEP_1) | instskip(NEXT) | instid1(VALU_DEP_2)
	v_mul_f32_e32 v35, v36, v35
	v_or_b32_e32 v40, 0x400000, v13
	s_delay_alu instid0(VALU_DEP_2) | instskip(SKIP_2) | instid1(VALU_DEP_3)
	v_bfe_u32 v37, v35, 16, 1
	v_or_b32_e32 v39, 0x400000, v35
	v_cmp_u_f32_e64 s0, v35, v35
	v_add3_u32 v37, v37, v35, 0x7fff
	s_wait_alu 0xf1ff
	s_delay_alu instid0(VALU_DEP_1)
	v_cndmask_b32_e64 v35, v37, v39, s0
	v_and_b32_e32 v37, 0xffff0000, v15
	v_and_b32_e32 v39, 0xffff0000, v18
	;; [unrolled: 1-line block ×3, first 2 shown]
	v_cmp_u_f32_e64 s0, v13, v13
	v_lshlrev_b32_e32 v15, 16, v15
	v_and_b32_e32 v35, 0xffff0000, v35
	s_delay_alu instid0(VALU_DEP_4) | instskip(SKIP_2) | instid1(VALU_DEP_3)
	v_dual_mul_f32 v37, v39, v37 :: v_dual_mul_f32 v36, v36, v38
	v_bfe_u32 v38, v13, 16, 1
	v_lshlrev_b32_e32 v39, 16, v18
	v_bfe_u32 v41, v36, 16, 1
	s_delay_alu instid0(VALU_DEP_3) | instskip(NEXT) | instid1(VALU_DEP_3)
	v_add3_u32 v38, v38, v13, 0x7fff
	v_mul_f32_e32 v15, v39, v15
	v_and_b32_e32 v39, 0xffff0000, v16
	s_wait_alu 0xf1ff
	s_delay_alu instid0(VALU_DEP_3)
	v_cndmask_b32_e64 v13, v38, v40, s0
	v_add3_u32 v38, v41, v36, 0x7fff
	v_or_b32_e32 v40, 0x400000, v36
	v_bfe_u32 v41, v14, 16, 1
	v_cmp_u_f32_e64 s0, v36, v36
	v_and_b32_e32 v13, 0xffff0000, v13
	v_and_b32_e32 v42, 0xffff0000, v17
	s_wait_alu 0xf1ff
	s_delay_alu instid0(VALU_DEP_3)
	v_cndmask_b32_e64 v36, v38, v40, s0
	v_add3_u32 v38, v41, v14, 0x7fff
	v_or_b32_e32 v40, 0x400000, v14
	v_bfe_u32 v41, v37, 16, 1
	v_cmp_u_f32_e64 s0, v14, v14
	v_dual_add_f32 v13, v13, v35 :: v_dual_lshlrev_b32 v16, 16, v16
	v_mul_f32_e32 v39, v42, v39
	v_or_b32_e32 v42, 0x400000, v15
	s_wait_alu 0xf1ff
	v_cndmask_b32_e64 v14, v38, v40, s0
	v_bfe_u32 v38, v15, 16, 1
	v_add3_u32 v40, v41, v37, 0x7fff
	v_mul_f32_e32 v16, v43, v16
	v_or_b32_e32 v41, 0x400000, v37
	v_cmp_u_f32_e64 s0, v37, v37
	v_add3_u32 v38, v38, v15, 0x7fff
	v_bfe_u32 v43, v39, 16, 1
	v_bfe_u32 v44, v16, 16, 1
	v_and_b32_e32 v14, 0xffff0000, v14
	s_wait_alu 0xf1ff
	v_cndmask_b32_e64 v37, v40, v41, s0
	v_cmp_u_f32_e64 s0, v15, v15
	v_or_b32_e32 v41, 0x400000, v16
	v_add3_u32 v40, v44, v16, 0x7fff
	v_and_b32_e32 v36, 0xffff0000, v36
	v_and_b32_e32 v35, 0xffff0000, v37
	s_wait_alu 0xf1ff
	v_cndmask_b32_e64 v15, v38, v42, s0
	v_cmp_u_f32_e64 s0, v16, v16
	v_add3_u32 v38, v43, v39, 0x7fff
	v_or_b32_e32 v42, 0x400000, v39
	s_delay_alu instid0(VALU_DEP_4) | instskip(SKIP_3) | instid1(VALU_DEP_3)
	v_dual_add_f32 v14, v14, v36 :: v_dual_and_b32 v15, 0xffff0000, v15
	s_wait_alu 0xf1ff
	v_cndmask_b32_e64 v16, v40, v41, s0
	v_cmp_u_f32_e64 s0, v39, v39
	v_dual_add_f32 v13, v14, v13 :: v_dual_add_f32 v14, v15, v35
	s_delay_alu instid0(VALU_DEP_3) | instskip(SKIP_1) | instid1(VALU_DEP_3)
	v_and_b32_e32 v15, 0xffff0000, v16
	s_wait_alu 0xf1ff
	v_cndmask_b32_e64 v36, v38, v42, s0
	s_delay_alu instid0(VALU_DEP_1) | instskip(NEXT) | instid1(VALU_DEP_1)
	v_dual_add_f32 v13, v14, v13 :: v_dual_and_b32 v16, 0xffff0000, v36
	v_add_f32_e32 v14, v15, v16
	s_delay_alu instid0(VALU_DEP_1) | instskip(NEXT) | instid1(VALU_DEP_1)
	v_add_f32_e32 v13, v14, v13
	v_add_f32_e32 v27, v27, v13
.LBB148_33:                             ;   in Loop: Header=BB148_34 Depth=1
	s_or_b32 exec_lo, exec_lo, s15
	s_wait_loadcnt 0x0
	v_and_b32_e32 v36, 0xffff0000, v11
	v_lshlrev_b32_e32 v11, 16, v11
	v_and_b32_e32 v41, 0xffff0000, v17
	v_lshlrev_b32_e32 v17, 16, v17
	v_and_b32_e32 v37, 0xffff0000, v18
	v_lshlrev_b32_e32 v18, 16, v18
	v_lshlrev_b32_e32 v15, 16, v20
	v_and_b32_e32 v14, 0xffff0000, v20
	v_and_b32_e32 v16, 0xffff0000, v10
	;; [unrolled: 1-line block ×4, first 2 shown]
	v_dual_mul_f32 v11, v18, v11 :: v_dual_lshlrev_b32 v10, 16, v10
	v_dual_mul_f32 v36, v37, v36 :: v_dual_lshlrev_b32 v19, 16, v19
	s_delay_alu instid0(VALU_DEP_4) | instskip(NEXT) | instid1(VALU_DEP_3)
	v_dual_mul_f32 v16, v20, v16 :: v_dual_lshlrev_b32 v9, 16, v9
	v_bfe_u32 v43, v11, 16, 1
	s_delay_alu instid0(VALU_DEP_3) | instskip(NEXT) | instid1(VALU_DEP_4)
	v_mul_f32_e32 v10, v19, v10
	v_or_b32_e32 v42, 0x400000, v36
	s_delay_alu instid0(VALU_DEP_4) | instskip(SKIP_2) | instid1(VALU_DEP_3)
	v_mul_f32_e32 v9, v15, v9
	v_dual_mul_f32 v13, v14, v13 :: v_dual_add_nc_u32 v24, 4, v24
	v_add_co_u32 v21, s1, v21, 16
	v_bfe_u32 v38, v9, 16, 1
	s_delay_alu instid0(VALU_DEP_3)
	v_bfe_u32 v35, v13, 16, 1
	v_or_b32_e32 v39, 0x400000, v13
	v_cmp_u_f32_e64 s0, v13, v13
	v_or_b32_e32 v40, 0x400000, v9
	v_add3_u32 v38, v38, v9, 0x7fff
	v_add3_u32 v35, v35, v13, 0x7fff
	v_add_nc_u32_e32 v31, 32, v31
	v_add_nc_u32_e32 v32, 0x80, v32
	s_wait_alu 0xf1ff
	v_add_co_ci_u32_e64 v22, null, 0, v22, s1
	v_cndmask_b32_e64 v13, v35, v39, s0
	v_bfe_u32 v35, v16, 16, 1
	v_cmp_u_f32_e64 s0, v9, v9
	v_bfe_u32 v39, v10, 16, 1
	s_delay_alu instid0(VALU_DEP_4) | instskip(NEXT) | instid1(VALU_DEP_4)
	v_and_b32_e32 v13, 0xffff0000, v13
	v_add3_u32 v35, v35, v16, 0x7fff
	s_wait_alu 0xf1ff
	v_cndmask_b32_e64 v9, v38, v40, s0
	v_or_b32_e32 v38, 0x400000, v16
	v_cmp_u_f32_e64 s0, v16, v16
	v_bfe_u32 v40, v36, 16, 1
	s_delay_alu instid0(VALU_DEP_4) | instskip(SKIP_1) | instid1(VALU_DEP_3)
	v_and_b32_e32 v9, 0xffff0000, v9
	s_wait_alu 0xf1ff
	v_cndmask_b32_e64 v16, v35, v38, s0
	v_add3_u32 v35, v39, v10, 0x7fff
	v_or_b32_e32 v38, 0x400000, v10
	v_cmp_u_f32_e64 s0, v10, v10
	v_add3_u32 v39, v40, v36, 0x7fff
	v_dual_add_f32 v9, v9, v13 :: v_dual_and_b32 v16, 0xffff0000, v16
	v_and_b32_e32 v13, 0xffff0000, v5
	s_wait_alu 0xf1ff
	v_cndmask_b32_e64 v10, v35, v38, s0
	v_cmp_u_f32_e64 s0, v36, v36
	v_add3_u32 v38, v43, v11, 0x7fff
	v_lshlrev_b32_e32 v5, 16, v5
	s_wait_alu 0xf1ff
	s_delay_alu instid0(VALU_DEP_3) | instskip(SKIP_3) | instid1(VALU_DEP_1)
	v_cndmask_b32_e64 v36, v39, v42, s0
	v_or_b32_e32 v39, 0x400000, v11
	v_cmp_u_f32_e64 s0, v11, v11
	s_wait_alu 0xf1ff
	v_cndmask_b32_e64 v11, v38, v39, s0
	s_delay_alu instid0(VALU_DEP_1) | instskip(SKIP_1) | instid1(VALU_DEP_1)
	v_and_b32_e32 v11, 0xffff0000, v11
	v_and_b32_e32 v10, 0xffff0000, v10
	v_add_f32_e32 v10, v10, v16
	s_delay_alu instid0(VALU_DEP_1) | instskip(SKIP_2) | instid1(VALU_DEP_3)
	v_dual_add_f32 v9, v10, v9 :: v_dual_and_b32 v16, 0xffff0000, v36
	v_mul_f32_e32 v10, v14, v13
	v_mul_f32_e32 v5, v15, v5
	v_add_f32_e32 v11, v11, v16
	v_and_b32_e32 v40, 0xffff0000, v12
	v_lshlrev_b32_e32 v12, 16, v12
	v_bfe_u32 v13, v10, 16, 1
	v_or_b32_e32 v16, 0x400000, v10
	v_add_f32_e32 v9, v11, v9
	v_and_b32_e32 v11, 0xffff0000, v6
	v_lshlrev_b32_e32 v6, 16, v6
	v_mul_f32_e32 v12, v17, v12
	v_add3_u32 v13, v13, v10, 0x7fff
	s_delay_alu instid0(VALU_DEP_3) | instskip(SKIP_1) | instid1(VALU_DEP_2)
	v_dual_mul_f32 v6, v19, v6 :: v_dual_mul_f32 v35, v41, v40
	v_mul_f32_e32 v11, v20, v11
	v_bfe_u32 v40, v35, 16, 1
	v_or_b32_e32 v39, 0x400000, v35
	v_cmp_u_f32_e64 s0, v35, v35
	s_delay_alu instid0(VALU_DEP_3) | instskip(SKIP_1) | instid1(VALU_DEP_1)
	v_add3_u32 v38, v40, v35, 0x7fff
	s_wait_alu 0xf1ff
	v_cndmask_b32_e64 v35, v38, v39, s0
	v_bfe_u32 v38, v12, 16, 1
	v_cmp_u_f32_e64 s0, v12, v12
	v_or_b32_e32 v39, 0x400000, v11
	s_delay_alu instid0(VALU_DEP_3) | instskip(SKIP_2) | instid1(VALU_DEP_1)
	v_add3_u32 v36, v38, v12, 0x7fff
	v_or_b32_e32 v38, 0x400000, v12
	s_wait_alu 0xf1ff
	v_cndmask_b32_e64 v12, v36, v38, s0
	v_bfe_u32 v36, v5, 16, 1
	v_cmp_u_f32_e64 s0, v10, v10
	v_or_b32_e32 v38, 0x400000, v5
	s_wait_alu 0xf1ff
	s_delay_alu instid0(VALU_DEP_2) | instskip(SKIP_3) | instid1(VALU_DEP_4)
	v_cndmask_b32_e64 v10, v13, v16, s0
	v_bfe_u32 v13, v11, 16, 1
	v_add3_u32 v16, v36, v5, 0x7fff
	v_cmp_u_f32_e64 s0, v5, v5
	v_and_b32_e32 v10, 0xffff0000, v10
	s_delay_alu instid0(VALU_DEP_4) | instskip(SKIP_1) | instid1(VALU_DEP_3)
	v_add3_u32 v13, v13, v11, 0x7fff
	s_wait_alu 0xf1ff
	v_cndmask_b32_e64 v5, v16, v38, s0
	v_bfe_u32 v16, v6, 16, 1
	v_cmp_u_f32_e64 s0, v11, v11
	s_delay_alu instid0(VALU_DEP_3) | instskip(NEXT) | instid1(VALU_DEP_3)
	v_and_b32_e32 v5, 0xffff0000, v5
	v_add3_u32 v16, v16, v6, 0x7fff
	s_wait_alu 0xf1ff
	s_delay_alu instid0(VALU_DEP_3) | instskip(SKIP_3) | instid1(VALU_DEP_4)
	v_cndmask_b32_e64 v11, v13, v39, s0
	v_or_b32_e32 v39, 0x400000, v6
	v_cmp_u_f32_e64 s0, v6, v6
	v_dual_add_f32 v5, v5, v10 :: v_dual_and_b32 v12, 0xffff0000, v12
	v_and_b32_e32 v11, 0xffff0000, v11
	s_wait_alu 0xf1ff
	s_delay_alu instid0(VALU_DEP_3) | instskip(NEXT) | instid1(VALU_DEP_1)
	v_cndmask_b32_e64 v6, v16, v39, s0
	v_and_b32_e32 v6, 0xffff0000, v6
	s_delay_alu instid0(VALU_DEP_1) | instskip(SKIP_2) | instid1(VALU_DEP_2)
	v_add_f32_e32 v6, v6, v11
	v_and_b32_e32 v36, 0xffff0000, v7
	v_lshlrev_b32_e32 v7, 16, v7
	v_dual_add_f32 v5, v6, v5 :: v_dual_mul_f32 v36, v37, v36
	s_delay_alu instid0(VALU_DEP_2) | instskip(NEXT) | instid1(VALU_DEP_2)
	v_mul_f32_e32 v7, v18, v7
	v_bfe_u32 v13, v36, 16, 1
	v_or_b32_e32 v40, 0x400000, v36
	s_delay_alu instid0(VALU_DEP_3) | instskip(SKIP_1) | instid1(VALU_DEP_4)
	v_bfe_u32 v16, v7, 16, 1
	v_cmp_u_f32_e64 s0, v36, v36
	v_add3_u32 v13, v13, v36, 0x7fff
	v_or_b32_e32 v36, 0x400000, v7
	s_delay_alu instid0(VALU_DEP_4) | instskip(SKIP_1) | instid1(VALU_DEP_3)
	v_add3_u32 v16, v16, v7, 0x7fff
	s_wait_alu 0xf1ff
	v_cndmask_b32_e64 v13, v13, v40, s0
	v_cmp_u_f32_e64 s0, v7, v7
	s_delay_alu instid0(VALU_DEP_2) | instskip(SKIP_1) | instid1(VALU_DEP_2)
	v_and_b32_e32 v10, 0xffff0000, v13
	s_wait_alu 0xf1ff
	v_cndmask_b32_e64 v7, v16, v36, s0
	s_delay_alu instid0(VALU_DEP_1) | instskip(NEXT) | instid1(VALU_DEP_1)
	v_and_b32_e32 v7, 0xffff0000, v7
	v_dual_add_f32 v7, v7, v10 :: v_dual_and_b32 v38, 0xffff0000, v8
	s_delay_alu instid0(VALU_DEP_1) | instskip(NEXT) | instid1(VALU_DEP_1)
	v_dual_mul_f32 v38, v41, v38 :: v_dual_add_f32 v5, v7, v5
	v_bfe_u32 v39, v38, 16, 1
	v_or_b32_e32 v40, 0x400000, v38
	v_cmp_u_f32_e64 s0, v38, v38
	s_delay_alu instid0(VALU_DEP_3) | instskip(SKIP_1) | instid1(VALU_DEP_1)
	v_add3_u32 v39, v39, v38, 0x7fff
	s_wait_alu 0xf1ff
	v_cndmask_b32_e64 v16, v39, v40, s0
	v_and_b32_e32 v39, 0xffff0000, v1
	v_lshlrev_b32_e32 v1, 16, v1
	s_delay_alu instid0(VALU_DEP_2) | instskip(NEXT) | instid1(VALU_DEP_1)
	v_dual_mul_f32 v11, v14, v39 :: v_dual_lshlrev_b32 v8, 16, v8
	v_dual_mul_f32 v1, v15, v1 :: v_dual_mul_f32 v8, v17, v8
	v_and_b32_e32 v15, 0xffff0000, v3
	v_lshlrev_b32_e32 v3, 16, v3
	s_delay_alu instid0(VALU_DEP_4)
	v_bfe_u32 v6, v11, 16, 1
	v_or_b32_e32 v13, 0x400000, v11
	v_bfe_u32 v36, v8, 16, 1
	v_or_b32_e32 v38, 0x400000, v8
	v_cmp_u_f32_e64 s0, v8, v8
	v_add3_u32 v6, v6, v11, 0x7fff
	v_bfe_u32 v14, v1, 16, 1
	v_add3_u32 v36, v36, v8, 0x7fff
	v_mul_f32_e32 v15, v37, v15
	v_mul_f32_e32 v3, v18, v3
	s_wait_alu 0xf1ff
	s_delay_alu instid0(VALU_DEP_3) | instskip(SKIP_2) | instid1(VALU_DEP_3)
	v_cndmask_b32_e64 v8, v36, v38, s0
	v_cmp_u_f32_e64 s0, v11, v11
	v_add3_u32 v11, v14, v1, 0x7fff
	v_and_b32_e32 v8, 0xffff0000, v8
	s_wait_alu 0xf1ff
	s_delay_alu instid0(VALU_DEP_3) | instskip(SKIP_2) | instid1(VALU_DEP_3)
	v_cndmask_b32_e64 v6, v6, v13, s0
	v_or_b32_e32 v13, 0x400000, v1
	v_cmp_u_f32_e64 s0, v1, v1
	v_and_b32_e32 v6, 0xffff0000, v6
	s_wait_alu 0xf1ff
	s_delay_alu instid0(VALU_DEP_2) | instskip(NEXT) | instid1(VALU_DEP_1)
	v_cndmask_b32_e64 v1, v11, v13, s0
	v_and_b32_e32 v1, 0xffff0000, v1
	s_delay_alu instid0(VALU_DEP_1) | instskip(SKIP_2) | instid1(VALU_DEP_2)
	v_add_f32_e32 v1, v1, v6
	v_and_b32_e32 v10, 0xffff0000, v2
	v_lshlrev_b32_e32 v2, 16, v2
	v_mul_f32_e32 v10, v20, v10
	s_delay_alu instid0(VALU_DEP_2) | instskip(NEXT) | instid1(VALU_DEP_2)
	v_mul_f32_e32 v2, v19, v2
	v_bfe_u32 v14, v10, 16, 1
	v_or_b32_e32 v13, 0x400000, v10
	v_cmp_u_f32_e64 s0, v10, v10
	s_delay_alu instid0(VALU_DEP_3) | instskip(SKIP_2) | instid1(VALU_DEP_2)
	v_add3_u32 v11, v14, v10, 0x7fff
	v_bfe_u32 v14, v2, 16, 1
	s_wait_alu 0xf1ff
	v_cndmask_b32_e64 v10, v11, v13, s0
	s_delay_alu instid0(VALU_DEP_2)
	v_add3_u32 v11, v14, v2, 0x7fff
	v_or_b32_e32 v13, 0x400000, v2
	v_cmp_u_f32_e64 s0, v2, v2
	v_bfe_u32 v14, v15, 16, 1
	v_and_b32_e32 v10, 0xffff0000, v10
	s_wait_alu 0xf1ff
	s_delay_alu instid0(VALU_DEP_3) | instskip(SKIP_3) | instid1(VALU_DEP_4)
	v_cndmask_b32_e64 v2, v11, v13, s0
	v_bfe_u32 v11, v3, 16, 1
	v_add3_u32 v13, v14, v15, 0x7fff
	v_cmp_u_f32_e64 s0, v15, v15
	v_and_b32_e32 v2, 0xffff0000, v2
	s_delay_alu instid0(VALU_DEP_4) | instskip(NEXT) | instid1(VALU_DEP_2)
	v_add3_u32 v11, v11, v3, 0x7fff
	v_add_f32_e32 v2, v2, v10
	s_delay_alu instid0(VALU_DEP_1) | instskip(SKIP_1) | instid1(VALU_DEP_2)
	v_dual_add_f32 v1, v2, v1 :: v_dual_and_b32 v18, 0xffff0000, v4
	v_lshlrev_b32_e32 v4, 16, v4
	v_dual_mul_f32 v14, v41, v18 :: v_dual_and_b32 v35, 0xffff0000, v35
	s_delay_alu instid0(VALU_DEP_2) | instskip(SKIP_2) | instid1(VALU_DEP_4)
	v_mul_f32_e32 v4, v17, v4
	v_or_b32_e32 v17, 0x400000, v15
	v_or_b32_e32 v18, 0x400000, v3
	v_bfe_u32 v19, v14, 16, 1
	s_delay_alu instid0(VALU_DEP_4)
	v_bfe_u32 v20, v4, 16, 1
	s_wait_alu 0xf1ff
	v_cndmask_b32_e64 v13, v13, v17, s0
	v_cmp_u_f32_e64 s0, v3, v3
	v_or_b32_e32 v17, 0x400000, v4
	v_add3_u32 v15, v20, v4, 0x7fff
	s_delay_alu instid0(VALU_DEP_4)
	v_and_b32_e32 v6, 0xffff0000, v13
	s_wait_alu 0xf1ff
	v_cndmask_b32_e64 v3, v11, v18, s0
	v_cmp_u_f32_e64 s0, v4, v4
	v_add3_u32 v11, v19, v14, 0x7fff
	v_or_b32_e32 v18, 0x400000, v14
	s_delay_alu instid0(VALU_DEP_4) | instskip(SKIP_3) | instid1(VALU_DEP_2)
	v_and_b32_e32 v3, 0xffff0000, v3
	s_wait_alu 0xf1ff
	v_cndmask_b32_e64 v4, v15, v17, s0
	v_cmp_u_f32_e64 s0, v14, v14
	v_dual_add_f32 v2, v3, v6 :: v_dual_and_b32 v3, 0xffff0000, v4
	s_wait_alu 0xf1ff
	s_delay_alu instid0(VALU_DEP_2) | instskip(SKIP_1) | instid1(VALU_DEP_3)
	v_cndmask_b32_e64 v10, v11, v18, s0
	v_dual_add_f32 v6, v12, v35 :: v_dual_and_b32 v11, 0xffff0000, v16
	v_add_f32_e32 v1, v2, v1
	v_cmp_le_i32_e64 s0, s13, v24
	s_delay_alu instid0(VALU_DEP_3) | instskip(SKIP_1) | instid1(VALU_DEP_1)
	v_dual_add_f32 v7, v8, v11 :: v_dual_and_b32 v4, 0xffff0000, v10
	s_or_b32 s7, s0, s7
	v_dual_add_f32 v2, v3, v4 :: v_dual_add_f32 v3, v6, v9
	s_delay_alu instid0(VALU_DEP_2) | instskip(NEXT) | instid1(VALU_DEP_2)
	v_add_f32_e32 v4, v7, v5
	v_dual_add_f32 v1, v2, v1 :: v_dual_add_f32 v28, v28, v3
	s_delay_alu instid0(VALU_DEP_1)
	v_dual_add_f32 v29, v29, v4 :: v_dual_add_f32 v30, v30, v1
	s_wait_alu 0xfffe
	s_and_not1_b32 exec_lo, exec_lo, s7
	s_cbranch_execz .LBB148_43
.LBB148_34:                             ; =>This Inner Loop Header: Depth=1
	global_load_b32 v1, v[21:22], off
	s_wait_loadcnt 0x0
	s_wait_alu 0xfffe
	v_mad_co_i64_i32 v[1:2], null, v1, s5, 0
	s_delay_alu instid0(VALU_DEP_1) | instskip(NEXT) | instid1(VALU_DEP_1)
	v_lshlrev_b64_e32 v[1:2], 1, v[1:2]
	v_add_co_u32 v35, s0, s2, v1
	s_wait_alu 0xf1ff
	s_delay_alu instid0(VALU_DEP_2) | instskip(NEXT) | instid1(VALU_DEP_2)
	v_add_co_ci_u32_e64 v36, null, s3, v2, s0
	v_add_co_u32 v9, s0, v35, v33
	s_wait_alu 0xf1ff
	s_delay_alu instid0(VALU_DEP_2)
	v_add_co_ci_u32_e64 v10, null, 0, v36, s0
	v_cmp_eq_u32_e64 s0, s6, v24
	global_load_b128 v[1:4], v[9:10], off
	ds_load_2addr_b64 v[17:20], v32 offset1:1
	ds_load_2addr_b64 v[13:16], v32 offset0:2 offset1:3
	s_and_saveexec_b32 s15, s0
	s_cbranch_execnz .LBB148_41
; %bb.35:                               ;   in Loop: Header=BB148_34 Depth=1
	s_or_b32 exec_lo, exec_lo, s15
	global_load_b128 v[5:8], v[9:10], off offset:512
	s_and_saveexec_b32 s15, s0
	s_cbranch_execnz .LBB148_42
.LBB148_36:                             ;   in Loop: Header=BB148_34 Depth=1
	s_or_b32 exec_lo, exec_lo, s15
	global_load_b128 v[9:12], v[9:10], off offset:1024
	s_and_saveexec_b32 s15, s0
	s_cbranch_execz .LBB148_38
.LBB148_37:                             ;   in Loop: Header=BB148_34 Depth=1
	v_add_nc_u32_e32 v37, 1, v31
	s_wait_loadcnt 0x0
	v_lshrrev_b32_e32 v38, 16, v9
	v_or_b32_e32 v39, 2, v31
	v_lshrrev_b32_e32 v40, 16, v10
	v_or_b32_e32 v41, 4, v31
	v_cmp_gt_i32_e64 s1, s9, v37
	v_or_b32_e32 v42, 7, v31
	v_lshrrev_b32_e32 v43, 16, v12
	s_wait_alu 0xf1ff
	s_delay_alu instid0(VALU_DEP_3) | instskip(SKIP_3) | instid1(VALU_DEP_2)
	v_cndmask_b32_e64 v37, 0, v38, s1
	v_cmp_gt_i32_e64 s1, s25, v31
	v_or_b32_e32 v38, 3, v31
	s_wait_alu 0xf1ff
	v_cndmask_b32_e64 v9, 0, v9, s1
	v_cmp_gt_i32_e64 s1, s25, v39
	v_or_b32_e32 v39, 5, v31
	s_delay_alu instid0(VALU_DEP_3) | instskip(SKIP_1) | instid1(VALU_DEP_3)
	v_perm_b32 v9, v37, v9, 0x5040100
	s_wait_alu 0xf1ff
	v_cndmask_b32_e64 v10, 0, v10, s1
	v_cmp_gt_i32_e64 s1, s9, v38
	s_wait_alu 0xf1ff
	s_delay_alu instid0(VALU_DEP_1) | instskip(SKIP_2) | instid1(VALU_DEP_3)
	v_cndmask_b32_e64 v38, 0, v40, s1
	v_cmp_gt_i32_e64 s1, s25, v41
	v_or_b32_e32 v41, 6, v31
	v_perm_b32 v10, v38, v10, 0x5040100
	s_wait_alu 0xf1ff
	s_delay_alu instid0(VALU_DEP_3) | instskip(SKIP_3) | instid1(VALU_DEP_1)
	v_cndmask_b32_e64 v40, 0, v11, s1
	v_lshrrev_b32_e32 v11, 16, v11
	v_cmp_gt_i32_e64 s1, s9, v39
	s_wait_alu 0xf1ff
	v_cndmask_b32_e64 v11, 0, v11, s1
	v_cmp_gt_i32_e64 s1, s25, v41
	s_delay_alu instid0(VALU_DEP_2) | instskip(SKIP_1) | instid1(VALU_DEP_2)
	v_perm_b32 v11, v11, v40, 0x5040100
	s_wait_alu 0xf1ff
	v_cndmask_b32_e64 v12, 0, v12, s1
	v_cmp_gt_i32_e64 s1, s9, v42
	s_wait_alu 0xf1ff
	s_delay_alu instid0(VALU_DEP_1) | instskip(NEXT) | instid1(VALU_DEP_1)
	v_cndmask_b32_e64 v39, 0, v43, s1
	v_perm_b32 v12, v39, v12, 0x5040100
.LBB148_38:                             ;   in Loop: Header=BB148_34 Depth=1
	s_or_b32 exec_lo, exec_lo, s15
	s_wait_dscnt 0x1
	v_bfe_u32 v37, v17, 16, 1
	v_bfe_u32 v38, v18, 16, 1
	v_or_b32_e32 v39, 0x400000, v17
	v_cmp_u_f32_e64 s1, v17, v17
	v_or_b32_e32 v40, 0x400000, v18
	v_add3_u32 v37, v37, v17, 0x7fff
	v_bfe_u32 v41, v19, 16, 1
	v_add3_u32 v38, v38, v18, 0x7fff
	v_bfe_u32 v42, v20, 16, 1
	s_wait_alu 0xf1ff
	v_cndmask_b32_e64 v17, v37, v39, s1
	v_cmp_u_f32_e64 s1, v18, v18
	v_add3_u32 v37, v41, v19, 0x7fff
	s_wait_dscnt 0x0
	v_bfe_u32 v39, v13, 16, 1
	v_or_b32_e32 v41, 0x400000, v20
	s_wait_alu 0xf1ff
	v_cndmask_b32_e64 v18, v38, v40, s1
	v_or_b32_e32 v38, 0x400000, v19
	v_cmp_u_f32_e64 s1, v19, v19
	v_add3_u32 v40, v42, v20, 0x7fff
	v_or_b32_e32 v42, 0x400000, v16
	s_wait_alu 0xf1ff
	s_delay_alu instid0(VALU_DEP_3)
	v_cndmask_b32_e64 v19, v37, v38, s1
	v_cmp_u_f32_e64 s1, v20, v20
	v_add3_u32 v37, v39, v13, 0x7fff
	v_or_b32_e32 v38, 0x400000, v13
	v_bfe_u32 v20, v14, 16, 1
	s_wait_alu 0xf1ff
	v_cndmask_b32_e64 v39, v40, v41, s1
	v_cmp_u_f32_e64 s1, v13, v13
	v_bfe_u32 v40, v15, 16, 1
	v_add3_u32 v20, v20, v14, 0x7fff
	v_or_b32_e32 v41, 0x400000, v15
	v_perm_b32 v19, v39, v19, 0x7060302
	s_wait_alu 0xf1ff
	v_cndmask_b32_e64 v13, v37, v38, s1
	v_or_b32_e32 v38, 0x400000, v14
	v_cmp_u_f32_e64 s1, v14, v14
	v_bfe_u32 v37, v16, 16, 1
	v_add3_u32 v40, v40, v15, 0x7fff
	s_wait_alu 0xf1ff
	s_delay_alu instid0(VALU_DEP_3) | instskip(SKIP_3) | instid1(VALU_DEP_4)
	v_cndmask_b32_e64 v14, v20, v38, s1
	v_cmp_u_f32_e64 s1, v15, v15
	v_add3_u32 v37, v37, v16, 0x7fff
	v_perm_b32 v20, v18, v17, 0x7060302
	v_perm_b32 v18, v14, v13, 0x7060302
	s_wait_alu 0xf1ff
	v_cndmask_b32_e64 v15, v40, v41, s1
	v_cmp_u_f32_e64 s1, v16, v16
	s_wait_alu 0xf1ff
	s_delay_alu instid0(VALU_DEP_1) | instskip(NEXT) | instid1(VALU_DEP_1)
	v_cndmask_b32_e64 v16, v37, v42, s1
	v_perm_b32 v17, v16, v15, 0x7060302
	s_and_saveexec_b32 s15, vcc_lo
	s_cbranch_execz .LBB148_33
; %bb.39:                               ;   in Loop: Header=BB148_34 Depth=1
	v_add_co_u32 v13, s1, v35, v34
	s_wait_alu 0xf1ff
	v_add_co_ci_u32_e64 v14, null, 0, v36, s1
	global_load_b128 v[13:16], v[13:14], off
	s_and_saveexec_b32 s1, s0
	s_cbranch_execz .LBB148_32
; %bb.40:                               ;   in Loop: Header=BB148_34 Depth=1
	v_add_nc_u32_e32 v35, 1, v31
	s_wait_loadcnt 0x0
	v_lshrrev_b32_e32 v36, 16, v13
	v_or_b32_e32 v37, 2, v31
	v_lshrrev_b32_e32 v38, 16, v14
	v_or_b32_e32 v39, 4, v31
	v_cmp_gt_i32_e64 s0, s9, v35
	v_or_b32_e32 v40, 7, v31
	v_lshrrev_b32_e32 v41, 16, v16
	s_wait_alu 0xf1ff
	s_delay_alu instid0(VALU_DEP_3) | instskip(SKIP_3) | instid1(VALU_DEP_2)
	v_cndmask_b32_e64 v35, 0, v36, s0
	v_cmp_gt_i32_e64 s0, s25, v31
	v_or_b32_e32 v36, 3, v31
	s_wait_alu 0xf1ff
	v_cndmask_b32_e64 v13, 0, v13, s0
	v_cmp_gt_i32_e64 s0, s25, v37
	v_or_b32_e32 v37, 5, v31
	s_delay_alu instid0(VALU_DEP_3) | instskip(SKIP_1) | instid1(VALU_DEP_3)
	v_perm_b32 v13, v35, v13, 0x5040100
	s_wait_alu 0xf1ff
	v_cndmask_b32_e64 v14, 0, v14, s0
	v_cmp_gt_i32_e64 s0, s9, v36
	s_wait_alu 0xf1ff
	s_delay_alu instid0(VALU_DEP_1) | instskip(SKIP_2) | instid1(VALU_DEP_3)
	v_cndmask_b32_e64 v36, 0, v38, s0
	v_cmp_gt_i32_e64 s0, s25, v39
	v_or_b32_e32 v39, 6, v31
	v_perm_b32 v14, v36, v14, 0x5040100
	s_wait_alu 0xf1ff
	s_delay_alu instid0(VALU_DEP_3) | instskip(SKIP_3) | instid1(VALU_DEP_1)
	v_cndmask_b32_e64 v38, 0, v15, s0
	v_lshrrev_b32_e32 v15, 16, v15
	v_cmp_gt_i32_e64 s0, s9, v37
	s_wait_alu 0xf1ff
	v_cndmask_b32_e64 v15, 0, v15, s0
	v_cmp_gt_i32_e64 s0, s25, v39
	s_delay_alu instid0(VALU_DEP_2) | instskip(SKIP_1) | instid1(VALU_DEP_2)
	v_perm_b32 v15, v15, v38, 0x5040100
	s_wait_alu 0xf1ff
	v_cndmask_b32_e64 v16, 0, v16, s0
	v_cmp_gt_i32_e64 s0, s9, v40
	s_wait_alu 0xf1ff
	s_delay_alu instid0(VALU_DEP_1) | instskip(NEXT) | instid1(VALU_DEP_1)
	v_cndmask_b32_e64 v37, 0, v41, s0
	v_perm_b32 v16, v37, v16, 0x5040100
	s_branch .LBB148_32
.LBB148_41:                             ;   in Loop: Header=BB148_34 Depth=1
	v_add_nc_u32_e32 v5, 1, v31
	s_wait_loadcnt 0x0
	v_lshrrev_b32_e32 v6, 16, v1
	v_or_b32_e32 v7, 2, v31
	v_lshrrev_b32_e32 v8, 16, v2
	v_or_b32_e32 v11, 4, v31
	v_cmp_gt_i32_e64 s1, s9, v5
	v_or_b32_e32 v12, 7, v31
	v_lshrrev_b32_e32 v37, 16, v4
	s_wait_alu 0xf1ff
	s_delay_alu instid0(VALU_DEP_3) | instskip(SKIP_3) | instid1(VALU_DEP_2)
	v_cndmask_b32_e64 v5, 0, v6, s1
	v_cmp_gt_i32_e64 s1, s25, v31
	v_or_b32_e32 v6, 3, v31
	s_wait_alu 0xf1ff
	v_cndmask_b32_e64 v1, 0, v1, s1
	v_cmp_gt_i32_e64 s1, s25, v7
	v_or_b32_e32 v7, 5, v31
	s_delay_alu instid0(VALU_DEP_3) | instskip(SKIP_1) | instid1(VALU_DEP_3)
	v_perm_b32 v1, v5, v1, 0x5040100
	s_wait_alu 0xf1ff
	v_cndmask_b32_e64 v2, 0, v2, s1
	v_cmp_gt_i32_e64 s1, s9, v6
	s_wait_alu 0xf1ff
	s_delay_alu instid0(VALU_DEP_1) | instskip(SKIP_2) | instid1(VALU_DEP_3)
	v_cndmask_b32_e64 v6, 0, v8, s1
	v_cmp_gt_i32_e64 s1, s25, v11
	v_or_b32_e32 v11, 6, v31
	v_perm_b32 v2, v6, v2, 0x5040100
	s_wait_alu 0xf1ff
	s_delay_alu instid0(VALU_DEP_3) | instskip(SKIP_3) | instid1(VALU_DEP_1)
	v_cndmask_b32_e64 v8, 0, v3, s1
	v_lshrrev_b32_e32 v3, 16, v3
	v_cmp_gt_i32_e64 s1, s9, v7
	s_wait_alu 0xf1ff
	v_cndmask_b32_e64 v3, 0, v3, s1
	v_cmp_gt_i32_e64 s1, s25, v11
	s_delay_alu instid0(VALU_DEP_2) | instskip(SKIP_1) | instid1(VALU_DEP_2)
	v_perm_b32 v3, v3, v8, 0x5040100
	s_wait_alu 0xf1ff
	v_cndmask_b32_e64 v4, 0, v4, s1
	v_cmp_gt_i32_e64 s1, s9, v12
	s_wait_alu 0xf1ff
	s_delay_alu instid0(VALU_DEP_1) | instskip(NEXT) | instid1(VALU_DEP_1)
	v_cndmask_b32_e64 v7, 0, v37, s1
	v_perm_b32 v4, v7, v4, 0x5040100
	s_or_b32 exec_lo, exec_lo, s15
	global_load_b128 v[5:8], v[9:10], off offset:512
	s_and_saveexec_b32 s15, s0
	s_cbranch_execz .LBB148_36
.LBB148_42:                             ;   in Loop: Header=BB148_34 Depth=1
	v_add_nc_u32_e32 v11, 1, v31
	s_wait_loadcnt 0x0
	v_lshrrev_b32_e32 v12, 16, v5
	v_or_b32_e32 v37, 2, v31
	v_lshrrev_b32_e32 v38, 16, v6
	v_or_b32_e32 v39, 4, v31
	v_cmp_gt_i32_e64 s1, s9, v11
	v_or_b32_e32 v40, 7, v31
	v_lshrrev_b32_e32 v41, 16, v8
	s_wait_alu 0xf1ff
	s_delay_alu instid0(VALU_DEP_3) | instskip(SKIP_3) | instid1(VALU_DEP_2)
	v_cndmask_b32_e64 v11, 0, v12, s1
	v_cmp_gt_i32_e64 s1, s25, v31
	v_or_b32_e32 v12, 3, v31
	s_wait_alu 0xf1ff
	v_cndmask_b32_e64 v5, 0, v5, s1
	v_cmp_gt_i32_e64 s1, s25, v37
	v_or_b32_e32 v37, 5, v31
	s_delay_alu instid0(VALU_DEP_3) | instskip(SKIP_1) | instid1(VALU_DEP_3)
	v_perm_b32 v5, v11, v5, 0x5040100
	s_wait_alu 0xf1ff
	v_cndmask_b32_e64 v6, 0, v6, s1
	v_cmp_gt_i32_e64 s1, s9, v12
	s_wait_alu 0xf1ff
	s_delay_alu instid0(VALU_DEP_1) | instskip(SKIP_2) | instid1(VALU_DEP_3)
	v_cndmask_b32_e64 v12, 0, v38, s1
	v_cmp_gt_i32_e64 s1, s25, v39
	v_or_b32_e32 v39, 6, v31
	v_perm_b32 v6, v12, v6, 0x5040100
	s_wait_alu 0xf1ff
	s_delay_alu instid0(VALU_DEP_3) | instskip(SKIP_3) | instid1(VALU_DEP_1)
	v_cndmask_b32_e64 v38, 0, v7, s1
	v_lshrrev_b32_e32 v7, 16, v7
	v_cmp_gt_i32_e64 s1, s9, v37
	s_wait_alu 0xf1ff
	v_cndmask_b32_e64 v7, 0, v7, s1
	v_cmp_gt_i32_e64 s1, s25, v39
	s_delay_alu instid0(VALU_DEP_2) | instskip(SKIP_1) | instid1(VALU_DEP_2)
	v_perm_b32 v7, v7, v38, 0x5040100
	s_wait_alu 0xf1ff
	v_cndmask_b32_e64 v8, 0, v8, s1
	v_cmp_gt_i32_e64 s1, s9, v40
	s_wait_alu 0xf1ff
	s_delay_alu instid0(VALU_DEP_1) | instskip(NEXT) | instid1(VALU_DEP_1)
	v_cndmask_b32_e64 v37, 0, v41, s1
	v_perm_b32 v8, v37, v8, 0x5040100
	s_or_b32 exec_lo, exec_lo, s15
	global_load_b128 v[9:12], v[9:10], off offset:1024
	s_and_saveexec_b32 s15, s0
	s_cbranch_execnz .LBB148_37
	s_branch .LBB148_38
.LBB148_43:
	s_or_b32 exec_lo, exec_lo, s7
.LBB148_44:
	s_wait_alu 0xfffe
	s_or_b32 exec_lo, exec_lo, s4
	s_movk_i32 s0, 0x1c0
	v_and_b32_e32 v1, 0x3c0, v0
	s_wait_alu 0xfffe
	v_mad_u32_u24 v4, v23, s0, 0x100
	v_or_b32_e32 v3, 0x60, v0
	s_mov_b32 s0, exec_lo
	s_wait_loadcnt 0x0
	s_wait_storecnt 0x0
	s_barrier_signal -1
	s_barrier_wait -1
	global_inv scope:SCOPE_SE
	v_cmpx_eq_u32_e32 64, v1
	s_cbranch_execz .LBB148_47
; %bb.45:
	v_add_nc_u32_e32 v1, 0xfffffc80, v4
	v_cmp_gt_u32_e32 vcc_lo, 0x70, v3
	s_delay_alu instid0(VALU_DEP_2)
	v_lshl_add_u32 v2, v25, 2, v1
	ds_store_2addr_b32 v2, v30, v29 offset1:32
	ds_store_b32 v2, v28 offset:256
	s_and_b32 exec_lo, exec_lo, vcc_lo
; %bb.46:
	v_lshl_add_u32 v1, v3, 2, v1
	ds_store_b32 v1, v27
.LBB148_47:
	s_wait_alu 0xfffe
	s_or_b32 exec_lo, exec_lo, s0
	v_lshl_add_u32 v5, v25, 2, v4
	s_mov_b32 s0, exec_lo
	s_wait_loadcnt_dscnt 0x0
	s_barrier_signal -1
	s_barrier_wait -1
	global_inv scope:SCOPE_SE
	v_cmpx_gt_u32_e32 64, v0
	s_cbranch_execz .LBB148_51
; %bb.48:
	v_lshl_or_b32 v1, v0, 2, 0x80
	s_mov_b32 s1, exec_lo
	s_delay_alu instid0(VALU_DEP_1)
	v_add_nc_u32_e32 v6, v4, v1
	ds_load_2addr_stride64_b32 v[1:2], v5 offset1:1
	ds_load_b32 v6, v6
	v_cmpx_gt_u32_e32 0x70, v3
	s_cbranch_execz .LBB148_50
; %bb.49:
	v_lshl_add_u32 v7, v3, 2, v4
	ds_load_b32 v7, v7
	s_wait_dscnt 0x0
	v_add_f32_e32 v27, v27, v7
.LBB148_50:
	s_wait_alu 0xfffe
	s_or_b32 exec_lo, exec_lo, s1
	s_wait_dscnt 0x0
	v_dual_add_f32 v30, v30, v1 :: v_dual_add_f32 v29, v29, v6
	v_add_f32_e32 v28, v28, v2
.LBB148_51:
	s_wait_alu 0xfffe
	s_or_b32 exec_lo, exec_lo, s0
	v_and_b32_e32 v1, 0x3e0, v0
	s_mov_b32 s0, exec_lo
	s_wait_loadcnt 0x0
	s_barrier_signal -1
	s_barrier_wait -1
	global_inv scope:SCOPE_SE
	v_cmpx_eq_u32_e32 32, v1
	s_cbranch_execz .LBB148_54
; %bb.52:
	v_lshl_add_u32 v1, v25, 2, 0x100
	v_cmp_gt_u32_e32 vcc_lo, 0x70, v3
	ds_store_b32 v1, v30
	ds_store_b32 v26, v29
	ds_store_b32 v1, v28 offset:256
	s_and_b32 exec_lo, exec_lo, vcc_lo
; %bb.53:
	v_lshl_add_u32 v1, v3, 2, 0x100
	ds_store_b32 v1, v27
.LBB148_54:
	s_wait_alu 0xfffe
	s_or_b32 exec_lo, exec_lo, s0
	v_cmp_gt_u32_e32 vcc_lo, 32, v0
	s_wait_loadcnt_dscnt 0x0
	s_barrier_signal -1
	s_barrier_wait -1
	global_inv scope:SCOPE_SE
	s_and_saveexec_b32 s1, vcc_lo
	s_cbranch_execz .LBB148_58
; %bb.55:
	v_lshl_add_u32 v6, v0, 2, v4
	s_mov_b32 s2, exec_lo
	ds_load_b32 v4, v5
	ds_load_2addr_b32 v[1:2], v6 offset0:32 offset1:64
	v_cmpx_gt_u32_e32 0x70, v3
	s_cbranch_execz .LBB148_57
; %bb.56:
	ds_load_b32 v5, v6 offset:384
	s_wait_dscnt 0x0
	v_add_f32_e32 v27, v27, v5
.LBB148_57:
	s_wait_alu 0xfffe
	s_or_b32 exec_lo, exec_lo, s2
	s_wait_dscnt 0x0
	v_dual_add_f32 v30, v30, v4 :: v_dual_add_f32 v29, v29, v1
	v_add_f32_e32 v28, v28, v2
.LBB148_58:
	s_wait_alu 0xfffe
	s_or_b32 exec_lo, exec_lo, s1
	s_wait_loadcnt 0x0
	s_barrier_signal -1
	s_barrier_wait -1
	global_inv scope:SCOPE_SE
	s_and_saveexec_b32 s0, vcc_lo
	s_cbranch_execz .LBB148_61
; %bb.59:
	v_bfe_u32 v1, v30, 16, 1
	v_bfe_u32 v2, v29, 16, 1
	v_or_b32_e32 v5, 0x400000, v30
	v_cmp_u_f32_e32 vcc_lo, v30, v30
	v_bfe_u32 v4, v28, 16, 1
	v_add3_u32 v1, v1, v30, 0x7fff
	v_lshlrev_b32_e32 v0, 1, v0
	v_add3_u32 v2, v2, v29, 0x7fff
	v_or_b32_e32 v6, 0x400000, v29
	s_mul_i32 s0, s14, 0x70
	s_wait_alu 0xfffd
	v_cndmask_b32_e32 v1, v1, v5, vcc_lo
	v_cmp_u_f32_e32 vcc_lo, v29, v29
	s_mul_i32 s2, s8, s12
	s_wait_alu 0xfffe
	s_ashr_i32 s1, s0, 31
	v_add3_u32 v4, v4, v28, 0x7fff
	v_or_b32_e32 v7, 0x400000, v28
	s_wait_alu 0xfffd
	v_cndmask_b32_e32 v2, v2, v6, vcc_lo
	v_cmp_u_f32_e32 vcc_lo, v28, v28
	s_ashr_i32 s3, s2, 31
	s_wait_alu 0xfffe
	s_lshl_b64 s[0:1], s[0:1], 1
	s_lshl_b64 s[2:3], s[2:3], 1
	s_wait_alu 0xfffe
	s_add_nc_u64 s[0:1], s[10:11], s[0:1]
	s_wait_alu 0xfffd
	v_cndmask_b32_e32 v4, v4, v7, vcc_lo
	v_cmp_gt_u32_e32 vcc_lo, 0x70, v3
	s_mul_i32 s4, s24, 0xe0
	s_wait_alu 0xfffe
	s_add_nc_u64 s[0:1], s[0:1], s[2:3]
	s_mov_b32 s5, 0
	s_wait_alu 0xfffe
	s_add_nc_u64 s[0:1], s[0:1], s[4:5]
	s_clause 0x2
	global_store_d16_hi_b16 v0, v1, s[0:1]
	global_store_d16_hi_b16 v0, v2, s[0:1] offset:64
	global_store_d16_hi_b16 v0, v4, s[0:1] offset:128
	s_and_b32 exec_lo, exec_lo, vcc_lo
	s_cbranch_execz .LBB148_61
; %bb.60:
	v_bfe_u32 v1, v27, 16, 1
	v_or_b32_e32 v2, 0x400000, v27
	v_cmp_u_f32_e32 vcc_lo, v27, v27
	s_wait_alu 0xfffe
	v_add_co_u32 v0, s0, s0, v0
	v_add3_u32 v3, v1, v27, 0x7fff
	s_wait_alu 0xf1ff
	v_add_co_ci_u32_e64 v1, null, s1, 0, s0
	s_wait_alu 0xfffd
	s_delay_alu instid0(VALU_DEP_2)
	v_cndmask_b32_e32 v2, v3, v2, vcc_lo
	global_store_d16_hi_b16 v[0:1], v2, off offset:192
.LBB148_61:
	s_endpgm
	.section	.rodata,"a",@progbits
	.p2align	6, 0x0
	.amdhsa_kernel _ZN4vllm25paged_attention_v2_kernelI14__hip_bfloat16S1_Li112ELi8ELi128ELNS_18Fp8KVCacheDataTypeE0ELb0ELi512EEEvPfS3_PT_PKS4_PKT0_SA_ifPKiSC_iPKfiiiSE_SE_iiiii
		.amdhsa_group_segment_fixed_size 256
		.amdhsa_private_segment_fixed_size 0
		.amdhsa_kernarg_size 400
		.amdhsa_user_sgpr_count 2
		.amdhsa_user_sgpr_dispatch_ptr 0
		.amdhsa_user_sgpr_queue_ptr 0
		.amdhsa_user_sgpr_kernarg_segment_ptr 1
		.amdhsa_user_sgpr_dispatch_id 0
		.amdhsa_user_sgpr_private_segment_size 0
		.amdhsa_wavefront_size32 1
		.amdhsa_uses_dynamic_stack 0
		.amdhsa_enable_private_segment 0
		.amdhsa_system_sgpr_workgroup_id_x 1
		.amdhsa_system_sgpr_workgroup_id_y 1
		.amdhsa_system_sgpr_workgroup_id_z 1
		.amdhsa_system_sgpr_workgroup_info 0
		.amdhsa_system_vgpr_workitem_id 0
		.amdhsa_next_free_vgpr 62
		.amdhsa_next_free_sgpr 32
		.amdhsa_reserve_vcc 1
		.amdhsa_float_round_mode_32 0
		.amdhsa_float_round_mode_16_64 0
		.amdhsa_float_denorm_mode_32 3
		.amdhsa_float_denorm_mode_16_64 3
		.amdhsa_fp16_overflow 0
		.amdhsa_workgroup_processor_mode 1
		.amdhsa_memory_ordered 1
		.amdhsa_forward_progress 1
		.amdhsa_inst_pref_size 69
		.amdhsa_round_robin_scheduling 0
		.amdhsa_exception_fp_ieee_invalid_op 0
		.amdhsa_exception_fp_denorm_src 0
		.amdhsa_exception_fp_ieee_div_zero 0
		.amdhsa_exception_fp_ieee_overflow 0
		.amdhsa_exception_fp_ieee_underflow 0
		.amdhsa_exception_fp_ieee_inexact 0
		.amdhsa_exception_int_div_zero 0
	.end_amdhsa_kernel
	.section	.text._ZN4vllm25paged_attention_v2_kernelI14__hip_bfloat16S1_Li112ELi8ELi128ELNS_18Fp8KVCacheDataTypeE0ELb0ELi512EEEvPfS3_PT_PKS4_PKT0_SA_ifPKiSC_iPKfiiiSE_SE_iiiii,"axG",@progbits,_ZN4vllm25paged_attention_v2_kernelI14__hip_bfloat16S1_Li112ELi8ELi128ELNS_18Fp8KVCacheDataTypeE0ELb0ELi512EEEvPfS3_PT_PKS4_PKT0_SA_ifPKiSC_iPKfiiiSE_SE_iiiii,comdat
.Lfunc_end148:
	.size	_ZN4vllm25paged_attention_v2_kernelI14__hip_bfloat16S1_Li112ELi8ELi128ELNS_18Fp8KVCacheDataTypeE0ELb0ELi512EEEvPfS3_PT_PKS4_PKT0_SA_ifPKiSC_iPKfiiiSE_SE_iiiii, .Lfunc_end148-_ZN4vllm25paged_attention_v2_kernelI14__hip_bfloat16S1_Li112ELi8ELi128ELNS_18Fp8KVCacheDataTypeE0ELb0ELi512EEEvPfS3_PT_PKS4_PKT0_SA_ifPKiSC_iPKfiiiSE_SE_iiiii
                                        ; -- End function
	.set _ZN4vllm25paged_attention_v2_kernelI14__hip_bfloat16S1_Li112ELi8ELi128ELNS_18Fp8KVCacheDataTypeE0ELb0ELi512EEEvPfS3_PT_PKS4_PKT0_SA_ifPKiSC_iPKfiiiSE_SE_iiiii.num_vgpr, 62
	.set _ZN4vllm25paged_attention_v2_kernelI14__hip_bfloat16S1_Li112ELi8ELi128ELNS_18Fp8KVCacheDataTypeE0ELb0ELi512EEEvPfS3_PT_PKS4_PKT0_SA_ifPKiSC_iPKfiiiSE_SE_iiiii.num_agpr, 0
	.set _ZN4vllm25paged_attention_v2_kernelI14__hip_bfloat16S1_Li112ELi8ELi128ELNS_18Fp8KVCacheDataTypeE0ELb0ELi512EEEvPfS3_PT_PKS4_PKT0_SA_ifPKiSC_iPKfiiiSE_SE_iiiii.numbered_sgpr, 32
	.set _ZN4vllm25paged_attention_v2_kernelI14__hip_bfloat16S1_Li112ELi8ELi128ELNS_18Fp8KVCacheDataTypeE0ELb0ELi512EEEvPfS3_PT_PKS4_PKT0_SA_ifPKiSC_iPKfiiiSE_SE_iiiii.num_named_barrier, 0
	.set _ZN4vllm25paged_attention_v2_kernelI14__hip_bfloat16S1_Li112ELi8ELi128ELNS_18Fp8KVCacheDataTypeE0ELb0ELi512EEEvPfS3_PT_PKS4_PKT0_SA_ifPKiSC_iPKfiiiSE_SE_iiiii.private_seg_size, 0
	.set _ZN4vllm25paged_attention_v2_kernelI14__hip_bfloat16S1_Li112ELi8ELi128ELNS_18Fp8KVCacheDataTypeE0ELb0ELi512EEEvPfS3_PT_PKS4_PKT0_SA_ifPKiSC_iPKfiiiSE_SE_iiiii.uses_vcc, 1
	.set _ZN4vllm25paged_attention_v2_kernelI14__hip_bfloat16S1_Li112ELi8ELi128ELNS_18Fp8KVCacheDataTypeE0ELb0ELi512EEEvPfS3_PT_PKS4_PKT0_SA_ifPKiSC_iPKfiiiSE_SE_iiiii.uses_flat_scratch, 0
	.set _ZN4vllm25paged_attention_v2_kernelI14__hip_bfloat16S1_Li112ELi8ELi128ELNS_18Fp8KVCacheDataTypeE0ELb0ELi512EEEvPfS3_PT_PKS4_PKT0_SA_ifPKiSC_iPKfiiiSE_SE_iiiii.has_dyn_sized_stack, 0
	.set _ZN4vllm25paged_attention_v2_kernelI14__hip_bfloat16S1_Li112ELi8ELi128ELNS_18Fp8KVCacheDataTypeE0ELb0ELi512EEEvPfS3_PT_PKS4_PKT0_SA_ifPKiSC_iPKfiiiSE_SE_iiiii.has_recursion, 0
	.set _ZN4vllm25paged_attention_v2_kernelI14__hip_bfloat16S1_Li112ELi8ELi128ELNS_18Fp8KVCacheDataTypeE0ELb0ELi512EEEvPfS3_PT_PKS4_PKT0_SA_ifPKiSC_iPKfiiiSE_SE_iiiii.has_indirect_call, 0
	.section	.AMDGPU.csdata,"",@progbits
; Kernel info:
; codeLenInByte = 8756
; TotalNumSgprs: 34
; NumVgprs: 62
; ScratchSize: 0
; MemoryBound: 0
; FloatMode: 240
; IeeeMode: 1
; LDSByteSize: 256 bytes/workgroup (compile time only)
; SGPRBlocks: 0
; VGPRBlocks: 7
; NumSGPRsForWavesPerEU: 34
; NumVGPRsForWavesPerEU: 62
; Occupancy: 16
; WaveLimiterHint : 1
; COMPUTE_PGM_RSRC2:SCRATCH_EN: 0
; COMPUTE_PGM_RSRC2:USER_SGPR: 2
; COMPUTE_PGM_RSRC2:TRAP_HANDLER: 0
; COMPUTE_PGM_RSRC2:TGID_X_EN: 1
; COMPUTE_PGM_RSRC2:TGID_Y_EN: 1
; COMPUTE_PGM_RSRC2:TGID_Z_EN: 1
; COMPUTE_PGM_RSRC2:TIDIG_COMP_CNT: 0
	.section	.text._ZN4vllm25paged_attention_v2_kernelI14__hip_bfloat16S1_Li120ELi8ELi128ELNS_18Fp8KVCacheDataTypeE0ELb0ELi512EEEvPfS3_PT_PKS4_PKT0_SA_ifPKiSC_iPKfiiiSE_SE_iiiii,"axG",@progbits,_ZN4vllm25paged_attention_v2_kernelI14__hip_bfloat16S1_Li120ELi8ELi128ELNS_18Fp8KVCacheDataTypeE0ELb0ELi512EEEvPfS3_PT_PKS4_PKT0_SA_ifPKiSC_iPKfiiiSE_SE_iiiii,comdat
	.protected	_ZN4vllm25paged_attention_v2_kernelI14__hip_bfloat16S1_Li120ELi8ELi128ELNS_18Fp8KVCacheDataTypeE0ELb0ELi512EEEvPfS3_PT_PKS4_PKT0_SA_ifPKiSC_iPKfiiiSE_SE_iiiii ; -- Begin function _ZN4vllm25paged_attention_v2_kernelI14__hip_bfloat16S1_Li120ELi8ELi128ELNS_18Fp8KVCacheDataTypeE0ELb0ELi512EEEvPfS3_PT_PKS4_PKT0_SA_ifPKiSC_iPKfiiiSE_SE_iiiii
	.globl	_ZN4vllm25paged_attention_v2_kernelI14__hip_bfloat16S1_Li120ELi8ELi128ELNS_18Fp8KVCacheDataTypeE0ELb0ELi512EEEvPfS3_PT_PKS4_PKT0_SA_ifPKiSC_iPKfiiiSE_SE_iiiii
	.p2align	8
	.type	_ZN4vllm25paged_attention_v2_kernelI14__hip_bfloat16S1_Li120ELi8ELi128ELNS_18Fp8KVCacheDataTypeE0ELb0ELi512EEEvPfS3_PT_PKS4_PKT0_SA_ifPKiSC_iPKfiiiSE_SE_iiiii,@function
_ZN4vllm25paged_attention_v2_kernelI14__hip_bfloat16S1_Li120ELi8ELi128ELNS_18Fp8KVCacheDataTypeE0ELb0ELi512EEEvPfS3_PT_PKS4_PKT0_SA_ifPKiSC_iPKfiiiSE_SE_iiiii: ; @_ZN4vllm25paged_attention_v2_kernelI14__hip_bfloat16S1_Li120ELi8ELi128ELNS_18Fp8KVCacheDataTypeE0ELb0ELi512EEEvPfS3_PT_PKS4_PKT0_SA_ifPKiSC_iPKfiiiSE_SE_iiiii
; %bb.0:
	s_load_b64 s[2:3], s[0:1], 0x40
	s_and_b32 s14, ttmp7, 0xffff
	s_lshr_b32 s24, ttmp7, 16
	s_lshl_b32 s4, s14, 2
	s_lshl_b32 s26, s24, 9
	s_wait_kmcnt 0x0
	s_load_b32 s25, s[2:3], s4 offset:0x0
	s_wait_kmcnt 0x0
	s_cmp_ge_i32 s26, s25
	s_cbranch_scc1 .LBB149_61
; %bb.1:
	s_clause 0x1
	s_load_b32 s15, s[0:1], 0x90
	s_load_b64 s[6:7], s[0:1], 0x30
	s_wait_kmcnt 0x0
	s_abs_i32 s5, s15
	s_abs_i32 s2, s6
	s_delay_alu instid0(SALU_CYCLE_1) | instskip(SKIP_1) | instid1(SALU_CYCLE_2)
	s_cvt_f32_u32 s3, s2
	s_sub_co_i32 s4, 0, s2
	v_rcp_iflag_f32_e32 v1, s3
	s_delay_alu instid0(TRANS32_DEP_1) | instskip(SKIP_2) | instid1(SALU_CYCLE_2)
	v_readfirstlane_b32 s3, v1
	s_mul_f32 s3, s3, 0x4f7ffffe
	s_wait_alu 0xfffe
	s_cvt_u32_f32 s3, s3
	s_wait_alu 0xfffe
	s_delay_alu instid0(SALU_CYCLE_2) | instskip(NEXT) | instid1(SALU_CYCLE_1)
	s_mul_i32 s4, s4, s3
	s_mul_hi_u32 s4, s3, s4
	s_delay_alu instid0(SALU_CYCLE_1)
	s_add_co_i32 s3, s3, s4
	s_xor_b32 s4, s15, s6
	s_wait_alu 0xfffe
	s_mul_hi_u32 s3, s5, s3
	s_ashr_i32 s4, s4, 31
	s_wait_alu 0xfffe
	s_mul_i32 s6, s3, s2
	s_delay_alu instid0(SALU_CYCLE_1)
	s_sub_co_i32 s5, s5, s6
	s_add_co_i32 s6, s3, 1
	s_sub_co_i32 s8, s5, s2
	s_cmp_ge_u32 s5, s2
	s_cselect_b32 s3, s6, s3
	s_cselect_b32 s5, s8, s5
	s_wait_alu 0xfffe
	s_add_co_i32 s6, s3, 1
	s_cmp_ge_u32 s5, s2
	s_load_b64 s[8:9], s[0:1], 0x50
	s_cselect_b32 s2, s6, s3
	s_mov_b32 s3, 0
	s_wait_alu 0xfffe
	s_xor_b32 s2, s2, s4
	s_mov_b32 s6, s3
	s_wait_alu 0xfffe
	s_sub_co_i32 s12, s2, s4
	s_delay_alu instid0(SALU_CYCLE_1) | instskip(NEXT) | instid1(SALU_CYCLE_1)
	s_abs_i32 s11, s12
	s_cvt_f32_u32 s2, s11
	s_wait_alu 0xfffe
	s_delay_alu instid0(SALU_CYCLE_2) | instskip(NEXT) | instid1(TRANS32_DEP_1)
	v_rcp_iflag_f32_e32 v1, s2
	v_readfirstlane_b32 s2, v1
	s_mul_f32 s2, s2, 0x4f7ffffe
	s_wait_alu 0xfffe
	s_delay_alu instid0(SALU_CYCLE_2) | instskip(SKIP_2) | instid1(SALU_CYCLE_1)
	s_cvt_u32_f32 s4, s2
	s_sub_co_i32 s2, 0, s11
	s_wait_alu 0xfffe
	s_mul_i32 s2, s2, s4
	s_wait_alu 0xfffe
	s_mul_hi_u32 s5, s4, s2
	s_abs_i32 s2, ttmp9
	s_add_co_i32 s4, s4, s5
	s_mov_b32 s5, s3
	s_wait_kmcnt 0x0
	s_cmp_eq_u64 s[8:9], 0
	s_cbranch_scc1 .LBB149_3
; %bb.2:
	s_mov_b32 s16, ttmp9
	s_ashr_i32 s17, ttmp9, 31
	s_delay_alu instid0(SALU_CYCLE_1) | instskip(NEXT) | instid1(SALU_CYCLE_1)
	s_lshl_b64 s[16:17], s[16:17], 2
	s_add_nc_u64 s[8:9], s[8:9], s[16:17]
	s_load_b32 s6, s[8:9], 0x0
.LBB149_3:
	s_load_b96 s[8:10], s[0:1], 0x58
	v_and_b32_e32 v1, 3, v0
	v_lshlrev_b32_e32 v2, 2, v0
	s_mul_u64 s[4:5], s[2:3], s[4:5]
	s_ashr_i32 s3, ttmp9, 31
	s_ashr_i32 s4, s12, 31
	s_mul_i32 s12, ttmp9, 0x78
	s_mov_b32 s16, exec_lo
	v_cmpx_gt_u32_e32 60, v0
	s_cbranch_execz .LBB149_5
; %bb.4:
	s_load_b64 s[18:19], s[0:1], 0x18
	s_wait_kmcnt 0x0
	s_mul_i32 s20, s8, s14
	s_ashr_i32 s13, s12, 31
	s_ashr_i32 s21, s20, 31
	v_and_b32_e32 v4, 0x3fc, v0
	s_lshl_b64 s[20:21], s[20:21], 1
	s_delay_alu instid0(VALU_DEP_1) | instskip(SKIP_2) | instid1(SALU_CYCLE_1)
	v_mad_u32_u24 v4, v1, 60, v4
	s_add_nc_u64 s[18:19], s[18:19], s[20:21]
	s_lshl_b64 s[20:21], s[12:13], 1
	s_add_nc_u64 s[18:19], s[18:19], s[20:21]
	global_load_b32 v3, v2, s[18:19]
	s_wait_loadcnt 0x0
	ds_store_b32 v4, v3
.LBB149_5:
	s_or_b32 exec_lo, exec_lo, s16
	s_wait_kmcnt 0x0
	s_add_co_i32 s8, s25, 7
	s_wait_alu 0xfffe
	s_xor_b32 s3, s3, s4
	s_ashr_i32 s13, s8, 31
	s_lshl_b32 s28, s24, 6
	s_lshr_b32 s4, s13, 29
	s_mul_i32 s13, s5, s11
	s_add_co_i32 s8, s8, s4
	s_add_co_i32 s4, s28, 64
	s_ashr_i32 s27, s8, 3
	s_load_b32 s8, s[0:1], 0x48
	s_sub_co_i32 s2, s2, s13
	s_min_i32 s13, s4, s27
	s_add_co_i32 s4, s5, 1
	s_wait_alu 0xfffe
	s_sub_co_i32 s16, s2, s11
	s_cmp_ge_u32 s2, s11
	v_lshrrev_b32_e32 v23, 5, v0
	s_cselect_b32 s4, s4, s5
	s_cselect_b32 s2, s16, s2
	s_add_co_i32 s5, s4, 1
	s_wait_alu 0xfffe
	s_cmp_ge_u32 s2, s11
	v_or_b32_e32 v24, s28, v23
	s_cselect_b32 s2, s5, s4
	v_mbcnt_lo_u32_b32 v4, -1, 0
	s_wait_alu 0xfffe
	s_xor_b32 s2, s2, s3
	s_mov_b32 s4, exec_lo
	s_wait_alu 0xfffe
	s_sub_co_i32 s3, s2, s3
	v_cmp_gt_i32_e64 s2, s13, v24
	s_wait_dscnt 0x0
	s_barrier_signal -1
	s_wait_kmcnt 0x0
	s_mul_i32 s16, s8, s14
	s_barrier_wait -1
	s_ashr_i32 s17, s16, 31
	global_inv scope:SCOPE_SE
                                        ; implicit-def: $vgpr5
                                        ; implicit-def: $vgpr6
	v_cmpx_le_i32_e64 s13, v24
	s_xor_b32 s4, exec_lo, s4
; %bb.6:
	v_dual_mov_b32 v5, 0 :: v_dual_mov_b32 v6, 32
	v_mbcnt_lo_u32_b32 v4, -1, 0
                                        ; implicit-def: $vgpr2
                                        ; implicit-def: $vgpr1
; %bb.7:
	s_or_saveexec_b32 s11, s4
	s_clause 0x1
	s_load_b64 s[18:19], s[0:1], 0x38
	s_load_b32 s8, s[0:1], 0x98
	v_dual_mov_b32 v38, 0xff7fffff :: v_dual_lshlrev_b32 v3, 2, v24
	s_mul_i32 s20, s3, s10
	s_xor_b32 exec_lo, exec_lo, s11
	s_cbranch_execz .LBB149_13
; %bb.8:
	s_load_b64 s[4:5], s[0:1], 0x20
	v_bfe_u32 v44, v0, 2, 3
	s_ashr_i32 s21, s20, 31
	v_mul_u32_u24_e32 v6, 60, v1
	s_lshl_b64 s[22:23], s[20:21], 1
	ds_load_2addr_b32 v[9:10], v6 offset1:1
	ds_load_2addr_b32 v[15:16], v6 offset0:2 offset1:3
	v_lshlrev_b32_e32 v7, 4, v44
	v_dual_mov_b32 v5, 0 :: v_dual_and_b32 v2, 12, v2
	ds_load_2addr_b32 v[19:20], v6 offset0:4 offset1:5
	ds_load_2addr_b32 v[25:26], v6 offset0:6 offset1:7
	;; [unrolled: 1-line block ×5, first 2 shown]
	v_lshlrev_b32_e32 v45, 2, v44
	s_cmp_neq_f32 s6, 0
	s_mov_b32 s21, s9
	s_mov_b32 s10, 0
	v_mov_b32_e32 v46, v24
	s_wait_kmcnt 0x0
	s_add_nc_u64 s[4:5], s[4:5], s[22:23]
	s_delay_alu instid0(SALU_CYCLE_1)
	v_add_co_u32 v12, s3, s4, v7
	s_wait_alu 0xf1ff
	v_add_co_ci_u32_e64 v13, null, s5, 0, s3
	s_cselect_b32 s3, -1, 0
	v_add_co_u32 v12, vcc_lo, v12, v2
	ds_load_b32 v2, v6 offset:56
	v_xor_b32_e32 v6, 2, v4
	v_add_co_ci_u32_e64 v13, null, 0, v13, vcc_lo
	s_wait_dscnt 0x1
	v_lshlrev_b32_e32 v35, 16, v37
	v_and_b32_e32 v36, 0xffff0000, v37
	v_lshlrev_b32_e32 v37, 16, v38
	v_and_b32_e32 v39, 0xffff0000, v38
	v_xor_b32_e32 v38, 1, v4
	v_cmp_gt_i32_e32 vcc_lo, 32, v6
	s_lshl_b64 s[4:5], s[16:17], 2
	v_lshlrev_b32_e32 v7, 16, v9
	s_wait_alu 0xfffe
	s_add_nc_u64 s[4:5], s[18:19], s[4:5]
	v_and_b32_e32 v8, 0xffff0000, v9
	v_lshlrev_b32_e32 v9, 16, v10
	v_and_b32_e32 v10, 0xffff0000, v10
	v_and_b32_e32 v14, 0xffff0000, v15
	v_lshlrev_b32_e32 v17, 16, v19
	v_and_b32_e32 v18, 0xffff0000, v19
	v_lshlrev_b32_e32 v19, 16, v20
	s_wait_dscnt 0x0
	v_lshlrev_b32_e32 v40, 16, v2
	v_and_b32_e32 v41, 0xffff0000, v2
	s_wait_alu 0xfffd
	v_cndmask_b32_e32 v2, v4, v6, vcc_lo
	v_cmp_gt_i32_e32 vcc_lo, 32, v38
	v_lshlrev_b32_e32 v11, 16, v15
	v_lshlrev_b32_e32 v15, 16, v16
	v_and_b32_e32 v16, 0xffff0000, v16
	v_lshlrev_b32_e32 v42, 2, v2
	s_wait_alu 0xfffd
	v_cndmask_b32_e32 v38, v4, v38, vcc_lo
	v_lshlrev_b32_e32 v2, 3, v23
	v_cmp_eq_u32_e32 vcc_lo, 0, v1
	s_wait_alu 0xfffe
	v_add_co_u32 v1, s4, s4, v3
	v_lshlrev_b32_e32 v43, 2, v38
	v_lshl_or_b32 v38, v23, 5, v45
	v_and_b32_e32 v20, 0xffff0000, v20
	v_lshlrev_b32_e32 v21, 16, v25
	v_and_b32_e32 v22, 0xffff0000, v25
	v_lshlrev_b32_e32 v25, 16, v26
	;; [unrolled: 2-line block ×6, first 2 shown]
	v_and_b32_e32 v34, 0xffff0000, v34
	v_mov_b32_e32 v6, 32
	v_add3_u32 v44, s26, v2, v44
	v_add_nc_u32_e32 v45, 0x110, v38
	s_wait_alu 0xf1ff
	v_add_co_ci_u32_e64 v2, null, s5, 0, s4
	v_mov_b32_e32 v38, 0xff7fffff
	s_sub_co_i32 s22, 1, s25
	s_branch .LBB149_10
.LBB149_9:                              ;   in Loop: Header=BB149_10 Depth=1
	s_wait_alu 0xfffe
	s_or_b32 exec_lo, exec_lo, s5
	v_add_nc_u32_e32 v46, 4, v46
	v_add_co_u32 v1, s5, v1, 16
	v_add_nc_u32_e32 v44, 32, v44
	v_add_nc_u32_e32 v45, 0x80, v45
	s_delay_alu instid0(VALU_DEP_4) | instskip(SKIP_3) | instid1(SALU_CYCLE_1)
	v_cmp_le_i32_e64 s4, s13, v46
	s_wait_alu 0xf1ff
	v_add_co_ci_u32_e64 v2, null, 0, v2, s5
	s_or_b32 s10, s4, s10
	s_and_not1_b32 exec_lo, exec_lo, s10
	s_cbranch_execz .LBB149_12
.LBB149_10:                             ; =>This Inner Loop Header: Depth=1
	global_load_b32 v47, v[1:2], off
	s_wait_loadcnt_dscnt 0x0
	v_mad_co_i64_i32 v[47:48], null, v47, s21, 0
	s_delay_alu instid0(VALU_DEP_1) | instskip(NEXT) | instid1(VALU_DEP_1)
	v_lshlrev_b64_e32 v[47:48], 1, v[47:48]
	v_add_co_u32 v47, s4, v12, v47
	s_wait_alu 0xf1ff
	s_delay_alu instid0(VALU_DEP_2)
	v_add_co_ci_u32_e64 v48, null, v13, v48, s4
	s_clause 0xe
	global_load_b32 v49, v[47:48], off offset:128
	global_load_b32 v50, v[47:48], off
	global_load_b32 v51, v[47:48], off offset:256
	global_load_b32 v52, v[47:48], off offset:384
	;; [unrolled: 1-line block ×13, first 2 shown]
	s_wait_loadcnt 0xc
	v_lshlrev_b32_e32 v64, 16, v51
	v_lshlrev_b32_e32 v63, 16, v50
	v_and_b32_e32 v50, 0xffff0000, v50
	v_lshlrev_b32_e32 v48, 16, v49
	v_and_b32_e32 v49, 0xffff0000, v49
	s_delay_alu instid0(VALU_DEP_1) | instskip(NEXT) | instid1(VALU_DEP_1)
	v_mul_f32_e32 v49, v10, v49
	v_dual_fmac_f32 v49, v8, v50 :: v_dual_mul_f32 v48, v9, v48
	s_wait_loadcnt 0xb
	v_lshlrev_b32_e32 v50, 16, v52
	v_and_b32_e32 v51, 0xffff0000, v51
	s_delay_alu instid0(VALU_DEP_3) | instskip(NEXT) | instid1(VALU_DEP_2)
	v_fmac_f32_e32 v48, v7, v63
	v_fmac_f32_e32 v49, v14, v51
	s_wait_loadcnt 0xa
	v_lshlrev_b32_e32 v51, 16, v53
	v_and_b32_e32 v53, 0xffff0000, v53
	v_and_b32_e32 v52, 0xffff0000, v52
	s_delay_alu instid0(VALU_DEP_1) | instskip(SKIP_1) | instid1(VALU_DEP_1)
	v_fmac_f32_e32 v49, v16, v52
	v_fmac_f32_e32 v48, v11, v64
	;; [unrolled: 1-line block ×3, first 2 shown]
	s_delay_alu instid0(VALU_DEP_1) | instskip(SKIP_3) | instid1(VALU_DEP_1)
	v_dual_fmac_f32 v48, v17, v51 :: v_dual_fmac_f32 v49, v18, v53
	s_wait_loadcnt 0x8
	v_and_b32_e32 v53, 0xffff0000, v55
	v_and_b32_e32 v52, 0xffff0000, v54
	v_dual_fmac_f32 v49, v20, v52 :: v_dual_lshlrev_b32 v50, 16, v54
	s_delay_alu instid0(VALU_DEP_1)
	v_dual_fmac_f32 v48, v19, v50 :: v_dual_lshlrev_b32 v51, 16, v55
	s_wait_loadcnt 0x7
	v_lshlrev_b32_e32 v50, 16, v56
	v_and_b32_e32 v52, 0xffff0000, v56
	s_wait_loadcnt 0x6
	v_dual_fmac_f32 v48, v21, v51 :: v_dual_lshlrev_b32 v51, 16, v57
	s_delay_alu instid0(VALU_DEP_1) | instskip(SKIP_3) | instid1(VALU_DEP_3)
	v_dual_fmac_f32 v48, v25, v50 :: v_dual_fmac_f32 v49, v22, v53
	v_and_b32_e32 v53, 0xffff0000, v57
	s_wait_loadcnt 0x5
	v_lshlrev_b32_e32 v50, 16, v58
	v_dual_fmac_f32 v48, v27, v51 :: v_dual_fmac_f32 v49, v26, v52
	v_and_b32_e32 v52, 0xffff0000, v58
	s_wait_loadcnt 0x4
	s_delay_alu instid0(VALU_DEP_2) | instskip(SKIP_2) | instid1(VALU_DEP_1)
	v_dual_fmac_f32 v48, v29, v50 :: v_dual_lshlrev_b32 v51, 16, v59
	s_wait_loadcnt 0x3
	v_dual_fmac_f32 v49, v28, v53 :: v_dual_lshlrev_b32 v50, 16, v60
	v_dual_fmac_f32 v48, v31, v51 :: v_dual_fmac_f32 v49, v30, v52
	s_delay_alu instid0(VALU_DEP_1) | instskip(SKIP_3) | instid1(VALU_DEP_3)
	v_dual_fmac_f32 v48, v33, v50 :: v_dual_and_b32 v53, 0xffff0000, v59
	s_wait_loadcnt 0x1
	v_lshlrev_b32_e32 v50, 16, v62
	v_lshlrev_b32_e32 v51, 16, v61
	v_fmac_f32_e32 v49, v32, v53
	s_delay_alu instid0(VALU_DEP_2) | instskip(SKIP_2) | instid1(VALU_DEP_2)
	v_dual_fmac_f32 v48, v35, v51 :: v_dual_and_b32 v53, 0xffff0000, v61
	s_wait_loadcnt 0x0
	v_lshlrev_b32_e32 v51, 16, v47
	v_dual_fmac_f32 v48, v37, v50 :: v_dual_and_b32 v47, 0xffff0000, v47
	s_delay_alu instid0(VALU_DEP_1) | instskip(SKIP_1) | instid1(VALU_DEP_1)
	v_fmac_f32_e32 v48, v40, v51
	v_and_b32_e32 v52, 0xffff0000, v60
	v_dual_fmac_f32 v49, v34, v52 :: v_dual_and_b32 v52, 0xffff0000, v62
	s_delay_alu instid0(VALU_DEP_1) | instskip(NEXT) | instid1(VALU_DEP_1)
	v_fmac_f32_e32 v49, v36, v53
	v_fmac_f32_e32 v49, v39, v52
	s_delay_alu instid0(VALU_DEP_1) | instskip(NEXT) | instid1(VALU_DEP_1)
	v_fmac_f32_e32 v49, v41, v47
	v_add_f32_e32 v47, v48, v49
	ds_bpermute_b32 v48, v42, v47
	s_wait_dscnt 0x0
	v_add_f32_e32 v47, v47, v48
	ds_bpermute_b32 v48, v43, v47
	s_and_saveexec_b32 s5, vcc_lo
	s_cbranch_execz .LBB149_9
; %bb.11:                               ;   in Loop: Header=BB149_10 Depth=1
	s_wait_dscnt 0x0
	v_add_f32_e32 v47, v47, v48
	v_add_nc_u32_e32 v49, s22, v44
	v_cmp_gt_i32_e64 s4, s25, v44
	s_delay_alu instid0(VALU_DEP_2) | instskip(NEXT) | instid1(VALU_DEP_1)
	v_cvt_f32_i32_e32 v49, v49
	v_mul_f32_e32 v49, s6, v49
	s_delay_alu instid0(VALU_DEP_1) | instskip(NEXT) | instid1(VALU_DEP_1)
	v_cndmask_b32_e64 v48, 0, v49, s3
	v_dual_max_num_f32 v49, v38, v38 :: v_dual_fmac_f32 v48, s7, v47
	s_delay_alu instid0(VALU_DEP_1) | instskip(SKIP_2) | instid1(VALU_DEP_2)
	v_max_num_f32_e32 v47, v49, v48
	s_wait_alu 0xf1ff
	v_cndmask_b32_e64 v48, 0, v48, s4
	v_cndmask_b32_e64 v38, v38, v47, s4
	ds_store_b32 v45, v48
	s_branch .LBB149_9
.LBB149_12:
	s_or_b32 exec_lo, exec_lo, s10
.LBB149_13:
	s_delay_alu instid0(SALU_CYCLE_1)
	s_or_b32 exec_lo, exec_lo, s11
	v_xor_b32_e32 v1, 16, v4
	v_xor_b32_e32 v7, 8, v4
	;; [unrolled: 1-line block ×3, first 2 shown]
	s_clause 0x2
	s_load_b128 s[4:7], s[0:1], 0x0
	s_load_b64 s[10:11], s[0:1], 0x10
	s_load_b64 s[22:23], s[0:1], 0x28
	v_and_b32_e32 v25, 31, v0
	v_cmp_lt_i32_e32 vcc_lo, v1, v6
	s_wait_alu 0xfffd
	v_dual_max_num_f32 v8, v38, v38 :: v_dual_cndmask_b32 v1, v4, v1
	v_cmp_lt_i32_e32 vcc_lo, v7, v6
	s_wait_alu 0xfffd
	s_delay_alu instid0(VALU_DEP_2)
	v_dual_cndmask_b32 v7, v4, v7 :: v_dual_lshlrev_b32 v2, 2, v1
	v_cmp_lt_i32_e32 vcc_lo, v9, v6
	ds_bpermute_b32 v1, v2, v38
	v_lshlrev_b32_e32 v7, 2, v7
	s_wait_alu 0xfffd
	v_cndmask_b32_e32 v9, v4, v9, vcc_lo
	v_cmp_eq_u32_e32 vcc_lo, 0, v25
	s_delay_alu instid0(VALU_DEP_2) | instskip(SKIP_2) | instid1(VALU_DEP_1)
	v_lshlrev_b32_e32 v10, 2, v9
	s_wait_dscnt 0x0
	v_max_num_f32_e32 v1, v1, v1
	v_max_num_f32_e32 v1, v8, v1
	ds_bpermute_b32 v8, v7, v1
	s_wait_dscnt 0x0
	v_max_num_f32_e32 v8, v8, v8
	s_delay_alu instid0(VALU_DEP_1)
	v_dual_max_num_f32 v1, v1, v8 :: v_dual_lshlrev_b32 v8, 2, v23
	ds_bpermute_b32 v9, v10, v1
	s_and_saveexec_b32 s0, vcc_lo
	s_cbranch_execz .LBB149_15
; %bb.14:
	s_wait_dscnt 0x0
	v_max_num_f32_e32 v9, v9, v9
	v_max_num_f32_e32 v1, v1, v1
	s_delay_alu instid0(VALU_DEP_1)
	v_max_num_f32_e32 v1, v1, v9
	ds_store_b32 v8, v1 offset:240
.LBB149_15:
	s_or_b32 exec_lo, exec_lo, s0
	v_cmp_gt_u32_e64 s0, 4, v25
	v_mov_b32_e32 v1, 0xff7fffff
	s_wait_dscnt 0x0
	v_lshlrev_b32_e32 v9, 2, v25
	s_wait_loadcnt 0x0
	s_barrier_signal -1
	s_barrier_wait -1
	global_inv scope:SCOPE_SE
	s_and_saveexec_b32 s1, s0
; %bb.16:
	ds_load_b32 v1, v9 offset:240
; %bb.17:
	s_or_b32 exec_lo, exec_lo, s1
	v_xor_b32_e32 v11, 2, v4
	v_xor_b32_e32 v13, 1, v4
	v_lshl_add_u32 v26, v0, 2, 0x110
	v_lshlrev_b32_e32 v5, 2, v5
	s_delay_alu instid0(VALU_DEP_4) | instskip(NEXT) | instid1(VALU_DEP_1)
	v_cmp_lt_i32_e64 s1, v11, v6
	v_cndmask_b32_e64 v11, v4, v11, s1
	v_cmp_lt_i32_e64 s1, v13, v6
	s_delay_alu instid0(VALU_DEP_2) | instskip(SKIP_1) | instid1(VALU_DEP_2)
	v_lshlrev_b32_e32 v11, 2, v11
	s_wait_alu 0xf1ff
	v_cndmask_b32_e64 v6, v4, v13, s1
	s_sub_co_i32 s1, s13, s28
	s_wait_alu 0xfffe
	s_lshl_b32 s1, s1, 3
	s_wait_dscnt 0x0
	ds_bpermute_b32 v12, v11, v1
	v_dual_max_num_f32 v1, v1, v1 :: v_dual_lshlrev_b32 v6, 2, v6
	s_wait_alu 0xfffe
	s_add_co_i32 s1, s1, s26
	s_wait_alu 0xfffe
	s_min_i32 s1, s1, s25
	s_wait_alu 0xfffe
	s_sub_co_i32 s21, s1, s26
	s_wait_alu 0xfffe
	v_cmp_gt_i32_e64 s1, s21, v0
	s_wait_dscnt 0x0
	v_max_num_f32_e32 v12, v12, v12
	s_delay_alu instid0(VALU_DEP_1) | instskip(SKIP_3) | instid1(VALU_DEP_1)
	v_max_num_f32_e32 v1, v1, v12
	ds_bpermute_b32 v12, v6, v1
	s_wait_dscnt 0x0
	v_max_num_f32_e32 v12, v12, v12
	v_max_num_f32_e32 v1, v1, v12
	ds_bpermute_b32 v1, v5, v1
	v_mov_b32_e32 v5, 0
	s_and_saveexec_b32 s28, s1
	s_cbranch_execz .LBB149_21
; %bb.18:
	v_lshl_add_u32 v12, v0, 2, 0x110
	v_mov_b32_e32 v5, 0
	v_mov_b32_e32 v13, v0
	s_mov_b32 s29, 0
.LBB149_19:                             ; =>This Inner Loop Header: Depth=1
	ds_load_b32 v14, v12
	v_add_nc_u32_e32 v13, 0x80, v13
	s_delay_alu instid0(VALU_DEP_1) | instskip(SKIP_4) | instid1(VALU_DEP_1)
	v_cmp_le_i32_e64 s3, s21, v13
	s_wait_alu 0xfffe
	s_or_b32 s29, s3, s29
	s_wait_dscnt 0x0
	v_sub_f32_e32 v14, v14, v1
	v_mul_f32_e32 v14, 0x3fb8aa3b, v14
	s_delay_alu instid0(VALU_DEP_1)
	v_exp_f32_e32 v14, v14
	ds_store_b32 v12, v14
	v_dual_add_f32 v5, v5, v14 :: v_dual_add_nc_u32 v12, 0x200, v12
	s_wait_alu 0xfffe
	s_and_not1_b32 exec_lo, exec_lo, s29
	s_cbranch_execnz .LBB149_19
; %bb.20:
	s_or_b32 exec_lo, exec_lo, s29
.LBB149_21:
	s_wait_alu 0xfffe
	s_or_b32 exec_lo, exec_lo, s28
	ds_bpermute_b32 v2, v2, v5
	s_wait_dscnt 0x0
	v_add_f32_e32 v2, v5, v2
	ds_bpermute_b32 v5, v7, v2
	s_wait_dscnt 0x0
	v_add_f32_e32 v2, v2, v5
	;; [unrolled: 3-line block ×5, first 2 shown]
	s_and_saveexec_b32 s3, vcc_lo
; %bb.22:
	ds_store_b32 v8, v2 offset:256
; %bb.23:
	s_wait_alu 0xfffe
	s_or_b32 exec_lo, exec_lo, s3
	s_wait_loadcnt_dscnt 0x0
	s_barrier_signal -1
	s_barrier_wait -1
	global_inv scope:SCOPE_SE
	s_and_saveexec_b32 s3, s0
; %bb.24:
	ds_load_b32 v2, v9 offset:256
; %bb.25:
	s_wait_alu 0xfffe
	s_or_b32 exec_lo, exec_lo, s3
	s_wait_dscnt 0x0
	ds_bpermute_b32 v5, v11, v2
	v_lshlrev_b32_e32 v4, 2, v4
	s_delay_alu instid0(VALU_DEP_1)
	v_and_b32_e32 v4, 0xffffff80, v4
	s_wait_dscnt 0x0
	v_add_f32_e32 v2, v2, v5
	ds_bpermute_b32 v5, v6, v2
	s_wait_dscnt 0x0
	v_add_f32_e32 v2, v2, v5
	ds_bpermute_b32 v2, v4, v2
	s_and_saveexec_b32 s0, s1
	s_cbranch_execz .LBB149_28
; %bb.26:
	s_wait_dscnt 0x0
	v_add_f32_e32 v5, 0x358637bd, v2
	s_mov_b32 s1, 0
	s_delay_alu instid0(VALU_DEP_1) | instskip(SKIP_1) | instid1(VALU_DEP_2)
	v_div_scale_f32 v4, null, v5, v5, 1.0
	v_div_scale_f32 v8, vcc_lo, 1.0, v5, 1.0
	v_rcp_f32_e32 v6, v4
	s_delay_alu instid0(TRANS32_DEP_1) | instskip(NEXT) | instid1(VALU_DEP_1)
	v_fma_f32 v7, -v4, v6, 1.0
	v_fmac_f32_e32 v6, v7, v6
	s_delay_alu instid0(VALU_DEP_1) | instskip(NEXT) | instid1(VALU_DEP_1)
	v_mul_f32_e32 v7, v8, v6
	v_fma_f32 v9, -v4, v7, v8
	s_delay_alu instid0(VALU_DEP_1) | instskip(NEXT) | instid1(VALU_DEP_1)
	v_fmac_f32_e32 v7, v9, v6
	v_fma_f32 v4, -v4, v7, v8
	s_wait_alu 0xfffd
	s_delay_alu instid0(VALU_DEP_1) | instskip(SKIP_1) | instid1(VALU_DEP_2)
	v_div_fmas_f32 v6, v4, v6, v7
	v_mov_b32_e32 v4, v26
	v_div_fixup_f32 v5, v6, v5, 1.0
	v_mov_b32_e32 v6, v0
.LBB149_27:                             ; =>This Inner Loop Header: Depth=1
	ds_load_b32 v7, v4
	s_wait_dscnt 0x0
	v_dual_mul_f32 v7, v5, v7 :: v_dual_add_nc_u32 v6, 0x80, v6
	s_delay_alu instid0(VALU_DEP_1)
	v_cmp_le_i32_e32 vcc_lo, s21, v6
	ds_store_b32 v4, v7
	v_add_nc_u32_e32 v4, 0x200, v4
	s_wait_alu 0xfffe
	s_or_b32 s1, vcc_lo, s1
	s_wait_alu 0xfffe
	s_and_not1_b32 exec_lo, exec_lo, s1
	s_cbranch_execnz .LBB149_27
.LBB149_28:
	s_wait_alu 0xfffe
	s_or_b32 exec_lo, exec_lo, s0
	s_wait_kmcnt 0x0
	s_mul_i32 s0, s8, s14
	s_wait_loadcnt_dscnt 0x0
	s_wait_alu 0xfffe
	s_mul_i32 s14, s0, s15
	s_mov_b32 s0, exec_lo
	s_barrier_signal -1
	s_barrier_wait -1
	global_inv scope:SCOPE_SE
	v_cmpx_eq_u32_e32 0, v0
	s_cbranch_execz .LBB149_30
; %bb.29:
	s_ashr_i32 s15, s14, 31
	s_wait_alu 0xfffe
	s_mul_i32 s28, s8, ttmp9
	s_lshl_b32 s1, s24, 2
	s_lshl_b64 s[30:31], s[14:15], 2
	s_wait_alu 0xfffe
	s_ashr_i32 s29, s28, 31
	v_mov_b32_e32 v4, s1
	s_add_nc_u64 s[6:7], s[6:7], s[30:31]
	s_wait_alu 0xfffe
	s_lshl_b64 s[28:29], s[28:29], 2
	s_add_nc_u64 s[4:5], s[4:5], s[30:31]
	s_wait_alu 0xfffe
	s_add_nc_u64 s[6:7], s[6:7], s[28:29]
	s_add_nc_u64 s[4:5], s[4:5], s[28:29]
	s_clause 0x1
	global_store_b32 v4, v1, s[6:7]
	global_store_b32 v4, v2, s[4:5]
.LBB149_30:
	s_wait_alu 0xfffe
	s_or_b32 exec_lo, exec_lo, s0
	v_dual_mov_b32 v30, 0 :: v_dual_mov_b32 v29, 0
	v_dual_mov_b32 v28, 0 :: v_dual_mov_b32 v27, 0
	s_and_saveexec_b32 s4, s2
	s_cbranch_execz .LBB149_44
; %bb.31:
	s_ashr_i32 s21, s20, 31
	v_or_b32_e32 v1, 0x60, v25
	s_wait_alu 0xfffe
	s_lshl_b64 s[0:1], s[20:21], 1
	v_dual_mov_b32 v27, 0 :: v_dual_lshlrev_b32 v2, 3, v25
	s_wait_alu 0xfffe
	s_add_nc_u64 s[2:3], s[22:23], s[0:1]
	s_lshl_b64 s[0:1], s[16:17], 2
	v_cmp_gt_u32_e32 vcc_lo, 0x78, v1
	v_dual_mov_b32 v28, 0 :: v_dual_lshlrev_b32 v1, 3, v1
	s_wait_alu 0xfffe
	s_add_nc_u64 s[0:1], s[18:19], s[0:1]
	v_lshl_add_u32 v31, v23, 3, s26
	s_wait_alu 0xfffe
	v_add_co_u32 v21, s0, s0, v3
	v_lshl_add_u32 v32, v23, 5, 0x110
	s_wait_alu 0xf1ff
	v_add_co_ci_u32_e64 v22, null, s1, 0, s0
	v_dual_mov_b32 v30, 0 :: v_dual_lshlrev_b32 v33, 1, v2
	v_dual_mov_b32 v29, 0 :: v_dual_lshlrev_b32 v34, 1, v1
	s_mov_b32 s5, s9
	s_add_co_i32 s6, s27, -1
	s_mov_b32 s9, s25
	s_mov_b32 s7, 0
	s_branch .LBB149_34
.LBB149_32:                             ;   in Loop: Header=BB149_34 Depth=1
	s_wait_alu 0xfffe
	s_or_b32 exec_lo, exec_lo, s1
	s_wait_loadcnt 0x0
	v_and_b32_e32 v38, 0xffff0000, v14
	v_lshlrev_b32_e32 v14, 16, v14
	v_lshlrev_b32_e32 v43, 16, v17
	;; [unrolled: 1-line block ×3, first 2 shown]
	v_and_b32_e32 v35, 0xffff0000, v13
	v_lshlrev_b32_e32 v13, 16, v13
	s_delay_alu instid0(VALU_DEP_3) | instskip(NEXT) | instid1(VALU_DEP_1)
	v_dual_mul_f32 v14, v39, v14 :: v_dual_lshlrev_b32 v37, 16, v20
	v_dual_mul_f32 v13, v37, v13 :: v_dual_and_b32 v36, 0xffff0000, v20
	s_delay_alu instid0(VALU_DEP_1) | instskip(NEXT) | instid1(VALU_DEP_2)
	v_mul_f32_e32 v35, v36, v35
	v_or_b32_e32 v40, 0x400000, v13
	s_delay_alu instid0(VALU_DEP_2) | instskip(SKIP_2) | instid1(VALU_DEP_3)
	v_bfe_u32 v37, v35, 16, 1
	v_or_b32_e32 v39, 0x400000, v35
	v_cmp_u_f32_e64 s0, v35, v35
	v_add3_u32 v37, v37, v35, 0x7fff
	s_wait_alu 0xf1ff
	s_delay_alu instid0(VALU_DEP_1)
	v_cndmask_b32_e64 v35, v37, v39, s0
	v_and_b32_e32 v37, 0xffff0000, v15
	v_and_b32_e32 v39, 0xffff0000, v18
	;; [unrolled: 1-line block ×3, first 2 shown]
	v_cmp_u_f32_e64 s0, v13, v13
	v_lshlrev_b32_e32 v15, 16, v15
	v_and_b32_e32 v35, 0xffff0000, v35
	s_delay_alu instid0(VALU_DEP_4) | instskip(SKIP_2) | instid1(VALU_DEP_3)
	v_dual_mul_f32 v37, v39, v37 :: v_dual_mul_f32 v36, v36, v38
	v_bfe_u32 v38, v13, 16, 1
	v_lshlrev_b32_e32 v39, 16, v18
	v_bfe_u32 v41, v36, 16, 1
	s_delay_alu instid0(VALU_DEP_3) | instskip(NEXT) | instid1(VALU_DEP_3)
	v_add3_u32 v38, v38, v13, 0x7fff
	v_mul_f32_e32 v15, v39, v15
	v_and_b32_e32 v39, 0xffff0000, v16
	s_wait_alu 0xf1ff
	s_delay_alu instid0(VALU_DEP_3)
	v_cndmask_b32_e64 v13, v38, v40, s0
	v_add3_u32 v38, v41, v36, 0x7fff
	v_or_b32_e32 v40, 0x400000, v36
	v_bfe_u32 v41, v14, 16, 1
	v_cmp_u_f32_e64 s0, v36, v36
	v_and_b32_e32 v13, 0xffff0000, v13
	v_and_b32_e32 v42, 0xffff0000, v17
	s_wait_alu 0xf1ff
	s_delay_alu instid0(VALU_DEP_3)
	v_cndmask_b32_e64 v36, v38, v40, s0
	v_add3_u32 v38, v41, v14, 0x7fff
	v_or_b32_e32 v40, 0x400000, v14
	v_bfe_u32 v41, v37, 16, 1
	v_cmp_u_f32_e64 s0, v14, v14
	v_dual_add_f32 v13, v13, v35 :: v_dual_lshlrev_b32 v16, 16, v16
	v_mul_f32_e32 v39, v42, v39
	v_or_b32_e32 v42, 0x400000, v15
	s_wait_alu 0xf1ff
	v_cndmask_b32_e64 v14, v38, v40, s0
	v_bfe_u32 v38, v15, 16, 1
	v_add3_u32 v40, v41, v37, 0x7fff
	v_mul_f32_e32 v16, v43, v16
	v_or_b32_e32 v41, 0x400000, v37
	v_cmp_u_f32_e64 s0, v37, v37
	v_add3_u32 v38, v38, v15, 0x7fff
	v_bfe_u32 v43, v39, 16, 1
	v_bfe_u32 v44, v16, 16, 1
	v_and_b32_e32 v14, 0xffff0000, v14
	s_wait_alu 0xf1ff
	v_cndmask_b32_e64 v37, v40, v41, s0
	v_cmp_u_f32_e64 s0, v15, v15
	v_or_b32_e32 v41, 0x400000, v16
	v_add3_u32 v40, v44, v16, 0x7fff
	v_and_b32_e32 v36, 0xffff0000, v36
	v_and_b32_e32 v35, 0xffff0000, v37
	s_wait_alu 0xf1ff
	v_cndmask_b32_e64 v15, v38, v42, s0
	v_cmp_u_f32_e64 s0, v16, v16
	v_add3_u32 v38, v43, v39, 0x7fff
	v_or_b32_e32 v42, 0x400000, v39
	s_delay_alu instid0(VALU_DEP_4) | instskip(SKIP_3) | instid1(VALU_DEP_3)
	v_dual_add_f32 v14, v14, v36 :: v_dual_and_b32 v15, 0xffff0000, v15
	s_wait_alu 0xf1ff
	v_cndmask_b32_e64 v16, v40, v41, s0
	v_cmp_u_f32_e64 s0, v39, v39
	v_dual_add_f32 v13, v14, v13 :: v_dual_add_f32 v14, v15, v35
	s_delay_alu instid0(VALU_DEP_3) | instskip(SKIP_1) | instid1(VALU_DEP_3)
	v_and_b32_e32 v15, 0xffff0000, v16
	s_wait_alu 0xf1ff
	v_cndmask_b32_e64 v36, v38, v42, s0
	s_delay_alu instid0(VALU_DEP_1) | instskip(NEXT) | instid1(VALU_DEP_1)
	v_dual_add_f32 v13, v14, v13 :: v_dual_and_b32 v16, 0xffff0000, v36
	v_add_f32_e32 v14, v15, v16
	s_delay_alu instid0(VALU_DEP_1) | instskip(NEXT) | instid1(VALU_DEP_1)
	v_add_f32_e32 v13, v14, v13
	v_add_f32_e32 v27, v27, v13
.LBB149_33:                             ;   in Loop: Header=BB149_34 Depth=1
	s_or_b32 exec_lo, exec_lo, s15
	s_wait_loadcnt 0x0
	v_and_b32_e32 v36, 0xffff0000, v11
	v_lshlrev_b32_e32 v11, 16, v11
	v_and_b32_e32 v41, 0xffff0000, v17
	v_lshlrev_b32_e32 v17, 16, v17
	;; [unrolled: 2-line block ×3, first 2 shown]
	v_lshlrev_b32_e32 v15, 16, v20
	v_and_b32_e32 v14, 0xffff0000, v20
	v_and_b32_e32 v16, 0xffff0000, v10
	;; [unrolled: 1-line block ×4, first 2 shown]
	v_dual_mul_f32 v11, v18, v11 :: v_dual_lshlrev_b32 v10, 16, v10
	v_dual_mul_f32 v36, v37, v36 :: v_dual_lshlrev_b32 v19, 16, v19
	s_delay_alu instid0(VALU_DEP_4) | instskip(NEXT) | instid1(VALU_DEP_3)
	v_dual_mul_f32 v16, v20, v16 :: v_dual_lshlrev_b32 v9, 16, v9
	v_bfe_u32 v43, v11, 16, 1
	s_delay_alu instid0(VALU_DEP_3) | instskip(NEXT) | instid1(VALU_DEP_4)
	v_mul_f32_e32 v10, v19, v10
	v_or_b32_e32 v42, 0x400000, v36
	s_delay_alu instid0(VALU_DEP_4) | instskip(SKIP_2) | instid1(VALU_DEP_3)
	v_mul_f32_e32 v9, v15, v9
	v_dual_mul_f32 v13, v14, v13 :: v_dual_add_nc_u32 v24, 4, v24
	v_add_co_u32 v21, s1, v21, 16
	v_bfe_u32 v38, v9, 16, 1
	s_delay_alu instid0(VALU_DEP_3)
	v_bfe_u32 v35, v13, 16, 1
	v_or_b32_e32 v39, 0x400000, v13
	v_cmp_u_f32_e64 s0, v13, v13
	v_or_b32_e32 v40, 0x400000, v9
	v_add3_u32 v38, v38, v9, 0x7fff
	v_add3_u32 v35, v35, v13, 0x7fff
	v_add_nc_u32_e32 v31, 32, v31
	v_add_nc_u32_e32 v32, 0x80, v32
	s_wait_alu 0xf1ff
	v_add_co_ci_u32_e64 v22, null, 0, v22, s1
	v_cndmask_b32_e64 v13, v35, v39, s0
	v_bfe_u32 v35, v16, 16, 1
	v_cmp_u_f32_e64 s0, v9, v9
	v_bfe_u32 v39, v10, 16, 1
	s_delay_alu instid0(VALU_DEP_4) | instskip(NEXT) | instid1(VALU_DEP_4)
	v_and_b32_e32 v13, 0xffff0000, v13
	v_add3_u32 v35, v35, v16, 0x7fff
	s_wait_alu 0xf1ff
	v_cndmask_b32_e64 v9, v38, v40, s0
	v_or_b32_e32 v38, 0x400000, v16
	v_cmp_u_f32_e64 s0, v16, v16
	v_bfe_u32 v40, v36, 16, 1
	s_delay_alu instid0(VALU_DEP_4) | instskip(SKIP_1) | instid1(VALU_DEP_3)
	v_and_b32_e32 v9, 0xffff0000, v9
	s_wait_alu 0xf1ff
	v_cndmask_b32_e64 v16, v35, v38, s0
	v_add3_u32 v35, v39, v10, 0x7fff
	v_or_b32_e32 v38, 0x400000, v10
	v_cmp_u_f32_e64 s0, v10, v10
	v_add3_u32 v39, v40, v36, 0x7fff
	v_dual_add_f32 v9, v9, v13 :: v_dual_and_b32 v16, 0xffff0000, v16
	v_and_b32_e32 v13, 0xffff0000, v5
	s_wait_alu 0xf1ff
	v_cndmask_b32_e64 v10, v35, v38, s0
	v_cmp_u_f32_e64 s0, v36, v36
	v_add3_u32 v38, v43, v11, 0x7fff
	v_lshlrev_b32_e32 v5, 16, v5
	s_wait_alu 0xf1ff
	s_delay_alu instid0(VALU_DEP_3) | instskip(SKIP_3) | instid1(VALU_DEP_1)
	v_cndmask_b32_e64 v36, v39, v42, s0
	v_or_b32_e32 v39, 0x400000, v11
	v_cmp_u_f32_e64 s0, v11, v11
	s_wait_alu 0xf1ff
	v_cndmask_b32_e64 v11, v38, v39, s0
	s_delay_alu instid0(VALU_DEP_1) | instskip(SKIP_1) | instid1(VALU_DEP_1)
	v_and_b32_e32 v11, 0xffff0000, v11
	v_and_b32_e32 v10, 0xffff0000, v10
	v_add_f32_e32 v10, v10, v16
	s_delay_alu instid0(VALU_DEP_1) | instskip(SKIP_2) | instid1(VALU_DEP_3)
	v_dual_add_f32 v9, v10, v9 :: v_dual_and_b32 v16, 0xffff0000, v36
	v_mul_f32_e32 v10, v14, v13
	v_mul_f32_e32 v5, v15, v5
	v_add_f32_e32 v11, v11, v16
	v_and_b32_e32 v40, 0xffff0000, v12
	v_lshlrev_b32_e32 v12, 16, v12
	v_bfe_u32 v13, v10, 16, 1
	v_or_b32_e32 v16, 0x400000, v10
	v_add_f32_e32 v9, v11, v9
	v_and_b32_e32 v11, 0xffff0000, v6
	v_lshlrev_b32_e32 v6, 16, v6
	v_mul_f32_e32 v12, v17, v12
	v_add3_u32 v13, v13, v10, 0x7fff
	s_delay_alu instid0(VALU_DEP_3) | instskip(SKIP_1) | instid1(VALU_DEP_2)
	v_dual_mul_f32 v6, v19, v6 :: v_dual_mul_f32 v35, v41, v40
	v_mul_f32_e32 v11, v20, v11
	v_bfe_u32 v40, v35, 16, 1
	v_or_b32_e32 v39, 0x400000, v35
	v_cmp_u_f32_e64 s0, v35, v35
	s_delay_alu instid0(VALU_DEP_3) | instskip(SKIP_1) | instid1(VALU_DEP_1)
	v_add3_u32 v38, v40, v35, 0x7fff
	s_wait_alu 0xf1ff
	v_cndmask_b32_e64 v35, v38, v39, s0
	v_bfe_u32 v38, v12, 16, 1
	v_cmp_u_f32_e64 s0, v12, v12
	v_or_b32_e32 v39, 0x400000, v11
	s_delay_alu instid0(VALU_DEP_3) | instskip(SKIP_2) | instid1(VALU_DEP_1)
	v_add3_u32 v36, v38, v12, 0x7fff
	v_or_b32_e32 v38, 0x400000, v12
	s_wait_alu 0xf1ff
	v_cndmask_b32_e64 v12, v36, v38, s0
	v_bfe_u32 v36, v5, 16, 1
	v_cmp_u_f32_e64 s0, v10, v10
	v_or_b32_e32 v38, 0x400000, v5
	s_wait_alu 0xf1ff
	s_delay_alu instid0(VALU_DEP_2) | instskip(SKIP_3) | instid1(VALU_DEP_4)
	v_cndmask_b32_e64 v10, v13, v16, s0
	v_bfe_u32 v13, v11, 16, 1
	v_add3_u32 v16, v36, v5, 0x7fff
	v_cmp_u_f32_e64 s0, v5, v5
	v_and_b32_e32 v10, 0xffff0000, v10
	s_delay_alu instid0(VALU_DEP_4) | instskip(SKIP_1) | instid1(VALU_DEP_3)
	v_add3_u32 v13, v13, v11, 0x7fff
	s_wait_alu 0xf1ff
	v_cndmask_b32_e64 v5, v16, v38, s0
	v_bfe_u32 v16, v6, 16, 1
	v_cmp_u_f32_e64 s0, v11, v11
	s_delay_alu instid0(VALU_DEP_3) | instskip(NEXT) | instid1(VALU_DEP_3)
	v_and_b32_e32 v5, 0xffff0000, v5
	v_add3_u32 v16, v16, v6, 0x7fff
	s_wait_alu 0xf1ff
	s_delay_alu instid0(VALU_DEP_3) | instskip(SKIP_3) | instid1(VALU_DEP_4)
	v_cndmask_b32_e64 v11, v13, v39, s0
	v_or_b32_e32 v39, 0x400000, v6
	v_cmp_u_f32_e64 s0, v6, v6
	v_dual_add_f32 v5, v5, v10 :: v_dual_and_b32 v12, 0xffff0000, v12
	v_and_b32_e32 v11, 0xffff0000, v11
	s_wait_alu 0xf1ff
	s_delay_alu instid0(VALU_DEP_3) | instskip(NEXT) | instid1(VALU_DEP_1)
	v_cndmask_b32_e64 v6, v16, v39, s0
	v_and_b32_e32 v6, 0xffff0000, v6
	s_delay_alu instid0(VALU_DEP_1) | instskip(SKIP_2) | instid1(VALU_DEP_2)
	v_add_f32_e32 v6, v6, v11
	v_and_b32_e32 v36, 0xffff0000, v7
	v_lshlrev_b32_e32 v7, 16, v7
	v_dual_add_f32 v5, v6, v5 :: v_dual_mul_f32 v36, v37, v36
	s_delay_alu instid0(VALU_DEP_2) | instskip(NEXT) | instid1(VALU_DEP_2)
	v_mul_f32_e32 v7, v18, v7
	v_bfe_u32 v13, v36, 16, 1
	v_or_b32_e32 v40, 0x400000, v36
	s_delay_alu instid0(VALU_DEP_3) | instskip(SKIP_1) | instid1(VALU_DEP_4)
	v_bfe_u32 v16, v7, 16, 1
	v_cmp_u_f32_e64 s0, v36, v36
	v_add3_u32 v13, v13, v36, 0x7fff
	v_or_b32_e32 v36, 0x400000, v7
	s_delay_alu instid0(VALU_DEP_4) | instskip(SKIP_1) | instid1(VALU_DEP_3)
	v_add3_u32 v16, v16, v7, 0x7fff
	s_wait_alu 0xf1ff
	v_cndmask_b32_e64 v13, v13, v40, s0
	v_cmp_u_f32_e64 s0, v7, v7
	s_delay_alu instid0(VALU_DEP_2) | instskip(SKIP_1) | instid1(VALU_DEP_2)
	v_and_b32_e32 v10, 0xffff0000, v13
	s_wait_alu 0xf1ff
	v_cndmask_b32_e64 v7, v16, v36, s0
	s_delay_alu instid0(VALU_DEP_1) | instskip(NEXT) | instid1(VALU_DEP_1)
	v_and_b32_e32 v7, 0xffff0000, v7
	v_dual_add_f32 v7, v7, v10 :: v_dual_and_b32 v38, 0xffff0000, v8
	s_delay_alu instid0(VALU_DEP_1) | instskip(NEXT) | instid1(VALU_DEP_1)
	v_dual_mul_f32 v38, v41, v38 :: v_dual_add_f32 v5, v7, v5
	v_bfe_u32 v39, v38, 16, 1
	v_or_b32_e32 v40, 0x400000, v38
	v_cmp_u_f32_e64 s0, v38, v38
	s_delay_alu instid0(VALU_DEP_3) | instskip(SKIP_1) | instid1(VALU_DEP_1)
	v_add3_u32 v39, v39, v38, 0x7fff
	s_wait_alu 0xf1ff
	v_cndmask_b32_e64 v16, v39, v40, s0
	v_and_b32_e32 v39, 0xffff0000, v1
	v_lshlrev_b32_e32 v1, 16, v1
	s_delay_alu instid0(VALU_DEP_2) | instskip(NEXT) | instid1(VALU_DEP_1)
	v_dual_mul_f32 v11, v14, v39 :: v_dual_lshlrev_b32 v8, 16, v8
	v_dual_mul_f32 v1, v15, v1 :: v_dual_mul_f32 v8, v17, v8
	v_and_b32_e32 v15, 0xffff0000, v3
	v_lshlrev_b32_e32 v3, 16, v3
	s_delay_alu instid0(VALU_DEP_4)
	v_bfe_u32 v6, v11, 16, 1
	v_or_b32_e32 v13, 0x400000, v11
	v_bfe_u32 v36, v8, 16, 1
	v_or_b32_e32 v38, 0x400000, v8
	v_cmp_u_f32_e64 s0, v8, v8
	v_add3_u32 v6, v6, v11, 0x7fff
	v_bfe_u32 v14, v1, 16, 1
	v_add3_u32 v36, v36, v8, 0x7fff
	v_mul_f32_e32 v15, v37, v15
	v_mul_f32_e32 v3, v18, v3
	s_wait_alu 0xf1ff
	s_delay_alu instid0(VALU_DEP_3) | instskip(SKIP_2) | instid1(VALU_DEP_3)
	v_cndmask_b32_e64 v8, v36, v38, s0
	v_cmp_u_f32_e64 s0, v11, v11
	v_add3_u32 v11, v14, v1, 0x7fff
	v_and_b32_e32 v8, 0xffff0000, v8
	s_wait_alu 0xf1ff
	s_delay_alu instid0(VALU_DEP_3) | instskip(SKIP_2) | instid1(VALU_DEP_3)
	v_cndmask_b32_e64 v6, v6, v13, s0
	v_or_b32_e32 v13, 0x400000, v1
	v_cmp_u_f32_e64 s0, v1, v1
	v_and_b32_e32 v6, 0xffff0000, v6
	s_wait_alu 0xf1ff
	s_delay_alu instid0(VALU_DEP_2) | instskip(NEXT) | instid1(VALU_DEP_1)
	v_cndmask_b32_e64 v1, v11, v13, s0
	v_and_b32_e32 v1, 0xffff0000, v1
	s_delay_alu instid0(VALU_DEP_1) | instskip(SKIP_2) | instid1(VALU_DEP_2)
	v_add_f32_e32 v1, v1, v6
	v_and_b32_e32 v10, 0xffff0000, v2
	v_lshlrev_b32_e32 v2, 16, v2
	v_mul_f32_e32 v10, v20, v10
	s_delay_alu instid0(VALU_DEP_2) | instskip(NEXT) | instid1(VALU_DEP_2)
	v_mul_f32_e32 v2, v19, v2
	v_bfe_u32 v14, v10, 16, 1
	v_or_b32_e32 v13, 0x400000, v10
	v_cmp_u_f32_e64 s0, v10, v10
	s_delay_alu instid0(VALU_DEP_3) | instskip(SKIP_2) | instid1(VALU_DEP_2)
	v_add3_u32 v11, v14, v10, 0x7fff
	v_bfe_u32 v14, v2, 16, 1
	s_wait_alu 0xf1ff
	v_cndmask_b32_e64 v10, v11, v13, s0
	s_delay_alu instid0(VALU_DEP_2)
	v_add3_u32 v11, v14, v2, 0x7fff
	v_or_b32_e32 v13, 0x400000, v2
	v_cmp_u_f32_e64 s0, v2, v2
	v_bfe_u32 v14, v15, 16, 1
	v_and_b32_e32 v10, 0xffff0000, v10
	s_wait_alu 0xf1ff
	s_delay_alu instid0(VALU_DEP_3) | instskip(SKIP_3) | instid1(VALU_DEP_4)
	v_cndmask_b32_e64 v2, v11, v13, s0
	v_bfe_u32 v11, v3, 16, 1
	v_add3_u32 v13, v14, v15, 0x7fff
	v_cmp_u_f32_e64 s0, v15, v15
	v_and_b32_e32 v2, 0xffff0000, v2
	s_delay_alu instid0(VALU_DEP_4) | instskip(NEXT) | instid1(VALU_DEP_2)
	v_add3_u32 v11, v11, v3, 0x7fff
	v_add_f32_e32 v2, v2, v10
	s_delay_alu instid0(VALU_DEP_1) | instskip(SKIP_1) | instid1(VALU_DEP_2)
	v_dual_add_f32 v1, v2, v1 :: v_dual_and_b32 v18, 0xffff0000, v4
	v_lshlrev_b32_e32 v4, 16, v4
	v_dual_mul_f32 v14, v41, v18 :: v_dual_and_b32 v35, 0xffff0000, v35
	s_delay_alu instid0(VALU_DEP_2) | instskip(SKIP_2) | instid1(VALU_DEP_4)
	v_mul_f32_e32 v4, v17, v4
	v_or_b32_e32 v17, 0x400000, v15
	v_or_b32_e32 v18, 0x400000, v3
	v_bfe_u32 v19, v14, 16, 1
	s_delay_alu instid0(VALU_DEP_4)
	v_bfe_u32 v20, v4, 16, 1
	s_wait_alu 0xf1ff
	v_cndmask_b32_e64 v13, v13, v17, s0
	v_cmp_u_f32_e64 s0, v3, v3
	v_or_b32_e32 v17, 0x400000, v4
	v_add3_u32 v15, v20, v4, 0x7fff
	s_delay_alu instid0(VALU_DEP_4)
	v_and_b32_e32 v6, 0xffff0000, v13
	s_wait_alu 0xf1ff
	v_cndmask_b32_e64 v3, v11, v18, s0
	v_cmp_u_f32_e64 s0, v4, v4
	v_add3_u32 v11, v19, v14, 0x7fff
	v_or_b32_e32 v18, 0x400000, v14
	s_delay_alu instid0(VALU_DEP_4) | instskip(SKIP_3) | instid1(VALU_DEP_2)
	v_and_b32_e32 v3, 0xffff0000, v3
	s_wait_alu 0xf1ff
	v_cndmask_b32_e64 v4, v15, v17, s0
	v_cmp_u_f32_e64 s0, v14, v14
	v_dual_add_f32 v2, v3, v6 :: v_dual_and_b32 v3, 0xffff0000, v4
	s_wait_alu 0xf1ff
	s_delay_alu instid0(VALU_DEP_2) | instskip(SKIP_1) | instid1(VALU_DEP_3)
	v_cndmask_b32_e64 v10, v11, v18, s0
	v_dual_add_f32 v6, v12, v35 :: v_dual_and_b32 v11, 0xffff0000, v16
	v_add_f32_e32 v1, v2, v1
	v_cmp_le_i32_e64 s0, s13, v24
	s_delay_alu instid0(VALU_DEP_3) | instskip(SKIP_1) | instid1(VALU_DEP_1)
	v_dual_add_f32 v7, v8, v11 :: v_dual_and_b32 v4, 0xffff0000, v10
	s_or_b32 s7, s0, s7
	v_dual_add_f32 v2, v3, v4 :: v_dual_add_f32 v3, v6, v9
	s_delay_alu instid0(VALU_DEP_2) | instskip(NEXT) | instid1(VALU_DEP_2)
	v_add_f32_e32 v4, v7, v5
	v_dual_add_f32 v1, v2, v1 :: v_dual_add_f32 v28, v28, v3
	s_delay_alu instid0(VALU_DEP_1)
	v_dual_add_f32 v29, v29, v4 :: v_dual_add_f32 v30, v30, v1
	s_wait_alu 0xfffe
	s_and_not1_b32 exec_lo, exec_lo, s7
	s_cbranch_execz .LBB149_43
.LBB149_34:                             ; =>This Inner Loop Header: Depth=1
	global_load_b32 v1, v[21:22], off
	s_wait_loadcnt 0x0
	s_wait_alu 0xfffe
	v_mad_co_i64_i32 v[1:2], null, v1, s5, 0
	s_delay_alu instid0(VALU_DEP_1) | instskip(NEXT) | instid1(VALU_DEP_1)
	v_lshlrev_b64_e32 v[1:2], 1, v[1:2]
	v_add_co_u32 v35, s0, s2, v1
	s_wait_alu 0xf1ff
	s_delay_alu instid0(VALU_DEP_2) | instskip(NEXT) | instid1(VALU_DEP_2)
	v_add_co_ci_u32_e64 v36, null, s3, v2, s0
	v_add_co_u32 v9, s0, v35, v33
	s_wait_alu 0xf1ff
	s_delay_alu instid0(VALU_DEP_2)
	v_add_co_ci_u32_e64 v10, null, 0, v36, s0
	v_cmp_eq_u32_e64 s0, s6, v24
	global_load_b128 v[1:4], v[9:10], off
	ds_load_2addr_b64 v[17:20], v32 offset1:1
	ds_load_2addr_b64 v[13:16], v32 offset0:2 offset1:3
	s_and_saveexec_b32 s15, s0
	s_cbranch_execnz .LBB149_41
; %bb.35:                               ;   in Loop: Header=BB149_34 Depth=1
	s_or_b32 exec_lo, exec_lo, s15
	global_load_b128 v[5:8], v[9:10], off offset:512
	s_and_saveexec_b32 s15, s0
	s_cbranch_execnz .LBB149_42
.LBB149_36:                             ;   in Loop: Header=BB149_34 Depth=1
	s_or_b32 exec_lo, exec_lo, s15
	global_load_b128 v[9:12], v[9:10], off offset:1024
	s_and_saveexec_b32 s15, s0
	s_cbranch_execz .LBB149_38
.LBB149_37:                             ;   in Loop: Header=BB149_34 Depth=1
	v_add_nc_u32_e32 v37, 1, v31
	s_wait_loadcnt 0x0
	v_lshrrev_b32_e32 v38, 16, v9
	v_or_b32_e32 v39, 2, v31
	v_lshrrev_b32_e32 v40, 16, v10
	v_or_b32_e32 v41, 4, v31
	v_cmp_gt_i32_e64 s1, s9, v37
	v_or_b32_e32 v42, 7, v31
	v_lshrrev_b32_e32 v43, 16, v12
	s_wait_alu 0xf1ff
	s_delay_alu instid0(VALU_DEP_3) | instskip(SKIP_3) | instid1(VALU_DEP_2)
	v_cndmask_b32_e64 v37, 0, v38, s1
	v_cmp_gt_i32_e64 s1, s25, v31
	v_or_b32_e32 v38, 3, v31
	s_wait_alu 0xf1ff
	v_cndmask_b32_e64 v9, 0, v9, s1
	v_cmp_gt_i32_e64 s1, s25, v39
	v_or_b32_e32 v39, 5, v31
	s_delay_alu instid0(VALU_DEP_3) | instskip(SKIP_1) | instid1(VALU_DEP_3)
	v_perm_b32 v9, v37, v9, 0x5040100
	s_wait_alu 0xf1ff
	v_cndmask_b32_e64 v10, 0, v10, s1
	v_cmp_gt_i32_e64 s1, s9, v38
	s_wait_alu 0xf1ff
	s_delay_alu instid0(VALU_DEP_1) | instskip(SKIP_2) | instid1(VALU_DEP_3)
	v_cndmask_b32_e64 v38, 0, v40, s1
	v_cmp_gt_i32_e64 s1, s25, v41
	v_or_b32_e32 v41, 6, v31
	v_perm_b32 v10, v38, v10, 0x5040100
	s_wait_alu 0xf1ff
	s_delay_alu instid0(VALU_DEP_3) | instskip(SKIP_3) | instid1(VALU_DEP_1)
	v_cndmask_b32_e64 v40, 0, v11, s1
	v_lshrrev_b32_e32 v11, 16, v11
	v_cmp_gt_i32_e64 s1, s9, v39
	s_wait_alu 0xf1ff
	v_cndmask_b32_e64 v11, 0, v11, s1
	v_cmp_gt_i32_e64 s1, s25, v41
	s_delay_alu instid0(VALU_DEP_2) | instskip(SKIP_1) | instid1(VALU_DEP_2)
	v_perm_b32 v11, v11, v40, 0x5040100
	s_wait_alu 0xf1ff
	v_cndmask_b32_e64 v12, 0, v12, s1
	v_cmp_gt_i32_e64 s1, s9, v42
	s_wait_alu 0xf1ff
	s_delay_alu instid0(VALU_DEP_1) | instskip(NEXT) | instid1(VALU_DEP_1)
	v_cndmask_b32_e64 v39, 0, v43, s1
	v_perm_b32 v12, v39, v12, 0x5040100
.LBB149_38:                             ;   in Loop: Header=BB149_34 Depth=1
	s_or_b32 exec_lo, exec_lo, s15
	s_wait_dscnt 0x1
	v_bfe_u32 v37, v17, 16, 1
	v_bfe_u32 v38, v18, 16, 1
	v_or_b32_e32 v39, 0x400000, v17
	v_cmp_u_f32_e64 s1, v17, v17
	v_or_b32_e32 v40, 0x400000, v18
	v_add3_u32 v37, v37, v17, 0x7fff
	v_bfe_u32 v41, v19, 16, 1
	v_add3_u32 v38, v38, v18, 0x7fff
	v_bfe_u32 v42, v20, 16, 1
	s_wait_alu 0xf1ff
	v_cndmask_b32_e64 v17, v37, v39, s1
	v_cmp_u_f32_e64 s1, v18, v18
	v_add3_u32 v37, v41, v19, 0x7fff
	s_wait_dscnt 0x0
	v_bfe_u32 v39, v13, 16, 1
	v_or_b32_e32 v41, 0x400000, v20
	s_wait_alu 0xf1ff
	v_cndmask_b32_e64 v18, v38, v40, s1
	v_or_b32_e32 v38, 0x400000, v19
	v_cmp_u_f32_e64 s1, v19, v19
	v_add3_u32 v40, v42, v20, 0x7fff
	v_or_b32_e32 v42, 0x400000, v16
	s_wait_alu 0xf1ff
	s_delay_alu instid0(VALU_DEP_3)
	v_cndmask_b32_e64 v19, v37, v38, s1
	v_cmp_u_f32_e64 s1, v20, v20
	v_add3_u32 v37, v39, v13, 0x7fff
	v_or_b32_e32 v38, 0x400000, v13
	v_bfe_u32 v20, v14, 16, 1
	s_wait_alu 0xf1ff
	v_cndmask_b32_e64 v39, v40, v41, s1
	v_cmp_u_f32_e64 s1, v13, v13
	v_bfe_u32 v40, v15, 16, 1
	v_add3_u32 v20, v20, v14, 0x7fff
	v_or_b32_e32 v41, 0x400000, v15
	v_perm_b32 v19, v39, v19, 0x7060302
	s_wait_alu 0xf1ff
	v_cndmask_b32_e64 v13, v37, v38, s1
	v_or_b32_e32 v38, 0x400000, v14
	v_cmp_u_f32_e64 s1, v14, v14
	v_bfe_u32 v37, v16, 16, 1
	v_add3_u32 v40, v40, v15, 0x7fff
	s_wait_alu 0xf1ff
	s_delay_alu instid0(VALU_DEP_3) | instskip(SKIP_3) | instid1(VALU_DEP_4)
	v_cndmask_b32_e64 v14, v20, v38, s1
	v_cmp_u_f32_e64 s1, v15, v15
	v_add3_u32 v37, v37, v16, 0x7fff
	v_perm_b32 v20, v18, v17, 0x7060302
	v_perm_b32 v18, v14, v13, 0x7060302
	s_wait_alu 0xf1ff
	v_cndmask_b32_e64 v15, v40, v41, s1
	v_cmp_u_f32_e64 s1, v16, v16
	s_wait_alu 0xf1ff
	s_delay_alu instid0(VALU_DEP_1) | instskip(NEXT) | instid1(VALU_DEP_1)
	v_cndmask_b32_e64 v16, v37, v42, s1
	v_perm_b32 v17, v16, v15, 0x7060302
	s_and_saveexec_b32 s15, vcc_lo
	s_cbranch_execz .LBB149_33
; %bb.39:                               ;   in Loop: Header=BB149_34 Depth=1
	v_add_co_u32 v13, s1, v35, v34
	s_wait_alu 0xf1ff
	v_add_co_ci_u32_e64 v14, null, 0, v36, s1
	global_load_b128 v[13:16], v[13:14], off
	s_and_saveexec_b32 s1, s0
	s_cbranch_execz .LBB149_32
; %bb.40:                               ;   in Loop: Header=BB149_34 Depth=1
	v_add_nc_u32_e32 v35, 1, v31
	s_wait_loadcnt 0x0
	v_lshrrev_b32_e32 v36, 16, v13
	v_or_b32_e32 v37, 2, v31
	v_lshrrev_b32_e32 v38, 16, v14
	v_or_b32_e32 v39, 4, v31
	v_cmp_gt_i32_e64 s0, s9, v35
	v_or_b32_e32 v40, 7, v31
	v_lshrrev_b32_e32 v41, 16, v16
	s_wait_alu 0xf1ff
	s_delay_alu instid0(VALU_DEP_3) | instskip(SKIP_3) | instid1(VALU_DEP_2)
	v_cndmask_b32_e64 v35, 0, v36, s0
	v_cmp_gt_i32_e64 s0, s25, v31
	v_or_b32_e32 v36, 3, v31
	s_wait_alu 0xf1ff
	v_cndmask_b32_e64 v13, 0, v13, s0
	v_cmp_gt_i32_e64 s0, s25, v37
	v_or_b32_e32 v37, 5, v31
	s_delay_alu instid0(VALU_DEP_3) | instskip(SKIP_1) | instid1(VALU_DEP_3)
	v_perm_b32 v13, v35, v13, 0x5040100
	s_wait_alu 0xf1ff
	v_cndmask_b32_e64 v14, 0, v14, s0
	v_cmp_gt_i32_e64 s0, s9, v36
	s_wait_alu 0xf1ff
	s_delay_alu instid0(VALU_DEP_1) | instskip(SKIP_2) | instid1(VALU_DEP_3)
	v_cndmask_b32_e64 v36, 0, v38, s0
	v_cmp_gt_i32_e64 s0, s25, v39
	v_or_b32_e32 v39, 6, v31
	v_perm_b32 v14, v36, v14, 0x5040100
	s_wait_alu 0xf1ff
	s_delay_alu instid0(VALU_DEP_3) | instskip(SKIP_3) | instid1(VALU_DEP_1)
	v_cndmask_b32_e64 v38, 0, v15, s0
	v_lshrrev_b32_e32 v15, 16, v15
	v_cmp_gt_i32_e64 s0, s9, v37
	s_wait_alu 0xf1ff
	v_cndmask_b32_e64 v15, 0, v15, s0
	v_cmp_gt_i32_e64 s0, s25, v39
	s_delay_alu instid0(VALU_DEP_2) | instskip(SKIP_1) | instid1(VALU_DEP_2)
	v_perm_b32 v15, v15, v38, 0x5040100
	s_wait_alu 0xf1ff
	v_cndmask_b32_e64 v16, 0, v16, s0
	v_cmp_gt_i32_e64 s0, s9, v40
	s_wait_alu 0xf1ff
	s_delay_alu instid0(VALU_DEP_1) | instskip(NEXT) | instid1(VALU_DEP_1)
	v_cndmask_b32_e64 v37, 0, v41, s0
	v_perm_b32 v16, v37, v16, 0x5040100
	s_branch .LBB149_32
.LBB149_41:                             ;   in Loop: Header=BB149_34 Depth=1
	v_add_nc_u32_e32 v5, 1, v31
	s_wait_loadcnt 0x0
	v_lshrrev_b32_e32 v6, 16, v1
	v_or_b32_e32 v7, 2, v31
	v_lshrrev_b32_e32 v8, 16, v2
	v_or_b32_e32 v11, 4, v31
	v_cmp_gt_i32_e64 s1, s9, v5
	v_or_b32_e32 v12, 7, v31
	v_lshrrev_b32_e32 v37, 16, v4
	s_wait_alu 0xf1ff
	s_delay_alu instid0(VALU_DEP_3) | instskip(SKIP_3) | instid1(VALU_DEP_2)
	v_cndmask_b32_e64 v5, 0, v6, s1
	v_cmp_gt_i32_e64 s1, s25, v31
	v_or_b32_e32 v6, 3, v31
	s_wait_alu 0xf1ff
	v_cndmask_b32_e64 v1, 0, v1, s1
	v_cmp_gt_i32_e64 s1, s25, v7
	v_or_b32_e32 v7, 5, v31
	s_delay_alu instid0(VALU_DEP_3) | instskip(SKIP_1) | instid1(VALU_DEP_3)
	v_perm_b32 v1, v5, v1, 0x5040100
	s_wait_alu 0xf1ff
	v_cndmask_b32_e64 v2, 0, v2, s1
	v_cmp_gt_i32_e64 s1, s9, v6
	s_wait_alu 0xf1ff
	s_delay_alu instid0(VALU_DEP_1) | instskip(SKIP_2) | instid1(VALU_DEP_3)
	v_cndmask_b32_e64 v6, 0, v8, s1
	v_cmp_gt_i32_e64 s1, s25, v11
	v_or_b32_e32 v11, 6, v31
	v_perm_b32 v2, v6, v2, 0x5040100
	s_wait_alu 0xf1ff
	s_delay_alu instid0(VALU_DEP_3) | instskip(SKIP_3) | instid1(VALU_DEP_1)
	v_cndmask_b32_e64 v8, 0, v3, s1
	v_lshrrev_b32_e32 v3, 16, v3
	v_cmp_gt_i32_e64 s1, s9, v7
	s_wait_alu 0xf1ff
	v_cndmask_b32_e64 v3, 0, v3, s1
	v_cmp_gt_i32_e64 s1, s25, v11
	s_delay_alu instid0(VALU_DEP_2) | instskip(SKIP_1) | instid1(VALU_DEP_2)
	v_perm_b32 v3, v3, v8, 0x5040100
	s_wait_alu 0xf1ff
	v_cndmask_b32_e64 v4, 0, v4, s1
	v_cmp_gt_i32_e64 s1, s9, v12
	s_wait_alu 0xf1ff
	s_delay_alu instid0(VALU_DEP_1) | instskip(NEXT) | instid1(VALU_DEP_1)
	v_cndmask_b32_e64 v7, 0, v37, s1
	v_perm_b32 v4, v7, v4, 0x5040100
	s_or_b32 exec_lo, exec_lo, s15
	global_load_b128 v[5:8], v[9:10], off offset:512
	s_and_saveexec_b32 s15, s0
	s_cbranch_execz .LBB149_36
.LBB149_42:                             ;   in Loop: Header=BB149_34 Depth=1
	v_add_nc_u32_e32 v11, 1, v31
	s_wait_loadcnt 0x0
	v_lshrrev_b32_e32 v12, 16, v5
	v_or_b32_e32 v37, 2, v31
	v_lshrrev_b32_e32 v38, 16, v6
	v_or_b32_e32 v39, 4, v31
	v_cmp_gt_i32_e64 s1, s9, v11
	v_or_b32_e32 v40, 7, v31
	v_lshrrev_b32_e32 v41, 16, v8
	s_wait_alu 0xf1ff
	s_delay_alu instid0(VALU_DEP_3) | instskip(SKIP_3) | instid1(VALU_DEP_2)
	v_cndmask_b32_e64 v11, 0, v12, s1
	v_cmp_gt_i32_e64 s1, s25, v31
	v_or_b32_e32 v12, 3, v31
	s_wait_alu 0xf1ff
	v_cndmask_b32_e64 v5, 0, v5, s1
	v_cmp_gt_i32_e64 s1, s25, v37
	v_or_b32_e32 v37, 5, v31
	s_delay_alu instid0(VALU_DEP_3) | instskip(SKIP_1) | instid1(VALU_DEP_3)
	v_perm_b32 v5, v11, v5, 0x5040100
	s_wait_alu 0xf1ff
	v_cndmask_b32_e64 v6, 0, v6, s1
	v_cmp_gt_i32_e64 s1, s9, v12
	s_wait_alu 0xf1ff
	s_delay_alu instid0(VALU_DEP_1) | instskip(SKIP_2) | instid1(VALU_DEP_3)
	v_cndmask_b32_e64 v12, 0, v38, s1
	v_cmp_gt_i32_e64 s1, s25, v39
	v_or_b32_e32 v39, 6, v31
	v_perm_b32 v6, v12, v6, 0x5040100
	s_wait_alu 0xf1ff
	s_delay_alu instid0(VALU_DEP_3) | instskip(SKIP_3) | instid1(VALU_DEP_1)
	v_cndmask_b32_e64 v38, 0, v7, s1
	v_lshrrev_b32_e32 v7, 16, v7
	v_cmp_gt_i32_e64 s1, s9, v37
	s_wait_alu 0xf1ff
	v_cndmask_b32_e64 v7, 0, v7, s1
	v_cmp_gt_i32_e64 s1, s25, v39
	s_delay_alu instid0(VALU_DEP_2) | instskip(SKIP_1) | instid1(VALU_DEP_2)
	v_perm_b32 v7, v7, v38, 0x5040100
	s_wait_alu 0xf1ff
	v_cndmask_b32_e64 v8, 0, v8, s1
	v_cmp_gt_i32_e64 s1, s9, v40
	s_wait_alu 0xf1ff
	s_delay_alu instid0(VALU_DEP_1) | instskip(NEXT) | instid1(VALU_DEP_1)
	v_cndmask_b32_e64 v37, 0, v41, s1
	v_perm_b32 v8, v37, v8, 0x5040100
	s_or_b32 exec_lo, exec_lo, s15
	global_load_b128 v[9:12], v[9:10], off offset:1024
	s_and_saveexec_b32 s15, s0
	s_cbranch_execnz .LBB149_37
	s_branch .LBB149_38
.LBB149_43:
	s_or_b32 exec_lo, exec_lo, s7
.LBB149_44:
	s_wait_alu 0xfffe
	s_or_b32 exec_lo, exec_lo, s4
	s_movk_i32 s0, 0x1e0
	v_and_b32_e32 v1, 0x3c0, v0
	s_wait_alu 0xfffe
	v_mad_u32_u24 v4, v23, s0, 0x110
	v_or_b32_e32 v3, 0x60, v0
	s_mov_b32 s0, exec_lo
	s_wait_loadcnt 0x0
	s_wait_storecnt 0x0
	s_barrier_signal -1
	s_barrier_wait -1
	global_inv scope:SCOPE_SE
	v_cmpx_eq_u32_e32 64, v1
	s_cbranch_execz .LBB149_47
; %bb.45:
	v_add_nc_u32_e32 v1, 0xfffffc40, v4
	v_cmp_gt_u32_e32 vcc_lo, 0x78, v3
	s_delay_alu instid0(VALU_DEP_2)
	v_lshl_add_u32 v2, v25, 2, v1
	ds_store_2addr_b32 v2, v30, v29 offset1:32
	ds_store_b32 v2, v28 offset:256
	s_and_b32 exec_lo, exec_lo, vcc_lo
; %bb.46:
	v_lshl_add_u32 v1, v3, 2, v1
	ds_store_b32 v1, v27
.LBB149_47:
	s_wait_alu 0xfffe
	s_or_b32 exec_lo, exec_lo, s0
	v_lshl_add_u32 v5, v25, 2, v4
	s_mov_b32 s0, exec_lo
	s_wait_loadcnt_dscnt 0x0
	s_barrier_signal -1
	s_barrier_wait -1
	global_inv scope:SCOPE_SE
	v_cmpx_gt_u32_e32 64, v0
	s_cbranch_execz .LBB149_51
; %bb.48:
	v_lshl_or_b32 v1, v0, 2, 0x80
	s_mov_b32 s1, exec_lo
	s_delay_alu instid0(VALU_DEP_1)
	v_add_nc_u32_e32 v6, v4, v1
	ds_load_2addr_stride64_b32 v[1:2], v5 offset1:1
	ds_load_b32 v6, v6
	v_cmpx_gt_u32_e32 0x78, v3
	s_cbranch_execz .LBB149_50
; %bb.49:
	v_lshl_add_u32 v7, v3, 2, v4
	ds_load_b32 v7, v7
	s_wait_dscnt 0x0
	v_add_f32_e32 v27, v27, v7
.LBB149_50:
	s_wait_alu 0xfffe
	s_or_b32 exec_lo, exec_lo, s1
	s_wait_dscnt 0x0
	v_dual_add_f32 v30, v30, v1 :: v_dual_add_f32 v29, v29, v6
	v_add_f32_e32 v28, v28, v2
.LBB149_51:
	s_wait_alu 0xfffe
	s_or_b32 exec_lo, exec_lo, s0
	v_and_b32_e32 v1, 0x3e0, v0
	s_mov_b32 s0, exec_lo
	s_wait_loadcnt 0x0
	s_barrier_signal -1
	s_barrier_wait -1
	global_inv scope:SCOPE_SE
	v_cmpx_eq_u32_e32 32, v1
	s_cbranch_execz .LBB149_54
; %bb.52:
	v_lshl_add_u32 v1, v25, 2, 0x110
	v_cmp_gt_u32_e32 vcc_lo, 0x78, v3
	ds_store_b32 v1, v30
	ds_store_b32 v26, v29
	ds_store_b32 v1, v28 offset:256
	s_and_b32 exec_lo, exec_lo, vcc_lo
; %bb.53:
	v_lshl_add_u32 v1, v3, 2, 0x110
	ds_store_b32 v1, v27
.LBB149_54:
	s_wait_alu 0xfffe
	s_or_b32 exec_lo, exec_lo, s0
	v_cmp_gt_u32_e32 vcc_lo, 32, v0
	s_wait_loadcnt_dscnt 0x0
	s_barrier_signal -1
	s_barrier_wait -1
	global_inv scope:SCOPE_SE
	s_and_saveexec_b32 s1, vcc_lo
	s_cbranch_execz .LBB149_58
; %bb.55:
	v_lshl_add_u32 v6, v0, 2, v4
	s_mov_b32 s2, exec_lo
	ds_load_b32 v4, v5
	ds_load_2addr_b32 v[1:2], v6 offset0:32 offset1:64
	v_cmpx_gt_u32_e32 0x78, v3
	s_cbranch_execz .LBB149_57
; %bb.56:
	ds_load_b32 v5, v6 offset:384
	s_wait_dscnt 0x0
	v_add_f32_e32 v27, v27, v5
.LBB149_57:
	s_wait_alu 0xfffe
	s_or_b32 exec_lo, exec_lo, s2
	s_wait_dscnt 0x0
	v_dual_add_f32 v30, v30, v4 :: v_dual_add_f32 v29, v29, v1
	v_add_f32_e32 v28, v28, v2
.LBB149_58:
	s_wait_alu 0xfffe
	s_or_b32 exec_lo, exec_lo, s1
	s_wait_loadcnt 0x0
	s_barrier_signal -1
	s_barrier_wait -1
	global_inv scope:SCOPE_SE
	s_and_saveexec_b32 s0, vcc_lo
	s_cbranch_execz .LBB149_61
; %bb.59:
	v_bfe_u32 v1, v30, 16, 1
	v_bfe_u32 v2, v29, 16, 1
	v_or_b32_e32 v5, 0x400000, v30
	v_cmp_u_f32_e32 vcc_lo, v30, v30
	v_bfe_u32 v4, v28, 16, 1
	v_add3_u32 v1, v1, v30, 0x7fff
	v_lshlrev_b32_e32 v0, 1, v0
	v_add3_u32 v2, v2, v29, 0x7fff
	v_or_b32_e32 v6, 0x400000, v29
	s_mul_i32 s0, s14, 0x78
	s_wait_alu 0xfffd
	v_cndmask_b32_e32 v1, v1, v5, vcc_lo
	v_cmp_u_f32_e32 vcc_lo, v29, v29
	s_mul_i32 s2, s8, s12
	s_wait_alu 0xfffe
	s_ashr_i32 s1, s0, 31
	v_add3_u32 v4, v4, v28, 0x7fff
	v_or_b32_e32 v7, 0x400000, v28
	s_wait_alu 0xfffd
	v_cndmask_b32_e32 v2, v2, v6, vcc_lo
	v_cmp_u_f32_e32 vcc_lo, v28, v28
	s_ashr_i32 s3, s2, 31
	s_wait_alu 0xfffe
	s_lshl_b64 s[0:1], s[0:1], 1
	s_lshl_b64 s[2:3], s[2:3], 1
	s_wait_alu 0xfffe
	s_add_nc_u64 s[0:1], s[10:11], s[0:1]
	s_wait_alu 0xfffd
	v_cndmask_b32_e32 v4, v4, v7, vcc_lo
	v_cmp_gt_u32_e32 vcc_lo, 0x78, v3
	s_mul_i32 s4, s24, 0xf0
	s_wait_alu 0xfffe
	s_add_nc_u64 s[0:1], s[0:1], s[2:3]
	s_mov_b32 s5, 0
	s_wait_alu 0xfffe
	s_add_nc_u64 s[0:1], s[0:1], s[4:5]
	s_clause 0x2
	global_store_d16_hi_b16 v0, v1, s[0:1]
	global_store_d16_hi_b16 v0, v2, s[0:1] offset:64
	global_store_d16_hi_b16 v0, v4, s[0:1] offset:128
	s_and_b32 exec_lo, exec_lo, vcc_lo
	s_cbranch_execz .LBB149_61
; %bb.60:
	v_bfe_u32 v1, v27, 16, 1
	v_or_b32_e32 v2, 0x400000, v27
	v_cmp_u_f32_e32 vcc_lo, v27, v27
	s_wait_alu 0xfffe
	v_add_co_u32 v0, s0, s0, v0
	v_add3_u32 v3, v1, v27, 0x7fff
	s_wait_alu 0xf1ff
	v_add_co_ci_u32_e64 v1, null, s1, 0, s0
	s_wait_alu 0xfffd
	s_delay_alu instid0(VALU_DEP_2)
	v_cndmask_b32_e32 v2, v3, v2, vcc_lo
	global_store_d16_hi_b16 v[0:1], v2, off offset:192
.LBB149_61:
	s_endpgm
	.section	.rodata,"a",@progbits
	.p2align	6, 0x0
	.amdhsa_kernel _ZN4vllm25paged_attention_v2_kernelI14__hip_bfloat16S1_Li120ELi8ELi128ELNS_18Fp8KVCacheDataTypeE0ELb0ELi512EEEvPfS3_PT_PKS4_PKT0_SA_ifPKiSC_iPKfiiiSE_SE_iiiii
		.amdhsa_group_segment_fixed_size 272
		.amdhsa_private_segment_fixed_size 0
		.amdhsa_kernarg_size 400
		.amdhsa_user_sgpr_count 2
		.amdhsa_user_sgpr_dispatch_ptr 0
		.amdhsa_user_sgpr_queue_ptr 0
		.amdhsa_user_sgpr_kernarg_segment_ptr 1
		.amdhsa_user_sgpr_dispatch_id 0
		.amdhsa_user_sgpr_private_segment_size 0
		.amdhsa_wavefront_size32 1
		.amdhsa_uses_dynamic_stack 0
		.amdhsa_enable_private_segment 0
		.amdhsa_system_sgpr_workgroup_id_x 1
		.amdhsa_system_sgpr_workgroup_id_y 1
		.amdhsa_system_sgpr_workgroup_id_z 1
		.amdhsa_system_sgpr_workgroup_info 0
		.amdhsa_system_vgpr_workitem_id 0
		.amdhsa_next_free_vgpr 65
		.amdhsa_next_free_sgpr 32
		.amdhsa_reserve_vcc 1
		.amdhsa_float_round_mode_32 0
		.amdhsa_float_round_mode_16_64 0
		.amdhsa_float_denorm_mode_32 3
		.amdhsa_float_denorm_mode_16_64 3
		.amdhsa_fp16_overflow 0
		.amdhsa_workgroup_processor_mode 1
		.amdhsa_memory_ordered 1
		.amdhsa_forward_progress 1
		.amdhsa_inst_pref_size 69
		.amdhsa_round_robin_scheduling 0
		.amdhsa_exception_fp_ieee_invalid_op 0
		.amdhsa_exception_fp_denorm_src 0
		.amdhsa_exception_fp_ieee_div_zero 0
		.amdhsa_exception_fp_ieee_overflow 0
		.amdhsa_exception_fp_ieee_underflow 0
		.amdhsa_exception_fp_ieee_inexact 0
		.amdhsa_exception_int_div_zero 0
	.end_amdhsa_kernel
	.section	.text._ZN4vllm25paged_attention_v2_kernelI14__hip_bfloat16S1_Li120ELi8ELi128ELNS_18Fp8KVCacheDataTypeE0ELb0ELi512EEEvPfS3_PT_PKS4_PKT0_SA_ifPKiSC_iPKfiiiSE_SE_iiiii,"axG",@progbits,_ZN4vllm25paged_attention_v2_kernelI14__hip_bfloat16S1_Li120ELi8ELi128ELNS_18Fp8KVCacheDataTypeE0ELb0ELi512EEEvPfS3_PT_PKS4_PKT0_SA_ifPKiSC_iPKfiiiSE_SE_iiiii,comdat
.Lfunc_end149:
	.size	_ZN4vllm25paged_attention_v2_kernelI14__hip_bfloat16S1_Li120ELi8ELi128ELNS_18Fp8KVCacheDataTypeE0ELb0ELi512EEEvPfS3_PT_PKS4_PKT0_SA_ifPKiSC_iPKfiiiSE_SE_iiiii, .Lfunc_end149-_ZN4vllm25paged_attention_v2_kernelI14__hip_bfloat16S1_Li120ELi8ELi128ELNS_18Fp8KVCacheDataTypeE0ELb0ELi512EEEvPfS3_PT_PKS4_PKT0_SA_ifPKiSC_iPKfiiiSE_SE_iiiii
                                        ; -- End function
	.set _ZN4vllm25paged_attention_v2_kernelI14__hip_bfloat16S1_Li120ELi8ELi128ELNS_18Fp8KVCacheDataTypeE0ELb0ELi512EEEvPfS3_PT_PKS4_PKT0_SA_ifPKiSC_iPKfiiiSE_SE_iiiii.num_vgpr, 65
	.set _ZN4vllm25paged_attention_v2_kernelI14__hip_bfloat16S1_Li120ELi8ELi128ELNS_18Fp8KVCacheDataTypeE0ELb0ELi512EEEvPfS3_PT_PKS4_PKT0_SA_ifPKiSC_iPKfiiiSE_SE_iiiii.num_agpr, 0
	.set _ZN4vllm25paged_attention_v2_kernelI14__hip_bfloat16S1_Li120ELi8ELi128ELNS_18Fp8KVCacheDataTypeE0ELb0ELi512EEEvPfS3_PT_PKS4_PKT0_SA_ifPKiSC_iPKfiiiSE_SE_iiiii.numbered_sgpr, 32
	.set _ZN4vllm25paged_attention_v2_kernelI14__hip_bfloat16S1_Li120ELi8ELi128ELNS_18Fp8KVCacheDataTypeE0ELb0ELi512EEEvPfS3_PT_PKS4_PKT0_SA_ifPKiSC_iPKfiiiSE_SE_iiiii.num_named_barrier, 0
	.set _ZN4vllm25paged_attention_v2_kernelI14__hip_bfloat16S1_Li120ELi8ELi128ELNS_18Fp8KVCacheDataTypeE0ELb0ELi512EEEvPfS3_PT_PKS4_PKT0_SA_ifPKiSC_iPKfiiiSE_SE_iiiii.private_seg_size, 0
	.set _ZN4vllm25paged_attention_v2_kernelI14__hip_bfloat16S1_Li120ELi8ELi128ELNS_18Fp8KVCacheDataTypeE0ELb0ELi512EEEvPfS3_PT_PKS4_PKT0_SA_ifPKiSC_iPKfiiiSE_SE_iiiii.uses_vcc, 1
	.set _ZN4vllm25paged_attention_v2_kernelI14__hip_bfloat16S1_Li120ELi8ELi128ELNS_18Fp8KVCacheDataTypeE0ELb0ELi512EEEvPfS3_PT_PKS4_PKT0_SA_ifPKiSC_iPKfiiiSE_SE_iiiii.uses_flat_scratch, 0
	.set _ZN4vllm25paged_attention_v2_kernelI14__hip_bfloat16S1_Li120ELi8ELi128ELNS_18Fp8KVCacheDataTypeE0ELb0ELi512EEEvPfS3_PT_PKS4_PKT0_SA_ifPKiSC_iPKfiiiSE_SE_iiiii.has_dyn_sized_stack, 0
	.set _ZN4vllm25paged_attention_v2_kernelI14__hip_bfloat16S1_Li120ELi8ELi128ELNS_18Fp8KVCacheDataTypeE0ELb0ELi512EEEvPfS3_PT_PKS4_PKT0_SA_ifPKiSC_iPKfiiiSE_SE_iiiii.has_recursion, 0
	.set _ZN4vllm25paged_attention_v2_kernelI14__hip_bfloat16S1_Li120ELi8ELi128ELNS_18Fp8KVCacheDataTypeE0ELb0ELi512EEEvPfS3_PT_PKS4_PKT0_SA_ifPKiSC_iPKfiiiSE_SE_iiiii.has_indirect_call, 0
	.section	.AMDGPU.csdata,"",@progbits
; Kernel info:
; codeLenInByte = 8828
; TotalNumSgprs: 34
; NumVgprs: 65
; ScratchSize: 0
; MemoryBound: 0
; FloatMode: 240
; IeeeMode: 1
; LDSByteSize: 272 bytes/workgroup (compile time only)
; SGPRBlocks: 0
; VGPRBlocks: 8
; NumSGPRsForWavesPerEU: 34
; NumVGPRsForWavesPerEU: 65
; Occupancy: 16
; WaveLimiterHint : 1
; COMPUTE_PGM_RSRC2:SCRATCH_EN: 0
; COMPUTE_PGM_RSRC2:USER_SGPR: 2
; COMPUTE_PGM_RSRC2:TRAP_HANDLER: 0
; COMPUTE_PGM_RSRC2:TGID_X_EN: 1
; COMPUTE_PGM_RSRC2:TGID_Y_EN: 1
; COMPUTE_PGM_RSRC2:TGID_Z_EN: 1
; COMPUTE_PGM_RSRC2:TIDIG_COMP_CNT: 0
	.section	.text._ZN4vllm25paged_attention_v2_kernelI14__hip_bfloat16S1_Li128ELi8ELi128ELNS_18Fp8KVCacheDataTypeE0ELb0ELi512EEEvPfS3_PT_PKS4_PKT0_SA_ifPKiSC_iPKfiiiSE_SE_iiiii,"axG",@progbits,_ZN4vllm25paged_attention_v2_kernelI14__hip_bfloat16S1_Li128ELi8ELi128ELNS_18Fp8KVCacheDataTypeE0ELb0ELi512EEEvPfS3_PT_PKS4_PKT0_SA_ifPKiSC_iPKfiiiSE_SE_iiiii,comdat
	.protected	_ZN4vllm25paged_attention_v2_kernelI14__hip_bfloat16S1_Li128ELi8ELi128ELNS_18Fp8KVCacheDataTypeE0ELb0ELi512EEEvPfS3_PT_PKS4_PKT0_SA_ifPKiSC_iPKfiiiSE_SE_iiiii ; -- Begin function _ZN4vllm25paged_attention_v2_kernelI14__hip_bfloat16S1_Li128ELi8ELi128ELNS_18Fp8KVCacheDataTypeE0ELb0ELi512EEEvPfS3_PT_PKS4_PKT0_SA_ifPKiSC_iPKfiiiSE_SE_iiiii
	.globl	_ZN4vllm25paged_attention_v2_kernelI14__hip_bfloat16S1_Li128ELi8ELi128ELNS_18Fp8KVCacheDataTypeE0ELb0ELi512EEEvPfS3_PT_PKS4_PKT0_SA_ifPKiSC_iPKfiiiSE_SE_iiiii
	.p2align	8
	.type	_ZN4vllm25paged_attention_v2_kernelI14__hip_bfloat16S1_Li128ELi8ELi128ELNS_18Fp8KVCacheDataTypeE0ELb0ELi512EEEvPfS3_PT_PKS4_PKT0_SA_ifPKiSC_iPKfiiiSE_SE_iiiii,@function
_ZN4vllm25paged_attention_v2_kernelI14__hip_bfloat16S1_Li128ELi8ELi128ELNS_18Fp8KVCacheDataTypeE0ELb0ELi512EEEvPfS3_PT_PKS4_PKT0_SA_ifPKiSC_iPKfiiiSE_SE_iiiii: ; @_ZN4vllm25paged_attention_v2_kernelI14__hip_bfloat16S1_Li128ELi8ELi128ELNS_18Fp8KVCacheDataTypeE0ELb0ELi512EEEvPfS3_PT_PKS4_PKT0_SA_ifPKiSC_iPKfiiiSE_SE_iiiii
; %bb.0:
	s_load_b64 s[2:3], s[0:1], 0x40
	s_and_b32 s27, ttmp7, 0xffff
	s_lshr_b32 s24, ttmp7, 16
	s_lshl_b32 s4, s27, 2
	s_lshl_b32 s26, s24, 9
	s_wait_kmcnt 0x0
	s_load_b32 s25, s[2:3], s4 offset:0x0
	s_wait_kmcnt 0x0
	s_cmp_ge_i32 s26, s25
	s_cbranch_scc1 .LBB150_52
; %bb.1:
	s_clause 0x1
	s_load_b32 s28, s[0:1], 0x90
	s_load_b64 s[6:7], s[0:1], 0x30
	s_wait_kmcnt 0x0
	s_abs_i32 s5, s28
	s_abs_i32 s2, s6
	s_delay_alu instid0(SALU_CYCLE_1) | instskip(SKIP_1) | instid1(SALU_CYCLE_2)
	s_cvt_f32_u32 s3, s2
	s_sub_co_i32 s4, 0, s2
	v_rcp_iflag_f32_e32 v1, s3
	s_delay_alu instid0(TRANS32_DEP_1) | instskip(SKIP_2) | instid1(SALU_CYCLE_2)
	v_readfirstlane_b32 s3, v1
	s_mul_f32 s3, s3, 0x4f7ffffe
	s_wait_alu 0xfffe
	s_cvt_u32_f32 s3, s3
	s_wait_alu 0xfffe
	s_delay_alu instid0(SALU_CYCLE_2) | instskip(NEXT) | instid1(SALU_CYCLE_1)
	s_mul_i32 s4, s4, s3
	s_mul_hi_u32 s4, s3, s4
	s_delay_alu instid0(SALU_CYCLE_1)
	s_add_co_i32 s3, s3, s4
	s_xor_b32 s4, s28, s6
	s_wait_alu 0xfffe
	s_mul_hi_u32 s3, s5, s3
	s_ashr_i32 s4, s4, 31
	s_wait_alu 0xfffe
	s_mul_i32 s6, s3, s2
	s_delay_alu instid0(SALU_CYCLE_1)
	s_sub_co_i32 s5, s5, s6
	s_add_co_i32 s6, s3, 1
	s_sub_co_i32 s8, s5, s2
	s_cmp_ge_u32 s5, s2
	s_cselect_b32 s3, s6, s3
	s_cselect_b32 s5, s8, s5
	s_wait_alu 0xfffe
	s_add_co_i32 s6, s3, 1
	s_cmp_ge_u32 s5, s2
	s_load_b64 s[8:9], s[0:1], 0x50
	s_cselect_b32 s2, s6, s3
	s_mov_b32 s5, 0
	s_wait_alu 0xfffe
	s_xor_b32 s2, s2, s4
	s_mov_b32 s10, s5
	s_wait_alu 0xfffe
	s_sub_co_i32 s11, s2, s4
	s_abs_i32 s4, ttmp9
	s_abs_i32 s6, s11
	s_delay_alu instid0(SALU_CYCLE_1) | instskip(SKIP_2) | instid1(SALU_CYCLE_1)
	s_cvt_f32_u32 s2, s6
	s_sub_co_i32 s3, 0, s6
	s_wait_alu 0xfffe
	v_rcp_iflag_f32_e32 v1, s2
	s_delay_alu instid0(TRANS32_DEP_1) | instskip(SKIP_2) | instid1(SALU_CYCLE_2)
	v_readfirstlane_b32 s2, v1
	s_mul_f32 s2, s2, 0x4f7ffffe
	s_wait_alu 0xfffe
	s_cvt_u32_f32 s2, s2
	s_wait_alu 0xfffe
	s_delay_alu instid0(SALU_CYCLE_2)
	s_mul_i32 s3, s3, s2
	s_wait_alu 0xfffe
	s_mul_hi_u32 s3, s2, s3
	s_wait_alu 0xfffe
	s_add_co_i32 s2, s2, s3
	s_mov_b32 s3, s5
	s_wait_kmcnt 0x0
	s_cmp_eq_u64 s[8:9], 0
	s_cbranch_scc1 .LBB150_3
; %bb.2:
	s_mov_b32 s12, ttmp9
	s_ashr_i32 s13, ttmp9, 31
	s_delay_alu instid0(SALU_CYCLE_1) | instskip(NEXT) | instid1(SALU_CYCLE_1)
	s_lshl_b64 s[12:13], s[12:13], 2
	s_add_nc_u64 s[8:9], s[8:9], s[12:13]
	s_load_b32 s10, s[8:9], 0x0
.LBB150_3:
	s_load_b96 s[12:14], s[0:1], 0x58
	s_mul_u64 s[2:3], s[4:5], s[2:3]
	v_and_b32_e32 v1, 3, v0
	v_cmp_gt_u32_e64 s2, 64, v0
	v_lshlrev_b32_e32 v2, 2, v0
	s_ashr_i32 s5, ttmp9, 31
	s_ashr_i32 s8, s11, 31
	s_lshl_b32 s16, ttmp9, 7
	s_wait_alu 0xfffe
	s_and_saveexec_b32 s9, s2
	s_cbranch_execz .LBB150_5
; %bb.4:
	s_load_b64 s[18:19], s[0:1], 0x18
	s_wait_kmcnt 0x0
	s_mul_i32 s20, s12, s27
	s_ashr_i32 s17, s16, 31
	s_ashr_i32 s21, s20, 31
	v_and_b32_e32 v4, 0x3fc, v0
	s_lshl_b64 s[20:21], s[20:21], 1
	s_delay_alu instid0(VALU_DEP_1) | instskip(SKIP_2) | instid1(SALU_CYCLE_1)
	v_lshl_add_u32 v4, v1, 6, v4
	s_add_nc_u64 s[18:19], s[18:19], s[20:21]
	s_lshl_b64 s[20:21], s[16:17], 1
	s_add_nc_u64 s[18:19], s[18:19], s[20:21]
	global_load_b32 v3, v2, s[18:19]
	s_wait_loadcnt 0x0
	ds_store_b32 v4, v3
.LBB150_5:
	s_or_b32 exec_lo, exec_lo, s9
	s_add_co_i32 s9, s25, 7
	s_xor_b32 s5, s5, s8
	s_ashr_i32 s11, s9, 31
	s_lshl_b32 s30, s24, 6
	s_lshr_b32 s8, s11, 29
	s_mul_i32 s11, s3, s6
	s_add_co_i32 s9, s9, s8
	s_add_co_i32 s8, s30, 64
	s_ashr_i32 s29, s9, 3
	s_load_b32 s9, s[0:1], 0x48
	s_sub_co_i32 s4, s4, s11
	s_min_i32 s17, s8, s29
	s_add_co_i32 s8, s3, 1
	s_sub_co_i32 s11, s4, s6
	s_cmp_ge_u32 s4, s6
	v_lshrrev_b32_e32 v27, 5, v0
	s_cselect_b32 s3, s8, s3
	s_cselect_b32 s4, s11, s4
	s_wait_alu 0xfffe
	s_add_co_i32 s8, s3, 1
	s_cmp_ge_u32 s4, s6
	v_or_b32_e32 v28, s30, v27
	s_cselect_b32 s3, s8, s3
	v_mbcnt_lo_u32_b32 v4, -1, 0
	s_wait_alu 0xfffe
	s_xor_b32 s3, s3, s5
	s_wait_dscnt 0x0
	s_wait_alu 0xfffe
	s_sub_co_i32 s4, s3, s5
	v_cmp_gt_i32_e64 s3, s17, v28
	s_mov_b32 s5, exec_lo
	s_barrier_signal -1
	s_wait_kmcnt 0x0
	s_mul_i32 s18, s9, s27
	s_barrier_wait -1
	s_ashr_i32 s19, s18, 31
	global_inv scope:SCOPE_SE
                                        ; implicit-def: $vgpr5
                                        ; implicit-def: $vgpr6
	v_cmpx_le_i32_e64 s17, v28
	s_xor_b32 s5, exec_lo, s5
; %bb.6:
	v_dual_mov_b32 v5, 0 :: v_dual_mov_b32 v6, 32
	v_mbcnt_lo_u32_b32 v4, -1, 0
                                        ; implicit-def: $vgpr2
                                        ; implicit-def: $vgpr1
; %bb.7:
	s_or_saveexec_b32 s8, s5
	s_clause 0x1
	s_load_b64 s[20:21], s[0:1], 0x38
	s_load_b32 s12, s[0:1], 0x98
	v_dual_mov_b32 v40, 0xff7fffff :: v_dual_lshlrev_b32 v3, 2, v28
	s_mul_i32 s14, s4, s14
	s_xor_b32 exec_lo, exec_lo, s8
	s_cbranch_execz .LBB150_13
; %bb.8:
	s_load_b64 s[4:5], s[0:1], 0x20
	v_dual_mov_b32 v5, 0 :: v_dual_lshlrev_b32 v6, 6, v1
	v_bfe_u32 v46, v0, 2, 3
	s_ashr_i32 s15, s14, 31
	v_and_b32_e32 v2, 12, v2
	ds_load_b128 v[13:16], v6
	ds_load_b128 v[21:24], v6 offset:16
	ds_load_b128 v[31:34], v6 offset:32
	;; [unrolled: 1-line block ×3, first 2 shown]
	v_lshlrev_b32_e32 v7, 4, v46
	s_lshl_b64 s[22:23], s[14:15], 1
	v_lshlrev_b32_e32 v47, 2, v46
	s_cmp_neq_f32 s10, 0
	s_mov_b32 s11, s13
	s_mov_b32 s9, 0
	v_mov_b32_e32 v48, v28
	s_wait_kmcnt 0x0
	s_add_nc_u64 s[4:5], s[4:5], s[22:23]
	s_delay_alu instid0(SALU_CYCLE_1)
	v_add_co_u32 v6, s4, s4, v7
	s_wait_alu 0xf1ff
	v_add_co_ci_u32_e64 v17, null, s5, 0, s4
	s_wait_dscnt 0x3
	v_and_b32_e32 v10, 0xffff0000, v14
	s_wait_dscnt 0x0
	v_lshlrev_b32_e32 v35, 16, v40
	v_and_b32_e32 v36, 0xffff0000, v40
	v_xor_b32_e32 v40, 1, v4
	v_lshlrev_b32_e32 v9, 16, v14
	v_add_co_u32 v14, vcc_lo, v6, v2
	v_xor_b32_e32 v2, 2, v4
	v_lshlrev_b32_e32 v11, 16, v15
	v_and_b32_e32 v12, 0xffff0000, v15
	v_add_co_ci_u32_e64 v15, null, 0, v17, vcc_lo
	s_delay_alu instid0(VALU_DEP_4)
	v_cmp_gt_i32_e32 vcc_lo, 32, v2
	v_lshlrev_b32_e32 v7, 16, v13
	s_cselect_b32 s4, -1, 0
	s_lshl_b64 s[22:23], s[18:19], 2
	v_and_b32_e32 v8, 0xffff0000, v13
	s_wait_alu 0xfffd
	v_cndmask_b32_e32 v2, v4, v2, vcc_lo
	v_cmp_gt_i32_e32 vcc_lo, 32, v40
	s_add_nc_u64 s[22:23], s[20:21], s[22:23]
	v_lshlrev_b32_e32 v13, 16, v16
	v_and_b32_e32 v16, 0xffff0000, v16
	v_lshlrev_b32_e32 v44, 2, v2
	s_wait_alu 0xfffd
	v_cndmask_b32_e32 v40, v4, v40, vcc_lo
	v_lshlrev_b32_e32 v2, 3, v27
	v_cmp_eq_u32_e32 vcc_lo, 0, v1
	v_add_co_u32 v1, s5, s22, v3
	s_delay_alu instid0(VALU_DEP_4)
	v_lshlrev_b32_e32 v45, 2, v40
	v_lshl_or_b32 v40, v27, 5, v47
	v_lshlrev_b32_e32 v17, 16, v21
	v_and_b32_e32 v18, 0xffff0000, v21
	v_lshlrev_b32_e32 v19, 16, v22
	v_and_b32_e32 v20, 0xffff0000, v22
	;; [unrolled: 2-line block ×10, first 2 shown]
	v_lshlrev_b32_e32 v42, 16, v43
	v_dual_mov_b32 v6, 32 :: v_dual_and_b32 v43, 0xffff0000, v43
	v_add3_u32 v46, s26, v2, v46
	v_add_nc_u32_e32 v47, 0x120, v40
	s_wait_alu 0xf1ff
	v_add_co_ci_u32_e64 v2, null, s23, 0, s5
	v_mov_b32_e32 v40, 0xff7fffff
	s_sub_co_i32 s15, 1, s25
	s_branch .LBB150_10
.LBB150_9:                              ;   in Loop: Header=BB150_10 Depth=1
	s_wait_alu 0xfffe
	s_or_b32 exec_lo, exec_lo, s6
	v_add_nc_u32_e32 v48, 4, v48
	v_add_co_u32 v1, s6, v1, 16
	v_add_nc_u32_e32 v46, 32, v46
	v_add_nc_u32_e32 v47, 0x80, v47
	s_delay_alu instid0(VALU_DEP_4) | instskip(SKIP_3) | instid1(SALU_CYCLE_1)
	v_cmp_le_i32_e64 s5, s17, v48
	s_wait_alu 0xf1ff
	v_add_co_ci_u32_e64 v2, null, 0, v2, s6
	s_or_b32 s9, s5, s9
	s_and_not1_b32 exec_lo, exec_lo, s9
	s_cbranch_execz .LBB150_12
.LBB150_10:                             ; =>This Inner Loop Header: Depth=1
	global_load_b32 v49, v[1:2], off
	s_wait_loadcnt_dscnt 0x0
	v_mad_co_i64_i32 v[49:50], null, v49, s11, 0
	s_delay_alu instid0(VALU_DEP_1) | instskip(NEXT) | instid1(VALU_DEP_1)
	v_lshlrev_b64_e32 v[49:50], 1, v[49:50]
	v_add_co_u32 v49, s5, v14, v49
	s_wait_alu 0xf1ff
	s_delay_alu instid0(VALU_DEP_2)
	v_add_co_ci_u32_e64 v50, null, v15, v50, s5
	s_clause 0xf
	global_load_b32 v51, v[49:50], off offset:128
	global_load_b32 v52, v[49:50], off
	global_load_b32 v53, v[49:50], off offset:256
	global_load_b32 v54, v[49:50], off offset:384
	;; [unrolled: 1-line block ×14, first 2 shown]
	s_wait_loadcnt 0xe
	v_lshlrev_b32_e32 v66, 16, v52
	s_wait_loadcnt 0xd
	v_lshlrev_b32_e32 v67, 16, v53
	v_and_b32_e32 v53, 0xffff0000, v53
	v_and_b32_e32 v52, 0xffff0000, v52
	v_lshlrev_b32_e32 v50, 16, v51
	v_and_b32_e32 v51, 0xffff0000, v51
	s_delay_alu instid0(VALU_DEP_1) | instskip(NEXT) | instid1(VALU_DEP_1)
	v_mul_f32_e32 v51, v10, v51
	v_dual_fmac_f32 v51, v8, v52 :: v_dual_mul_f32 v50, v9, v50
	s_delay_alu instid0(VALU_DEP_1) | instskip(NEXT) | instid1(VALU_DEP_1)
	v_fmac_f32_e32 v50, v7, v66
	v_dual_fmac_f32 v50, v11, v67 :: v_dual_fmac_f32 v51, v12, v53
	s_wait_loadcnt 0xb
	v_lshlrev_b32_e32 v53, 16, v55
	v_and_b32_e32 v55, 0xffff0000, v55
	v_lshlrev_b32_e32 v52, 16, v54
	v_and_b32_e32 v54, 0xffff0000, v54
	s_wait_loadcnt 0xa
	s_delay_alu instid0(VALU_DEP_1) | instskip(NEXT) | instid1(VALU_DEP_1)
	v_dual_fmac_f32 v51, v16, v54 :: v_dual_and_b32 v54, 0xffff0000, v56
	v_dual_fmac_f32 v51, v18, v55 :: v_dual_fmac_f32 v50, v13, v52
	v_lshlrev_b32_e32 v52, 16, v56
	s_delay_alu instid0(VALU_DEP_2) | instskip(SKIP_1) | instid1(VALU_DEP_1)
	v_fmac_f32_e32 v50, v17, v53
	s_wait_loadcnt 0x9
	v_dual_fmac_f32 v50, v19, v52 :: v_dual_lshlrev_b32 v53, 16, v57
	v_fmac_f32_e32 v51, v20, v54
	s_wait_loadcnt 0x8
	v_lshlrev_b32_e32 v52, 16, v58
	v_and_b32_e32 v54, 0xffff0000, v58
	v_fmac_f32_e32 v50, v21, v53
	s_delay_alu instid0(VALU_DEP_1) | instskip(SKIP_1) | instid1(VALU_DEP_1)
	v_dual_fmac_f32 v50, v23, v52 :: v_dual_and_b32 v55, 0xffff0000, v57
	s_wait_loadcnt 0x6
	v_dual_fmac_f32 v51, v22, v55 :: v_dual_lshlrev_b32 v52, 16, v60
	v_lshlrev_b32_e32 v53, 16, v59
	v_and_b32_e32 v55, 0xffff0000, v59
	s_delay_alu instid0(VALU_DEP_3) | instskip(NEXT) | instid1(VALU_DEP_1)
	v_dual_fmac_f32 v51, v24, v54 :: v_dual_and_b32 v54, 0xffff0000, v60
	v_dual_fmac_f32 v50, v25, v53 :: v_dual_fmac_f32 v51, v26, v55
	s_delay_alu instid0(VALU_DEP_1) | instskip(SKIP_3) | instid1(VALU_DEP_1)
	v_fmac_f32_e32 v50, v29, v52
	s_wait_loadcnt 0x4
	v_lshlrev_b32_e32 v52, 16, v62
	v_lshlrev_b32_e32 v53, 16, v61
	v_dual_fmac_f32 v51, v30, v54 :: v_dual_fmac_f32 v50, v31, v53
	s_wait_loadcnt 0x3
	s_delay_alu instid0(VALU_DEP_1) | instskip(SKIP_2) | instid1(VALU_DEP_2)
	v_dual_fmac_f32 v50, v33, v52 :: v_dual_lshlrev_b32 v53, 16, v63
	s_wait_loadcnt 0x2
	v_lshlrev_b32_e32 v52, 16, v64
	v_fmac_f32_e32 v50, v35, v53
	v_and_b32_e32 v55, 0xffff0000, v61
	s_wait_loadcnt 0x1
	s_delay_alu instid0(VALU_DEP_2) | instskip(NEXT) | instid1(VALU_DEP_2)
	v_dual_fmac_f32 v50, v37, v52 :: v_dual_lshlrev_b32 v53, 16, v65
	v_fmac_f32_e32 v51, v32, v55
	v_and_b32_e32 v55, 0xffff0000, v63
	s_wait_loadcnt 0x0
	v_lshlrev_b32_e32 v52, 16, v49
	v_and_b32_e32 v49, 0xffff0000, v49
	v_fmac_f32_e32 v50, v39, v53
	s_delay_alu instid0(VALU_DEP_1) | instskip(SKIP_1) | instid1(VALU_DEP_1)
	v_fmac_f32_e32 v50, v42, v52
	v_and_b32_e32 v54, 0xffff0000, v62
	v_dual_fmac_f32 v51, v34, v54 :: v_dual_and_b32 v54, 0xffff0000, v64
	s_delay_alu instid0(VALU_DEP_1) | instskip(SKIP_1) | instid1(VALU_DEP_2)
	v_fmac_f32_e32 v51, v36, v55
	v_and_b32_e32 v55, 0xffff0000, v65
	v_fmac_f32_e32 v51, v38, v54
	s_delay_alu instid0(VALU_DEP_1) | instskip(NEXT) | instid1(VALU_DEP_1)
	v_fmac_f32_e32 v51, v41, v55
	v_fmac_f32_e32 v51, v43, v49
	s_delay_alu instid0(VALU_DEP_1)
	v_add_f32_e32 v49, v50, v51
	ds_bpermute_b32 v50, v44, v49
	s_wait_dscnt 0x0
	v_add_f32_e32 v49, v49, v50
	ds_bpermute_b32 v50, v45, v49
	s_and_saveexec_b32 s6, vcc_lo
	s_cbranch_execz .LBB150_9
; %bb.11:                               ;   in Loop: Header=BB150_10 Depth=1
	s_wait_dscnt 0x0
	v_add_f32_e32 v49, v49, v50
	v_add_nc_u32_e32 v51, s15, v46
	v_cmp_gt_i32_e64 s5, s25, v46
	s_delay_alu instid0(VALU_DEP_2) | instskip(NEXT) | instid1(VALU_DEP_1)
	v_cvt_f32_i32_e32 v51, v51
	v_mul_f32_e32 v51, s10, v51
	s_wait_alu 0xfffe
	s_delay_alu instid0(VALU_DEP_1) | instskip(NEXT) | instid1(VALU_DEP_1)
	v_cndmask_b32_e64 v50, 0, v51, s4
	v_dual_max_num_f32 v51, v40, v40 :: v_dual_fmac_f32 v50, s7, v49
	s_delay_alu instid0(VALU_DEP_1) | instskip(SKIP_2) | instid1(VALU_DEP_2)
	v_max_num_f32_e32 v49, v51, v50
	s_wait_alu 0xf1ff
	v_cndmask_b32_e64 v50, 0, v50, s5
	v_cndmask_b32_e64 v40, v40, v49, s5
	ds_store_b32 v47, v50
	s_branch .LBB150_9
.LBB150_12:
	s_or_b32 exec_lo, exec_lo, s9
.LBB150_13:
	s_delay_alu instid0(SALU_CYCLE_1)
	s_or_b32 exec_lo, exec_lo, s8
	v_xor_b32_e32 v1, 16, v4
	v_xor_b32_e32 v7, 8, v4
	v_xor_b32_e32 v9, 4, v4
	s_clause 0x2
	s_load_b128 s[8:11], s[0:1], 0x0
	s_load_b64 s[6:7], s[0:1], 0x10
	s_load_b64 s[22:23], s[0:1], 0x28
	v_and_b32_e32 v29, 31, v0
	v_cmp_lt_i32_e32 vcc_lo, v1, v6
	s_wait_alu 0xfffd
	v_cndmask_b32_e32 v1, v4, v1, vcc_lo
	v_cmp_lt_i32_e32 vcc_lo, v7, v6
	s_wait_alu 0xfffd
	s_delay_alu instid0(VALU_DEP_2)
	v_dual_cndmask_b32 v7, v4, v7 :: v_dual_lshlrev_b32 v2, 2, v1
	v_cmp_lt_i32_e32 vcc_lo, v9, v6
	ds_bpermute_b32 v1, v2, v40
	v_dual_max_num_f32 v8, v40, v40 :: v_dual_lshlrev_b32 v7, 2, v7
	s_wait_alu 0xfffd
	v_cndmask_b32_e32 v9, v4, v9, vcc_lo
	v_cmp_eq_u32_e32 vcc_lo, 0, v29
	s_delay_alu instid0(VALU_DEP_2) | instskip(SKIP_2) | instid1(VALU_DEP_1)
	v_lshlrev_b32_e32 v10, 2, v9
	s_wait_dscnt 0x0
	v_max_num_f32_e32 v1, v1, v1
	v_max_num_f32_e32 v1, v8, v1
	ds_bpermute_b32 v8, v7, v1
	s_wait_dscnt 0x0
	v_max_num_f32_e32 v8, v8, v8
	s_delay_alu instid0(VALU_DEP_1)
	v_dual_max_num_f32 v1, v1, v8 :: v_dual_lshlrev_b32 v8, 2, v27
	ds_bpermute_b32 v9, v10, v1
	s_and_saveexec_b32 s0, vcc_lo
	s_cbranch_execz .LBB150_15
; %bb.14:
	s_wait_dscnt 0x0
	v_max_num_f32_e32 v9, v9, v9
	v_max_num_f32_e32 v1, v1, v1
	s_delay_alu instid0(VALU_DEP_1)
	v_max_num_f32_e32 v1, v1, v9
	ds_store_b32 v8, v1 offset:256
.LBB150_15:
	s_or_b32 exec_lo, exec_lo, s0
	v_cmp_gt_u32_e64 s0, 4, v29
	v_mov_b32_e32 v1, 0xff7fffff
	s_wait_dscnt 0x0
	v_lshlrev_b32_e32 v9, 2, v29
	s_wait_loadcnt 0x0
	s_barrier_signal -1
	s_barrier_wait -1
	global_inv scope:SCOPE_SE
	s_and_saveexec_b32 s1, s0
; %bb.16:
	ds_load_b32 v1, v9 offset:256
; %bb.17:
	s_or_b32 exec_lo, exec_lo, s1
	v_xor_b32_e32 v11, 2, v4
	v_xor_b32_e32 v13, 1, v4
	v_lshlrev_b32_e32 v5, 2, v5
	s_delay_alu instid0(VALU_DEP_3) | instskip(NEXT) | instid1(VALU_DEP_1)
	v_cmp_lt_i32_e64 s1, v11, v6
	v_cndmask_b32_e64 v11, v4, v11, s1
	s_delay_alu instid0(VALU_DEP_4) | instskip(NEXT) | instid1(VALU_DEP_2)
	v_cmp_lt_i32_e64 s1, v13, v6
	v_lshlrev_b32_e32 v11, 2, v11
	s_wait_alu 0xf1ff
	s_delay_alu instid0(VALU_DEP_2)
	v_cndmask_b32_e64 v6, v4, v13, s1
	s_sub_co_i32 s1, s17, s30
	s_wait_alu 0xfffe
	s_lshl_b32 s1, s1, 3
	s_wait_dscnt 0x0
	ds_bpermute_b32 v12, v11, v1
	v_dual_max_num_f32 v1, v1, v1 :: v_dual_lshlrev_b32 v6, 2, v6
	s_wait_alu 0xfffe
	s_add_co_i32 s1, s1, s26
	s_wait_alu 0xfffe
	s_min_i32 s1, s1, s25
	s_wait_alu 0xfffe
	s_sub_co_i32 s5, s1, s26
	s_wait_alu 0xfffe
	v_cmp_gt_i32_e64 s1, s5, v0
	s_wait_dscnt 0x0
	v_max_num_f32_e32 v12, v12, v12
	s_delay_alu instid0(VALU_DEP_1) | instskip(SKIP_3) | instid1(VALU_DEP_1)
	v_max_num_f32_e32 v1, v1, v12
	ds_bpermute_b32 v12, v6, v1
	s_wait_dscnt 0x0
	v_max_num_f32_e32 v12, v12, v12
	v_dual_max_num_f32 v1, v1, v12 :: v_dual_mov_b32 v12, 0
	ds_bpermute_b32 v1, v5, v1
	v_lshl_add_u32 v5, v0, 2, 0x120
	s_and_saveexec_b32 s15, s1
	s_cbranch_execz .LBB150_21
; %bb.18:
	v_lshl_add_u32 v13, v0, 2, 0x120
	v_mov_b32_e32 v12, 0
	v_mov_b32_e32 v14, v0
	s_mov_b32 s30, 0
.LBB150_19:                             ; =>This Inner Loop Header: Depth=1
	ds_load_b32 v15, v13
	v_add_nc_u32_e32 v14, 0x80, v14
	s_delay_alu instid0(VALU_DEP_1) | instskip(SKIP_4) | instid1(VALU_DEP_1)
	v_cmp_le_i32_e64 s4, s5, v14
	s_wait_alu 0xfffe
	s_or_b32 s30, s4, s30
	s_wait_dscnt 0x0
	v_sub_f32_e32 v15, v15, v1
	v_mul_f32_e32 v15, 0x3fb8aa3b, v15
	s_delay_alu instid0(VALU_DEP_1)
	v_exp_f32_e32 v15, v15
	ds_store_b32 v13, v15
	v_dual_add_f32 v12, v12, v15 :: v_dual_add_nc_u32 v13, 0x200, v13
	s_wait_alu 0xfffe
	s_and_not1_b32 exec_lo, exec_lo, s30
	s_cbranch_execnz .LBB150_19
; %bb.20:
	s_or_b32 exec_lo, exec_lo, s30
.LBB150_21:
	s_wait_alu 0xfffe
	s_or_b32 exec_lo, exec_lo, s15
	ds_bpermute_b32 v2, v2, v12
	s_wait_dscnt 0x0
	v_add_f32_e32 v2, v12, v2
	ds_bpermute_b32 v7, v7, v2
	s_wait_dscnt 0x0
	v_add_f32_e32 v2, v2, v7
	;; [unrolled: 3-line block ×5, first 2 shown]
	s_and_saveexec_b32 s4, vcc_lo
; %bb.22:
	ds_store_b32 v8, v2 offset:272
; %bb.23:
	s_wait_alu 0xfffe
	s_or_b32 exec_lo, exec_lo, s4
	s_wait_loadcnt_dscnt 0x0
	s_barrier_signal -1
	s_barrier_wait -1
	global_inv scope:SCOPE_SE
	s_and_saveexec_b32 s4, s0
; %bb.24:
	ds_load_b32 v2, v9 offset:272
; %bb.25:
	s_wait_alu 0xfffe
	s_or_b32 exec_lo, exec_lo, s4
	s_wait_dscnt 0x0
	ds_bpermute_b32 v7, v11, v2
	v_lshlrev_b32_e32 v4, 2, v4
	s_delay_alu instid0(VALU_DEP_1)
	v_and_b32_e32 v4, 0xffffff80, v4
	s_wait_dscnt 0x0
	v_add_f32_e32 v2, v2, v7
	ds_bpermute_b32 v6, v6, v2
	s_wait_dscnt 0x0
	v_add_f32_e32 v2, v2, v6
	ds_bpermute_b32 v2, v4, v2
	s_and_saveexec_b32 s0, s1
	s_cbranch_execz .LBB150_28
; %bb.26:
	s_wait_dscnt 0x0
	v_add_f32_e32 v4, 0x358637bd, v2
	s_mov_b32 s1, 0
	s_delay_alu instid0(VALU_DEP_1) | instskip(NEXT) | instid1(VALU_DEP_1)
	v_div_scale_f32 v6, null, v4, v4, 1.0
	v_rcp_f32_e32 v7, v6
	s_delay_alu instid0(TRANS32_DEP_1) | instskip(NEXT) | instid1(VALU_DEP_1)
	v_fma_f32 v8, -v6, v7, 1.0
	v_fmac_f32_e32 v7, v8, v7
	v_div_scale_f32 v9, vcc_lo, 1.0, v4, 1.0
	s_delay_alu instid0(VALU_DEP_1) | instskip(NEXT) | instid1(VALU_DEP_1)
	v_mul_f32_e32 v8, v9, v7
	v_fma_f32 v10, -v6, v8, v9
	s_delay_alu instid0(VALU_DEP_1) | instskip(NEXT) | instid1(VALU_DEP_1)
	v_fmac_f32_e32 v8, v10, v7
	v_fma_f32 v6, -v6, v8, v9
	s_wait_alu 0xfffd
	s_delay_alu instid0(VALU_DEP_1) | instskip(NEXT) | instid1(VALU_DEP_1)
	v_div_fmas_f32 v6, v6, v7, v8
	v_div_fixup_f32 v4, v6, v4, 1.0
	v_mov_b32_e32 v6, v0
.LBB150_27:                             ; =>This Inner Loop Header: Depth=1
	ds_load_b32 v7, v5
	s_wait_dscnt 0x0
	v_dual_mul_f32 v7, v4, v7 :: v_dual_add_nc_u32 v6, 0x80, v6
	s_delay_alu instid0(VALU_DEP_1)
	v_cmp_le_i32_e32 vcc_lo, s5, v6
	ds_store_b32 v5, v7
	v_add_nc_u32_e32 v5, 0x200, v5
	s_wait_alu 0xfffe
	s_or_b32 s1, vcc_lo, s1
	s_wait_alu 0xfffe
	s_and_not1_b32 exec_lo, exec_lo, s1
	s_cbranch_execnz .LBB150_27
.LBB150_28:
	s_wait_alu 0xfffe
	s_or_b32 exec_lo, exec_lo, s0
	s_wait_kmcnt 0x0
	s_mul_i32 s0, s12, s27
	s_wait_loadcnt_dscnt 0x0
	s_wait_alu 0xfffe
	s_mul_i32 s4, s0, s28
	s_mov_b32 s0, exec_lo
	s_barrier_signal -1
	s_barrier_wait -1
	global_inv scope:SCOPE_SE
	v_cmpx_eq_u32_e32 0, v0
	s_cbranch_execz .LBB150_30
; %bb.29:
	s_wait_alu 0xfffe
	s_ashr_i32 s5, s4, 31
	s_mul_i32 s30, s12, ttmp9
	s_lshl_b32 s1, s24, 2
	s_wait_alu 0xfffe
	s_lshl_b64 s[34:35], s[4:5], 2
	s_ashr_i32 s31, s30, 31
	v_mov_b32_e32 v4, s1
	s_add_nc_u64 s[10:11], s[10:11], s[34:35]
	s_wait_alu 0xfffe
	s_lshl_b64 s[30:31], s[30:31], 2
	s_add_nc_u64 s[8:9], s[8:9], s[34:35]
	s_wait_alu 0xfffe
	s_add_nc_u64 s[10:11], s[10:11], s[30:31]
	s_add_nc_u64 s[8:9], s[8:9], s[30:31]
	s_clause 0x1
	global_store_b32 v4, v1, s[10:11]
	global_store_b32 v4, v2, s[8:9]
.LBB150_30:
	s_wait_alu 0xfffe
	s_or_b32 exec_lo, exec_lo, s0
	v_dual_mov_b32 v33, 0 :: v_dual_mov_b32 v32, 0
	v_dual_mov_b32 v31, 0 :: v_dual_mov_b32 v30, 0
	s_and_saveexec_b32 s1, s3
	s_cbranch_execz .LBB150_42
; %bb.31:
	s_ashr_i32 s15, s14, 31
	v_dual_mov_b32 v30, 0 :: v_dual_lshlrev_b32 v1, 4, v29
	s_wait_alu 0xfffe
	s_lshl_b64 s[8:9], s[14:15], 1
	v_lshl_add_u32 v36, v27, 3, s26
	s_add_nc_u64 s[8:9], s[22:23], s[8:9]
	v_lshl_add_u32 v37, v27, 5, 0x120
	v_add_co_u32 v34, s0, s8, v1
	s_wait_alu 0xf1ff
	v_add_co_ci_u32_e64 v35, null, s9, 0, s0
	s_lshl_b64 s[8:9], s[18:19], 2
	v_dual_mov_b32 v31, 0 :: v_dual_mov_b32 v32, 0
	s_wait_alu 0xfffe
	s_add_nc_u64 s[8:9], s[20:21], s[8:9]
	v_mov_b32_e32 v33, 0
	s_wait_alu 0xfffe
	v_add_co_u32 v25, s0, s8, v3
	s_wait_alu 0xf1ff
	v_add_co_ci_u32_e64 v26, null, s9, 0, s0
	s_mov_b32 s3, s13
	s_add_co_i32 s5, s29, -1
	s_mov_b32 s9, s25
	s_mov_b32 s8, 0
	s_branch .LBB150_33
.LBB150_32:                             ;   in Loop: Header=BB150_33 Depth=1
	s_wait_alu 0xfffe
	s_or_b32 exec_lo, exec_lo, s0
	s_wait_dscnt 0x1
	v_bfe_u32 v38, v17, 16, 1
	v_bfe_u32 v39, v18, 16, 1
	v_or_b32_e32 v40, 0x400000, v17
	v_cmp_u_f32_e32 vcc_lo, v17, v17
	v_or_b32_e32 v41, 0x400000, v18
	v_add3_u32 v38, v38, v17, 0x7fff
	v_bfe_u32 v42, v19, 16, 1
	v_add3_u32 v39, v39, v18, 0x7fff
	v_bfe_u32 v43, v20, 16, 1
	v_add_co_u32 v25, s0, v25, 16
	s_wait_alu 0xfffd
	v_cndmask_b32_e32 v17, v38, v40, vcc_lo
	v_cmp_u_f32_e32 vcc_lo, v18, v18
	v_add3_u32 v38, v42, v19, 0x7fff
	v_add3_u32 v40, v43, v20, 0x7fff
	s_wait_dscnt 0x0
	v_bfe_u32 v42, v13, 16, 1
	v_add_nc_u32_e32 v36, 32, v36
	s_wait_alu 0xfffd
	v_cndmask_b32_e32 v18, v39, v41, vcc_lo
	v_or_b32_e32 v39, 0x400000, v19
	v_cmp_u_f32_e32 vcc_lo, v19, v19
	v_or_b32_e32 v41, 0x400000, v20
	s_wait_alu 0xf1ff
	v_add_co_ci_u32_e64 v26, null, 0, v26, s0
	v_add_nc_u32_e32 v37, 0x80, v37
	s_wait_alu 0xfffd
	v_cndmask_b32_e32 v19, v38, v39, vcc_lo
	v_cmp_u_f32_e32 vcc_lo, v20, v20
	v_bfe_u32 v38, v14, 16, 1
	v_add3_u32 v39, v42, v13, 0x7fff
	v_bfe_u32 v42, v15, 16, 1
	s_wait_alu 0xfffd
	v_cndmask_b32_e32 v20, v40, v41, vcc_lo
	v_or_b32_e32 v40, 0x400000, v13
	v_cmp_u_f32_e32 vcc_lo, v13, v13
	v_add3_u32 v38, v38, v14, 0x7fff
	v_or_b32_e32 v41, 0x400000, v14
	v_and_b32_e32 v20, 0xffff0000, v20
	s_wait_alu 0xfffd
	v_cndmask_b32_e32 v13, v39, v40, vcc_lo
	v_cmp_u_f32_e32 vcc_lo, v14, v14
	v_bfe_u32 v39, v16, 16, 1
	s_wait_loadcnt 0x1
	v_and_b32_e32 v40, 0xffff0000, v21
	v_and_b32_e32 v17, 0xffff0000, v17
	s_wait_alu 0xfffd
	v_cndmask_b32_e32 v14, v38, v41, vcc_lo
	v_add3_u32 v38, v42, v15, 0x7fff
	v_or_b32_e32 v41, 0x400000, v15
	v_cmp_u_f32_e32 vcc_lo, v15, v15
	v_add3_u32 v39, v39, v16, 0x7fff
	v_or_b32_e32 v42, 0x400000, v16
	v_and_b32_e32 v13, 0xffff0000, v13
	s_wait_alu 0xfffd
	v_cndmask_b32_e32 v15, v38, v41, vcc_lo
	v_cmp_u_f32_e32 vcc_lo, v16, v16
	s_wait_alu 0xfffd
	v_dual_cndmask_b32 v16, v39, v42 :: v_dual_lshlrev_b32 v21, 16, v21
	s_delay_alu instid0(VALU_DEP_1) | instskip(NEXT) | instid1(VALU_DEP_1)
	v_dual_mul_f32 v21, v17, v21 :: v_dual_and_b32 v18, 0xffff0000, v18
	v_mul_f32_e32 v40, v18, v40
	s_delay_alu instid0(VALU_DEP_2) | instskip(SKIP_1) | instid1(VALU_DEP_3)
	v_bfe_u32 v39, v21, 16, 1
	v_or_b32_e32 v43, 0x400000, v21
	v_bfe_u32 v38, v40, 16, 1
	v_or_b32_e32 v42, 0x400000, v40
	v_cmp_u_f32_e32 vcc_lo, v40, v40
	v_add3_u32 v39, v39, v21, 0x7fff
	s_delay_alu instid0(VALU_DEP_4)
	v_add3_u32 v38, v38, v40, 0x7fff
	v_and_b32_e32 v40, 0xffff0000, v23
	v_lshlrev_b32_e32 v23, 16, v23
	v_and_b32_e32 v14, 0xffff0000, v14
	v_and_b32_e32 v41, 0xffff0000, v22
	s_wait_alu 0xfffd
	v_dual_cndmask_b32 v38, v38, v42 :: v_dual_and_b32 v19, 0xffff0000, v19
	v_lshlrev_b32_e32 v22, 16, v22
	v_cmp_u_f32_e32 vcc_lo, v21, v21
	v_dual_mul_f32 v40, v14, v40 :: v_dual_mul_f32 v41, v20, v41
	s_delay_alu instid0(VALU_DEP_3) | instskip(SKIP_2) | instid1(VALU_DEP_3)
	v_mul_f32_e32 v22, v19, v22
	s_wait_alu 0xfffd
	v_cndmask_b32_e32 v21, v39, v43, vcc_lo
	v_bfe_u32 v39, v41, 16, 1
	v_or_b32_e32 v42, 0x400000, v41
	v_bfe_u32 v43, v22, 16, 1
	v_cmp_u_f32_e32 vcc_lo, v41, v41
	s_delay_alu instid0(VALU_DEP_4) | instskip(NEXT) | instid1(VALU_DEP_3)
	v_add3_u32 v39, v39, v41, 0x7fff
	v_add3_u32 v41, v43, v22, 0x7fff
	v_bfe_u32 v43, v40, 16, 1
	s_wait_alu 0xfffd
	s_delay_alu instid0(VALU_DEP_3) | instskip(SKIP_3) | instid1(VALU_DEP_2)
	v_cndmask_b32_e32 v39, v39, v42, vcc_lo
	v_or_b32_e32 v42, 0x400000, v22
	v_cmp_u_f32_e32 vcc_lo, v22, v22
	s_wait_alu 0xfffd
	v_dual_cndmask_b32 v22, v41, v42 :: v_dual_and_b32 v39, 0xffff0000, v39
	v_mul_f32_e32 v23, v13, v23
	v_add3_u32 v41, v43, v40, 0x7fff
	v_or_b32_e32 v42, 0x400000, v40
	v_cmp_u_f32_e32 vcc_lo, v40, v40
	v_and_b32_e32 v45, 0xffff0000, v24
	v_bfe_u32 v44, v23, 16, 1
	v_and_b32_e32 v22, 0xffff0000, v22
	s_wait_alu 0xfffd
	v_dual_cndmask_b32 v40, v41, v42 :: v_dual_and_b32 v21, 0xffff0000, v21
	v_cmp_u_f32_e32 vcc_lo, v23, v23
	v_add3_u32 v44, v44, v23, 0x7fff
	v_and_b32_e32 v16, 0xffff0000, v16
	v_add_f32_e32 v22, v22, v39
	v_and_b32_e32 v38, 0xffff0000, v38
	s_delay_alu instid0(VALU_DEP_3) | instskip(SKIP_1) | instid1(VALU_DEP_3)
	v_dual_mul_f32 v43, v16, v45 :: v_dual_lshlrev_b32 v24, 16, v24
	v_or_b32_e32 v45, 0x400000, v23
	v_dual_add_f32 v21, v21, v38 :: v_dual_and_b32 v38, 0xffff0000, v40
	s_delay_alu instid0(VALU_DEP_3) | instskip(SKIP_1) | instid1(VALU_DEP_3)
	v_bfe_u32 v46, v43, 16, 1
	s_wait_alu 0xfffd
	v_cndmask_b32_e32 v23, v44, v45, vcc_lo
	v_or_b32_e32 v42, 0x400000, v43
	v_cmp_u_f32_e32 vcc_lo, v43, v43
	v_add_f32_e32 v21, v22, v21
	v_add3_u32 v41, v46, v43, 0x7fff
	v_and_b32_e32 v23, 0xffff0000, v23
	v_and_b32_e32 v15, 0xffff0000, v15
	s_wait_alu 0xfffd
	s_delay_alu instid0(VALU_DEP_3) | instskip(NEXT) | instid1(VALU_DEP_3)
	v_cndmask_b32_e32 v41, v41, v42, vcc_lo
	v_add_f32_e32 v22, v23, v38
	s_delay_alu instid0(VALU_DEP_1) | instskip(NEXT) | instid1(VALU_DEP_1)
	v_dual_mul_f32 v24, v15, v24 :: v_dual_add_f32 v21, v22, v21
	v_bfe_u32 v44, v24, 16, 1
	v_or_b32_e32 v43, 0x400000, v24
	v_cmp_u_f32_e32 vcc_lo, v24, v24
	s_delay_alu instid0(VALU_DEP_3) | instskip(SKIP_1) | instid1(VALU_DEP_1)
	v_add3_u32 v42, v44, v24, 0x7fff
	s_wait_alu 0xfffd
	v_dual_cndmask_b32 v24, v42, v43 :: v_dual_and_b32 v39, 0xffff0000, v9
	s_delay_alu instid0(VALU_DEP_1)
	v_mul_f32_e32 v23, v18, v39
	v_and_b32_e32 v39, 0xffff0000, v10
	v_lshlrev_b32_e32 v9, 16, v9
	v_lshlrev_b32_e32 v10, 16, v10
	v_and_b32_e32 v24, 0xffff0000, v24
	v_cmp_u_f32_e32 vcc_lo, v23, v23
	v_and_b32_e32 v38, 0xffff0000, v41
	v_bfe_u32 v40, v23, 16, 1
	v_mul_f32_e32 v10, v19, v10
	s_delay_alu instid0(VALU_DEP_3) | instskip(SKIP_1) | instid1(VALU_DEP_4)
	v_add_f32_e32 v24, v24, v38
	v_dual_mul_f32 v38, v20, v39 :: v_dual_mul_f32 v9, v17, v9
	v_add3_u32 v39, v40, v23, 0x7fff
	v_or_b32_e32 v40, 0x400000, v23
	s_delay_alu instid0(VALU_DEP_3) | instskip(NEXT) | instid1(VALU_DEP_4)
	v_bfe_u32 v42, v38, 16, 1
	v_bfe_u32 v22, v9, 16, 1
	v_or_b32_e32 v41, 0x400000, v9
	s_wait_alu 0xfffd
	v_cndmask_b32_e32 v23, v39, v40, vcc_lo
	v_cmp_u_f32_e32 vcc_lo, v9, v9
	v_and_b32_e32 v40, 0xffff0000, v11
	v_add3_u32 v22, v22, v9, 0x7fff
	v_or_b32_e32 v39, 0x400000, v38
	s_wait_alu 0xfffd
	s_delay_alu instid0(VALU_DEP_2)
	v_cndmask_b32_e32 v9, v22, v41, vcc_lo
	v_add3_u32 v22, v42, v38, 0x7fff
	v_bfe_u32 v41, v10, 16, 1
	v_cmp_u_f32_e32 vcc_lo, v38, v38
	v_mul_f32_e32 v38, v14, v40
	v_or_b32_e32 v40, 0x400000, v10
	s_wait_alu 0xfffd
	v_cndmask_b32_e32 v22, v22, v39, vcc_lo
	v_add3_u32 v39, v41, v10, 0x7fff
	v_and_b32_e32 v41, 0xffff0000, v12
	v_bfe_u32 v42, v38, 16, 1
	v_cmp_u_f32_e32 vcc_lo, v10, v10
	v_lshlrev_b32_e32 v11, 16, v11
	v_lshlrev_b32_e32 v12, 16, v12
	v_and_b32_e32 v22, 0xffff0000, v22
	s_wait_alu 0xfffd
	v_dual_cndmask_b32 v10, v39, v40 :: v_dual_mul_f32 v39, v16, v41
	v_add3_u32 v40, v42, v38, 0x7fff
	v_or_b32_e32 v41, 0x400000, v38
	v_cmp_u_f32_e32 vcc_lo, v38, v38
	v_mul_f32_e32 v11, v13, v11
	v_bfe_u32 v44, v39, 16, 1
	v_mul_f32_e32 v12, v15, v12
	s_wait_alu 0xfffd
	v_cndmask_b32_e32 v38, v40, v41, vcc_lo
	v_bfe_u32 v43, v11, 16, 1
	v_cmp_u_f32_e32 vcc_lo, v11, v11
	v_add3_u32 v40, v44, v39, 0x7fff
	v_or_b32_e32 v41, 0x400000, v39
	s_delay_alu instid0(VALU_DEP_4) | instskip(SKIP_2) | instid1(VALU_DEP_1)
	v_add3_u32 v42, v43, v11, 0x7fff
	v_or_b32_e32 v43, 0x400000, v11
	s_wait_alu 0xfffd
	v_cndmask_b32_e32 v11, v42, v43, vcc_lo
	v_cmp_u_f32_e32 vcc_lo, v39, v39
	s_wait_alu 0xfffd
	v_dual_cndmask_b32 v39, v40, v41 :: v_dual_and_b32 v10, 0xffff0000, v10
	s_delay_alu instid0(VALU_DEP_1) | instskip(SKIP_4) | instid1(VALU_DEP_2)
	v_dual_add_f32 v10, v10, v22 :: v_dual_and_b32 v9, 0xffff0000, v9
	v_bfe_u32 v40, v12, 16, 1
	v_and_b32_e32 v22, 0xffff0000, v1
	v_and_b32_e32 v23, 0xffff0000, v23
	v_cmp_u_f32_e32 vcc_lo, v12, v12
	v_add_f32_e32 v9, v9, v23
	v_and_b32_e32 v23, 0xffff0000, v38
	v_add3_u32 v38, v40, v12, 0x7fff
	v_or_b32_e32 v40, 0x400000, v12
	s_wait_alu 0xfffd
	s_delay_alu instid0(VALU_DEP_1) | instskip(SKIP_1) | instid1(VALU_DEP_2)
	v_dual_cndmask_b32 v12, v38, v40 :: v_dual_and_b32 v11, 0xffff0000, v11
	v_add_f32_e32 v9, v10, v9
	v_dual_add_f32 v11, v11, v23 :: v_dual_mul_f32 v10, v18, v22
	v_and_b32_e32 v38, 0xffff0000, v39
	s_delay_alu instid0(VALU_DEP_2) | instskip(NEXT) | instid1(VALU_DEP_3)
	v_dual_add_f32 v9, v11, v9 :: v_dual_and_b32 v12, 0xffff0000, v12
	v_bfe_u32 v22, v10, 16, 1
	v_or_b32_e32 v23, 0x400000, v10
	v_cmp_u_f32_e32 vcc_lo, v10, v10
	v_and_b32_e32 v11, 0xffff0000, v2
	v_lshlrev_b32_e32 v2, 16, v2
	v_add3_u32 v22, v22, v10, 0x7fff
	v_lshlrev_b32_e32 v1, 16, v1
	s_delay_alu instid0(VALU_DEP_3) | instskip(SKIP_1) | instid1(VALU_DEP_2)
	v_dual_mul_f32 v11, v20, v11 :: v_dual_mul_f32 v2, v19, v2
	s_wait_alu 0xfffd
	v_dual_cndmask_b32 v10, v22, v23 :: v_dual_mul_f32 v1, v17, v1
	s_delay_alu instid0(VALU_DEP_2) | instskip(SKIP_1) | instid1(VALU_DEP_3)
	v_bfe_u32 v22, v11, 16, 1
	v_or_b32_e32 v41, 0x400000, v11
	v_and_b32_e32 v10, 0xffff0000, v10
	s_delay_alu instid0(VALU_DEP_4) | instskip(SKIP_3) | instid1(VALU_DEP_4)
	v_bfe_u32 v39, v1, 16, 1
	v_or_b32_e32 v40, 0x400000, v1
	v_cmp_u_f32_e32 vcc_lo, v1, v1
	v_add3_u32 v22, v22, v11, 0x7fff
	v_add3_u32 v23, v39, v1, 0x7fff
	v_and_b32_e32 v39, 0xffff0000, v3
	s_wait_alu 0xfffd
	s_delay_alu instid0(VALU_DEP_2)
	v_cndmask_b32_e32 v1, v23, v40, vcc_lo
	v_bfe_u32 v23, v2, 16, 1
	v_cmp_u_f32_e32 vcc_lo, v11, v11
	v_dual_mul_f32 v39, v14, v39 :: v_dual_and_b32 v40, 0xffff0000, v4
	v_lshlrev_b32_e32 v4, 16, v4
	v_lshlrev_b32_e32 v3, 16, v3
	s_wait_alu 0xfffd
	v_cndmask_b32_e32 v11, v22, v41, vcc_lo
	v_add3_u32 v23, v23, v2, 0x7fff
	v_or_b32_e32 v41, 0x400000, v2
	v_cmp_u_f32_e32 vcc_lo, v2, v2
	v_bfe_u32 v22, v39, 16, 1
	v_mul_f32_e32 v4, v15, v4
	v_mul_f32_e32 v40, v16, v40
	v_or_b32_e32 v42, 0x400000, v39
	s_wait_alu 0xfffd
	v_dual_cndmask_b32 v2, v23, v41 :: v_dual_mul_f32 v3, v13, v3
	v_add3_u32 v22, v22, v39, 0x7fff
	v_cmp_u_f32_e32 vcc_lo, v39, v39
	v_bfe_u32 v41, v40, 16, 1
	s_delay_alu instid0(VALU_DEP_4)
	v_and_b32_e32 v2, 0xffff0000, v2
	v_bfe_u32 v23, v3, 16, 1
	v_or_b32_e32 v39, 0x400000, v3
	s_wait_alu 0xfffd
	v_cndmask_b32_e32 v22, v22, v42, vcc_lo
	v_cmp_u_f32_e32 vcc_lo, v3, v3
	v_add3_u32 v41, v41, v40, 0x7fff
	v_add3_u32 v23, v23, v3, 0x7fff
	v_or_b32_e32 v42, 0x400000, v40
	v_and_b32_e32 v11, 0xffff0000, v11
	s_wait_alu 0xfffd
	s_delay_alu instid0(VALU_DEP_3)
	v_cndmask_b32_e32 v3, v23, v39, vcc_lo
	v_cmp_u_f32_e32 vcc_lo, v40, v40
	v_bfe_u32 v39, v4, 16, 1
	v_or_b32_e32 v40, 0x400000, v4
	s_wait_alu 0xfffd
	v_cndmask_b32_e32 v23, v41, v42, vcc_lo
	s_delay_alu instid0(VALU_DEP_3) | instskip(SKIP_2) | instid1(VALU_DEP_2)
	v_add3_u32 v39, v39, v4, 0x7fff
	v_cmp_u_f32_e32 vcc_lo, v4, v4
	s_wait_alu 0xfffd
	v_dual_cndmask_b32 v4, v39, v40 :: v_dual_and_b32 v1, 0xffff0000, v1
	s_delay_alu instid0(VALU_DEP_1) | instskip(SKIP_2) | instid1(VALU_DEP_1)
	v_add_f32_e32 v1, v1, v10
	v_and_b32_e32 v10, 0xffff0000, v22
	v_and_b32_e32 v3, 0xffff0000, v3
	v_dual_add_f32 v3, v3, v10 :: v_dual_and_b32 v4, 0xffff0000, v4
	s_wait_loadcnt 0x0
	v_lshlrev_b32_e32 v10, 16, v6
	v_and_b32_e32 v6, 0xffff0000, v6
	s_delay_alu instid0(VALU_DEP_2) | instskip(SKIP_2) | instid1(VALU_DEP_4)
	v_dual_mul_f32 v10, v19, v10 :: v_dual_lshlrev_b32 v41, 16, v5
	v_add_f32_e32 v2, v2, v11
	v_lshlrev_b32_e32 v19, 16, v7
	v_dual_mul_f32 v6, v20, v6 :: v_dual_and_b32 v7, 0xffff0000, v7
	s_delay_alu instid0(VALU_DEP_4) | instskip(NEXT) | instid1(VALU_DEP_4)
	v_mul_f32_e32 v11, v17, v41
	v_add_f32_e32 v1, v2, v1
	s_delay_alu instid0(VALU_DEP_3) | instskip(SKIP_1) | instid1(VALU_DEP_4)
	v_dual_mul_f32 v7, v14, v7 :: v_dual_lshlrev_b32 v14, 16, v8
	v_and_b32_e32 v5, 0xffff0000, v5
	v_bfe_u32 v2, v11, 16, 1
	v_and_b32_e32 v8, 0xffff0000, v8
	v_or_b32_e32 v17, 0x400000, v11
	s_delay_alu instid0(VALU_DEP_4) | instskip(NEXT) | instid1(VALU_DEP_4)
	v_dual_mul_f32 v14, v15, v14 :: v_dual_mul_f32 v5, v18, v5
	v_add3_u32 v2, v2, v11, 0x7fff
	v_cmp_u_f32_e32 vcc_lo, v11, v11
	v_mul_f32_e32 v8, v16, v8
	s_delay_alu instid0(VALU_DEP_4)
	v_bfe_u32 v18, v5, 16, 1
	s_wait_alu 0xfffd
	v_cndmask_b32_e32 v2, v2, v17, vcc_lo
	v_or_b32_e32 v17, 0x400000, v5
	v_cmp_u_f32_e32 vcc_lo, v5, v5
	v_add3_u32 v11, v18, v5, 0x7fff
	v_bfe_u32 v18, v10, 16, 1
	v_and_b32_e32 v2, 0xffff0000, v2
	v_or_b32_e32 v16, 0x400000, v7
	s_wait_alu 0xfffd
	v_cndmask_b32_e32 v5, v11, v17, vcc_lo
	v_add3_u32 v11, v18, v10, 0x7fff
	v_or_b32_e32 v17, 0x400000, v10
	v_bfe_u32 v18, v6, 16, 1
	v_cmp_u_f32_e32 vcc_lo, v10, v10
	v_and_b32_e32 v5, 0xffff0000, v5
	s_wait_alu 0xfffd
	v_cndmask_b32_e32 v10, v11, v17, vcc_lo
	v_add3_u32 v11, v18, v6, 0x7fff
	v_or_b32_e32 v17, 0x400000, v6
	v_cmp_u_f32_e32 vcc_lo, v6, v6
	v_mul_f32_e32 v13, v13, v19
	v_bfe_u32 v19, v8, 16, 1
	v_and_b32_e32 v10, 0xffff0000, v10
	v_add_f32_e32 v2, v2, v5
	s_wait_alu 0xfffd
	v_cndmask_b32_e32 v6, v11, v17, vcc_lo
	v_bfe_u32 v18, v13, 16, 1
	v_bfe_u32 v11, v7, 16, 1
	v_or_b32_e32 v15, 0x400000, v13
	v_cmp_u_f32_e32 vcc_lo, v13, v13
	v_and_b32_e32 v6, 0xffff0000, v6
	v_add3_u32 v17, v18, v13, 0x7fff
	v_add3_u32 v11, v11, v7, 0x7fff
	v_bfe_u32 v18, v14, 16, 1
	s_wait_alu 0xfffd
	s_delay_alu instid0(VALU_DEP_3)
	v_cndmask_b32_e32 v13, v17, v15, vcc_lo
	v_cmp_u_f32_e32 vcc_lo, v7, v7
	v_add3_u32 v15, v19, v8, 0x7fff
	v_or_b32_e32 v17, 0x400000, v14
	s_wait_alu 0xfffd
	v_cndmask_b32_e32 v7, v11, v16, vcc_lo
	v_or_b32_e32 v16, 0x400000, v8
	v_cmp_u_f32_e32 vcc_lo, v8, v8
	v_add3_u32 v11, v18, v14, 0x7fff
	s_delay_alu instid0(VALU_DEP_4)
	v_dual_add_f32 v5, v10, v6 :: v_dual_and_b32 v6, 0xffff0000, v7
	s_wait_alu 0xfffd
	v_cndmask_b32_e32 v8, v15, v16, vcc_lo
	v_cmp_u_f32_e32 vcc_lo, v14, v14
	s_wait_alu 0xfffd
	v_dual_cndmask_b32 v10, v11, v17 :: v_dual_and_b32 v11, 0xffff0000, v23
	v_dual_add_f32 v2, v5, v2 :: v_dual_and_b32 v7, 0xffff0000, v13
	s_delay_alu instid0(VALU_DEP_1) | instskip(SKIP_1) | instid1(VALU_DEP_4)
	v_dual_add_f32 v5, v7, v6 :: v_dual_and_b32 v6, 0xffff0000, v8
	v_dual_add_f32 v8, v12, v38 :: v_dual_add_f32 v1, v3, v1
	v_add_f32_e32 v3, v4, v11
	v_and_b32_e32 v7, 0xffff0000, v10
	s_delay_alu instid0(VALU_DEP_4) | instskip(NEXT) | instid1(VALU_DEP_2)
	v_dual_add_f32 v2, v5, v2 :: v_dual_add_f32 v5, v24, v21
	v_add_f32_e32 v4, v7, v6
	s_delay_alu instid0(VALU_DEP_4) | instskip(SKIP_1) | instid1(VALU_DEP_3)
	v_add_f32_e32 v1, v3, v1
	v_add_f32_e32 v6, v8, v9
	v_dual_add_f32 v31, v31, v5 :: v_dual_add_f32 v2, v4, v2
	s_delay_alu instid0(VALU_DEP_3) | instskip(NEXT) | instid1(VALU_DEP_3)
	v_dual_add_f32 v33, v33, v1 :: v_dual_add_nc_u32 v28, 4, v28
	v_add_f32_e32 v32, v32, v6
	s_delay_alu instid0(VALU_DEP_3) | instskip(NEXT) | instid1(VALU_DEP_3)
	v_add_f32_e32 v30, v30, v2
	v_cmp_le_i32_e32 vcc_lo, s17, v28
	s_or_b32 s8, vcc_lo, s8
	s_wait_alu 0xfffe
	s_and_not1_b32 exec_lo, exec_lo, s8
	s_cbranch_execz .LBB150_41
.LBB150_33:                             ; =>This Inner Loop Header: Depth=1
	global_load_b32 v1, v[25:26], off
	v_add_nc_u32_e32 v43, 1, v36
	v_or_b32_e32 v42, 3, v36
	v_or_b32_e32 v44, 2, v36
	v_or_b32_e32 v39, 5, v36
	v_or_b32_e32 v41, 4, v36
	v_or_b32_e32 v38, 7, v36
	v_or_b32_e32 v40, 6, v36
	s_wait_loadcnt 0x0
	s_wait_alu 0xfffe
	v_mad_co_i64_i32 v[1:2], null, v1, s3, 0
	s_delay_alu instid0(VALU_DEP_1) | instskip(NEXT) | instid1(VALU_DEP_1)
	v_lshlrev_b64_e32 v[1:2], 1, v[1:2]
	v_add_co_u32 v5, vcc_lo, v34, v1
	s_wait_alu 0xfffd
	s_delay_alu instid0(VALU_DEP_2)
	v_add_co_ci_u32_e64 v6, null, v35, v2, vcc_lo
	v_cmp_eq_u32_e32 vcc_lo, s5, v28
	global_load_b128 v[1:4], v[5:6], off
	ds_load_2addr_b64 v[17:20], v37 offset1:1
	ds_load_2addr_b64 v[13:16], v37 offset0:2 offset1:3
	s_and_saveexec_b32 s10, vcc_lo
	s_cbranch_execnz .LBB150_37
; %bb.34:                               ;   in Loop: Header=BB150_33 Depth=1
	s_wait_alu 0xfffe
	s_or_b32 exec_lo, exec_lo, s10
	global_load_b128 v[9:12], v[5:6], off offset:512
	s_and_saveexec_b32 s10, vcc_lo
	s_cbranch_execnz .LBB150_38
.LBB150_35:                             ;   in Loop: Header=BB150_33 Depth=1
	s_wait_alu 0xfffe
	s_or_b32 exec_lo, exec_lo, s10
	global_load_b128 v[21:24], v[5:6], off offset:1024
	s_and_saveexec_b32 s10, vcc_lo
	s_cbranch_execnz .LBB150_39
.LBB150_36:                             ;   in Loop: Header=BB150_33 Depth=1
	s_wait_alu 0xfffe
	s_or_b32 exec_lo, exec_lo, s10
	global_load_b128 v[5:8], v[5:6], off offset:1536
	s_and_saveexec_b32 s0, vcc_lo
	s_cbranch_execz .LBB150_32
	s_branch .LBB150_40
.LBB150_37:                             ;   in Loop: Header=BB150_33 Depth=1
	v_cmp_gt_i32_e64 s0, s25, v36
	s_wait_loadcnt 0x0
	v_lshrrev_b32_e32 v7, 16, v1
	v_lshrrev_b32_e32 v8, 16, v2
	;; [unrolled: 1-line block ×4, first 2 shown]
	s_wait_alu 0xf1ff
	v_cndmask_b32_e64 v1, 0, v1, s0
	v_cmp_gt_i32_e64 s0, s9, v43
	s_wait_alu 0xf1ff
	s_delay_alu instid0(VALU_DEP_1) | instskip(SKIP_1) | instid1(VALU_DEP_2)
	v_cndmask_b32_e64 v7, 0, v7, s0
	v_cmp_gt_i32_e64 s0, s25, v44
	v_perm_b32 v1, v7, v1, 0x5040100
	s_wait_alu 0xf1ff
	s_delay_alu instid0(VALU_DEP_2) | instskip(SKIP_2) | instid1(VALU_DEP_1)
	v_cndmask_b32_e64 v2, 0, v2, s0
	v_cmp_gt_i32_e64 s0, s9, v42
	s_wait_alu 0xf1ff
	v_cndmask_b32_e64 v8, 0, v8, s0
	v_cmp_gt_i32_e64 s0, s25, v41
	s_delay_alu instid0(VALU_DEP_2) | instskip(SKIP_1) | instid1(VALU_DEP_2)
	v_perm_b32 v2, v8, v2, 0x5040100
	s_wait_alu 0xf1ff
	v_cndmask_b32_e64 v3, 0, v3, s0
	v_cmp_gt_i32_e64 s0, s9, v39
	s_wait_alu 0xf1ff
	s_delay_alu instid0(VALU_DEP_1) | instskip(SKIP_1) | instid1(VALU_DEP_2)
	v_cndmask_b32_e64 v9, 0, v9, s0
	v_cmp_gt_i32_e64 s0, s25, v40
	v_perm_b32 v3, v9, v3, 0x5040100
	s_wait_alu 0xf1ff
	s_delay_alu instid0(VALU_DEP_2) | instskip(SKIP_2) | instid1(VALU_DEP_1)
	v_cndmask_b32_e64 v4, 0, v4, s0
	v_cmp_gt_i32_e64 s0, s9, v38
	s_wait_alu 0xf1ff
	v_cndmask_b32_e64 v10, 0, v10, s0
	s_delay_alu instid0(VALU_DEP_1)
	v_perm_b32 v4, v10, v4, 0x5040100
	s_wait_alu 0xfffe
	s_or_b32 exec_lo, exec_lo, s10
	global_load_b128 v[9:12], v[5:6], off offset:512
	s_and_saveexec_b32 s10, vcc_lo
	s_cbranch_execz .LBB150_35
.LBB150_38:                             ;   in Loop: Header=BB150_33 Depth=1
	v_cmp_gt_i32_e64 s0, s25, v36
	s_wait_loadcnt 0x0
	v_lshrrev_b32_e32 v7, 16, v9
	v_lshrrev_b32_e32 v22, 16, v12
	s_wait_alu 0xf1ff
	v_cndmask_b32_e64 v8, 0, v9, s0
	v_cmp_gt_i32_e64 s0, s9, v43
	v_lshrrev_b32_e32 v9, 16, v10
	s_wait_alu 0xf1ff
	s_delay_alu instid0(VALU_DEP_2) | instskip(SKIP_2) | instid1(VALU_DEP_1)
	v_cndmask_b32_e64 v7, 0, v7, s0
	v_cmp_gt_i32_e64 s0, s25, v44
	s_wait_alu 0xf1ff
	v_cndmask_b32_e64 v10, 0, v10, s0
	v_cmp_gt_i32_e64 s0, s9, v42
	s_wait_alu 0xf1ff
	s_delay_alu instid0(VALU_DEP_1) | instskip(SKIP_2) | instid1(VALU_DEP_3)
	v_cndmask_b32_e64 v21, 0, v9, s0
	v_cmp_gt_i32_e64 s0, s25, v41
	v_lshrrev_b32_e32 v9, 16, v11
	v_perm_b32 v10, v21, v10, 0x5040100
	s_wait_alu 0xf1ff
	s_delay_alu instid0(VALU_DEP_3) | instskip(SKIP_2) | instid1(VALU_DEP_1)
	v_cndmask_b32_e64 v11, 0, v11, s0
	v_cmp_gt_i32_e64 s0, s9, v39
	s_wait_alu 0xf1ff
	v_cndmask_b32_e64 v23, 0, v9, s0
	v_cmp_gt_i32_e64 s0, s25, v40
	v_perm_b32 v9, v7, v8, 0x5040100
	s_delay_alu instid0(VALU_DEP_3) | instskip(SKIP_1) | instid1(VALU_DEP_3)
	v_perm_b32 v11, v23, v11, 0x5040100
	s_wait_alu 0xf1ff
	v_cndmask_b32_e64 v12, 0, v12, s0
	v_cmp_gt_i32_e64 s0, s9, v38
	s_wait_alu 0xf1ff
	s_delay_alu instid0(VALU_DEP_1) | instskip(NEXT) | instid1(VALU_DEP_1)
	v_cndmask_b32_e64 v22, 0, v22, s0
	v_perm_b32 v12, v22, v12, 0x5040100
	s_wait_alu 0xfffe
	s_or_b32 exec_lo, exec_lo, s10
	global_load_b128 v[21:24], v[5:6], off offset:1024
	s_and_saveexec_b32 s10, vcc_lo
	s_cbranch_execz .LBB150_36
.LBB150_39:                             ;   in Loop: Header=BB150_33 Depth=1
	v_cmp_gt_i32_e64 s0, s25, v36
	s_wait_loadcnt 0x0
	v_lshrrev_b32_e32 v7, 16, v21
	v_lshrrev_b32_e32 v46, 16, v24
	s_wait_alu 0xf1ff
	v_cndmask_b32_e64 v8, 0, v21, s0
	v_cmp_gt_i32_e64 s0, s9, v43
	v_lshrrev_b32_e32 v21, 16, v22
	s_wait_alu 0xf1ff
	s_delay_alu instid0(VALU_DEP_2) | instskip(SKIP_2) | instid1(VALU_DEP_1)
	v_cndmask_b32_e64 v7, 0, v7, s0
	v_cmp_gt_i32_e64 s0, s25, v44
	s_wait_alu 0xf1ff
	v_cndmask_b32_e64 v22, 0, v22, s0
	v_cmp_gt_i32_e64 s0, s9, v42
	s_wait_alu 0xf1ff
	s_delay_alu instid0(VALU_DEP_1) | instskip(SKIP_2) | instid1(VALU_DEP_3)
	v_cndmask_b32_e64 v45, 0, v21, s0
	v_cmp_gt_i32_e64 s0, s25, v41
	v_lshrrev_b32_e32 v21, 16, v23
	v_perm_b32 v22, v45, v22, 0x5040100
	s_wait_alu 0xf1ff
	s_delay_alu instid0(VALU_DEP_3) | instskip(SKIP_2) | instid1(VALU_DEP_1)
	v_cndmask_b32_e64 v23, 0, v23, s0
	v_cmp_gt_i32_e64 s0, s9, v39
	s_wait_alu 0xf1ff
	v_cndmask_b32_e64 v47, 0, v21, s0
	v_cmp_gt_i32_e64 s0, s25, v40
	v_perm_b32 v21, v7, v8, 0x5040100
	s_delay_alu instid0(VALU_DEP_3) | instskip(SKIP_1) | instid1(VALU_DEP_3)
	v_perm_b32 v23, v47, v23, 0x5040100
	s_wait_alu 0xf1ff
	v_cndmask_b32_e64 v24, 0, v24, s0
	v_cmp_gt_i32_e64 s0, s9, v38
	s_wait_alu 0xf1ff
	s_delay_alu instid0(VALU_DEP_1) | instskip(NEXT) | instid1(VALU_DEP_1)
	v_cndmask_b32_e64 v46, 0, v46, s0
	v_perm_b32 v24, v46, v24, 0x5040100
	s_wait_alu 0xfffe
	s_or_b32 exec_lo, exec_lo, s10
	global_load_b128 v[5:8], v[5:6], off offset:1536
	s_and_saveexec_b32 s0, vcc_lo
	s_cbranch_execz .LBB150_32
.LBB150_40:                             ;   in Loop: Header=BB150_33 Depth=1
	v_cmp_gt_i32_e32 vcc_lo, s25, v36
	s_wait_loadcnt 0x0
	v_lshrrev_b32_e32 v45, 16, v5
	v_lshrrev_b32_e32 v46, 16, v6
	s_wait_alu 0xfffd
	v_cndmask_b32_e32 v5, 0, v5, vcc_lo
	v_cmp_gt_i32_e32 vcc_lo, s9, v43
	s_wait_alu 0xfffd
	v_cndmask_b32_e32 v43, 0, v45, vcc_lo
	v_cmp_gt_i32_e32 vcc_lo, s25, v44
	v_lshrrev_b32_e32 v44, 16, v7
	s_wait_alu 0xfffd
	v_cndmask_b32_e32 v6, 0, v6, vcc_lo
	v_cmp_gt_i32_e32 vcc_lo, s9, v42
	s_wait_alu 0xfffd
	v_cndmask_b32_e32 v42, 0, v46, vcc_lo
	v_cmp_gt_i32_e32 vcc_lo, s25, v41
	v_lshrrev_b32_e32 v41, 16, v8
	v_perm_b32 v5, v43, v5, 0x5040100
	s_delay_alu instid0(VALU_DEP_4)
	v_perm_b32 v6, v42, v6, 0x5040100
	s_wait_alu 0xfffd
	v_cndmask_b32_e32 v7, 0, v7, vcc_lo
	v_cmp_gt_i32_e32 vcc_lo, s9, v39
	s_wait_alu 0xfffd
	v_cndmask_b32_e32 v39, 0, v44, vcc_lo
	v_cmp_gt_i32_e32 vcc_lo, s25, v40
	;; [unrolled: 3-line block ×3, first 2 shown]
	s_wait_alu 0xfffd
	v_cndmask_b32_e32 v38, 0, v41, vcc_lo
	v_perm_b32 v7, v39, v7, 0x5040100
	s_delay_alu instid0(VALU_DEP_2)
	v_perm_b32 v8, v38, v8, 0x5040100
	s_branch .LBB150_32
.LBB150_41:
	s_or_b32 exec_lo, exec_lo, s8
.LBB150_42:
	s_wait_alu 0xfffe
	s_or_b32 exec_lo, exec_lo, s1
	v_lshl_add_u32 v2, v29, 2, 0x120
	v_and_b32_e32 v3, 0x3c0, v0
	s_mov_b32 s0, exec_lo
	s_wait_loadcnt 0x0
	s_wait_storecnt 0x0
	s_barrier_signal -1
	v_lshl_add_u32 v1, v27, 9, v2
	s_barrier_wait -1
	global_inv scope:SCOPE_SE
	v_cmpx_eq_u32_e32 64, v3
	s_cbranch_execz .LBB150_44
; %bb.43:
	v_add_nc_u32_e32 v3, 0xfffffc00, v1
	v_add_nc_u32_e32 v4, 0xfffffc80, v1
	;; [unrolled: 1-line block ×4, first 2 shown]
	ds_store_b32 v3, v33
	ds_store_b32 v4, v32
	;; [unrolled: 1-line block ×4, first 2 shown]
.LBB150_44:
	s_wait_alu 0xfffe
	s_or_b32 exec_lo, exec_lo, s0
	s_wait_loadcnt_dscnt 0x0
	s_barrier_signal -1
	s_barrier_wait -1
	global_inv scope:SCOPE_SE
	s_and_saveexec_b32 s0, s2
	s_cbranch_execz .LBB150_46
; %bb.45:
	ds_load_2addr_b32 v[3:4], v1 offset1:32
	ds_load_2addr_b32 v[5:6], v1 offset0:64 offset1:96
	s_wait_dscnt 0x1
	v_dual_add_f32 v33, v33, v3 :: v_dual_add_f32 v32, v32, v4
	s_wait_dscnt 0x0
	v_dual_add_f32 v31, v31, v5 :: v_dual_add_f32 v30, v30, v6
.LBB150_46:
	s_wait_alu 0xfffe
	s_or_b32 exec_lo, exec_lo, s0
	v_and_b32_e32 v3, 0x3e0, v0
	s_mov_b32 s0, exec_lo
	s_wait_loadcnt 0x0
	s_barrier_signal -1
	s_barrier_wait -1
	global_inv scope:SCOPE_SE
	v_cmpx_eq_u32_e32 32, v3
	s_cbranch_execz .LBB150_48
; %bb.47:
	ds_store_2addr_b32 v2, v33, v32 offset1:32
	ds_store_2addr_b32 v2, v31, v30 offset0:64 offset1:96
.LBB150_48:
	s_wait_alu 0xfffe
	s_or_b32 exec_lo, exec_lo, s0
	v_cmp_gt_u32_e32 vcc_lo, 32, v0
	s_wait_loadcnt_dscnt 0x0
	s_barrier_signal -1
	s_barrier_wait -1
	global_inv scope:SCOPE_SE
	s_and_saveexec_b32 s0, vcc_lo
	s_cbranch_execz .LBB150_50
; %bb.49:
	ds_load_2addr_b32 v[2:3], v1 offset1:32
	ds_load_2addr_b32 v[4:5], v1 offset0:64 offset1:96
	s_wait_dscnt 0x1
	v_dual_add_f32 v33, v33, v2 :: v_dual_add_f32 v32, v32, v3
	s_wait_dscnt 0x0
	v_dual_add_f32 v31, v31, v4 :: v_dual_add_f32 v30, v30, v5
.LBB150_50:
	s_wait_alu 0xfffe
	s_or_b32 exec_lo, exec_lo, s0
	s_wait_loadcnt 0x0
	s_barrier_signal -1
	s_barrier_wait -1
	global_inv scope:SCOPE_SE
	s_and_saveexec_b32 s0, vcc_lo
	s_cbranch_execz .LBB150_52
; %bb.51:
	v_bfe_u32 v1, v33, 16, 1
	v_or_b32_e32 v2, 0x400000, v33
	v_bfe_u32 v3, v32, 16, 1
	v_cmp_u_f32_e32 vcc_lo, v33, v33
	v_bfe_u32 v4, v31, 16, 1
	v_add3_u32 v1, v1, v33, 0x7fff
	v_lshlrev_b32_e32 v0, 1, v0
	v_add3_u32 v3, v3, v32, 0x7fff
	v_or_b32_e32 v5, 0x400000, v32
	s_lshl_b32 s0, s4, 7
	s_wait_alu 0xfffd
	v_cndmask_b32_e32 v1, v1, v2, vcc_lo
	v_cmp_u_f32_e32 vcc_lo, v32, v32
	v_bfe_u32 v2, v30, 16, 1
	v_add3_u32 v4, v4, v31, 0x7fff
	v_or_b32_e32 v6, 0x400000, v31
	s_mul_i32 s2, s12, s16
	s_wait_alu 0xfffd
	v_cndmask_b32_e32 v3, v3, v5, vcc_lo
	v_cmp_u_f32_e32 vcc_lo, v31, v31
	s_wait_alu 0xfffe
	s_ashr_i32 s1, s0, 31
	s_ashr_i32 s3, s2, 31
	s_wait_alu 0xfffe
	s_lshl_b64 s[0:1], s[0:1], 1
	v_add3_u32 v2, v2, v30, 0x7fff
	v_or_b32_e32 v7, 0x400000, v30
	s_wait_alu 0xfffd
	v_cndmask_b32_e32 v4, v4, v6, vcc_lo
	v_cmp_u_f32_e32 vcc_lo, v30, v30
	s_lshl_b64 s[2:3], s[2:3], 1
	s_wait_alu 0xfffe
	s_add_nc_u64 s[0:1], s[6:7], s[0:1]
	s_wait_alu 0xfffe
	s_add_nc_u64 s[0:1], s[0:1], s[2:3]
	s_lshl_b32 s2, s24, 8
	s_mov_b32 s3, 0
	s_wait_alu 0xfffd
	v_cndmask_b32_e32 v2, v2, v7, vcc_lo
	s_wait_alu 0xfffe
	s_add_nc_u64 s[0:1], s[0:1], s[2:3]
	s_clause 0x3
	global_store_d16_hi_b16 v0, v1, s[0:1]
	global_store_d16_hi_b16 v0, v3, s[0:1] offset:64
	global_store_d16_hi_b16 v0, v4, s[0:1] offset:128
	;; [unrolled: 1-line block ×3, first 2 shown]
.LBB150_52:
	s_endpgm
	.section	.rodata,"a",@progbits
	.p2align	6, 0x0
	.amdhsa_kernel _ZN4vllm25paged_attention_v2_kernelI14__hip_bfloat16S1_Li128ELi8ELi128ELNS_18Fp8KVCacheDataTypeE0ELb0ELi512EEEvPfS3_PT_PKS4_PKT0_SA_ifPKiSC_iPKfiiiSE_SE_iiiii
		.amdhsa_group_segment_fixed_size 288
		.amdhsa_private_segment_fixed_size 0
		.amdhsa_kernarg_size 400
		.amdhsa_user_sgpr_count 2
		.amdhsa_user_sgpr_dispatch_ptr 0
		.amdhsa_user_sgpr_queue_ptr 0
		.amdhsa_user_sgpr_kernarg_segment_ptr 1
		.amdhsa_user_sgpr_dispatch_id 0
		.amdhsa_user_sgpr_private_segment_size 0
		.amdhsa_wavefront_size32 1
		.amdhsa_uses_dynamic_stack 0
		.amdhsa_enable_private_segment 0
		.amdhsa_system_sgpr_workgroup_id_x 1
		.amdhsa_system_sgpr_workgroup_id_y 1
		.amdhsa_system_sgpr_workgroup_id_z 1
		.amdhsa_system_sgpr_workgroup_info 0
		.amdhsa_system_vgpr_workitem_id 0
		.amdhsa_next_free_vgpr 68
		.amdhsa_next_free_sgpr 36
		.amdhsa_reserve_vcc 1
		.amdhsa_float_round_mode_32 0
		.amdhsa_float_round_mode_16_64 0
		.amdhsa_float_denorm_mode_32 3
		.amdhsa_float_denorm_mode_16_64 3
		.amdhsa_fp16_overflow 0
		.amdhsa_workgroup_processor_mode 1
		.amdhsa_memory_ordered 1
		.amdhsa_forward_progress 1
		.amdhsa_inst_pref_size 63
		.amdhsa_round_robin_scheduling 0
		.amdhsa_exception_fp_ieee_invalid_op 0
		.amdhsa_exception_fp_denorm_src 0
		.amdhsa_exception_fp_ieee_div_zero 0
		.amdhsa_exception_fp_ieee_overflow 0
		.amdhsa_exception_fp_ieee_underflow 0
		.amdhsa_exception_fp_ieee_inexact 0
		.amdhsa_exception_int_div_zero 0
	.end_amdhsa_kernel
	.section	.text._ZN4vllm25paged_attention_v2_kernelI14__hip_bfloat16S1_Li128ELi8ELi128ELNS_18Fp8KVCacheDataTypeE0ELb0ELi512EEEvPfS3_PT_PKS4_PKT0_SA_ifPKiSC_iPKfiiiSE_SE_iiiii,"axG",@progbits,_ZN4vllm25paged_attention_v2_kernelI14__hip_bfloat16S1_Li128ELi8ELi128ELNS_18Fp8KVCacheDataTypeE0ELb0ELi512EEEvPfS3_PT_PKS4_PKT0_SA_ifPKiSC_iPKfiiiSE_SE_iiiii,comdat
.Lfunc_end150:
	.size	_ZN4vllm25paged_attention_v2_kernelI14__hip_bfloat16S1_Li128ELi8ELi128ELNS_18Fp8KVCacheDataTypeE0ELb0ELi512EEEvPfS3_PT_PKS4_PKT0_SA_ifPKiSC_iPKfiiiSE_SE_iiiii, .Lfunc_end150-_ZN4vllm25paged_attention_v2_kernelI14__hip_bfloat16S1_Li128ELi8ELi128ELNS_18Fp8KVCacheDataTypeE0ELb0ELi512EEEvPfS3_PT_PKS4_PKT0_SA_ifPKiSC_iPKfiiiSE_SE_iiiii
                                        ; -- End function
	.set _ZN4vllm25paged_attention_v2_kernelI14__hip_bfloat16S1_Li128ELi8ELi128ELNS_18Fp8KVCacheDataTypeE0ELb0ELi512EEEvPfS3_PT_PKS4_PKT0_SA_ifPKiSC_iPKfiiiSE_SE_iiiii.num_vgpr, 68
	.set _ZN4vllm25paged_attention_v2_kernelI14__hip_bfloat16S1_Li128ELi8ELi128ELNS_18Fp8KVCacheDataTypeE0ELb0ELi512EEEvPfS3_PT_PKS4_PKT0_SA_ifPKiSC_iPKfiiiSE_SE_iiiii.num_agpr, 0
	.set _ZN4vllm25paged_attention_v2_kernelI14__hip_bfloat16S1_Li128ELi8ELi128ELNS_18Fp8KVCacheDataTypeE0ELb0ELi512EEEvPfS3_PT_PKS4_PKT0_SA_ifPKiSC_iPKfiiiSE_SE_iiiii.numbered_sgpr, 36
	.set _ZN4vllm25paged_attention_v2_kernelI14__hip_bfloat16S1_Li128ELi8ELi128ELNS_18Fp8KVCacheDataTypeE0ELb0ELi512EEEvPfS3_PT_PKS4_PKT0_SA_ifPKiSC_iPKfiiiSE_SE_iiiii.num_named_barrier, 0
	.set _ZN4vllm25paged_attention_v2_kernelI14__hip_bfloat16S1_Li128ELi8ELi128ELNS_18Fp8KVCacheDataTypeE0ELb0ELi512EEEvPfS3_PT_PKS4_PKT0_SA_ifPKiSC_iPKfiiiSE_SE_iiiii.private_seg_size, 0
	.set _ZN4vllm25paged_attention_v2_kernelI14__hip_bfloat16S1_Li128ELi8ELi128ELNS_18Fp8KVCacheDataTypeE0ELb0ELi512EEEvPfS3_PT_PKS4_PKT0_SA_ifPKiSC_iPKfiiiSE_SE_iiiii.uses_vcc, 1
	.set _ZN4vllm25paged_attention_v2_kernelI14__hip_bfloat16S1_Li128ELi8ELi128ELNS_18Fp8KVCacheDataTypeE0ELb0ELi512EEEvPfS3_PT_PKS4_PKT0_SA_ifPKiSC_iPKfiiiSE_SE_iiiii.uses_flat_scratch, 0
	.set _ZN4vllm25paged_attention_v2_kernelI14__hip_bfloat16S1_Li128ELi8ELi128ELNS_18Fp8KVCacheDataTypeE0ELb0ELi512EEEvPfS3_PT_PKS4_PKT0_SA_ifPKiSC_iPKfiiiSE_SE_iiiii.has_dyn_sized_stack, 0
	.set _ZN4vllm25paged_attention_v2_kernelI14__hip_bfloat16S1_Li128ELi8ELi128ELNS_18Fp8KVCacheDataTypeE0ELb0ELi512EEEvPfS3_PT_PKS4_PKT0_SA_ifPKiSC_iPKfiiiSE_SE_iiiii.has_recursion, 0
	.set _ZN4vllm25paged_attention_v2_kernelI14__hip_bfloat16S1_Li128ELi8ELi128ELNS_18Fp8KVCacheDataTypeE0ELb0ELi512EEEvPfS3_PT_PKS4_PKT0_SA_ifPKiSC_iPKfiiiSE_SE_iiiii.has_indirect_call, 0
	.section	.AMDGPU.csdata,"",@progbits
; Kernel info:
; codeLenInByte = 7944
; TotalNumSgprs: 38
; NumVgprs: 68
; ScratchSize: 0
; MemoryBound: 0
; FloatMode: 240
; IeeeMode: 1
; LDSByteSize: 288 bytes/workgroup (compile time only)
; SGPRBlocks: 0
; VGPRBlocks: 8
; NumSGPRsForWavesPerEU: 38
; NumVGPRsForWavesPerEU: 68
; Occupancy: 16
; WaveLimiterHint : 1
; COMPUTE_PGM_RSRC2:SCRATCH_EN: 0
; COMPUTE_PGM_RSRC2:USER_SGPR: 2
; COMPUTE_PGM_RSRC2:TRAP_HANDLER: 0
; COMPUTE_PGM_RSRC2:TGID_X_EN: 1
; COMPUTE_PGM_RSRC2:TGID_Y_EN: 1
; COMPUTE_PGM_RSRC2:TGID_Z_EN: 1
; COMPUTE_PGM_RSRC2:TIDIG_COMP_CNT: 0
	.section	.text._ZN4vllm25paged_attention_v2_kernelI14__hip_bfloat16S1_Li192ELi8ELi128ELNS_18Fp8KVCacheDataTypeE0ELb0ELi512EEEvPfS3_PT_PKS4_PKT0_SA_ifPKiSC_iPKfiiiSE_SE_iiiii,"axG",@progbits,_ZN4vllm25paged_attention_v2_kernelI14__hip_bfloat16S1_Li192ELi8ELi128ELNS_18Fp8KVCacheDataTypeE0ELb0ELi512EEEvPfS3_PT_PKS4_PKT0_SA_ifPKiSC_iPKfiiiSE_SE_iiiii,comdat
	.protected	_ZN4vllm25paged_attention_v2_kernelI14__hip_bfloat16S1_Li192ELi8ELi128ELNS_18Fp8KVCacheDataTypeE0ELb0ELi512EEEvPfS3_PT_PKS4_PKT0_SA_ifPKiSC_iPKfiiiSE_SE_iiiii ; -- Begin function _ZN4vllm25paged_attention_v2_kernelI14__hip_bfloat16S1_Li192ELi8ELi128ELNS_18Fp8KVCacheDataTypeE0ELb0ELi512EEEvPfS3_PT_PKS4_PKT0_SA_ifPKiSC_iPKfiiiSE_SE_iiiii
	.globl	_ZN4vllm25paged_attention_v2_kernelI14__hip_bfloat16S1_Li192ELi8ELi128ELNS_18Fp8KVCacheDataTypeE0ELb0ELi512EEEvPfS3_PT_PKS4_PKT0_SA_ifPKiSC_iPKfiiiSE_SE_iiiii
	.p2align	8
	.type	_ZN4vllm25paged_attention_v2_kernelI14__hip_bfloat16S1_Li192ELi8ELi128ELNS_18Fp8KVCacheDataTypeE0ELb0ELi512EEEvPfS3_PT_PKS4_PKT0_SA_ifPKiSC_iPKfiiiSE_SE_iiiii,@function
_ZN4vllm25paged_attention_v2_kernelI14__hip_bfloat16S1_Li192ELi8ELi128ELNS_18Fp8KVCacheDataTypeE0ELb0ELi512EEEvPfS3_PT_PKS4_PKT0_SA_ifPKiSC_iPKfiiiSE_SE_iiiii: ; @_ZN4vllm25paged_attention_v2_kernelI14__hip_bfloat16S1_Li192ELi8ELi128ELNS_18Fp8KVCacheDataTypeE0ELb0ELi512EEEvPfS3_PT_PKS4_PKT0_SA_ifPKiSC_iPKfiiiSE_SE_iiiii
; %bb.0:
	s_load_b64 s[2:3], s[0:1], 0x40
	s_and_b32 s14, ttmp7, 0xffff
	s_lshr_b32 s24, ttmp7, 16
	s_lshl_b32 s4, s14, 2
	s_lshl_b32 s26, s24, 9
	s_wait_kmcnt 0x0
	s_load_b32 s25, s[2:3], s4 offset:0x0
	s_wait_kmcnt 0x0
	s_cmp_ge_i32 s26, s25
	s_cbranch_scc1 .LBB151_56
; %bb.1:
	s_clause 0x1
	s_load_b32 s15, s[0:1], 0x90
	s_load_b64 s[6:7], s[0:1], 0x30
	s_wait_kmcnt 0x0
	s_abs_i32 s5, s15
	s_abs_i32 s2, s6
	s_delay_alu instid0(SALU_CYCLE_1) | instskip(SKIP_1) | instid1(SALU_CYCLE_2)
	s_cvt_f32_u32 s3, s2
	s_sub_co_i32 s4, 0, s2
	v_rcp_iflag_f32_e32 v1, s3
	s_delay_alu instid0(TRANS32_DEP_1) | instskip(SKIP_2) | instid1(SALU_CYCLE_2)
	v_readfirstlane_b32 s3, v1
	s_mul_f32 s3, s3, 0x4f7ffffe
	s_wait_alu 0xfffe
	s_cvt_u32_f32 s3, s3
	s_wait_alu 0xfffe
	s_delay_alu instid0(SALU_CYCLE_2) | instskip(NEXT) | instid1(SALU_CYCLE_1)
	s_mul_i32 s4, s4, s3
	s_mul_hi_u32 s4, s3, s4
	s_delay_alu instid0(SALU_CYCLE_1)
	s_add_co_i32 s3, s3, s4
	s_xor_b32 s4, s15, s6
	s_wait_alu 0xfffe
	s_mul_hi_u32 s3, s5, s3
	s_ashr_i32 s4, s4, 31
	s_wait_alu 0xfffe
	s_mul_i32 s6, s3, s2
	s_delay_alu instid0(SALU_CYCLE_1)
	s_sub_co_i32 s5, s5, s6
	s_add_co_i32 s6, s3, 1
	s_sub_co_i32 s8, s5, s2
	s_cmp_ge_u32 s5, s2
	s_cselect_b32 s3, s6, s3
	s_cselect_b32 s5, s8, s5
	s_wait_alu 0xfffe
	s_add_co_i32 s6, s3, 1
	s_cmp_ge_u32 s5, s2
	s_load_b64 s[8:9], s[0:1], 0x50
	s_cselect_b32 s2, s6, s3
	s_mov_b32 s3, 0
	s_wait_alu 0xfffe
	s_xor_b32 s2, s2, s4
	s_mov_b32 s6, s3
	s_wait_alu 0xfffe
	s_sub_co_i32 s12, s2, s4
	s_delay_alu instid0(SALU_CYCLE_1) | instskip(NEXT) | instid1(SALU_CYCLE_1)
	s_abs_i32 s11, s12
	s_cvt_f32_u32 s2, s11
	s_wait_alu 0xfffe
	s_delay_alu instid0(SALU_CYCLE_2) | instskip(NEXT) | instid1(TRANS32_DEP_1)
	v_rcp_iflag_f32_e32 v1, s2
	v_readfirstlane_b32 s2, v1
	s_mul_f32 s2, s2, 0x4f7ffffe
	s_wait_alu 0xfffe
	s_delay_alu instid0(SALU_CYCLE_2) | instskip(SKIP_2) | instid1(SALU_CYCLE_1)
	s_cvt_u32_f32 s4, s2
	s_sub_co_i32 s2, 0, s11
	s_wait_alu 0xfffe
	s_mul_i32 s2, s2, s4
	s_wait_alu 0xfffe
	s_mul_hi_u32 s5, s4, s2
	s_abs_i32 s2, ttmp9
	s_add_co_i32 s4, s4, s5
	s_mov_b32 s5, s3
	s_wait_kmcnt 0x0
	s_cmp_eq_u64 s[8:9], 0
	s_cbranch_scc1 .LBB151_3
; %bb.2:
	s_mov_b32 s16, ttmp9
	s_ashr_i32 s17, ttmp9, 31
	s_delay_alu instid0(SALU_CYCLE_1) | instskip(NEXT) | instid1(SALU_CYCLE_1)
	s_lshl_b64 s[16:17], s[16:17], 2
	s_add_nc_u64 s[8:9], s[8:9], s[16:17]
	s_load_b32 s6, s[8:9], 0x0
.LBB151_3:
	s_load_b96 s[8:10], s[0:1], 0x58
	v_and_b32_e32 v1, 3, v0
	v_lshlrev_b32_e32 v2, 2, v0
	s_mul_u64 s[4:5], s[2:3], s[4:5]
	s_ashr_i32 s3, ttmp9, 31
	s_ashr_i32 s4, s12, 31
	s_mul_i32 s12, ttmp9, 0xc0
	s_mov_b32 s16, exec_lo
	v_cmpx_gt_u32_e32 0x60, v0
	s_cbranch_execz .LBB151_5
; %bb.4:
	s_load_b64 s[18:19], s[0:1], 0x18
	s_wait_kmcnt 0x0
	s_mul_i32 s20, s8, s14
	s_ashr_i32 s13, s12, 31
	s_ashr_i32 s21, s20, 31
	v_and_b32_e32 v4, 0x3fc, v0
	s_lshl_b64 s[20:21], s[20:21], 1
	s_delay_alu instid0(VALU_DEP_1) | instskip(SKIP_2) | instid1(SALU_CYCLE_1)
	v_mad_u32_u24 v4, 0x60, v1, v4
	s_add_nc_u64 s[18:19], s[18:19], s[20:21]
	s_lshl_b64 s[20:21], s[12:13], 1
	s_add_nc_u64 s[18:19], s[18:19], s[20:21]
	global_load_b32 v3, v2, s[18:19]
	s_wait_loadcnt 0x0
	ds_store_b32 v4, v3
.LBB151_5:
	s_or_b32 exec_lo, exec_lo, s16
	s_wait_kmcnt 0x0
	s_add_co_i32 s8, s25, 7
	s_wait_alu 0xfffe
	s_xor_b32 s3, s3, s4
	s_ashr_i32 s13, s8, 31
	s_lshl_b32 s28, s24, 6
	s_lshr_b32 s4, s13, 29
	s_mul_i32 s13, s5, s11
	s_add_co_i32 s8, s8, s4
	s_add_co_i32 s4, s28, 64
	s_ashr_i32 s27, s8, 3
	s_load_b32 s8, s[0:1], 0x48
	s_sub_co_i32 s2, s2, s13
	s_min_i32 s13, s4, s27
	s_add_co_i32 s4, s5, 1
	s_wait_alu 0xfffe
	s_sub_co_i32 s16, s2, s11
	s_cmp_ge_u32 s2, s11
	v_lshrrev_b32_e32 v35, 5, v0
	s_cselect_b32 s4, s4, s5
	s_cselect_b32 s2, s16, s2
	s_add_co_i32 s5, s4, 1
	s_wait_alu 0xfffe
	s_cmp_ge_u32 s2, s11
	v_or_b32_e32 v36, s28, v35
	s_cselect_b32 s2, s5, s4
	v_mbcnt_lo_u32_b32 v4, -1, 0
	s_wait_alu 0xfffe
	s_xor_b32 s2, s2, s3
	s_mov_b32 s4, exec_lo
	s_wait_alu 0xfffe
	s_sub_co_i32 s3, s2, s3
	v_cmp_gt_i32_e64 s2, s13, v36
	s_wait_dscnt 0x0
	s_barrier_signal -1
	s_wait_kmcnt 0x0
	s_mul_i32 s16, s8, s14
	s_barrier_wait -1
	s_ashr_i32 s17, s16, 31
	global_inv scope:SCOPE_SE
                                        ; implicit-def: $vgpr5
                                        ; implicit-def: $vgpr6
	v_cmpx_le_i32_e64 s13, v36
	s_xor_b32 s4, exec_lo, s4
; %bb.6:
	v_dual_mov_b32 v5, 0 :: v_dual_mov_b32 v6, 32
	v_mbcnt_lo_u32_b32 v4, -1, 0
                                        ; implicit-def: $vgpr2
                                        ; implicit-def: $vgpr1
; %bb.7:
	s_or_saveexec_b32 s11, s4
	s_clause 0x1
	s_load_b64 s[18:19], s[0:1], 0x38
	s_load_b32 s8, s[0:1], 0x98
	v_dual_mov_b32 v56, 0xff7fffff :: v_dual_lshlrev_b32 v3, 2, v36
	s_mul_i32 s20, s3, s10
	s_xor_b32 exec_lo, exec_lo, s11
	s_cbranch_execz .LBB151_13
; %bb.8:
	s_load_b64 s[4:5], s[0:1], 0x20
	v_mul_u32_u24_e32 v6, 0x60, v1
	v_bfe_u32 v62, v0, 2, 3
	s_ashr_i32 s21, s20, 31
	v_dual_mov_b32 v5, 0 :: v_dual_and_b32 v2, 12, v2
	ds_load_b128 v[13:16], v6
	ds_load_b128 v[21:24], v6 offset:16
	ds_load_b128 v[29:32], v6 offset:32
	;; [unrolled: 1-line block ×5, first 2 shown]
	v_dual_mov_b32 v6, 32 :: v_dual_lshlrev_b32 v7, 4, v62
	s_lshl_b64 s[22:23], s[20:21], 1
	v_lshlrev_b32_e32 v63, 2, v62
	s_cmp_neq_f32 s6, 0
	s_mov_b32 s21, s9
	s_mov_b32 s10, 0
	v_mov_b32_e32 v64, v36
	s_wait_kmcnt 0x0
	s_add_nc_u64 s[4:5], s[4:5], s[22:23]
	s_delay_alu instid0(SALU_CYCLE_1)
	v_add_co_u32 v17, s3, s4, v7
	s_wait_alu 0xf1ff
	v_add_co_ci_u32_e64 v18, null, s5, 0, s3
	s_wait_dscnt 0x5
	v_and_b32_e32 v10, 0xffff0000, v14
	v_lshlrev_b32_e32 v11, 16, v15
	v_and_b32_e32 v12, 0xffff0000, v15
	s_wait_dscnt 0x0
	v_lshlrev_b32_e32 v51, 16, v56
	v_and_b32_e32 v52, 0xffff0000, v56
	v_xor_b32_e32 v56, 1, v4
	v_lshlrev_b32_e32 v9, 16, v14
	v_add_co_u32 v14, vcc_lo, v17, v2
	v_xor_b32_e32 v2, 2, v4
	v_add_co_ci_u32_e64 v15, null, 0, v18, vcc_lo
	s_cselect_b32 s3, -1, 0
	s_lshl_b64 s[4:5], s[16:17], 2
	v_cmp_gt_i32_e32 vcc_lo, 32, v2
	v_lshlrev_b32_e32 v7, 16, v13
	s_wait_alu 0xfffe
	s_add_nc_u64 s[4:5], s[18:19], s[4:5]
	v_and_b32_e32 v8, 0xffff0000, v13
	s_wait_alu 0xfffd
	v_dual_cndmask_b32 v2, v4, v2 :: v_dual_lshlrev_b32 v13, 16, v16
	v_cmp_gt_i32_e32 vcc_lo, 32, v56
	v_and_b32_e32 v16, 0xffff0000, v16
	v_lshlrev_b32_e32 v17, 16, v21
	v_and_b32_e32 v18, 0xffff0000, v21
	v_lshlrev_b32_e32 v60, 2, v2
	s_wait_alu 0xfffd
	v_cndmask_b32_e32 v56, v4, v56, vcc_lo
	v_lshlrev_b32_e32 v2, 3, v35
	v_cmp_eq_u32_e32 vcc_lo, 0, v1
	s_wait_alu 0xfffe
	v_add_co_u32 v1, s4, s4, v3
	v_lshlrev_b32_e32 v61, 2, v56
	v_lshl_or_b32 v56, v35, 5, v63
	v_lshlrev_b32_e32 v19, 16, v22
	v_and_b32_e32 v20, 0xffff0000, v22
	v_lshlrev_b32_e32 v21, 16, v23
	v_and_b32_e32 v22, 0xffff0000, v23
	;; [unrolled: 2-line block ×18, first 2 shown]
	v_add3_u32 v62, s26, v2, v62
	v_add_nc_u32_e32 v63, 0x1a0, v56
	s_wait_alu 0xf1ff
	v_add_co_ci_u32_e64 v2, null, s5, 0, s4
	v_mov_b32_e32 v56, 0xff7fffff
	s_sub_co_i32 s22, 1, s25
	s_branch .LBB151_10
.LBB151_9:                              ;   in Loop: Header=BB151_10 Depth=1
	s_wait_alu 0xfffe
	s_or_b32 exec_lo, exec_lo, s5
	v_add_nc_u32_e32 v64, 4, v64
	v_add_co_u32 v1, s5, v1, 16
	v_add_nc_u32_e32 v62, 32, v62
	v_add_nc_u32_e32 v63, 0x80, v63
	s_delay_alu instid0(VALU_DEP_4) | instskip(SKIP_3) | instid1(SALU_CYCLE_1)
	v_cmp_le_i32_e64 s4, s13, v64
	s_wait_alu 0xf1ff
	v_add_co_ci_u32_e64 v2, null, 0, v2, s5
	s_or_b32 s10, s4, s10
	s_and_not1_b32 exec_lo, exec_lo, s10
	s_cbranch_execz .LBB151_12
.LBB151_10:                             ; =>This Inner Loop Header: Depth=1
	global_load_b32 v65, v[1:2], off
	s_wait_loadcnt_dscnt 0x0
	v_mad_co_i64_i32 v[65:66], null, v65, s21, 0
	s_delay_alu instid0(VALU_DEP_1) | instskip(NEXT) | instid1(VALU_DEP_1)
	v_lshlrev_b64_e32 v[65:66], 1, v[65:66]
	v_add_co_u32 v65, s4, v14, v65
	s_wait_alu 0xf1ff
	s_delay_alu instid0(VALU_DEP_2)
	v_add_co_ci_u32_e64 v66, null, v15, v66, s4
	s_clause 0x17
	global_load_b32 v67, v[65:66], off offset:128
	global_load_b32 v68, v[65:66], off
	global_load_b32 v69, v[65:66], off offset:256
	global_load_b32 v70, v[65:66], off offset:384
	;; [unrolled: 1-line block ×22, first 2 shown]
	s_wait_loadcnt 0x16
	v_lshlrev_b32_e32 v90, 16, v68
	s_wait_loadcnt 0x15
	v_lshlrev_b32_e32 v91, 16, v69
	v_and_b32_e32 v69, 0xffff0000, v69
	v_and_b32_e32 v68, 0xffff0000, v68
	v_lshlrev_b32_e32 v66, 16, v67
	v_and_b32_e32 v67, 0xffff0000, v67
	s_delay_alu instid0(VALU_DEP_1) | instskip(NEXT) | instid1(VALU_DEP_1)
	v_mul_f32_e32 v67, v10, v67
	v_dual_fmac_f32 v67, v8, v68 :: v_dual_mul_f32 v66, v9, v66
	s_delay_alu instid0(VALU_DEP_1) | instskip(NEXT) | instid1(VALU_DEP_1)
	v_fmac_f32_e32 v66, v7, v90
	v_dual_fmac_f32 v66, v11, v91 :: v_dual_fmac_f32 v67, v12, v69
	s_wait_loadcnt 0x13
	v_lshlrev_b32_e32 v69, 16, v71
	v_and_b32_e32 v71, 0xffff0000, v71
	v_lshlrev_b32_e32 v68, 16, v70
	v_and_b32_e32 v70, 0xffff0000, v70
	s_wait_loadcnt 0x12
	s_delay_alu instid0(VALU_DEP_1) | instskip(NEXT) | instid1(VALU_DEP_1)
	v_dual_fmac_f32 v67, v16, v70 :: v_dual_and_b32 v70, 0xffff0000, v72
	v_dual_fmac_f32 v67, v18, v71 :: v_dual_fmac_f32 v66, v13, v68
	v_lshlrev_b32_e32 v68, 16, v72
	s_delay_alu instid0(VALU_DEP_2) | instskip(SKIP_1) | instid1(VALU_DEP_1)
	v_fmac_f32_e32 v66, v17, v69
	s_wait_loadcnt 0x11
	v_dual_fmac_f32 v66, v19, v68 :: v_dual_lshlrev_b32 v69, 16, v73
	v_fmac_f32_e32 v67, v20, v70
	s_wait_loadcnt 0x10
	v_lshlrev_b32_e32 v68, 16, v74
	v_and_b32_e32 v70, 0xffff0000, v74
	v_fmac_f32_e32 v66, v21, v69
	s_delay_alu instid0(VALU_DEP_1) | instskip(SKIP_1) | instid1(VALU_DEP_1)
	v_dual_fmac_f32 v66, v23, v68 :: v_dual_and_b32 v71, 0xffff0000, v73
	s_wait_loadcnt 0xe
	v_dual_fmac_f32 v67, v22, v71 :: v_dual_lshlrev_b32 v68, 16, v76
	v_lshlrev_b32_e32 v69, 16, v75
	v_and_b32_e32 v71, 0xffff0000, v75
	s_delay_alu instid0(VALU_DEP_3) | instskip(NEXT) | instid1(VALU_DEP_1)
	v_dual_fmac_f32 v67, v24, v70 :: v_dual_and_b32 v70, 0xffff0000, v76
	v_dual_fmac_f32 v66, v25, v69 :: v_dual_fmac_f32 v67, v26, v71
	s_delay_alu instid0(VALU_DEP_1)
	v_fmac_f32_e32 v66, v27, v68
	s_wait_loadcnt 0xc
	v_lshlrev_b32_e32 v68, 16, v78
	v_lshlrev_b32_e32 v69, 16, v77
	v_fmac_f32_e32 v67, v28, v70
	v_and_b32_e32 v70, 0xffff0000, v78
	s_wait_loadcnt 0xb
	s_delay_alu instid0(VALU_DEP_3) | instskip(NEXT) | instid1(VALU_DEP_1)
	v_dual_fmac_f32 v66, v29, v69 :: v_dual_lshlrev_b32 v69, 16, v79
	v_fmac_f32_e32 v66, v31, v68
	s_wait_loadcnt 0xa
	v_lshlrev_b32_e32 v68, 16, v80
	s_delay_alu instid0(VALU_DEP_2) | instskip(SKIP_2) | instid1(VALU_DEP_2)
	v_fmac_f32_e32 v66, v33, v69
	v_and_b32_e32 v71, 0xffff0000, v77
	s_wait_loadcnt 0x9
	v_dual_fmac_f32 v66, v37, v68 :: v_dual_lshlrev_b32 v69, 16, v81
	s_delay_alu instid0(VALU_DEP_2)
	v_fmac_f32_e32 v67, v30, v71
	v_and_b32_e32 v71, 0xffff0000, v79
	s_wait_loadcnt 0x8
	v_lshlrev_b32_e32 v68, 16, v82
	s_wait_loadcnt 0x7
	v_dual_fmac_f32 v66, v39, v69 :: v_dual_lshlrev_b32 v69, 16, v83
	v_dual_fmac_f32 v67, v32, v70 :: v_dual_and_b32 v70, 0xffff0000, v80
	s_delay_alu instid0(VALU_DEP_2) | instskip(SKIP_1) | instid1(VALU_DEP_2)
	v_fmac_f32_e32 v66, v41, v68
	s_wait_loadcnt 0x6
	v_dual_fmac_f32 v67, v34, v71 :: v_dual_lshlrev_b32 v68, 16, v84
	s_delay_alu instid0(VALU_DEP_2) | instskip(SKIP_2) | instid1(VALU_DEP_3)
	v_fmac_f32_e32 v66, v43, v69
	s_wait_loadcnt 0x5
	v_lshlrev_b32_e32 v69, 16, v85
	v_fmac_f32_e32 v67, v38, v70
	v_and_b32_e32 v70, 0xffff0000, v82
	v_fmac_f32_e32 v66, v45, v68
	s_wait_loadcnt 0x4
	v_lshlrev_b32_e32 v68, 16, v86
	s_delay_alu instid0(VALU_DEP_2) | instskip(SKIP_2) | instid1(VALU_DEP_2)
	v_fmac_f32_e32 v66, v47, v69
	v_and_b32_e32 v71, 0xffff0000, v81
	s_wait_loadcnt 0x3
	v_dual_fmac_f32 v66, v49, v68 :: v_dual_lshlrev_b32 v69, 16, v87
	s_delay_alu instid0(VALU_DEP_2) | instskip(SKIP_3) | instid1(VALU_DEP_3)
	v_fmac_f32_e32 v67, v40, v71
	v_and_b32_e32 v71, 0xffff0000, v83
	s_wait_loadcnt 0x2
	v_lshlrev_b32_e32 v68, 16, v88
	v_dual_fmac_f32 v66, v51, v69 :: v_dual_fmac_f32 v67, v42, v70
	v_and_b32_e32 v70, 0xffff0000, v84
	s_wait_loadcnt 0x1
	s_delay_alu instid0(VALU_DEP_2) | instskip(SKIP_3) | instid1(VALU_DEP_3)
	v_dual_fmac_f32 v66, v53, v68 :: v_dual_lshlrev_b32 v69, 16, v89
	s_wait_loadcnt 0x0
	v_dual_fmac_f32 v67, v44, v71 :: v_dual_lshlrev_b32 v68, 16, v65
	v_and_b32_e32 v65, 0xffff0000, v65
	v_fmac_f32_e32 v66, v55, v69
	v_and_b32_e32 v71, 0xffff0000, v85
	s_delay_alu instid0(VALU_DEP_4) | instskip(NEXT) | instid1(VALU_DEP_3)
	v_fmac_f32_e32 v67, v46, v70
	v_fmac_f32_e32 v66, v58, v68
	s_delay_alu instid0(VALU_DEP_2) | instskip(SKIP_1) | instid1(VALU_DEP_2)
	v_dual_fmac_f32 v67, v48, v71 :: v_dual_and_b32 v70, 0xffff0000, v86
	v_and_b32_e32 v71, 0xffff0000, v87
	v_dual_fmac_f32 v67, v50, v70 :: v_dual_and_b32 v70, 0xffff0000, v88
	s_delay_alu instid0(VALU_DEP_1) | instskip(SKIP_1) | instid1(VALU_DEP_2)
	v_fmac_f32_e32 v67, v52, v71
	v_and_b32_e32 v71, 0xffff0000, v89
	v_fmac_f32_e32 v67, v54, v70
	s_delay_alu instid0(VALU_DEP_1) | instskip(NEXT) | instid1(VALU_DEP_1)
	v_fmac_f32_e32 v67, v57, v71
	v_fmac_f32_e32 v67, v59, v65
	s_delay_alu instid0(VALU_DEP_1)
	v_add_f32_e32 v65, v66, v67
	ds_bpermute_b32 v66, v60, v65
	s_wait_dscnt 0x0
	v_add_f32_e32 v65, v65, v66
	ds_bpermute_b32 v66, v61, v65
	s_and_saveexec_b32 s5, vcc_lo
	s_cbranch_execz .LBB151_9
; %bb.11:                               ;   in Loop: Header=BB151_10 Depth=1
	s_wait_dscnt 0x0
	v_add_f32_e32 v65, v65, v66
	v_add_nc_u32_e32 v67, s22, v62
	v_cmp_gt_i32_e64 s4, s25, v62
	s_delay_alu instid0(VALU_DEP_2) | instskip(NEXT) | instid1(VALU_DEP_1)
	v_cvt_f32_i32_e32 v67, v67
	v_mul_f32_e32 v67, s6, v67
	s_delay_alu instid0(VALU_DEP_1) | instskip(NEXT) | instid1(VALU_DEP_1)
	v_cndmask_b32_e64 v66, 0, v67, s3
	v_dual_max_num_f32 v67, v56, v56 :: v_dual_fmac_f32 v66, s7, v65
	s_delay_alu instid0(VALU_DEP_1) | instskip(SKIP_2) | instid1(VALU_DEP_2)
	v_max_num_f32_e32 v65, v67, v66
	s_wait_alu 0xf1ff
	v_cndmask_b32_e64 v66, 0, v66, s4
	v_cndmask_b32_e64 v56, v56, v65, s4
	ds_store_b32 v63, v66
	s_branch .LBB151_9
.LBB151_12:
	s_or_b32 exec_lo, exec_lo, s10
.LBB151_13:
	s_delay_alu instid0(SALU_CYCLE_1)
	s_or_b32 exec_lo, exec_lo, s11
	v_xor_b32_e32 v1, 16, v4
	v_xor_b32_e32 v7, 8, v4
	;; [unrolled: 1-line block ×3, first 2 shown]
	s_clause 0x2
	s_load_b128 s[4:7], s[0:1], 0x0
	s_load_b64 s[10:11], s[0:1], 0x10
	s_load_b64 s[22:23], s[0:1], 0x28
	v_and_b32_e32 v37, 31, v0
	v_cmp_lt_i32_e32 vcc_lo, v1, v6
	s_wait_alu 0xfffd
	v_cndmask_b32_e32 v1, v4, v1, vcc_lo
	v_cmp_lt_i32_e32 vcc_lo, v7, v6
	s_wait_alu 0xfffd
	s_delay_alu instid0(VALU_DEP_2)
	v_dual_cndmask_b32 v7, v4, v7 :: v_dual_lshlrev_b32 v2, 2, v1
	v_cmp_lt_i32_e32 vcc_lo, v9, v6
	ds_bpermute_b32 v1, v2, v56
	v_dual_max_num_f32 v8, v56, v56 :: v_dual_lshlrev_b32 v7, 2, v7
	s_wait_alu 0xfffd
	v_cndmask_b32_e32 v9, v4, v9, vcc_lo
	v_cmp_eq_u32_e32 vcc_lo, 0, v37
	s_delay_alu instid0(VALU_DEP_2) | instskip(SKIP_2) | instid1(VALU_DEP_1)
	v_lshlrev_b32_e32 v10, 2, v9
	s_wait_dscnt 0x0
	v_max_num_f32_e32 v1, v1, v1
	v_max_num_f32_e32 v1, v8, v1
	ds_bpermute_b32 v8, v7, v1
	s_wait_dscnt 0x0
	v_max_num_f32_e32 v8, v8, v8
	s_delay_alu instid0(VALU_DEP_1)
	v_dual_max_num_f32 v1, v1, v8 :: v_dual_lshlrev_b32 v8, 2, v35
	ds_bpermute_b32 v9, v10, v1
	s_and_saveexec_b32 s0, vcc_lo
	s_cbranch_execz .LBB151_15
; %bb.14:
	s_wait_dscnt 0x0
	v_max_num_f32_e32 v9, v9, v9
	v_max_num_f32_e32 v1, v1, v1
	s_delay_alu instid0(VALU_DEP_1)
	v_max_num_f32_e32 v1, v1, v9
	ds_store_b32 v8, v1 offset:384
.LBB151_15:
	s_or_b32 exec_lo, exec_lo, s0
	v_cmp_gt_u32_e64 s0, 4, v37
	v_mov_b32_e32 v1, 0xff7fffff
	s_wait_dscnt 0x0
	v_lshlrev_b32_e32 v9, 2, v37
	s_wait_loadcnt 0x0
	s_barrier_signal -1
	s_barrier_wait -1
	global_inv scope:SCOPE_SE
	s_and_saveexec_b32 s1, s0
; %bb.16:
	ds_load_b32 v1, v9 offset:384
; %bb.17:
	s_or_b32 exec_lo, exec_lo, s1
	v_xor_b32_e32 v11, 2, v4
	v_xor_b32_e32 v13, 1, v4
	v_lshlrev_b32_e32 v5, 2, v5
	s_delay_alu instid0(VALU_DEP_3) | instskip(NEXT) | instid1(VALU_DEP_1)
	v_cmp_lt_i32_e64 s1, v11, v6
	v_cndmask_b32_e64 v11, v4, v11, s1
	s_delay_alu instid0(VALU_DEP_4) | instskip(NEXT) | instid1(VALU_DEP_2)
	v_cmp_lt_i32_e64 s1, v13, v6
	v_lshlrev_b32_e32 v11, 2, v11
	s_wait_alu 0xf1ff
	s_delay_alu instid0(VALU_DEP_2)
	v_cndmask_b32_e64 v6, v4, v13, s1
	s_sub_co_i32 s1, s13, s28
	s_wait_alu 0xfffe
	s_lshl_b32 s1, s1, 3
	s_wait_dscnt 0x0
	ds_bpermute_b32 v12, v11, v1
	v_dual_max_num_f32 v1, v1, v1 :: v_dual_lshlrev_b32 v6, 2, v6
	s_wait_alu 0xfffe
	s_add_co_i32 s1, s1, s26
	s_wait_alu 0xfffe
	s_min_i32 s1, s1, s25
	s_wait_alu 0xfffe
	s_sub_co_i32 s21, s1, s26
	s_wait_alu 0xfffe
	v_cmp_gt_i32_e64 s1, s21, v0
	s_wait_dscnt 0x0
	v_max_num_f32_e32 v12, v12, v12
	s_delay_alu instid0(VALU_DEP_1) | instskip(SKIP_3) | instid1(VALU_DEP_1)
	v_max_num_f32_e32 v1, v1, v12
	ds_bpermute_b32 v12, v6, v1
	s_wait_dscnt 0x0
	v_max_num_f32_e32 v12, v12, v12
	v_dual_max_num_f32 v1, v1, v12 :: v_dual_mov_b32 v12, 0
	ds_bpermute_b32 v1, v5, v1
	v_lshl_add_u32 v5, v0, 2, 0x1a0
	s_and_saveexec_b32 s28, s1
	s_cbranch_execz .LBB151_21
; %bb.18:
	v_lshl_add_u32 v13, v0, 2, 0x1a0
	v_mov_b32_e32 v12, 0
	v_mov_b32_e32 v14, v0
	s_mov_b32 s29, 0
.LBB151_19:                             ; =>This Inner Loop Header: Depth=1
	ds_load_b32 v15, v13
	v_add_nc_u32_e32 v14, 0x80, v14
	s_delay_alu instid0(VALU_DEP_1) | instskip(SKIP_4) | instid1(VALU_DEP_1)
	v_cmp_le_i32_e64 s3, s21, v14
	s_wait_alu 0xfffe
	s_or_b32 s29, s3, s29
	s_wait_dscnt 0x0
	v_sub_f32_e32 v15, v15, v1
	v_mul_f32_e32 v15, 0x3fb8aa3b, v15
	s_delay_alu instid0(VALU_DEP_1)
	v_exp_f32_e32 v15, v15
	ds_store_b32 v13, v15
	v_dual_add_f32 v12, v12, v15 :: v_dual_add_nc_u32 v13, 0x200, v13
	s_wait_alu 0xfffe
	s_and_not1_b32 exec_lo, exec_lo, s29
	s_cbranch_execnz .LBB151_19
; %bb.20:
	s_or_b32 exec_lo, exec_lo, s29
.LBB151_21:
	s_wait_alu 0xfffe
	s_or_b32 exec_lo, exec_lo, s28
	ds_bpermute_b32 v2, v2, v12
	s_wait_dscnt 0x0
	v_add_f32_e32 v2, v12, v2
	ds_bpermute_b32 v7, v7, v2
	s_wait_dscnt 0x0
	v_add_f32_e32 v2, v2, v7
	;; [unrolled: 3-line block ×5, first 2 shown]
	s_and_saveexec_b32 s3, vcc_lo
; %bb.22:
	ds_store_b32 v8, v2 offset:400
; %bb.23:
	s_wait_alu 0xfffe
	s_or_b32 exec_lo, exec_lo, s3
	s_wait_loadcnt_dscnt 0x0
	s_barrier_signal -1
	s_barrier_wait -1
	global_inv scope:SCOPE_SE
	s_and_saveexec_b32 s3, s0
; %bb.24:
	ds_load_b32 v2, v9 offset:400
; %bb.25:
	s_wait_alu 0xfffe
	s_or_b32 exec_lo, exec_lo, s3
	s_wait_dscnt 0x0
	ds_bpermute_b32 v7, v11, v2
	v_lshlrev_b32_e32 v4, 2, v4
	s_delay_alu instid0(VALU_DEP_1)
	v_and_b32_e32 v4, 0xffffff80, v4
	s_wait_dscnt 0x0
	v_add_f32_e32 v2, v2, v7
	ds_bpermute_b32 v6, v6, v2
	s_wait_dscnt 0x0
	v_add_f32_e32 v2, v2, v6
	ds_bpermute_b32 v2, v4, v2
	s_and_saveexec_b32 s0, s1
	s_cbranch_execz .LBB151_28
; %bb.26:
	s_wait_dscnt 0x0
	v_add_f32_e32 v4, 0x358637bd, v2
	s_mov_b32 s1, 0
	s_delay_alu instid0(VALU_DEP_1) | instskip(NEXT) | instid1(VALU_DEP_1)
	v_div_scale_f32 v6, null, v4, v4, 1.0
	v_rcp_f32_e32 v7, v6
	s_delay_alu instid0(TRANS32_DEP_1) | instskip(NEXT) | instid1(VALU_DEP_1)
	v_fma_f32 v8, -v6, v7, 1.0
	v_fmac_f32_e32 v7, v8, v7
	v_div_scale_f32 v9, vcc_lo, 1.0, v4, 1.0
	s_delay_alu instid0(VALU_DEP_1) | instskip(NEXT) | instid1(VALU_DEP_1)
	v_mul_f32_e32 v8, v9, v7
	v_fma_f32 v10, -v6, v8, v9
	s_delay_alu instid0(VALU_DEP_1) | instskip(NEXT) | instid1(VALU_DEP_1)
	v_fmac_f32_e32 v8, v10, v7
	v_fma_f32 v6, -v6, v8, v9
	s_wait_alu 0xfffd
	s_delay_alu instid0(VALU_DEP_1) | instskip(NEXT) | instid1(VALU_DEP_1)
	v_div_fmas_f32 v6, v6, v7, v8
	v_div_fixup_f32 v4, v6, v4, 1.0
	v_mov_b32_e32 v6, v0
.LBB151_27:                             ; =>This Inner Loop Header: Depth=1
	ds_load_b32 v7, v5
	s_wait_dscnt 0x0
	v_dual_mul_f32 v7, v4, v7 :: v_dual_add_nc_u32 v6, 0x80, v6
	s_delay_alu instid0(VALU_DEP_1)
	v_cmp_le_i32_e32 vcc_lo, s21, v6
	ds_store_b32 v5, v7
	v_add_nc_u32_e32 v5, 0x200, v5
	s_wait_alu 0xfffe
	s_or_b32 s1, vcc_lo, s1
	s_wait_alu 0xfffe
	s_and_not1_b32 exec_lo, exec_lo, s1
	s_cbranch_execnz .LBB151_27
.LBB151_28:
	s_wait_alu 0xfffe
	s_or_b32 exec_lo, exec_lo, s0
	s_wait_kmcnt 0x0
	s_mul_i32 s0, s8, s14
	s_wait_loadcnt_dscnt 0x0
	s_wait_alu 0xfffe
	s_mul_i32 s14, s0, s15
	s_mov_b32 s0, exec_lo
	s_barrier_signal -1
	s_barrier_wait -1
	global_inv scope:SCOPE_SE
	v_cmpx_eq_u32_e32 0, v0
	s_cbranch_execz .LBB151_30
; %bb.29:
	s_ashr_i32 s15, s14, 31
	s_wait_alu 0xfffe
	s_mul_i32 s28, s8, ttmp9
	s_lshl_b32 s1, s24, 2
	s_lshl_b64 s[30:31], s[14:15], 2
	s_wait_alu 0xfffe
	s_ashr_i32 s29, s28, 31
	v_mov_b32_e32 v4, s1
	s_add_nc_u64 s[6:7], s[6:7], s[30:31]
	s_wait_alu 0xfffe
	s_lshl_b64 s[28:29], s[28:29], 2
	s_add_nc_u64 s[4:5], s[4:5], s[30:31]
	s_wait_alu 0xfffe
	s_add_nc_u64 s[6:7], s[6:7], s[28:29]
	s_add_nc_u64 s[4:5], s[4:5], s[28:29]
	s_clause 0x1
	global_store_b32 v4, v1, s[6:7]
	global_store_b32 v4, v2, s[4:5]
.LBB151_30:
	s_wait_alu 0xfffe
	s_or_b32 exec_lo, exec_lo, s0
	v_dual_mov_b32 v43, 0 :: v_dual_mov_b32 v42, 0
	v_dual_mov_b32 v41, 0 :: v_dual_mov_b32 v40, 0
	;; [unrolled: 1-line block ×3, first 2 shown]
	s_and_saveexec_b32 s1, s2
	s_cbranch_execz .LBB151_46
; %bb.31:
	s_ashr_i32 s21, s20, 31
	v_dual_mov_b32 v38, 0 :: v_dual_lshlrev_b32 v1, 4, v37
	s_wait_alu 0xfffe
	s_lshl_b64 s[4:5], s[20:21], 1
	v_lshl_add_u32 v46, v35, 3, s26
	s_wait_alu 0xfffe
	s_add_nc_u64 s[4:5], s[22:23], s[4:5]
	v_lshl_add_u32 v47, v35, 5, 0x1a0
	s_wait_alu 0xfffe
	v_add_co_u32 v44, s0, s4, v1
	s_wait_alu 0xf1ff
	v_add_co_ci_u32_e64 v45, null, s5, 0, s0
	s_lshl_b64 s[4:5], s[16:17], 2
	v_dual_mov_b32 v39, 0 :: v_dual_mov_b32 v40, 0
	s_wait_alu 0xfffe
	s_add_nc_u64 s[4:5], s[18:19], s[4:5]
	v_dual_mov_b32 v41, 0 :: v_dual_mov_b32 v42, 0
	s_wait_alu 0xfffe
	v_add_co_u32 v33, s0, s4, v3
	s_wait_alu 0xf1ff
	v_add_co_ci_u32_e64 v34, null, s5, 0, s0
	v_mov_b32_e32 v43, 0
	s_mov_b32 s2, s9
	s_add_co_i32 s3, s27, -1
	s_mov_b32 s5, s25
	s_mov_b32 s4, 0
	s_branch .LBB151_33
.LBB151_32:                             ;   in Loop: Header=BB151_33 Depth=1
	s_wait_alu 0xfffe
	s_or_b32 exec_lo, exec_lo, s0
	s_wait_dscnt 0x1
	v_bfe_u32 v48, v25, 16, 1
	v_bfe_u32 v49, v26, 16, 1
	v_or_b32_e32 v50, 0x400000, v25
	v_cmp_u_f32_e32 vcc_lo, v25, v25
	v_or_b32_e32 v51, 0x400000, v26
	v_add3_u32 v48, v48, v25, 0x7fff
	v_bfe_u32 v52, v27, 16, 1
	v_add3_u32 v49, v49, v26, 0x7fff
	v_bfe_u32 v53, v28, 16, 1
	s_wait_loadcnt 0x1
	v_and_b32_e32 v55, 0xffff0000, v32
	s_wait_alu 0xfffd
	v_cndmask_b32_e32 v25, v48, v50, vcc_lo
	v_cmp_u_f32_e32 vcc_lo, v26, v26
	v_add3_u32 v48, v52, v27, 0x7fff
	v_add3_u32 v50, v53, v28, 0x7fff
	s_wait_dscnt 0x0
	v_bfe_u32 v52, v17, 16, 1
	v_add_co_u32 v33, s0, v33, 16
	s_wait_alu 0xfffd
	v_cndmask_b32_e32 v26, v49, v51, vcc_lo
	v_or_b32_e32 v49, 0x400000, v27
	v_cmp_u_f32_e32 vcc_lo, v27, v27
	v_or_b32_e32 v51, 0x400000, v28
	v_add_nc_u32_e32 v47, 0x80, v47
	s_wait_alu 0xf1ff
	v_add_co_ci_u32_e64 v34, null, 0, v34, s0
	s_wait_alu 0xfffd
	v_cndmask_b32_e32 v27, v48, v49, vcc_lo
	v_cmp_u_f32_e32 vcc_lo, v28, v28
	v_bfe_u32 v48, v18, 16, 1
	v_add3_u32 v49, v52, v17, 0x7fff
	v_bfe_u32 v52, v19, 16, 1
	v_lshlrev_b32_e32 v32, 16, v32
	s_wait_alu 0xfffd
	v_cndmask_b32_e32 v28, v50, v51, vcc_lo
	v_or_b32_e32 v50, 0x400000, v17
	v_cmp_u_f32_e32 vcc_lo, v17, v17
	v_add3_u32 v48, v48, v18, 0x7fff
	v_or_b32_e32 v51, 0x400000, v18
	v_add_nc_u32_e32 v46, 32, v46
	s_wait_alu 0xfffd
	v_dual_cndmask_b32 v49, v49, v50 :: v_dual_add_nc_u32 v36, 4, v36
	v_cmp_u_f32_e32 vcc_lo, v18, v18
	v_add3_u32 v18, v52, v19, 0x7fff
	v_bfe_u32 v50, v20, 16, 1
	v_or_b32_e32 v52, 0x400000, v20
	s_wait_alu 0xfffd
	v_cndmask_b32_e32 v48, v48, v51, vcc_lo
	v_or_b32_e32 v51, 0x400000, v19
	v_cmp_u_f32_e32 vcc_lo, v19, v19
	v_add3_u32 v50, v50, v20, 0x7fff
	s_wait_alu 0xfffd
	s_delay_alu instid0(VALU_DEP_3) | instskip(SKIP_2) | instid1(VALU_DEP_2)
	v_dual_cndmask_b32 v51, v18, v51 :: v_dual_and_b32 v18, 0xffff0000, v28
	v_and_b32_e32 v28, 0xffff0000, v30
	v_cmp_u_f32_e32 vcc_lo, v20, v20
	v_dual_mul_f32 v54, v18, v28 :: v_dual_and_b32 v17, 0xffff0000, v26
	v_and_b32_e32 v28, 0xffff0000, v27
	v_lshlrev_b32_e32 v27, 16, v30
	v_and_b32_e32 v26, 0xffff0000, v29
	s_wait_alu 0xfffd
	s_delay_alu instid0(VALU_DEP_2) | instskip(NEXT) | instid1(VALU_DEP_2)
	v_dual_cndmask_b32 v20, v50, v52 :: v_dual_mul_f32 v27, v28, v27
	v_dual_mul_f32 v26, v17, v26 :: v_dual_and_b32 v25, 0xffff0000, v25
	s_delay_alu instid0(VALU_DEP_2) | instskip(NEXT) | instid1(VALU_DEP_2)
	v_and_b32_e32 v20, 0xffff0000, v20
	v_bfe_u32 v19, v26, 16, 1
	v_or_b32_e32 v52, 0x400000, v26
	v_cmp_u_f32_e32 vcc_lo, v26, v26
	s_delay_alu instid0(VALU_DEP_3) | instskip(SKIP_3) | instid1(VALU_DEP_2)
	v_add3_u32 v19, v19, v26, 0x7fff
	v_lshlrev_b32_e32 v29, 16, v29
	v_and_b32_e32 v26, 0xffff0000, v49
	s_wait_alu 0xfffd
	v_dual_cndmask_b32 v30, v19, v52 :: v_dual_mul_f32 v29, v25, v29
	v_and_b32_e32 v19, 0xffff0000, v48
	v_and_b32_e32 v48, 0xffff0000, v31
	v_lshlrev_b32_e32 v31, 16, v31
	v_bfe_u32 v52, v27, 16, 1
	v_bfe_u32 v50, v29, 16, 1
	v_or_b32_e32 v53, 0x400000, v29
	v_cmp_u_f32_e32 vcc_lo, v29, v29
	v_mul_f32_e32 v48, v19, v48
	v_and_b32_e32 v30, 0xffff0000, v30
	v_add3_u32 v50, v50, v29, 0x7fff
	s_wait_alu 0xfffd
	s_delay_alu instid0(VALU_DEP_1) | instskip(SKIP_3) | instid1(VALU_DEP_4)
	v_cndmask_b32_e32 v29, v50, v53, vcc_lo
	v_bfe_u32 v50, v54, 16, 1
	v_cmp_u_f32_e32 vcc_lo, v54, v54
	v_bfe_u32 v53, v48, 16, 1
	v_and_b32_e32 v29, 0xffff0000, v29
	s_delay_alu instid0(VALU_DEP_4) | instskip(SKIP_2) | instid1(VALU_DEP_1)
	v_add3_u32 v49, v50, v54, 0x7fff
	v_or_b32_e32 v50, 0x400000, v54
	s_wait_alu 0xfffd
	v_cndmask_b32_e32 v49, v49, v50, vcc_lo
	v_add3_u32 v50, v52, v27, 0x7fff
	v_or_b32_e32 v52, 0x400000, v27
	v_cmp_u_f32_e32 vcc_lo, v27, v27
	v_and_b32_e32 v27, 0xffff0000, v51
	s_wait_alu 0xfffd
	s_delay_alu instid0(VALU_DEP_3) | instskip(SKIP_4) | instid1(VALU_DEP_2)
	v_dual_cndmask_b32 v50, v50, v52 :: v_dual_and_b32 v49, 0xffff0000, v49
	v_add3_u32 v52, v53, v48, 0x7fff
	v_or_b32_e32 v53, 0x400000, v48
	v_cmp_u_f32_e32 vcc_lo, v48, v48
	s_wait_alu 0xfffd
	v_dual_cndmask_b32 v48, v52, v53 :: v_dual_add_f32 v29, v29, v30
	s_delay_alu instid0(VALU_DEP_1) | instskip(SKIP_1) | instid1(VALU_DEP_1)
	v_and_b32_e32 v48, 0xffff0000, v48
	v_and_b32_e32 v50, 0xffff0000, v50
	v_dual_add_f32 v30, v50, v49 :: v_dual_mul_f32 v55, v20, v55
	v_dual_mul_f32 v31, v26, v31 :: v_dual_and_b32 v50, 0xffff0000, v22
	v_lshlrev_b32_e32 v22, 16, v22
	v_and_b32_e32 v49, 0xffff0000, v21
	s_delay_alu instid0(VALU_DEP_4) | instskip(NEXT) | instid1(VALU_DEP_4)
	v_bfe_u32 v56, v55, 16, 1
	v_bfe_u32 v54, v31, 16, 1
	v_or_b32_e32 v51, 0x400000, v31
	v_cmp_u_f32_e32 vcc_lo, v31, v31
	v_or_b32_e32 v52, 0x400000, v55
	v_lshlrev_b32_e32 v21, 16, v21
	v_add3_u32 v54, v54, v31, 0x7fff
	v_dual_add_f32 v29, v30, v29 :: v_dual_mul_f32 v22, v28, v22
	s_wait_alu 0xfffd
	s_delay_alu instid0(VALU_DEP_2) | instskip(SKIP_2) | instid1(VALU_DEP_3)
	v_dual_cndmask_b32 v31, v54, v51 :: v_dual_mul_f32 v32, v27, v32
	v_add3_u32 v51, v56, v55, 0x7fff
	v_cmp_u_f32_e32 vcc_lo, v55, v55
	v_and_b32_e32 v31, 0xffff0000, v31
	s_delay_alu instid0(VALU_DEP_4)
	v_bfe_u32 v53, v32, 16, 1
	s_wait_alu 0xfffd
	v_cndmask_b32_e32 v51, v51, v52, vcc_lo
	v_cmp_u_f32_e32 vcc_lo, v32, v32
	v_add_f32_e32 v31, v31, v48
	v_add3_u32 v52, v53, v32, 0x7fff
	v_or_b32_e32 v53, 0x400000, v32
	s_delay_alu instid0(VALU_DEP_3) | instskip(SKIP_1) | instid1(VALU_DEP_2)
	v_dual_add_f32 v29, v31, v29 :: v_dual_and_b32 v48, 0xffff0000, v51
	s_wait_alu 0xfffd
	v_cndmask_b32_e32 v32, v52, v53, vcc_lo
	s_delay_alu instid0(VALU_DEP_1) | instskip(NEXT) | instid1(VALU_DEP_1)
	v_dual_mul_f32 v21, v25, v21 :: v_dual_and_b32 v32, 0xffff0000, v32
	v_bfe_u32 v31, v21, 16, 1
	v_or_b32_e32 v51, 0x400000, v21
	s_delay_alu instid0(VALU_DEP_3) | instskip(NEXT) | instid1(VALU_DEP_3)
	v_add_f32_e32 v32, v32, v48
	v_add3_u32 v31, v31, v21, 0x7fff
	v_mul_f32_e32 v30, v17, v49
	s_delay_alu instid0(VALU_DEP_3) | instskip(NEXT) | instid1(VALU_DEP_2)
	v_dual_add_f32 v29, v32, v29 :: v_dual_and_b32 v32, 0xffff0000, v16
	v_bfe_u32 v49, v30, 16, 1
	v_cmp_u_f32_e32 vcc_lo, v30, v30
	s_delay_alu instid0(VALU_DEP_3) | instskip(NEXT) | instid1(VALU_DEP_3)
	v_add_f32_e32 v39, v39, v29
	v_add3_u32 v48, v49, v30, 0x7fff
	v_or_b32_e32 v49, 0x400000, v30
	s_wait_alu 0xfffd
	s_delay_alu instid0(VALU_DEP_1)
	v_cndmask_b32_e32 v30, v48, v49, vcc_lo
	v_cmp_u_f32_e32 vcc_lo, v21, v21
	s_wait_alu 0xfffd
	v_cndmask_b32_e32 v21, v31, v51, vcc_lo
	v_and_b32_e32 v31, 0xffff0000, v23
	v_bfe_u32 v51, v22, 16, 1
	s_delay_alu instid0(VALU_DEP_3) | instskip(NEXT) | instid1(VALU_DEP_3)
	v_and_b32_e32 v21, 0xffff0000, v21
	v_dual_mul_f32 v31, v19, v31 :: v_dual_mul_f32 v50, v18, v50
	s_delay_alu instid0(VALU_DEP_1) | instskip(SKIP_2) | instid1(VALU_DEP_3)
	v_bfe_u32 v48, v50, 16, 1
	v_or_b32_e32 v49, 0x400000, v50
	v_cmp_u_f32_e32 vcc_lo, v50, v50
	v_add3_u32 v48, v48, v50, 0x7fff
	v_lshlrev_b32_e32 v23, 16, v23
	v_or_b32_e32 v50, 0x400000, v22
	s_wait_alu 0xfffd
	s_delay_alu instid0(VALU_DEP_2) | instskip(SKIP_3) | instid1(VALU_DEP_4)
	v_dual_cndmask_b32 v48, v48, v49 :: v_dual_mul_f32 v23, v26, v23
	v_add3_u32 v49, v51, v22, 0x7fff
	v_bfe_u32 v51, v31, 16, 1
	v_cmp_u_f32_e32 vcc_lo, v22, v22
	v_and_b32_e32 v48, 0xffff0000, v48
	v_bfe_u32 v53, v23, 16, 1
	s_wait_alu 0xfffd
	v_cndmask_b32_e32 v22, v49, v50, vcc_lo
	v_add3_u32 v49, v51, v31, 0x7fff
	v_or_b32_e32 v51, 0x400000, v31
	v_cmp_u_f32_e32 vcc_lo, v31, v31
	v_and_b32_e32 v52, 0xffff0000, v24
	s_wait_alu 0xfffd
	s_delay_alu instid0(VALU_DEP_3) | instskip(NEXT) | instid1(VALU_DEP_2)
	v_dual_cndmask_b32 v31, v49, v51 :: v_dual_and_b32 v22, 0xffff0000, v22
	v_mul_f32_e32 v50, v20, v52
	v_add3_u32 v52, v53, v23, 0x7fff
	v_or_b32_e32 v53, 0x400000, v23
	v_cmp_u_f32_e32 vcc_lo, v23, v23
	v_lshlrev_b32_e32 v24, 16, v24
	v_bfe_u32 v54, v50, 16, 1
	v_or_b32_e32 v51, 0x400000, v50
	s_wait_alu 0xfffd
	v_cndmask_b32_e32 v23, v52, v53, vcc_lo
	v_cmp_u_f32_e32 vcc_lo, v50, v50
	v_add3_u32 v49, v54, v50, 0x7fff
	v_mul_f32_e32 v24, v27, v24
	s_delay_alu instid0(VALU_DEP_4) | instskip(SKIP_1) | instid1(VALU_DEP_3)
	v_dual_add_f32 v22, v22, v48 :: v_dual_and_b32 v23, 0xffff0000, v23
	s_wait_alu 0xfffd
	v_dual_cndmask_b32 v49, v49, v51 :: v_dual_and_b32 v30, 0xffff0000, v30
	s_delay_alu instid0(VALU_DEP_3) | instskip(SKIP_2) | instid1(VALU_DEP_4)
	v_bfe_u32 v52, v24, 16, 1
	v_or_b32_e32 v51, 0x400000, v24
	v_cmp_u_f32_e32 vcc_lo, v24, v24
	v_add_f32_e32 v21, v21, v30
	s_delay_alu instid0(VALU_DEP_4) | instskip(NEXT) | instid1(VALU_DEP_2)
	v_add3_u32 v50, v52, v24, 0x7fff
	v_add_f32_e32 v21, v22, v21
	v_and_b32_e32 v22, 0xffff0000, v13
	v_lshlrev_b32_e32 v13, 16, v13
	s_delay_alu instid0(VALU_DEP_1) | instskip(SKIP_1) | instid1(VALU_DEP_1)
	v_dual_mul_f32 v31, v25, v13 :: v_dual_and_b32 v30, 0xffff0000, v31
	s_wait_alu 0xfffd
	v_dual_cndmask_b32 v24, v50, v51 :: v_dual_add_f32 v23, v23, v30
	v_and_b32_e32 v30, 0xffff0000, v49
	s_delay_alu instid0(VALU_DEP_2) | instskip(NEXT) | instid1(VALU_DEP_1)
	v_dual_add_f32 v13, v23, v21 :: v_dual_and_b32 v24, 0xffff0000, v24
	v_add_f32_e32 v21, v24, v30
	v_mul_f32_e32 v22, v17, v22
	v_bfe_u32 v24, v31, 16, 1
	v_or_b32_e32 v30, 0x400000, v31
	s_delay_alu instid0(VALU_DEP_4) | instskip(NEXT) | instid1(VALU_DEP_4)
	v_add_f32_e32 v13, v21, v13
	v_bfe_u32 v23, v22, 16, 1
	v_cmp_u_f32_e32 vcc_lo, v22, v22
	v_add3_u32 v24, v24, v31, 0x7fff
	s_delay_alu instid0(VALU_DEP_3) | instskip(SKIP_2) | instid1(VALU_DEP_1)
	v_add3_u32 v21, v23, v22, 0x7fff
	v_or_b32_e32 v23, 0x400000, v22
	s_wait_alu 0xfffd
	v_cndmask_b32_e32 v21, v21, v23, vcc_lo
	v_cmp_u_f32_e32 vcc_lo, v31, v31
	s_delay_alu instid0(VALU_DEP_2) | instskip(SKIP_4) | instid1(VALU_DEP_3)
	v_and_b32_e32 v21, 0xffff0000, v21
	s_wait_alu 0xfffd
	v_dual_cndmask_b32 v23, v24, v30 :: v_dual_and_b32 v24, 0xffff0000, v15
	v_and_b32_e32 v29, 0xffff0000, v14
	v_lshlrev_b32_e32 v14, 16, v14
	v_dual_mul_f32 v24, v19, v24 :: v_dual_and_b32 v23, 0xffff0000, v23
	s_delay_alu instid0(VALU_DEP_2) | instskip(SKIP_1) | instid1(VALU_DEP_3)
	v_dual_mul_f32 v29, v18, v29 :: v_dual_mul_f32 v14, v28, v14
	v_add_f32_e32 v40, v40, v13
	v_add_f32_e32 v21, v23, v21
	s_delay_alu instid0(VALU_DEP_3) | instskip(SKIP_3) | instid1(VALU_DEP_4)
	v_bfe_u32 v22, v29, 16, 1
	v_or_b32_e32 v30, 0x400000, v29
	v_bfe_u32 v31, v14, 16, 1
	v_cmp_u_f32_e32 vcc_lo, v29, v29
	v_add3_u32 v22, v22, v29, 0x7fff
	v_lshlrev_b32_e32 v15, 16, v15
	s_delay_alu instid0(VALU_DEP_4)
	v_add3_u32 v29, v31, v14, 0x7fff
	v_bfe_u32 v31, v24, 16, 1
	s_wait_alu 0xfffd
	v_cndmask_b32_e32 v22, v22, v30, vcc_lo
	v_or_b32_e32 v30, 0x400000, v14
	v_cmp_u_f32_e32 vcc_lo, v14, v14
	s_wait_alu 0xfffd
	s_delay_alu instid0(VALU_DEP_2) | instskip(NEXT) | instid1(VALU_DEP_1)
	v_dual_mul_f32 v15, v26, v15 :: v_dual_cndmask_b32 v14, v29, v30
	v_bfe_u32 v48, v15, 16, 1
	v_add3_u32 v29, v31, v24, 0x7fff
	v_mul_f32_e32 v30, v20, v32
	v_or_b32_e32 v31, 0x400000, v24
	v_cmp_u_f32_e32 vcc_lo, v24, v24
	v_add3_u32 v32, v48, v15, 0x7fff
	v_or_b32_e32 v48, 0x400000, v15
	v_bfe_u32 v49, v30, 16, 1
	v_and_b32_e32 v14, 0xffff0000, v14
	s_wait_alu 0xfffd
	v_cndmask_b32_e32 v24, v29, v31, vcc_lo
	v_cmp_u_f32_e32 vcc_lo, v15, v15
	v_or_b32_e32 v31, 0x400000, v30
	v_add3_u32 v29, v49, v30, 0x7fff
	s_wait_alu 0xfffd
	v_cndmask_b32_e32 v15, v32, v48, vcc_lo
	v_cmp_u_f32_e32 vcc_lo, v30, v30
	v_lshlrev_b32_e32 v16, 16, v16
	s_delay_alu instid0(VALU_DEP_3) | instskip(SKIP_1) | instid1(VALU_DEP_2)
	v_and_b32_e32 v15, 0xffff0000, v15
	s_wait_alu 0xfffd
	v_dual_cndmask_b32 v29, v29, v31 :: v_dual_mul_f32 v16, v27, v16
	s_delay_alu instid0(VALU_DEP_1) | instskip(SKIP_2) | instid1(VALU_DEP_3)
	v_bfe_u32 v32, v16, 16, 1
	v_or_b32_e32 v31, 0x400000, v16
	v_cmp_u_f32_e32 vcc_lo, v16, v16
	v_add3_u32 v30, v32, v16, 0x7fff
	s_wait_alu 0xfffd
	s_delay_alu instid0(VALU_DEP_1) | instskip(SKIP_1) | instid1(VALU_DEP_1)
	v_dual_cndmask_b32 v16, v30, v31 :: v_dual_and_b32 v23, 0xffff0000, v5
	v_and_b32_e32 v22, 0xffff0000, v22
	v_add_f32_e32 v14, v14, v22
	s_delay_alu instid0(VALU_DEP_1) | instskip(SKIP_3) | instid1(VALU_DEP_3)
	v_add_f32_e32 v14, v14, v21
	v_lshlrev_b32_e32 v5, 16, v5
	v_dual_mul_f32 v21, v17, v23 :: v_dual_and_b32 v22, 0xffff0000, v24
	v_and_b32_e32 v23, 0xffff0000, v6
	v_mul_f32_e32 v5, v25, v5
	s_delay_alu instid0(VALU_DEP_3) | instskip(NEXT) | instid1(VALU_DEP_4)
	v_add_f32_e32 v15, v15, v22
	v_bfe_u32 v24, v21, 16, 1
	v_cmp_u_f32_e32 vcc_lo, v21, v21
	v_and_b32_e32 v22, 0xffff0000, v29
	v_or_b32_e32 v29, 0x400000, v5
	v_add_f32_e32 v14, v15, v14
	v_bfe_u32 v15, v5, 16, 1
	s_delay_alu instid0(VALU_DEP_1) | instskip(SKIP_1) | instid1(VALU_DEP_1)
	v_add3_u32 v15, v15, v5, 0x7fff
	v_and_b32_e32 v16, 0xffff0000, v16
	v_add_f32_e32 v16, v16, v22
	v_mul_f32_e32 v22, v18, v23
	v_add3_u32 v23, v24, v21, 0x7fff
	v_or_b32_e32 v24, 0x400000, v21
	s_delay_alu instid0(VALU_DEP_3) | instskip(SKIP_1) | instid1(VALU_DEP_2)
	v_bfe_u32 v30, v22, 16, 1
	s_wait_alu 0xfffd
	v_cndmask_b32_e32 v21, v23, v24, vcc_lo
	v_cmp_u_f32_e32 vcc_lo, v5, v5
	v_or_b32_e32 v23, 0x400000, v22
	v_and_b32_e32 v24, 0xffff0000, v7
	v_lshlrev_b32_e32 v7, 16, v7
	s_wait_alu 0xfffd
	v_cndmask_b32_e32 v5, v15, v29, vcc_lo
	v_add3_u32 v15, v30, v22, 0x7fff
	v_cmp_u_f32_e32 vcc_lo, v22, v22
	v_lshlrev_b32_e32 v6, 16, v6
	v_dual_mul_f32 v22, v19, v24 :: v_dual_mul_f32 v7, v26, v7
	v_and_b32_e32 v5, 0xffff0000, v5
	s_wait_alu 0xfffd
	s_delay_alu instid0(VALU_DEP_3) | instskip(NEXT) | instid1(VALU_DEP_3)
	v_dual_cndmask_b32 v15, v15, v23 :: v_dual_mul_f32 v6, v28, v6
	v_bfe_u32 v30, v22, 16, 1
	v_bfe_u32 v31, v7, 16, 1
	s_delay_alu instid0(VALU_DEP_3) | instskip(NEXT) | instid1(VALU_DEP_4)
	v_and_b32_e32 v15, 0xffff0000, v15
	v_bfe_u32 v29, v6, 16, 1
	v_or_b32_e32 v24, 0x400000, v6
	v_cmp_u_f32_e32 vcc_lo, v6, v6
	s_delay_alu instid0(VALU_DEP_3) | instskip(SKIP_2) | instid1(VALU_DEP_1)
	v_add3_u32 v23, v29, v6, 0x7fff
	v_and_b32_e32 v29, 0xffff0000, v8
	s_wait_alu 0xfffd
	v_dual_cndmask_b32 v6, v23, v24 :: v_dual_mul_f32 v23, v20, v29
	v_add3_u32 v24, v30, v22, 0x7fff
	v_or_b32_e32 v29, 0x400000, v22
	v_cmp_u_f32_e32 vcc_lo, v22, v22
	v_add3_u32 v30, v31, v7, 0x7fff
	v_or_b32_e32 v31, 0x400000, v7
	v_bfe_u32 v32, v23, 16, 1
	s_wait_alu 0xfffd
	v_cndmask_b32_e32 v22, v24, v29, vcc_lo
	v_cmp_u_f32_e32 vcc_lo, v7, v7
	v_or_b32_e32 v29, 0x400000, v23
	v_add3_u32 v24, v32, v23, 0x7fff
	s_wait_alu 0xfffd
	v_cndmask_b32_e32 v7, v30, v31, vcc_lo
	v_cmp_u_f32_e32 vcc_lo, v23, v23
	v_lshlrev_b32_e32 v8, 16, v8
	v_and_b32_e32 v6, 0xffff0000, v6
	v_and_b32_e32 v21, 0xffff0000, v21
	s_wait_alu 0xfffd
	s_delay_alu instid0(VALU_DEP_3) | instskip(NEXT) | instid1(VALU_DEP_2)
	v_dual_cndmask_b32 v23, v24, v29 :: v_dual_mul_f32 v8, v27, v8
	v_dual_add_f32 v6, v6, v15 :: v_dual_add_f32 v5, v5, v21
	v_and_b32_e32 v21, 0xffff0000, v22
	s_delay_alu instid0(VALU_DEP_3) | instskip(SKIP_1) | instid1(VALU_DEP_2)
	v_bfe_u32 v24, v8, 16, 1
	v_cmp_u_f32_e32 vcc_lo, v8, v8
	v_add3_u32 v22, v24, v8, 0x7fff
	v_or_b32_e32 v24, 0x400000, v8
	s_wait_alu 0xfffd
	s_delay_alu instid0(VALU_DEP_1) | instskip(SKIP_1) | instid1(VALU_DEP_2)
	v_dual_cndmask_b32 v8, v22, v24 :: v_dual_and_b32 v7, 0xffff0000, v7
	v_add_f32_e32 v5, v6, v5
	v_dual_add_f32 v7, v7, v21 :: v_dual_and_b32 v22, 0xffff0000, v23
	s_delay_alu instid0(VALU_DEP_1) | instskip(SKIP_3) | instid1(VALU_DEP_4)
	v_dual_add_f32 v5, v7, v5 :: v_dual_and_b32 v8, 0xffff0000, v8
	v_and_b32_e32 v7, 0xffff0000, v2
	v_lshlrev_b32_e32 v2, 16, v2
	v_and_b32_e32 v15, 0xffff0000, v1
	v_dual_add_f32 v8, v8, v22 :: v_dual_lshlrev_b32 v1, 16, v1
	s_delay_alu instid0(VALU_DEP_3) | instskip(NEXT) | instid1(VALU_DEP_3)
	v_mul_f32_e32 v2, v28, v2
	v_mul_f32_e32 v6, v17, v15
	s_delay_alu instid0(VALU_DEP_3) | instskip(NEXT) | instid1(VALU_DEP_4)
	v_mul_f32_e32 v1, v25, v1
	v_add_f32_e32 v5, v8, v5
	s_delay_alu instid0(VALU_DEP_3) | instskip(SKIP_1) | instid1(VALU_DEP_4)
	v_bfe_u32 v15, v6, 16, 1
	v_or_b32_e32 v21, 0x400000, v6
	v_bfe_u32 v23, v1, 16, 1
	v_cmp_u_f32_e32 vcc_lo, v6, v6
	v_or_b32_e32 v24, 0x400000, v1
	v_add3_u32 v15, v15, v6, 0x7fff
	v_add_f32_e32 v42, v42, v5
	s_wait_alu 0xfffd
	s_delay_alu instid0(VALU_DEP_2) | instskip(SKIP_3) | instid1(VALU_DEP_2)
	v_cndmask_b32_e32 v6, v15, v21, vcc_lo
	v_add3_u32 v21, v23, v1, 0x7fff
	v_cmp_u_f32_e32 vcc_lo, v1, v1
	s_wait_alu 0xfffd
	v_dual_cndmask_b32 v1, v21, v24 :: v_dual_and_b32 v6, 0xffff0000, v6
	v_bfe_u32 v21, v2, 16, 1
	v_and_b32_e32 v24, 0xffff0000, v4
	v_lshlrev_b32_e32 v4, 16, v4
	v_and_b32_e32 v23, 0xffff0000, v3
	v_lshlrev_b32_e32 v3, 16, v3
	v_add3_u32 v21, v21, v2, 0x7fff
	s_delay_alu instid0(VALU_DEP_4) | instskip(NEXT) | instid1(VALU_DEP_4)
	v_dual_mul_f32 v7, v18, v7 :: v_dual_mul_f32 v4, v27, v4
	v_mul_f32_e32 v23, v19, v23
	s_delay_alu instid0(VALU_DEP_4) | instskip(NEXT) | instid1(VALU_DEP_3)
	v_dual_mul_f32 v3, v26, v3 :: v_dual_mul_f32 v24, v20, v24
	v_bfe_u32 v15, v7, 16, 1
	v_or_b32_e32 v29, 0x400000, v7
	v_cmp_u_f32_e32 vcc_lo, v7, v7
	v_or_b32_e32 v30, 0x400000, v23
	s_delay_alu instid0(VALU_DEP_4) | instskip(SKIP_1) | instid1(VALU_DEP_1)
	v_add3_u32 v15, v15, v7, 0x7fff
	s_wait_alu 0xfffd
	v_cndmask_b32_e32 v7, v15, v29, vcc_lo
	v_bfe_u32 v15, v23, 16, 1
	v_or_b32_e32 v29, 0x400000, v2
	v_cmp_u_f32_e32 vcc_lo, v2, v2
	s_delay_alu instid0(VALU_DEP_4) | instskip(NEXT) | instid1(VALU_DEP_4)
	v_and_b32_e32 v7, 0xffff0000, v7
	v_add3_u32 v15, v15, v23, 0x7fff
	s_wait_alu 0xfffd
	v_cndmask_b32_e32 v2, v21, v29, vcc_lo
	v_bfe_u32 v21, v3, 16, 1
	v_cmp_u_f32_e32 vcc_lo, v23, v23
	v_bfe_u32 v29, v24, 16, 1
	v_or_b32_e32 v23, 0x400000, v3
	v_and_b32_e32 v2, 0xffff0000, v2
	v_add3_u32 v21, v21, v3, 0x7fff
	s_wait_alu 0xfffd
	v_cndmask_b32_e32 v15, v15, v30, vcc_lo
	v_cmp_u_f32_e32 vcc_lo, v3, v3
	v_add3_u32 v29, v29, v24, 0x7fff
	v_or_b32_e32 v30, 0x400000, v24
	v_add_f32_e32 v2, v2, v7
	s_wait_alu 0xfffd
	v_cndmask_b32_e32 v3, v21, v23, vcc_lo
	v_cmp_u_f32_e32 vcc_lo, v24, v24
	v_bfe_u32 v23, v4, 16, 1
	v_or_b32_e32 v24, 0x400000, v4
	s_wait_alu 0xfffd
	v_cndmask_b32_e32 v21, v29, v30, vcc_lo
	s_wait_loadcnt 0x0
	v_lshlrev_b32_e32 v29, 16, v9
	v_add3_u32 v23, v23, v4, 0x7fff
	v_cmp_u_f32_e32 vcc_lo, v4, v4
	v_and_b32_e32 v9, 0xffff0000, v9
	s_wait_alu 0xfffd
	s_delay_alu instid0(VALU_DEP_3) | instskip(NEXT) | instid1(VALU_DEP_1)
	v_dual_mul_f32 v7, v25, v29 :: v_dual_cndmask_b32 v4, v23, v24
	v_cmp_u_f32_e32 vcc_lo, v7, v7
	v_and_b32_e32 v1, 0xffff0000, v1
	s_delay_alu instid0(VALU_DEP_3) | instskip(SKIP_1) | instid1(VALU_DEP_3)
	v_and_b32_e32 v4, 0xffff0000, v4
	v_and_b32_e32 v3, 0xffff0000, v3
	v_dual_add_f32 v1, v1, v6 :: v_dual_and_b32 v6, 0xffff0000, v15
	s_delay_alu instid0(VALU_DEP_1) | instskip(SKIP_3) | instid1(VALU_DEP_4)
	v_dual_add_f32 v3, v3, v6 :: v_dual_mul_f32 v6, v17, v9
	v_lshlrev_b32_e32 v9, 16, v10
	v_and_b32_e32 v10, 0xffff0000, v10
	v_or_b32_e32 v15, 0x400000, v7
	v_bfe_u32 v17, v6, 16, 1
	s_delay_alu instid0(VALU_DEP_3) | instskip(SKIP_2) | instid1(VALU_DEP_2)
	v_mul_f32_e32 v10, v18, v10
	v_dual_add_f32 v1, v2, v1 :: v_dual_lshlrev_b32 v18, 16, v11
	v_bfe_u32 v2, v7, 16, 1
	v_mul_f32_e32 v18, v26, v18
	s_delay_alu instid0(VALU_DEP_2) | instskip(SKIP_2) | instid1(VALU_DEP_2)
	v_add3_u32 v2, v2, v7, 0x7fff
	v_add3_u32 v7, v17, v6, 0x7fff
	s_wait_alu 0xfffd
	v_cndmask_b32_e32 v2, v2, v15, vcc_lo
	v_or_b32_e32 v15, 0x400000, v6
	v_cmp_u_f32_e32 vcc_lo, v6, v6
	s_delay_alu instid0(VALU_DEP_3) | instskip(SKIP_1) | instid1(VALU_DEP_3)
	v_and_b32_e32 v2, 0xffff0000, v2
	s_wait_alu 0xfffd
	v_dual_cndmask_b32 v6, v7, v15 :: v_dual_mul_f32 v9, v28, v9
	s_delay_alu instid0(VALU_DEP_1) | instskip(NEXT) | instid1(VALU_DEP_2)
	v_and_b32_e32 v6, 0xffff0000, v6
	v_bfe_u32 v17, v9, 16, 1
	v_or_b32_e32 v15, 0x400000, v9
	v_cmp_u_f32_e32 vcc_lo, v9, v9
	s_delay_alu instid0(VALU_DEP_4) | instskip(NEXT) | instid1(VALU_DEP_4)
	v_dual_add_f32 v2, v2, v6 :: v_dual_and_b32 v11, 0xffff0000, v11
	v_add3_u32 v7, v17, v9, 0x7fff
	v_bfe_u32 v17, v10, 16, 1
	s_wait_alu 0xfffd
	s_delay_alu instid0(VALU_DEP_2) | instskip(NEXT) | instid1(VALU_DEP_2)
	v_cndmask_b32_e32 v7, v7, v15, vcc_lo
	v_add3_u32 v9, v17, v10, 0x7fff
	v_or_b32_e32 v15, 0x400000, v10
	v_cmp_u_f32_e32 vcc_lo, v10, v10
	v_bfe_u32 v17, v18, 16, 1
	v_and_b32_e32 v7, 0xffff0000, v7
	s_wait_alu 0xfffd
	v_cndmask_b32_e32 v9, v9, v15, vcc_lo
	s_delay_alu instid0(VALU_DEP_3) | instskip(SKIP_1) | instid1(VALU_DEP_3)
	v_add3_u32 v15, v17, v18, 0x7fff
	v_cmp_u_f32_e32 vcc_lo, v18, v18
	v_and_b32_e32 v9, 0xffff0000, v9
	s_delay_alu instid0(VALU_DEP_1) | instskip(SKIP_3) | instid1(VALU_DEP_4)
	v_add_f32_e32 v6, v7, v9
	v_mul_f32_e32 v11, v19, v11
	v_lshlrev_b32_e32 v19, 16, v12
	v_and_b32_e32 v12, 0xffff0000, v12
	v_add_f32_e32 v2, v6, v2
	s_delay_alu instid0(VALU_DEP_4) | instskip(NEXT) | instid1(VALU_DEP_3)
	v_bfe_u32 v10, v11, 16, 1
	v_dual_mul_f32 v17, v27, v19 :: v_dual_mul_f32 v12, v20, v12
	v_or_b32_e32 v19, 0x400000, v18
	v_or_b32_e32 v20, 0x400000, v11
	s_delay_alu instid0(VALU_DEP_4) | instskip(NEXT) | instid1(VALU_DEP_4)
	v_add3_u32 v10, v10, v11, 0x7fff
	v_bfe_u32 v23, v17, 16, 1
	v_bfe_u32 v24, v12, 16, 1
	s_wait_alu 0xfffd
	v_cndmask_b32_e32 v15, v15, v19, vcc_lo
	v_cmp_u_f32_e32 vcc_lo, v11, v11
	v_or_b32_e32 v19, 0x400000, v12
	v_add3_u32 v11, v23, v17, 0x7fff
	v_add3_u32 v18, v24, v12, 0x7fff
	s_wait_alu 0xfffd
	v_dual_cndmask_b32 v10, v10, v20 :: v_dual_and_b32 v9, 0xffff0000, v15
	v_cmp_u_f32_e32 vcc_lo, v12, v12
	v_or_b32_e32 v20, 0x400000, v17
	v_add_f32_e32 v1, v3, v1
	s_wait_alu 0xfffd
	v_dual_cndmask_b32 v12, v18, v19 :: v_dual_and_b32 v7, 0xffff0000, v10
	v_cmp_u_f32_e32 vcc_lo, v17, v17
	s_delay_alu instid0(VALU_DEP_2) | instskip(SKIP_3) | instid1(VALU_DEP_3)
	v_dual_add_f32 v6, v9, v7 :: v_dual_and_b32 v7, 0xffff0000, v12
	s_wait_alu 0xfffd
	v_cndmask_b32_e32 v10, v11, v20, vcc_lo
	v_cmp_le_i32_e32 vcc_lo, s13, v36
	v_add_f32_e32 v2, v6, v2
	v_add_f32_e32 v6, v16, v14
	s_delay_alu instid0(VALU_DEP_4) | instskip(SKIP_2) | instid1(VALU_DEP_3)
	v_and_b32_e32 v9, 0xffff0000, v10
	v_and_b32_e32 v11, 0xffff0000, v21
	s_or_b32 s4, vcc_lo, s4
	v_add_f32_e32 v41, v41, v6
	s_delay_alu instid0(VALU_DEP_2) | instskip(SKIP_1) | instid1(VALU_DEP_1)
	v_add_f32_e32 v3, v4, v11
	v_add_f32_e32 v4, v9, v7
	;; [unrolled: 1-line block ×3, first 2 shown]
	s_delay_alu instid0(VALU_DEP_1) | instskip(NEXT) | instid1(VALU_DEP_1)
	v_dual_add_f32 v38, v38, v2 :: v_dual_add_f32 v1, v3, v1
	v_add_f32_e32 v43, v43, v1
	s_wait_alu 0xfffe
	s_and_not1_b32 exec_lo, exec_lo, s4
	s_cbranch_execz .LBB151_45
.LBB151_33:                             ; =>This Inner Loop Header: Depth=1
	global_load_b32 v1, v[33:34], off
	v_add_nc_u32_e32 v53, 1, v46
	v_or_b32_e32 v52, 3, v46
	v_or_b32_e32 v54, 2, v46
	;; [unrolled: 1-line block ×6, first 2 shown]
	s_wait_loadcnt 0x0
	s_wait_alu 0xfffe
	v_mad_co_i64_i32 v[1:2], null, v1, s2, 0
	s_delay_alu instid0(VALU_DEP_1) | instskip(NEXT) | instid1(VALU_DEP_1)
	v_lshlrev_b64_e32 v[1:2], 1, v[1:2]
	v_add_co_u32 v9, vcc_lo, v44, v1
	s_wait_alu 0xfffd
	s_delay_alu instid0(VALU_DEP_2)
	v_add_co_ci_u32_e64 v10, null, v45, v2, vcc_lo
	v_cmp_eq_u32_e32 vcc_lo, s3, v36
	global_load_b128 v[1:4], v[9:10], off
	ds_load_2addr_b64 v[25:28], v47 offset1:1
	ds_load_2addr_b64 v[17:20], v47 offset0:2 offset1:3
	s_and_saveexec_b32 s6, vcc_lo
	s_cbranch_execnz .LBB151_39
; %bb.34:                               ;   in Loop: Header=BB151_33 Depth=1
	s_wait_alu 0xfffe
	s_or_b32 exec_lo, exec_lo, s6
	global_load_b128 v[5:8], v[9:10], off offset:512
	s_and_saveexec_b32 s6, vcc_lo
	s_cbranch_execnz .LBB151_40
.LBB151_35:                             ;   in Loop: Header=BB151_33 Depth=1
	s_wait_alu 0xfffe
	s_or_b32 exec_lo, exec_lo, s6
	global_load_b128 v[13:16], v[9:10], off offset:1024
	s_and_saveexec_b32 s6, vcc_lo
	s_cbranch_execnz .LBB151_41
.LBB151_36:                             ;   in Loop: Header=BB151_33 Depth=1
	s_wait_alu 0xfffe
	s_or_b32 exec_lo, exec_lo, s6
	global_load_b128 v[21:24], v[9:10], off offset:1536
	s_and_saveexec_b32 s6, vcc_lo
	s_cbranch_execnz .LBB151_42
.LBB151_37:                             ;   in Loop: Header=BB151_33 Depth=1
	s_wait_alu 0xfffe
	s_or_b32 exec_lo, exec_lo, s6
	global_load_b128 v[29:32], v[9:10], off offset:2048
	s_and_saveexec_b32 s6, vcc_lo
	s_cbranch_execnz .LBB151_43
.LBB151_38:                             ;   in Loop: Header=BB151_33 Depth=1
	s_wait_alu 0xfffe
	s_or_b32 exec_lo, exec_lo, s6
	global_load_b128 v[9:12], v[9:10], off offset:2560
	s_and_saveexec_b32 s0, vcc_lo
	s_cbranch_execz .LBB151_32
	s_branch .LBB151_44
.LBB151_39:                             ;   in Loop: Header=BB151_33 Depth=1
	v_cmp_gt_i32_e64 s0, s25, v46
	s_wait_loadcnt 0x0
	v_lshrrev_b32_e32 v5, 16, v1
	v_lshrrev_b32_e32 v6, 16, v2
	;; [unrolled: 1-line block ×4, first 2 shown]
	s_wait_alu 0xf1ff
	v_cndmask_b32_e64 v1, 0, v1, s0
	v_cmp_gt_i32_e64 s0, s5, v53
	s_wait_alu 0xf1ff
	s_delay_alu instid0(VALU_DEP_1) | instskip(SKIP_1) | instid1(VALU_DEP_2)
	v_cndmask_b32_e64 v5, 0, v5, s0
	v_cmp_gt_i32_e64 s0, s25, v54
	v_perm_b32 v1, v5, v1, 0x5040100
	s_wait_alu 0xf1ff
	s_delay_alu instid0(VALU_DEP_2) | instskip(SKIP_2) | instid1(VALU_DEP_1)
	v_cndmask_b32_e64 v2, 0, v2, s0
	v_cmp_gt_i32_e64 s0, s5, v52
	s_wait_alu 0xf1ff
	v_cndmask_b32_e64 v6, 0, v6, s0
	v_cmp_gt_i32_e64 s0, s25, v51
	s_delay_alu instid0(VALU_DEP_2) | instskip(SKIP_1) | instid1(VALU_DEP_2)
	v_perm_b32 v2, v6, v2, 0x5040100
	s_wait_alu 0xf1ff
	v_cndmask_b32_e64 v3, 0, v3, s0
	v_cmp_gt_i32_e64 s0, s5, v49
	s_wait_alu 0xf1ff
	s_delay_alu instid0(VALU_DEP_1) | instskip(SKIP_1) | instid1(VALU_DEP_2)
	v_cndmask_b32_e64 v7, 0, v7, s0
	v_cmp_gt_i32_e64 s0, s25, v50
	v_perm_b32 v3, v7, v3, 0x5040100
	s_wait_alu 0xf1ff
	s_delay_alu instid0(VALU_DEP_2) | instskip(SKIP_2) | instid1(VALU_DEP_1)
	v_cndmask_b32_e64 v4, 0, v4, s0
	v_cmp_gt_i32_e64 s0, s5, v48
	s_wait_alu 0xf1ff
	v_cndmask_b32_e64 v8, 0, v8, s0
	s_delay_alu instid0(VALU_DEP_1)
	v_perm_b32 v4, v8, v4, 0x5040100
	s_wait_alu 0xfffe
	s_or_b32 exec_lo, exec_lo, s6
	global_load_b128 v[5:8], v[9:10], off offset:512
	s_and_saveexec_b32 s6, vcc_lo
	s_cbranch_execz .LBB151_35
.LBB151_40:                             ;   in Loop: Header=BB151_33 Depth=1
	v_cmp_gt_i32_e64 s0, s25, v46
	s_wait_loadcnt 0x0
	v_lshrrev_b32_e32 v11, 16, v5
	v_lshrrev_b32_e32 v12, 16, v6
	;; [unrolled: 1-line block ×4, first 2 shown]
	s_wait_alu 0xf1ff
	v_cndmask_b32_e64 v5, 0, v5, s0
	v_cmp_gt_i32_e64 s0, s5, v53
	s_wait_alu 0xf1ff
	s_delay_alu instid0(VALU_DEP_1) | instskip(SKIP_1) | instid1(VALU_DEP_2)
	v_cndmask_b32_e64 v11, 0, v11, s0
	v_cmp_gt_i32_e64 s0, s25, v54
	v_perm_b32 v5, v11, v5, 0x5040100
	s_wait_alu 0xf1ff
	s_delay_alu instid0(VALU_DEP_2) | instskip(SKIP_2) | instid1(VALU_DEP_1)
	v_cndmask_b32_e64 v6, 0, v6, s0
	v_cmp_gt_i32_e64 s0, s5, v52
	s_wait_alu 0xf1ff
	v_cndmask_b32_e64 v12, 0, v12, s0
	v_cmp_gt_i32_e64 s0, s25, v51
	s_delay_alu instid0(VALU_DEP_2) | instskip(SKIP_1) | instid1(VALU_DEP_2)
	v_perm_b32 v6, v12, v6, 0x5040100
	s_wait_alu 0xf1ff
	v_cndmask_b32_e64 v7, 0, v7, s0
	v_cmp_gt_i32_e64 s0, s5, v49
	s_wait_alu 0xf1ff
	s_delay_alu instid0(VALU_DEP_1) | instskip(SKIP_1) | instid1(VALU_DEP_2)
	v_cndmask_b32_e64 v13, 0, v13, s0
	v_cmp_gt_i32_e64 s0, s25, v50
	v_perm_b32 v7, v13, v7, 0x5040100
	s_wait_alu 0xf1ff
	s_delay_alu instid0(VALU_DEP_2) | instskip(SKIP_2) | instid1(VALU_DEP_1)
	v_cndmask_b32_e64 v8, 0, v8, s0
	v_cmp_gt_i32_e64 s0, s5, v48
	s_wait_alu 0xf1ff
	v_cndmask_b32_e64 v14, 0, v14, s0
	s_delay_alu instid0(VALU_DEP_1)
	v_perm_b32 v8, v14, v8, 0x5040100
	s_wait_alu 0xfffe
	s_or_b32 exec_lo, exec_lo, s6
	global_load_b128 v[13:16], v[9:10], off offset:1024
	s_and_saveexec_b32 s6, vcc_lo
	s_cbranch_execz .LBB151_36
.LBB151_41:                             ;   in Loop: Header=BB151_33 Depth=1
	v_cmp_gt_i32_e64 s0, s25, v46
	s_wait_loadcnt 0x0
	v_lshrrev_b32_e32 v11, 16, v13
	v_lshrrev_b32_e32 v22, 16, v16
	s_wait_alu 0xf1ff
	v_cndmask_b32_e64 v12, 0, v13, s0
	v_cmp_gt_i32_e64 s0, s5, v53
	v_lshrrev_b32_e32 v13, 16, v14
	s_wait_alu 0xf1ff
	s_delay_alu instid0(VALU_DEP_2) | instskip(SKIP_2) | instid1(VALU_DEP_1)
	v_cndmask_b32_e64 v11, 0, v11, s0
	v_cmp_gt_i32_e64 s0, s25, v54
	s_wait_alu 0xf1ff
	v_cndmask_b32_e64 v14, 0, v14, s0
	v_cmp_gt_i32_e64 s0, s5, v52
	s_wait_alu 0xf1ff
	s_delay_alu instid0(VALU_DEP_1) | instskip(SKIP_2) | instid1(VALU_DEP_3)
	v_cndmask_b32_e64 v21, 0, v13, s0
	v_cmp_gt_i32_e64 s0, s25, v51
	v_lshrrev_b32_e32 v13, 16, v15
	v_perm_b32 v14, v21, v14, 0x5040100
	s_wait_alu 0xf1ff
	s_delay_alu instid0(VALU_DEP_3) | instskip(SKIP_2) | instid1(VALU_DEP_1)
	v_cndmask_b32_e64 v15, 0, v15, s0
	v_cmp_gt_i32_e64 s0, s5, v49
	s_wait_alu 0xf1ff
	v_cndmask_b32_e64 v23, 0, v13, s0
	v_cmp_gt_i32_e64 s0, s25, v50
	v_perm_b32 v13, v11, v12, 0x5040100
	s_delay_alu instid0(VALU_DEP_3) | instskip(SKIP_1) | instid1(VALU_DEP_3)
	v_perm_b32 v15, v23, v15, 0x5040100
	s_wait_alu 0xf1ff
	v_cndmask_b32_e64 v16, 0, v16, s0
	v_cmp_gt_i32_e64 s0, s5, v48
	s_wait_alu 0xf1ff
	s_delay_alu instid0(VALU_DEP_1) | instskip(NEXT) | instid1(VALU_DEP_1)
	v_cndmask_b32_e64 v22, 0, v22, s0
	v_perm_b32 v16, v22, v16, 0x5040100
	s_wait_alu 0xfffe
	s_or_b32 exec_lo, exec_lo, s6
	global_load_b128 v[21:24], v[9:10], off offset:1536
	s_and_saveexec_b32 s6, vcc_lo
	s_cbranch_execz .LBB151_37
.LBB151_42:                             ;   in Loop: Header=BB151_33 Depth=1
	v_cmp_gt_i32_e64 s0, s25, v46
	s_wait_loadcnt 0x0
	v_lshrrev_b32_e32 v11, 16, v21
	v_lshrrev_b32_e32 v30, 16, v24
	s_wait_alu 0xf1ff
	v_cndmask_b32_e64 v12, 0, v21, s0
	v_cmp_gt_i32_e64 s0, s5, v53
	v_lshrrev_b32_e32 v21, 16, v22
	s_wait_alu 0xf1ff
	s_delay_alu instid0(VALU_DEP_2) | instskip(SKIP_2) | instid1(VALU_DEP_1)
	v_cndmask_b32_e64 v11, 0, v11, s0
	v_cmp_gt_i32_e64 s0, s25, v54
	s_wait_alu 0xf1ff
	v_cndmask_b32_e64 v22, 0, v22, s0
	v_cmp_gt_i32_e64 s0, s5, v52
	s_wait_alu 0xf1ff
	s_delay_alu instid0(VALU_DEP_1) | instskip(SKIP_2) | instid1(VALU_DEP_3)
	v_cndmask_b32_e64 v29, 0, v21, s0
	v_cmp_gt_i32_e64 s0, s25, v51
	v_lshrrev_b32_e32 v21, 16, v23
	v_perm_b32 v22, v29, v22, 0x5040100
	s_wait_alu 0xf1ff
	s_delay_alu instid0(VALU_DEP_3) | instskip(SKIP_2) | instid1(VALU_DEP_1)
	v_cndmask_b32_e64 v23, 0, v23, s0
	v_cmp_gt_i32_e64 s0, s5, v49
	s_wait_alu 0xf1ff
	v_cndmask_b32_e64 v31, 0, v21, s0
	v_cmp_gt_i32_e64 s0, s25, v50
	v_perm_b32 v21, v11, v12, 0x5040100
	s_delay_alu instid0(VALU_DEP_3) | instskip(SKIP_1) | instid1(VALU_DEP_3)
	v_perm_b32 v23, v31, v23, 0x5040100
	s_wait_alu 0xf1ff
	v_cndmask_b32_e64 v24, 0, v24, s0
	v_cmp_gt_i32_e64 s0, s5, v48
	s_wait_alu 0xf1ff
	s_delay_alu instid0(VALU_DEP_1) | instskip(NEXT) | instid1(VALU_DEP_1)
	v_cndmask_b32_e64 v30, 0, v30, s0
	v_perm_b32 v24, v30, v24, 0x5040100
	s_wait_alu 0xfffe
	s_or_b32 exec_lo, exec_lo, s6
	global_load_b128 v[29:32], v[9:10], off offset:2048
	s_and_saveexec_b32 s6, vcc_lo
	s_cbranch_execz .LBB151_38
.LBB151_43:                             ;   in Loop: Header=BB151_33 Depth=1
	v_cmp_gt_i32_e64 s0, s25, v46
	s_wait_loadcnt 0x0
	v_lshrrev_b32_e32 v11, 16, v29
	v_lshrrev_b32_e32 v56, 16, v32
	s_wait_alu 0xf1ff
	v_cndmask_b32_e64 v12, 0, v29, s0
	v_cmp_gt_i32_e64 s0, s5, v53
	v_lshrrev_b32_e32 v29, 16, v30
	s_wait_alu 0xf1ff
	s_delay_alu instid0(VALU_DEP_2) | instskip(SKIP_2) | instid1(VALU_DEP_1)
	v_cndmask_b32_e64 v11, 0, v11, s0
	v_cmp_gt_i32_e64 s0, s25, v54
	s_wait_alu 0xf1ff
	v_cndmask_b32_e64 v30, 0, v30, s0
	v_cmp_gt_i32_e64 s0, s5, v52
	s_wait_alu 0xf1ff
	s_delay_alu instid0(VALU_DEP_1) | instskip(SKIP_2) | instid1(VALU_DEP_3)
	v_cndmask_b32_e64 v55, 0, v29, s0
	v_cmp_gt_i32_e64 s0, s25, v51
	v_lshrrev_b32_e32 v29, 16, v31
	v_perm_b32 v30, v55, v30, 0x5040100
	s_wait_alu 0xf1ff
	s_delay_alu instid0(VALU_DEP_3) | instskip(SKIP_2) | instid1(VALU_DEP_1)
	v_cndmask_b32_e64 v31, 0, v31, s0
	v_cmp_gt_i32_e64 s0, s5, v49
	s_wait_alu 0xf1ff
	v_cndmask_b32_e64 v57, 0, v29, s0
	v_cmp_gt_i32_e64 s0, s25, v50
	v_perm_b32 v29, v11, v12, 0x5040100
	s_delay_alu instid0(VALU_DEP_3) | instskip(SKIP_1) | instid1(VALU_DEP_3)
	v_perm_b32 v31, v57, v31, 0x5040100
	s_wait_alu 0xf1ff
	v_cndmask_b32_e64 v32, 0, v32, s0
	v_cmp_gt_i32_e64 s0, s5, v48
	s_wait_alu 0xf1ff
	s_delay_alu instid0(VALU_DEP_1) | instskip(NEXT) | instid1(VALU_DEP_1)
	v_cndmask_b32_e64 v56, 0, v56, s0
	v_perm_b32 v32, v56, v32, 0x5040100
	s_wait_alu 0xfffe
	s_or_b32 exec_lo, exec_lo, s6
	global_load_b128 v[9:12], v[9:10], off offset:2560
	s_and_saveexec_b32 s0, vcc_lo
	s_cbranch_execz .LBB151_32
.LBB151_44:                             ;   in Loop: Header=BB151_33 Depth=1
	v_cmp_gt_i32_e32 vcc_lo, s25, v46
	s_wait_loadcnt 0x0
	v_lshrrev_b32_e32 v55, 16, v9
	v_lshrrev_b32_e32 v56, 16, v10
	s_wait_alu 0xfffd
	v_cndmask_b32_e32 v9, 0, v9, vcc_lo
	v_cmp_gt_i32_e32 vcc_lo, s5, v53
	s_wait_alu 0xfffd
	v_cndmask_b32_e32 v53, 0, v55, vcc_lo
	v_cmp_gt_i32_e32 vcc_lo, s25, v54
	v_lshrrev_b32_e32 v54, 16, v11
	s_wait_alu 0xfffd
	v_cndmask_b32_e32 v10, 0, v10, vcc_lo
	v_cmp_gt_i32_e32 vcc_lo, s5, v52
	s_wait_alu 0xfffd
	v_cndmask_b32_e32 v52, 0, v56, vcc_lo
	v_cmp_gt_i32_e32 vcc_lo, s25, v51
	v_lshrrev_b32_e32 v51, 16, v12
	v_perm_b32 v9, v53, v9, 0x5040100
	s_delay_alu instid0(VALU_DEP_4)
	v_perm_b32 v10, v52, v10, 0x5040100
	s_wait_alu 0xfffd
	v_cndmask_b32_e32 v11, 0, v11, vcc_lo
	v_cmp_gt_i32_e32 vcc_lo, s5, v49
	s_wait_alu 0xfffd
	v_cndmask_b32_e32 v49, 0, v54, vcc_lo
	v_cmp_gt_i32_e32 vcc_lo, s25, v50
	;; [unrolled: 3-line block ×3, first 2 shown]
	s_wait_alu 0xfffd
	v_cndmask_b32_e32 v48, 0, v51, vcc_lo
	v_perm_b32 v11, v49, v11, 0x5040100
	s_delay_alu instid0(VALU_DEP_2)
	v_perm_b32 v12, v48, v12, 0x5040100
	s_branch .LBB151_32
.LBB151_45:
	s_or_b32 exec_lo, exec_lo, s4
.LBB151_46:
	s_wait_alu 0xfffe
	s_or_b32 exec_lo, exec_lo, s1
	v_lshl_add_u32 v2, v37, 2, 0x1a0
	v_and_b32_e32 v3, 0x3c0, v0
	s_mov_b32 s0, exec_lo
	s_wait_loadcnt 0x0
	s_wait_storecnt 0x0
	s_barrier_signal -1
	v_mad_u32_u24 v1, 0x300, v35, v2
	s_barrier_wait -1
	global_inv scope:SCOPE_SE
	v_cmpx_eq_u32_e32 64, v3
	s_cbranch_execz .LBB151_48
; %bb.47:
	v_add_nc_u32_e32 v3, 0xfffffa00, v1
	v_add_nc_u32_e32 v4, 0xfffffa80, v1
	;; [unrolled: 1-line block ×6, first 2 shown]
	ds_store_b32 v3, v43
	ds_store_b32 v4, v42
	;; [unrolled: 1-line block ×6, first 2 shown]
.LBB151_48:
	s_wait_alu 0xfffe
	s_or_b32 exec_lo, exec_lo, s0
	s_delay_alu instid0(SALU_CYCLE_1)
	s_mov_b32 s0, exec_lo
	s_wait_loadcnt_dscnt 0x0
	s_barrier_signal -1
	s_barrier_wait -1
	global_inv scope:SCOPE_SE
	v_cmpx_gt_u32_e32 64, v0
	s_cbranch_execz .LBB151_50
; %bb.49:
	ds_load_2addr_b32 v[3:4], v1 offset1:32
	ds_load_2addr_b32 v[5:6], v1 offset0:64 offset1:96
	ds_load_2addr_b32 v[7:8], v1 offset0:128 offset1:160
	s_wait_dscnt 0x2
	v_dual_add_f32 v43, v43, v3 :: v_dual_add_f32 v42, v42, v4
	s_wait_dscnt 0x1
	v_dual_add_f32 v41, v41, v5 :: v_dual_add_f32 v40, v40, v6
	;; [unrolled: 2-line block ×3, first 2 shown]
.LBB151_50:
	s_wait_alu 0xfffe
	s_or_b32 exec_lo, exec_lo, s0
	v_and_b32_e32 v3, 0x3e0, v0
	s_mov_b32 s0, exec_lo
	s_wait_loadcnt 0x0
	s_barrier_signal -1
	s_barrier_wait -1
	global_inv scope:SCOPE_SE
	v_cmpx_eq_u32_e32 32, v3
	s_cbranch_execz .LBB151_52
; %bb.51:
	ds_store_2addr_b32 v2, v43, v42 offset1:32
	ds_store_2addr_b32 v2, v41, v40 offset0:64 offset1:96
	ds_store_2addr_b32 v2, v39, v38 offset0:128 offset1:160
.LBB151_52:
	s_wait_alu 0xfffe
	s_or_b32 exec_lo, exec_lo, s0
	v_cmp_gt_u32_e32 vcc_lo, 32, v0
	s_wait_loadcnt_dscnt 0x0
	s_barrier_signal -1
	s_barrier_wait -1
	global_inv scope:SCOPE_SE
	s_and_saveexec_b32 s0, vcc_lo
	s_cbranch_execz .LBB151_54
; %bb.53:
	ds_load_2addr_b32 v[2:3], v1 offset1:32
	ds_load_2addr_b32 v[4:5], v1 offset0:64 offset1:96
	ds_load_2addr_b32 v[6:7], v1 offset0:128 offset1:160
	s_wait_dscnt 0x2
	v_dual_add_f32 v43, v43, v2 :: v_dual_add_f32 v42, v42, v3
	s_wait_dscnt 0x1
	v_dual_add_f32 v41, v41, v4 :: v_dual_add_f32 v40, v40, v5
	;; [unrolled: 2-line block ×3, first 2 shown]
.LBB151_54:
	s_wait_alu 0xfffe
	s_or_b32 exec_lo, exec_lo, s0
	s_wait_loadcnt 0x0
	s_barrier_signal -1
	s_barrier_wait -1
	global_inv scope:SCOPE_SE
	s_and_saveexec_b32 s0, vcc_lo
	s_cbranch_execz .LBB151_56
; %bb.55:
	v_bfe_u32 v1, v43, 16, 1
	v_bfe_u32 v2, v42, 16, 1
	v_or_b32_e32 v3, 0x400000, v43
	v_cmp_u_f32_e32 vcc_lo, v43, v43
	v_bfe_u32 v4, v41, 16, 1
	v_add3_u32 v1, v1, v43, 0x7fff
	v_lshlrev_b32_e32 v0, 1, v0
	v_add3_u32 v2, v2, v42, 0x7fff
	v_or_b32_e32 v5, 0x400000, v42
	v_bfe_u32 v6, v39, 16, 1
	s_wait_alu 0xfffd
	v_cndmask_b32_e32 v1, v1, v3, vcc_lo
	v_cmp_u_f32_e32 vcc_lo, v42, v42
	v_add3_u32 v3, v4, v41, 0x7fff
	v_or_b32_e32 v4, 0x400000, v41
	v_or_b32_e32 v7, 0x400000, v40
	s_mul_i32 s0, s14, 0xc0
	s_wait_alu 0xfffd
	v_cndmask_b32_e32 v2, v2, v5, vcc_lo
	v_bfe_u32 v5, v40, 16, 1
	v_cmp_u_f32_e32 vcc_lo, v41, v41
	s_mul_i32 s2, s8, s12
	s_wait_alu 0xfffe
	s_ashr_i32 s1, s0, 31
	v_add3_u32 v6, v6, v39, 0x7fff
	v_add3_u32 v5, v5, v40, 0x7fff
	s_wait_alu 0xfffd
	v_cndmask_b32_e32 v3, v3, v4, vcc_lo
	v_cmp_u_f32_e32 vcc_lo, v40, v40
	v_bfe_u32 v4, v38, 16, 1
	v_or_b32_e32 v8, 0x400000, v39
	s_ashr_i32 s3, s2, 31
	s_wait_alu 0xfffe
	s_lshl_b64 s[0:1], s[0:1], 1
	s_wait_alu 0xfffd
	v_cndmask_b32_e32 v5, v5, v7, vcc_lo
	v_cmp_u_f32_e32 vcc_lo, v39, v39
	s_lshl_b64 s[2:3], s[2:3], 1
	s_wait_alu 0xfffe
	s_add_nc_u64 s[0:1], s[10:11], s[0:1]
	v_add3_u32 v4, v4, v38, 0x7fff
	v_or_b32_e32 v9, 0x400000, v38
	s_wait_alu 0xfffd
	v_cndmask_b32_e32 v6, v6, v8, vcc_lo
	v_cmp_u_f32_e32 vcc_lo, v38, v38
	s_mul_i32 s4, s24, 0x180
	s_wait_alu 0xfffe
	s_add_nc_u64 s[0:1], s[0:1], s[2:3]
	s_mov_b32 s5, 0
	s_wait_alu 0xfffe
	s_add_nc_u64 s[0:1], s[0:1], s[4:5]
	s_wait_alu 0xfffd
	v_cndmask_b32_e32 v4, v4, v9, vcc_lo
	s_clause 0x5
	global_store_d16_hi_b16 v0, v1, s[0:1]
	global_store_d16_hi_b16 v0, v2, s[0:1] offset:64
	global_store_d16_hi_b16 v0, v3, s[0:1] offset:128
	global_store_d16_hi_b16 v0, v5, s[0:1] offset:192
	global_store_d16_hi_b16 v0, v6, s[0:1] offset:256
	global_store_d16_hi_b16 v0, v4, s[0:1] offset:320
.LBB151_56:
	s_endpgm
	.section	.rodata,"a",@progbits
	.p2align	6, 0x0
	.amdhsa_kernel _ZN4vllm25paged_attention_v2_kernelI14__hip_bfloat16S1_Li192ELi8ELi128ELNS_18Fp8KVCacheDataTypeE0ELb0ELi512EEEvPfS3_PT_PKS4_PKT0_SA_ifPKiSC_iPKfiiiSE_SE_iiiii
		.amdhsa_group_segment_fixed_size 416
		.amdhsa_private_segment_fixed_size 0
		.amdhsa_kernarg_size 400
		.amdhsa_user_sgpr_count 2
		.amdhsa_user_sgpr_dispatch_ptr 0
		.amdhsa_user_sgpr_queue_ptr 0
		.amdhsa_user_sgpr_kernarg_segment_ptr 1
		.amdhsa_user_sgpr_dispatch_id 0
		.amdhsa_user_sgpr_private_segment_size 0
		.amdhsa_wavefront_size32 1
		.amdhsa_uses_dynamic_stack 0
		.amdhsa_enable_private_segment 0
		.amdhsa_system_sgpr_workgroup_id_x 1
		.amdhsa_system_sgpr_workgroup_id_y 1
		.amdhsa_system_sgpr_workgroup_id_z 1
		.amdhsa_system_sgpr_workgroup_info 0
		.amdhsa_system_vgpr_workitem_id 0
		.amdhsa_next_free_vgpr 92
		.amdhsa_next_free_sgpr 32
		.amdhsa_reserve_vcc 1
		.amdhsa_float_round_mode_32 0
		.amdhsa_float_round_mode_16_64 0
		.amdhsa_float_denorm_mode_32 3
		.amdhsa_float_denorm_mode_16_64 3
		.amdhsa_fp16_overflow 0
		.amdhsa_workgroup_processor_mode 1
		.amdhsa_memory_ordered 1
		.amdhsa_forward_progress 1
		.amdhsa_inst_pref_size 81
		.amdhsa_round_robin_scheduling 0
		.amdhsa_exception_fp_ieee_invalid_op 0
		.amdhsa_exception_fp_denorm_src 0
		.amdhsa_exception_fp_ieee_div_zero 0
		.amdhsa_exception_fp_ieee_overflow 0
		.amdhsa_exception_fp_ieee_underflow 0
		.amdhsa_exception_fp_ieee_inexact 0
		.amdhsa_exception_int_div_zero 0
	.end_amdhsa_kernel
	.section	.text._ZN4vllm25paged_attention_v2_kernelI14__hip_bfloat16S1_Li192ELi8ELi128ELNS_18Fp8KVCacheDataTypeE0ELb0ELi512EEEvPfS3_PT_PKS4_PKT0_SA_ifPKiSC_iPKfiiiSE_SE_iiiii,"axG",@progbits,_ZN4vllm25paged_attention_v2_kernelI14__hip_bfloat16S1_Li192ELi8ELi128ELNS_18Fp8KVCacheDataTypeE0ELb0ELi512EEEvPfS3_PT_PKS4_PKT0_SA_ifPKiSC_iPKfiiiSE_SE_iiiii,comdat
.Lfunc_end151:
	.size	_ZN4vllm25paged_attention_v2_kernelI14__hip_bfloat16S1_Li192ELi8ELi128ELNS_18Fp8KVCacheDataTypeE0ELb0ELi512EEEvPfS3_PT_PKS4_PKT0_SA_ifPKiSC_iPKfiiiSE_SE_iiiii, .Lfunc_end151-_ZN4vllm25paged_attention_v2_kernelI14__hip_bfloat16S1_Li192ELi8ELi128ELNS_18Fp8KVCacheDataTypeE0ELb0ELi512EEEvPfS3_PT_PKS4_PKT0_SA_ifPKiSC_iPKfiiiSE_SE_iiiii
                                        ; -- End function
	.set _ZN4vllm25paged_attention_v2_kernelI14__hip_bfloat16S1_Li192ELi8ELi128ELNS_18Fp8KVCacheDataTypeE0ELb0ELi512EEEvPfS3_PT_PKS4_PKT0_SA_ifPKiSC_iPKfiiiSE_SE_iiiii.num_vgpr, 92
	.set _ZN4vllm25paged_attention_v2_kernelI14__hip_bfloat16S1_Li192ELi8ELi128ELNS_18Fp8KVCacheDataTypeE0ELb0ELi512EEEvPfS3_PT_PKS4_PKT0_SA_ifPKiSC_iPKfiiiSE_SE_iiiii.num_agpr, 0
	.set _ZN4vllm25paged_attention_v2_kernelI14__hip_bfloat16S1_Li192ELi8ELi128ELNS_18Fp8KVCacheDataTypeE0ELb0ELi512EEEvPfS3_PT_PKS4_PKT0_SA_ifPKiSC_iPKfiiiSE_SE_iiiii.numbered_sgpr, 32
	.set _ZN4vllm25paged_attention_v2_kernelI14__hip_bfloat16S1_Li192ELi8ELi128ELNS_18Fp8KVCacheDataTypeE0ELb0ELi512EEEvPfS3_PT_PKS4_PKT0_SA_ifPKiSC_iPKfiiiSE_SE_iiiii.num_named_barrier, 0
	.set _ZN4vllm25paged_attention_v2_kernelI14__hip_bfloat16S1_Li192ELi8ELi128ELNS_18Fp8KVCacheDataTypeE0ELb0ELi512EEEvPfS3_PT_PKS4_PKT0_SA_ifPKiSC_iPKfiiiSE_SE_iiiii.private_seg_size, 0
	.set _ZN4vllm25paged_attention_v2_kernelI14__hip_bfloat16S1_Li192ELi8ELi128ELNS_18Fp8KVCacheDataTypeE0ELb0ELi512EEEvPfS3_PT_PKS4_PKT0_SA_ifPKiSC_iPKfiiiSE_SE_iiiii.uses_vcc, 1
	.set _ZN4vllm25paged_attention_v2_kernelI14__hip_bfloat16S1_Li192ELi8ELi128ELNS_18Fp8KVCacheDataTypeE0ELb0ELi512EEEvPfS3_PT_PKS4_PKT0_SA_ifPKiSC_iPKfiiiSE_SE_iiiii.uses_flat_scratch, 0
	.set _ZN4vllm25paged_attention_v2_kernelI14__hip_bfloat16S1_Li192ELi8ELi128ELNS_18Fp8KVCacheDataTypeE0ELb0ELi512EEEvPfS3_PT_PKS4_PKT0_SA_ifPKiSC_iPKfiiiSE_SE_iiiii.has_dyn_sized_stack, 0
	.set _ZN4vllm25paged_attention_v2_kernelI14__hip_bfloat16S1_Li192ELi8ELi128ELNS_18Fp8KVCacheDataTypeE0ELb0ELi512EEEvPfS3_PT_PKS4_PKT0_SA_ifPKiSC_iPKfiiiSE_SE_iiiii.has_recursion, 0
	.set _ZN4vllm25paged_attention_v2_kernelI14__hip_bfloat16S1_Li192ELi8ELi128ELNS_18Fp8KVCacheDataTypeE0ELb0ELi512EEEvPfS3_PT_PKS4_PKT0_SA_ifPKiSC_iPKfiiiSE_SE_iiiii.has_indirect_call, 0
	.section	.AMDGPU.csdata,"",@progbits
; Kernel info:
; codeLenInByte = 10348
; TotalNumSgprs: 34
; NumVgprs: 92
; ScratchSize: 0
; MemoryBound: 0
; FloatMode: 240
; IeeeMode: 1
; LDSByteSize: 416 bytes/workgroup (compile time only)
; SGPRBlocks: 0
; VGPRBlocks: 11
; NumSGPRsForWavesPerEU: 34
; NumVGPRsForWavesPerEU: 92
; Occupancy: 16
; WaveLimiterHint : 1
; COMPUTE_PGM_RSRC2:SCRATCH_EN: 0
; COMPUTE_PGM_RSRC2:USER_SGPR: 2
; COMPUTE_PGM_RSRC2:TRAP_HANDLER: 0
; COMPUTE_PGM_RSRC2:TGID_X_EN: 1
; COMPUTE_PGM_RSRC2:TGID_Y_EN: 1
; COMPUTE_PGM_RSRC2:TGID_Z_EN: 1
; COMPUTE_PGM_RSRC2:TIDIG_COMP_CNT: 0
	.section	.text._ZN4vllm25paged_attention_v2_kernelI14__hip_bfloat16S1_Li256ELi8ELi128ELNS_18Fp8KVCacheDataTypeE0ELb0ELi512EEEvPfS3_PT_PKS4_PKT0_SA_ifPKiSC_iPKfiiiSE_SE_iiiii,"axG",@progbits,_ZN4vllm25paged_attention_v2_kernelI14__hip_bfloat16S1_Li256ELi8ELi128ELNS_18Fp8KVCacheDataTypeE0ELb0ELi512EEEvPfS3_PT_PKS4_PKT0_SA_ifPKiSC_iPKfiiiSE_SE_iiiii,comdat
	.protected	_ZN4vllm25paged_attention_v2_kernelI14__hip_bfloat16S1_Li256ELi8ELi128ELNS_18Fp8KVCacheDataTypeE0ELb0ELi512EEEvPfS3_PT_PKS4_PKT0_SA_ifPKiSC_iPKfiiiSE_SE_iiiii ; -- Begin function _ZN4vllm25paged_attention_v2_kernelI14__hip_bfloat16S1_Li256ELi8ELi128ELNS_18Fp8KVCacheDataTypeE0ELb0ELi512EEEvPfS3_PT_PKS4_PKT0_SA_ifPKiSC_iPKfiiiSE_SE_iiiii
	.globl	_ZN4vllm25paged_attention_v2_kernelI14__hip_bfloat16S1_Li256ELi8ELi128ELNS_18Fp8KVCacheDataTypeE0ELb0ELi512EEEvPfS3_PT_PKS4_PKT0_SA_ifPKiSC_iPKfiiiSE_SE_iiiii
	.p2align	8
	.type	_ZN4vllm25paged_attention_v2_kernelI14__hip_bfloat16S1_Li256ELi8ELi128ELNS_18Fp8KVCacheDataTypeE0ELb0ELi512EEEvPfS3_PT_PKS4_PKT0_SA_ifPKiSC_iPKfiiiSE_SE_iiiii,@function
_ZN4vllm25paged_attention_v2_kernelI14__hip_bfloat16S1_Li256ELi8ELi128ELNS_18Fp8KVCacheDataTypeE0ELb0ELi512EEEvPfS3_PT_PKS4_PKT0_SA_ifPKiSC_iPKfiiiSE_SE_iiiii: ; @_ZN4vllm25paged_attention_v2_kernelI14__hip_bfloat16S1_Li256ELi8ELi128ELNS_18Fp8KVCacheDataTypeE0ELb0ELi512EEEvPfS3_PT_PKS4_PKT0_SA_ifPKiSC_iPKfiiiSE_SE_iiiii
; %bb.0:
	s_load_b64 s[2:3], s[0:1], 0x40
	s_and_b32 s16, ttmp7, 0xffff
	s_lshr_b32 s26, ttmp7, 16
	s_lshl_b32 s4, s16, 2
	s_lshl_b32 s12, s26, 9
	s_wait_kmcnt 0x0
	s_load_b32 s13, s[2:3], s4 offset:0x0
	s_wait_kmcnt 0x0
	s_cmp_ge_i32 s12, s13
	s_cbranch_scc1 .LBB152_60
; %bb.1:
	s_clause 0x1
	s_load_b32 s17, s[0:1], 0x90
	s_load_b64 s[6:7], s[0:1], 0x30
	s_wait_kmcnt 0x0
	s_abs_i32 s5, s17
	s_abs_i32 s2, s6
	s_delay_alu instid0(SALU_CYCLE_1) | instskip(SKIP_1) | instid1(SALU_CYCLE_2)
	s_cvt_f32_u32 s3, s2
	s_sub_co_i32 s4, 0, s2
	v_rcp_iflag_f32_e32 v1, s3
	s_delay_alu instid0(TRANS32_DEP_1) | instskip(SKIP_2) | instid1(SALU_CYCLE_2)
	v_readfirstlane_b32 s3, v1
	s_mul_f32 s3, s3, 0x4f7ffffe
	s_wait_alu 0xfffe
	s_cvt_u32_f32 s3, s3
	s_wait_alu 0xfffe
	s_delay_alu instid0(SALU_CYCLE_2) | instskip(NEXT) | instid1(SALU_CYCLE_1)
	s_mul_i32 s4, s4, s3
	s_mul_hi_u32 s4, s3, s4
	s_delay_alu instid0(SALU_CYCLE_1)
	s_add_co_i32 s3, s3, s4
	s_xor_b32 s4, s17, s6
	s_wait_alu 0xfffe
	s_mul_hi_u32 s3, s5, s3
	s_ashr_i32 s4, s4, 31
	s_wait_alu 0xfffe
	s_mul_i32 s6, s3, s2
	s_delay_alu instid0(SALU_CYCLE_1)
	s_sub_co_i32 s5, s5, s6
	s_add_co_i32 s6, s3, 1
	s_sub_co_i32 s8, s5, s2
	s_cmp_ge_u32 s5, s2
	s_cselect_b32 s3, s6, s3
	s_cselect_b32 s5, s8, s5
	s_wait_alu 0xfffe
	s_add_co_i32 s6, s3, 1
	s_cmp_ge_u32 s5, s2
	s_load_b64 s[8:9], s[0:1], 0x50
	s_cselect_b32 s2, s6, s3
	s_mov_b32 s3, 0
	s_wait_alu 0xfffe
	s_xor_b32 s2, s2, s4
	s_mov_b32 s6, s3
	s_wait_alu 0xfffe
	s_sub_co_i32 s14, s2, s4
	s_delay_alu instid0(SALU_CYCLE_1) | instskip(NEXT) | instid1(SALU_CYCLE_1)
	s_abs_i32 s11, s14
	s_cvt_f32_u32 s2, s11
	s_wait_alu 0xfffe
	s_delay_alu instid0(SALU_CYCLE_2) | instskip(NEXT) | instid1(TRANS32_DEP_1)
	v_rcp_iflag_f32_e32 v1, s2
	v_readfirstlane_b32 s2, v1
	s_mul_f32 s2, s2, 0x4f7ffffe
	s_wait_alu 0xfffe
	s_delay_alu instid0(SALU_CYCLE_2) | instskip(SKIP_2) | instid1(SALU_CYCLE_1)
	s_cvt_u32_f32 s4, s2
	s_sub_co_i32 s2, 0, s11
	s_wait_alu 0xfffe
	s_mul_i32 s2, s2, s4
	s_wait_alu 0xfffe
	s_mul_hi_u32 s5, s4, s2
	s_abs_i32 s2, ttmp9
	s_add_co_i32 s4, s4, s5
	s_mov_b32 s5, s3
	s_wait_kmcnt 0x0
	s_cmp_eq_u64 s[8:9], 0
	s_cbranch_scc1 .LBB152_3
; %bb.2:
	s_mov_b32 s18, ttmp9
	s_ashr_i32 s19, ttmp9, 31
	s_delay_alu instid0(SALU_CYCLE_1) | instskip(NEXT) | instid1(SALU_CYCLE_1)
	s_lshl_b64 s[18:19], s[18:19], 2
	s_add_nc_u64 s[8:9], s[8:9], s[18:19]
	s_load_b32 s6, s[8:9], 0x0
.LBB152_3:
	s_load_b96 s[8:10], s[0:1], 0x58
	v_and_b32_e32 v1, 3, v0
	v_lshlrev_b32_e32 v2, 2, v0
	s_mul_u64 s[4:5], s[2:3], s[4:5]
	s_ashr_i32 s3, ttmp9, 31
	s_ashr_i32 s4, s14, 31
	s_lshl_b32 s14, ttmp9, 8
	s_mov_b32 s18, exec_lo
	v_cmpx_gt_u32_e32 0x80, v0
	s_cbranch_execz .LBB152_5
; %bb.4:
	s_load_b64 s[20:21], s[0:1], 0x18
	s_wait_kmcnt 0x0
	s_mul_i32 s22, s8, s16
	s_ashr_i32 s15, s14, 31
	s_ashr_i32 s23, s22, 31
	v_and_b32_e32 v4, 0x3fc, v0
	s_lshl_b64 s[22:23], s[22:23], 1
	s_delay_alu instid0(VALU_DEP_1) | instskip(SKIP_2) | instid1(SALU_CYCLE_1)
	v_lshl_add_u32 v4, v1, 7, v4
	s_add_nc_u64 s[20:21], s[20:21], s[22:23]
	s_lshl_b64 s[22:23], s[14:15], 1
	s_add_nc_u64 s[20:21], s[20:21], s[22:23]
	global_load_b32 v3, v2, s[20:21]
	s_wait_loadcnt 0x0
	ds_store_b32 v4, v3
.LBB152_5:
	s_or_b32 exec_lo, exec_lo, s18
	s_wait_kmcnt 0x0
	s_add_co_i32 s8, s13, 7
	s_wait_alu 0xfffe
	s_xor_b32 s3, s3, s4
	s_ashr_i32 s15, s8, 31
	s_lshl_b32 s28, s26, 6
	s_lshr_b32 s4, s15, 29
	s_mul_i32 s15, s5, s11
	s_add_co_i32 s8, s8, s4
	s_add_co_i32 s4, s28, 64
	s_ashr_i32 s27, s8, 3
	s_load_b32 s8, s[0:1], 0x48
	s_sub_co_i32 s2, s2, s15
	s_min_i32 s15, s4, s27
	s_add_co_i32 s4, s5, 1
	s_wait_alu 0xfffe
	s_sub_co_i32 s18, s2, s11
	s_cmp_ge_u32 s2, s11
	v_lshrrev_b32_e32 v43, 5, v0
	s_cselect_b32 s4, s4, s5
	s_cselect_b32 s2, s18, s2
	s_add_co_i32 s5, s4, 1
	s_wait_alu 0xfffe
	s_cmp_ge_u32 s2, s11
	v_or_b32_e32 v44, s28, v43
	s_cselect_b32 s2, s5, s4
	v_mbcnt_lo_u32_b32 v4, -1, 0
	s_wait_alu 0xfffe
	s_xor_b32 s2, s2, s3
	s_mov_b32 s4, exec_lo
	s_wait_alu 0xfffe
	s_sub_co_i32 s3, s2, s3
	v_cmp_gt_i32_e64 s2, s15, v44
	s_wait_dscnt 0x0
	s_barrier_signal -1
	s_wait_kmcnt 0x0
	s_mul_i32 s18, s8, s16
	s_barrier_wait -1
	s_ashr_i32 s19, s18, 31
	global_inv scope:SCOPE_SE
                                        ; implicit-def: $vgpr5
                                        ; implicit-def: $vgpr6
	v_cmpx_le_i32_e64 s15, v44
	s_xor_b32 s4, exec_lo, s4
; %bb.6:
	v_dual_mov_b32 v5, 0 :: v_dual_mov_b32 v6, 32
	v_mbcnt_lo_u32_b32 v4, -1, 0
                                        ; implicit-def: $vgpr2
                                        ; implicit-def: $vgpr1
; %bb.7:
	s_or_saveexec_b32 s11, s4
	s_clause 0x1
	s_load_b64 s[20:21], s[0:1], 0x38
	s_load_b32 s8, s[0:1], 0x98
	v_mov_b32_e32 v61, 0xff7fffff
	v_lshlrev_b32_e32 v3, 2, v44
	s_mul_i32 s22, s3, s10
	s_xor_b32 exec_lo, exec_lo, s11
	s_cbranch_execz .LBB152_13
; %bb.8:
	s_load_b64 s[4:5], s[0:1], 0x20
	v_dual_mov_b32 v5, 0 :: v_dual_lshlrev_b32 v6, 7, v1
	v_bfe_u32 v61, v0, 2, 3
	s_ashr_i32 s23, s22, 31
	v_xor_b32_e32 v60, 1, v4
	ds_load_b128 v[13:16], v6
	s_lshl_b64 s[24:25], s[22:23], 1
	v_lshlrev_b32_e32 v7, 4, v61
	v_and_b32_e32 v2, 12, v2
	ds_load_b128 v[21:24], v6 offset:16
	ds_load_b128 v[29:32], v6 offset:32
	;; [unrolled: 1-line block ×7, first 2 shown]
	s_cmp_neq_f32 s6, 0
	s_mov_b32 s23, s9
	s_mov_b32 s10, 0
	v_mov_b32_e32 v6, 32
	v_mov_b32_e32 v80, v44
	s_wait_kmcnt 0x0
	s_add_nc_u64 s[4:5], s[4:5], s[24:25]
	s_delay_alu instid0(SALU_CYCLE_1)
	v_add_co_u32 v17, s3, s4, v7
	s_wait_alu 0xf1ff
	v_add_co_ci_u32_e64 v18, null, s5, 0, s3
	s_wait_dscnt 0x7
	v_lshlrev_b32_e32 v9, 16, v14
	v_and_b32_e32 v10, 0xffff0000, v14
	v_add_co_u32 v14, vcc_lo, v17, v2
	v_xor_b32_e32 v2, 2, v4
	v_lshlrev_b32_e32 v11, 16, v15
	v_and_b32_e32 v12, 0xffff0000, v15
	v_add_co_ci_u32_e64 v15, null, 0, v18, vcc_lo
	s_delay_alu instid0(VALU_DEP_4)
	v_cmp_gt_i32_e32 vcc_lo, 32, v2
	s_cselect_b32 s3, -1, 0
	s_lshl_b64 s[4:5], s[18:19], 2
	v_lshlrev_b32_e32 v7, 16, v13
	s_wait_alu 0xfffe
	s_add_nc_u64 s[4:5], s[20:21], s[4:5]
	s_wait_alu 0xfffd
	v_cndmask_b32_e32 v2, v4, v2, vcc_lo
	v_cmp_gt_i32_e32 vcc_lo, 32, v60
	v_and_b32_e32 v8, 0xffff0000, v13
	v_lshlrev_b32_e32 v13, 16, v16
	v_and_b32_e32 v16, 0xffff0000, v16
	s_wait_alu 0xfffd
	v_dual_cndmask_b32 v63, v4, v60 :: v_dual_lshlrev_b32 v62, 2, v2
	v_cmp_eq_u32_e32 vcc_lo, 0, v1
	v_lshlrev_b32_e32 v1, 2, v61
	v_lshlrev_b32_e32 v2, 3, v43
	s_wait_dscnt 0x6
	v_lshlrev_b32_e32 v17, 16, v21
	v_and_b32_e32 v18, 0xffff0000, v21
	v_lshlrev_b32_e32 v19, 16, v22
	v_lshl_or_b32 v1, v43, 5, v1
	v_and_b32_e32 v20, 0xffff0000, v22
	v_lshlrev_b32_e32 v21, 16, v23
	v_and_b32_e32 v22, 0xffff0000, v23
	v_lshlrev_b32_e32 v23, 16, v24
	v_add_nc_u32_e32 v79, 0x220, v1
	s_wait_alu 0xfffe
	v_add_co_u32 v1, s4, s4, v3
	v_and_b32_e32 v24, 0xffff0000, v24
	s_wait_dscnt 0x5
	v_lshlrev_b32_e32 v25, 16, v29
	v_and_b32_e32 v26, 0xffff0000, v29
	v_lshlrev_b32_e32 v27, 16, v30
	v_and_b32_e32 v28, 0xffff0000, v30
	v_lshlrev_b32_e32 v29, 16, v31
	v_and_b32_e32 v30, 0xffff0000, v31
	v_lshlrev_b32_e32 v31, 16, v32
	v_and_b32_e32 v32, 0xffff0000, v32
	s_wait_dscnt 0x4
	v_lshlrev_b32_e32 v33, 16, v37
	v_and_b32_e32 v34, 0xffff0000, v37
	v_lshlrev_b32_e32 v35, 16, v38
	v_and_b32_e32 v36, 0xffff0000, v38
	v_lshlrev_b32_e32 v37, 16, v39
	v_and_b32_e32 v38, 0xffff0000, v39
	v_lshlrev_b32_e32 v39, 16, v40
	;; [unrolled: 9-line block ×4, first 2 shown]
	v_and_b32_e32 v58, 0xffff0000, v58
	s_wait_dscnt 0x1
	v_lshlrev_b32_e32 v59, 16, v66
	v_and_b32_e32 v60, 0xffff0000, v66
	v_lshlrev_b32_e32 v63, 2, v63
	v_lshlrev_b32_e32 v64, 16, v67
	v_and_b32_e32 v65, 0xffff0000, v67
	v_lshlrev_b32_e32 v66, 16, v68
	v_and_b32_e32 v67, 0xffff0000, v68
	v_lshlrev_b32_e32 v68, 16, v69
	v_and_b32_e32 v69, 0xffff0000, v69
	s_wait_dscnt 0x0
	v_lshlrev_b32_e32 v70, 16, v74
	v_and_b32_e32 v71, 0xffff0000, v74
	v_lshlrev_b32_e32 v72, 16, v75
	v_and_b32_e32 v73, 0xffff0000, v75
	;; [unrolled: 2-line block ×4, first 2 shown]
	v_add3_u32 v78, s12, v2, v61
	s_wait_alu 0xf1ff
	v_add_co_ci_u32_e64 v2, null, s5, 0, s4
	v_mov_b32_e32 v61, 0xff7fffff
	s_sub_co_i32 s24, 1, s13
	s_branch .LBB152_10
.LBB152_9:                              ;   in Loop: Header=BB152_10 Depth=1
	s_wait_alu 0xfffe
	s_or_b32 exec_lo, exec_lo, s5
	v_add_nc_u32_e32 v80, 4, v80
	v_add_co_u32 v1, s5, v1, 16
	v_add_nc_u32_e32 v78, 32, v78
	v_add_nc_u32_e32 v79, 0x80, v79
	s_delay_alu instid0(VALU_DEP_4) | instskip(SKIP_3) | instid1(SALU_CYCLE_1)
	v_cmp_le_i32_e64 s4, s15, v80
	s_wait_alu 0xf1ff
	v_add_co_ci_u32_e64 v2, null, 0, v2, s5
	s_or_b32 s10, s4, s10
	s_and_not1_b32 exec_lo, exec_lo, s10
	s_cbranch_execz .LBB152_12
.LBB152_10:                             ; =>This Inner Loop Header: Depth=1
	global_load_b32 v81, v[1:2], off
	s_wait_loadcnt_dscnt 0x0
	v_mad_co_i64_i32 v[81:82], null, v81, s23, 0
	s_delay_alu instid0(VALU_DEP_1) | instskip(NEXT) | instid1(VALU_DEP_1)
	v_lshlrev_b64_e32 v[81:82], 1, v[81:82]
	v_add_co_u32 v81, s4, v14, v81
	s_wait_alu 0xf1ff
	s_delay_alu instid0(VALU_DEP_2)
	v_add_co_ci_u32_e64 v82, null, v15, v82, s4
	s_clause 0x1f
	global_load_b32 v83, v[81:82], off offset:128
	global_load_b32 v84, v[81:82], off offset:256
	;; [unrolled: 1-line block ×7, first 2 shown]
	global_load_b32 v90, v[81:82], off
	global_load_b32 v91, v[81:82], off offset:1024
	global_load_b32 v92, v[81:82], off offset:1152
	;; [unrolled: 1-line block ×24, first 2 shown]
	s_wait_loadcnt 0x18
	v_lshlrev_b32_e32 v114, 16, v90
	v_lshlrev_b32_e32 v115, 16, v84
	v_and_b32_e32 v84, 0xffff0000, v84
	v_and_b32_e32 v90, 0xffff0000, v90
	v_lshlrev_b32_e32 v82, 16, v83
	v_and_b32_e32 v83, 0xffff0000, v83
	s_delay_alu instid0(VALU_DEP_1) | instskip(NEXT) | instid1(VALU_DEP_1)
	v_mul_f32_e32 v83, v10, v83
	v_fmac_f32_e32 v83, v8, v90
	s_delay_alu instid0(VALU_DEP_1) | instskip(NEXT) | instid1(VALU_DEP_1)
	v_dual_mul_f32 v82, v9, v82 :: v_dual_fmac_f32 v83, v12, v84
	v_fmac_f32_e32 v82, v7, v114
	v_lshlrev_b32_e32 v84, 16, v86
	v_and_b32_e32 v86, 0xffff0000, v86
	v_lshlrev_b32_e32 v90, 16, v85
	s_delay_alu instid0(VALU_DEP_4) | instskip(NEXT) | instid1(VALU_DEP_1)
	v_dual_fmac_f32 v82, v11, v115 :: v_dual_and_b32 v85, 0xffff0000, v85
	v_fmac_f32_e32 v83, v16, v85
	v_lshlrev_b32_e32 v85, 16, v87
	s_delay_alu instid0(VALU_DEP_2) | instskip(NEXT) | instid1(VALU_DEP_4)
	v_fmac_f32_e32 v83, v18, v86
	v_dual_fmac_f32 v82, v13, v90 :: v_dual_and_b32 v87, 0xffff0000, v87
	s_delay_alu instid0(VALU_DEP_1) | instskip(NEXT) | instid1(VALU_DEP_2)
	v_dual_fmac_f32 v83, v20, v87 :: v_dual_and_b32 v86, 0xffff0000, v88
	v_fmac_f32_e32 v82, v17, v84
	s_delay_alu instid0(VALU_DEP_2) | instskip(NEXT) | instid1(VALU_DEP_2)
	v_dual_fmac_f32 v83, v22, v86 :: v_dual_lshlrev_b32 v84, 16, v88
	v_fmac_f32_e32 v82, v19, v85
	v_lshlrev_b32_e32 v85, 16, v89
	s_wait_loadcnt 0x17
	v_and_b32_e32 v86, 0xffff0000, v91
	s_delay_alu instid0(VALU_DEP_3) | instskip(SKIP_1) | instid1(VALU_DEP_2)
	v_fmac_f32_e32 v82, v21, v84
	v_lshlrev_b32_e32 v84, 16, v91
	v_fmac_f32_e32 v82, v23, v85
	v_and_b32_e32 v87, 0xffff0000, v89
	s_wait_loadcnt 0x16
	v_lshlrev_b32_e32 v85, 16, v92
	s_delay_alu instid0(VALU_DEP_2) | instskip(NEXT) | instid1(VALU_DEP_1)
	v_dual_fmac_f32 v82, v25, v84 :: v_dual_fmac_f32 v83, v24, v87
	v_dual_fmac_f32 v82, v27, v85 :: v_dual_and_b32 v87, 0xffff0000, v92
	s_wait_loadcnt 0x14
	v_lshlrev_b32_e32 v85, 16, v94
	s_delay_alu instid0(VALU_DEP_3) | instskip(NEXT) | instid1(VALU_DEP_1)
	v_fmac_f32_e32 v83, v26, v86
	v_fmac_f32_e32 v83, v28, v87
	v_and_b32_e32 v87, 0xffff0000, v94
	v_and_b32_e32 v86, 0xffff0000, v93
	s_delay_alu instid0(VALU_DEP_1) | instskip(NEXT) | instid1(VALU_DEP_1)
	v_dual_fmac_f32 v83, v30, v86 :: v_dual_lshlrev_b32 v84, 16, v93
	v_fmac_f32_e32 v82, v29, v84
	s_wait_loadcnt 0x13
	v_and_b32_e32 v86, 0xffff0000, v95
	s_delay_alu instid0(VALU_DEP_3) | instskip(SKIP_3) | instid1(VALU_DEP_1)
	v_fmac_f32_e32 v83, v32, v87
	v_lshlrev_b32_e32 v84, 16, v95
	s_wait_loadcnt 0x12
	v_dual_fmac_f32 v82, v31, v85 :: v_dual_lshlrev_b32 v85, 16, v96
	v_dual_fmac_f32 v83, v34, v86 :: v_dual_fmac_f32 v82, v33, v84
	s_delay_alu instid0(VALU_DEP_1) | instskip(NEXT) | instid1(VALU_DEP_1)
	v_dual_fmac_f32 v82, v35, v85 :: v_dual_and_b32 v87, 0xffff0000, v96
	v_fmac_f32_e32 v83, v36, v87
	s_wait_loadcnt 0x10
	v_and_b32_e32 v87, 0xffff0000, v98
	v_and_b32_e32 v86, 0xffff0000, v97
	s_delay_alu instid0(VALU_DEP_1) | instskip(NEXT) | instid1(VALU_DEP_1)
	v_dual_fmac_f32 v83, v38, v86 :: v_dual_lshlrev_b32 v84, 16, v97
	v_dual_fmac_f32 v82, v37, v84 :: v_dual_lshlrev_b32 v85, 16, v98
	s_wait_loadcnt 0xf
	v_and_b32_e32 v86, 0xffff0000, v99
	s_delay_alu instid0(VALU_DEP_2) | instskip(SKIP_3) | instid1(VALU_DEP_2)
	v_dual_fmac_f32 v82, v39, v85 :: v_dual_fmac_f32 v83, v40, v87
	v_lshlrev_b32_e32 v84, 16, v99
	s_wait_loadcnt 0xe
	v_lshlrev_b32_e32 v85, 16, v100
	v_dual_fmac_f32 v83, v42, v86 :: v_dual_fmac_f32 v82, v41, v84
	s_delay_alu instid0(VALU_DEP_1) | instskip(NEXT) | instid1(VALU_DEP_1)
	v_dual_fmac_f32 v82, v45, v85 :: v_dual_and_b32 v87, 0xffff0000, v100
	v_fmac_f32_e32 v83, v46, v87
	s_wait_loadcnt 0xc
	v_and_b32_e32 v87, 0xffff0000, v102
	v_and_b32_e32 v86, 0xffff0000, v101
	s_delay_alu instid0(VALU_DEP_1) | instskip(NEXT) | instid1(VALU_DEP_1)
	v_dual_fmac_f32 v83, v48, v86 :: v_dual_lshlrev_b32 v84, 16, v101
	v_dual_fmac_f32 v82, v47, v84 :: v_dual_lshlrev_b32 v85, 16, v102
	s_wait_loadcnt 0xb
	v_and_b32_e32 v86, 0xffff0000, v103
	s_delay_alu instid0(VALU_DEP_2) | instskip(SKIP_3) | instid1(VALU_DEP_2)
	v_dual_fmac_f32 v82, v49, v85 :: v_dual_fmac_f32 v83, v50, v87
	v_lshlrev_b32_e32 v84, 16, v103
	s_wait_loadcnt 0xa
	v_lshlrev_b32_e32 v85, 16, v104
	;; [unrolled: 17-line block ×4, first 2 shown]
	v_dual_fmac_f32 v83, v71, v86 :: v_dual_fmac_f32 v82, v70, v84
	v_and_b32_e32 v87, 0xffff0000, v112
	s_wait_loadcnt 0x1
	v_and_b32_e32 v86, 0xffff0000, v113
	s_delay_alu instid0(VALU_DEP_2) | instskip(NEXT) | instid1(VALU_DEP_1)
	v_dual_fmac_f32 v82, v72, v85 :: v_dual_fmac_f32 v83, v73, v87
	v_dual_fmac_f32 v83, v75, v86 :: v_dual_lshlrev_b32 v84, 16, v113
	s_wait_loadcnt 0x0
	s_delay_alu instid0(VALU_DEP_1) | instskip(SKIP_1) | instid1(VALU_DEP_2)
	v_dual_fmac_f32 v82, v74, v84 :: v_dual_lshlrev_b32 v85, 16, v81
	v_and_b32_e32 v81, 0xffff0000, v81
	v_fmac_f32_e32 v82, v76, v85
	s_delay_alu instid0(VALU_DEP_2) | instskip(NEXT) | instid1(VALU_DEP_1)
	v_fmac_f32_e32 v83, v77, v81
	v_add_f32_e32 v81, v82, v83
	ds_bpermute_b32 v82, v62, v81
	s_wait_dscnt 0x0
	v_add_f32_e32 v81, v81, v82
	ds_bpermute_b32 v82, v63, v81
	s_and_saveexec_b32 s5, vcc_lo
	s_cbranch_execz .LBB152_9
; %bb.11:                               ;   in Loop: Header=BB152_10 Depth=1
	s_wait_dscnt 0x0
	v_add_f32_e32 v81, v81, v82
	v_add_nc_u32_e32 v83, s24, v78
	v_cmp_gt_i32_e64 s4, s13, v78
	s_delay_alu instid0(VALU_DEP_2) | instskip(NEXT) | instid1(VALU_DEP_1)
	v_cvt_f32_i32_e32 v83, v83
	v_mul_f32_e32 v83, s6, v83
	s_delay_alu instid0(VALU_DEP_1) | instskip(SKIP_1) | instid1(VALU_DEP_2)
	v_cndmask_b32_e64 v82, 0, v83, s3
	v_max_num_f32_e32 v83, v61, v61
	v_fmac_f32_e32 v82, s7, v81
	s_delay_alu instid0(VALU_DEP_1) | instskip(SKIP_2) | instid1(VALU_DEP_2)
	v_max_num_f32_e32 v81, v83, v82
	s_wait_alu 0xf1ff
	v_cndmask_b32_e64 v82, 0, v82, s4
	v_cndmask_b32_e64 v61, v61, v81, s4
	ds_store_b32 v79, v82
	s_branch .LBB152_9
.LBB152_12:
	s_or_b32 exec_lo, exec_lo, s10
.LBB152_13:
	s_delay_alu instid0(SALU_CYCLE_1)
	s_or_b32 exec_lo, exec_lo, s11
	v_xor_b32_e32 v1, 16, v4
	v_xor_b32_e32 v7, 8, v4
	;; [unrolled: 1-line block ×3, first 2 shown]
	s_clause 0x2
	s_load_b128 s[4:7], s[0:1], 0x0
	s_load_b64 s[10:11], s[0:1], 0x10
	s_load_b64 s[24:25], s[0:1], 0x28
	v_and_b32_e32 v46, 31, v0
	v_cmp_lt_i32_e32 vcc_lo, v1, v6
	s_wait_alu 0xfffd
	v_cndmask_b32_e32 v1, v4, v1, vcc_lo
	v_cmp_lt_i32_e32 vcc_lo, v7, v6
	s_wait_alu 0xfffd
	s_delay_alu instid0(VALU_DEP_2)
	v_dual_cndmask_b32 v7, v4, v7 :: v_dual_lshlrev_b32 v2, 2, v1
	v_max_num_f32_e32 v8, v61, v61
	v_cmp_lt_i32_e32 vcc_lo, v9, v6
	ds_bpermute_b32 v1, v2, v61
	v_lshlrev_b32_e32 v7, 2, v7
	s_wait_alu 0xfffd
	v_cndmask_b32_e32 v9, v4, v9, vcc_lo
	v_cmp_eq_u32_e32 vcc_lo, 0, v46
	s_delay_alu instid0(VALU_DEP_2) | instskip(SKIP_2) | instid1(VALU_DEP_1)
	v_lshlrev_b32_e32 v10, 2, v9
	s_wait_dscnt 0x0
	v_max_num_f32_e32 v1, v1, v1
	v_max_num_f32_e32 v1, v8, v1
	ds_bpermute_b32 v8, v7, v1
	s_wait_dscnt 0x0
	v_max_num_f32_e32 v8, v8, v8
	s_delay_alu instid0(VALU_DEP_1)
	v_dual_max_num_f32 v1, v1, v8 :: v_dual_lshlrev_b32 v8, 2, v43
	ds_bpermute_b32 v9, v10, v1
	s_and_saveexec_b32 s0, vcc_lo
	s_cbranch_execz .LBB152_15
; %bb.14:
	s_wait_dscnt 0x0
	v_max_num_f32_e32 v9, v9, v9
	v_max_num_f32_e32 v1, v1, v1
	s_delay_alu instid0(VALU_DEP_1)
	v_max_num_f32_e32 v1, v1, v9
	ds_store_b32 v8, v1 offset:512
.LBB152_15:
	s_or_b32 exec_lo, exec_lo, s0
	v_cmp_gt_u32_e64 s0, 4, v46
	v_mov_b32_e32 v1, 0xff7fffff
	s_wait_dscnt 0x0
	v_lshlrev_b32_e32 v9, 2, v46
	s_wait_loadcnt 0x0
	s_barrier_signal -1
	s_barrier_wait -1
	global_inv scope:SCOPE_SE
	s_and_saveexec_b32 s1, s0
; %bb.16:
	ds_load_b32 v1, v9 offset:512
; %bb.17:
	s_or_b32 exec_lo, exec_lo, s1
	v_xor_b32_e32 v11, 2, v4
	v_xor_b32_e32 v13, 1, v4
	v_lshlrev_b32_e32 v5, 2, v5
	s_delay_alu instid0(VALU_DEP_3) | instskip(NEXT) | instid1(VALU_DEP_1)
	v_cmp_lt_i32_e64 s1, v11, v6
	v_cndmask_b32_e64 v11, v4, v11, s1
	s_delay_alu instid0(VALU_DEP_4) | instskip(NEXT) | instid1(VALU_DEP_2)
	v_cmp_lt_i32_e64 s1, v13, v6
	v_lshlrev_b32_e32 v11, 2, v11
	s_wait_alu 0xf1ff
	s_delay_alu instid0(VALU_DEP_2)
	v_cndmask_b32_e64 v6, v4, v13, s1
	s_sub_co_i32 s1, s15, s28
	s_wait_alu 0xfffe
	s_lshl_b32 s1, s1, 3
	s_wait_dscnt 0x0
	ds_bpermute_b32 v12, v11, v1
	v_dual_max_num_f32 v1, v1, v1 :: v_dual_lshlrev_b32 v6, 2, v6
	s_wait_alu 0xfffe
	s_add_co_i32 s1, s1, s12
	s_wait_alu 0xfffe
	s_min_i32 s1, s1, s13
	s_wait_alu 0xfffe
	s_sub_co_i32 s23, s1, s12
	s_wait_alu 0xfffe
	v_cmp_gt_i32_e64 s1, s23, v0
	s_wait_dscnt 0x0
	v_max_num_f32_e32 v12, v12, v12
	s_delay_alu instid0(VALU_DEP_1) | instskip(SKIP_3) | instid1(VALU_DEP_1)
	v_max_num_f32_e32 v1, v1, v12
	ds_bpermute_b32 v12, v6, v1
	s_wait_dscnt 0x0
	v_max_num_f32_e32 v12, v12, v12
	v_dual_max_num_f32 v1, v1, v12 :: v_dual_mov_b32 v12, 0
	ds_bpermute_b32 v1, v5, v1
	v_lshl_add_u32 v5, v0, 2, 0x220
	s_and_saveexec_b32 s28, s1
	s_cbranch_execz .LBB152_21
; %bb.18:
	v_lshl_add_u32 v13, v0, 2, 0x220
	v_mov_b32_e32 v12, 0
	v_mov_b32_e32 v14, v0
	s_mov_b32 s29, 0
.LBB152_19:                             ; =>This Inner Loop Header: Depth=1
	ds_load_b32 v15, v13
	v_add_nc_u32_e32 v14, 0x80, v14
	s_delay_alu instid0(VALU_DEP_1) | instskip(SKIP_4) | instid1(VALU_DEP_1)
	v_cmp_le_i32_e64 s3, s23, v14
	s_wait_alu 0xfffe
	s_or_b32 s29, s3, s29
	s_wait_dscnt 0x0
	v_sub_f32_e32 v15, v15, v1
	v_mul_f32_e32 v15, 0x3fb8aa3b, v15
	s_delay_alu instid0(VALU_DEP_1)
	v_exp_f32_e32 v15, v15
	ds_store_b32 v13, v15
	v_dual_add_f32 v12, v12, v15 :: v_dual_add_nc_u32 v13, 0x200, v13
	s_wait_alu 0xfffe
	s_and_not1_b32 exec_lo, exec_lo, s29
	s_cbranch_execnz .LBB152_19
; %bb.20:
	s_or_b32 exec_lo, exec_lo, s29
.LBB152_21:
	s_wait_alu 0xfffe
	s_or_b32 exec_lo, exec_lo, s28
	ds_bpermute_b32 v2, v2, v12
	s_wait_dscnt 0x0
	v_add_f32_e32 v2, v12, v2
	ds_bpermute_b32 v7, v7, v2
	s_wait_dscnt 0x0
	v_add_f32_e32 v2, v2, v7
	;; [unrolled: 3-line block ×5, first 2 shown]
	s_and_saveexec_b32 s3, vcc_lo
; %bb.22:
	ds_store_b32 v8, v2 offset:528
; %bb.23:
	s_wait_alu 0xfffe
	s_or_b32 exec_lo, exec_lo, s3
	s_wait_loadcnt_dscnt 0x0
	s_barrier_signal -1
	s_barrier_wait -1
	global_inv scope:SCOPE_SE
	s_and_saveexec_b32 s3, s0
; %bb.24:
	ds_load_b32 v2, v9 offset:528
; %bb.25:
	s_wait_alu 0xfffe
	s_or_b32 exec_lo, exec_lo, s3
	s_wait_dscnt 0x0
	ds_bpermute_b32 v7, v11, v2
	v_lshlrev_b32_e32 v4, 2, v4
	s_delay_alu instid0(VALU_DEP_1)
	v_and_b32_e32 v4, 0xffffff80, v4
	s_wait_dscnt 0x0
	v_add_f32_e32 v2, v2, v7
	ds_bpermute_b32 v6, v6, v2
	s_wait_dscnt 0x0
	v_add_f32_e32 v2, v2, v6
	ds_bpermute_b32 v2, v4, v2
	s_and_saveexec_b32 s0, s1
	s_cbranch_execz .LBB152_28
; %bb.26:
	s_wait_dscnt 0x0
	v_add_f32_e32 v4, 0x358637bd, v2
	s_mov_b32 s1, 0
	s_delay_alu instid0(VALU_DEP_1) | instskip(NEXT) | instid1(VALU_DEP_1)
	v_div_scale_f32 v6, null, v4, v4, 1.0
	v_rcp_f32_e32 v7, v6
	s_delay_alu instid0(TRANS32_DEP_1) | instskip(NEXT) | instid1(VALU_DEP_1)
	v_fma_f32 v8, -v6, v7, 1.0
	v_fmac_f32_e32 v7, v8, v7
	v_div_scale_f32 v9, vcc_lo, 1.0, v4, 1.0
	s_delay_alu instid0(VALU_DEP_1) | instskip(NEXT) | instid1(VALU_DEP_1)
	v_mul_f32_e32 v8, v9, v7
	v_fma_f32 v10, -v6, v8, v9
	s_delay_alu instid0(VALU_DEP_1) | instskip(NEXT) | instid1(VALU_DEP_1)
	v_fmac_f32_e32 v8, v10, v7
	v_fma_f32 v6, -v6, v8, v9
	s_wait_alu 0xfffd
	s_delay_alu instid0(VALU_DEP_1) | instskip(NEXT) | instid1(VALU_DEP_1)
	v_div_fmas_f32 v6, v6, v7, v8
	v_div_fixup_f32 v4, v6, v4, 1.0
	v_mov_b32_e32 v6, v0
.LBB152_27:                             ; =>This Inner Loop Header: Depth=1
	ds_load_b32 v7, v5
	s_wait_dscnt 0x0
	v_dual_mul_f32 v7, v4, v7 :: v_dual_add_nc_u32 v6, 0x80, v6
	s_delay_alu instid0(VALU_DEP_1)
	v_cmp_le_i32_e32 vcc_lo, s23, v6
	ds_store_b32 v5, v7
	v_add_nc_u32_e32 v5, 0x200, v5
	s_wait_alu 0xfffe
	s_or_b32 s1, vcc_lo, s1
	s_wait_alu 0xfffe
	s_and_not1_b32 exec_lo, exec_lo, s1
	s_cbranch_execnz .LBB152_27
.LBB152_28:
	s_wait_alu 0xfffe
	s_or_b32 exec_lo, exec_lo, s0
	s_wait_kmcnt 0x0
	s_mul_i32 s0, s8, s16
	s_wait_loadcnt_dscnt 0x0
	s_wait_alu 0xfffe
	s_mul_i32 s16, s0, s17
	s_mov_b32 s0, exec_lo
	s_barrier_signal -1
	s_barrier_wait -1
	global_inv scope:SCOPE_SE
	v_cmpx_eq_u32_e32 0, v0
	s_cbranch_execz .LBB152_30
; %bb.29:
	s_ashr_i32 s17, s16, 31
	s_wait_alu 0xfffe
	s_mul_i32 s28, s8, ttmp9
	s_lshl_b32 s1, s26, 2
	s_lshl_b64 s[30:31], s[16:17], 2
	s_wait_alu 0xfffe
	s_ashr_i32 s29, s28, 31
	v_mov_b32_e32 v4, s1
	s_add_nc_u64 s[6:7], s[6:7], s[30:31]
	s_wait_alu 0xfffe
	s_lshl_b64 s[28:29], s[28:29], 2
	s_add_nc_u64 s[4:5], s[4:5], s[30:31]
	s_wait_alu 0xfffe
	s_add_nc_u64 s[6:7], s[6:7], s[28:29]
	s_add_nc_u64 s[4:5], s[4:5], s[28:29]
	s_clause 0x1
	global_store_b32 v4, v1, s[6:7]
	global_store_b32 v4, v2, s[4:5]
.LBB152_30:
	s_wait_alu 0xfffe
	s_or_b32 exec_lo, exec_lo, s0
	v_dual_mov_b32 v53, 0 :: v_dual_mov_b32 v52, 0
	v_dual_mov_b32 v51, 0 :: v_dual_mov_b32 v50, 0
	;; [unrolled: 1-line block ×3, first 2 shown]
	v_mov_b32_e32 v47, 0
	v_mov_b32_e32 v45, 0
	s_and_saveexec_b32 s1, s2
	s_cbranch_execz .LBB152_50
; %bb.31:
	s_ashr_i32 s23, s22, 31
	v_dual_mov_b32 v48, 0 :: v_dual_lshlrev_b32 v1, 4, v46
	s_wait_alu 0xfffe
	s_lshl_b64 s[4:5], s[22:23], 1
	v_dual_mov_b32 v45, 0 :: v_dual_mov_b32 v50, 0
	s_wait_alu 0xfffe
	s_add_nc_u64 s[4:5], s[24:25], s[4:5]
	v_lshl_add_u32 v56, v43, 3, s12
	s_wait_alu 0xfffe
	v_add_co_u32 v54, s0, s4, v1
	s_wait_alu 0xf1ff
	v_add_co_ci_u32_e64 v55, null, s5, 0, s0
	s_lshl_b64 s[4:5], s[18:19], 2
	v_lshl_add_u32 v57, v43, 5, 0x220
	s_wait_alu 0xfffe
	s_add_nc_u64 s[4:5], s[20:21], s[4:5]
	v_dual_mov_b32 v47, 0 :: v_dual_mov_b32 v52, 0
	s_wait_alu 0xfffe
	v_add_co_u32 v41, s0, s4, v3
	s_wait_alu 0xf1ff
	v_add_co_ci_u32_e64 v42, null, s5, 0, s0
	v_mov_b32_e32 v49, 0
	v_mov_b32_e32 v51, 0
	;; [unrolled: 1-line block ×3, first 2 shown]
	s_mov_b32 s2, s9
	s_add_co_i32 s3, s27, -1
	s_mov_b32 s5, s13
	s_mov_b32 s4, 0
	s_branch .LBB152_33
.LBB152_32:                             ;   in Loop: Header=BB152_33 Depth=1
	s_wait_alu 0xfffe
	s_or_b32 exec_lo, exec_lo, s0
	s_wait_dscnt 0x1
	v_bfe_u32 v58, v29, 16, 1
	v_bfe_u32 v59, v30, 16, 1
	v_or_b32_e32 v60, 0x400000, v29
	v_cmp_u_f32_e32 vcc_lo, v29, v29
	v_or_b32_e32 v61, 0x400000, v30
	v_add3_u32 v58, v58, v29, 0x7fff
	v_bfe_u32 v62, v31, 16, 1
	v_add3_u32 v59, v59, v30, 0x7fff
	v_bfe_u32 v63, v32, 16, 1
	v_add_co_u32 v41, s0, v41, 16
	s_wait_alu 0xfffd
	v_cndmask_b32_e32 v29, v58, v60, vcc_lo
	v_cmp_u_f32_e32 vcc_lo, v30, v30
	v_add3_u32 v58, v62, v31, 0x7fff
	s_wait_dscnt 0x0
	v_bfe_u32 v60, v25, 16, 1
	v_or_b32_e32 v62, 0x400000, v32
	v_add_nc_u32_e32 v57, 0x80, v57
	s_wait_alu 0xfffd
	v_cndmask_b32_e32 v30, v59, v61, vcc_lo
	v_or_b32_e32 v59, 0x400000, v31
	v_cmp_u_f32_e32 vcc_lo, v31, v31
	v_add3_u32 v61, v63, v32, 0x7fff
	s_wait_alu 0xf1ff
	v_add_co_ci_u32_e64 v42, null, 0, v42, s0
	v_and_b32_e32 v29, 0xffff0000, v29
	s_wait_alu 0xfffd
	v_cndmask_b32_e32 v31, v58, v59, vcc_lo
	v_cmp_u_f32_e32 vcc_lo, v32, v32
	v_add3_u32 v58, v60, v25, 0x7fff
	v_or_b32_e32 v59, 0x400000, v25
	v_bfe_u32 v60, v26, 16, 1
	v_add_nc_u32_e32 v44, 4, v44
	s_wait_alu 0xfffd
	v_cndmask_b32_e32 v32, v61, v62, vcc_lo
	v_cmp_u_f32_e32 vcc_lo, v25, v25
	v_or_b32_e32 v61, 0x400000, v26
	v_add3_u32 v60, v60, v26, 0x7fff
	v_and_b32_e32 v25, 0xffff0000, v30
	v_or_b32_e32 v62, 0x400000, v27
	s_wait_alu 0xfffd
	v_cndmask_b32_e32 v58, v58, v59, vcc_lo
	v_bfe_u32 v59, v27, 16, 1
	v_cmp_u_f32_e32 vcc_lo, v26, v26
	v_add_nc_u32_e32 v56, 32, v56
	s_delay_alu instid0(VALU_DEP_3)
	v_add3_u32 v59, v59, v27, 0x7fff
	s_wait_alu 0xfffd
	v_cndmask_b32_e32 v26, v60, v61, vcc_lo
	v_cmp_u_f32_e32 vcc_lo, v27, v27
	s_wait_loadcnt 0x1
	v_and_b32_e32 v30, 0xffff0000, v37
	v_bfe_u32 v60, v28, 16, 1
	v_or_b32_e32 v61, 0x400000, v28
	s_wait_alu 0xfffd
	v_cndmask_b32_e32 v59, v59, v62, vcc_lo
	v_mul_f32_e32 v30, v25, v30
	v_add3_u32 v60, v60, v28, 0x7fff
	v_cmp_u_f32_e32 vcc_lo, v28, v28
	s_delay_alu instid0(VALU_DEP_3)
	v_bfe_u32 v27, v30, 16, 1
	v_or_b32_e32 v63, 0x400000, v30
	s_wait_alu 0xfffd
	v_cndmask_b32_e32 v28, v60, v61, vcc_lo
	v_cmp_u_f32_e32 vcc_lo, v30, v30
	v_add3_u32 v62, v27, v30, 0x7fff
	v_lshlrev_b32_e32 v37, 16, v37
	v_and_b32_e32 v27, 0xffff0000, v32
	v_and_b32_e32 v32, 0xffff0000, v38
	s_wait_alu 0xfffd
	s_delay_alu instid0(VALU_DEP_3) | instskip(NEXT) | instid1(VALU_DEP_1)
	v_dual_cndmask_b32 v60, v62, v63 :: v_dual_mul_f32 v37, v29, v37
	v_and_b32_e32 v60, 0xffff0000, v60
	s_delay_alu instid0(VALU_DEP_2) | instskip(SKIP_3) | instid1(VALU_DEP_4)
	v_bfe_u32 v61, v37, 16, 1
	v_cmp_u_f32_e32 vcc_lo, v37, v37
	v_and_b32_e32 v30, 0xffff0000, v31
	v_lshlrev_b32_e32 v31, 16, v38
	v_add3_u32 v38, v61, v37, 0x7fff
	v_or_b32_e32 v61, 0x400000, v37
	s_wait_alu 0xfffd
	s_delay_alu instid0(VALU_DEP_1) | instskip(SKIP_2) | instid1(VALU_DEP_3)
	v_dual_cndmask_b32 v37, v38, v61 :: v_dual_mul_f32 v62, v27, v32
	v_mul_f32_e32 v31, v30, v31
	v_and_b32_e32 v32, 0xffff0000, v39
	v_bfe_u32 v63, v62, 16, 1
	v_or_b32_e32 v61, 0x400000, v62
	v_cmp_u_f32_e32 vcc_lo, v62, v62
	s_delay_alu instid0(VALU_DEP_3) | instskip(SKIP_3) | instid1(VALU_DEP_3)
	v_add3_u32 v38, v63, v62, 0x7fff
	v_lshlrev_b32_e32 v39, 16, v39
	v_bfe_u32 v63, v31, 16, 1
	s_wait_alu 0xfffd
	v_cndmask_b32_e32 v38, v38, v61, vcc_lo
	v_and_b32_e32 v26, 0xffff0000, v26
	v_or_b32_e32 v61, 0x400000, v31
	v_cmp_u_f32_e32 vcc_lo, v31, v31
	s_delay_alu instid0(VALU_DEP_4) | instskip(SKIP_1) | instid1(VALU_DEP_1)
	v_and_b32_e32 v38, 0xffff0000, v38
	v_and_b32_e32 v37, 0xffff0000, v37
	v_add_f32_e32 v37, v37, v60
	v_and_b32_e32 v28, 0xffff0000, v28
	v_mul_f32_e32 v64, v26, v32
	v_and_b32_e32 v32, 0xffff0000, v58
	v_add3_u32 v58, v63, v31, 0x7fff
	v_and_b32_e32 v63, 0xffff0000, v40
	v_and_b32_e32 v31, 0xffff0000, v59
	s_wait_alu 0xfffd
	s_delay_alu instid0(VALU_DEP_3) | instskip(NEXT) | instid1(VALU_DEP_1)
	v_dual_mul_f32 v39, v32, v39 :: v_dual_cndmask_b32 v58, v58, v61
	v_bfe_u32 v66, v39, 16, 1
	s_delay_alu instid0(VALU_DEP_2) | instskip(NEXT) | instid1(VALU_DEP_1)
	v_and_b32_e32 v58, 0xffff0000, v58
	v_add_f32_e32 v38, v58, v38
	v_and_b32_e32 v58, 0xffff0000, v33
	v_lshlrev_b32_e32 v33, 16, v33
	s_delay_alu instid0(VALU_DEP_3)
	v_add_f32_e32 v37, v38, v37
	v_mul_f32_e32 v61, v28, v63
	v_bfe_u32 v65, v64, 16, 1
	v_cmp_u_f32_e32 vcc_lo, v64, v64
	v_add3_u32 v63, v66, v39, 0x7fff
	v_mul_f32_e32 v38, v25, v58
	v_mul_f32_e32 v33, v29, v33
	v_add3_u32 v62, v65, v64, 0x7fff
	v_or_b32_e32 v65, 0x400000, v64
	v_or_b32_e32 v64, 0x400000, v39
	v_bfe_u32 v58, v38, 16, 1
	s_wait_alu 0xfffd
	s_delay_alu instid0(VALU_DEP_3) | instskip(SKIP_3) | instid1(VALU_DEP_3)
	v_cndmask_b32_e32 v62, v62, v65, vcc_lo
	v_bfe_u32 v65, v61, 16, 1
	v_cmp_u_f32_e32 vcc_lo, v39, v39
	v_add3_u32 v58, v58, v38, 0x7fff
	v_add3_u32 v59, v65, v61, 0x7fff
	s_wait_alu 0xfffd
	v_cndmask_b32_e32 v39, v63, v64, vcc_lo
	v_or_b32_e32 v63, 0x400000, v61
	v_cmp_u_f32_e32 vcc_lo, v61, v61
	s_delay_alu instid0(VALU_DEP_3) | instskip(SKIP_1) | instid1(VALU_DEP_3)
	v_and_b32_e32 v39, 0xffff0000, v39
	s_wait_alu 0xfffd
	v_dual_cndmask_b32 v59, v59, v63 :: v_dual_and_b32 v60, 0xffff0000, v62
	v_and_b32_e32 v63, 0xffff0000, v36
	s_delay_alu instid0(VALU_DEP_2) | instskip(SKIP_2) | instid1(VALU_DEP_3)
	v_add_f32_e32 v39, v39, v60
	v_lshlrev_b32_e32 v40, 16, v40
	v_or_b32_e32 v60, 0x400000, v38
	v_add_f32_e32 v37, v39, v37
	s_delay_alu instid0(VALU_DEP_3) | instskip(NEXT) | instid1(VALU_DEP_1)
	v_mul_f32_e32 v40, v31, v40
	v_bfe_u32 v61, v40, 16, 1
	v_or_b32_e32 v62, 0x400000, v40
	v_cmp_u_f32_e32 vcc_lo, v40, v40
	s_delay_alu instid0(VALU_DEP_3) | instskip(SKIP_1) | instid1(VALU_DEP_1)
	v_add3_u32 v61, v61, v40, 0x7fff
	s_wait_alu 0xfffd
	v_cndmask_b32_e32 v40, v61, v62, vcc_lo
	v_cmp_u_f32_e32 vcc_lo, v38, v38
	v_and_b32_e32 v39, 0xffff0000, v34
	v_bfe_u32 v61, v33, 16, 1
	v_and_b32_e32 v62, 0xffff0000, v35
	s_wait_alu 0xfffd
	v_dual_cndmask_b32 v38, v58, v60 :: v_dual_lshlrev_b32 v35, 16, v35
	v_mul_f32_e32 v39, v27, v39
	v_add3_u32 v58, v61, v33, 0x7fff
	v_or_b32_e32 v60, 0x400000, v33
	v_cmp_u_f32_e32 vcc_lo, v33, v33
	v_mul_f32_e32 v62, v26, v62
	v_bfe_u32 v61, v39, 16, 1
	v_dual_mul_f32 v35, v32, v35 :: v_dual_and_b32 v38, 0xffff0000, v38
	s_wait_alu 0xfffd
	v_cndmask_b32_e32 v33, v58, v60, vcc_lo
	v_or_b32_e32 v60, 0x400000, v39
	v_add3_u32 v58, v61, v39, 0x7fff
	v_cmp_u_f32_e32 vcc_lo, v39, v39
	v_lshlrev_b32_e32 v34, 16, v34
	v_and_b32_e32 v33, 0xffff0000, v33
	v_lshlrev_b32_e32 v36, 16, v36
	v_and_b32_e32 v40, 0xffff0000, v40
	s_wait_alu 0xfffd
	v_cndmask_b32_e32 v39, v58, v60, vcc_lo
	v_mul_f32_e32 v34, v30, v34
	v_dual_add_f32 v33, v33, v38 :: v_dual_mul_f32 v36, v31, v36
	v_or_b32_e32 v64, 0x400000, v35
	s_delay_alu instid0(VALU_DEP_4) | instskip(NEXT) | instid1(VALU_DEP_4)
	v_and_b32_e32 v39, 0xffff0000, v39
	v_bfe_u32 v61, v34, 16, 1
	v_or_b32_e32 v60, 0x400000, v34
	v_cmp_u_f32_e32 vcc_lo, v34, v34
	v_bfe_u32 v66, v36, 16, 1
	s_delay_alu instid0(VALU_DEP_4) | instskip(SKIP_2) | instid1(VALU_DEP_2)
	v_add3_u32 v58, v61, v34, 0x7fff
	v_bfe_u32 v61, v62, 16, 1
	s_wait_alu 0xfffd
	v_cndmask_b32_e32 v34, v58, v60, vcc_lo
	v_bfe_u32 v58, v35, 16, 1
	s_delay_alu instid0(VALU_DEP_3)
	v_add3_u32 v60, v61, v62, 0x7fff
	v_mul_f32_e32 v61, v28, v63
	v_or_b32_e32 v63, 0x400000, v62
	v_cmp_u_f32_e32 vcc_lo, v62, v62
	v_add3_u32 v58, v58, v35, 0x7fff
	v_add3_u32 v62, v66, v36, 0x7fff
	v_bfe_u32 v65, v61, 16, 1
	v_and_b32_e32 v34, 0xffff0000, v34
	s_wait_alu 0xfffd
	v_cndmask_b32_e32 v60, v60, v63, vcc_lo
	v_cmp_u_f32_e32 vcc_lo, v35, v35
	v_or_b32_e32 v63, 0x400000, v36
	s_wait_alu 0xfffd
	v_cndmask_b32_e32 v35, v58, v64, vcc_lo
	v_cmp_u_f32_e32 vcc_lo, v36, v36
	v_add3_u32 v58, v65, v61, 0x7fff
	v_or_b32_e32 v64, 0x400000, v61
	s_delay_alu instid0(VALU_DEP_4) | instskip(SKIP_4) | instid1(VALU_DEP_2)
	v_and_b32_e32 v35, 0xffff0000, v35
	s_wait_alu 0xfffd
	v_cndmask_b32_e32 v36, v62, v63, vcc_lo
	v_add_f32_e32 v34, v34, v39
	v_cmp_u_f32_e32 vcc_lo, v61, v61
	v_add_f32_e32 v33, v34, v33
	s_wait_alu 0xfffd
	v_cndmask_b32_e32 v39, v58, v64, vcc_lo
	v_and_b32_e32 v38, 0xffff0000, v60
	s_delay_alu instid0(VALU_DEP_1) | instskip(SKIP_3) | instid1(VALU_DEP_4)
	v_dual_add_f32 v34, v35, v38 :: v_dual_and_b32 v35, 0xffff0000, v36
	v_and_b32_e32 v38, 0xffff0000, v21
	v_and_b32_e32 v58, 0xffff0000, v59
	v_lshlrev_b32_e32 v21, 16, v21
	v_dual_add_f32 v33, v34, v33 :: v_dual_and_b32 v36, 0xffff0000, v39
	s_delay_alu instid0(VALU_DEP_1) | instskip(SKIP_2) | instid1(VALU_DEP_3)
	v_dual_mul_f32 v21, v29, v21 :: v_dual_add_f32 v34, v35, v36
	v_mul_f32_e32 v35, v25, v38
	v_add_f32_e32 v39, v40, v58
	v_or_b32_e32 v38, 0x400000, v21
	s_delay_alu instid0(VALU_DEP_3) | instskip(NEXT) | instid1(VALU_DEP_3)
	v_cmp_u_f32_e32 vcc_lo, v35, v35
	v_dual_add_f32 v36, v39, v37 :: v_dual_and_b32 v37, 0xffff0000, v22
	v_add_f32_e32 v33, v34, v33
	v_bfe_u32 v34, v35, 16, 1
	s_delay_alu instid0(VALU_DEP_3) | instskip(SKIP_1) | instid1(VALU_DEP_4)
	v_dual_add_f32 v47, v47, v36 :: v_dual_lshlrev_b32 v22, 16, v22
	v_bfe_u32 v36, v21, 16, 1
	v_add_f32_e32 v48, v48, v33
	s_delay_alu instid0(VALU_DEP_4)
	v_add3_u32 v33, v34, v35, 0x7fff
	v_or_b32_e32 v34, 0x400000, v35
	v_mul_f32_e32 v37, v27, v37
	v_add3_u32 v36, v36, v21, 0x7fff
	v_dual_mul_f32 v22, v30, v22 :: v_dual_and_b32 v35, 0xffff0000, v23
	s_wait_alu 0xfffd
	v_cndmask_b32_e32 v33, v33, v34, vcc_lo
	v_bfe_u32 v34, v37, 16, 1
	v_cmp_u_f32_e32 vcc_lo, v21, v21
	v_and_b32_e32 v39, 0xffff0000, v24
	v_dual_mul_f32 v35, v26, v35 :: v_dual_lshlrev_b32 v24, 16, v24
	s_delay_alu instid0(VALU_DEP_4)
	v_add3_u32 v34, v34, v37, 0x7fff
	s_wait_alu 0xfffd
	v_cndmask_b32_e32 v21, v36, v38, vcc_lo
	v_or_b32_e32 v36, 0x400000, v37
	v_bfe_u32 v38, v22, 16, 1
	v_cmp_u_f32_e32 vcc_lo, v37, v37
	v_or_b32_e32 v37, 0x400000, v22
	v_mul_f32_e32 v24, v31, v24
	s_wait_alu 0xfffd
	v_cndmask_b32_e32 v34, v34, v36, vcc_lo
	v_add3_u32 v36, v38, v22, 0x7fff
	v_cmp_u_f32_e32 vcc_lo, v22, v22
	v_lshlrev_b32_e32 v23, 16, v23
	v_bfe_u32 v38, v35, 16, 1
	v_and_b32_e32 v34, 0xffff0000, v34
	s_wait_alu 0xfffd
	v_cndmask_b32_e32 v22, v36, v37, vcc_lo
	v_mul_f32_e32 v23, v32, v23
	v_add3_u32 v36, v38, v35, 0x7fff
	v_mul_f32_e32 v37, v28, v39
	v_or_b32_e32 v38, 0x400000, v35
	v_cmp_u_f32_e32 vcc_lo, v35, v35
	v_bfe_u32 v40, v23, 16, 1
	v_and_b32_e32 v22, 0xffff0000, v22
	v_bfe_u32 v58, v37, 16, 1
	v_and_b32_e32 v21, 0xffff0000, v21
	s_wait_alu 0xfffd
	v_cndmask_b32_e32 v35, v36, v38, vcc_lo
	v_add3_u32 v39, v40, v23, 0x7fff
	v_or_b32_e32 v40, 0x400000, v23
	v_cmp_u_f32_e32 vcc_lo, v23, v23
	v_add3_u32 v36, v58, v37, 0x7fff
	v_or_b32_e32 v38, 0x400000, v37
	v_add_f32_e32 v22, v22, v34
	s_wait_alu 0xfffd
	v_dual_cndmask_b32 v23, v39, v40 :: v_dual_and_b32 v34, 0xffff0000, v17
	v_bfe_u32 v39, v24, 16, 1
	v_cmp_u_f32_e32 vcc_lo, v37, v37
	s_delay_alu instid0(VALU_DEP_3) | instskip(NEXT) | instid1(VALU_DEP_3)
	v_and_b32_e32 v23, 0xffff0000, v23
	v_add3_u32 v37, v39, v24, 0x7fff
	s_wait_alu 0xfffd
	v_cndmask_b32_e32 v36, v36, v38, vcc_lo
	v_or_b32_e32 v38, 0x400000, v24
	v_cmp_u_f32_e32 vcc_lo, v24, v24
	s_wait_alu 0xfffd
	s_delay_alu instid0(VALU_DEP_2) | instskip(NEXT) | instid1(VALU_DEP_1)
	v_dual_cndmask_b32 v24, v37, v38 :: v_dual_and_b32 v33, 0xffff0000, v33
	v_add_f32_e32 v21, v21, v33
	v_and_b32_e32 v33, 0xffff0000, v35
	s_delay_alu instid0(VALU_DEP_2) | instskip(SKIP_3) | instid1(VALU_DEP_3)
	v_dual_add_f32 v21, v22, v21 :: v_dual_and_b32 v24, 0xffff0000, v24
	v_mul_f32_e32 v22, v25, v34
	v_and_b32_e32 v35, 0xffff0000, v18
	v_lshlrev_b32_e32 v18, 16, v18
	v_bfe_u32 v34, v22, 16, 1
	v_cmp_u_f32_e32 vcc_lo, v22, v22
	s_delay_alu instid0(VALU_DEP_3) | instskip(SKIP_1) | instid1(VALU_DEP_1)
	v_dual_mul_f32 v18, v30, v18 :: v_dual_add_f32 v23, v23, v33
	v_and_b32_e32 v33, 0xffff0000, v36
	v_add_f32_e32 v24, v24, v33
	v_add3_u32 v33, v34, v22, 0x7fff
	v_or_b32_e32 v34, 0x400000, v22
	v_lshlrev_b32_e32 v17, 16, v17
	s_wait_alu 0xfffd
	s_delay_alu instid0(VALU_DEP_2) | instskip(SKIP_1) | instid1(VALU_DEP_3)
	v_dual_mul_f32 v35, v27, v35 :: v_dual_cndmask_b32 v22, v33, v34
	v_add_f32_e32 v21, v23, v21
	v_mul_f32_e32 v17, v29, v17
	s_delay_alu instid0(VALU_DEP_3) | instskip(SKIP_1) | instid1(VALU_DEP_4)
	v_bfe_u32 v33, v35, 16, 1
	v_or_b32_e32 v34, 0x400000, v35
	v_dual_add_f32 v21, v24, v21 :: v_dual_and_b32 v22, 0xffff0000, v22
	v_and_b32_e32 v24, 0xffff0000, v16
	s_delay_alu instid0(VALU_DEP_4) | instskip(NEXT) | instid1(VALU_DEP_3)
	v_add3_u32 v33, v33, v35, 0x7fff
	v_dual_add_f32 v49, v49, v21 :: v_dual_lshlrev_b32 v16, 16, v16
	v_and_b32_e32 v21, 0xffff0000, v14
	v_lshlrev_b32_e32 v14, 16, v14
	v_and_b32_e32 v37, 0xffff0000, v20
	v_lshlrev_b32_e32 v20, 16, v20
	v_bfe_u32 v23, v17, 16, 1
	v_or_b32_e32 v36, 0x400000, v17
	v_cmp_u_f32_e32 vcc_lo, v17, v17
	v_mul_f32_e32 v14, v30, v14
	v_mul_f32_e32 v20, v31, v20
	v_add3_u32 v23, v23, v17, 0x7fff
	v_mul_f32_e32 v16, v31, v16
	v_mul_f32_e32 v21, v27, v21
	s_wait_alu 0xfffd
	s_delay_alu instid0(VALU_DEP_3) | instskip(SKIP_4) | instid1(VALU_DEP_4)
	v_cndmask_b32_e32 v17, v23, v36, vcc_lo
	v_and_b32_e32 v23, 0xffff0000, v19
	v_bfe_u32 v36, v18, 16, 1
	v_cmp_u_f32_e32 vcc_lo, v35, v35
	v_or_b32_e32 v35, 0x400000, v18
	v_mul_f32_e32 v23, v26, v23
	s_wait_alu 0xfffd
	v_cndmask_b32_e32 v33, v33, v34, vcc_lo
	v_add3_u32 v34, v36, v18, 0x7fff
	v_cmp_u_f32_e32 vcc_lo, v18, v18
	v_bfe_u32 v36, v23, 16, 1
	s_wait_alu 0xfffd
	s_delay_alu instid0(VALU_DEP_3) | instskip(SKIP_1) | instid1(VALU_DEP_3)
	v_dual_cndmask_b32 v18, v34, v35 :: v_dual_and_b32 v33, 0xffff0000, v33
	v_mul_f32_e32 v35, v28, v37
	v_add3_u32 v34, v36, v23, 0x7fff
	v_or_b32_e32 v36, 0x400000, v23
	v_cmp_u_f32_e32 vcc_lo, v23, v23
	v_and_b32_e32 v18, 0xffff0000, v18
	v_bfe_u32 v39, v35, 16, 1
	s_wait_alu 0xfffd
	v_cndmask_b32_e32 v23, v34, v36, vcc_lo
	v_or_b32_e32 v36, 0x400000, v35
	s_delay_alu instid0(VALU_DEP_3) | instskip(SKIP_2) | instid1(VALU_DEP_2)
	v_add3_u32 v34, v39, v35, 0x7fff
	v_dual_add_f32 v18, v18, v33 :: v_dual_lshlrev_b32 v19, 16, v19
	v_and_b32_e32 v17, 0xffff0000, v17
	v_mul_f32_e32 v19, v32, v19
	s_delay_alu instid0(VALU_DEP_2) | instskip(NEXT) | instid1(VALU_DEP_1)
	v_dual_add_f32 v17, v17, v22 :: v_dual_and_b32 v22, 0xffff0000, v23
	v_add_f32_e32 v17, v18, v17
	v_and_b32_e32 v18, 0xffff0000, v13
	s_delay_alu instid0(VALU_DEP_4) | instskip(SKIP_1) | instid1(VALU_DEP_3)
	v_bfe_u32 v38, v19, 16, 1
	v_cmp_u_f32_e32 vcc_lo, v19, v19
	v_dual_mul_f32 v18, v25, v18 :: v_dual_lshlrev_b32 v13, 16, v13
	s_delay_alu instid0(VALU_DEP_3) | instskip(SKIP_1) | instid1(VALU_DEP_3)
	v_add3_u32 v37, v38, v19, 0x7fff
	v_or_b32_e32 v38, 0x400000, v19
	v_mul_f32_e32 v23, v29, v13
	s_wait_alu 0xfffd
	s_delay_alu instid0(VALU_DEP_2) | instskip(SKIP_2) | instid1(VALU_DEP_3)
	v_cndmask_b32_e32 v19, v37, v38, vcc_lo
	v_bfe_u32 v37, v20, 16, 1
	v_cmp_u_f32_e32 vcc_lo, v35, v35
	v_and_b32_e32 v19, 0xffff0000, v19
	s_delay_alu instid0(VALU_DEP_3)
	v_add3_u32 v35, v37, v20, 0x7fff
	s_wait_alu 0xfffd
	v_cndmask_b32_e32 v34, v34, v36, vcc_lo
	v_or_b32_e32 v36, 0x400000, v20
	v_cmp_u_f32_e32 vcc_lo, v20, v20
	v_add_f32_e32 v19, v19, v22
	s_delay_alu instid0(VALU_DEP_4) | instskip(SKIP_2) | instid1(VALU_DEP_3)
	v_and_b32_e32 v22, 0xffff0000, v34
	s_wait_alu 0xfffd
	v_cndmask_b32_e32 v20, v35, v36, vcc_lo
	v_add_f32_e32 v13, v19, v17
	v_bfe_u32 v19, v18, 16, 1
	v_cmp_u_f32_e32 vcc_lo, v18, v18
	s_delay_alu instid0(VALU_DEP_4) | instskip(NEXT) | instid1(VALU_DEP_1)
	v_and_b32_e32 v20, 0xffff0000, v20
	v_add_f32_e32 v17, v20, v22
	v_bfe_u32 v20, v23, 16, 1
	v_or_b32_e32 v22, 0x400000, v23
	s_delay_alu instid0(VALU_DEP_3)
	v_add_f32_e32 v13, v17, v13
	v_add3_u32 v17, v19, v18, 0x7fff
	v_or_b32_e32 v19, 0x400000, v18
	v_add3_u32 v20, v20, v23, 0x7fff
	v_bfe_u32 v18, v21, 16, 1
	s_wait_alu 0xfffd
	s_delay_alu instid0(VALU_DEP_3) | instskip(SKIP_1) | instid1(VALU_DEP_3)
	v_cndmask_b32_e32 v17, v17, v19, vcc_lo
	v_cmp_u_f32_e32 vcc_lo, v23, v23
	v_add3_u32 v18, v18, v21, 0x7fff
	v_bfe_u32 v23, v14, 16, 1
	s_wait_alu 0xfffd
	v_dual_cndmask_b32 v19, v20, v22 :: v_dual_and_b32 v20, 0xffff0000, v15
	v_or_b32_e32 v22, 0x400000, v21
	v_lshlrev_b32_e32 v15, 16, v15
	v_cmp_u_f32_e32 vcc_lo, v21, v21
	v_add3_u32 v21, v23, v14, 0x7fff
	s_delay_alu instid0(VALU_DEP_3) | instskip(SKIP_3) | instid1(VALU_DEP_3)
	v_dual_mul_f32 v20, v26, v20 :: v_dual_mul_f32 v15, v32, v15
	s_wait_alu 0xfffd
	v_cndmask_b32_e32 v18, v18, v22, vcc_lo
	v_or_b32_e32 v22, 0x400000, v14
	v_bfe_u32 v23, v20, 16, 1
	v_cmp_u_f32_e32 vcc_lo, v14, v14
	v_bfe_u32 v33, v15, 16, 1
	v_and_b32_e32 v18, 0xffff0000, v18
	s_wait_alu 0xfffd
	v_cndmask_b32_e32 v14, v21, v22, vcc_lo
	v_add3_u32 v21, v23, v20, 0x7fff
	v_mul_f32_e32 v22, v28, v24
	v_or_b32_e32 v23, 0x400000, v20
	v_cmp_u_f32_e32 vcc_lo, v20, v20
	v_add3_u32 v24, v33, v15, 0x7fff
	v_or_b32_e32 v33, 0x400000, v15
	v_bfe_u32 v34, v22, 16, 1
	v_and_b32_e32 v14, 0xffff0000, v14
	s_wait_alu 0xfffd
	v_cndmask_b32_e32 v20, v21, v23, vcc_lo
	v_cmp_u_f32_e32 vcc_lo, v15, v15
	v_or_b32_e32 v23, 0x400000, v22
	v_add3_u32 v21, v34, v22, 0x7fff
	v_add_f32_e32 v14, v14, v18
	s_wait_alu 0xfffd
	v_dual_cndmask_b32 v15, v24, v33 :: v_dual_and_b32 v18, 0xffff0000, v20
	v_cmp_u_f32_e32 vcc_lo, v22, v22
	v_bfe_u32 v24, v16, 16, 1
	s_delay_alu instid0(VALU_DEP_3) | instskip(SKIP_2) | instid1(VALU_DEP_3)
	v_dual_add_f32 v50, v50, v13 :: v_dual_and_b32 v15, 0xffff0000, v15
	s_wait_alu 0xfffd
	v_cndmask_b32_e32 v21, v21, v23, vcc_lo
	v_add3_u32 v22, v24, v16, 0x7fff
	v_or_b32_e32 v23, 0x400000, v16
	v_cmp_u_f32_e32 vcc_lo, v16, v16
	v_add_f32_e32 v15, v15, v18
	v_and_b32_e32 v19, 0xffff0000, v19
	v_and_b32_e32 v18, 0xffff0000, v21
	s_wait_alu 0xfffd
	v_dual_cndmask_b32 v16, v22, v23 :: v_dual_and_b32 v17, 0xffff0000, v17
	s_delay_alu instid0(VALU_DEP_1) | instskip(SKIP_2) | instid1(VALU_DEP_4)
	v_add_f32_e32 v17, v19, v17
	v_and_b32_e32 v19, 0xffff0000, v5
	v_lshlrev_b32_e32 v5, 16, v5
	v_and_b32_e32 v16, 0xffff0000, v16
	s_delay_alu instid0(VALU_DEP_3) | instskip(NEXT) | instid1(VALU_DEP_3)
	v_dual_add_f32 v14, v14, v17 :: v_dual_mul_f32 v17, v25, v19
	v_mul_f32_e32 v5, v29, v5
	v_and_b32_e32 v19, 0xffff0000, v6
	s_delay_alu instid0(VALU_DEP_4) | instskip(NEXT) | instid1(VALU_DEP_4)
	v_add_f32_e32 v16, v16, v18
	v_add_f32_e32 v14, v15, v14
	v_bfe_u32 v20, v17, 16, 1
	v_bfe_u32 v15, v5, 16, 1
	v_mul_f32_e32 v18, v27, v19
	v_lshlrev_b32_e32 v6, 16, v6
	v_cmp_u_f32_e32 vcc_lo, v17, v17
	v_add3_u32 v19, v20, v17, 0x7fff
	v_or_b32_e32 v20, 0x400000, v17
	v_add3_u32 v15, v15, v5, 0x7fff
	v_or_b32_e32 v21, 0x400000, v5
	v_bfe_u32 v22, v18, 16, 1
	s_wait_alu 0xfffd
	v_dual_mul_f32 v6, v30, v6 :: v_dual_cndmask_b32 v17, v19, v20
	v_cmp_u_f32_e32 vcc_lo, v5, v5
	v_or_b32_e32 v19, 0x400000, v18
	v_and_b32_e32 v20, 0xffff0000, v7
	s_delay_alu instid0(VALU_DEP_4)
	v_and_b32_e32 v17, 0xffff0000, v17
	s_wait_alu 0xfffd
	v_cndmask_b32_e32 v5, v15, v21, vcc_lo
	v_add3_u32 v15, v22, v18, 0x7fff
	v_bfe_u32 v21, v6, 16, 1
	v_cmp_u_f32_e32 vcc_lo, v18, v18
	v_mul_f32_e32 v18, v26, v20
	v_or_b32_e32 v20, 0x400000, v6
	v_and_b32_e32 v5, 0xffff0000, v5
	s_wait_alu 0xfffd
	v_cndmask_b32_e32 v15, v15, v19, vcc_lo
	v_add3_u32 v19, v21, v6, 0x7fff
	v_cmp_u_f32_e32 vcc_lo, v6, v6
	v_add_f32_e32 v5, v5, v17
	v_and_b32_e32 v21, 0xffff0000, v8
	v_and_b32_e32 v15, 0xffff0000, v15
	v_bfe_u32 v22, v18, 16, 1
	s_wait_alu 0xfffd
	v_cndmask_b32_e32 v6, v19, v20, vcc_lo
	v_cmp_u_f32_e32 vcc_lo, v18, v18
	v_mul_f32_e32 v19, v28, v21
	v_or_b32_e32 v21, 0x400000, v18
	v_add3_u32 v20, v22, v18, 0x7fff
	v_and_b32_e32 v6, 0xffff0000, v6
	v_lshlrev_b32_e32 v8, 16, v8
	v_bfe_u32 v24, v19, 16, 1
	s_wait_alu 0xfffd
	v_cndmask_b32_e32 v18, v20, v21, vcc_lo
	v_dual_add_f32 v6, v6, v15 :: v_dual_and_b32 v15, 0xffff0000, v1
	s_delay_alu instid0(VALU_DEP_3) | instskip(SKIP_1) | instid1(VALU_DEP_3)
	v_add3_u32 v20, v24, v19, 0x7fff
	v_or_b32_e32 v21, 0x400000, v19
	v_dual_mul_f32 v8, v31, v8 :: v_dual_add_f32 v5, v6, v5
	s_delay_alu instid0(VALU_DEP_4) | instskip(SKIP_1) | instid1(VALU_DEP_2)
	v_dual_mul_f32 v6, v25, v15 :: v_dual_and_b32 v17, 0xffff0000, v18
	v_lshlrev_b32_e32 v1, 16, v1
	v_bfe_u32 v15, v6, 16, 1
	s_delay_alu instid0(VALU_DEP_2) | instskip(NEXT) | instid1(VALU_DEP_2)
	v_mul_f32_e32 v1, v29, v1
	v_add3_u32 v15, v15, v6, 0x7fff
	v_lshlrev_b32_e32 v7, 16, v7
	s_delay_alu instid0(VALU_DEP_1) | instskip(NEXT) | instid1(VALU_DEP_1)
	v_mul_f32_e32 v7, v32, v7
	v_bfe_u32 v23, v7, 16, 1
	v_cmp_u_f32_e32 vcc_lo, v7, v7
	s_delay_alu instid0(VALU_DEP_2) | instskip(SKIP_2) | instid1(VALU_DEP_1)
	v_add3_u32 v22, v23, v7, 0x7fff
	v_or_b32_e32 v23, 0x400000, v7
	s_wait_alu 0xfffd
	v_cndmask_b32_e32 v7, v22, v23, vcc_lo
	v_cmp_u_f32_e32 vcc_lo, v19, v19
	s_delay_alu instid0(VALU_DEP_2)
	v_and_b32_e32 v7, 0xffff0000, v7
	s_wait_alu 0xfffd
	v_cndmask_b32_e32 v19, v20, v21, vcc_lo
	v_bfe_u32 v20, v8, 16, 1
	v_cmp_u_f32_e32 vcc_lo, v8, v8
	v_add_f32_e32 v7, v7, v17
	v_or_b32_e32 v17, 0x400000, v6
	s_delay_alu instid0(VALU_DEP_4) | instskip(SKIP_1) | instid1(VALU_DEP_4)
	v_add3_u32 v18, v20, v8, 0x7fff
	v_or_b32_e32 v20, 0x400000, v8
	v_add_f32_e32 v5, v7, v5
	v_and_b32_e32 v7, 0xffff0000, v2
	v_lshlrev_b32_e32 v2, 16, v2
	s_wait_alu 0xfffd
	v_cndmask_b32_e32 v8, v18, v20, vcc_lo
	v_and_b32_e32 v18, 0xffff0000, v19
	v_bfe_u32 v19, v1, 16, 1
	v_mul_f32_e32 v7, v27, v7
	v_cmp_u_f32_e32 vcc_lo, v6, v6
	v_or_b32_e32 v20, 0x400000, v1
	v_mul_f32_e32 v2, v30, v2
	v_and_b32_e32 v8, 0xffff0000, v8
	v_or_b32_e32 v21, 0x400000, v7
	s_wait_alu 0xfffd
	v_cndmask_b32_e32 v6, v15, v17, vcc_lo
	v_bfe_u32 v15, v7, 16, 1
	v_add3_u32 v17, v19, v1, 0x7fff
	v_and_b32_e32 v19, 0xffff0000, v3
	v_cmp_u_f32_e32 vcc_lo, v1, v1
	v_lshlrev_b32_e32 v3, 16, v3
	v_add3_u32 v15, v15, v7, 0x7fff
	s_delay_alu instid0(VALU_DEP_4)
	v_dual_mul_f32 v19, v26, v19 :: v_dual_and_b32 v6, 0xffff0000, v6
	s_wait_alu 0xfffd
	v_cndmask_b32_e32 v1, v17, v20, vcc_lo
	v_bfe_u32 v17, v2, 16, 1
	v_cmp_u_f32_e32 vcc_lo, v7, v7
	v_dual_mul_f32 v3, v32, v3 :: v_dual_and_b32 v20, 0xffff0000, v4
	v_or_b32_e32 v22, 0x400000, v19
	s_delay_alu instid0(VALU_DEP_4)
	v_add3_u32 v17, v17, v2, 0x7fff
	s_wait_alu 0xfffd
	v_cndmask_b32_e32 v7, v15, v21, vcc_lo
	v_bfe_u32 v15, v19, 16, 1
	v_or_b32_e32 v21, 0x400000, v2
	v_cmp_u_f32_e32 vcc_lo, v2, v2
	v_mul_f32_e32 v20, v28, v20
	v_lshlrev_b32_e32 v4, 16, v4
	v_add3_u32 v15, v15, v19, 0x7fff
	s_wait_alu 0xfffd
	v_dual_cndmask_b32 v2, v17, v21 :: v_dual_and_b32 v7, 0xffff0000, v7
	v_bfe_u32 v17, v3, 16, 1
	v_cmp_u_f32_e32 vcc_lo, v19, v19
	v_bfe_u32 v21, v20, 16, 1
	v_or_b32_e32 v19, 0x400000, v3
	v_mul_f32_e32 v4, v31, v4
	v_add3_u32 v17, v17, v3, 0x7fff
	s_wait_alu 0xfffd
	v_cndmask_b32_e32 v15, v15, v22, vcc_lo
	v_cmp_u_f32_e32 vcc_lo, v3, v3
	v_add3_u32 v21, v21, v20, 0x7fff
	v_or_b32_e32 v22, 0x400000, v20
	v_and_b32_e32 v2, 0xffff0000, v2
	s_wait_alu 0xfffd
	v_dual_add_f32 v8, v8, v18 :: v_dual_cndmask_b32 v3, v17, v19
	v_cmp_u_f32_e32 vcc_lo, v20, v20
	v_bfe_u32 v19, v4, 16, 1
	v_or_b32_e32 v20, 0x400000, v4
	v_add_f32_e32 v2, v2, v7
	v_and_b32_e32 v3, 0xffff0000, v3
	s_wait_alu 0xfffd
	v_cndmask_b32_e32 v17, v21, v22, vcc_lo
	v_add3_u32 v19, v19, v4, 0x7fff
	v_cmp_u_f32_e32 vcc_lo, v4, v4
	s_wait_loadcnt 0x0
	v_lshlrev_b32_e32 v21, 16, v9
	s_wait_alu 0xfffd
	v_dual_cndmask_b32 v4, v19, v20 :: v_dual_and_b32 v9, 0xffff0000, v9
	v_lshlrev_b32_e32 v20, 16, v11
	v_and_b32_e32 v1, 0xffff0000, v1
	v_mul_f32_e32 v7, v29, v21
	v_and_b32_e32 v11, 0xffff0000, v11
	v_dual_add_f32 v5, v8, v5 :: v_dual_and_b32 v4, 0xffff0000, v4
	s_delay_alu instid0(VALU_DEP_4) | instskip(NEXT) | instid1(VALU_DEP_4)
	v_dual_add_f32 v1, v1, v6 :: v_dual_and_b32 v6, 0xffff0000, v15
	v_or_b32_e32 v15, 0x400000, v7
	v_cmp_u_f32_e32 vcc_lo, v7, v7
	s_delay_alu instid0(VALU_DEP_4) | instskip(NEXT) | instid1(VALU_DEP_4)
	v_add_f32_e32 v52, v52, v5
	v_add_f32_e32 v1, v2, v1
	v_bfe_u32 v2, v7, 16, 1
	v_dual_add_f32 v3, v3, v6 :: v_dual_mul_f32 v6, v25, v9
	v_lshlrev_b32_e32 v9, 16, v10
	v_and_b32_e32 v10, 0xffff0000, v10
	s_delay_alu instid0(VALU_DEP_4) | instskip(SKIP_2) | instid1(VALU_DEP_4)
	v_add3_u32 v2, v2, v7, 0x7fff
	v_mul_f32_e32 v20, v32, v20
	v_bfe_u32 v19, v6, 16, 1
	v_dual_mul_f32 v9, v30, v9 :: v_dual_mul_f32 v10, v27, v10
	s_wait_alu 0xfffd
	v_cndmask_b32_e32 v2, v2, v15, vcc_lo
	v_or_b32_e32 v15, 0x400000, v6
	v_add3_u32 v7, v19, v6, 0x7fff
	v_bfe_u32 v19, v9, 16, 1
	v_cmp_u_f32_e32 vcc_lo, v6, v6
	v_mul_f32_e32 v11, v26, v11
	v_lshlrev_b32_e32 v21, 16, v12
	v_and_b32_e32 v12, 0xffff0000, v12
	v_and_b32_e32 v2, 0xffff0000, v2
	s_wait_alu 0xfffd
	v_cndmask_b32_e32 v6, v7, v15, vcc_lo
	v_add3_u32 v7, v19, v9, 0x7fff
	v_or_b32_e32 v15, 0x400000, v9
	v_bfe_u32 v19, v10, 16, 1
	v_cmp_u_f32_e32 vcc_lo, v9, v9
	v_mul_f32_e32 v12, v28, v12
	v_or_b32_e32 v22, 0x400000, v11
	v_and_b32_e32 v6, 0xffff0000, v6
	v_add3_u32 v9, v19, v10, 0x7fff
	s_wait_alu 0xfffd
	v_cndmask_b32_e32 v7, v7, v15, vcc_lo
	v_or_b32_e32 v15, 0x400000, v10
	v_bfe_u32 v19, v20, 16, 1
	v_cmp_u_f32_e32 vcc_lo, v10, v10
	v_bfe_u32 v10, v11, 16, 1
	v_bfe_u32 v24, v12, 16, 1
	v_dual_add_f32 v2, v2, v6 :: v_dual_and_b32 v7, 0xffff0000, v7
	s_wait_alu 0xfffd
	v_cndmask_b32_e32 v9, v9, v15, vcc_lo
	v_add3_u32 v15, v19, v20, 0x7fff
	v_mul_f32_e32 v19, v31, v21
	v_or_b32_e32 v21, 0x400000, v20
	v_cmp_u_f32_e32 vcc_lo, v20, v20
	v_add3_u32 v10, v10, v11, 0x7fff
	v_add3_u32 v20, v24, v12, 0x7fff
	v_bfe_u32 v23, v19, 16, 1
	v_and_b32_e32 v9, 0xffff0000, v9
	s_wait_alu 0xfffd
	v_cndmask_b32_e32 v15, v15, v21, vcc_lo
	v_cmp_u_f32_e32 vcc_lo, v11, v11
	v_or_b32_e32 v21, 0x400000, v12
	v_add3_u32 v11, v23, v19, 0x7fff
	s_delay_alu instid0(VALU_DEP_4)
	v_dual_add_f32 v6, v7, v9 :: v_dual_and_b32 v9, 0xffff0000, v15
	s_wait_alu 0xfffd
	v_cndmask_b32_e32 v10, v10, v22, vcc_lo
	v_cmp_u_f32_e32 vcc_lo, v12, v12
	v_or_b32_e32 v22, 0x400000, v19
	v_dual_add_f32 v2, v6, v2 :: v_dual_add_f32 v1, v3, v1
	s_wait_alu 0xfffd
	v_dual_cndmask_b32 v12, v20, v21 :: v_dual_and_b32 v7, 0xffff0000, v10
	v_cmp_u_f32_e32 vcc_lo, v19, v19
	s_delay_alu instid0(VALU_DEP_2) | instskip(SKIP_3) | instid1(VALU_DEP_3)
	v_dual_add_f32 v6, v9, v7 :: v_dual_and_b32 v7, 0xffff0000, v12
	s_wait_alu 0xfffd
	v_dual_cndmask_b32 v10, v11, v22 :: v_dual_and_b32 v11, 0xffff0000, v17
	v_cmp_le_i32_e32 vcc_lo, s15, v44
	v_add_f32_e32 v2, v6, v2
	v_add_f32_e32 v6, v16, v14
	s_delay_alu instid0(VALU_DEP_4) | instskip(SKIP_2) | instid1(VALU_DEP_2)
	v_and_b32_e32 v9, 0xffff0000, v10
	v_add_f32_e32 v3, v4, v11
	s_or_b32 s4, vcc_lo, s4
	v_dual_add_f32 v51, v51, v6 :: v_dual_add_f32 v4, v9, v7
	s_delay_alu instid0(VALU_DEP_1) | instskip(NEXT) | instid1(VALU_DEP_1)
	v_dual_add_f32 v1, v3, v1 :: v_dual_add_f32 v2, v4, v2
	v_add_f32_e32 v53, v53, v1
	s_delay_alu instid0(VALU_DEP_2)
	v_add_f32_e32 v45, v45, v2
	s_wait_alu 0xfffe
	s_and_not1_b32 exec_lo, exec_lo, s4
	s_cbranch_execz .LBB152_49
.LBB152_33:                             ; =>This Inner Loop Header: Depth=1
	global_load_b32 v1, v[41:42], off
	v_add_nc_u32_e32 v63, 1, v56
	v_or_b32_e32 v62, 3, v56
	v_or_b32_e32 v64, 2, v56
	;; [unrolled: 1-line block ×6, first 2 shown]
	s_wait_loadcnt 0x0
	s_wait_alu 0xfffe
	v_mad_co_i64_i32 v[1:2], null, v1, s2, 0
	s_delay_alu instid0(VALU_DEP_1) | instskip(NEXT) | instid1(VALU_DEP_1)
	v_lshlrev_b64_e32 v[1:2], 1, v[1:2]
	v_add_co_u32 v9, vcc_lo, v54, v1
	s_wait_alu 0xfffd
	s_delay_alu instid0(VALU_DEP_2)
	v_add_co_ci_u32_e64 v10, null, v55, v2, vcc_lo
	v_cmp_eq_u32_e32 vcc_lo, s3, v44
	global_load_b128 v[1:4], v[9:10], off
	ds_load_2addr_b64 v[29:32], v57 offset1:1
	ds_load_2addr_b64 v[25:28], v57 offset0:2 offset1:3
	s_and_saveexec_b32 s6, vcc_lo
	s_cbranch_execnz .LBB152_41
; %bb.34:                               ;   in Loop: Header=BB152_33 Depth=1
	s_wait_alu 0xfffe
	s_or_b32 exec_lo, exec_lo, s6
	global_load_b128 v[5:8], v[9:10], off offset:512
	s_and_saveexec_b32 s6, vcc_lo
	s_cbranch_execnz .LBB152_42
.LBB152_35:                             ;   in Loop: Header=BB152_33 Depth=1
	s_wait_alu 0xfffe
	s_or_b32 exec_lo, exec_lo, s6
	global_load_b128 v[13:16], v[9:10], off offset:1024
	s_and_saveexec_b32 s6, vcc_lo
	s_cbranch_execnz .LBB152_43
.LBB152_36:                             ;   in Loop: Header=BB152_33 Depth=1
	s_wait_alu 0xfffe
	s_or_b32 exec_lo, exec_lo, s6
	global_load_b128 v[17:20], v[9:10], off offset:1536
	s_and_saveexec_b32 s6, vcc_lo
	s_cbranch_execnz .LBB152_44
.LBB152_37:                             ;   in Loop: Header=BB152_33 Depth=1
	s_wait_alu 0xfffe
	s_or_b32 exec_lo, exec_lo, s6
	global_load_b128 v[21:24], v[9:10], off offset:2048
	s_and_saveexec_b32 s6, vcc_lo
	s_cbranch_execnz .LBB152_45
.LBB152_38:                             ;   in Loop: Header=BB152_33 Depth=1
	s_wait_alu 0xfffe
	s_or_b32 exec_lo, exec_lo, s6
	global_load_b128 v[33:36], v[9:10], off offset:2560
	s_and_saveexec_b32 s6, vcc_lo
	s_cbranch_execnz .LBB152_46
.LBB152_39:                             ;   in Loop: Header=BB152_33 Depth=1
	s_wait_alu 0xfffe
	s_or_b32 exec_lo, exec_lo, s6
	global_load_b128 v[37:40], v[9:10], off offset:3072
	s_and_saveexec_b32 s6, vcc_lo
	s_cbranch_execnz .LBB152_47
.LBB152_40:                             ;   in Loop: Header=BB152_33 Depth=1
	s_wait_alu 0xfffe
	s_or_b32 exec_lo, exec_lo, s6
	global_load_b128 v[9:12], v[9:10], off offset:3584
	s_and_saveexec_b32 s0, vcc_lo
	s_cbranch_execz .LBB152_32
	s_branch .LBB152_48
.LBB152_41:                             ;   in Loop: Header=BB152_33 Depth=1
	v_cmp_gt_i32_e64 s0, s13, v56
	s_wait_loadcnt 0x0
	v_lshrrev_b32_e32 v5, 16, v1
	v_lshrrev_b32_e32 v6, 16, v2
	;; [unrolled: 1-line block ×4, first 2 shown]
	s_wait_alu 0xf1ff
	v_cndmask_b32_e64 v1, 0, v1, s0
	v_cmp_gt_i32_e64 s0, s5, v63
	s_wait_alu 0xf1ff
	s_delay_alu instid0(VALU_DEP_1) | instskip(SKIP_1) | instid1(VALU_DEP_2)
	v_cndmask_b32_e64 v5, 0, v5, s0
	v_cmp_gt_i32_e64 s0, s13, v64
	v_perm_b32 v1, v5, v1, 0x5040100
	s_wait_alu 0xf1ff
	s_delay_alu instid0(VALU_DEP_2) | instskip(SKIP_2) | instid1(VALU_DEP_1)
	v_cndmask_b32_e64 v2, 0, v2, s0
	v_cmp_gt_i32_e64 s0, s5, v62
	s_wait_alu 0xf1ff
	v_cndmask_b32_e64 v6, 0, v6, s0
	v_cmp_gt_i32_e64 s0, s13, v61
	s_delay_alu instid0(VALU_DEP_2) | instskip(SKIP_1) | instid1(VALU_DEP_2)
	v_perm_b32 v2, v6, v2, 0x5040100
	s_wait_alu 0xf1ff
	v_cndmask_b32_e64 v3, 0, v3, s0
	v_cmp_gt_i32_e64 s0, s5, v59
	s_wait_alu 0xf1ff
	s_delay_alu instid0(VALU_DEP_1) | instskip(SKIP_1) | instid1(VALU_DEP_2)
	v_cndmask_b32_e64 v7, 0, v7, s0
	v_cmp_gt_i32_e64 s0, s13, v60
	v_perm_b32 v3, v7, v3, 0x5040100
	s_wait_alu 0xf1ff
	s_delay_alu instid0(VALU_DEP_2) | instskip(SKIP_2) | instid1(VALU_DEP_1)
	v_cndmask_b32_e64 v4, 0, v4, s0
	v_cmp_gt_i32_e64 s0, s5, v58
	s_wait_alu 0xf1ff
	v_cndmask_b32_e64 v8, 0, v8, s0
	s_delay_alu instid0(VALU_DEP_1)
	v_perm_b32 v4, v8, v4, 0x5040100
	s_wait_alu 0xfffe
	s_or_b32 exec_lo, exec_lo, s6
	global_load_b128 v[5:8], v[9:10], off offset:512
	s_and_saveexec_b32 s6, vcc_lo
	s_cbranch_execz .LBB152_35
.LBB152_42:                             ;   in Loop: Header=BB152_33 Depth=1
	v_cmp_gt_i32_e64 s0, s13, v56
	s_wait_loadcnt 0x0
	v_lshrrev_b32_e32 v11, 16, v5
	v_lshrrev_b32_e32 v12, 16, v6
	v_lshrrev_b32_e32 v13, 16, v7
	v_lshrrev_b32_e32 v14, 16, v8
	s_wait_alu 0xf1ff
	v_cndmask_b32_e64 v5, 0, v5, s0
	v_cmp_gt_i32_e64 s0, s5, v63
	s_wait_alu 0xf1ff
	s_delay_alu instid0(VALU_DEP_1) | instskip(SKIP_1) | instid1(VALU_DEP_2)
	v_cndmask_b32_e64 v11, 0, v11, s0
	v_cmp_gt_i32_e64 s0, s13, v64
	v_perm_b32 v5, v11, v5, 0x5040100
	s_wait_alu 0xf1ff
	s_delay_alu instid0(VALU_DEP_2) | instskip(SKIP_2) | instid1(VALU_DEP_1)
	v_cndmask_b32_e64 v6, 0, v6, s0
	v_cmp_gt_i32_e64 s0, s5, v62
	s_wait_alu 0xf1ff
	v_cndmask_b32_e64 v12, 0, v12, s0
	v_cmp_gt_i32_e64 s0, s13, v61
	s_delay_alu instid0(VALU_DEP_2) | instskip(SKIP_1) | instid1(VALU_DEP_2)
	v_perm_b32 v6, v12, v6, 0x5040100
	s_wait_alu 0xf1ff
	v_cndmask_b32_e64 v7, 0, v7, s0
	v_cmp_gt_i32_e64 s0, s5, v59
	s_wait_alu 0xf1ff
	s_delay_alu instid0(VALU_DEP_1) | instskip(SKIP_1) | instid1(VALU_DEP_2)
	v_cndmask_b32_e64 v13, 0, v13, s0
	v_cmp_gt_i32_e64 s0, s13, v60
	v_perm_b32 v7, v13, v7, 0x5040100
	s_wait_alu 0xf1ff
	s_delay_alu instid0(VALU_DEP_2) | instskip(SKIP_2) | instid1(VALU_DEP_1)
	v_cndmask_b32_e64 v8, 0, v8, s0
	v_cmp_gt_i32_e64 s0, s5, v58
	s_wait_alu 0xf1ff
	v_cndmask_b32_e64 v14, 0, v14, s0
	s_delay_alu instid0(VALU_DEP_1)
	v_perm_b32 v8, v14, v8, 0x5040100
	s_wait_alu 0xfffe
	s_or_b32 exec_lo, exec_lo, s6
	global_load_b128 v[13:16], v[9:10], off offset:1024
	s_and_saveexec_b32 s6, vcc_lo
	s_cbranch_execz .LBB152_36
.LBB152_43:                             ;   in Loop: Header=BB152_33 Depth=1
	v_cmp_gt_i32_e64 s0, s13, v56
	s_wait_loadcnt 0x0
	v_lshrrev_b32_e32 v11, 16, v13
	v_lshrrev_b32_e32 v18, 16, v16
	s_wait_alu 0xf1ff
	v_cndmask_b32_e64 v12, 0, v13, s0
	v_cmp_gt_i32_e64 s0, s5, v63
	v_lshrrev_b32_e32 v13, 16, v14
	s_wait_alu 0xf1ff
	s_delay_alu instid0(VALU_DEP_2) | instskip(SKIP_2) | instid1(VALU_DEP_1)
	v_cndmask_b32_e64 v11, 0, v11, s0
	v_cmp_gt_i32_e64 s0, s13, v64
	s_wait_alu 0xf1ff
	v_cndmask_b32_e64 v14, 0, v14, s0
	v_cmp_gt_i32_e64 s0, s5, v62
	s_wait_alu 0xf1ff
	s_delay_alu instid0(VALU_DEP_1) | instskip(SKIP_2) | instid1(VALU_DEP_3)
	v_cndmask_b32_e64 v17, 0, v13, s0
	v_cmp_gt_i32_e64 s0, s13, v61
	v_lshrrev_b32_e32 v13, 16, v15
	v_perm_b32 v14, v17, v14, 0x5040100
	s_wait_alu 0xf1ff
	s_delay_alu instid0(VALU_DEP_3) | instskip(SKIP_2) | instid1(VALU_DEP_1)
	v_cndmask_b32_e64 v15, 0, v15, s0
	v_cmp_gt_i32_e64 s0, s5, v59
	s_wait_alu 0xf1ff
	v_cndmask_b32_e64 v19, 0, v13, s0
	v_cmp_gt_i32_e64 s0, s13, v60
	v_perm_b32 v13, v11, v12, 0x5040100
	s_delay_alu instid0(VALU_DEP_3) | instskip(SKIP_1) | instid1(VALU_DEP_3)
	v_perm_b32 v15, v19, v15, 0x5040100
	s_wait_alu 0xf1ff
	v_cndmask_b32_e64 v16, 0, v16, s0
	v_cmp_gt_i32_e64 s0, s5, v58
	s_wait_alu 0xf1ff
	s_delay_alu instid0(VALU_DEP_1) | instskip(NEXT) | instid1(VALU_DEP_1)
	v_cndmask_b32_e64 v18, 0, v18, s0
	v_perm_b32 v16, v18, v16, 0x5040100
	s_wait_alu 0xfffe
	s_or_b32 exec_lo, exec_lo, s6
	global_load_b128 v[17:20], v[9:10], off offset:1536
	s_and_saveexec_b32 s6, vcc_lo
	s_cbranch_execz .LBB152_37
.LBB152_44:                             ;   in Loop: Header=BB152_33 Depth=1
	v_cmp_gt_i32_e64 s0, s13, v56
	s_wait_loadcnt 0x0
	v_lshrrev_b32_e32 v11, 16, v17
	v_lshrrev_b32_e32 v22, 16, v20
	s_wait_alu 0xf1ff
	v_cndmask_b32_e64 v12, 0, v17, s0
	v_cmp_gt_i32_e64 s0, s5, v63
	v_lshrrev_b32_e32 v17, 16, v18
	s_wait_alu 0xf1ff
	s_delay_alu instid0(VALU_DEP_2) | instskip(SKIP_2) | instid1(VALU_DEP_1)
	v_cndmask_b32_e64 v11, 0, v11, s0
	v_cmp_gt_i32_e64 s0, s13, v64
	s_wait_alu 0xf1ff
	v_cndmask_b32_e64 v18, 0, v18, s0
	v_cmp_gt_i32_e64 s0, s5, v62
	s_wait_alu 0xf1ff
	s_delay_alu instid0(VALU_DEP_1) | instskip(SKIP_2) | instid1(VALU_DEP_3)
	v_cndmask_b32_e64 v21, 0, v17, s0
	v_cmp_gt_i32_e64 s0, s13, v61
	v_lshrrev_b32_e32 v17, 16, v19
	v_perm_b32 v18, v21, v18, 0x5040100
	s_wait_alu 0xf1ff
	s_delay_alu instid0(VALU_DEP_3) | instskip(SKIP_2) | instid1(VALU_DEP_1)
	v_cndmask_b32_e64 v19, 0, v19, s0
	v_cmp_gt_i32_e64 s0, s5, v59
	s_wait_alu 0xf1ff
	v_cndmask_b32_e64 v23, 0, v17, s0
	v_cmp_gt_i32_e64 s0, s13, v60
	v_perm_b32 v17, v11, v12, 0x5040100
	s_delay_alu instid0(VALU_DEP_3) | instskip(SKIP_1) | instid1(VALU_DEP_3)
	v_perm_b32 v19, v23, v19, 0x5040100
	s_wait_alu 0xf1ff
	v_cndmask_b32_e64 v20, 0, v20, s0
	v_cmp_gt_i32_e64 s0, s5, v58
	s_wait_alu 0xf1ff
	s_delay_alu instid0(VALU_DEP_1) | instskip(NEXT) | instid1(VALU_DEP_1)
	v_cndmask_b32_e64 v22, 0, v22, s0
	v_perm_b32 v20, v22, v20, 0x5040100
	s_wait_alu 0xfffe
	s_or_b32 exec_lo, exec_lo, s6
	global_load_b128 v[21:24], v[9:10], off offset:2048
	s_and_saveexec_b32 s6, vcc_lo
	s_cbranch_execz .LBB152_38
.LBB152_45:                             ;   in Loop: Header=BB152_33 Depth=1
	v_cmp_gt_i32_e64 s0, s13, v56
	s_wait_loadcnt 0x0
	v_lshrrev_b32_e32 v11, 16, v21
	v_lshrrev_b32_e32 v34, 16, v24
	s_wait_alu 0xf1ff
	v_cndmask_b32_e64 v12, 0, v21, s0
	v_cmp_gt_i32_e64 s0, s5, v63
	v_lshrrev_b32_e32 v21, 16, v22
	s_wait_alu 0xf1ff
	s_delay_alu instid0(VALU_DEP_2) | instskip(SKIP_2) | instid1(VALU_DEP_1)
	v_cndmask_b32_e64 v11, 0, v11, s0
	v_cmp_gt_i32_e64 s0, s13, v64
	s_wait_alu 0xf1ff
	v_cndmask_b32_e64 v22, 0, v22, s0
	v_cmp_gt_i32_e64 s0, s5, v62
	s_wait_alu 0xf1ff
	s_delay_alu instid0(VALU_DEP_1) | instskip(SKIP_2) | instid1(VALU_DEP_3)
	v_cndmask_b32_e64 v33, 0, v21, s0
	v_cmp_gt_i32_e64 s0, s13, v61
	v_lshrrev_b32_e32 v21, 16, v23
	v_perm_b32 v22, v33, v22, 0x5040100
	s_wait_alu 0xf1ff
	s_delay_alu instid0(VALU_DEP_3) | instskip(SKIP_2) | instid1(VALU_DEP_1)
	v_cndmask_b32_e64 v23, 0, v23, s0
	v_cmp_gt_i32_e64 s0, s5, v59
	s_wait_alu 0xf1ff
	v_cndmask_b32_e64 v35, 0, v21, s0
	v_cmp_gt_i32_e64 s0, s13, v60
	v_perm_b32 v21, v11, v12, 0x5040100
	s_delay_alu instid0(VALU_DEP_3) | instskip(SKIP_1) | instid1(VALU_DEP_3)
	v_perm_b32 v23, v35, v23, 0x5040100
	s_wait_alu 0xf1ff
	v_cndmask_b32_e64 v24, 0, v24, s0
	v_cmp_gt_i32_e64 s0, s5, v58
	s_wait_alu 0xf1ff
	s_delay_alu instid0(VALU_DEP_1) | instskip(NEXT) | instid1(VALU_DEP_1)
	v_cndmask_b32_e64 v34, 0, v34, s0
	v_perm_b32 v24, v34, v24, 0x5040100
	s_wait_alu 0xfffe
	s_or_b32 exec_lo, exec_lo, s6
	global_load_b128 v[33:36], v[9:10], off offset:2560
	s_and_saveexec_b32 s6, vcc_lo
	s_cbranch_execz .LBB152_39
.LBB152_46:                             ;   in Loop: Header=BB152_33 Depth=1
	v_cmp_gt_i32_e64 s0, s13, v56
	s_wait_loadcnt 0x0
	v_lshrrev_b32_e32 v11, 16, v33
	v_lshrrev_b32_e32 v38, 16, v36
	s_wait_alu 0xf1ff
	v_cndmask_b32_e64 v12, 0, v33, s0
	v_cmp_gt_i32_e64 s0, s5, v63
	v_lshrrev_b32_e32 v33, 16, v34
	s_wait_alu 0xf1ff
	s_delay_alu instid0(VALU_DEP_2) | instskip(SKIP_2) | instid1(VALU_DEP_1)
	v_cndmask_b32_e64 v11, 0, v11, s0
	v_cmp_gt_i32_e64 s0, s13, v64
	s_wait_alu 0xf1ff
	v_cndmask_b32_e64 v34, 0, v34, s0
	v_cmp_gt_i32_e64 s0, s5, v62
	s_wait_alu 0xf1ff
	s_delay_alu instid0(VALU_DEP_1) | instskip(SKIP_2) | instid1(VALU_DEP_3)
	v_cndmask_b32_e64 v37, 0, v33, s0
	v_cmp_gt_i32_e64 s0, s13, v61
	v_lshrrev_b32_e32 v33, 16, v35
	v_perm_b32 v34, v37, v34, 0x5040100
	s_wait_alu 0xf1ff
	s_delay_alu instid0(VALU_DEP_3) | instskip(SKIP_2) | instid1(VALU_DEP_1)
	v_cndmask_b32_e64 v35, 0, v35, s0
	v_cmp_gt_i32_e64 s0, s5, v59
	s_wait_alu 0xf1ff
	v_cndmask_b32_e64 v39, 0, v33, s0
	v_cmp_gt_i32_e64 s0, s13, v60
	v_perm_b32 v33, v11, v12, 0x5040100
	s_delay_alu instid0(VALU_DEP_3) | instskip(SKIP_1) | instid1(VALU_DEP_3)
	v_perm_b32 v35, v39, v35, 0x5040100
	s_wait_alu 0xf1ff
	v_cndmask_b32_e64 v36, 0, v36, s0
	v_cmp_gt_i32_e64 s0, s5, v58
	s_wait_alu 0xf1ff
	s_delay_alu instid0(VALU_DEP_1) | instskip(NEXT) | instid1(VALU_DEP_1)
	v_cndmask_b32_e64 v38, 0, v38, s0
	v_perm_b32 v36, v38, v36, 0x5040100
	s_wait_alu 0xfffe
	s_or_b32 exec_lo, exec_lo, s6
	global_load_b128 v[37:40], v[9:10], off offset:3072
	s_and_saveexec_b32 s6, vcc_lo
	s_cbranch_execz .LBB152_40
.LBB152_47:                             ;   in Loop: Header=BB152_33 Depth=1
	v_cmp_gt_i32_e64 s0, s13, v56
	s_wait_loadcnt 0x0
	v_lshrrev_b32_e32 v11, 16, v37
	v_lshrrev_b32_e32 v66, 16, v40
	s_wait_alu 0xf1ff
	v_cndmask_b32_e64 v12, 0, v37, s0
	v_cmp_gt_i32_e64 s0, s5, v63
	v_lshrrev_b32_e32 v37, 16, v38
	s_wait_alu 0xf1ff
	s_delay_alu instid0(VALU_DEP_2) | instskip(SKIP_2) | instid1(VALU_DEP_1)
	v_cndmask_b32_e64 v11, 0, v11, s0
	v_cmp_gt_i32_e64 s0, s13, v64
	s_wait_alu 0xf1ff
	v_cndmask_b32_e64 v38, 0, v38, s0
	v_cmp_gt_i32_e64 s0, s5, v62
	s_wait_alu 0xf1ff
	s_delay_alu instid0(VALU_DEP_1) | instskip(SKIP_2) | instid1(VALU_DEP_3)
	v_cndmask_b32_e64 v65, 0, v37, s0
	v_cmp_gt_i32_e64 s0, s13, v61
	v_lshrrev_b32_e32 v37, 16, v39
	v_perm_b32 v38, v65, v38, 0x5040100
	s_wait_alu 0xf1ff
	s_delay_alu instid0(VALU_DEP_3) | instskip(SKIP_2) | instid1(VALU_DEP_1)
	v_cndmask_b32_e64 v39, 0, v39, s0
	v_cmp_gt_i32_e64 s0, s5, v59
	s_wait_alu 0xf1ff
	v_cndmask_b32_e64 v67, 0, v37, s0
	v_cmp_gt_i32_e64 s0, s13, v60
	v_perm_b32 v37, v11, v12, 0x5040100
	s_delay_alu instid0(VALU_DEP_3) | instskip(SKIP_1) | instid1(VALU_DEP_3)
	v_perm_b32 v39, v67, v39, 0x5040100
	s_wait_alu 0xf1ff
	v_cndmask_b32_e64 v40, 0, v40, s0
	v_cmp_gt_i32_e64 s0, s5, v58
	s_wait_alu 0xf1ff
	s_delay_alu instid0(VALU_DEP_1) | instskip(NEXT) | instid1(VALU_DEP_1)
	v_cndmask_b32_e64 v66, 0, v66, s0
	v_perm_b32 v40, v66, v40, 0x5040100
	s_wait_alu 0xfffe
	s_or_b32 exec_lo, exec_lo, s6
	global_load_b128 v[9:12], v[9:10], off offset:3584
	s_and_saveexec_b32 s0, vcc_lo
	s_cbranch_execz .LBB152_32
.LBB152_48:                             ;   in Loop: Header=BB152_33 Depth=1
	v_cmp_gt_i32_e32 vcc_lo, s13, v56
	s_wait_loadcnt 0x0
	v_lshrrev_b32_e32 v65, 16, v9
	v_lshrrev_b32_e32 v66, 16, v10
	s_wait_alu 0xfffd
	v_cndmask_b32_e32 v9, 0, v9, vcc_lo
	v_cmp_gt_i32_e32 vcc_lo, s5, v63
	s_wait_alu 0xfffd
	v_cndmask_b32_e32 v63, 0, v65, vcc_lo
	v_cmp_gt_i32_e32 vcc_lo, s13, v64
	v_lshrrev_b32_e32 v64, 16, v11
	s_wait_alu 0xfffd
	v_cndmask_b32_e32 v10, 0, v10, vcc_lo
	v_cmp_gt_i32_e32 vcc_lo, s5, v62
	s_wait_alu 0xfffd
	v_cndmask_b32_e32 v62, 0, v66, vcc_lo
	v_cmp_gt_i32_e32 vcc_lo, s13, v61
	v_lshrrev_b32_e32 v61, 16, v12
	v_perm_b32 v9, v63, v9, 0x5040100
	s_delay_alu instid0(VALU_DEP_4)
	v_perm_b32 v10, v62, v10, 0x5040100
	s_wait_alu 0xfffd
	v_cndmask_b32_e32 v11, 0, v11, vcc_lo
	v_cmp_gt_i32_e32 vcc_lo, s5, v59
	s_wait_alu 0xfffd
	v_cndmask_b32_e32 v59, 0, v64, vcc_lo
	v_cmp_gt_i32_e32 vcc_lo, s13, v60
	;; [unrolled: 3-line block ×3, first 2 shown]
	s_wait_alu 0xfffd
	v_cndmask_b32_e32 v58, 0, v61, vcc_lo
	v_perm_b32 v11, v59, v11, 0x5040100
	s_delay_alu instid0(VALU_DEP_2)
	v_perm_b32 v12, v58, v12, 0x5040100
	s_branch .LBB152_32
.LBB152_49:
	s_or_b32 exec_lo, exec_lo, s4
.LBB152_50:
	s_wait_alu 0xfffe
	s_or_b32 exec_lo, exec_lo, s1
	v_lshl_add_u32 v2, v46, 2, 0x220
	v_and_b32_e32 v3, 0x3c0, v0
	s_mov_b32 s0, exec_lo
	s_wait_loadcnt 0x0
	s_wait_storecnt 0x0
	s_barrier_signal -1
	v_lshl_add_u32 v1, v43, 10, v2
	s_barrier_wait -1
	global_inv scope:SCOPE_SE
	v_cmpx_eq_u32_e32 64, v3
	s_cbranch_execz .LBB152_52
; %bb.51:
	v_add_nc_u32_e32 v3, 0xfffff800, v1
	v_add_nc_u32_e32 v4, 0xfffff880, v1
	;; [unrolled: 1-line block ×8, first 2 shown]
	ds_store_b32 v3, v53
	ds_store_b32 v4, v52
	;; [unrolled: 1-line block ×8, first 2 shown]
.LBB152_52:
	s_wait_alu 0xfffe
	s_or_b32 exec_lo, exec_lo, s0
	s_delay_alu instid0(SALU_CYCLE_1)
	s_mov_b32 s0, exec_lo
	s_wait_loadcnt_dscnt 0x0
	s_barrier_signal -1
	s_barrier_wait -1
	global_inv scope:SCOPE_SE
	v_cmpx_gt_u32_e32 64, v0
	s_cbranch_execz .LBB152_54
; %bb.53:
	ds_load_2addr_b32 v[3:4], v1 offset1:32
	ds_load_2addr_b32 v[5:6], v1 offset0:64 offset1:96
	ds_load_2addr_b32 v[7:8], v1 offset0:128 offset1:160
	;; [unrolled: 1-line block ×3, first 2 shown]
	s_wait_dscnt 0x3
	v_dual_add_f32 v53, v53, v3 :: v_dual_add_f32 v52, v52, v4
	s_wait_dscnt 0x2
	v_dual_add_f32 v51, v51, v5 :: v_dual_add_f32 v50, v50, v6
	;; [unrolled: 2-line block ×3, first 2 shown]
	s_wait_dscnt 0x0
	v_add_f32_e32 v47, v47, v9
	v_add_f32_e32 v45, v45, v10
.LBB152_54:
	s_wait_alu 0xfffe
	s_or_b32 exec_lo, exec_lo, s0
	v_and_b32_e32 v3, 0x3e0, v0
	s_mov_b32 s0, exec_lo
	s_wait_loadcnt 0x0
	s_barrier_signal -1
	s_barrier_wait -1
	global_inv scope:SCOPE_SE
	v_cmpx_eq_u32_e32 32, v3
	s_cbranch_execz .LBB152_56
; %bb.55:
	ds_store_2addr_b32 v2, v53, v52 offset1:32
	ds_store_2addr_b32 v2, v51, v50 offset0:64 offset1:96
	ds_store_2addr_b32 v2, v49, v48 offset0:128 offset1:160
	;; [unrolled: 1-line block ×3, first 2 shown]
.LBB152_56:
	s_wait_alu 0xfffe
	s_or_b32 exec_lo, exec_lo, s0
	v_cmp_gt_u32_e32 vcc_lo, 32, v0
	s_wait_loadcnt_dscnt 0x0
	s_barrier_signal -1
	s_barrier_wait -1
	global_inv scope:SCOPE_SE
	s_and_saveexec_b32 s0, vcc_lo
	s_cbranch_execz .LBB152_58
; %bb.57:
	ds_load_2addr_b32 v[2:3], v1 offset1:32
	ds_load_2addr_b32 v[4:5], v1 offset0:64 offset1:96
	ds_load_2addr_b32 v[6:7], v1 offset0:128 offset1:160
	;; [unrolled: 1-line block ×3, first 2 shown]
	s_wait_dscnt 0x3
	v_dual_add_f32 v53, v53, v2 :: v_dual_add_f32 v52, v52, v3
	s_wait_dscnt 0x2
	v_dual_add_f32 v51, v51, v4 :: v_dual_add_f32 v50, v50, v5
	;; [unrolled: 2-line block ×3, first 2 shown]
	s_wait_dscnt 0x0
	v_add_f32_e32 v47, v47, v8
	v_add_f32_e32 v45, v45, v9
.LBB152_58:
	s_wait_alu 0xfffe
	s_or_b32 exec_lo, exec_lo, s0
	s_wait_loadcnt 0x0
	s_barrier_signal -1
	s_barrier_wait -1
	global_inv scope:SCOPE_SE
	s_and_saveexec_b32 s0, vcc_lo
	s_cbranch_execz .LBB152_60
; %bb.59:
	v_bfe_u32 v1, v53, 16, 1
	v_bfe_u32 v2, v52, 16, 1
	v_or_b32_e32 v3, 0x400000, v53
	v_cmp_u_f32_e32 vcc_lo, v53, v53
	v_or_b32_e32 v4, 0x400000, v52
	v_add3_u32 v1, v1, v53, 0x7fff
	v_lshlrev_b32_e32 v0, 1, v0
	v_add3_u32 v2, v2, v52, 0x7fff
	v_bfe_u32 v5, v51, 16, 1
	v_or_b32_e32 v7, 0x400000, v50
	s_wait_alu 0xfffd
	v_cndmask_b32_e32 v1, v1, v3, vcc_lo
	v_bfe_u32 v3, v50, 16, 1
	v_cmp_u_f32_e32 vcc_lo, v52, v52
	v_bfe_u32 v6, v49, 16, 1
	v_bfe_u32 v8, v47, 16, 1
	v_or_b32_e32 v9, 0x400000, v48
	v_add3_u32 v3, v3, v50, 0x7fff
	s_wait_alu 0xfffd
	v_cndmask_b32_e32 v2, v2, v4, vcc_lo
	v_add3_u32 v4, v5, v51, 0x7fff
	v_or_b32_e32 v5, 0x400000, v51
	v_cmp_u_f32_e32 vcc_lo, v51, v51
	s_lshl_b32 s0, s16, 8
	s_mul_i32 s2, s8, s14
	s_wait_alu 0xfffe
	s_ashr_i32 s1, s0, 31
	v_add3_u32 v8, v8, v47, 0x7fff
	s_wait_alu 0xfffd
	v_cndmask_b32_e32 v4, v4, v5, vcc_lo
	v_cmp_u_f32_e32 vcc_lo, v50, v50
	v_add3_u32 v5, v6, v49, 0x7fff
	v_or_b32_e32 v6, 0x400000, v49
	v_or_b32_e32 v10, 0x400000, v47
	s_ashr_i32 s3, s2, 31
	s_wait_alu 0xfffd
	v_cndmask_b32_e32 v3, v3, v7, vcc_lo
	v_bfe_u32 v7, v48, 16, 1
	v_cmp_u_f32_e32 vcc_lo, v49, v49
	s_wait_alu 0xfffe
	s_lshl_b64 s[0:1], s[0:1], 1
	s_lshl_b64 s[2:3], s[2:3], 1
	s_wait_alu 0xfffe
	s_add_nc_u64 s[0:1], s[10:11], s[0:1]
	v_add3_u32 v7, v7, v48, 0x7fff
	s_wait_alu 0xfffd
	v_cndmask_b32_e32 v5, v5, v6, vcc_lo
	v_cmp_u_f32_e32 vcc_lo, v48, v48
	v_bfe_u32 v6, v45, 16, 1
	v_or_b32_e32 v11, 0x400000, v45
	s_wait_alu 0xfffe
	s_add_nc_u64 s[0:1], s[0:1], s[2:3]
	s_mov_b32 s13, 0
	s_wait_alu 0xfffd
	v_cndmask_b32_e32 v7, v7, v9, vcc_lo
	v_cmp_u_f32_e32 vcc_lo, v47, v47
	v_add3_u32 v6, v6, v45, 0x7fff
	s_wait_alu 0xfffe
	s_add_nc_u64 s[0:1], s[0:1], s[12:13]
	s_wait_alu 0xfffd
	v_cndmask_b32_e32 v8, v8, v10, vcc_lo
	v_cmp_u_f32_e32 vcc_lo, v45, v45
	s_wait_alu 0xfffd
	v_cndmask_b32_e32 v6, v6, v11, vcc_lo
	s_clause 0x7
	global_store_d16_hi_b16 v0, v1, s[0:1]
	global_store_d16_hi_b16 v0, v2, s[0:1] offset:64
	global_store_d16_hi_b16 v0, v4, s[0:1] offset:128
	global_store_d16_hi_b16 v0, v3, s[0:1] offset:192
	global_store_d16_hi_b16 v0, v5, s[0:1] offset:256
	global_store_d16_hi_b16 v0, v7, s[0:1] offset:320
	global_store_d16_hi_b16 v0, v8, s[0:1] offset:384
	global_store_d16_hi_b16 v0, v6, s[0:1] offset:448
.LBB152_60:
	s_nop 0
	s_sendmsg sendmsg(MSG_DEALLOC_VGPRS)
	s_endpgm
	.section	.rodata,"a",@progbits
	.p2align	6, 0x0
	.amdhsa_kernel _ZN4vllm25paged_attention_v2_kernelI14__hip_bfloat16S1_Li256ELi8ELi128ELNS_18Fp8KVCacheDataTypeE0ELb0ELi512EEEvPfS3_PT_PKS4_PKT0_SA_ifPKiSC_iPKfiiiSE_SE_iiiii
		.amdhsa_group_segment_fixed_size 544
		.amdhsa_private_segment_fixed_size 0
		.amdhsa_kernarg_size 400
		.amdhsa_user_sgpr_count 2
		.amdhsa_user_sgpr_dispatch_ptr 0
		.amdhsa_user_sgpr_queue_ptr 0
		.amdhsa_user_sgpr_kernarg_segment_ptr 1
		.amdhsa_user_sgpr_dispatch_id 0
		.amdhsa_user_sgpr_private_segment_size 0
		.amdhsa_wavefront_size32 1
		.amdhsa_uses_dynamic_stack 0
		.amdhsa_enable_private_segment 0
		.amdhsa_system_sgpr_workgroup_id_x 1
		.amdhsa_system_sgpr_workgroup_id_y 1
		.amdhsa_system_sgpr_workgroup_id_z 1
		.amdhsa_system_sgpr_workgroup_info 0
		.amdhsa_system_vgpr_workitem_id 0
		.amdhsa_next_free_vgpr 116
		.amdhsa_next_free_sgpr 32
		.amdhsa_reserve_vcc 1
		.amdhsa_float_round_mode_32 0
		.amdhsa_float_round_mode_16_64 0
		.amdhsa_float_denorm_mode_32 3
		.amdhsa_float_denorm_mode_16_64 3
		.amdhsa_fp16_overflow 0
		.amdhsa_workgroup_processor_mode 1
		.amdhsa_memory_ordered 1
		.amdhsa_forward_progress 1
		.amdhsa_inst_pref_size 98
		.amdhsa_round_robin_scheduling 0
		.amdhsa_exception_fp_ieee_invalid_op 0
		.amdhsa_exception_fp_denorm_src 0
		.amdhsa_exception_fp_ieee_div_zero 0
		.amdhsa_exception_fp_ieee_overflow 0
		.amdhsa_exception_fp_ieee_underflow 0
		.amdhsa_exception_fp_ieee_inexact 0
		.amdhsa_exception_int_div_zero 0
	.end_amdhsa_kernel
	.section	.text._ZN4vllm25paged_attention_v2_kernelI14__hip_bfloat16S1_Li256ELi8ELi128ELNS_18Fp8KVCacheDataTypeE0ELb0ELi512EEEvPfS3_PT_PKS4_PKT0_SA_ifPKiSC_iPKfiiiSE_SE_iiiii,"axG",@progbits,_ZN4vllm25paged_attention_v2_kernelI14__hip_bfloat16S1_Li256ELi8ELi128ELNS_18Fp8KVCacheDataTypeE0ELb0ELi512EEEvPfS3_PT_PKS4_PKT0_SA_ifPKiSC_iPKfiiiSE_SE_iiiii,comdat
.Lfunc_end152:
	.size	_ZN4vllm25paged_attention_v2_kernelI14__hip_bfloat16S1_Li256ELi8ELi128ELNS_18Fp8KVCacheDataTypeE0ELb0ELi512EEEvPfS3_PT_PKS4_PKT0_SA_ifPKiSC_iPKfiiiSE_SE_iiiii, .Lfunc_end152-_ZN4vllm25paged_attention_v2_kernelI14__hip_bfloat16S1_Li256ELi8ELi128ELNS_18Fp8KVCacheDataTypeE0ELb0ELi512EEEvPfS3_PT_PKS4_PKT0_SA_ifPKiSC_iPKfiiiSE_SE_iiiii
                                        ; -- End function
	.set _ZN4vllm25paged_attention_v2_kernelI14__hip_bfloat16S1_Li256ELi8ELi128ELNS_18Fp8KVCacheDataTypeE0ELb0ELi512EEEvPfS3_PT_PKS4_PKT0_SA_ifPKiSC_iPKfiiiSE_SE_iiiii.num_vgpr, 116
	.set _ZN4vllm25paged_attention_v2_kernelI14__hip_bfloat16S1_Li256ELi8ELi128ELNS_18Fp8KVCacheDataTypeE0ELb0ELi512EEEvPfS3_PT_PKS4_PKT0_SA_ifPKiSC_iPKfiiiSE_SE_iiiii.num_agpr, 0
	.set _ZN4vllm25paged_attention_v2_kernelI14__hip_bfloat16S1_Li256ELi8ELi128ELNS_18Fp8KVCacheDataTypeE0ELb0ELi512EEEvPfS3_PT_PKS4_PKT0_SA_ifPKiSC_iPKfiiiSE_SE_iiiii.numbered_sgpr, 32
	.set _ZN4vllm25paged_attention_v2_kernelI14__hip_bfloat16S1_Li256ELi8ELi128ELNS_18Fp8KVCacheDataTypeE0ELb0ELi512EEEvPfS3_PT_PKS4_PKT0_SA_ifPKiSC_iPKfiiiSE_SE_iiiii.num_named_barrier, 0
	.set _ZN4vllm25paged_attention_v2_kernelI14__hip_bfloat16S1_Li256ELi8ELi128ELNS_18Fp8KVCacheDataTypeE0ELb0ELi512EEEvPfS3_PT_PKS4_PKT0_SA_ifPKiSC_iPKfiiiSE_SE_iiiii.private_seg_size, 0
	.set _ZN4vllm25paged_attention_v2_kernelI14__hip_bfloat16S1_Li256ELi8ELi128ELNS_18Fp8KVCacheDataTypeE0ELb0ELi512EEEvPfS3_PT_PKS4_PKT0_SA_ifPKiSC_iPKfiiiSE_SE_iiiii.uses_vcc, 1
	.set _ZN4vllm25paged_attention_v2_kernelI14__hip_bfloat16S1_Li256ELi8ELi128ELNS_18Fp8KVCacheDataTypeE0ELb0ELi512EEEvPfS3_PT_PKS4_PKT0_SA_ifPKiSC_iPKfiiiSE_SE_iiiii.uses_flat_scratch, 0
	.set _ZN4vllm25paged_attention_v2_kernelI14__hip_bfloat16S1_Li256ELi8ELi128ELNS_18Fp8KVCacheDataTypeE0ELb0ELi512EEEvPfS3_PT_PKS4_PKT0_SA_ifPKiSC_iPKfiiiSE_SE_iiiii.has_dyn_sized_stack, 0
	.set _ZN4vllm25paged_attention_v2_kernelI14__hip_bfloat16S1_Li256ELi8ELi128ELNS_18Fp8KVCacheDataTypeE0ELb0ELi512EEEvPfS3_PT_PKS4_PKT0_SA_ifPKiSC_iPKfiiiSE_SE_iiiii.has_recursion, 0
	.set _ZN4vllm25paged_attention_v2_kernelI14__hip_bfloat16S1_Li256ELi8ELi128ELNS_18Fp8KVCacheDataTypeE0ELb0ELi512EEEvPfS3_PT_PKS4_PKT0_SA_ifPKiSC_iPKfiiiSE_SE_iiiii.has_indirect_call, 0
	.section	.AMDGPU.csdata,"",@progbits
; Kernel info:
; codeLenInByte = 12528
; TotalNumSgprs: 34
; NumVgprs: 116
; ScratchSize: 0
; MemoryBound: 0
; FloatMode: 240
; IeeeMode: 1
; LDSByteSize: 544 bytes/workgroup (compile time only)
; SGPRBlocks: 0
; VGPRBlocks: 14
; NumSGPRsForWavesPerEU: 34
; NumVGPRsForWavesPerEU: 116
; Occupancy: 12
; WaveLimiterHint : 1
; COMPUTE_PGM_RSRC2:SCRATCH_EN: 0
; COMPUTE_PGM_RSRC2:USER_SGPR: 2
; COMPUTE_PGM_RSRC2:TRAP_HANDLER: 0
; COMPUTE_PGM_RSRC2:TGID_X_EN: 1
; COMPUTE_PGM_RSRC2:TGID_Y_EN: 1
; COMPUTE_PGM_RSRC2:TGID_Z_EN: 1
; COMPUTE_PGM_RSRC2:TIDIG_COMP_CNT: 0
	.section	.text._ZN4vllm25paged_attention_v2_kernelI14__hip_bfloat16S1_Li32ELi16ELi128ELNS_18Fp8KVCacheDataTypeE0ELb1ELi512EEEvPfS3_PT_PKS4_PKT0_SA_ifPKiSC_iPKfiiiSE_SE_iiiii,"axG",@progbits,_ZN4vllm25paged_attention_v2_kernelI14__hip_bfloat16S1_Li32ELi16ELi128ELNS_18Fp8KVCacheDataTypeE0ELb1ELi512EEEvPfS3_PT_PKS4_PKT0_SA_ifPKiSC_iPKfiiiSE_SE_iiiii,comdat
	.protected	_ZN4vllm25paged_attention_v2_kernelI14__hip_bfloat16S1_Li32ELi16ELi128ELNS_18Fp8KVCacheDataTypeE0ELb1ELi512EEEvPfS3_PT_PKS4_PKT0_SA_ifPKiSC_iPKfiiiSE_SE_iiiii ; -- Begin function _ZN4vllm25paged_attention_v2_kernelI14__hip_bfloat16S1_Li32ELi16ELi128ELNS_18Fp8KVCacheDataTypeE0ELb1ELi512EEEvPfS3_PT_PKS4_PKT0_SA_ifPKiSC_iPKfiiiSE_SE_iiiii
	.globl	_ZN4vllm25paged_attention_v2_kernelI14__hip_bfloat16S1_Li32ELi16ELi128ELNS_18Fp8KVCacheDataTypeE0ELb1ELi512EEEvPfS3_PT_PKS4_PKT0_SA_ifPKiSC_iPKfiiiSE_SE_iiiii
	.p2align	8
	.type	_ZN4vllm25paged_attention_v2_kernelI14__hip_bfloat16S1_Li32ELi16ELi128ELNS_18Fp8KVCacheDataTypeE0ELb1ELi512EEEvPfS3_PT_PKS4_PKT0_SA_ifPKiSC_iPKfiiiSE_SE_iiiii,@function
_ZN4vllm25paged_attention_v2_kernelI14__hip_bfloat16S1_Li32ELi16ELi128ELNS_18Fp8KVCacheDataTypeE0ELb1ELi512EEEvPfS3_PT_PKS4_PKT0_SA_ifPKiSC_iPKfiiiSE_SE_iiiii: ; @_ZN4vllm25paged_attention_v2_kernelI14__hip_bfloat16S1_Li32ELi16ELi128ELNS_18Fp8KVCacheDataTypeE0ELb1ELi512EEEvPfS3_PT_PKS4_PKT0_SA_ifPKiSC_iPKfiiiSE_SE_iiiii
; %bb.0:
	s_load_b64 s[2:3], s[0:1], 0x40
	s_and_b32 s20, ttmp7, 0xffff
	s_lshr_b32 s33, ttmp7, 16
	s_lshl_b32 s4, s20, 2
	s_lshl_b32 s34, s33, 9
	s_wait_kmcnt 0x0
	s_load_b32 s30, s[2:3], s4 offset:0x0
	s_wait_kmcnt 0x0
	s_cmp_ge_i32 s34, s30
	s_cbranch_scc1 .LBB153_66
; %bb.1:
	s_clause 0x1
	s_load_b32 s21, s[0:1], 0x90
	s_load_b64 s[6:7], s[0:1], 0x30
	s_wait_kmcnt 0x0
	s_abs_i32 s5, s21
	s_abs_i32 s2, s6
	s_delay_alu instid0(SALU_CYCLE_1) | instskip(SKIP_1) | instid1(SALU_CYCLE_2)
	s_cvt_f32_u32 s3, s2
	s_sub_co_i32 s4, 0, s2
	v_rcp_iflag_f32_e32 v1, s3
	s_delay_alu instid0(TRANS32_DEP_1) | instskip(SKIP_2) | instid1(SALU_CYCLE_2)
	v_readfirstlane_b32 s3, v1
	s_mul_f32 s3, s3, 0x4f7ffffe
	s_wait_alu 0xfffe
	s_cvt_u32_f32 s3, s3
	s_wait_alu 0xfffe
	s_delay_alu instid0(SALU_CYCLE_2) | instskip(NEXT) | instid1(SALU_CYCLE_1)
	s_mul_i32 s4, s4, s3
	s_mul_hi_u32 s4, s3, s4
	s_delay_alu instid0(SALU_CYCLE_1)
	s_add_co_i32 s3, s3, s4
	s_xor_b32 s4, s21, s6
	s_wait_alu 0xfffe
	s_mul_hi_u32 s3, s5, s3
	s_ashr_i32 s4, s4, 31
	s_wait_alu 0xfffe
	s_mul_i32 s8, s3, s2
	s_delay_alu instid0(SALU_CYCLE_1)
	s_sub_co_i32 s5, s5, s8
	s_add_co_i32 s8, s3, 1
	s_sub_co_i32 s9, s5, s2
	s_cmp_ge_u32 s5, s2
	s_cselect_b32 s3, s8, s3
	s_cselect_b32 s5, s9, s5
	s_wait_alu 0xfffe
	s_add_co_i32 s8, s3, 1
	s_cmp_ge_u32 s5, s2
	s_cselect_b32 s2, s8, s3
	s_load_b64 s[8:9], s[0:1], 0x50
	s_xor_b32 s2, s2, s4
	s_mov_b32 s3, 0
	s_wait_alu 0xfffe
	s_sub_co_i32 s10, s2, s4
	s_mov_b32 s15, s3
	s_abs_i32 s18, s10
	s_delay_alu instid0(SALU_CYCLE_1) | instskip(SKIP_1) | instid1(SALU_CYCLE_2)
	s_cvt_f32_u32 s2, s18
	s_wait_alu 0xfffe
	v_rcp_iflag_f32_e32 v1, s2
	s_delay_alu instid0(TRANS32_DEP_1) | instskip(SKIP_2) | instid1(SALU_CYCLE_2)
	v_readfirstlane_b32 s2, v1
	s_mul_f32 s2, s2, 0x4f7ffffe
	s_wait_alu 0xfffe
	s_cvt_u32_f32 s4, s2
	s_sub_co_i32 s2, 0, s18
	s_wait_alu 0xfffe
	s_delay_alu instid0(SALU_CYCLE_1)
	s_mul_i32 s2, s2, s4
	s_wait_alu 0xfffe
	s_mul_hi_u32 s5, s4, s2
	s_abs_i32 s2, ttmp9
	s_add_co_i32 s4, s4, s5
	s_mov_b32 s5, s3
	s_wait_kmcnt 0x0
	s_cmp_eq_u64 s[8:9], 0
	s_cbranch_scc1 .LBB153_3
; %bb.2:
	s_mov_b32 s12, ttmp9
	s_ashr_i32 s13, ttmp9, 31
	s_delay_alu instid0(SALU_CYCLE_1) | instskip(NEXT) | instid1(SALU_CYCLE_1)
	s_lshl_b64 s[12:13], s[12:13], 2
	s_add_nc_u64 s[8:9], s[8:9], s[12:13]
	s_load_b32 s15, s[8:9], 0x0
.LBB153_3:
	s_load_b96 s[12:14], s[0:1], 0x58
	v_lshrrev_b32_e32 v19, 1, v0
	v_and_b32_e32 v20, 1, v0
	v_lshlrev_b32_e32 v3, 3, v0
	s_mul_u64 s[4:5], s[2:3], s[4:5]
	s_ashr_i32 s3, ttmp9, 31
	s_ashr_i32 s4, s10, 31
	s_lshl_b32 s16, ttmp9, 5
	s_mov_b32 s8, exec_lo
	v_cmpx_gt_u32_e32 8, v0
	s_cbranch_execz .LBB153_5
; %bb.4:
	s_load_b64 s[10:11], s[0:1], 0x18
	s_wait_kmcnt 0x0
	s_mul_i32 s22, s12, s20
	s_ashr_i32 s17, s16, 31
	s_ashr_i32 s23, s22, 31
	v_lshlrev_b32_e32 v4, 3, v19
	s_lshl_b64 s[22:23], s[22:23], 1
	s_delay_alu instid0(VALU_DEP_1) | instskip(SKIP_2) | instid1(SALU_CYCLE_1)
	v_lshl_add_u32 v4, v20, 5, v4
	s_add_nc_u64 s[10:11], s[10:11], s[22:23]
	s_lshl_b64 s[22:23], s[16:17], 1
	s_add_nc_u64 s[10:11], s[10:11], s[22:23]
	global_load_b64 v[1:2], v3, s[10:11]
	s_wait_loadcnt 0x0
	ds_store_b64 v4, v[1:2]
.LBB153_5:
	s_or_b32 exec_lo, exec_lo, s8
	s_clause 0x1
	s_load_b128 s[8:11], s[0:1], 0x78
	s_load_b32 s22, s[0:1], 0x88
	s_wait_kmcnt 0x0
	s_mul_i32 s12, s5, s18
	s_xor_b32 s3, s3, s4
	s_sub_co_i32 s2, s2, s12
	s_add_co_i32 s4, s5, 1
	s_wait_alu 0xfffe
	s_sub_co_i32 s12, s2, s18
	s_cmp_ge_u32 s2, s18
	s_mov_b32 s24, -1
	s_cselect_b32 s4, s4, s5
	s_cselect_b32 s2, s12, s2
	s_add_co_i32 s5, s4, 1
	s_wait_alu 0xfffe
	s_cmp_ge_u32 s2, s18
	s_wait_dscnt 0x0
	s_cselect_b32 s2, s5, s4
	s_add_co_i32 s23, s30, -1
	s_wait_alu 0xfffe
	s_xor_b32 s2, s2, s3
	s_barrier_signal -1
	s_wait_alu 0xfffe
	s_sub_co_i32 s26, s2, s3
	s_barrier_wait -1
	s_abs_i32 s12, s11
	global_inv scope:SCOPE_SE
	s_cvt_f32_u32 s4, s12
                                        ; implicit-def: $sgpr17
	s_delay_alu instid0(SALU_CYCLE_3) | instskip(NEXT) | instid1(TRANS32_DEP_1)
	v_rcp_iflag_f32_e32 v1, s4
	v_readfirstlane_b32 s4, v1
	s_mul_f32 s2, s4, 0x4f7ffffe
	s_wait_alu 0xfffe
	s_delay_alu instid0(SALU_CYCLE_2) | instskip(SKIP_2) | instid1(SALU_CYCLE_1)
	s_cvt_u32_f32 s4, s2
	s_sub_co_i32 s2, 0, s12
	s_wait_alu 0xfffe
	s_mul_i32 s3, s2, s4
	s_abs_i32 s2, s23
	s_wait_alu 0xfffe
	s_mul_hi_u32 s5, s4, s3
	s_mov_b32 s3, 0
	s_wait_alu 0xfffe
	s_add_co_i32 s18, s4, s5
	s_cmp_lt_i32 s22, 0
	s_mov_b32 s19, s3
	s_cbranch_scc0 .LBB153_7
; %bb.6:
	s_mul_i32 s4, s8, s6
	s_mov_b32 s24, s3
	s_wait_alu 0xfffe
	s_add_co_i32 s4, s26, s4
	s_wait_alu 0xfffe
	s_mul_i32 s4, s4, s22
	s_wait_alu 0xfffe
	s_sub_co_i32 s17, 1, s4
.LBB153_7:
	s_mul_u64 s[4:5], s[2:3], s[18:19]
	s_ashr_i32 s3, s23, 31
	s_and_not1_b32 vcc_lo, exec_lo, s24
	s_ashr_i32 s19, s11, 31
	s_cbranch_vccnz .LBB153_9
; %bb.8:
	s_mul_i32 s4, s21, s8
	s_wait_alu 0xfffe
	s_add_co_i32 s4, s4, ttmp9
	s_wait_alu 0xfffe
	s_mul_i32 s4, s4, s22
	s_wait_alu 0xfffe
	s_add_co_i32 s17, s4, 1
.LBB153_9:
	s_clause 0x2
	s_load_b32 s4, s[0:1], 0x48
	s_load_b64 s[22:23], s[0:1], 0x38
	s_load_b32 s8, s[0:1], 0x98
	s_mul_i32 s6, s5, s12
	s_xor_b32 s3, s3, s19
	s_sub_co_i32 s2, s2, s6
	s_add_co_i32 s11, s5, 1
	v_lshrrev_b32_e32 v21, 5, v0
	v_mov_b32_e32 v6, 0xff7fffff
	v_mbcnt_lo_u32_b32 v5, -1, 0
	s_mul_i32 s26, s26, s14
	s_delay_alu instid0(VALU_DEP_3)
	v_lshl_add_u32 v22, v21, 4, s34
	s_wait_kmcnt 0x0
	s_mul_i32 s24, s4, s20
	s_wait_alu 0xfffe
	s_sub_co_i32 s4, s2, s12
	s_ashr_i32 s25, s24, 31
	s_cmp_ge_u32 s2, s12
	s_cselect_b32 s5, s11, s5
	s_wait_alu 0xfffe
	s_cselect_b32 s2, s4, s2
	s_add_co_i32 s4, s5, 1
	s_wait_alu 0xfffe
	s_cmp_ge_u32 s2, s12
	s_cselect_b32 s2, s4, s5
	s_add_co_i32 s4, s30, 15
	s_lshl_b32 s11, s33, 5
	s_wait_alu 0xfffe
	s_ashr_i32 s5, s4, 31
	v_or_b32_e32 v23, s11, v21
	s_wait_alu 0xfffe
	s_lshr_b32 s5, s5, 28
	s_wait_alu 0xfffe
	s_add_co_i32 s4, s4, s5
	s_add_co_i32 s5, s11, 32
	s_wait_alu 0xfffe
	s_ashr_i32 s35, s4, 4
	s_xor_b32 s4, s2, s3
	s_wait_alu 0xfffe
	s_min_i32 s31, s5, s35
	v_lshlrev_b32_e32 v4, 2, v23
	v_cmp_gt_i32_e64 s2, s31, v23
	s_sub_co_i32 s36, s4, s3
	s_and_saveexec_b32 s6, s2
	s_cbranch_execz .LBB153_21
; %bb.10:
	s_ashr_i32 s27, s26, 31
	s_sub_co_i32 s14, s36, s9
	s_lshl_b64 s[4:5], s[26:27], 1
	s_cmp_neq_f32 s15, 0
	s_load_b64 s[38:39], s[0:1], 0x20
	v_bfe_u32 v7, v0, 1, 4
	v_and_b32_e32 v2, 8, v3
	s_cselect_b32 vcc_lo, -1, 0
	s_abs_i32 s27, s10
	s_lshl_b64 s[40:41], s[24:25], 2
	s_cvt_f32_u32 s3, s27
	v_lshlrev_b32_e32 v6, 4, v7
	v_dual_mov_b32 v14, 0xff7fffff :: v_dual_lshlrev_b32 v9, 2, v7
	s_wait_alu 0xfffe
	v_rcp_iflag_f32_e32 v1, s3
	v_subrev_nc_u32_e32 v12, s30, v7
	s_add_nc_u64 s[40:41], s[22:23], s[40:41]
	v_lshl_or_b32 v13, v21, 6, v9
	s_sub_co_i32 s37, 0, s27
	v_cmp_eq_u32_e64 s3, 0, v20
	v_lshlrev_b32_e32 v8, 5, v20
	v_lshl_add_u32 v11, v21, 4, s34
	v_add_nc_u32_e32 v12, 1, v12
	v_dual_mov_b32 v16, v23 :: v_dual_add_nc_u32 v13, 0x60, v13
	v_readfirstlane_b32 s29, v1
	s_wait_kmcnt 0x0
	s_add_nc_u64 s[4:5], s[38:39], s[4:5]
	v_xor_b32_e32 v15, 1, v5
	s_wait_alu 0xfffe
	v_add_co_u32 v1, s4, s4, v6
	s_mul_f32 s29, s29, 0x4f7ffffe
	s_wait_alu 0xf1ff
	v_add_co_ci_u32_e64 v6, null, s5, 0, s4
	v_add_co_u32 v9, s4, v1, v2
	s_cvt_u32_f32 s5, s29
	s_wait_alu 0xf1ff
	v_add_co_ci_u32_e64 v10, null, 0, v6, s4
	v_add_co_u32 v1, s4, s40, v4
	s_wait_alu 0xfffe
	s_mul_i32 s37, s37, s5
	v_add_co_ci_u32_e64 v2, null, s41, 0, s4
	v_mov_b32_e32 v6, 0xff7fffff
	s_mul_hi_u32 s4, s5, s37
	s_mov_b32 s28, 0
	s_mov_b32 s29, s13
	s_wait_alu 0xfffe
	s_add_co_i32 s37, s5, s4
	s_branch .LBB153_13
.LBB153_11:                             ;   in Loop: Header=BB153_13 Depth=1
	s_or_b32 exec_lo, exec_lo, s38
.LBB153_12:                             ;   in Loop: Header=BB153_13 Depth=1
	s_wait_alu 0xfffe
	s_or_b32 exec_lo, exec_lo, s5
	v_add_nc_u32_e32 v16, 4, v16
	v_add_co_u32 v1, s5, v1, 16
	s_wait_alu 0xf1ff
	v_add_co_ci_u32_e64 v2, null, 0, v2, s5
	s_delay_alu instid0(VALU_DEP_3)
	v_cmp_le_i32_e64 s4, s31, v16
	v_add_nc_u32_e32 v11, 64, v11
	v_add_nc_u32_e32 v13, 0x100, v13
	s_or_b32 s28, s4, s28
	s_wait_alu 0xfffe
	s_and_not1_b32 exec_lo, exec_lo, s28
	s_cbranch_execz .LBB153_20
.LBB153_13:                             ; =>This Inner Loop Header: Depth=1
	v_sub_nc_u32_e32 v17, 0, v11
	s_delay_alu instid0(VALU_DEP_1) | instskip(SKIP_1) | instid1(VALU_DEP_1)
	v_max_i32_e32 v17, v11, v17
	s_wait_dscnt 0x0
	v_mul_hi_u32 v18, v17, s18
	s_delay_alu instid0(VALU_DEP_1) | instskip(NEXT) | instid1(VALU_DEP_1)
	v_mul_lo_u32 v24, v18, s12
	v_sub_nc_u32_e32 v17, v17, v24
	v_add_nc_u32_e32 v24, 1, v18
	s_delay_alu instid0(VALU_DEP_2) | instskip(SKIP_2) | instid1(VALU_DEP_1)
	v_subrev_nc_u32_e32 v25, s12, v17
	v_cmp_le_u32_e64 s4, s12, v17
	s_wait_alu 0xf1ff
	v_cndmask_b32_e64 v18, v18, v24, s4
	s_delay_alu instid0(VALU_DEP_3) | instskip(SKIP_1) | instid1(VALU_DEP_3)
	v_cndmask_b32_e64 v17, v17, v25, s4
	v_ashrrev_i32_e32 v24, 31, v11
	v_add_nc_u32_e32 v25, 1, v18
	s_delay_alu instid0(VALU_DEP_3) | instskip(NEXT) | instid1(VALU_DEP_3)
	v_cmp_le_u32_e64 s4, s12, v17
	v_xor_b32_e32 v24, s19, v24
	s_wait_alu 0xf1ff
	s_delay_alu instid0(VALU_DEP_2) | instskip(NEXT) | instid1(VALU_DEP_1)
	v_cndmask_b32_e64 v17, v18, v25, s4
	v_xor_b32_e32 v17, v17, v24
	s_delay_alu instid0(VALU_DEP_1) | instskip(NEXT) | instid1(VALU_DEP_1)
	v_sub_nc_u32_e32 v17, v17, v24
	v_add_nc_u32_e32 v18, s17, v17
	v_cmp_ge_i32_e64 s5, s14, v17
	s_delay_alu instid0(VALU_DEP_2) | instskip(NEXT) | instid1(VALU_DEP_1)
	v_sub_nc_u32_e32 v24, 0, v18
	v_max_i32_e32 v24, v18, v24
	v_ashrrev_i32_e32 v18, 31, v18
	s_delay_alu instid0(VALU_DEP_2) | instskip(NEXT) | instid1(VALU_DEP_1)
	v_mul_hi_u32 v25, v24, s37
	v_mul_lo_u32 v25, v25, s27
	s_delay_alu instid0(VALU_DEP_1) | instskip(NEXT) | instid1(VALU_DEP_1)
	v_sub_nc_u32_e32 v24, v24, v25
	v_subrev_nc_u32_e32 v25, s27, v24
	v_cmp_le_u32_e64 s4, s27, v24
	s_wait_alu 0xf1ff
	s_delay_alu instid0(VALU_DEP_1) | instskip(NEXT) | instid1(VALU_DEP_1)
	v_cndmask_b32_e64 v24, v24, v25, s4
	v_subrev_nc_u32_e32 v25, s27, v24
	v_cmp_le_u32_e64 s4, s27, v24
	s_wait_alu 0xf1ff
	s_delay_alu instid0(VALU_DEP_1) | instskip(NEXT) | instid1(VALU_DEP_1)
	v_cndmask_b32_e64 v24, v24, v25, s4
	v_xor_b32_e32 v24, v24, v18
	s_delay_alu instid0(VALU_DEP_1) | instskip(NEXT) | instid1(VALU_DEP_1)
	v_sub_nc_u32_e32 v18, v24, v18
	v_cmp_ne_u32_e64 s4, 0, v18
	s_and_b32 s4, s4, s5
	s_wait_alu 0xfffe
	s_and_saveexec_b32 s5, s4
	s_wait_alu 0xfffe
	s_xor_b32 s4, exec_lo, s5
	s_cbranch_execz .LBB153_17
; %bb.14:                               ;   in Loop: Header=BB153_13 Depth=1
	s_and_saveexec_b32 s5, s3
; %bb.15:                               ;   in Loop: Header=BB153_13 Depth=1
	ds_store_b32 v13, v14
; %bb.16:                               ;   in Loop: Header=BB153_13 Depth=1
	s_wait_alu 0xfffe
	s_or_b32 exec_lo, exec_lo, s5
.LBB153_17:                             ;   in Loop: Header=BB153_13 Depth=1
	s_wait_alu 0xfffe
	s_and_not1_saveexec_b32 s5, s4
	s_cbranch_execz .LBB153_12
; %bb.18:                               ;   in Loop: Header=BB153_13 Depth=1
	global_load_b32 v17, v[1:2], off
	s_wait_loadcnt 0x0
	v_mad_co_i64_i32 v[17:18], null, v17, s29, 0
	s_delay_alu instid0(VALU_DEP_1) | instskip(NEXT) | instid1(VALU_DEP_1)
	v_lshlrev_b64_e32 v[17:18], 1, v[17:18]
	v_add_co_u32 v17, s4, v9, v17
	s_wait_alu 0xf1ff
	s_delay_alu instid0(VALU_DEP_2)
	v_add_co_ci_u32_e64 v18, null, v10, v18, s4
	v_cmp_gt_i32_e64 s4, 32, v15
	s_clause 0x3
	global_load_b64 v[32:33], v[17:18], off
	global_load_b64 v[34:35], v[17:18], off offset:256
	global_load_b64 v[36:37], v[17:18], off offset:512
	;; [unrolled: 1-line block ×3, first 2 shown]
	ds_load_b128 v[24:27], v8
	ds_load_b128 v[28:31], v8 offset:16
	s_wait_loadcnt 0x3
	v_lshlrev_b32_e32 v47, 16, v33
	s_wait_loadcnt 0x2
	v_lshlrev_b32_e32 v48, 16, v34
	v_and_b32_e32 v34, 0xffff0000, v34
	s_wait_dscnt 0x1
	v_lshlrev_b32_e32 v41, 16, v27
	v_lshlrev_b32_e32 v49, 16, v35
	;; [unrolled: 1-line block ×4, first 2 shown]
	v_and_b32_e32 v24, 0xffff0000, v24
	s_delay_alu instid0(VALU_DEP_4)
	v_dual_mul_f32 v41, v41, v49 :: v_dual_and_b32 v32, 0xffff0000, v32
	v_lshlrev_b32_e32 v40, 16, v26
	v_lshlrev_b32_e32 v39, 16, v25
	v_and_b32_e32 v26, 0xffff0000, v26
	s_wait_loadcnt 0x1
	v_lshlrev_b32_e32 v50, 16, v36
	v_dual_mul_f32 v40, v40, v48 :: v_dual_lshlrev_b32 v51, 16, v37
	s_wait_dscnt 0x0
	v_dual_mul_f32 v26, v26, v34 :: v_dual_lshlrev_b32 v43, 16, v29
	v_fmac_f32_e32 v41, v39, v47
	s_delay_alu instid0(VALU_DEP_3)
	v_dual_fmac_f32 v40, v38, v46 :: v_dual_lshlrev_b32 v45, 16, v31
	v_lshlrev_b32_e32 v42, 16, v28
	v_and_b32_e32 v28, 0xffff0000, v28
	v_and_b32_e32 v36, 0xffff0000, v36
	;; [unrolled: 1-line block ×3, first 2 shown]
	s_wait_loadcnt 0x0
	v_dual_fmac_f32 v26, v24, v32 :: v_dual_lshlrev_b32 v37, 16, v17
	v_fmac_f32_e32 v41, v43, v51
	v_dual_fmac_f32 v40, v42, v50 :: v_dual_and_b32 v27, 0xffff0000, v27
	v_and_b32_e32 v35, 0xffff0000, v35
	v_and_b32_e32 v25, 0xffff0000, v25
	v_dual_fmac_f32 v26, v28, v36 :: v_dual_and_b32 v29, 0xffff0000, v29
	s_delay_alu instid0(VALU_DEP_3) | instskip(SKIP_4) | instid1(VALU_DEP_2)
	v_dual_mul_f32 v24, v27, v35 :: v_dual_and_b32 v17, 0xffff0000, v17
	v_lshlrev_b32_e32 v27, 16, v18
	v_lshlrev_b32_e32 v44, 16, v30
	v_and_b32_e32 v30, 0xffff0000, v30
	v_and_b32_e32 v18, 0xffff0000, v18
	v_dual_fmac_f32 v26, v30, v17 :: v_dual_and_b32 v17, 0xffff0000, v31
	v_and_b32_e32 v33, 0xffff0000, v33
	v_dual_fmac_f32 v41, v45, v27 :: v_dual_fmac_f32 v40, v44, v37
	s_delay_alu instid0(VALU_DEP_1) | instskip(SKIP_2) | instid1(VALU_DEP_2)
	v_dual_fmac_f32 v24, v25, v33 :: v_dual_add_f32 v25, v40, v26
	s_wait_alu 0xf1ff
	v_cndmask_b32_e64 v26, v5, v15, s4
	v_fmac_f32_e32 v24, v29, v34
	s_delay_alu instid0(VALU_DEP_1) | instskip(NEXT) | instid1(VALU_DEP_3)
	v_fmac_f32_e32 v24, v17, v18
	v_dual_add_f32 v17, v25, v41 :: v_dual_lshlrev_b32 v18, 2, v26
	s_delay_alu instid0(VALU_DEP_1)
	v_add_f32_e32 v17, v24, v17
	ds_bpermute_b32 v18, v18, v17
	s_and_saveexec_b32 s38, s3
	s_cbranch_execz .LBB153_11
; %bb.19:                               ;   in Loop: Header=BB153_13 Depth=1
	s_wait_dscnt 0x0
	v_dual_add_f32 v17, v17, v18 :: v_dual_add_nc_u32 v24, v12, v11
	s_delay_alu instid0(VALU_DEP_1) | instskip(NEXT) | instid1(VALU_DEP_1)
	v_cvt_f32_i32_e32 v24, v24
	v_mul_f32_e32 v24, s15, v24
	s_delay_alu instid0(VALU_DEP_1) | instskip(SKIP_1) | instid1(VALU_DEP_2)
	v_cndmask_b32_e32 v18, 0, v24, vcc_lo
	v_max_num_f32_e32 v24, v6, v6
	v_dual_fmac_f32 v18, s7, v17 :: v_dual_add_nc_u32 v17, v7, v11
	s_delay_alu instid0(VALU_DEP_1) | instskip(NEXT) | instid1(VALU_DEP_2)
	v_max_num_f32_e32 v24, v24, v18
	v_cmp_gt_i32_e64 s4, s30, v17
	s_wait_alu 0xf1ff
	s_delay_alu instid0(VALU_DEP_1) | instskip(NEXT) | instid1(VALU_DEP_3)
	v_cndmask_b32_e64 v17, 0, v18, s4
	v_cndmask_b32_e64 v6, v6, v24, s4
	ds_store_b32 v13, v17
	s_branch .LBB153_11
.LBB153_20:
	s_or_b32 exec_lo, exec_lo, s28
.LBB153_21:
	s_delay_alu instid0(SALU_CYCLE_1)
	s_or_b32 exec_lo, exec_lo, s6
	v_xor_b32_e32 v1, 16, v5
	v_xor_b32_e32 v2, 8, v5
	;; [unrolled: 1-line block ×3, first 2 shown]
	s_clause 0x2
	s_load_b128 s[4:7], s[0:1], 0x0
	s_load_b64 s[14:15], s[0:1], 0x10
	s_load_b64 s[28:29], s[0:1], 0x28
	v_and_b32_e32 v24, 31, v0
	v_cmp_gt_i32_e32 vcc_lo, 32, v1
	s_wait_alu 0xfffd
	v_dual_max_num_f32 v8, v6, v6 :: v_dual_cndmask_b32 v1, v5, v1
	v_cmp_gt_i32_e32 vcc_lo, 32, v2
	s_wait_alu 0xfffd
	s_delay_alu instid0(VALU_DEP_2) | instskip(SKIP_3) | instid1(VALU_DEP_1)
	v_dual_cndmask_b32 v2, v5, v2 :: v_dual_lshlrev_b32 v7, 2, v1
	ds_bpermute_b32 v1, v7, v6
	s_wait_dscnt 0x0
	v_dual_max_num_f32 v1, v1, v1 :: v_dual_lshlrev_b32 v6, 2, v2
	v_max_num_f32_e32 v1, v8, v1
	v_xor_b32_e32 v8, 4, v5
	s_delay_alu instid0(VALU_DEP_1)
	v_cmp_gt_i32_e32 vcc_lo, 32, v8
	s_wait_alu 0xfffd
	v_cndmask_b32_e32 v8, v5, v8, vcc_lo
	ds_bpermute_b32 v2, v6, v1
	v_cmp_gt_i32_e32 vcc_lo, 32, v9
	s_wait_alu 0xfffd
	v_cndmask_b32_e32 v9, v5, v9, vcc_lo
	v_cmp_eq_u32_e32 vcc_lo, 0, v24
	s_wait_dscnt 0x0
	v_max_num_f32_e32 v2, v2, v2
	s_delay_alu instid0(VALU_DEP_1) | instskip(SKIP_3) | instid1(VALU_DEP_1)
	v_dual_max_num_f32 v1, v1, v2 :: v_dual_lshlrev_b32 v8, 2, v8
	ds_bpermute_b32 v2, v8, v1
	s_wait_dscnt 0x0
	v_max_num_f32_e32 v2, v2, v2
	v_dual_max_num_f32 v1, v1, v2 :: v_dual_lshlrev_b32 v2, 2, v9
	v_lshlrev_b32_e32 v9, 2, v21
	ds_bpermute_b32 v10, v2, v1
	s_and_saveexec_b32 s0, vcc_lo
	s_cbranch_execz .LBB153_23
; %bb.22:
	s_wait_dscnt 0x0
	v_dual_max_num_f32 v10, v10, v10 :: v_dual_max_num_f32 v1, v1, v1
	s_delay_alu instid0(VALU_DEP_1)
	v_max_num_f32_e32 v1, v1, v10
	ds_store_b32 v9, v1 offset:64
.LBB153_23:
	s_or_b32 exec_lo, exec_lo, s0
	v_cmp_gt_u32_e64 s0, 4, v24
	s_wait_dscnt 0x0
	v_dual_mov_b32 v1, 0xff7fffff :: v_dual_lshlrev_b32 v10, 2, v24
	s_wait_loadcnt 0x0
	s_barrier_signal -1
	s_barrier_wait -1
	global_inv scope:SCOPE_SE
	s_and_saveexec_b32 s1, s0
; %bb.24:
	ds_load_b32 v1, v10 offset:64
; %bb.25:
	s_or_b32 exec_lo, exec_lo, s1
	s_wait_dscnt 0x0
	ds_bpermute_b32 v11, v2, v1
	v_xor_b32_e32 v12, 1, v5
	v_max_num_f32_e32 v1, v1, v1
	s_delay_alu instid0(VALU_DEP_2) | instskip(NEXT) | instid1(VALU_DEP_1)
	v_cmp_gt_i32_e64 s1, 32, v12
	v_cndmask_b32_e64 v5, v5, v12, s1
	s_sub_co_i32 s1, s31, s11
	s_wait_alu 0xfffe
	s_lshl_b32 s1, s1, 4
	s_delay_alu instid0(VALU_DEP_1)
	v_lshlrev_b32_e32 v25, 2, v5
	s_wait_alu 0xfffe
	s_add_co_i32 s1, s1, s34
	s_wait_alu 0xfffe
	s_min_i32 s1, s1, s30
	s_wait_dscnt 0x0
	v_max_num_f32_e32 v11, v11, v11
	s_wait_alu 0xfffe
	s_sub_co_i32 s27, s1, s34
	s_wait_alu 0xfffe
	v_cmp_gt_i32_e64 s1, s27, v0
	v_max_num_f32_e32 v1, v1, v11
	v_mov_b32_e32 v11, 0
	ds_bpermute_b32 v5, v25, v1
	s_wait_dscnt 0x0
	v_max_num_f32_e32 v5, v5, v5
	s_delay_alu instid0(VALU_DEP_1)
	v_max_num_f32_e32 v1, v1, v5
	v_lshl_add_u32 v5, v0, 2, 0x60
	ds_bpermute_b32 v1, v11, v1
	s_and_saveexec_b32 s34, s1
	s_cbranch_execz .LBB153_29
; %bb.26:
	v_lshl_add_u32 v12, v0, 2, 0x60
	v_mov_b32_e32 v11, 0
	v_mov_b32_e32 v13, v0
	s_mov_b32 s37, 0
.LBB153_27:                             ; =>This Inner Loop Header: Depth=1
	ds_load_b32 v14, v12
	v_add_nc_u32_e32 v13, 0x80, v13
	s_delay_alu instid0(VALU_DEP_1) | instskip(SKIP_4) | instid1(VALU_DEP_1)
	v_cmp_le_i32_e64 s3, s27, v13
	s_wait_alu 0xfffe
	s_or_b32 s37, s3, s37
	s_wait_dscnt 0x0
	v_sub_f32_e32 v14, v14, v1
	v_mul_f32_e32 v14, 0x3fb8aa3b, v14
	s_delay_alu instid0(VALU_DEP_1)
	v_exp_f32_e32 v14, v14
	ds_store_b32 v12, v14
	v_dual_add_f32 v11, v11, v14 :: v_dual_add_nc_u32 v12, 0x200, v12
	s_wait_alu 0xfffe
	s_and_not1_b32 exec_lo, exec_lo, s37
	s_cbranch_execnz .LBB153_27
; %bb.28:
	s_or_b32 exec_lo, exec_lo, s37
.LBB153_29:
	s_wait_alu 0xfffe
	s_or_b32 exec_lo, exec_lo, s34
	ds_bpermute_b32 v7, v7, v11
	s_wait_dscnt 0x0
	v_add_f32_e32 v7, v11, v7
	ds_bpermute_b32 v6, v6, v7
	s_wait_dscnt 0x0
	v_add_f32_e32 v6, v7, v6
	;; [unrolled: 3-line block ×5, first 2 shown]
	s_and_saveexec_b32 s3, vcc_lo
; %bb.30:
	ds_store_b32 v9, v6 offset:80
; %bb.31:
	s_wait_alu 0xfffe
	s_or_b32 exec_lo, exec_lo, s3
	s_wait_loadcnt_dscnt 0x0
	s_barrier_signal -1
	s_barrier_wait -1
	global_inv scope:SCOPE_SE
	s_and_saveexec_b32 s3, s0
; %bb.32:
	ds_load_b32 v6, v10 offset:80
; %bb.33:
	s_wait_alu 0xfffe
	s_or_b32 exec_lo, exec_lo, s3
	s_wait_dscnt 0x0
	ds_bpermute_b32 v2, v2, v6
	s_wait_dscnt 0x0
	v_add_f32_e32 v2, v6, v2
	ds_bpermute_b32 v6, v25, v2
	s_wait_dscnt 0x0
	v_add_f32_e32 v2, v2, v6
	v_mov_b32_e32 v6, 0
	ds_bpermute_b32 v2, v6, v2
	s_and_saveexec_b32 s0, s1
	s_cbranch_execz .LBB153_36
; %bb.34:
	s_wait_dscnt 0x0
	v_add_f32_e32 v6, 0x358637bd, v2
	s_mov_b32 s1, 0
	s_delay_alu instid0(VALU_DEP_1) | instskip(SKIP_1) | instid1(VALU_DEP_2)
	v_div_scale_f32 v7, null, v6, v6, 1.0
	v_div_scale_f32 v10, vcc_lo, 1.0, v6, 1.0
	v_rcp_f32_e32 v8, v7
	s_delay_alu instid0(TRANS32_DEP_1) | instskip(NEXT) | instid1(VALU_DEP_1)
	v_fma_f32 v9, -v7, v8, 1.0
	v_fmac_f32_e32 v8, v9, v8
	s_delay_alu instid0(VALU_DEP_1) | instskip(NEXT) | instid1(VALU_DEP_1)
	v_mul_f32_e32 v9, v10, v8
	v_fma_f32 v11, -v7, v9, v10
	s_delay_alu instid0(VALU_DEP_1) | instskip(NEXT) | instid1(VALU_DEP_1)
	v_fmac_f32_e32 v9, v11, v8
	v_fma_f32 v7, -v7, v9, v10
	s_wait_alu 0xfffd
	s_delay_alu instid0(VALU_DEP_1) | instskip(NEXT) | instid1(VALU_DEP_1)
	v_div_fmas_f32 v7, v7, v8, v9
	v_div_fixup_f32 v6, v7, v6, 1.0
	v_mov_b32_e32 v7, v0
.LBB153_35:                             ; =>This Inner Loop Header: Depth=1
	ds_load_b32 v8, v5
	s_wait_dscnt 0x0
	v_dual_mul_f32 v8, v6, v8 :: v_dual_add_nc_u32 v7, 0x80, v7
	s_delay_alu instid0(VALU_DEP_1)
	v_cmp_le_i32_e32 vcc_lo, s27, v7
	ds_store_b32 v5, v8
	v_add_nc_u32_e32 v5, 0x200, v5
	s_wait_alu 0xfffe
	s_or_b32 s1, vcc_lo, s1
	s_wait_alu 0xfffe
	s_and_not1_b32 exec_lo, exec_lo, s1
	s_cbranch_execnz .LBB153_35
.LBB153_36:
	s_wait_alu 0xfffe
	s_or_b32 exec_lo, exec_lo, s0
	s_mul_i32 s0, s8, s20
	s_wait_loadcnt_dscnt 0x0
	s_wait_alu 0xfffe
	s_mul_i32 s20, s0, s21
	s_mov_b32 s0, exec_lo
	s_barrier_signal -1
	s_barrier_wait -1
	global_inv scope:SCOPE_SE
	v_cmpx_eq_u32_e32 0, v0
	s_cbranch_execz .LBB153_38
; %bb.37:
	s_ashr_i32 s21, s20, 31
	s_wait_alu 0xfffe
	s_mul_i32 s38, s8, ttmp9
	s_lshl_b32 s1, s33, 2
	s_lshl_b64 s[40:41], s[20:21], 2
	s_ashr_i32 s39, s38, 31
	s_wait_alu 0xfffe
	v_mov_b32_e32 v5, s1
	s_wait_kmcnt 0x0
	s_add_nc_u64 s[6:7], s[6:7], s[40:41]
	s_lshl_b64 s[38:39], s[38:39], 2
	s_add_nc_u64 s[4:5], s[4:5], s[40:41]
	s_wait_alu 0xfffe
	s_add_nc_u64 s[6:7], s[6:7], s[38:39]
	s_add_nc_u64 s[4:5], s[4:5], s[38:39]
	s_clause 0x1
	global_store_b32 v5, v1, s[6:7]
	global_store_b32 v5, v2, s[4:5]
.LBB153_38:
	s_wait_alu 0xfffe
	s_or_b32 exec_lo, exec_lo, s0
	v_mov_b32_e32 v28, 0
	v_mov_b32_e32 v26, 0
	s_and_saveexec_b32 s1, s2
	s_cbranch_execz .LBB153_48
; %bb.39:
	s_abs_i32 s2, s10
	v_lshlrev_b32_e32 v2, 4, v0
	s_wait_alu 0xfffe
	s_cvt_f32_u32 s0, s2
	s_ashr_i32 s27, s26, 31
	s_wait_kmcnt 0x0
	s_lshl_b64 s[6:7], s[24:25], 2
	s_wait_alu 0xfffe
	s_lshl_b64 s[24:25], s[26:27], 1
	v_rcp_iflag_f32_e32 v1, s0
	v_and_b32_e32 v2, 0x1f0, v2
	s_add_nc_u64 s[6:7], s[22:23], s[6:7]
	s_add_nc_u64 s[22:23], s[28:29], s[24:25]
	s_sub_co_i32 s3, s36, s9
	s_sub_co_i32 s9, 0, s2
	v_add_co_u32 v29, s10, s22, v2
	s_wait_alu 0xfffe
	v_add_co_u32 v17, s6, s6, v4
	s_delay_alu instid0(TRANS32_DEP_1) | instskip(SKIP_3) | instid1(VALU_DEP_2)
	v_readfirstlane_b32 s0, v1
	v_dual_mov_b32 v28, 0 :: v_dual_lshlrev_b32 v1, 5, v20
	v_dual_mov_b32 v26, 0 :: v_dual_and_b32 v27, 8, v3
	s_mul_f32 s0, s0, 0x4f7ffffe
	v_lshl_or_b32 v1, v21, 6, v1
	v_add_co_ci_u32_e64 v30, null, s23, 0, s10
	s_wait_alu 0xfffe
	s_cvt_u32_f32 s0, s0
	v_add_co_ci_u32_e64 v18, null, s7, 0, s6
	v_add_nc_u32_e32 v31, 0x60, v1
	s_wait_alu 0xfffe
	s_mul_i32 s9, s9, s0
	s_mov_b32 s4, s13
	s_mul_hi_u32 s7, s0, s9
	s_add_co_i32 s35, s35, -1
	s_mov_b32 s5, 0
	s_mov_b32 s6, s30
	s_wait_alu 0xfffe
	s_add_co_i32 s7, s0, s7
	s_branch .LBB153_42
.LBB153_40:                             ;   in Loop: Header=BB153_42 Depth=1
	s_wait_alu 0xfffe
	s_or_b32 exec_lo, exec_lo, s0
	s_wait_dscnt 0x1
	v_bfe_u32 v32, v13, 16, 1
	v_or_b32_e32 v33, 0x400000, v13
	v_bfe_u32 v34, v14, 16, 1
	v_cmp_u_f32_e32 vcc_lo, v13, v13
	v_bfe_u32 v35, v15, 16, 1
	v_add3_u32 v32, v32, v13, 0x7fff
	v_or_b32_e32 v36, 0x400000, v14
	v_add3_u32 v34, v34, v14, 0x7fff
	v_or_b32_e32 v37, 0x400000, v15
	v_add3_u32 v35, v35, v15, 0x7fff
	s_wait_alu 0xfffd
	v_cndmask_b32_e32 v13, v32, v33, vcc_lo
	v_cmp_u_f32_e32 vcc_lo, v14, v14
	v_bfe_u32 v32, v16, 16, 1
	s_wait_dscnt 0x0
	v_bfe_u32 v33, v9, 16, 1
	s_wait_alu 0xfffd
	v_cndmask_b32_e32 v14, v34, v36, vcc_lo
	v_cmp_u_f32_e32 vcc_lo, v15, v15
	v_add3_u32 v32, v32, v16, 0x7fff
	v_or_b32_e32 v34, 0x400000, v16
	v_add3_u32 v33, v33, v9, 0x7fff
	v_bfe_u32 v36, v10, 16, 1
	s_wait_alu 0xfffd
	v_cndmask_b32_e32 v15, v35, v37, vcc_lo
	v_cmp_u_f32_e32 vcc_lo, v16, v16
	v_or_b32_e32 v35, 0x400000, v9
	v_and_b32_e32 v14, 0xffff0000, v14
	s_wait_alu 0xfffd
	v_cndmask_b32_e32 v16, v32, v34, vcc_lo
	v_cmp_u_f32_e32 vcc_lo, v9, v9
	v_add3_u32 v32, v36, v10, 0x7fff
	v_bfe_u32 v34, v11, 16, 1
	s_wait_loadcnt 0x1
	v_lshlrev_b32_e32 v36, 16, v6
	s_wait_alu 0xfffd
	v_dual_cndmask_b32 v9, v33, v35 :: v_dual_and_b32 v6, 0xffff0000, v6
	v_or_b32_e32 v33, 0x400000, v10
	v_cmp_u_f32_e32 vcc_lo, v10, v10
	s_wait_alu 0xfffd
	s_delay_alu instid0(VALU_DEP_2)
	v_cndmask_b32_e32 v10, v32, v33, vcc_lo
	v_add3_u32 v32, v34, v11, 0x7fff
	v_or_b32_e32 v33, 0x400000, v11
	v_bfe_u32 v34, v12, 16, 1
	v_cmp_u_f32_e32 vcc_lo, v11, v11
	s_wait_alu 0xfffd
	s_delay_alu instid0(VALU_DEP_3) | instskip(NEXT) | instid1(VALU_DEP_3)
	v_dual_cndmask_b32 v11, v32, v33 :: v_dual_and_b32 v10, 0xffff0000, v10
	v_add3_u32 v32, v34, v12, 0x7fff
	v_or_b32_e32 v33, 0x400000, v12
	v_cmp_u_f32_e32 vcc_lo, v12, v12
	v_and_b32_e32 v15, 0xffff0000, v15
	s_wait_alu 0xfffd
	s_delay_alu instid0(VALU_DEP_3) | instskip(NEXT) | instid1(VALU_DEP_2)
	v_dual_cndmask_b32 v12, v32, v33 :: v_dual_and_b32 v11, 0xffff0000, v11
	v_dual_mul_f32 v36, v15, v36 :: v_dual_and_b32 v13, 0xffff0000, v13
	s_delay_alu instid0(VALU_DEP_2)
	v_and_b32_e32 v12, 0xffff0000, v12
	v_and_b32_e32 v9, 0xffff0000, v9
	;; [unrolled: 1-line block ×3, first 2 shown]
	v_lshlrev_b32_e32 v35, 16, v5
	v_and_b32_e32 v5, 0xffff0000, v5
	v_or_b32_e32 v38, 0x400000, v36
	s_delay_alu instid0(VALU_DEP_3) | instskip(NEXT) | instid1(VALU_DEP_3)
	v_dual_mul_f32 v6, v16, v6 :: v_dual_mul_f32 v35, v13, v35
	v_mul_f32_e32 v5, v14, v5
	s_delay_alu instid0(VALU_DEP_2) | instskip(NEXT) | instid1(VALU_DEP_3)
	v_bfe_u32 v39, v6, 16, 1
	v_bfe_u32 v34, v35, 16, 1
	v_or_b32_e32 v33, 0x400000, v35
	v_cmp_u_f32_e32 vcc_lo, v35, v35
	v_or_b32_e32 v37, 0x400000, v5
	s_delay_alu instid0(VALU_DEP_4) | instskip(SKIP_2) | instid1(VALU_DEP_2)
	v_add3_u32 v32, v34, v35, 0x7fff
	v_bfe_u32 v34, v5, 16, 1
	s_wait_alu 0xfffd
	v_dual_cndmask_b32 v32, v32, v33 :: v_dual_lshlrev_b32 v35, 16, v7
	s_delay_alu instid0(VALU_DEP_2) | instskip(SKIP_2) | instid1(VALU_DEP_4)
	v_add3_u32 v33, v34, v5, 0x7fff
	v_bfe_u32 v34, v36, 16, 1
	v_cmp_u_f32_e32 vcc_lo, v5, v5
	v_and_b32_e32 v32, 0xffff0000, v32
	s_delay_alu instid0(VALU_DEP_3)
	v_add3_u32 v34, v34, v36, 0x7fff
	s_wait_alu 0xfffd
	v_cndmask_b32_e32 v5, v33, v37, vcc_lo
	v_cmp_u_f32_e32 vcc_lo, v36, v36
	v_lshlrev_b32_e32 v37, 16, v8
	s_wait_alu 0xfffd
	v_dual_cndmask_b32 v33, v34, v38 :: v_dual_and_b32 v8, 0xffff0000, v8
	v_add3_u32 v34, v39, v6, 0x7fff
	v_or_b32_e32 v38, 0x400000, v6
	v_cmp_u_f32_e32 vcc_lo, v6, v6
	s_delay_alu instid0(VALU_DEP_4) | instskip(SKIP_1) | instid1(VALU_DEP_3)
	v_dual_mul_f32 v8, v12, v8 :: v_dual_mul_f32 v35, v9, v35
	s_wait_alu 0xfffd
	v_dual_cndmask_b32 v6, v34, v38 :: v_dual_and_b32 v33, 0xffff0000, v33
	v_mul_f32_e32 v37, v11, v37
	s_delay_alu instid0(VALU_DEP_3)
	v_bfe_u32 v36, v35, 16, 1
	v_or_b32_e32 v39, 0x400000, v35
	v_cmp_u_f32_e32 vcc_lo, v35, v35
	v_and_b32_e32 v6, 0xffff0000, v6
	v_and_b32_e32 v7, 0xffff0000, v7
	v_add3_u32 v36, v36, v35, 0x7fff
	s_delay_alu instid0(VALU_DEP_2) | instskip(SKIP_1) | instid1(VALU_DEP_2)
	v_dual_add_f32 v6, v33, v6 :: v_dual_mul_f32 v7, v10, v7
	s_wait_alu 0xfffd
	v_cndmask_b32_e32 v35, v36, v39, vcc_lo
	v_bfe_u32 v36, v37, 16, 1
	v_or_b32_e32 v39, 0x400000, v37
	v_bfe_u32 v34, v7, 16, 1
	v_or_b32_e32 v38, 0x400000, v7
	v_cmp_u_f32_e32 vcc_lo, v7, v7
	v_add3_u32 v36, v36, v37, 0x7fff
	s_delay_alu instid0(VALU_DEP_4) | instskip(SKIP_1) | instid1(VALU_DEP_1)
	v_add3_u32 v34, v34, v7, 0x7fff
	s_wait_alu 0xfffd
	v_cndmask_b32_e32 v7, v34, v38, vcc_lo
	v_cmp_u_f32_e32 vcc_lo, v37, v37
	s_wait_loadcnt 0x0
	v_lshlrev_b32_e32 v38, 16, v1
	v_and_b32_e32 v1, 0xffff0000, v1
	v_or_b32_e32 v37, 0x400000, v8
	s_wait_alu 0xfffd
	v_cndmask_b32_e32 v34, v36, v39, vcc_lo
	v_bfe_u32 v36, v8, 16, 1
	v_cmp_u_f32_e32 vcc_lo, v8, v8
	v_dual_mul_f32 v1, v14, v1 :: v_dual_lshlrev_b32 v14, 16, v2
	v_and_b32_e32 v5, 0xffff0000, v5
	s_delay_alu instid0(VALU_DEP_4) | instskip(SKIP_1) | instid1(VALU_DEP_4)
	v_add3_u32 v36, v36, v8, 0x7fff
	v_and_b32_e32 v2, 0xffff0000, v2
	v_dual_mul_f32 v14, v15, v14 :: v_dual_and_b32 v7, 0xffff0000, v7
	s_delay_alu instid0(VALU_DEP_4) | instskip(SKIP_3) | instid1(VALU_DEP_3)
	v_dual_add_f32 v5, v32, v5 :: v_dual_and_b32 v32, 0xffff0000, v35
	s_wait_alu 0xfffd
	v_dual_cndmask_b32 v8, v36, v37 :: v_dual_mul_f32 v13, v13, v38
	v_bfe_u32 v33, v1, 16, 1
	v_dual_add_f32 v5, v6, v5 :: v_dual_mul_f32 v2, v16, v2
	s_delay_alu instid0(VALU_DEP_3) | instskip(NEXT) | instid1(VALU_DEP_4)
	v_and_b32_e32 v8, 0xffff0000, v8
	v_bfe_u32 v6, v13, 16, 1
	v_add_f32_e32 v7, v32, v7
	v_or_b32_e32 v32, 0x400000, v13
	v_cmp_u_f32_e32 vcc_lo, v13, v13
	v_or_b32_e32 v15, 0x400000, v1
	v_add3_u32 v6, v6, v13, 0x7fff
	v_add3_u32 v13, v33, v1, 0x7fff
	v_lshlrev_b32_e32 v16, 16, v3
	s_wait_alu 0xfffd
	s_delay_alu instid0(VALU_DEP_3) | instskip(SKIP_3) | instid1(VALU_DEP_3)
	v_dual_cndmask_b32 v6, v6, v32 :: v_dual_and_b32 v3, 0xffff0000, v3
	v_bfe_u32 v32, v14, 16, 1
	v_cmp_u_f32_e32 vcc_lo, v1, v1
	s_wait_alu 0xfffd
	v_dual_cndmask_b32 v1, v13, v15 :: v_dual_and_b32 v6, 0xffff0000, v6
	s_delay_alu instid0(VALU_DEP_3) | instskip(SKIP_3) | instid1(VALU_DEP_2)
	v_add3_u32 v13, v32, v14, 0x7fff
	v_or_b32_e32 v15, 0x400000, v14
	v_bfe_u32 v32, v2, 16, 1
	v_cmp_u_f32_e32 vcc_lo, v14, v14
	v_add3_u32 v14, v32, v2, 0x7fff
	s_wait_alu 0xfffd
	v_cndmask_b32_e32 v13, v13, v15, vcc_lo
	v_or_b32_e32 v15, 0x400000, v2
	v_cmp_u_f32_e32 vcc_lo, v2, v2
	s_wait_alu 0xfffd
	s_delay_alu instid0(VALU_DEP_2) | instskip(SKIP_3) | instid1(VALU_DEP_4)
	v_cndmask_b32_e32 v2, v14, v15, vcc_lo
	v_dual_mul_f32 v3, v10, v3 :: v_dual_lshlrev_b32 v10, 16, v4
	v_mul_f32_e32 v9, v9, v16
	v_and_b32_e32 v4, 0xffff0000, v4
	v_and_b32_e32 v2, 0xffff0000, v2
	s_delay_alu instid0(VALU_DEP_4)
	v_bfe_u32 v14, v3, 16, 1
	v_mul_f32_e32 v10, v11, v10
	v_bfe_u32 v16, v9, 16, 1
	v_mul_f32_e32 v4, v12, v4
	v_or_b32_e32 v11, 0x400000, v9
	v_cmp_u_f32_e32 vcc_lo, v9, v9
	v_add3_u32 v12, v14, v3, 0x7fff
	v_add3_u32 v15, v16, v9, 0x7fff
	v_or_b32_e32 v14, 0x400000, v3
	v_bfe_u32 v32, v4, 16, 1
	v_bfe_u32 v16, v10, 16, 1
	v_add_f32_e32 v5, v7, v5
	s_wait_alu 0xfffd
	v_cndmask_b32_e32 v9, v15, v11, vcc_lo
	v_cmp_u_f32_e32 vcc_lo, v3, v3
	v_or_b32_e32 v15, 0x400000, v10
	v_add3_u32 v11, v16, v10, 0x7fff
	s_wait_alu 0xfffd
	v_cndmask_b32_e32 v3, v12, v14, vcc_lo
	v_add3_u32 v12, v32, v4, 0x7fff
	v_or_b32_e32 v14, 0x400000, v4
	v_cmp_u_f32_e32 vcc_lo, v4, v4
	s_delay_alu instid0(VALU_DEP_4)
	v_and_b32_e32 v3, 0xffff0000, v3
	v_and_b32_e32 v13, 0xffff0000, v13
	s_wait_alu 0xfffd
	v_dual_cndmask_b32 v4, v12, v14 :: v_dual_and_b32 v1, 0xffff0000, v1
	v_cmp_u_f32_e32 vcc_lo, v10, v10
	v_and_b32_e32 v10, 0xffff0000, v34
	s_delay_alu instid0(VALU_DEP_3) | instskip(SKIP_2) | instid1(VALU_DEP_2)
	v_dual_add_f32 v2, v13, v2 :: v_dual_add_f32 v1, v6, v1
	s_wait_alu 0xfffd
	v_dual_cndmask_b32 v9, v11, v15 :: v_dual_and_b32 v6, 0xffff0000, v9
	v_add_f32_e32 v1, v2, v1
	s_delay_alu instid0(VALU_DEP_2) | instskip(NEXT) | instid1(VALU_DEP_3)
	v_dual_add_f32 v2, v6, v3 :: v_dual_and_b32 v3, 0xffff0000, v4
	v_and_b32_e32 v4, 0xffff0000, v9
	v_add_f32_e32 v6, v10, v8
	s_delay_alu instid0(VALU_DEP_2) | instskip(NEXT) | instid1(VALU_DEP_2)
	v_dual_add_f32 v1, v2, v1 :: v_dual_add_f32 v2, v4, v3
	v_add_f32_e32 v3, v6, v5
	s_delay_alu instid0(VALU_DEP_2) | instskip(NEXT) | instid1(VALU_DEP_2)
	v_add_f32_e32 v1, v2, v1
	v_add_f32_e32 v26, v26, v3
	s_delay_alu instid0(VALU_DEP_2)
	v_add_f32_e32 v28, v28, v1
.LBB153_41:                             ;   in Loop: Header=BB153_42 Depth=1
	s_or_b32 exec_lo, exec_lo, s9
	v_add_nc_u32_e32 v23, 4, v23
	v_add_co_u32 v17, s0, v17, 16
	s_wait_alu 0xf1ff
	v_add_co_ci_u32_e64 v18, null, 0, v18, s0
	s_delay_alu instid0(VALU_DEP_3)
	v_cmp_le_i32_e32 vcc_lo, s31, v23
	v_add_nc_u32_e32 v22, 64, v22
	v_add_nc_u32_e32 v31, 0x100, v31
	s_or_b32 s5, vcc_lo, s5
	s_wait_alu 0xfffe
	s_and_not1_b32 exec_lo, exec_lo, s5
	s_cbranch_execz .LBB153_47
.LBB153_42:                             ; =>This Inner Loop Header: Depth=1
	v_sub_nc_u32_e32 v1, 0, v22
	s_delay_alu instid0(VALU_DEP_1) | instskip(NEXT) | instid1(VALU_DEP_1)
	v_max_i32_e32 v1, v22, v1
	v_mul_hi_u32 v2, v1, s18
	s_delay_alu instid0(VALU_DEP_1) | instskip(NEXT) | instid1(VALU_DEP_1)
	v_mul_lo_u32 v3, v2, s12
	v_sub_nc_u32_e32 v1, v1, v3
	v_add_nc_u32_e32 v3, 1, v2
	s_delay_alu instid0(VALU_DEP_2) | instskip(SKIP_2) | instid1(VALU_DEP_2)
	v_subrev_nc_u32_e32 v4, s12, v1
	v_cmp_le_u32_e32 vcc_lo, s12, v1
	s_wait_alu 0xfffd
	v_dual_cndmask_b32 v2, v2, v3 :: v_dual_cndmask_b32 v1, v1, v4
	v_ashrrev_i32_e32 v3, 31, v22
	s_delay_alu instid0(VALU_DEP_2) | instskip(NEXT) | instid1(VALU_DEP_3)
	v_add_nc_u32_e32 v4, 1, v2
	v_cmp_le_u32_e32 vcc_lo, s12, v1
	s_delay_alu instid0(VALU_DEP_3) | instskip(SKIP_1) | instid1(VALU_DEP_3)
	v_xor_b32_e32 v3, s19, v3
	s_wait_alu 0xfffd
	v_cndmask_b32_e32 v1, v2, v4, vcc_lo
	s_delay_alu instid0(VALU_DEP_1) | instskip(NEXT) | instid1(VALU_DEP_1)
	v_xor_b32_e32 v1, v1, v3
	v_sub_nc_u32_e32 v1, v1, v3
	s_delay_alu instid0(VALU_DEP_1) | instskip(SKIP_1) | instid1(VALU_DEP_2)
	v_add_nc_u32_e32 v2, s17, v1
	v_cmp_lt_i32_e64 s0, s3, v1
	v_sub_nc_u32_e32 v3, 0, v2
	s_delay_alu instid0(VALU_DEP_1) | instskip(SKIP_1) | instid1(VALU_DEP_1)
	v_max_i32_e32 v3, v2, v3
	s_wait_alu 0xfffe
	v_mul_hi_u32 v4, v3, s7
	s_delay_alu instid0(VALU_DEP_1) | instskip(NEXT) | instid1(VALU_DEP_1)
	v_mul_lo_u32 v4, v4, s2
	v_sub_nc_u32_e32 v3, v3, v4
	s_delay_alu instid0(VALU_DEP_1) | instskip(SKIP_2) | instid1(VALU_DEP_2)
	v_subrev_nc_u32_e32 v4, s2, v3
	v_cmp_le_u32_e32 vcc_lo, s2, v3
	s_wait_alu 0xfffd
	v_cndmask_b32_e32 v3, v3, v4, vcc_lo
	v_ashrrev_i32_e32 v2, 31, v2
	s_delay_alu instid0(VALU_DEP_2) | instskip(SKIP_2) | instid1(VALU_DEP_2)
	v_subrev_nc_u32_e32 v4, s2, v3
	v_cmp_le_u32_e32 vcc_lo, s2, v3
	s_wait_alu 0xfffd
	v_cndmask_b32_e32 v3, v3, v4, vcc_lo
	s_delay_alu instid0(VALU_DEP_1) | instskip(NEXT) | instid1(VALU_DEP_1)
	v_xor_b32_e32 v3, v3, v2
	v_sub_nc_u32_e32 v2, v3, v2
	s_delay_alu instid0(VALU_DEP_1)
	v_cmp_eq_u32_e32 vcc_lo, 0, v2
	s_or_b32 s0, vcc_lo, s0
	s_wait_alu 0xfffe
	s_and_saveexec_b32 s9, s0
	s_cbranch_execz .LBB153_41
; %bb.43:                               ;   in Loop: Header=BB153_42 Depth=1
	global_load_b32 v1, v[17:18], off
	v_add_nc_u32_e32 v39, v27, v22
	s_delay_alu instid0(VALU_DEP_1)
	v_add_nc_u32_e32 v37, 1, v39
	v_or_b32_e32 v36, 3, v39
	v_or_b32_e32 v38, 2, v39
	v_or_b32_e32 v33, 5, v39
	v_or_b32_e32 v35, 4, v39
	v_or_b32_e32 v32, 7, v39
	v_or_b32_e32 v34, 6, v39
	s_wait_loadcnt 0x0
	v_mad_co_i64_i32 v[1:2], null, v1, s4, 0
	s_delay_alu instid0(VALU_DEP_1) | instskip(NEXT) | instid1(VALU_DEP_1)
	v_lshlrev_b64_e32 v[1:2], 1, v[1:2]
	v_add_co_u32 v1, vcc_lo, v29, v1
	s_wait_alu 0xfffd
	s_delay_alu instid0(VALU_DEP_2)
	v_add_co_ci_u32_e64 v2, null, v30, v2, vcc_lo
	v_cmp_eq_u32_e32 vcc_lo, s35, v23
	global_load_b128 v[5:8], v[1:2], off
	ds_load_2addr_b64 v[13:16], v31 offset1:1
	ds_load_2addr_b64 v[9:12], v31 offset0:2 offset1:3
	s_and_saveexec_b32 s10, vcc_lo
	s_cbranch_execz .LBB153_45
; %bb.44:                               ;   in Loop: Header=BB153_42 Depth=1
	v_cmp_gt_i32_e64 s0, s30, v39
	s_wait_loadcnt 0x0
	v_lshrrev_b32_e32 v3, 16, v5
	v_lshrrev_b32_e32 v41, 16, v8
	s_wait_alu 0xf1ff
	v_cndmask_b32_e64 v4, 0, v5, s0
	v_cmp_gt_i32_e64 s0, s6, v37
	v_lshrrev_b32_e32 v5, 16, v6
	s_wait_alu 0xf1ff
	s_delay_alu instid0(VALU_DEP_2) | instskip(SKIP_2) | instid1(VALU_DEP_1)
	v_cndmask_b32_e64 v3, 0, v3, s0
	v_cmp_gt_i32_e64 s0, s30, v38
	s_wait_alu 0xf1ff
	v_cndmask_b32_e64 v6, 0, v6, s0
	v_cmp_gt_i32_e64 s0, s6, v36
	s_wait_alu 0xf1ff
	s_delay_alu instid0(VALU_DEP_1) | instskip(SKIP_2) | instid1(VALU_DEP_3)
	v_cndmask_b32_e64 v40, 0, v5, s0
	v_cmp_gt_i32_e64 s0, s30, v35
	v_lshrrev_b32_e32 v5, 16, v7
	v_perm_b32 v6, v40, v6, 0x5040100
	s_wait_alu 0xf1ff
	s_delay_alu instid0(VALU_DEP_3) | instskip(SKIP_2) | instid1(VALU_DEP_1)
	v_cndmask_b32_e64 v7, 0, v7, s0
	v_cmp_gt_i32_e64 s0, s6, v33
	s_wait_alu 0xf1ff
	v_cndmask_b32_e64 v42, 0, v5, s0
	v_cmp_gt_i32_e64 s0, s30, v34
	v_perm_b32 v5, v3, v4, 0x5040100
	s_delay_alu instid0(VALU_DEP_3) | instskip(SKIP_1) | instid1(VALU_DEP_3)
	v_perm_b32 v7, v42, v7, 0x5040100
	s_wait_alu 0xf1ff
	v_cndmask_b32_e64 v8, 0, v8, s0
	v_cmp_gt_i32_e64 s0, s6, v32
	s_wait_alu 0xf1ff
	s_delay_alu instid0(VALU_DEP_1) | instskip(NEXT) | instid1(VALU_DEP_1)
	v_cndmask_b32_e64 v41, 0, v41, s0
	v_perm_b32 v8, v41, v8, 0x5040100
.LBB153_45:                             ;   in Loop: Header=BB153_42 Depth=1
	s_wait_alu 0xfffe
	s_or_b32 exec_lo, exec_lo, s10
	global_load_b128 v[1:4], v[1:2], off offset:512
	s_and_saveexec_b32 s0, vcc_lo
	s_cbranch_execz .LBB153_40
; %bb.46:                               ;   in Loop: Header=BB153_42 Depth=1
	v_cmp_gt_i32_e32 vcc_lo, s30, v39
	s_wait_loadcnt 0x0
	v_lshrrev_b32_e32 v40, 16, v1
	v_lshrrev_b32_e32 v39, 16, v2
	s_wait_alu 0xfffd
	v_cndmask_b32_e32 v1, 0, v1, vcc_lo
	v_cmp_gt_i32_e32 vcc_lo, s6, v37
	s_wait_alu 0xfffd
	v_cndmask_b32_e32 v37, 0, v40, vcc_lo
	v_cmp_gt_i32_e32 vcc_lo, s30, v38
	v_lshrrev_b32_e32 v38, 16, v3
	s_wait_alu 0xfffd
	v_cndmask_b32_e32 v2, 0, v2, vcc_lo
	v_cmp_gt_i32_e32 vcc_lo, s6, v36
	s_wait_alu 0xfffd
	v_cndmask_b32_e32 v36, 0, v39, vcc_lo
	v_cmp_gt_i32_e32 vcc_lo, s30, v35
	v_lshrrev_b32_e32 v35, 16, v4
	v_perm_b32 v1, v37, v1, 0x5040100
	s_delay_alu instid0(VALU_DEP_4)
	v_perm_b32 v2, v36, v2, 0x5040100
	s_wait_alu 0xfffd
	v_cndmask_b32_e32 v3, 0, v3, vcc_lo
	v_cmp_gt_i32_e32 vcc_lo, s6, v33
	s_wait_alu 0xfffd
	v_cndmask_b32_e32 v33, 0, v38, vcc_lo
	v_cmp_gt_i32_e32 vcc_lo, s30, v34
	;; [unrolled: 3-line block ×3, first 2 shown]
	s_wait_alu 0xfffd
	v_cndmask_b32_e32 v32, 0, v35, vcc_lo
	v_perm_b32 v3, v33, v3, 0x5040100
	s_delay_alu instid0(VALU_DEP_2)
	v_perm_b32 v4, v32, v4, 0x5040100
	s_branch .LBB153_40
.LBB153_47:
	s_or_b32 exec_lo, exec_lo, s5
.LBB153_48:
	s_wait_alu 0xfffe
	s_or_b32 exec_lo, exec_lo, s1
	ds_bpermute_b32 v1, v25, v26
	ds_bpermute_b32 v5, v25, v28
	v_lshrrev_b32_e32 v3, 1, v24
	v_and_b32_e32 v6, 0x3c1, v0
	s_mov_b32 s0, exec_lo
	s_wait_storecnt 0x0
	s_wait_loadcnt_dscnt 0x0
	s_barrier_signal -1
	v_lshl_add_u32 v4, v3, 2, 0x60
	s_barrier_wait -1
	global_inv scope:SCOPE_SE
	v_add_f32_e32 v2, v26, v1
	v_add_f32_e32 v1, v28, v5
	v_cmpx_eq_u32_e32 64, v6
	s_cbranch_execz .LBB153_50
; %bb.49:
	v_lshl_add_u32 v5, v21, 7, v4
	s_delay_alu instid0(VALU_DEP_1)
	v_add_nc_u32_e32 v6, 0xffffff00, v5
	v_add_nc_u32_e32 v5, 0xffffff40, v5
	ds_store_b32 v6, v2
	ds_store_b32 v5, v1
.LBB153_50:
	s_wait_alu 0xfffe
	s_or_b32 exec_lo, exec_lo, s0
	v_and_b32_e32 v5, 0x3e0, v0
	v_lshlrev_b32_e32 v3, 2, v3
	s_mov_b32 s1, exec_lo
	v_cmp_eq_u32_e32 vcc_lo, 0, v20
	s_wait_loadcnt_dscnt 0x0
	v_lshlrev_b32_e32 v5, 2, v5
	s_barrier_signal -1
	s_barrier_wait -1
	global_inv scope:SCOPE_SE
	v_add3_u32 v3, 0x60, v5, v3
	v_cmpx_gt_u32_e32 64, v0
	s_cbranch_execz .LBB153_56
; %bb.51:
	s_and_saveexec_b32 s0, vcc_lo
	s_cbranch_execz .LBB153_53
; %bb.52:
	ds_load_b32 v5, v3
	s_wait_dscnt 0x0
	v_add_f32_e32 v2, v2, v5
.LBB153_53:
	s_wait_alu 0xfffe
	s_or_b32 exec_lo, exec_lo, s0
	s_and_saveexec_b32 s0, vcc_lo
	s_cbranch_execz .LBB153_55
; %bb.54:
	ds_load_b32 v5, v3 offset:64
	s_wait_dscnt 0x0
	v_add_f32_e32 v1, v1, v5
.LBB153_55:
	s_wait_alu 0xfffe
	s_or_b32 exec_lo, exec_lo, s0
.LBB153_56:
	s_wait_alu 0xfffe
	s_or_b32 exec_lo, exec_lo, s1
	v_and_b32_e32 v5, 0x3e1, v0
	s_mov_b32 s1, exec_lo
	s_wait_loadcnt 0x0
	s_barrier_signal -1
	s_barrier_wait -1
	global_inv scope:SCOPE_SE
	v_cmpx_eq_u32_e32 32, v5
; %bb.57:
	ds_store_2addr_b32 v4, v2, v1 offset1:16
; %bb.58:
	s_wait_alu 0xfffe
	s_or_b32 exec_lo, exec_lo, s1
	s_delay_alu instid0(SALU_CYCLE_1)
	s_mov_b32 s1, exec_lo
	s_wait_loadcnt_dscnt 0x0
	s_barrier_signal -1
	s_barrier_wait -1
	global_inv scope:SCOPE_SE
	v_cmpx_gt_u32_e32 32, v0
	s_cbranch_execz .LBB153_64
; %bb.59:
	s_and_saveexec_b32 s0, vcc_lo
	s_cbranch_execz .LBB153_61
; %bb.60:
	ds_load_b32 v0, v3
	s_wait_dscnt 0x0
	v_add_f32_e32 v2, v2, v0
.LBB153_61:
	s_wait_alu 0xfffe
	s_or_b32 exec_lo, exec_lo, s0
	s_and_saveexec_b32 s0, vcc_lo
	s_cbranch_execz .LBB153_63
; %bb.62:
	ds_load_b32 v0, v3 offset:64
	s_wait_dscnt 0x0
	v_add_f32_e32 v1, v1, v0
.LBB153_63:
	s_wait_alu 0xfffe
	s_or_b32 exec_lo, exec_lo, s0
.LBB153_64:
	s_wait_alu 0xfffe
	s_or_b32 exec_lo, exec_lo, s1
	s_mov_b32 s1, 0
	s_wait_loadcnt 0x0
	s_barrier_signal -1
	s_barrier_wait -1
	global_inv scope:SCOPE_SE
	s_mov_b32 s0, exec_lo
	v_cmpx_eq_u32_e32 0, v5
	s_cbranch_execz .LBB153_66
; %bb.65:
	v_bfe_u32 v0, v2, 16, 1
	v_bfe_u32 v3, v1, 16, 1
	v_or_b32_e32 v4, 0x400000, v2
	v_cmp_u_f32_e32 vcc_lo, v2, v2
	s_lshl_b32 s2, s20, 5
	v_add3_u32 v0, v0, v2, 0x7fff
	s_wait_kmcnt 0x0
	s_mul_i32 s4, s8, s16
	s_wait_alu 0xfffe
	s_ashr_i32 s3, s2, 31
	v_add3_u32 v3, v3, v1, 0x7fff
	v_or_b32_e32 v5, 0x400000, v1
	s_wait_alu 0xfffd
	v_cndmask_b32_e32 v0, v0, v4, vcc_lo
	v_cmp_u_f32_e32 vcc_lo, v1, v1
	s_wait_alu 0xfffe
	s_lshl_b64 s[2:3], s[2:3], 1
	s_ashr_i32 s5, s4, 31
	s_wait_alu 0xfffe
	s_add_nc_u64 s[2:3], s[14:15], s[2:3]
	s_lshl_b64 s[4:5], s[4:5], 1
	v_lshlrev_b32_e32 v2, 1, v19
	s_wait_alu 0xfffe
	s_add_nc_u64 s[2:3], s[2:3], s[4:5]
	s_lshl_b32 s0, s11, 1
	s_wait_alu 0xfffd
	v_cndmask_b32_e32 v1, v3, v5, vcc_lo
	s_wait_alu 0xfffe
	s_add_nc_u64 s[0:1], s[2:3], s[0:1]
	s_clause 0x1
	global_store_d16_hi_b16 v2, v0, s[0:1]
	global_store_d16_hi_b16 v2, v1, s[0:1] offset:32
.LBB153_66:
	s_endpgm
	.section	.rodata,"a",@progbits
	.p2align	6, 0x0
	.amdhsa_kernel _ZN4vllm25paged_attention_v2_kernelI14__hip_bfloat16S1_Li32ELi16ELi128ELNS_18Fp8KVCacheDataTypeE0ELb1ELi512EEEvPfS3_PT_PKS4_PKT0_SA_ifPKiSC_iPKfiiiSE_SE_iiiii
		.amdhsa_group_segment_fixed_size 96
		.amdhsa_private_segment_fixed_size 0
		.amdhsa_kernarg_size 400
		.amdhsa_user_sgpr_count 2
		.amdhsa_user_sgpr_dispatch_ptr 0
		.amdhsa_user_sgpr_queue_ptr 0
		.amdhsa_user_sgpr_kernarg_segment_ptr 1
		.amdhsa_user_sgpr_dispatch_id 0
		.amdhsa_user_sgpr_private_segment_size 0
		.amdhsa_wavefront_size32 1
		.amdhsa_uses_dynamic_stack 0
		.amdhsa_enable_private_segment 0
		.amdhsa_system_sgpr_workgroup_id_x 1
		.amdhsa_system_sgpr_workgroup_id_y 1
		.amdhsa_system_sgpr_workgroup_id_z 1
		.amdhsa_system_sgpr_workgroup_info 0
		.amdhsa_system_vgpr_workitem_id 0
		.amdhsa_next_free_vgpr 52
		.amdhsa_next_free_sgpr 42
		.amdhsa_reserve_vcc 1
		.amdhsa_float_round_mode_32 0
		.amdhsa_float_round_mode_16_64 0
		.amdhsa_float_denorm_mode_32 3
		.amdhsa_float_denorm_mode_16_64 3
		.amdhsa_fp16_overflow 0
		.amdhsa_workgroup_processor_mode 1
		.amdhsa_memory_ordered 1
		.amdhsa_forward_progress 1
		.amdhsa_inst_pref_size 53
		.amdhsa_round_robin_scheduling 0
		.amdhsa_exception_fp_ieee_invalid_op 0
		.amdhsa_exception_fp_denorm_src 0
		.amdhsa_exception_fp_ieee_div_zero 0
		.amdhsa_exception_fp_ieee_overflow 0
		.amdhsa_exception_fp_ieee_underflow 0
		.amdhsa_exception_fp_ieee_inexact 0
		.amdhsa_exception_int_div_zero 0
	.end_amdhsa_kernel
	.section	.text._ZN4vllm25paged_attention_v2_kernelI14__hip_bfloat16S1_Li32ELi16ELi128ELNS_18Fp8KVCacheDataTypeE0ELb1ELi512EEEvPfS3_PT_PKS4_PKT0_SA_ifPKiSC_iPKfiiiSE_SE_iiiii,"axG",@progbits,_ZN4vllm25paged_attention_v2_kernelI14__hip_bfloat16S1_Li32ELi16ELi128ELNS_18Fp8KVCacheDataTypeE0ELb1ELi512EEEvPfS3_PT_PKS4_PKT0_SA_ifPKiSC_iPKfiiiSE_SE_iiiii,comdat
.Lfunc_end153:
	.size	_ZN4vllm25paged_attention_v2_kernelI14__hip_bfloat16S1_Li32ELi16ELi128ELNS_18Fp8KVCacheDataTypeE0ELb1ELi512EEEvPfS3_PT_PKS4_PKT0_SA_ifPKiSC_iPKfiiiSE_SE_iiiii, .Lfunc_end153-_ZN4vllm25paged_attention_v2_kernelI14__hip_bfloat16S1_Li32ELi16ELi128ELNS_18Fp8KVCacheDataTypeE0ELb1ELi512EEEvPfS3_PT_PKS4_PKT0_SA_ifPKiSC_iPKfiiiSE_SE_iiiii
                                        ; -- End function
	.set _ZN4vllm25paged_attention_v2_kernelI14__hip_bfloat16S1_Li32ELi16ELi128ELNS_18Fp8KVCacheDataTypeE0ELb1ELi512EEEvPfS3_PT_PKS4_PKT0_SA_ifPKiSC_iPKfiiiSE_SE_iiiii.num_vgpr, 52
	.set _ZN4vllm25paged_attention_v2_kernelI14__hip_bfloat16S1_Li32ELi16ELi128ELNS_18Fp8KVCacheDataTypeE0ELb1ELi512EEEvPfS3_PT_PKS4_PKT0_SA_ifPKiSC_iPKfiiiSE_SE_iiiii.num_agpr, 0
	.set _ZN4vllm25paged_attention_v2_kernelI14__hip_bfloat16S1_Li32ELi16ELi128ELNS_18Fp8KVCacheDataTypeE0ELb1ELi512EEEvPfS3_PT_PKS4_PKT0_SA_ifPKiSC_iPKfiiiSE_SE_iiiii.numbered_sgpr, 42
	.set _ZN4vllm25paged_attention_v2_kernelI14__hip_bfloat16S1_Li32ELi16ELi128ELNS_18Fp8KVCacheDataTypeE0ELb1ELi512EEEvPfS3_PT_PKS4_PKT0_SA_ifPKiSC_iPKfiiiSE_SE_iiiii.num_named_barrier, 0
	.set _ZN4vllm25paged_attention_v2_kernelI14__hip_bfloat16S1_Li32ELi16ELi128ELNS_18Fp8KVCacheDataTypeE0ELb1ELi512EEEvPfS3_PT_PKS4_PKT0_SA_ifPKiSC_iPKfiiiSE_SE_iiiii.private_seg_size, 0
	.set _ZN4vllm25paged_attention_v2_kernelI14__hip_bfloat16S1_Li32ELi16ELi128ELNS_18Fp8KVCacheDataTypeE0ELb1ELi512EEEvPfS3_PT_PKS4_PKT0_SA_ifPKiSC_iPKfiiiSE_SE_iiiii.uses_vcc, 1
	.set _ZN4vllm25paged_attention_v2_kernelI14__hip_bfloat16S1_Li32ELi16ELi128ELNS_18Fp8KVCacheDataTypeE0ELb1ELi512EEEvPfS3_PT_PKS4_PKT0_SA_ifPKiSC_iPKfiiiSE_SE_iiiii.uses_flat_scratch, 0
	.set _ZN4vllm25paged_attention_v2_kernelI14__hip_bfloat16S1_Li32ELi16ELi128ELNS_18Fp8KVCacheDataTypeE0ELb1ELi512EEEvPfS3_PT_PKS4_PKT0_SA_ifPKiSC_iPKfiiiSE_SE_iiiii.has_dyn_sized_stack, 0
	.set _ZN4vllm25paged_attention_v2_kernelI14__hip_bfloat16S1_Li32ELi16ELi128ELNS_18Fp8KVCacheDataTypeE0ELb1ELi512EEEvPfS3_PT_PKS4_PKT0_SA_ifPKiSC_iPKfiiiSE_SE_iiiii.has_recursion, 0
	.set _ZN4vllm25paged_attention_v2_kernelI14__hip_bfloat16S1_Li32ELi16ELi128ELNS_18Fp8KVCacheDataTypeE0ELb1ELi512EEEvPfS3_PT_PKS4_PKT0_SA_ifPKiSC_iPKfiiiSE_SE_iiiii.has_indirect_call, 0
	.section	.AMDGPU.csdata,"",@progbits
; Kernel info:
; codeLenInByte = 6676
; TotalNumSgprs: 44
; NumVgprs: 52
; ScratchSize: 0
; MemoryBound: 0
; FloatMode: 240
; IeeeMode: 1
; LDSByteSize: 96 bytes/workgroup (compile time only)
; SGPRBlocks: 0
; VGPRBlocks: 6
; NumSGPRsForWavesPerEU: 44
; NumVGPRsForWavesPerEU: 52
; Occupancy: 16
; WaveLimiterHint : 1
; COMPUTE_PGM_RSRC2:SCRATCH_EN: 0
; COMPUTE_PGM_RSRC2:USER_SGPR: 2
; COMPUTE_PGM_RSRC2:TRAP_HANDLER: 0
; COMPUTE_PGM_RSRC2:TGID_X_EN: 1
; COMPUTE_PGM_RSRC2:TGID_Y_EN: 1
; COMPUTE_PGM_RSRC2:TGID_Z_EN: 1
; COMPUTE_PGM_RSRC2:TIDIG_COMP_CNT: 0
	.section	.text._ZN4vllm25paged_attention_v2_kernelI14__hip_bfloat16S1_Li64ELi16ELi128ELNS_18Fp8KVCacheDataTypeE0ELb1ELi512EEEvPfS3_PT_PKS4_PKT0_SA_ifPKiSC_iPKfiiiSE_SE_iiiii,"axG",@progbits,_ZN4vllm25paged_attention_v2_kernelI14__hip_bfloat16S1_Li64ELi16ELi128ELNS_18Fp8KVCacheDataTypeE0ELb1ELi512EEEvPfS3_PT_PKS4_PKT0_SA_ifPKiSC_iPKfiiiSE_SE_iiiii,comdat
	.protected	_ZN4vllm25paged_attention_v2_kernelI14__hip_bfloat16S1_Li64ELi16ELi128ELNS_18Fp8KVCacheDataTypeE0ELb1ELi512EEEvPfS3_PT_PKS4_PKT0_SA_ifPKiSC_iPKfiiiSE_SE_iiiii ; -- Begin function _ZN4vllm25paged_attention_v2_kernelI14__hip_bfloat16S1_Li64ELi16ELi128ELNS_18Fp8KVCacheDataTypeE0ELb1ELi512EEEvPfS3_PT_PKS4_PKT0_SA_ifPKiSC_iPKfiiiSE_SE_iiiii
	.globl	_ZN4vllm25paged_attention_v2_kernelI14__hip_bfloat16S1_Li64ELi16ELi128ELNS_18Fp8KVCacheDataTypeE0ELb1ELi512EEEvPfS3_PT_PKS4_PKT0_SA_ifPKiSC_iPKfiiiSE_SE_iiiii
	.p2align	8
	.type	_ZN4vllm25paged_attention_v2_kernelI14__hip_bfloat16S1_Li64ELi16ELi128ELNS_18Fp8KVCacheDataTypeE0ELb1ELi512EEEvPfS3_PT_PKS4_PKT0_SA_ifPKiSC_iPKfiiiSE_SE_iiiii,@function
_ZN4vllm25paged_attention_v2_kernelI14__hip_bfloat16S1_Li64ELi16ELi128ELNS_18Fp8KVCacheDataTypeE0ELb1ELi512EEEvPfS3_PT_PKS4_PKT0_SA_ifPKiSC_iPKfiiiSE_SE_iiiii: ; @_ZN4vllm25paged_attention_v2_kernelI14__hip_bfloat16S1_Li64ELi16ELi128ELNS_18Fp8KVCacheDataTypeE0ELb1ELi512EEEvPfS3_PT_PKS4_PKT0_SA_ifPKiSC_iPKfiiiSE_SE_iiiii
; %bb.0:
	s_load_b64 s[2:3], s[0:1], 0x40
	s_and_b32 s20, ttmp7, 0xffff
	s_lshr_b32 s30, ttmp7, 16
	s_lshl_b32 s4, s20, 2
	s_lshl_b32 s33, s30, 9
	s_wait_kmcnt 0x0
	s_load_b32 s31, s[2:3], s4 offset:0x0
	s_wait_kmcnt 0x0
	s_cmp_ge_i32 s33, s31
	s_cbranch_scc1 .LBB154_72
; %bb.1:
	s_clause 0x1
	s_load_b32 s21, s[0:1], 0x90
	s_load_b64 s[6:7], s[0:1], 0x30
	s_wait_kmcnt 0x0
	s_abs_i32 s5, s21
	s_abs_i32 s2, s6
	s_delay_alu instid0(SALU_CYCLE_1) | instskip(SKIP_1) | instid1(SALU_CYCLE_2)
	s_cvt_f32_u32 s3, s2
	s_sub_co_i32 s4, 0, s2
	v_rcp_iflag_f32_e32 v1, s3
	s_delay_alu instid0(TRANS32_DEP_1) | instskip(SKIP_2) | instid1(SALU_CYCLE_2)
	v_readfirstlane_b32 s3, v1
	s_mul_f32 s3, s3, 0x4f7ffffe
	s_wait_alu 0xfffe
	s_cvt_u32_f32 s3, s3
	s_wait_alu 0xfffe
	s_delay_alu instid0(SALU_CYCLE_2) | instskip(NEXT) | instid1(SALU_CYCLE_1)
	s_mul_i32 s4, s4, s3
	s_mul_hi_u32 s4, s3, s4
	s_delay_alu instid0(SALU_CYCLE_1)
	s_add_co_i32 s3, s3, s4
	s_xor_b32 s4, s21, s6
	s_wait_alu 0xfffe
	s_mul_hi_u32 s3, s5, s3
	s_ashr_i32 s4, s4, 31
	s_wait_alu 0xfffe
	s_mul_i32 s8, s3, s2
	s_delay_alu instid0(SALU_CYCLE_1)
	s_sub_co_i32 s5, s5, s8
	s_add_co_i32 s8, s3, 1
	s_sub_co_i32 s9, s5, s2
	s_cmp_ge_u32 s5, s2
	s_cselect_b32 s3, s8, s3
	s_cselect_b32 s5, s9, s5
	s_wait_alu 0xfffe
	s_add_co_i32 s8, s3, 1
	s_cmp_ge_u32 s5, s2
	s_cselect_b32 s2, s8, s3
	s_load_b64 s[8:9], s[0:1], 0x50
	s_xor_b32 s2, s2, s4
	s_mov_b32 s3, 0
	s_wait_alu 0xfffe
	s_sub_co_i32 s10, s2, s4
	s_mov_b32 s15, s3
	s_abs_i32 s18, s10
	s_delay_alu instid0(SALU_CYCLE_1) | instskip(SKIP_1) | instid1(SALU_CYCLE_2)
	s_cvt_f32_u32 s2, s18
	s_wait_alu 0xfffe
	v_rcp_iflag_f32_e32 v1, s2
	s_delay_alu instid0(TRANS32_DEP_1) | instskip(SKIP_2) | instid1(SALU_CYCLE_2)
	v_readfirstlane_b32 s2, v1
	s_mul_f32 s2, s2, 0x4f7ffffe
	s_wait_alu 0xfffe
	s_cvt_u32_f32 s4, s2
	s_sub_co_i32 s2, 0, s18
	s_wait_alu 0xfffe
	s_delay_alu instid0(SALU_CYCLE_1)
	s_mul_i32 s2, s2, s4
	s_wait_alu 0xfffe
	s_mul_hi_u32 s5, s4, s2
	s_abs_i32 s2, ttmp9
	s_add_co_i32 s4, s4, s5
	s_mov_b32 s5, s3
	s_wait_kmcnt 0x0
	s_cmp_eq_u64 s[8:9], 0
	s_cbranch_scc1 .LBB154_3
; %bb.2:
	s_mov_b32 s12, ttmp9
	s_ashr_i32 s13, ttmp9, 31
	s_delay_alu instid0(SALU_CYCLE_1) | instskip(NEXT) | instid1(SALU_CYCLE_1)
	s_lshl_b64 s[12:13], s[12:13], 2
	s_add_nc_u64 s[8:9], s[8:9], s[12:13]
	s_load_b32 s15, s[8:9], 0x0
.LBB154_3:
	s_load_b96 s[12:14], s[0:1], 0x58
	v_lshrrev_b32_e32 v27, 1, v0
	v_and_b32_e32 v28, 1, v0
	v_lshlrev_b32_e32 v3, 3, v0
	s_mul_u64 s[4:5], s[2:3], s[4:5]
	s_ashr_i32 s3, ttmp9, 31
	s_ashr_i32 s4, s10, 31
	s_lshl_b32 s16, ttmp9, 6
	s_mov_b32 s8, exec_lo
	v_cmpx_gt_u32_e32 16, v0
	s_cbranch_execz .LBB154_5
; %bb.4:
	s_load_b64 s[10:11], s[0:1], 0x18
	s_wait_kmcnt 0x0
	s_mul_i32 s22, s12, s20
	s_ashr_i32 s17, s16, 31
	s_ashr_i32 s23, s22, 31
	v_lshlrev_b32_e32 v4, 3, v27
	s_lshl_b64 s[22:23], s[22:23], 1
	s_delay_alu instid0(VALU_DEP_1) | instskip(SKIP_2) | instid1(SALU_CYCLE_1)
	v_lshl_add_u32 v4, v28, 6, v4
	s_add_nc_u64 s[10:11], s[10:11], s[22:23]
	s_lshl_b64 s[22:23], s[16:17], 1
	s_add_nc_u64 s[10:11], s[10:11], s[22:23]
	global_load_b64 v[1:2], v3, s[10:11]
	s_wait_loadcnt 0x0
	ds_store_b64 v4, v[1:2]
.LBB154_5:
	s_or_b32 exec_lo, exec_lo, s8
	s_clause 0x1
	s_load_b128 s[8:11], s[0:1], 0x78
	s_load_b32 s22, s[0:1], 0x88
	s_wait_kmcnt 0x0
	s_mul_i32 s12, s5, s18
	s_xor_b32 s3, s3, s4
	s_sub_co_i32 s2, s2, s12
	s_add_co_i32 s4, s5, 1
	s_wait_alu 0xfffe
	s_sub_co_i32 s12, s2, s18
	s_cmp_ge_u32 s2, s18
	s_mov_b32 s24, -1
	s_cselect_b32 s4, s4, s5
	s_cselect_b32 s2, s12, s2
	s_add_co_i32 s5, s4, 1
	s_wait_alu 0xfffe
	s_cmp_ge_u32 s2, s18
	s_wait_dscnt 0x0
	s_cselect_b32 s2, s5, s4
	s_add_co_i32 s23, s31, -1
	s_wait_alu 0xfffe
	s_xor_b32 s2, s2, s3
	s_barrier_signal -1
	s_wait_alu 0xfffe
	s_sub_co_i32 s26, s2, s3
	s_barrier_wait -1
	s_abs_i32 s12, s11
	global_inv scope:SCOPE_SE
	s_cvt_f32_u32 s4, s12
                                        ; implicit-def: $sgpr17
	s_delay_alu instid0(SALU_CYCLE_3) | instskip(NEXT) | instid1(TRANS32_DEP_1)
	v_rcp_iflag_f32_e32 v1, s4
	v_readfirstlane_b32 s4, v1
	s_mul_f32 s2, s4, 0x4f7ffffe
	s_wait_alu 0xfffe
	s_delay_alu instid0(SALU_CYCLE_2) | instskip(SKIP_2) | instid1(SALU_CYCLE_1)
	s_cvt_u32_f32 s4, s2
	s_sub_co_i32 s2, 0, s12
	s_wait_alu 0xfffe
	s_mul_i32 s3, s2, s4
	s_abs_i32 s2, s23
	s_wait_alu 0xfffe
	s_mul_hi_u32 s5, s4, s3
	s_mov_b32 s3, 0
	s_wait_alu 0xfffe
	s_add_co_i32 s18, s4, s5
	s_cmp_lt_i32 s22, 0
	s_mov_b32 s19, s3
	s_cbranch_scc0 .LBB154_7
; %bb.6:
	s_mul_i32 s4, s8, s6
	s_mov_b32 s24, s3
	s_wait_alu 0xfffe
	s_add_co_i32 s4, s26, s4
	s_wait_alu 0xfffe
	s_mul_i32 s4, s4, s22
	s_wait_alu 0xfffe
	s_sub_co_i32 s17, 1, s4
.LBB154_7:
	s_mul_u64 s[4:5], s[2:3], s[18:19]
	s_ashr_i32 s3, s23, 31
	s_and_not1_b32 vcc_lo, exec_lo, s24
	s_ashr_i32 s11, s11, 31
	s_cbranch_vccnz .LBB154_9
; %bb.8:
	s_mul_i32 s4, s21, s8
	s_wait_alu 0xfffe
	s_add_co_i32 s4, s4, ttmp9
	s_wait_alu 0xfffe
	s_mul_i32 s4, s4, s22
	s_wait_alu 0xfffe
	s_add_co_i32 s17, s4, 1
.LBB154_9:
	s_clause 0x2
	s_load_b32 s4, s[0:1], 0x48
	s_load_b64 s[22:23], s[0:1], 0x38
	s_load_b32 s8, s[0:1], 0x98
	s_mul_i32 s6, s5, s12
	s_xor_b32 s3, s3, s11
	s_sub_co_i32 s2, s2, s6
	s_add_co_i32 s19, s5, 1
	v_lshrrev_b32_e32 v29, 5, v0
	v_mov_b32_e32 v6, 0xff7fffff
	v_mbcnt_lo_u32_b32 v5, -1, 0
	s_mul_i32 s26, s26, s14
	s_delay_alu instid0(VALU_DEP_3)
	v_lshl_add_u32 v30, v29, 4, s33
	s_wait_kmcnt 0x0
	s_mul_i32 s24, s4, s20
	s_wait_alu 0xfffe
	s_sub_co_i32 s4, s2, s12
	s_ashr_i32 s25, s24, 31
	s_cmp_ge_u32 s2, s12
	s_cselect_b32 s5, s19, s5
	s_wait_alu 0xfffe
	s_cselect_b32 s2, s4, s2
	s_add_co_i32 s4, s5, 1
	s_wait_alu 0xfffe
	s_cmp_ge_u32 s2, s12
	s_cselect_b32 s2, s4, s5
	s_add_co_i32 s4, s31, 15
	s_lshl_b32 s36, s30, 5
	s_wait_alu 0xfffe
	s_ashr_i32 s5, s4, 31
	v_or_b32_e32 v31, s36, v29
	s_wait_alu 0xfffe
	s_lshr_b32 s5, s5, 28
	s_wait_alu 0xfffe
	s_add_co_i32 s4, s4, s5
	s_add_co_i32 s5, s36, 32
	s_wait_alu 0xfffe
	s_ashr_i32 s34, s4, 4
	s_xor_b32 s4, s2, s3
	s_min_i32 s19, s5, s34
	v_lshlrev_b32_e32 v4, 2, v31
	v_cmp_gt_i32_e64 s2, s19, v31
	s_wait_alu 0xfffe
	s_sub_co_i32 s35, s4, s3
	s_and_saveexec_b32 s6, s2
	s_cbranch_execz .LBB154_21
; %bb.10:
	s_ashr_i32 s27, s26, 31
	s_sub_co_i32 s14, s35, s9
	s_lshl_b64 s[4:5], s[26:27], 1
	s_cmp_neq_f32 s15, 0
	s_load_b64 s[38:39], s[0:1], 0x20
	v_bfe_u32 v7, v0, 1, 4
	v_and_b32_e32 v2, 8, v3
	s_cselect_b32 vcc_lo, -1, 0
	s_abs_i32 s27, s10
	s_lshl_b64 s[40:41], s[24:25], 2
	s_cvt_f32_u32 s3, s27
	v_lshlrev_b32_e32 v6, 4, v7
	v_dual_mov_b32 v14, 0xff7fffff :: v_dual_lshlrev_b32 v9, 2, v7
	s_wait_alu 0xfffe
	v_rcp_iflag_f32_e32 v1, s3
	v_subrev_nc_u32_e32 v12, s31, v7
	s_add_nc_u64 s[40:41], s[22:23], s[40:41]
	v_lshl_or_b32 v13, v29, 6, v9
	s_sub_co_i32 s37, 0, s27
	v_cmp_eq_u32_e64 s3, 0, v28
	v_lshlrev_b32_e32 v8, 6, v28
	v_lshl_add_u32 v11, v29, 4, s33
	v_add_nc_u32_e32 v12, 1, v12
	v_dual_mov_b32 v16, v31 :: v_dual_add_nc_u32 v13, 0xa0, v13
	v_readfirstlane_b32 s29, v1
	s_wait_kmcnt 0x0
	s_add_nc_u64 s[4:5], s[38:39], s[4:5]
	v_xor_b32_e32 v15, 1, v5
	s_wait_alu 0xfffe
	v_add_co_u32 v1, s4, s4, v6
	s_mul_f32 s29, s29, 0x4f7ffffe
	s_wait_alu 0xf1ff
	v_add_co_ci_u32_e64 v6, null, s5, 0, s4
	v_add_co_u32 v9, s4, v1, v2
	s_cvt_u32_f32 s5, s29
	s_wait_alu 0xf1ff
	v_add_co_ci_u32_e64 v10, null, 0, v6, s4
	v_add_co_u32 v1, s4, s40, v4
	s_wait_alu 0xfffe
	s_mul_i32 s37, s37, s5
	v_add_co_ci_u32_e64 v2, null, s41, 0, s4
	v_mov_b32_e32 v6, 0xff7fffff
	s_wait_alu 0xfffe
	s_mul_hi_u32 s4, s5, s37
	s_mov_b32 s28, 0
	s_mov_b32 s29, s13
	s_wait_alu 0xfffe
	s_add_co_i32 s37, s5, s4
	s_branch .LBB154_13
.LBB154_11:                             ;   in Loop: Header=BB154_13 Depth=1
	s_or_b32 exec_lo, exec_lo, s38
.LBB154_12:                             ;   in Loop: Header=BB154_13 Depth=1
	s_wait_alu 0xfffe
	s_or_b32 exec_lo, exec_lo, s5
	v_add_nc_u32_e32 v16, 4, v16
	v_add_co_u32 v1, s5, v1, 16
	s_wait_alu 0xf1ff
	v_add_co_ci_u32_e64 v2, null, 0, v2, s5
	s_delay_alu instid0(VALU_DEP_3)
	v_cmp_le_i32_e64 s4, s19, v16
	v_add_nc_u32_e32 v11, 64, v11
	v_add_nc_u32_e32 v13, 0x100, v13
	s_or_b32 s28, s4, s28
	s_wait_alu 0xfffe
	s_and_not1_b32 exec_lo, exec_lo, s28
	s_cbranch_execz .LBB154_20
.LBB154_13:                             ; =>This Inner Loop Header: Depth=1
	v_sub_nc_u32_e32 v17, 0, v11
	s_delay_alu instid0(VALU_DEP_1) | instskip(SKIP_1) | instid1(VALU_DEP_1)
	v_max_i32_e32 v17, v11, v17
	s_wait_dscnt 0x0
	v_mul_hi_u32 v18, v17, s18
	s_delay_alu instid0(VALU_DEP_1) | instskip(NEXT) | instid1(VALU_DEP_1)
	v_mul_lo_u32 v19, v18, s12
	v_sub_nc_u32_e32 v17, v17, v19
	v_add_nc_u32_e32 v19, 1, v18
	s_delay_alu instid0(VALU_DEP_2) | instskip(SKIP_2) | instid1(VALU_DEP_1)
	v_subrev_nc_u32_e32 v20, s12, v17
	v_cmp_le_u32_e64 s4, s12, v17
	s_wait_alu 0xf1ff
	v_cndmask_b32_e64 v18, v18, v19, s4
	s_delay_alu instid0(VALU_DEP_3) | instskip(SKIP_1) | instid1(VALU_DEP_3)
	v_cndmask_b32_e64 v17, v17, v20, s4
	v_ashrrev_i32_e32 v19, 31, v11
	v_add_nc_u32_e32 v20, 1, v18
	s_delay_alu instid0(VALU_DEP_3) | instskip(NEXT) | instid1(VALU_DEP_3)
	v_cmp_le_u32_e64 s4, s12, v17
	v_xor_b32_e32 v19, s11, v19
	s_wait_alu 0xf1ff
	s_delay_alu instid0(VALU_DEP_2) | instskip(NEXT) | instid1(VALU_DEP_1)
	v_cndmask_b32_e64 v17, v18, v20, s4
	v_xor_b32_e32 v17, v17, v19
	s_delay_alu instid0(VALU_DEP_1) | instskip(NEXT) | instid1(VALU_DEP_1)
	v_sub_nc_u32_e32 v17, v17, v19
	v_add_nc_u32_e32 v18, s17, v17
	v_cmp_ge_i32_e64 s5, s14, v17
	s_delay_alu instid0(VALU_DEP_2) | instskip(NEXT) | instid1(VALU_DEP_1)
	v_sub_nc_u32_e32 v19, 0, v18
	v_max_i32_e32 v19, v18, v19
	v_ashrrev_i32_e32 v18, 31, v18
	s_wait_alu 0xfffe
	s_delay_alu instid0(VALU_DEP_2) | instskip(NEXT) | instid1(VALU_DEP_1)
	v_mul_hi_u32 v20, v19, s37
	v_mul_lo_u32 v20, v20, s27
	s_delay_alu instid0(VALU_DEP_1) | instskip(NEXT) | instid1(VALU_DEP_1)
	v_sub_nc_u32_e32 v19, v19, v20
	v_subrev_nc_u32_e32 v20, s27, v19
	v_cmp_le_u32_e64 s4, s27, v19
	s_wait_alu 0xf1ff
	s_delay_alu instid0(VALU_DEP_1) | instskip(NEXT) | instid1(VALU_DEP_1)
	v_cndmask_b32_e64 v19, v19, v20, s4
	v_subrev_nc_u32_e32 v20, s27, v19
	v_cmp_le_u32_e64 s4, s27, v19
	s_wait_alu 0xf1ff
	s_delay_alu instid0(VALU_DEP_1) | instskip(NEXT) | instid1(VALU_DEP_1)
	v_cndmask_b32_e64 v19, v19, v20, s4
	v_xor_b32_e32 v19, v19, v18
	s_delay_alu instid0(VALU_DEP_1) | instskip(NEXT) | instid1(VALU_DEP_1)
	v_sub_nc_u32_e32 v18, v19, v18
	v_cmp_ne_u32_e64 s4, 0, v18
	s_and_b32 s4, s4, s5
	s_wait_alu 0xfffe
	s_and_saveexec_b32 s5, s4
	s_wait_alu 0xfffe
	s_xor_b32 s4, exec_lo, s5
	s_cbranch_execz .LBB154_17
; %bb.14:                               ;   in Loop: Header=BB154_13 Depth=1
	s_and_saveexec_b32 s5, s3
; %bb.15:                               ;   in Loop: Header=BB154_13 Depth=1
	ds_store_b32 v13, v14
; %bb.16:                               ;   in Loop: Header=BB154_13 Depth=1
	s_wait_alu 0xfffe
	s_or_b32 exec_lo, exec_lo, s5
.LBB154_17:                             ;   in Loop: Header=BB154_13 Depth=1
	s_wait_alu 0xfffe
	s_and_not1_saveexec_b32 s5, s4
	s_cbranch_execz .LBB154_12
; %bb.18:                               ;   in Loop: Header=BB154_13 Depth=1
	global_load_b32 v17, v[1:2], off
	s_wait_loadcnt 0x0
	v_mad_co_i64_i32 v[17:18], null, v17, s29, 0
	s_delay_alu instid0(VALU_DEP_1) | instskip(NEXT) | instid1(VALU_DEP_1)
	v_lshlrev_b64_e32 v[17:18], 1, v[17:18]
	v_add_co_u32 v17, s4, v9, v17
	s_wait_alu 0xf1ff
	s_delay_alu instid0(VALU_DEP_2)
	v_add_co_ci_u32_e64 v18, null, v10, v18, s4
	v_cmp_gt_i32_e64 s4, 32, v15
	s_clause 0x7
	global_load_b64 v[25:26], v[17:18], off
	global_load_b64 v[40:41], v[17:18], off offset:256
	global_load_b64 v[42:43], v[17:18], off offset:512
	;; [unrolled: 1-line block ×7, first 2 shown]
	ds_load_b128 v[17:20], v8
	ds_load_b128 v[21:24], v8 offset:16
	ds_load_b128 v[32:35], v8 offset:32
	ds_load_b128 v[36:39], v8 offset:48
	s_wait_loadcnt 0x7
	v_lshlrev_b32_e32 v70, 16, v25
	s_wait_dscnt 0x3
	v_lshlrev_b32_e32 v57, 16, v20
	s_wait_loadcnt 0x6
	v_lshlrev_b32_e32 v73, 16, v41
	v_lshlrev_b32_e32 v56, 16, v19
	;; [unrolled: 1-line block ×4, first 2 shown]
	s_delay_alu instid0(VALU_DEP_4)
	v_dual_mul_f32 v57, v57, v73 :: v_dual_and_b32 v40, 0xffff0000, v40
	v_lshlrev_b32_e32 v55, 16, v18
	v_and_b32_e32 v41, 0xffff0000, v41
	s_wait_loadcnt 0x5
	v_lshlrev_b32_e32 v75, 16, v43
	s_wait_loadcnt 0x4
	v_lshlrev_b32_e32 v77, 16, v45
	v_and_b32_e32 v45, 0xffff0000, v45
	v_and_b32_e32 v19, 0xffff0000, v19
	v_lshlrev_b32_e32 v54, 16, v17
	s_wait_loadcnt 0x3
	v_lshlrev_b32_e32 v78, 16, v46
	v_and_b32_e32 v46, 0xffff0000, v46
	v_and_b32_e32 v20, 0xffff0000, v20
	s_wait_dscnt 0x2
	v_dual_mul_f32 v56, v56, v72 :: v_dual_lshlrev_b32 v59, 16, v22
	v_dual_fmac_f32 v57, v55, v71 :: v_dual_lshlrev_b32 v58, 16, v21
	v_dual_mul_f32 v19, v19, v40 :: v_dual_lshlrev_b32 v74, 16, v42
	s_delay_alu instid0(VALU_DEP_3)
	v_dual_fmac_f32 v56, v54, v70 :: v_dual_lshlrev_b32 v61, 16, v24
	v_mul_f32_e32 v20, v20, v41
	s_wait_dscnt 0x1
	v_dual_fmac_f32 v57, v59, v75 :: v_dual_lshlrev_b32 v64, 16, v34
	v_and_b32_e32 v26, 0xffff0000, v26
	v_dual_fmac_f32 v56, v58, v74 :: v_dual_lshlrev_b32 v79, 16, v47
	s_wait_dscnt 0x0
	s_delay_alu instid0(VALU_DEP_3)
	v_dual_fmac_f32 v57, v61, v77 :: v_dual_lshlrev_b32 v66, 16, v36
	v_and_b32_e32 v18, 0xffff0000, v18
	v_lshlrev_b32_e32 v63, 16, v33
	s_wait_loadcnt 0x2
	v_lshlrev_b32_e32 v80, 16, v48
	v_and_b32_e32 v17, 0xffff0000, v17
	v_lshlrev_b32_e32 v76, 16, v44
	v_fmac_f32_e32 v20, v18, v26
	s_wait_loadcnt 0x1
	v_and_b32_e32 v18, 0xffff0000, v51
	v_and_b32_e32 v25, 0xffff0000, v25
	v_lshlrev_b32_e32 v60, 16, v23
	v_lshlrev_b32_e32 v81, 16, v49
	v_fmac_f32_e32 v57, v63, v79
	v_and_b32_e32 v43, 0xffff0000, v43
	v_fmac_f32_e32 v19, v17, v25
	v_dual_fmac_f32 v56, v60, v76 :: v_dual_lshlrev_b32 v65, 16, v35
	v_and_b32_e32 v24, 0xffff0000, v24
	v_and_b32_e32 v48, 0xffff0000, v48
	;; [unrolled: 1-line block ×3, first 2 shown]
	s_delay_alu instid0(VALU_DEP_4)
	v_dual_fmac_f32 v57, v65, v81 :: v_dual_and_b32 v34, 0xffff0000, v34
	v_and_b32_e32 v22, 0xffff0000, v22
	v_lshlrev_b32_e32 v67, 16, v37
	v_and_b32_e32 v40, 0xffff0000, v49
	v_and_b32_e32 v42, 0xffff0000, v42
	;; [unrolled: 1-line block ×3, first 2 shown]
	v_fmac_f32_e32 v20, v22, v43
	s_wait_loadcnt 0x0
	v_lshlrev_b32_e32 v22, 16, v52
	v_and_b32_e32 v35, 0xffff0000, v35
	v_and_b32_e32 v33, 0xffff0000, v33
	v_dual_fmac_f32 v20, v24, v45 :: v_dual_lshlrev_b32 v49, 16, v50
	v_and_b32_e32 v21, 0xffff0000, v21
	s_delay_alu instid0(VALU_DEP_2) | instskip(NEXT) | instid1(VALU_DEP_2)
	v_dual_fmac_f32 v20, v33, v47 :: v_dual_and_b32 v17, 0xffff0000, v50
	v_dual_fmac_f32 v19, v21, v42 :: v_dual_lshlrev_b32 v62, 16, v32
	v_lshlrev_b32_e32 v69, 16, v39
	s_delay_alu instid0(VALU_DEP_2) | instskip(NEXT) | instid1(VALU_DEP_1)
	v_dual_fmac_f32 v56, v62, v78 :: v_dual_lshlrev_b32 v21, 16, v51
	v_fmac_f32_e32 v57, v67, v21
	s_delay_alu instid0(VALU_DEP_2) | instskip(SKIP_2) | instid1(VALU_DEP_3)
	v_dual_fmac_f32 v56, v64, v80 :: v_dual_and_b32 v21, 0xffff0000, v39
	v_and_b32_e32 v23, 0xffff0000, v23
	v_and_b32_e32 v37, 0xffff0000, v37
	v_fmac_f32_e32 v56, v66, v49
	s_delay_alu instid0(VALU_DEP_3)
	v_dual_fmac_f32 v19, v23, v44 :: v_dual_lshlrev_b32 v68, 16, v38
	v_and_b32_e32 v38, 0xffff0000, v38
	v_and_b32_e32 v23, 0xffff0000, v52
	;; [unrolled: 1-line block ×4, first 2 shown]
	v_fmac_f32_e32 v56, v68, v22
	s_delay_alu instid0(VALU_DEP_2) | instskip(NEXT) | instid1(VALU_DEP_1)
	v_dual_fmac_f32 v20, v35, v40 :: v_dual_fmac_f32 v19, v32, v46
	v_fmac_f32_e32 v20, v37, v18
	s_delay_alu instid0(VALU_DEP_2) | instskip(NEXT) | instid1(VALU_DEP_1)
	v_dual_fmac_f32 v19, v34, v48 :: v_dual_and_b32 v18, 0xffff0000, v53
	v_dual_fmac_f32 v20, v21, v18 :: v_dual_fmac_f32 v19, v36, v17
	v_lshlrev_b32_e32 v17, 16, v53
	s_delay_alu instid0(VALU_DEP_1) | instskip(NEXT) | instid1(VALU_DEP_3)
	v_fmac_f32_e32 v57, v69, v17
	v_fmac_f32_e32 v19, v38, v23
	s_delay_alu instid0(VALU_DEP_1) | instskip(SKIP_2) | instid1(VALU_DEP_1)
	v_add_f32_e32 v17, v56, v19
	s_wait_alu 0xf1ff
	v_cndmask_b32_e64 v19, v5, v15, s4
	v_dual_add_f32 v17, v17, v57 :: v_dual_lshlrev_b32 v18, 2, v19
	s_delay_alu instid0(VALU_DEP_1)
	v_add_f32_e32 v17, v20, v17
	ds_bpermute_b32 v18, v18, v17
	s_and_saveexec_b32 s38, s3
	s_cbranch_execz .LBB154_11
; %bb.19:                               ;   in Loop: Header=BB154_13 Depth=1
	s_wait_dscnt 0x0
	v_add_f32_e32 v17, v17, v18
	v_add_nc_u32_e32 v19, v12, v11
	s_delay_alu instid0(VALU_DEP_1) | instskip(NEXT) | instid1(VALU_DEP_1)
	v_cvt_f32_i32_e32 v19, v19
	v_mul_f32_e32 v19, s15, v19
	s_delay_alu instid0(VALU_DEP_1) | instskip(NEXT) | instid1(VALU_DEP_1)
	v_dual_cndmask_b32 v18, 0, v19 :: v_dual_max_num_f32 v19, v6, v6
	v_dual_fmac_f32 v18, s7, v17 :: v_dual_add_nc_u32 v17, v7, v11
	s_delay_alu instid0(VALU_DEP_1) | instskip(NEXT) | instid1(VALU_DEP_2)
	v_max_num_f32_e32 v19, v19, v18
	v_cmp_gt_i32_e64 s4, s31, v17
	s_wait_alu 0xf1ff
	s_delay_alu instid0(VALU_DEP_1) | instskip(NEXT) | instid1(VALU_DEP_3)
	v_cndmask_b32_e64 v17, 0, v18, s4
	v_cndmask_b32_e64 v6, v6, v19, s4
	ds_store_b32 v13, v17
	s_branch .LBB154_11
.LBB154_20:
	s_or_b32 exec_lo, exec_lo, s28
.LBB154_21:
	s_delay_alu instid0(SALU_CYCLE_1)
	s_or_b32 exec_lo, exec_lo, s6
	v_xor_b32_e32 v1, 16, v5
	v_xor_b32_e32 v2, 8, v5
	;; [unrolled: 1-line block ×3, first 2 shown]
	s_clause 0x2
	s_load_b128 s[4:7], s[0:1], 0x0
	s_load_b64 s[14:15], s[0:1], 0x10
	s_load_b64 s[28:29], s[0:1], 0x28
	v_and_b32_e32 v32, 31, v0
	v_cmp_gt_i32_e32 vcc_lo, 32, v1
	s_wait_alu 0xfffd
	v_dual_max_num_f32 v8, v6, v6 :: v_dual_cndmask_b32 v1, v5, v1
	v_cmp_gt_i32_e32 vcc_lo, 32, v2
	s_wait_alu 0xfffd
	s_delay_alu instid0(VALU_DEP_2) | instskip(SKIP_3) | instid1(VALU_DEP_1)
	v_dual_cndmask_b32 v2, v5, v2 :: v_dual_lshlrev_b32 v7, 2, v1
	ds_bpermute_b32 v1, v7, v6
	s_wait_dscnt 0x0
	v_dual_max_num_f32 v1, v1, v1 :: v_dual_lshlrev_b32 v6, 2, v2
	v_max_num_f32_e32 v1, v8, v1
	v_xor_b32_e32 v8, 4, v5
	s_delay_alu instid0(VALU_DEP_1)
	v_cmp_gt_i32_e32 vcc_lo, 32, v8
	s_wait_alu 0xfffd
	v_cndmask_b32_e32 v8, v5, v8, vcc_lo
	ds_bpermute_b32 v2, v6, v1
	v_cmp_gt_i32_e32 vcc_lo, 32, v9
	s_wait_alu 0xfffd
	v_cndmask_b32_e32 v9, v5, v9, vcc_lo
	v_cmp_eq_u32_e32 vcc_lo, 0, v32
	s_wait_dscnt 0x0
	v_max_num_f32_e32 v2, v2, v2
	s_delay_alu instid0(VALU_DEP_1) | instskip(SKIP_3) | instid1(VALU_DEP_1)
	v_dual_max_num_f32 v1, v1, v2 :: v_dual_lshlrev_b32 v8, 2, v8
	ds_bpermute_b32 v2, v8, v1
	s_wait_dscnt 0x0
	v_max_num_f32_e32 v2, v2, v2
	v_dual_max_num_f32 v1, v1, v2 :: v_dual_lshlrev_b32 v2, 2, v9
	v_lshlrev_b32_e32 v9, 2, v29
	ds_bpermute_b32 v10, v2, v1
	s_and_saveexec_b32 s0, vcc_lo
	s_cbranch_execz .LBB154_23
; %bb.22:
	s_wait_dscnt 0x0
	v_dual_max_num_f32 v10, v10, v10 :: v_dual_max_num_f32 v1, v1, v1
	s_delay_alu instid0(VALU_DEP_1)
	v_max_num_f32_e32 v1, v1, v10
	ds_store_b32 v9, v1 offset:128
.LBB154_23:
	s_or_b32 exec_lo, exec_lo, s0
	v_cmp_gt_u32_e64 s0, 4, v32
	s_wait_dscnt 0x0
	v_dual_mov_b32 v1, 0xff7fffff :: v_dual_lshlrev_b32 v10, 2, v32
	s_wait_loadcnt 0x0
	s_barrier_signal -1
	s_barrier_wait -1
	global_inv scope:SCOPE_SE
	s_and_saveexec_b32 s1, s0
; %bb.24:
	ds_load_b32 v1, v10 offset:128
; %bb.25:
	s_or_b32 exec_lo, exec_lo, s1
	s_wait_dscnt 0x0
	ds_bpermute_b32 v11, v2, v1
	v_xor_b32_e32 v12, 1, v5
	v_max_num_f32_e32 v1, v1, v1
	s_delay_alu instid0(VALU_DEP_2) | instskip(NEXT) | instid1(VALU_DEP_1)
	v_cmp_gt_i32_e64 s1, 32, v12
	v_cndmask_b32_e64 v5, v5, v12, s1
	s_sub_co_i32 s1, s19, s36
	s_wait_alu 0xfffe
	s_lshl_b32 s1, s1, 4
	s_delay_alu instid0(VALU_DEP_1)
	v_lshlrev_b32_e32 v33, 2, v5
	s_wait_alu 0xfffe
	s_add_co_i32 s1, s1, s33
	s_wait_alu 0xfffe
	s_min_i32 s1, s1, s31
	s_wait_dscnt 0x0
	v_max_num_f32_e32 v11, v11, v11
	s_wait_alu 0xfffe
	s_sub_co_i32 s27, s1, s33
	s_wait_alu 0xfffe
	v_cmp_gt_i32_e64 s1, s27, v0
	v_max_num_f32_e32 v1, v1, v11
	v_mov_b32_e32 v11, 0
	ds_bpermute_b32 v5, v33, v1
	s_wait_dscnt 0x0
	v_max_num_f32_e32 v5, v5, v5
	s_delay_alu instid0(VALU_DEP_1)
	v_max_num_f32_e32 v1, v1, v5
	v_lshl_add_u32 v5, v0, 2, 0xa0
	ds_bpermute_b32 v1, v11, v1
	s_and_saveexec_b32 s33, s1
	s_cbranch_execz .LBB154_29
; %bb.26:
	v_lshl_add_u32 v12, v0, 2, 0xa0
	v_mov_b32_e32 v11, 0
	v_mov_b32_e32 v13, v0
	s_mov_b32 s36, 0
.LBB154_27:                             ; =>This Inner Loop Header: Depth=1
	ds_load_b32 v14, v12
	v_add_nc_u32_e32 v13, 0x80, v13
	s_delay_alu instid0(VALU_DEP_1) | instskip(SKIP_4) | instid1(VALU_DEP_1)
	v_cmp_le_i32_e64 s3, s27, v13
	s_wait_alu 0xfffe
	s_or_b32 s36, s3, s36
	s_wait_dscnt 0x0
	v_sub_f32_e32 v14, v14, v1
	v_mul_f32_e32 v14, 0x3fb8aa3b, v14
	s_delay_alu instid0(VALU_DEP_1)
	v_exp_f32_e32 v14, v14
	ds_store_b32 v12, v14
	v_dual_add_f32 v11, v11, v14 :: v_dual_add_nc_u32 v12, 0x200, v12
	s_wait_alu 0xfffe
	s_and_not1_b32 exec_lo, exec_lo, s36
	s_cbranch_execnz .LBB154_27
; %bb.28:
	s_or_b32 exec_lo, exec_lo, s36
.LBB154_29:
	s_wait_alu 0xfffe
	s_or_b32 exec_lo, exec_lo, s33
	ds_bpermute_b32 v7, v7, v11
	s_wait_dscnt 0x0
	v_add_f32_e32 v7, v11, v7
	ds_bpermute_b32 v6, v6, v7
	s_wait_dscnt 0x0
	v_add_f32_e32 v6, v7, v6
	;; [unrolled: 3-line block ×5, first 2 shown]
	s_and_saveexec_b32 s3, vcc_lo
; %bb.30:
	ds_store_b32 v9, v6 offset:144
; %bb.31:
	s_wait_alu 0xfffe
	s_or_b32 exec_lo, exec_lo, s3
	s_wait_loadcnt_dscnt 0x0
	s_barrier_signal -1
	s_barrier_wait -1
	global_inv scope:SCOPE_SE
	s_and_saveexec_b32 s3, s0
; %bb.32:
	ds_load_b32 v6, v10 offset:144
; %bb.33:
	s_wait_alu 0xfffe
	s_or_b32 exec_lo, exec_lo, s3
	s_wait_dscnt 0x0
	ds_bpermute_b32 v2, v2, v6
	s_wait_dscnt 0x0
	v_add_f32_e32 v2, v6, v2
	ds_bpermute_b32 v6, v33, v2
	s_wait_dscnt 0x0
	v_add_f32_e32 v2, v2, v6
	v_mov_b32_e32 v6, 0
	ds_bpermute_b32 v2, v6, v2
	s_and_saveexec_b32 s0, s1
	s_cbranch_execz .LBB154_36
; %bb.34:
	s_wait_dscnt 0x0
	v_add_f32_e32 v6, 0x358637bd, v2
	s_mov_b32 s1, 0
	s_delay_alu instid0(VALU_DEP_1) | instskip(SKIP_1) | instid1(VALU_DEP_2)
	v_div_scale_f32 v7, null, v6, v6, 1.0
	v_div_scale_f32 v10, vcc_lo, 1.0, v6, 1.0
	v_rcp_f32_e32 v8, v7
	s_delay_alu instid0(TRANS32_DEP_1) | instskip(NEXT) | instid1(VALU_DEP_1)
	v_fma_f32 v9, -v7, v8, 1.0
	v_fmac_f32_e32 v8, v9, v8
	s_delay_alu instid0(VALU_DEP_1) | instskip(NEXT) | instid1(VALU_DEP_1)
	v_mul_f32_e32 v9, v10, v8
	v_fma_f32 v11, -v7, v9, v10
	s_delay_alu instid0(VALU_DEP_1) | instskip(NEXT) | instid1(VALU_DEP_1)
	v_fmac_f32_e32 v9, v11, v8
	v_fma_f32 v7, -v7, v9, v10
	s_wait_alu 0xfffd
	s_delay_alu instid0(VALU_DEP_1) | instskip(NEXT) | instid1(VALU_DEP_1)
	v_div_fmas_f32 v7, v7, v8, v9
	v_div_fixup_f32 v6, v7, v6, 1.0
	v_mov_b32_e32 v7, v0
.LBB154_35:                             ; =>This Inner Loop Header: Depth=1
	ds_load_b32 v8, v5
	s_wait_dscnt 0x0
	v_dual_mul_f32 v8, v6, v8 :: v_dual_add_nc_u32 v7, 0x80, v7
	s_delay_alu instid0(VALU_DEP_1)
	v_cmp_le_i32_e32 vcc_lo, s27, v7
	ds_store_b32 v5, v8
	v_add_nc_u32_e32 v5, 0x200, v5
	s_wait_alu 0xfffe
	s_or_b32 s1, vcc_lo, s1
	s_wait_alu 0xfffe
	s_and_not1_b32 exec_lo, exec_lo, s1
	s_cbranch_execnz .LBB154_35
.LBB154_36:
	s_wait_alu 0xfffe
	s_or_b32 exec_lo, exec_lo, s0
	s_mul_i32 s0, s8, s20
	s_wait_loadcnt_dscnt 0x0
	s_wait_alu 0xfffe
	s_mul_i32 s20, s0, s21
	s_mov_b32 s0, exec_lo
	s_barrier_signal -1
	s_barrier_wait -1
	global_inv scope:SCOPE_SE
	v_cmpx_eq_u32_e32 0, v0
	s_cbranch_execz .LBB154_38
; %bb.37:
	s_ashr_i32 s21, s20, 31
	s_wait_alu 0xfffe
	s_mul_i32 s36, s8, ttmp9
	s_lshl_b32 s1, s30, 2
	s_lshl_b64 s[38:39], s[20:21], 2
	s_wait_alu 0xfffe
	s_ashr_i32 s37, s36, 31
	v_mov_b32_e32 v5, s1
	s_wait_kmcnt 0x0
	s_add_nc_u64 s[6:7], s[6:7], s[38:39]
	s_wait_alu 0xfffe
	s_lshl_b64 s[36:37], s[36:37], 2
	s_add_nc_u64 s[4:5], s[4:5], s[38:39]
	s_wait_alu 0xfffe
	s_add_nc_u64 s[6:7], s[6:7], s[36:37]
	s_add_nc_u64 s[4:5], s[4:5], s[36:37]
	s_clause 0x1
	global_store_b32 v5, v1, s[6:7]
	global_store_b32 v5, v2, s[4:5]
.LBB154_38:
	s_wait_alu 0xfffe
	s_or_b32 exec_lo, exec_lo, s0
	v_dual_mov_b32 v38, 0 :: v_dual_mov_b32 v37, 0
	v_mov_b32_e32 v36, 0
	v_mov_b32_e32 v34, 0
	s_and_saveexec_b32 s1, s2
	s_cbranch_execz .LBB154_52
; %bb.39:
	s_abs_i32 s2, s10
	v_dual_mov_b32 v37, 0 :: v_dual_lshlrev_b32 v2, 4, v0
	s_wait_alu 0xfffe
	s_cvt_f32_u32 s0, s2
	s_ashr_i32 s27, s26, 31
	s_lshl_b64 s[24:25], s[24:25], 2
	v_and_b32_e32 v2, 0x1f0, v2
	s_wait_alu 0xfffe
	v_rcp_iflag_f32_e32 v1, s0
	s_lshl_b64 s[26:27], s[26:27], 1
	s_add_nc_u64 s[22:23], s[22:23], s[24:25]
	s_wait_kmcnt 0x0
	s_wait_alu 0xfffe
	s_add_nc_u64 s[24:25], s[28:29], s[26:27]
	s_sub_co_i32 s3, s35, s9
	v_add_co_u32 v39, s9, s24, v2
	s_sub_co_i32 s7, 0, s2
	v_add_co_ci_u32_e64 v40, null, s25, 0, s9
	v_readfirstlane_b32 s0, v1
	v_dual_mov_b32 v36, 0 :: v_dual_lshlrev_b32 v1, 5, v28
	v_add_co_u32 v25, s9, s22, v4
	s_mul_f32 s0, s0, 0x4f7ffffe
	v_lshl_or_b32 v1, v29, 6, v1
	v_dual_mov_b32 v34, 0 :: v_dual_and_b32 v35, 8, v3
	s_wait_alu 0xfffe
	s_cvt_u32_f32 s0, s0
	v_add_co_ci_u32_e64 v26, null, s23, 0, s9
	v_dual_mov_b32 v38, 0 :: v_dual_add_nc_u32 v41, 0xa0, v1
	s_wait_alu 0xfffe
	s_mul_i32 s7, s7, s0
	s_mov_b32 s4, s13
	s_wait_alu 0xfffe
	s_mul_hi_u32 s9, s0, s7
	s_add_co_i32 s5, s34, -1
	s_mov_b32 s6, 0
	s_mov_b32 s7, s31
	s_wait_alu 0xfffe
	s_add_co_i32 s9, s0, s9
	s_branch .LBB154_42
.LBB154_40:                             ;   in Loop: Header=BB154_42 Depth=1
	s_wait_alu 0xfffe
	s_or_b32 exec_lo, exec_lo, s0
	s_wait_dscnt 0x1
	v_bfe_u32 v42, v17, 16, 1
	v_bfe_u32 v43, v18, 16, 1
	v_or_b32_e32 v44, 0x400000, v17
	v_cmp_u_f32_e32 vcc_lo, v17, v17
	v_or_b32_e32 v45, 0x400000, v18
	v_add3_u32 v42, v42, v17, 0x7fff
	v_bfe_u32 v46, v19, 16, 1
	v_add3_u32 v43, v43, v18, 0x7fff
	v_bfe_u32 v47, v20, 16, 1
	s_wait_alu 0xfffd
	v_cndmask_b32_e32 v17, v42, v44, vcc_lo
	v_cmp_u_f32_e32 vcc_lo, v18, v18
	v_add3_u32 v42, v46, v19, 0x7fff
	v_add3_u32 v44, v47, v20, 0x7fff
	s_wait_dscnt 0x0
	v_bfe_u32 v46, v13, 16, 1
	s_wait_alu 0xfffd
	v_cndmask_b32_e32 v18, v43, v45, vcc_lo
	v_or_b32_e32 v43, 0x400000, v19
	v_cmp_u_f32_e32 vcc_lo, v19, v19
	v_or_b32_e32 v45, 0x400000, v20
	s_wait_alu 0xfffd
	s_delay_alu instid0(VALU_DEP_3)
	v_cndmask_b32_e32 v19, v42, v43, vcc_lo
	v_cmp_u_f32_e32 vcc_lo, v20, v20
	v_bfe_u32 v42, v14, 16, 1
	v_add3_u32 v43, v46, v13, 0x7fff
	v_bfe_u32 v46, v15, 16, 1
	s_wait_alu 0xfffd
	v_cndmask_b32_e32 v20, v44, v45, vcc_lo
	v_or_b32_e32 v44, 0x400000, v13
	v_cmp_u_f32_e32 vcc_lo, v13, v13
	v_add3_u32 v42, v42, v14, 0x7fff
	v_or_b32_e32 v45, 0x400000, v14
	v_and_b32_e32 v20, 0xffff0000, v20
	s_wait_alu 0xfffd
	v_cndmask_b32_e32 v13, v43, v44, vcc_lo
	v_cmp_u_f32_e32 vcc_lo, v14, v14
	v_bfe_u32 v43, v16, 16, 1
	s_wait_loadcnt 0x1
	v_and_b32_e32 v44, 0xffff0000, v21
	v_and_b32_e32 v17, 0xffff0000, v17
	s_wait_alu 0xfffd
	v_cndmask_b32_e32 v14, v42, v45, vcc_lo
	v_add3_u32 v42, v46, v15, 0x7fff
	v_or_b32_e32 v45, 0x400000, v15
	v_cmp_u_f32_e32 vcc_lo, v15, v15
	v_add3_u32 v43, v43, v16, 0x7fff
	v_or_b32_e32 v46, 0x400000, v16
	v_and_b32_e32 v13, 0xffff0000, v13
	s_wait_alu 0xfffd
	v_cndmask_b32_e32 v15, v42, v45, vcc_lo
	v_cmp_u_f32_e32 vcc_lo, v16, v16
	s_wait_alu 0xfffd
	v_dual_cndmask_b32 v16, v43, v46 :: v_dual_lshlrev_b32 v21, 16, v21
	s_delay_alu instid0(VALU_DEP_1) | instskip(NEXT) | instid1(VALU_DEP_1)
	v_dual_mul_f32 v21, v17, v21 :: v_dual_and_b32 v18, 0xffff0000, v18
	v_mul_f32_e32 v44, v18, v44
	s_delay_alu instid0(VALU_DEP_2) | instskip(SKIP_1) | instid1(VALU_DEP_3)
	v_bfe_u32 v43, v21, 16, 1
	v_or_b32_e32 v47, 0x400000, v21
	v_bfe_u32 v42, v44, 16, 1
	v_or_b32_e32 v46, 0x400000, v44
	v_cmp_u_f32_e32 vcc_lo, v44, v44
	v_add3_u32 v43, v43, v21, 0x7fff
	s_delay_alu instid0(VALU_DEP_4)
	v_add3_u32 v42, v42, v44, 0x7fff
	v_and_b32_e32 v44, 0xffff0000, v23
	v_lshlrev_b32_e32 v23, 16, v23
	v_and_b32_e32 v14, 0xffff0000, v14
	v_and_b32_e32 v45, 0xffff0000, v22
	s_wait_alu 0xfffd
	v_dual_cndmask_b32 v42, v42, v46 :: v_dual_and_b32 v19, 0xffff0000, v19
	v_lshlrev_b32_e32 v22, 16, v22
	v_cmp_u_f32_e32 vcc_lo, v21, v21
	v_dual_mul_f32 v44, v14, v44 :: v_dual_mul_f32 v45, v20, v45
	s_delay_alu instid0(VALU_DEP_3) | instskip(SKIP_2) | instid1(VALU_DEP_3)
	v_mul_f32_e32 v22, v19, v22
	s_wait_alu 0xfffd
	v_cndmask_b32_e32 v21, v43, v47, vcc_lo
	v_bfe_u32 v43, v45, 16, 1
	v_or_b32_e32 v46, 0x400000, v45
	v_bfe_u32 v47, v22, 16, 1
	v_cmp_u_f32_e32 vcc_lo, v45, v45
	s_delay_alu instid0(VALU_DEP_4) | instskip(NEXT) | instid1(VALU_DEP_3)
	v_add3_u32 v43, v43, v45, 0x7fff
	v_add3_u32 v45, v47, v22, 0x7fff
	v_bfe_u32 v47, v44, 16, 1
	s_wait_alu 0xfffd
	s_delay_alu instid0(VALU_DEP_3) | instskip(SKIP_3) | instid1(VALU_DEP_2)
	v_cndmask_b32_e32 v43, v43, v46, vcc_lo
	v_or_b32_e32 v46, 0x400000, v22
	v_cmp_u_f32_e32 vcc_lo, v22, v22
	s_wait_alu 0xfffd
	v_dual_cndmask_b32 v22, v45, v46 :: v_dual_and_b32 v43, 0xffff0000, v43
	v_mul_f32_e32 v23, v13, v23
	v_add3_u32 v45, v47, v44, 0x7fff
	v_or_b32_e32 v46, 0x400000, v44
	v_cmp_u_f32_e32 vcc_lo, v44, v44
	v_and_b32_e32 v49, 0xffff0000, v24
	v_bfe_u32 v48, v23, 16, 1
	v_and_b32_e32 v22, 0xffff0000, v22
	s_wait_alu 0xfffd
	v_dual_cndmask_b32 v44, v45, v46 :: v_dual_and_b32 v21, 0xffff0000, v21
	v_cmp_u_f32_e32 vcc_lo, v23, v23
	v_add3_u32 v48, v48, v23, 0x7fff
	v_and_b32_e32 v16, 0xffff0000, v16
	v_add_f32_e32 v22, v22, v43
	v_and_b32_e32 v42, 0xffff0000, v42
	s_delay_alu instid0(VALU_DEP_3) | instskip(SKIP_1) | instid1(VALU_DEP_3)
	v_dual_mul_f32 v47, v16, v49 :: v_dual_lshlrev_b32 v24, 16, v24
	v_or_b32_e32 v49, 0x400000, v23
	v_dual_add_f32 v21, v21, v42 :: v_dual_and_b32 v42, 0xffff0000, v44
	s_delay_alu instid0(VALU_DEP_3) | instskip(SKIP_1) | instid1(VALU_DEP_3)
	v_bfe_u32 v50, v47, 16, 1
	s_wait_alu 0xfffd
	v_cndmask_b32_e32 v23, v48, v49, vcc_lo
	v_or_b32_e32 v46, 0x400000, v47
	v_cmp_u_f32_e32 vcc_lo, v47, v47
	v_add_f32_e32 v21, v22, v21
	v_add3_u32 v45, v50, v47, 0x7fff
	v_and_b32_e32 v23, 0xffff0000, v23
	v_and_b32_e32 v15, 0xffff0000, v15
	s_wait_alu 0xfffd
	s_delay_alu instid0(VALU_DEP_3) | instskip(NEXT) | instid1(VALU_DEP_3)
	v_cndmask_b32_e32 v45, v45, v46, vcc_lo
	v_add_f32_e32 v22, v23, v42
	s_delay_alu instid0(VALU_DEP_1) | instskip(NEXT) | instid1(VALU_DEP_1)
	v_dual_mul_f32 v24, v15, v24 :: v_dual_add_f32 v21, v22, v21
	v_bfe_u32 v48, v24, 16, 1
	v_or_b32_e32 v47, 0x400000, v24
	v_cmp_u_f32_e32 vcc_lo, v24, v24
	s_delay_alu instid0(VALU_DEP_3) | instskip(SKIP_1) | instid1(VALU_DEP_1)
	v_add3_u32 v46, v48, v24, 0x7fff
	s_wait_alu 0xfffd
	v_dual_cndmask_b32 v24, v46, v47 :: v_dual_and_b32 v43, 0xffff0000, v9
	s_delay_alu instid0(VALU_DEP_1)
	v_mul_f32_e32 v23, v18, v43
	v_and_b32_e32 v43, 0xffff0000, v10
	v_lshlrev_b32_e32 v9, 16, v9
	v_lshlrev_b32_e32 v10, 16, v10
	v_and_b32_e32 v24, 0xffff0000, v24
	v_cmp_u_f32_e32 vcc_lo, v23, v23
	v_and_b32_e32 v42, 0xffff0000, v45
	v_bfe_u32 v44, v23, 16, 1
	v_mul_f32_e32 v10, v19, v10
	s_delay_alu instid0(VALU_DEP_3) | instskip(SKIP_1) | instid1(VALU_DEP_4)
	v_add_f32_e32 v24, v24, v42
	v_dual_mul_f32 v42, v20, v43 :: v_dual_mul_f32 v9, v17, v9
	v_add3_u32 v43, v44, v23, 0x7fff
	v_or_b32_e32 v44, 0x400000, v23
	s_delay_alu instid0(VALU_DEP_3) | instskip(NEXT) | instid1(VALU_DEP_4)
	v_bfe_u32 v46, v42, 16, 1
	v_bfe_u32 v22, v9, 16, 1
	v_or_b32_e32 v45, 0x400000, v9
	s_wait_alu 0xfffd
	v_cndmask_b32_e32 v23, v43, v44, vcc_lo
	v_cmp_u_f32_e32 vcc_lo, v9, v9
	v_and_b32_e32 v44, 0xffff0000, v11
	v_add3_u32 v22, v22, v9, 0x7fff
	v_or_b32_e32 v43, 0x400000, v42
	s_wait_alu 0xfffd
	s_delay_alu instid0(VALU_DEP_2)
	v_cndmask_b32_e32 v9, v22, v45, vcc_lo
	v_add3_u32 v22, v46, v42, 0x7fff
	v_bfe_u32 v45, v10, 16, 1
	v_cmp_u_f32_e32 vcc_lo, v42, v42
	v_mul_f32_e32 v42, v14, v44
	v_or_b32_e32 v44, 0x400000, v10
	s_wait_alu 0xfffd
	v_cndmask_b32_e32 v22, v22, v43, vcc_lo
	v_add3_u32 v43, v45, v10, 0x7fff
	v_and_b32_e32 v45, 0xffff0000, v12
	v_bfe_u32 v46, v42, 16, 1
	v_cmp_u_f32_e32 vcc_lo, v10, v10
	v_lshlrev_b32_e32 v11, 16, v11
	v_lshlrev_b32_e32 v12, 16, v12
	v_and_b32_e32 v22, 0xffff0000, v22
	s_wait_alu 0xfffd
	v_dual_cndmask_b32 v10, v43, v44 :: v_dual_mul_f32 v43, v16, v45
	v_add3_u32 v44, v46, v42, 0x7fff
	v_or_b32_e32 v45, 0x400000, v42
	v_cmp_u_f32_e32 vcc_lo, v42, v42
	v_mul_f32_e32 v11, v13, v11
	v_bfe_u32 v48, v43, 16, 1
	v_mul_f32_e32 v12, v15, v12
	s_wait_alu 0xfffd
	v_cndmask_b32_e32 v42, v44, v45, vcc_lo
	v_bfe_u32 v47, v11, 16, 1
	v_cmp_u_f32_e32 vcc_lo, v11, v11
	v_add3_u32 v44, v48, v43, 0x7fff
	v_or_b32_e32 v45, 0x400000, v43
	s_delay_alu instid0(VALU_DEP_4) | instskip(SKIP_2) | instid1(VALU_DEP_1)
	v_add3_u32 v46, v47, v11, 0x7fff
	v_or_b32_e32 v47, 0x400000, v11
	s_wait_alu 0xfffd
	v_cndmask_b32_e32 v11, v46, v47, vcc_lo
	v_cmp_u_f32_e32 vcc_lo, v43, v43
	s_wait_alu 0xfffd
	v_dual_cndmask_b32 v43, v44, v45 :: v_dual_and_b32 v10, 0xffff0000, v10
	s_delay_alu instid0(VALU_DEP_1) | instskip(SKIP_4) | instid1(VALU_DEP_2)
	v_dual_add_f32 v10, v10, v22 :: v_dual_and_b32 v9, 0xffff0000, v9
	v_bfe_u32 v44, v12, 16, 1
	v_and_b32_e32 v22, 0xffff0000, v1
	v_and_b32_e32 v23, 0xffff0000, v23
	v_cmp_u_f32_e32 vcc_lo, v12, v12
	v_add_f32_e32 v9, v9, v23
	v_and_b32_e32 v23, 0xffff0000, v42
	v_add3_u32 v42, v44, v12, 0x7fff
	v_or_b32_e32 v44, 0x400000, v12
	s_wait_alu 0xfffd
	s_delay_alu instid0(VALU_DEP_1) | instskip(SKIP_1) | instid1(VALU_DEP_2)
	v_dual_cndmask_b32 v12, v42, v44 :: v_dual_and_b32 v11, 0xffff0000, v11
	v_add_f32_e32 v9, v10, v9
	v_dual_add_f32 v11, v11, v23 :: v_dual_mul_f32 v10, v18, v22
	v_and_b32_e32 v42, 0xffff0000, v43
	s_delay_alu instid0(VALU_DEP_2) | instskip(NEXT) | instid1(VALU_DEP_3)
	v_dual_add_f32 v9, v11, v9 :: v_dual_and_b32 v12, 0xffff0000, v12
	v_bfe_u32 v22, v10, 16, 1
	v_or_b32_e32 v23, 0x400000, v10
	v_cmp_u_f32_e32 vcc_lo, v10, v10
	v_and_b32_e32 v11, 0xffff0000, v2
	v_lshlrev_b32_e32 v2, 16, v2
	v_add3_u32 v22, v22, v10, 0x7fff
	v_lshlrev_b32_e32 v1, 16, v1
	s_delay_alu instid0(VALU_DEP_3) | instskip(SKIP_1) | instid1(VALU_DEP_2)
	v_dual_mul_f32 v11, v20, v11 :: v_dual_mul_f32 v2, v19, v2
	s_wait_alu 0xfffd
	v_dual_cndmask_b32 v10, v22, v23 :: v_dual_mul_f32 v1, v17, v1
	s_delay_alu instid0(VALU_DEP_2) | instskip(SKIP_1) | instid1(VALU_DEP_3)
	v_bfe_u32 v22, v11, 16, 1
	v_or_b32_e32 v45, 0x400000, v11
	v_and_b32_e32 v10, 0xffff0000, v10
	s_delay_alu instid0(VALU_DEP_4) | instskip(SKIP_3) | instid1(VALU_DEP_4)
	v_bfe_u32 v43, v1, 16, 1
	v_or_b32_e32 v44, 0x400000, v1
	v_cmp_u_f32_e32 vcc_lo, v1, v1
	v_add3_u32 v22, v22, v11, 0x7fff
	v_add3_u32 v23, v43, v1, 0x7fff
	v_and_b32_e32 v43, 0xffff0000, v3
	s_wait_alu 0xfffd
	s_delay_alu instid0(VALU_DEP_2)
	v_cndmask_b32_e32 v1, v23, v44, vcc_lo
	v_bfe_u32 v23, v2, 16, 1
	v_cmp_u_f32_e32 vcc_lo, v11, v11
	v_dual_mul_f32 v43, v14, v43 :: v_dual_and_b32 v44, 0xffff0000, v4
	v_lshlrev_b32_e32 v4, 16, v4
	v_lshlrev_b32_e32 v3, 16, v3
	s_wait_alu 0xfffd
	v_cndmask_b32_e32 v11, v22, v45, vcc_lo
	v_add3_u32 v23, v23, v2, 0x7fff
	v_or_b32_e32 v45, 0x400000, v2
	v_cmp_u_f32_e32 vcc_lo, v2, v2
	v_bfe_u32 v22, v43, 16, 1
	v_mul_f32_e32 v4, v15, v4
	v_mul_f32_e32 v44, v16, v44
	v_or_b32_e32 v46, 0x400000, v43
	s_wait_alu 0xfffd
	v_dual_cndmask_b32 v2, v23, v45 :: v_dual_mul_f32 v3, v13, v3
	v_add3_u32 v22, v22, v43, 0x7fff
	v_cmp_u_f32_e32 vcc_lo, v43, v43
	v_bfe_u32 v45, v44, 16, 1
	s_delay_alu instid0(VALU_DEP_4)
	v_and_b32_e32 v2, 0xffff0000, v2
	v_bfe_u32 v23, v3, 16, 1
	v_or_b32_e32 v43, 0x400000, v3
	s_wait_alu 0xfffd
	v_cndmask_b32_e32 v22, v22, v46, vcc_lo
	v_cmp_u_f32_e32 vcc_lo, v3, v3
	v_add3_u32 v45, v45, v44, 0x7fff
	v_add3_u32 v23, v23, v3, 0x7fff
	v_or_b32_e32 v46, 0x400000, v44
	v_and_b32_e32 v11, 0xffff0000, v11
	s_wait_alu 0xfffd
	s_delay_alu instid0(VALU_DEP_3)
	v_cndmask_b32_e32 v3, v23, v43, vcc_lo
	v_cmp_u_f32_e32 vcc_lo, v44, v44
	v_bfe_u32 v43, v4, 16, 1
	v_or_b32_e32 v44, 0x400000, v4
	s_wait_alu 0xfffd
	v_cndmask_b32_e32 v23, v45, v46, vcc_lo
	s_delay_alu instid0(VALU_DEP_3) | instskip(SKIP_2) | instid1(VALU_DEP_2)
	v_add3_u32 v43, v43, v4, 0x7fff
	v_cmp_u_f32_e32 vcc_lo, v4, v4
	s_wait_alu 0xfffd
	v_dual_cndmask_b32 v4, v43, v44 :: v_dual_and_b32 v1, 0xffff0000, v1
	s_delay_alu instid0(VALU_DEP_1) | instskip(SKIP_2) | instid1(VALU_DEP_1)
	v_add_f32_e32 v1, v1, v10
	v_and_b32_e32 v10, 0xffff0000, v22
	v_and_b32_e32 v3, 0xffff0000, v3
	v_dual_add_f32 v3, v3, v10 :: v_dual_and_b32 v4, 0xffff0000, v4
	s_wait_loadcnt 0x0
	v_lshlrev_b32_e32 v10, 16, v6
	v_and_b32_e32 v6, 0xffff0000, v6
	s_delay_alu instid0(VALU_DEP_2) | instskip(SKIP_2) | instid1(VALU_DEP_4)
	v_dual_mul_f32 v10, v19, v10 :: v_dual_lshlrev_b32 v45, 16, v5
	v_add_f32_e32 v2, v2, v11
	v_lshlrev_b32_e32 v19, 16, v7
	v_dual_mul_f32 v6, v20, v6 :: v_dual_and_b32 v7, 0xffff0000, v7
	s_delay_alu instid0(VALU_DEP_4) | instskip(NEXT) | instid1(VALU_DEP_4)
	v_mul_f32_e32 v11, v17, v45
	v_add_f32_e32 v1, v2, v1
	s_delay_alu instid0(VALU_DEP_3) | instskip(SKIP_1) | instid1(VALU_DEP_4)
	v_dual_mul_f32 v7, v14, v7 :: v_dual_lshlrev_b32 v14, 16, v8
	v_and_b32_e32 v5, 0xffff0000, v5
	v_bfe_u32 v2, v11, 16, 1
	v_and_b32_e32 v8, 0xffff0000, v8
	v_or_b32_e32 v17, 0x400000, v11
	s_delay_alu instid0(VALU_DEP_4) | instskip(NEXT) | instid1(VALU_DEP_4)
	v_dual_mul_f32 v14, v15, v14 :: v_dual_mul_f32 v5, v18, v5
	v_add3_u32 v2, v2, v11, 0x7fff
	v_cmp_u_f32_e32 vcc_lo, v11, v11
	v_mul_f32_e32 v8, v16, v8
	s_delay_alu instid0(VALU_DEP_4)
	v_bfe_u32 v18, v5, 16, 1
	s_wait_alu 0xfffd
	v_cndmask_b32_e32 v2, v2, v17, vcc_lo
	v_or_b32_e32 v17, 0x400000, v5
	v_cmp_u_f32_e32 vcc_lo, v5, v5
	v_add3_u32 v11, v18, v5, 0x7fff
	v_bfe_u32 v18, v10, 16, 1
	v_and_b32_e32 v2, 0xffff0000, v2
	v_or_b32_e32 v16, 0x400000, v7
	s_wait_alu 0xfffd
	v_cndmask_b32_e32 v5, v11, v17, vcc_lo
	v_add3_u32 v11, v18, v10, 0x7fff
	v_or_b32_e32 v17, 0x400000, v10
	v_bfe_u32 v18, v6, 16, 1
	v_cmp_u_f32_e32 vcc_lo, v10, v10
	v_and_b32_e32 v5, 0xffff0000, v5
	s_wait_alu 0xfffd
	v_cndmask_b32_e32 v10, v11, v17, vcc_lo
	v_add3_u32 v11, v18, v6, 0x7fff
	v_or_b32_e32 v17, 0x400000, v6
	v_cmp_u_f32_e32 vcc_lo, v6, v6
	v_mul_f32_e32 v13, v13, v19
	v_bfe_u32 v19, v8, 16, 1
	v_and_b32_e32 v10, 0xffff0000, v10
	v_add_f32_e32 v2, v2, v5
	s_wait_alu 0xfffd
	v_cndmask_b32_e32 v6, v11, v17, vcc_lo
	v_bfe_u32 v18, v13, 16, 1
	v_bfe_u32 v11, v7, 16, 1
	v_or_b32_e32 v15, 0x400000, v13
	v_cmp_u_f32_e32 vcc_lo, v13, v13
	v_and_b32_e32 v6, 0xffff0000, v6
	v_add3_u32 v17, v18, v13, 0x7fff
	v_add3_u32 v11, v11, v7, 0x7fff
	v_bfe_u32 v18, v14, 16, 1
	s_wait_alu 0xfffd
	s_delay_alu instid0(VALU_DEP_3)
	v_cndmask_b32_e32 v13, v17, v15, vcc_lo
	v_cmp_u_f32_e32 vcc_lo, v7, v7
	v_add3_u32 v15, v19, v8, 0x7fff
	v_or_b32_e32 v17, 0x400000, v14
	s_wait_alu 0xfffd
	v_cndmask_b32_e32 v7, v11, v16, vcc_lo
	v_or_b32_e32 v16, 0x400000, v8
	v_cmp_u_f32_e32 vcc_lo, v8, v8
	v_add3_u32 v11, v18, v14, 0x7fff
	s_delay_alu instid0(VALU_DEP_4)
	v_dual_add_f32 v5, v10, v6 :: v_dual_and_b32 v6, 0xffff0000, v7
	s_wait_alu 0xfffd
	v_cndmask_b32_e32 v8, v15, v16, vcc_lo
	v_cmp_u_f32_e32 vcc_lo, v14, v14
	s_wait_alu 0xfffd
	v_dual_cndmask_b32 v10, v11, v17 :: v_dual_and_b32 v11, 0xffff0000, v23
	v_dual_add_f32 v2, v5, v2 :: v_dual_and_b32 v7, 0xffff0000, v13
	s_delay_alu instid0(VALU_DEP_1) | instskip(SKIP_1) | instid1(VALU_DEP_4)
	v_dual_add_f32 v5, v7, v6 :: v_dual_and_b32 v6, 0xffff0000, v8
	v_dual_add_f32 v8, v12, v42 :: v_dual_add_f32 v1, v3, v1
	v_add_f32_e32 v3, v4, v11
	v_and_b32_e32 v7, 0xffff0000, v10
	s_delay_alu instid0(VALU_DEP_4) | instskip(NEXT) | instid1(VALU_DEP_2)
	v_dual_add_f32 v2, v5, v2 :: v_dual_add_f32 v5, v24, v21
	v_add_f32_e32 v4, v7, v6
	v_add_f32_e32 v6, v8, v9
	;; [unrolled: 1-line block ×3, first 2 shown]
	s_delay_alu instid0(VALU_DEP_4) | instskip(NEXT) | instid1(VALU_DEP_4)
	v_add_f32_e32 v36, v36, v5
	v_add_f32_e32 v2, v4, v2
	s_delay_alu instid0(VALU_DEP_3) | instskip(NEXT) | instid1(VALU_DEP_2)
	v_dual_add_f32 v37, v37, v6 :: v_dual_add_f32 v38, v38, v1
	v_add_f32_e32 v34, v34, v2
.LBB154_41:                             ;   in Loop: Header=BB154_42 Depth=1
	s_wait_alu 0xfffe
	s_or_b32 exec_lo, exec_lo, s10
	v_add_nc_u32_e32 v31, 4, v31
	v_add_co_u32 v25, s0, v25, 16
	s_wait_alu 0xf1ff
	v_add_co_ci_u32_e64 v26, null, 0, v26, s0
	s_delay_alu instid0(VALU_DEP_3)
	v_cmp_le_i32_e32 vcc_lo, s19, v31
	v_add_nc_u32_e32 v30, 64, v30
	v_add_nc_u32_e32 v41, 0x100, v41
	s_or_b32 s6, vcc_lo, s6
	s_wait_alu 0xfffe
	s_and_not1_b32 exec_lo, exec_lo, s6
	s_cbranch_execz .LBB154_51
.LBB154_42:                             ; =>This Inner Loop Header: Depth=1
	v_sub_nc_u32_e32 v1, 0, v30
	s_delay_alu instid0(VALU_DEP_1) | instskip(NEXT) | instid1(VALU_DEP_1)
	v_max_i32_e32 v1, v30, v1
	v_mul_hi_u32 v2, v1, s18
	s_delay_alu instid0(VALU_DEP_1) | instskip(NEXT) | instid1(VALU_DEP_1)
	v_mul_lo_u32 v3, v2, s12
	v_sub_nc_u32_e32 v1, v1, v3
	v_add_nc_u32_e32 v3, 1, v2
	s_delay_alu instid0(VALU_DEP_2) | instskip(SKIP_2) | instid1(VALU_DEP_2)
	v_subrev_nc_u32_e32 v4, s12, v1
	v_cmp_le_u32_e32 vcc_lo, s12, v1
	s_wait_alu 0xfffd
	v_dual_cndmask_b32 v2, v2, v3 :: v_dual_cndmask_b32 v1, v1, v4
	v_ashrrev_i32_e32 v3, 31, v30
	s_delay_alu instid0(VALU_DEP_2) | instskip(NEXT) | instid1(VALU_DEP_3)
	v_add_nc_u32_e32 v4, 1, v2
	v_cmp_le_u32_e32 vcc_lo, s12, v1
	s_delay_alu instid0(VALU_DEP_3) | instskip(SKIP_1) | instid1(VALU_DEP_3)
	v_xor_b32_e32 v3, s11, v3
	s_wait_alu 0xfffd
	v_cndmask_b32_e32 v1, v2, v4, vcc_lo
	s_delay_alu instid0(VALU_DEP_1) | instskip(NEXT) | instid1(VALU_DEP_1)
	v_xor_b32_e32 v1, v1, v3
	v_sub_nc_u32_e32 v1, v1, v3
	s_delay_alu instid0(VALU_DEP_1) | instskip(SKIP_1) | instid1(VALU_DEP_2)
	v_add_nc_u32_e32 v2, s17, v1
	v_cmp_lt_i32_e64 s0, s3, v1
	v_sub_nc_u32_e32 v3, 0, v2
	s_delay_alu instid0(VALU_DEP_1) | instskip(SKIP_1) | instid1(VALU_DEP_1)
	v_max_i32_e32 v3, v2, v3
	s_wait_alu 0xfffe
	v_mul_hi_u32 v4, v3, s9
	s_delay_alu instid0(VALU_DEP_1) | instskip(NEXT) | instid1(VALU_DEP_1)
	v_mul_lo_u32 v4, v4, s2
	v_sub_nc_u32_e32 v3, v3, v4
	s_delay_alu instid0(VALU_DEP_1) | instskip(SKIP_2) | instid1(VALU_DEP_2)
	v_subrev_nc_u32_e32 v4, s2, v3
	v_cmp_le_u32_e32 vcc_lo, s2, v3
	s_wait_alu 0xfffd
	v_cndmask_b32_e32 v3, v3, v4, vcc_lo
	v_ashrrev_i32_e32 v2, 31, v2
	s_delay_alu instid0(VALU_DEP_2) | instskip(SKIP_2) | instid1(VALU_DEP_2)
	v_subrev_nc_u32_e32 v4, s2, v3
	v_cmp_le_u32_e32 vcc_lo, s2, v3
	s_wait_alu 0xfffd
	v_cndmask_b32_e32 v3, v3, v4, vcc_lo
	s_delay_alu instid0(VALU_DEP_1) | instskip(NEXT) | instid1(VALU_DEP_1)
	v_xor_b32_e32 v3, v3, v2
	v_sub_nc_u32_e32 v2, v3, v2
	s_delay_alu instid0(VALU_DEP_1)
	v_cmp_eq_u32_e32 vcc_lo, 0, v2
	s_or_b32 s0, vcc_lo, s0
	s_wait_alu 0xfffe
	s_and_saveexec_b32 s10, s0
	s_cbranch_execz .LBB154_41
; %bb.43:                               ;   in Loop: Header=BB154_42 Depth=1
	global_load_b32 v1, v[25:26], off
	v_add_nc_u32_e32 v49, v35, v30
	s_delay_alu instid0(VALU_DEP_1)
	v_add_nc_u32_e32 v47, 1, v49
	v_or_b32_e32 v46, 3, v49
	v_or_b32_e32 v48, 2, v49
	;; [unrolled: 1-line block ×6, first 2 shown]
	s_wait_loadcnt 0x0
	v_mad_co_i64_i32 v[1:2], null, v1, s4, 0
	s_delay_alu instid0(VALU_DEP_1) | instskip(NEXT) | instid1(VALU_DEP_1)
	v_lshlrev_b64_e32 v[1:2], 1, v[1:2]
	v_add_co_u32 v5, vcc_lo, v39, v1
	s_wait_alu 0xfffd
	s_delay_alu instid0(VALU_DEP_2)
	v_add_co_ci_u32_e64 v6, null, v40, v2, vcc_lo
	v_cmp_eq_u32_e32 vcc_lo, s5, v31
	global_load_b128 v[1:4], v[5:6], off
	ds_load_2addr_b64 v[17:20], v41 offset1:1
	ds_load_2addr_b64 v[13:16], v41 offset0:2 offset1:3
	s_and_saveexec_b32 s13, vcc_lo
	s_cbranch_execnz .LBB154_47
; %bb.44:                               ;   in Loop: Header=BB154_42 Depth=1
	s_wait_alu 0xfffe
	s_or_b32 exec_lo, exec_lo, s13
	global_load_b128 v[9:12], v[5:6], off offset:512
	s_and_saveexec_b32 s13, vcc_lo
	s_cbranch_execnz .LBB154_48
.LBB154_45:                             ;   in Loop: Header=BB154_42 Depth=1
	s_wait_alu 0xfffe
	s_or_b32 exec_lo, exec_lo, s13
	global_load_b128 v[21:24], v[5:6], off offset:1024
	s_and_saveexec_b32 s13, vcc_lo
	s_cbranch_execnz .LBB154_49
.LBB154_46:                             ;   in Loop: Header=BB154_42 Depth=1
	s_wait_alu 0xfffe
	s_or_b32 exec_lo, exec_lo, s13
	global_load_b128 v[5:8], v[5:6], off offset:1536
	s_and_saveexec_b32 s0, vcc_lo
	s_cbranch_execz .LBB154_40
	s_branch .LBB154_50
.LBB154_47:                             ;   in Loop: Header=BB154_42 Depth=1
	v_cmp_gt_i32_e64 s0, s31, v49
	s_wait_loadcnt 0x0
	v_lshrrev_b32_e32 v7, 16, v1
	v_lshrrev_b32_e32 v8, 16, v2
	;; [unrolled: 1-line block ×4, first 2 shown]
	s_wait_alu 0xf1ff
	v_cndmask_b32_e64 v1, 0, v1, s0
	v_cmp_gt_i32_e64 s0, s7, v47
	s_wait_alu 0xf1ff
	s_delay_alu instid0(VALU_DEP_1) | instskip(SKIP_1) | instid1(VALU_DEP_2)
	v_cndmask_b32_e64 v7, 0, v7, s0
	v_cmp_gt_i32_e64 s0, s31, v48
	v_perm_b32 v1, v7, v1, 0x5040100
	s_wait_alu 0xf1ff
	s_delay_alu instid0(VALU_DEP_2) | instskip(SKIP_2) | instid1(VALU_DEP_1)
	v_cndmask_b32_e64 v2, 0, v2, s0
	v_cmp_gt_i32_e64 s0, s7, v46
	s_wait_alu 0xf1ff
	v_cndmask_b32_e64 v8, 0, v8, s0
	v_cmp_gt_i32_e64 s0, s31, v45
	s_delay_alu instid0(VALU_DEP_2) | instskip(SKIP_1) | instid1(VALU_DEP_2)
	v_perm_b32 v2, v8, v2, 0x5040100
	s_wait_alu 0xf1ff
	v_cndmask_b32_e64 v3, 0, v3, s0
	v_cmp_gt_i32_e64 s0, s7, v43
	s_wait_alu 0xf1ff
	s_delay_alu instid0(VALU_DEP_1) | instskip(SKIP_1) | instid1(VALU_DEP_2)
	v_cndmask_b32_e64 v9, 0, v9, s0
	v_cmp_gt_i32_e64 s0, s31, v44
	v_perm_b32 v3, v9, v3, 0x5040100
	s_wait_alu 0xf1ff
	s_delay_alu instid0(VALU_DEP_2) | instskip(SKIP_2) | instid1(VALU_DEP_1)
	v_cndmask_b32_e64 v4, 0, v4, s0
	v_cmp_gt_i32_e64 s0, s7, v42
	s_wait_alu 0xf1ff
	v_cndmask_b32_e64 v10, 0, v10, s0
	s_delay_alu instid0(VALU_DEP_1)
	v_perm_b32 v4, v10, v4, 0x5040100
	s_wait_alu 0xfffe
	s_or_b32 exec_lo, exec_lo, s13
	global_load_b128 v[9:12], v[5:6], off offset:512
	s_and_saveexec_b32 s13, vcc_lo
	s_cbranch_execz .LBB154_45
.LBB154_48:                             ;   in Loop: Header=BB154_42 Depth=1
	v_cmp_gt_i32_e64 s0, s31, v49
	s_wait_loadcnt 0x0
	v_lshrrev_b32_e32 v7, 16, v9
	v_lshrrev_b32_e32 v22, 16, v12
	s_wait_alu 0xf1ff
	v_cndmask_b32_e64 v8, 0, v9, s0
	v_cmp_gt_i32_e64 s0, s7, v47
	v_lshrrev_b32_e32 v9, 16, v10
	s_wait_alu 0xf1ff
	s_delay_alu instid0(VALU_DEP_2) | instskip(SKIP_2) | instid1(VALU_DEP_1)
	v_cndmask_b32_e64 v7, 0, v7, s0
	v_cmp_gt_i32_e64 s0, s31, v48
	s_wait_alu 0xf1ff
	v_cndmask_b32_e64 v10, 0, v10, s0
	v_cmp_gt_i32_e64 s0, s7, v46
	s_wait_alu 0xf1ff
	s_delay_alu instid0(VALU_DEP_1) | instskip(SKIP_2) | instid1(VALU_DEP_3)
	v_cndmask_b32_e64 v21, 0, v9, s0
	v_cmp_gt_i32_e64 s0, s31, v45
	v_lshrrev_b32_e32 v9, 16, v11
	v_perm_b32 v10, v21, v10, 0x5040100
	s_wait_alu 0xf1ff
	s_delay_alu instid0(VALU_DEP_3) | instskip(SKIP_2) | instid1(VALU_DEP_1)
	v_cndmask_b32_e64 v11, 0, v11, s0
	v_cmp_gt_i32_e64 s0, s7, v43
	s_wait_alu 0xf1ff
	v_cndmask_b32_e64 v23, 0, v9, s0
	v_cmp_gt_i32_e64 s0, s31, v44
	v_perm_b32 v9, v7, v8, 0x5040100
	s_delay_alu instid0(VALU_DEP_3) | instskip(SKIP_1) | instid1(VALU_DEP_3)
	v_perm_b32 v11, v23, v11, 0x5040100
	s_wait_alu 0xf1ff
	v_cndmask_b32_e64 v12, 0, v12, s0
	v_cmp_gt_i32_e64 s0, s7, v42
	s_wait_alu 0xf1ff
	s_delay_alu instid0(VALU_DEP_1) | instskip(NEXT) | instid1(VALU_DEP_1)
	v_cndmask_b32_e64 v22, 0, v22, s0
	v_perm_b32 v12, v22, v12, 0x5040100
	s_wait_alu 0xfffe
	s_or_b32 exec_lo, exec_lo, s13
	global_load_b128 v[21:24], v[5:6], off offset:1024
	s_and_saveexec_b32 s13, vcc_lo
	s_cbranch_execz .LBB154_46
.LBB154_49:                             ;   in Loop: Header=BB154_42 Depth=1
	v_cmp_gt_i32_e64 s0, s31, v49
	s_wait_loadcnt 0x0
	v_lshrrev_b32_e32 v7, 16, v21
	v_lshrrev_b32_e32 v51, 16, v24
	s_wait_alu 0xf1ff
	v_cndmask_b32_e64 v8, 0, v21, s0
	v_cmp_gt_i32_e64 s0, s7, v47
	v_lshrrev_b32_e32 v21, 16, v22
	s_wait_alu 0xf1ff
	s_delay_alu instid0(VALU_DEP_2) | instskip(SKIP_2) | instid1(VALU_DEP_1)
	v_cndmask_b32_e64 v7, 0, v7, s0
	v_cmp_gt_i32_e64 s0, s31, v48
	s_wait_alu 0xf1ff
	v_cndmask_b32_e64 v22, 0, v22, s0
	v_cmp_gt_i32_e64 s0, s7, v46
	s_wait_alu 0xf1ff
	s_delay_alu instid0(VALU_DEP_1) | instskip(SKIP_2) | instid1(VALU_DEP_3)
	v_cndmask_b32_e64 v50, 0, v21, s0
	v_cmp_gt_i32_e64 s0, s31, v45
	v_lshrrev_b32_e32 v21, 16, v23
	v_perm_b32 v22, v50, v22, 0x5040100
	s_wait_alu 0xf1ff
	s_delay_alu instid0(VALU_DEP_3) | instskip(SKIP_2) | instid1(VALU_DEP_1)
	v_cndmask_b32_e64 v23, 0, v23, s0
	v_cmp_gt_i32_e64 s0, s7, v43
	s_wait_alu 0xf1ff
	v_cndmask_b32_e64 v52, 0, v21, s0
	v_cmp_gt_i32_e64 s0, s31, v44
	v_perm_b32 v21, v7, v8, 0x5040100
	s_delay_alu instid0(VALU_DEP_3) | instskip(SKIP_1) | instid1(VALU_DEP_3)
	v_perm_b32 v23, v52, v23, 0x5040100
	s_wait_alu 0xf1ff
	v_cndmask_b32_e64 v24, 0, v24, s0
	v_cmp_gt_i32_e64 s0, s7, v42
	s_wait_alu 0xf1ff
	s_delay_alu instid0(VALU_DEP_1) | instskip(NEXT) | instid1(VALU_DEP_1)
	v_cndmask_b32_e64 v51, 0, v51, s0
	v_perm_b32 v24, v51, v24, 0x5040100
	s_wait_alu 0xfffe
	s_or_b32 exec_lo, exec_lo, s13
	global_load_b128 v[5:8], v[5:6], off offset:1536
	s_and_saveexec_b32 s0, vcc_lo
	s_cbranch_execz .LBB154_40
.LBB154_50:                             ;   in Loop: Header=BB154_42 Depth=1
	v_cmp_gt_i32_e32 vcc_lo, s31, v49
	s_wait_loadcnt 0x0
	v_lshrrev_b32_e32 v50, 16, v5
	v_lshrrev_b32_e32 v49, 16, v6
	s_wait_alu 0xfffd
	v_cndmask_b32_e32 v5, 0, v5, vcc_lo
	v_cmp_gt_i32_e32 vcc_lo, s7, v47
	s_wait_alu 0xfffd
	v_cndmask_b32_e32 v47, 0, v50, vcc_lo
	v_cmp_gt_i32_e32 vcc_lo, s31, v48
	v_lshrrev_b32_e32 v48, 16, v7
	s_wait_alu 0xfffd
	v_cndmask_b32_e32 v6, 0, v6, vcc_lo
	v_cmp_gt_i32_e32 vcc_lo, s7, v46
	s_wait_alu 0xfffd
	v_cndmask_b32_e32 v46, 0, v49, vcc_lo
	v_cmp_gt_i32_e32 vcc_lo, s31, v45
	v_lshrrev_b32_e32 v45, 16, v8
	v_perm_b32 v5, v47, v5, 0x5040100
	s_delay_alu instid0(VALU_DEP_4)
	v_perm_b32 v6, v46, v6, 0x5040100
	s_wait_alu 0xfffd
	v_cndmask_b32_e32 v7, 0, v7, vcc_lo
	v_cmp_gt_i32_e32 vcc_lo, s7, v43
	s_wait_alu 0xfffd
	v_cndmask_b32_e32 v43, 0, v48, vcc_lo
	v_cmp_gt_i32_e32 vcc_lo, s31, v44
	;; [unrolled: 3-line block ×3, first 2 shown]
	s_wait_alu 0xfffd
	v_cndmask_b32_e32 v42, 0, v45, vcc_lo
	v_perm_b32 v7, v43, v7, 0x5040100
	s_delay_alu instid0(VALU_DEP_2)
	v_perm_b32 v8, v42, v8, 0x5040100
	s_branch .LBB154_40
.LBB154_51:
	s_or_b32 exec_lo, exec_lo, s6
.LBB154_52:
	s_wait_alu 0xfffe
	s_or_b32 exec_lo, exec_lo, s1
	ds_bpermute_b32 v1, v33, v38
	ds_bpermute_b32 v2, v33, v37
	;; [unrolled: 1-line block ×4, first 2 shown]
	v_lshrrev_b32_e32 v5, 1, v32
	v_lshlrev_b32_e32 v7, 8, v29
	v_and_b32_e32 v10, 0x3c1, v0
	s_mov_b32 s0, exec_lo
	s_wait_storecnt 0x0
	s_wait_loadcnt_dscnt 0x0
	v_lshl_add_u32 v6, v5, 2, 0xa0
	s_barrier_signal -1
	s_barrier_wait -1
	global_inv scope:SCOPE_SE
	v_dual_add_f32 v4, v38, v1 :: v_dual_add_f32 v3, v37, v2
	v_dual_add_f32 v2, v36, v8 :: v_dual_add_f32 v1, v34, v9
	v_cmpx_eq_u32_e32 64, v10
	s_cbranch_execz .LBB154_54
; %bb.53:
	v_add_nc_u32_e32 v8, v6, v7
	s_delay_alu instid0(VALU_DEP_1)
	v_add_nc_u32_e32 v9, 0xfffffe00, v8
	v_add_nc_u32_e32 v10, 0xfffffe40, v8
	;; [unrolled: 1-line block ×4, first 2 shown]
	ds_store_b32 v9, v4
	ds_store_b32 v10, v3
	;; [unrolled: 1-line block ×4, first 2 shown]
.LBB154_54:
	s_wait_alu 0xfffe
	s_or_b32 exec_lo, exec_lo, s0
	v_lshlrev_b32_e32 v5, 2, v5
	s_mov_b32 s1, exec_lo
	v_cmp_eq_u32_e32 vcc_lo, 0, v28
	s_wait_loadcnt_dscnt 0x0
	s_barrier_signal -1
	v_add3_u32 v5, 0xa0, v7, v5
	s_barrier_wait -1
	global_inv scope:SCOPE_SE
	v_cmpx_gt_u32_e32 64, v0
	s_cbranch_execz .LBB154_61
; %bb.55:
	s_and_saveexec_b32 s0, vcc_lo
	s_cbranch_execnz .LBB154_73
; %bb.56:
	s_wait_alu 0xfffe
	s_or_b32 exec_lo, exec_lo, s0
	s_and_saveexec_b32 s0, vcc_lo
	s_cbranch_execnz .LBB154_74
.LBB154_57:
	s_wait_alu 0xfffe
	s_or_b32 exec_lo, exec_lo, s0
	s_and_saveexec_b32 s0, vcc_lo
	s_cbranch_execnz .LBB154_75
.LBB154_58:
	s_wait_alu 0xfffe
	s_or_b32 exec_lo, exec_lo, s0
	s_and_saveexec_b32 s0, vcc_lo
	s_cbranch_execz .LBB154_60
.LBB154_59:
	ds_load_b32 v7, v5 offset:192
	s_wait_dscnt 0x0
	v_add_f32_e32 v1, v1, v7
.LBB154_60:
	s_wait_alu 0xfffe
	s_or_b32 exec_lo, exec_lo, s0
.LBB154_61:
	s_wait_alu 0xfffe
	s_or_b32 exec_lo, exec_lo, s1
	v_and_b32_e32 v7, 0x3e1, v0
	s_mov_b32 s1, exec_lo
	s_wait_loadcnt 0x0
	s_barrier_signal -1
	s_barrier_wait -1
	global_inv scope:SCOPE_SE
	v_cmpx_eq_u32_e32 32, v7
	s_cbranch_execz .LBB154_63
; %bb.62:
	ds_store_2addr_b32 v6, v4, v3 offset1:16
	ds_store_2addr_b32 v6, v2, v1 offset0:32 offset1:48
.LBB154_63:
	s_wait_alu 0xfffe
	s_or_b32 exec_lo, exec_lo, s1
	s_delay_alu instid0(SALU_CYCLE_1)
	s_mov_b32 s1, exec_lo
	s_wait_loadcnt_dscnt 0x0
	s_barrier_signal -1
	s_barrier_wait -1
	global_inv scope:SCOPE_SE
	v_cmpx_gt_u32_e32 32, v0
	s_cbranch_execz .LBB154_70
; %bb.64:
	s_and_saveexec_b32 s0, vcc_lo
	s_cbranch_execnz .LBB154_76
; %bb.65:
	s_wait_alu 0xfffe
	s_or_b32 exec_lo, exec_lo, s0
	s_and_saveexec_b32 s0, vcc_lo
	s_cbranch_execnz .LBB154_77
.LBB154_66:
	s_wait_alu 0xfffe
	s_or_b32 exec_lo, exec_lo, s0
	s_and_saveexec_b32 s0, vcc_lo
	s_cbranch_execnz .LBB154_78
.LBB154_67:
	s_wait_alu 0xfffe
	s_or_b32 exec_lo, exec_lo, s0
	s_and_saveexec_b32 s0, vcc_lo
	s_cbranch_execz .LBB154_69
.LBB154_68:
	ds_load_b32 v0, v5 offset:192
	s_wait_dscnt 0x0
	v_add_f32_e32 v1, v1, v0
.LBB154_69:
	s_wait_alu 0xfffe
	s_or_b32 exec_lo, exec_lo, s0
.LBB154_70:
	s_wait_alu 0xfffe
	s_or_b32 exec_lo, exec_lo, s1
	s_mov_b32 s1, 0
	s_wait_loadcnt 0x0
	s_barrier_signal -1
	s_barrier_wait -1
	global_inv scope:SCOPE_SE
	s_mov_b32 s0, exec_lo
	v_cmpx_eq_u32_e32 0, v7
	s_cbranch_execz .LBB154_72
; %bb.71:
	v_bfe_u32 v0, v4, 16, 1
	v_or_b32_e32 v5, 0x400000, v4
	v_bfe_u32 v7, v3, 16, 1
	v_cmp_u_f32_e32 vcc_lo, v4, v4
	v_bfe_u32 v8, v2, 16, 1
	v_add3_u32 v0, v0, v4, 0x7fff
	s_lshl_b32 s2, s20, 6
	v_bfe_u32 v4, v1, 16, 1
	v_or_b32_e32 v9, 0x400000, v2
	v_add3_u32 v8, v8, v2, 0x7fff
	s_wait_alu 0xfffd
	v_cndmask_b32_e32 v0, v0, v5, vcc_lo
	v_add3_u32 v5, v7, v3, 0x7fff
	v_or_b32_e32 v7, 0x400000, v3
	v_cmp_u_f32_e32 vcc_lo, v3, v3
	s_wait_kmcnt 0x0
	s_mul_i32 s4, s8, s16
	s_wait_alu 0xfffe
	s_ashr_i32 s3, s2, 31
	s_ashr_i32 s5, s4, 31
	s_wait_alu 0xfffe
	s_lshl_b64 s[2:3], s[2:3], 1
	s_wait_alu 0xfffd
	v_cndmask_b32_e32 v3, v5, v7, vcc_lo
	v_cmp_u_f32_e32 vcc_lo, v2, v2
	v_add3_u32 v4, v4, v1, 0x7fff
	v_or_b32_e32 v10, 0x400000, v1
	s_lshl_b64 s[4:5], s[4:5], 1
	s_wait_alu 0xfffe
	s_add_nc_u64 s[2:3], s[14:15], s[2:3]
	s_wait_alu 0xfffd
	v_cndmask_b32_e32 v2, v8, v9, vcc_lo
	v_cmp_u_f32_e32 vcc_lo, v1, v1
	v_lshlrev_b32_e32 v6, 1, v27
	s_lshl_b32 s0, s30, 7
	s_wait_alu 0xfffe
	s_add_nc_u64 s[2:3], s[2:3], s[4:5]
	s_wait_alu 0xfffe
	s_add_nc_u64 s[0:1], s[2:3], s[0:1]
	s_wait_alu 0xfffd
	v_cndmask_b32_e32 v1, v4, v10, vcc_lo
	s_clause 0x3
	global_store_d16_hi_b16 v6, v0, s[0:1]
	global_store_d16_hi_b16 v6, v3, s[0:1] offset:32
	global_store_d16_hi_b16 v6, v2, s[0:1] offset:64
	global_store_d16_hi_b16 v6, v1, s[0:1] offset:96
.LBB154_72:
	s_endpgm
.LBB154_73:
	ds_load_b32 v7, v5
	s_wait_dscnt 0x0
	v_add_f32_e32 v4, v4, v7
	s_wait_alu 0xfffe
	s_or_b32 exec_lo, exec_lo, s0
	s_and_saveexec_b32 s0, vcc_lo
	s_cbranch_execz .LBB154_57
.LBB154_74:
	ds_load_b32 v7, v5 offset:64
	s_wait_dscnt 0x0
	v_add_f32_e32 v3, v3, v7
	s_wait_alu 0xfffe
	s_or_b32 exec_lo, exec_lo, s0
	s_and_saveexec_b32 s0, vcc_lo
	s_cbranch_execz .LBB154_58
.LBB154_75:
	ds_load_b32 v7, v5 offset:128
	s_wait_dscnt 0x0
	v_add_f32_e32 v2, v2, v7
	s_wait_alu 0xfffe
	s_or_b32 exec_lo, exec_lo, s0
	s_and_saveexec_b32 s0, vcc_lo
	s_cbranch_execnz .LBB154_59
	s_branch .LBB154_60
.LBB154_76:
	ds_load_b32 v0, v5
	s_wait_dscnt 0x0
	v_add_f32_e32 v4, v4, v0
	s_wait_alu 0xfffe
	s_or_b32 exec_lo, exec_lo, s0
	s_and_saveexec_b32 s0, vcc_lo
	s_cbranch_execz .LBB154_66
.LBB154_77:
	ds_load_b32 v0, v5 offset:64
	s_wait_dscnt 0x0
	v_add_f32_e32 v3, v3, v0
	s_wait_alu 0xfffe
	s_or_b32 exec_lo, exec_lo, s0
	s_and_saveexec_b32 s0, vcc_lo
	s_cbranch_execz .LBB154_67
.LBB154_78:
	ds_load_b32 v0, v5 offset:128
	s_wait_dscnt 0x0
	v_add_f32_e32 v2, v2, v0
	s_wait_alu 0xfffe
	s_or_b32 exec_lo, exec_lo, s0
	s_and_saveexec_b32 s0, vcc_lo
	s_cbranch_execnz .LBB154_68
	s_branch .LBB154_69
	.section	.rodata,"a",@progbits
	.p2align	6, 0x0
	.amdhsa_kernel _ZN4vllm25paged_attention_v2_kernelI14__hip_bfloat16S1_Li64ELi16ELi128ELNS_18Fp8KVCacheDataTypeE0ELb1ELi512EEEvPfS3_PT_PKS4_PKT0_SA_ifPKiSC_iPKfiiiSE_SE_iiiii
		.amdhsa_group_segment_fixed_size 160
		.amdhsa_private_segment_fixed_size 0
		.amdhsa_kernarg_size 400
		.amdhsa_user_sgpr_count 2
		.amdhsa_user_sgpr_dispatch_ptr 0
		.amdhsa_user_sgpr_queue_ptr 0
		.amdhsa_user_sgpr_kernarg_segment_ptr 1
		.amdhsa_user_sgpr_dispatch_id 0
		.amdhsa_user_sgpr_private_segment_size 0
		.amdhsa_wavefront_size32 1
		.amdhsa_uses_dynamic_stack 0
		.amdhsa_enable_private_segment 0
		.amdhsa_system_sgpr_workgroup_id_x 1
		.amdhsa_system_sgpr_workgroup_id_y 1
		.amdhsa_system_sgpr_workgroup_id_z 1
		.amdhsa_system_sgpr_workgroup_info 0
		.amdhsa_system_vgpr_workitem_id 0
		.amdhsa_next_free_vgpr 82
		.amdhsa_next_free_sgpr 42
		.amdhsa_reserve_vcc 1
		.amdhsa_float_round_mode_32 0
		.amdhsa_float_round_mode_16_64 0
		.amdhsa_float_denorm_mode_32 3
		.amdhsa_float_denorm_mode_16_64 3
		.amdhsa_fp16_overflow 0
		.amdhsa_workgroup_processor_mode 1
		.amdhsa_memory_ordered 1
		.amdhsa_forward_progress 1
		.amdhsa_inst_pref_size 72
		.amdhsa_round_robin_scheduling 0
		.amdhsa_exception_fp_ieee_invalid_op 0
		.amdhsa_exception_fp_denorm_src 0
		.amdhsa_exception_fp_ieee_div_zero 0
		.amdhsa_exception_fp_ieee_overflow 0
		.amdhsa_exception_fp_ieee_underflow 0
		.amdhsa_exception_fp_ieee_inexact 0
		.amdhsa_exception_int_div_zero 0
	.end_amdhsa_kernel
	.section	.text._ZN4vllm25paged_attention_v2_kernelI14__hip_bfloat16S1_Li64ELi16ELi128ELNS_18Fp8KVCacheDataTypeE0ELb1ELi512EEEvPfS3_PT_PKS4_PKT0_SA_ifPKiSC_iPKfiiiSE_SE_iiiii,"axG",@progbits,_ZN4vllm25paged_attention_v2_kernelI14__hip_bfloat16S1_Li64ELi16ELi128ELNS_18Fp8KVCacheDataTypeE0ELb1ELi512EEEvPfS3_PT_PKS4_PKT0_SA_ifPKiSC_iPKfiiiSE_SE_iiiii,comdat
.Lfunc_end154:
	.size	_ZN4vllm25paged_attention_v2_kernelI14__hip_bfloat16S1_Li64ELi16ELi128ELNS_18Fp8KVCacheDataTypeE0ELb1ELi512EEEvPfS3_PT_PKS4_PKT0_SA_ifPKiSC_iPKfiiiSE_SE_iiiii, .Lfunc_end154-_ZN4vllm25paged_attention_v2_kernelI14__hip_bfloat16S1_Li64ELi16ELi128ELNS_18Fp8KVCacheDataTypeE0ELb1ELi512EEEvPfS3_PT_PKS4_PKT0_SA_ifPKiSC_iPKfiiiSE_SE_iiiii
                                        ; -- End function
	.set _ZN4vllm25paged_attention_v2_kernelI14__hip_bfloat16S1_Li64ELi16ELi128ELNS_18Fp8KVCacheDataTypeE0ELb1ELi512EEEvPfS3_PT_PKS4_PKT0_SA_ifPKiSC_iPKfiiiSE_SE_iiiii.num_vgpr, 82
	.set _ZN4vllm25paged_attention_v2_kernelI14__hip_bfloat16S1_Li64ELi16ELi128ELNS_18Fp8KVCacheDataTypeE0ELb1ELi512EEEvPfS3_PT_PKS4_PKT0_SA_ifPKiSC_iPKfiiiSE_SE_iiiii.num_agpr, 0
	.set _ZN4vllm25paged_attention_v2_kernelI14__hip_bfloat16S1_Li64ELi16ELi128ELNS_18Fp8KVCacheDataTypeE0ELb1ELi512EEEvPfS3_PT_PKS4_PKT0_SA_ifPKiSC_iPKfiiiSE_SE_iiiii.numbered_sgpr, 42
	.set _ZN4vllm25paged_attention_v2_kernelI14__hip_bfloat16S1_Li64ELi16ELi128ELNS_18Fp8KVCacheDataTypeE0ELb1ELi512EEEvPfS3_PT_PKS4_PKT0_SA_ifPKiSC_iPKfiiiSE_SE_iiiii.num_named_barrier, 0
	.set _ZN4vllm25paged_attention_v2_kernelI14__hip_bfloat16S1_Li64ELi16ELi128ELNS_18Fp8KVCacheDataTypeE0ELb1ELi512EEEvPfS3_PT_PKS4_PKT0_SA_ifPKiSC_iPKfiiiSE_SE_iiiii.private_seg_size, 0
	.set _ZN4vllm25paged_attention_v2_kernelI14__hip_bfloat16S1_Li64ELi16ELi128ELNS_18Fp8KVCacheDataTypeE0ELb1ELi512EEEvPfS3_PT_PKS4_PKT0_SA_ifPKiSC_iPKfiiiSE_SE_iiiii.uses_vcc, 1
	.set _ZN4vllm25paged_attention_v2_kernelI14__hip_bfloat16S1_Li64ELi16ELi128ELNS_18Fp8KVCacheDataTypeE0ELb1ELi512EEEvPfS3_PT_PKS4_PKT0_SA_ifPKiSC_iPKfiiiSE_SE_iiiii.uses_flat_scratch, 0
	.set _ZN4vllm25paged_attention_v2_kernelI14__hip_bfloat16S1_Li64ELi16ELi128ELNS_18Fp8KVCacheDataTypeE0ELb1ELi512EEEvPfS3_PT_PKS4_PKT0_SA_ifPKiSC_iPKfiiiSE_SE_iiiii.has_dyn_sized_stack, 0
	.set _ZN4vllm25paged_attention_v2_kernelI14__hip_bfloat16S1_Li64ELi16ELi128ELNS_18Fp8KVCacheDataTypeE0ELb1ELi512EEEvPfS3_PT_PKS4_PKT0_SA_ifPKiSC_iPKfiiiSE_SE_iiiii.has_recursion, 0
	.set _ZN4vllm25paged_attention_v2_kernelI14__hip_bfloat16S1_Li64ELi16ELi128ELNS_18Fp8KVCacheDataTypeE0ELb1ELi512EEEvPfS3_PT_PKS4_PKT0_SA_ifPKiSC_iPKfiiiSE_SE_iiiii.has_indirect_call, 0
	.section	.AMDGPU.csdata,"",@progbits
; Kernel info:
; codeLenInByte = 9160
; TotalNumSgprs: 44
; NumVgprs: 82
; ScratchSize: 0
; MemoryBound: 0
; FloatMode: 240
; IeeeMode: 1
; LDSByteSize: 160 bytes/workgroup (compile time only)
; SGPRBlocks: 0
; VGPRBlocks: 10
; NumSGPRsForWavesPerEU: 44
; NumVGPRsForWavesPerEU: 82
; Occupancy: 16
; WaveLimiterHint : 1
; COMPUTE_PGM_RSRC2:SCRATCH_EN: 0
; COMPUTE_PGM_RSRC2:USER_SGPR: 2
; COMPUTE_PGM_RSRC2:TRAP_HANDLER: 0
; COMPUTE_PGM_RSRC2:TGID_X_EN: 1
; COMPUTE_PGM_RSRC2:TGID_Y_EN: 1
; COMPUTE_PGM_RSRC2:TGID_Z_EN: 1
; COMPUTE_PGM_RSRC2:TIDIG_COMP_CNT: 0
	.section	.text._ZN4vllm25paged_attention_v2_kernelI14__hip_bfloat16S1_Li80ELi16ELi128ELNS_18Fp8KVCacheDataTypeE0ELb1ELi512EEEvPfS3_PT_PKS4_PKT0_SA_ifPKiSC_iPKfiiiSE_SE_iiiii,"axG",@progbits,_ZN4vllm25paged_attention_v2_kernelI14__hip_bfloat16S1_Li80ELi16ELi128ELNS_18Fp8KVCacheDataTypeE0ELb1ELi512EEEvPfS3_PT_PKS4_PKT0_SA_ifPKiSC_iPKfiiiSE_SE_iiiii,comdat
	.protected	_ZN4vllm25paged_attention_v2_kernelI14__hip_bfloat16S1_Li80ELi16ELi128ELNS_18Fp8KVCacheDataTypeE0ELb1ELi512EEEvPfS3_PT_PKS4_PKT0_SA_ifPKiSC_iPKfiiiSE_SE_iiiii ; -- Begin function _ZN4vllm25paged_attention_v2_kernelI14__hip_bfloat16S1_Li80ELi16ELi128ELNS_18Fp8KVCacheDataTypeE0ELb1ELi512EEEvPfS3_PT_PKS4_PKT0_SA_ifPKiSC_iPKfiiiSE_SE_iiiii
	.globl	_ZN4vllm25paged_attention_v2_kernelI14__hip_bfloat16S1_Li80ELi16ELi128ELNS_18Fp8KVCacheDataTypeE0ELb1ELi512EEEvPfS3_PT_PKS4_PKT0_SA_ifPKiSC_iPKfiiiSE_SE_iiiii
	.p2align	8
	.type	_ZN4vllm25paged_attention_v2_kernelI14__hip_bfloat16S1_Li80ELi16ELi128ELNS_18Fp8KVCacheDataTypeE0ELb1ELi512EEEvPfS3_PT_PKS4_PKT0_SA_ifPKiSC_iPKfiiiSE_SE_iiiii,@function
_ZN4vllm25paged_attention_v2_kernelI14__hip_bfloat16S1_Li80ELi16ELi128ELNS_18Fp8KVCacheDataTypeE0ELb1ELi512EEEvPfS3_PT_PKS4_PKT0_SA_ifPKiSC_iPKfiiiSE_SE_iiiii: ; @_ZN4vllm25paged_attention_v2_kernelI14__hip_bfloat16S1_Li80ELi16ELi128ELNS_18Fp8KVCacheDataTypeE0ELb1ELi512EEEvPfS3_PT_PKS4_PKT0_SA_ifPKiSC_iPKfiiiSE_SE_iiiii
; %bb.0:
	s_load_b64 s[2:3], s[0:1], 0x40
	s_and_b32 s20, ttmp7, 0xffff
	s_lshr_b32 s30, ttmp7, 16
	s_lshl_b32 s4, s20, 2
	s_lshl_b32 s33, s30, 9
	s_wait_kmcnt 0x0
	s_load_b32 s31, s[2:3], s4 offset:0x0
	s_wait_kmcnt 0x0
	s_cmp_ge_i32 s33, s31
	s_cbranch_scc1 .LBB155_76
; %bb.1:
	s_clause 0x1
	s_load_b32 s21, s[0:1], 0x90
	s_load_b64 s[6:7], s[0:1], 0x30
	s_wait_kmcnt 0x0
	s_abs_i32 s5, s21
	s_abs_i32 s2, s6
	s_delay_alu instid0(SALU_CYCLE_1) | instskip(SKIP_1) | instid1(SALU_CYCLE_2)
	s_cvt_f32_u32 s3, s2
	s_sub_co_i32 s4, 0, s2
	v_rcp_iflag_f32_e32 v1, s3
	s_delay_alu instid0(TRANS32_DEP_1) | instskip(SKIP_2) | instid1(SALU_CYCLE_2)
	v_readfirstlane_b32 s3, v1
	s_mul_f32 s3, s3, 0x4f7ffffe
	s_wait_alu 0xfffe
	s_cvt_u32_f32 s3, s3
	s_wait_alu 0xfffe
	s_delay_alu instid0(SALU_CYCLE_2) | instskip(NEXT) | instid1(SALU_CYCLE_1)
	s_mul_i32 s4, s4, s3
	s_mul_hi_u32 s4, s3, s4
	s_delay_alu instid0(SALU_CYCLE_1)
	s_add_co_i32 s3, s3, s4
	s_xor_b32 s4, s21, s6
	s_wait_alu 0xfffe
	s_mul_hi_u32 s3, s5, s3
	s_ashr_i32 s4, s4, 31
	s_wait_alu 0xfffe
	s_mul_i32 s8, s3, s2
	s_delay_alu instid0(SALU_CYCLE_1)
	s_sub_co_i32 s5, s5, s8
	s_add_co_i32 s8, s3, 1
	s_sub_co_i32 s9, s5, s2
	s_cmp_ge_u32 s5, s2
	s_cselect_b32 s3, s8, s3
	s_cselect_b32 s5, s9, s5
	s_wait_alu 0xfffe
	s_add_co_i32 s8, s3, 1
	s_cmp_ge_u32 s5, s2
	s_cselect_b32 s2, s8, s3
	s_load_b64 s[8:9], s[0:1], 0x50
	s_xor_b32 s2, s2, s4
	s_mov_b32 s3, 0
	s_wait_alu 0xfffe
	s_sub_co_i32 s10, s2, s4
	s_mov_b32 s15, s3
	s_abs_i32 s18, s10
	s_delay_alu instid0(SALU_CYCLE_1) | instskip(SKIP_1) | instid1(SALU_CYCLE_2)
	s_cvt_f32_u32 s2, s18
	s_wait_alu 0xfffe
	v_rcp_iflag_f32_e32 v1, s2
	s_delay_alu instid0(TRANS32_DEP_1) | instskip(SKIP_2) | instid1(SALU_CYCLE_2)
	v_readfirstlane_b32 s2, v1
	s_mul_f32 s2, s2, 0x4f7ffffe
	s_wait_alu 0xfffe
	s_cvt_u32_f32 s4, s2
	s_sub_co_i32 s2, 0, s18
	s_wait_alu 0xfffe
	s_delay_alu instid0(SALU_CYCLE_1)
	s_mul_i32 s2, s2, s4
	s_wait_alu 0xfffe
	s_mul_hi_u32 s5, s4, s2
	s_abs_i32 s2, ttmp9
	s_add_co_i32 s4, s4, s5
	s_mov_b32 s5, s3
	s_wait_kmcnt 0x0
	s_cmp_eq_u64 s[8:9], 0
	s_cbranch_scc1 .LBB155_3
; %bb.2:
	s_mov_b32 s12, ttmp9
	s_ashr_i32 s13, ttmp9, 31
	s_delay_alu instid0(SALU_CYCLE_1) | instskip(NEXT) | instid1(SALU_CYCLE_1)
	s_lshl_b64 s[12:13], s[12:13], 2
	s_add_nc_u64 s[8:9], s[8:9], s[12:13]
	s_load_b32 s15, s[8:9], 0x0
.LBB155_3:
	s_load_b96 s[12:14], s[0:1], 0x58
	v_lshrrev_b32_e32 v31, 1, v0
	v_and_b32_e32 v32, 1, v0
	v_lshlrev_b32_e32 v3, 3, v0
	s_mul_u64 s[4:5], s[2:3], s[4:5]
	s_ashr_i32 s3, ttmp9, 31
	s_ashr_i32 s4, s10, 31
	s_mul_i32 s16, ttmp9, 0x50
	s_mov_b32 s8, exec_lo
	v_cmpx_gt_u32_e32 20, v0
	s_cbranch_execz .LBB155_5
; %bb.4:
	s_load_b64 s[10:11], s[0:1], 0x18
	s_wait_kmcnt 0x0
	s_mul_i32 s22, s12, s20
	s_ashr_i32 s17, s16, 31
	s_ashr_i32 s23, s22, 31
	v_lshlrev_b32_e32 v4, 3, v31
	s_lshl_b64 s[22:23], s[22:23], 1
	s_delay_alu instid0(VALU_DEP_1) | instskip(SKIP_2) | instid1(SALU_CYCLE_1)
	v_mad_u32_u24 v4, 0x50, v32, v4
	s_add_nc_u64 s[10:11], s[10:11], s[22:23]
	s_lshl_b64 s[22:23], s[16:17], 1
	s_add_nc_u64 s[10:11], s[10:11], s[22:23]
	global_load_b64 v[1:2], v3, s[10:11]
	s_wait_loadcnt 0x0
	ds_store_b64 v4, v[1:2]
.LBB155_5:
	s_or_b32 exec_lo, exec_lo, s8
	s_clause 0x1
	s_load_b128 s[8:11], s[0:1], 0x78
	s_load_b32 s22, s[0:1], 0x88
	s_wait_kmcnt 0x0
	s_mul_i32 s12, s5, s18
	s_xor_b32 s3, s3, s4
	s_sub_co_i32 s2, s2, s12
	s_add_co_i32 s4, s5, 1
	s_wait_alu 0xfffe
	s_sub_co_i32 s12, s2, s18
	s_cmp_ge_u32 s2, s18
	s_mov_b32 s24, -1
	s_cselect_b32 s4, s4, s5
	s_cselect_b32 s2, s12, s2
	s_add_co_i32 s5, s4, 1
	s_wait_alu 0xfffe
	s_cmp_ge_u32 s2, s18
	s_wait_dscnt 0x0
	s_cselect_b32 s2, s5, s4
	s_add_co_i32 s23, s31, -1
	s_wait_alu 0xfffe
	s_xor_b32 s2, s2, s3
	s_barrier_signal -1
	s_wait_alu 0xfffe
	s_sub_co_i32 s26, s2, s3
	s_barrier_wait -1
	s_abs_i32 s12, s11
	global_inv scope:SCOPE_SE
	s_cvt_f32_u32 s4, s12
                                        ; implicit-def: $sgpr17
	s_delay_alu instid0(SALU_CYCLE_3) | instskip(NEXT) | instid1(TRANS32_DEP_1)
	v_rcp_iflag_f32_e32 v1, s4
	v_readfirstlane_b32 s4, v1
	s_mul_f32 s2, s4, 0x4f7ffffe
	s_wait_alu 0xfffe
	s_delay_alu instid0(SALU_CYCLE_2) | instskip(SKIP_2) | instid1(SALU_CYCLE_1)
	s_cvt_u32_f32 s4, s2
	s_sub_co_i32 s2, 0, s12
	s_wait_alu 0xfffe
	s_mul_i32 s3, s2, s4
	s_abs_i32 s2, s23
	s_wait_alu 0xfffe
	s_mul_hi_u32 s5, s4, s3
	s_mov_b32 s3, 0
	s_wait_alu 0xfffe
	s_add_co_i32 s18, s4, s5
	s_cmp_lt_i32 s22, 0
	s_mov_b32 s19, s3
	s_cbranch_scc0 .LBB155_7
; %bb.6:
	s_mul_i32 s4, s8, s6
	s_mov_b32 s24, s3
	s_wait_alu 0xfffe
	s_add_co_i32 s4, s26, s4
	s_wait_alu 0xfffe
	s_mul_i32 s4, s4, s22
	s_wait_alu 0xfffe
	s_sub_co_i32 s17, 1, s4
.LBB155_7:
	s_mul_u64 s[4:5], s[2:3], s[18:19]
	s_ashr_i32 s3, s23, 31
	s_and_not1_b32 vcc_lo, exec_lo, s24
	s_ashr_i32 s11, s11, 31
	s_cbranch_vccnz .LBB155_9
; %bb.8:
	s_mul_i32 s4, s21, s8
	s_wait_alu 0xfffe
	s_add_co_i32 s4, s4, ttmp9
	s_wait_alu 0xfffe
	s_mul_i32 s4, s4, s22
	s_wait_alu 0xfffe
	s_add_co_i32 s17, s4, 1
.LBB155_9:
	s_clause 0x2
	s_load_b32 s4, s[0:1], 0x48
	s_load_b64 s[22:23], s[0:1], 0x38
	s_load_b32 s8, s[0:1], 0x98
	s_mul_i32 s6, s5, s12
	s_xor_b32 s3, s3, s11
	s_sub_co_i32 s2, s2, s6
	s_add_co_i32 s19, s5, 1
	v_lshrrev_b32_e32 v33, 5, v0
	v_mov_b32_e32 v6, 0xff7fffff
	v_mbcnt_lo_u32_b32 v5, -1, 0
	s_mul_i32 s26, s26, s14
	s_delay_alu instid0(VALU_DEP_3)
	v_lshl_add_u32 v34, v33, 4, s33
	s_wait_kmcnt 0x0
	s_mul_i32 s24, s4, s20
	s_wait_alu 0xfffe
	s_sub_co_i32 s4, s2, s12
	s_ashr_i32 s25, s24, 31
	s_cmp_ge_u32 s2, s12
	s_cselect_b32 s5, s19, s5
	s_wait_alu 0xfffe
	s_cselect_b32 s2, s4, s2
	s_add_co_i32 s4, s5, 1
	s_wait_alu 0xfffe
	s_cmp_ge_u32 s2, s12
	s_cselect_b32 s2, s4, s5
	s_add_co_i32 s4, s31, 15
	s_lshl_b32 s36, s30, 5
	s_wait_alu 0xfffe
	s_ashr_i32 s5, s4, 31
	v_or_b32_e32 v35, s36, v33
	s_wait_alu 0xfffe
	s_lshr_b32 s5, s5, 28
	s_wait_alu 0xfffe
	s_add_co_i32 s4, s4, s5
	s_add_co_i32 s5, s36, 32
	s_wait_alu 0xfffe
	s_ashr_i32 s34, s4, 4
	s_xor_b32 s4, s2, s3
	s_min_i32 s19, s5, s34
	v_lshlrev_b32_e32 v4, 2, v35
	v_cmp_gt_i32_e64 s2, s19, v35
	s_wait_alu 0xfffe
	s_sub_co_i32 s35, s4, s3
	s_and_saveexec_b32 s6, s2
	s_cbranch_execz .LBB155_21
; %bb.10:
	s_ashr_i32 s27, s26, 31
	s_sub_co_i32 s14, s35, s9
	s_lshl_b64 s[4:5], s[26:27], 1
	s_cmp_neq_f32 s15, 0
	s_load_b64 s[38:39], s[0:1], 0x20
	v_bfe_u32 v7, v0, 1, 4
	v_and_b32_e32 v2, 8, v3
	s_cselect_b32 vcc_lo, -1, 0
	s_abs_i32 s27, s10
	s_lshl_b64 s[40:41], s[24:25], 2
	s_cvt_f32_u32 s3, s27
	v_lshlrev_b32_e32 v6, 4, v7
	v_dual_mov_b32 v14, 0xff7fffff :: v_dual_lshlrev_b32 v9, 2, v7
	s_wait_alu 0xfffe
	v_rcp_iflag_f32_e32 v1, s3
	v_subrev_nc_u32_e32 v12, s31, v7
	s_add_nc_u64 s[40:41], s[22:23], s[40:41]
	v_lshl_or_b32 v13, v33, 6, v9
	s_sub_co_i32 s37, 0, s27
	v_cmp_eq_u32_e64 s3, 0, v32
	v_mul_u32_u24_e32 v8, 0x50, v32
	v_lshl_add_u32 v11, v33, 4, s33
	v_add_nc_u32_e32 v12, 1, v12
	v_dual_mov_b32 v16, v35 :: v_dual_add_nc_u32 v13, 0xc0, v13
	v_readfirstlane_b32 s29, v1
	s_wait_kmcnt 0x0
	s_add_nc_u64 s[4:5], s[38:39], s[4:5]
	v_xor_b32_e32 v15, 1, v5
	s_wait_alu 0xfffe
	v_add_co_u32 v1, s4, s4, v6
	s_mul_f32 s29, s29, 0x4f7ffffe
	s_wait_alu 0xf1ff
	v_add_co_ci_u32_e64 v6, null, s5, 0, s4
	v_add_co_u32 v9, s4, v1, v2
	s_cvt_u32_f32 s5, s29
	s_wait_alu 0xf1ff
	v_add_co_ci_u32_e64 v10, null, 0, v6, s4
	v_add_co_u32 v1, s4, s40, v4
	s_wait_alu 0xfffe
	s_mul_i32 s37, s37, s5
	v_add_co_ci_u32_e64 v2, null, s41, 0, s4
	v_mov_b32_e32 v6, 0xff7fffff
	s_wait_alu 0xfffe
	s_mul_hi_u32 s4, s5, s37
	s_mov_b32 s28, 0
	s_mov_b32 s29, s13
	s_wait_alu 0xfffe
	s_add_co_i32 s37, s5, s4
	s_branch .LBB155_13
.LBB155_11:                             ;   in Loop: Header=BB155_13 Depth=1
	s_or_b32 exec_lo, exec_lo, s38
.LBB155_12:                             ;   in Loop: Header=BB155_13 Depth=1
	s_wait_alu 0xfffe
	s_or_b32 exec_lo, exec_lo, s5
	v_add_nc_u32_e32 v16, 4, v16
	v_add_co_u32 v1, s5, v1, 16
	s_wait_alu 0xf1ff
	v_add_co_ci_u32_e64 v2, null, 0, v2, s5
	s_delay_alu instid0(VALU_DEP_3)
	v_cmp_le_i32_e64 s4, s19, v16
	v_add_nc_u32_e32 v11, 64, v11
	v_add_nc_u32_e32 v13, 0x100, v13
	s_or_b32 s28, s4, s28
	s_wait_alu 0xfffe
	s_and_not1_b32 exec_lo, exec_lo, s28
	s_cbranch_execz .LBB155_20
.LBB155_13:                             ; =>This Inner Loop Header: Depth=1
	v_sub_nc_u32_e32 v17, 0, v11
	s_delay_alu instid0(VALU_DEP_1) | instskip(SKIP_1) | instid1(VALU_DEP_1)
	v_max_i32_e32 v17, v11, v17
	s_wait_dscnt 0x0
	v_mul_hi_u32 v18, v17, s18
	s_delay_alu instid0(VALU_DEP_1) | instskip(NEXT) | instid1(VALU_DEP_1)
	v_mul_lo_u32 v19, v18, s12
	v_sub_nc_u32_e32 v17, v17, v19
	v_add_nc_u32_e32 v19, 1, v18
	s_delay_alu instid0(VALU_DEP_2) | instskip(SKIP_2) | instid1(VALU_DEP_1)
	v_subrev_nc_u32_e32 v20, s12, v17
	v_cmp_le_u32_e64 s4, s12, v17
	s_wait_alu 0xf1ff
	v_cndmask_b32_e64 v18, v18, v19, s4
	s_delay_alu instid0(VALU_DEP_3) | instskip(SKIP_1) | instid1(VALU_DEP_3)
	v_cndmask_b32_e64 v17, v17, v20, s4
	v_ashrrev_i32_e32 v19, 31, v11
	v_add_nc_u32_e32 v20, 1, v18
	s_delay_alu instid0(VALU_DEP_3) | instskip(NEXT) | instid1(VALU_DEP_3)
	v_cmp_le_u32_e64 s4, s12, v17
	v_xor_b32_e32 v19, s11, v19
	s_wait_alu 0xf1ff
	s_delay_alu instid0(VALU_DEP_2) | instskip(NEXT) | instid1(VALU_DEP_1)
	v_cndmask_b32_e64 v17, v18, v20, s4
	v_xor_b32_e32 v17, v17, v19
	s_delay_alu instid0(VALU_DEP_1) | instskip(NEXT) | instid1(VALU_DEP_1)
	v_sub_nc_u32_e32 v17, v17, v19
	v_add_nc_u32_e32 v18, s17, v17
	v_cmp_ge_i32_e64 s5, s14, v17
	s_delay_alu instid0(VALU_DEP_2) | instskip(NEXT) | instid1(VALU_DEP_1)
	v_sub_nc_u32_e32 v19, 0, v18
	v_max_i32_e32 v19, v18, v19
	v_ashrrev_i32_e32 v18, 31, v18
	s_wait_alu 0xfffe
	s_delay_alu instid0(VALU_DEP_2) | instskip(NEXT) | instid1(VALU_DEP_1)
	v_mul_hi_u32 v20, v19, s37
	v_mul_lo_u32 v20, v20, s27
	s_delay_alu instid0(VALU_DEP_1) | instskip(NEXT) | instid1(VALU_DEP_1)
	v_sub_nc_u32_e32 v19, v19, v20
	v_subrev_nc_u32_e32 v20, s27, v19
	v_cmp_le_u32_e64 s4, s27, v19
	s_wait_alu 0xf1ff
	s_delay_alu instid0(VALU_DEP_1) | instskip(NEXT) | instid1(VALU_DEP_1)
	v_cndmask_b32_e64 v19, v19, v20, s4
	v_subrev_nc_u32_e32 v20, s27, v19
	v_cmp_le_u32_e64 s4, s27, v19
	s_wait_alu 0xf1ff
	s_delay_alu instid0(VALU_DEP_1) | instskip(NEXT) | instid1(VALU_DEP_1)
	v_cndmask_b32_e64 v19, v19, v20, s4
	v_xor_b32_e32 v19, v19, v18
	s_delay_alu instid0(VALU_DEP_1) | instskip(NEXT) | instid1(VALU_DEP_1)
	v_sub_nc_u32_e32 v18, v19, v18
	v_cmp_ne_u32_e64 s4, 0, v18
	s_and_b32 s4, s4, s5
	s_wait_alu 0xfffe
	s_and_saveexec_b32 s5, s4
	s_wait_alu 0xfffe
	s_xor_b32 s4, exec_lo, s5
	s_cbranch_execz .LBB155_17
; %bb.14:                               ;   in Loop: Header=BB155_13 Depth=1
	s_and_saveexec_b32 s5, s3
; %bb.15:                               ;   in Loop: Header=BB155_13 Depth=1
	ds_store_b32 v13, v14
; %bb.16:                               ;   in Loop: Header=BB155_13 Depth=1
	s_wait_alu 0xfffe
	s_or_b32 exec_lo, exec_lo, s5
.LBB155_17:                             ;   in Loop: Header=BB155_13 Depth=1
	s_wait_alu 0xfffe
	s_and_not1_saveexec_b32 s5, s4
	s_cbranch_execz .LBB155_12
; %bb.18:                               ;   in Loop: Header=BB155_13 Depth=1
	global_load_b32 v17, v[1:2], off
	s_wait_loadcnt 0x0
	v_mad_co_i64_i32 v[17:18], null, v17, s29, 0
	s_delay_alu instid0(VALU_DEP_1) | instskip(NEXT) | instid1(VALU_DEP_1)
	v_lshlrev_b64_e32 v[17:18], 1, v[17:18]
	v_add_co_u32 v17, s4, v9, v17
	s_wait_alu 0xf1ff
	s_delay_alu instid0(VALU_DEP_2)
	v_add_co_ci_u32_e64 v18, null, v10, v18, s4
	v_cmp_gt_i32_e64 s4, 32, v15
	s_clause 0x9
	global_load_b64 v[29:30], v[17:18], off
	global_load_b64 v[44:45], v[17:18], off offset:256
	global_load_b64 v[46:47], v[17:18], off offset:512
	;; [unrolled: 1-line block ×9, first 2 shown]
	ds_load_b128 v[17:20], v8
	ds_load_b128 v[21:24], v8 offset:16
	ds_load_b128 v[25:28], v8 offset:32
	ds_load_b128 v[36:39], v8 offset:48
	ds_load_b128 v[40:43], v8 offset:64
	s_wait_loadcnt 0x9
	v_lshlrev_b32_e32 v82, 16, v29
	s_wait_dscnt 0x4
	v_lshlrev_b32_e32 v65, 16, v20
	s_wait_loadcnt 0x8
	v_lshlrev_b32_e32 v85, 16, v45
	v_lshlrev_b32_e32 v64, 16, v19
	;; [unrolled: 1-line block ×4, first 2 shown]
	v_and_b32_e32 v45, 0xffff0000, v45
	s_wait_loadcnt 0x4
	v_lshlrev_b32_e32 v93, 16, v53
	v_dual_mul_f32 v65, v65, v85 :: v_dual_and_b32 v20, 0xffff0000, v20
	v_dual_mul_f32 v64, v64, v84 :: v_dual_lshlrev_b32 v63, 16, v18
	s_wait_dscnt 0x3
	v_lshlrev_b32_e32 v66, 16, v21
	s_delay_alu instid0(VALU_DEP_3)
	v_dual_mul_f32 v20, v20, v45 :: v_dual_lshlrev_b32 v67, 16, v22
	v_and_b32_e32 v30, 0xffff0000, v30
	v_lshlrev_b32_e32 v87, 16, v47
	v_lshlrev_b32_e32 v92, 16, v52
	v_and_b32_e32 v52, 0xffff0000, v52
	v_dual_fmac_f32 v65, v63, v83 :: v_dual_and_b32 v18, 0xffff0000, v18
	s_wait_dscnt 0x2
	v_lshlrev_b32_e32 v73, 16, v28
	s_wait_dscnt 0x1
	v_lshlrev_b32_e32 v74, 16, v36
	v_and_b32_e32 v44, 0xffff0000, v44
	v_and_b32_e32 v47, 0xffff0000, v47
	s_wait_loadcnt 0x3
	v_lshlrev_b32_e32 v94, 16, v54
	v_lshlrev_b32_e32 v95, 16, v55
	v_and_b32_e32 v22, 0xffff0000, v22
	v_dual_fmac_f32 v20, v18, v30 :: v_dual_fmac_f32 v65, v67, v87
	v_and_b32_e32 v19, 0xffff0000, v19
	v_lshlrev_b32_e32 v62, 16, v17
	s_delay_alu instid0(VALU_DEP_3)
	v_dual_fmac_f32 v20, v22, v47 :: v_dual_lshlrev_b32 v75, 16, v37
	v_lshlrev_b32_e32 v86, 16, v46
	v_lshlrev_b32_e32 v89, 16, v49
	v_and_b32_e32 v49, 0xffff0000, v49
	v_dual_mul_f32 v19, v19, v44 :: v_dual_and_b32 v54, 0xffff0000, v54
	v_dual_fmac_f32 v64, v62, v82 :: v_dual_lshlrev_b32 v69, 16, v24
	s_wait_loadcnt 0x1
	v_lshlrev_b32_e32 v22, 16, v59
	v_and_b32_e32 v36, 0xffff0000, v36
	v_and_b32_e32 v24, 0xffff0000, v24
	s_wait_dscnt 0x0
	v_lshlrev_b32_e32 v81, 16, v43
	v_and_b32_e32 v29, 0xffff0000, v29
	v_lshlrev_b32_e32 v91, 16, v51
	v_dual_fmac_f32 v20, v24, v49 :: v_dual_and_b32 v51, 0xffff0000, v51
	v_and_b32_e32 v17, 0xffff0000, v17
	v_lshlrev_b32_e32 v68, 16, v23
	v_lshlrev_b32_e32 v88, 16, v48
	v_fmac_f32_e32 v64, v66, v86
	v_dual_fmac_f32 v65, v69, v89 :: v_dual_lshlrev_b32 v76, 16, v38
	v_fmac_f32_e32 v19, v17, v29
	s_delay_alu instid0(VALU_DEP_3) | instskip(SKIP_2) | instid1(VALU_DEP_3)
	v_dual_fmac_f32 v64, v68, v88 :: v_dual_lshlrev_b32 v71, 16, v26
	v_lshlrev_b32_e32 v80, 16, v42
	v_and_b32_e32 v46, 0xffff0000, v46
	v_dual_fmac_f32 v65, v71, v91 :: v_dual_lshlrev_b32 v96, 16, v56
	v_and_b32_e32 v21, 0xffff0000, v21
	v_lshlrev_b32_e32 v70, 16, v25
	v_lshlrev_b32_e32 v90, 16, v50
	s_delay_alu instid0(VALU_DEP_4) | instskip(NEXT) | instid1(VALU_DEP_4)
	v_dual_fmac_f32 v65, v73, v93 :: v_dual_and_b32 v44, 0xffff0000, v56
	v_dual_fmac_f32 v19, v21, v46 :: v_dual_lshlrev_b32 v56, 16, v57
	s_delay_alu instid0(VALU_DEP_3) | instskip(NEXT) | instid1(VALU_DEP_3)
	v_dual_fmac_f32 v64, v70, v90 :: v_dual_lshlrev_b32 v77, 16, v39
	v_dual_fmac_f32 v65, v75, v95 :: v_dual_and_b32 v38, 0xffff0000, v38
	v_and_b32_e32 v53, 0xffff0000, v53
	v_and_b32_e32 v18, 0xffff0000, v58
	;; [unrolled: 1-line block ×3, first 2 shown]
	s_delay_alu instid0(VALU_DEP_4)
	v_dual_fmac_f32 v65, v77, v56 :: v_dual_and_b32 v26, 0xffff0000, v26
	v_and_b32_e32 v48, 0xffff0000, v48
	v_and_b32_e32 v50, 0xffff0000, v50
	;; [unrolled: 1-line block ×3, first 2 shown]
	s_wait_loadcnt 0x0
	v_lshlrev_b32_e32 v24, 16, v60
	v_fmac_f32_e32 v20, v26, v51
	v_and_b32_e32 v23, 0xffff0000, v23
	v_and_b32_e32 v37, 0xffff0000, v37
	v_lshlrev_b32_e32 v21, 16, v58
	v_and_b32_e32 v42, 0xffff0000, v42
	v_fmac_f32_e32 v20, v28, v53
	v_dual_fmac_f32 v19, v23, v48 :: v_dual_lshlrev_b32 v72, 16, v27
	v_lshlrev_b32_e32 v79, 16, v41
	s_delay_alu instid0(VALU_DEP_3) | instskip(NEXT) | instid1(VALU_DEP_3)
	v_dual_fmac_f32 v20, v37, v55 :: v_dual_and_b32 v25, 0xffff0000, v25
	v_fmac_f32_e32 v64, v72, v92
	s_delay_alu instid0(VALU_DEP_3) | instskip(NEXT) | instid1(VALU_DEP_3)
	v_dual_fmac_f32 v65, v79, v22 :: v_dual_lshlrev_b32 v78, 16, v40
	v_fmac_f32_e32 v19, v25, v50
	s_delay_alu instid0(VALU_DEP_3) | instskip(SKIP_2) | instid1(VALU_DEP_3)
	v_dual_fmac_f32 v64, v74, v94 :: v_dual_and_b32 v25, 0xffff0000, v60
	v_and_b32_e32 v40, 0xffff0000, v40
	v_and_b32_e32 v17, 0xffff0000, v57
	v_dual_fmac_f32 v64, v76, v96 :: v_dual_and_b32 v23, 0xffff0000, v59
	s_delay_alu instid0(VALU_DEP_1) | instskip(NEXT) | instid1(VALU_DEP_1)
	v_dual_fmac_f32 v64, v78, v21 :: v_dual_and_b32 v27, 0xffff0000, v27
	v_fmac_f32_e32 v19, v27, v52
	v_and_b32_e32 v21, 0xffff0000, v61
	s_delay_alu instid0(VALU_DEP_3) | instskip(NEXT) | instid1(VALU_DEP_1)
	v_dual_fmac_f32 v64, v80, v24 :: v_dual_and_b32 v39, 0xffff0000, v39
	v_dual_fmac_f32 v19, v36, v54 :: v_dual_fmac_f32 v20, v39, v17
	v_and_b32_e32 v17, 0xffff0000, v43
	s_delay_alu instid0(VALU_DEP_2) | instskip(NEXT) | instid1(VALU_DEP_1)
	v_fmac_f32_e32 v19, v38, v44
	v_dual_fmac_f32 v19, v40, v18 :: v_dual_lshlrev_b32 v18, 16, v61
	s_delay_alu instid0(VALU_DEP_1) | instskip(SKIP_1) | instid1(VALU_DEP_2)
	v_fmac_f32_e32 v19, v42, v25
	v_and_b32_e32 v41, 0xffff0000, v41
	v_dual_fmac_f32 v65, v81, v18 :: v_dual_add_f32 v18, v64, v19
	s_delay_alu instid0(VALU_DEP_2) | instskip(SKIP_2) | instid1(VALU_DEP_2)
	v_fmac_f32_e32 v20, v41, v23
	s_wait_alu 0xf1ff
	v_cndmask_b32_e64 v19, v5, v15, s4
	v_fmac_f32_e32 v20, v17, v21
	s_delay_alu instid0(VALU_DEP_2) | instskip(NEXT) | instid1(VALU_DEP_1)
	v_dual_add_f32 v17, v18, v65 :: v_dual_lshlrev_b32 v18, 2, v19
	v_add_f32_e32 v17, v20, v17
	ds_bpermute_b32 v18, v18, v17
	s_and_saveexec_b32 s38, s3
	s_cbranch_execz .LBB155_11
; %bb.19:                               ;   in Loop: Header=BB155_13 Depth=1
	s_wait_dscnt 0x0
	v_add_f32_e32 v17, v17, v18
	v_add_nc_u32_e32 v19, v12, v11
	s_delay_alu instid0(VALU_DEP_1) | instskip(NEXT) | instid1(VALU_DEP_1)
	v_cvt_f32_i32_e32 v19, v19
	v_mul_f32_e32 v19, s15, v19
	s_delay_alu instid0(VALU_DEP_1) | instskip(NEXT) | instid1(VALU_DEP_1)
	v_dual_cndmask_b32 v18, 0, v19 :: v_dual_max_num_f32 v19, v6, v6
	v_dual_fmac_f32 v18, s7, v17 :: v_dual_add_nc_u32 v17, v7, v11
	s_delay_alu instid0(VALU_DEP_1) | instskip(NEXT) | instid1(VALU_DEP_2)
	v_max_num_f32_e32 v19, v19, v18
	v_cmp_gt_i32_e64 s4, s31, v17
	s_wait_alu 0xf1ff
	s_delay_alu instid0(VALU_DEP_1) | instskip(NEXT) | instid1(VALU_DEP_3)
	v_cndmask_b32_e64 v17, 0, v18, s4
	v_cndmask_b32_e64 v6, v6, v19, s4
	ds_store_b32 v13, v17
	s_branch .LBB155_11
.LBB155_20:
	s_or_b32 exec_lo, exec_lo, s28
.LBB155_21:
	s_delay_alu instid0(SALU_CYCLE_1)
	s_or_b32 exec_lo, exec_lo, s6
	v_xor_b32_e32 v1, 16, v5
	v_xor_b32_e32 v2, 8, v5
	;; [unrolled: 1-line block ×3, first 2 shown]
	s_clause 0x2
	s_load_b128 s[4:7], s[0:1], 0x0
	s_load_b64 s[14:15], s[0:1], 0x10
	s_load_b64 s[28:29], s[0:1], 0x28
	v_and_b32_e32 v36, 31, v0
	v_cmp_gt_i32_e32 vcc_lo, 32, v1
	s_wait_alu 0xfffd
	v_dual_max_num_f32 v8, v6, v6 :: v_dual_cndmask_b32 v1, v5, v1
	v_cmp_gt_i32_e32 vcc_lo, 32, v2
	s_wait_alu 0xfffd
	s_delay_alu instid0(VALU_DEP_2) | instskip(SKIP_3) | instid1(VALU_DEP_1)
	v_dual_cndmask_b32 v2, v5, v2 :: v_dual_lshlrev_b32 v7, 2, v1
	ds_bpermute_b32 v1, v7, v6
	s_wait_dscnt 0x0
	v_dual_max_num_f32 v1, v1, v1 :: v_dual_lshlrev_b32 v6, 2, v2
	v_max_num_f32_e32 v1, v8, v1
	v_xor_b32_e32 v8, 4, v5
	s_delay_alu instid0(VALU_DEP_1)
	v_cmp_gt_i32_e32 vcc_lo, 32, v8
	s_wait_alu 0xfffd
	v_cndmask_b32_e32 v8, v5, v8, vcc_lo
	ds_bpermute_b32 v2, v6, v1
	v_cmp_gt_i32_e32 vcc_lo, 32, v9
	s_wait_alu 0xfffd
	v_cndmask_b32_e32 v9, v5, v9, vcc_lo
	v_cmp_eq_u32_e32 vcc_lo, 0, v36
	s_wait_dscnt 0x0
	v_max_num_f32_e32 v2, v2, v2
	s_delay_alu instid0(VALU_DEP_1) | instskip(SKIP_3) | instid1(VALU_DEP_1)
	v_dual_max_num_f32 v1, v1, v2 :: v_dual_lshlrev_b32 v8, 2, v8
	ds_bpermute_b32 v2, v8, v1
	s_wait_dscnt 0x0
	v_max_num_f32_e32 v2, v2, v2
	v_dual_max_num_f32 v1, v1, v2 :: v_dual_lshlrev_b32 v2, 2, v9
	v_lshlrev_b32_e32 v9, 2, v33
	ds_bpermute_b32 v10, v2, v1
	s_and_saveexec_b32 s0, vcc_lo
	s_cbranch_execz .LBB155_23
; %bb.22:
	s_wait_dscnt 0x0
	v_dual_max_num_f32 v10, v10, v10 :: v_dual_max_num_f32 v1, v1, v1
	s_delay_alu instid0(VALU_DEP_1)
	v_max_num_f32_e32 v1, v1, v10
	ds_store_b32 v9, v1 offset:160
.LBB155_23:
	s_or_b32 exec_lo, exec_lo, s0
	v_cmp_gt_u32_e64 s0, 4, v36
	s_wait_dscnt 0x0
	v_dual_mov_b32 v1, 0xff7fffff :: v_dual_lshlrev_b32 v10, 2, v36
	s_wait_loadcnt 0x0
	s_barrier_signal -1
	s_barrier_wait -1
	global_inv scope:SCOPE_SE
	s_and_saveexec_b32 s1, s0
; %bb.24:
	ds_load_b32 v1, v10 offset:160
; %bb.25:
	s_or_b32 exec_lo, exec_lo, s1
	s_wait_dscnt 0x0
	ds_bpermute_b32 v11, v2, v1
	v_xor_b32_e32 v12, 1, v5
	v_max_num_f32_e32 v1, v1, v1
	s_delay_alu instid0(VALU_DEP_2) | instskip(NEXT) | instid1(VALU_DEP_1)
	v_cmp_gt_i32_e64 s1, 32, v12
	v_cndmask_b32_e64 v5, v5, v12, s1
	s_sub_co_i32 s1, s19, s36
	s_wait_alu 0xfffe
	s_lshl_b32 s1, s1, 4
	s_delay_alu instid0(VALU_DEP_1)
	v_lshlrev_b32_e32 v37, 2, v5
	s_wait_alu 0xfffe
	s_add_co_i32 s1, s1, s33
	s_wait_alu 0xfffe
	s_min_i32 s1, s1, s31
	s_wait_dscnt 0x0
	v_max_num_f32_e32 v11, v11, v11
	s_wait_alu 0xfffe
	s_sub_co_i32 s27, s1, s33
	s_wait_alu 0xfffe
	v_cmp_gt_i32_e64 s1, s27, v0
	v_max_num_f32_e32 v1, v1, v11
	v_mov_b32_e32 v11, 0
	ds_bpermute_b32 v5, v37, v1
	s_wait_dscnt 0x0
	v_max_num_f32_e32 v5, v5, v5
	s_delay_alu instid0(VALU_DEP_1)
	v_max_num_f32_e32 v1, v1, v5
	v_lshl_add_u32 v5, v0, 2, 0xc0
	ds_bpermute_b32 v1, v11, v1
	s_and_saveexec_b32 s33, s1
	s_cbranch_execz .LBB155_29
; %bb.26:
	v_lshl_add_u32 v12, v0, 2, 0xc0
	v_mov_b32_e32 v11, 0
	v_mov_b32_e32 v13, v0
	s_mov_b32 s36, 0
.LBB155_27:                             ; =>This Inner Loop Header: Depth=1
	ds_load_b32 v14, v12
	v_add_nc_u32_e32 v13, 0x80, v13
	s_delay_alu instid0(VALU_DEP_1) | instskip(SKIP_4) | instid1(VALU_DEP_1)
	v_cmp_le_i32_e64 s3, s27, v13
	s_wait_alu 0xfffe
	s_or_b32 s36, s3, s36
	s_wait_dscnt 0x0
	v_sub_f32_e32 v14, v14, v1
	v_mul_f32_e32 v14, 0x3fb8aa3b, v14
	s_delay_alu instid0(VALU_DEP_1)
	v_exp_f32_e32 v14, v14
	ds_store_b32 v12, v14
	v_dual_add_f32 v11, v11, v14 :: v_dual_add_nc_u32 v12, 0x200, v12
	s_wait_alu 0xfffe
	s_and_not1_b32 exec_lo, exec_lo, s36
	s_cbranch_execnz .LBB155_27
; %bb.28:
	s_or_b32 exec_lo, exec_lo, s36
.LBB155_29:
	s_wait_alu 0xfffe
	s_or_b32 exec_lo, exec_lo, s33
	ds_bpermute_b32 v7, v7, v11
	s_wait_dscnt 0x0
	v_add_f32_e32 v7, v11, v7
	ds_bpermute_b32 v6, v6, v7
	s_wait_dscnt 0x0
	v_add_f32_e32 v6, v7, v6
	;; [unrolled: 3-line block ×5, first 2 shown]
	s_and_saveexec_b32 s3, vcc_lo
; %bb.30:
	ds_store_b32 v9, v6 offset:176
; %bb.31:
	s_wait_alu 0xfffe
	s_or_b32 exec_lo, exec_lo, s3
	s_wait_loadcnt_dscnt 0x0
	s_barrier_signal -1
	s_barrier_wait -1
	global_inv scope:SCOPE_SE
	s_and_saveexec_b32 s3, s0
; %bb.32:
	ds_load_b32 v6, v10 offset:176
; %bb.33:
	s_wait_alu 0xfffe
	s_or_b32 exec_lo, exec_lo, s3
	s_wait_dscnt 0x0
	ds_bpermute_b32 v2, v2, v6
	s_wait_dscnt 0x0
	v_add_f32_e32 v2, v6, v2
	ds_bpermute_b32 v6, v37, v2
	s_wait_dscnt 0x0
	v_add_f32_e32 v2, v2, v6
	v_mov_b32_e32 v6, 0
	ds_bpermute_b32 v2, v6, v2
	s_and_saveexec_b32 s0, s1
	s_cbranch_execz .LBB155_36
; %bb.34:
	s_wait_dscnt 0x0
	v_add_f32_e32 v6, 0x358637bd, v2
	s_mov_b32 s1, 0
	s_delay_alu instid0(VALU_DEP_1) | instskip(SKIP_1) | instid1(VALU_DEP_2)
	v_div_scale_f32 v7, null, v6, v6, 1.0
	v_div_scale_f32 v10, vcc_lo, 1.0, v6, 1.0
	v_rcp_f32_e32 v8, v7
	s_delay_alu instid0(TRANS32_DEP_1) | instskip(NEXT) | instid1(VALU_DEP_1)
	v_fma_f32 v9, -v7, v8, 1.0
	v_fmac_f32_e32 v8, v9, v8
	s_delay_alu instid0(VALU_DEP_1) | instskip(NEXT) | instid1(VALU_DEP_1)
	v_mul_f32_e32 v9, v10, v8
	v_fma_f32 v11, -v7, v9, v10
	s_delay_alu instid0(VALU_DEP_1) | instskip(NEXT) | instid1(VALU_DEP_1)
	v_fmac_f32_e32 v9, v11, v8
	v_fma_f32 v7, -v7, v9, v10
	s_wait_alu 0xfffd
	s_delay_alu instid0(VALU_DEP_1) | instskip(NEXT) | instid1(VALU_DEP_1)
	v_div_fmas_f32 v7, v7, v8, v9
	v_div_fixup_f32 v6, v7, v6, 1.0
	v_mov_b32_e32 v7, v0
.LBB155_35:                             ; =>This Inner Loop Header: Depth=1
	ds_load_b32 v8, v5
	s_wait_dscnt 0x0
	v_dual_mul_f32 v8, v6, v8 :: v_dual_add_nc_u32 v7, 0x80, v7
	s_delay_alu instid0(VALU_DEP_1)
	v_cmp_le_i32_e32 vcc_lo, s27, v7
	ds_store_b32 v5, v8
	v_add_nc_u32_e32 v5, 0x200, v5
	s_wait_alu 0xfffe
	s_or_b32 s1, vcc_lo, s1
	s_wait_alu 0xfffe
	s_and_not1_b32 exec_lo, exec_lo, s1
	s_cbranch_execnz .LBB155_35
.LBB155_36:
	s_wait_alu 0xfffe
	s_or_b32 exec_lo, exec_lo, s0
	s_mul_i32 s0, s8, s20
	s_wait_loadcnt_dscnt 0x0
	s_wait_alu 0xfffe
	s_mul_i32 s20, s0, s21
	s_mov_b32 s0, exec_lo
	s_barrier_signal -1
	s_barrier_wait -1
	global_inv scope:SCOPE_SE
	v_cmpx_eq_u32_e32 0, v0
	s_cbranch_execz .LBB155_38
; %bb.37:
	s_ashr_i32 s21, s20, 31
	s_wait_alu 0xfffe
	s_mul_i32 s36, s8, ttmp9
	s_lshl_b32 s1, s30, 2
	s_lshl_b64 s[38:39], s[20:21], 2
	s_wait_alu 0xfffe
	s_ashr_i32 s37, s36, 31
	v_mov_b32_e32 v5, s1
	s_wait_kmcnt 0x0
	s_add_nc_u64 s[6:7], s[6:7], s[38:39]
	s_wait_alu 0xfffe
	s_lshl_b64 s[36:37], s[36:37], 2
	s_add_nc_u64 s[4:5], s[4:5], s[38:39]
	s_wait_alu 0xfffe
	s_add_nc_u64 s[6:7], s[6:7], s[36:37]
	s_add_nc_u64 s[4:5], s[4:5], s[36:37]
	s_clause 0x1
	global_store_b32 v5, v1, s[6:7]
	global_store_b32 v5, v2, s[4:5]
.LBB155_38:
	s_wait_alu 0xfffe
	s_or_b32 exec_lo, exec_lo, s0
	v_dual_mov_b32 v42, 0 :: v_dual_mov_b32 v41, 0
	v_dual_mov_b32 v40, 0 :: v_dual_mov_b32 v39, 0
	v_mov_b32_e32 v38, 0
	s_and_saveexec_b32 s1, s2
	s_cbranch_execz .LBB155_54
; %bb.39:
	s_abs_i32 s2, s10
	v_dual_mov_b32 v39, 0 :: v_dual_lshlrev_b32 v2, 4, v0
	s_wait_alu 0xfffe
	s_cvt_f32_u32 s0, s2
	s_ashr_i32 s27, s26, 31
	s_lshl_b64 s[24:25], s[24:25], 2
	v_dual_mov_b32 v41, 0 :: v_dual_and_b32 v2, 0x1f0, v2
	s_wait_alu 0xfffe
	v_rcp_iflag_f32_e32 v1, s0
	s_lshl_b64 s[26:27], s[26:27], 1
	s_add_nc_u64 s[22:23], s[22:23], s[24:25]
	s_wait_kmcnt 0x0
	s_wait_alu 0xfffe
	s_add_nc_u64 s[24:25], s[28:29], s[26:27]
	s_sub_co_i32 s3, s35, s9
	v_add_co_u32 v44, s9, s24, v2
	s_sub_co_i32 s7, 0, s2
	v_mov_b32_e32 v40, 0
	v_add_co_ci_u32_e64 v45, null, s25, 0, s9
	v_readfirstlane_b32 s0, v1
	v_lshlrev_b32_e32 v1, 5, v32
	v_add_co_u32 v29, s9, s22, v4
	v_dual_mov_b32 v38, 0 :: v_dual_and_b32 v43, 8, v3
	s_delay_alu instid0(VALU_DEP_4) | instskip(NEXT) | instid1(VALU_DEP_3)
	s_mul_f32 s0, s0, 0x4f7ffffe
	v_lshl_or_b32 v1, v33, 6, v1
	v_add_co_ci_u32_e64 v30, null, s23, 0, s9
	s_wait_alu 0xfffe
	s_cvt_u32_f32 s0, s0
	v_mov_b32_e32 v42, 0
	v_add_nc_u32_e32 v46, 0xc0, v1
	s_mov_b32 s4, s13
	s_wait_alu 0xfffe
	s_mul_i32 s7, s7, s0
	s_add_co_i32 s5, s34, -1
	s_wait_alu 0xfffe
	s_mul_hi_u32 s9, s0, s7
	s_mov_b32 s6, 0
	s_mov_b32 s7, s31
	s_wait_alu 0xfffe
	s_add_co_i32 s9, s0, s9
	s_branch .LBB155_42
.LBB155_40:                             ;   in Loop: Header=BB155_42 Depth=1
	s_wait_alu 0xfffe
	s_or_b32 exec_lo, exec_lo, s0
	s_wait_dscnt 0x1
	v_bfe_u32 v47, v21, 16, 1
	v_bfe_u32 v48, v22, 16, 1
	v_or_b32_e32 v49, 0x400000, v21
	v_cmp_u_f32_e32 vcc_lo, v21, v21
	v_or_b32_e32 v50, 0x400000, v22
	v_add3_u32 v47, v47, v21, 0x7fff
	v_bfe_u32 v51, v23, 16, 1
	v_add3_u32 v48, v48, v22, 0x7fff
	v_bfe_u32 v52, v24, 16, 1
	s_wait_loadcnt 0x1
	s_wait_alu 0xfffd
	v_dual_cndmask_b32 v21, v47, v49 :: v_dual_and_b32 v54, 0xffff0000, v28
	v_cmp_u_f32_e32 vcc_lo, v22, v22
	v_add3_u32 v47, v51, v23, 0x7fff
	v_add3_u32 v49, v52, v24, 0x7fff
	s_wait_dscnt 0x0
	v_bfe_u32 v51, v17, 16, 1
	s_wait_alu 0xfffd
	v_cndmask_b32_e32 v22, v48, v50, vcc_lo
	v_or_b32_e32 v48, 0x400000, v23
	v_cmp_u_f32_e32 vcc_lo, v23, v23
	v_or_b32_e32 v50, 0x400000, v24
	s_wait_alu 0xfffd
	s_delay_alu instid0(VALU_DEP_3)
	v_cndmask_b32_e32 v23, v47, v48, vcc_lo
	v_cmp_u_f32_e32 vcc_lo, v24, v24
	v_bfe_u32 v47, v18, 16, 1
	v_add3_u32 v48, v51, v17, 0x7fff
	v_bfe_u32 v51, v19, 16, 1
	s_wait_alu 0xfffd
	v_cndmask_b32_e32 v24, v49, v50, vcc_lo
	v_or_b32_e32 v49, 0x400000, v17
	v_cmp_u_f32_e32 vcc_lo, v17, v17
	v_add3_u32 v47, v47, v18, 0x7fff
	v_or_b32_e32 v50, 0x400000, v18
	s_wait_alu 0xfffd
	v_cndmask_b32_e32 v48, v48, v49, vcc_lo
	v_cmp_u_f32_e32 vcc_lo, v18, v18
	v_add3_u32 v18, v51, v19, 0x7fff
	v_bfe_u32 v49, v20, 16, 1
	v_or_b32_e32 v51, 0x400000, v20
	s_wait_alu 0xfffd
	v_cndmask_b32_e32 v47, v47, v50, vcc_lo
	v_or_b32_e32 v50, 0x400000, v19
	v_cmp_u_f32_e32 vcc_lo, v19, v19
	v_add3_u32 v49, v49, v20, 0x7fff
	s_wait_alu 0xfffd
	s_delay_alu instid0(VALU_DEP_3)
	v_cndmask_b32_e32 v50, v18, v50, vcc_lo
	v_cmp_u_f32_e32 vcc_lo, v20, v20
	v_and_b32_e32 v17, 0xffff0000, v22
	v_and_b32_e32 v18, 0xffff0000, v24
	;; [unrolled: 1-line block ×4, first 2 shown]
	s_wait_alu 0xfffd
	s_delay_alu instid0(VALU_DEP_2) | instskip(NEXT) | instid1(VALU_DEP_2)
	v_dual_cndmask_b32 v20, v49, v51 :: v_dual_mul_f32 v53, v18, v24
	v_dual_mul_f32 v22, v17, v22 :: v_dual_and_b32 v21, 0xffff0000, v21
	v_and_b32_e32 v24, 0xffff0000, v23
	v_lshlrev_b32_e32 v23, 16, v26
	s_delay_alu instid0(VALU_DEP_3) | instskip(SKIP_2) | instid1(VALU_DEP_3)
	v_bfe_u32 v19, v22, 16, 1
	v_or_b32_e32 v51, 0x400000, v22
	v_cmp_u_f32_e32 vcc_lo, v22, v22
	v_add3_u32 v19, v19, v22, 0x7fff
	v_lshlrev_b32_e32 v25, 16, v25
	v_and_b32_e32 v22, 0xffff0000, v48
	s_wait_alu 0xfffd
	s_delay_alu instid0(VALU_DEP_2) | instskip(NEXT) | instid1(VALU_DEP_1)
	v_dual_cndmask_b32 v26, v19, v51 :: v_dual_mul_f32 v25, v21, v25
	v_and_b32_e32 v26, 0xffff0000, v26
	s_delay_alu instid0(VALU_DEP_2) | instskip(SKIP_2) | instid1(VALU_DEP_3)
	v_bfe_u32 v49, v25, 16, 1
	v_or_b32_e32 v52, 0x400000, v25
	v_cmp_u_f32_e32 vcc_lo, v25, v25
	v_add3_u32 v49, v49, v25, 0x7fff
	s_wait_alu 0xfffd
	s_delay_alu instid0(VALU_DEP_1) | instskip(SKIP_2) | instid1(VALU_DEP_3)
	v_cndmask_b32_e32 v25, v49, v52, vcc_lo
	v_bfe_u32 v49, v53, 16, 1
	v_cmp_u_f32_e32 vcc_lo, v53, v53
	v_and_b32_e32 v25, 0xffff0000, v25
	s_delay_alu instid0(VALU_DEP_3) | instskip(SKIP_1) | instid1(VALU_DEP_3)
	v_add3_u32 v48, v49, v53, 0x7fff
	v_or_b32_e32 v49, 0x400000, v53
	v_dual_add_f32 v25, v25, v26 :: v_dual_lshlrev_b32 v28, 16, v28
	s_wait_alu 0xfffd
	s_delay_alu instid0(VALU_DEP_2) | instskip(NEXT) | instid1(VALU_DEP_1)
	v_cndmask_b32_e32 v48, v48, v49, vcc_lo
	v_dual_mul_f32 v23, v24, v23 :: v_dual_and_b32 v48, 0xffff0000, v48
	s_delay_alu instid0(VALU_DEP_1) | instskip(SKIP_1) | instid1(VALU_DEP_2)
	v_bfe_u32 v51, v23, 16, 1
	v_cmp_u_f32_e32 vcc_lo, v23, v23
	v_add3_u32 v49, v51, v23, 0x7fff
	v_or_b32_e32 v51, 0x400000, v23
	v_and_b32_e32 v20, 0xffff0000, v20
	v_and_b32_e32 v23, 0xffff0000, v50
	s_wait_alu 0xfffd
	s_delay_alu instid0(VALU_DEP_3) | instskip(NEXT) | instid1(VALU_DEP_3)
	v_cndmask_b32_e32 v49, v49, v51, vcc_lo
	v_dual_mul_f32 v54, v20, v54 :: v_dual_and_b32 v19, 0xffff0000, v47
	s_delay_alu instid0(VALU_DEP_3) | instskip(NEXT) | instid1(VALU_DEP_3)
	v_dual_mul_f32 v28, v23, v28 :: v_dual_and_b32 v47, 0xffff0000, v27
	v_and_b32_e32 v49, 0xffff0000, v49
	v_lshlrev_b32_e32 v27, 16, v27
	s_delay_alu instid0(VALU_DEP_4) | instskip(NEXT) | instid1(VALU_DEP_3)
	v_bfe_u32 v55, v54, 16, 1
	v_dual_mul_f32 v47, v19, v47 :: v_dual_add_f32 v26, v49, v48
	s_delay_alu instid0(VALU_DEP_3) | instskip(NEXT) | instid1(VALU_DEP_2)
	v_dual_mul_f32 v27, v22, v27 :: v_dual_and_b32 v48, 0xffff0000, v13
	v_bfe_u32 v52, v47, 16, 1
	v_cmp_u_f32_e32 vcc_lo, v47, v47
	s_delay_alu instid0(VALU_DEP_4) | instskip(NEXT) | instid1(VALU_DEP_4)
	v_add_f32_e32 v25, v26, v25
	v_bfe_u32 v53, v27, 16, 1
	v_or_b32_e32 v50, 0x400000, v27
	v_add3_u32 v51, v52, v47, 0x7fff
	v_or_b32_e32 v52, 0x400000, v47
	v_mul_f32_e32 v26, v17, v48
	v_add3_u32 v53, v53, v27, 0x7fff
	v_lshlrev_b32_e32 v13, 16, v13
	s_wait_alu 0xfffd
	v_cndmask_b32_e32 v47, v51, v52, vcc_lo
	v_cmp_u_f32_e32 vcc_lo, v27, v27
	v_or_b32_e32 v51, 0x400000, v54
	v_bfe_u32 v52, v28, 16, 1
	v_bfe_u32 v49, v26, 16, 1
	s_wait_alu 0xfffd
	v_cndmask_b32_e32 v27, v53, v50, vcc_lo
	v_add3_u32 v50, v55, v54, 0x7fff
	v_cmp_u_f32_e32 vcc_lo, v54, v54
	s_wait_alu 0xfffd
	s_delay_alu instid0(VALU_DEP_2) | instskip(SKIP_3) | instid1(VALU_DEP_4)
	v_cndmask_b32_e32 v50, v50, v51, vcc_lo
	v_add3_u32 v51, v52, v28, 0x7fff
	v_or_b32_e32 v52, 0x400000, v28
	v_cmp_u_f32_e32 vcc_lo, v28, v28
	v_and_b32_e32 v48, 0xffff0000, v50
	v_and_b32_e32 v50, 0xffff0000, v14
	v_lshlrev_b32_e32 v14, 16, v14
	s_wait_alu 0xfffd
	v_dual_cndmask_b32 v28, v51, v52 :: v_dual_and_b32 v47, 0xffff0000, v47
	v_cmp_u_f32_e32 vcc_lo, v26, v26
	s_delay_alu instid0(VALU_DEP_3) | instskip(SKIP_1) | instid1(VALU_DEP_4)
	v_dual_mul_f32 v14, v24, v14 :: v_dual_and_b32 v27, 0xffff0000, v27
	v_and_b32_e32 v51, 0xffff0000, v16
	v_and_b32_e32 v28, 0xffff0000, v28
	s_delay_alu instid0(VALU_DEP_3) | instskip(NEXT) | instid1(VALU_DEP_1)
	v_dual_add_f32 v27, v27, v47 :: v_dual_lshlrev_b32 v16, 16, v16
	v_dual_mul_f32 v47, v21, v13 :: v_dual_mul_f32 v16, v23, v16
	s_delay_alu instid0(VALU_DEP_2) | instskip(NEXT) | instid1(VALU_DEP_2)
	v_add_f32_e32 v13, v27, v25
	v_bfe_u32 v27, v47, 16, 1
	v_add_f32_e32 v25, v28, v48
	v_add3_u32 v28, v49, v26, 0x7fff
	v_or_b32_e32 v48, 0x400000, v26
	v_mul_f32_e32 v49, v18, v50
	v_add3_u32 v27, v27, v47, 0x7fff
	v_or_b32_e32 v50, 0x400000, v47
	s_wait_alu 0xfffd
	v_cndmask_b32_e32 v26, v28, v48, vcc_lo
	v_bfe_u32 v28, v49, 16, 1
	v_cmp_u_f32_e32 vcc_lo, v47, v47
	v_and_b32_e32 v47, 0xffff0000, v15
	v_or_b32_e32 v48, 0x400000, v49
	v_and_b32_e32 v26, 0xffff0000, v26
	v_add3_u32 v28, v28, v49, 0x7fff
	s_wait_alu 0xfffd
	v_cndmask_b32_e32 v27, v27, v50, vcc_lo
	v_bfe_u32 v50, v14, 16, 1
	v_cmp_u_f32_e32 vcc_lo, v49, v49
	v_mul_f32_e32 v47, v19, v47
	v_or_b32_e32 v49, 0x400000, v14
	s_wait_alu 0xfffd
	v_cndmask_b32_e32 v28, v28, v48, vcc_lo
	v_add3_u32 v48, v50, v14, 0x7fff
	v_cmp_u_f32_e32 vcc_lo, v14, v14
	v_bfe_u32 v50, v47, 16, 1
	s_delay_alu instid0(VALU_DEP_4)
	v_and_b32_e32 v28, 0xffff0000, v28
	s_wait_alu 0xfffd
	v_cndmask_b32_e32 v14, v48, v49, vcc_lo
	v_mul_f32_e32 v49, v20, v51
	v_add3_u32 v48, v50, v47, 0x7fff
	v_or_b32_e32 v50, 0x400000, v47
	v_cmp_u_f32_e32 vcc_lo, v47, v47
	v_and_b32_e32 v14, 0xffff0000, v14
	v_bfe_u32 v53, v49, 16, 1
	v_and_b32_e32 v27, 0xffff0000, v27
	s_wait_alu 0xfffd
	v_cndmask_b32_e32 v47, v48, v50, vcc_lo
	v_or_b32_e32 v50, 0x400000, v49
	v_add3_u32 v48, v53, v49, 0x7fff
	v_dual_add_f32 v14, v14, v28 :: v_dual_lshlrev_b32 v15, 16, v15
	v_add_f32_e32 v26, v27, v26
	v_and_b32_e32 v28, 0xffff0000, v9
	v_and_b32_e32 v27, 0xffff0000, v47
	s_delay_alu instid0(VALU_DEP_4) | instskip(NEXT) | instid1(VALU_DEP_4)
	v_mul_f32_e32 v15, v22, v15
	v_dual_add_f32 v14, v14, v26 :: v_dual_lshlrev_b32 v9, 16, v9
	s_delay_alu instid0(VALU_DEP_4) | instskip(SKIP_1) | instid1(VALU_DEP_4)
	v_mul_f32_e32 v26, v17, v28
	v_and_b32_e32 v28, 0xffff0000, v10
	v_bfe_u32 v52, v15, 16, 1
	v_cmp_u_f32_e32 vcc_lo, v15, v15
	v_mul_f32_e32 v9, v21, v9
	v_bfe_u32 v47, v26, 16, 1
	s_delay_alu instid0(VALU_DEP_4) | instskip(SKIP_2) | instid1(VALU_DEP_1)
	v_add3_u32 v51, v52, v15, 0x7fff
	v_or_b32_e32 v52, 0x400000, v15
	s_wait_alu 0xfffd
	v_cndmask_b32_e32 v15, v51, v52, vcc_lo
	v_bfe_u32 v51, v16, 16, 1
	v_cmp_u_f32_e32 vcc_lo, v49, v49
	s_delay_alu instid0(VALU_DEP_2)
	v_add3_u32 v49, v51, v16, 0x7fff
	s_wait_alu 0xfffd
	v_cndmask_b32_e32 v48, v48, v50, vcc_lo
	v_or_b32_e32 v50, 0x400000, v16
	v_cmp_u_f32_e32 vcc_lo, v16, v16
	s_wait_alu 0xfffd
	s_delay_alu instid0(VALU_DEP_2) | instskip(NEXT) | instid1(VALU_DEP_1)
	v_dual_cndmask_b32 v16, v49, v50 :: v_dual_and_b32 v15, 0xffff0000, v15
	v_add_f32_e32 v15, v15, v27
	v_cmp_u_f32_e32 vcc_lo, v26, v26
	s_delay_alu instid0(VALU_DEP_3) | instskip(NEXT) | instid1(VALU_DEP_3)
	v_and_b32_e32 v16, 0xffff0000, v16
	v_dual_add_f32 v14, v15, v14 :: v_dual_and_b32 v27, 0xffff0000, v48
	v_bfe_u32 v15, v9, 16, 1
	v_or_b32_e32 v48, 0x400000, v9
	s_delay_alu instid0(VALU_DEP_3) | instskip(SKIP_3) | instid1(VALU_DEP_4)
	v_dual_add_f32 v16, v16, v27 :: v_dual_mul_f32 v27, v18, v28
	v_add3_u32 v28, v47, v26, 0x7fff
	v_or_b32_e32 v47, 0x400000, v26
	v_add3_u32 v15, v15, v9, 0x7fff
	v_bfe_u32 v49, v27, 16, 1
	s_wait_alu 0xfffd
	s_delay_alu instid0(VALU_DEP_3)
	v_cndmask_b32_e32 v26, v28, v47, vcc_lo
	v_cmp_u_f32_e32 vcc_lo, v9, v9
	v_lshlrev_b32_e32 v10, 16, v10
	v_or_b32_e32 v28, 0x400000, v27
	v_and_b32_e32 v47, 0xffff0000, v11
	s_wait_alu 0xfffd
	s_delay_alu instid0(VALU_DEP_3) | instskip(SKIP_3) | instid1(VALU_DEP_4)
	v_dual_cndmask_b32 v9, v15, v48 :: v_dual_mul_f32 v10, v24, v10
	v_add3_u32 v15, v49, v27, 0x7fff
	v_cmp_u_f32_e32 vcc_lo, v27, v27
	v_mul_f32_e32 v27, v19, v47
	v_bfe_u32 v48, v10, 16, 1
	v_or_b32_e32 v47, 0x400000, v10
	s_wait_alu 0xfffd
	v_cndmask_b32_e32 v15, v15, v28, vcc_lo
	v_cmp_u_f32_e32 vcc_lo, v10, v10
	v_add3_u32 v28, v48, v10, 0x7fff
	v_and_b32_e32 v48, 0xffff0000, v12
	v_lshlrev_b32_e32 v11, 16, v11
	v_bfe_u32 v49, v27, 16, 1
	v_lshlrev_b32_e32 v12, 16, v12
	s_wait_alu 0xfffd
	v_cndmask_b32_e32 v10, v28, v47, vcc_lo
	v_dual_mul_f32 v28, v20, v48 :: v_dual_mul_f32 v11, v22, v11
	v_add3_u32 v47, v49, v27, 0x7fff
	v_or_b32_e32 v48, 0x400000, v27
	v_cmp_u_f32_e32 vcc_lo, v27, v27
	s_delay_alu instid0(VALU_DEP_4)
	v_bfe_u32 v51, v28, 16, 1
	v_bfe_u32 v50, v11, 16, 1
	v_dual_mul_f32 v12, v23, v12 :: v_dual_and_b32 v15, 0xffff0000, v15
	s_wait_alu 0xfffd
	v_cndmask_b32_e32 v27, v47, v48, vcc_lo
	v_cmp_u_f32_e32 vcc_lo, v11, v11
	v_add3_u32 v49, v50, v11, 0x7fff
	v_or_b32_e32 v50, 0x400000, v11
	v_and_b32_e32 v10, 0xffff0000, v10
	v_add3_u32 v47, v51, v28, 0x7fff
	v_or_b32_e32 v48, 0x400000, v28
	s_wait_alu 0xfffd
	v_cndmask_b32_e32 v11, v49, v50, vcc_lo
	v_cmp_u_f32_e32 vcc_lo, v28, v28
	v_dual_add_f32 v10, v10, v15 :: v_dual_and_b32 v9, 0xffff0000, v9
	v_and_b32_e32 v15, 0xffff0000, v1
	v_and_b32_e32 v26, 0xffff0000, v26
	s_wait_alu 0xfffd
	v_cndmask_b32_e32 v28, v47, v48, vcc_lo
	v_bfe_u32 v47, v12, 16, 1
	v_cmp_u_f32_e32 vcc_lo, v12, v12
	v_lshlrev_b32_e32 v1, 16, v1
	v_dual_add_f32 v9, v9, v26 :: v_dual_and_b32 v26, 0xffff0000, v27
	s_delay_alu instid0(VALU_DEP_4) | instskip(SKIP_1) | instid1(VALU_DEP_4)
	v_add3_u32 v27, v47, v12, 0x7fff
	v_or_b32_e32 v47, 0x400000, v12
	v_mul_f32_e32 v1, v21, v1
	s_delay_alu instid0(VALU_DEP_4) | instskip(SKIP_1) | instid1(VALU_DEP_3)
	v_dual_add_f32 v9, v10, v9 :: v_dual_mul_f32 v10, v17, v15
	s_wait_alu 0xfffd
	v_dual_cndmask_b32 v12, v27, v47 :: v_dual_and_b32 v27, 0xffff0000, v28
	s_delay_alu instid0(VALU_DEP_3) | instskip(NEXT) | instid1(VALU_DEP_3)
	v_bfe_u32 v28, v1, 16, 1
	v_bfe_u32 v15, v10, 16, 1
	v_cmp_u_f32_e32 vcc_lo, v10, v10
	s_delay_alu instid0(VALU_DEP_4) | instskip(SKIP_1) | instid1(VALU_DEP_4)
	v_and_b32_e32 v12, 0xffff0000, v12
	v_or_b32_e32 v47, 0x400000, v1
	v_add3_u32 v15, v15, v10, 0x7fff
	v_and_b32_e32 v11, 0xffff0000, v11
	s_delay_alu instid0(VALU_DEP_1) | instskip(SKIP_1) | instid1(VALU_DEP_2)
	v_add_f32_e32 v11, v11, v26
	v_or_b32_e32 v26, 0x400000, v10
	v_add_f32_e32 v9, v11, v9
	s_wait_alu 0xfffd
	s_delay_alu instid0(VALU_DEP_2)
	v_cndmask_b32_e32 v10, v15, v26, vcc_lo
	v_add3_u32 v26, v28, v1, 0x7fff
	v_and_b32_e32 v28, 0xffff0000, v3
	v_and_b32_e32 v11, 0xffff0000, v2
	v_lshlrev_b32_e32 v2, 16, v2
	v_cmp_u_f32_e32 vcc_lo, v1, v1
	v_and_b32_e32 v10, 0xffff0000, v10
	s_delay_alu instid0(VALU_DEP_4) | instskip(SKIP_2) | instid1(VALU_DEP_2)
	v_dual_mul_f32 v28, v19, v28 :: v_dual_mul_f32 v11, v18, v11
	s_wait_alu 0xfffd
	v_dual_mul_f32 v2, v24, v2 :: v_dual_cndmask_b32 v1, v26, v47
	v_or_b32_e32 v49, 0x400000, v28
	s_delay_alu instid0(VALU_DEP_3) | instskip(SKIP_1) | instid1(VALU_DEP_4)
	v_bfe_u32 v15, v11, 16, 1
	v_or_b32_e32 v48, 0x400000, v11
	v_bfe_u32 v26, v2, 16, 1
	v_cmp_u_f32_e32 vcc_lo, v11, v11
	s_delay_alu instid0(VALU_DEP_4) | instskip(NEXT) | instid1(VALU_DEP_3)
	v_add3_u32 v15, v15, v11, 0x7fff
	v_add3_u32 v26, v26, v2, 0x7fff
	s_wait_alu 0xfffd
	s_delay_alu instid0(VALU_DEP_2)
	v_cndmask_b32_e32 v11, v15, v48, vcc_lo
	v_bfe_u32 v15, v28, 16, 1
	v_or_b32_e32 v48, 0x400000, v2
	v_cmp_u_f32_e32 vcc_lo, v2, v2
	v_lshlrev_b32_e32 v3, 16, v3
	v_and_b32_e32 v11, 0xffff0000, v11
	v_add3_u32 v15, v15, v28, 0x7fff
	s_wait_alu 0xfffd
	v_cndmask_b32_e32 v2, v26, v48, vcc_lo
	v_cmp_u_f32_e32 vcc_lo, v28, v28
	s_wait_alu 0xfffd
	s_delay_alu instid0(VALU_DEP_2) | instskip(SKIP_2) | instid1(VALU_DEP_3)
	v_dual_cndmask_b32 v15, v15, v49 :: v_dual_and_b32 v2, 0xffff0000, v2
	v_and_b32_e32 v47, 0xffff0000, v4
	v_dual_mul_f32 v3, v22, v3 :: v_dual_lshlrev_b32 v4, 16, v4
	v_add_f32_e32 v2, v2, v11
	s_delay_alu instid0(VALU_DEP_2) | instskip(NEXT) | instid1(VALU_DEP_3)
	v_dual_mul_f32 v47, v20, v47 :: v_dual_mul_f32 v4, v23, v4
	v_bfe_u32 v26, v3, 16, 1
	v_or_b32_e32 v28, 0x400000, v3
	v_cmp_u_f32_e32 vcc_lo, v3, v3
	s_delay_alu instid0(VALU_DEP_4) | instskip(SKIP_2) | instid1(VALU_DEP_3)
	v_bfe_u32 v48, v47, 16, 1
	v_or_b32_e32 v49, 0x400000, v47
	v_add3_u32 v26, v26, v3, 0x7fff
	v_add3_u32 v48, v48, v47, 0x7fff
	s_wait_alu 0xfffd
	s_delay_alu instid0(VALU_DEP_2)
	v_cndmask_b32_e32 v3, v26, v28, vcc_lo
	v_cmp_u_f32_e32 vcc_lo, v47, v47
	v_bfe_u32 v28, v4, 16, 1
	v_or_b32_e32 v47, 0x400000, v4
	s_wait_alu 0xfffd
	v_cndmask_b32_e32 v26, v48, v49, vcc_lo
	s_delay_alu instid0(VALU_DEP_3)
	v_add3_u32 v28, v28, v4, 0x7fff
	s_wait_loadcnt 0x0
	v_lshlrev_b32_e32 v48, 16, v5
	v_cmp_u_f32_e32 vcc_lo, v4, v4
	v_and_b32_e32 v1, 0xffff0000, v1
	v_and_b32_e32 v3, 0xffff0000, v3
	s_wait_alu 0xfffd
	v_dual_mul_f32 v11, v21, v48 :: v_dual_cndmask_b32 v4, v28, v47
	s_delay_alu instid0(VALU_DEP_3) | instskip(NEXT) | instid1(VALU_DEP_1)
	v_dual_add_f32 v1, v1, v10 :: v_dual_and_b32 v10, 0xffff0000, v15
	v_dual_add_f32 v1, v2, v1 :: v_dual_and_b32 v4, 0xffff0000, v4
	s_delay_alu instid0(VALU_DEP_2)
	v_add_f32_e32 v3, v3, v10
	v_lshlrev_b32_e32 v10, 16, v6
	v_bfe_u32 v2, v11, 16, 1
	v_or_b32_e32 v15, 0x400000, v11
	v_cmp_u_f32_e32 vcc_lo, v11, v11
	v_and_b32_e32 v6, 0xffff0000, v6
	v_mul_f32_e32 v10, v24, v10
	v_add3_u32 v2, v2, v11, 0x7fff
	s_delay_alu instid0(VALU_DEP_3) | instskip(SKIP_2) | instid1(VALU_DEP_2)
	v_dual_mul_f32 v6, v18, v6 :: v_dual_and_b32 v5, 0xffff0000, v5
	v_lshlrev_b32_e32 v18, 16, v7
	s_wait_alu 0xfffd
	v_dual_cndmask_b32 v2, v2, v15 :: v_dual_mul_f32 v5, v17, v5
	v_and_b32_e32 v7, 0xffff0000, v7
	s_delay_alu instid0(VALU_DEP_3) | instskip(NEXT) | instid1(VALU_DEP_3)
	v_dual_add_f32 v1, v3, v1 :: v_dual_mul_f32 v18, v22, v18
	v_and_b32_e32 v2, 0xffff0000, v2
	s_delay_alu instid0(VALU_DEP_4)
	v_bfe_u32 v17, v5, 16, 1
	v_or_b32_e32 v15, 0x400000, v5
	v_cmp_u_f32_e32 vcc_lo, v5, v5
	v_mul_f32_e32 v7, v19, v7
	v_lshlrev_b32_e32 v19, 16, v8
	v_add3_u32 v11, v17, v5, 0x7fff
	v_bfe_u32 v17, v10, 16, 1
	s_wait_alu 0xfffd
	s_delay_alu instid0(VALU_DEP_2) | instskip(NEXT) | instid1(VALU_DEP_2)
	v_dual_cndmask_b32 v5, v11, v15 :: v_dual_and_b32 v8, 0xffff0000, v8
	v_add3_u32 v11, v17, v10, 0x7fff
	v_or_b32_e32 v15, 0x400000, v10
	v_bfe_u32 v17, v6, 16, 1
	v_cmp_u_f32_e32 vcc_lo, v10, v10
	v_mul_f32_e32 v8, v20, v8
	v_or_b32_e32 v20, 0x400000, v7
	s_wait_alu 0xfffd
	v_dual_cndmask_b32 v10, v11, v15 :: v_dual_and_b32 v5, 0xffff0000, v5
	v_add3_u32 v11, v17, v6, 0x7fff
	v_or_b32_e32 v15, 0x400000, v6
	v_bfe_u32 v17, v18, 16, 1
	v_cmp_u_f32_e32 vcc_lo, v6, v6
	v_bfe_u32 v22, v8, 16, 1
	v_and_b32_e32 v10, 0xffff0000, v10
	s_wait_alu 0xfffd
	v_cndmask_b32_e32 v6, v11, v15, vcc_lo
	v_bfe_u32 v11, v7, 16, 1
	v_add3_u32 v15, v17, v18, 0x7fff
	v_mul_f32_e32 v17, v23, v19
	v_or_b32_e32 v19, 0x400000, v18
	v_cmp_u_f32_e32 vcc_lo, v18, v18
	v_add3_u32 v11, v11, v7, 0x7fff
	v_add3_u32 v18, v22, v8, 0x7fff
	v_bfe_u32 v21, v17, 16, 1
	s_wait_alu 0xfffd
	v_dual_cndmask_b32 v15, v15, v19 :: v_dual_and_b32 v6, 0xffff0000, v6
	v_cmp_u_f32_e32 vcc_lo, v7, v7
	v_or_b32_e32 v19, 0x400000, v8
	s_wait_alu 0xfffd
	v_dual_add_f32 v2, v2, v5 :: v_dual_cndmask_b32 v7, v11, v20
	v_cmp_u_f32_e32 vcc_lo, v8, v8
	v_add3_u32 v11, v21, v17, 0x7fff
	v_or_b32_e32 v20, 0x400000, v17
	s_delay_alu instid0(VALU_DEP_4) | instskip(SKIP_3) | instid1(VALU_DEP_3)
	v_dual_add_f32 v5, v10, v6 :: v_dual_and_b32 v6, 0xffff0000, v7
	s_wait_alu 0xfffd
	v_cndmask_b32_e32 v8, v18, v19, vcc_lo
	v_cmp_u_f32_e32 vcc_lo, v17, v17
	v_dual_add_f32 v2, v5, v2 :: v_dual_and_b32 v7, 0xffff0000, v15
	s_wait_alu 0xfffd
	v_dual_cndmask_b32 v10, v11, v20 :: v_dual_and_b32 v11, 0xffff0000, v26
	s_delay_alu instid0(VALU_DEP_2) | instskip(SKIP_1) | instid1(VALU_DEP_3)
	v_dual_add_f32 v5, v7, v6 :: v_dual_and_b32 v6, 0xffff0000, v8
	v_add_f32_e32 v8, v12, v27
	v_add_f32_e32 v3, v4, v11
	s_delay_alu instid0(VALU_DEP_4) | instskip(NEXT) | instid1(VALU_DEP_4)
	v_and_b32_e32 v7, 0xffff0000, v10
	v_add_f32_e32 v2, v5, v2
	v_add_f32_e32 v5, v25, v13
	s_delay_alu instid0(VALU_DEP_4) | instskip(NEXT) | instid1(VALU_DEP_4)
	v_add_f32_e32 v1, v3, v1
	v_add_f32_e32 v4, v7, v6
	;; [unrolled: 1-line block ×7, first 2 shown]
	s_delay_alu instid0(VALU_DEP_4) | instskip(NEXT) | instid1(VALU_DEP_2)
	v_dual_add_f32 v40, v40, v6 :: v_dual_add_f32 v41, v41, v7
	v_add_f32_e32 v38, v38, v2
.LBB155_41:                             ;   in Loop: Header=BB155_42 Depth=1
	s_wait_alu 0xfffe
	s_or_b32 exec_lo, exec_lo, s10
	v_add_nc_u32_e32 v35, 4, v35
	v_add_co_u32 v29, s0, v29, 16
	s_wait_alu 0xf1ff
	v_add_co_ci_u32_e64 v30, null, 0, v30, s0
	s_delay_alu instid0(VALU_DEP_3)
	v_cmp_le_i32_e32 vcc_lo, s19, v35
	v_add_nc_u32_e32 v34, 64, v34
	v_add_nc_u32_e32 v46, 0x100, v46
	s_or_b32 s6, vcc_lo, s6
	s_wait_alu 0xfffe
	s_and_not1_b32 exec_lo, exec_lo, s6
	s_cbranch_execz .LBB155_53
.LBB155_42:                             ; =>This Inner Loop Header: Depth=1
	v_sub_nc_u32_e32 v1, 0, v34
	s_delay_alu instid0(VALU_DEP_1) | instskip(NEXT) | instid1(VALU_DEP_1)
	v_max_i32_e32 v1, v34, v1
	v_mul_hi_u32 v2, v1, s18
	s_delay_alu instid0(VALU_DEP_1) | instskip(NEXT) | instid1(VALU_DEP_1)
	v_mul_lo_u32 v3, v2, s12
	v_sub_nc_u32_e32 v1, v1, v3
	v_add_nc_u32_e32 v3, 1, v2
	s_delay_alu instid0(VALU_DEP_2) | instskip(SKIP_2) | instid1(VALU_DEP_2)
	v_subrev_nc_u32_e32 v4, s12, v1
	v_cmp_le_u32_e32 vcc_lo, s12, v1
	s_wait_alu 0xfffd
	v_dual_cndmask_b32 v2, v2, v3 :: v_dual_cndmask_b32 v1, v1, v4
	v_ashrrev_i32_e32 v3, 31, v34
	s_delay_alu instid0(VALU_DEP_2) | instskip(NEXT) | instid1(VALU_DEP_3)
	v_add_nc_u32_e32 v4, 1, v2
	v_cmp_le_u32_e32 vcc_lo, s12, v1
	s_delay_alu instid0(VALU_DEP_3) | instskip(SKIP_1) | instid1(VALU_DEP_3)
	v_xor_b32_e32 v3, s11, v3
	s_wait_alu 0xfffd
	v_cndmask_b32_e32 v1, v2, v4, vcc_lo
	s_delay_alu instid0(VALU_DEP_1) | instskip(NEXT) | instid1(VALU_DEP_1)
	v_xor_b32_e32 v1, v1, v3
	v_sub_nc_u32_e32 v1, v1, v3
	s_delay_alu instid0(VALU_DEP_1) | instskip(SKIP_1) | instid1(VALU_DEP_2)
	v_add_nc_u32_e32 v2, s17, v1
	v_cmp_lt_i32_e64 s0, s3, v1
	v_sub_nc_u32_e32 v3, 0, v2
	s_delay_alu instid0(VALU_DEP_1) | instskip(SKIP_1) | instid1(VALU_DEP_1)
	v_max_i32_e32 v3, v2, v3
	s_wait_alu 0xfffe
	v_mul_hi_u32 v4, v3, s9
	s_delay_alu instid0(VALU_DEP_1) | instskip(NEXT) | instid1(VALU_DEP_1)
	v_mul_lo_u32 v4, v4, s2
	v_sub_nc_u32_e32 v3, v3, v4
	s_delay_alu instid0(VALU_DEP_1) | instskip(SKIP_2) | instid1(VALU_DEP_2)
	v_subrev_nc_u32_e32 v4, s2, v3
	v_cmp_le_u32_e32 vcc_lo, s2, v3
	s_wait_alu 0xfffd
	v_cndmask_b32_e32 v3, v3, v4, vcc_lo
	v_ashrrev_i32_e32 v2, 31, v2
	s_delay_alu instid0(VALU_DEP_2) | instskip(SKIP_2) | instid1(VALU_DEP_2)
	v_subrev_nc_u32_e32 v4, s2, v3
	v_cmp_le_u32_e32 vcc_lo, s2, v3
	s_wait_alu 0xfffd
	v_cndmask_b32_e32 v3, v3, v4, vcc_lo
	s_delay_alu instid0(VALU_DEP_1) | instskip(NEXT) | instid1(VALU_DEP_1)
	v_xor_b32_e32 v3, v3, v2
	v_sub_nc_u32_e32 v2, v3, v2
	s_delay_alu instid0(VALU_DEP_1)
	v_cmp_eq_u32_e32 vcc_lo, 0, v2
	s_or_b32 s0, vcc_lo, s0
	s_wait_alu 0xfffe
	s_and_saveexec_b32 s10, s0
	s_cbranch_execz .LBB155_41
; %bb.43:                               ;   in Loop: Header=BB155_42 Depth=1
	global_load_b32 v1, v[29:30], off
	v_add_nc_u32_e32 v54, v43, v34
	s_delay_alu instid0(VALU_DEP_1)
	v_add_nc_u32_e32 v52, 1, v54
	v_or_b32_e32 v51, 3, v54
	v_or_b32_e32 v53, 2, v54
	;; [unrolled: 1-line block ×6, first 2 shown]
	s_wait_loadcnt 0x0
	v_mad_co_i64_i32 v[1:2], null, v1, s4, 0
	s_delay_alu instid0(VALU_DEP_1) | instskip(NEXT) | instid1(VALU_DEP_1)
	v_lshlrev_b64_e32 v[1:2], 1, v[1:2]
	v_add_co_u32 v5, vcc_lo, v44, v1
	s_wait_alu 0xfffd
	s_delay_alu instid0(VALU_DEP_2)
	v_add_co_ci_u32_e64 v6, null, v45, v2, vcc_lo
	v_cmp_eq_u32_e32 vcc_lo, s5, v35
	global_load_b128 v[1:4], v[5:6], off
	ds_load_2addr_b64 v[21:24], v46 offset1:1
	ds_load_2addr_b64 v[17:20], v46 offset0:2 offset1:3
	s_and_saveexec_b32 s13, vcc_lo
	s_cbranch_execnz .LBB155_48
; %bb.44:                               ;   in Loop: Header=BB155_42 Depth=1
	s_wait_alu 0xfffe
	s_or_b32 exec_lo, exec_lo, s13
	global_load_b128 v[9:12], v[5:6], off offset:512
	s_and_saveexec_b32 s13, vcc_lo
	s_cbranch_execnz .LBB155_49
.LBB155_45:                             ;   in Loop: Header=BB155_42 Depth=1
	s_wait_alu 0xfffe
	s_or_b32 exec_lo, exec_lo, s13
	global_load_b128 v[13:16], v[5:6], off offset:1024
	s_and_saveexec_b32 s13, vcc_lo
	s_cbranch_execnz .LBB155_50
.LBB155_46:                             ;   in Loop: Header=BB155_42 Depth=1
	s_wait_alu 0xfffe
	s_or_b32 exec_lo, exec_lo, s13
	global_load_b128 v[25:28], v[5:6], off offset:1536
	s_and_saveexec_b32 s13, vcc_lo
	s_cbranch_execnz .LBB155_51
.LBB155_47:                             ;   in Loop: Header=BB155_42 Depth=1
	s_wait_alu 0xfffe
	s_or_b32 exec_lo, exec_lo, s13
	global_load_b128 v[5:8], v[5:6], off offset:2048
	s_and_saveexec_b32 s0, vcc_lo
	s_cbranch_execz .LBB155_40
	s_branch .LBB155_52
.LBB155_48:                             ;   in Loop: Header=BB155_42 Depth=1
	v_cmp_gt_i32_e64 s0, s31, v54
	s_wait_loadcnt 0x0
	v_lshrrev_b32_e32 v7, 16, v1
	v_lshrrev_b32_e32 v8, 16, v2
	;; [unrolled: 1-line block ×4, first 2 shown]
	s_wait_alu 0xf1ff
	v_cndmask_b32_e64 v1, 0, v1, s0
	v_cmp_gt_i32_e64 s0, s7, v52
	s_wait_alu 0xf1ff
	s_delay_alu instid0(VALU_DEP_1) | instskip(SKIP_1) | instid1(VALU_DEP_2)
	v_cndmask_b32_e64 v7, 0, v7, s0
	v_cmp_gt_i32_e64 s0, s31, v53
	v_perm_b32 v1, v7, v1, 0x5040100
	s_wait_alu 0xf1ff
	s_delay_alu instid0(VALU_DEP_2) | instskip(SKIP_2) | instid1(VALU_DEP_1)
	v_cndmask_b32_e64 v2, 0, v2, s0
	v_cmp_gt_i32_e64 s0, s7, v51
	s_wait_alu 0xf1ff
	v_cndmask_b32_e64 v8, 0, v8, s0
	v_cmp_gt_i32_e64 s0, s31, v50
	s_delay_alu instid0(VALU_DEP_2) | instskip(SKIP_1) | instid1(VALU_DEP_2)
	v_perm_b32 v2, v8, v2, 0x5040100
	s_wait_alu 0xf1ff
	v_cndmask_b32_e64 v3, 0, v3, s0
	v_cmp_gt_i32_e64 s0, s7, v48
	s_wait_alu 0xf1ff
	s_delay_alu instid0(VALU_DEP_1) | instskip(SKIP_1) | instid1(VALU_DEP_2)
	v_cndmask_b32_e64 v9, 0, v9, s0
	v_cmp_gt_i32_e64 s0, s31, v49
	v_perm_b32 v3, v9, v3, 0x5040100
	s_wait_alu 0xf1ff
	s_delay_alu instid0(VALU_DEP_2) | instskip(SKIP_2) | instid1(VALU_DEP_1)
	v_cndmask_b32_e64 v4, 0, v4, s0
	v_cmp_gt_i32_e64 s0, s7, v47
	s_wait_alu 0xf1ff
	v_cndmask_b32_e64 v10, 0, v10, s0
	s_delay_alu instid0(VALU_DEP_1)
	v_perm_b32 v4, v10, v4, 0x5040100
	s_wait_alu 0xfffe
	s_or_b32 exec_lo, exec_lo, s13
	global_load_b128 v[9:12], v[5:6], off offset:512
	s_and_saveexec_b32 s13, vcc_lo
	s_cbranch_execz .LBB155_45
.LBB155_49:                             ;   in Loop: Header=BB155_42 Depth=1
	v_cmp_gt_i32_e64 s0, s31, v54
	s_wait_loadcnt 0x0
	v_lshrrev_b32_e32 v7, 16, v9
	v_lshrrev_b32_e32 v14, 16, v12
	s_wait_alu 0xf1ff
	v_cndmask_b32_e64 v8, 0, v9, s0
	v_cmp_gt_i32_e64 s0, s7, v52
	v_lshrrev_b32_e32 v9, 16, v10
	s_wait_alu 0xf1ff
	s_delay_alu instid0(VALU_DEP_2) | instskip(SKIP_2) | instid1(VALU_DEP_1)
	v_cndmask_b32_e64 v7, 0, v7, s0
	v_cmp_gt_i32_e64 s0, s31, v53
	s_wait_alu 0xf1ff
	v_cndmask_b32_e64 v10, 0, v10, s0
	v_cmp_gt_i32_e64 s0, s7, v51
	s_wait_alu 0xf1ff
	s_delay_alu instid0(VALU_DEP_1) | instskip(SKIP_2) | instid1(VALU_DEP_3)
	v_cndmask_b32_e64 v13, 0, v9, s0
	v_cmp_gt_i32_e64 s0, s31, v50
	v_lshrrev_b32_e32 v9, 16, v11
	v_perm_b32 v10, v13, v10, 0x5040100
	s_wait_alu 0xf1ff
	s_delay_alu instid0(VALU_DEP_3) | instskip(SKIP_2) | instid1(VALU_DEP_1)
	v_cndmask_b32_e64 v11, 0, v11, s0
	v_cmp_gt_i32_e64 s0, s7, v48
	s_wait_alu 0xf1ff
	v_cndmask_b32_e64 v15, 0, v9, s0
	v_cmp_gt_i32_e64 s0, s31, v49
	v_perm_b32 v9, v7, v8, 0x5040100
	s_delay_alu instid0(VALU_DEP_3) | instskip(SKIP_1) | instid1(VALU_DEP_3)
	v_perm_b32 v11, v15, v11, 0x5040100
	s_wait_alu 0xf1ff
	v_cndmask_b32_e64 v12, 0, v12, s0
	v_cmp_gt_i32_e64 s0, s7, v47
	s_wait_alu 0xf1ff
	s_delay_alu instid0(VALU_DEP_1) | instskip(NEXT) | instid1(VALU_DEP_1)
	v_cndmask_b32_e64 v14, 0, v14, s0
	v_perm_b32 v12, v14, v12, 0x5040100
	s_wait_alu 0xfffe
	s_or_b32 exec_lo, exec_lo, s13
	global_load_b128 v[13:16], v[5:6], off offset:1024
	s_and_saveexec_b32 s13, vcc_lo
	s_cbranch_execz .LBB155_46
.LBB155_50:                             ;   in Loop: Header=BB155_42 Depth=1
	v_cmp_gt_i32_e64 s0, s31, v54
	s_wait_loadcnt 0x0
	v_lshrrev_b32_e32 v7, 16, v13
	v_lshrrev_b32_e32 v26, 16, v16
	s_wait_alu 0xf1ff
	v_cndmask_b32_e64 v8, 0, v13, s0
	v_cmp_gt_i32_e64 s0, s7, v52
	v_lshrrev_b32_e32 v13, 16, v14
	s_wait_alu 0xf1ff
	s_delay_alu instid0(VALU_DEP_2) | instskip(SKIP_2) | instid1(VALU_DEP_1)
	v_cndmask_b32_e64 v7, 0, v7, s0
	v_cmp_gt_i32_e64 s0, s31, v53
	s_wait_alu 0xf1ff
	v_cndmask_b32_e64 v14, 0, v14, s0
	v_cmp_gt_i32_e64 s0, s7, v51
	s_wait_alu 0xf1ff
	s_delay_alu instid0(VALU_DEP_1) | instskip(SKIP_2) | instid1(VALU_DEP_3)
	v_cndmask_b32_e64 v25, 0, v13, s0
	v_cmp_gt_i32_e64 s0, s31, v50
	v_lshrrev_b32_e32 v13, 16, v15
	v_perm_b32 v14, v25, v14, 0x5040100
	s_wait_alu 0xf1ff
	s_delay_alu instid0(VALU_DEP_3) | instskip(SKIP_2) | instid1(VALU_DEP_1)
	v_cndmask_b32_e64 v15, 0, v15, s0
	v_cmp_gt_i32_e64 s0, s7, v48
	s_wait_alu 0xf1ff
	v_cndmask_b32_e64 v27, 0, v13, s0
	v_cmp_gt_i32_e64 s0, s31, v49
	v_perm_b32 v13, v7, v8, 0x5040100
	s_delay_alu instid0(VALU_DEP_3) | instskip(SKIP_1) | instid1(VALU_DEP_3)
	v_perm_b32 v15, v27, v15, 0x5040100
	s_wait_alu 0xf1ff
	v_cndmask_b32_e64 v16, 0, v16, s0
	v_cmp_gt_i32_e64 s0, s7, v47
	s_wait_alu 0xf1ff
	s_delay_alu instid0(VALU_DEP_1) | instskip(NEXT) | instid1(VALU_DEP_1)
	v_cndmask_b32_e64 v26, 0, v26, s0
	v_perm_b32 v16, v26, v16, 0x5040100
	s_wait_alu 0xfffe
	s_or_b32 exec_lo, exec_lo, s13
	global_load_b128 v[25:28], v[5:6], off offset:1536
	s_and_saveexec_b32 s13, vcc_lo
	s_cbranch_execz .LBB155_47
.LBB155_51:                             ;   in Loop: Header=BB155_42 Depth=1
	v_cmp_gt_i32_e64 s0, s31, v54
	s_wait_loadcnt 0x0
	v_lshrrev_b32_e32 v7, 16, v25
	v_lshrrev_b32_e32 v56, 16, v28
	s_wait_alu 0xf1ff
	v_cndmask_b32_e64 v8, 0, v25, s0
	v_cmp_gt_i32_e64 s0, s7, v52
	v_lshrrev_b32_e32 v25, 16, v26
	s_wait_alu 0xf1ff
	s_delay_alu instid0(VALU_DEP_2) | instskip(SKIP_2) | instid1(VALU_DEP_1)
	v_cndmask_b32_e64 v7, 0, v7, s0
	v_cmp_gt_i32_e64 s0, s31, v53
	s_wait_alu 0xf1ff
	v_cndmask_b32_e64 v26, 0, v26, s0
	v_cmp_gt_i32_e64 s0, s7, v51
	s_wait_alu 0xf1ff
	s_delay_alu instid0(VALU_DEP_1) | instskip(SKIP_2) | instid1(VALU_DEP_3)
	v_cndmask_b32_e64 v55, 0, v25, s0
	v_cmp_gt_i32_e64 s0, s31, v50
	v_lshrrev_b32_e32 v25, 16, v27
	v_perm_b32 v26, v55, v26, 0x5040100
	s_wait_alu 0xf1ff
	s_delay_alu instid0(VALU_DEP_3) | instskip(SKIP_2) | instid1(VALU_DEP_1)
	v_cndmask_b32_e64 v27, 0, v27, s0
	v_cmp_gt_i32_e64 s0, s7, v48
	s_wait_alu 0xf1ff
	v_cndmask_b32_e64 v57, 0, v25, s0
	v_cmp_gt_i32_e64 s0, s31, v49
	v_perm_b32 v25, v7, v8, 0x5040100
	s_delay_alu instid0(VALU_DEP_3) | instskip(SKIP_1) | instid1(VALU_DEP_3)
	v_perm_b32 v27, v57, v27, 0x5040100
	s_wait_alu 0xf1ff
	v_cndmask_b32_e64 v28, 0, v28, s0
	v_cmp_gt_i32_e64 s0, s7, v47
	s_wait_alu 0xf1ff
	s_delay_alu instid0(VALU_DEP_1) | instskip(NEXT) | instid1(VALU_DEP_1)
	v_cndmask_b32_e64 v56, 0, v56, s0
	v_perm_b32 v28, v56, v28, 0x5040100
	s_wait_alu 0xfffe
	s_or_b32 exec_lo, exec_lo, s13
	global_load_b128 v[5:8], v[5:6], off offset:2048
	s_and_saveexec_b32 s0, vcc_lo
	s_cbranch_execz .LBB155_40
.LBB155_52:                             ;   in Loop: Header=BB155_42 Depth=1
	v_cmp_gt_i32_e32 vcc_lo, s31, v54
	s_wait_loadcnt 0x0
	v_lshrrev_b32_e32 v55, 16, v5
	v_lshrrev_b32_e32 v54, 16, v6
	s_wait_alu 0xfffd
	v_cndmask_b32_e32 v5, 0, v5, vcc_lo
	v_cmp_gt_i32_e32 vcc_lo, s7, v52
	s_wait_alu 0xfffd
	v_cndmask_b32_e32 v52, 0, v55, vcc_lo
	v_cmp_gt_i32_e32 vcc_lo, s31, v53
	v_lshrrev_b32_e32 v53, 16, v7
	s_delay_alu instid0(VALU_DEP_3)
	v_perm_b32 v5, v52, v5, 0x5040100
	s_wait_alu 0xfffd
	v_cndmask_b32_e32 v6, 0, v6, vcc_lo
	v_cmp_gt_i32_e32 vcc_lo, s7, v51
	s_wait_alu 0xfffd
	v_cndmask_b32_e32 v51, 0, v54, vcc_lo
	v_cmp_gt_i32_e32 vcc_lo, s31, v50
	v_lshrrev_b32_e32 v50, 16, v8
	s_wait_alu 0xfffd
	v_cndmask_b32_e32 v7, 0, v7, vcc_lo
	v_cmp_gt_i32_e32 vcc_lo, s7, v48
	s_wait_alu 0xfffd
	v_cndmask_b32_e32 v48, 0, v53, vcc_lo
	v_cmp_gt_i32_e32 vcc_lo, s31, v49
	v_perm_b32 v6, v51, v6, 0x5040100
	s_delay_alu instid0(VALU_DEP_3)
	v_perm_b32 v7, v48, v7, 0x5040100
	s_wait_alu 0xfffd
	v_cndmask_b32_e32 v8, 0, v8, vcc_lo
	v_cmp_gt_i32_e32 vcc_lo, s7, v47
	s_wait_alu 0xfffd
	v_cndmask_b32_e32 v47, 0, v50, vcc_lo
	s_delay_alu instid0(VALU_DEP_1)
	v_perm_b32 v8, v47, v8, 0x5040100
	s_branch .LBB155_40
.LBB155_53:
	s_or_b32 exec_lo, exec_lo, s6
.LBB155_54:
	s_wait_alu 0xfffe
	s_or_b32 exec_lo, exec_lo, s1
	ds_bpermute_b32 v1, v37, v42
	ds_bpermute_b32 v2, v37, v41
	;; [unrolled: 1-line block ×5, first 2 shown]
	v_lshrrev_b32_e32 v6, 1, v36
	v_mul_u32_u24_e32 v8, 0x140, v33
	v_and_b32_e32 v11, 0x3c1, v0
	s_mov_b32 s0, exec_lo
	s_wait_storecnt 0x0
	s_wait_loadcnt_dscnt 0x0
	v_lshl_add_u32 v7, v6, 2, 0xc0
	s_barrier_signal -1
	s_barrier_wait -1
	global_inv scope:SCOPE_SE
	v_dual_add_f32 v5, v42, v1 :: v_dual_add_f32 v4, v41, v2
	v_dual_add_f32 v3, v40, v3 :: v_dual_add_f32 v2, v39, v9
	v_add_f32_e32 v1, v38, v10
	v_cmpx_eq_u32_e32 64, v11
	s_cbranch_execz .LBB155_56
; %bb.55:
	v_add_nc_u32_e32 v9, v7, v8
	s_delay_alu instid0(VALU_DEP_1)
	v_add_nc_u32_e32 v10, 0xfffffd80, v9
	v_add_nc_u32_e32 v11, 0xfffffdc0, v9
	;; [unrolled: 1-line block ×5, first 2 shown]
	ds_store_b32 v10, v5
	ds_store_b32 v11, v4
	;; [unrolled: 1-line block ×5, first 2 shown]
.LBB155_56:
	s_wait_alu 0xfffe
	s_or_b32 exec_lo, exec_lo, s0
	v_lshlrev_b32_e32 v6, 2, v6
	s_mov_b32 s1, exec_lo
	v_cmp_eq_u32_e32 vcc_lo, 0, v32
	s_wait_loadcnt_dscnt 0x0
	s_barrier_signal -1
	v_add3_u32 v6, 0xc0, v8, v6
	s_barrier_wait -1
	global_inv scope:SCOPE_SE
	v_cmpx_gt_u32_e32 64, v0
	s_cbranch_execz .LBB155_64
; %bb.57:
	s_and_saveexec_b32 s0, vcc_lo
	s_cbranch_execnz .LBB155_77
; %bb.58:
	s_wait_alu 0xfffe
	s_or_b32 exec_lo, exec_lo, s0
	s_and_saveexec_b32 s0, vcc_lo
	s_cbranch_execnz .LBB155_78
.LBB155_59:
	s_wait_alu 0xfffe
	s_or_b32 exec_lo, exec_lo, s0
	s_and_saveexec_b32 s0, vcc_lo
	s_cbranch_execnz .LBB155_79
.LBB155_60:
	s_wait_alu 0xfffe
	s_or_b32 exec_lo, exec_lo, s0
	s_and_saveexec_b32 s0, vcc_lo
	s_cbranch_execnz .LBB155_80
.LBB155_61:
	s_wait_alu 0xfffe
	s_or_b32 exec_lo, exec_lo, s0
	s_and_saveexec_b32 s0, vcc_lo
	s_cbranch_execz .LBB155_63
.LBB155_62:
	ds_load_b32 v8, v6 offset:256
	s_wait_dscnt 0x0
	v_add_f32_e32 v1, v1, v8
.LBB155_63:
	s_wait_alu 0xfffe
	s_or_b32 exec_lo, exec_lo, s0
.LBB155_64:
	s_wait_alu 0xfffe
	s_or_b32 exec_lo, exec_lo, s1
	v_and_b32_e32 v8, 0x3e1, v0
	s_mov_b32 s1, exec_lo
	s_wait_loadcnt 0x0
	s_barrier_signal -1
	s_barrier_wait -1
	global_inv scope:SCOPE_SE
	v_cmpx_eq_u32_e32 32, v8
	s_cbranch_execz .LBB155_66
; %bb.65:
	ds_store_2addr_b32 v7, v5, v4 offset1:16
	ds_store_2addr_b32 v7, v3, v2 offset0:32 offset1:48
	ds_store_b32 v7, v1 offset:256
.LBB155_66:
	s_wait_alu 0xfffe
	s_or_b32 exec_lo, exec_lo, s1
	s_delay_alu instid0(SALU_CYCLE_1)
	s_mov_b32 s1, exec_lo
	s_wait_loadcnt_dscnt 0x0
	s_barrier_signal -1
	s_barrier_wait -1
	global_inv scope:SCOPE_SE
	v_cmpx_gt_u32_e32 32, v0
	s_cbranch_execz .LBB155_74
; %bb.67:
	s_and_saveexec_b32 s0, vcc_lo
	s_cbranch_execnz .LBB155_81
; %bb.68:
	s_wait_alu 0xfffe
	s_or_b32 exec_lo, exec_lo, s0
	s_and_saveexec_b32 s0, vcc_lo
	s_cbranch_execnz .LBB155_82
.LBB155_69:
	s_wait_alu 0xfffe
	s_or_b32 exec_lo, exec_lo, s0
	s_and_saveexec_b32 s0, vcc_lo
	s_cbranch_execnz .LBB155_83
.LBB155_70:
	s_wait_alu 0xfffe
	s_or_b32 exec_lo, exec_lo, s0
	s_and_saveexec_b32 s0, vcc_lo
	s_cbranch_execnz .LBB155_84
.LBB155_71:
	s_wait_alu 0xfffe
	s_or_b32 exec_lo, exec_lo, s0
	s_and_saveexec_b32 s0, vcc_lo
	s_cbranch_execz .LBB155_73
.LBB155_72:
	ds_load_b32 v0, v6 offset:256
	s_wait_dscnt 0x0
	v_add_f32_e32 v1, v1, v0
.LBB155_73:
	s_wait_alu 0xfffe
	s_or_b32 exec_lo, exec_lo, s0
.LBB155_74:
	s_wait_alu 0xfffe
	s_or_b32 exec_lo, exec_lo, s1
	s_mov_b32 s1, 0
	s_wait_loadcnt 0x0
	s_barrier_signal -1
	s_barrier_wait -1
	global_inv scope:SCOPE_SE
	s_mov_b32 s0, exec_lo
	v_cmpx_eq_u32_e32 0, v8
	s_cbranch_execz .LBB155_76
; %bb.75:
	v_bfe_u32 v0, v5, 16, 1
	v_bfe_u32 v6, v4, 16, 1
	v_or_b32_e32 v7, 0x400000, v5
	v_cmp_u_f32_e32 vcc_lo, v5, v5
	v_or_b32_e32 v9, 0x400000, v4
	v_add3_u32 v0, v0, v5, 0x7fff
	v_add3_u32 v6, v6, v4, 0x7fff
	v_bfe_u32 v5, v3, 16, 1
	s_mul_i32 s2, s20, 0x50
	v_or_b32_e32 v10, 0x400000, v2
	s_wait_alu 0xfffd
	v_cndmask_b32_e32 v0, v0, v7, vcc_lo
	v_cmp_u_f32_e32 vcc_lo, v4, v4
	v_bfe_u32 v7, v2, 16, 1
	v_add3_u32 v5, v5, v3, 0x7fff
	s_wait_kmcnt 0x0
	s_mul_i32 s4, s8, s16
	s_wait_alu 0xfffe
	s_ashr_i32 s3, s2, 31
	s_wait_alu 0xfffd
	v_cndmask_b32_e32 v4, v6, v9, vcc_lo
	v_or_b32_e32 v9, 0x400000, v3
	v_cmp_u_f32_e32 vcc_lo, v3, v3
	v_lshlrev_b32_e32 v8, 1, v31
	v_bfe_u32 v6, v1, 16, 1
	v_add3_u32 v7, v7, v2, 0x7fff
	s_ashr_i32 s5, s4, 31
	s_wait_alu 0xfffd
	v_cndmask_b32_e32 v3, v5, v9, vcc_lo
	v_cmp_u_f32_e32 vcc_lo, v2, v2
	s_wait_alu 0xfffe
	s_lshl_b64 s[2:3], s[2:3], 1
	s_lshl_b64 s[4:5], s[4:5], 1
	s_wait_alu 0xfffe
	s_add_nc_u64 s[2:3], s[14:15], s[2:3]
	v_add3_u32 v6, v6, v1, 0x7fff
	v_or_b32_e32 v11, 0x400000, v1
	s_wait_alu 0xfffd
	v_cndmask_b32_e32 v2, v7, v10, vcc_lo
	v_cmp_u_f32_e32 vcc_lo, v1, v1
	s_wait_alu 0xfffe
	s_add_nc_u64 s[2:3], s[2:3], s[4:5]
	s_mul_i32 s0, s30, 0xa0
	s_wait_alu 0xfffe
	s_add_nc_u64 s[0:1], s[2:3], s[0:1]
	s_wait_alu 0xfffd
	v_cndmask_b32_e32 v1, v6, v11, vcc_lo
	s_clause 0x4
	global_store_d16_hi_b16 v8, v0, s[0:1]
	global_store_d16_hi_b16 v8, v4, s[0:1] offset:32
	global_store_d16_hi_b16 v8, v3, s[0:1] offset:64
	;; [unrolled: 1-line block ×4, first 2 shown]
.LBB155_76:
	s_nop 0
	s_sendmsg sendmsg(MSG_DEALLOC_VGPRS)
	s_endpgm
.LBB155_77:
	ds_load_b32 v8, v6
	s_wait_dscnt 0x0
	v_add_f32_e32 v5, v5, v8
	s_wait_alu 0xfffe
	s_or_b32 exec_lo, exec_lo, s0
	s_and_saveexec_b32 s0, vcc_lo
	s_cbranch_execz .LBB155_59
.LBB155_78:
	ds_load_b32 v8, v6 offset:64
	s_wait_dscnt 0x0
	v_add_f32_e32 v4, v4, v8
	s_wait_alu 0xfffe
	s_or_b32 exec_lo, exec_lo, s0
	s_and_saveexec_b32 s0, vcc_lo
	s_cbranch_execz .LBB155_60
.LBB155_79:
	ds_load_b32 v8, v6 offset:128
	s_wait_dscnt 0x0
	v_add_f32_e32 v3, v3, v8
	s_wait_alu 0xfffe
	s_or_b32 exec_lo, exec_lo, s0
	s_and_saveexec_b32 s0, vcc_lo
	s_cbranch_execz .LBB155_61
.LBB155_80:
	ds_load_b32 v8, v6 offset:192
	s_wait_dscnt 0x0
	v_add_f32_e32 v2, v2, v8
	s_wait_alu 0xfffe
	s_or_b32 exec_lo, exec_lo, s0
	s_and_saveexec_b32 s0, vcc_lo
	s_cbranch_execnz .LBB155_62
	s_branch .LBB155_63
.LBB155_81:
	ds_load_b32 v0, v6
	s_wait_dscnt 0x0
	v_add_f32_e32 v5, v5, v0
	s_wait_alu 0xfffe
	s_or_b32 exec_lo, exec_lo, s0
	s_and_saveexec_b32 s0, vcc_lo
	s_cbranch_execz .LBB155_69
.LBB155_82:
	ds_load_b32 v0, v6 offset:64
	s_wait_dscnt 0x0
	v_add_f32_e32 v4, v4, v0
	s_wait_alu 0xfffe
	s_or_b32 exec_lo, exec_lo, s0
	s_and_saveexec_b32 s0, vcc_lo
	s_cbranch_execz .LBB155_70
.LBB155_83:
	ds_load_b32 v0, v6 offset:128
	s_wait_dscnt 0x0
	v_add_f32_e32 v3, v3, v0
	s_wait_alu 0xfffe
	s_or_b32 exec_lo, exec_lo, s0
	s_and_saveexec_b32 s0, vcc_lo
	s_cbranch_execz .LBB155_71
.LBB155_84:
	ds_load_b32 v0, v6 offset:192
	s_wait_dscnt 0x0
	v_add_f32_e32 v2, v2, v0
	s_wait_alu 0xfffe
	s_or_b32 exec_lo, exec_lo, s0
	s_and_saveexec_b32 s0, vcc_lo
	s_cbranch_execnz .LBB155_72
	s_branch .LBB155_73
	.section	.rodata,"a",@progbits
	.p2align	6, 0x0
	.amdhsa_kernel _ZN4vllm25paged_attention_v2_kernelI14__hip_bfloat16S1_Li80ELi16ELi128ELNS_18Fp8KVCacheDataTypeE0ELb1ELi512EEEvPfS3_PT_PKS4_PKT0_SA_ifPKiSC_iPKfiiiSE_SE_iiiii
		.amdhsa_group_segment_fixed_size 192
		.amdhsa_private_segment_fixed_size 0
		.amdhsa_kernarg_size 400
		.amdhsa_user_sgpr_count 2
		.amdhsa_user_sgpr_dispatch_ptr 0
		.amdhsa_user_sgpr_queue_ptr 0
		.amdhsa_user_sgpr_kernarg_segment_ptr 1
		.amdhsa_user_sgpr_dispatch_id 0
		.amdhsa_user_sgpr_private_segment_size 0
		.amdhsa_wavefront_size32 1
		.amdhsa_uses_dynamic_stack 0
		.amdhsa_enable_private_segment 0
		.amdhsa_system_sgpr_workgroup_id_x 1
		.amdhsa_system_sgpr_workgroup_id_y 1
		.amdhsa_system_sgpr_workgroup_id_z 1
		.amdhsa_system_sgpr_workgroup_info 0
		.amdhsa_system_vgpr_workitem_id 0
		.amdhsa_next_free_vgpr 97
		.amdhsa_next_free_sgpr 42
		.amdhsa_reserve_vcc 1
		.amdhsa_float_round_mode_32 0
		.amdhsa_float_round_mode_16_64 0
		.amdhsa_float_denorm_mode_32 3
		.amdhsa_float_denorm_mode_16_64 3
		.amdhsa_fp16_overflow 0
		.amdhsa_workgroup_processor_mode 1
		.amdhsa_memory_ordered 1
		.amdhsa_forward_progress 1
		.amdhsa_inst_pref_size 82
		.amdhsa_round_robin_scheduling 0
		.amdhsa_exception_fp_ieee_invalid_op 0
		.amdhsa_exception_fp_denorm_src 0
		.amdhsa_exception_fp_ieee_div_zero 0
		.amdhsa_exception_fp_ieee_overflow 0
		.amdhsa_exception_fp_ieee_underflow 0
		.amdhsa_exception_fp_ieee_inexact 0
		.amdhsa_exception_int_div_zero 0
	.end_amdhsa_kernel
	.section	.text._ZN4vllm25paged_attention_v2_kernelI14__hip_bfloat16S1_Li80ELi16ELi128ELNS_18Fp8KVCacheDataTypeE0ELb1ELi512EEEvPfS3_PT_PKS4_PKT0_SA_ifPKiSC_iPKfiiiSE_SE_iiiii,"axG",@progbits,_ZN4vllm25paged_attention_v2_kernelI14__hip_bfloat16S1_Li80ELi16ELi128ELNS_18Fp8KVCacheDataTypeE0ELb1ELi512EEEvPfS3_PT_PKS4_PKT0_SA_ifPKiSC_iPKfiiiSE_SE_iiiii,comdat
.Lfunc_end155:
	.size	_ZN4vllm25paged_attention_v2_kernelI14__hip_bfloat16S1_Li80ELi16ELi128ELNS_18Fp8KVCacheDataTypeE0ELb1ELi512EEEvPfS3_PT_PKS4_PKT0_SA_ifPKiSC_iPKfiiiSE_SE_iiiii, .Lfunc_end155-_ZN4vllm25paged_attention_v2_kernelI14__hip_bfloat16S1_Li80ELi16ELi128ELNS_18Fp8KVCacheDataTypeE0ELb1ELi512EEEvPfS3_PT_PKS4_PKT0_SA_ifPKiSC_iPKfiiiSE_SE_iiiii
                                        ; -- End function
	.set _ZN4vllm25paged_attention_v2_kernelI14__hip_bfloat16S1_Li80ELi16ELi128ELNS_18Fp8KVCacheDataTypeE0ELb1ELi512EEEvPfS3_PT_PKS4_PKT0_SA_ifPKiSC_iPKfiiiSE_SE_iiiii.num_vgpr, 97
	.set _ZN4vllm25paged_attention_v2_kernelI14__hip_bfloat16S1_Li80ELi16ELi128ELNS_18Fp8KVCacheDataTypeE0ELb1ELi512EEEvPfS3_PT_PKS4_PKT0_SA_ifPKiSC_iPKfiiiSE_SE_iiiii.num_agpr, 0
	.set _ZN4vllm25paged_attention_v2_kernelI14__hip_bfloat16S1_Li80ELi16ELi128ELNS_18Fp8KVCacheDataTypeE0ELb1ELi512EEEvPfS3_PT_PKS4_PKT0_SA_ifPKiSC_iPKfiiiSE_SE_iiiii.numbered_sgpr, 42
	.set _ZN4vllm25paged_attention_v2_kernelI14__hip_bfloat16S1_Li80ELi16ELi128ELNS_18Fp8KVCacheDataTypeE0ELb1ELi512EEEvPfS3_PT_PKS4_PKT0_SA_ifPKiSC_iPKfiiiSE_SE_iiiii.num_named_barrier, 0
	.set _ZN4vllm25paged_attention_v2_kernelI14__hip_bfloat16S1_Li80ELi16ELi128ELNS_18Fp8KVCacheDataTypeE0ELb1ELi512EEEvPfS3_PT_PKS4_PKT0_SA_ifPKiSC_iPKfiiiSE_SE_iiiii.private_seg_size, 0
	.set _ZN4vllm25paged_attention_v2_kernelI14__hip_bfloat16S1_Li80ELi16ELi128ELNS_18Fp8KVCacheDataTypeE0ELb1ELi512EEEvPfS3_PT_PKS4_PKT0_SA_ifPKiSC_iPKfiiiSE_SE_iiiii.uses_vcc, 1
	.set _ZN4vllm25paged_attention_v2_kernelI14__hip_bfloat16S1_Li80ELi16ELi128ELNS_18Fp8KVCacheDataTypeE0ELb1ELi512EEEvPfS3_PT_PKS4_PKT0_SA_ifPKiSC_iPKfiiiSE_SE_iiiii.uses_flat_scratch, 0
	.set _ZN4vllm25paged_attention_v2_kernelI14__hip_bfloat16S1_Li80ELi16ELi128ELNS_18Fp8KVCacheDataTypeE0ELb1ELi512EEEvPfS3_PT_PKS4_PKT0_SA_ifPKiSC_iPKfiiiSE_SE_iiiii.has_dyn_sized_stack, 0
	.set _ZN4vllm25paged_attention_v2_kernelI14__hip_bfloat16S1_Li80ELi16ELi128ELNS_18Fp8KVCacheDataTypeE0ELb1ELi512EEEvPfS3_PT_PKS4_PKT0_SA_ifPKiSC_iPKfiiiSE_SE_iiiii.has_recursion, 0
	.set _ZN4vllm25paged_attention_v2_kernelI14__hip_bfloat16S1_Li80ELi16ELi128ELNS_18Fp8KVCacheDataTypeE0ELb1ELi512EEEvPfS3_PT_PKS4_PKT0_SA_ifPKiSC_iPKfiiiSE_SE_iiiii.has_indirect_call, 0
	.section	.AMDGPU.csdata,"",@progbits
; Kernel info:
; codeLenInByte = 10424
; TotalNumSgprs: 44
; NumVgprs: 97
; ScratchSize: 0
; MemoryBound: 0
; FloatMode: 240
; IeeeMode: 1
; LDSByteSize: 192 bytes/workgroup (compile time only)
; SGPRBlocks: 0
; VGPRBlocks: 12
; NumSGPRsForWavesPerEU: 44
; NumVGPRsForWavesPerEU: 97
; Occupancy: 12
; WaveLimiterHint : 1
; COMPUTE_PGM_RSRC2:SCRATCH_EN: 0
; COMPUTE_PGM_RSRC2:USER_SGPR: 2
; COMPUTE_PGM_RSRC2:TRAP_HANDLER: 0
; COMPUTE_PGM_RSRC2:TGID_X_EN: 1
; COMPUTE_PGM_RSRC2:TGID_Y_EN: 1
; COMPUTE_PGM_RSRC2:TGID_Z_EN: 1
; COMPUTE_PGM_RSRC2:TIDIG_COMP_CNT: 0
	.section	.text._ZN4vllm25paged_attention_v2_kernelI14__hip_bfloat16S1_Li96ELi16ELi128ELNS_18Fp8KVCacheDataTypeE0ELb1ELi512EEEvPfS3_PT_PKS4_PKT0_SA_ifPKiSC_iPKfiiiSE_SE_iiiii,"axG",@progbits,_ZN4vllm25paged_attention_v2_kernelI14__hip_bfloat16S1_Li96ELi16ELi128ELNS_18Fp8KVCacheDataTypeE0ELb1ELi512EEEvPfS3_PT_PKS4_PKT0_SA_ifPKiSC_iPKfiiiSE_SE_iiiii,comdat
	.protected	_ZN4vllm25paged_attention_v2_kernelI14__hip_bfloat16S1_Li96ELi16ELi128ELNS_18Fp8KVCacheDataTypeE0ELb1ELi512EEEvPfS3_PT_PKS4_PKT0_SA_ifPKiSC_iPKfiiiSE_SE_iiiii ; -- Begin function _ZN4vllm25paged_attention_v2_kernelI14__hip_bfloat16S1_Li96ELi16ELi128ELNS_18Fp8KVCacheDataTypeE0ELb1ELi512EEEvPfS3_PT_PKS4_PKT0_SA_ifPKiSC_iPKfiiiSE_SE_iiiii
	.globl	_ZN4vllm25paged_attention_v2_kernelI14__hip_bfloat16S1_Li96ELi16ELi128ELNS_18Fp8KVCacheDataTypeE0ELb1ELi512EEEvPfS3_PT_PKS4_PKT0_SA_ifPKiSC_iPKfiiiSE_SE_iiiii
	.p2align	8
	.type	_ZN4vllm25paged_attention_v2_kernelI14__hip_bfloat16S1_Li96ELi16ELi128ELNS_18Fp8KVCacheDataTypeE0ELb1ELi512EEEvPfS3_PT_PKS4_PKT0_SA_ifPKiSC_iPKfiiiSE_SE_iiiii,@function
_ZN4vllm25paged_attention_v2_kernelI14__hip_bfloat16S1_Li96ELi16ELi128ELNS_18Fp8KVCacheDataTypeE0ELb1ELi512EEEvPfS3_PT_PKS4_PKT0_SA_ifPKiSC_iPKfiiiSE_SE_iiiii: ; @_ZN4vllm25paged_attention_v2_kernelI14__hip_bfloat16S1_Li96ELi16ELi128ELNS_18Fp8KVCacheDataTypeE0ELb1ELi512EEEvPfS3_PT_PKS4_PKT0_SA_ifPKiSC_iPKfiiiSE_SE_iiiii
; %bb.0:
	s_load_b64 s[2:3], s[0:1], 0x40
	s_and_b32 s20, ttmp7, 0xffff
	s_lshr_b32 s30, ttmp7, 16
	s_lshl_b32 s4, s20, 2
	s_lshl_b32 s33, s30, 9
	s_wait_kmcnt 0x0
	s_load_b32 s31, s[2:3], s4 offset:0x0
	s_wait_kmcnt 0x0
	s_cmp_ge_i32 s33, s31
	s_cbranch_scc1 .LBB156_80
; %bb.1:
	s_clause 0x1
	s_load_b32 s21, s[0:1], 0x90
	s_load_b64 s[6:7], s[0:1], 0x30
	s_wait_kmcnt 0x0
	s_abs_i32 s5, s21
	s_abs_i32 s2, s6
	s_delay_alu instid0(SALU_CYCLE_1) | instskip(SKIP_1) | instid1(SALU_CYCLE_2)
	s_cvt_f32_u32 s3, s2
	s_sub_co_i32 s4, 0, s2
	v_rcp_iflag_f32_e32 v1, s3
	s_delay_alu instid0(TRANS32_DEP_1) | instskip(SKIP_2) | instid1(SALU_CYCLE_2)
	v_readfirstlane_b32 s3, v1
	s_mul_f32 s3, s3, 0x4f7ffffe
	s_wait_alu 0xfffe
	s_cvt_u32_f32 s3, s3
	s_wait_alu 0xfffe
	s_delay_alu instid0(SALU_CYCLE_2) | instskip(NEXT) | instid1(SALU_CYCLE_1)
	s_mul_i32 s4, s4, s3
	s_mul_hi_u32 s4, s3, s4
	s_delay_alu instid0(SALU_CYCLE_1)
	s_add_co_i32 s3, s3, s4
	s_xor_b32 s4, s21, s6
	s_wait_alu 0xfffe
	s_mul_hi_u32 s3, s5, s3
	s_ashr_i32 s4, s4, 31
	s_wait_alu 0xfffe
	s_mul_i32 s8, s3, s2
	s_delay_alu instid0(SALU_CYCLE_1)
	s_sub_co_i32 s5, s5, s8
	s_add_co_i32 s8, s3, 1
	s_sub_co_i32 s9, s5, s2
	s_cmp_ge_u32 s5, s2
	s_cselect_b32 s3, s8, s3
	s_cselect_b32 s5, s9, s5
	s_wait_alu 0xfffe
	s_add_co_i32 s8, s3, 1
	s_cmp_ge_u32 s5, s2
	s_cselect_b32 s2, s8, s3
	s_load_b64 s[8:9], s[0:1], 0x50
	s_xor_b32 s2, s2, s4
	s_mov_b32 s3, 0
	s_wait_alu 0xfffe
	s_sub_co_i32 s10, s2, s4
	s_mov_b32 s15, s3
	s_abs_i32 s18, s10
	s_delay_alu instid0(SALU_CYCLE_1) | instskip(SKIP_1) | instid1(SALU_CYCLE_2)
	s_cvt_f32_u32 s2, s18
	s_wait_alu 0xfffe
	v_rcp_iflag_f32_e32 v1, s2
	s_delay_alu instid0(TRANS32_DEP_1) | instskip(SKIP_2) | instid1(SALU_CYCLE_2)
	v_readfirstlane_b32 s2, v1
	s_mul_f32 s2, s2, 0x4f7ffffe
	s_wait_alu 0xfffe
	s_cvt_u32_f32 s4, s2
	s_sub_co_i32 s2, 0, s18
	s_wait_alu 0xfffe
	s_delay_alu instid0(SALU_CYCLE_1)
	s_mul_i32 s2, s2, s4
	s_wait_alu 0xfffe
	s_mul_hi_u32 s5, s4, s2
	s_abs_i32 s2, ttmp9
	s_add_co_i32 s4, s4, s5
	s_mov_b32 s5, s3
	s_wait_kmcnt 0x0
	s_cmp_eq_u64 s[8:9], 0
	s_cbranch_scc1 .LBB156_3
; %bb.2:
	s_mov_b32 s12, ttmp9
	s_ashr_i32 s13, ttmp9, 31
	s_delay_alu instid0(SALU_CYCLE_1) | instskip(NEXT) | instid1(SALU_CYCLE_1)
	s_lshl_b64 s[12:13], s[12:13], 2
	s_add_nc_u64 s[8:9], s[8:9], s[12:13]
	s_load_b32 s15, s[8:9], 0x0
.LBB156_3:
	s_load_b96 s[12:14], s[0:1], 0x58
	v_lshrrev_b32_e32 v35, 1, v0
	v_and_b32_e32 v36, 1, v0
	v_lshlrev_b32_e32 v3, 3, v0
	s_mul_u64 s[4:5], s[2:3], s[4:5]
	s_ashr_i32 s3, ttmp9, 31
	s_ashr_i32 s4, s10, 31
	s_mul_i32 s16, ttmp9, 0x60
	s_mov_b32 s8, exec_lo
	v_cmpx_gt_u32_e32 24, v0
	s_cbranch_execz .LBB156_5
; %bb.4:
	s_load_b64 s[10:11], s[0:1], 0x18
	s_wait_kmcnt 0x0
	s_mul_i32 s22, s12, s20
	s_ashr_i32 s17, s16, 31
	s_ashr_i32 s23, s22, 31
	v_lshlrev_b32_e32 v4, 3, v35
	s_lshl_b64 s[22:23], s[22:23], 1
	s_delay_alu instid0(VALU_DEP_1) | instskip(SKIP_2) | instid1(SALU_CYCLE_1)
	v_mad_u32_u24 v4, 0x60, v36, v4
	s_add_nc_u64 s[10:11], s[10:11], s[22:23]
	s_lshl_b64 s[22:23], s[16:17], 1
	s_add_nc_u64 s[10:11], s[10:11], s[22:23]
	global_load_b64 v[1:2], v3, s[10:11]
	s_wait_loadcnt 0x0
	ds_store_b64 v4, v[1:2]
.LBB156_5:
	s_or_b32 exec_lo, exec_lo, s8
	s_clause 0x1
	s_load_b128 s[8:11], s[0:1], 0x78
	s_load_b32 s22, s[0:1], 0x88
	s_wait_kmcnt 0x0
	s_mul_i32 s12, s5, s18
	s_xor_b32 s3, s3, s4
	s_sub_co_i32 s2, s2, s12
	s_add_co_i32 s4, s5, 1
	s_wait_alu 0xfffe
	s_sub_co_i32 s12, s2, s18
	s_cmp_ge_u32 s2, s18
	s_mov_b32 s24, -1
	s_cselect_b32 s4, s4, s5
	s_cselect_b32 s2, s12, s2
	s_add_co_i32 s5, s4, 1
	s_wait_alu 0xfffe
	s_cmp_ge_u32 s2, s18
	s_wait_dscnt 0x0
	s_cselect_b32 s2, s5, s4
	s_add_co_i32 s23, s31, -1
	s_wait_alu 0xfffe
	s_xor_b32 s2, s2, s3
	s_barrier_signal -1
	s_wait_alu 0xfffe
	s_sub_co_i32 s26, s2, s3
	s_barrier_wait -1
	s_abs_i32 s12, s11
	global_inv scope:SCOPE_SE
	s_cvt_f32_u32 s4, s12
                                        ; implicit-def: $sgpr17
	s_delay_alu instid0(SALU_CYCLE_3) | instskip(NEXT) | instid1(TRANS32_DEP_1)
	v_rcp_iflag_f32_e32 v1, s4
	v_readfirstlane_b32 s4, v1
	s_mul_f32 s2, s4, 0x4f7ffffe
	s_wait_alu 0xfffe
	s_delay_alu instid0(SALU_CYCLE_2) | instskip(SKIP_2) | instid1(SALU_CYCLE_1)
	s_cvt_u32_f32 s4, s2
	s_sub_co_i32 s2, 0, s12
	s_wait_alu 0xfffe
	s_mul_i32 s3, s2, s4
	s_abs_i32 s2, s23
	s_wait_alu 0xfffe
	s_mul_hi_u32 s5, s4, s3
	s_mov_b32 s3, 0
	s_wait_alu 0xfffe
	s_add_co_i32 s18, s4, s5
	s_cmp_lt_i32 s22, 0
	s_mov_b32 s19, s3
	s_cbranch_scc0 .LBB156_7
; %bb.6:
	s_mul_i32 s4, s8, s6
	s_mov_b32 s24, s3
	s_wait_alu 0xfffe
	s_add_co_i32 s4, s26, s4
	s_wait_alu 0xfffe
	s_mul_i32 s4, s4, s22
	s_wait_alu 0xfffe
	s_sub_co_i32 s17, 1, s4
.LBB156_7:
	s_mul_u64 s[4:5], s[2:3], s[18:19]
	s_ashr_i32 s3, s23, 31
	s_and_not1_b32 vcc_lo, exec_lo, s24
	s_ashr_i32 s11, s11, 31
	s_cbranch_vccnz .LBB156_9
; %bb.8:
	s_mul_i32 s4, s21, s8
	s_wait_alu 0xfffe
	s_add_co_i32 s4, s4, ttmp9
	s_wait_alu 0xfffe
	s_mul_i32 s4, s4, s22
	s_wait_alu 0xfffe
	s_add_co_i32 s17, s4, 1
.LBB156_9:
	s_clause 0x2
	s_load_b32 s4, s[0:1], 0x48
	s_load_b64 s[22:23], s[0:1], 0x38
	s_load_b32 s8, s[0:1], 0x98
	s_mul_i32 s6, s5, s12
	s_xor_b32 s3, s3, s11
	s_sub_co_i32 s2, s2, s6
	s_add_co_i32 s19, s5, 1
	v_lshrrev_b32_e32 v37, 5, v0
	v_mov_b32_e32 v6, 0xff7fffff
	v_mbcnt_lo_u32_b32 v5, -1, 0
	s_mul_i32 s26, s26, s14
	s_delay_alu instid0(VALU_DEP_3)
	v_lshl_add_u32 v38, v37, 4, s33
	s_wait_kmcnt 0x0
	s_mul_i32 s24, s4, s20
	s_wait_alu 0xfffe
	s_sub_co_i32 s4, s2, s12
	s_ashr_i32 s25, s24, 31
	s_cmp_ge_u32 s2, s12
	s_cselect_b32 s5, s19, s5
	s_wait_alu 0xfffe
	s_cselect_b32 s2, s4, s2
	s_add_co_i32 s4, s5, 1
	s_wait_alu 0xfffe
	s_cmp_ge_u32 s2, s12
	s_cselect_b32 s2, s4, s5
	s_add_co_i32 s4, s31, 15
	s_lshl_b32 s36, s30, 5
	s_wait_alu 0xfffe
	s_ashr_i32 s5, s4, 31
	v_or_b32_e32 v39, s36, v37
	s_wait_alu 0xfffe
	s_lshr_b32 s5, s5, 28
	s_wait_alu 0xfffe
	s_add_co_i32 s4, s4, s5
	s_add_co_i32 s5, s36, 32
	s_wait_alu 0xfffe
	s_ashr_i32 s34, s4, 4
	s_xor_b32 s4, s2, s3
	s_min_i32 s19, s5, s34
	v_lshlrev_b32_e32 v4, 2, v39
	v_cmp_gt_i32_e64 s2, s19, v39
	s_wait_alu 0xfffe
	s_sub_co_i32 s35, s4, s3
	s_and_saveexec_b32 s6, s2
	s_cbranch_execz .LBB156_21
; %bb.10:
	s_ashr_i32 s27, s26, 31
	s_sub_co_i32 s14, s35, s9
	s_lshl_b64 s[4:5], s[26:27], 1
	s_cmp_neq_f32 s15, 0
	s_load_b64 s[38:39], s[0:1], 0x20
	v_bfe_u32 v7, v0, 1, 4
	v_and_b32_e32 v2, 8, v3
	s_cselect_b32 vcc_lo, -1, 0
	s_abs_i32 s27, s10
	s_lshl_b64 s[40:41], s[24:25], 2
	s_cvt_f32_u32 s3, s27
	v_lshlrev_b32_e32 v6, 4, v7
	v_dual_mov_b32 v14, 0xff7fffff :: v_dual_lshlrev_b32 v9, 2, v7
	s_wait_alu 0xfffe
	v_rcp_iflag_f32_e32 v1, s3
	v_subrev_nc_u32_e32 v12, s31, v7
	s_add_nc_u64 s[40:41], s[22:23], s[40:41]
	v_lshl_or_b32 v13, v37, 6, v9
	s_sub_co_i32 s37, 0, s27
	v_cmp_eq_u32_e64 s3, 0, v36
	v_mul_u32_u24_e32 v8, 0x60, v36
	v_lshl_add_u32 v11, v37, 4, s33
	v_add_nc_u32_e32 v12, 1, v12
	v_dual_mov_b32 v16, v39 :: v_dual_add_nc_u32 v13, 0xe0, v13
	v_readfirstlane_b32 s29, v1
	s_wait_kmcnt 0x0
	s_add_nc_u64 s[4:5], s[38:39], s[4:5]
	v_xor_b32_e32 v15, 1, v5
	s_wait_alu 0xfffe
	v_add_co_u32 v1, s4, s4, v6
	s_mul_f32 s29, s29, 0x4f7ffffe
	s_wait_alu 0xf1ff
	v_add_co_ci_u32_e64 v6, null, s5, 0, s4
	v_add_co_u32 v9, s4, v1, v2
	s_cvt_u32_f32 s5, s29
	s_wait_alu 0xf1ff
	v_add_co_ci_u32_e64 v10, null, 0, v6, s4
	v_add_co_u32 v1, s4, s40, v4
	s_wait_alu 0xfffe
	s_mul_i32 s37, s37, s5
	v_add_co_ci_u32_e64 v2, null, s41, 0, s4
	v_mov_b32_e32 v6, 0xff7fffff
	s_wait_alu 0xfffe
	s_mul_hi_u32 s4, s5, s37
	s_mov_b32 s28, 0
	s_mov_b32 s29, s13
	s_wait_alu 0xfffe
	s_add_co_i32 s37, s5, s4
	s_branch .LBB156_13
.LBB156_11:                             ;   in Loop: Header=BB156_13 Depth=1
	s_or_b32 exec_lo, exec_lo, s38
.LBB156_12:                             ;   in Loop: Header=BB156_13 Depth=1
	s_wait_alu 0xfffe
	s_or_b32 exec_lo, exec_lo, s5
	v_add_nc_u32_e32 v16, 4, v16
	v_add_co_u32 v1, s5, v1, 16
	s_wait_alu 0xf1ff
	v_add_co_ci_u32_e64 v2, null, 0, v2, s5
	s_delay_alu instid0(VALU_DEP_3)
	v_cmp_le_i32_e64 s4, s19, v16
	v_add_nc_u32_e32 v11, 64, v11
	v_add_nc_u32_e32 v13, 0x100, v13
	s_or_b32 s28, s4, s28
	s_wait_alu 0xfffe
	s_and_not1_b32 exec_lo, exec_lo, s28
	s_cbranch_execz .LBB156_20
.LBB156_13:                             ; =>This Inner Loop Header: Depth=1
	v_sub_nc_u32_e32 v17, 0, v11
	s_delay_alu instid0(VALU_DEP_1) | instskip(SKIP_1) | instid1(VALU_DEP_1)
	v_max_i32_e32 v17, v11, v17
	s_wait_dscnt 0x0
	v_mul_hi_u32 v18, v17, s18
	s_delay_alu instid0(VALU_DEP_1) | instskip(NEXT) | instid1(VALU_DEP_1)
	v_mul_lo_u32 v19, v18, s12
	v_sub_nc_u32_e32 v17, v17, v19
	v_add_nc_u32_e32 v19, 1, v18
	s_delay_alu instid0(VALU_DEP_2) | instskip(SKIP_2) | instid1(VALU_DEP_1)
	v_subrev_nc_u32_e32 v20, s12, v17
	v_cmp_le_u32_e64 s4, s12, v17
	s_wait_alu 0xf1ff
	v_cndmask_b32_e64 v18, v18, v19, s4
	s_delay_alu instid0(VALU_DEP_3) | instskip(SKIP_1) | instid1(VALU_DEP_3)
	v_cndmask_b32_e64 v17, v17, v20, s4
	v_ashrrev_i32_e32 v19, 31, v11
	v_add_nc_u32_e32 v20, 1, v18
	s_delay_alu instid0(VALU_DEP_3) | instskip(NEXT) | instid1(VALU_DEP_3)
	v_cmp_le_u32_e64 s4, s12, v17
	v_xor_b32_e32 v19, s11, v19
	s_wait_alu 0xf1ff
	s_delay_alu instid0(VALU_DEP_2) | instskip(NEXT) | instid1(VALU_DEP_1)
	v_cndmask_b32_e64 v17, v18, v20, s4
	v_xor_b32_e32 v17, v17, v19
	s_delay_alu instid0(VALU_DEP_1) | instskip(NEXT) | instid1(VALU_DEP_1)
	v_sub_nc_u32_e32 v17, v17, v19
	v_add_nc_u32_e32 v18, s17, v17
	v_cmp_ge_i32_e64 s5, s14, v17
	s_delay_alu instid0(VALU_DEP_2) | instskip(NEXT) | instid1(VALU_DEP_1)
	v_sub_nc_u32_e32 v19, 0, v18
	v_max_i32_e32 v19, v18, v19
	v_ashrrev_i32_e32 v18, 31, v18
	s_wait_alu 0xfffe
	s_delay_alu instid0(VALU_DEP_2) | instskip(NEXT) | instid1(VALU_DEP_1)
	v_mul_hi_u32 v20, v19, s37
	v_mul_lo_u32 v20, v20, s27
	s_delay_alu instid0(VALU_DEP_1) | instskip(NEXT) | instid1(VALU_DEP_1)
	v_sub_nc_u32_e32 v19, v19, v20
	v_subrev_nc_u32_e32 v20, s27, v19
	v_cmp_le_u32_e64 s4, s27, v19
	s_wait_alu 0xf1ff
	s_delay_alu instid0(VALU_DEP_1) | instskip(NEXT) | instid1(VALU_DEP_1)
	v_cndmask_b32_e64 v19, v19, v20, s4
	v_subrev_nc_u32_e32 v20, s27, v19
	v_cmp_le_u32_e64 s4, s27, v19
	s_wait_alu 0xf1ff
	s_delay_alu instid0(VALU_DEP_1) | instskip(NEXT) | instid1(VALU_DEP_1)
	v_cndmask_b32_e64 v19, v19, v20, s4
	v_xor_b32_e32 v19, v19, v18
	s_delay_alu instid0(VALU_DEP_1) | instskip(NEXT) | instid1(VALU_DEP_1)
	v_sub_nc_u32_e32 v18, v19, v18
	v_cmp_ne_u32_e64 s4, 0, v18
	s_and_b32 s4, s4, s5
	s_wait_alu 0xfffe
	s_and_saveexec_b32 s5, s4
	s_wait_alu 0xfffe
	s_xor_b32 s4, exec_lo, s5
	s_cbranch_execz .LBB156_17
; %bb.14:                               ;   in Loop: Header=BB156_13 Depth=1
	s_and_saveexec_b32 s5, s3
; %bb.15:                               ;   in Loop: Header=BB156_13 Depth=1
	ds_store_b32 v13, v14
; %bb.16:                               ;   in Loop: Header=BB156_13 Depth=1
	s_wait_alu 0xfffe
	s_or_b32 exec_lo, exec_lo, s5
.LBB156_17:                             ;   in Loop: Header=BB156_13 Depth=1
	s_wait_alu 0xfffe
	s_and_not1_saveexec_b32 s5, s4
	s_cbranch_execz .LBB156_12
; %bb.18:                               ;   in Loop: Header=BB156_13 Depth=1
	global_load_b32 v17, v[1:2], off
	s_wait_loadcnt 0x0
	v_mad_co_i64_i32 v[17:18], null, v17, s29, 0
	s_delay_alu instid0(VALU_DEP_1) | instskip(NEXT) | instid1(VALU_DEP_1)
	v_lshlrev_b64_e32 v[17:18], 1, v[17:18]
	v_add_co_u32 v17, s4, v9, v17
	s_wait_alu 0xf1ff
	s_delay_alu instid0(VALU_DEP_2)
	v_add_co_ci_u32_e64 v18, null, v10, v18, s4
	v_cmp_gt_i32_e64 s4, 32, v15
	s_clause 0xb
	global_load_b64 v[33:34], v[17:18], off
	global_load_b64 v[48:49], v[17:18], off offset:256
	global_load_b64 v[50:51], v[17:18], off offset:512
	global_load_b64 v[52:53], v[17:18], off offset:768
	global_load_b64 v[54:55], v[17:18], off offset:1024
	global_load_b64 v[56:57], v[17:18], off offset:1280
	global_load_b64 v[58:59], v[17:18], off offset:1536
	global_load_b64 v[60:61], v[17:18], off offset:1792
	global_load_b64 v[62:63], v[17:18], off offset:2048
	global_load_b64 v[64:65], v[17:18], off offset:2304
	global_load_b64 v[66:67], v[17:18], off offset:2560
	global_load_b64 v[68:69], v[17:18], off offset:2816
	ds_load_b128 v[17:20], v8
	ds_load_b128 v[21:24], v8 offset:16
	ds_load_b128 v[25:28], v8 offset:32
	;; [unrolled: 1-line block ×5, first 2 shown]
	s_wait_loadcnt 0xb
	v_lshlrev_b32_e32 v94, 16, v33
	s_wait_dscnt 0x5
	v_lshlrev_b32_e32 v73, 16, v20
	s_wait_loadcnt 0xa
	v_lshlrev_b32_e32 v97, 16, v49
	v_lshlrev_b32_e32 v72, 16, v19
	;; [unrolled: 1-line block ×4, first 2 shown]
	v_and_b32_e32 v49, 0xffff0000, v49
	s_wait_loadcnt 0x5
	v_lshlrev_b32_e32 v106, 16, v58
	v_and_b32_e32 v58, 0xffff0000, v58
	v_dual_mul_f32 v73, v73, v97 :: v_dual_and_b32 v20, 0xffff0000, v20
	v_dual_mul_f32 v72, v72, v96 :: v_dual_lshlrev_b32 v71, 16, v18
	s_wait_dscnt 0x4
	v_lshlrev_b32_e32 v74, 16, v21
	s_delay_alu instid0(VALU_DEP_3)
	v_dual_mul_f32 v20, v20, v49 :: v_dual_lshlrev_b32 v75, 16, v22
	v_and_b32_e32 v34, 0xffff0000, v34
	v_and_b32_e32 v48, 0xffff0000, v48
	v_lshlrev_b32_e32 v99, 16, v51
	v_lshlrev_b32_e32 v105, 16, v57
	v_and_b32_e32 v57, 0xffff0000, v57
	v_lshlrev_b32_e32 v107, 16, v59
	v_and_b32_e32 v18, 0xffff0000, v18
	s_wait_dscnt 0x3
	v_lshlrev_b32_e32 v81, 16, v28
	s_wait_loadcnt 0x3
	v_lshlrev_b32_e32 v110, 16, v62
	v_and_b32_e32 v62, 0xffff0000, v62
	v_and_b32_e32 v28, 0xffff0000, v28
	v_and_b32_e32 v19, 0xffff0000, v19
	v_dual_fmac_f32 v73, v71, v95 :: v_dual_lshlrev_b32 v70, 16, v17
	s_wait_dscnt 0x2
	v_lshlrev_b32_e32 v82, 16, v29
	v_lshlrev_b32_e32 v98, 16, v50
	;; [unrolled: 1-line block ×3, first 2 shown]
	v_dual_mul_f32 v19, v19, v48 :: v_dual_fmac_f32 v72, v70, v94
	v_lshlrev_b32_e32 v77, 16, v24
	v_fmac_f32_e32 v73, v75, v99
	v_and_b32_e32 v33, 0xffff0000, v33
	v_lshlrev_b32_e32 v108, 16, v60
	v_fmac_f32_e32 v72, v74, v98
	s_delay_alu instid0(VALU_DEP_4)
	v_dual_fmac_f32 v73, v77, v101 :: v_dual_lshlrev_b32 v84, 16, v31
	v_and_b32_e32 v17, 0xffff0000, v17
	v_lshlrev_b32_e32 v76, 16, v23
	v_lshlrev_b32_e32 v100, 16, v52
	;; [unrolled: 1-line block ×3, first 2 shown]
	v_and_b32_e32 v51, 0xffff0000, v51
	v_fmac_f32_e32 v19, v17, v33
	s_delay_alu instid0(VALU_DEP_4) | instskip(SKIP_3) | instid1(VALU_DEP_3)
	v_dual_fmac_f32 v72, v76, v100 :: v_dual_lshlrev_b32 v79, 16, v26
	s_wait_dscnt 0x1
	v_lshlrev_b32_e32 v88, 16, v42
	v_and_b32_e32 v60, 0xffff0000, v60
	v_dual_fmac_f32 v20, v18, v34 :: v_dual_fmac_f32 v73, v79, v103
	s_wait_dscnt 0x0
	v_lshlrev_b32_e32 v90, 16, v44
	v_and_b32_e32 v53, 0xffff0000, v53
	v_lshlrev_b32_e32 v109, 16, v61
	v_and_b32_e32 v55, 0xffff0000, v55
	v_fmac_f32_e32 v73, v81, v105
	v_and_b32_e32 v31, 0xffff0000, v31
	v_and_b32_e32 v22, 0xffff0000, v22
	v_lshlrev_b32_e32 v83, 16, v30
	v_lshlrev_b32_e32 v111, 16, v63
	v_and_b32_e32 v26, 0xffff0000, v26
	v_and_b32_e32 v59, 0xffff0000, v59
	v_fmac_f32_e32 v20, v22, v51
	v_dual_fmac_f32 v73, v83, v107 :: v_dual_and_b32 v24, 0xffff0000, v24
	v_lshlrev_b32_e32 v89, 16, v43
	s_wait_loadcnt 0x2
	v_and_b32_e32 v17, 0xffff0000, v64
	v_and_b32_e32 v50, 0xffff0000, v50
	v_lshlrev_b32_e32 v102, 16, v54
	v_fmac_f32_e32 v20, v24, v53
	v_lshlrev_b32_e32 v91, 16, v45
	s_wait_loadcnt 0x1
	v_lshlrev_b32_e32 v24, 16, v67
	v_and_b32_e32 v23, 0xffff0000, v23
	v_and_b32_e32 v52, 0xffff0000, v52
	v_fmac_f32_e32 v20, v26, v55
	v_and_b32_e32 v42, 0xffff0000, v42
	v_and_b32_e32 v30, 0xffff0000, v30
	v_lshlrev_b32_e32 v104, 16, v56
	v_and_b32_e32 v54, 0xffff0000, v54
	v_fmac_f32_e32 v20, v28, v57
	v_and_b32_e32 v21, 0xffff0000, v21
	v_and_b32_e32 v48, 0xffff0000, v63
	v_lshlrev_b32_e32 v63, 16, v64
	s_delay_alu instid0(VALU_DEP_4) | instskip(NEXT) | instid1(VALU_DEP_4)
	v_dual_fmac_f32 v20, v30, v59 :: v_dual_and_b32 v61, 0xffff0000, v61
	v_dual_fmac_f32 v19, v21, v50 :: v_dual_lshlrev_b32 v78, 16, v25
	v_lshlrev_b32_e32 v80, 16, v27
	v_lshlrev_b32_e32 v85, 16, v32
	s_delay_alu instid0(VALU_DEP_3) | instskip(NEXT) | instid1(VALU_DEP_4)
	v_dual_fmac_f32 v72, v78, v102 :: v_dual_and_b32 v25, 0xffff0000, v25
	v_fmac_f32_e32 v19, v23, v52
	v_lshlrev_b32_e32 v87, 16, v41
	s_delay_alu instid0(VALU_DEP_4) | instskip(NEXT) | instid1(VALU_DEP_4)
	v_dual_fmac_f32 v73, v85, v109 :: v_dual_lshlrev_b32 v86, 16, v40
	v_dual_fmac_f32 v72, v80, v104 :: v_dual_lshlrev_b32 v93, 16, v47
	s_delay_alu instid0(VALU_DEP_4) | instskip(SKIP_2) | instid1(VALU_DEP_4)
	v_fmac_f32_e32 v19, v25, v54
	v_lshlrev_b32_e32 v21, 16, v65
	v_lshlrev_b32_e32 v22, 16, v66
	v_dual_fmac_f32 v72, v82, v106 :: v_dual_fmac_f32 v73, v87, v111
	v_and_b32_e32 v32, 0xffff0000, v32
	v_and_b32_e32 v56, 0xffff0000, v56
	s_wait_loadcnt 0x0
	v_lshlrev_b32_e32 v26, 16, v68
	v_dual_fmac_f32 v72, v84, v108 :: v_dual_fmac_f32 v73, v89, v21
	v_dual_fmac_f32 v20, v32, v61 :: v_dual_and_b32 v27, 0xffff0000, v27
	v_lshlrev_b32_e32 v92, 16, v46
	s_delay_alu instid0(VALU_DEP_3) | instskip(NEXT) | instid1(VALU_DEP_3)
	v_fmac_f32_e32 v72, v86, v110
	v_dual_fmac_f32 v19, v27, v56 :: v_dual_and_b32 v18, 0xffff0000, v65
	v_lshlrev_b32_e32 v21, 16, v69
	s_delay_alu instid0(VALU_DEP_3) | instskip(SKIP_3) | instid1(VALU_DEP_4)
	v_dual_fmac_f32 v73, v91, v24 :: v_dual_fmac_f32 v72, v88, v63
	v_and_b32_e32 v46, 0xffff0000, v46
	v_and_b32_e32 v23, 0xffff0000, v66
	;; [unrolled: 1-line block ×3, first 2 shown]
	v_dual_fmac_f32 v73, v93, v21 :: v_dual_fmac_f32 v72, v90, v22
	v_and_b32_e32 v43, 0xffff0000, v43
	v_and_b32_e32 v44, 0xffff0000, v44
	;; [unrolled: 1-line block ×3, first 2 shown]
	s_wait_alu 0xf1ff
	v_cndmask_b32_e64 v21, v5, v15, s4
	v_dual_fmac_f32 v72, v92, v26 :: v_dual_and_b32 v41, 0xffff0000, v41
	s_delay_alu instid0(VALU_DEP_1) | instskip(NEXT) | instid1(VALU_DEP_1)
	v_dual_fmac_f32 v20, v41, v48 :: v_dual_and_b32 v29, 0xffff0000, v29
	v_fmac_f32_e32 v19, v29, v58
	s_delay_alu instid0(VALU_DEP_2) | instskip(NEXT) | instid1(VALU_DEP_2)
	v_fmac_f32_e32 v20, v43, v18
	v_dual_fmac_f32 v19, v31, v60 :: v_dual_and_b32 v18, 0xffff0000, v69
	s_delay_alu instid0(VALU_DEP_1) | instskip(NEXT) | instid1(VALU_DEP_1)
	v_fmac_f32_e32 v19, v40, v62
	v_fmac_f32_e32 v19, v42, v17
	v_and_b32_e32 v17, 0xffff0000, v68
	s_delay_alu instid0(VALU_DEP_2) | instskip(NEXT) | instid1(VALU_DEP_1)
	v_fmac_f32_e32 v19, v44, v23
	v_fmac_f32_e32 v19, v46, v17
	v_and_b32_e32 v17, 0xffff0000, v47
	v_and_b32_e32 v45, 0xffff0000, v45
	s_delay_alu instid0(VALU_DEP_1) | instskip(NEXT) | instid1(VALU_DEP_1)
	v_dual_add_f32 v19, v72, v19 :: v_dual_fmac_f32 v20, v45, v25
	v_dual_fmac_f32 v20, v17, v18 :: v_dual_add_f32 v17, v19, v73
	v_lshlrev_b32_e32 v18, 2, v21
	s_delay_alu instid0(VALU_DEP_2)
	v_add_f32_e32 v17, v20, v17
	ds_bpermute_b32 v18, v18, v17
	s_and_saveexec_b32 s38, s3
	s_cbranch_execz .LBB156_11
; %bb.19:                               ;   in Loop: Header=BB156_13 Depth=1
	s_wait_dscnt 0x0
	v_add_f32_e32 v17, v17, v18
	v_add_nc_u32_e32 v19, v12, v11
	s_delay_alu instid0(VALU_DEP_1) | instskip(NEXT) | instid1(VALU_DEP_1)
	v_cvt_f32_i32_e32 v19, v19
	v_mul_f32_e32 v19, s15, v19
	s_delay_alu instid0(VALU_DEP_1) | instskip(NEXT) | instid1(VALU_DEP_1)
	v_dual_cndmask_b32 v18, 0, v19 :: v_dual_max_num_f32 v19, v6, v6
	v_dual_fmac_f32 v18, s7, v17 :: v_dual_add_nc_u32 v17, v7, v11
	s_delay_alu instid0(VALU_DEP_1) | instskip(NEXT) | instid1(VALU_DEP_2)
	v_max_num_f32_e32 v19, v19, v18
	v_cmp_gt_i32_e64 s4, s31, v17
	s_wait_alu 0xf1ff
	s_delay_alu instid0(VALU_DEP_1) | instskip(NEXT) | instid1(VALU_DEP_3)
	v_cndmask_b32_e64 v17, 0, v18, s4
	v_cndmask_b32_e64 v6, v6, v19, s4
	ds_store_b32 v13, v17
	s_branch .LBB156_11
.LBB156_20:
	s_or_b32 exec_lo, exec_lo, s28
.LBB156_21:
	s_delay_alu instid0(SALU_CYCLE_1)
	s_or_b32 exec_lo, exec_lo, s6
	v_xor_b32_e32 v1, 16, v5
	v_xor_b32_e32 v2, 8, v5
	;; [unrolled: 1-line block ×3, first 2 shown]
	s_clause 0x2
	s_load_b128 s[4:7], s[0:1], 0x0
	s_load_b64 s[14:15], s[0:1], 0x10
	s_load_b64 s[28:29], s[0:1], 0x28
	v_and_b32_e32 v40, 31, v0
	v_cmp_gt_i32_e32 vcc_lo, 32, v1
	s_wait_alu 0xfffd
	v_dual_max_num_f32 v8, v6, v6 :: v_dual_cndmask_b32 v1, v5, v1
	v_cmp_gt_i32_e32 vcc_lo, 32, v2
	s_wait_alu 0xfffd
	s_delay_alu instid0(VALU_DEP_2) | instskip(SKIP_3) | instid1(VALU_DEP_1)
	v_dual_cndmask_b32 v2, v5, v2 :: v_dual_lshlrev_b32 v7, 2, v1
	ds_bpermute_b32 v1, v7, v6
	s_wait_dscnt 0x0
	v_dual_max_num_f32 v1, v1, v1 :: v_dual_lshlrev_b32 v6, 2, v2
	v_max_num_f32_e32 v1, v8, v1
	v_xor_b32_e32 v8, 4, v5
	s_delay_alu instid0(VALU_DEP_1)
	v_cmp_gt_i32_e32 vcc_lo, 32, v8
	s_wait_alu 0xfffd
	v_cndmask_b32_e32 v8, v5, v8, vcc_lo
	ds_bpermute_b32 v2, v6, v1
	v_cmp_gt_i32_e32 vcc_lo, 32, v9
	s_wait_alu 0xfffd
	v_cndmask_b32_e32 v9, v5, v9, vcc_lo
	v_cmp_eq_u32_e32 vcc_lo, 0, v40
	s_wait_dscnt 0x0
	v_max_num_f32_e32 v2, v2, v2
	s_delay_alu instid0(VALU_DEP_1) | instskip(SKIP_3) | instid1(VALU_DEP_1)
	v_dual_max_num_f32 v1, v1, v2 :: v_dual_lshlrev_b32 v8, 2, v8
	ds_bpermute_b32 v2, v8, v1
	s_wait_dscnt 0x0
	v_max_num_f32_e32 v2, v2, v2
	v_dual_max_num_f32 v1, v1, v2 :: v_dual_lshlrev_b32 v2, 2, v9
	v_lshlrev_b32_e32 v9, 2, v37
	ds_bpermute_b32 v10, v2, v1
	s_and_saveexec_b32 s0, vcc_lo
	s_cbranch_execz .LBB156_23
; %bb.22:
	s_wait_dscnt 0x0
	v_dual_max_num_f32 v10, v10, v10 :: v_dual_max_num_f32 v1, v1, v1
	s_delay_alu instid0(VALU_DEP_1)
	v_max_num_f32_e32 v1, v1, v10
	ds_store_b32 v9, v1 offset:192
.LBB156_23:
	s_or_b32 exec_lo, exec_lo, s0
	v_cmp_gt_u32_e64 s0, 4, v40
	s_wait_dscnt 0x0
	v_dual_mov_b32 v1, 0xff7fffff :: v_dual_lshlrev_b32 v10, 2, v40
	s_wait_loadcnt 0x0
	s_barrier_signal -1
	s_barrier_wait -1
	global_inv scope:SCOPE_SE
	s_and_saveexec_b32 s1, s0
; %bb.24:
	ds_load_b32 v1, v10 offset:192
; %bb.25:
	s_or_b32 exec_lo, exec_lo, s1
	s_wait_dscnt 0x0
	ds_bpermute_b32 v11, v2, v1
	v_xor_b32_e32 v12, 1, v5
	v_max_num_f32_e32 v1, v1, v1
	s_delay_alu instid0(VALU_DEP_2) | instskip(NEXT) | instid1(VALU_DEP_1)
	v_cmp_gt_i32_e64 s1, 32, v12
	v_cndmask_b32_e64 v5, v5, v12, s1
	s_sub_co_i32 s1, s19, s36
	s_wait_alu 0xfffe
	s_lshl_b32 s1, s1, 4
	s_delay_alu instid0(VALU_DEP_1)
	v_lshlrev_b32_e32 v41, 2, v5
	s_wait_alu 0xfffe
	s_add_co_i32 s1, s1, s33
	s_wait_alu 0xfffe
	s_min_i32 s1, s1, s31
	s_wait_dscnt 0x0
	v_max_num_f32_e32 v11, v11, v11
	s_wait_alu 0xfffe
	s_sub_co_i32 s27, s1, s33
	s_wait_alu 0xfffe
	v_cmp_gt_i32_e64 s1, s27, v0
	v_max_num_f32_e32 v1, v1, v11
	v_mov_b32_e32 v11, 0
	ds_bpermute_b32 v5, v41, v1
	s_wait_dscnt 0x0
	v_max_num_f32_e32 v5, v5, v5
	s_delay_alu instid0(VALU_DEP_1)
	v_max_num_f32_e32 v1, v1, v5
	v_lshl_add_u32 v5, v0, 2, 0xe0
	ds_bpermute_b32 v1, v11, v1
	s_and_saveexec_b32 s33, s1
	s_cbranch_execz .LBB156_29
; %bb.26:
	v_lshl_add_u32 v12, v0, 2, 0xe0
	v_mov_b32_e32 v11, 0
	v_mov_b32_e32 v13, v0
	s_mov_b32 s36, 0
.LBB156_27:                             ; =>This Inner Loop Header: Depth=1
	ds_load_b32 v14, v12
	v_add_nc_u32_e32 v13, 0x80, v13
	s_delay_alu instid0(VALU_DEP_1) | instskip(SKIP_4) | instid1(VALU_DEP_1)
	v_cmp_le_i32_e64 s3, s27, v13
	s_wait_alu 0xfffe
	s_or_b32 s36, s3, s36
	s_wait_dscnt 0x0
	v_sub_f32_e32 v14, v14, v1
	v_mul_f32_e32 v14, 0x3fb8aa3b, v14
	s_delay_alu instid0(VALU_DEP_1)
	v_exp_f32_e32 v14, v14
	ds_store_b32 v12, v14
	v_dual_add_f32 v11, v11, v14 :: v_dual_add_nc_u32 v12, 0x200, v12
	s_wait_alu 0xfffe
	s_and_not1_b32 exec_lo, exec_lo, s36
	s_cbranch_execnz .LBB156_27
; %bb.28:
	s_or_b32 exec_lo, exec_lo, s36
.LBB156_29:
	s_wait_alu 0xfffe
	s_or_b32 exec_lo, exec_lo, s33
	ds_bpermute_b32 v7, v7, v11
	s_wait_dscnt 0x0
	v_add_f32_e32 v7, v11, v7
	ds_bpermute_b32 v6, v6, v7
	s_wait_dscnt 0x0
	v_add_f32_e32 v6, v7, v6
	;; [unrolled: 3-line block ×5, first 2 shown]
	s_and_saveexec_b32 s3, vcc_lo
; %bb.30:
	ds_store_b32 v9, v6 offset:208
; %bb.31:
	s_wait_alu 0xfffe
	s_or_b32 exec_lo, exec_lo, s3
	s_wait_loadcnt_dscnt 0x0
	s_barrier_signal -1
	s_barrier_wait -1
	global_inv scope:SCOPE_SE
	s_and_saveexec_b32 s3, s0
; %bb.32:
	ds_load_b32 v6, v10 offset:208
; %bb.33:
	s_wait_alu 0xfffe
	s_or_b32 exec_lo, exec_lo, s3
	s_wait_dscnt 0x0
	ds_bpermute_b32 v2, v2, v6
	s_wait_dscnt 0x0
	v_add_f32_e32 v2, v6, v2
	ds_bpermute_b32 v6, v41, v2
	s_wait_dscnt 0x0
	v_add_f32_e32 v2, v2, v6
	v_mov_b32_e32 v6, 0
	ds_bpermute_b32 v2, v6, v2
	s_and_saveexec_b32 s0, s1
	s_cbranch_execz .LBB156_36
; %bb.34:
	s_wait_dscnt 0x0
	v_add_f32_e32 v6, 0x358637bd, v2
	s_mov_b32 s1, 0
	s_delay_alu instid0(VALU_DEP_1) | instskip(SKIP_1) | instid1(VALU_DEP_2)
	v_div_scale_f32 v7, null, v6, v6, 1.0
	v_div_scale_f32 v10, vcc_lo, 1.0, v6, 1.0
	v_rcp_f32_e32 v8, v7
	s_delay_alu instid0(TRANS32_DEP_1) | instskip(NEXT) | instid1(VALU_DEP_1)
	v_fma_f32 v9, -v7, v8, 1.0
	v_fmac_f32_e32 v8, v9, v8
	s_delay_alu instid0(VALU_DEP_1) | instskip(NEXT) | instid1(VALU_DEP_1)
	v_mul_f32_e32 v9, v10, v8
	v_fma_f32 v11, -v7, v9, v10
	s_delay_alu instid0(VALU_DEP_1) | instskip(NEXT) | instid1(VALU_DEP_1)
	v_fmac_f32_e32 v9, v11, v8
	v_fma_f32 v7, -v7, v9, v10
	s_wait_alu 0xfffd
	s_delay_alu instid0(VALU_DEP_1) | instskip(NEXT) | instid1(VALU_DEP_1)
	v_div_fmas_f32 v7, v7, v8, v9
	v_div_fixup_f32 v6, v7, v6, 1.0
	v_mov_b32_e32 v7, v0
.LBB156_35:                             ; =>This Inner Loop Header: Depth=1
	ds_load_b32 v8, v5
	s_wait_dscnt 0x0
	v_dual_mul_f32 v8, v6, v8 :: v_dual_add_nc_u32 v7, 0x80, v7
	s_delay_alu instid0(VALU_DEP_1)
	v_cmp_le_i32_e32 vcc_lo, s27, v7
	ds_store_b32 v5, v8
	v_add_nc_u32_e32 v5, 0x200, v5
	s_wait_alu 0xfffe
	s_or_b32 s1, vcc_lo, s1
	s_wait_alu 0xfffe
	s_and_not1_b32 exec_lo, exec_lo, s1
	s_cbranch_execnz .LBB156_35
.LBB156_36:
	s_wait_alu 0xfffe
	s_or_b32 exec_lo, exec_lo, s0
	s_mul_i32 s0, s8, s20
	s_wait_loadcnt_dscnt 0x0
	s_wait_alu 0xfffe
	s_mul_i32 s20, s0, s21
	s_mov_b32 s0, exec_lo
	s_barrier_signal -1
	s_barrier_wait -1
	global_inv scope:SCOPE_SE
	v_cmpx_eq_u32_e32 0, v0
	s_cbranch_execz .LBB156_38
; %bb.37:
	s_ashr_i32 s21, s20, 31
	s_wait_alu 0xfffe
	s_mul_i32 s36, s8, ttmp9
	s_lshl_b32 s1, s30, 2
	s_lshl_b64 s[38:39], s[20:21], 2
	s_wait_alu 0xfffe
	s_ashr_i32 s37, s36, 31
	v_mov_b32_e32 v5, s1
	s_wait_kmcnt 0x0
	s_add_nc_u64 s[6:7], s[6:7], s[38:39]
	s_wait_alu 0xfffe
	s_lshl_b64 s[36:37], s[36:37], 2
	s_add_nc_u64 s[4:5], s[4:5], s[38:39]
	s_wait_alu 0xfffe
	s_add_nc_u64 s[6:7], s[6:7], s[36:37]
	s_add_nc_u64 s[4:5], s[4:5], s[36:37]
	s_clause 0x1
	global_store_b32 v5, v1, s[6:7]
	global_store_b32 v5, v2, s[4:5]
.LBB156_38:
	s_wait_alu 0xfffe
	s_or_b32 exec_lo, exec_lo, s0
	v_dual_mov_b32 v47, 0 :: v_dual_mov_b32 v46, 0
	v_dual_mov_b32 v45, 0 :: v_dual_mov_b32 v44, 0
	;; [unrolled: 1-line block ×3, first 2 shown]
	s_and_saveexec_b32 s1, s2
	s_cbranch_execz .LBB156_56
; %bb.39:
	s_abs_i32 s2, s10
	v_dual_mov_b32 v45, 0 :: v_dual_lshlrev_b32 v2, 4, v0
	s_wait_alu 0xfffe
	s_cvt_f32_u32 s0, s2
	s_ashr_i32 s27, s26, 31
	v_mov_b32_e32 v42, 0
	v_dual_mov_b32 v47, 0 :: v_dual_and_b32 v2, 0x1f0, v2
	s_wait_alu 0xfffe
	v_rcp_iflag_f32_e32 v1, s0
	s_lshl_b64 s[24:25], s[24:25], 2
	s_lshl_b64 s[26:27], s[26:27], 1
	s_add_nc_u64 s[22:23], s[22:23], s[24:25]
	s_wait_kmcnt 0x0
	s_wait_alu 0xfffe
	s_add_nc_u64 s[24:25], s[28:29], s[26:27]
	s_sub_co_i32 s3, s35, s9
	v_add_co_u32 v49, s9, s24, v2
	s_sub_co_i32 s7, 0, s2
	v_add_co_ci_u32_e64 v50, null, s25, 0, s9
	v_readfirstlane_b32 s0, v1
	v_lshlrev_b32_e32 v1, 5, v36
	v_add_co_u32 v33, s9, s22, v4
	v_dual_mov_b32 v43, 0 :: v_dual_and_b32 v48, 8, v3
	s_delay_alu instid0(VALU_DEP_4) | instskip(NEXT) | instid1(VALU_DEP_3)
	s_mul_f32 s0, s0, 0x4f7ffffe
	v_lshl_or_b32 v1, v37, 6, v1
	v_add_co_ci_u32_e64 v34, null, s23, 0, s9
	s_wait_alu 0xfffe
	s_cvt_u32_f32 s0, s0
	s_delay_alu instid0(VALU_DEP_2)
	v_dual_mov_b32 v44, 0 :: v_dual_add_nc_u32 v51, 0xe0, v1
	v_mov_b32_e32 v46, 0
	s_wait_alu 0xfffe
	s_mul_i32 s7, s7, s0
	s_mov_b32 s4, s13
	s_wait_alu 0xfffe
	s_mul_hi_u32 s9, s0, s7
	s_add_co_i32 s5, s34, -1
	s_mov_b32 s6, 0
	s_mov_b32 s7, s31
	s_wait_alu 0xfffe
	s_add_co_i32 s9, s0, s9
	s_branch .LBB156_42
.LBB156_40:                             ;   in Loop: Header=BB156_42 Depth=1
	s_wait_alu 0xfffe
	s_or_b32 exec_lo, exec_lo, s0
	s_wait_dscnt 0x1
	v_bfe_u32 v52, v25, 16, 1
	v_or_b32_e32 v53, 0x400000, v25
	v_bfe_u32 v54, v26, 16, 1
	v_cmp_u_f32_e32 vcc_lo, v25, v25
	v_bfe_u32 v55, v27, 16, 1
	v_add3_u32 v52, v52, v25, 0x7fff
	v_or_b32_e32 v56, 0x400000, v26
	v_add3_u32 v54, v54, v26, 0x7fff
	v_or_b32_e32 v57, 0x400000, v27
	v_add3_u32 v55, v55, v27, 0x7fff
	s_wait_alu 0xfffd
	v_cndmask_b32_e32 v25, v52, v53, vcc_lo
	v_cmp_u_f32_e32 vcc_lo, v26, v26
	v_bfe_u32 v52, v28, 16, 1
	s_wait_dscnt 0x0
	v_bfe_u32 v53, v17, 16, 1
	s_wait_loadcnt 0x1
	v_and_b32_e32 v59, 0xffff0000, v32
	s_wait_alu 0xfffd
	v_cndmask_b32_e32 v26, v54, v56, vcc_lo
	v_cmp_u_f32_e32 vcc_lo, v27, v27
	v_add3_u32 v52, v52, v28, 0x7fff
	v_or_b32_e32 v54, 0x400000, v28
	v_add3_u32 v53, v53, v17, 0x7fff
	v_bfe_u32 v56, v18, 16, 1
	s_wait_alu 0xfffd
	v_cndmask_b32_e32 v27, v55, v57, vcc_lo
	v_cmp_u_f32_e32 vcc_lo, v28, v28
	v_or_b32_e32 v55, 0x400000, v17
	s_wait_alu 0xfffd
	v_cndmask_b32_e32 v28, v52, v54, vcc_lo
	v_cmp_u_f32_e32 vcc_lo, v17, v17
	v_or_b32_e32 v54, 0x400000, v18
	s_wait_alu 0xfffd
	v_dual_cndmask_b32 v52, v53, v55 :: v_dual_and_b32 v17, 0xffff0000, v26
	v_add3_u32 v53, v56, v18, 0x7fff
	v_bfe_u32 v55, v19, 16, 1
	v_cmp_u_f32_e32 vcc_lo, v18, v18
	v_and_b32_e32 v26, 0xffff0000, v29
	s_delay_alu instid0(VALU_DEP_3)
	v_add3_u32 v18, v55, v19, 0x7fff
	s_wait_alu 0xfffd
	v_cndmask_b32_e32 v53, v53, v54, vcc_lo
	v_or_b32_e32 v54, 0x400000, v19
	v_bfe_u32 v55, v20, 16, 1
	v_cmp_u_f32_e32 vcc_lo, v19, v19
	v_mul_f32_e32 v56, v17, v26
	v_and_b32_e32 v26, 0xffff0000, v25
	v_lshlrev_b32_e32 v25, 16, v29
	v_add3_u32 v19, v55, v20, 0x7fff
	s_wait_alu 0xfffd
	v_cndmask_b32_e32 v29, v18, v54, vcc_lo
	v_or_b32_e32 v54, 0x400000, v20
	v_cmp_u_f32_e32 vcc_lo, v20, v20
	v_bfe_u32 v55, v56, 16, 1
	v_dual_mul_f32 v25, v26, v25 :: v_dual_and_b32 v18, 0xffff0000, v28
	v_and_b32_e32 v28, 0xffff0000, v30
	s_wait_alu 0xfffd
	v_cndmask_b32_e32 v20, v19, v54, vcc_lo
	v_add3_u32 v19, v55, v56, 0x7fff
	v_or_b32_e32 v54, 0x400000, v56
	v_bfe_u32 v55, v25, 16, 1
	v_mul_f32_e32 v57, v18, v28
	v_cmp_u_f32_e32 vcc_lo, v56, v56
	v_and_b32_e32 v27, 0xffff0000, v27
	v_and_b32_e32 v20, 0xffff0000, v20
	v_lshlrev_b32_e32 v28, 16, v30
	v_bfe_u32 v56, v57, 16, 1
	s_wait_alu 0xfffd
	v_cndmask_b32_e32 v30, v19, v54, vcc_lo
	v_add3_u32 v54, v55, v25, 0x7fff
	v_or_b32_e32 v55, 0x400000, v25
	v_dual_mul_f32 v58, v27, v28 :: v_dual_and_b32 v19, 0xffff0000, v53
	v_and_b32_e32 v28, 0xffff0000, v31
	v_cmp_u_f32_e32 vcc_lo, v25, v25
	v_add3_u32 v25, v56, v57, 0x7fff
	v_lshlrev_b32_e32 v31, 16, v31
	v_and_b32_e32 v30, 0xffff0000, v30
	s_wait_alu 0xfffd
	v_dual_mul_f32 v56, v19, v28 :: v_dual_cndmask_b32 v53, v54, v55
	v_or_b32_e32 v54, 0x400000, v57
	v_bfe_u32 v55, v58, 16, 1
	v_cmp_u_f32_e32 vcc_lo, v57, v57
	v_and_b32_e32 v28, 0xffff0000, v52
	v_bfe_u32 v57, v56, 16, 1
	s_wait_alu 0xfffd
	v_dual_cndmask_b32 v52, v25, v54 :: v_dual_and_b32 v53, 0xffff0000, v53
	v_add3_u32 v54, v55, v58, 0x7fff
	v_or_b32_e32 v55, 0x400000, v58
	v_cmp_u_f32_e32 vcc_lo, v58, v58
	s_delay_alu instid0(VALU_DEP_4)
	v_dual_add_f32 v30, v53, v30 :: v_dual_and_b32 v25, 0xffff0000, v29
	v_lshlrev_b32_e32 v29, 16, v32
	v_or_b32_e32 v58, 0x400000, v56
	s_wait_alu 0xfffd
	v_cndmask_b32_e32 v32, v54, v55, vcc_lo
	v_add3_u32 v55, v57, v56, 0x7fff
	v_cmp_u_f32_e32 vcc_lo, v56, v56
	s_delay_alu instid0(VALU_DEP_3) | instskip(SKIP_1) | instid1(VALU_DEP_3)
	v_dual_mul_f32 v57, v20, v59 :: v_dual_and_b32 v32, 0xffff0000, v32
	s_wait_alu 0xfffd
	v_cndmask_b32_e32 v55, v55, v58, vcc_lo
	v_dual_mul_f32 v31, v28, v31 :: v_dual_and_b32 v52, 0xffff0000, v52
	s_delay_alu instid0(VALU_DEP_3) | instskip(NEXT) | instid1(VALU_DEP_2)
	v_bfe_u32 v60, v57, 16, 1
	v_bfe_u32 v54, v31, 16, 1
	s_delay_alu instid0(VALU_DEP_3) | instskip(SKIP_2) | instid1(VALU_DEP_4)
	v_add_f32_e32 v32, v32, v52
	v_or_b32_e32 v59, 0x400000, v31
	v_cmp_u_f32_e32 vcc_lo, v31, v31
	v_add3_u32 v54, v54, v31, 0x7fff
	s_delay_alu instid0(VALU_DEP_4) | instskip(SKIP_1) | instid1(VALU_DEP_2)
	v_dual_add_f32 v30, v32, v30 :: v_dual_mul_f32 v29, v25, v29
	s_wait_alu 0xfffd
	v_cndmask_b32_e32 v31, v54, v59, vcc_lo
	v_add3_u32 v54, v60, v57, 0x7fff
	s_delay_alu instid0(VALU_DEP_3)
	v_bfe_u32 v61, v29, 16, 1
	v_or_b32_e32 v58, 0x400000, v29
	v_cmp_u_f32_e32 vcc_lo, v29, v29
	v_or_b32_e32 v59, 0x400000, v57
	v_and_b32_e32 v31, 0xffff0000, v31
	v_add3_u32 v56, v61, v29, 0x7fff
	s_wait_alu 0xfffd
	s_delay_alu instid0(VALU_DEP_1) | instskip(SKIP_1) | instid1(VALU_DEP_2)
	v_cndmask_b32_e32 v29, v56, v58, vcc_lo
	v_cmp_u_f32_e32 vcc_lo, v57, v57
	v_and_b32_e32 v29, 0xffff0000, v29
	s_wait_alu 0xfffd
	v_dual_cndmask_b32 v53, v54, v59 :: v_dual_and_b32 v54, 0xffff0000, v24
	v_lshlrev_b32_e32 v24, 16, v24
	s_delay_alu instid0(VALU_DEP_2) | instskip(SKIP_1) | instid1(VALU_DEP_3)
	v_and_b32_e32 v32, 0xffff0000, v53
	v_and_b32_e32 v52, 0xffff0000, v55
	v_mul_f32_e32 v24, v25, v24
	s_delay_alu instid0(VALU_DEP_3) | instskip(NEXT) | instid1(VALU_DEP_3)
	v_add_f32_e32 v29, v29, v32
	v_dual_add_f32 v31, v31, v52 :: v_dual_and_b32 v52, 0xffff0000, v21
	s_delay_alu instid0(VALU_DEP_1) | instskip(NEXT) | instid1(VALU_DEP_1)
	v_dual_add_f32 v30, v31, v30 :: v_dual_mul_f32 v31, v17, v52
	v_add_f32_e32 v29, v29, v30
	v_and_b32_e32 v52, 0xffff0000, v22
	v_lshlrev_b32_e32 v22, 16, v22
	v_lshlrev_b32_e32 v21, 16, v21
	v_bfe_u32 v30, v31, 16, 1
	s_delay_alu instid0(VALU_DEP_4) | instskip(NEXT) | instid1(VALU_DEP_3)
	v_dual_add_f32 v43, v43, v29 :: v_dual_mul_f32 v52, v18, v52
	v_dual_mul_f32 v22, v27, v22 :: v_dual_mul_f32 v21, v26, v21
	s_delay_alu instid0(VALU_DEP_3) | instskip(SKIP_2) | instid1(VALU_DEP_4)
	v_add3_u32 v29, v30, v31, 0x7fff
	v_or_b32_e32 v30, 0x400000, v31
	v_cmp_u_f32_e32 vcc_lo, v31, v31
	v_bfe_u32 v32, v21, 16, 1
	v_or_b32_e32 v53, 0x400000, v21
	s_wait_alu 0xfffd
	v_cndmask_b32_e32 v29, v29, v30, vcc_lo
	v_bfe_u32 v30, v52, 16, 1
	v_add3_u32 v32, v32, v21, 0x7fff
	v_cmp_u_f32_e32 vcc_lo, v21, v21
	s_delay_alu instid0(VALU_DEP_3) | instskip(SKIP_1) | instid1(VALU_DEP_3)
	v_add3_u32 v30, v30, v52, 0x7fff
	s_wait_alu 0xfffd
	v_cndmask_b32_e32 v21, v32, v53, vcc_lo
	v_or_b32_e32 v32, 0x400000, v52
	v_bfe_u32 v53, v22, 16, 1
	v_cmp_u_f32_e32 vcc_lo, v52, v52
	v_or_b32_e32 v52, 0x400000, v22
	s_wait_alu 0xfffd
	v_cndmask_b32_e32 v30, v30, v32, vcc_lo
	v_add3_u32 v32, v53, v22, 0x7fff
	v_cmp_u_f32_e32 vcc_lo, v22, v22
	v_and_b32_e32 v31, 0xffff0000, v23
	v_lshlrev_b32_e32 v23, 16, v23
	v_and_b32_e32 v30, 0xffff0000, v30
	s_wait_alu 0xfffd
	s_delay_alu instid0(VALU_DEP_3) | instskip(SKIP_1) | instid1(VALU_DEP_2)
	v_dual_cndmask_b32 v22, v32, v52 :: v_dual_mul_f32 v31, v19, v31
	v_mul_f32_e32 v52, v20, v54
	v_dual_mul_f32 v23, v28, v23 :: v_dual_and_b32 v22, 0xffff0000, v22
	s_delay_alu instid0(VALU_DEP_3) | instskip(SKIP_1) | instid1(VALU_DEP_3)
	v_bfe_u32 v53, v31, 16, 1
	v_cmp_u_f32_e32 vcc_lo, v31, v31
	v_bfe_u32 v55, v23, 16, 1
	v_bfe_u32 v56, v52, 16, 1
	v_dual_add_f32 v22, v22, v30 :: v_dual_and_b32 v21, 0xffff0000, v21
	v_add3_u32 v32, v53, v31, 0x7fff
	v_or_b32_e32 v53, 0x400000, v31
	v_add3_u32 v54, v55, v23, 0x7fff
	v_or_b32_e32 v55, 0x400000, v23
	v_and_b32_e32 v30, 0xffff0000, v13
	v_and_b32_e32 v29, 0xffff0000, v29
	s_wait_alu 0xfffd
	v_cndmask_b32_e32 v31, v32, v53, vcc_lo
	v_cmp_u_f32_e32 vcc_lo, v23, v23
	v_add3_u32 v32, v56, v52, 0x7fff
	v_or_b32_e32 v53, 0x400000, v52
	s_wait_alu 0xfffd
	v_cndmask_b32_e32 v23, v54, v55, vcc_lo
	v_bfe_u32 v54, v24, 16, 1
	v_cmp_u_f32_e32 vcc_lo, v52, v52
	s_delay_alu instid0(VALU_DEP_3) | instskip(NEXT) | instid1(VALU_DEP_3)
	v_and_b32_e32 v23, 0xffff0000, v23
	v_add3_u32 v52, v54, v24, 0x7fff
	s_wait_alu 0xfffd
	v_cndmask_b32_e32 v32, v32, v53, vcc_lo
	v_or_b32_e32 v53, 0x400000, v24
	v_cmp_u_f32_e32 vcc_lo, v24, v24
	s_wait_alu 0xfffd
	s_delay_alu instid0(VALU_DEP_2) | instskip(SKIP_2) | instid1(VALU_DEP_2)
	v_cndmask_b32_e32 v24, v52, v53, vcc_lo
	v_dual_add_f32 v21, v21, v29 :: v_dual_and_b32 v52, 0xffff0000, v16
	v_lshlrev_b32_e32 v16, 16, v16
	v_dual_add_f32 v21, v22, v21 :: v_dual_and_b32 v24, 0xffff0000, v24
	v_mul_f32_e32 v22, v17, v30
	v_and_b32_e32 v30, 0xffff0000, v32
	v_and_b32_e32 v32, 0xffff0000, v14
	v_lshlrev_b32_e32 v14, 16, v14
	v_lshlrev_b32_e32 v13, 16, v13
	v_cmp_u_f32_e32 vcc_lo, v22, v22
	v_and_b32_e32 v29, 0xffff0000, v31
	v_bfe_u32 v31, v22, 16, 1
	v_mul_f32_e32 v14, v27, v14
	s_delay_alu instid0(VALU_DEP_3) | instskip(SKIP_1) | instid1(VALU_DEP_2)
	v_dual_mul_f32 v16, v25, v16 :: v_dual_add_f32 v23, v23, v29
	v_mul_f32_e32 v29, v26, v13
	v_add_f32_e32 v13, v23, v21
	s_delay_alu instid0(VALU_DEP_2)
	v_bfe_u32 v23, v29, 16, 1
	v_add_f32_e32 v21, v24, v30
	v_add3_u32 v24, v31, v22, 0x7fff
	v_or_b32_e32 v30, 0x400000, v22
	v_mul_f32_e32 v31, v18, v32
	v_add3_u32 v23, v23, v29, 0x7fff
	v_or_b32_e32 v32, 0x400000, v29
	s_wait_alu 0xfffd
	v_cndmask_b32_e32 v22, v24, v30, vcc_lo
	v_bfe_u32 v24, v31, 16, 1
	v_cmp_u_f32_e32 vcc_lo, v29, v29
	v_and_b32_e32 v29, 0xffff0000, v15
	v_or_b32_e32 v30, 0x400000, v31
	v_and_b32_e32 v22, 0xffff0000, v22
	v_add3_u32 v24, v24, v31, 0x7fff
	s_wait_alu 0xfffd
	v_cndmask_b32_e32 v23, v23, v32, vcc_lo
	v_bfe_u32 v32, v14, 16, 1
	v_cmp_u_f32_e32 vcc_lo, v31, v31
	v_mul_f32_e32 v29, v19, v29
	v_or_b32_e32 v31, 0x400000, v14
	s_wait_alu 0xfffd
	v_cndmask_b32_e32 v24, v24, v30, vcc_lo
	v_add3_u32 v30, v32, v14, 0x7fff
	v_cmp_u_f32_e32 vcc_lo, v14, v14
	v_bfe_u32 v32, v29, 16, 1
	s_delay_alu instid0(VALU_DEP_4) | instskip(SKIP_2) | instid1(VALU_DEP_3)
	v_and_b32_e32 v24, 0xffff0000, v24
	s_wait_alu 0xfffd
	v_dual_cndmask_b32 v14, v30, v31 :: v_dual_mul_f32 v31, v20, v52
	v_add3_u32 v30, v32, v29, 0x7fff
	v_or_b32_e32 v32, 0x400000, v29
	v_cmp_u_f32_e32 vcc_lo, v29, v29
	s_delay_alu instid0(VALU_DEP_4) | instskip(SKIP_1) | instid1(VALU_DEP_2)
	v_and_b32_e32 v14, 0xffff0000, v14
	v_bfe_u32 v54, v31, 16, 1
	v_dual_add_f32 v14, v14, v24 :: v_dual_and_b32 v23, 0xffff0000, v23
	s_wait_alu 0xfffd
	s_delay_alu instid0(VALU_DEP_1) | instskip(NEXT) | instid1(VALU_DEP_3)
	v_dual_cndmask_b32 v29, v30, v32 :: v_dual_add_f32 v22, v23, v22
	v_add3_u32 v30, v54, v31, 0x7fff
	v_or_b32_e32 v32, 0x400000, v31
	v_lshlrev_b32_e32 v15, 16, v15
	v_and_b32_e32 v24, 0xffff0000, v5
	v_dual_add_f32 v14, v14, v22 :: v_dual_and_b32 v23, 0xffff0000, v29
	v_lshlrev_b32_e32 v5, 16, v5
	s_delay_alu instid0(VALU_DEP_3) | instskip(NEXT) | instid1(VALU_DEP_2)
	v_dual_mul_f32 v15, v28, v15 :: v_dual_mul_f32 v22, v17, v24
	v_dual_mul_f32 v5, v26, v5 :: v_dual_and_b32 v24, 0xffff0000, v6
	s_delay_alu instid0(VALU_DEP_2) | instskip(SKIP_1) | instid1(VALU_DEP_4)
	v_bfe_u32 v53, v15, 16, 1
	v_cmp_u_f32_e32 vcc_lo, v15, v15
	v_bfe_u32 v29, v22, 16, 1
	s_delay_alu instid0(VALU_DEP_3) | instskip(SKIP_2) | instid1(VALU_DEP_1)
	v_add3_u32 v52, v53, v15, 0x7fff
	v_or_b32_e32 v53, 0x400000, v15
	s_wait_alu 0xfffd
	v_cndmask_b32_e32 v15, v52, v53, vcc_lo
	v_bfe_u32 v52, v16, 16, 1
	v_cmp_u_f32_e32 vcc_lo, v31, v31
	s_delay_alu instid0(VALU_DEP_2)
	v_add3_u32 v31, v52, v16, 0x7fff
	s_wait_alu 0xfffd
	v_cndmask_b32_e32 v30, v30, v32, vcc_lo
	v_or_b32_e32 v32, 0x400000, v16
	v_cmp_u_f32_e32 vcc_lo, v16, v16
	s_wait_alu 0xfffd
	s_delay_alu instid0(VALU_DEP_2) | instskip(NEXT) | instid1(VALU_DEP_1)
	v_dual_cndmask_b32 v16, v31, v32 :: v_dual_and_b32 v15, 0xffff0000, v15
	v_add_f32_e32 v15, v15, v23
	v_cmp_u_f32_e32 vcc_lo, v22, v22
	v_and_b32_e32 v23, 0xffff0000, v30
	v_or_b32_e32 v30, 0x400000, v5
	v_and_b32_e32 v16, 0xffff0000, v16
	v_add_f32_e32 v14, v15, v14
	v_bfe_u32 v15, v5, 16, 1
	s_delay_alu instid0(VALU_DEP_3) | instskip(SKIP_2) | instid1(VALU_DEP_4)
	v_dual_add_f32 v16, v16, v23 :: v_dual_mul_f32 v23, v18, v24
	v_add3_u32 v24, v29, v22, 0x7fff
	v_or_b32_e32 v29, 0x400000, v22
	v_add3_u32 v15, v15, v5, 0x7fff
	s_delay_alu instid0(VALU_DEP_4) | instskip(SKIP_1) | instid1(VALU_DEP_3)
	v_bfe_u32 v31, v23, 16, 1
	s_wait_alu 0xfffd
	v_cndmask_b32_e32 v22, v24, v29, vcc_lo
	v_cmp_u_f32_e32 vcc_lo, v5, v5
	v_and_b32_e32 v29, 0xffff0000, v7
	v_lshlrev_b32_e32 v7, 16, v7
	v_lshlrev_b32_e32 v6, 16, v6
	v_or_b32_e32 v24, 0x400000, v23
	s_wait_alu 0xfffd
	v_cndmask_b32_e32 v5, v15, v30, vcc_lo
	v_add3_u32 v15, v31, v23, 0x7fff
	v_dual_mul_f32 v7, v28, v7 :: v_dual_mul_f32 v6, v27, v6
	v_cmp_u_f32_e32 vcc_lo, v23, v23
	v_mul_f32_e32 v23, v19, v29
	v_and_b32_e32 v5, 0xffff0000, v5
	v_and_b32_e32 v22, 0xffff0000, v22
	v_bfe_u32 v30, v6, 16, 1
	s_wait_alu 0xfffd
	v_cndmask_b32_e32 v15, v15, v24, vcc_lo
	v_or_b32_e32 v29, 0x400000, v6
	v_bfe_u32 v31, v23, 16, 1
	v_cmp_u_f32_e32 vcc_lo, v6, v6
	v_add3_u32 v24, v30, v6, 0x7fff
	v_dual_add_f32 v5, v5, v22 :: v_dual_and_b32 v30, 0xffff0000, v8
	v_bfe_u32 v32, v7, 16, 1
	v_lshlrev_b32_e32 v8, 16, v8
	s_wait_alu 0xfffd
	v_cndmask_b32_e32 v6, v24, v29, vcc_lo
	v_mul_f32_e32 v24, v20, v30
	v_add3_u32 v29, v31, v23, 0x7fff
	v_or_b32_e32 v30, 0x400000, v23
	v_cmp_u_f32_e32 vcc_lo, v23, v23
	v_add3_u32 v31, v32, v7, 0x7fff
	v_or_b32_e32 v32, 0x400000, v7
	v_bfe_u32 v52, v24, 16, 1
	v_dual_mul_f32 v8, v25, v8 :: v_dual_and_b32 v15, 0xffff0000, v15
	s_wait_alu 0xfffd
	v_cndmask_b32_e32 v23, v29, v30, vcc_lo
	v_cmp_u_f32_e32 vcc_lo, v7, v7
	v_and_b32_e32 v6, 0xffff0000, v6
	v_add3_u32 v29, v52, v24, 0x7fff
	v_or_b32_e32 v30, 0x400000, v24
	s_wait_alu 0xfffd
	v_cndmask_b32_e32 v7, v31, v32, vcc_lo
	v_cmp_u_f32_e32 vcc_lo, v24, v24
	v_dual_add_f32 v6, v6, v15 :: v_dual_and_b32 v15, 0xffff0000, v1
	s_wait_alu 0xfffd
	s_delay_alu instid0(VALU_DEP_3) | instskip(SKIP_1) | instid1(VALU_DEP_3)
	v_dual_cndmask_b32 v24, v29, v30 :: v_dual_and_b32 v7, 0xffff0000, v7
	v_bfe_u32 v29, v8, 16, 1
	v_dual_add_f32 v5, v6, v5 :: v_dual_and_b32 v22, 0xffff0000, v23
	v_mul_f32_e32 v6, v17, v15
	v_cmp_u_f32_e32 vcc_lo, v8, v8
	s_delay_alu instid0(VALU_DEP_4)
	v_add3_u32 v23, v29, v8, 0x7fff
	v_or_b32_e32 v29, 0x400000, v8
	v_add_f32_e32 v7, v7, v22
	v_bfe_u32 v15, v6, 16, 1
	v_or_b32_e32 v22, 0x400000, v6
	s_wait_alu 0xfffd
	v_cndmask_b32_e32 v8, v23, v29, vcc_lo
	v_cmp_u_f32_e32 vcc_lo, v6, v6
	v_add3_u32 v15, v15, v6, 0x7fff
	v_lshlrev_b32_e32 v1, 16, v1
	v_add_f32_e32 v5, v7, v5
	v_and_b32_e32 v7, 0xffff0000, v2
	v_lshlrev_b32_e32 v2, 16, v2
	s_wait_alu 0xfffd
	v_cndmask_b32_e32 v6, v15, v22, vcc_lo
	v_dual_mul_f32 v1, v26, v1 :: v_dual_and_b32 v8, 0xffff0000, v8
	v_mul_f32_e32 v7, v18, v7
	v_dual_mul_f32 v2, v27, v2 :: v_dual_and_b32 v23, 0xffff0000, v24
	s_delay_alu instid0(VALU_DEP_4) | instskip(NEXT) | instid1(VALU_DEP_4)
	v_and_b32_e32 v6, 0xffff0000, v6
	v_bfe_u32 v24, v1, 16, 1
	s_delay_alu instid0(VALU_DEP_4)
	v_bfe_u32 v15, v7, 16, 1
	v_or_b32_e32 v29, 0x400000, v1
	v_cmp_u_f32_e32 vcc_lo, v1, v1
	v_or_b32_e32 v30, 0x400000, v7
	v_add3_u32 v22, v24, v1, 0x7fff
	v_and_b32_e32 v24, 0xffff0000, v3
	v_add3_u32 v15, v15, v7, 0x7fff
	v_lshlrev_b32_e32 v3, 16, v3
	s_wait_alu 0xfffd
	v_dual_add_f32 v8, v8, v23 :: v_dual_cndmask_b32 v1, v22, v29
	v_mul_f32_e32 v24, v19, v24
	v_bfe_u32 v22, v2, 16, 1
	v_cmp_u_f32_e32 vcc_lo, v7, v7
	s_delay_alu instid0(VALU_DEP_3) | instskip(NEXT) | instid1(VALU_DEP_3)
	v_or_b32_e32 v31, 0x400000, v24
	v_add3_u32 v22, v22, v2, 0x7fff
	s_wait_alu 0xfffd
	v_cndmask_b32_e32 v7, v15, v30, vcc_lo
	v_bfe_u32 v15, v24, 16, 1
	v_or_b32_e32 v30, 0x400000, v2
	v_cmp_u_f32_e32 vcc_lo, v2, v2
	v_and_b32_e32 v29, 0xffff0000, v4
	v_dual_mul_f32 v3, v28, v3 :: v_dual_lshlrev_b32 v4, 16, v4
	v_add3_u32 v15, v15, v24, 0x7fff
	s_wait_alu 0xfffd
	s_delay_alu instid0(VALU_DEP_3)
	v_dual_cndmask_b32 v2, v22, v30 :: v_dual_mul_f32 v29, v20, v29
	v_cmp_u_f32_e32 vcc_lo, v24, v24
	v_mul_f32_e32 v4, v25, v4
	v_bfe_u32 v22, v3, 16, 1
	v_or_b32_e32 v24, 0x400000, v3
	v_bfe_u32 v30, v29, 16, 1
	s_wait_alu 0xfffd
	v_cndmask_b32_e32 v15, v15, v31, vcc_lo
	v_cmp_u_f32_e32 vcc_lo, v3, v3
	v_add3_u32 v22, v22, v3, 0x7fff
	v_or_b32_e32 v31, 0x400000, v29
	v_add3_u32 v30, v30, v29, 0x7fff
	s_wait_alu 0xfffd
	s_delay_alu instid0(VALU_DEP_3)
	v_dual_cndmask_b32 v3, v22, v24 :: v_dual_and_b32 v2, 0xffff0000, v2
	v_cmp_u_f32_e32 vcc_lo, v29, v29
	v_bfe_u32 v24, v4, 16, 1
	v_or_b32_e32 v29, 0x400000, v4
	s_wait_alu 0xfffd
	v_cndmask_b32_e32 v22, v30, v31, vcc_lo
	s_delay_alu instid0(VALU_DEP_3) | instskip(SKIP_2) | instid1(VALU_DEP_2)
	v_add3_u32 v24, v24, v4, 0x7fff
	v_cmp_u_f32_e32 vcc_lo, v4, v4
	s_wait_alu 0xfffd
	v_dual_cndmask_b32 v4, v24, v29 :: v_dual_and_b32 v7, 0xffff0000, v7
	s_delay_alu instid0(VALU_DEP_1) | instskip(SKIP_2) | instid1(VALU_DEP_2)
	v_dual_add_f32 v2, v2, v7 :: v_dual_and_b32 v1, 0xffff0000, v1
	s_wait_loadcnt 0x0
	v_lshlrev_b32_e32 v30, 16, v9
	v_dual_add_f32 v1, v1, v6 :: v_dual_and_b32 v4, 0xffff0000, v4
	s_delay_alu instid0(VALU_DEP_2) | instskip(NEXT) | instid1(VALU_DEP_2)
	v_dual_mul_f32 v7, v26, v30 :: v_dual_and_b32 v6, 0xffff0000, v15
	v_add_f32_e32 v1, v2, v1
	s_delay_alu instid0(VALU_DEP_2) | instskip(SKIP_2) | instid1(VALU_DEP_3)
	v_bfe_u32 v2, v7, 16, 1
	v_or_b32_e32 v15, 0x400000, v7
	v_cmp_u_f32_e32 vcc_lo, v7, v7
	v_add3_u32 v2, v2, v7, 0x7fff
	s_wait_alu 0xfffd
	s_delay_alu instid0(VALU_DEP_1) | instskip(SKIP_1) | instid1(VALU_DEP_2)
	v_dual_cndmask_b32 v2, v2, v15 :: v_dual_and_b32 v9, 0xffff0000, v9
	v_and_b32_e32 v3, 0xffff0000, v3
	v_and_b32_e32 v2, 0xffff0000, v2
	s_delay_alu instid0(VALU_DEP_2) | instskip(NEXT) | instid1(VALU_DEP_1)
	v_dual_add_f32 v3, v3, v6 :: v_dual_mul_f32 v6, v17, v9
	v_bfe_u32 v17, v6, 16, 1
	v_or_b32_e32 v15, 0x400000, v6
	v_cmp_u_f32_e32 vcc_lo, v6, v6
	s_delay_alu instid0(VALU_DEP_3) | instskip(SKIP_3) | instid1(VALU_DEP_3)
	v_add3_u32 v7, v17, v6, 0x7fff
	v_lshlrev_b32_e32 v9, 16, v10
	v_and_b32_e32 v10, 0xffff0000, v10
	s_wait_alu 0xfffd
	v_cndmask_b32_e32 v6, v7, v15, vcc_lo
	s_delay_alu instid0(VALU_DEP_2) | instskip(SKIP_2) | instid1(VALU_DEP_4)
	v_dual_mul_f32 v9, v27, v9 :: v_dual_mul_f32 v10, v18, v10
	v_lshlrev_b32_e32 v18, 16, v11
	v_and_b32_e32 v11, 0xffff0000, v11
	v_dual_add_f32 v1, v3, v1 :: v_dual_and_b32 v6, 0xffff0000, v6
	s_delay_alu instid0(VALU_DEP_4)
	v_bfe_u32 v17, v9, 16, 1
	v_or_b32_e32 v15, 0x400000, v9
	v_cmp_u_f32_e32 vcc_lo, v9, v9
	v_mul_f32_e32 v11, v19, v11
	v_dual_add_f32 v2, v2, v6 :: v_dual_lshlrev_b32 v19, 16, v12
	v_add3_u32 v7, v17, v9, 0x7fff
	v_bfe_u32 v17, v10, 16, 1
	v_mul_f32_e32 v18, v28, v18
	s_wait_alu 0xfffd
	s_delay_alu instid0(VALU_DEP_3) | instskip(NEXT) | instid1(VALU_DEP_3)
	v_dual_cndmask_b32 v7, v7, v15 :: v_dual_and_b32 v12, 0xffff0000, v12
	v_add3_u32 v9, v17, v10, 0x7fff
	v_or_b32_e32 v15, 0x400000, v10
	v_cmp_u_f32_e32 vcc_lo, v10, v10
	v_bfe_u32 v17, v18, 16, 1
	v_bfe_u32 v10, v11, 16, 1
	v_mul_f32_e32 v12, v20, v12
	v_or_b32_e32 v20, 0x400000, v11
	s_wait_alu 0xfffd
	v_cndmask_b32_e32 v9, v9, v15, vcc_lo
	v_add3_u32 v15, v17, v18, 0x7fff
	v_add3_u32 v10, v10, v11, 0x7fff
	v_mul_f32_e32 v17, v25, v19
	v_bfe_u32 v25, v12, 16, 1
	v_or_b32_e32 v19, 0x400000, v18
	v_cmp_u_f32_e32 vcc_lo, v18, v18
	v_and_b32_e32 v7, 0xffff0000, v7
	s_delay_alu instid0(VALU_DEP_4) | instskip(SKIP_1) | instid1(VALU_DEP_1)
	v_add3_u32 v18, v25, v12, 0x7fff
	v_and_b32_e32 v9, 0xffff0000, v9
	v_add_f32_e32 v6, v7, v9
	s_wait_alu 0xfffd
	v_cndmask_b32_e32 v15, v15, v19, vcc_lo
	v_cmp_u_f32_e32 vcc_lo, v11, v11
	v_or_b32_e32 v19, 0x400000, v12
	s_wait_alu 0xfffd
	v_cndmask_b32_e32 v10, v10, v20, vcc_lo
	v_bfe_u32 v24, v17, 16, 1
	v_cmp_u_f32_e32 vcc_lo, v12, v12
	v_or_b32_e32 v20, 0x400000, v17
	s_delay_alu instid0(VALU_DEP_4) | instskip(NEXT) | instid1(VALU_DEP_4)
	v_and_b32_e32 v7, 0xffff0000, v10
	v_add3_u32 v11, v24, v17, 0x7fff
	s_wait_alu 0xfffd
	v_cndmask_b32_e32 v12, v18, v19, vcc_lo
	v_cmp_u_f32_e32 vcc_lo, v17, v17
	v_dual_add_f32 v2, v6, v2 :: v_dual_and_b32 v9, 0xffff0000, v15
	s_wait_alu 0xfffd
	v_dual_cndmask_b32 v10, v11, v20 :: v_dual_and_b32 v11, 0xffff0000, v22
	s_delay_alu instid0(VALU_DEP_2) | instskip(NEXT) | instid1(VALU_DEP_2)
	v_dual_add_f32 v6, v9, v7 :: v_dual_and_b32 v7, 0xffff0000, v12
	v_and_b32_e32 v9, 0xffff0000, v10
	s_delay_alu instid0(VALU_DEP_2) | instskip(SKIP_1) | instid1(VALU_DEP_3)
	v_dual_add_f32 v3, v4, v11 :: v_dual_add_f32 v2, v6, v2
	v_add_f32_e32 v6, v21, v13
	v_dual_add_f32 v4, v9, v7 :: v_dual_add_f32 v7, v16, v14
	s_delay_alu instid0(VALU_DEP_2) | instskip(NEXT) | instid1(VALU_DEP_2)
	v_dual_add_f32 v1, v3, v1 :: v_dual_add_f32 v44, v44, v6
	v_add_f32_e32 v2, v4, v2
	v_add_f32_e32 v5, v8, v5
	s_delay_alu instid0(VALU_DEP_4) | instskip(NEXT) | instid1(VALU_DEP_3)
	v_add_f32_e32 v45, v45, v7
	v_dual_add_f32 v47, v47, v1 :: v_dual_add_f32 v42, v42, v2
	s_delay_alu instid0(VALU_DEP_3)
	v_add_f32_e32 v46, v46, v5
.LBB156_41:                             ;   in Loop: Header=BB156_42 Depth=1
	s_wait_alu 0xfffe
	s_or_b32 exec_lo, exec_lo, s10
	v_add_nc_u32_e32 v39, 4, v39
	v_add_co_u32 v33, s0, v33, 16
	s_wait_alu 0xf1ff
	v_add_co_ci_u32_e64 v34, null, 0, v34, s0
	s_delay_alu instid0(VALU_DEP_3)
	v_cmp_le_i32_e32 vcc_lo, s19, v39
	v_add_nc_u32_e32 v38, 64, v38
	v_add_nc_u32_e32 v51, 0x100, v51
	s_or_b32 s6, vcc_lo, s6
	s_wait_alu 0xfffe
	s_and_not1_b32 exec_lo, exec_lo, s6
	s_cbranch_execz .LBB156_55
.LBB156_42:                             ; =>This Inner Loop Header: Depth=1
	v_sub_nc_u32_e32 v1, 0, v38
	s_delay_alu instid0(VALU_DEP_1) | instskip(NEXT) | instid1(VALU_DEP_1)
	v_max_i32_e32 v1, v38, v1
	v_mul_hi_u32 v2, v1, s18
	s_delay_alu instid0(VALU_DEP_1) | instskip(NEXT) | instid1(VALU_DEP_1)
	v_mul_lo_u32 v3, v2, s12
	v_sub_nc_u32_e32 v1, v1, v3
	v_add_nc_u32_e32 v3, 1, v2
	s_delay_alu instid0(VALU_DEP_2) | instskip(SKIP_2) | instid1(VALU_DEP_2)
	v_subrev_nc_u32_e32 v4, s12, v1
	v_cmp_le_u32_e32 vcc_lo, s12, v1
	s_wait_alu 0xfffd
	v_dual_cndmask_b32 v2, v2, v3 :: v_dual_cndmask_b32 v1, v1, v4
	v_ashrrev_i32_e32 v3, 31, v38
	s_delay_alu instid0(VALU_DEP_2) | instskip(NEXT) | instid1(VALU_DEP_3)
	v_add_nc_u32_e32 v4, 1, v2
	v_cmp_le_u32_e32 vcc_lo, s12, v1
	s_delay_alu instid0(VALU_DEP_3) | instskip(SKIP_1) | instid1(VALU_DEP_3)
	v_xor_b32_e32 v3, s11, v3
	s_wait_alu 0xfffd
	v_cndmask_b32_e32 v1, v2, v4, vcc_lo
	s_delay_alu instid0(VALU_DEP_1) | instskip(NEXT) | instid1(VALU_DEP_1)
	v_xor_b32_e32 v1, v1, v3
	v_sub_nc_u32_e32 v1, v1, v3
	s_delay_alu instid0(VALU_DEP_1) | instskip(SKIP_1) | instid1(VALU_DEP_2)
	v_add_nc_u32_e32 v2, s17, v1
	v_cmp_lt_i32_e64 s0, s3, v1
	v_sub_nc_u32_e32 v3, 0, v2
	s_delay_alu instid0(VALU_DEP_1) | instskip(SKIP_1) | instid1(VALU_DEP_1)
	v_max_i32_e32 v3, v2, v3
	s_wait_alu 0xfffe
	v_mul_hi_u32 v4, v3, s9
	s_delay_alu instid0(VALU_DEP_1) | instskip(NEXT) | instid1(VALU_DEP_1)
	v_mul_lo_u32 v4, v4, s2
	v_sub_nc_u32_e32 v3, v3, v4
	s_delay_alu instid0(VALU_DEP_1) | instskip(SKIP_2) | instid1(VALU_DEP_2)
	v_subrev_nc_u32_e32 v4, s2, v3
	v_cmp_le_u32_e32 vcc_lo, s2, v3
	s_wait_alu 0xfffd
	v_cndmask_b32_e32 v3, v3, v4, vcc_lo
	v_ashrrev_i32_e32 v2, 31, v2
	s_delay_alu instid0(VALU_DEP_2) | instskip(SKIP_2) | instid1(VALU_DEP_2)
	v_subrev_nc_u32_e32 v4, s2, v3
	v_cmp_le_u32_e32 vcc_lo, s2, v3
	s_wait_alu 0xfffd
	v_cndmask_b32_e32 v3, v3, v4, vcc_lo
	s_delay_alu instid0(VALU_DEP_1) | instskip(NEXT) | instid1(VALU_DEP_1)
	v_xor_b32_e32 v3, v3, v2
	v_sub_nc_u32_e32 v2, v3, v2
	s_delay_alu instid0(VALU_DEP_1)
	v_cmp_eq_u32_e32 vcc_lo, 0, v2
	s_or_b32 s0, vcc_lo, s0
	s_wait_alu 0xfffe
	s_and_saveexec_b32 s10, s0
	s_cbranch_execz .LBB156_41
; %bb.43:                               ;   in Loop: Header=BB156_42 Depth=1
	global_load_b32 v1, v[33:34], off
	v_add_nc_u32_e32 v59, v48, v38
	s_delay_alu instid0(VALU_DEP_1)
	v_add_nc_u32_e32 v57, 1, v59
	v_or_b32_e32 v56, 3, v59
	v_or_b32_e32 v58, 2, v59
	;; [unrolled: 1-line block ×6, first 2 shown]
	s_wait_loadcnt 0x0
	v_mad_co_i64_i32 v[1:2], null, v1, s4, 0
	s_delay_alu instid0(VALU_DEP_1) | instskip(NEXT) | instid1(VALU_DEP_1)
	v_lshlrev_b64_e32 v[1:2], 1, v[1:2]
	v_add_co_u32 v9, vcc_lo, v49, v1
	s_wait_alu 0xfffd
	s_delay_alu instid0(VALU_DEP_2)
	v_add_co_ci_u32_e64 v10, null, v50, v2, vcc_lo
	v_cmp_eq_u32_e32 vcc_lo, s5, v39
	global_load_b128 v[1:4], v[9:10], off
	ds_load_2addr_b64 v[25:28], v51 offset1:1
	ds_load_2addr_b64 v[17:20], v51 offset0:2 offset1:3
	s_and_saveexec_b32 s13, vcc_lo
	s_cbranch_execnz .LBB156_49
; %bb.44:                               ;   in Loop: Header=BB156_42 Depth=1
	s_wait_alu 0xfffe
	s_or_b32 exec_lo, exec_lo, s13
	global_load_b128 v[5:8], v[9:10], off offset:512
	s_and_saveexec_b32 s13, vcc_lo
	s_cbranch_execnz .LBB156_50
.LBB156_45:                             ;   in Loop: Header=BB156_42 Depth=1
	s_wait_alu 0xfffe
	s_or_b32 exec_lo, exec_lo, s13
	global_load_b128 v[13:16], v[9:10], off offset:1024
	s_and_saveexec_b32 s13, vcc_lo
	s_cbranch_execnz .LBB156_51
.LBB156_46:                             ;   in Loop: Header=BB156_42 Depth=1
	s_wait_alu 0xfffe
	s_or_b32 exec_lo, exec_lo, s13
	global_load_b128 v[21:24], v[9:10], off offset:1536
	s_and_saveexec_b32 s13, vcc_lo
	s_cbranch_execnz .LBB156_52
.LBB156_47:                             ;   in Loop: Header=BB156_42 Depth=1
	s_wait_alu 0xfffe
	s_or_b32 exec_lo, exec_lo, s13
	global_load_b128 v[29:32], v[9:10], off offset:2048
	s_and_saveexec_b32 s13, vcc_lo
	s_cbranch_execnz .LBB156_53
.LBB156_48:                             ;   in Loop: Header=BB156_42 Depth=1
	s_wait_alu 0xfffe
	s_or_b32 exec_lo, exec_lo, s13
	global_load_b128 v[9:12], v[9:10], off offset:2560
	s_and_saveexec_b32 s0, vcc_lo
	s_cbranch_execz .LBB156_40
	s_branch .LBB156_54
.LBB156_49:                             ;   in Loop: Header=BB156_42 Depth=1
	v_cmp_gt_i32_e64 s0, s31, v59
	s_wait_loadcnt 0x0
	v_lshrrev_b32_e32 v5, 16, v1
	v_lshrrev_b32_e32 v6, 16, v2
	;; [unrolled: 1-line block ×4, first 2 shown]
	s_wait_alu 0xf1ff
	v_cndmask_b32_e64 v1, 0, v1, s0
	v_cmp_gt_i32_e64 s0, s7, v57
	s_wait_alu 0xf1ff
	s_delay_alu instid0(VALU_DEP_1) | instskip(SKIP_1) | instid1(VALU_DEP_2)
	v_cndmask_b32_e64 v5, 0, v5, s0
	v_cmp_gt_i32_e64 s0, s31, v58
	v_perm_b32 v1, v5, v1, 0x5040100
	s_wait_alu 0xf1ff
	s_delay_alu instid0(VALU_DEP_2) | instskip(SKIP_2) | instid1(VALU_DEP_1)
	v_cndmask_b32_e64 v2, 0, v2, s0
	v_cmp_gt_i32_e64 s0, s7, v56
	s_wait_alu 0xf1ff
	v_cndmask_b32_e64 v6, 0, v6, s0
	v_cmp_gt_i32_e64 s0, s31, v55
	s_delay_alu instid0(VALU_DEP_2) | instskip(SKIP_1) | instid1(VALU_DEP_2)
	v_perm_b32 v2, v6, v2, 0x5040100
	s_wait_alu 0xf1ff
	v_cndmask_b32_e64 v3, 0, v3, s0
	v_cmp_gt_i32_e64 s0, s7, v53
	s_wait_alu 0xf1ff
	s_delay_alu instid0(VALU_DEP_1) | instskip(SKIP_1) | instid1(VALU_DEP_2)
	v_cndmask_b32_e64 v7, 0, v7, s0
	v_cmp_gt_i32_e64 s0, s31, v54
	v_perm_b32 v3, v7, v3, 0x5040100
	s_wait_alu 0xf1ff
	s_delay_alu instid0(VALU_DEP_2) | instskip(SKIP_2) | instid1(VALU_DEP_1)
	v_cndmask_b32_e64 v4, 0, v4, s0
	v_cmp_gt_i32_e64 s0, s7, v52
	s_wait_alu 0xf1ff
	v_cndmask_b32_e64 v8, 0, v8, s0
	s_delay_alu instid0(VALU_DEP_1)
	v_perm_b32 v4, v8, v4, 0x5040100
	s_wait_alu 0xfffe
	s_or_b32 exec_lo, exec_lo, s13
	global_load_b128 v[5:8], v[9:10], off offset:512
	s_and_saveexec_b32 s13, vcc_lo
	s_cbranch_execz .LBB156_45
.LBB156_50:                             ;   in Loop: Header=BB156_42 Depth=1
	v_cmp_gt_i32_e64 s0, s31, v59
	s_wait_loadcnt 0x0
	v_lshrrev_b32_e32 v11, 16, v5
	v_lshrrev_b32_e32 v12, 16, v6
	v_lshrrev_b32_e32 v13, 16, v7
	v_lshrrev_b32_e32 v14, 16, v8
	s_wait_alu 0xf1ff
	v_cndmask_b32_e64 v5, 0, v5, s0
	v_cmp_gt_i32_e64 s0, s7, v57
	s_wait_alu 0xf1ff
	s_delay_alu instid0(VALU_DEP_1) | instskip(SKIP_1) | instid1(VALU_DEP_2)
	v_cndmask_b32_e64 v11, 0, v11, s0
	v_cmp_gt_i32_e64 s0, s31, v58
	v_perm_b32 v5, v11, v5, 0x5040100
	s_wait_alu 0xf1ff
	s_delay_alu instid0(VALU_DEP_2) | instskip(SKIP_2) | instid1(VALU_DEP_1)
	v_cndmask_b32_e64 v6, 0, v6, s0
	v_cmp_gt_i32_e64 s0, s7, v56
	s_wait_alu 0xf1ff
	v_cndmask_b32_e64 v12, 0, v12, s0
	v_cmp_gt_i32_e64 s0, s31, v55
	s_delay_alu instid0(VALU_DEP_2) | instskip(SKIP_1) | instid1(VALU_DEP_2)
	v_perm_b32 v6, v12, v6, 0x5040100
	s_wait_alu 0xf1ff
	v_cndmask_b32_e64 v7, 0, v7, s0
	v_cmp_gt_i32_e64 s0, s7, v53
	s_wait_alu 0xf1ff
	s_delay_alu instid0(VALU_DEP_1) | instskip(SKIP_1) | instid1(VALU_DEP_2)
	v_cndmask_b32_e64 v13, 0, v13, s0
	v_cmp_gt_i32_e64 s0, s31, v54
	v_perm_b32 v7, v13, v7, 0x5040100
	s_wait_alu 0xf1ff
	s_delay_alu instid0(VALU_DEP_2) | instskip(SKIP_2) | instid1(VALU_DEP_1)
	v_cndmask_b32_e64 v8, 0, v8, s0
	v_cmp_gt_i32_e64 s0, s7, v52
	s_wait_alu 0xf1ff
	v_cndmask_b32_e64 v14, 0, v14, s0
	s_delay_alu instid0(VALU_DEP_1)
	v_perm_b32 v8, v14, v8, 0x5040100
	s_wait_alu 0xfffe
	s_or_b32 exec_lo, exec_lo, s13
	global_load_b128 v[13:16], v[9:10], off offset:1024
	s_and_saveexec_b32 s13, vcc_lo
	s_cbranch_execz .LBB156_46
.LBB156_51:                             ;   in Loop: Header=BB156_42 Depth=1
	v_cmp_gt_i32_e64 s0, s31, v59
	s_wait_loadcnt 0x0
	v_lshrrev_b32_e32 v11, 16, v13
	v_lshrrev_b32_e32 v22, 16, v16
	s_wait_alu 0xf1ff
	v_cndmask_b32_e64 v12, 0, v13, s0
	v_cmp_gt_i32_e64 s0, s7, v57
	v_lshrrev_b32_e32 v13, 16, v14
	s_wait_alu 0xf1ff
	s_delay_alu instid0(VALU_DEP_2) | instskip(SKIP_2) | instid1(VALU_DEP_1)
	v_cndmask_b32_e64 v11, 0, v11, s0
	v_cmp_gt_i32_e64 s0, s31, v58
	s_wait_alu 0xf1ff
	v_cndmask_b32_e64 v14, 0, v14, s0
	v_cmp_gt_i32_e64 s0, s7, v56
	s_wait_alu 0xf1ff
	s_delay_alu instid0(VALU_DEP_1) | instskip(SKIP_2) | instid1(VALU_DEP_3)
	v_cndmask_b32_e64 v21, 0, v13, s0
	v_cmp_gt_i32_e64 s0, s31, v55
	v_lshrrev_b32_e32 v13, 16, v15
	v_perm_b32 v14, v21, v14, 0x5040100
	s_wait_alu 0xf1ff
	s_delay_alu instid0(VALU_DEP_3) | instskip(SKIP_2) | instid1(VALU_DEP_1)
	v_cndmask_b32_e64 v15, 0, v15, s0
	v_cmp_gt_i32_e64 s0, s7, v53
	s_wait_alu 0xf1ff
	v_cndmask_b32_e64 v23, 0, v13, s0
	v_cmp_gt_i32_e64 s0, s31, v54
	v_perm_b32 v13, v11, v12, 0x5040100
	s_delay_alu instid0(VALU_DEP_3) | instskip(SKIP_1) | instid1(VALU_DEP_3)
	v_perm_b32 v15, v23, v15, 0x5040100
	s_wait_alu 0xf1ff
	v_cndmask_b32_e64 v16, 0, v16, s0
	v_cmp_gt_i32_e64 s0, s7, v52
	s_wait_alu 0xf1ff
	s_delay_alu instid0(VALU_DEP_1) | instskip(NEXT) | instid1(VALU_DEP_1)
	v_cndmask_b32_e64 v22, 0, v22, s0
	v_perm_b32 v16, v22, v16, 0x5040100
	s_wait_alu 0xfffe
	s_or_b32 exec_lo, exec_lo, s13
	global_load_b128 v[21:24], v[9:10], off offset:1536
	s_and_saveexec_b32 s13, vcc_lo
	s_cbranch_execz .LBB156_47
.LBB156_52:                             ;   in Loop: Header=BB156_42 Depth=1
	v_cmp_gt_i32_e64 s0, s31, v59
	s_wait_loadcnt 0x0
	v_lshrrev_b32_e32 v11, 16, v21
	v_lshrrev_b32_e32 v30, 16, v24
	s_wait_alu 0xf1ff
	v_cndmask_b32_e64 v12, 0, v21, s0
	v_cmp_gt_i32_e64 s0, s7, v57
	v_lshrrev_b32_e32 v21, 16, v22
	s_wait_alu 0xf1ff
	s_delay_alu instid0(VALU_DEP_2) | instskip(SKIP_2) | instid1(VALU_DEP_1)
	v_cndmask_b32_e64 v11, 0, v11, s0
	v_cmp_gt_i32_e64 s0, s31, v58
	s_wait_alu 0xf1ff
	v_cndmask_b32_e64 v22, 0, v22, s0
	v_cmp_gt_i32_e64 s0, s7, v56
	s_wait_alu 0xf1ff
	s_delay_alu instid0(VALU_DEP_1) | instskip(SKIP_2) | instid1(VALU_DEP_3)
	v_cndmask_b32_e64 v29, 0, v21, s0
	v_cmp_gt_i32_e64 s0, s31, v55
	v_lshrrev_b32_e32 v21, 16, v23
	v_perm_b32 v22, v29, v22, 0x5040100
	s_wait_alu 0xf1ff
	s_delay_alu instid0(VALU_DEP_3) | instskip(SKIP_2) | instid1(VALU_DEP_1)
	v_cndmask_b32_e64 v23, 0, v23, s0
	v_cmp_gt_i32_e64 s0, s7, v53
	s_wait_alu 0xf1ff
	v_cndmask_b32_e64 v31, 0, v21, s0
	v_cmp_gt_i32_e64 s0, s31, v54
	v_perm_b32 v21, v11, v12, 0x5040100
	s_delay_alu instid0(VALU_DEP_3) | instskip(SKIP_1) | instid1(VALU_DEP_3)
	v_perm_b32 v23, v31, v23, 0x5040100
	s_wait_alu 0xf1ff
	v_cndmask_b32_e64 v24, 0, v24, s0
	v_cmp_gt_i32_e64 s0, s7, v52
	s_wait_alu 0xf1ff
	s_delay_alu instid0(VALU_DEP_1) | instskip(NEXT) | instid1(VALU_DEP_1)
	v_cndmask_b32_e64 v30, 0, v30, s0
	v_perm_b32 v24, v30, v24, 0x5040100
	s_wait_alu 0xfffe
	s_or_b32 exec_lo, exec_lo, s13
	global_load_b128 v[29:32], v[9:10], off offset:2048
	s_and_saveexec_b32 s13, vcc_lo
	s_cbranch_execz .LBB156_48
.LBB156_53:                             ;   in Loop: Header=BB156_42 Depth=1
	v_cmp_gt_i32_e64 s0, s31, v59
	s_wait_loadcnt 0x0
	v_lshrrev_b32_e32 v11, 16, v29
	v_lshrrev_b32_e32 v61, 16, v32
	s_wait_alu 0xf1ff
	v_cndmask_b32_e64 v12, 0, v29, s0
	v_cmp_gt_i32_e64 s0, s7, v57
	v_lshrrev_b32_e32 v29, 16, v30
	s_wait_alu 0xf1ff
	s_delay_alu instid0(VALU_DEP_2) | instskip(SKIP_2) | instid1(VALU_DEP_1)
	v_cndmask_b32_e64 v11, 0, v11, s0
	v_cmp_gt_i32_e64 s0, s31, v58
	s_wait_alu 0xf1ff
	v_cndmask_b32_e64 v30, 0, v30, s0
	v_cmp_gt_i32_e64 s0, s7, v56
	s_wait_alu 0xf1ff
	s_delay_alu instid0(VALU_DEP_1) | instskip(SKIP_2) | instid1(VALU_DEP_3)
	v_cndmask_b32_e64 v60, 0, v29, s0
	v_cmp_gt_i32_e64 s0, s31, v55
	v_lshrrev_b32_e32 v29, 16, v31
	v_perm_b32 v30, v60, v30, 0x5040100
	s_wait_alu 0xf1ff
	s_delay_alu instid0(VALU_DEP_3) | instskip(SKIP_2) | instid1(VALU_DEP_1)
	v_cndmask_b32_e64 v31, 0, v31, s0
	v_cmp_gt_i32_e64 s0, s7, v53
	s_wait_alu 0xf1ff
	v_cndmask_b32_e64 v62, 0, v29, s0
	v_cmp_gt_i32_e64 s0, s31, v54
	v_perm_b32 v29, v11, v12, 0x5040100
	s_delay_alu instid0(VALU_DEP_3) | instskip(SKIP_1) | instid1(VALU_DEP_3)
	v_perm_b32 v31, v62, v31, 0x5040100
	s_wait_alu 0xf1ff
	v_cndmask_b32_e64 v32, 0, v32, s0
	v_cmp_gt_i32_e64 s0, s7, v52
	s_wait_alu 0xf1ff
	s_delay_alu instid0(VALU_DEP_1) | instskip(NEXT) | instid1(VALU_DEP_1)
	v_cndmask_b32_e64 v61, 0, v61, s0
	v_perm_b32 v32, v61, v32, 0x5040100
	s_wait_alu 0xfffe
	s_or_b32 exec_lo, exec_lo, s13
	global_load_b128 v[9:12], v[9:10], off offset:2560
	s_and_saveexec_b32 s0, vcc_lo
	s_cbranch_execz .LBB156_40
.LBB156_54:                             ;   in Loop: Header=BB156_42 Depth=1
	v_cmp_gt_i32_e32 vcc_lo, s31, v59
	s_wait_loadcnt 0x0
	v_lshrrev_b32_e32 v60, 16, v9
	v_lshrrev_b32_e32 v59, 16, v10
	s_wait_alu 0xfffd
	v_cndmask_b32_e32 v9, 0, v9, vcc_lo
	v_cmp_gt_i32_e32 vcc_lo, s7, v57
	s_wait_alu 0xfffd
	v_cndmask_b32_e32 v57, 0, v60, vcc_lo
	v_cmp_gt_i32_e32 vcc_lo, s31, v58
	v_lshrrev_b32_e32 v58, 16, v11
	s_wait_alu 0xfffd
	v_cndmask_b32_e32 v10, 0, v10, vcc_lo
	v_cmp_gt_i32_e32 vcc_lo, s7, v56
	s_wait_alu 0xfffd
	v_cndmask_b32_e32 v56, 0, v59, vcc_lo
	v_cmp_gt_i32_e32 vcc_lo, s31, v55
	v_lshrrev_b32_e32 v55, 16, v12
	v_perm_b32 v9, v57, v9, 0x5040100
	s_delay_alu instid0(VALU_DEP_4)
	v_perm_b32 v10, v56, v10, 0x5040100
	s_wait_alu 0xfffd
	v_cndmask_b32_e32 v11, 0, v11, vcc_lo
	v_cmp_gt_i32_e32 vcc_lo, s7, v53
	s_wait_alu 0xfffd
	v_cndmask_b32_e32 v53, 0, v58, vcc_lo
	v_cmp_gt_i32_e32 vcc_lo, s31, v54
	;; [unrolled: 3-line block ×3, first 2 shown]
	s_wait_alu 0xfffd
	v_cndmask_b32_e32 v52, 0, v55, vcc_lo
	v_perm_b32 v11, v53, v11, 0x5040100
	s_delay_alu instid0(VALU_DEP_2)
	v_perm_b32 v12, v52, v12, 0x5040100
	s_branch .LBB156_40
.LBB156_55:
	s_or_b32 exec_lo, exec_lo, s6
.LBB156_56:
	s_wait_alu 0xfffe
	s_or_b32 exec_lo, exec_lo, s1
	ds_bpermute_b32 v1, v41, v47
	ds_bpermute_b32 v2, v41, v46
	;; [unrolled: 1-line block ×6, first 2 shown]
	v_lshrrev_b32_e32 v7, 1, v40
	v_mul_u32_u24_e32 v9, 0x180, v37
	v_and_b32_e32 v13, 0x3c1, v0
	s_mov_b32 s0, exec_lo
	s_wait_storecnt 0x0
	s_wait_loadcnt_dscnt 0x0
	v_lshl_add_u32 v8, v7, 2, 0xe0
	s_barrier_signal -1
	s_barrier_wait -1
	global_inv scope:SCOPE_SE
	v_dual_add_f32 v6, v47, v1 :: v_dual_add_f32 v5, v46, v2
	v_dual_add_f32 v4, v45, v3 :: v_dual_add_f32 v3, v44, v10
	;; [unrolled: 1-line block ×3, first 2 shown]
	v_cmpx_eq_u32_e32 64, v13
	s_cbranch_execz .LBB156_58
; %bb.57:
	v_add_nc_u32_e32 v10, v8, v9
	s_delay_alu instid0(VALU_DEP_1)
	v_add_nc_u32_e32 v11, 0xfffffd00, v10
	v_add_nc_u32_e32 v12, 0xfffffd40, v10
	;; [unrolled: 1-line block ×6, first 2 shown]
	ds_store_b32 v11, v6
	ds_store_b32 v12, v5
	;; [unrolled: 1-line block ×6, first 2 shown]
.LBB156_58:
	s_wait_alu 0xfffe
	s_or_b32 exec_lo, exec_lo, s0
	v_lshlrev_b32_e32 v7, 2, v7
	s_mov_b32 s1, exec_lo
	v_cmp_eq_u32_e32 vcc_lo, 0, v36
	s_wait_loadcnt_dscnt 0x0
	s_barrier_signal -1
	v_add3_u32 v7, 0xe0, v9, v7
	s_barrier_wait -1
	global_inv scope:SCOPE_SE
	v_cmpx_gt_u32_e32 64, v0
	s_cbranch_execz .LBB156_67
; %bb.59:
	s_and_saveexec_b32 s0, vcc_lo
	s_cbranch_execnz .LBB156_81
; %bb.60:
	s_wait_alu 0xfffe
	s_or_b32 exec_lo, exec_lo, s0
	s_and_saveexec_b32 s0, vcc_lo
	s_cbranch_execnz .LBB156_82
.LBB156_61:
	s_wait_alu 0xfffe
	s_or_b32 exec_lo, exec_lo, s0
	s_and_saveexec_b32 s0, vcc_lo
	s_cbranch_execnz .LBB156_83
.LBB156_62:
	s_wait_alu 0xfffe
	s_or_b32 exec_lo, exec_lo, s0
	s_and_saveexec_b32 s0, vcc_lo
	s_cbranch_execnz .LBB156_84
.LBB156_63:
	s_wait_alu 0xfffe
	s_or_b32 exec_lo, exec_lo, s0
	s_and_saveexec_b32 s0, vcc_lo
	s_cbranch_execnz .LBB156_85
.LBB156_64:
	s_wait_alu 0xfffe
	s_or_b32 exec_lo, exec_lo, s0
	s_and_saveexec_b32 s0, vcc_lo
	s_cbranch_execz .LBB156_66
.LBB156_65:
	ds_load_b32 v9, v7 offset:320
	s_wait_dscnt 0x0
	v_add_f32_e32 v1, v1, v9
.LBB156_66:
	s_wait_alu 0xfffe
	s_or_b32 exec_lo, exec_lo, s0
.LBB156_67:
	s_wait_alu 0xfffe
	s_or_b32 exec_lo, exec_lo, s1
	v_and_b32_e32 v9, 0x3e1, v0
	s_mov_b32 s1, exec_lo
	s_wait_loadcnt 0x0
	s_barrier_signal -1
	s_barrier_wait -1
	global_inv scope:SCOPE_SE
	v_cmpx_eq_u32_e32 32, v9
	s_cbranch_execz .LBB156_69
; %bb.68:
	ds_store_2addr_b32 v8, v6, v5 offset1:16
	ds_store_2addr_b32 v8, v4, v3 offset0:32 offset1:48
	ds_store_2addr_b32 v8, v2, v1 offset0:64 offset1:80
.LBB156_69:
	s_wait_alu 0xfffe
	s_or_b32 exec_lo, exec_lo, s1
	s_delay_alu instid0(SALU_CYCLE_1)
	s_mov_b32 s1, exec_lo
	s_wait_loadcnt_dscnt 0x0
	s_barrier_signal -1
	s_barrier_wait -1
	global_inv scope:SCOPE_SE
	v_cmpx_gt_u32_e32 32, v0
	s_cbranch_execz .LBB156_78
; %bb.70:
	s_and_saveexec_b32 s0, vcc_lo
	s_cbranch_execnz .LBB156_86
; %bb.71:
	s_wait_alu 0xfffe
	s_or_b32 exec_lo, exec_lo, s0
	s_and_saveexec_b32 s0, vcc_lo
	s_cbranch_execnz .LBB156_87
.LBB156_72:
	s_wait_alu 0xfffe
	s_or_b32 exec_lo, exec_lo, s0
	s_and_saveexec_b32 s0, vcc_lo
	s_cbranch_execnz .LBB156_88
.LBB156_73:
	s_wait_alu 0xfffe
	s_or_b32 exec_lo, exec_lo, s0
	s_and_saveexec_b32 s0, vcc_lo
	s_cbranch_execnz .LBB156_89
.LBB156_74:
	s_wait_alu 0xfffe
	s_or_b32 exec_lo, exec_lo, s0
	s_and_saveexec_b32 s0, vcc_lo
	s_cbranch_execnz .LBB156_90
.LBB156_75:
	s_wait_alu 0xfffe
	s_or_b32 exec_lo, exec_lo, s0
	s_and_saveexec_b32 s0, vcc_lo
	s_cbranch_execz .LBB156_77
.LBB156_76:
	ds_load_b32 v0, v7 offset:320
	s_wait_dscnt 0x0
	v_add_f32_e32 v1, v1, v0
.LBB156_77:
	s_wait_alu 0xfffe
	s_or_b32 exec_lo, exec_lo, s0
.LBB156_78:
	s_wait_alu 0xfffe
	s_or_b32 exec_lo, exec_lo, s1
	s_mov_b32 s1, 0
	s_wait_loadcnt 0x0
	s_barrier_signal -1
	s_barrier_wait -1
	global_inv scope:SCOPE_SE
	s_mov_b32 s0, exec_lo
	v_cmpx_eq_u32_e32 0, v9
	s_cbranch_execz .LBB156_80
; %bb.79:
	v_bfe_u32 v0, v6, 16, 1
	v_bfe_u32 v7, v5, 16, 1
	v_or_b32_e32 v9, 0x400000, v6
	v_cmp_u_f32_e32 vcc_lo, v6, v6
	v_bfe_u32 v10, v4, 16, 1
	v_add3_u32 v0, v0, v6, 0x7fff
	v_add3_u32 v7, v7, v5, 0x7fff
	v_or_b32_e32 v11, 0x400000, v5
	s_mul_i32 s2, s20, 0x60
	v_add3_u32 v6, v10, v4, 0x7fff
	s_wait_alu 0xfffd
	v_cndmask_b32_e32 v0, v0, v9, vcc_lo
	v_cmp_u_f32_e32 vcc_lo, v5, v5
	v_or_b32_e32 v9, 0x400000, v4
	v_bfe_u32 v10, v2, 16, 1
	s_wait_kmcnt 0x0
	s_mul_i32 s4, s8, s16
	s_wait_alu 0xfffe
	s_ashr_i32 s3, s2, 31
	s_wait_alu 0xfffd
	v_cndmask_b32_e32 v5, v7, v11, vcc_lo
	v_bfe_u32 v7, v3, 16, 1
	v_cmp_u_f32_e32 vcc_lo, v4, v4
	v_add3_u32 v10, v10, v2, 0x7fff
	v_or_b32_e32 v11, 0x400000, v2
	s_ashr_i32 s5, s4, 31
	v_add3_u32 v7, v7, v3, 0x7fff
	s_wait_alu 0xfffd
	v_cndmask_b32_e32 v4, v6, v9, vcc_lo
	v_or_b32_e32 v9, 0x400000, v3
	v_cmp_u_f32_e32 vcc_lo, v3, v3
	v_lshlrev_b32_e32 v8, 1, v35
	v_bfe_u32 v6, v1, 16, 1
	s_wait_alu 0xfffe
	s_lshl_b64 s[2:3], s[2:3], 1
	s_lshl_b64 s[4:5], s[4:5], 1
	s_wait_alu 0xfffd
	v_cndmask_b32_e32 v3, v7, v9, vcc_lo
	v_cmp_u_f32_e32 vcc_lo, v2, v2
	s_wait_alu 0xfffe
	s_add_nc_u64 s[2:3], s[14:15], s[2:3]
	v_add3_u32 v6, v6, v1, 0x7fff
	v_or_b32_e32 v12, 0x400000, v1
	s_mul_i32 s0, s30, 0xc0
	s_wait_alu 0xfffd
	v_cndmask_b32_e32 v2, v10, v11, vcc_lo
	v_cmp_u_f32_e32 vcc_lo, v1, v1
	s_wait_alu 0xfffe
	s_add_nc_u64 s[2:3], s[2:3], s[4:5]
	s_wait_alu 0xfffe
	s_add_nc_u64 s[0:1], s[2:3], s[0:1]
	s_wait_alu 0xfffd
	v_cndmask_b32_e32 v1, v6, v12, vcc_lo
	s_clause 0x5
	global_store_d16_hi_b16 v8, v0, s[0:1]
	global_store_d16_hi_b16 v8, v5, s[0:1] offset:32
	global_store_d16_hi_b16 v8, v4, s[0:1] offset:64
	global_store_d16_hi_b16 v8, v3, s[0:1] offset:96
	global_store_d16_hi_b16 v8, v2, s[0:1] offset:128
	global_store_d16_hi_b16 v8, v1, s[0:1] offset:160
.LBB156_80:
	s_nop 0
	s_sendmsg sendmsg(MSG_DEALLOC_VGPRS)
	s_endpgm
.LBB156_81:
	ds_load_b32 v9, v7
	s_wait_dscnt 0x0
	v_add_f32_e32 v6, v6, v9
	s_wait_alu 0xfffe
	s_or_b32 exec_lo, exec_lo, s0
	s_and_saveexec_b32 s0, vcc_lo
	s_cbranch_execz .LBB156_61
.LBB156_82:
	ds_load_b32 v9, v7 offset:64
	s_wait_dscnt 0x0
	v_add_f32_e32 v5, v5, v9
	s_wait_alu 0xfffe
	s_or_b32 exec_lo, exec_lo, s0
	s_and_saveexec_b32 s0, vcc_lo
	s_cbranch_execz .LBB156_62
.LBB156_83:
	ds_load_b32 v9, v7 offset:128
	s_wait_dscnt 0x0
	v_add_f32_e32 v4, v4, v9
	s_wait_alu 0xfffe
	s_or_b32 exec_lo, exec_lo, s0
	s_and_saveexec_b32 s0, vcc_lo
	s_cbranch_execz .LBB156_63
.LBB156_84:
	ds_load_b32 v9, v7 offset:192
	s_wait_dscnt 0x0
	v_add_f32_e32 v3, v3, v9
	s_wait_alu 0xfffe
	s_or_b32 exec_lo, exec_lo, s0
	s_and_saveexec_b32 s0, vcc_lo
	s_cbranch_execz .LBB156_64
.LBB156_85:
	ds_load_b32 v9, v7 offset:256
	s_wait_dscnt 0x0
	v_add_f32_e32 v2, v2, v9
	s_wait_alu 0xfffe
	s_or_b32 exec_lo, exec_lo, s0
	s_and_saveexec_b32 s0, vcc_lo
	s_cbranch_execnz .LBB156_65
	s_branch .LBB156_66
.LBB156_86:
	ds_load_b32 v0, v7
	s_wait_dscnt 0x0
	v_add_f32_e32 v6, v6, v0
	s_wait_alu 0xfffe
	s_or_b32 exec_lo, exec_lo, s0
	s_and_saveexec_b32 s0, vcc_lo
	s_cbranch_execz .LBB156_72
.LBB156_87:
	ds_load_b32 v0, v7 offset:64
	s_wait_dscnt 0x0
	v_add_f32_e32 v5, v5, v0
	s_wait_alu 0xfffe
	s_or_b32 exec_lo, exec_lo, s0
	s_and_saveexec_b32 s0, vcc_lo
	s_cbranch_execz .LBB156_73
.LBB156_88:
	ds_load_b32 v0, v7 offset:128
	s_wait_dscnt 0x0
	v_add_f32_e32 v4, v4, v0
	s_wait_alu 0xfffe
	s_or_b32 exec_lo, exec_lo, s0
	s_and_saveexec_b32 s0, vcc_lo
	s_cbranch_execz .LBB156_74
.LBB156_89:
	ds_load_b32 v0, v7 offset:192
	s_wait_dscnt 0x0
	v_add_f32_e32 v3, v3, v0
	s_wait_alu 0xfffe
	s_or_b32 exec_lo, exec_lo, s0
	s_and_saveexec_b32 s0, vcc_lo
	s_cbranch_execz .LBB156_75
.LBB156_90:
	ds_load_b32 v0, v7 offset:256
	s_wait_dscnt 0x0
	v_add_f32_e32 v2, v2, v0
	s_wait_alu 0xfffe
	s_or_b32 exec_lo, exec_lo, s0
	s_and_saveexec_b32 s0, vcc_lo
	s_cbranch_execnz .LBB156_76
	s_branch .LBB156_77
	.section	.rodata,"a",@progbits
	.p2align	6, 0x0
	.amdhsa_kernel _ZN4vllm25paged_attention_v2_kernelI14__hip_bfloat16S1_Li96ELi16ELi128ELNS_18Fp8KVCacheDataTypeE0ELb1ELi512EEEvPfS3_PT_PKS4_PKT0_SA_ifPKiSC_iPKfiiiSE_SE_iiiii
		.amdhsa_group_segment_fixed_size 224
		.amdhsa_private_segment_fixed_size 0
		.amdhsa_kernarg_size 400
		.amdhsa_user_sgpr_count 2
		.amdhsa_user_sgpr_dispatch_ptr 0
		.amdhsa_user_sgpr_queue_ptr 0
		.amdhsa_user_sgpr_kernarg_segment_ptr 1
		.amdhsa_user_sgpr_dispatch_id 0
		.amdhsa_user_sgpr_private_segment_size 0
		.amdhsa_wavefront_size32 1
		.amdhsa_uses_dynamic_stack 0
		.amdhsa_enable_private_segment 0
		.amdhsa_system_sgpr_workgroup_id_x 1
		.amdhsa_system_sgpr_workgroup_id_y 1
		.amdhsa_system_sgpr_workgroup_id_z 1
		.amdhsa_system_sgpr_workgroup_info 0
		.amdhsa_system_vgpr_workitem_id 0
		.amdhsa_next_free_vgpr 112
		.amdhsa_next_free_sgpr 42
		.amdhsa_reserve_vcc 1
		.amdhsa_float_round_mode_32 0
		.amdhsa_float_round_mode_16_64 0
		.amdhsa_float_denorm_mode_32 3
		.amdhsa_float_denorm_mode_16_64 3
		.amdhsa_fp16_overflow 0
		.amdhsa_workgroup_processor_mode 1
		.amdhsa_memory_ordered 1
		.amdhsa_forward_progress 1
		.amdhsa_inst_pref_size 91
		.amdhsa_round_robin_scheduling 0
		.amdhsa_exception_fp_ieee_invalid_op 0
		.amdhsa_exception_fp_denorm_src 0
		.amdhsa_exception_fp_ieee_div_zero 0
		.amdhsa_exception_fp_ieee_overflow 0
		.amdhsa_exception_fp_ieee_underflow 0
		.amdhsa_exception_fp_ieee_inexact 0
		.amdhsa_exception_int_div_zero 0
	.end_amdhsa_kernel
	.section	.text._ZN4vllm25paged_attention_v2_kernelI14__hip_bfloat16S1_Li96ELi16ELi128ELNS_18Fp8KVCacheDataTypeE0ELb1ELi512EEEvPfS3_PT_PKS4_PKT0_SA_ifPKiSC_iPKfiiiSE_SE_iiiii,"axG",@progbits,_ZN4vllm25paged_attention_v2_kernelI14__hip_bfloat16S1_Li96ELi16ELi128ELNS_18Fp8KVCacheDataTypeE0ELb1ELi512EEEvPfS3_PT_PKS4_PKT0_SA_ifPKiSC_iPKfiiiSE_SE_iiiii,comdat
.Lfunc_end156:
	.size	_ZN4vllm25paged_attention_v2_kernelI14__hip_bfloat16S1_Li96ELi16ELi128ELNS_18Fp8KVCacheDataTypeE0ELb1ELi512EEEvPfS3_PT_PKS4_PKT0_SA_ifPKiSC_iPKfiiiSE_SE_iiiii, .Lfunc_end156-_ZN4vllm25paged_attention_v2_kernelI14__hip_bfloat16S1_Li96ELi16ELi128ELNS_18Fp8KVCacheDataTypeE0ELb1ELi512EEEvPfS3_PT_PKS4_PKT0_SA_ifPKiSC_iPKfiiiSE_SE_iiiii
                                        ; -- End function
	.set _ZN4vllm25paged_attention_v2_kernelI14__hip_bfloat16S1_Li96ELi16ELi128ELNS_18Fp8KVCacheDataTypeE0ELb1ELi512EEEvPfS3_PT_PKS4_PKT0_SA_ifPKiSC_iPKfiiiSE_SE_iiiii.num_vgpr, 112
	.set _ZN4vllm25paged_attention_v2_kernelI14__hip_bfloat16S1_Li96ELi16ELi128ELNS_18Fp8KVCacheDataTypeE0ELb1ELi512EEEvPfS3_PT_PKS4_PKT0_SA_ifPKiSC_iPKfiiiSE_SE_iiiii.num_agpr, 0
	.set _ZN4vllm25paged_attention_v2_kernelI14__hip_bfloat16S1_Li96ELi16ELi128ELNS_18Fp8KVCacheDataTypeE0ELb1ELi512EEEvPfS3_PT_PKS4_PKT0_SA_ifPKiSC_iPKfiiiSE_SE_iiiii.numbered_sgpr, 42
	.set _ZN4vllm25paged_attention_v2_kernelI14__hip_bfloat16S1_Li96ELi16ELi128ELNS_18Fp8KVCacheDataTypeE0ELb1ELi512EEEvPfS3_PT_PKS4_PKT0_SA_ifPKiSC_iPKfiiiSE_SE_iiiii.num_named_barrier, 0
	.set _ZN4vllm25paged_attention_v2_kernelI14__hip_bfloat16S1_Li96ELi16ELi128ELNS_18Fp8KVCacheDataTypeE0ELb1ELi512EEEvPfS3_PT_PKS4_PKT0_SA_ifPKiSC_iPKfiiiSE_SE_iiiii.private_seg_size, 0
	.set _ZN4vllm25paged_attention_v2_kernelI14__hip_bfloat16S1_Li96ELi16ELi128ELNS_18Fp8KVCacheDataTypeE0ELb1ELi512EEEvPfS3_PT_PKS4_PKT0_SA_ifPKiSC_iPKfiiiSE_SE_iiiii.uses_vcc, 1
	.set _ZN4vllm25paged_attention_v2_kernelI14__hip_bfloat16S1_Li96ELi16ELi128ELNS_18Fp8KVCacheDataTypeE0ELb1ELi512EEEvPfS3_PT_PKS4_PKT0_SA_ifPKiSC_iPKfiiiSE_SE_iiiii.uses_flat_scratch, 0
	.set _ZN4vllm25paged_attention_v2_kernelI14__hip_bfloat16S1_Li96ELi16ELi128ELNS_18Fp8KVCacheDataTypeE0ELb1ELi512EEEvPfS3_PT_PKS4_PKT0_SA_ifPKiSC_iPKfiiiSE_SE_iiiii.has_dyn_sized_stack, 0
	.set _ZN4vllm25paged_attention_v2_kernelI14__hip_bfloat16S1_Li96ELi16ELi128ELNS_18Fp8KVCacheDataTypeE0ELb1ELi512EEEvPfS3_PT_PKS4_PKT0_SA_ifPKiSC_iPKfiiiSE_SE_iiiii.has_recursion, 0
	.set _ZN4vllm25paged_attention_v2_kernelI14__hip_bfloat16S1_Li96ELi16ELi128ELNS_18Fp8KVCacheDataTypeE0ELb1ELi512EEEvPfS3_PT_PKS4_PKT0_SA_ifPKiSC_iPKfiiiSE_SE_iiiii.has_indirect_call, 0
	.section	.AMDGPU.csdata,"",@progbits
; Kernel info:
; codeLenInByte = 11572
; TotalNumSgprs: 44
; NumVgprs: 112
; ScratchSize: 0
; MemoryBound: 0
; FloatMode: 240
; IeeeMode: 1
; LDSByteSize: 224 bytes/workgroup (compile time only)
; SGPRBlocks: 0
; VGPRBlocks: 13
; NumSGPRsForWavesPerEU: 44
; NumVGPRsForWavesPerEU: 112
; Occupancy: 12
; WaveLimiterHint : 1
; COMPUTE_PGM_RSRC2:SCRATCH_EN: 0
; COMPUTE_PGM_RSRC2:USER_SGPR: 2
; COMPUTE_PGM_RSRC2:TRAP_HANDLER: 0
; COMPUTE_PGM_RSRC2:TGID_X_EN: 1
; COMPUTE_PGM_RSRC2:TGID_Y_EN: 1
; COMPUTE_PGM_RSRC2:TGID_Z_EN: 1
; COMPUTE_PGM_RSRC2:TIDIG_COMP_CNT: 0
	.section	.text._ZN4vllm25paged_attention_v2_kernelI14__hip_bfloat16S1_Li112ELi16ELi128ELNS_18Fp8KVCacheDataTypeE0ELb1ELi512EEEvPfS3_PT_PKS4_PKT0_SA_ifPKiSC_iPKfiiiSE_SE_iiiii,"axG",@progbits,_ZN4vllm25paged_attention_v2_kernelI14__hip_bfloat16S1_Li112ELi16ELi128ELNS_18Fp8KVCacheDataTypeE0ELb1ELi512EEEvPfS3_PT_PKS4_PKT0_SA_ifPKiSC_iPKfiiiSE_SE_iiiii,comdat
	.protected	_ZN4vllm25paged_attention_v2_kernelI14__hip_bfloat16S1_Li112ELi16ELi128ELNS_18Fp8KVCacheDataTypeE0ELb1ELi512EEEvPfS3_PT_PKS4_PKT0_SA_ifPKiSC_iPKfiiiSE_SE_iiiii ; -- Begin function _ZN4vllm25paged_attention_v2_kernelI14__hip_bfloat16S1_Li112ELi16ELi128ELNS_18Fp8KVCacheDataTypeE0ELb1ELi512EEEvPfS3_PT_PKS4_PKT0_SA_ifPKiSC_iPKfiiiSE_SE_iiiii
	.globl	_ZN4vllm25paged_attention_v2_kernelI14__hip_bfloat16S1_Li112ELi16ELi128ELNS_18Fp8KVCacheDataTypeE0ELb1ELi512EEEvPfS3_PT_PKS4_PKT0_SA_ifPKiSC_iPKfiiiSE_SE_iiiii
	.p2align	8
	.type	_ZN4vllm25paged_attention_v2_kernelI14__hip_bfloat16S1_Li112ELi16ELi128ELNS_18Fp8KVCacheDataTypeE0ELb1ELi512EEEvPfS3_PT_PKS4_PKT0_SA_ifPKiSC_iPKfiiiSE_SE_iiiii,@function
_ZN4vllm25paged_attention_v2_kernelI14__hip_bfloat16S1_Li112ELi16ELi128ELNS_18Fp8KVCacheDataTypeE0ELb1ELi512EEEvPfS3_PT_PKS4_PKT0_SA_ifPKiSC_iPKfiiiSE_SE_iiiii: ; @_ZN4vllm25paged_attention_v2_kernelI14__hip_bfloat16S1_Li112ELi16ELi128ELNS_18Fp8KVCacheDataTypeE0ELb1ELi512EEEvPfS3_PT_PKS4_PKT0_SA_ifPKiSC_iPKfiiiSE_SE_iiiii
; %bb.0:
	s_load_b64 s[2:3], s[0:1], 0x40
	s_and_b32 s20, ttmp7, 0xffff
	s_lshr_b32 s30, ttmp7, 16
	s_lshl_b32 s4, s20, 2
	s_lshl_b32 s33, s30, 9
	s_wait_kmcnt 0x0
	s_load_b32 s31, s[2:3], s4 offset:0x0
	s_wait_kmcnt 0x0
	s_cmp_ge_i32 s33, s31
	s_cbranch_scc1 .LBB157_84
; %bb.1:
	s_clause 0x1
	s_load_b32 s21, s[0:1], 0x90
	s_load_b64 s[6:7], s[0:1], 0x30
	s_wait_kmcnt 0x0
	s_abs_i32 s5, s21
	s_abs_i32 s2, s6
	s_delay_alu instid0(SALU_CYCLE_1) | instskip(SKIP_1) | instid1(SALU_CYCLE_2)
	s_cvt_f32_u32 s3, s2
	s_sub_co_i32 s4, 0, s2
	v_rcp_iflag_f32_e32 v1, s3
	s_delay_alu instid0(TRANS32_DEP_1) | instskip(SKIP_2) | instid1(SALU_CYCLE_2)
	v_readfirstlane_b32 s3, v1
	s_mul_f32 s3, s3, 0x4f7ffffe
	s_wait_alu 0xfffe
	s_cvt_u32_f32 s3, s3
	s_wait_alu 0xfffe
	s_delay_alu instid0(SALU_CYCLE_2) | instskip(NEXT) | instid1(SALU_CYCLE_1)
	s_mul_i32 s4, s4, s3
	s_mul_hi_u32 s4, s3, s4
	s_delay_alu instid0(SALU_CYCLE_1)
	s_add_co_i32 s3, s3, s4
	s_xor_b32 s4, s21, s6
	s_wait_alu 0xfffe
	s_mul_hi_u32 s3, s5, s3
	s_ashr_i32 s4, s4, 31
	s_wait_alu 0xfffe
	s_mul_i32 s8, s3, s2
	s_delay_alu instid0(SALU_CYCLE_1)
	s_sub_co_i32 s5, s5, s8
	s_add_co_i32 s8, s3, 1
	s_sub_co_i32 s9, s5, s2
	s_cmp_ge_u32 s5, s2
	s_cselect_b32 s3, s8, s3
	s_cselect_b32 s5, s9, s5
	s_wait_alu 0xfffe
	s_add_co_i32 s8, s3, 1
	s_cmp_ge_u32 s5, s2
	s_cselect_b32 s2, s8, s3
	s_load_b64 s[8:9], s[0:1], 0x50
	s_xor_b32 s2, s2, s4
	s_mov_b32 s3, 0
	s_wait_alu 0xfffe
	s_sub_co_i32 s10, s2, s4
	s_mov_b32 s15, s3
	s_abs_i32 s18, s10
	s_delay_alu instid0(SALU_CYCLE_1) | instskip(SKIP_1) | instid1(SALU_CYCLE_2)
	s_cvt_f32_u32 s2, s18
	s_wait_alu 0xfffe
	v_rcp_iflag_f32_e32 v1, s2
	s_delay_alu instid0(TRANS32_DEP_1) | instskip(SKIP_2) | instid1(SALU_CYCLE_2)
	v_readfirstlane_b32 s2, v1
	s_mul_f32 s2, s2, 0x4f7ffffe
	s_wait_alu 0xfffe
	s_cvt_u32_f32 s4, s2
	s_sub_co_i32 s2, 0, s18
	s_wait_alu 0xfffe
	s_delay_alu instid0(SALU_CYCLE_1)
	s_mul_i32 s2, s2, s4
	s_wait_alu 0xfffe
	s_mul_hi_u32 s5, s4, s2
	s_abs_i32 s2, ttmp9
	s_add_co_i32 s4, s4, s5
	s_mov_b32 s5, s3
	s_wait_kmcnt 0x0
	s_cmp_eq_u64 s[8:9], 0
	s_cbranch_scc1 .LBB157_3
; %bb.2:
	s_mov_b32 s12, ttmp9
	s_ashr_i32 s13, ttmp9, 31
	s_delay_alu instid0(SALU_CYCLE_1) | instskip(NEXT) | instid1(SALU_CYCLE_1)
	s_lshl_b64 s[12:13], s[12:13], 2
	s_add_nc_u64 s[8:9], s[8:9], s[12:13]
	s_load_b32 s15, s[8:9], 0x0
.LBB157_3:
	s_load_b96 s[12:14], s[0:1], 0x58
	v_lshrrev_b32_e32 v39, 1, v0
	v_and_b32_e32 v40, 1, v0
	v_lshlrev_b32_e32 v7, 3, v0
	s_mul_u64 s[4:5], s[2:3], s[4:5]
	s_ashr_i32 s3, ttmp9, 31
	s_ashr_i32 s4, s10, 31
	s_mul_i32 s16, ttmp9, 0x70
	s_mov_b32 s8, exec_lo
	v_cmpx_gt_u32_e32 28, v0
	s_cbranch_execz .LBB157_5
; %bb.4:
	s_load_b64 s[10:11], s[0:1], 0x18
	s_wait_kmcnt 0x0
	s_mul_i32 s22, s12, s20
	s_ashr_i32 s17, s16, 31
	s_ashr_i32 s23, s22, 31
	v_lshlrev_b32_e32 v3, 3, v39
	s_lshl_b64 s[22:23], s[22:23], 1
	s_delay_alu instid0(VALU_DEP_1) | instskip(SKIP_2) | instid1(SALU_CYCLE_1)
	v_mad_u32_u24 v3, 0x70, v40, v3
	s_add_nc_u64 s[10:11], s[10:11], s[22:23]
	s_lshl_b64 s[22:23], s[16:17], 1
	s_add_nc_u64 s[10:11], s[10:11], s[22:23]
	global_load_b64 v[1:2], v7, s[10:11]
	s_wait_loadcnt 0x0
	ds_store_b64 v3, v[1:2]
.LBB157_5:
	s_or_b32 exec_lo, exec_lo, s8
	s_clause 0x1
	s_load_b128 s[8:11], s[0:1], 0x78
	s_load_b32 s22, s[0:1], 0x88
	s_wait_kmcnt 0x0
	s_mul_i32 s12, s5, s18
	s_xor_b32 s3, s3, s4
	s_sub_co_i32 s2, s2, s12
	s_add_co_i32 s4, s5, 1
	s_wait_alu 0xfffe
	s_sub_co_i32 s12, s2, s18
	s_cmp_ge_u32 s2, s18
	s_mov_b32 s24, -1
	s_cselect_b32 s4, s4, s5
	s_cselect_b32 s2, s12, s2
	s_add_co_i32 s5, s4, 1
	s_wait_alu 0xfffe
	s_cmp_ge_u32 s2, s18
	s_wait_dscnt 0x0
	s_cselect_b32 s2, s5, s4
	s_add_co_i32 s23, s31, -1
	s_wait_alu 0xfffe
	s_xor_b32 s2, s2, s3
	s_barrier_signal -1
	s_wait_alu 0xfffe
	s_sub_co_i32 s26, s2, s3
	s_barrier_wait -1
	s_abs_i32 s12, s11
	global_inv scope:SCOPE_SE
	s_cvt_f32_u32 s4, s12
                                        ; implicit-def: $sgpr17
	s_delay_alu instid0(SALU_CYCLE_3) | instskip(NEXT) | instid1(TRANS32_DEP_1)
	v_rcp_iflag_f32_e32 v1, s4
	v_readfirstlane_b32 s4, v1
	s_mul_f32 s2, s4, 0x4f7ffffe
	s_wait_alu 0xfffe
	s_delay_alu instid0(SALU_CYCLE_2) | instskip(SKIP_2) | instid1(SALU_CYCLE_1)
	s_cvt_u32_f32 s4, s2
	s_sub_co_i32 s2, 0, s12
	s_wait_alu 0xfffe
	s_mul_i32 s3, s2, s4
	s_abs_i32 s2, s23
	s_wait_alu 0xfffe
	s_mul_hi_u32 s5, s4, s3
	s_mov_b32 s3, 0
	s_wait_alu 0xfffe
	s_add_co_i32 s18, s4, s5
	s_cmp_lt_i32 s22, 0
	s_mov_b32 s19, s3
	s_cbranch_scc0 .LBB157_7
; %bb.6:
	s_mul_i32 s4, s8, s6
	s_mov_b32 s24, s3
	s_wait_alu 0xfffe
	s_add_co_i32 s4, s26, s4
	s_wait_alu 0xfffe
	s_mul_i32 s4, s4, s22
	s_wait_alu 0xfffe
	s_sub_co_i32 s17, 1, s4
.LBB157_7:
	s_mul_u64 s[4:5], s[2:3], s[18:19]
	s_ashr_i32 s3, s23, 31
	s_and_not1_b32 vcc_lo, exec_lo, s24
	s_ashr_i32 s11, s11, 31
	s_cbranch_vccnz .LBB157_9
; %bb.8:
	s_mul_i32 s4, s21, s8
	s_wait_alu 0xfffe
	s_add_co_i32 s4, s4, ttmp9
	s_wait_alu 0xfffe
	s_mul_i32 s4, s4, s22
	s_wait_alu 0xfffe
	s_add_co_i32 s17, s4, 1
.LBB157_9:
	s_clause 0x2
	s_load_b32 s4, s[0:1], 0x48
	s_load_b64 s[22:23], s[0:1], 0x38
	s_load_b32 s8, s[0:1], 0x98
	s_mul_i32 s6, s5, s12
	s_xor_b32 s3, s3, s11
	s_sub_co_i32 s2, s2, s6
	s_add_co_i32 s19, s5, 1
	v_lshrrev_b32_e32 v41, 5, v0
	v_mov_b32_e32 v10, 0xff7fffff
	v_mbcnt_lo_u32_b32 v9, -1, 0
	s_mul_i32 s26, s26, s14
	s_delay_alu instid0(VALU_DEP_3)
	v_lshl_add_u32 v42, v41, 4, s33
	s_wait_kmcnt 0x0
	s_mul_i32 s24, s4, s20
	s_wait_alu 0xfffe
	s_sub_co_i32 s4, s2, s12
	s_ashr_i32 s25, s24, 31
	s_cmp_ge_u32 s2, s12
	s_cselect_b32 s5, s19, s5
	s_wait_alu 0xfffe
	s_cselect_b32 s2, s4, s2
	s_add_co_i32 s4, s5, 1
	s_wait_alu 0xfffe
	s_cmp_ge_u32 s2, s12
	s_cselect_b32 s2, s4, s5
	s_add_co_i32 s4, s31, 15
	s_lshl_b32 s36, s30, 5
	s_wait_alu 0xfffe
	s_ashr_i32 s5, s4, 31
	v_or_b32_e32 v43, s36, v41
	s_wait_alu 0xfffe
	s_lshr_b32 s5, s5, 28
	s_wait_alu 0xfffe
	s_add_co_i32 s4, s4, s5
	s_add_co_i32 s5, s36, 32
	s_wait_alu 0xfffe
	s_ashr_i32 s34, s4, 4
	s_xor_b32 s4, s2, s3
	s_min_i32 s19, s5, s34
	v_lshlrev_b32_e32 v8, 2, v43
	v_cmp_gt_i32_e64 s2, s19, v43
	s_wait_alu 0xfffe
	s_sub_co_i32 s35, s4, s3
	s_and_saveexec_b32 s6, s2
	s_cbranch_execz .LBB157_21
; %bb.10:
	s_ashr_i32 s27, s26, 31
	s_sub_co_i32 s14, s35, s9
	s_lshl_b64 s[4:5], s[26:27], 1
	s_cmp_neq_f32 s15, 0
	s_load_b64 s[38:39], s[0:1], 0x20
	v_bfe_u32 v11, v0, 1, 4
	v_and_b32_e32 v2, 8, v7
	s_cselect_b32 vcc_lo, -1, 0
	s_abs_i32 s27, s10
	s_delay_alu instid0(VALU_DEP_2)
	v_dual_mov_b32 v18, 0xff7fffff :: v_dual_lshlrev_b32 v3, 4, v11
	s_cvt_f32_u32 s3, s27
	v_dual_mov_b32 v10, 0xff7fffff :: v_dual_lshlrev_b32 v5, 2, v11
	s_lshl_b64 s[40:41], s[24:25], 2
	s_wait_alu 0xfffe
	v_rcp_iflag_f32_e32 v1, s3
	v_subrev_nc_u32_e32 v4, s31, v11
	v_lshl_or_b32 v5, v41, 6, v5
	s_add_nc_u64 s[40:41], s[22:23], s[40:41]
	s_sub_co_i32 s37, 0, s27
	v_cmp_eq_u32_e64 s3, 0, v40
	v_mul_u32_u24_e32 v12, 0x70, v40
	v_lshl_add_u32 v15, v41, 4, s33
	v_add_nc_u32_e32 v16, 1, v4
	s_wait_kmcnt 0x0
	s_add_nc_u64 s[4:5], s[38:39], s[4:5]
	v_readfirstlane_b32 s29, v1
	s_wait_alu 0xfffe
	v_add_co_u32 v1, s4, s4, v3
	s_wait_alu 0xf1ff
	v_add_co_ci_u32_e64 v3, null, s5, 0, s4
	s_mul_f32 s29, s29, 0x4f7ffffe
	v_add_co_u32 v13, s4, v1, v2
	s_wait_alu 0xf1ff
	v_add_co_ci_u32_e64 v14, null, 0, v3, s4
	s_cvt_u32_f32 s5, s29
	v_add_co_u32 v1, s4, s40, v8
	s_wait_alu 0xf1ff
	v_add_co_ci_u32_e64 v2, null, s41, 0, s4
	s_wait_alu 0xfffe
	s_mul_i32 s37, s37, s5
	v_dual_mov_b32 v20, v43 :: v_dual_add_nc_u32 v17, 0x100, v5
	v_xor_b32_e32 v19, 1, v9
	s_wait_alu 0xfffe
	s_mul_hi_u32 s4, s5, s37
	s_mov_b32 s28, 0
	s_mov_b32 s29, s13
	s_wait_alu 0xfffe
	s_add_co_i32 s37, s5, s4
	s_branch .LBB157_13
.LBB157_11:                             ;   in Loop: Header=BB157_13 Depth=1
	s_or_b32 exec_lo, exec_lo, s38
.LBB157_12:                             ;   in Loop: Header=BB157_13 Depth=1
	s_wait_alu 0xfffe
	s_or_b32 exec_lo, exec_lo, s5
	v_add_nc_u32_e32 v20, 4, v20
	v_add_co_u32 v1, s5, v1, 16
	s_wait_alu 0xf1ff
	v_add_co_ci_u32_e64 v2, null, 0, v2, s5
	s_delay_alu instid0(VALU_DEP_3)
	v_cmp_le_i32_e64 s4, s19, v20
	v_add_nc_u32_e32 v15, 64, v15
	v_add_nc_u32_e32 v17, 0x100, v17
	s_or_b32 s28, s4, s28
	s_wait_alu 0xfffe
	s_and_not1_b32 exec_lo, exec_lo, s28
	s_cbranch_execz .LBB157_20
.LBB157_13:                             ; =>This Inner Loop Header: Depth=1
	v_sub_nc_u32_e32 v3, 0, v15
	s_delay_alu instid0(VALU_DEP_1) | instskip(SKIP_1) | instid1(VALU_DEP_1)
	v_max_i32_e32 v3, v15, v3
	s_wait_dscnt 0x0
	v_mul_hi_u32 v4, v3, s18
	s_delay_alu instid0(VALU_DEP_1) | instskip(NEXT) | instid1(VALU_DEP_1)
	v_mul_lo_u32 v5, v4, s12
	v_sub_nc_u32_e32 v3, v3, v5
	v_add_nc_u32_e32 v5, 1, v4
	s_delay_alu instid0(VALU_DEP_2) | instskip(SKIP_2) | instid1(VALU_DEP_1)
	v_subrev_nc_u32_e32 v6, s12, v3
	v_cmp_le_u32_e64 s4, s12, v3
	s_wait_alu 0xf1ff
	v_cndmask_b32_e64 v4, v4, v5, s4
	s_delay_alu instid0(VALU_DEP_3) | instskip(SKIP_1) | instid1(VALU_DEP_3)
	v_cndmask_b32_e64 v3, v3, v6, s4
	v_ashrrev_i32_e32 v5, 31, v15
	v_add_nc_u32_e32 v6, 1, v4
	s_delay_alu instid0(VALU_DEP_3) | instskip(NEXT) | instid1(VALU_DEP_3)
	v_cmp_le_u32_e64 s4, s12, v3
	v_xor_b32_e32 v5, s11, v5
	s_wait_alu 0xf1ff
	s_delay_alu instid0(VALU_DEP_2) | instskip(NEXT) | instid1(VALU_DEP_1)
	v_cndmask_b32_e64 v3, v4, v6, s4
	v_xor_b32_e32 v3, v3, v5
	s_delay_alu instid0(VALU_DEP_1) | instskip(NEXT) | instid1(VALU_DEP_1)
	v_sub_nc_u32_e32 v3, v3, v5
	v_add_nc_u32_e32 v4, s17, v3
	v_cmp_ge_i32_e64 s5, s14, v3
	s_delay_alu instid0(VALU_DEP_2) | instskip(NEXT) | instid1(VALU_DEP_1)
	v_sub_nc_u32_e32 v5, 0, v4
	v_max_i32_e32 v5, v4, v5
	v_ashrrev_i32_e32 v4, 31, v4
	s_wait_alu 0xfffe
	s_delay_alu instid0(VALU_DEP_2) | instskip(NEXT) | instid1(VALU_DEP_1)
	v_mul_hi_u32 v6, v5, s37
	v_mul_lo_u32 v6, v6, s27
	s_delay_alu instid0(VALU_DEP_1) | instskip(NEXT) | instid1(VALU_DEP_1)
	v_sub_nc_u32_e32 v5, v5, v6
	v_subrev_nc_u32_e32 v6, s27, v5
	v_cmp_le_u32_e64 s4, s27, v5
	s_wait_alu 0xf1ff
	s_delay_alu instid0(VALU_DEP_1) | instskip(NEXT) | instid1(VALU_DEP_1)
	v_cndmask_b32_e64 v5, v5, v6, s4
	v_subrev_nc_u32_e32 v6, s27, v5
	v_cmp_le_u32_e64 s4, s27, v5
	s_wait_alu 0xf1ff
	s_delay_alu instid0(VALU_DEP_1) | instskip(NEXT) | instid1(VALU_DEP_1)
	v_cndmask_b32_e64 v5, v5, v6, s4
	v_xor_b32_e32 v5, v5, v4
	s_delay_alu instid0(VALU_DEP_1) | instskip(NEXT) | instid1(VALU_DEP_1)
	v_sub_nc_u32_e32 v4, v5, v4
	v_cmp_ne_u32_e64 s4, 0, v4
	s_and_b32 s4, s4, s5
	s_wait_alu 0xfffe
	s_and_saveexec_b32 s5, s4
	s_wait_alu 0xfffe
	s_xor_b32 s4, exec_lo, s5
	s_cbranch_execz .LBB157_17
; %bb.14:                               ;   in Loop: Header=BB157_13 Depth=1
	s_and_saveexec_b32 s5, s3
; %bb.15:                               ;   in Loop: Header=BB157_13 Depth=1
	ds_store_b32 v17, v18
; %bb.16:                               ;   in Loop: Header=BB157_13 Depth=1
	s_wait_alu 0xfffe
	s_or_b32 exec_lo, exec_lo, s5
.LBB157_17:                             ;   in Loop: Header=BB157_13 Depth=1
	s_wait_alu 0xfffe
	s_and_not1_saveexec_b32 s5, s4
	s_cbranch_execz .LBB157_12
; %bb.18:                               ;   in Loop: Header=BB157_13 Depth=1
	global_load_b32 v3, v[1:2], off
	s_wait_loadcnt 0x0
	v_mad_co_i64_i32 v[3:4], null, v3, s29, 0
	s_delay_alu instid0(VALU_DEP_1) | instskip(NEXT) | instid1(VALU_DEP_1)
	v_lshlrev_b64_e32 v[3:4], 1, v[3:4]
	v_add_co_u32 v3, s4, v13, v3
	s_wait_alu 0xf1ff
	s_delay_alu instid0(VALU_DEP_2)
	v_add_co_ci_u32_e64 v4, null, v14, v4, s4
	v_cmp_gt_i32_e64 s4, 32, v19
	s_clause 0xd
	global_load_b64 v[37:38], v[3:4], off offset:256
	global_load_b64 v[56:57], v[3:4], off offset:512
	global_load_b64 v[58:59], v[3:4], off offset:768
	global_load_b64 v[60:61], v[3:4], off
	global_load_b64 v[62:63], v[3:4], off offset:1024
	global_load_b64 v[64:65], v[3:4], off offset:1280
	;; [unrolled: 1-line block ×10, first 2 shown]
	ds_load_b128 v[21:24], v12
	ds_load_b128 v[25:28], v12 offset:16
	ds_load_b128 v[29:32], v12 offset:32
	;; [unrolled: 1-line block ×6, first 2 shown]
	s_wait_dscnt 0x0
	v_lshlrev_b32_e32 v103, 16, v53
	v_and_b32_e32 v53, 0xffff0000, v53
	v_lshlrev_b32_e32 v105, 16, v55
	s_wait_loadcnt 0xd
	v_lshlrev_b32_e32 v106, 16, v37
	v_and_b32_e32 v37, 0xffff0000, v37
	v_lshlrev_b32_e32 v80, 16, v23
	v_lshlrev_b32_e32 v107, 16, v38
	s_wait_loadcnt 0xc
	v_lshlrev_b32_e32 v110, 16, v56
	v_and_b32_e32 v56, 0xffff0000, v56
	s_wait_loadcnt 0xb
	v_lshlrev_b32_e32 v112, 16, v58
	v_and_b32_e32 v58, 0xffff0000, v58
	s_wait_loadcnt 0x5
	v_lshlrev_b32_e32 v122, 16, v70
	s_wait_loadcnt 0x4
	v_lshlrev_b32_e32 v124, 16, v72
	v_and_b32_e32 v72, 0xffff0000, v72
	v_lshlrev_b32_e32 v104, 16, v54
	v_and_b32_e32 v23, 0xffff0000, v23
	v_and_b32_e32 v70, 0xffff0000, v70
	v_lshlrev_b32_e32 v102, 16, v52
	v_lshlrev_b32_e32 v125, 16, v73
	v_and_b32_e32 v73, 0xffff0000, v73
	v_mul_f32_e32 v23, v23, v37
	v_dual_mul_f32 v80, v80, v106 :: v_dual_lshlrev_b32 v81, 16, v24
	v_lshlrev_b32_e32 v78, 16, v21
	v_and_b32_e32 v21, 0xffff0000, v21
	s_wait_loadcnt 0x3
	v_and_b32_e32 v37, 0xffff0000, v74
	v_lshlrev_b32_e32 v108, 16, v60
	v_and_b32_e32 v60, 0xffff0000, v60
	v_lshlrev_b32_e32 v82, 16, v25
	v_and_b32_e32 v25, 0xffff0000, v25
	v_and_b32_e32 v38, 0xffff0000, v38
	s_delay_alu instid0(VALU_DEP_4)
	v_dual_fmac_f32 v23, v21, v60 :: v_dual_lshlrev_b32 v114, 16, v62
	v_lshlrev_b32_e32 v86, 16, v29
	v_and_b32_e32 v29, 0xffff0000, v29
	v_and_b32_e32 v62, 0xffff0000, v62
	;; [unrolled: 1-line block ×3, first 2 shown]
	v_lshlrev_b32_e32 v84, 16, v27
	v_and_b32_e32 v27, 0xffff0000, v27
	v_mul_f32_e32 v81, v81, v107
	v_dual_fmac_f32 v80, v78, v108 :: v_dual_lshlrev_b32 v79, 16, v22
	v_fmac_f32_e32 v23, v25, v56
	v_lshlrev_b32_e32 v85, 16, v28
	v_lshlrev_b32_e32 v94, 16, v44
	s_delay_alu instid0(VALU_DEP_4) | instskip(NEXT) | instid1(VALU_DEP_4)
	v_dual_fmac_f32 v80, v82, v110 :: v_dual_lshlrev_b32 v109, 16, v61
	v_dual_fmac_f32 v23, v27, v58 :: v_dual_lshlrev_b32 v88, 16, v31
	v_lshlrev_b32_e32 v111, 16, v57
	s_delay_alu instid0(VALU_DEP_3) | instskip(SKIP_1) | instid1(VALU_DEP_4)
	v_fmac_f32_e32 v81, v79, v109
	v_lshlrev_b32_e32 v113, 16, v59
	v_fmac_f32_e32 v23, v29, v62
	v_mul_f32_e32 v21, v24, v38
	v_dual_fmac_f32 v80, v84, v112 :: v_dual_lshlrev_b32 v83, 16, v26
	v_lshlrev_b32_e32 v89, 16, v32
	v_lshlrev_b32_e32 v90, 16, v33
	s_wait_loadcnt 0x2
	v_lshlrev_b32_e32 v25, 16, v6
	v_dual_fmac_f32 v81, v83, v111 :: v_dual_fmac_f32 v80, v86, v114
	v_and_b32_e32 v6, 0xffff0000, v6
	v_lshlrev_b32_e32 v116, 16, v64
	v_lshlrev_b32_e32 v87, 16, v30
	s_delay_alu instid0(VALU_DEP_4) | instskip(SKIP_1) | instid1(VALU_DEP_4)
	v_dual_fmac_f32 v81, v85, v113 :: v_dual_lshlrev_b32 v98, 16, v48
	v_and_b32_e32 v61, 0xffff0000, v61
	v_dual_fmac_f32 v80, v88, v116 :: v_dual_lshlrev_b32 v115, 16, v63
	v_and_b32_e32 v22, 0xffff0000, v22
	v_and_b32_e32 v31, 0xffff0000, v31
	;; [unrolled: 1-line block ×5, first 2 shown]
	v_lshlrev_b32_e32 v117, 16, v65
	v_fmac_f32_e32 v81, v87, v115
	v_dual_fmac_f32 v21, v22, v61 :: v_dual_lshlrev_b32 v92, 16, v35
	v_and_b32_e32 v30, 0xffff0000, v30
	v_and_b32_e32 v59, 0xffff0000, v59
	;; [unrolled: 1-line block ×3, first 2 shown]
	v_dual_fmac_f32 v23, v31, v64 :: v_dual_lshlrev_b32 v96, 16, v46
	v_fmac_f32_e32 v21, v26, v57
	v_dual_fmac_f32 v81, v89, v117 :: v_dual_and_b32 v28, 0xffff0000, v28
	v_lshlrev_b32_e32 v100, 16, v50
	v_and_b32_e32 v33, 0xffff0000, v33
	v_lshlrev_b32_e32 v118, 16, v66
	s_delay_alu instid0(VALU_DEP_4)
	v_dual_fmac_f32 v21, v28, v59 :: v_dual_and_b32 v66, 0xffff0000, v66
	v_lshlrev_b32_e32 v93, 16, v36
	v_and_b32_e32 v32, 0xffff0000, v32
	v_and_b32_e32 v35, 0xffff0000, v35
	;; [unrolled: 1-line block ×3, first 2 shown]
	v_lshlrev_b32_e32 v119, 16, v67
	v_lshlrev_b32_e32 v120, 16, v68
	v_dual_fmac_f32 v21, v30, v63 :: v_dual_and_b32 v68, 0xffff0000, v68
	v_fmac_f32_e32 v80, v90, v118
	v_lshlrev_b32_e32 v91, 16, v34
	v_fmac_f32_e32 v23, v33, v66
	s_delay_alu instid0(VALU_DEP_4)
	v_dual_fmac_f32 v21, v32, v65 :: v_dual_and_b32 v34, 0xffff0000, v34
	v_and_b32_e32 v46, 0xffff0000, v46
	v_and_b32_e32 v67, 0xffff0000, v67
	;; [unrolled: 1-line block ×3, first 2 shown]
	v_dual_fmac_f32 v80, v92, v120 :: v_dual_lshlrev_b32 v121, 16, v69
	v_dual_fmac_f32 v81, v91, v119 :: v_dual_and_b32 v36, 0xffff0000, v36
	v_fmac_f32_e32 v23, v35, v68
	s_delay_alu instid0(VALU_DEP_3) | instskip(NEXT) | instid1(VALU_DEP_3)
	v_dual_fmac_f32 v80, v94, v122 :: v_dual_lshlrev_b32 v95, 16, v45
	v_dual_fmac_f32 v81, v93, v121 :: v_dual_and_b32 v48, 0xffff0000, v48
	v_and_b32_e32 v69, 0xffff0000, v69
	v_lshlrev_b32_e32 v123, 16, v71
	v_fmac_f32_e32 v21, v34, v67
	v_fmac_f32_e32 v23, v44, v70
	v_dual_fmac_f32 v80, v96, v124 :: v_dual_lshlrev_b32 v97, 16, v47
	v_and_b32_e32 v45, 0xffff0000, v45
	s_delay_alu instid0(VALU_DEP_4)
	v_dual_fmac_f32 v21, v36, v69 :: v_dual_and_b32 v50, 0xffff0000, v50
	v_dual_fmac_f32 v81, v95, v123 :: v_dual_and_b32 v52, 0xffff0000, v52
	v_and_b32_e32 v71, 0xffff0000, v71
	v_dual_fmac_f32 v23, v46, v72 :: v_dual_lshlrev_b32 v126, 16, v74
	v_lshlrev_b32_e32 v99, 16, v49
	v_and_b32_e32 v47, 0xffff0000, v47
	s_delay_alu instid0(VALU_DEP_4)
	v_dual_fmac_f32 v21, v45, v71 :: v_dual_and_b32 v54, 0xffff0000, v54
	v_lshlrev_b32_e32 v74, 16, v75
	v_lshlrev_b32_e32 v22, 16, v5
	v_and_b32_e32 v5, 0xffff0000, v5
	v_dual_fmac_f32 v81, v97, v125 :: v_dual_fmac_f32 v80, v98, v126
	v_fmac_f32_e32 v23, v48, v37
	v_lshlrev_b32_e32 v101, 16, v51
	v_and_b32_e32 v49, 0xffff0000, v49
	v_and_b32_e32 v24, 0xffff0000, v75
	s_wait_loadcnt 0x1
	v_lshlrev_b32_e32 v26, 16, v76
	v_and_b32_e32 v27, 0xffff0000, v76
	v_fmac_f32_e32 v21, v47, v73
	v_fmac_f32_e32 v81, v99, v74
	v_dual_fmac_f32 v80, v100, v22 :: v_dual_fmac_f32 v23, v50, v5
	v_and_b32_e32 v51, 0xffff0000, v51
	v_lshlrev_b32_e32 v28, 16, v77
	s_wait_loadcnt 0x0
	v_dual_fmac_f32 v21, v49, v24 :: v_dual_lshlrev_b32 v30, 16, v3
	v_and_b32_e32 v3, 0xffff0000, v3
	v_dual_fmac_f32 v81, v101, v25 :: v_dual_fmac_f32 v80, v102, v26
	v_fmac_f32_e32 v23, v52, v27
	v_and_b32_e32 v29, 0xffff0000, v77
	v_fmac_f32_e32 v21, v51, v6
	v_lshlrev_b32_e32 v5, 16, v4
	v_fmac_f32_e32 v81, v103, v28
	v_dual_fmac_f32 v80, v30, v104 :: v_dual_fmac_f32 v23, v3, v54
	s_delay_alu instid0(VALU_DEP_4) | instskip(SKIP_1) | instid1(VALU_DEP_4)
	v_fmac_f32_e32 v21, v53, v29
	v_and_b32_e32 v3, 0xffff0000, v55
	v_dual_fmac_f32 v81, v5, v105 :: v_dual_and_b32 v4, 0xffff0000, v4
	s_delay_alu instid0(VALU_DEP_4) | instskip(SKIP_2) | instid1(VALU_DEP_3)
	v_add_f32_e32 v5, v80, v23
	s_wait_alu 0xf1ff
	v_cndmask_b32_e64 v6, v9, v19, s4
	v_fmac_f32_e32 v21, v4, v3
	s_delay_alu instid0(VALU_DEP_2) | instskip(NEXT) | instid1(VALU_DEP_1)
	v_dual_add_f32 v3, v5, v81 :: v_dual_lshlrev_b32 v4, 2, v6
	v_add_f32_e32 v3, v21, v3
	ds_bpermute_b32 v4, v4, v3
	s_and_saveexec_b32 s38, s3
	s_cbranch_execz .LBB157_11
; %bb.19:                               ;   in Loop: Header=BB157_13 Depth=1
	v_add_nc_u32_e32 v5, v16, v15
	s_wait_dscnt 0x0
	v_add_f32_e32 v3, v3, v4
	s_delay_alu instid0(VALU_DEP_2) | instskip(NEXT) | instid1(VALU_DEP_1)
	v_cvt_f32_i32_e32 v5, v5
	v_mul_f32_e32 v5, s15, v5
	s_delay_alu instid0(VALU_DEP_1) | instskip(NEXT) | instid1(VALU_DEP_1)
	v_dual_cndmask_b32 v4, 0, v5 :: v_dual_max_num_f32 v5, v10, v10
	v_fmac_f32_e32 v4, s7, v3
	v_add_nc_u32_e32 v3, v11, v15
	s_delay_alu instid0(VALU_DEP_2) | instskip(NEXT) | instid1(VALU_DEP_2)
	v_max_num_f32_e32 v5, v5, v4
	v_cmp_gt_i32_e64 s4, s31, v3
	s_wait_alu 0xf1ff
	s_delay_alu instid0(VALU_DEP_1) | instskip(NEXT) | instid1(VALU_DEP_3)
	v_cndmask_b32_e64 v3, 0, v4, s4
	v_cndmask_b32_e64 v10, v10, v5, s4
	ds_store_b32 v17, v3
	s_branch .LBB157_11
.LBB157_20:
	s_or_b32 exec_lo, exec_lo, s28
.LBB157_21:
	s_delay_alu instid0(SALU_CYCLE_1)
	s_or_b32 exec_lo, exec_lo, s6
	v_xor_b32_e32 v1, 16, v9
	v_xor_b32_e32 v2, 8, v9
	v_dual_max_num_f32 v5, v10, v10 :: v_dual_and_b32 v44, 31, v0
	s_clause 0x2
	s_load_b128 s[4:7], s[0:1], 0x0
	s_load_b64 s[14:15], s[0:1], 0x10
	s_load_b64 s[28:29], s[0:1], 0x28
	v_cmp_gt_i32_e32 vcc_lo, 32, v1
	s_wait_alu 0xfffd
	v_cndmask_b32_e32 v1, v9, v1, vcc_lo
	v_cmp_gt_i32_e32 vcc_lo, 32, v2
	s_wait_alu 0xfffd
	v_cndmask_b32_e32 v2, v9, v2, vcc_lo
	s_wait_dscnt 0x0
	s_delay_alu instid0(VALU_DEP_1)
	v_lshlrev_b32_e32 v4, 2, v2
	v_lshlrev_b32_e32 v3, 2, v1
	ds_bpermute_b32 v1, v3, v10
	v_lshlrev_b32_e32 v10, 2, v41
	s_wait_dscnt 0x0
	v_max_num_f32_e32 v1, v1, v1
	s_delay_alu instid0(VALU_DEP_1)
	v_max_num_f32_e32 v1, v5, v1
	v_xor_b32_e32 v5, 4, v9
	ds_bpermute_b32 v2, v4, v1
	v_cmp_gt_i32_e32 vcc_lo, 32, v5
	s_wait_dscnt 0x0
	s_wait_alu 0xfffd
	v_dual_cndmask_b32 v5, v9, v5 :: v_dual_max_num_f32 v2, v2, v2
	s_delay_alu instid0(VALU_DEP_1) | instskip(SKIP_1) | instid1(VALU_DEP_3)
	v_lshlrev_b32_e32 v6, 2, v5
	v_xor_b32_e32 v5, 2, v9
	v_max_num_f32_e32 v1, v1, v2
	s_delay_alu instid0(VALU_DEP_2)
	v_cmp_gt_i32_e32 vcc_lo, 32, v5
	ds_bpermute_b32 v2, v6, v1
	s_wait_alu 0xfffd
	v_cndmask_b32_e32 v5, v9, v5, vcc_lo
	v_cmp_eq_u32_e32 vcc_lo, 0, v44
	s_wait_dscnt 0x0
	v_max_num_f32_e32 v2, v2, v2
	s_delay_alu instid0(VALU_DEP_1)
	v_dual_max_num_f32 v1, v1, v2 :: v_dual_lshlrev_b32 v2, 2, v5
	ds_bpermute_b32 v5, v2, v1
	s_and_saveexec_b32 s0, vcc_lo
	s_cbranch_execz .LBB157_23
; %bb.22:
	s_wait_dscnt 0x0
	v_max_num_f32_e32 v5, v5, v5
	v_max_num_f32_e32 v1, v1, v1
	s_delay_alu instid0(VALU_DEP_1)
	v_max_num_f32_e32 v1, v1, v5
	ds_store_b32 v10, v1 offset:224
.LBB157_23:
	s_or_b32 exec_lo, exec_lo, s0
	v_cmp_gt_u32_e64 s0, 4, v44
	v_mov_b32_e32 v1, 0xff7fffff
	v_lshlrev_b32_e32 v11, 2, v44
	s_wait_loadcnt_dscnt 0x0
	s_barrier_signal -1
	s_barrier_wait -1
	global_inv scope:SCOPE_SE
	s_and_saveexec_b32 s1, s0
; %bb.24:
	ds_load_b32 v1, v11 offset:224
; %bb.25:
	s_or_b32 exec_lo, exec_lo, s1
	s_wait_dscnt 0x0
	ds_bpermute_b32 v5, v2, v1
	v_xor_b32_e32 v12, 1, v9
	v_max_num_f32_e32 v1, v1, v1
	s_delay_alu instid0(VALU_DEP_2) | instskip(NEXT) | instid1(VALU_DEP_1)
	v_cmp_gt_i32_e64 s1, 32, v12
	v_cndmask_b32_e64 v9, v9, v12, s1
	s_sub_co_i32 s1, s19, s36
	s_wait_alu 0xfffe
	s_lshl_b32 s1, s1, 4
	s_delay_alu instid0(VALU_DEP_1)
	v_lshlrev_b32_e32 v45, 2, v9
	v_mov_b32_e32 v9, 0
	s_wait_alu 0xfffe
	s_add_co_i32 s1, s1, s33
	s_wait_alu 0xfffe
	s_min_i32 s1, s1, s31
	s_wait_dscnt 0x0
	v_max_num_f32_e32 v5, v5, v5
	s_wait_alu 0xfffe
	s_sub_co_i32 s27, s1, s33
	s_wait_alu 0xfffe
	v_cmp_gt_i32_e64 s1, s27, v0
	v_max_num_f32_e32 v1, v1, v5
	ds_bpermute_b32 v5, v45, v1
	s_wait_dscnt 0x0
	v_max_num_f32_e32 v5, v5, v5
	s_delay_alu instid0(VALU_DEP_1)
	v_max_num_f32_e32 v1, v1, v5
	v_lshl_add_u32 v5, v0, 2, 0x100
	ds_bpermute_b32 v1, v9, v1
	s_and_saveexec_b32 s33, s1
	s_cbranch_execz .LBB157_29
; %bb.26:
	v_lshl_add_u32 v12, v0, 2, 0x100
	v_mov_b32_e32 v9, 0
	v_mov_b32_e32 v13, v0
	s_mov_b32 s36, 0
.LBB157_27:                             ; =>This Inner Loop Header: Depth=1
	ds_load_b32 v14, v12
	v_add_nc_u32_e32 v13, 0x80, v13
	s_delay_alu instid0(VALU_DEP_1) | instskip(SKIP_4) | instid1(VALU_DEP_1)
	v_cmp_le_i32_e64 s3, s27, v13
	s_wait_alu 0xfffe
	s_or_b32 s36, s3, s36
	s_wait_dscnt 0x0
	v_sub_f32_e32 v14, v14, v1
	v_mul_f32_e32 v14, 0x3fb8aa3b, v14
	s_delay_alu instid0(VALU_DEP_1)
	v_exp_f32_e32 v14, v14
	ds_store_b32 v12, v14
	v_dual_add_f32 v9, v9, v14 :: v_dual_add_nc_u32 v12, 0x200, v12
	s_wait_alu 0xfffe
	s_and_not1_b32 exec_lo, exec_lo, s36
	s_cbranch_execnz .LBB157_27
; %bb.28:
	s_or_b32 exec_lo, exec_lo, s36
.LBB157_29:
	s_wait_alu 0xfffe
	s_or_b32 exec_lo, exec_lo, s33
	ds_bpermute_b32 v3, v3, v9
	s_wait_dscnt 0x0
	v_add_f32_e32 v3, v9, v3
	ds_bpermute_b32 v4, v4, v3
	s_wait_dscnt 0x0
	v_add_f32_e32 v3, v3, v4
	;; [unrolled: 3-line block ×5, first 2 shown]
	s_and_saveexec_b32 s3, vcc_lo
; %bb.30:
	ds_store_b32 v10, v3 offset:240
; %bb.31:
	s_wait_alu 0xfffe
	s_or_b32 exec_lo, exec_lo, s3
	s_wait_loadcnt_dscnt 0x0
	s_barrier_signal -1
	s_barrier_wait -1
	global_inv scope:SCOPE_SE
	s_and_saveexec_b32 s3, s0
; %bb.32:
	ds_load_b32 v3, v11 offset:240
; %bb.33:
	s_wait_alu 0xfffe
	s_or_b32 exec_lo, exec_lo, s3
	s_wait_dscnt 0x0
	ds_bpermute_b32 v2, v2, v3
	s_wait_dscnt 0x0
	v_add_f32_e32 v2, v3, v2
	ds_bpermute_b32 v3, v45, v2
	s_wait_dscnt 0x0
	v_dual_add_f32 v2, v2, v3 :: v_dual_mov_b32 v3, 0
	ds_bpermute_b32 v2, v3, v2
	s_and_saveexec_b32 s0, s1
	s_cbranch_execz .LBB157_36
; %bb.34:
	s_wait_dscnt 0x0
	v_add_f32_e32 v3, 0x358637bd, v2
	s_mov_b32 s1, 0
	s_delay_alu instid0(VALU_DEP_1) | instskip(SKIP_1) | instid1(VALU_DEP_2)
	v_div_scale_f32 v4, null, v3, v3, 1.0
	v_div_scale_f32 v10, vcc_lo, 1.0, v3, 1.0
	v_rcp_f32_e32 v6, v4
	s_delay_alu instid0(TRANS32_DEP_1) | instskip(NEXT) | instid1(VALU_DEP_1)
	v_fma_f32 v9, -v4, v6, 1.0
	v_fmac_f32_e32 v6, v9, v6
	s_delay_alu instid0(VALU_DEP_1) | instskip(NEXT) | instid1(VALU_DEP_1)
	v_mul_f32_e32 v9, v10, v6
	v_fma_f32 v11, -v4, v9, v10
	s_delay_alu instid0(VALU_DEP_1) | instskip(NEXT) | instid1(VALU_DEP_1)
	v_fmac_f32_e32 v9, v11, v6
	v_fma_f32 v4, -v4, v9, v10
	s_wait_alu 0xfffd
	s_delay_alu instid0(VALU_DEP_1) | instskip(NEXT) | instid1(VALU_DEP_1)
	v_div_fmas_f32 v4, v4, v6, v9
	v_div_fixup_f32 v3, v4, v3, 1.0
	v_mov_b32_e32 v4, v0
.LBB157_35:                             ; =>This Inner Loop Header: Depth=1
	ds_load_b32 v6, v5
	v_add_nc_u32_e32 v4, 0x80, v4
	s_delay_alu instid0(VALU_DEP_1)
	v_cmp_le_i32_e32 vcc_lo, s27, v4
	s_wait_alu 0xfffe
	s_or_b32 s1, vcc_lo, s1
	s_wait_dscnt 0x0
	v_mul_f32_e32 v6, v3, v6
	ds_store_b32 v5, v6
	v_add_nc_u32_e32 v5, 0x200, v5
	s_wait_alu 0xfffe
	s_and_not1_b32 exec_lo, exec_lo, s1
	s_cbranch_execnz .LBB157_35
.LBB157_36:
	s_wait_alu 0xfffe
	s_or_b32 exec_lo, exec_lo, s0
	s_mul_i32 s0, s8, s20
	s_wait_loadcnt_dscnt 0x0
	s_wait_alu 0xfffe
	s_mul_i32 s20, s0, s21
	s_mov_b32 s0, exec_lo
	s_barrier_signal -1
	s_barrier_wait -1
	global_inv scope:SCOPE_SE
	v_cmpx_eq_u32_e32 0, v0
	s_cbranch_execz .LBB157_38
; %bb.37:
	s_ashr_i32 s21, s20, 31
	s_wait_alu 0xfffe
	s_mul_i32 s36, s8, ttmp9
	s_lshl_b32 s1, s30, 2
	s_lshl_b64 s[38:39], s[20:21], 2
	s_wait_alu 0xfffe
	s_ashr_i32 s37, s36, 31
	v_mov_b32_e32 v3, s1
	s_wait_kmcnt 0x0
	s_add_nc_u64 s[6:7], s[6:7], s[38:39]
	s_wait_alu 0xfffe
	s_lshl_b64 s[36:37], s[36:37], 2
	s_add_nc_u64 s[4:5], s[4:5], s[38:39]
	s_wait_alu 0xfffe
	s_add_nc_u64 s[6:7], s[6:7], s[36:37]
	s_add_nc_u64 s[4:5], s[4:5], s[36:37]
	s_clause 0x1
	global_store_b32 v3, v1, s[6:7]
	global_store_b32 v3, v2, s[4:5]
.LBB157_38:
	s_wait_alu 0xfffe
	s_or_b32 exec_lo, exec_lo, s0
	v_dual_mov_b32 v52, 0 :: v_dual_mov_b32 v51, 0
	v_dual_mov_b32 v50, 0 :: v_dual_mov_b32 v49, 0
	;; [unrolled: 1-line block ×3, first 2 shown]
	v_mov_b32_e32 v46, 0
	s_and_saveexec_b32 s1, s2
	s_cbranch_execz .LBB157_58
; %bb.39:
	s_abs_i32 s2, s10
	v_dual_mov_b32 v47, 0 :: v_dual_lshlrev_b32 v2, 4, v0
	s_wait_alu 0xfffe
	s_cvt_f32_u32 s0, s2
	s_ashr_i32 s27, s26, 31
	s_lshl_b64 s[24:25], s[24:25], 2
	v_dual_mov_b32 v49, 0 :: v_dual_and_b32 v2, 0x1f0, v2
	s_wait_alu 0xfffe
	v_rcp_iflag_f32_e32 v1, s0
	s_lshl_b64 s[26:27], s[26:27], 1
	s_add_nc_u64 s[22:23], s[22:23], s[24:25]
	s_wait_kmcnt 0x0
	s_wait_alu 0xfffe
	s_add_nc_u64 s[24:25], s[28:29], s[26:27]
	s_sub_co_i32 s3, s35, s9
	v_add_co_u32 v54, s9, s24, v2
	s_sub_co_i32 s7, 0, s2
	v_mov_b32_e32 v48, 0
	v_add_co_ci_u32_e64 v55, null, s25, 0, s9
	v_readfirstlane_b32 s0, v1
	v_lshlrev_b32_e32 v1, 5, v40
	v_add_co_u32 v37, s9, s22, v8
	v_dual_mov_b32 v46, 0 :: v_dual_and_b32 v53, 8, v7
	s_delay_alu instid0(VALU_DEP_4) | instskip(NEXT) | instid1(VALU_DEP_3)
	s_mul_f32 s0, s0, 0x4f7ffffe
	v_lshl_or_b32 v1, v41, 6, v1
	v_add_co_ci_u32_e64 v38, null, s23, 0, s9
	s_wait_alu 0xfffe
	s_cvt_u32_f32 s0, s0
	v_mov_b32_e32 v50, 0
	v_dual_mov_b32 v51, 0 :: v_dual_add_nc_u32 v56, 0x100, v1
	s_wait_alu 0xfffe
	s_mul_i32 s7, s7, s0
	v_mov_b32_e32 v52, 0
	s_wait_alu 0xfffe
	s_mul_hi_u32 s9, s0, s7
	s_mov_b32 s4, s13
	s_add_co_i32 s5, s34, -1
	s_mov_b32 s6, 0
	s_mov_b32 s7, s31
	s_wait_alu 0xfffe
	s_add_co_i32 s9, s0, s9
	s_branch .LBB157_42
.LBB157_40:                             ;   in Loop: Header=BB157_42 Depth=1
	s_wait_alu 0xfffe
	s_or_b32 exec_lo, exec_lo, s0
	s_wait_dscnt 0x1
	v_bfe_u32 v57, v25, 16, 1
	v_bfe_u32 v58, v26, 16, 1
	v_or_b32_e32 v59, 0x400000, v25
	v_cmp_u_f32_e32 vcc_lo, v25, v25
	v_or_b32_e32 v60, 0x400000, v26
	v_add3_u32 v57, v57, v25, 0x7fff
	v_bfe_u32 v61, v27, 16, 1
	v_add3_u32 v58, v58, v26, 0x7fff
	v_bfe_u32 v62, v28, 16, 1
	s_wait_alu 0xfffd
	v_cndmask_b32_e32 v25, v57, v59, vcc_lo
	v_cmp_u_f32_e32 vcc_lo, v26, v26
	v_add3_u32 v57, v61, v27, 0x7fff
	s_wait_dscnt 0x0
	v_bfe_u32 v59, v21, 16, 1
	v_or_b32_e32 v61, 0x400000, v28
	s_wait_alu 0xfffd
	v_cndmask_b32_e32 v26, v58, v60, vcc_lo
	v_or_b32_e32 v58, 0x400000, v27
	v_cmp_u_f32_e32 vcc_lo, v27, v27
	v_add3_u32 v60, v62, v28, 0x7fff
	v_and_b32_e32 v25, 0xffff0000, v25
	s_wait_alu 0xfffd
	v_cndmask_b32_e32 v27, v57, v58, vcc_lo
	v_cmp_u_f32_e32 vcc_lo, v28, v28
	v_add3_u32 v57, v59, v21, 0x7fff
	v_or_b32_e32 v58, 0x400000, v21
	v_bfe_u32 v59, v22, 16, 1
	s_wait_alu 0xfffd
	v_cndmask_b32_e32 v28, v60, v61, vcc_lo
	v_cmp_u_f32_e32 vcc_lo, v21, v21
	v_or_b32_e32 v60, 0x400000, v22
	v_add3_u32 v59, v59, v22, 0x7fff
	v_or_b32_e32 v61, 0x400000, v23
	s_wait_alu 0xfffd
	v_cndmask_b32_e32 v57, v57, v58, vcc_lo
	v_bfe_u32 v58, v23, 16, 1
	v_cmp_u_f32_e32 vcc_lo, v22, v22
	v_and_b32_e32 v21, 0xffff0000, v26
	s_wait_loadcnt 0x1
	v_and_b32_e32 v26, 0xffff0000, v33
	v_add3_u32 v58, v58, v23, 0x7fff
	s_wait_alu 0xfffd
	v_cndmask_b32_e32 v22, v59, v60, vcc_lo
	v_bfe_u32 v59, v24, 16, 1
	v_mul_f32_e32 v26, v21, v26
	v_cmp_u_f32_e32 vcc_lo, v23, v23
	v_or_b32_e32 v60, 0x400000, v24
	v_and_b32_e32 v22, 0xffff0000, v22
	v_add3_u32 v59, v59, v24, 0x7fff
	v_bfe_u32 v23, v26, 16, 1
	s_wait_alu 0xfffd
	v_cndmask_b32_e32 v58, v58, v61, vcc_lo
	v_cmp_u_f32_e32 vcc_lo, v24, v24
	v_lshlrev_b32_e32 v33, 16, v33
	v_or_b32_e32 v62, 0x400000, v26
	v_add3_u32 v61, v23, v26, 0x7fff
	v_and_b32_e32 v23, 0xffff0000, v28
	v_and_b32_e32 v28, 0xffff0000, v34
	s_wait_alu 0xfffd
	v_dual_cndmask_b32 v24, v59, v60 :: v_dual_mul_f32 v33, v25, v33
	v_cmp_u_f32_e32 vcc_lo, v26, v26
	v_and_b32_e32 v26, 0xffff0000, v27
	v_lshlrev_b32_e32 v27, 16, v34
	s_delay_alu instid0(VALU_DEP_4)
	v_and_b32_e32 v24, 0xffff0000, v24
	v_bfe_u32 v60, v33, 16, 1
	s_wait_alu 0xfffd
	v_cndmask_b32_e32 v59, v61, v62, vcc_lo
	v_mul_f32_e32 v61, v23, v28
	v_cmp_u_f32_e32 vcc_lo, v33, v33
	v_add3_u32 v34, v60, v33, 0x7fff
	v_or_b32_e32 v60, 0x400000, v33
	s_delay_alu instid0(VALU_DEP_4)
	v_bfe_u32 v62, v61, 16, 1
	v_and_b32_e32 v28, 0xffff0000, v35
	v_and_b32_e32 v59, 0xffff0000, v59
	s_wait_alu 0xfffd
	v_cndmask_b32_e32 v33, v34, v60, vcc_lo
	v_add3_u32 v34, v62, v61, 0x7fff
	v_or_b32_e32 v60, 0x400000, v61
	v_cmp_u_f32_e32 vcc_lo, v61, v61
	v_dual_mul_f32 v63, v22, v28 :: v_dual_and_b32 v28, 0xffff0000, v57
	s_wait_alu 0xfffd
	s_delay_alu instid0(VALU_DEP_3) | instskip(SKIP_1) | instid1(VALU_DEP_2)
	v_dual_cndmask_b32 v34, v34, v60 :: v_dual_and_b32 v33, 0xffff0000, v33
	v_mul_f32_e32 v27, v26, v27
	v_dual_add_f32 v33, v33, v59 :: v_dual_and_b32 v34, 0xffff0000, v34
	s_delay_alu instid0(VALU_DEP_2) | instskip(SKIP_2) | instid1(VALU_DEP_3)
	v_bfe_u32 v62, v27, 16, 1
	v_or_b32_e32 v60, 0x400000, v27
	v_cmp_u_f32_e32 vcc_lo, v27, v27
	v_add3_u32 v57, v62, v27, 0x7fff
	v_and_b32_e32 v62, 0xffff0000, v36
	v_and_b32_e32 v27, 0xffff0000, v58
	v_lshlrev_b32_e32 v36, 16, v36
	v_lshlrev_b32_e32 v35, 16, v35
	s_wait_alu 0xfffd
	v_dual_cndmask_b32 v57, v57, v60 :: v_dual_mul_f32 v60, v24, v62
	v_bfe_u32 v64, v63, 16, 1
	s_delay_alu instid0(VALU_DEP_3) | instskip(SKIP_1) | instid1(VALU_DEP_3)
	v_dual_mul_f32 v36, v27, v36 :: v_dual_mul_f32 v35, v28, v35
	v_cmp_u_f32_e32 vcc_lo, v63, v63
	v_add3_u32 v61, v64, v63, 0x7fff
	v_or_b32_e32 v64, 0x400000, v63
	s_delay_alu instid0(VALU_DEP_4) | instskip(SKIP_2) | instid1(VALU_DEP_3)
	v_bfe_u32 v65, v35, 16, 1
	v_or_b32_e32 v63, 0x400000, v35
	s_wait_alu 0xfffd
	v_cndmask_b32_e32 v61, v61, v64, vcc_lo
	s_delay_alu instid0(VALU_DEP_3) | instskip(SKIP_2) | instid1(VALU_DEP_4)
	v_add3_u32 v62, v65, v35, 0x7fff
	v_bfe_u32 v64, v60, 16, 1
	v_cmp_u_f32_e32 vcc_lo, v35, v35
	v_and_b32_e32 v59, 0xffff0000, v61
	v_or_b32_e32 v61, 0x400000, v36
	s_delay_alu instid0(VALU_DEP_4)
	v_add3_u32 v58, v64, v60, 0x7fff
	s_wait_alu 0xfffd
	v_cndmask_b32_e32 v35, v62, v63, vcc_lo
	v_or_b32_e32 v62, 0x400000, v60
	v_cmp_u_f32_e32 vcc_lo, v60, v60
	v_bfe_u32 v60, v36, 16, 1
	s_wait_alu 0xfffd
	s_delay_alu instid0(VALU_DEP_3) | instskip(NEXT) | instid1(VALU_DEP_2)
	v_cndmask_b32_e32 v58, v58, v62, vcc_lo
	v_add3_u32 v60, v60, v36, 0x7fff
	v_cmp_u_f32_e32 vcc_lo, v36, v36
	v_and_b32_e32 v57, 0xffff0000, v57
	v_and_b32_e32 v62, 0xffff0000, v32
	;; [unrolled: 1-line block ×3, first 2 shown]
	v_lshlrev_b32_e32 v32, 16, v32
	s_wait_alu 0xfffd
	v_dual_cndmask_b32 v36, v60, v61 :: v_dual_and_b32 v61, 0xffff0000, v31
	s_delay_alu instid0(VALU_DEP_3) | instskip(SKIP_1) | instid1(VALU_DEP_3)
	v_dual_add_f32 v34, v57, v34 :: v_dual_add_f32 v35, v35, v59
	v_and_b32_e32 v57, 0xffff0000, v29
	v_dual_mul_f32 v61, v22, v61 :: v_dual_and_b32 v36, 0xffff0000, v36
	s_delay_alu instid0(VALU_DEP_3) | instskip(NEXT) | instid1(VALU_DEP_3)
	v_add_f32_e32 v33, v34, v33
	v_mul_f32_e32 v34, v21, v57
	v_mul_f32_e32 v32, v27, v32
	s_delay_alu instid0(VALU_DEP_3) | instskip(SKIP_1) | instid1(VALU_DEP_4)
	v_add_f32_e32 v33, v35, v33
	v_and_b32_e32 v35, 0xffff0000, v30
	v_bfe_u32 v57, v34, 16, 1
	v_or_b32_e32 v59, 0x400000, v34
	v_cmp_u_f32_e32 vcc_lo, v34, v34
	s_delay_alu instid0(VALU_DEP_4) | instskip(NEXT) | instid1(VALU_DEP_4)
	v_dual_mul_f32 v35, v23, v35 :: v_dual_lshlrev_b32 v30, 16, v30
	v_add3_u32 v57, v57, v34, 0x7fff
	v_lshlrev_b32_e32 v29, 16, v29
	s_delay_alu instid0(VALU_DEP_3) | instskip(SKIP_4) | instid1(VALU_DEP_2)
	v_dual_mul_f32 v30, v26, v30 :: v_dual_lshlrev_b32 v31, 16, v31
	v_bfe_u32 v65, v32, 16, 1
	s_wait_alu 0xfffd
	v_cndmask_b32_e32 v34, v57, v59, vcc_lo
	v_mul_f32_e32 v29, v25, v29
	v_dual_mul_f32 v31, v28, v31 :: v_dual_and_b32 v34, 0xffff0000, v34
	s_delay_alu instid0(VALU_DEP_2) | instskip(SKIP_2) | instid1(VALU_DEP_4)
	v_bfe_u32 v60, v29, 16, 1
	v_or_b32_e32 v59, 0x400000, v29
	v_cmp_u_f32_e32 vcc_lo, v29, v29
	v_or_b32_e32 v63, 0x400000, v31
	s_delay_alu instid0(VALU_DEP_4) | instskip(SKIP_2) | instid1(VALU_DEP_2)
	v_add3_u32 v57, v60, v29, 0x7fff
	v_bfe_u32 v60, v35, 16, 1
	s_wait_alu 0xfffd
	v_cndmask_b32_e32 v29, v57, v59, vcc_lo
	s_delay_alu instid0(VALU_DEP_2)
	v_add3_u32 v57, v60, v35, 0x7fff
	v_or_b32_e32 v59, 0x400000, v35
	v_bfe_u32 v60, v30, 16, 1
	v_cmp_u_f32_e32 vcc_lo, v35, v35
	v_and_b32_e32 v29, 0xffff0000, v29
	s_wait_alu 0xfffd
	v_cndmask_b32_e32 v35, v57, v59, vcc_lo
	v_add3_u32 v57, v60, v30, 0x7fff
	v_or_b32_e32 v59, 0x400000, v30
	v_bfe_u32 v60, v61, 16, 1
	v_cmp_u_f32_e32 vcc_lo, v30, v30
	v_and_b32_e32 v35, 0xffff0000, v35
	s_wait_alu 0xfffd
	v_cndmask_b32_e32 v30, v57, v59, vcc_lo
	v_bfe_u32 v57, v31, 16, 1
	v_add3_u32 v59, v60, v61, 0x7fff
	v_mul_f32_e32 v60, v24, v62
	v_or_b32_e32 v62, 0x400000, v61
	v_cmp_u_f32_e32 vcc_lo, v61, v61
	v_add3_u32 v57, v57, v31, 0x7fff
	v_and_b32_e32 v30, 0xffff0000, v30
	v_bfe_u32 v64, v60, 16, 1
	v_add3_u32 v61, v65, v32, 0x7fff
	s_wait_alu 0xfffd
	v_cndmask_b32_e32 v59, v59, v62, vcc_lo
	v_cmp_u_f32_e32 vcc_lo, v31, v31
	v_or_b32_e32 v62, 0x400000, v32
	v_dual_add_f32 v30, v30, v35 :: v_dual_add_f32 v29, v29, v34
	s_delay_alu instid0(VALU_DEP_4)
	v_and_b32_e32 v34, 0xffff0000, v59
	s_wait_alu 0xfffd
	v_cndmask_b32_e32 v31, v57, v63, vcc_lo
	v_cmp_u_f32_e32 vcc_lo, v32, v32
	v_add3_u32 v57, v64, v60, 0x7fff
	v_or_b32_e32 v63, 0x400000, v60
	s_wait_alu 0xfffd
	v_dual_cndmask_b32 v32, v61, v62 :: v_dual_and_b32 v31, 0xffff0000, v31
	v_cmp_u_f32_e32 vcc_lo, v60, v60
	s_wait_alu 0xfffd
	v_cndmask_b32_e32 v35, v57, v63, vcc_lo
	v_and_b32_e32 v57, 0xffff0000, v58
	v_dual_add_f32 v29, v30, v29 :: v_dual_add_f32 v30, v31, v34
	v_and_b32_e32 v31, 0xffff0000, v32
	s_delay_alu instid0(VALU_DEP_4) | instskip(SKIP_3) | instid1(VALU_DEP_4)
	v_and_b32_e32 v32, 0xffff0000, v35
	v_and_b32_e32 v34, 0xffff0000, v17
	v_add_f32_e32 v35, v36, v57
	v_lshlrev_b32_e32 v17, 16, v17
	v_dual_add_f32 v29, v30, v29 :: v_dual_add_f32 v30, v31, v32
	s_delay_alu instid0(VALU_DEP_3) | instskip(NEXT) | instid1(VALU_DEP_3)
	v_dual_mul_f32 v31, v21, v34 :: v_dual_add_f32 v32, v35, v33
	v_mul_f32_e32 v17, v25, v17
	v_and_b32_e32 v33, 0xffff0000, v18
	s_delay_alu instid0(VALU_DEP_4) | instskip(NEXT) | instid1(VALU_DEP_4)
	v_add_f32_e32 v29, v30, v29
	v_bfe_u32 v30, v31, 16, 1
	v_add_f32_e32 v47, v47, v32
	v_bfe_u32 v32, v17, 16, 1
	v_mul_f32_e32 v33, v23, v33
	v_add_f32_e32 v48, v48, v29
	v_add3_u32 v29, v30, v31, 0x7fff
	v_or_b32_e32 v30, 0x400000, v31
	v_lshlrev_b32_e32 v18, 16, v18
	v_cmp_u_f32_e32 vcc_lo, v31, v31
	v_add3_u32 v32, v32, v17, 0x7fff
	v_or_b32_e32 v34, 0x400000, v17
	s_delay_alu instid0(VALU_DEP_4)
	v_dual_mul_f32 v18, v26, v18 :: v_dual_and_b32 v31, 0xffff0000, v19
	s_wait_alu 0xfffd
	v_cndmask_b32_e32 v29, v29, v30, vcc_lo
	v_bfe_u32 v30, v33, 16, 1
	v_cmp_u_f32_e32 vcc_lo, v17, v17
	v_lshlrev_b32_e32 v19, 16, v19
	v_mul_f32_e32 v31, v22, v31
	v_and_b32_e32 v35, 0xffff0000, v20
	v_add3_u32 v30, v30, v33, 0x7fff
	s_wait_alu 0xfffd
	v_cndmask_b32_e32 v17, v32, v34, vcc_lo
	v_or_b32_e32 v32, 0x400000, v33
	v_bfe_u32 v34, v18, 16, 1
	v_cmp_u_f32_e32 vcc_lo, v33, v33
	v_mul_f32_e32 v19, v28, v19
	v_or_b32_e32 v33, 0x400000, v18
	v_lshlrev_b32_e32 v20, 16, v20
	s_wait_alu 0xfffd
	v_cndmask_b32_e32 v30, v30, v32, vcc_lo
	v_add3_u32 v32, v34, v18, 0x7fff
	v_bfe_u32 v34, v31, 16, 1
	v_cmp_u_f32_e32 vcc_lo, v18, v18
	v_bfe_u32 v36, v19, 16, 1
	v_mul_f32_e32 v20, v27, v20
	v_and_b32_e32 v30, 0xffff0000, v30
	s_wait_alu 0xfffd
	v_cndmask_b32_e32 v18, v32, v33, vcc_lo
	v_add3_u32 v32, v34, v31, 0x7fff
	v_mul_f32_e32 v33, v24, v35
	v_or_b32_e32 v34, 0x400000, v31
	v_cmp_u_f32_e32 vcc_lo, v31, v31
	v_add3_u32 v35, v36, v19, 0x7fff
	v_or_b32_e32 v36, 0x400000, v19
	v_bfe_u32 v57, v33, 16, 1
	v_and_b32_e32 v18, 0xffff0000, v18
	s_wait_alu 0xfffd
	v_cndmask_b32_e32 v31, v32, v34, vcc_lo
	v_cmp_u_f32_e32 vcc_lo, v19, v19
	v_or_b32_e32 v34, 0x400000, v33
	v_add3_u32 v32, v57, v33, 0x7fff
	v_add_f32_e32 v18, v18, v30
	s_wait_alu 0xfffd
	v_dual_cndmask_b32 v19, v35, v36 :: v_dual_and_b32 v30, 0xffff0000, v13
	v_bfe_u32 v35, v20, 16, 1
	v_cmp_u_f32_e32 vcc_lo, v33, v33
	v_lshlrev_b32_e32 v13, 16, v13
	s_delay_alu instid0(VALU_DEP_4) | instskip(NEXT) | instid1(VALU_DEP_4)
	v_and_b32_e32 v19, 0xffff0000, v19
	v_add3_u32 v33, v35, v20, 0x7fff
	s_wait_alu 0xfffd
	v_cndmask_b32_e32 v32, v32, v34, vcc_lo
	v_or_b32_e32 v34, 0x400000, v20
	v_cmp_u_f32_e32 vcc_lo, v20, v20
	s_wait_alu 0xfffd
	s_delay_alu instid0(VALU_DEP_2) | instskip(SKIP_2) | instid1(VALU_DEP_3)
	v_dual_cndmask_b32 v20, v33, v34 :: v_dual_and_b32 v33, 0xffff0000, v16
	v_lshlrev_b32_e32 v16, 16, v16
	v_and_b32_e32 v29, 0xffff0000, v29
	v_and_b32_e32 v20, 0xffff0000, v20
	s_delay_alu instid0(VALU_DEP_3) | instskip(NEXT) | instid1(VALU_DEP_1)
	v_dual_mul_f32 v16, v27, v16 :: v_dual_and_b32 v17, 0xffff0000, v17
	v_add_f32_e32 v17, v17, v29
	v_and_b32_e32 v29, 0xffff0000, v31
	s_delay_alu instid0(VALU_DEP_2) | instskip(NEXT) | instid1(VALU_DEP_2)
	v_dual_add_f32 v17, v18, v17 :: v_dual_mul_f32 v18, v21, v30
	v_add_f32_e32 v19, v19, v29
	v_dual_mul_f32 v29, v25, v13 :: v_dual_and_b32 v30, 0xffff0000, v32
	v_and_b32_e32 v32, 0xffff0000, v14
	s_delay_alu instid0(VALU_DEP_4) | instskip(NEXT) | instid1(VALU_DEP_4)
	v_bfe_u32 v31, v18, 16, 1
	v_add_f32_e32 v13, v19, v17
	s_delay_alu instid0(VALU_DEP_4)
	v_bfe_u32 v19, v29, 16, 1
	v_add_f32_e32 v17, v20, v30
	v_or_b32_e32 v30, 0x400000, v18
	v_add3_u32 v20, v31, v18, 0x7fff
	v_dual_mul_f32 v31, v23, v32 :: v_dual_lshlrev_b32 v14, 16, v14
	v_cmp_u_f32_e32 vcc_lo, v18, v18
	v_add3_u32 v19, v19, v29, 0x7fff
	v_or_b32_e32 v32, 0x400000, v29
	s_delay_alu instid0(VALU_DEP_4)
	v_mul_f32_e32 v14, v26, v14
	s_wait_alu 0xfffd
	v_cndmask_b32_e32 v18, v20, v30, vcc_lo
	v_bfe_u32 v20, v31, 16, 1
	v_cmp_u_f32_e32 vcc_lo, v29, v29
	v_or_b32_e32 v30, 0x400000, v31
	s_delay_alu instid0(VALU_DEP_4) | instskip(NEXT) | instid1(VALU_DEP_4)
	v_and_b32_e32 v18, 0xffff0000, v18
	v_add3_u32 v20, v20, v31, 0x7fff
	s_wait_alu 0xfffd
	v_cndmask_b32_e32 v19, v19, v32, vcc_lo
	v_bfe_u32 v32, v14, 16, 1
	v_cmp_u_f32_e32 vcc_lo, v31, v31
	v_or_b32_e32 v31, 0x400000, v14
	s_wait_alu 0xfffd
	v_dual_cndmask_b32 v20, v20, v30 :: v_dual_and_b32 v19, 0xffff0000, v19
	v_add3_u32 v30, v32, v14, 0x7fff
	v_cmp_u_f32_e32 vcc_lo, v14, v14
	s_delay_alu instid0(VALU_DEP_3) | instskip(NEXT) | instid1(VALU_DEP_4)
	v_add_f32_e32 v18, v19, v18
	v_and_b32_e32 v20, 0xffff0000, v20
	s_wait_alu 0xfffd
	v_dual_cndmask_b32 v14, v30, v31 :: v_dual_mul_f32 v31, v24, v33
	s_delay_alu instid0(VALU_DEP_1) | instskip(NEXT) | instid1(VALU_DEP_2)
	v_and_b32_e32 v14, 0xffff0000, v14
	v_bfe_u32 v35, v31, 16, 1
	s_delay_alu instid0(VALU_DEP_2) | instskip(SKIP_1) | instid1(VALU_DEP_2)
	v_add_f32_e32 v14, v14, v20
	v_and_b32_e32 v20, 0xffff0000, v5
	v_dual_add_f32 v14, v14, v18 :: v_dual_lshlrev_b32 v5, 16, v5
	s_delay_alu instid0(VALU_DEP_2) | instskip(SKIP_4) | instid1(VALU_DEP_3)
	v_mul_f32_e32 v18, v21, v20
	v_and_b32_e32 v20, 0xffff0000, v6
	v_lshlrev_b32_e32 v6, 16, v6
	v_and_b32_e32 v29, 0xffff0000, v15
	v_lshlrev_b32_e32 v15, 16, v15
	v_dual_mul_f32 v5, v25, v5 :: v_dual_mul_f32 v6, v26, v6
	s_delay_alu instid0(VALU_DEP_3) | instskip(NEXT) | instid1(VALU_DEP_3)
	v_mul_f32_e32 v29, v22, v29
	v_mul_f32_e32 v15, v28, v15
	s_delay_alu instid0(VALU_DEP_2) | instskip(NEXT) | instid1(VALU_DEP_2)
	v_bfe_u32 v32, v29, 16, 1
	v_bfe_u32 v34, v15, 16, 1
	v_cmp_u_f32_e32 vcc_lo, v29, v29
	s_delay_alu instid0(VALU_DEP_3) | instskip(SKIP_1) | instid1(VALU_DEP_4)
	v_add3_u32 v30, v32, v29, 0x7fff
	v_or_b32_e32 v32, 0x400000, v29
	v_add3_u32 v33, v34, v15, 0x7fff
	v_or_b32_e32 v34, 0x400000, v15
	s_wait_alu 0xfffd
	s_delay_alu instid0(VALU_DEP_3) | instskip(SKIP_3) | instid1(VALU_DEP_4)
	v_cndmask_b32_e32 v29, v30, v32, vcc_lo
	v_cmp_u_f32_e32 vcc_lo, v15, v15
	v_add3_u32 v30, v35, v31, 0x7fff
	v_or_b32_e32 v32, 0x400000, v31
	v_and_b32_e32 v19, 0xffff0000, v29
	s_wait_alu 0xfffd
	v_cndmask_b32_e32 v15, v33, v34, vcc_lo
	v_bfe_u32 v33, v16, 16, 1
	v_cmp_u_f32_e32 vcc_lo, v31, v31
	v_bfe_u32 v29, v18, 16, 1
	s_delay_alu instid0(VALU_DEP_4) | instskip(NEXT) | instid1(VALU_DEP_4)
	v_and_b32_e32 v15, 0xffff0000, v15
	v_add3_u32 v31, v33, v16, 0x7fff
	s_wait_alu 0xfffd
	v_cndmask_b32_e32 v30, v30, v32, vcc_lo
	v_or_b32_e32 v32, 0x400000, v16
	v_cmp_u_f32_e32 vcc_lo, v16, v16
	v_add_f32_e32 v15, v15, v19
	s_delay_alu instid0(VALU_DEP_4)
	v_and_b32_e32 v19, 0xffff0000, v30
	v_or_b32_e32 v30, 0x400000, v5
	s_wait_alu 0xfffd
	v_cndmask_b32_e32 v16, v31, v32, vcc_lo
	v_add_f32_e32 v14, v15, v14
	v_bfe_u32 v15, v5, 16, 1
	v_cmp_u_f32_e32 vcc_lo, v18, v18
	s_delay_alu instid0(VALU_DEP_4) | instskip(NEXT) | instid1(VALU_DEP_3)
	v_and_b32_e32 v16, 0xffff0000, v16
	v_add3_u32 v15, v15, v5, 0x7fff
	s_delay_alu instid0(VALU_DEP_2) | instskip(SKIP_2) | instid1(VALU_DEP_3)
	v_dual_add_f32 v16, v16, v19 :: v_dual_mul_f32 v19, v23, v20
	v_add3_u32 v20, v29, v18, 0x7fff
	v_or_b32_e32 v29, 0x400000, v18
	v_bfe_u32 v31, v19, 16, 1
	s_wait_alu 0xfffd
	s_delay_alu instid0(VALU_DEP_2)
	v_cndmask_b32_e32 v18, v20, v29, vcc_lo
	v_cmp_u_f32_e32 vcc_lo, v5, v5
	v_and_b32_e32 v29, 0xffff0000, v7
	v_or_b32_e32 v20, 0x400000, v19
	v_lshlrev_b32_e32 v7, 16, v7
	v_and_b32_e32 v18, 0xffff0000, v18
	s_wait_alu 0xfffd
	v_cndmask_b32_e32 v5, v15, v30, vcc_lo
	v_add3_u32 v15, v31, v19, 0x7fff
	v_bfe_u32 v30, v6, 16, 1
	v_cmp_u_f32_e32 vcc_lo, v19, v19
	v_mul_f32_e32 v19, v22, v29
	v_mul_f32_e32 v7, v28, v7
	v_or_b32_e32 v29, 0x400000, v6
	v_and_b32_e32 v5, 0xffff0000, v5
	s_wait_alu 0xfffd
	v_cndmask_b32_e32 v15, v15, v20, vcc_lo
	v_add3_u32 v20, v30, v6, 0x7fff
	v_and_b32_e32 v30, 0xffff0000, v8
	v_bfe_u32 v31, v19, 16, 1
	v_cmp_u_f32_e32 vcc_lo, v6, v6
	v_bfe_u32 v32, v7, 16, 1
	v_lshlrev_b32_e32 v8, 16, v8
	v_and_b32_e32 v15, 0xffff0000, v15
	s_wait_alu 0xfffd
	v_dual_add_f32 v5, v5, v18 :: v_dual_cndmask_b32 v6, v20, v29
	v_mul_f32_e32 v20, v24, v30
	v_add3_u32 v29, v31, v19, 0x7fff
	v_or_b32_e32 v30, 0x400000, v19
	v_cmp_u_f32_e32 vcc_lo, v19, v19
	v_add3_u32 v31, v32, v7, 0x7fff
	v_or_b32_e32 v32, 0x400000, v7
	v_bfe_u32 v33, v20, 16, 1
	v_and_b32_e32 v6, 0xffff0000, v6
	s_wait_alu 0xfffd
	v_cndmask_b32_e32 v19, v29, v30, vcc_lo
	v_cmp_u_f32_e32 vcc_lo, v7, v7
	v_or_b32_e32 v30, 0x400000, v20
	v_add3_u32 v29, v33, v20, 0x7fff
	v_mul_f32_e32 v8, v27, v8
	s_wait_alu 0xfffd
	v_dual_add_f32 v6, v6, v15 :: v_dual_cndmask_b32 v7, v31, v32
	v_cmp_u_f32_e32 vcc_lo, v20, v20
	v_and_b32_e32 v15, 0xffff0000, v1
	s_delay_alu instid0(VALU_DEP_3) | instskip(SKIP_4) | instid1(VALU_DEP_3)
	v_dual_add_f32 v5, v6, v5 :: v_dual_and_b32 v18, 0xffff0000, v19
	s_wait_alu 0xfffd
	v_dual_cndmask_b32 v20, v29, v30 :: v_dual_and_b32 v7, 0xffff0000, v7
	v_bfe_u32 v29, v8, 16, 1
	v_dual_mul_f32 v6, v21, v15 :: v_dual_lshlrev_b32 v1, 16, v1
	v_add_f32_e32 v7, v7, v18
	v_cmp_u_f32_e32 vcc_lo, v8, v8
	s_delay_alu instid0(VALU_DEP_4)
	v_add3_u32 v19, v29, v8, 0x7fff
	v_or_b32_e32 v29, 0x400000, v8
	v_bfe_u32 v15, v6, 16, 1
	v_add_f32_e32 v5, v7, v5
	v_and_b32_e32 v7, 0xffff0000, v2
	v_mul_f32_e32 v1, v25, v1
	s_wait_alu 0xfffd
	v_cndmask_b32_e32 v8, v19, v29, vcc_lo
	v_add3_u32 v15, v15, v6, 0x7fff
	v_or_b32_e32 v18, 0x400000, v6
	v_mul_f32_e32 v7, v23, v7
	v_and_b32_e32 v19, 0xffff0000, v20
	v_bfe_u32 v20, v1, 16, 1
	v_cmp_u_f32_e32 vcc_lo, v6, v6
	v_lshlrev_b32_e32 v2, 16, v2
	v_or_b32_e32 v29, 0x400000, v1
	v_or_b32_e32 v30, 0x400000, v7
	v_and_b32_e32 v8, 0xffff0000, v8
	s_wait_alu 0xfffd
	v_cndmask_b32_e32 v6, v15, v18, vcc_lo
	v_bfe_u32 v15, v7, 16, 1
	v_add3_u32 v18, v20, v1, 0x7fff
	v_and_b32_e32 v20, 0xffff0000, v3
	v_mul_f32_e32 v2, v26, v2
	v_cmp_u_f32_e32 vcc_lo, v1, v1
	v_add3_u32 v15, v15, v7, 0x7fff
	s_delay_alu instid0(VALU_DEP_4)
	v_dual_mul_f32 v20, v22, v20 :: v_dual_lshlrev_b32 v3, 16, v3
	s_wait_alu 0xfffd
	v_dual_cndmask_b32 v1, v18, v29 :: v_dual_and_b32 v6, 0xffff0000, v6
	v_bfe_u32 v18, v2, 16, 1
	v_cmp_u_f32_e32 vcc_lo, v7, v7
	v_and_b32_e32 v29, 0xffff0000, v4
	v_mul_f32_e32 v3, v28, v3
	v_or_b32_e32 v31, 0x400000, v20
	v_add3_u32 v18, v18, v2, 0x7fff
	s_wait_alu 0xfffd
	v_cndmask_b32_e32 v7, v15, v30, vcc_lo
	v_bfe_u32 v15, v20, 16, 1
	v_or_b32_e32 v30, 0x400000, v2
	v_cmp_u_f32_e32 vcc_lo, v2, v2
	v_dual_mul_f32 v29, v24, v29 :: v_dual_lshlrev_b32 v4, 16, v4
	s_delay_alu instid0(VALU_DEP_4)
	v_add3_u32 v15, v15, v20, 0x7fff
	s_wait_alu 0xfffd
	v_dual_cndmask_b32 v2, v18, v30 :: v_dual_and_b32 v1, 0xffff0000, v1
	v_bfe_u32 v18, v3, 16, 1
	v_cmp_u_f32_e32 vcc_lo, v20, v20
	v_bfe_u32 v30, v29, 16, 1
	v_or_b32_e32 v20, 0x400000, v3
	v_mul_f32_e32 v4, v27, v4
	v_add3_u32 v18, v18, v3, 0x7fff
	s_wait_alu 0xfffd
	v_cndmask_b32_e32 v15, v15, v31, vcc_lo
	v_cmp_u_f32_e32 vcc_lo, v3, v3
	v_add3_u32 v30, v30, v29, 0x7fff
	v_or_b32_e32 v31, 0x400000, v29
	v_and_b32_e32 v2, 0xffff0000, v2
	v_and_b32_e32 v7, 0xffff0000, v7
	s_wait_alu 0xfffd
	v_cndmask_b32_e32 v3, v18, v20, vcc_lo
	v_cmp_u_f32_e32 vcc_lo, v29, v29
	v_bfe_u32 v20, v4, 16, 1
	v_dual_add_f32 v1, v1, v6 :: v_dual_add_f32 v2, v2, v7
	s_delay_alu instid0(VALU_DEP_4)
	v_and_b32_e32 v3, 0xffff0000, v3
	s_wait_alu 0xfffd
	v_cndmask_b32_e32 v18, v30, v31, vcc_lo
	s_wait_loadcnt 0x0
	v_lshlrev_b32_e32 v30, 16, v9
	v_and_b32_e32 v6, 0xffff0000, v15
	v_and_b32_e32 v9, 0xffff0000, v9
	v_add3_u32 v20, v20, v4, 0x7fff
	v_or_b32_e32 v29, 0x400000, v4
	v_mul_f32_e32 v7, v25, v30
	v_cmp_u_f32_e32 vcc_lo, v4, v4
	v_add_f32_e32 v1, v2, v1
	v_dual_add_f32 v3, v3, v6 :: v_dual_mul_f32 v6, v21, v9
	s_delay_alu instid0(VALU_DEP_4)
	v_bfe_u32 v2, v7, 16, 1
	s_wait_alu 0xfffd
	v_dual_cndmask_b32 v4, v20, v29 :: v_dual_lshlrev_b32 v9, 16, v10
	v_or_b32_e32 v15, 0x400000, v7
	v_bfe_u32 v20, v6, 16, 1
	v_add3_u32 v2, v2, v7, 0x7fff
	s_delay_alu instid0(VALU_DEP_4) | instskip(SKIP_1) | instid1(VALU_DEP_4)
	v_dual_mul_f32 v9, v26, v9 :: v_dual_and_b32 v10, 0xffff0000, v10
	v_cmp_u_f32_e32 vcc_lo, v7, v7
	v_add3_u32 v7, v20, v6, 0x7fff
	v_lshlrev_b32_e32 v21, 16, v11
	s_delay_alu instid0(VALU_DEP_4)
	v_bfe_u32 v20, v9, 16, 1
	v_mul_f32_e32 v10, v23, v10
	s_wait_alu 0xfffd
	v_cndmask_b32_e32 v2, v2, v15, vcc_lo
	v_or_b32_e32 v15, 0x400000, v6
	v_cmp_u_f32_e32 vcc_lo, v6, v6
	v_mul_f32_e32 v21, v28, v21
	v_and_b32_e32 v11, 0xffff0000, v11
	v_and_b32_e32 v2, 0xffff0000, v2
	;; [unrolled: 1-line block ×3, first 2 shown]
	s_wait_alu 0xfffd
	v_cndmask_b32_e32 v6, v7, v15, vcc_lo
	v_add3_u32 v7, v20, v9, 0x7fff
	v_or_b32_e32 v15, 0x400000, v9
	v_bfe_u32 v20, v10, 16, 1
	v_cmp_u_f32_e32 vcc_lo, v9, v9
	v_dual_mul_f32 v11, v22, v11 :: v_dual_lshlrev_b32 v22, 16, v12
	v_and_b32_e32 v12, 0xffff0000, v12
	s_delay_alu instid0(VALU_DEP_4)
	v_add3_u32 v9, v20, v10, 0x7fff
	s_wait_alu 0xfffd
	v_cndmask_b32_e32 v7, v7, v15, vcc_lo
	v_or_b32_e32 v15, 0x400000, v10
	v_bfe_u32 v20, v21, 16, 1
	v_cmp_u_f32_e32 vcc_lo, v10, v10
	v_bfe_u32 v10, v11, 16, 1
	v_mul_f32_e32 v12, v24, v12
	v_or_b32_e32 v23, 0x400000, v11
	s_wait_alu 0xfffd
	v_dual_cndmask_b32 v9, v9, v15 :: v_dual_and_b32 v6, 0xffff0000, v6
	v_add3_u32 v15, v20, v21, 0x7fff
	v_mul_f32_e32 v20, v27, v22
	v_or_b32_e32 v22, 0x400000, v21
	v_cmp_u_f32_e32 vcc_lo, v21, v21
	v_add3_u32 v10, v10, v11, 0x7fff
	v_bfe_u32 v25, v12, 16, 1
	v_bfe_u32 v24, v20, 16, 1
	v_and_b32_e32 v9, 0xffff0000, v9
	s_wait_alu 0xfffd
	v_cndmask_b32_e32 v15, v15, v22, vcc_lo
	v_cmp_u_f32_e32 vcc_lo, v11, v11
	v_add3_u32 v21, v25, v12, 0x7fff
	v_or_b32_e32 v22, 0x400000, v12
	v_add3_u32 v11, v24, v20, 0x7fff
	v_and_b32_e32 v7, 0xffff0000, v7
	s_wait_alu 0xfffd
	v_cndmask_b32_e32 v10, v10, v23, vcc_lo
	v_cmp_u_f32_e32 vcc_lo, v12, v12
	v_or_b32_e32 v23, 0x400000, v20
	v_add_f32_e32 v2, v2, v6
	s_delay_alu instid0(VALU_DEP_4) | instskip(SKIP_3) | instid1(VALU_DEP_3)
	v_dual_add_f32 v6, v7, v9 :: v_dual_and_b32 v7, 0xffff0000, v10
	s_wait_alu 0xfffd
	v_cndmask_b32_e32 v12, v21, v22, vcc_lo
	v_cmp_u_f32_e32 vcc_lo, v20, v20
	v_dual_add_f32 v2, v6, v2 :: v_dual_and_b32 v9, 0xffff0000, v15
	v_add_f32_e32 v8, v8, v19
	s_wait_alu 0xfffd
	v_dual_cndmask_b32 v10, v11, v23 :: v_dual_and_b32 v11, 0xffff0000, v18
	s_delay_alu instid0(VALU_DEP_3) | instskip(SKIP_1) | instid1(VALU_DEP_3)
	v_dual_add_f32 v6, v9, v7 :: v_dual_and_b32 v7, 0xffff0000, v12
	v_add_f32_e32 v1, v3, v1
	v_and_b32_e32 v9, 0xffff0000, v10
	s_delay_alu instid0(VALU_DEP_3) | instskip(SKIP_1) | instid1(VALU_DEP_3)
	v_dual_add_f32 v3, v4, v11 :: v_dual_add_f32 v2, v6, v2
	v_add_f32_e32 v6, v17, v13
	v_dual_add_f32 v5, v8, v5 :: v_dual_add_f32 v4, v9, v7
	v_add_f32_e32 v7, v16, v14
	s_delay_alu instid0(VALU_DEP_4) | instskip(NEXT) | instid1(VALU_DEP_4)
	v_add_f32_e32 v1, v3, v1
	v_add_f32_e32 v49, v49, v6
	s_delay_alu instid0(VALU_DEP_4) | instskip(NEXT) | instid1(VALU_DEP_4)
	v_dual_add_f32 v51, v51, v5 :: v_dual_add_f32 v2, v4, v2
	v_add_f32_e32 v50, v50, v7
	s_delay_alu instid0(VALU_DEP_4) | instskip(NEXT) | instid1(VALU_DEP_3)
	v_add_f32_e32 v52, v52, v1
	v_add_f32_e32 v46, v46, v2
.LBB157_41:                             ;   in Loop: Header=BB157_42 Depth=1
	s_wait_alu 0xfffe
	s_or_b32 exec_lo, exec_lo, s10
	v_add_nc_u32_e32 v43, 4, v43
	v_add_co_u32 v37, s0, v37, 16
	s_wait_alu 0xf1ff
	v_add_co_ci_u32_e64 v38, null, 0, v38, s0
	s_delay_alu instid0(VALU_DEP_3)
	v_cmp_le_i32_e32 vcc_lo, s19, v43
	v_add_nc_u32_e32 v42, 64, v42
	v_add_nc_u32_e32 v56, 0x100, v56
	s_or_b32 s6, vcc_lo, s6
	s_wait_alu 0xfffe
	s_and_not1_b32 exec_lo, exec_lo, s6
	s_cbranch_execz .LBB157_57
.LBB157_42:                             ; =>This Inner Loop Header: Depth=1
	v_sub_nc_u32_e32 v1, 0, v42
	s_delay_alu instid0(VALU_DEP_1) | instskip(NEXT) | instid1(VALU_DEP_1)
	v_max_i32_e32 v1, v42, v1
	v_mul_hi_u32 v2, v1, s18
	s_delay_alu instid0(VALU_DEP_1) | instskip(NEXT) | instid1(VALU_DEP_1)
	v_mul_lo_u32 v3, v2, s12
	v_sub_nc_u32_e32 v1, v1, v3
	v_add_nc_u32_e32 v3, 1, v2
	s_delay_alu instid0(VALU_DEP_2) | instskip(SKIP_2) | instid1(VALU_DEP_2)
	v_subrev_nc_u32_e32 v4, s12, v1
	v_cmp_le_u32_e32 vcc_lo, s12, v1
	s_wait_alu 0xfffd
	v_dual_cndmask_b32 v2, v2, v3 :: v_dual_cndmask_b32 v1, v1, v4
	v_ashrrev_i32_e32 v3, 31, v42
	s_delay_alu instid0(VALU_DEP_2) | instskip(NEXT) | instid1(VALU_DEP_3)
	v_add_nc_u32_e32 v4, 1, v2
	v_cmp_le_u32_e32 vcc_lo, s12, v1
	s_delay_alu instid0(VALU_DEP_3) | instskip(SKIP_1) | instid1(VALU_DEP_3)
	v_xor_b32_e32 v3, s11, v3
	s_wait_alu 0xfffd
	v_cndmask_b32_e32 v1, v2, v4, vcc_lo
	s_delay_alu instid0(VALU_DEP_1) | instskip(NEXT) | instid1(VALU_DEP_1)
	v_xor_b32_e32 v1, v1, v3
	v_sub_nc_u32_e32 v1, v1, v3
	s_delay_alu instid0(VALU_DEP_1) | instskip(SKIP_1) | instid1(VALU_DEP_2)
	v_add_nc_u32_e32 v2, s17, v1
	v_cmp_lt_i32_e64 s0, s3, v1
	v_sub_nc_u32_e32 v3, 0, v2
	s_delay_alu instid0(VALU_DEP_1) | instskip(SKIP_1) | instid1(VALU_DEP_1)
	v_max_i32_e32 v3, v2, v3
	s_wait_alu 0xfffe
	v_mul_hi_u32 v4, v3, s9
	s_delay_alu instid0(VALU_DEP_1) | instskip(NEXT) | instid1(VALU_DEP_1)
	v_mul_lo_u32 v4, v4, s2
	v_sub_nc_u32_e32 v3, v3, v4
	s_delay_alu instid0(VALU_DEP_1) | instskip(SKIP_2) | instid1(VALU_DEP_2)
	v_subrev_nc_u32_e32 v4, s2, v3
	v_cmp_le_u32_e32 vcc_lo, s2, v3
	s_wait_alu 0xfffd
	v_cndmask_b32_e32 v3, v3, v4, vcc_lo
	v_ashrrev_i32_e32 v2, 31, v2
	s_delay_alu instid0(VALU_DEP_2) | instskip(SKIP_2) | instid1(VALU_DEP_2)
	v_subrev_nc_u32_e32 v4, s2, v3
	v_cmp_le_u32_e32 vcc_lo, s2, v3
	s_wait_alu 0xfffd
	v_cndmask_b32_e32 v3, v3, v4, vcc_lo
	s_delay_alu instid0(VALU_DEP_1) | instskip(NEXT) | instid1(VALU_DEP_1)
	v_xor_b32_e32 v3, v3, v2
	v_sub_nc_u32_e32 v2, v3, v2
	s_delay_alu instid0(VALU_DEP_1)
	v_cmp_eq_u32_e32 vcc_lo, 0, v2
	s_or_b32 s0, vcc_lo, s0
	s_wait_alu 0xfffe
	s_and_saveexec_b32 s10, s0
	s_cbranch_execz .LBB157_41
; %bb.43:                               ;   in Loop: Header=BB157_42 Depth=1
	global_load_b32 v1, v[37:38], off
	v_add_nc_u32_e32 v64, v53, v42
	s_delay_alu instid0(VALU_DEP_1)
	v_add_nc_u32_e32 v62, 1, v64
	v_or_b32_e32 v61, 3, v64
	v_or_b32_e32 v63, 2, v64
	;; [unrolled: 1-line block ×6, first 2 shown]
	s_wait_loadcnt 0x0
	v_mad_co_i64_i32 v[1:2], null, v1, s4, 0
	s_delay_alu instid0(VALU_DEP_1) | instskip(NEXT) | instid1(VALU_DEP_1)
	v_lshlrev_b64_e32 v[1:2], 1, v[1:2]
	v_add_co_u32 v9, vcc_lo, v54, v1
	s_wait_alu 0xfffd
	s_delay_alu instid0(VALU_DEP_2)
	v_add_co_ci_u32_e64 v10, null, v55, v2, vcc_lo
	v_cmp_eq_u32_e32 vcc_lo, s5, v43
	global_load_b128 v[1:4], v[9:10], off
	ds_load_2addr_b64 v[25:28], v56 offset1:1
	ds_load_2addr_b64 v[21:24], v56 offset0:2 offset1:3
	s_and_saveexec_b32 s13, vcc_lo
	s_cbranch_execnz .LBB157_50
; %bb.44:                               ;   in Loop: Header=BB157_42 Depth=1
	s_wait_alu 0xfffe
	s_or_b32 exec_lo, exec_lo, s13
	global_load_b128 v[5:8], v[9:10], off offset:512
	s_and_saveexec_b32 s13, vcc_lo
	s_cbranch_execnz .LBB157_51
.LBB157_45:                             ;   in Loop: Header=BB157_42 Depth=1
	s_wait_alu 0xfffe
	s_or_b32 exec_lo, exec_lo, s13
	global_load_b128 v[13:16], v[9:10], off offset:1024
	s_and_saveexec_b32 s13, vcc_lo
	s_cbranch_execnz .LBB157_52
.LBB157_46:                             ;   in Loop: Header=BB157_42 Depth=1
	s_wait_alu 0xfffe
	s_or_b32 exec_lo, exec_lo, s13
	global_load_b128 v[17:20], v[9:10], off offset:1536
	s_and_saveexec_b32 s13, vcc_lo
	s_cbranch_execnz .LBB157_53
.LBB157_47:                             ;   in Loop: Header=BB157_42 Depth=1
	s_wait_alu 0xfffe
	s_or_b32 exec_lo, exec_lo, s13
	global_load_b128 v[29:32], v[9:10], off offset:2048
	s_and_saveexec_b32 s13, vcc_lo
	s_cbranch_execnz .LBB157_54
.LBB157_48:                             ;   in Loop: Header=BB157_42 Depth=1
	s_wait_alu 0xfffe
	s_or_b32 exec_lo, exec_lo, s13
	global_load_b128 v[33:36], v[9:10], off offset:2560
	s_and_saveexec_b32 s13, vcc_lo
	s_cbranch_execnz .LBB157_55
.LBB157_49:                             ;   in Loop: Header=BB157_42 Depth=1
	s_wait_alu 0xfffe
	s_or_b32 exec_lo, exec_lo, s13
	global_load_b128 v[9:12], v[9:10], off offset:3072
	s_and_saveexec_b32 s0, vcc_lo
	s_cbranch_execz .LBB157_40
	s_branch .LBB157_56
.LBB157_50:                             ;   in Loop: Header=BB157_42 Depth=1
	v_cmp_gt_i32_e64 s0, s31, v64
	s_wait_loadcnt 0x0
	v_lshrrev_b32_e32 v5, 16, v1
	v_lshrrev_b32_e32 v6, 16, v2
	;; [unrolled: 1-line block ×4, first 2 shown]
	s_wait_alu 0xf1ff
	v_cndmask_b32_e64 v1, 0, v1, s0
	v_cmp_gt_i32_e64 s0, s7, v62
	s_wait_alu 0xf1ff
	s_delay_alu instid0(VALU_DEP_1) | instskip(SKIP_1) | instid1(VALU_DEP_2)
	v_cndmask_b32_e64 v5, 0, v5, s0
	v_cmp_gt_i32_e64 s0, s31, v63
	v_perm_b32 v1, v5, v1, 0x5040100
	s_wait_alu 0xf1ff
	s_delay_alu instid0(VALU_DEP_2) | instskip(SKIP_2) | instid1(VALU_DEP_1)
	v_cndmask_b32_e64 v2, 0, v2, s0
	v_cmp_gt_i32_e64 s0, s7, v61
	s_wait_alu 0xf1ff
	v_cndmask_b32_e64 v6, 0, v6, s0
	v_cmp_gt_i32_e64 s0, s31, v60
	s_delay_alu instid0(VALU_DEP_2) | instskip(SKIP_1) | instid1(VALU_DEP_2)
	v_perm_b32 v2, v6, v2, 0x5040100
	s_wait_alu 0xf1ff
	v_cndmask_b32_e64 v3, 0, v3, s0
	v_cmp_gt_i32_e64 s0, s7, v58
	s_wait_alu 0xf1ff
	s_delay_alu instid0(VALU_DEP_1) | instskip(SKIP_1) | instid1(VALU_DEP_2)
	v_cndmask_b32_e64 v7, 0, v7, s0
	v_cmp_gt_i32_e64 s0, s31, v59
	v_perm_b32 v3, v7, v3, 0x5040100
	s_wait_alu 0xf1ff
	s_delay_alu instid0(VALU_DEP_2) | instskip(SKIP_2) | instid1(VALU_DEP_1)
	v_cndmask_b32_e64 v4, 0, v4, s0
	v_cmp_gt_i32_e64 s0, s7, v57
	s_wait_alu 0xf1ff
	v_cndmask_b32_e64 v8, 0, v8, s0
	s_delay_alu instid0(VALU_DEP_1)
	v_perm_b32 v4, v8, v4, 0x5040100
	s_wait_alu 0xfffe
	s_or_b32 exec_lo, exec_lo, s13
	global_load_b128 v[5:8], v[9:10], off offset:512
	s_and_saveexec_b32 s13, vcc_lo
	s_cbranch_execz .LBB157_45
.LBB157_51:                             ;   in Loop: Header=BB157_42 Depth=1
	v_cmp_gt_i32_e64 s0, s31, v64
	s_wait_loadcnt 0x0
	v_lshrrev_b32_e32 v11, 16, v5
	v_lshrrev_b32_e32 v12, 16, v6
	v_lshrrev_b32_e32 v13, 16, v7
	v_lshrrev_b32_e32 v14, 16, v8
	s_wait_alu 0xf1ff
	v_cndmask_b32_e64 v5, 0, v5, s0
	v_cmp_gt_i32_e64 s0, s7, v62
	s_wait_alu 0xf1ff
	s_delay_alu instid0(VALU_DEP_1) | instskip(SKIP_1) | instid1(VALU_DEP_2)
	v_cndmask_b32_e64 v11, 0, v11, s0
	v_cmp_gt_i32_e64 s0, s31, v63
	v_perm_b32 v5, v11, v5, 0x5040100
	s_wait_alu 0xf1ff
	s_delay_alu instid0(VALU_DEP_2) | instskip(SKIP_2) | instid1(VALU_DEP_1)
	v_cndmask_b32_e64 v6, 0, v6, s0
	v_cmp_gt_i32_e64 s0, s7, v61
	s_wait_alu 0xf1ff
	v_cndmask_b32_e64 v12, 0, v12, s0
	v_cmp_gt_i32_e64 s0, s31, v60
	s_delay_alu instid0(VALU_DEP_2) | instskip(SKIP_1) | instid1(VALU_DEP_2)
	v_perm_b32 v6, v12, v6, 0x5040100
	s_wait_alu 0xf1ff
	v_cndmask_b32_e64 v7, 0, v7, s0
	v_cmp_gt_i32_e64 s0, s7, v58
	s_wait_alu 0xf1ff
	s_delay_alu instid0(VALU_DEP_1) | instskip(SKIP_1) | instid1(VALU_DEP_2)
	v_cndmask_b32_e64 v13, 0, v13, s0
	v_cmp_gt_i32_e64 s0, s31, v59
	v_perm_b32 v7, v13, v7, 0x5040100
	s_wait_alu 0xf1ff
	s_delay_alu instid0(VALU_DEP_2) | instskip(SKIP_2) | instid1(VALU_DEP_1)
	v_cndmask_b32_e64 v8, 0, v8, s0
	v_cmp_gt_i32_e64 s0, s7, v57
	s_wait_alu 0xf1ff
	v_cndmask_b32_e64 v14, 0, v14, s0
	s_delay_alu instid0(VALU_DEP_1)
	v_perm_b32 v8, v14, v8, 0x5040100
	s_wait_alu 0xfffe
	s_or_b32 exec_lo, exec_lo, s13
	global_load_b128 v[13:16], v[9:10], off offset:1024
	s_and_saveexec_b32 s13, vcc_lo
	s_cbranch_execz .LBB157_46
.LBB157_52:                             ;   in Loop: Header=BB157_42 Depth=1
	v_cmp_gt_i32_e64 s0, s31, v64
	s_wait_loadcnt 0x0
	v_lshrrev_b32_e32 v11, 16, v13
	v_lshrrev_b32_e32 v18, 16, v16
	s_wait_alu 0xf1ff
	v_cndmask_b32_e64 v12, 0, v13, s0
	v_cmp_gt_i32_e64 s0, s7, v62
	v_lshrrev_b32_e32 v13, 16, v14
	s_wait_alu 0xf1ff
	s_delay_alu instid0(VALU_DEP_2) | instskip(SKIP_2) | instid1(VALU_DEP_1)
	v_cndmask_b32_e64 v11, 0, v11, s0
	v_cmp_gt_i32_e64 s0, s31, v63
	s_wait_alu 0xf1ff
	v_cndmask_b32_e64 v14, 0, v14, s0
	v_cmp_gt_i32_e64 s0, s7, v61
	s_wait_alu 0xf1ff
	s_delay_alu instid0(VALU_DEP_1) | instskip(SKIP_2) | instid1(VALU_DEP_3)
	v_cndmask_b32_e64 v17, 0, v13, s0
	v_cmp_gt_i32_e64 s0, s31, v60
	v_lshrrev_b32_e32 v13, 16, v15
	v_perm_b32 v14, v17, v14, 0x5040100
	s_wait_alu 0xf1ff
	s_delay_alu instid0(VALU_DEP_3) | instskip(SKIP_2) | instid1(VALU_DEP_1)
	v_cndmask_b32_e64 v15, 0, v15, s0
	v_cmp_gt_i32_e64 s0, s7, v58
	s_wait_alu 0xf1ff
	v_cndmask_b32_e64 v19, 0, v13, s0
	v_cmp_gt_i32_e64 s0, s31, v59
	v_perm_b32 v13, v11, v12, 0x5040100
	s_delay_alu instid0(VALU_DEP_3) | instskip(SKIP_1) | instid1(VALU_DEP_3)
	v_perm_b32 v15, v19, v15, 0x5040100
	s_wait_alu 0xf1ff
	v_cndmask_b32_e64 v16, 0, v16, s0
	v_cmp_gt_i32_e64 s0, s7, v57
	s_wait_alu 0xf1ff
	s_delay_alu instid0(VALU_DEP_1) | instskip(NEXT) | instid1(VALU_DEP_1)
	v_cndmask_b32_e64 v18, 0, v18, s0
	v_perm_b32 v16, v18, v16, 0x5040100
	s_wait_alu 0xfffe
	s_or_b32 exec_lo, exec_lo, s13
	global_load_b128 v[17:20], v[9:10], off offset:1536
	s_and_saveexec_b32 s13, vcc_lo
	s_cbranch_execz .LBB157_47
.LBB157_53:                             ;   in Loop: Header=BB157_42 Depth=1
	v_cmp_gt_i32_e64 s0, s31, v64
	s_wait_loadcnt 0x0
	v_lshrrev_b32_e32 v11, 16, v17
	v_lshrrev_b32_e32 v30, 16, v20
	s_wait_alu 0xf1ff
	v_cndmask_b32_e64 v12, 0, v17, s0
	v_cmp_gt_i32_e64 s0, s7, v62
	v_lshrrev_b32_e32 v17, 16, v18
	s_wait_alu 0xf1ff
	s_delay_alu instid0(VALU_DEP_2) | instskip(SKIP_2) | instid1(VALU_DEP_1)
	v_cndmask_b32_e64 v11, 0, v11, s0
	v_cmp_gt_i32_e64 s0, s31, v63
	s_wait_alu 0xf1ff
	v_cndmask_b32_e64 v18, 0, v18, s0
	v_cmp_gt_i32_e64 s0, s7, v61
	s_wait_alu 0xf1ff
	s_delay_alu instid0(VALU_DEP_1) | instskip(SKIP_2) | instid1(VALU_DEP_3)
	v_cndmask_b32_e64 v29, 0, v17, s0
	v_cmp_gt_i32_e64 s0, s31, v60
	v_lshrrev_b32_e32 v17, 16, v19
	v_perm_b32 v18, v29, v18, 0x5040100
	s_wait_alu 0xf1ff
	s_delay_alu instid0(VALU_DEP_3) | instskip(SKIP_2) | instid1(VALU_DEP_1)
	v_cndmask_b32_e64 v19, 0, v19, s0
	v_cmp_gt_i32_e64 s0, s7, v58
	s_wait_alu 0xf1ff
	v_cndmask_b32_e64 v31, 0, v17, s0
	v_cmp_gt_i32_e64 s0, s31, v59
	v_perm_b32 v17, v11, v12, 0x5040100
	s_delay_alu instid0(VALU_DEP_3) | instskip(SKIP_1) | instid1(VALU_DEP_3)
	v_perm_b32 v19, v31, v19, 0x5040100
	s_wait_alu 0xf1ff
	v_cndmask_b32_e64 v20, 0, v20, s0
	v_cmp_gt_i32_e64 s0, s7, v57
	s_wait_alu 0xf1ff
	s_delay_alu instid0(VALU_DEP_1) | instskip(NEXT) | instid1(VALU_DEP_1)
	v_cndmask_b32_e64 v30, 0, v30, s0
	v_perm_b32 v20, v30, v20, 0x5040100
	s_wait_alu 0xfffe
	s_or_b32 exec_lo, exec_lo, s13
	global_load_b128 v[29:32], v[9:10], off offset:2048
	s_and_saveexec_b32 s13, vcc_lo
	s_cbranch_execz .LBB157_48
.LBB157_54:                             ;   in Loop: Header=BB157_42 Depth=1
	v_cmp_gt_i32_e64 s0, s31, v64
	s_wait_loadcnt 0x0
	v_lshrrev_b32_e32 v11, 16, v29
	v_lshrrev_b32_e32 v34, 16, v32
	s_wait_alu 0xf1ff
	v_cndmask_b32_e64 v12, 0, v29, s0
	v_cmp_gt_i32_e64 s0, s7, v62
	v_lshrrev_b32_e32 v29, 16, v30
	s_wait_alu 0xf1ff
	s_delay_alu instid0(VALU_DEP_2) | instskip(SKIP_2) | instid1(VALU_DEP_1)
	v_cndmask_b32_e64 v11, 0, v11, s0
	v_cmp_gt_i32_e64 s0, s31, v63
	s_wait_alu 0xf1ff
	v_cndmask_b32_e64 v30, 0, v30, s0
	v_cmp_gt_i32_e64 s0, s7, v61
	s_wait_alu 0xf1ff
	s_delay_alu instid0(VALU_DEP_1) | instskip(SKIP_2) | instid1(VALU_DEP_3)
	v_cndmask_b32_e64 v33, 0, v29, s0
	v_cmp_gt_i32_e64 s0, s31, v60
	v_lshrrev_b32_e32 v29, 16, v31
	v_perm_b32 v30, v33, v30, 0x5040100
	s_wait_alu 0xf1ff
	s_delay_alu instid0(VALU_DEP_3) | instskip(SKIP_2) | instid1(VALU_DEP_1)
	v_cndmask_b32_e64 v31, 0, v31, s0
	v_cmp_gt_i32_e64 s0, s7, v58
	s_wait_alu 0xf1ff
	v_cndmask_b32_e64 v35, 0, v29, s0
	v_cmp_gt_i32_e64 s0, s31, v59
	v_perm_b32 v29, v11, v12, 0x5040100
	s_delay_alu instid0(VALU_DEP_3) | instskip(SKIP_1) | instid1(VALU_DEP_3)
	v_perm_b32 v31, v35, v31, 0x5040100
	s_wait_alu 0xf1ff
	v_cndmask_b32_e64 v32, 0, v32, s0
	v_cmp_gt_i32_e64 s0, s7, v57
	s_wait_alu 0xf1ff
	s_delay_alu instid0(VALU_DEP_1) | instskip(NEXT) | instid1(VALU_DEP_1)
	v_cndmask_b32_e64 v34, 0, v34, s0
	v_perm_b32 v32, v34, v32, 0x5040100
	s_wait_alu 0xfffe
	s_or_b32 exec_lo, exec_lo, s13
	global_load_b128 v[33:36], v[9:10], off offset:2560
	s_and_saveexec_b32 s13, vcc_lo
	s_cbranch_execz .LBB157_49
.LBB157_55:                             ;   in Loop: Header=BB157_42 Depth=1
	v_cmp_gt_i32_e64 s0, s31, v64
	s_wait_loadcnt 0x0
	v_lshrrev_b32_e32 v11, 16, v33
	v_lshrrev_b32_e32 v66, 16, v36
	s_wait_alu 0xf1ff
	v_cndmask_b32_e64 v12, 0, v33, s0
	v_cmp_gt_i32_e64 s0, s7, v62
	v_lshrrev_b32_e32 v33, 16, v34
	s_wait_alu 0xf1ff
	s_delay_alu instid0(VALU_DEP_2) | instskip(SKIP_2) | instid1(VALU_DEP_1)
	v_cndmask_b32_e64 v11, 0, v11, s0
	v_cmp_gt_i32_e64 s0, s31, v63
	s_wait_alu 0xf1ff
	v_cndmask_b32_e64 v34, 0, v34, s0
	v_cmp_gt_i32_e64 s0, s7, v61
	s_wait_alu 0xf1ff
	s_delay_alu instid0(VALU_DEP_1) | instskip(SKIP_2) | instid1(VALU_DEP_3)
	v_cndmask_b32_e64 v65, 0, v33, s0
	v_cmp_gt_i32_e64 s0, s31, v60
	v_lshrrev_b32_e32 v33, 16, v35
	v_perm_b32 v34, v65, v34, 0x5040100
	s_wait_alu 0xf1ff
	s_delay_alu instid0(VALU_DEP_3) | instskip(SKIP_2) | instid1(VALU_DEP_1)
	v_cndmask_b32_e64 v35, 0, v35, s0
	v_cmp_gt_i32_e64 s0, s7, v58
	s_wait_alu 0xf1ff
	v_cndmask_b32_e64 v67, 0, v33, s0
	v_cmp_gt_i32_e64 s0, s31, v59
	v_perm_b32 v33, v11, v12, 0x5040100
	s_delay_alu instid0(VALU_DEP_3) | instskip(SKIP_1) | instid1(VALU_DEP_3)
	v_perm_b32 v35, v67, v35, 0x5040100
	s_wait_alu 0xf1ff
	v_cndmask_b32_e64 v36, 0, v36, s0
	v_cmp_gt_i32_e64 s0, s7, v57
	s_wait_alu 0xf1ff
	s_delay_alu instid0(VALU_DEP_1) | instskip(NEXT) | instid1(VALU_DEP_1)
	v_cndmask_b32_e64 v66, 0, v66, s0
	v_perm_b32 v36, v66, v36, 0x5040100
	s_wait_alu 0xfffe
	s_or_b32 exec_lo, exec_lo, s13
	global_load_b128 v[9:12], v[9:10], off offset:3072
	s_and_saveexec_b32 s0, vcc_lo
	s_cbranch_execz .LBB157_40
.LBB157_56:                             ;   in Loop: Header=BB157_42 Depth=1
	v_cmp_gt_i32_e32 vcc_lo, s31, v64
	s_wait_loadcnt 0x0
	v_lshrrev_b32_e32 v65, 16, v9
	v_lshrrev_b32_e32 v64, 16, v10
	s_wait_alu 0xfffd
	v_cndmask_b32_e32 v9, 0, v9, vcc_lo
	v_cmp_gt_i32_e32 vcc_lo, s7, v62
	s_wait_alu 0xfffd
	v_cndmask_b32_e32 v62, 0, v65, vcc_lo
	v_cmp_gt_i32_e32 vcc_lo, s31, v63
	v_lshrrev_b32_e32 v63, 16, v11
	s_wait_alu 0xfffd
	v_cndmask_b32_e32 v10, 0, v10, vcc_lo
	v_cmp_gt_i32_e32 vcc_lo, s7, v61
	s_wait_alu 0xfffd
	v_cndmask_b32_e32 v61, 0, v64, vcc_lo
	v_cmp_gt_i32_e32 vcc_lo, s31, v60
	v_lshrrev_b32_e32 v60, 16, v12
	v_perm_b32 v9, v62, v9, 0x5040100
	s_delay_alu instid0(VALU_DEP_4)
	v_perm_b32 v10, v61, v10, 0x5040100
	s_wait_alu 0xfffd
	v_cndmask_b32_e32 v11, 0, v11, vcc_lo
	v_cmp_gt_i32_e32 vcc_lo, s7, v58
	s_wait_alu 0xfffd
	v_cndmask_b32_e32 v58, 0, v63, vcc_lo
	v_cmp_gt_i32_e32 vcc_lo, s31, v59
	s_wait_alu 0xfffd
	v_cndmask_b32_e32 v12, 0, v12, vcc_lo
	v_cmp_gt_i32_e32 vcc_lo, s7, v57
	s_wait_alu 0xfffd
	v_cndmask_b32_e32 v57, 0, v60, vcc_lo
	v_perm_b32 v11, v58, v11, 0x5040100
	s_delay_alu instid0(VALU_DEP_2)
	v_perm_b32 v12, v57, v12, 0x5040100
	s_branch .LBB157_40
.LBB157_57:
	s_or_b32 exec_lo, exec_lo, s6
.LBB157_58:
	s_wait_alu 0xfffe
	s_or_b32 exec_lo, exec_lo, s1
	ds_bpermute_b32 v1, v45, v52
	ds_bpermute_b32 v2, v45, v51
	;; [unrolled: 1-line block ×7, first 2 shown]
	v_lshrrev_b32_e32 v8, 1, v44
	v_mul_u32_u24_e32 v10, 0x1c0, v41
	v_and_b32_e32 v14, 0x3c1, v0
	s_mov_b32 s0, exec_lo
	s_wait_storecnt 0x0
	s_wait_loadcnt_dscnt 0x0
	v_lshl_add_u32 v9, v8, 2, 0x100
	s_barrier_signal -1
	s_barrier_wait -1
	global_inv scope:SCOPE_SE
	v_dual_add_f32 v7, v52, v1 :: v_dual_add_f32 v6, v51, v2
	v_dual_add_f32 v5, v50, v3 :: v_dual_add_f32 v4, v49, v4
	;; [unrolled: 1-line block ×3, first 2 shown]
	v_add_f32_e32 v1, v46, v13
	v_cmpx_eq_u32_e32 64, v14
	s_cbranch_execz .LBB157_60
; %bb.59:
	v_add_nc_u32_e32 v11, v9, v10
	s_delay_alu instid0(VALU_DEP_1)
	v_add_nc_u32_e32 v12, 0xfffffc80, v11
	v_add_nc_u32_e32 v13, 0xfffffcc0, v11
	;; [unrolled: 1-line block ×7, first 2 shown]
	ds_store_b32 v12, v7
	ds_store_b32 v13, v6
	;; [unrolled: 1-line block ×7, first 2 shown]
.LBB157_60:
	s_wait_alu 0xfffe
	s_or_b32 exec_lo, exec_lo, s0
	v_lshlrev_b32_e32 v8, 2, v8
	s_mov_b32 s1, exec_lo
	v_cmp_eq_u32_e32 vcc_lo, 0, v40
	s_wait_loadcnt_dscnt 0x0
	s_barrier_signal -1
	v_add3_u32 v8, 0x100, v10, v8
	s_barrier_wait -1
	global_inv scope:SCOPE_SE
	v_cmpx_gt_u32_e32 64, v0
	s_cbranch_execz .LBB157_70
; %bb.61:
	s_and_saveexec_b32 s0, vcc_lo
	s_cbranch_execnz .LBB157_85
; %bb.62:
	s_wait_alu 0xfffe
	s_or_b32 exec_lo, exec_lo, s0
	s_and_saveexec_b32 s0, vcc_lo
	s_cbranch_execnz .LBB157_86
.LBB157_63:
	s_wait_alu 0xfffe
	s_or_b32 exec_lo, exec_lo, s0
	s_and_saveexec_b32 s0, vcc_lo
	s_cbranch_execnz .LBB157_87
.LBB157_64:
	s_wait_alu 0xfffe
	s_or_b32 exec_lo, exec_lo, s0
	s_and_saveexec_b32 s0, vcc_lo
	s_cbranch_execnz .LBB157_88
.LBB157_65:
	s_wait_alu 0xfffe
	s_or_b32 exec_lo, exec_lo, s0
	s_and_saveexec_b32 s0, vcc_lo
	s_cbranch_execnz .LBB157_89
.LBB157_66:
	s_wait_alu 0xfffe
	s_or_b32 exec_lo, exec_lo, s0
	s_and_saveexec_b32 s0, vcc_lo
	s_cbranch_execnz .LBB157_90
.LBB157_67:
	s_wait_alu 0xfffe
	s_or_b32 exec_lo, exec_lo, s0
	s_and_saveexec_b32 s0, vcc_lo
	s_cbranch_execz .LBB157_69
.LBB157_68:
	ds_load_b32 v10, v8 offset:384
	s_wait_dscnt 0x0
	v_add_f32_e32 v1, v1, v10
.LBB157_69:
	s_wait_alu 0xfffe
	s_or_b32 exec_lo, exec_lo, s0
.LBB157_70:
	s_wait_alu 0xfffe
	s_or_b32 exec_lo, exec_lo, s1
	v_and_b32_e32 v10, 0x3e1, v0
	s_mov_b32 s1, exec_lo
	s_wait_loadcnt 0x0
	s_barrier_signal -1
	s_barrier_wait -1
	global_inv scope:SCOPE_SE
	v_cmpx_eq_u32_e32 32, v10
	s_cbranch_execz .LBB157_72
; %bb.71:
	ds_store_2addr_b32 v9, v7, v6 offset1:16
	ds_store_2addr_b32 v9, v5, v4 offset0:32 offset1:48
	ds_store_2addr_b32 v9, v3, v2 offset0:64 offset1:80
	ds_store_b32 v9, v1 offset:384
.LBB157_72:
	s_wait_alu 0xfffe
	s_or_b32 exec_lo, exec_lo, s1
	s_delay_alu instid0(SALU_CYCLE_1)
	s_mov_b32 s1, exec_lo
	s_wait_loadcnt_dscnt 0x0
	s_barrier_signal -1
	s_barrier_wait -1
	global_inv scope:SCOPE_SE
	v_cmpx_gt_u32_e32 32, v0
	s_cbranch_execz .LBB157_82
; %bb.73:
	s_and_saveexec_b32 s0, vcc_lo
	s_cbranch_execnz .LBB157_91
; %bb.74:
	s_wait_alu 0xfffe
	s_or_b32 exec_lo, exec_lo, s0
	s_and_saveexec_b32 s0, vcc_lo
	s_cbranch_execnz .LBB157_92
.LBB157_75:
	s_wait_alu 0xfffe
	s_or_b32 exec_lo, exec_lo, s0
	s_and_saveexec_b32 s0, vcc_lo
	s_cbranch_execnz .LBB157_93
.LBB157_76:
	s_wait_alu 0xfffe
	s_or_b32 exec_lo, exec_lo, s0
	s_and_saveexec_b32 s0, vcc_lo
	s_cbranch_execnz .LBB157_94
.LBB157_77:
	s_wait_alu 0xfffe
	s_or_b32 exec_lo, exec_lo, s0
	s_and_saveexec_b32 s0, vcc_lo
	s_cbranch_execnz .LBB157_95
.LBB157_78:
	s_wait_alu 0xfffe
	s_or_b32 exec_lo, exec_lo, s0
	s_and_saveexec_b32 s0, vcc_lo
	s_cbranch_execnz .LBB157_96
.LBB157_79:
	s_wait_alu 0xfffe
	s_or_b32 exec_lo, exec_lo, s0
	s_and_saveexec_b32 s0, vcc_lo
	s_cbranch_execz .LBB157_81
.LBB157_80:
	ds_load_b32 v0, v8 offset:384
	s_wait_dscnt 0x0
	v_add_f32_e32 v1, v1, v0
.LBB157_81:
	s_wait_alu 0xfffe
	s_or_b32 exec_lo, exec_lo, s0
.LBB157_82:
	s_wait_alu 0xfffe
	s_or_b32 exec_lo, exec_lo, s1
	s_mov_b32 s1, 0
	s_wait_loadcnt 0x0
	s_barrier_signal -1
	s_barrier_wait -1
	global_inv scope:SCOPE_SE
	s_mov_b32 s0, exec_lo
	v_cmpx_eq_u32_e32 0, v10
	s_cbranch_execz .LBB157_84
; %bb.83:
	v_bfe_u32 v0, v7, 16, 1
	v_or_b32_e32 v8, 0x400000, v7
	v_bfe_u32 v9, v6, 16, 1
	v_cmp_u_f32_e32 vcc_lo, v7, v7
	v_bfe_u32 v11, v5, 16, 1
	v_add3_u32 v0, v0, v7, 0x7fff
	v_or_b32_e32 v13, 0x400000, v1
	v_add3_u32 v7, v9, v6, 0x7fff
	v_bfe_u32 v9, v4, 16, 1
	v_add3_u32 v11, v11, v5, 0x7fff
	s_wait_alu 0xfffd
	v_cndmask_b32_e32 v0, v0, v8, vcc_lo
	v_or_b32_e32 v8, 0x400000, v6
	v_cmp_u_f32_e32 vcc_lo, v6, v6
	v_or_b32_e32 v12, 0x400000, v5
	s_mul_i32 s2, s20, 0x70
	s_wait_kmcnt 0x0
	s_mul_i32 s4, s8, s16
	s_wait_alu 0xfffe
	s_ashr_i32 s3, s2, 31
	s_wait_alu 0xfffd
	v_cndmask_b32_e32 v6, v7, v8, vcc_lo
	v_cmp_u_f32_e32 vcc_lo, v5, v5
	v_lshlrev_b32_e32 v10, 1, v39
	v_add3_u32 v7, v9, v4, 0x7fff
	v_or_b32_e32 v8, 0x400000, v4
	v_bfe_u32 v9, v3, 16, 1
	s_wait_alu 0xfffd
	v_cndmask_b32_e32 v5, v11, v12, vcc_lo
	v_cmp_u_f32_e32 vcc_lo, v4, v4
	v_bfe_u32 v11, v2, 16, 1
	v_or_b32_e32 v12, 0x400000, v2
	s_ashr_i32 s5, s4, 31
	s_wait_alu 0xfffe
	s_lshl_b64 s[2:3], s[2:3], 1
	s_wait_alu 0xfffd
	v_cndmask_b32_e32 v4, v7, v8, vcc_lo
	v_add3_u32 v8, v9, v3, 0x7fff
	v_or_b32_e32 v9, 0x400000, v3
	v_cmp_u_f32_e32 vcc_lo, v3, v3
	v_bfe_u32 v7, v1, 16, 1
	v_add3_u32 v11, v11, v2, 0x7fff
	s_lshl_b64 s[4:5], s[4:5], 1
	s_wait_alu 0xfffe
	s_add_nc_u64 s[2:3], s[14:15], s[2:3]
	s_wait_alu 0xfffd
	v_cndmask_b32_e32 v3, v8, v9, vcc_lo
	v_cmp_u_f32_e32 vcc_lo, v2, v2
	v_add3_u32 v7, v7, v1, 0x7fff
	s_mul_i32 s0, s30, 0xe0
	s_wait_alu 0xfffe
	s_add_nc_u64 s[2:3], s[2:3], s[4:5]
	s_wait_alu 0xfffd
	v_cndmask_b32_e32 v2, v11, v12, vcc_lo
	v_cmp_u_f32_e32 vcc_lo, v1, v1
	s_wait_alu 0xfffe
	s_add_nc_u64 s[0:1], s[2:3], s[0:1]
	s_wait_alu 0xfffd
	v_cndmask_b32_e32 v1, v7, v13, vcc_lo
	s_clause 0x6
	global_store_d16_hi_b16 v10, v0, s[0:1]
	global_store_d16_hi_b16 v10, v6, s[0:1] offset:32
	global_store_d16_hi_b16 v10, v5, s[0:1] offset:64
	;; [unrolled: 1-line block ×6, first 2 shown]
.LBB157_84:
	s_nop 0
	s_sendmsg sendmsg(MSG_DEALLOC_VGPRS)
	s_endpgm
.LBB157_85:
	ds_load_b32 v10, v8
	s_wait_dscnt 0x0
	v_add_f32_e32 v7, v7, v10
	s_wait_alu 0xfffe
	s_or_b32 exec_lo, exec_lo, s0
	s_and_saveexec_b32 s0, vcc_lo
	s_cbranch_execz .LBB157_63
.LBB157_86:
	ds_load_b32 v10, v8 offset:64
	s_wait_dscnt 0x0
	v_add_f32_e32 v6, v6, v10
	s_wait_alu 0xfffe
	s_or_b32 exec_lo, exec_lo, s0
	s_and_saveexec_b32 s0, vcc_lo
	s_cbranch_execz .LBB157_64
.LBB157_87:
	ds_load_b32 v10, v8 offset:128
	s_wait_dscnt 0x0
	v_add_f32_e32 v5, v5, v10
	s_wait_alu 0xfffe
	s_or_b32 exec_lo, exec_lo, s0
	s_and_saveexec_b32 s0, vcc_lo
	s_cbranch_execz .LBB157_65
.LBB157_88:
	ds_load_b32 v10, v8 offset:192
	s_wait_dscnt 0x0
	v_add_f32_e32 v4, v4, v10
	s_wait_alu 0xfffe
	s_or_b32 exec_lo, exec_lo, s0
	s_and_saveexec_b32 s0, vcc_lo
	s_cbranch_execz .LBB157_66
.LBB157_89:
	ds_load_b32 v10, v8 offset:256
	s_wait_dscnt 0x0
	v_add_f32_e32 v3, v3, v10
	s_wait_alu 0xfffe
	s_or_b32 exec_lo, exec_lo, s0
	s_and_saveexec_b32 s0, vcc_lo
	s_cbranch_execz .LBB157_67
.LBB157_90:
	ds_load_b32 v10, v8 offset:320
	s_wait_dscnt 0x0
	v_add_f32_e32 v2, v2, v10
	s_wait_alu 0xfffe
	s_or_b32 exec_lo, exec_lo, s0
	s_and_saveexec_b32 s0, vcc_lo
	s_cbranch_execnz .LBB157_68
	s_branch .LBB157_69
.LBB157_91:
	ds_load_b32 v0, v8
	s_wait_dscnt 0x0
	v_add_f32_e32 v7, v7, v0
	s_wait_alu 0xfffe
	s_or_b32 exec_lo, exec_lo, s0
	s_and_saveexec_b32 s0, vcc_lo
	s_cbranch_execz .LBB157_75
.LBB157_92:
	ds_load_b32 v0, v8 offset:64
	s_wait_dscnt 0x0
	v_add_f32_e32 v6, v6, v0
	s_wait_alu 0xfffe
	s_or_b32 exec_lo, exec_lo, s0
	s_and_saveexec_b32 s0, vcc_lo
	s_cbranch_execz .LBB157_76
.LBB157_93:
	ds_load_b32 v0, v8 offset:128
	s_wait_dscnt 0x0
	v_add_f32_e32 v5, v5, v0
	s_wait_alu 0xfffe
	s_or_b32 exec_lo, exec_lo, s0
	s_and_saveexec_b32 s0, vcc_lo
	s_cbranch_execz .LBB157_77
.LBB157_94:
	ds_load_b32 v0, v8 offset:192
	s_wait_dscnt 0x0
	v_add_f32_e32 v4, v4, v0
	s_wait_alu 0xfffe
	s_or_b32 exec_lo, exec_lo, s0
	s_and_saveexec_b32 s0, vcc_lo
	s_cbranch_execz .LBB157_78
.LBB157_95:
	ds_load_b32 v0, v8 offset:256
	s_wait_dscnt 0x0
	v_add_f32_e32 v3, v3, v0
	s_wait_alu 0xfffe
	s_or_b32 exec_lo, exec_lo, s0
	s_and_saveexec_b32 s0, vcc_lo
	s_cbranch_execz .LBB157_79
.LBB157_96:
	ds_load_b32 v0, v8 offset:320
	s_wait_dscnt 0x0
	v_add_f32_e32 v2, v2, v0
	s_wait_alu 0xfffe
	s_or_b32 exec_lo, exec_lo, s0
	s_and_saveexec_b32 s0, vcc_lo
	s_cbranch_execnz .LBB157_80
	s_branch .LBB157_81
	.section	.rodata,"a",@progbits
	.p2align	6, 0x0
	.amdhsa_kernel _ZN4vllm25paged_attention_v2_kernelI14__hip_bfloat16S1_Li112ELi16ELi128ELNS_18Fp8KVCacheDataTypeE0ELb1ELi512EEEvPfS3_PT_PKS4_PKT0_SA_ifPKiSC_iPKfiiiSE_SE_iiiii
		.amdhsa_group_segment_fixed_size 256
		.amdhsa_private_segment_fixed_size 0
		.amdhsa_kernarg_size 400
		.amdhsa_user_sgpr_count 2
		.amdhsa_user_sgpr_dispatch_ptr 0
		.amdhsa_user_sgpr_queue_ptr 0
		.amdhsa_user_sgpr_kernarg_segment_ptr 1
		.amdhsa_user_sgpr_dispatch_id 0
		.amdhsa_user_sgpr_private_segment_size 0
		.amdhsa_wavefront_size32 1
		.amdhsa_uses_dynamic_stack 0
		.amdhsa_enable_private_segment 0
		.amdhsa_system_sgpr_workgroup_id_x 1
		.amdhsa_system_sgpr_workgroup_id_y 1
		.amdhsa_system_sgpr_workgroup_id_z 1
		.amdhsa_system_sgpr_workgroup_info 0
		.amdhsa_system_vgpr_workitem_id 0
		.amdhsa_next_free_vgpr 127
		.amdhsa_next_free_sgpr 42
		.amdhsa_reserve_vcc 1
		.amdhsa_float_round_mode_32 0
		.amdhsa_float_round_mode_16_64 0
		.amdhsa_float_denorm_mode_32 3
		.amdhsa_float_denorm_mode_16_64 3
		.amdhsa_fp16_overflow 0
		.amdhsa_workgroup_processor_mode 1
		.amdhsa_memory_ordered 1
		.amdhsa_forward_progress 1
		.amdhsa_inst_pref_size 100
		.amdhsa_round_robin_scheduling 0
		.amdhsa_exception_fp_ieee_invalid_op 0
		.amdhsa_exception_fp_denorm_src 0
		.amdhsa_exception_fp_ieee_div_zero 0
		.amdhsa_exception_fp_ieee_overflow 0
		.amdhsa_exception_fp_ieee_underflow 0
		.amdhsa_exception_fp_ieee_inexact 0
		.amdhsa_exception_int_div_zero 0
	.end_amdhsa_kernel
	.section	.text._ZN4vllm25paged_attention_v2_kernelI14__hip_bfloat16S1_Li112ELi16ELi128ELNS_18Fp8KVCacheDataTypeE0ELb1ELi512EEEvPfS3_PT_PKS4_PKT0_SA_ifPKiSC_iPKfiiiSE_SE_iiiii,"axG",@progbits,_ZN4vllm25paged_attention_v2_kernelI14__hip_bfloat16S1_Li112ELi16ELi128ELNS_18Fp8KVCacheDataTypeE0ELb1ELi512EEEvPfS3_PT_PKS4_PKT0_SA_ifPKiSC_iPKfiiiSE_SE_iiiii,comdat
.Lfunc_end157:
	.size	_ZN4vllm25paged_attention_v2_kernelI14__hip_bfloat16S1_Li112ELi16ELi128ELNS_18Fp8KVCacheDataTypeE0ELb1ELi512EEEvPfS3_PT_PKS4_PKT0_SA_ifPKiSC_iPKfiiiSE_SE_iiiii, .Lfunc_end157-_ZN4vllm25paged_attention_v2_kernelI14__hip_bfloat16S1_Li112ELi16ELi128ELNS_18Fp8KVCacheDataTypeE0ELb1ELi512EEEvPfS3_PT_PKS4_PKT0_SA_ifPKiSC_iPKfiiiSE_SE_iiiii
                                        ; -- End function
	.set _ZN4vllm25paged_attention_v2_kernelI14__hip_bfloat16S1_Li112ELi16ELi128ELNS_18Fp8KVCacheDataTypeE0ELb1ELi512EEEvPfS3_PT_PKS4_PKT0_SA_ifPKiSC_iPKfiiiSE_SE_iiiii.num_vgpr, 127
	.set _ZN4vllm25paged_attention_v2_kernelI14__hip_bfloat16S1_Li112ELi16ELi128ELNS_18Fp8KVCacheDataTypeE0ELb1ELi512EEEvPfS3_PT_PKS4_PKT0_SA_ifPKiSC_iPKfiiiSE_SE_iiiii.num_agpr, 0
	.set _ZN4vllm25paged_attention_v2_kernelI14__hip_bfloat16S1_Li112ELi16ELi128ELNS_18Fp8KVCacheDataTypeE0ELb1ELi512EEEvPfS3_PT_PKS4_PKT0_SA_ifPKiSC_iPKfiiiSE_SE_iiiii.numbered_sgpr, 42
	.set _ZN4vllm25paged_attention_v2_kernelI14__hip_bfloat16S1_Li112ELi16ELi128ELNS_18Fp8KVCacheDataTypeE0ELb1ELi512EEEvPfS3_PT_PKS4_PKT0_SA_ifPKiSC_iPKfiiiSE_SE_iiiii.num_named_barrier, 0
	.set _ZN4vllm25paged_attention_v2_kernelI14__hip_bfloat16S1_Li112ELi16ELi128ELNS_18Fp8KVCacheDataTypeE0ELb1ELi512EEEvPfS3_PT_PKS4_PKT0_SA_ifPKiSC_iPKfiiiSE_SE_iiiii.private_seg_size, 0
	.set _ZN4vllm25paged_attention_v2_kernelI14__hip_bfloat16S1_Li112ELi16ELi128ELNS_18Fp8KVCacheDataTypeE0ELb1ELi512EEEvPfS3_PT_PKS4_PKT0_SA_ifPKiSC_iPKfiiiSE_SE_iiiii.uses_vcc, 1
	.set _ZN4vllm25paged_attention_v2_kernelI14__hip_bfloat16S1_Li112ELi16ELi128ELNS_18Fp8KVCacheDataTypeE0ELb1ELi512EEEvPfS3_PT_PKS4_PKT0_SA_ifPKiSC_iPKfiiiSE_SE_iiiii.uses_flat_scratch, 0
	.set _ZN4vllm25paged_attention_v2_kernelI14__hip_bfloat16S1_Li112ELi16ELi128ELNS_18Fp8KVCacheDataTypeE0ELb1ELi512EEEvPfS3_PT_PKS4_PKT0_SA_ifPKiSC_iPKfiiiSE_SE_iiiii.has_dyn_sized_stack, 0
	.set _ZN4vllm25paged_attention_v2_kernelI14__hip_bfloat16S1_Li112ELi16ELi128ELNS_18Fp8KVCacheDataTypeE0ELb1ELi512EEEvPfS3_PT_PKS4_PKT0_SA_ifPKiSC_iPKfiiiSE_SE_iiiii.has_recursion, 0
	.set _ZN4vllm25paged_attention_v2_kernelI14__hip_bfloat16S1_Li112ELi16ELi128ELNS_18Fp8KVCacheDataTypeE0ELb1ELi512EEEvPfS3_PT_PKS4_PKT0_SA_ifPKiSC_iPKfiiiSE_SE_iiiii.has_indirect_call, 0
	.section	.AMDGPU.csdata,"",@progbits
; Kernel info:
; codeLenInByte = 12728
; TotalNumSgprs: 44
; NumVgprs: 127
; ScratchSize: 0
; MemoryBound: 0
; FloatMode: 240
; IeeeMode: 1
; LDSByteSize: 256 bytes/workgroup (compile time only)
; SGPRBlocks: 0
; VGPRBlocks: 15
; NumSGPRsForWavesPerEU: 44
; NumVGPRsForWavesPerEU: 127
; Occupancy: 10
; WaveLimiterHint : 1
; COMPUTE_PGM_RSRC2:SCRATCH_EN: 0
; COMPUTE_PGM_RSRC2:USER_SGPR: 2
; COMPUTE_PGM_RSRC2:TRAP_HANDLER: 0
; COMPUTE_PGM_RSRC2:TGID_X_EN: 1
; COMPUTE_PGM_RSRC2:TGID_Y_EN: 1
; COMPUTE_PGM_RSRC2:TGID_Z_EN: 1
; COMPUTE_PGM_RSRC2:TIDIG_COMP_CNT: 0
	.section	.text._ZN4vllm25paged_attention_v2_kernelI14__hip_bfloat16S1_Li120ELi16ELi128ELNS_18Fp8KVCacheDataTypeE0ELb1ELi512EEEvPfS3_PT_PKS4_PKT0_SA_ifPKiSC_iPKfiiiSE_SE_iiiii,"axG",@progbits,_ZN4vllm25paged_attention_v2_kernelI14__hip_bfloat16S1_Li120ELi16ELi128ELNS_18Fp8KVCacheDataTypeE0ELb1ELi512EEEvPfS3_PT_PKS4_PKT0_SA_ifPKiSC_iPKfiiiSE_SE_iiiii,comdat
	.protected	_ZN4vllm25paged_attention_v2_kernelI14__hip_bfloat16S1_Li120ELi16ELi128ELNS_18Fp8KVCacheDataTypeE0ELb1ELi512EEEvPfS3_PT_PKS4_PKT0_SA_ifPKiSC_iPKfiiiSE_SE_iiiii ; -- Begin function _ZN4vllm25paged_attention_v2_kernelI14__hip_bfloat16S1_Li120ELi16ELi128ELNS_18Fp8KVCacheDataTypeE0ELb1ELi512EEEvPfS3_PT_PKS4_PKT0_SA_ifPKiSC_iPKfiiiSE_SE_iiiii
	.globl	_ZN4vllm25paged_attention_v2_kernelI14__hip_bfloat16S1_Li120ELi16ELi128ELNS_18Fp8KVCacheDataTypeE0ELb1ELi512EEEvPfS3_PT_PKS4_PKT0_SA_ifPKiSC_iPKfiiiSE_SE_iiiii
	.p2align	8
	.type	_ZN4vllm25paged_attention_v2_kernelI14__hip_bfloat16S1_Li120ELi16ELi128ELNS_18Fp8KVCacheDataTypeE0ELb1ELi512EEEvPfS3_PT_PKS4_PKT0_SA_ifPKiSC_iPKfiiiSE_SE_iiiii,@function
_ZN4vllm25paged_attention_v2_kernelI14__hip_bfloat16S1_Li120ELi16ELi128ELNS_18Fp8KVCacheDataTypeE0ELb1ELi512EEEvPfS3_PT_PKS4_PKT0_SA_ifPKiSC_iPKfiiiSE_SE_iiiii: ; @_ZN4vllm25paged_attention_v2_kernelI14__hip_bfloat16S1_Li120ELi16ELi128ELNS_18Fp8KVCacheDataTypeE0ELb1ELi512EEEvPfS3_PT_PKS4_PKT0_SA_ifPKiSC_iPKfiiiSE_SE_iiiii
; %bb.0:
	s_load_b64 s[2:3], s[0:1], 0x40
	s_and_b32 s20, ttmp7, 0xffff
	s_lshr_b32 s30, ttmp7, 16
	s_lshl_b32 s4, s20, 2
	s_lshl_b32 s33, s30, 9
	s_wait_kmcnt 0x0
	s_load_b32 s31, s[2:3], s4 offset:0x0
	s_wait_kmcnt 0x0
	s_cmp_ge_i32 s33, s31
	s_cbranch_scc1 .LBB158_115
; %bb.1:
	s_clause 0x1
	s_load_b32 s21, s[0:1], 0x90
	s_load_b64 s[6:7], s[0:1], 0x30
	s_wait_kmcnt 0x0
	s_abs_i32 s5, s21
	s_abs_i32 s2, s6
	s_delay_alu instid0(SALU_CYCLE_1) | instskip(SKIP_1) | instid1(SALU_CYCLE_2)
	s_cvt_f32_u32 s3, s2
	s_sub_co_i32 s4, 0, s2
	v_rcp_iflag_f32_e32 v1, s3
	s_delay_alu instid0(TRANS32_DEP_1) | instskip(SKIP_2) | instid1(SALU_CYCLE_2)
	v_readfirstlane_b32 s3, v1
	s_mul_f32 s3, s3, 0x4f7ffffe
	s_wait_alu 0xfffe
	s_cvt_u32_f32 s3, s3
	s_wait_alu 0xfffe
	s_delay_alu instid0(SALU_CYCLE_2) | instskip(NEXT) | instid1(SALU_CYCLE_1)
	s_mul_i32 s4, s4, s3
	s_mul_hi_u32 s4, s3, s4
	s_delay_alu instid0(SALU_CYCLE_1)
	s_add_co_i32 s3, s3, s4
	s_xor_b32 s4, s21, s6
	s_wait_alu 0xfffe
	s_mul_hi_u32 s3, s5, s3
	s_ashr_i32 s4, s4, 31
	s_wait_alu 0xfffe
	s_mul_i32 s8, s3, s2
	s_delay_alu instid0(SALU_CYCLE_1)
	s_sub_co_i32 s5, s5, s8
	s_add_co_i32 s8, s3, 1
	s_sub_co_i32 s9, s5, s2
	s_cmp_ge_u32 s5, s2
	s_cselect_b32 s3, s8, s3
	s_cselect_b32 s5, s9, s5
	s_wait_alu 0xfffe
	s_add_co_i32 s8, s3, 1
	s_cmp_ge_u32 s5, s2
	s_cselect_b32 s2, s8, s3
	s_load_b64 s[8:9], s[0:1], 0x50
	s_xor_b32 s2, s2, s4
	s_mov_b32 s3, 0
	s_wait_alu 0xfffe
	s_sub_co_i32 s10, s2, s4
	s_mov_b32 s15, s3
	s_abs_i32 s18, s10
	s_delay_alu instid0(SALU_CYCLE_1) | instskip(SKIP_1) | instid1(SALU_CYCLE_2)
	s_cvt_f32_u32 s2, s18
	s_wait_alu 0xfffe
	v_rcp_iflag_f32_e32 v1, s2
	s_delay_alu instid0(TRANS32_DEP_1) | instskip(SKIP_2) | instid1(SALU_CYCLE_2)
	v_readfirstlane_b32 s2, v1
	s_mul_f32 s2, s2, 0x4f7ffffe
	s_wait_alu 0xfffe
	s_cvt_u32_f32 s4, s2
	s_sub_co_i32 s2, 0, s18
	s_wait_alu 0xfffe
	s_delay_alu instid0(SALU_CYCLE_1)
	s_mul_i32 s2, s2, s4
	s_wait_alu 0xfffe
	s_mul_hi_u32 s5, s4, s2
	s_abs_i32 s2, ttmp9
	s_add_co_i32 s4, s4, s5
	s_mov_b32 s5, s3
	s_wait_kmcnt 0x0
	s_cmp_eq_u64 s[8:9], 0
	s_cbranch_scc1 .LBB158_3
; %bb.2:
	s_mov_b32 s12, ttmp9
	s_ashr_i32 s13, ttmp9, 31
	s_delay_alu instid0(SALU_CYCLE_1) | instskip(NEXT) | instid1(SALU_CYCLE_1)
	s_lshl_b64 s[12:13], s[12:13], 2
	s_add_nc_u64 s[8:9], s[8:9], s[12:13]
	s_load_b32 s15, s[8:9], 0x0
.LBB158_3:
	s_load_b96 s[12:14], s[0:1], 0x58
	v_lshrrev_b32_e32 v39, 1, v0
	v_and_b32_e32 v40, 1, v0
	v_lshlrev_b32_e32 v9, 3, v0
	s_mul_u64 s[4:5], s[2:3], s[4:5]
	s_ashr_i32 s3, ttmp9, 31
	s_ashr_i32 s4, s10, 31
	s_mul_i32 s16, ttmp9, 0x78
	s_mov_b32 s8, exec_lo
	v_cmpx_gt_u32_e32 30, v0
	s_cbranch_execz .LBB158_5
; %bb.4:
	s_load_b64 s[10:11], s[0:1], 0x18
	s_wait_kmcnt 0x0
	s_mul_i32 s22, s12, s20
	s_ashr_i32 s17, s16, 31
	s_ashr_i32 s23, s22, 31
	v_lshlrev_b32_e32 v3, 3, v39
	s_lshl_b64 s[22:23], s[22:23], 1
	s_delay_alu instid0(VALU_DEP_1) | instskip(SKIP_2) | instid1(SALU_CYCLE_1)
	v_mad_u32_u24 v3, 0x78, v40, v3
	s_add_nc_u64 s[10:11], s[10:11], s[22:23]
	s_lshl_b64 s[22:23], s[16:17], 1
	s_add_nc_u64 s[10:11], s[10:11], s[22:23]
	global_load_b64 v[1:2], v9, s[10:11]
	s_wait_loadcnt 0x0
	ds_store_b64 v3, v[1:2]
.LBB158_5:
	s_or_b32 exec_lo, exec_lo, s8
	s_clause 0x1
	s_load_b128 s[8:11], s[0:1], 0x78
	s_load_b32 s22, s[0:1], 0x88
	s_wait_kmcnt 0x0
	s_mul_i32 s12, s5, s18
	s_xor_b32 s3, s3, s4
	s_sub_co_i32 s2, s2, s12
	s_add_co_i32 s4, s5, 1
	s_wait_alu 0xfffe
	s_sub_co_i32 s12, s2, s18
	s_cmp_ge_u32 s2, s18
	s_mov_b32 s24, -1
	s_cselect_b32 s4, s4, s5
	s_cselect_b32 s2, s12, s2
	s_add_co_i32 s5, s4, 1
	s_wait_alu 0xfffe
	s_cmp_ge_u32 s2, s18
	s_wait_dscnt 0x0
	s_cselect_b32 s2, s5, s4
	s_add_co_i32 s23, s31, -1
	s_wait_alu 0xfffe
	s_xor_b32 s2, s2, s3
	s_barrier_signal -1
	s_wait_alu 0xfffe
	s_sub_co_i32 s26, s2, s3
	s_barrier_wait -1
	s_abs_i32 s12, s11
	global_inv scope:SCOPE_SE
	s_cvt_f32_u32 s4, s12
                                        ; implicit-def: $sgpr17
	s_delay_alu instid0(SALU_CYCLE_3) | instskip(NEXT) | instid1(TRANS32_DEP_1)
	v_rcp_iflag_f32_e32 v1, s4
	v_readfirstlane_b32 s4, v1
	s_mul_f32 s2, s4, 0x4f7ffffe
	s_wait_alu 0xfffe
	s_delay_alu instid0(SALU_CYCLE_2) | instskip(SKIP_2) | instid1(SALU_CYCLE_1)
	s_cvt_u32_f32 s4, s2
	s_sub_co_i32 s2, 0, s12
	s_wait_alu 0xfffe
	s_mul_i32 s3, s2, s4
	s_abs_i32 s2, s23
	s_wait_alu 0xfffe
	s_mul_hi_u32 s5, s4, s3
	s_mov_b32 s3, 0
	s_wait_alu 0xfffe
	s_add_co_i32 s18, s4, s5
	s_cmp_lt_i32 s22, 0
	s_mov_b32 s19, s3
	s_cbranch_scc0 .LBB158_7
; %bb.6:
	s_mul_i32 s4, s8, s6
	s_mov_b32 s24, s3
	s_wait_alu 0xfffe
	s_add_co_i32 s4, s26, s4
	s_wait_alu 0xfffe
	s_mul_i32 s4, s4, s22
	s_wait_alu 0xfffe
	s_sub_co_i32 s17, 1, s4
.LBB158_7:
	s_mul_u64 s[4:5], s[2:3], s[18:19]
	s_ashr_i32 s3, s23, 31
	s_and_not1_b32 vcc_lo, exec_lo, s24
	s_ashr_i32 s11, s11, 31
	s_cbranch_vccnz .LBB158_9
; %bb.8:
	s_mul_i32 s4, s21, s8
	s_wait_alu 0xfffe
	s_add_co_i32 s4, s4, ttmp9
	s_wait_alu 0xfffe
	s_mul_i32 s4, s4, s22
	s_wait_alu 0xfffe
	s_add_co_i32 s17, s4, 1
.LBB158_9:
	s_clause 0x2
	s_load_b32 s4, s[0:1], 0x48
	s_load_b64 s[22:23], s[0:1], 0x38
	s_load_b32 s8, s[0:1], 0x98
	s_mul_i32 s6, s5, s12
	s_xor_b32 s3, s3, s11
	s_sub_co_i32 s2, s2, s6
	s_add_co_i32 s19, s5, 1
	v_lshrrev_b32_e32 v41, 5, v0
	v_mov_b32_e32 v12, 0xff7fffff
	v_mbcnt_lo_u32_b32 v11, -1, 0
	s_mul_i32 s26, s26, s14
	s_mov_b32 s6, exec_lo
	v_lshl_add_u32 v42, v41, 4, s33
	s_wait_kmcnt 0x0
	s_mul_i32 s24, s4, s20
	s_wait_alu 0xfffe
	s_sub_co_i32 s4, s2, s12
	s_ashr_i32 s25, s24, 31
	s_cmp_ge_u32 s2, s12
	s_cselect_b32 s5, s19, s5
	s_wait_alu 0xfffe
	s_cselect_b32 s2, s4, s2
	s_add_co_i32 s4, s5, 1
	s_wait_alu 0xfffe
	s_cmp_ge_u32 s2, s12
	s_cselect_b32 s2, s4, s5
	s_add_co_i32 s4, s31, 15
	s_lshl_b32 s36, s30, 5
	s_wait_alu 0xfffe
	s_ashr_i32 s5, s4, 31
	v_or_b32_e32 v43, s36, v41
	s_wait_alu 0xfffe
	s_lshr_b32 s5, s5, 28
	s_wait_alu 0xfffe
	s_add_co_i32 s4, s4, s5
	s_add_co_i32 s5, s36, 32
	s_wait_alu 0xfffe
	s_ashr_i32 s34, s4, 4
	s_xor_b32 s4, s2, s3
	s_min_i32 s19, s5, s34
	v_lshlrev_b32_e32 v10, 2, v43
	v_cmp_le_i32_e64 s2, s19, v43
	s_wait_alu 0xfffe
	s_sub_co_i32 s35, s4, s3
	v_cmpx_gt_i32_e64 s19, v43
	s_cbranch_execz .LBB158_21
; %bb.10:
	s_ashr_i32 s27, s26, 31
	s_sub_co_i32 s14, s35, s9
	s_lshl_b64 s[4:5], s[26:27], 1
	s_cmp_neq_f32 s15, 0
	s_load_b64 s[38:39], s[0:1], 0x20
	v_bfe_u32 v13, v0, 1, 4
	v_and_b32_e32 v2, 8, v9
	s_cselect_b32 vcc_lo, -1, 0
	s_abs_i32 s27, s10
	s_delay_alu instid0(VALU_DEP_2)
	v_dual_mov_b32 v20, 0xff7fffff :: v_dual_lshlrev_b32 v3, 4, v13
	s_cvt_f32_u32 s3, s27
	v_dual_mov_b32 v12, 0xff7fffff :: v_dual_lshlrev_b32 v5, 2, v13
	s_lshl_b64 s[40:41], s[24:25], 2
	s_wait_alu 0xfffe
	v_rcp_iflag_f32_e32 v1, s3
	v_subrev_nc_u32_e32 v4, s31, v13
	v_lshl_or_b32 v5, v41, 6, v5
	s_add_nc_u64 s[40:41], s[22:23], s[40:41]
	s_sub_co_i32 s37, 0, s27
	v_cmp_eq_u32_e64 s3, 0, v40
	v_mul_u32_u24_e32 v14, 0x78, v40
	v_lshl_add_u32 v17, v41, 4, s33
	v_add_nc_u32_e32 v18, 1, v4
	s_wait_kmcnt 0x0
	s_add_nc_u64 s[4:5], s[38:39], s[4:5]
	v_readfirstlane_b32 s29, v1
	s_wait_alu 0xfffe
	v_add_co_u32 v1, s4, s4, v3
	s_wait_alu 0xf1ff
	v_add_co_ci_u32_e64 v3, null, s5, 0, s4
	s_mul_f32 s29, s29, 0x4f7ffffe
	v_add_co_u32 v15, s4, v1, v2
	s_wait_alu 0xf1ff
	v_add_co_ci_u32_e64 v16, null, 0, v3, s4
	s_cvt_u32_f32 s5, s29
	v_add_co_u32 v1, s4, s40, v10
	s_wait_alu 0xf1ff
	v_add_co_ci_u32_e64 v2, null, s41, 0, s4
	s_wait_alu 0xfffe
	s_mul_i32 s37, s37, s5
	v_dual_mov_b32 v22, v43 :: v_dual_add_nc_u32 v19, 0x110, v5
	v_xor_b32_e32 v21, 1, v11
	s_wait_alu 0xfffe
	s_mul_hi_u32 s4, s5, s37
	s_mov_b32 s28, 0
	s_mov_b32 s29, s13
	s_wait_alu 0xfffe
	s_add_co_i32 s37, s5, s4
	s_branch .LBB158_13
.LBB158_11:                             ;   in Loop: Header=BB158_13 Depth=1
	s_or_b32 exec_lo, exec_lo, s38
.LBB158_12:                             ;   in Loop: Header=BB158_13 Depth=1
	s_wait_alu 0xfffe
	s_or_b32 exec_lo, exec_lo, s5
	v_add_nc_u32_e32 v22, 4, v22
	v_add_co_u32 v1, s5, v1, 16
	s_wait_alu 0xf1ff
	v_add_co_ci_u32_e64 v2, null, 0, v2, s5
	s_delay_alu instid0(VALU_DEP_3)
	v_cmp_le_i32_e64 s4, s19, v22
	v_add_nc_u32_e32 v17, 64, v17
	v_add_nc_u32_e32 v19, 0x100, v19
	s_or_b32 s28, s4, s28
	s_wait_alu 0xfffe
	s_and_not1_b32 exec_lo, exec_lo, s28
	s_cbranch_execz .LBB158_20
.LBB158_13:                             ; =>This Inner Loop Header: Depth=1
	v_sub_nc_u32_e32 v3, 0, v17
	s_delay_alu instid0(VALU_DEP_1) | instskip(SKIP_1) | instid1(VALU_DEP_1)
	v_max_i32_e32 v3, v17, v3
	s_wait_dscnt 0x0
	v_mul_hi_u32 v4, v3, s18
	s_delay_alu instid0(VALU_DEP_1) | instskip(NEXT) | instid1(VALU_DEP_1)
	v_mul_lo_u32 v5, v4, s12
	v_sub_nc_u32_e32 v3, v3, v5
	v_add_nc_u32_e32 v5, 1, v4
	s_delay_alu instid0(VALU_DEP_2) | instskip(SKIP_2) | instid1(VALU_DEP_1)
	v_subrev_nc_u32_e32 v6, s12, v3
	v_cmp_le_u32_e64 s4, s12, v3
	s_wait_alu 0xf1ff
	v_cndmask_b32_e64 v4, v4, v5, s4
	s_delay_alu instid0(VALU_DEP_3) | instskip(SKIP_1) | instid1(VALU_DEP_3)
	v_cndmask_b32_e64 v3, v3, v6, s4
	v_ashrrev_i32_e32 v5, 31, v17
	v_add_nc_u32_e32 v6, 1, v4
	s_delay_alu instid0(VALU_DEP_3) | instskip(NEXT) | instid1(VALU_DEP_3)
	v_cmp_le_u32_e64 s4, s12, v3
	v_xor_b32_e32 v5, s11, v5
	s_wait_alu 0xf1ff
	s_delay_alu instid0(VALU_DEP_2) | instskip(NEXT) | instid1(VALU_DEP_1)
	v_cndmask_b32_e64 v3, v4, v6, s4
	v_xor_b32_e32 v3, v3, v5
	s_delay_alu instid0(VALU_DEP_1) | instskip(NEXT) | instid1(VALU_DEP_1)
	v_sub_nc_u32_e32 v3, v3, v5
	v_add_nc_u32_e32 v4, s17, v3
	v_cmp_ge_i32_e64 s5, s14, v3
	s_delay_alu instid0(VALU_DEP_2) | instskip(NEXT) | instid1(VALU_DEP_1)
	v_sub_nc_u32_e32 v5, 0, v4
	v_max_i32_e32 v5, v4, v5
	v_ashrrev_i32_e32 v4, 31, v4
	s_wait_alu 0xfffe
	s_delay_alu instid0(VALU_DEP_2) | instskip(NEXT) | instid1(VALU_DEP_1)
	v_mul_hi_u32 v6, v5, s37
	v_mul_lo_u32 v6, v6, s27
	s_delay_alu instid0(VALU_DEP_1) | instskip(NEXT) | instid1(VALU_DEP_1)
	v_sub_nc_u32_e32 v5, v5, v6
	v_subrev_nc_u32_e32 v6, s27, v5
	v_cmp_le_u32_e64 s4, s27, v5
	s_wait_alu 0xf1ff
	s_delay_alu instid0(VALU_DEP_1) | instskip(NEXT) | instid1(VALU_DEP_1)
	v_cndmask_b32_e64 v5, v5, v6, s4
	v_subrev_nc_u32_e32 v6, s27, v5
	v_cmp_le_u32_e64 s4, s27, v5
	s_wait_alu 0xf1ff
	s_delay_alu instid0(VALU_DEP_1) | instskip(NEXT) | instid1(VALU_DEP_1)
	v_cndmask_b32_e64 v5, v5, v6, s4
	v_xor_b32_e32 v5, v5, v4
	s_delay_alu instid0(VALU_DEP_1) | instskip(NEXT) | instid1(VALU_DEP_1)
	v_sub_nc_u32_e32 v4, v5, v4
	v_cmp_ne_u32_e64 s4, 0, v4
	s_and_b32 s4, s4, s5
	s_wait_alu 0xfffe
	s_and_saveexec_b32 s5, s4
	s_wait_alu 0xfffe
	s_xor_b32 s4, exec_lo, s5
	s_cbranch_execz .LBB158_17
; %bb.14:                               ;   in Loop: Header=BB158_13 Depth=1
	s_and_saveexec_b32 s5, s3
; %bb.15:                               ;   in Loop: Header=BB158_13 Depth=1
	ds_store_b32 v19, v20
; %bb.16:                               ;   in Loop: Header=BB158_13 Depth=1
	s_wait_alu 0xfffe
	s_or_b32 exec_lo, exec_lo, s5
.LBB158_17:                             ;   in Loop: Header=BB158_13 Depth=1
	s_wait_alu 0xfffe
	s_and_not1_saveexec_b32 s5, s4
	s_cbranch_execz .LBB158_12
; %bb.18:                               ;   in Loop: Header=BB158_13 Depth=1
	global_load_b32 v3, v[1:2], off
	s_wait_loadcnt 0x0
	v_mad_co_i64_i32 v[3:4], null, v3, s29, 0
	s_delay_alu instid0(VALU_DEP_1) | instskip(NEXT) | instid1(VALU_DEP_1)
	v_lshlrev_b64_e32 v[3:4], 1, v[3:4]
	v_add_co_u32 v7, s4, v15, v3
	s_wait_alu 0xf1ff
	s_delay_alu instid0(VALU_DEP_2)
	v_add_co_ci_u32_e64 v8, null, v16, v4, s4
	v_cmp_gt_i32_e64 s4, 32, v21
	s_clause 0xe
	global_load_b64 v[5:6], v[7:8], off
	global_load_b64 v[3:4], v[7:8], off offset:256
	global_load_b64 v[56:57], v[7:8], off offset:512
	;; [unrolled: 1-line block ×14, first 2 shown]
	ds_load_2addr_b64 v[23:26], v14 offset1:1
	ds_load_2addr_b64 v[27:30], v14 offset0:2 offset1:3
	ds_load_2addr_b64 v[31:34], v14 offset0:4 offset1:5
	;; [unrolled: 1-line block ×6, first 2 shown]
	ds_load_b64 v[80:81], v14 offset:112
	s_wait_loadcnt 0xe
	v_lshlrev_b32_e32 v111, 16, v5
	s_wait_loadcnt 0xd
	v_lshlrev_b32_e32 v113, 16, v3
	v_and_b32_e32 v3, 0xffff0000, v3
	s_wait_dscnt 0x7
	v_lshlrev_b32_e32 v84, 16, v25
	v_lshlrev_b32_e32 v114, 16, v4
	v_and_b32_e32 v5, 0xffff0000, v5
	s_wait_loadcnt 0xc
	v_lshlrev_b32_e32 v115, 16, v56
	s_wait_loadcnt 0x7
	v_lshlrev_b32_e32 v125, 16, v66
	;; [unrolled: 2-line block ×3, first 2 shown]
	v_and_b32_e32 v25, 0xffff0000, v25
	v_and_b32_e32 v56, 0xffff0000, v56
	v_lshlrev_b32_e32 v117, 16, v58
	v_lshlrev_b32_e32 v124, 16, v65
	v_and_b32_e32 v65, 0xffff0000, v65
	v_mul_f32_e32 v3, v25, v3
	v_dual_mul_f32 v84, v84, v113 :: v_dual_lshlrev_b32 v83, 16, v24
	v_lshlrev_b32_e32 v85, 16, v26
	v_lshlrev_b32_e32 v82, 16, v23
	v_and_b32_e32 v23, 0xffff0000, v23
	s_wait_dscnt 0x6
	v_lshlrev_b32_e32 v86, 16, v27
	v_and_b32_e32 v27, 0xffff0000, v27
	v_dual_mul_f32 v85, v85, v114 :: v_dual_fmac_f32 v84, v82, v111
	s_wait_dscnt 0x0
	v_lshlrev_b32_e32 v111, 16, v81
	v_lshlrev_b32_e32 v112, 16, v6
	;; [unrolled: 1-line block ×3, first 2 shown]
	v_fmac_f32_e32 v3, v23, v5
	v_dual_fmac_f32 v84, v86, v115 :: v_dual_lshlrev_b32 v87, 16, v28
	v_lshlrev_b32_e32 v90, 16, v31
	v_and_b32_e32 v58, 0xffff0000, v58
	v_lshlrev_b32_e32 v119, 16, v60
	v_lshlrev_b32_e32 v126, 16, v67
	v_and_b32_e32 v67, 0xffff0000, v67
	v_dual_fmac_f32 v85, v83, v112 :: v_dual_lshlrev_b32 v128, 16, v69
	v_dual_fmac_f32 v84, v88, v117 :: v_dual_lshlrev_b32 v93, 16, v34
	v_fmac_f32_e32 v3, v27, v56
	v_lshlrev_b32_e32 v97, 16, v38
	v_and_b32_e32 v38, 0xffff0000, v38
	v_and_b32_e32 v29, 0xffff0000, v29
	v_lshlrev_b32_e32 v94, 16, v35
	v_and_b32_e32 v60, 0xffff0000, v60
	s_wait_loadcnt 0x5
	v_lshlrev_b32_e32 v129, 16, v70
	v_and_b32_e32 v31, 0xffff0000, v31
	v_fmac_f32_e32 v3, v29, v58
	v_lshlrev_b32_e32 v100, 16, v46
	v_lshlrev_b32_e32 v116, 16, v57
	;; [unrolled: 1-line block ×4, first 2 shown]
	v_and_b32_e32 v62, 0xffff0000, v62
	s_wait_loadcnt 0x4
	v_lshlrev_b32_e32 v82, 16, v72
	v_and_b32_e32 v33, 0xffff0000, v33
	v_fmac_f32_e32 v3, v31, v60
	v_lshlrev_b32_e32 v98, 16, v44
	v_and_b32_e32 v4, 0xffff0000, v4
	v_lshlrev_b32_e32 v123, 16, v64
	v_and_b32_e32 v64, 0xffff0000, v64
	v_and_b32_e32 v69, 0xffff0000, v69
	;; [unrolled: 1-line block ×3, first 2 shown]
	v_fmac_f32_e32 v3, v33, v62
	v_and_b32_e32 v26, 0xffff0000, v26
	v_and_b32_e32 v6, 0xffff0000, v6
	v_fmac_f32_e32 v84, v90, v119
	v_and_b32_e32 v24, 0xffff0000, v24
	v_fmac_f32_e32 v3, v35, v64
	v_dual_mul_f32 v4, v26, v4 :: v_dual_lshlrev_b32 v89, 16, v30
	v_lshlrev_b32_e32 v91, 16, v32
	v_lshlrev_b32_e32 v118, 16, v59
	v_and_b32_e32 v66, 0xffff0000, v66
	v_lshlrev_b32_e32 v113, 16, v71
	v_and_b32_e32 v71, 0xffff0000, v71
	v_lshlrev_b32_e32 v25, 16, v73
	v_dual_fmac_f32 v4, v24, v6 :: v_dual_and_b32 v73, 0xffff0000, v73
	v_dual_fmac_f32 v85, v87, v116 :: v_dual_lshlrev_b32 v96, 16, v37
	v_dual_fmac_f32 v84, v92, v121 :: v_dual_lshlrev_b32 v101, 16, v47
	v_lshlrev_b32_e32 v103, 16, v49
	s_wait_loadcnt 0x2
	v_lshlrev_b32_e32 v24, 16, v76
	v_and_b32_e32 v49, 0xffff0000, v49
	v_and_b32_e32 v47, 0xffff0000, v47
	;; [unrolled: 1-line block ×3, first 2 shown]
	v_lshlrev_b32_e32 v106, 16, v52
	v_lshlrev_b32_e32 v120, 16, v61
	v_and_b32_e32 v68, 0xffff0000, v68
	v_and_b32_e32 v5, 0xffff0000, v74
	v_fmac_f32_e32 v85, v89, v118
	v_lshlrev_b32_e32 v104, 16, v50
	v_lshlrev_b32_e32 v27, 16, v77
	v_and_b32_e32 v50, 0xffff0000, v50
	v_dual_fmac_f32 v3, v37, v66 :: v_dual_and_b32 v44, 0xffff0000, v44
	v_and_b32_e32 v34, 0xffff0000, v34
	v_lshlrev_b32_e32 v122, 16, v63
	v_and_b32_e32 v70, 0xffff0000, v70
	v_and_b32_e32 v72, 0xffff0000, v72
	v_lshlrev_b32_e32 v23, 16, v75
	v_fmac_f32_e32 v85, v91, v120
	v_lshlrev_b32_e32 v102, 16, v48
	v_and_b32_e32 v48, 0xffff0000, v48
	v_dual_fmac_f32 v3, v44, v68 :: v_dual_and_b32 v46, 0xffff0000, v46
	v_and_b32_e32 v28, 0xffff0000, v28
	v_and_b32_e32 v57, 0xffff0000, v57
	v_fmac_f32_e32 v85, v93, v122
	v_and_b32_e32 v59, 0xffff0000, v59
	v_fmac_f32_e32 v3, v46, v70
	s_delay_alu instid0(VALU_DEP_4) | instskip(SKIP_2) | instid1(VALU_DEP_3)
	v_dual_fmac_f32 v4, v28, v57 :: v_dual_lshlrev_b32 v95, 16, v36
	v_and_b32_e32 v30, 0xffff0000, v30
	v_dual_fmac_f32 v84, v94, v123 :: v_dual_and_b32 v61, 0xffff0000, v61
	v_fmac_f32_e32 v85, v95, v124
	s_delay_alu instid0(VALU_DEP_3) | instskip(NEXT) | instid1(VALU_DEP_3)
	v_dual_fmac_f32 v4, v30, v59 :: v_dual_lshlrev_b32 v99, 16, v45
	v_dual_fmac_f32 v84, v96, v125 :: v_dual_and_b32 v63, 0xffff0000, v63
	s_delay_alu instid0(VALU_DEP_3) | instskip(SKIP_3) | instid1(VALU_DEP_4)
	v_fmac_f32_e32 v85, v97, v126
	v_lshlrev_b32_e32 v114, 16, v74
	v_and_b32_e32 v28, 0xffff0000, v77
	v_lshlrev_b32_e32 v109, 16, v55
	v_dual_fmac_f32 v84, v98, v127 :: v_dual_fmac_f32 v85, v99, v128
	v_and_b32_e32 v32, 0xffff0000, v32
	s_wait_loadcnt 0x1
	v_lshlrev_b32_e32 v31, 16, v79
	v_and_b32_e32 v6, 0xffff0000, v75
	v_fmac_f32_e32 v84, v100, v129
	v_fmac_f32_e32 v85, v101, v113
	v_dual_fmac_f32 v4, v32, v61 :: v_dual_lshlrev_b32 v105, 16, v51
	v_lshlrev_b32_e32 v107, 16, v53
	s_delay_alu instid0(VALU_DEP_3) | instskip(SKIP_1) | instid1(VALU_DEP_4)
	v_dual_fmac_f32 v85, v103, v25 :: v_dual_and_b32 v36, 0xffff0000, v36
	v_fmac_f32_e32 v84, v102, v82
	v_dual_fmac_f32 v4, v34, v63 :: v_dual_and_b32 v45, 0xffff0000, v45
	v_lshlrev_b32_e32 v29, 16, v78
	s_delay_alu instid0(VALU_DEP_3) | instskip(NEXT) | instid1(VALU_DEP_3)
	v_dual_fmac_f32 v85, v105, v23 :: v_dual_fmac_f32 v84, v104, v114
	v_fmac_f32_e32 v4, v36, v65
	v_fmac_f32_e32 v3, v48, v72
	s_delay_alu instid0(VALU_DEP_3) | instskip(SKIP_1) | instid1(VALU_DEP_4)
	v_dual_fmac_f32 v85, v107, v27 :: v_dual_and_b32 v26, 0xffff0000, v76
	v_lshlrev_b32_e32 v108, 16, v54
	v_fmac_f32_e32 v4, v38, v67
	v_fmac_f32_e32 v84, v106, v24
	s_delay_alu instid0(VALU_DEP_4) | instskip(NEXT) | instid1(VALU_DEP_3)
	v_dual_fmac_f32 v85, v31, v109 :: v_dual_and_b32 v30, 0xffff0000, v78
	v_dual_fmac_f32 v4, v45, v69 :: v_dual_and_b32 v51, 0xffff0000, v51
	v_dual_fmac_f32 v3, v50, v5 :: v_dual_lshlrev_b32 v110, 16, v80
	v_and_b32_e32 v80, 0xffff0000, v80
	v_fmac_f32_e32 v84, v29, v108
	s_delay_alu instid0(VALU_DEP_4) | instskip(SKIP_3) | instid1(VALU_DEP_3)
	v_fmac_f32_e32 v4, v47, v71
	s_wait_loadcnt 0x0
	v_lshlrev_b32_e32 v5, 16, v7
	v_and_b32_e32 v32, 0xffff0000, v79
	v_fmac_f32_e32 v4, v49, v73
	s_delay_alu instid0(VALU_DEP_1) | instskip(SKIP_4) | instid1(VALU_DEP_2)
	v_dual_fmac_f32 v4, v51, v6 :: v_dual_and_b32 v53, 0xffff0000, v53
	v_and_b32_e32 v6, 0xffff0000, v7
	v_and_b32_e32 v54, 0xffff0000, v54
	;; [unrolled: 1-line block ×3, first 2 shown]
	v_lshlrev_b32_e32 v7, 16, v8
	v_dual_fmac_f32 v4, v53, v28 :: v_dual_fmac_f32 v3, v52, v26
	v_dual_fmac_f32 v84, v5, v110 :: v_dual_and_b32 v55, 0xffff0000, v55
	v_and_b32_e32 v5, 0xffff0000, v81
	s_delay_alu instid0(VALU_DEP_4) | instskip(NEXT) | instid1(VALU_DEP_3)
	v_fmac_f32_e32 v85, v7, v111
	v_dual_fmac_f32 v3, v30, v54 :: v_dual_fmac_f32 v4, v32, v55
	s_wait_alu 0xf1ff
	v_cndmask_b32_e64 v7, v11, v21, s4
	s_delay_alu instid0(VALU_DEP_2) | instskip(NEXT) | instid1(VALU_DEP_1)
	v_fmac_f32_e32 v3, v6, v80
	v_dual_add_f32 v3, v84, v3 :: v_dual_and_b32 v6, 0xffff0000, v8
	s_delay_alu instid0(VALU_DEP_1) | instskip(NEXT) | instid1(VALU_DEP_2)
	v_dual_fmac_f32 v4, v6, v5 :: v_dual_lshlrev_b32 v5, 2, v7
	v_add_f32_e32 v3, v3, v85
	s_delay_alu instid0(VALU_DEP_1)
	v_add_f32_e32 v3, v4, v3
	ds_bpermute_b32 v4, v5, v3
	s_and_saveexec_b32 s38, s3
	s_cbranch_execz .LBB158_11
; %bb.19:                               ;   in Loop: Header=BB158_13 Depth=1
	s_wait_dscnt 0x0
	v_add_f32_e32 v3, v3, v4
	v_add_nc_u32_e32 v5, v18, v17
	s_delay_alu instid0(VALU_DEP_1) | instskip(NEXT) | instid1(VALU_DEP_1)
	v_cvt_f32_i32_e32 v5, v5
	v_mul_f32_e32 v5, s15, v5
	s_delay_alu instid0(VALU_DEP_1) | instskip(NEXT) | instid1(VALU_DEP_1)
	v_dual_cndmask_b32 v4, 0, v5 :: v_dual_max_num_f32 v5, v12, v12
	v_dual_fmac_f32 v4, s7, v3 :: v_dual_add_nc_u32 v3, v13, v17
	s_delay_alu instid0(VALU_DEP_1) | instskip(NEXT) | instid1(VALU_DEP_2)
	v_max_num_f32_e32 v5, v5, v4
	v_cmp_gt_i32_e64 s4, s31, v3
	s_wait_alu 0xf1ff
	s_delay_alu instid0(VALU_DEP_1) | instskip(NEXT) | instid1(VALU_DEP_3)
	v_cndmask_b32_e64 v3, 0, v4, s4
	v_cndmask_b32_e64 v12, v12, v5, s4
	ds_store_b32 v19, v3
	s_branch .LBB158_11
.LBB158_20:
	s_or_b32 exec_lo, exec_lo, s28
.LBB158_21:
	s_delay_alu instid0(SALU_CYCLE_1)
	s_or_b32 exec_lo, exec_lo, s6
	v_xor_b32_e32 v1, 16, v11
	v_xor_b32_e32 v2, 8, v11
	s_clause 0x2
	s_load_b128 s[4:7], s[0:1], 0x0
	s_load_b64 s[14:15], s[0:1], 0x10
	s_load_b64 s[28:29], s[0:1], 0x28
	v_dual_max_num_f32 v3, v12, v12 :: v_dual_lshlrev_b32 v8, 2, v41
	v_cmp_gt_i32_e32 vcc_lo, 32, v1
	s_wait_alu 0xfffd
	v_cndmask_b32_e32 v1, v11, v1, vcc_lo
	v_cmp_gt_i32_e32 vcc_lo, 32, v2
	s_wait_dscnt 0x0
	s_delay_alu instid0(VALU_DEP_2) | instskip(SKIP_4) | instid1(VALU_DEP_1)
	v_lshlrev_b32_e32 v4, 2, v1
	ds_bpermute_b32 v1, v4, v12
	s_wait_dscnt 0x0
	s_wait_alu 0xfffd
	v_dual_cndmask_b32 v2, v11, v2 :: v_dual_max_num_f32 v1, v1, v1
	v_lshlrev_b32_e32 v5, 2, v2
	s_delay_alu instid0(VALU_DEP_2)
	v_max_num_f32_e32 v1, v3, v1
	v_xor_b32_e32 v3, 4, v11
	ds_bpermute_b32 v2, v5, v1
	v_cmp_gt_i32_e32 vcc_lo, 32, v3
	s_wait_dscnt 0x0
	v_max_num_f32_e32 v2, v2, v2
	s_delay_alu instid0(VALU_DEP_1) | instskip(SKIP_2) | instid1(VALU_DEP_1)
	v_max_num_f32_e32 v1, v1, v2
	s_wait_alu 0xfffd
	v_cndmask_b32_e32 v3, v11, v3, vcc_lo
	v_lshlrev_b32_e32 v7, 2, v3
	v_xor_b32_e32 v3, 2, v11
	ds_bpermute_b32 v2, v7, v1
	v_cmp_gt_i32_e32 vcc_lo, 32, v3
	s_wait_alu 0xfffd
	v_cndmask_b32_e32 v3, v11, v3, vcc_lo
	s_wait_dscnt 0x0
	s_delay_alu instid0(VALU_DEP_1) | instskip(NEXT) | instid1(VALU_DEP_1)
	v_dual_max_num_f32 v2, v2, v2 :: v_dual_lshlrev_b32 v3, 2, v3
	v_dual_max_num_f32 v2, v1, v2 :: v_dual_and_b32 v1, 31, v0
	ds_bpermute_b32 v6, v3, v2
	v_cmp_eq_u32_e32 vcc_lo, 0, v1
	s_and_saveexec_b32 s0, vcc_lo
	s_cbranch_execz .LBB158_23
; %bb.22:
	s_wait_dscnt 0x0
	v_max_num_f32_e32 v6, v6, v6
	v_max_num_f32_e32 v2, v2, v2
	s_delay_alu instid0(VALU_DEP_1)
	v_max_num_f32_e32 v2, v2, v6
	ds_store_b32 v8, v2 offset:240
.LBB158_23:
	s_or_b32 exec_lo, exec_lo, s0
	v_cmp_gt_u32_e64 s0, 4, v1
	v_mov_b32_e32 v2, 0xff7fffff
	v_lshlrev_b32_e32 v12, 2, v1
	s_wait_loadcnt_dscnt 0x0
	s_barrier_signal -1
	s_barrier_wait -1
	global_inv scope:SCOPE_SE
	s_and_saveexec_b32 s1, s0
; %bb.24:
	ds_load_b32 v2, v12 offset:240
; %bb.25:
	s_or_b32 exec_lo, exec_lo, s1
	s_wait_dscnt 0x0
	ds_bpermute_b32 v6, v3, v2
	v_xor_b32_e32 v13, 1, v11
	s_delay_alu instid0(VALU_DEP_1) | instskip(NEXT) | instid1(VALU_DEP_1)
	v_cmp_gt_i32_e64 s1, 32, v13
	v_cndmask_b32_e64 v11, v11, v13, s1
	v_max_num_f32_e32 v2, v2, v2
	s_sub_co_i32 s1, s19, s36
	s_wait_alu 0xfffe
	s_lshl_b32 s1, s1, 4
	v_lshlrev_b32_e32 v45, 2, v11
	s_wait_alu 0xfffe
	s_add_co_i32 s1, s1, s33
	v_mov_b32_e32 v11, 0
	s_wait_alu 0xfffe
	s_min_i32 s1, s1, s31
	s_wait_dscnt 0x0
	v_max_num_f32_e32 v6, v6, v6
	s_wait_alu 0xfffe
	s_sub_co_i32 s27, s1, s33
	s_wait_alu 0xfffe
	v_cmp_gt_i32_e64 s1, s27, v0
	v_max_num_f32_e32 v2, v2, v6
	ds_bpermute_b32 v6, v45, v2
	s_wait_dscnt 0x0
	v_max_num_f32_e32 v6, v6, v6
	s_delay_alu instid0(VALU_DEP_1)
	v_max_num_f32_e32 v2, v2, v6
	v_lshl_add_u32 v6, v0, 2, 0x110
	ds_bpermute_b32 v2, v11, v2
	s_and_saveexec_b32 s33, s1
	s_cbranch_execz .LBB158_29
; %bb.26:
	v_lshl_add_u32 v13, v0, 2, 0x110
	v_dual_mov_b32 v11, 0 :: v_dual_mov_b32 v14, v0
	s_mov_b32 s36, 0
.LBB158_27:                             ; =>This Inner Loop Header: Depth=1
	ds_load_b32 v15, v13
	s_wait_dscnt 0x0
	v_sub_f32_e32 v15, v15, v2
	s_delay_alu instid0(VALU_DEP_1) | instskip(NEXT) | instid1(VALU_DEP_1)
	v_mul_f32_e32 v15, 0x3fb8aa3b, v15
	v_exp_f32_e32 v15, v15
	s_delay_alu instid0(TRANS32_DEP_1) | instskip(NEXT) | instid1(VALU_DEP_1)
	v_dual_add_f32 v11, v11, v15 :: v_dual_add_nc_u32 v14, 0x80, v14
	v_cmp_le_i32_e64 s3, s27, v14
	ds_store_b32 v13, v15
	v_add_nc_u32_e32 v13, 0x200, v13
	s_wait_alu 0xfffe
	s_or_b32 s36, s3, s36
	s_wait_alu 0xfffe
	s_and_not1_b32 exec_lo, exec_lo, s36
	s_cbranch_execnz .LBB158_27
; %bb.28:
	s_or_b32 exec_lo, exec_lo, s36
.LBB158_29:
	s_wait_alu 0xfffe
	s_or_b32 exec_lo, exec_lo, s33
	ds_bpermute_b32 v4, v4, v11
	s_wait_dscnt 0x0
	v_add_f32_e32 v4, v11, v4
	ds_bpermute_b32 v5, v5, v4
	s_wait_dscnt 0x0
	v_add_f32_e32 v4, v4, v5
	;; [unrolled: 3-line block ×5, first 2 shown]
	s_and_saveexec_b32 s3, vcc_lo
; %bb.30:
	ds_store_b32 v8, v4 offset:256
; %bb.31:
	s_wait_alu 0xfffe
	s_or_b32 exec_lo, exec_lo, s3
	s_wait_loadcnt_dscnt 0x0
	s_barrier_signal -1
	s_barrier_wait -1
	global_inv scope:SCOPE_SE
	s_and_saveexec_b32 s3, s0
; %bb.32:
	ds_load_b32 v4, v12 offset:256
; %bb.33:
	s_wait_alu 0xfffe
	s_or_b32 exec_lo, exec_lo, s3
	s_wait_dscnt 0x0
	ds_bpermute_b32 v3, v3, v4
	s_wait_dscnt 0x0
	v_add_f32_e32 v3, v4, v3
	ds_bpermute_b32 v4, v45, v3
	s_wait_dscnt 0x0
	v_dual_add_f32 v3, v3, v4 :: v_dual_mov_b32 v4, 0
	ds_bpermute_b32 v3, v4, v3
	s_and_saveexec_b32 s0, s1
	s_cbranch_execz .LBB158_36
; %bb.34:
	s_wait_dscnt 0x0
	v_add_f32_e32 v4, 0x358637bd, v3
	s_mov_b32 s1, 0
	s_delay_alu instid0(VALU_DEP_1) | instskip(SKIP_1) | instid1(VALU_DEP_2)
	v_div_scale_f32 v5, null, v4, v4, 1.0
	v_div_scale_f32 v11, vcc_lo, 1.0, v4, 1.0
	v_rcp_f32_e32 v7, v5
	s_delay_alu instid0(TRANS32_DEP_1) | instskip(NEXT) | instid1(VALU_DEP_1)
	v_fma_f32 v8, -v5, v7, 1.0
	v_fmac_f32_e32 v7, v8, v7
	s_delay_alu instid0(VALU_DEP_1) | instskip(NEXT) | instid1(VALU_DEP_1)
	v_mul_f32_e32 v8, v11, v7
	v_fma_f32 v12, -v5, v8, v11
	s_delay_alu instid0(VALU_DEP_1) | instskip(NEXT) | instid1(VALU_DEP_1)
	v_fmac_f32_e32 v8, v12, v7
	v_fma_f32 v5, -v5, v8, v11
	s_wait_alu 0xfffd
	s_delay_alu instid0(VALU_DEP_1) | instskip(NEXT) | instid1(VALU_DEP_1)
	v_div_fmas_f32 v5, v5, v7, v8
	v_div_fixup_f32 v4, v5, v4, 1.0
	v_mov_b32_e32 v5, v0
.LBB158_35:                             ; =>This Inner Loop Header: Depth=1
	ds_load_b32 v7, v6
	v_add_nc_u32_e32 v5, 0x80, v5
	s_delay_alu instid0(VALU_DEP_1)
	v_cmp_le_i32_e32 vcc_lo, s27, v5
	s_wait_alu 0xfffe
	s_or_b32 s1, vcc_lo, s1
	s_wait_dscnt 0x0
	v_mul_f32_e32 v7, v4, v7
	ds_store_b32 v6, v7
	v_add_nc_u32_e32 v6, 0x200, v6
	s_wait_alu 0xfffe
	s_and_not1_b32 exec_lo, exec_lo, s1
	s_cbranch_execnz .LBB158_35
.LBB158_36:
	s_wait_alu 0xfffe
	s_or_b32 exec_lo, exec_lo, s0
	s_mul_i32 s0, s8, s20
	s_wait_loadcnt_dscnt 0x0
	s_wait_alu 0xfffe
	s_mul_i32 s20, s0, s21
	s_mov_b32 s0, exec_lo
	s_barrier_signal -1
	s_barrier_wait -1
	global_inv scope:SCOPE_SE
	v_cmpx_eq_u32_e32 0, v0
	s_cbranch_execz .LBB158_38
; %bb.37:
	s_ashr_i32 s21, s20, 31
	s_wait_alu 0xfffe
	s_mul_i32 s36, s8, ttmp9
	s_lshl_b32 s1, s30, 2
	s_lshl_b64 s[38:39], s[20:21], 2
	s_wait_alu 0xfffe
	s_ashr_i32 s37, s36, 31
	v_mov_b32_e32 v4, s1
	s_wait_kmcnt 0x0
	s_add_nc_u64 s[6:7], s[6:7], s[38:39]
	s_wait_alu 0xfffe
	s_lshl_b64 s[36:37], s[36:37], 2
	s_add_nc_u64 s[4:5], s[4:5], s[38:39]
	s_wait_alu 0xfffe
	s_add_nc_u64 s[6:7], s[6:7], s[36:37]
	s_add_nc_u64 s[4:5], s[4:5], s[36:37]
	s_clause 0x1
	global_store_b32 v4, v2, s[6:7]
	global_store_b32 v4, v3, s[4:5]
.LBB158_38:
	s_wait_alu 0xfffe
	s_or_b32 exec_lo, exec_lo, s0
	v_lshrrev_b32_e32 v44, 1, v1
	s_and_saveexec_b32 s0, s2
	s_wait_alu 0xfffe
	s_xor_b32 s0, exec_lo, s0
; %bb.39:
	v_lshrrev_b32_e32 v44, 1, v1
                                        ; implicit-def: $vgpr42
                                        ; implicit-def: $vgpr43
                                        ; implicit-def: $vgpr9
                                        ; implicit-def: $vgpr10
; %bb.40:
	s_wait_kmcnt 0x0
	s_wait_alu 0xfffe
	s_or_saveexec_b32 s4, s0
	v_dual_mov_b32 v53, 0 :: v_dual_mov_b32 v52, 0
	v_dual_mov_b32 v51, 0 :: v_dual_mov_b32 v50, 0
	;; [unrolled: 1-line block ×4, first 2 shown]
	s_wait_alu 0xfffe
	s_xor_b32 exec_lo, exec_lo, s4
	s_cbranch_execz .LBB158_64
; %bb.41:
	s_abs_i32 s5, s10
	s_mov_b32 s7, s13
	s_wait_alu 0xfffe
	s_cvt_f32_u32 s0, s5
	v_dual_mov_b32 v47, 0 :: v_dual_and_b32 v54, 8, v9
	v_dual_mov_b32 v46, 0 :: v_dual_lshlrev_b32 v3, 5, v40
	s_wait_alu 0xfffe
	v_rcp_iflag_f32_e32 v1, s0
	s_lshl_b64 s[0:1], s[24:25], 2
	v_or_b32_e32 v2, 0x70, v44
	s_wait_alu 0xfffe
	s_add_nc_u64 s[0:1], s[22:23], s[0:1]
	s_sub_co_i32 s21, 0, s5
	s_wait_alu 0xfffe
	v_add_co_u32 v37, s0, s0, v10
	s_wait_alu 0xf1ff
	v_add_co_ci_u32_e64 v38, null, s1, 0, s0
	v_lshl_or_b32 v4, v2, 4, v54
	v_readfirstlane_b32 s13, v1
	v_lshl_or_b32 v1, v41, 6, v3
	v_lshl_or_b32 v3, v44, 4, v54
	s_ashr_i32 s27, s26, 31
	v_dual_mov_b32 v50, 0 :: v_dual_lshlrev_b32 v57, 1, v4
	s_mul_f32 s13, s13, 0x4f7ffffe
	v_dual_mov_b32 v48, 0 :: v_dual_add_nc_u32 v55, 0x110, v1
	v_dual_mov_b32 v49, 0 :: v_dual_lshlrev_b32 v56, 1, v3
	s_wait_alu 0xfffe
	s_cvt_u32_f32 s0, s13
	v_dual_mov_b32 v51, 0 :: v_dual_mov_b32 v52, 0
	v_mov_b32_e32 v53, 0
	s_wait_alu 0xfffe
	s_mul_i32 s21, s21, s0
	s_lshl_b64 s[2:3], s[26:27], 1
	s_mul_hi_u32 s1, s0, s21
	s_sub_co_i32 s6, s35, s9
	s_add_co_i32 s10, s34, -1
	s_mov_b32 s9, 0
	s_wait_alu 0xfffe
	s_add_nc_u64 s[2:3], s[28:29], s[2:3]
	s_mov_b32 s13, s31
	s_add_co_i32 s21, s0, s1
	v_cmp_gt_u32_e32 vcc_lo, 0x78, v2
	s_branch .LBB158_45
.LBB158_42:                             ;   in Loop: Header=BB158_45 Depth=1
	s_wait_alu 0xfffe
	s_or_b32 exec_lo, exec_lo, s1
	v_lshlrev_b32_e32 v58, 16, v29
	s_wait_loadcnt 0x0
	v_lshlrev_b32_e32 v60, 16, v26
	v_lshlrev_b32_e32 v31, 16, v25
	v_and_b32_e32 v62, 0xffff0000, v61
	v_lshlrev_b32_e32 v65, 16, v32
	v_and_b32_e32 v59, 0xffff0000, v29
	v_and_b32_e32 v26, 0xffff0000, v26
	;; [unrolled: 1-line block ×3, first 2 shown]
	v_dual_mul_f32 v31, v58, v31 :: v_dual_and_b32 v66, 0xffff0000, v32
	s_delay_alu instid0(VALU_DEP_2) | instskip(NEXT) | instid1(VALU_DEP_2)
	v_dual_mul_f32 v26, v62, v26 :: v_dual_mul_f32 v25, v59, v25
	v_bfe_u32 v59, v31, 16, 1
	v_or_b32_e32 v62, 0x400000, v31
	v_cmp_u_f32_e64 s0, v31, v31
	s_delay_alu instid0(VALU_DEP_4) | instskip(NEXT) | instid1(VALU_DEP_4)
	v_or_b32_e32 v63, 0x400000, v25
	v_add3_u32 v59, v59, v31, 0x7fff
	s_wait_alu 0xf1ff
	s_delay_alu instid0(VALU_DEP_1) | instskip(SKIP_3) | instid1(VALU_DEP_4)
	v_cndmask_b32_e64 v31, v59, v62, s0
	v_lshlrev_b32_e32 v59, 16, v27
	v_and_b32_e32 v27, 0xffff0000, v27
	v_cmp_u_f32_e64 s0, v25, v25
	v_and_b32_e32 v31, 0xffff0000, v31
	v_lshlrev_b32_e32 v62, 16, v30
	s_delay_alu instid0(VALU_DEP_1) | instskip(NEXT) | instid1(VALU_DEP_1)
	v_dual_mul_f32 v59, v62, v59 :: v_dual_and_b32 v62, 0xffff0000, v30
	v_dual_mul_f32 v27, v62, v27 :: v_dual_lshlrev_b32 v58, 16, v61
	s_delay_alu instid0(VALU_DEP_1) | instskip(SKIP_1) | instid1(VALU_DEP_2)
	v_mul_f32_e32 v58, v58, v60
	v_bfe_u32 v60, v25, 16, 1
	v_bfe_u32 v64, v58, 16, 1
	s_delay_alu instid0(VALU_DEP_2) | instskip(SKIP_1) | instid1(VALU_DEP_1)
	v_add3_u32 v60, v60, v25, 0x7fff
	s_wait_alu 0xf1ff
	v_cndmask_b32_e64 v25, v60, v63, s0
	s_delay_alu instid0(VALU_DEP_3)
	v_add3_u32 v60, v64, v58, 0x7fff
	v_or_b32_e32 v63, 0x400000, v58
	v_bfe_u32 v64, v26, 16, 1
	v_cmp_u_f32_e64 s0, v58, v58
	v_and_b32_e32 v25, 0xffff0000, v25
	s_wait_alu 0xf1ff
	s_delay_alu instid0(VALU_DEP_2)
	v_cndmask_b32_e64 v58, v60, v63, s0
	v_add3_u32 v60, v64, v26, 0x7fff
	v_or_b32_e32 v63, 0x400000, v26
	v_cmp_u_f32_e64 s0, v26, v26
	v_bfe_u32 v64, v59, 16, 1
	v_dual_add_f32 v25, v31, v25 :: v_dual_and_b32 v58, 0xffff0000, v58
	s_wait_alu 0xf1ff
	s_delay_alu instid0(VALU_DEP_3)
	v_cndmask_b32_e64 v26, v60, v63, s0
	v_bfe_u32 v60, v27, 16, 1
	v_add3_u32 v63, v64, v59, 0x7fff
	v_or_b32_e32 v64, 0x400000, v59
	v_cmp_u_f32_e64 s0, v59, v59
	v_and_b32_e32 v26, 0xffff0000, v26
	v_add3_u32 v60, v60, v27, 0x7fff
	s_wait_alu 0xf1ff
	s_delay_alu instid0(VALU_DEP_3) | instskip(NEXT) | instid1(VALU_DEP_3)
	v_cndmask_b32_e64 v59, v63, v64, s0
	v_add_f32_e32 v26, v58, v26
	v_cmp_u_f32_e64 s0, v27, v27
	s_delay_alu instid0(VALU_DEP_3) | instskip(NEXT) | instid1(VALU_DEP_3)
	v_and_b32_e32 v31, 0xffff0000, v59
	v_dual_add_f32 v25, v26, v25 :: v_dual_lshlrev_b32 v62, 16, v28
	s_delay_alu instid0(VALU_DEP_1) | instskip(SKIP_2) | instid1(VALU_DEP_1)
	v_mul_f32_e32 v62, v65, v62
	v_or_b32_e32 v65, 0x400000, v27
	s_wait_alu 0xf1ff
	v_cndmask_b32_e64 v27, v60, v65, s0
	s_delay_alu instid0(VALU_DEP_3) | instskip(NEXT) | instid1(VALU_DEP_2)
	v_or_b32_e32 v65, 0x400000, v62
	v_and_b32_e32 v27, 0xffff0000, v27
	s_delay_alu instid0(VALU_DEP_1) | instskip(NEXT) | instid1(VALU_DEP_1)
	v_add_f32_e32 v26, v31, v27
	v_dual_add_f32 v25, v26, v25 :: v_dual_and_b32 v28, 0xffff0000, v28
	s_delay_alu instid0(VALU_DEP_1) | instskip(SKIP_1) | instid1(VALU_DEP_2)
	v_mul_f32_e32 v28, v66, v28
	v_bfe_u32 v66, v62, 16, 1
	v_bfe_u32 v67, v28, 16, 1
	v_or_b32_e32 v64, 0x400000, v28
	v_cmp_u_f32_e64 s0, v28, v28
	s_delay_alu instid0(VALU_DEP_4) | instskip(NEXT) | instid1(VALU_DEP_4)
	v_add3_u32 v60, v66, v62, 0x7fff
	v_add3_u32 v63, v67, v28, 0x7fff
	s_wait_alu 0xf1ff
	s_delay_alu instid0(VALU_DEP_1) | instskip(SKIP_1) | instid1(VALU_DEP_2)
	v_cndmask_b32_e64 v28, v63, v64, s0
	v_cmp_u_f32_e64 s0, v62, v62
	v_and_b32_e32 v27, 0xffff0000, v28
	s_wait_alu 0xf1ff
	s_delay_alu instid0(VALU_DEP_2) | instskip(NEXT) | instid1(VALU_DEP_1)
	v_cndmask_b32_e64 v58, v60, v65, s0
	v_and_b32_e32 v28, 0xffff0000, v58
	s_delay_alu instid0(VALU_DEP_1) | instskip(NEXT) | instid1(VALU_DEP_1)
	v_add_f32_e32 v26, v28, v27
	v_add_f32_e32 v25, v26, v25
	s_delay_alu instid0(VALU_DEP_1)
	v_add_f32_e32 v46, v46, v25
.LBB158_43:                             ;   in Loop: Header=BB158_45 Depth=1
	s_or_b32 exec_lo, exec_lo, s23
	s_wait_loadcnt 0x0
	v_and_b32_e32 v28, 0xffff0000, v34
	v_and_b32_e32 v60, 0xffff0000, v35
	;; [unrolled: 1-line block ×5, first 2 shown]
	v_lshlrev_b32_e32 v34, 16, v34
	s_delay_alu instid0(VALU_DEP_4) | instskip(SKIP_4) | instid1(VALU_DEP_2)
	v_dual_mul_f32 v28, v27, v28 :: v_dual_lshlrev_b32 v29, 16, v29
	v_lshlrev_b32_e32 v35, 16, v35
	v_lshlrev_b32_e32 v26, 16, v33
	v_and_b32_e32 v25, 0xffff0000, v33
	v_lshlrev_b32_e32 v36, 16, v36
	v_dual_mul_f32 v58, v29, v26 :: v_dual_mul_f32 v33, v31, v25
	v_lshlrev_b32_e32 v26, 16, v61
	s_delay_alu instid0(VALU_DEP_2) | instskip(NEXT) | instid1(VALU_DEP_3)
	v_bfe_u32 v61, v58, 16, 1
	v_bfe_u32 v59, v33, 16, 1
	v_or_b32_e32 v62, 0x400000, v33
	v_cmp_u_f32_e64 s0, v33, v33
	v_or_b32_e32 v63, 0x400000, v58
	v_add3_u32 v61, v61, v58, 0x7fff
	v_add3_u32 v59, v59, v33, 0x7fff
	v_mul_f32_e32 v34, v26, v34
	s_wait_alu 0xf1ff
	s_delay_alu instid0(VALU_DEP_2) | instskip(SKIP_3) | instid1(VALU_DEP_3)
	v_cndmask_b32_e64 v33, v59, v62, s0
	v_bfe_u32 v59, v28, 16, 1
	v_cmp_u_f32_e64 s0, v58, v58
	v_bfe_u32 v62, v34, 16, 1
	v_add3_u32 v59, v59, v28, 0x7fff
	s_wait_alu 0xf1ff
	s_delay_alu instid0(VALU_DEP_3) | instskip(SKIP_2) | instid1(VALU_DEP_3)
	v_cndmask_b32_e64 v58, v61, v63, s0
	v_or_b32_e32 v61, 0x400000, v28
	v_cmp_u_f32_e64 s0, v28, v28
	v_and_b32_e32 v58, 0xffff0000, v58
	s_wait_alu 0xf1ff
	s_delay_alu instid0(VALU_DEP_2) | instskip(SKIP_3) | instid1(VALU_DEP_4)
	v_cndmask_b32_e64 v59, v59, v61, s0
	v_add3_u32 v61, v62, v34, 0x7fff
	v_or_b32_e32 v62, 0x400000, v34
	v_cmp_u_f32_e64 s0, v34, v34
	v_and_b32_e32 v59, 0xffff0000, v59
	s_wait_alu 0xf1ff
	s_delay_alu instid0(VALU_DEP_2) | instskip(NEXT) | instid1(VALU_DEP_1)
	v_cndmask_b32_e64 v34, v61, v62, s0
	v_and_b32_e32 v34, 0xffff0000, v34
	s_delay_alu instid0(VALU_DEP_1) | instskip(NEXT) | instid1(VALU_DEP_1)
	v_dual_add_f32 v34, v34, v59 :: v_dual_and_b32 v33, 0xffff0000, v33
	v_add_f32_e32 v33, v58, v33
	v_and_b32_e32 v58, 0xffff0000, v21
	v_lshlrev_b32_e32 v21, 16, v21
	v_and_b32_e32 v28, 0xffff0000, v32
	v_lshlrev_b32_e32 v32, 16, v32
	v_and_b32_e32 v25, 0xffff0000, v30
	v_dual_add_f32 v33, v34, v33 :: v_dual_lshlrev_b32 v30, 16, v30
	v_mul_f32_e32 v34, v31, v58
	s_delay_alu instid0(VALU_DEP_4) | instskip(NEXT) | instid1(VALU_DEP_3)
	v_mul_f32_e32 v36, v32, v36
	v_dual_mul_f32 v60, v25, v60 :: v_dual_mul_f32 v35, v30, v35
	v_mul_f32_e32 v21, v29, v21
	s_delay_alu instid0(VALU_DEP_4) | instskip(NEXT) | instid1(VALU_DEP_3)
	v_bfe_u32 v58, v34, 16, 1
	v_bfe_u32 v63, v60, 16, 1
	v_or_b32_e32 v65, 0x400000, v60
	v_bfe_u32 v66, v35, 16, 1
	v_cmp_u_f32_e64 s0, v60, v60
	v_add3_u32 v58, v58, v34, 0x7fff
	v_add3_u32 v63, v63, v60, 0x7fff
	s_delay_alu instid0(VALU_DEP_4) | instskip(SKIP_1) | instid1(VALU_DEP_2)
	v_add3_u32 v62, v66, v35, 0x7fff
	s_wait_alu 0xf1ff
	v_cndmask_b32_e64 v60, v63, v65, s0
	v_or_b32_e32 v63, 0x400000, v35
	v_cmp_u_f32_e64 s0, v35, v35
	s_delay_alu instid0(VALU_DEP_3) | instskip(SKIP_1) | instid1(VALU_DEP_2)
	v_and_b32_e32 v59, 0xffff0000, v60
	s_wait_alu 0xf1ff
	v_cndmask_b32_e64 v35, v62, v63, s0
	s_delay_alu instid0(VALU_DEP_1) | instskip(NEXT) | instid1(VALU_DEP_1)
	v_and_b32_e32 v35, 0xffff0000, v35
	v_add_f32_e32 v35, v35, v59
	v_or_b32_e32 v59, 0x400000, v34
	s_delay_alu instid0(VALU_DEP_2) | instskip(SKIP_3) | instid1(VALU_DEP_3)
	v_add_f32_e32 v33, v35, v33
	v_mul_f32_e32 v61, v28, v64
	v_and_b32_e32 v35, 0xffff0000, v22
	v_lshlrev_b32_e32 v22, 16, v22
	v_bfe_u32 v64, v61, 16, 1
	v_or_b32_e32 v63, 0x400000, v61
	v_cmp_u_f32_e64 s0, v61, v61
	s_delay_alu instid0(VALU_DEP_4) | instskip(NEXT) | instid1(VALU_DEP_4)
	v_dual_mul_f32 v35, v27, v35 :: v_dual_mul_f32 v22, v26, v22
	v_add3_u32 v62, v64, v61, 0x7fff
	s_wait_alu 0xf1ff
	s_delay_alu instid0(VALU_DEP_1) | instskip(SKIP_2) | instid1(VALU_DEP_2)
	v_cndmask_b32_e64 v61, v62, v63, s0
	v_bfe_u32 v62, v36, 16, 1
	v_cmp_u_f32_e64 s0, v36, v36
	v_add3_u32 v60, v62, v36, 0x7fff
	v_or_b32_e32 v62, 0x400000, v36
	s_wait_alu 0xf1ff
	s_delay_alu instid0(VALU_DEP_1)
	v_cndmask_b32_e64 v36, v60, v62, s0
	v_bfe_u32 v60, v21, 16, 1
	v_cmp_u_f32_e64 s0, v34, v34
	v_and_b32_e32 v62, 0xffff0000, v23
	v_lshlrev_b32_e32 v23, 16, v23
	s_wait_alu 0xf1ff
	s_delay_alu instid0(VALU_DEP_3)
	v_cndmask_b32_e64 v34, v58, v59, s0
	v_add3_u32 v58, v60, v21, 0x7fff
	v_or_b32_e32 v59, 0x400000, v21
	v_bfe_u32 v60, v35, 16, 1
	v_cmp_u_f32_e64 s0, v21, v21
	v_dual_mul_f32 v62, v25, v62 :: v_dual_mul_f32 v23, v30, v23
	v_and_b32_e32 v34, 0xffff0000, v34
	s_wait_alu 0xf1ff
	s_delay_alu instid0(VALU_DEP_3)
	v_cndmask_b32_e64 v21, v58, v59, s0
	v_add3_u32 v58, v60, v35, 0x7fff
	v_or_b32_e32 v59, 0x400000, v35
	v_bfe_u32 v60, v22, 16, 1
	v_cmp_u_f32_e64 s0, v35, v35
	v_or_b32_e32 v64, 0x400000, v23
	s_wait_alu 0xf1ff
	s_delay_alu instid0(VALU_DEP_2)
	v_cndmask_b32_e64 v35, v58, v59, s0
	v_add3_u32 v58, v60, v22, 0x7fff
	v_or_b32_e32 v59, 0x400000, v22
	v_cmp_u_f32_e64 s0, v22, v22
	v_bfe_u32 v60, v62, 16, 1
	v_and_b32_e32 v35, 0xffff0000, v35
	s_wait_alu 0xf1ff
	s_delay_alu instid0(VALU_DEP_3) | instskip(SKIP_3) | instid1(VALU_DEP_4)
	v_cndmask_b32_e64 v22, v58, v59, s0
	v_bfe_u32 v58, v23, 16, 1
	v_add3_u32 v59, v60, v62, 0x7fff
	v_cmp_u_f32_e64 s0, v62, v62
	v_and_b32_e32 v22, 0xffff0000, v22
	v_and_b32_e32 v63, 0xffff0000, v24
	v_add3_u32 v58, v58, v23, 0x7fff
	s_delay_alu instid0(VALU_DEP_3) | instskip(NEXT) | instid1(VALU_DEP_3)
	v_add_f32_e32 v22, v22, v35
	v_mul_f32_e32 v60, v28, v63
	v_or_b32_e32 v63, 0x400000, v62
	s_delay_alu instid0(VALU_DEP_2) | instskip(SKIP_1) | instid1(VALU_DEP_2)
	v_bfe_u32 v65, v60, 16, 1
	s_wait_alu 0xf1ff
	v_cndmask_b32_e64 v59, v59, v63, s0
	v_cmp_u_f32_e64 s0, v23, v23
	s_wait_alu 0xf1ff
	s_delay_alu instid0(VALU_DEP_1) | instskip(SKIP_2) | instid1(VALU_DEP_3)
	v_cndmask_b32_e64 v23, v58, v64, s0
	v_add3_u32 v58, v65, v60, 0x7fff
	v_or_b32_e32 v64, 0x400000, v60
	v_and_b32_e32 v23, 0xffff0000, v23
	v_and_b32_e32 v21, 0xffff0000, v21
	s_delay_alu instid0(VALU_DEP_1) | instskip(NEXT) | instid1(VALU_DEP_1)
	v_dual_add_f32 v21, v21, v34 :: v_dual_and_b32 v34, 0xffff0000, v59
	v_dual_add_f32 v21, v22, v21 :: v_dual_add_f32 v22, v23, v34
	v_and_b32_e32 v34, 0xffff0000, v17
	s_delay_alu instid0(VALU_DEP_2) | instskip(SKIP_1) | instid1(VALU_DEP_1)
	v_dual_add_f32 v21, v22, v21 :: v_dual_and_b32 v36, 0xffff0000, v36
	v_lshlrev_b32_e32 v24, 16, v24
	v_mul_f32_e32 v24, v32, v24
	s_delay_alu instid0(VALU_DEP_1) | instskip(SKIP_2) | instid1(VALU_DEP_3)
	v_bfe_u32 v66, v24, 16, 1
	v_or_b32_e32 v63, 0x400000, v24
	v_cmp_u_f32_e64 s0, v24, v24
	v_add3_u32 v62, v66, v24, 0x7fff
	s_wait_alu 0xf1ff
	s_delay_alu instid0(VALU_DEP_1) | instskip(SKIP_1) | instid1(VALU_DEP_2)
	v_cndmask_b32_e64 v24, v62, v63, s0
	v_cmp_u_f32_e64 s0, v60, v60
	v_and_b32_e32 v23, 0xffff0000, v24
	s_wait_alu 0xf1ff
	s_delay_alu instid0(VALU_DEP_2) | instskip(NEXT) | instid1(VALU_DEP_1)
	v_cndmask_b32_e64 v35, v58, v64, s0
	v_and_b32_e32 v24, 0xffff0000, v35
	s_delay_alu instid0(VALU_DEP_1) | instskip(SKIP_1) | instid1(VALU_DEP_2)
	v_add_f32_e32 v22, v23, v24
	v_mul_f32_e32 v23, v31, v34
	v_add_f32_e32 v21, v22, v21
	s_delay_alu instid0(VALU_DEP_2) | instskip(SKIP_1) | instid1(VALU_DEP_3)
	v_bfe_u32 v22, v23, 16, 1
	v_cmp_u_f32_e64 s0, v23, v23
	v_add_f32_e32 v48, v48, v21
	s_delay_alu instid0(VALU_DEP_3)
	v_add3_u32 v21, v22, v23, 0x7fff
	v_or_b32_e32 v22, 0x400000, v23
	v_and_b32_e32 v23, 0xffff0000, v19
	v_and_b32_e32 v58, 0xffff0000, v61
	v_lshlrev_b32_e32 v19, 16, v19
	s_wait_alu 0xf1ff
	v_cndmask_b32_e64 v21, v21, v22, s0
	v_mul_f32_e32 v23, v25, v23
	v_add_f32_e32 v35, v36, v58
	v_mul_f32_e32 v19, v30, v19
	s_delay_alu instid0(VALU_DEP_4) | instskip(NEXT) | instid1(VALU_DEP_3)
	v_and_b32_e32 v21, 0xffff0000, v21
	v_dual_add_f32 v24, v35, v33 :: v_dual_and_b32 v35, 0xffff0000, v20
	v_lshlrev_b32_e32 v20, 16, v20
	v_lshlrev_b32_e32 v17, 16, v17
	v_and_b32_e32 v33, 0xffff0000, v18
	s_delay_alu instid0(VALU_DEP_4) | instskip(NEXT) | instid1(VALU_DEP_3)
	v_dual_add_f32 v47, v47, v24 :: v_dual_lshlrev_b32 v18, 16, v18
	v_dual_mul_f32 v20, v32, v20 :: v_dual_mul_f32 v17, v29, v17
	s_delay_alu instid0(VALU_DEP_3) | instskip(SKIP_1) | instid1(VALU_DEP_4)
	v_mul_f32_e32 v33, v27, v33
	v_bfe_u32 v36, v19, 16, 1
	v_mul_f32_e32 v18, v26, v18
	s_delay_alu instid0(VALU_DEP_4) | instskip(SKIP_3) | instid1(VALU_DEP_4)
	v_bfe_u32 v24, v17, 16, 1
	v_or_b32_e32 v34, 0x400000, v17
	v_bfe_u32 v22, v33, 16, 1
	v_cmp_u_f32_e64 s0, v17, v17
	v_add3_u32 v24, v24, v17, 0x7fff
	s_delay_alu instid0(VALU_DEP_3) | instskip(SKIP_1) | instid1(VALU_DEP_2)
	v_add3_u32 v22, v22, v33, 0x7fff
	s_wait_alu 0xf1ff
	v_cndmask_b32_e64 v17, v24, v34, s0
	v_or_b32_e32 v24, 0x400000, v33
	v_bfe_u32 v34, v18, 16, 1
	v_cmp_u_f32_e64 s0, v33, v33
	v_or_b32_e32 v33, 0x400000, v18
	v_and_b32_e32 v17, 0xffff0000, v17
	s_wait_alu 0xf1ff
	s_delay_alu instid0(VALU_DEP_3)
	v_cndmask_b32_e64 v22, v22, v24, s0
	v_add3_u32 v24, v34, v18, 0x7fff
	v_bfe_u32 v34, v23, 16, 1
	v_cmp_u_f32_e64 s0, v18, v18
	v_add_f32_e32 v17, v17, v21
	s_wait_alu 0xf1ff
	s_delay_alu instid0(VALU_DEP_2)
	v_cndmask_b32_e64 v18, v24, v33, s0
	v_add3_u32 v24, v34, v23, 0x7fff
	v_or_b32_e32 v34, 0x400000, v23
	v_cmp_u_f32_e64 s0, v23, v23
	v_mul_f32_e32 v33, v28, v35
	v_add3_u32 v35, v36, v19, 0x7fff
	v_or_b32_e32 v36, 0x400000, v19
	v_and_b32_e32 v18, 0xffff0000, v18
	s_wait_alu 0xf1ff
	v_cndmask_b32_e64 v23, v24, v34, s0
	v_cmp_u_f32_e64 s0, v19, v19
	v_bfe_u32 v58, v33, 16, 1
	v_or_b32_e32 v34, 0x400000, v33
	s_delay_alu instid0(VALU_DEP_4)
	v_and_b32_e32 v21, 0xffff0000, v23
	s_wait_alu 0xf1ff
	v_cndmask_b32_e64 v19, v35, v36, s0
	v_add3_u32 v24, v58, v33, 0x7fff
	v_bfe_u32 v35, v20, 16, 1
	v_cmp_u_f32_e64 s0, v33, v33
	s_delay_alu instid0(VALU_DEP_4) | instskip(NEXT) | instid1(VALU_DEP_3)
	v_and_b32_e32 v19, 0xffff0000, v19
	v_add3_u32 v33, v35, v20, 0x7fff
	s_wait_alu 0xf1ff
	s_delay_alu instid0(VALU_DEP_3) | instskip(SKIP_3) | instid1(VALU_DEP_2)
	v_cndmask_b32_e64 v24, v24, v34, s0
	v_or_b32_e32 v34, 0x400000, v20
	v_dual_add_f32 v19, v19, v21 :: v_dual_and_b32 v22, 0xffff0000, v22
	v_cmp_u_f32_e64 s0, v20, v20
	v_add_f32_e32 v18, v18, v22
	v_and_b32_e32 v22, 0xffff0000, v13
	v_lshlrev_b32_e32 v13, 16, v13
	s_wait_alu 0xf1ff
	v_cndmask_b32_e64 v20, v33, v34, s0
	v_and_b32_e32 v33, 0xffff0000, v16
	v_dual_add_f32 v17, v18, v17 :: v_dual_mul_f32 v18, v31, v22
	s_delay_alu instid0(VALU_DEP_3) | instskip(SKIP_2) | instid1(VALU_DEP_4)
	v_dual_mul_f32 v21, v29, v13 :: v_dual_and_b32 v20, 0xffff0000, v20
	v_and_b32_e32 v22, 0xffff0000, v24
	v_and_b32_e32 v24, 0xffff0000, v14
	v_bfe_u32 v23, v18, 16, 1
	v_add_f32_e32 v13, v19, v17
	v_bfe_u32 v19, v21, 16, 1
	v_dual_add_f32 v17, v20, v22 :: v_dual_lshlrev_b32 v16, 16, v16
	s_delay_alu instid0(VALU_DEP_4)
	v_add3_u32 v20, v23, v18, 0x7fff
	v_or_b32_e32 v22, 0x400000, v18
	v_dual_mul_f32 v23, v27, v24 :: v_dual_lshlrev_b32 v14, 16, v14
	v_cmp_u_f32_e64 s0, v18, v18
	v_add3_u32 v19, v19, v21, 0x7fff
	v_or_b32_e32 v24, 0x400000, v21
	v_mul_f32_e32 v16, v32, v16
	v_mul_f32_e32 v14, v26, v14
	s_wait_alu 0xf1ff
	v_cndmask_b32_e64 v18, v20, v22, s0
	v_bfe_u32 v20, v23, 16, 1
	v_cmp_u_f32_e64 s0, v21, v21
	v_or_b32_e32 v22, 0x400000, v23
	s_delay_alu instid0(VALU_DEP_3) | instskip(SKIP_1) | instid1(VALU_DEP_3)
	v_add3_u32 v20, v20, v23, 0x7fff
	s_wait_alu 0xf1ff
	v_cndmask_b32_e64 v19, v19, v24, s0
	v_bfe_u32 v24, v14, 16, 1
	v_cmp_u_f32_e64 s0, v23, v23
	v_or_b32_e32 v23, 0x400000, v14
	s_delay_alu instid0(VALU_DEP_4) | instskip(SKIP_1) | instid1(VALU_DEP_3)
	v_and_b32_e32 v19, 0xffff0000, v19
	s_wait_alu 0xf1ff
	v_cndmask_b32_e64 v20, v20, v22, s0
	v_add3_u32 v22, v24, v14, 0x7fff
	v_cmp_u_f32_e64 s0, v14, v14
	s_delay_alu instid0(VALU_DEP_3) | instskip(SKIP_1) | instid1(VALU_DEP_2)
	v_and_b32_e32 v20, 0xffff0000, v20
	s_wait_alu 0xf1ff
	v_cndmask_b32_e64 v14, v22, v23, s0
	s_delay_alu instid0(VALU_DEP_1) | instskip(NEXT) | instid1(VALU_DEP_1)
	v_dual_mul_f32 v23, v28, v33 :: v_dual_and_b32 v14, 0xffff0000, v14
	v_bfe_u32 v35, v23, 16, 1
	s_delay_alu instid0(VALU_DEP_2) | instskip(SKIP_2) | instid1(VALU_DEP_1)
	v_add_f32_e32 v14, v14, v20
	v_and_b32_e32 v20, 0xffff0000, v9
	v_lshlrev_b32_e32 v9, 16, v9
	v_dual_mul_f32 v9, v29, v9 :: v_dual_and_b32 v18, 0xffff0000, v18
	s_delay_alu instid0(VALU_DEP_1) | instskip(NEXT) | instid1(VALU_DEP_1)
	v_add_f32_e32 v18, v19, v18
	v_add_f32_e32 v14, v14, v18
	v_mul_f32_e32 v18, v31, v20
	v_and_b32_e32 v20, 0xffff0000, v10
	v_lshlrev_b32_e32 v10, 16, v10
	v_and_b32_e32 v21, 0xffff0000, v15
	s_delay_alu instid0(VALU_DEP_2) | instskip(NEXT) | instid1(VALU_DEP_2)
	v_dual_mul_f32 v10, v26, v10 :: v_dual_lshlrev_b32 v15, 16, v15
	v_mul_f32_e32 v21, v25, v21
	s_delay_alu instid0(VALU_DEP_2) | instskip(NEXT) | instid1(VALU_DEP_2)
	v_mul_f32_e32 v15, v30, v15
	v_bfe_u32 v24, v21, 16, 1
	s_delay_alu instid0(VALU_DEP_2) | instskip(SKIP_1) | instid1(VALU_DEP_3)
	v_bfe_u32 v34, v15, 16, 1
	v_cmp_u_f32_e64 s0, v21, v21
	v_add3_u32 v22, v24, v21, 0x7fff
	v_or_b32_e32 v24, 0x400000, v21
	s_delay_alu instid0(VALU_DEP_4) | instskip(SKIP_2) | instid1(VALU_DEP_3)
	v_add3_u32 v33, v34, v15, 0x7fff
	v_or_b32_e32 v34, 0x400000, v15
	s_wait_alu 0xf1ff
	v_cndmask_b32_e64 v21, v22, v24, s0
	v_cmp_u_f32_e64 s0, v15, v15
	v_add3_u32 v22, v35, v23, 0x7fff
	v_or_b32_e32 v24, 0x400000, v23
	s_delay_alu instid0(VALU_DEP_4)
	v_and_b32_e32 v19, 0xffff0000, v21
	s_wait_alu 0xf1ff
	v_cndmask_b32_e64 v15, v33, v34, s0
	v_bfe_u32 v33, v16, 16, 1
	v_cmp_u_f32_e64 s0, v23, v23
	v_bfe_u32 v21, v18, 16, 1
	s_delay_alu instid0(VALU_DEP_4) | instskip(NEXT) | instid1(VALU_DEP_4)
	v_and_b32_e32 v15, 0xffff0000, v15
	v_add3_u32 v23, v33, v16, 0x7fff
	s_wait_alu 0xf1ff
	v_cndmask_b32_e64 v22, v22, v24, s0
	v_or_b32_e32 v24, 0x400000, v16
	v_cmp_u_f32_e64 s0, v16, v16
	v_add_f32_e32 v15, v15, v19
	s_delay_alu instid0(VALU_DEP_4)
	v_and_b32_e32 v19, 0xffff0000, v22
	v_or_b32_e32 v22, 0x400000, v9
	s_wait_alu 0xf1ff
	v_cndmask_b32_e64 v16, v23, v24, s0
	v_add_f32_e32 v14, v15, v14
	v_bfe_u32 v15, v9, 16, 1
	v_cmp_u_f32_e64 s0, v18, v18
	s_delay_alu instid0(VALU_DEP_4) | instskip(NEXT) | instid1(VALU_DEP_3)
	v_and_b32_e32 v16, 0xffff0000, v16
	v_add3_u32 v15, v15, v9, 0x7fff
	s_delay_alu instid0(VALU_DEP_2) | instskip(SKIP_2) | instid1(VALU_DEP_3)
	v_dual_add_f32 v16, v16, v19 :: v_dual_mul_f32 v19, v27, v20
	v_add3_u32 v20, v21, v18, 0x7fff
	v_or_b32_e32 v21, 0x400000, v18
	v_bfe_u32 v23, v19, 16, 1
	s_wait_alu 0xf1ff
	s_delay_alu instid0(VALU_DEP_2)
	v_cndmask_b32_e64 v18, v20, v21, s0
	v_cmp_u_f32_e64 s0, v9, v9
	v_or_b32_e32 v20, 0x400000, v19
	v_and_b32_e32 v21, 0xffff0000, v11
	v_lshlrev_b32_e32 v11, 16, v11
	v_and_b32_e32 v18, 0xffff0000, v18
	s_wait_alu 0xf1ff
	v_cndmask_b32_e64 v9, v15, v22, s0
	v_add3_u32 v15, v23, v19, 0x7fff
	v_bfe_u32 v22, v10, 16, 1
	v_cmp_u_f32_e64 s0, v19, v19
	v_mul_f32_e32 v19, v25, v21
	v_or_b32_e32 v21, 0x400000, v10
	v_mul_f32_e32 v11, v30, v11
	v_and_b32_e32 v9, 0xffff0000, v9
	s_wait_alu 0xf1ff
	v_cndmask_b32_e64 v15, v15, v20, s0
	v_add3_u32 v20, v22, v10, 0x7fff
	v_cmp_u_f32_e64 s0, v10, v10
	v_and_b32_e32 v22, 0xffff0000, v12
	v_bfe_u32 v23, v19, 16, 1
	v_bfe_u32 v24, v11, 16, 1
	v_and_b32_e32 v15, 0xffff0000, v15
	s_wait_alu 0xf1ff
	v_cndmask_b32_e64 v10, v20, v21, s0
	v_mul_f32_e32 v20, v28, v22
	v_add3_u32 v21, v23, v19, 0x7fff
	v_or_b32_e32 v22, 0x400000, v19
	v_cmp_u_f32_e64 s0, v19, v19
	v_and_b32_e32 v10, 0xffff0000, v10
	v_add3_u32 v23, v24, v11, 0x7fff
	v_or_b32_e32 v24, 0x400000, v11
	v_bfe_u32 v33, v20, 16, 1
	s_wait_alu 0xf1ff
	v_cndmask_b32_e64 v19, v21, v22, s0
	v_cmp_u_f32_e64 s0, v11, v11
	v_dual_add_f32 v10, v10, v15 :: v_dual_and_b32 v15, 0xffff0000, v5
	v_lshlrev_b32_e32 v5, 16, v5
	v_lshlrev_b32_e32 v12, 16, v12
	s_wait_alu 0xf1ff
	v_cndmask_b32_e64 v11, v23, v24, s0
	v_add3_u32 v21, v33, v20, 0x7fff
	v_or_b32_e32 v22, 0x400000, v20
	v_cmp_u_f32_e64 s0, v20, v20
	v_add_f32_e32 v9, v9, v18
	v_dual_mul_f32 v5, v29, v5 :: v_dual_mul_f32 v12, v32, v12
	v_and_b32_e32 v11, 0xffff0000, v11
	s_wait_alu 0xf1ff
	v_cndmask_b32_e64 v20, v21, v22, s0
	v_dual_add_f32 v9, v10, v9 :: v_dual_mul_f32 v10, v31, v15
	v_bfe_u32 v21, v12, 16, 1
	v_and_b32_e32 v18, 0xffff0000, v19
	v_cmp_u_f32_e64 s0, v12, v12
	s_delay_alu instid0(VALU_DEP_4) | instskip(NEXT) | instid1(VALU_DEP_4)
	v_bfe_u32 v15, v10, 16, 1
	v_add3_u32 v19, v21, v12, 0x7fff
	v_or_b32_e32 v21, 0x400000, v12
	v_add_f32_e32 v11, v11, v18
	v_or_b32_e32 v18, 0x400000, v10
	v_add3_u32 v15, v15, v10, 0x7fff
	s_wait_alu 0xf1ff
	v_cndmask_b32_e64 v12, v19, v21, s0
	v_and_b32_e32 v19, 0xffff0000, v20
	v_bfe_u32 v20, v5, 16, 1
	v_cmp_u_f32_e64 s0, v10, v10
	v_or_b32_e32 v21, 0x400000, v5
	v_add_f32_e32 v9, v11, v9
	s_wait_alu 0xf1ff
	s_delay_alu instid0(VALU_DEP_3)
	v_cndmask_b32_e64 v10, v15, v18, s0
	v_add3_u32 v18, v20, v5, 0x7fff
	v_cmp_u_f32_e64 s0, v5, v5
	v_and_b32_e32 v20, 0xffff0000, v7
	v_lshlrev_b32_e32 v7, 16, v7
	v_and_b32_e32 v10, 0xffff0000, v10
	s_wait_alu 0xf1ff
	v_cndmask_b32_e64 v5, v18, v21, s0
	v_mul_f32_e32 v20, v25, v20
	v_and_b32_e32 v21, 0xffff0000, v8
	v_mul_f32_e32 v7, v30, v7
	s_delay_alu instid0(VALU_DEP_4) | instskip(NEXT) | instid1(VALU_DEP_3)
	v_and_b32_e32 v5, 0xffff0000, v5
	v_dual_mul_f32 v21, v28, v21 :: v_dual_and_b32 v12, 0xffff0000, v12
	v_or_b32_e32 v23, 0x400000, v20
	s_delay_alu instid0(VALU_DEP_3) | instskip(SKIP_1) | instid1(VALU_DEP_1)
	v_add_f32_e32 v5, v5, v10
	v_and_b32_e32 v11, 0xffff0000, v6
	v_dual_mul_f32 v11, v27, v11 :: v_dual_lshlrev_b32 v6, 16, v6
	s_delay_alu instid0(VALU_DEP_1) | instskip(NEXT) | instid1(VALU_DEP_2)
	v_mul_f32_e32 v6, v26, v6
	v_bfe_u32 v15, v11, 16, 1
	v_or_b32_e32 v22, 0x400000, v11
	s_delay_alu instid0(VALU_DEP_3) | instskip(SKIP_1) | instid1(VALU_DEP_4)
	v_bfe_u32 v18, v6, 16, 1
	v_cmp_u_f32_e64 s0, v11, v11
	v_add3_u32 v15, v15, v11, 0x7fff
	s_delay_alu instid0(VALU_DEP_3) | instskip(SKIP_1) | instid1(VALU_DEP_2)
	v_add3_u32 v18, v18, v6, 0x7fff
	s_wait_alu 0xf1ff
	v_cndmask_b32_e64 v11, v15, v22, s0
	v_bfe_u32 v15, v20, 16, 1
	v_or_b32_e32 v22, 0x400000, v6
	v_cmp_u_f32_e64 s0, v6, v6
	s_delay_alu instid0(VALU_DEP_4) | instskip(NEXT) | instid1(VALU_DEP_4)
	v_and_b32_e32 v11, 0xffff0000, v11
	v_add3_u32 v15, v15, v20, 0x7fff
	s_wait_alu 0xf1ff
	s_delay_alu instid0(VALU_DEP_3)
	v_cndmask_b32_e64 v6, v18, v22, s0
	v_bfe_u32 v18, v7, 16, 1
	v_cmp_u_f32_e64 s0, v20, v20
	v_bfe_u32 v22, v21, 16, 1
	v_or_b32_e32 v20, 0x400000, v7
	v_and_b32_e32 v6, 0xffff0000, v6
	v_add3_u32 v18, v18, v7, 0x7fff
	s_wait_alu 0xf1ff
	v_cndmask_b32_e64 v15, v15, v23, s0
	v_cmp_u_f32_e64 s0, v7, v7
	v_add3_u32 v22, v22, v21, 0x7fff
	v_or_b32_e32 v23, 0x400000, v21
	v_add_f32_e32 v6, v6, v11
	v_lshlrev_b32_e32 v8, 16, v8
	s_wait_alu 0xf1ff
	v_cndmask_b32_e64 v7, v18, v20, s0
	v_cmp_u_f32_e64 s0, v21, v21
	v_dual_add_f32 v5, v6, v5 :: v_dual_and_b32 v10, 0xffff0000, v15
	s_delay_alu instid0(VALU_DEP_3) | instskip(SKIP_1) | instid1(VALU_DEP_3)
	v_dual_mul_f32 v8, v32, v8 :: v_dual_and_b32 v7, 0xffff0000, v7
	s_wait_alu 0xf1ff
	v_cndmask_b32_e64 v18, v22, v23, s0
	v_and_b32_e32 v22, 0xffff0000, v1
	v_lshlrev_b32_e32 v1, 16, v1
	v_bfe_u32 v20, v8, 16, 1
	v_add_f32_e32 v7, v7, v10
	v_or_b32_e32 v21, 0x400000, v8
	v_mul_f32_e32 v11, v31, v22
	v_cmp_u_f32_e64 s0, v8, v8
	v_add3_u32 v20, v20, v8, 0x7fff
	v_mul_f32_e32 v1, v29, v1
	v_add_f32_e32 v5, v7, v5
	v_bfe_u32 v6, v11, 16, 1
	v_or_b32_e32 v15, 0x400000, v11
	s_wait_alu 0xf1ff
	v_cndmask_b32_e64 v8, v20, v21, s0
	v_bfe_u32 v20, v1, 16, 1
	v_cmp_u_f32_e64 s0, v11, v11
	v_add3_u32 v6, v6, v11, 0x7fff
	v_and_b32_e32 v21, 0xffff0000, v3
	v_and_b32_e32 v8, 0xffff0000, v8
	v_add3_u32 v11, v20, v1, 0x7fff
	v_lshlrev_b32_e32 v3, 16, v3
	s_wait_alu 0xf1ff
	v_cndmask_b32_e64 v6, v6, v15, s0
	v_or_b32_e32 v15, 0x400000, v1
	v_cmp_u_f32_e64 s0, v1, v1
	v_mul_f32_e32 v21, v25, v21
	s_delay_alu instid0(VALU_DEP_4) | instskip(SKIP_1) | instid1(VALU_DEP_3)
	v_dual_mul_f32 v3, v30, v3 :: v_dual_and_b32 v6, 0xffff0000, v6
	s_wait_alu 0xf1ff
	v_cndmask_b32_e64 v1, v11, v15, s0
	s_delay_alu instid0(VALU_DEP_2) | instskip(NEXT) | instid1(VALU_DEP_2)
	v_or_b32_e32 v23, 0x400000, v3
	v_and_b32_e32 v1, 0xffff0000, v1
	s_delay_alu instid0(VALU_DEP_1) | instskip(SKIP_2) | instid1(VALU_DEP_2)
	v_add_f32_e32 v1, v1, v6
	v_and_b32_e32 v10, 0xffff0000, v2
	v_lshlrev_b32_e32 v2, 16, v2
	v_mul_f32_e32 v10, v27, v10
	s_delay_alu instid0(VALU_DEP_2) | instskip(NEXT) | instid1(VALU_DEP_2)
	v_mul_f32_e32 v2, v26, v2
	v_bfe_u32 v20, v10, 16, 1
	v_or_b32_e32 v15, 0x400000, v10
	v_cmp_u_f32_e64 s0, v10, v10
	s_delay_alu instid0(VALU_DEP_3) | instskip(SKIP_2) | instid1(VALU_DEP_2)
	v_add3_u32 v11, v20, v10, 0x7fff
	v_bfe_u32 v20, v2, 16, 1
	s_wait_alu 0xf1ff
	v_cndmask_b32_e64 v10, v11, v15, s0
	s_delay_alu instid0(VALU_DEP_2)
	v_add3_u32 v11, v20, v2, 0x7fff
	v_or_b32_e32 v15, 0x400000, v2
	v_cmp_u_f32_e64 s0, v2, v2
	v_bfe_u32 v20, v21, 16, 1
	v_and_b32_e32 v10, 0xffff0000, v10
	s_wait_alu 0xf1ff
	s_delay_alu instid0(VALU_DEP_3) | instskip(SKIP_3) | instid1(VALU_DEP_4)
	v_cndmask_b32_e64 v2, v11, v15, s0
	v_bfe_u32 v11, v3, 16, 1
	v_add3_u32 v15, v20, v21, 0x7fff
	v_cmp_u_f32_e64 s0, v21, v21
	v_and_b32_e32 v2, 0xffff0000, v2
	s_delay_alu instid0(VALU_DEP_4) | instskip(NEXT) | instid1(VALU_DEP_2)
	v_add3_u32 v11, v11, v3, 0x7fff
	v_add_f32_e32 v2, v2, v10
	s_delay_alu instid0(VALU_DEP_1) | instskip(SKIP_1) | instid1(VALU_DEP_2)
	v_dual_add_f32 v1, v2, v1 :: v_dual_and_b32 v22, 0xffff0000, v4
	v_lshlrev_b32_e32 v4, 16, v4
	v_mul_f32_e32 v20, v28, v22
	s_delay_alu instid0(VALU_DEP_2) | instskip(SKIP_1) | instid1(VALU_DEP_3)
	v_mul_f32_e32 v4, v32, v4
	v_or_b32_e32 v22, 0x400000, v21
	v_bfe_u32 v24, v20, 16, 1
	s_delay_alu instid0(VALU_DEP_3) | instskip(SKIP_1) | instid1(VALU_DEP_3)
	v_bfe_u32 v25, v4, 16, 1
	s_wait_alu 0xf1ff
	v_cndmask_b32_e64 v15, v15, v22, s0
	v_cmp_u_f32_e64 s0, v3, v3
	v_or_b32_e32 v22, 0x400000, v4
	v_add3_u32 v21, v25, v4, 0x7fff
	s_delay_alu instid0(VALU_DEP_4)
	v_and_b32_e32 v6, 0xffff0000, v15
	s_wait_alu 0xf1ff
	v_cndmask_b32_e64 v3, v11, v23, s0
	v_cmp_u_f32_e64 s0, v4, v4
	v_add3_u32 v11, v24, v20, 0x7fff
	v_or_b32_e32 v23, 0x400000, v20
	s_delay_alu instid0(VALU_DEP_4) | instskip(SKIP_3) | instid1(VALU_DEP_2)
	v_and_b32_e32 v3, 0xffff0000, v3
	s_wait_alu 0xf1ff
	v_cndmask_b32_e64 v4, v21, v22, s0
	v_cmp_u_f32_e64 s0, v20, v20
	v_dual_add_f32 v2, v3, v6 :: v_dual_and_b32 v3, 0xffff0000, v4
	s_wait_alu 0xf1ff
	s_delay_alu instid0(VALU_DEP_2) | instskip(SKIP_1) | instid1(VALU_DEP_2)
	v_cndmask_b32_e64 v10, v11, v23, s0
	v_and_b32_e32 v11, 0xffff0000, v18
	v_dual_add_f32 v1, v2, v1 :: v_dual_and_b32 v4, 0xffff0000, v10
	s_delay_alu instid0(VALU_DEP_1) | instskip(SKIP_2) | instid1(VALU_DEP_3)
	v_dual_add_f32 v7, v8, v11 :: v_dual_add_f32 v2, v3, v4
	v_add_f32_e32 v4, v16, v14
	v_dual_add_f32 v6, v12, v19 :: v_dual_add_f32 v3, v17, v13
	v_add_f32_e32 v5, v7, v5
	s_delay_alu instid0(VALU_DEP_4) | instskip(NEXT) | instid1(VALU_DEP_4)
	v_add_f32_e32 v1, v2, v1
	v_add_f32_e32 v50, v50, v4
	s_delay_alu instid0(VALU_DEP_4) | instskip(NEXT) | instid1(VALU_DEP_4)
	v_dual_add_f32 v6, v6, v9 :: v_dual_add_f32 v49, v49, v3
	v_add_f32_e32 v52, v52, v5
	s_delay_alu instid0(VALU_DEP_4) | instskip(NEXT) | instid1(VALU_DEP_3)
	v_add_f32_e32 v53, v53, v1
	v_add_f32_e32 v51, v51, v6
.LBB158_44:                             ;   in Loop: Header=BB158_45 Depth=1
	s_or_b32 exec_lo, exec_lo, s22
	v_add_nc_u32_e32 v43, 4, v43
	v_add_co_u32 v37, s1, v37, 16
	s_wait_alu 0xf1ff
	v_add_co_ci_u32_e64 v38, null, 0, v38, s1
	s_delay_alu instid0(VALU_DEP_3) | instskip(SKIP_3) | instid1(SALU_CYCLE_1)
	v_cmp_le_i32_e64 s0, s19, v43
	v_add_nc_u32_e32 v42, 64, v42
	v_add_nc_u32_e32 v55, 0x100, v55
	s_or_b32 s9, s0, s9
	s_and_not1_b32 exec_lo, exec_lo, s9
	s_cbranch_execz .LBB158_63
.LBB158_45:                             ; =>This Inner Loop Header: Depth=1
	v_sub_nc_u32_e32 v1, 0, v42
	s_delay_alu instid0(VALU_DEP_1) | instskip(NEXT) | instid1(VALU_DEP_1)
	v_max_i32_e32 v1, v42, v1
	v_mul_hi_u32 v2, v1, s18
	s_delay_alu instid0(VALU_DEP_1) | instskip(NEXT) | instid1(VALU_DEP_1)
	v_mul_lo_u32 v3, v2, s12
	v_sub_nc_u32_e32 v1, v1, v3
	v_add_nc_u32_e32 v3, 1, v2
	s_delay_alu instid0(VALU_DEP_2) | instskip(SKIP_2) | instid1(VALU_DEP_1)
	v_subrev_nc_u32_e32 v4, s12, v1
	v_cmp_le_u32_e64 s0, s12, v1
	s_wait_alu 0xf1ff
	v_cndmask_b32_e64 v2, v2, v3, s0
	s_delay_alu instid0(VALU_DEP_3) | instskip(SKIP_1) | instid1(VALU_DEP_3)
	v_cndmask_b32_e64 v1, v1, v4, s0
	v_ashrrev_i32_e32 v3, 31, v42
	v_add_nc_u32_e32 v4, 1, v2
	s_delay_alu instid0(VALU_DEP_3) | instskip(NEXT) | instid1(VALU_DEP_3)
	v_cmp_le_u32_e64 s0, s12, v1
	v_xor_b32_e32 v3, s11, v3
	s_wait_alu 0xf1ff
	s_delay_alu instid0(VALU_DEP_2) | instskip(NEXT) | instid1(VALU_DEP_1)
	v_cndmask_b32_e64 v1, v2, v4, s0
	v_xor_b32_e32 v1, v1, v3
	s_delay_alu instid0(VALU_DEP_1) | instskip(NEXT) | instid1(VALU_DEP_1)
	v_sub_nc_u32_e32 v1, v1, v3
	v_add_nc_u32_e32 v2, s17, v1
	v_cmp_lt_i32_e64 s1, s6, v1
	s_delay_alu instid0(VALU_DEP_2) | instskip(NEXT) | instid1(VALU_DEP_1)
	v_sub_nc_u32_e32 v3, 0, v2
	v_max_i32_e32 v3, v2, v3
	v_ashrrev_i32_e32 v2, 31, v2
	s_delay_alu instid0(VALU_DEP_2) | instskip(NEXT) | instid1(VALU_DEP_1)
	v_mul_hi_u32 v4, v3, s21
	v_mul_lo_u32 v4, v4, s5
	s_delay_alu instid0(VALU_DEP_1) | instskip(NEXT) | instid1(VALU_DEP_1)
	v_sub_nc_u32_e32 v3, v3, v4
	v_subrev_nc_u32_e32 v4, s5, v3
	v_cmp_le_u32_e64 s0, s5, v3
	s_wait_alu 0xf1ff
	s_delay_alu instid0(VALU_DEP_1) | instskip(NEXT) | instid1(VALU_DEP_1)
	v_cndmask_b32_e64 v3, v3, v4, s0
	v_subrev_nc_u32_e32 v4, s5, v3
	v_cmp_le_u32_e64 s0, s5, v3
	s_wait_alu 0xf1ff
	s_delay_alu instid0(VALU_DEP_1) | instskip(NEXT) | instid1(VALU_DEP_1)
	v_cndmask_b32_e64 v3, v3, v4, s0
	v_xor_b32_e32 v3, v3, v2
	s_delay_alu instid0(VALU_DEP_1) | instskip(NEXT) | instid1(VALU_DEP_1)
	v_sub_nc_u32_e32 v2, v3, v2
	v_cmp_eq_u32_e64 s0, 0, v2
	s_or_b32 s0, s0, s1
	s_wait_alu 0xfffe
	s_and_saveexec_b32 s22, s0
	s_cbranch_execz .LBB158_44
; %bb.46:                               ;   in Loop: Header=BB158_45 Depth=1
	global_load_b32 v1, v[37:38], off
	v_add_nc_u32_e32 v58, v54, v42
	s_wait_loadcnt 0x0
	v_mad_co_i64_i32 v[1:2], null, v1, s7, 0
	s_delay_alu instid0(VALU_DEP_1) | instskip(NEXT) | instid1(VALU_DEP_1)
	v_lshlrev_b64_e32 v[1:2], 1, v[1:2]
	v_add_co_u32 v59, s0, s2, v1
	s_wait_alu 0xf1ff
	s_delay_alu instid0(VALU_DEP_2) | instskip(NEXT) | instid1(VALU_DEP_2)
	v_add_co_ci_u32_e64 v60, null, s3, v2, s0
	v_add_co_u32 v33, s0, v59, v56
	s_wait_alu 0xf1ff
	s_delay_alu instid0(VALU_DEP_2)
	v_add_co_ci_u32_e64 v34, null, 0, v60, s0
	v_cmp_eq_u32_e64 s0, s10, v43
	global_load_b128 v[1:4], v[33:34], off
	ds_load_2addr_b64 v[29:32], v55 offset1:1
	ds_load_2addr_b64 v[25:28], v55 offset0:2 offset1:3
	s_and_saveexec_b32 s23, s0
	s_cbranch_execnz .LBB158_57
; %bb.47:                               ;   in Loop: Header=BB158_45 Depth=1
	s_or_b32 exec_lo, exec_lo, s23
	global_load_b128 v[5:8], v[33:34], off offset:512
	s_and_saveexec_b32 s23, s0
	s_cbranch_execnz .LBB158_58
.LBB158_48:                             ;   in Loop: Header=BB158_45 Depth=1
	s_or_b32 exec_lo, exec_lo, s23
	global_load_b128 v[9:12], v[33:34], off offset:1024
	s_and_saveexec_b32 s23, s0
	s_cbranch_execnz .LBB158_59
.LBB158_49:                             ;   in Loop: Header=BB158_45 Depth=1
	s_or_b32 exec_lo, exec_lo, s23
	global_load_b128 v[13:16], v[33:34], off offset:1536
	s_and_saveexec_b32 s23, s0
	s_cbranch_execnz .LBB158_60
.LBB158_50:                             ;   in Loop: Header=BB158_45 Depth=1
	s_or_b32 exec_lo, exec_lo, s23
	global_load_b128 v[17:20], v[33:34], off offset:2048
	s_and_saveexec_b32 s23, s0
	s_cbranch_execnz .LBB158_61
.LBB158_51:                             ;   in Loop: Header=BB158_45 Depth=1
	s_or_b32 exec_lo, exec_lo, s23
	global_load_b128 v[21:24], v[33:34], off offset:2560
	s_and_saveexec_b32 s23, s0
	s_cbranch_execnz .LBB158_62
.LBB158_52:                             ;   in Loop: Header=BB158_45 Depth=1
	s_or_b32 exec_lo, exec_lo, s23
	global_load_b128 v[33:36], v[33:34], off offset:3072
	s_and_saveexec_b32 s23, s0
	s_cbranch_execz .LBB158_54
.LBB158_53:                             ;   in Loop: Header=BB158_45 Depth=1
	v_add_nc_u32_e32 v61, 1, v58
	s_wait_loadcnt 0x0
	v_lshrrev_b32_e32 v62, 16, v33
	v_or_b32_e32 v63, 2, v58
	v_lshrrev_b32_e32 v64, 16, v34
	v_or_b32_e32 v65, 4, v58
	v_cmp_gt_i32_e64 s1, s13, v61
	v_or_b32_e32 v66, 7, v58
	v_lshrrev_b32_e32 v67, 16, v36
	s_wait_alu 0xf1ff
	s_delay_alu instid0(VALU_DEP_3) | instskip(SKIP_3) | instid1(VALU_DEP_2)
	v_cndmask_b32_e64 v61, 0, v62, s1
	v_cmp_gt_i32_e64 s1, s31, v58
	v_or_b32_e32 v62, 3, v58
	s_wait_alu 0xf1ff
	v_cndmask_b32_e64 v33, 0, v33, s1
	v_cmp_gt_i32_e64 s1, s31, v63
	v_or_b32_e32 v63, 5, v58
	s_delay_alu instid0(VALU_DEP_3) | instskip(SKIP_1) | instid1(VALU_DEP_3)
	v_perm_b32 v33, v61, v33, 0x5040100
	s_wait_alu 0xf1ff
	v_cndmask_b32_e64 v34, 0, v34, s1
	v_cmp_gt_i32_e64 s1, s13, v62
	s_wait_alu 0xf1ff
	s_delay_alu instid0(VALU_DEP_1) | instskip(SKIP_2) | instid1(VALU_DEP_3)
	v_cndmask_b32_e64 v62, 0, v64, s1
	v_cmp_gt_i32_e64 s1, s31, v65
	v_or_b32_e32 v65, 6, v58
	v_perm_b32 v34, v62, v34, 0x5040100
	s_wait_alu 0xf1ff
	s_delay_alu instid0(VALU_DEP_3) | instskip(SKIP_3) | instid1(VALU_DEP_1)
	v_cndmask_b32_e64 v64, 0, v35, s1
	v_lshrrev_b32_e32 v35, 16, v35
	v_cmp_gt_i32_e64 s1, s13, v63
	s_wait_alu 0xf1ff
	v_cndmask_b32_e64 v35, 0, v35, s1
	v_cmp_gt_i32_e64 s1, s31, v65
	s_delay_alu instid0(VALU_DEP_2) | instskip(SKIP_1) | instid1(VALU_DEP_2)
	v_perm_b32 v35, v35, v64, 0x5040100
	s_wait_alu 0xf1ff
	v_cndmask_b32_e64 v36, 0, v36, s1
	v_cmp_gt_i32_e64 s1, s13, v66
	s_wait_alu 0xf1ff
	s_delay_alu instid0(VALU_DEP_1) | instskip(NEXT) | instid1(VALU_DEP_1)
	v_cndmask_b32_e64 v63, 0, v67, s1
	v_perm_b32 v36, v63, v36, 0x5040100
.LBB158_54:                             ;   in Loop: Header=BB158_45 Depth=1
	s_or_b32 exec_lo, exec_lo, s23
	s_wait_dscnt 0x1
	v_bfe_u32 v61, v29, 16, 1
	v_bfe_u32 v62, v30, 16, 1
	v_or_b32_e32 v63, 0x400000, v29
	v_cmp_u_f32_e64 s1, v29, v29
	v_or_b32_e32 v64, 0x400000, v30
	v_add3_u32 v61, v61, v29, 0x7fff
	v_bfe_u32 v65, v31, 16, 1
	v_add3_u32 v62, v62, v30, 0x7fff
	v_bfe_u32 v66, v32, 16, 1
	s_wait_alu 0xf1ff
	v_cndmask_b32_e64 v29, v61, v63, s1
	v_cmp_u_f32_e64 s1, v30, v30
	v_add3_u32 v61, v65, v31, 0x7fff
	s_wait_dscnt 0x0
	v_bfe_u32 v63, v25, 16, 1
	v_or_b32_e32 v65, 0x400000, v32
	s_wait_alu 0xf1ff
	v_cndmask_b32_e64 v30, v62, v64, s1
	v_or_b32_e32 v62, 0x400000, v31
	v_cmp_u_f32_e64 s1, v31, v31
	v_add3_u32 v64, v66, v32, 0x7fff
	v_or_b32_e32 v66, 0x400000, v28
	v_perm_b32 v29, v30, v29, 0x7060302
	s_wait_alu 0xf1ff
	v_cndmask_b32_e64 v31, v61, v62, s1
	v_cmp_u_f32_e64 s1, v32, v32
	v_add3_u32 v61, v63, v25, 0x7fff
	v_or_b32_e32 v62, 0x400000, v25
	v_bfe_u32 v63, v26, 16, 1
	s_wait_alu 0xf1ff
	v_cndmask_b32_e64 v32, v64, v65, s1
	v_cmp_u_f32_e64 s1, v25, v25
	v_bfe_u32 v64, v27, 16, 1
	v_or_b32_e32 v65, 0x400000, v27
	s_wait_alu 0xf1ff
	s_delay_alu instid0(VALU_DEP_3)
	v_cndmask_b32_e64 v25, v61, v62, s1
	v_add3_u32 v62, v63, v26, 0x7fff
	v_or_b32_e32 v63, 0x400000, v26
	v_cmp_u_f32_e64 s1, v26, v26
	v_bfe_u32 v61, v28, 16, 1
	v_add3_u32 v64, v64, v27, 0x7fff
	s_wait_alu 0xf1ff
	s_delay_alu instid0(VALU_DEP_3) | instskip(SKIP_2) | instid1(VALU_DEP_3)
	v_cndmask_b32_e64 v26, v62, v63, s1
	v_cmp_u_f32_e64 s1, v27, v27
	v_add3_u32 v61, v61, v28, 0x7fff
	v_perm_b32 v30, v26, v25, 0x7060302
	s_wait_alu 0xf1ff
	s_delay_alu instid0(VALU_DEP_3) | instskip(SKIP_2) | instid1(VALU_DEP_1)
	v_cndmask_b32_e64 v27, v64, v65, s1
	v_cmp_u_f32_e64 s1, v28, v28
	s_wait_alu 0xf1ff
	v_cndmask_b32_e64 v28, v61, v66, s1
	v_perm_b32 v61, v32, v31, 0x7060302
	s_delay_alu instid0(VALU_DEP_2)
	v_perm_b32 v32, v28, v27, 0x7060302
	s_and_saveexec_b32 s23, vcc_lo
	s_cbranch_execz .LBB158_43
; %bb.55:                               ;   in Loop: Header=BB158_45 Depth=1
	v_add_co_u32 v25, s1, v59, v57
	s_wait_alu 0xf1ff
	v_add_co_ci_u32_e64 v26, null, 0, v60, s1
	global_load_b128 v[25:28], v[25:26], off
	s_and_saveexec_b32 s1, s0
	s_cbranch_execz .LBB158_42
; %bb.56:                               ;   in Loop: Header=BB158_45 Depth=1
	v_add_nc_u32_e32 v31, 1, v58
	s_wait_loadcnt 0x0
	v_lshrrev_b32_e32 v59, 16, v25
	v_or_b32_e32 v60, 2, v58
	v_lshrrev_b32_e32 v62, 16, v26
	v_or_b32_e32 v63, 4, v58
	v_cmp_gt_i32_e64 s0, s13, v31
	v_lshrrev_b32_e32 v64, 16, v28
	s_wait_alu 0xf1ff
	s_delay_alu instid0(VALU_DEP_2) | instskip(SKIP_3) | instid1(VALU_DEP_2)
	v_cndmask_b32_e64 v31, 0, v59, s0
	v_cmp_gt_i32_e64 s0, s31, v58
	v_or_b32_e32 v59, 3, v58
	s_wait_alu 0xf1ff
	v_cndmask_b32_e64 v25, 0, v25, s0
	v_cmp_gt_i32_e64 s0, s31, v60
	v_or_b32_e32 v60, 5, v58
	s_delay_alu instid0(VALU_DEP_3) | instskip(SKIP_1) | instid1(VALU_DEP_3)
	v_perm_b32 v25, v31, v25, 0x5040100
	s_wait_alu 0xf1ff
	v_cndmask_b32_e64 v26, 0, v26, s0
	v_cmp_gt_i32_e64 s0, s13, v59
	s_wait_alu 0xf1ff
	s_delay_alu instid0(VALU_DEP_1) | instskip(SKIP_3) | instid1(VALU_DEP_4)
	v_cndmask_b32_e64 v59, 0, v62, s0
	v_cmp_gt_i32_e64 s0, s31, v63
	v_or_b32_e32 v63, 6, v58
	v_or_b32_e32 v58, 7, v58
	v_perm_b32 v26, v59, v26, 0x5040100
	s_wait_alu 0xf1ff
	v_cndmask_b32_e64 v62, 0, v27, s0
	v_lshrrev_b32_e32 v27, 16, v27
	v_cmp_gt_i32_e64 s0, s13, v60
	s_wait_alu 0xf1ff
	s_delay_alu instid0(VALU_DEP_1) | instskip(SKIP_1) | instid1(VALU_DEP_2)
	v_cndmask_b32_e64 v27, 0, v27, s0
	v_cmp_gt_i32_e64 s0, s31, v63
	v_perm_b32 v27, v27, v62, 0x5040100
	s_wait_alu 0xf1ff
	s_delay_alu instid0(VALU_DEP_2) | instskip(SKIP_2) | instid1(VALU_DEP_1)
	v_cndmask_b32_e64 v28, 0, v28, s0
	v_cmp_gt_i32_e64 s0, s13, v58
	s_wait_alu 0xf1ff
	v_cndmask_b32_e64 v58, 0, v64, s0
	s_delay_alu instid0(VALU_DEP_1)
	v_perm_b32 v28, v58, v28, 0x5040100
	s_branch .LBB158_42
.LBB158_57:                             ;   in Loop: Header=BB158_45 Depth=1
	v_add_nc_u32_e32 v5, 1, v58
	s_wait_loadcnt 0x0
	v_lshrrev_b32_e32 v6, 16, v1
	v_or_b32_e32 v7, 2, v58
	v_lshrrev_b32_e32 v8, 16, v2
	v_or_b32_e32 v9, 4, v58
	v_cmp_gt_i32_e64 s1, s13, v5
	v_or_b32_e32 v10, 7, v58
	v_lshrrev_b32_e32 v11, 16, v4
	s_wait_alu 0xf1ff
	s_delay_alu instid0(VALU_DEP_3) | instskip(SKIP_3) | instid1(VALU_DEP_2)
	v_cndmask_b32_e64 v5, 0, v6, s1
	v_cmp_gt_i32_e64 s1, s31, v58
	v_or_b32_e32 v6, 3, v58
	s_wait_alu 0xf1ff
	v_cndmask_b32_e64 v1, 0, v1, s1
	v_cmp_gt_i32_e64 s1, s31, v7
	v_or_b32_e32 v7, 5, v58
	s_delay_alu instid0(VALU_DEP_3) | instskip(SKIP_1) | instid1(VALU_DEP_3)
	v_perm_b32 v1, v5, v1, 0x5040100
	s_wait_alu 0xf1ff
	v_cndmask_b32_e64 v2, 0, v2, s1
	v_cmp_gt_i32_e64 s1, s13, v6
	s_wait_alu 0xf1ff
	s_delay_alu instid0(VALU_DEP_1) | instskip(SKIP_2) | instid1(VALU_DEP_3)
	v_cndmask_b32_e64 v6, 0, v8, s1
	v_cmp_gt_i32_e64 s1, s31, v9
	v_or_b32_e32 v9, 6, v58
	v_perm_b32 v2, v6, v2, 0x5040100
	s_wait_alu 0xf1ff
	s_delay_alu instid0(VALU_DEP_3) | instskip(SKIP_3) | instid1(VALU_DEP_1)
	v_cndmask_b32_e64 v8, 0, v3, s1
	v_lshrrev_b32_e32 v3, 16, v3
	v_cmp_gt_i32_e64 s1, s13, v7
	s_wait_alu 0xf1ff
	v_cndmask_b32_e64 v3, 0, v3, s1
	v_cmp_gt_i32_e64 s1, s31, v9
	s_delay_alu instid0(VALU_DEP_2) | instskip(SKIP_1) | instid1(VALU_DEP_2)
	v_perm_b32 v3, v3, v8, 0x5040100
	s_wait_alu 0xf1ff
	v_cndmask_b32_e64 v4, 0, v4, s1
	v_cmp_gt_i32_e64 s1, s13, v10
	s_wait_alu 0xf1ff
	s_delay_alu instid0(VALU_DEP_1) | instskip(NEXT) | instid1(VALU_DEP_1)
	v_cndmask_b32_e64 v7, 0, v11, s1
	v_perm_b32 v4, v7, v4, 0x5040100
	s_or_b32 exec_lo, exec_lo, s23
	global_load_b128 v[5:8], v[33:34], off offset:512
	s_and_saveexec_b32 s23, s0
	s_cbranch_execz .LBB158_48
.LBB158_58:                             ;   in Loop: Header=BB158_45 Depth=1
	v_add_nc_u32_e32 v9, 1, v58
	s_wait_loadcnt 0x0
	v_lshrrev_b32_e32 v10, 16, v5
	v_or_b32_e32 v11, 2, v58
	v_lshrrev_b32_e32 v12, 16, v6
	v_or_b32_e32 v13, 4, v58
	v_cmp_gt_i32_e64 s1, s13, v9
	v_or_b32_e32 v14, 7, v58
	v_lshrrev_b32_e32 v15, 16, v8
	s_wait_alu 0xf1ff
	s_delay_alu instid0(VALU_DEP_3) | instskip(SKIP_3) | instid1(VALU_DEP_2)
	v_cndmask_b32_e64 v9, 0, v10, s1
	v_cmp_gt_i32_e64 s1, s31, v58
	v_or_b32_e32 v10, 3, v58
	s_wait_alu 0xf1ff
	v_cndmask_b32_e64 v5, 0, v5, s1
	v_cmp_gt_i32_e64 s1, s31, v11
	v_or_b32_e32 v11, 5, v58
	s_delay_alu instid0(VALU_DEP_3) | instskip(SKIP_1) | instid1(VALU_DEP_3)
	v_perm_b32 v5, v9, v5, 0x5040100
	s_wait_alu 0xf1ff
	v_cndmask_b32_e64 v6, 0, v6, s1
	v_cmp_gt_i32_e64 s1, s13, v10
	s_wait_alu 0xf1ff
	s_delay_alu instid0(VALU_DEP_1) | instskip(SKIP_2) | instid1(VALU_DEP_3)
	v_cndmask_b32_e64 v10, 0, v12, s1
	v_cmp_gt_i32_e64 s1, s31, v13
	v_or_b32_e32 v13, 6, v58
	v_perm_b32 v6, v10, v6, 0x5040100
	s_wait_alu 0xf1ff
	s_delay_alu instid0(VALU_DEP_3) | instskip(SKIP_3) | instid1(VALU_DEP_1)
	v_cndmask_b32_e64 v12, 0, v7, s1
	v_lshrrev_b32_e32 v7, 16, v7
	v_cmp_gt_i32_e64 s1, s13, v11
	s_wait_alu 0xf1ff
	v_cndmask_b32_e64 v7, 0, v7, s1
	v_cmp_gt_i32_e64 s1, s31, v13
	s_delay_alu instid0(VALU_DEP_2) | instskip(SKIP_1) | instid1(VALU_DEP_2)
	v_perm_b32 v7, v7, v12, 0x5040100
	s_wait_alu 0xf1ff
	v_cndmask_b32_e64 v8, 0, v8, s1
	v_cmp_gt_i32_e64 s1, s13, v14
	s_wait_alu 0xf1ff
	s_delay_alu instid0(VALU_DEP_1) | instskip(NEXT) | instid1(VALU_DEP_1)
	v_cndmask_b32_e64 v11, 0, v15, s1
	v_perm_b32 v8, v11, v8, 0x5040100
	s_or_b32 exec_lo, exec_lo, s23
	global_load_b128 v[9:12], v[33:34], off offset:1024
	s_and_saveexec_b32 s23, s0
	s_cbranch_execz .LBB158_49
.LBB158_59:                             ;   in Loop: Header=BB158_45 Depth=1
	v_add_nc_u32_e32 v13, 1, v58
	s_wait_loadcnt 0x0
	v_lshrrev_b32_e32 v14, 16, v9
	v_or_b32_e32 v15, 2, v58
	v_lshrrev_b32_e32 v16, 16, v10
	v_or_b32_e32 v17, 4, v58
	v_cmp_gt_i32_e64 s1, s13, v13
	v_or_b32_e32 v18, 7, v58
	v_lshrrev_b32_e32 v19, 16, v12
	s_wait_alu 0xf1ff
	s_delay_alu instid0(VALU_DEP_3) | instskip(SKIP_3) | instid1(VALU_DEP_2)
	v_cndmask_b32_e64 v13, 0, v14, s1
	v_cmp_gt_i32_e64 s1, s31, v58
	v_or_b32_e32 v14, 3, v58
	s_wait_alu 0xf1ff
	v_cndmask_b32_e64 v9, 0, v9, s1
	v_cmp_gt_i32_e64 s1, s31, v15
	v_or_b32_e32 v15, 5, v58
	s_delay_alu instid0(VALU_DEP_3) | instskip(SKIP_1) | instid1(VALU_DEP_3)
	v_perm_b32 v9, v13, v9, 0x5040100
	s_wait_alu 0xf1ff
	v_cndmask_b32_e64 v10, 0, v10, s1
	v_cmp_gt_i32_e64 s1, s13, v14
	s_wait_alu 0xf1ff
	s_delay_alu instid0(VALU_DEP_1) | instskip(SKIP_2) | instid1(VALU_DEP_3)
	v_cndmask_b32_e64 v14, 0, v16, s1
	v_cmp_gt_i32_e64 s1, s31, v17
	v_or_b32_e32 v17, 6, v58
	v_perm_b32 v10, v14, v10, 0x5040100
	s_wait_alu 0xf1ff
	s_delay_alu instid0(VALU_DEP_3) | instskip(SKIP_3) | instid1(VALU_DEP_1)
	v_cndmask_b32_e64 v16, 0, v11, s1
	v_lshrrev_b32_e32 v11, 16, v11
	v_cmp_gt_i32_e64 s1, s13, v15
	s_wait_alu 0xf1ff
	v_cndmask_b32_e64 v11, 0, v11, s1
	v_cmp_gt_i32_e64 s1, s31, v17
	s_delay_alu instid0(VALU_DEP_2) | instskip(SKIP_1) | instid1(VALU_DEP_2)
	v_perm_b32 v11, v11, v16, 0x5040100
	s_wait_alu 0xf1ff
	v_cndmask_b32_e64 v12, 0, v12, s1
	v_cmp_gt_i32_e64 s1, s13, v18
	s_wait_alu 0xf1ff
	s_delay_alu instid0(VALU_DEP_1) | instskip(NEXT) | instid1(VALU_DEP_1)
	v_cndmask_b32_e64 v15, 0, v19, s1
	v_perm_b32 v12, v15, v12, 0x5040100
	s_or_b32 exec_lo, exec_lo, s23
	global_load_b128 v[13:16], v[33:34], off offset:1536
	s_and_saveexec_b32 s23, s0
	s_cbranch_execz .LBB158_50
.LBB158_60:                             ;   in Loop: Header=BB158_45 Depth=1
	v_add_nc_u32_e32 v17, 1, v58
	s_wait_loadcnt 0x0
	v_lshrrev_b32_e32 v18, 16, v13
	v_or_b32_e32 v19, 2, v58
	v_lshrrev_b32_e32 v20, 16, v14
	v_or_b32_e32 v21, 4, v58
	v_cmp_gt_i32_e64 s1, s13, v17
	v_or_b32_e32 v22, 7, v58
	v_lshrrev_b32_e32 v23, 16, v16
	s_wait_alu 0xf1ff
	s_delay_alu instid0(VALU_DEP_3) | instskip(SKIP_3) | instid1(VALU_DEP_2)
	v_cndmask_b32_e64 v17, 0, v18, s1
	v_cmp_gt_i32_e64 s1, s31, v58
	v_or_b32_e32 v18, 3, v58
	s_wait_alu 0xf1ff
	v_cndmask_b32_e64 v13, 0, v13, s1
	v_cmp_gt_i32_e64 s1, s31, v19
	v_or_b32_e32 v19, 5, v58
	s_delay_alu instid0(VALU_DEP_3) | instskip(SKIP_1) | instid1(VALU_DEP_3)
	v_perm_b32 v13, v17, v13, 0x5040100
	s_wait_alu 0xf1ff
	v_cndmask_b32_e64 v14, 0, v14, s1
	v_cmp_gt_i32_e64 s1, s13, v18
	s_wait_alu 0xf1ff
	s_delay_alu instid0(VALU_DEP_1) | instskip(SKIP_2) | instid1(VALU_DEP_3)
	v_cndmask_b32_e64 v18, 0, v20, s1
	v_cmp_gt_i32_e64 s1, s31, v21
	v_or_b32_e32 v21, 6, v58
	v_perm_b32 v14, v18, v14, 0x5040100
	s_wait_alu 0xf1ff
	s_delay_alu instid0(VALU_DEP_3) | instskip(SKIP_3) | instid1(VALU_DEP_1)
	v_cndmask_b32_e64 v20, 0, v15, s1
	v_lshrrev_b32_e32 v15, 16, v15
	v_cmp_gt_i32_e64 s1, s13, v19
	s_wait_alu 0xf1ff
	v_cndmask_b32_e64 v15, 0, v15, s1
	v_cmp_gt_i32_e64 s1, s31, v21
	s_delay_alu instid0(VALU_DEP_2) | instskip(SKIP_1) | instid1(VALU_DEP_2)
	v_perm_b32 v15, v15, v20, 0x5040100
	s_wait_alu 0xf1ff
	v_cndmask_b32_e64 v16, 0, v16, s1
	v_cmp_gt_i32_e64 s1, s13, v22
	s_wait_alu 0xf1ff
	s_delay_alu instid0(VALU_DEP_1) | instskip(NEXT) | instid1(VALU_DEP_1)
	v_cndmask_b32_e64 v19, 0, v23, s1
	v_perm_b32 v16, v19, v16, 0x5040100
	s_or_b32 exec_lo, exec_lo, s23
	global_load_b128 v[17:20], v[33:34], off offset:2048
	s_and_saveexec_b32 s23, s0
	s_cbranch_execz .LBB158_51
.LBB158_61:                             ;   in Loop: Header=BB158_45 Depth=1
	v_add_nc_u32_e32 v21, 1, v58
	s_wait_loadcnt 0x0
	v_lshrrev_b32_e32 v22, 16, v17
	v_or_b32_e32 v23, 2, v58
	v_lshrrev_b32_e32 v24, 16, v18
	v_or_b32_e32 v35, 4, v58
	v_cmp_gt_i32_e64 s1, s13, v21
	v_or_b32_e32 v36, 7, v58
	v_lshrrev_b32_e32 v61, 16, v20
	s_wait_alu 0xf1ff
	s_delay_alu instid0(VALU_DEP_3) | instskip(SKIP_3) | instid1(VALU_DEP_2)
	v_cndmask_b32_e64 v21, 0, v22, s1
	v_cmp_gt_i32_e64 s1, s31, v58
	v_or_b32_e32 v22, 3, v58
	s_wait_alu 0xf1ff
	v_cndmask_b32_e64 v17, 0, v17, s1
	v_cmp_gt_i32_e64 s1, s31, v23
	v_or_b32_e32 v23, 5, v58
	s_delay_alu instid0(VALU_DEP_3) | instskip(SKIP_1) | instid1(VALU_DEP_3)
	v_perm_b32 v17, v21, v17, 0x5040100
	s_wait_alu 0xf1ff
	v_cndmask_b32_e64 v18, 0, v18, s1
	v_cmp_gt_i32_e64 s1, s13, v22
	s_wait_alu 0xf1ff
	s_delay_alu instid0(VALU_DEP_1) | instskip(SKIP_2) | instid1(VALU_DEP_3)
	v_cndmask_b32_e64 v22, 0, v24, s1
	v_cmp_gt_i32_e64 s1, s31, v35
	v_or_b32_e32 v35, 6, v58
	v_perm_b32 v18, v22, v18, 0x5040100
	s_wait_alu 0xf1ff
	s_delay_alu instid0(VALU_DEP_3) | instskip(SKIP_3) | instid1(VALU_DEP_1)
	v_cndmask_b32_e64 v24, 0, v19, s1
	v_lshrrev_b32_e32 v19, 16, v19
	v_cmp_gt_i32_e64 s1, s13, v23
	s_wait_alu 0xf1ff
	v_cndmask_b32_e64 v19, 0, v19, s1
	v_cmp_gt_i32_e64 s1, s31, v35
	s_delay_alu instid0(VALU_DEP_2) | instskip(SKIP_1) | instid1(VALU_DEP_2)
	v_perm_b32 v19, v19, v24, 0x5040100
	s_wait_alu 0xf1ff
	v_cndmask_b32_e64 v20, 0, v20, s1
	v_cmp_gt_i32_e64 s1, s13, v36
	s_wait_alu 0xf1ff
	s_delay_alu instid0(VALU_DEP_1) | instskip(NEXT) | instid1(VALU_DEP_1)
	v_cndmask_b32_e64 v23, 0, v61, s1
	v_perm_b32 v20, v23, v20, 0x5040100
	s_or_b32 exec_lo, exec_lo, s23
	global_load_b128 v[21:24], v[33:34], off offset:2560
	s_and_saveexec_b32 s23, s0
	s_cbranch_execz .LBB158_52
.LBB158_62:                             ;   in Loop: Header=BB158_45 Depth=1
	v_add_nc_u32_e32 v35, 1, v58
	s_wait_loadcnt 0x0
	v_lshrrev_b32_e32 v36, 16, v21
	v_or_b32_e32 v61, 2, v58
	v_lshrrev_b32_e32 v62, 16, v22
	v_or_b32_e32 v63, 4, v58
	v_cmp_gt_i32_e64 s1, s13, v35
	v_or_b32_e32 v64, 7, v58
	v_lshrrev_b32_e32 v65, 16, v24
	s_wait_alu 0xf1ff
	s_delay_alu instid0(VALU_DEP_3) | instskip(SKIP_3) | instid1(VALU_DEP_2)
	v_cndmask_b32_e64 v35, 0, v36, s1
	v_cmp_gt_i32_e64 s1, s31, v58
	v_or_b32_e32 v36, 3, v58
	s_wait_alu 0xf1ff
	v_cndmask_b32_e64 v21, 0, v21, s1
	v_cmp_gt_i32_e64 s1, s31, v61
	v_or_b32_e32 v61, 5, v58
	s_delay_alu instid0(VALU_DEP_3) | instskip(SKIP_1) | instid1(VALU_DEP_3)
	v_perm_b32 v21, v35, v21, 0x5040100
	s_wait_alu 0xf1ff
	v_cndmask_b32_e64 v22, 0, v22, s1
	v_cmp_gt_i32_e64 s1, s13, v36
	s_wait_alu 0xf1ff
	s_delay_alu instid0(VALU_DEP_1) | instskip(SKIP_2) | instid1(VALU_DEP_3)
	v_cndmask_b32_e64 v36, 0, v62, s1
	v_cmp_gt_i32_e64 s1, s31, v63
	v_or_b32_e32 v63, 6, v58
	v_perm_b32 v22, v36, v22, 0x5040100
	s_wait_alu 0xf1ff
	s_delay_alu instid0(VALU_DEP_3) | instskip(SKIP_3) | instid1(VALU_DEP_1)
	v_cndmask_b32_e64 v62, 0, v23, s1
	v_lshrrev_b32_e32 v23, 16, v23
	v_cmp_gt_i32_e64 s1, s13, v61
	s_wait_alu 0xf1ff
	v_cndmask_b32_e64 v23, 0, v23, s1
	v_cmp_gt_i32_e64 s1, s31, v63
	s_delay_alu instid0(VALU_DEP_2) | instskip(SKIP_1) | instid1(VALU_DEP_2)
	v_perm_b32 v23, v23, v62, 0x5040100
	s_wait_alu 0xf1ff
	v_cndmask_b32_e64 v24, 0, v24, s1
	v_cmp_gt_i32_e64 s1, s13, v64
	s_wait_alu 0xf1ff
	s_delay_alu instid0(VALU_DEP_1) | instskip(NEXT) | instid1(VALU_DEP_1)
	v_cndmask_b32_e64 v61, 0, v65, s1
	v_perm_b32 v24, v61, v24, 0x5040100
	s_or_b32 exec_lo, exec_lo, s23
	global_load_b128 v[33:36], v[33:34], off offset:3072
	s_and_saveexec_b32 s23, s0
	s_cbranch_execnz .LBB158_53
	s_branch .LBB158_54
.LBB158_63:
	s_or_b32 exec_lo, exec_lo, s9
.LBB158_64:
	s_delay_alu instid0(SALU_CYCLE_1)
	s_or_b32 exec_lo, exec_lo, s4
	ds_bpermute_b32 v1, v45, v53
	ds_bpermute_b32 v2, v45, v52
	;; [unrolled: 1-line block ×8, first 2 shown]
	s_movk_i32 s0, 0x1e0
	v_and_b32_e32 v14, 0x3c0, v0
	s_wait_alu 0xfffe
	v_mad_u32_u24 v9, v41, s0, 0x110
	s_mov_b32 s1, exec_lo
	v_cmp_eq_u32_e32 vcc_lo, 0, v40
	s_wait_storecnt 0x0
	s_wait_loadcnt_dscnt 0x0
	s_barrier_signal -1
	s_barrier_wait -1
	global_inv scope:SCOPE_SE
	v_dual_add_f32 v8, v53, v1 :: v_dual_add_f32 v7, v52, v2
	v_dual_add_f32 v6, v51, v3 :: v_dual_add_f32 v5, v50, v4
	;; [unrolled: 1-line block ×4, first 2 shown]
	v_cmpx_eq_u32_e32 64, v14
	s_cbranch_execz .LBB158_69
; %bb.65:
	v_add_nc_u32_e32 v10, 0xfffffc40, v9
	s_and_saveexec_b32 s0, vcc_lo
	s_cbranch_execz .LBB158_67
; %bb.66:
	s_delay_alu instid0(VALU_DEP_1)
	v_lshl_add_u32 v11, v44, 2, v10
	ds_store_2addr_b32 v11, v8, v7 offset1:16
	ds_store_2addr_b32 v11, v6, v5 offset0:32 offset1:48
	ds_store_2addr_b32 v11, v4, v3 offset0:64 offset1:80
	ds_store_b32 v11, v2 offset:384
.LBB158_67:
	s_wait_alu 0xfffe
	s_or_b32 exec_lo, exec_lo, s0
	v_or_b32_e32 v11, 0x70, v44
	s_delay_alu instid0(VALU_DEP_1)
	v_cmp_gt_u32_e64 s0, 0x78, v11
	s_and_b32 s0, vcc_lo, s0
	s_wait_alu 0xfffe
	s_and_b32 exec_lo, exec_lo, s0
; %bb.68:
	v_lshl_add_u32 v10, v11, 2, v10
	ds_store_b32 v10, v1
.LBB158_69:
	s_wait_alu 0xfffe
	s_or_b32 exec_lo, exec_lo, s1
	s_delay_alu instid0(SALU_CYCLE_1)
	s_mov_b32 s1, exec_lo
	s_wait_loadcnt_dscnt 0x0
	s_barrier_signal -1
	s_barrier_wait -1
	global_inv scope:SCOPE_SE
	v_cmpx_gt_u32_e32 64, v0
	s_cbranch_execz .LBB158_81
; %bb.70:
	s_and_saveexec_b32 s0, vcc_lo
	s_cbranch_execnz .LBB158_116
; %bb.71:
	s_wait_alu 0xfffe
	s_or_b32 exec_lo, exec_lo, s0
	s_and_saveexec_b32 s0, vcc_lo
	s_cbranch_execnz .LBB158_117
.LBB158_72:
	s_wait_alu 0xfffe
	s_or_b32 exec_lo, exec_lo, s0
	s_and_saveexec_b32 s0, vcc_lo
	s_cbranch_execnz .LBB158_118
.LBB158_73:
	s_wait_alu 0xfffe
	s_or_b32 exec_lo, exec_lo, s0
	s_and_saveexec_b32 s0, vcc_lo
	s_cbranch_execnz .LBB158_119
.LBB158_74:
	s_wait_alu 0xfffe
	s_or_b32 exec_lo, exec_lo, s0
	s_and_saveexec_b32 s0, vcc_lo
	s_cbranch_execnz .LBB158_120
.LBB158_75:
	s_wait_alu 0xfffe
	s_or_b32 exec_lo, exec_lo, s0
	s_and_saveexec_b32 s0, vcc_lo
	s_cbranch_execnz .LBB158_121
.LBB158_76:
	s_wait_alu 0xfffe
	s_or_b32 exec_lo, exec_lo, s0
	s_and_saveexec_b32 s0, vcc_lo
	s_cbranch_execz .LBB158_78
.LBB158_77:
	v_lshl_add_u32 v10, v44, 2, v9
	ds_load_b32 v10, v10 offset:384
	s_wait_dscnt 0x0
	v_add_f32_e32 v2, v2, v10
.LBB158_78:
	s_wait_alu 0xfffe
	s_or_b32 exec_lo, exec_lo, s0
	v_or_b32_e32 v10, 0x70, v44
	s_delay_alu instid0(VALU_DEP_1)
	v_cmp_gt_u32_e64 s0, 0x78, v10
	s_and_b32 s2, vcc_lo, s0
	s_wait_alu 0xfffe
	s_and_saveexec_b32 s0, s2
	s_cbranch_execz .LBB158_80
; %bb.79:
	v_lshl_add_u32 v10, v44, 2, v9
	ds_load_b32 v10, v10 offset:448
	s_wait_dscnt 0x0
	v_add_f32_e32 v1, v1, v10
.LBB158_80:
	s_wait_alu 0xfffe
	s_or_b32 exec_lo, exec_lo, s0
.LBB158_81:
	s_wait_alu 0xfffe
	s_or_b32 exec_lo, exec_lo, s1
	v_and_b32_e32 v10, 0x3e0, v0
	s_mov_b32 s1, exec_lo
	s_wait_loadcnt 0x0
	s_barrier_signal -1
	s_barrier_wait -1
	global_inv scope:SCOPE_SE
	v_cmpx_eq_u32_e32 32, v10
	s_cbranch_execz .LBB158_86
; %bb.82:
	v_lshl_add_u32 v10, v44, 2, 0x110
	s_and_saveexec_b32 s0, vcc_lo
	s_cbranch_execz .LBB158_84
; %bb.83:
	ds_store_2addr_b32 v10, v8, v7 offset1:16
	ds_store_2addr_b32 v10, v6, v5 offset0:32 offset1:48
	ds_store_2addr_b32 v10, v4, v3 offset0:64 offset1:80
	ds_store_b32 v10, v2 offset:384
.LBB158_84:
	s_wait_alu 0xfffe
	s_or_b32 exec_lo, exec_lo, s0
	v_or_b32_e32 v11, 0x70, v44
	s_delay_alu instid0(VALU_DEP_1)
	v_cmp_gt_u32_e64 s0, 0x78, v11
	s_and_b32 s0, vcc_lo, s0
	s_wait_alu 0xfffe
	s_and_b32 exec_lo, exec_lo, s0
; %bb.85:
	ds_store_b32 v10, v1 offset:448
.LBB158_86:
	s_wait_alu 0xfffe
	s_or_b32 exec_lo, exec_lo, s1
	v_cmp_gt_u32_e64 s0, 32, v0
	s_wait_loadcnt_dscnt 0x0
	s_barrier_signal -1
	s_barrier_wait -1
	global_inv scope:SCOPE_SE
	s_and_saveexec_b32 s2, s0
	s_cbranch_execz .LBB158_98
; %bb.87:
	v_lshl_add_u32 v0, v44, 2, v9
	s_and_saveexec_b32 s1, vcc_lo
	s_cbranch_execnz .LBB158_122
; %bb.88:
	s_wait_alu 0xfffe
	s_or_b32 exec_lo, exec_lo, s1
	s_and_saveexec_b32 s1, vcc_lo
	s_cbranch_execnz .LBB158_123
.LBB158_89:
	s_wait_alu 0xfffe
	s_or_b32 exec_lo, exec_lo, s1
	s_and_saveexec_b32 s1, vcc_lo
	s_cbranch_execnz .LBB158_124
.LBB158_90:
	s_wait_alu 0xfffe
	s_or_b32 exec_lo, exec_lo, s1
	s_and_saveexec_b32 s1, vcc_lo
	s_cbranch_execnz .LBB158_125
.LBB158_91:
	s_wait_alu 0xfffe
	s_or_b32 exec_lo, exec_lo, s1
	s_and_saveexec_b32 s1, vcc_lo
	s_cbranch_execnz .LBB158_126
.LBB158_92:
	s_wait_alu 0xfffe
	s_or_b32 exec_lo, exec_lo, s1
	s_and_saveexec_b32 s1, vcc_lo
	s_cbranch_execnz .LBB158_127
.LBB158_93:
	s_wait_alu 0xfffe
	s_or_b32 exec_lo, exec_lo, s1
	s_and_saveexec_b32 s1, vcc_lo
	s_cbranch_execz .LBB158_95
.LBB158_94:
	ds_load_b32 v9, v0 offset:384
	s_wait_dscnt 0x0
	v_add_f32_e32 v2, v2, v9
.LBB158_95:
	s_wait_alu 0xfffe
	s_or_b32 exec_lo, exec_lo, s1
	v_or_b32_e32 v9, 0x70, v44
	s_delay_alu instid0(VALU_DEP_1)
	v_cmp_gt_u32_e64 s1, 0x78, v9
	s_and_b32 s3, vcc_lo, s1
	s_wait_alu 0xfffe
	s_and_saveexec_b32 s1, s3
	s_cbranch_execz .LBB158_97
; %bb.96:
	ds_load_b32 v0, v0 offset:448
	s_wait_dscnt 0x0
	v_add_f32_e32 v1, v1, v0
.LBB158_97:
	s_wait_alu 0xfffe
	s_or_b32 exec_lo, exec_lo, s1
.LBB158_98:
	s_wait_alu 0xfffe
	s_or_b32 exec_lo, exec_lo, s2
	s_wait_loadcnt 0x0
	s_barrier_signal -1
	s_barrier_wait -1
	global_inv scope:SCOPE_SE
	s_and_saveexec_b32 s1, s0
	s_cbranch_execz .LBB158_115
; %bb.99:
	s_mul_i32 s0, s20, 0x78
	s_mul_i32 s2, s8, s16
	s_wait_alu 0xfffe
	s_ashr_i32 s1, s0, 31
	s_ashr_i32 s3, s2, 31
	s_wait_alu 0xfffe
	s_lshl_b64 s[0:1], s[0:1], 1
	s_lshl_b64 s[2:3], s[2:3], 1
	s_wait_alu 0xfffe
	s_add_nc_u64 s[0:1], s[14:15], s[0:1]
	v_lshlrev_b32_e32 v0, 1, v39
	s_mul_i32 s4, s30, 0xf0
	s_wait_alu 0xfffe
	s_add_nc_u64 s[0:1], s[0:1], s[2:3]
	s_mov_b32 s5, 0
	s_wait_alu 0xfffe
	s_add_nc_u64 s[2:3], s[0:1], s[4:5]
	s_and_saveexec_b32 s1, vcc_lo
	s_cbranch_execz .LBB158_101
; %bb.100:
	v_bfe_u32 v9, v8, 16, 1
	v_or_b32_e32 v10, 0x400000, v8
	v_cmp_u_f32_e64 s0, v8, v8
	s_delay_alu instid0(VALU_DEP_3) | instskip(SKIP_1) | instid1(VALU_DEP_1)
	v_add3_u32 v9, v9, v8, 0x7fff
	s_wait_alu 0xf1ff
	v_cndmask_b32_e64 v8, v9, v10, s0
	global_store_d16_hi_b16 v0, v8, s[2:3]
.LBB158_101:
	s_wait_alu 0xfffe
	s_or_b32 exec_lo, exec_lo, s1
	v_or_b32_e32 v8, 16, v39
	s_delay_alu instid0(VALU_DEP_1)
	v_cmp_gt_u32_e64 s0, 0x78, v8
	s_and_b32 s0, vcc_lo, s0
	s_wait_alu 0xfffe
	s_and_saveexec_b32 s1, s0
	s_cbranch_execz .LBB158_103
; %bb.102:
	v_bfe_u32 v8, v7, 16, 1
	v_or_b32_e32 v9, 0x400000, v7
	v_cmp_u_f32_e64 s0, v7, v7
	s_delay_alu instid0(VALU_DEP_3) | instskip(SKIP_1) | instid1(VALU_DEP_1)
	v_add3_u32 v8, v8, v7, 0x7fff
	s_wait_alu 0xf1ff
	v_cndmask_b32_e64 v7, v8, v9, s0
	global_store_d16_hi_b16 v0, v7, s[2:3] offset:32
.LBB158_103:
	s_wait_alu 0xfffe
	s_or_b32 exec_lo, exec_lo, s1
	v_or_b32_e32 v7, 32, v39
	s_delay_alu instid0(VALU_DEP_1)
	v_cmp_gt_u32_e64 s0, 0x78, v7
	s_and_b32 s0, vcc_lo, s0
	s_wait_alu 0xfffe
	s_and_saveexec_b32 s1, s0
	s_cbranch_execz .LBB158_105
; %bb.104:
	v_bfe_u32 v7, v6, 16, 1
	v_or_b32_e32 v8, 0x400000, v6
	v_cmp_u_f32_e64 s0, v6, v6
	s_delay_alu instid0(VALU_DEP_3) | instskip(SKIP_1) | instid1(VALU_DEP_1)
	v_add3_u32 v7, v7, v6, 0x7fff
	s_wait_alu 0xf1ff
	v_cndmask_b32_e64 v6, v7, v8, s0
	global_store_d16_hi_b16 v0, v6, s[2:3] offset:64
.LBB158_105:
	;; [unrolled: 19-line block ×6, first 2 shown]
	s_wait_alu 0xfffe
	s_or_b32 exec_lo, exec_lo, s1
	v_or_b32_e32 v2, 0x70, v39
	s_delay_alu instid0(VALU_DEP_1)
	v_cmp_gt_u32_e64 s0, 0x78, v2
	s_and_b32 s0, vcc_lo, s0
	s_wait_alu 0xfffe
	s_and_b32 exec_lo, exec_lo, s0
	s_cbranch_execz .LBB158_115
; %bb.114:
	v_bfe_u32 v2, v1, 16, 1
	v_or_b32_e32 v3, 0x400000, v1
	v_cmp_u_f32_e32 vcc_lo, v1, v1
	s_delay_alu instid0(VALU_DEP_3) | instskip(SKIP_1) | instid1(VALU_DEP_1)
	v_add3_u32 v2, v2, v1, 0x7fff
	s_wait_alu 0xfffd
	v_cndmask_b32_e32 v1, v2, v3, vcc_lo
	global_store_d16_hi_b16 v0, v1, s[2:3] offset:224
.LBB158_115:
	s_nop 0
	s_sendmsg sendmsg(MSG_DEALLOC_VGPRS)
	s_endpgm
.LBB158_116:
	v_lshl_add_u32 v10, v44, 2, v9
	ds_load_b32 v10, v10
	s_wait_dscnt 0x0
	v_add_f32_e32 v8, v8, v10
	s_wait_alu 0xfffe
	s_or_b32 exec_lo, exec_lo, s0
	s_and_saveexec_b32 s0, vcc_lo
	s_cbranch_execz .LBB158_72
.LBB158_117:
	v_lshl_add_u32 v10, v44, 2, v9
	ds_load_b32 v10, v10 offset:64
	s_wait_dscnt 0x0
	v_add_f32_e32 v7, v7, v10
	s_wait_alu 0xfffe
	s_or_b32 exec_lo, exec_lo, s0
	s_and_saveexec_b32 s0, vcc_lo
	s_cbranch_execz .LBB158_73
.LBB158_118:
	v_lshl_add_u32 v10, v44, 2, v9
	ds_load_b32 v10, v10 offset:128
	s_wait_dscnt 0x0
	v_add_f32_e32 v6, v6, v10
	s_wait_alu 0xfffe
	s_or_b32 exec_lo, exec_lo, s0
	s_and_saveexec_b32 s0, vcc_lo
	s_cbranch_execz .LBB158_74
.LBB158_119:
	v_lshl_add_u32 v10, v44, 2, v9
	ds_load_b32 v10, v10 offset:192
	s_wait_dscnt 0x0
	v_add_f32_e32 v5, v5, v10
	s_wait_alu 0xfffe
	s_or_b32 exec_lo, exec_lo, s0
	s_and_saveexec_b32 s0, vcc_lo
	s_cbranch_execz .LBB158_75
.LBB158_120:
	v_lshl_add_u32 v10, v44, 2, v9
	ds_load_b32 v10, v10 offset:256
	s_wait_dscnt 0x0
	v_add_f32_e32 v4, v4, v10
	s_wait_alu 0xfffe
	s_or_b32 exec_lo, exec_lo, s0
	s_and_saveexec_b32 s0, vcc_lo
	s_cbranch_execz .LBB158_76
.LBB158_121:
	v_lshl_add_u32 v10, v44, 2, v9
	ds_load_b32 v10, v10 offset:320
	s_wait_dscnt 0x0
	v_add_f32_e32 v3, v3, v10
	s_wait_alu 0xfffe
	s_or_b32 exec_lo, exec_lo, s0
	s_and_saveexec_b32 s0, vcc_lo
	s_cbranch_execnz .LBB158_77
	s_branch .LBB158_78
.LBB158_122:
	ds_load_b32 v9, v0
	s_wait_dscnt 0x0
	v_add_f32_e32 v8, v8, v9
	s_wait_alu 0xfffe
	s_or_b32 exec_lo, exec_lo, s1
	s_and_saveexec_b32 s1, vcc_lo
	s_cbranch_execz .LBB158_89
.LBB158_123:
	ds_load_b32 v9, v0 offset:64
	s_wait_dscnt 0x0
	v_add_f32_e32 v7, v7, v9
	s_wait_alu 0xfffe
	s_or_b32 exec_lo, exec_lo, s1
	s_and_saveexec_b32 s1, vcc_lo
	s_cbranch_execz .LBB158_90
.LBB158_124:
	ds_load_b32 v9, v0 offset:128
	s_wait_dscnt 0x0
	v_add_f32_e32 v6, v6, v9
	s_wait_alu 0xfffe
	s_or_b32 exec_lo, exec_lo, s1
	s_and_saveexec_b32 s1, vcc_lo
	s_cbranch_execz .LBB158_91
.LBB158_125:
	ds_load_b32 v9, v0 offset:192
	s_wait_dscnt 0x0
	v_add_f32_e32 v5, v5, v9
	s_wait_alu 0xfffe
	s_or_b32 exec_lo, exec_lo, s1
	s_and_saveexec_b32 s1, vcc_lo
	s_cbranch_execz .LBB158_92
.LBB158_126:
	ds_load_b32 v9, v0 offset:256
	s_wait_dscnt 0x0
	v_add_f32_e32 v4, v4, v9
	s_wait_alu 0xfffe
	s_or_b32 exec_lo, exec_lo, s1
	s_and_saveexec_b32 s1, vcc_lo
	s_cbranch_execz .LBB158_93
.LBB158_127:
	ds_load_b32 v9, v0 offset:320
	s_wait_dscnt 0x0
	v_add_f32_e32 v3, v3, v9
	s_wait_alu 0xfffe
	s_or_b32 exec_lo, exec_lo, s1
	s_and_saveexec_b32 s1, vcc_lo
	s_cbranch_execnz .LBB158_94
	s_branch .LBB158_95
	.section	.rodata,"a",@progbits
	.p2align	6, 0x0
	.amdhsa_kernel _ZN4vllm25paged_attention_v2_kernelI14__hip_bfloat16S1_Li120ELi16ELi128ELNS_18Fp8KVCacheDataTypeE0ELb1ELi512EEEvPfS3_PT_PKS4_PKT0_SA_ifPKiSC_iPKfiiiSE_SE_iiiii
		.amdhsa_group_segment_fixed_size 272
		.amdhsa_private_segment_fixed_size 0
		.amdhsa_kernarg_size 400
		.amdhsa_user_sgpr_count 2
		.amdhsa_user_sgpr_dispatch_ptr 0
		.amdhsa_user_sgpr_queue_ptr 0
		.amdhsa_user_sgpr_kernarg_segment_ptr 1
		.amdhsa_user_sgpr_dispatch_id 0
		.amdhsa_user_sgpr_private_segment_size 0
		.amdhsa_wavefront_size32 1
		.amdhsa_uses_dynamic_stack 0
		.amdhsa_enable_private_segment 0
		.amdhsa_system_sgpr_workgroup_id_x 1
		.amdhsa_system_sgpr_workgroup_id_y 1
		.amdhsa_system_sgpr_workgroup_id_z 1
		.amdhsa_system_sgpr_workgroup_info 0
		.amdhsa_system_vgpr_workitem_id 0
		.amdhsa_next_free_vgpr 130
		.amdhsa_next_free_sgpr 42
		.amdhsa_reserve_vcc 1
		.amdhsa_float_round_mode_32 0
		.amdhsa_float_round_mode_16_64 0
		.amdhsa_float_denorm_mode_32 3
		.amdhsa_float_denorm_mode_16_64 3
		.amdhsa_fp16_overflow 0
		.amdhsa_workgroup_processor_mode 1
		.amdhsa_memory_ordered 1
		.amdhsa_forward_progress 1
		.amdhsa_inst_pref_size 122
		.amdhsa_round_robin_scheduling 0
		.amdhsa_exception_fp_ieee_invalid_op 0
		.amdhsa_exception_fp_denorm_src 0
		.amdhsa_exception_fp_ieee_div_zero 0
		.amdhsa_exception_fp_ieee_overflow 0
		.amdhsa_exception_fp_ieee_underflow 0
		.amdhsa_exception_fp_ieee_inexact 0
		.amdhsa_exception_int_div_zero 0
	.end_amdhsa_kernel
	.section	.text._ZN4vllm25paged_attention_v2_kernelI14__hip_bfloat16S1_Li120ELi16ELi128ELNS_18Fp8KVCacheDataTypeE0ELb1ELi512EEEvPfS3_PT_PKS4_PKT0_SA_ifPKiSC_iPKfiiiSE_SE_iiiii,"axG",@progbits,_ZN4vllm25paged_attention_v2_kernelI14__hip_bfloat16S1_Li120ELi16ELi128ELNS_18Fp8KVCacheDataTypeE0ELb1ELi512EEEvPfS3_PT_PKS4_PKT0_SA_ifPKiSC_iPKfiiiSE_SE_iiiii,comdat
.Lfunc_end158:
	.size	_ZN4vllm25paged_attention_v2_kernelI14__hip_bfloat16S1_Li120ELi16ELi128ELNS_18Fp8KVCacheDataTypeE0ELb1ELi512EEEvPfS3_PT_PKS4_PKT0_SA_ifPKiSC_iPKfiiiSE_SE_iiiii, .Lfunc_end158-_ZN4vllm25paged_attention_v2_kernelI14__hip_bfloat16S1_Li120ELi16ELi128ELNS_18Fp8KVCacheDataTypeE0ELb1ELi512EEEvPfS3_PT_PKS4_PKT0_SA_ifPKiSC_iPKfiiiSE_SE_iiiii
                                        ; -- End function
	.set _ZN4vllm25paged_attention_v2_kernelI14__hip_bfloat16S1_Li120ELi16ELi128ELNS_18Fp8KVCacheDataTypeE0ELb1ELi512EEEvPfS3_PT_PKS4_PKT0_SA_ifPKiSC_iPKfiiiSE_SE_iiiii.num_vgpr, 130
	.set _ZN4vllm25paged_attention_v2_kernelI14__hip_bfloat16S1_Li120ELi16ELi128ELNS_18Fp8KVCacheDataTypeE0ELb1ELi512EEEvPfS3_PT_PKS4_PKT0_SA_ifPKiSC_iPKfiiiSE_SE_iiiii.num_agpr, 0
	.set _ZN4vllm25paged_attention_v2_kernelI14__hip_bfloat16S1_Li120ELi16ELi128ELNS_18Fp8KVCacheDataTypeE0ELb1ELi512EEEvPfS3_PT_PKS4_PKT0_SA_ifPKiSC_iPKfiiiSE_SE_iiiii.numbered_sgpr, 42
	.set _ZN4vllm25paged_attention_v2_kernelI14__hip_bfloat16S1_Li120ELi16ELi128ELNS_18Fp8KVCacheDataTypeE0ELb1ELi512EEEvPfS3_PT_PKS4_PKT0_SA_ifPKiSC_iPKfiiiSE_SE_iiiii.num_named_barrier, 0
	.set _ZN4vllm25paged_attention_v2_kernelI14__hip_bfloat16S1_Li120ELi16ELi128ELNS_18Fp8KVCacheDataTypeE0ELb1ELi512EEEvPfS3_PT_PKS4_PKT0_SA_ifPKiSC_iPKfiiiSE_SE_iiiii.private_seg_size, 0
	.set _ZN4vllm25paged_attention_v2_kernelI14__hip_bfloat16S1_Li120ELi16ELi128ELNS_18Fp8KVCacheDataTypeE0ELb1ELi512EEEvPfS3_PT_PKS4_PKT0_SA_ifPKiSC_iPKfiiiSE_SE_iiiii.uses_vcc, 1
	.set _ZN4vllm25paged_attention_v2_kernelI14__hip_bfloat16S1_Li120ELi16ELi128ELNS_18Fp8KVCacheDataTypeE0ELb1ELi512EEEvPfS3_PT_PKS4_PKT0_SA_ifPKiSC_iPKfiiiSE_SE_iiiii.uses_flat_scratch, 0
	.set _ZN4vllm25paged_attention_v2_kernelI14__hip_bfloat16S1_Li120ELi16ELi128ELNS_18Fp8KVCacheDataTypeE0ELb1ELi512EEEvPfS3_PT_PKS4_PKT0_SA_ifPKiSC_iPKfiiiSE_SE_iiiii.has_dyn_sized_stack, 0
	.set _ZN4vllm25paged_attention_v2_kernelI14__hip_bfloat16S1_Li120ELi16ELi128ELNS_18Fp8KVCacheDataTypeE0ELb1ELi512EEEvPfS3_PT_PKS4_PKT0_SA_ifPKiSC_iPKfiiiSE_SE_iiiii.has_recursion, 0
	.set _ZN4vllm25paged_attention_v2_kernelI14__hip_bfloat16S1_Li120ELi16ELi128ELNS_18Fp8KVCacheDataTypeE0ELb1ELi512EEEvPfS3_PT_PKS4_PKT0_SA_ifPKiSC_iPKfiiiSE_SE_iiiii.has_indirect_call, 0
	.section	.AMDGPU.csdata,"",@progbits
; Kernel info:
; codeLenInByte = 15572
; TotalNumSgprs: 44
; NumVgprs: 130
; ScratchSize: 0
; MemoryBound: 0
; FloatMode: 240
; IeeeMode: 1
; LDSByteSize: 272 bytes/workgroup (compile time only)
; SGPRBlocks: 0
; VGPRBlocks: 16
; NumSGPRsForWavesPerEU: 44
; NumVGPRsForWavesPerEU: 130
; Occupancy: 10
; WaveLimiterHint : 1
; COMPUTE_PGM_RSRC2:SCRATCH_EN: 0
; COMPUTE_PGM_RSRC2:USER_SGPR: 2
; COMPUTE_PGM_RSRC2:TRAP_HANDLER: 0
; COMPUTE_PGM_RSRC2:TGID_X_EN: 1
; COMPUTE_PGM_RSRC2:TGID_Y_EN: 1
; COMPUTE_PGM_RSRC2:TGID_Z_EN: 1
; COMPUTE_PGM_RSRC2:TIDIG_COMP_CNT: 0
	.section	.text._ZN4vllm25paged_attention_v2_kernelI14__hip_bfloat16S1_Li128ELi16ELi128ELNS_18Fp8KVCacheDataTypeE0ELb1ELi512EEEvPfS3_PT_PKS4_PKT0_SA_ifPKiSC_iPKfiiiSE_SE_iiiii,"axG",@progbits,_ZN4vllm25paged_attention_v2_kernelI14__hip_bfloat16S1_Li128ELi16ELi128ELNS_18Fp8KVCacheDataTypeE0ELb1ELi512EEEvPfS3_PT_PKS4_PKT0_SA_ifPKiSC_iPKfiiiSE_SE_iiiii,comdat
	.protected	_ZN4vllm25paged_attention_v2_kernelI14__hip_bfloat16S1_Li128ELi16ELi128ELNS_18Fp8KVCacheDataTypeE0ELb1ELi512EEEvPfS3_PT_PKS4_PKT0_SA_ifPKiSC_iPKfiiiSE_SE_iiiii ; -- Begin function _ZN4vllm25paged_attention_v2_kernelI14__hip_bfloat16S1_Li128ELi16ELi128ELNS_18Fp8KVCacheDataTypeE0ELb1ELi512EEEvPfS3_PT_PKS4_PKT0_SA_ifPKiSC_iPKfiiiSE_SE_iiiii
	.globl	_ZN4vllm25paged_attention_v2_kernelI14__hip_bfloat16S1_Li128ELi16ELi128ELNS_18Fp8KVCacheDataTypeE0ELb1ELi512EEEvPfS3_PT_PKS4_PKT0_SA_ifPKiSC_iPKfiiiSE_SE_iiiii
	.p2align	8
	.type	_ZN4vllm25paged_attention_v2_kernelI14__hip_bfloat16S1_Li128ELi16ELi128ELNS_18Fp8KVCacheDataTypeE0ELb1ELi512EEEvPfS3_PT_PKS4_PKT0_SA_ifPKiSC_iPKfiiiSE_SE_iiiii,@function
_ZN4vllm25paged_attention_v2_kernelI14__hip_bfloat16S1_Li128ELi16ELi128ELNS_18Fp8KVCacheDataTypeE0ELb1ELi512EEEvPfS3_PT_PKS4_PKT0_SA_ifPKiSC_iPKfiiiSE_SE_iiiii: ; @_ZN4vllm25paged_attention_v2_kernelI14__hip_bfloat16S1_Li128ELi16ELi128ELNS_18Fp8KVCacheDataTypeE0ELb1ELi512EEEvPfS3_PT_PKS4_PKT0_SA_ifPKiSC_iPKfiiiSE_SE_iiiii
; %bb.0:
	s_load_b64 s[2:3], s[0:1], 0x40
	s_and_b32 s33, ttmp7, 0xffff
	s_lshr_b32 s30, ttmp7, 16
	s_lshl_b32 s4, s33, 2
	s_lshl_b32 s35, s30, 9
	s_wait_kmcnt 0x0
	s_load_b32 s31, s[2:3], s4 offset:0x0
	s_wait_kmcnt 0x0
	s_cmp_ge_i32 s35, s31
	s_cbranch_scc1 .LBB159_88
; %bb.1:
	s_clause 0x1
	s_load_b32 s34, s[0:1], 0x90
	s_load_b64 s[6:7], s[0:1], 0x30
	s_wait_kmcnt 0x0
	s_abs_i32 s5, s34
	s_abs_i32 s2, s6
	s_delay_alu instid0(SALU_CYCLE_1) | instskip(SKIP_1) | instid1(SALU_CYCLE_2)
	s_cvt_f32_u32 s3, s2
	s_sub_co_i32 s4, 0, s2
	v_rcp_iflag_f32_e32 v1, s3
	s_delay_alu instid0(TRANS32_DEP_1) | instskip(SKIP_2) | instid1(SALU_CYCLE_2)
	v_readfirstlane_b32 s3, v1
	s_mul_f32 s3, s3, 0x4f7ffffe
	s_wait_alu 0xfffe
	s_cvt_u32_f32 s3, s3
	s_wait_alu 0xfffe
	s_delay_alu instid0(SALU_CYCLE_2) | instskip(NEXT) | instid1(SALU_CYCLE_1)
	s_mul_i32 s4, s4, s3
	s_mul_hi_u32 s4, s3, s4
	s_delay_alu instid0(SALU_CYCLE_1)
	s_add_co_i32 s3, s3, s4
	s_xor_b32 s4, s34, s6
	s_wait_alu 0xfffe
	s_mul_hi_u32 s3, s5, s3
	s_ashr_i32 s4, s4, 31
	s_wait_alu 0xfffe
	s_mul_i32 s8, s3, s2
	s_delay_alu instid0(SALU_CYCLE_1)
	s_sub_co_i32 s5, s5, s8
	s_add_co_i32 s8, s3, 1
	s_sub_co_i32 s9, s5, s2
	s_cmp_ge_u32 s5, s2
	s_cselect_b32 s3, s8, s3
	s_cselect_b32 s5, s9, s5
	s_wait_alu 0xfffe
	s_add_co_i32 s8, s3, 1
	s_cmp_ge_u32 s5, s2
	s_mov_b32 s5, 0
	s_cselect_b32 s2, s8, s3
	s_load_b64 s[8:9], s[0:1], 0x50
	s_xor_b32 s2, s2, s4
	s_mov_b32 s14, s5
	s_wait_alu 0xfffe
	s_sub_co_i32 s10, s2, s4
	s_abs_i32 s4, ttmp9
	s_abs_i32 s12, s10
	s_delay_alu instid0(SALU_CYCLE_1) | instskip(SKIP_2) | instid1(SALU_CYCLE_1)
	s_cvt_f32_u32 s2, s12
	s_sub_co_i32 s3, 0, s12
	s_wait_alu 0xfffe
	v_rcp_iflag_f32_e32 v1, s2
	s_delay_alu instid0(TRANS32_DEP_1) | instskip(SKIP_2) | instid1(SALU_CYCLE_2)
	v_readfirstlane_b32 s2, v1
	s_mul_f32 s2, s2, 0x4f7ffffe
	s_wait_alu 0xfffe
	s_cvt_u32_f32 s2, s2
	s_wait_alu 0xfffe
	s_delay_alu instid0(SALU_CYCLE_2)
	s_mul_i32 s3, s3, s2
	s_wait_alu 0xfffe
	s_mul_hi_u32 s3, s2, s3
	s_wait_alu 0xfffe
	s_add_co_i32 s2, s2, s3
	s_mov_b32 s3, s5
	s_wait_kmcnt 0x0
	s_cmp_eq_u64 s[8:9], 0
	s_cbranch_scc1 .LBB159_3
; %bb.2:
	s_mov_b32 s14, ttmp9
	s_ashr_i32 s15, ttmp9, 31
	s_delay_alu instid0(SALU_CYCLE_1) | instskip(NEXT) | instid1(SALU_CYCLE_1)
	s_lshl_b64 s[14:15], s[14:15], 2
	s_add_nc_u64 s[8:9], s[8:9], s[14:15]
	s_load_b32 s14, s[8:9], 0x0
.LBB159_3:
	s_load_b96 s[16:18], s[0:1], 0x58
	s_mul_u64 s[2:3], s[4:5], s[2:3]
	v_lshrrev_b32_e32 v43, 1, v0
	v_and_b32_e32 v44, 1, v0
	v_cmp_gt_u32_e64 s2, 32, v0
	v_lshlrev_b32_e32 v9, 3, v0
	s_ashr_i32 s5, ttmp9, 31
	s_ashr_i32 s13, s10, 31
	s_lshl_b32 s20, ttmp9, 7
	s_wait_alu 0xfffe
	s_and_saveexec_b32 s8, s2
	s_cbranch_execz .LBB159_5
; %bb.4:
	s_load_b64 s[10:11], s[0:1], 0x18
	s_wait_kmcnt 0x0
	s_mul_i32 s22, s16, s33
	s_ashr_i32 s21, s20, 31
	s_ashr_i32 s23, s22, 31
	v_lshlrev_b32_e32 v3, 3, v43
	s_lshl_b64 s[22:23], s[22:23], 1
	s_delay_alu instid0(VALU_DEP_1) | instskip(SKIP_2) | instid1(SALU_CYCLE_1)
	v_lshl_add_u32 v3, v44, 7, v3
	s_add_nc_u64 s[10:11], s[10:11], s[22:23]
	s_lshl_b64 s[22:23], s[20:21], 1
	s_add_nc_u64 s[10:11], s[10:11], s[22:23]
	global_load_b64 v[1:2], v9, s[10:11]
	s_wait_loadcnt 0x0
	ds_store_b64 v3, v[1:2]
.LBB159_5:
	s_or_b32 exec_lo, exec_lo, s8
	s_load_b128 s[8:11], s[0:1], 0x78
	s_mul_i32 s15, s3, s12
	s_xor_b32 s5, s5, s13
	s_sub_co_i32 s4, s4, s15
	s_add_co_i32 s13, s3, 1
	s_sub_co_i32 s15, s4, s12
	s_cmp_ge_u32 s4, s12
	s_mov_b32 s24, -1
	s_cselect_b32 s3, s13, s3
	s_cselect_b32 s4, s15, s4
	s_wait_alu 0xfffe
	s_add_co_i32 s13, s3, 1
	s_cmp_ge_u32 s4, s12
                                        ; implicit-def: $sgpr21
	s_cselect_b32 s4, s13, s3
	s_load_b32 s3, s[0:1], 0x88
	s_xor_b32 s4, s4, s5
	s_add_co_i32 s19, s31, -1
	s_sub_co_i32 s15, s4, s5
	s_wait_dscnt 0x0
	s_barrier_signal -1
	s_wait_kmcnt 0x0
	s_abs_i32 s16, s11
	s_barrier_wait -1
	s_cvt_f32_u32 s12, s16
	global_inv scope:SCOPE_SE
	v_rcp_iflag_f32_e32 v1, s12
	s_delay_alu instid0(TRANS32_DEP_1) | instskip(SKIP_1) | instid1(SALU_CYCLE_3)
	v_readfirstlane_b32 s12, v1
	s_mul_f32 s4, s12, 0x4f7ffffe
	s_cvt_u32_f32 s12, s4
	s_sub_co_i32 s4, 0, s16
	s_wait_alu 0xfffe
	s_delay_alu instid0(SALU_CYCLE_1)
	s_mul_i32 s5, s4, s12
	s_abs_i32 s4, s19
	s_mul_hi_u32 s13, s12, s5
	s_mov_b32 s5, 0
	s_wait_alu 0xfffe
	s_add_co_i32 s22, s12, s13
	s_cmp_lt_i32 s3, 0
	s_mov_b32 s23, s5
	s_cbranch_scc0 .LBB159_7
; %bb.6:
	s_mul_i32 s6, s8, s6
	s_mov_b32 s24, s5
	s_add_co_i32 s6, s15, s6
	s_delay_alu instid0(SALU_CYCLE_1) | instskip(NEXT) | instid1(SALU_CYCLE_1)
	s_mul_i32 s6, s6, s3
	s_sub_co_i32 s21, 1, s6
.LBB159_7:
	s_mul_u64 s[12:13], s[4:5], s[22:23]
	s_ashr_i32 s5, s19, 31
	s_and_not1_b32 vcc_lo, exec_lo, s24
	s_ashr_i32 s11, s11, 31
	s_cbranch_vccnz .LBB159_9
; %bb.8:
	s_mul_i32 s6, s34, s8
	s_delay_alu instid0(SALU_CYCLE_1) | instskip(NEXT) | instid1(SALU_CYCLE_1)
	s_add_co_i32 s6, s6, ttmp9
	s_mul_i32 s3, s6, s3
	s_wait_alu 0xfffe
	s_add_co_i32 s21, s3, 1
.LBB159_9:
	s_clause 0x2
	s_load_b32 s3, s[0:1], 0x48
	s_load_b64 s[24:25], s[0:1], 0x38
	s_load_b32 s8, s[0:1], 0x98
	s_mul_i32 s6, s13, s16
	s_xor_b32 s5, s5, s11
	s_sub_co_i32 s4, s4, s6
	s_add_co_i32 s12, s13, 1
	v_lshrrev_b32_e32 v45, 5, v0
	v_mov_b32_e32 v12, 0xff7fffff
	v_mbcnt_lo_u32_b32 v11, -1, 0
	s_mul_i32 s18, s15, s18
	s_delay_alu instid0(VALU_DEP_3)
	v_lshl_add_u32 v46, v45, 4, s35
	s_wait_kmcnt 0x0
	s_mul_i32 s26, s3, s33
	s_sub_co_i32 s3, s4, s16
	s_ashr_i32 s27, s26, 31
	s_cmp_ge_u32 s4, s16
	s_wait_alu 0xfffe
	s_cselect_b32 s6, s12, s13
	s_cselect_b32 s3, s3, s4
	s_add_co_i32 s4, s6, 1
	s_wait_alu 0xfffe
	s_cmp_ge_u32 s3, s16
	s_cselect_b32 s3, s4, s6
	s_add_co_i32 s4, s31, 15
	s_lshl_b32 s38, s30, 5
	s_ashr_i32 s6, s4, 31
	v_or_b32_e32 v47, s38, v45
	s_lshr_b32 s6, s6, 28
	s_delay_alu instid0(SALU_CYCLE_1)
	s_add_co_i32 s4, s4, s6
	s_add_co_i32 s6, s38, 32
	s_ashr_i32 s36, s4, 4
	s_wait_alu 0xfffe
	s_xor_b32 s4, s3, s5
	s_min_i32 s23, s6, s36
	v_lshlrev_b32_e32 v10, 2, v47
	v_cmp_gt_i32_e64 s3, s23, v47
	s_sub_co_i32 s37, s4, s5
	s_and_saveexec_b32 s12, s3
	s_cbranch_execz .LBB159_21
; %bb.10:
	s_ashr_i32 s19, s18, 31
	s_sub_co_i32 s13, s37, s9
	s_lshl_b64 s[28:29], s[18:19], 1
	s_cmp_neq_f32 s14, 0
	s_load_b64 s[40:41], s[0:1], 0x20
	v_bfe_u32 v13, v0, 1, 4
	v_and_b32_e32 v2, 8, v9
	s_cselect_b32 vcc_lo, -1, 0
	s_abs_i32 s15, s10
	s_delay_alu instid0(VALU_DEP_2) | instskip(SKIP_3) | instid1(SALU_CYCLE_1)
	v_dual_mov_b32 v20, 0xff7fffff :: v_dual_lshlrev_b32 v3, 4, v13
	s_cvt_f32_u32 s4, s15
	v_dual_mov_b32 v12, 0xff7fffff :: v_dual_lshlrev_b32 v5, 2, v13
	s_lshl_b64 s[42:43], s[26:27], 2
	v_rcp_iflag_f32_e32 v1, s4
	v_subrev_nc_u32_e32 v4, s31, v13
	s_delay_alu instid0(VALU_DEP_2)
	v_lshl_or_b32 v5, v45, 6, v5
	s_add_nc_u64 s[42:43], s[24:25], s[42:43]
	s_sub_co_i32 s6, 0, s15
	v_cmp_eq_u32_e64 s4, 0, v44
	v_lshlrev_b32_e32 v14, 7, v44
	v_lshl_add_u32 v17, v45, 4, s35
	v_add_nc_u32_e32 v18, 1, v4
	s_wait_kmcnt 0x0
	s_add_nc_u64 s[28:29], s[40:41], s[28:29]
	v_readfirstlane_b32 s5, v1
	v_add_co_u32 v1, s28, s28, v3
	s_wait_alu 0xf1ff
	v_add_co_ci_u32_e64 v3, null, s29, 0, s28
	s_mul_f32 s5, s5, 0x4f7ffffe
	v_dual_mov_b32 v22, v47 :: v_dual_add_nc_u32 v19, 0x120, v5
	v_xor_b32_e32 v21, 1, v11
	s_wait_alu 0xfffe
	s_cvt_u32_f32 s29, s5
	v_add_co_u32 v15, s5, v1, v2
	s_wait_alu 0xf1ff
	v_add_co_ci_u32_e64 v16, null, 0, v3, s5
	v_add_co_u32 v1, s5, s42, v10
	s_wait_alu 0xfffe
	s_mul_i32 s6, s6, s29
	v_add_co_ci_u32_e64 v2, null, s43, 0, s5
	s_mul_hi_u32 s5, s29, s6
	s_mov_b32 s19, 0
	s_mov_b32 s28, s17
	s_wait_alu 0xfffe
	s_add_co_i32 s29, s29, s5
	s_branch .LBB159_13
.LBB159_11:                             ;   in Loop: Header=BB159_13 Depth=1
	s_wait_alu 0xfffe
	s_or_b32 exec_lo, exec_lo, s39
.LBB159_12:                             ;   in Loop: Header=BB159_13 Depth=1
	s_wait_alu 0xfffe
	s_or_b32 exec_lo, exec_lo, s6
	v_add_nc_u32_e32 v22, 4, v22
	v_add_co_u32 v1, s6, v1, 16
	s_wait_alu 0xf1ff
	v_add_co_ci_u32_e64 v2, null, 0, v2, s6
	s_delay_alu instid0(VALU_DEP_3) | instskip(SKIP_3) | instid1(SALU_CYCLE_1)
	v_cmp_le_i32_e64 s5, s23, v22
	v_add_nc_u32_e32 v17, 64, v17
	v_add_nc_u32_e32 v19, 0x100, v19
	s_or_b32 s19, s5, s19
	s_and_not1_b32 exec_lo, exec_lo, s19
	s_cbranch_execz .LBB159_20
.LBB159_13:                             ; =>This Inner Loop Header: Depth=1
	v_sub_nc_u32_e32 v3, 0, v17
	s_delay_alu instid0(VALU_DEP_1) | instskip(SKIP_1) | instid1(VALU_DEP_1)
	v_max_i32_e32 v3, v17, v3
	s_wait_dscnt 0x0
	v_mul_hi_u32 v4, v3, s22
	s_delay_alu instid0(VALU_DEP_1) | instskip(NEXT) | instid1(VALU_DEP_1)
	v_mul_lo_u32 v5, v4, s16
	v_sub_nc_u32_e32 v3, v3, v5
	v_add_nc_u32_e32 v5, 1, v4
	s_delay_alu instid0(VALU_DEP_2) | instskip(SKIP_2) | instid1(VALU_DEP_1)
	v_subrev_nc_u32_e32 v6, s16, v3
	v_cmp_le_u32_e64 s5, s16, v3
	s_wait_alu 0xf1ff
	v_cndmask_b32_e64 v4, v4, v5, s5
	s_delay_alu instid0(VALU_DEP_3) | instskip(SKIP_1) | instid1(VALU_DEP_3)
	v_cndmask_b32_e64 v3, v3, v6, s5
	v_ashrrev_i32_e32 v5, 31, v17
	v_add_nc_u32_e32 v6, 1, v4
	s_delay_alu instid0(VALU_DEP_3) | instskip(NEXT) | instid1(VALU_DEP_3)
	v_cmp_le_u32_e64 s5, s16, v3
	v_xor_b32_e32 v5, s11, v5
	s_wait_alu 0xf1ff
	s_delay_alu instid0(VALU_DEP_2) | instskip(NEXT) | instid1(VALU_DEP_1)
	v_cndmask_b32_e64 v3, v4, v6, s5
	v_xor_b32_e32 v3, v3, v5
	s_delay_alu instid0(VALU_DEP_1) | instskip(NEXT) | instid1(VALU_DEP_1)
	v_sub_nc_u32_e32 v3, v3, v5
	v_add_nc_u32_e32 v4, s21, v3
	v_cmp_ge_i32_e64 s6, s13, v3
	s_delay_alu instid0(VALU_DEP_2) | instskip(NEXT) | instid1(VALU_DEP_1)
	v_sub_nc_u32_e32 v5, 0, v4
	v_max_i32_e32 v5, v4, v5
	v_ashrrev_i32_e32 v4, 31, v4
	s_wait_alu 0xfffe
	s_delay_alu instid0(VALU_DEP_2) | instskip(NEXT) | instid1(VALU_DEP_1)
	v_mul_hi_u32 v6, v5, s29
	v_mul_lo_u32 v6, v6, s15
	s_delay_alu instid0(VALU_DEP_1) | instskip(NEXT) | instid1(VALU_DEP_1)
	v_sub_nc_u32_e32 v5, v5, v6
	v_subrev_nc_u32_e32 v6, s15, v5
	v_cmp_le_u32_e64 s5, s15, v5
	s_wait_alu 0xf1ff
	s_delay_alu instid0(VALU_DEP_1) | instskip(NEXT) | instid1(VALU_DEP_1)
	v_cndmask_b32_e64 v5, v5, v6, s5
	v_subrev_nc_u32_e32 v6, s15, v5
	v_cmp_le_u32_e64 s5, s15, v5
	s_wait_alu 0xf1ff
	s_delay_alu instid0(VALU_DEP_1) | instskip(NEXT) | instid1(VALU_DEP_1)
	v_cndmask_b32_e64 v5, v5, v6, s5
	v_xor_b32_e32 v5, v5, v4
	s_delay_alu instid0(VALU_DEP_1) | instskip(NEXT) | instid1(VALU_DEP_1)
	v_sub_nc_u32_e32 v4, v5, v4
	v_cmp_ne_u32_e64 s5, 0, v4
	s_and_b32 s5, s5, s6
	s_wait_alu 0xfffe
	s_and_saveexec_b32 s6, s5
	s_wait_alu 0xfffe
	s_xor_b32 s5, exec_lo, s6
	s_cbranch_execz .LBB159_17
; %bb.14:                               ;   in Loop: Header=BB159_13 Depth=1
	s_and_saveexec_b32 s6, s4
; %bb.15:                               ;   in Loop: Header=BB159_13 Depth=1
	ds_store_b32 v19, v20
; %bb.16:                               ;   in Loop: Header=BB159_13 Depth=1
	s_wait_alu 0xfffe
	s_or_b32 exec_lo, exec_lo, s6
.LBB159_17:                             ;   in Loop: Header=BB159_13 Depth=1
	s_wait_alu 0xfffe
	s_and_not1_saveexec_b32 s6, s5
	s_cbranch_execz .LBB159_12
; %bb.18:                               ;   in Loop: Header=BB159_13 Depth=1
	global_load_b32 v3, v[1:2], off
	s_wait_loadcnt 0x0
	v_mad_co_i64_i32 v[3:4], null, v3, s28, 0
	s_delay_alu instid0(VALU_DEP_1) | instskip(NEXT) | instid1(VALU_DEP_1)
	v_lshlrev_b64_e32 v[3:4], 1, v[3:4]
	v_add_co_u32 v7, s5, v15, v3
	s_wait_alu 0xf1ff
	s_delay_alu instid0(VALU_DEP_2)
	v_add_co_ci_u32_e64 v8, null, v16, v4, s5
	v_cmp_gt_i32_e64 s5, 32, v21
	s_clause 0xf
	global_load_b64 v[5:6], v[7:8], off
	global_load_b64 v[3:4], v[7:8], off offset:256
	global_load_b64 v[60:61], v[7:8], off offset:512
	;; [unrolled: 1-line block ×15, first 2 shown]
	ds_load_b128 v[23:26], v14
	ds_load_b128 v[27:30], v14 offset:16
	ds_load_b128 v[31:34], v14 offset:32
	;; [unrolled: 1-line block ×7, first 2 shown]
	s_wait_dscnt 0x1
	v_lshlrev_b32_e32 v112, 16, v54
	s_wait_dscnt 0x0
	v_lshlrev_b32_e32 v114, 16, v56
	v_and_b32_e32 v56, 0xffff0000, v56
	v_and_b32_e32 v54, 0xffff0000, v54
	s_wait_loadcnt 0xf
	v_lshlrev_b32_e32 v116, 16, v5
	s_wait_loadcnt 0xe
	v_lshlrev_b32_e32 v118, 16, v3
	v_and_b32_e32 v3, 0xffff0000, v3
	v_lshlrev_b32_e32 v88, 16, v25
	v_and_b32_e32 v5, 0xffff0000, v5
	s_wait_loadcnt 0xa
	v_lshlrev_b32_e32 v126, 16, v66
	v_and_b32_e32 v25, 0xffff0000, v25
	v_lshlrev_b32_e32 v125, 16, v65
	v_lshlrev_b32_e32 v119, 16, v4
	v_and_b32_e32 v4, 0xffff0000, v4
	v_lshlrev_b32_e32 v123, 16, v63
	v_mul_f32_e32 v3, v25, v3
	v_lshlrev_b32_e32 v86, 16, v23
	v_and_b32_e32 v23, 0xffff0000, v23
	v_dual_mul_f32 v88, v88, v118 :: v_dual_lshlrev_b32 v87, 16, v24
	v_and_b32_e32 v24, 0xffff0000, v24
	v_and_b32_e32 v63, 0xffff0000, v63
	s_delay_alu instid0(VALU_DEP_4) | instskip(NEXT) | instid1(VALU_DEP_4)
	v_fmac_f32_e32 v3, v23, v5
	v_dual_fmac_f32 v88, v86, v116 :: v_dual_lshlrev_b32 v89, 16, v26
	v_and_b32_e32 v26, 0xffff0000, v26
	v_lshlrev_b32_e32 v91, 16, v28
	v_lshlrev_b32_e32 v93, 16, v30
	s_wait_loadcnt 0x7
	v_lshlrev_b32_e32 v5, 16, v72
	v_dual_mul_f32 v72, v89, v119 :: v_dual_and_b32 v23, 0xffff0000, v72
	v_lshlrev_b32_e32 v89, 16, v73
	v_and_b32_e32 v73, 0xffff0000, v73
	v_lshlrev_b32_e32 v117, 16, v6
	v_and_b32_e32 v6, 0xffff0000, v6
	v_mul_f32_e32 v4, v26, v4
	v_lshlrev_b32_e32 v95, 16, v32
	v_lshlrev_b32_e32 v99, 16, v36
	;; [unrolled: 1-line block ×3, first 2 shown]
	v_and_b32_e32 v58, 0xffff0000, v58
	v_and_b32_e32 v28, 0xffff0000, v28
	s_wait_loadcnt 0x5
	v_dual_fmac_f32 v72, v87, v117 :: v_dual_lshlrev_b32 v117, 16, v76
	v_fmac_f32_e32 v4, v24, v6
	v_and_b32_e32 v6, 0xffff0000, v76
	v_and_b32_e32 v76, 0xffff0000, v77
	v_lshlrev_b32_e32 v121, 16, v61
	v_and_b32_e32 v61, 0xffff0000, v61
	v_lshlrev_b32_e32 v101, 16, v38
	v_lshlrev_b32_e32 v105, 16, v42
	v_and_b32_e32 v30, 0xffff0000, v30
	v_fmac_f32_e32 v72, v91, v121
	v_fmac_f32_e32 v4, v28, v61
	v_lshlrev_b32_e32 v107, 16, v49
	v_lshlrev_b32_e32 v111, 16, v53
	v_and_b32_e32 v32, 0xffff0000, v32
	v_lshlrev_b32_e32 v120, 16, v60
	v_and_b32_e32 v60, 0xffff0000, v60
	v_lshlrev_b32_e32 v90, 16, v27
	v_dual_fmac_f32 v72, v93, v123 :: v_dual_and_b32 v65, 0xffff0000, v65
	v_fmac_f32_e32 v4, v30, v63
	v_and_b32_e32 v27, 0xffff0000, v27
	v_lshlrev_b32_e32 v122, 16, v62
	v_and_b32_e32 v62, 0xffff0000, v62
	s_wait_loadcnt 0x3
	v_and_b32_e32 v28, 0xffff0000, v81
	v_dual_fmac_f32 v72, v95, v125 :: v_dual_lshlrev_b32 v127, 16, v67
	v_dual_fmac_f32 v4, v32, v65 :: v_dual_fmac_f32 v3, v27, v60
	v_lshlrev_b32_e32 v92, 16, v29
	v_dual_fmac_f32 v88, v90, v120 :: v_dual_lshlrev_b32 v97, 16, v34
	v_and_b32_e32 v29, 0xffff0000, v29
	v_lshlrev_b32_e32 v124, 16, v64
	v_and_b32_e32 v64, 0xffff0000, v64
	v_lshlrev_b32_e32 v128, 16, v68
	v_fmac_f32_e32 v72, v97, v127
	v_dual_fmac_f32 v3, v29, v62 :: v_dual_lshlrev_b32 v94, 16, v31
	v_and_b32_e32 v31, 0xffff0000, v31
	v_dual_fmac_f32 v88, v92, v122 :: v_dual_lshlrev_b32 v103, 16, v40
	v_and_b32_e32 v34, 0xffff0000, v34
	s_delay_alu instid0(VALU_DEP_3)
	v_dual_fmac_f32 v3, v31, v64 :: v_dual_and_b32 v66, 0xffff0000, v66
	v_lshlrev_b32_e32 v96, 16, v33
	s_wait_loadcnt 0x2
	v_lshlrev_b32_e32 v31, 16, v83
	v_and_b32_e32 v67, 0xffff0000, v67
	v_and_b32_e32 v33, 0xffff0000, v33
	v_dual_fmac_f32 v88, v94, v124 :: v_dual_lshlrev_b32 v109, 16, v51
	v_and_b32_e32 v36, 0xffff0000, v36
	v_and_b32_e32 v68, 0xffff0000, v68
	v_lshlrev_b32_e32 v118, 16, v69
	v_dual_fmac_f32 v4, v34, v67 :: v_dual_and_b32 v69, 0xffff0000, v69
	v_dual_fmac_f32 v3, v33, v66 :: v_dual_lshlrev_b32 v98, 16, v35
	s_delay_alu instid0(VALU_DEP_3) | instskip(SKIP_1) | instid1(VALU_DEP_4)
	v_dual_fmac_f32 v72, v99, v118 :: v_dual_and_b32 v35, 0xffff0000, v35
	v_and_b32_e32 v38, 0xffff0000, v38
	v_dual_fmac_f32 v4, v36, v69 :: v_dual_and_b32 v51, 0xffff0000, v51
	v_lshlrev_b32_e32 v25, 16, v70
	v_and_b32_e32 v70, 0xffff0000, v70
	v_lshlrev_b32_e32 v86, 16, v71
	v_dual_fmac_f32 v88, v96, v126 :: v_dual_and_b32 v71, 0xffff0000, v71
	v_dual_fmac_f32 v3, v35, v68 :: v_dual_lshlrev_b32 v100, 16, v37
	s_delay_alu instid0(VALU_DEP_3) | instskip(SKIP_2) | instid1(VALU_DEP_3)
	v_dual_fmac_f32 v72, v101, v86 :: v_dual_and_b32 v37, 0xffff0000, v37
	v_lshlrev_b32_e32 v26, 16, v74
	v_and_b32_e32 v74, 0xffff0000, v74
	v_dual_fmac_f32 v88, v98, v128 :: v_dual_fmac_f32 v3, v37, v70
	v_lshlrev_b32_e32 v104, 16, v41
	v_dual_fmac_f32 v4, v38, v71 :: v_dual_and_b32 v41, 0xffff0000, v41
	v_lshlrev_b32_e32 v102, 16, v39
	s_delay_alu instid0(VALU_DEP_4) | instskip(SKIP_2) | instid1(VALU_DEP_3)
	v_dual_fmac_f32 v88, v100, v25 :: v_dual_and_b32 v39, 0xffff0000, v39
	v_and_b32_e32 v40, 0xffff0000, v40
	v_lshlrev_b32_e32 v87, 16, v75
	v_dual_fmac_f32 v3, v39, v23 :: v_dual_lshlrev_b32 v24, 16, v77
	v_lshlrev_b32_e32 v77, 16, v78
	v_and_b32_e32 v78, 0xffff0000, v78
	v_and_b32_e32 v60, 0xffff0000, v80
	s_delay_alu instid0(VALU_DEP_4)
	v_dual_fmac_f32 v72, v103, v89 :: v_dual_fmac_f32 v3, v41, v74
	v_lshlrev_b32_e32 v106, 16, v48
	v_and_b32_e32 v48, 0xffff0000, v48
	v_dual_fmac_f32 v88, v102, v5 :: v_dual_lshlrev_b32 v113, 16, v55
	v_and_b32_e32 v49, 0xffff0000, v49
	v_and_b32_e32 v55, 0xffff0000, v55
	s_delay_alu instid0(VALU_DEP_4)
	v_dual_fmac_f32 v3, v48, v6 :: v_dual_lshlrev_b32 v110, 16, v52
	v_and_b32_e32 v52, 0xffff0000, v52
	v_lshlrev_b32_e32 v108, 16, v50
	v_and_b32_e32 v50, 0xffff0000, v50
	v_fmac_f32_e32 v88, v104, v26
	v_and_b32_e32 v42, 0xffff0000, v42
	v_dual_fmac_f32 v72, v105, v87 :: v_dual_and_b32 v53, 0xffff0000, v53
	v_dual_fmac_f32 v4, v40, v73 :: v_dual_and_b32 v75, 0xffff0000, v75
	s_delay_alu instid0(VALU_DEP_4)
	v_fmac_f32_e32 v88, v106, v117
	v_fmac_f32_e32 v3, v50, v78
	v_lshlrev_b32_e32 v115, 16, v57
	v_lshlrev_b32_e32 v90, 16, v79
	v_dual_fmac_f32 v4, v42, v75 :: v_dual_lshlrev_b32 v27, 16, v80
	v_fmac_f32_e32 v72, v107, v24
	v_fmac_f32_e32 v3, v52, v60
	v_dual_fmac_f32 v88, v108, v77 :: v_dual_and_b32 v79, 0xffff0000, v79
	v_lshlrev_b32_e32 v80, 16, v81
	v_lshlrev_b32_e32 v29, 16, v82
	v_and_b32_e32 v30, 0xffff0000, v82
	v_fmac_f32_e32 v4, v49, v76
	v_fmac_f32_e32 v72, v109, v90
	s_wait_loadcnt 0x1
	v_dual_fmac_f32 v88, v110, v27 :: v_dual_lshlrev_b32 v5, 16, v84
	s_delay_alu instid0(VALU_DEP_3) | instskip(NEXT) | instid1(VALU_DEP_3)
	v_dual_fmac_f32 v4, v51, v79 :: v_dual_and_b32 v23, 0xffff0000, v84
	v_fmac_f32_e32 v72, v111, v80
	s_delay_alu instid0(VALU_DEP_3)
	v_dual_fmac_f32 v88, v29, v112 :: v_dual_fmac_f32 v3, v30, v54
	v_and_b32_e32 v25, 0xffff0000, v83
	v_lshlrev_b32_e32 v6, 16, v85
	s_wait_loadcnt 0x0
	v_lshlrev_b32_e32 v26, 16, v7
	v_dual_fmac_f32 v4, v53, v28 :: v_dual_and_b32 v7, 0xffff0000, v7
	v_fmac_f32_e32 v72, v31, v113
	v_dual_fmac_f32 v88, v5, v114 :: v_dual_fmac_f32 v3, v23, v56
	s_delay_alu instid0(VALU_DEP_3) | instskip(SKIP_4) | instid1(VALU_DEP_3)
	v_dual_fmac_f32 v4, v25, v55 :: v_dual_and_b32 v57, 0xffff0000, v57
	v_lshlrev_b32_e32 v119, 16, v59
	v_and_b32_e32 v24, 0xffff0000, v85
	v_dual_fmac_f32 v72, v6, v115 :: v_dual_lshlrev_b32 v5, 16, v8
	v_dual_fmac_f32 v88, v26, v116 :: v_dual_fmac_f32 v3, v7, v58
	v_fmac_f32_e32 v4, v24, v57
	v_and_b32_e32 v6, 0xffff0000, v59
	s_delay_alu instid0(VALU_DEP_4) | instskip(NEXT) | instid1(VALU_DEP_4)
	v_dual_fmac_f32 v72, v5, v119 :: v_dual_and_b32 v7, 0xffff0000, v8
	v_add_f32_e32 v3, v88, v3
	s_wait_alu 0xf1ff
	v_cndmask_b32_e64 v5, v11, v21, s5
	s_delay_alu instid0(VALU_DEP_3) | instskip(NEXT) | instid1(VALU_DEP_3)
	v_fmac_f32_e32 v4, v7, v6
	v_add_f32_e32 v3, v3, v72
	s_delay_alu instid0(VALU_DEP_3) | instskip(NEXT) | instid1(VALU_DEP_2)
	v_lshlrev_b32_e32 v5, 2, v5
	v_add_f32_e32 v3, v4, v3
	ds_bpermute_b32 v4, v5, v3
	s_and_saveexec_b32 s39, s4
	s_cbranch_execz .LBB159_11
; %bb.19:                               ;   in Loop: Header=BB159_13 Depth=1
	s_wait_dscnt 0x0
	v_add_f32_e32 v3, v3, v4
	v_add_nc_u32_e32 v5, v18, v17
	s_delay_alu instid0(VALU_DEP_1) | instskip(NEXT) | instid1(VALU_DEP_1)
	v_cvt_f32_i32_e32 v5, v5
	v_mul_f32_e32 v5, s14, v5
	s_delay_alu instid0(VALU_DEP_1) | instskip(NEXT) | instid1(VALU_DEP_1)
	v_dual_cndmask_b32 v4, 0, v5 :: v_dual_max_num_f32 v5, v12, v12
	v_dual_fmac_f32 v4, s7, v3 :: v_dual_add_nc_u32 v3, v13, v17
	s_delay_alu instid0(VALU_DEP_1) | instskip(NEXT) | instid1(VALU_DEP_2)
	v_max_num_f32_e32 v5, v5, v4
	v_cmp_gt_i32_e64 s5, s31, v3
	s_wait_alu 0xf1ff
	s_delay_alu instid0(VALU_DEP_1) | instskip(NEXT) | instid1(VALU_DEP_3)
	v_cndmask_b32_e64 v3, 0, v4, s5
	v_cndmask_b32_e64 v12, v12, v5, s5
	ds_store_b32 v19, v3
	s_branch .LBB159_11
.LBB159_20:
	s_or_b32 exec_lo, exec_lo, s19
.LBB159_21:
	s_wait_alu 0xfffe
	s_or_b32 exec_lo, exec_lo, s12
	v_xor_b32_e32 v1, 16, v11
	v_xor_b32_e32 v2, 8, v11
	s_clause 0x2
	s_load_b128 s[12:15], s[0:1], 0x0
	s_load_b64 s[6:7], s[0:1], 0x10
	s_load_b64 s[28:29], s[0:1], 0x28
	v_lshlrev_b32_e32 v7, 2, v45
	v_and_b32_e32 v48, 31, v0
	v_cmp_gt_i32_e32 vcc_lo, 32, v1
	s_wait_alu 0xfffd
	v_cndmask_b32_e32 v1, v11, v1, vcc_lo
	v_cmp_gt_i32_e32 vcc_lo, 32, v2
	s_wait_alu 0xfffd
	v_dual_max_num_f32 v5, v12, v12 :: v_dual_cndmask_b32 v2, v11, v2
	s_wait_dscnt 0x0
	s_delay_alu instid0(VALU_DEP_1) | instskip(SKIP_4) | instid1(VALU_DEP_1)
	v_lshlrev_b32_e32 v4, 2, v2
	v_lshlrev_b32_e32 v3, 2, v1
	ds_bpermute_b32 v1, v3, v12
	s_wait_dscnt 0x0
	v_max_num_f32_e32 v1, v1, v1
	v_max_num_f32_e32 v1, v5, v1
	v_xor_b32_e32 v5, 4, v11
	ds_bpermute_b32 v2, v4, v1
	v_cmp_gt_i32_e32 vcc_lo, 32, v5
	s_wait_dscnt 0x0
	s_wait_alu 0xfffd
	v_dual_cndmask_b32 v5, v11, v5 :: v_dual_max_num_f32 v2, v2, v2
	s_delay_alu instid0(VALU_DEP_1) | instskip(SKIP_1) | instid1(VALU_DEP_3)
	v_lshlrev_b32_e32 v6, 2, v5
	v_xor_b32_e32 v5, 2, v11
	v_max_num_f32_e32 v1, v1, v2
	s_delay_alu instid0(VALU_DEP_2)
	v_cmp_gt_i32_e32 vcc_lo, 32, v5
	ds_bpermute_b32 v2, v6, v1
	s_wait_alu 0xfffd
	v_cndmask_b32_e32 v5, v11, v5, vcc_lo
	v_cmp_eq_u32_e32 vcc_lo, 0, v48
	s_wait_dscnt 0x0
	v_max_num_f32_e32 v2, v2, v2
	s_delay_alu instid0(VALU_DEP_1)
	v_dual_max_num_f32 v1, v1, v2 :: v_dual_lshlrev_b32 v2, 2, v5
	ds_bpermute_b32 v5, v2, v1
	s_and_saveexec_b32 s0, vcc_lo
	s_cbranch_execz .LBB159_23
; %bb.22:
	s_wait_dscnt 0x0
	v_max_num_f32_e32 v5, v5, v5
	v_max_num_f32_e32 v1, v1, v1
	s_delay_alu instid0(VALU_DEP_1)
	v_max_num_f32_e32 v1, v1, v5
	ds_store_b32 v7, v1 offset:256
.LBB159_23:
	s_or_b32 exec_lo, exec_lo, s0
	v_cmp_gt_u32_e64 s0, 4, v48
	v_dual_mov_b32 v1, 0xff7fffff :: v_dual_lshlrev_b32 v8, 2, v48
	s_wait_loadcnt_dscnt 0x0
	s_barrier_signal -1
	s_barrier_wait -1
	global_inv scope:SCOPE_SE
	s_and_saveexec_b32 s1, s0
; %bb.24:
	ds_load_b32 v1, v8 offset:256
; %bb.25:
	s_or_b32 exec_lo, exec_lo, s1
	s_wait_dscnt 0x0
	ds_bpermute_b32 v5, v2, v1
	v_xor_b32_e32 v12, 1, v11
	v_max_num_f32_e32 v1, v1, v1
	s_delay_alu instid0(VALU_DEP_2) | instskip(NEXT) | instid1(VALU_DEP_1)
	v_cmp_gt_i32_e64 s1, 32, v12
	v_cndmask_b32_e64 v11, v11, v12, s1
	s_sub_co_i32 s1, s23, s38
	s_wait_alu 0xfffe
	s_lshl_b32 s1, s1, 4
	s_delay_alu instid0(VALU_DEP_1)
	v_lshlrev_b32_e32 v49, 2, v11
	v_mov_b32_e32 v11, 0
	s_wait_alu 0xfffe
	s_add_co_i32 s1, s1, s35
	s_wait_alu 0xfffe
	s_min_i32 s1, s1, s31
	s_wait_dscnt 0x0
	v_max_num_f32_e32 v5, v5, v5
	s_wait_alu 0xfffe
	s_sub_co_i32 s5, s1, s35
	s_wait_alu 0xfffe
	v_cmp_gt_i32_e64 s1, s5, v0
	v_max_num_f32_e32 v1, v1, v5
	ds_bpermute_b32 v5, v49, v1
	s_wait_dscnt 0x0
	v_max_num_f32_e32 v5, v5, v5
	s_delay_alu instid0(VALU_DEP_1)
	v_max_num_f32_e32 v1, v1, v5
	v_lshl_add_u32 v5, v0, 2, 0x120
	ds_bpermute_b32 v1, v11, v1
	s_and_saveexec_b32 s19, s1
	s_cbranch_execz .LBB159_29
; %bb.26:
	v_lshl_add_u32 v12, v0, 2, 0x120
	v_mov_b32_e32 v11, 0
	v_mov_b32_e32 v13, v0
	s_mov_b32 s35, 0
.LBB159_27:                             ; =>This Inner Loop Header: Depth=1
	ds_load_b32 v14, v12
	v_add_nc_u32_e32 v13, 0x80, v13
	s_delay_alu instid0(VALU_DEP_1) | instskip(SKIP_4) | instid1(VALU_DEP_1)
	v_cmp_le_i32_e64 s4, s5, v13
	s_wait_alu 0xfffe
	s_or_b32 s35, s4, s35
	s_wait_dscnt 0x0
	v_sub_f32_e32 v14, v14, v1
	v_mul_f32_e32 v14, 0x3fb8aa3b, v14
	s_delay_alu instid0(VALU_DEP_1)
	v_exp_f32_e32 v14, v14
	ds_store_b32 v12, v14
	v_dual_add_f32 v11, v11, v14 :: v_dual_add_nc_u32 v12, 0x200, v12
	s_wait_alu 0xfffe
	s_and_not1_b32 exec_lo, exec_lo, s35
	s_cbranch_execnz .LBB159_27
; %bb.28:
	s_or_b32 exec_lo, exec_lo, s35
.LBB159_29:
	s_delay_alu instid0(SALU_CYCLE_1)
	s_or_b32 exec_lo, exec_lo, s19
	ds_bpermute_b32 v3, v3, v11
	s_wait_dscnt 0x0
	v_add_f32_e32 v3, v11, v3
	ds_bpermute_b32 v4, v4, v3
	s_wait_dscnt 0x0
	v_add_f32_e32 v3, v3, v4
	;; [unrolled: 3-line block ×5, first 2 shown]
	s_and_saveexec_b32 s4, vcc_lo
; %bb.30:
	ds_store_b32 v7, v3 offset:272
; %bb.31:
	s_wait_alu 0xfffe
	s_or_b32 exec_lo, exec_lo, s4
	s_wait_loadcnt_dscnt 0x0
	s_barrier_signal -1
	s_barrier_wait -1
	global_inv scope:SCOPE_SE
	s_and_saveexec_b32 s4, s0
; %bb.32:
	ds_load_b32 v3, v8 offset:272
; %bb.33:
	s_wait_alu 0xfffe
	s_or_b32 exec_lo, exec_lo, s4
	s_wait_dscnt 0x0
	ds_bpermute_b32 v2, v2, v3
	s_wait_dscnt 0x0
	v_add_f32_e32 v2, v3, v2
	ds_bpermute_b32 v3, v49, v2
	s_wait_dscnt 0x0
	v_dual_add_f32 v2, v2, v3 :: v_dual_mov_b32 v3, 0
	ds_bpermute_b32 v2, v3, v2
	s_and_saveexec_b32 s0, s1
	s_cbranch_execz .LBB159_36
; %bb.34:
	s_wait_dscnt 0x0
	v_add_f32_e32 v3, 0x358637bd, v2
	s_mov_b32 s1, 0
	s_delay_alu instid0(VALU_DEP_1) | instskip(SKIP_1) | instid1(VALU_DEP_2)
	v_div_scale_f32 v4, null, v3, v3, 1.0
	v_div_scale_f32 v8, vcc_lo, 1.0, v3, 1.0
	v_rcp_f32_e32 v6, v4
	s_delay_alu instid0(TRANS32_DEP_1) | instskip(NEXT) | instid1(VALU_DEP_1)
	v_fma_f32 v7, -v4, v6, 1.0
	v_fmac_f32_e32 v6, v7, v6
	s_delay_alu instid0(VALU_DEP_1) | instskip(NEXT) | instid1(VALU_DEP_1)
	v_mul_f32_e32 v7, v8, v6
	v_fma_f32 v11, -v4, v7, v8
	s_delay_alu instid0(VALU_DEP_1) | instskip(NEXT) | instid1(VALU_DEP_1)
	v_fmac_f32_e32 v7, v11, v6
	v_fma_f32 v4, -v4, v7, v8
	s_wait_alu 0xfffd
	s_delay_alu instid0(VALU_DEP_1) | instskip(NEXT) | instid1(VALU_DEP_1)
	v_div_fmas_f32 v4, v4, v6, v7
	v_div_fixup_f32 v3, v4, v3, 1.0
	v_mov_b32_e32 v4, v0
.LBB159_35:                             ; =>This Inner Loop Header: Depth=1
	ds_load_b32 v6, v5
	v_add_nc_u32_e32 v4, 0x80, v4
	s_delay_alu instid0(VALU_DEP_1)
	v_cmp_le_i32_e32 vcc_lo, s5, v4
	s_wait_alu 0xfffe
	s_or_b32 s1, vcc_lo, s1
	s_wait_dscnt 0x0
	v_mul_f32_e32 v6, v3, v6
	ds_store_b32 v5, v6
	v_add_nc_u32_e32 v5, 0x200, v5
	s_wait_alu 0xfffe
	s_and_not1_b32 exec_lo, exec_lo, s1
	s_cbranch_execnz .LBB159_35
.LBB159_36:
	s_wait_alu 0xfffe
	s_or_b32 exec_lo, exec_lo, s0
	s_mul_i32 s0, s8, s33
	s_wait_loadcnt_dscnt 0x0
	s_wait_alu 0xfffe
	s_mul_i32 s4, s0, s34
	s_mov_b32 s0, exec_lo
	s_barrier_signal -1
	s_barrier_wait -1
	global_inv scope:SCOPE_SE
	v_cmpx_eq_u32_e32 0, v0
	s_cbranch_execz .LBB159_38
; %bb.37:
	s_wait_alu 0xfffe
	s_ashr_i32 s5, s4, 31
	s_mul_i32 s34, s8, ttmp9
	s_lshl_b32 s1, s30, 2
	s_wait_alu 0xfffe
	s_lshl_b64 s[38:39], s[4:5], 2
	s_ashr_i32 s35, s34, 31
	v_mov_b32_e32 v3, s1
	s_wait_kmcnt 0x0
	s_wait_alu 0xfffe
	s_add_nc_u64 s[14:15], s[14:15], s[38:39]
	s_lshl_b64 s[34:35], s[34:35], 2
	s_add_nc_u64 s[12:13], s[12:13], s[38:39]
	s_wait_alu 0xfffe
	s_add_nc_u64 s[14:15], s[14:15], s[34:35]
	s_add_nc_u64 s[12:13], s[12:13], s[34:35]
	s_clause 0x1
	global_store_b32 v3, v1, s[14:15]
	global_store_b32 v3, v2, s[12:13]
.LBB159_38:
	s_wait_alu 0xfffe
	s_or_b32 exec_lo, exec_lo, s0
	v_dual_mov_b32 v57, 0 :: v_dual_mov_b32 v56, 0
	v_dual_mov_b32 v55, 0 :: v_dual_mov_b32 v54, 0
	;; [unrolled: 1-line block ×4, first 2 shown]
	s_and_saveexec_b32 s1, s3
	s_cbranch_execz .LBB159_60
; %bb.39:
	s_abs_i32 s3, s10
	v_dual_mov_b32 v53, 0 :: v_dual_lshlrev_b32 v2, 4, v0
	s_wait_alu 0xfffe
	s_cvt_f32_u32 s0, s3
	v_mov_b32_e32 v50, 0
	s_ashr_i32 s19, s18, 31
	v_dual_mov_b32 v55, 0 :: v_dual_and_b32 v2, 0x1f0, v2
	s_wait_alu 0xfffe
	v_rcp_iflag_f32_e32 v1, s0
	s_wait_kmcnt 0x0
	s_lshl_b64 s[14:15], s[26:27], 2
	s_lshl_b64 s[18:19], s[18:19], 1
	s_wait_alu 0xfffe
	s_add_nc_u64 s[14:15], s[24:25], s[14:15]
	s_add_nc_u64 s[18:19], s[28:29], s[18:19]
	s_sub_co_i32 s13, 0, s3
	s_sub_co_i32 s5, s37, s9
	s_mov_b32 s9, s17
	v_add_co_u32 v59, s17, s18, v2
	v_readfirstlane_b32 s0, v1
	v_lshlrev_b32_e32 v1, 5, v44
	s_wait_alu 0xfffe
	v_add_co_u32 v41, s14, s14, v10
	v_dual_mov_b32 v51, 0 :: v_dual_and_b32 v58, 8, v9
	s_mul_f32 s0, s0, 0x4f7ffffe
	v_lshl_or_b32 v1, v45, 6, v1
	v_add_co_ci_u32_e64 v60, null, s19, 0, s17
	s_wait_alu 0xfffe
	s_cvt_u32_f32 s0, s0
	v_add_co_ci_u32_e64 v42, null, s15, 0, s14
	v_dual_mov_b32 v52, 0 :: v_dual_add_nc_u32 v61, 0x120, v1
	s_wait_alu 0xfffe
	s_mul_i32 s13, s13, s0
	v_dual_mov_b32 v54, 0 :: v_dual_mov_b32 v57, 0
	v_mov_b32_e32 v56, 0
	s_wait_alu 0xfffe
	s_mul_hi_u32 s14, s0, s13
	s_add_co_i32 s10, s36, -1
	s_mov_b32 s12, 0
	s_mov_b32 s13, s31
	s_wait_alu 0xfffe
	s_add_co_i32 s14, s0, s14
	s_branch .LBB159_42
.LBB159_40:                             ;   in Loop: Header=BB159_42 Depth=1
	s_wait_alu 0xfffe
	s_or_b32 exec_lo, exec_lo, s0
	s_wait_dscnt 0x1
	v_bfe_u32 v62, v29, 16, 1
	v_or_b32_e32 v63, 0x400000, v29
	v_bfe_u32 v64, v30, 16, 1
	v_cmp_u_f32_e32 vcc_lo, v29, v29
	v_bfe_u32 v65, v31, 16, 1
	v_add3_u32 v62, v62, v29, 0x7fff
	v_or_b32_e32 v66, 0x400000, v30
	v_add3_u32 v64, v64, v30, 0x7fff
	v_or_b32_e32 v67, 0x400000, v31
	v_add3_u32 v65, v65, v31, 0x7fff
	s_wait_alu 0xfffd
	v_cndmask_b32_e32 v29, v62, v63, vcc_lo
	v_cmp_u_f32_e32 vcc_lo, v30, v30
	v_bfe_u32 v62, v32, 16, 1
	s_wait_dscnt 0x0
	v_bfe_u32 v63, v25, 16, 1
	s_wait_alu 0xfffd
	v_cndmask_b32_e32 v30, v64, v66, vcc_lo
	v_cmp_u_f32_e32 vcc_lo, v31, v31
	v_add3_u32 v62, v62, v32, 0x7fff
	v_or_b32_e32 v64, 0x400000, v32
	v_add3_u32 v63, v63, v25, 0x7fff
	v_bfe_u32 v66, v26, 16, 1
	s_wait_alu 0xfffd
	v_cndmask_b32_e32 v31, v65, v67, vcc_lo
	v_cmp_u_f32_e32 vcc_lo, v32, v32
	v_or_b32_e32 v65, 0x400000, v25
	s_wait_alu 0xfffd
	v_dual_cndmask_b32 v32, v62, v64 :: v_dual_and_b32 v29, 0xffff0000, v29
	v_cmp_u_f32_e32 vcc_lo, v25, v25
	v_or_b32_e32 v64, 0x400000, v26
	s_wait_alu 0xfffd
	v_dual_cndmask_b32 v62, v63, v65 :: v_dual_and_b32 v25, 0xffff0000, v30
	v_add3_u32 v63, v66, v26, 0x7fff
	v_bfe_u32 v65, v27, 16, 1
	v_cmp_u_f32_e32 vcc_lo, v26, v26
	s_wait_loadcnt 0x1
	v_and_b32_e32 v30, 0xffff0000, v37
	s_delay_alu instid0(VALU_DEP_3)
	v_add3_u32 v26, v65, v27, 0x7fff
	s_wait_alu 0xfffd
	v_cndmask_b32_e32 v63, v63, v64, vcc_lo
	v_or_b32_e32 v64, 0x400000, v27
	v_bfe_u32 v65, v28, 16, 1
	v_mul_f32_e32 v30, v25, v30
	v_cmp_u_f32_e32 vcc_lo, v27, v27
	v_lshlrev_b32_e32 v37, 16, v37
	s_delay_alu instid0(VALU_DEP_4)
	v_add3_u32 v27, v65, v28, 0x7fff
	v_or_b32_e32 v65, 0x400000, v28
	s_wait_alu 0xfffd
	v_cndmask_b32_e32 v64, v26, v64, vcc_lo
	v_bfe_u32 v66, v30, 16, 1
	v_dual_mul_f32 v37, v29, v37 :: v_dual_and_b32 v26, 0xffff0000, v32
	v_cmp_u_f32_e32 vcc_lo, v28, v28
	s_wait_alu 0xfffd
	v_cndmask_b32_e32 v28, v27, v65, vcc_lo
	v_add3_u32 v27, v66, v30, 0x7fff
	v_bfe_u32 v66, v37, 16, 1
	v_or_b32_e32 v65, 0x400000, v30
	v_cmp_u_f32_e32 vcc_lo, v30, v30
	v_and_b32_e32 v31, 0xffff0000, v31
	s_delay_alu instid0(VALU_DEP_4) | instskip(SKIP_1) | instid1(VALU_DEP_1)
	v_add3_u32 v30, v66, v37, 0x7fff
	v_and_b32_e32 v32, 0xffff0000, v38
	v_dual_mul_f32 v67, v26, v32 :: v_dual_lshlrev_b32 v32, 16, v38
	s_wait_alu 0xfffd
	v_cndmask_b32_e32 v38, v27, v65, vcc_lo
	v_or_b32_e32 v65, 0x400000, v37
	v_cmp_u_f32_e32 vcc_lo, v37, v37
	v_bfe_u32 v66, v67, 16, 1
	v_dual_mul_f32 v68, v31, v32 :: v_dual_and_b32 v27, 0xffff0000, v63
	s_wait_alu 0xfffd
	v_dual_cndmask_b32 v37, v30, v65 :: v_dual_and_b32 v32, 0xffff0000, v39
	s_delay_alu instid0(VALU_DEP_3)
	v_add3_u32 v30, v66, v67, 0x7fff
	v_or_b32_e32 v63, 0x400000, v67
	v_bfe_u32 v65, v68, 16, 1
	v_cmp_u_f32_e32 vcc_lo, v67, v67
	v_dual_mul_f32 v66, v27, v32 :: v_dual_lshlrev_b32 v39, 16, v39
	v_and_b32_e32 v67, 0xffff0000, v40
	v_and_b32_e32 v38, 0xffff0000, v38
	v_and_b32_e32 v28, 0xffff0000, v28
	v_and_b32_e32 v32, 0xffff0000, v62
	s_wait_alu 0xfffd
	v_dual_cndmask_b32 v62, v30, v63 :: v_dual_and_b32 v37, 0xffff0000, v37
	v_add3_u32 v30, v65, v68, 0x7fff
	v_or_b32_e32 v63, 0x400000, v68
	v_cmp_u_f32_e32 vcc_lo, v68, v68
	s_delay_alu instid0(VALU_DEP_4) | instskip(SKIP_4) | instid1(VALU_DEP_3)
	v_and_b32_e32 v62, 0xffff0000, v62
	v_bfe_u32 v65, v66, 16, 1
	v_add_f32_e32 v37, v37, v38
	s_wait_alu 0xfffd
	v_dual_cndmask_b32 v63, v30, v63 :: v_dual_and_b32 v30, 0xffff0000, v64
	v_add3_u32 v65, v65, v66, 0x7fff
	v_or_b32_e32 v64, 0x400000, v66
	v_cmp_u_f32_e32 vcc_lo, v66, v66
	s_wait_alu 0xfffd
	s_delay_alu instid0(VALU_DEP_2) | instskip(NEXT) | instid1(VALU_DEP_1)
	v_dual_cndmask_b32 v64, v65, v64 :: v_dual_and_b32 v63, 0xffff0000, v63
	v_dual_add_f32 v38, v63, v62 :: v_dual_mul_f32 v67, v28, v67
	v_dual_mul_f32 v39, v32, v39 :: v_dual_lshlrev_b32 v40, 16, v40
	s_delay_alu instid0(VALU_DEP_2) | instskip(NEXT) | instid1(VALU_DEP_3)
	v_add_f32_e32 v37, v38, v37
	v_bfe_u32 v70, v67, 16, 1
	s_delay_alu instid0(VALU_DEP_3)
	v_bfe_u32 v68, v39, 16, 1
	v_or_b32_e32 v69, 0x400000, v39
	v_cmp_u_f32_e32 vcc_lo, v39, v39
	v_and_b32_e32 v62, 0xffff0000, v64
	v_add3_u32 v65, v70, v67, 0x7fff
	v_add3_u32 v68, v68, v39, 0x7fff
	s_wait_alu 0xfffd
	s_delay_alu instid0(VALU_DEP_1) | instskip(SKIP_1) | instid1(VALU_DEP_2)
	v_dual_cndmask_b32 v39, v68, v69 :: v_dual_mul_f32 v40, v30, v40
	v_or_b32_e32 v68, 0x400000, v67
	v_and_b32_e32 v39, 0xffff0000, v39
	s_delay_alu instid0(VALU_DEP_3) | instskip(SKIP_2) | instid1(VALU_DEP_4)
	v_bfe_u32 v66, v40, 16, 1
	v_or_b32_e32 v69, 0x400000, v40
	v_cmp_u_f32_e32 vcc_lo, v40, v40
	v_add_f32_e32 v38, v39, v62
	s_delay_alu instid0(VALU_DEP_4) | instskip(SKIP_2) | instid1(VALU_DEP_4)
	v_add3_u32 v66, v66, v40, 0x7fff
	v_and_b32_e32 v39, 0xffff0000, v33
	v_lshlrev_b32_e32 v33, 16, v33
	v_add_f32_e32 v37, v38, v37
	s_wait_alu 0xfffd
	v_cndmask_b32_e32 v40, v66, v69, vcc_lo
	v_cmp_u_f32_e32 vcc_lo, v67, v67
	v_mul_f32_e32 v33, v29, v33
	s_delay_alu instid0(VALU_DEP_3) | instskip(SKIP_2) | instid1(VALU_DEP_3)
	v_dual_mul_f32 v39, v25, v39 :: v_dual_and_b32 v40, 0xffff0000, v40
	s_wait_alu 0xfffd
	v_cndmask_b32_e32 v63, v65, v68, vcc_lo
	v_or_b32_e32 v64, 0x400000, v33
	s_delay_alu instid0(VALU_DEP_3) | instskip(NEXT) | instid1(VALU_DEP_3)
	v_cmp_u_f32_e32 vcc_lo, v39, v39
	v_and_b32_e32 v62, 0xffff0000, v63
	v_bfe_u32 v63, v33, 16, 1
	s_delay_alu instid0(VALU_DEP_1) | instskip(NEXT) | instid1(VALU_DEP_3)
	v_add3_u32 v63, v63, v33, 0x7fff
	v_add_f32_e32 v38, v40, v62
	v_and_b32_e32 v40, 0xffff0000, v34
	v_bfe_u32 v62, v39, 16, 1
	s_delay_alu instid0(VALU_DEP_3) | instskip(NEXT) | instid1(VALU_DEP_3)
	v_add_f32_e32 v37, v38, v37
	v_mul_f32_e32 v38, v26, v40
	s_delay_alu instid0(VALU_DEP_3) | instskip(SKIP_2) | instid1(VALU_DEP_1)
	v_add3_u32 v40, v62, v39, 0x7fff
	v_or_b32_e32 v62, 0x400000, v39
	s_wait_alu 0xfffd
	v_cndmask_b32_e32 v39, v40, v62, vcc_lo
	v_cmp_u_f32_e32 vcc_lo, v33, v33
	v_bfe_u32 v65, v38, 16, 1
	v_or_b32_e32 v62, 0x400000, v38
	s_delay_alu instid0(VALU_DEP_4)
	v_and_b32_e32 v39, 0xffff0000, v39
	s_wait_alu 0xfffd
	v_cndmask_b32_e32 v33, v63, v64, vcc_lo
	v_add3_u32 v40, v65, v38, 0x7fff
	v_and_b32_e32 v63, 0xffff0000, v35
	v_cmp_u_f32_e32 vcc_lo, v38, v38
	v_lshlrev_b32_e32 v35, 16, v35
	v_and_b32_e32 v33, 0xffff0000, v33
	v_lshlrev_b32_e32 v34, 16, v34
	s_wait_alu 0xfffd
	v_cndmask_b32_e32 v38, v40, v62, vcc_lo
	v_mul_f32_e32 v40, v27, v63
	s_delay_alu instid0(VALU_DEP_3) | instskip(NEXT) | instid1(VALU_DEP_3)
	v_dual_add_f32 v33, v33, v39 :: v_dual_mul_f32 v34, v31, v34
	v_dual_mul_f32 v35, v32, v35 :: v_dual_and_b32 v38, 0xffff0000, v38
	s_delay_alu instid0(VALU_DEP_3) | instskip(NEXT) | instid1(VALU_DEP_3)
	v_bfe_u32 v65, v40, 16, 1
	v_bfe_u32 v64, v34, 16, 1
	v_or_b32_e32 v63, 0x400000, v34
	v_cmp_u_f32_e32 vcc_lo, v34, v34
	v_bfe_u32 v66, v35, 16, 1
	s_delay_alu instid0(VALU_DEP_4) | instskip(SKIP_1) | instid1(VALU_DEP_1)
	v_add3_u32 v62, v64, v34, 0x7fff
	s_wait_alu 0xfffd
	v_cndmask_b32_e32 v34, v62, v63, vcc_lo
	v_add3_u32 v63, v65, v40, 0x7fff
	v_cmp_u_f32_e32 vcc_lo, v40, v40
	v_add3_u32 v65, v66, v35, 0x7fff
	v_or_b32_e32 v66, 0x400000, v35
	v_and_b32_e32 v34, 0xffff0000, v34
	s_delay_alu instid0(VALU_DEP_1) | instskip(SKIP_3) | instid1(VALU_DEP_3)
	v_add_f32_e32 v34, v34, v38
	v_and_b32_e32 v64, 0xffff0000, v36
	v_and_b32_e32 v38, 0xffff0000, v21
	v_lshlrev_b32_e32 v21, 16, v21
	v_dual_add_f32 v33, v34, v33 :: v_dual_mul_f32 v62, v28, v64
	v_or_b32_e32 v64, 0x400000, v40
	s_wait_alu 0xfffd
	s_delay_alu instid0(VALU_DEP_1) | instskip(SKIP_1) | instid1(VALU_DEP_2)
	v_dual_mul_f32 v21, v29, v21 :: v_dual_cndmask_b32 v40, v63, v64
	v_cmp_u_f32_e32 vcc_lo, v35, v35
	v_and_b32_e32 v39, 0xffff0000, v40
	s_wait_alu 0xfffd
	v_cndmask_b32_e32 v35, v65, v66, vcc_lo
	s_delay_alu instid0(VALU_DEP_1)
	v_and_b32_e32 v35, 0xffff0000, v35
	v_bfe_u32 v67, v62, 16, 1
	v_lshlrev_b32_e32 v36, 16, v36
	v_or_b32_e32 v64, 0x400000, v62
	v_cmp_u_f32_e32 vcc_lo, v62, v62
	v_add_f32_e32 v35, v35, v39
	v_add3_u32 v63, v67, v62, 0x7fff
	s_delay_alu instid0(VALU_DEP_2) | instskip(SKIP_1) | instid1(VALU_DEP_2)
	v_dual_mul_f32 v36, v30, v36 :: v_dual_add_f32 v33, v35, v33
	s_wait_alu 0xfffd
	v_cndmask_b32_e32 v62, v63, v64, vcc_lo
	s_delay_alu instid0(VALU_DEP_2)
	v_bfe_u32 v63, v36, 16, 1
	v_cmp_u_f32_e32 vcc_lo, v36, v36
	v_and_b32_e32 v64, 0xffff0000, v24
	v_and_b32_e32 v35, 0xffff0000, v22
	v_lshlrev_b32_e32 v24, 16, v24
	v_add3_u32 v40, v63, v36, 0x7fff
	v_or_b32_e32 v63, 0x400000, v36
	s_delay_alu instid0(VALU_DEP_4) | instskip(NEXT) | instid1(VALU_DEP_4)
	v_mul_f32_e32 v35, v26, v35
	v_mul_f32_e32 v24, v30, v24
	s_wait_alu 0xfffd
	s_delay_alu instid0(VALU_DEP_3)
	v_cndmask_b32_e32 v36, v40, v63, vcc_lo
	v_and_b32_e32 v63, 0xffff0000, v23
	v_lshlrev_b32_e32 v23, 16, v23
	v_bfe_u32 v40, v21, 16, 1
	v_lshlrev_b32_e32 v22, 16, v22
	v_bfe_u32 v67, v24, 16, 1
	v_dual_mul_f32 v63, v27, v63 :: v_dual_mul_f32 v34, v25, v38
	v_mul_f32_e32 v23, v32, v23
	s_delay_alu instid0(VALU_DEP_2) | instskip(SKIP_2) | instid1(VALU_DEP_4)
	v_bfe_u32 v38, v34, 16, 1
	v_or_b32_e32 v39, 0x400000, v34
	v_cmp_u_f32_e32 vcc_lo, v34, v34
	v_or_b32_e32 v65, 0x400000, v23
	v_mul_f32_e32 v22, v31, v22
	v_add3_u32 v38, v38, v34, 0x7fff
	s_wait_alu 0xfffd
	s_delay_alu instid0(VALU_DEP_1)
	v_cndmask_b32_e32 v34, v38, v39, vcc_lo
	v_add3_u32 v38, v40, v21, 0x7fff
	v_or_b32_e32 v39, 0x400000, v21
	v_bfe_u32 v40, v35, 16, 1
	v_cmp_u_f32_e32 vcc_lo, v21, v21
	s_wait_alu 0xfffd
	s_delay_alu instid0(VALU_DEP_3) | instskip(NEXT) | instid1(VALU_DEP_3)
	v_cndmask_b32_e32 v21, v38, v39, vcc_lo
	v_add3_u32 v38, v40, v35, 0x7fff
	v_or_b32_e32 v39, 0x400000, v35
	v_bfe_u32 v40, v22, 16, 1
	v_cmp_u_f32_e32 vcc_lo, v35, v35
	v_and_b32_e32 v36, 0xffff0000, v36
	v_and_b32_e32 v21, 0xffff0000, v21
	s_wait_alu 0xfffd
	v_cndmask_b32_e32 v35, v38, v39, vcc_lo
	v_add3_u32 v38, v40, v22, 0x7fff
	v_or_b32_e32 v39, 0x400000, v22
	v_bfe_u32 v40, v63, 16, 1
	v_cmp_u_f32_e32 vcc_lo, v22, v22
	s_wait_alu 0xfffd
	s_delay_alu instid0(VALU_DEP_3)
	v_cndmask_b32_e32 v22, v38, v39, vcc_lo
	v_bfe_u32 v38, v23, 16, 1
	v_add3_u32 v39, v40, v63, 0x7fff
	v_mul_f32_e32 v40, v28, v64
	v_or_b32_e32 v64, 0x400000, v63
	v_cmp_u_f32_e32 vcc_lo, v63, v63
	v_add3_u32 v38, v38, v23, 0x7fff
	v_add3_u32 v63, v67, v24, 0x7fff
	v_and_b32_e32 v22, 0xffff0000, v22
	v_bfe_u32 v66, v40, 16, 1
	s_wait_alu 0xfffd
	v_cndmask_b32_e32 v39, v39, v64, vcc_lo
	v_cmp_u_f32_e32 vcc_lo, v23, v23
	v_or_b32_e32 v64, 0x400000, v24
	s_wait_alu 0xfffd
	v_cndmask_b32_e32 v23, v38, v65, vcc_lo
	v_cmp_u_f32_e32 vcc_lo, v24, v24
	v_and_b32_e32 v35, 0xffff0000, v35
	v_add3_u32 v38, v66, v40, 0x7fff
	v_or_b32_e32 v65, 0x400000, v40
	s_wait_alu 0xfffd
	v_dual_cndmask_b32 v24, v63, v64 :: v_dual_and_b32 v23, 0xffff0000, v23
	v_add_f32_e32 v22, v22, v35
	v_and_b32_e32 v34, 0xffff0000, v34
	v_cmp_u_f32_e32 vcc_lo, v40, v40
	s_delay_alu instid0(VALU_DEP_2) | instskip(SKIP_2) | instid1(VALU_DEP_2)
	v_add_f32_e32 v21, v21, v34
	s_wait_alu 0xfffd
	v_cndmask_b32_e32 v35, v38, v65, vcc_lo
	v_dual_add_f32 v21, v22, v21 :: v_dual_and_b32 v38, 0xffff0000, v62
	v_and_b32_e32 v34, 0xffff0000, v39
	s_delay_alu instid0(VALU_DEP_1) | instskip(SKIP_3) | instid1(VALU_DEP_4)
	v_dual_add_f32 v22, v23, v34 :: v_dual_and_b32 v23, 0xffff0000, v24
	v_and_b32_e32 v34, 0xffff0000, v17
	v_and_b32_e32 v24, 0xffff0000, v35
	v_lshlrev_b32_e32 v17, 16, v17
	v_add_f32_e32 v21, v22, v21
	s_delay_alu instid0(VALU_DEP_3) | instskip(SKIP_1) | instid1(VALU_DEP_4)
	v_dual_add_f32 v35, v36, v38 :: v_dual_add_f32 v22, v23, v24
	v_mul_f32_e32 v23, v25, v34
	v_mul_f32_e32 v17, v29, v17
	s_delay_alu instid0(VALU_DEP_3) | instskip(NEXT) | instid1(VALU_DEP_4)
	v_dual_add_f32 v24, v35, v33 :: v_dual_and_b32 v33, 0xffff0000, v18
	v_dual_add_f32 v21, v22, v21 :: v_dual_lshlrev_b32 v18, 16, v18
	s_delay_alu instid0(VALU_DEP_4) | instskip(NEXT) | instid1(VALU_DEP_3)
	v_bfe_u32 v22, v23, 16, 1
	v_dual_add_f32 v51, v51, v37 :: v_dual_add_f32 v52, v52, v24
	v_bfe_u32 v24, v17, 16, 1
	s_delay_alu instid0(VALU_DEP_4) | instskip(NEXT) | instid1(VALU_DEP_4)
	v_dual_add_f32 v53, v53, v21 :: v_dual_mul_f32 v18, v31, v18
	v_add3_u32 v21, v22, v23, 0x7fff
	v_or_b32_e32 v22, 0x400000, v23
	v_mul_f32_e32 v33, v26, v33
	v_cmp_u_f32_e32 vcc_lo, v23, v23
	v_add3_u32 v24, v24, v17, 0x7fff
	v_or_b32_e32 v34, 0x400000, v17
	v_and_b32_e32 v35, 0xffff0000, v20
	s_wait_alu 0xfffd
	v_dual_cndmask_b32 v21, v21, v22 :: v_dual_lshlrev_b32 v20, 16, v20
	v_bfe_u32 v22, v33, 16, 1
	v_cmp_u_f32_e32 vcc_lo, v17, v17
	s_delay_alu instid0(VALU_DEP_3) | instskip(NEXT) | instid1(VALU_DEP_3)
	v_dual_mul_f32 v20, v30, v20 :: v_dual_and_b32 v21, 0xffff0000, v21
	v_add3_u32 v22, v22, v33, 0x7fff
	s_wait_alu 0xfffd
	v_cndmask_b32_e32 v17, v24, v34, vcc_lo
	v_or_b32_e32 v24, 0x400000, v33
	v_bfe_u32 v34, v18, 16, 1
	v_cmp_u_f32_e32 vcc_lo, v33, v33
	v_or_b32_e32 v33, 0x400000, v18
	s_wait_alu 0xfffd
	v_cndmask_b32_e32 v22, v22, v24, vcc_lo
	v_add3_u32 v24, v34, v18, 0x7fff
	v_cmp_u_f32_e32 vcc_lo, v18, v18
	v_and_b32_e32 v23, 0xffff0000, v19
	v_lshlrev_b32_e32 v19, 16, v19
	v_and_b32_e32 v22, 0xffff0000, v22
	s_wait_alu 0xfffd
	s_delay_alu instid0(VALU_DEP_3) | instskip(NEXT) | instid1(VALU_DEP_1)
	v_dual_cndmask_b32 v18, v24, v33 :: v_dual_mul_f32 v23, v27, v23
	v_dual_mul_f32 v19, v32, v19 :: v_dual_and_b32 v18, 0xffff0000, v18
	s_delay_alu instid0(VALU_DEP_2) | instskip(NEXT) | instid1(VALU_DEP_2)
	v_bfe_u32 v34, v23, 16, 1
	v_bfe_u32 v36, v19, 16, 1
	v_mul_f32_e32 v33, v28, v35
	v_cmp_u_f32_e32 vcc_lo, v23, v23
	v_add_f32_e32 v18, v18, v22
	v_add3_u32 v24, v34, v23, 0x7fff
	v_or_b32_e32 v34, 0x400000, v23
	v_add3_u32 v35, v36, v19, 0x7fff
	v_or_b32_e32 v36, 0x400000, v19
	v_bfe_u32 v37, v33, 16, 1
	s_wait_alu 0xfffd
	v_dual_cndmask_b32 v23, v24, v34 :: v_dual_and_b32 v22, 0xffff0000, v13
	v_cmp_u_f32_e32 vcc_lo, v19, v19
	v_or_b32_e32 v34, 0x400000, v33
	v_add3_u32 v24, v37, v33, 0x7fff
	v_and_b32_e32 v17, 0xffff0000, v17
	v_lshlrev_b32_e32 v13, 16, v13
	s_wait_alu 0xfffd
	v_cndmask_b32_e32 v19, v35, v36, vcc_lo
	v_bfe_u32 v35, v20, 16, 1
	v_cmp_u_f32_e32 vcc_lo, v33, v33
	s_delay_alu instid0(VALU_DEP_2)
	v_add3_u32 v33, v35, v20, 0x7fff
	s_wait_alu 0xfffd
	v_cndmask_b32_e32 v24, v24, v34, vcc_lo
	v_or_b32_e32 v34, 0x400000, v20
	v_cmp_u_f32_e32 vcc_lo, v20, v20
	s_wait_alu 0xfffd
	s_delay_alu instid0(VALU_DEP_2) | instskip(SKIP_4) | instid1(VALU_DEP_4)
	v_cndmask_b32_e32 v20, v33, v34, vcc_lo
	v_add_f32_e32 v17, v17, v21
	v_and_b32_e32 v21, 0xffff0000, v23
	v_and_b32_e32 v33, 0xffff0000, v16
	v_lshlrev_b32_e32 v16, 16, v16
	v_dual_add_f32 v17, v18, v17 :: v_dual_and_b32 v20, 0xffff0000, v20
	v_mul_f32_e32 v18, v25, v22
	v_and_b32_e32 v22, 0xffff0000, v24
	v_and_b32_e32 v24, 0xffff0000, v14
	v_lshlrev_b32_e32 v14, 16, v14
	v_and_b32_e32 v19, 0xffff0000, v19
	v_bfe_u32 v23, v18, 16, 1
	v_cmp_u_f32_e32 vcc_lo, v18, v18
	v_mul_f32_e32 v16, v30, v16
	v_mul_f32_e32 v14, v31, v14
	v_add_f32_e32 v19, v19, v21
	v_mul_f32_e32 v21, v29, v13
	s_delay_alu instid0(VALU_DEP_2) | instskip(NEXT) | instid1(VALU_DEP_2)
	v_add_f32_e32 v13, v19, v17
	v_bfe_u32 v19, v21, 16, 1
	v_add_f32_e32 v17, v20, v22
	v_add3_u32 v20, v23, v18, 0x7fff
	v_or_b32_e32 v22, 0x400000, v18
	v_mul_f32_e32 v23, v26, v24
	v_add3_u32 v19, v19, v21, 0x7fff
	v_or_b32_e32 v24, 0x400000, v21
	s_wait_alu 0xfffd
	v_cndmask_b32_e32 v18, v20, v22, vcc_lo
	v_bfe_u32 v20, v23, 16, 1
	v_cmp_u_f32_e32 vcc_lo, v21, v21
	v_or_b32_e32 v22, 0x400000, v23
	v_and_b32_e32 v21, 0xffff0000, v15
	v_and_b32_e32 v18, 0xffff0000, v18
	v_add3_u32 v20, v20, v23, 0x7fff
	s_wait_alu 0xfffd
	v_cndmask_b32_e32 v19, v19, v24, vcc_lo
	v_bfe_u32 v24, v14, 16, 1
	v_cmp_u_f32_e32 vcc_lo, v23, v23
	v_or_b32_e32 v23, 0x400000, v14
	v_mul_f32_e32 v21, v27, v21
	v_and_b32_e32 v19, 0xffff0000, v19
	s_wait_alu 0xfffd
	v_dual_cndmask_b32 v20, v20, v22 :: v_dual_lshlrev_b32 v15, 16, v15
	v_add3_u32 v22, v24, v14, 0x7fff
	v_cmp_u_f32_e32 vcc_lo, v14, v14
	v_bfe_u32 v24, v21, 16, 1
	v_add_f32_e32 v18, v19, v18
	v_and_b32_e32 v20, 0xffff0000, v20
	s_wait_alu 0xfffd
	v_cndmask_b32_e32 v14, v22, v23, vcc_lo
	v_add3_u32 v22, v24, v21, 0x7fff
	v_or_b32_e32 v24, 0x400000, v21
	v_cmp_u_f32_e32 vcc_lo, v21, v21
	s_delay_alu instid0(VALU_DEP_4) | instskip(SKIP_1) | instid1(VALU_DEP_3)
	v_dual_mul_f32 v15, v32, v15 :: v_dual_and_b32 v14, 0xffff0000, v14
	s_wait_alu 0xfffd
	v_cndmask_b32_e32 v21, v22, v24, vcc_lo
	s_delay_alu instid0(VALU_DEP_2) | instskip(NEXT) | instid1(VALU_DEP_3)
	v_add_f32_e32 v14, v14, v20
	v_bfe_u32 v34, v15, 16, 1
	v_and_b32_e32 v20, 0xffff0000, v5
	v_cmp_u_f32_e32 vcc_lo, v15, v15
	s_delay_alu instid0(VALU_DEP_4) | instskip(NEXT) | instid1(VALU_DEP_3)
	v_dual_add_f32 v14, v14, v18 :: v_dual_mul_f32 v23, v28, v33
	v_mul_f32_e32 v18, v25, v20
	v_add3_u32 v33, v34, v15, 0x7fff
	v_or_b32_e32 v34, 0x400000, v15
	v_and_b32_e32 v20, 0xffff0000, v6
	v_bfe_u32 v35, v23, 16, 1
	v_or_b32_e32 v24, 0x400000, v23
	v_lshlrev_b32_e32 v6, 16, v6
	s_wait_alu 0xfffd
	v_cndmask_b32_e32 v15, v33, v34, vcc_lo
	v_bfe_u32 v33, v16, 16, 1
	v_add3_u32 v22, v35, v23, 0x7fff
	v_cmp_u_f32_e32 vcc_lo, v23, v23
	v_dual_mul_f32 v6, v31, v6 :: v_dual_and_b32 v19, 0xffff0000, v21
	s_delay_alu instid0(VALU_DEP_4)
	v_add3_u32 v23, v33, v16, 0x7fff
	v_bfe_u32 v21, v18, 16, 1
	s_wait_alu 0xfffd
	v_cndmask_b32_e32 v22, v22, v24, vcc_lo
	v_or_b32_e32 v24, 0x400000, v16
	v_cmp_u_f32_e32 vcc_lo, v16, v16
	s_wait_alu 0xfffd
	s_delay_alu instid0(VALU_DEP_2) | instskip(SKIP_2) | instid1(VALU_DEP_1)
	v_cndmask_b32_e32 v16, v23, v24, vcc_lo
	v_cmp_u_f32_e32 vcc_lo, v18, v18
	v_and_b32_e32 v15, 0xffff0000, v15
	v_dual_add_f32 v15, v15, v19 :: v_dual_and_b32 v16, 0xffff0000, v16
	v_and_b32_e32 v19, 0xffff0000, v22
	s_delay_alu instid0(VALU_DEP_2) | instskip(NEXT) | instid1(VALU_DEP_1)
	v_dual_add_f32 v14, v15, v14 :: v_dual_lshlrev_b32 v5, 16, v5
	v_dual_add_f32 v16, v16, v19 :: v_dual_mul_f32 v5, v29, v5
	v_mul_f32_e32 v19, v26, v20
	v_add3_u32 v20, v21, v18, 0x7fff
	v_or_b32_e32 v21, 0x400000, v18
	s_delay_alu instid0(VALU_DEP_4)
	v_bfe_u32 v15, v5, 16, 1
	v_or_b32_e32 v22, 0x400000, v5
	v_bfe_u32 v23, v19, 16, 1
	s_wait_alu 0xfffd
	v_cndmask_b32_e32 v18, v20, v21, vcc_lo
	v_cmp_u_f32_e32 vcc_lo, v5, v5
	v_add3_u32 v15, v15, v5, 0x7fff
	v_or_b32_e32 v20, 0x400000, v19
	s_delay_alu instid0(VALU_DEP_4) | instskip(SKIP_1) | instid1(VALU_DEP_3)
	v_and_b32_e32 v18, 0xffff0000, v18
	s_wait_alu 0xfffd
	v_cndmask_b32_e32 v5, v15, v22, vcc_lo
	v_add3_u32 v15, v23, v19, 0x7fff
	v_bfe_u32 v22, v6, 16, 1
	v_cmp_u_f32_e32 vcc_lo, v19, v19
	s_wait_alu 0xfffd
	s_delay_alu instid0(VALU_DEP_3) | instskip(NEXT) | instid1(VALU_DEP_3)
	v_cndmask_b32_e32 v15, v15, v20, vcc_lo
	v_add3_u32 v20, v22, v6, 0x7fff
	v_and_b32_e32 v22, 0xffff0000, v8
	v_lshlrev_b32_e32 v8, 16, v8
	v_and_b32_e32 v21, 0xffff0000, v7
	v_cmp_u_f32_e32 vcc_lo, v6, v6
	s_delay_alu instid0(VALU_DEP_3) | instskip(NEXT) | instid1(VALU_DEP_3)
	v_dual_mul_f32 v8, v30, v8 :: v_dual_and_b32 v15, 0xffff0000, v15
	v_mul_f32_e32 v19, v27, v21
	v_or_b32_e32 v21, 0x400000, v6
	s_delay_alu instid0(VALU_DEP_2) | instskip(SKIP_1) | instid1(VALU_DEP_2)
	v_bfe_u32 v23, v19, 16, 1
	s_wait_alu 0xfffd
	v_cndmask_b32_e32 v6, v20, v21, vcc_lo
	v_mul_f32_e32 v20, v28, v22
	v_or_b32_e32 v22, 0x400000, v19
	v_cmp_u_f32_e32 vcc_lo, v19, v19
	v_add3_u32 v21, v23, v19, 0x7fff
	v_and_b32_e32 v6, 0xffff0000, v6
	v_bfe_u32 v33, v20, 16, 1
	s_wait_alu 0xfffd
	s_delay_alu instid0(VALU_DEP_2) | instskip(NEXT) | instid1(VALU_DEP_2)
	v_dual_cndmask_b32 v19, v21, v22 :: v_dual_add_f32 v6, v6, v15
	v_add3_u32 v21, v33, v20, 0x7fff
	v_or_b32_e32 v22, 0x400000, v20
	v_lshlrev_b32_e32 v7, 16, v7
	v_and_b32_e32 v15, 0xffff0000, v1
	v_and_b32_e32 v5, 0xffff0000, v5
	v_lshlrev_b32_e32 v1, 16, v1
	s_delay_alu instid0(VALU_DEP_4) | instskip(NEXT) | instid1(VALU_DEP_3)
	v_mul_f32_e32 v7, v32, v7
	v_dual_add_f32 v5, v5, v18 :: v_dual_and_b32 v18, 0xffff0000, v19
	s_delay_alu instid0(VALU_DEP_3) | instskip(NEXT) | instid1(VALU_DEP_3)
	v_mul_f32_e32 v1, v29, v1
	v_bfe_u32 v24, v7, 16, 1
	v_cmp_u_f32_e32 vcc_lo, v7, v7
	s_delay_alu instid0(VALU_DEP_2) | instskip(SKIP_2) | instid1(VALU_DEP_1)
	v_add3_u32 v23, v24, v7, 0x7fff
	v_or_b32_e32 v24, 0x400000, v7
	s_wait_alu 0xfffd
	v_cndmask_b32_e32 v7, v23, v24, vcc_lo
	v_cmp_u_f32_e32 vcc_lo, v20, v20
	s_wait_alu 0xfffd
	v_cndmask_b32_e32 v20, v21, v22, vcc_lo
	v_bfe_u32 v21, v8, 16, 1
	v_cmp_u_f32_e32 vcc_lo, v8, v8
	s_delay_alu instid0(VALU_DEP_2) | instskip(SKIP_2) | instid1(VALU_DEP_1)
	v_add3_u32 v19, v21, v8, 0x7fff
	v_or_b32_e32 v21, 0x400000, v8
	s_wait_alu 0xfffd
	v_dual_cndmask_b32 v8, v19, v21 :: v_dual_and_b32 v19, 0xffff0000, v20
	v_bfe_u32 v20, v1, 16, 1
	v_or_b32_e32 v21, 0x400000, v1
	s_delay_alu instid0(VALU_DEP_3) | instskip(SKIP_1) | instid1(VALU_DEP_1)
	v_dual_add_f32 v5, v6, v5 :: v_dual_and_b32 v8, 0xffff0000, v8
	v_mul_f32_e32 v6, v25, v15
	v_bfe_u32 v15, v6, 16, 1
	v_cmp_u_f32_e32 vcc_lo, v6, v6
	s_delay_alu instid0(VALU_DEP_2) | instskip(SKIP_1) | instid1(VALU_DEP_1)
	v_add3_u32 v15, v15, v6, 0x7fff
	v_and_b32_e32 v7, 0xffff0000, v7
	v_add_f32_e32 v7, v7, v18
	v_or_b32_e32 v18, 0x400000, v6
	s_wait_alu 0xfffd
	s_delay_alu instid0(VALU_DEP_1) | instskip(SKIP_3) | instid1(VALU_DEP_4)
	v_cndmask_b32_e32 v6, v15, v18, vcc_lo
	v_add3_u32 v18, v20, v1, 0x7fff
	v_cmp_u_f32_e32 vcc_lo, v1, v1
	v_dual_add_f32 v5, v7, v5 :: v_dual_and_b32 v20, 0xffff0000, v3
	v_and_b32_e32 v6, 0xffff0000, v6
	v_lshlrev_b32_e32 v3, 16, v3
	s_wait_alu 0xfffd
	v_cndmask_b32_e32 v1, v18, v21, vcc_lo
	v_and_b32_e32 v21, 0xffff0000, v4
	v_lshlrev_b32_e32 v4, 16, v4
	v_and_b32_e32 v7, 0xffff0000, v2
	v_lshlrev_b32_e32 v2, 16, v2
	v_dual_mul_f32 v20, v27, v20 :: v_dual_and_b32 v1, 0xffff0000, v1
	s_delay_alu instid0(VALU_DEP_4) | instskip(NEXT) | instid1(VALU_DEP_3)
	v_mul_f32_e32 v4, v30, v4
	v_dual_mul_f32 v7, v26, v7 :: v_dual_mul_f32 v2, v31, v2
	s_delay_alu instid0(VALU_DEP_3) | instskip(NEXT) | instid1(VALU_DEP_4)
	v_or_b32_e32 v23, 0x400000, v20
	v_add_f32_e32 v1, v1, v6
	s_delay_alu instid0(VALU_DEP_3) | instskip(SKIP_3) | instid1(VALU_DEP_4)
	v_bfe_u32 v15, v7, 16, 1
	v_or_b32_e32 v22, 0x400000, v7
	v_bfe_u32 v18, v2, 16, 1
	v_cmp_u_f32_e32 vcc_lo, v7, v7
	v_add3_u32 v15, v15, v7, 0x7fff
	s_delay_alu instid0(VALU_DEP_3) | instskip(SKIP_1) | instid1(VALU_DEP_2)
	v_add3_u32 v18, v18, v2, 0x7fff
	s_wait_alu 0xfffd
	v_cndmask_b32_e32 v7, v15, v22, vcc_lo
	v_bfe_u32 v15, v20, 16, 1
	v_or_b32_e32 v22, 0x400000, v2
	v_cmp_u_f32_e32 vcc_lo, v2, v2
	s_delay_alu instid0(VALU_DEP_3) | instskip(SKIP_1) | instid1(VALU_DEP_3)
	v_add3_u32 v15, v15, v20, 0x7fff
	s_wait_alu 0xfffd
	v_dual_cndmask_b32 v2, v18, v22 :: v_dual_mul_f32 v3, v32, v3
	v_cmp_u_f32_e32 vcc_lo, v20, v20
	s_delay_alu instid0(VALU_DEP_2) | instskip(NEXT) | instid1(VALU_DEP_3)
	v_and_b32_e32 v2, 0xffff0000, v2
	v_bfe_u32 v18, v3, 16, 1
	s_wait_alu 0xfffd
	v_cndmask_b32_e32 v15, v15, v23, vcc_lo
	v_mul_f32_e32 v21, v28, v21
	v_or_b32_e32 v20, 0x400000, v3
	v_cmp_u_f32_e32 vcc_lo, v3, v3
	v_add3_u32 v18, v18, v3, 0x7fff
	v_and_b32_e32 v6, 0xffff0000, v15
	v_bfe_u32 v22, v21, 16, 1
	v_or_b32_e32 v23, 0x400000, v21
	s_wait_alu 0xfffd
	v_cndmask_b32_e32 v3, v18, v20, vcc_lo
	v_cmp_u_f32_e32 vcc_lo, v21, v21
	v_add3_u32 v22, v22, v21, 0x7fff
	v_bfe_u32 v20, v4, 16, 1
	v_or_b32_e32 v21, 0x400000, v4
	v_and_b32_e32 v3, 0xffff0000, v3
	s_wait_alu 0xfffd
	v_cndmask_b32_e32 v18, v22, v23, vcc_lo
	v_add3_u32 v20, v20, v4, 0x7fff
	v_cmp_u_f32_e32 vcc_lo, v4, v4
	s_wait_loadcnt 0x0
	v_lshlrev_b32_e32 v22, 16, v9
	v_and_b32_e32 v9, 0xffff0000, v9
	v_dual_add_f32 v3, v3, v6 :: v_dual_add_f32 v8, v8, v19
	s_wait_alu 0xfffd
	v_dual_cndmask_b32 v4, v20, v21 :: v_dual_lshlrev_b32 v21, 16, v11
	s_delay_alu instid0(VALU_DEP_3) | instskip(NEXT) | instid1(VALU_DEP_2)
	v_dual_mul_f32 v6, v25, v9 :: v_dual_and_b32 v11, 0xffff0000, v11
	v_dual_add_f32 v5, v8, v5 :: v_dual_and_b32 v4, 0xffff0000, v4
	s_delay_alu instid0(VALU_DEP_2) | instskip(NEXT) | instid1(VALU_DEP_3)
	v_mul_f32_e32 v11, v27, v11
	v_bfe_u32 v20, v6, 16, 1
	s_delay_alu instid0(VALU_DEP_3) | instskip(NEXT) | instid1(VALU_DEP_3)
	v_add_f32_e32 v56, v56, v5
	v_or_b32_e32 v23, 0x400000, v11
	v_lshlrev_b32_e32 v9, 16, v10
	v_and_b32_e32 v10, 0xffff0000, v10
	s_delay_alu instid0(VALU_DEP_1) | instskip(NEXT) | instid1(VALU_DEP_1)
	v_dual_mul_f32 v10, v26, v10 :: v_dual_and_b32 v7, 0xffff0000, v7
	v_dual_add_f32 v2, v2, v7 :: v_dual_mul_f32 v7, v29, v22
	v_lshlrev_b32_e32 v22, 16, v12
	s_delay_alu instid0(VALU_DEP_2) | instskip(NEXT) | instid1(VALU_DEP_3)
	v_dual_add_f32 v1, v2, v1 :: v_dual_and_b32 v12, 0xffff0000, v12
	v_bfe_u32 v2, v7, 16, 1
	v_or_b32_e32 v15, 0x400000, v7
	v_cmp_u_f32_e32 vcc_lo, v7, v7
	s_delay_alu instid0(VALU_DEP_4) | instskip(NEXT) | instid1(VALU_DEP_4)
	v_dual_mul_f32 v12, v28, v12 :: v_dual_add_f32 v1, v3, v1
	v_add3_u32 v2, v2, v7, 0x7fff
	v_add3_u32 v7, v20, v6, 0x7fff
	s_delay_alu instid0(VALU_DEP_3) | instskip(SKIP_1) | instid1(VALU_DEP_3)
	v_bfe_u32 v25, v12, 16, 1
	s_wait_alu 0xfffd
	v_cndmask_b32_e32 v2, v2, v15, vcc_lo
	v_or_b32_e32 v15, 0x400000, v6
	v_cmp_u_f32_e32 vcc_lo, v6, v6
	s_delay_alu instid0(VALU_DEP_3) | instskip(SKIP_1) | instid1(VALU_DEP_3)
	v_and_b32_e32 v2, 0xffff0000, v2
	s_wait_alu 0xfffd
	v_cndmask_b32_e32 v6, v7, v15, vcc_lo
	s_delay_alu instid0(VALU_DEP_1) | instskip(NEXT) | instid1(VALU_DEP_1)
	v_dual_mul_f32 v9, v31, v9 :: v_dual_and_b32 v6, 0xffff0000, v6
	v_bfe_u32 v20, v9, 16, 1
	v_or_b32_e32 v15, 0x400000, v9
	v_cmp_u_f32_e32 vcc_lo, v9, v9
	s_delay_alu instid0(VALU_DEP_4) | instskip(NEXT) | instid1(VALU_DEP_4)
	v_add_f32_e32 v2, v2, v6
	v_add3_u32 v7, v20, v9, 0x7fff
	v_bfe_u32 v20, v10, 16, 1
	v_mul_f32_e32 v21, v32, v21
	s_wait_alu 0xfffd
	s_delay_alu instid0(VALU_DEP_3) | instskip(NEXT) | instid1(VALU_DEP_3)
	v_cndmask_b32_e32 v7, v7, v15, vcc_lo
	v_add3_u32 v9, v20, v10, 0x7fff
	v_or_b32_e32 v15, 0x400000, v10
	v_cmp_u_f32_e32 vcc_lo, v10, v10
	v_bfe_u32 v20, v21, 16, 1
	v_and_b32_e32 v7, 0xffff0000, v7
	s_wait_alu 0xfffd
	v_cndmask_b32_e32 v9, v9, v15, vcc_lo
	s_delay_alu instid0(VALU_DEP_3)
	v_add3_u32 v15, v20, v21, 0x7fff
	v_mul_f32_e32 v20, v30, v22
	v_or_b32_e32 v22, 0x400000, v21
	v_cmp_u_f32_e32 vcc_lo, v21, v21
	v_and_b32_e32 v9, 0xffff0000, v9
	v_add3_u32 v21, v25, v12, 0x7fff
	v_bfe_u32 v24, v20, 16, 1
	s_wait_alu 0xfffd
	v_cndmask_b32_e32 v15, v15, v22, vcc_lo
	v_add_f32_e32 v6, v7, v9
	v_or_b32_e32 v22, 0x400000, v12
	s_delay_alu instid0(VALU_DEP_2) | instskip(SKIP_2) | instid1(VALU_DEP_2)
	v_dual_add_f32 v2, v6, v2 :: v_dual_and_b32 v9, 0xffff0000, v15
	v_bfe_u32 v10, v11, 16, 1
	v_cmp_u_f32_e32 vcc_lo, v11, v11
	v_add3_u32 v10, v10, v11, 0x7fff
	v_add3_u32 v11, v24, v20, 0x7fff
	s_wait_alu 0xfffd
	s_delay_alu instid0(VALU_DEP_2) | instskip(SKIP_2) | instid1(VALU_DEP_3)
	v_cndmask_b32_e32 v10, v10, v23, vcc_lo
	v_cmp_u_f32_e32 vcc_lo, v12, v12
	v_or_b32_e32 v23, 0x400000, v20
	v_and_b32_e32 v7, 0xffff0000, v10
	s_wait_alu 0xfffd
	v_cndmask_b32_e32 v12, v21, v22, vcc_lo
	v_cmp_u_f32_e32 vcc_lo, v20, v20
	s_delay_alu instid0(VALU_DEP_3) | instskip(SKIP_2) | instid1(VALU_DEP_2)
	v_add_f32_e32 v6, v9, v7
	s_wait_alu 0xfffd
	v_cndmask_b32_e32 v10, v11, v23, vcc_lo
	v_add_f32_e32 v2, v6, v2
	v_dual_add_f32 v6, v17, v13 :: v_dual_and_b32 v7, 0xffff0000, v12
	s_delay_alu instid0(VALU_DEP_3) | instskip(NEXT) | instid1(VALU_DEP_2)
	v_and_b32_e32 v9, 0xffff0000, v10
	v_add_f32_e32 v54, v54, v6
	v_and_b32_e32 v11, 0xffff0000, v18
	s_delay_alu instid0(VALU_DEP_1) | instskip(NEXT) | instid1(VALU_DEP_4)
	v_add_f32_e32 v3, v4, v11
	v_dual_add_f32 v4, v9, v7 :: v_dual_add_f32 v7, v16, v14
	s_delay_alu instid0(VALU_DEP_1) | instskip(NEXT) | instid1(VALU_DEP_1)
	v_dual_add_f32 v2, v4, v2 :: v_dual_add_f32 v55, v55, v7
	v_dual_add_f32 v50, v50, v2 :: v_dual_add_f32 v1, v3, v1
	s_delay_alu instid0(VALU_DEP_1)
	v_add_f32_e32 v57, v57, v1
.LBB159_41:                             ;   in Loop: Header=BB159_42 Depth=1
	s_wait_alu 0xfffe
	s_or_b32 exec_lo, exec_lo, s15
	v_add_nc_u32_e32 v47, 4, v47
	v_add_co_u32 v41, s0, v41, 16
	s_wait_alu 0xf1ff
	v_add_co_ci_u32_e64 v42, null, 0, v42, s0
	s_delay_alu instid0(VALU_DEP_3)
	v_cmp_le_i32_e32 vcc_lo, s23, v47
	v_add_nc_u32_e32 v46, 64, v46
	v_add_nc_u32_e32 v61, 0x100, v61
	s_or_b32 s12, vcc_lo, s12
	s_wait_alu 0xfffe
	s_and_not1_b32 exec_lo, exec_lo, s12
	s_cbranch_execz .LBB159_59
.LBB159_42:                             ; =>This Inner Loop Header: Depth=1
	v_sub_nc_u32_e32 v1, 0, v46
	s_delay_alu instid0(VALU_DEP_1) | instskip(NEXT) | instid1(VALU_DEP_1)
	v_max_i32_e32 v1, v46, v1
	v_mul_hi_u32 v2, v1, s22
	s_delay_alu instid0(VALU_DEP_1) | instskip(NEXT) | instid1(VALU_DEP_1)
	v_mul_lo_u32 v3, v2, s16
	v_sub_nc_u32_e32 v1, v1, v3
	v_add_nc_u32_e32 v3, 1, v2
	s_delay_alu instid0(VALU_DEP_2) | instskip(SKIP_2) | instid1(VALU_DEP_2)
	v_subrev_nc_u32_e32 v4, s16, v1
	v_cmp_le_u32_e32 vcc_lo, s16, v1
	s_wait_alu 0xfffd
	v_dual_cndmask_b32 v2, v2, v3 :: v_dual_cndmask_b32 v1, v1, v4
	v_ashrrev_i32_e32 v3, 31, v46
	s_delay_alu instid0(VALU_DEP_2) | instskip(NEXT) | instid1(VALU_DEP_3)
	v_add_nc_u32_e32 v4, 1, v2
	v_cmp_le_u32_e32 vcc_lo, s16, v1
	s_delay_alu instid0(VALU_DEP_3) | instskip(SKIP_1) | instid1(VALU_DEP_3)
	v_xor_b32_e32 v3, s11, v3
	s_wait_alu 0xfffd
	v_cndmask_b32_e32 v1, v2, v4, vcc_lo
	s_delay_alu instid0(VALU_DEP_1) | instskip(NEXT) | instid1(VALU_DEP_1)
	v_xor_b32_e32 v1, v1, v3
	v_sub_nc_u32_e32 v1, v1, v3
	s_delay_alu instid0(VALU_DEP_1) | instskip(SKIP_1) | instid1(VALU_DEP_2)
	v_add_nc_u32_e32 v2, s21, v1
	v_cmp_lt_i32_e64 s0, s5, v1
	v_sub_nc_u32_e32 v3, 0, v2
	s_delay_alu instid0(VALU_DEP_1) | instskip(SKIP_1) | instid1(VALU_DEP_1)
	v_max_i32_e32 v3, v2, v3
	s_wait_alu 0xfffe
	v_mul_hi_u32 v4, v3, s14
	s_delay_alu instid0(VALU_DEP_1) | instskip(NEXT) | instid1(VALU_DEP_1)
	v_mul_lo_u32 v4, v4, s3
	v_sub_nc_u32_e32 v3, v3, v4
	s_delay_alu instid0(VALU_DEP_1) | instskip(SKIP_2) | instid1(VALU_DEP_2)
	v_subrev_nc_u32_e32 v4, s3, v3
	v_cmp_le_u32_e32 vcc_lo, s3, v3
	s_wait_alu 0xfffd
	v_cndmask_b32_e32 v3, v3, v4, vcc_lo
	v_ashrrev_i32_e32 v2, 31, v2
	s_delay_alu instid0(VALU_DEP_2) | instskip(SKIP_2) | instid1(VALU_DEP_2)
	v_subrev_nc_u32_e32 v4, s3, v3
	v_cmp_le_u32_e32 vcc_lo, s3, v3
	s_wait_alu 0xfffd
	v_cndmask_b32_e32 v3, v3, v4, vcc_lo
	s_delay_alu instid0(VALU_DEP_1) | instskip(NEXT) | instid1(VALU_DEP_1)
	v_xor_b32_e32 v3, v3, v2
	v_sub_nc_u32_e32 v2, v3, v2
	s_delay_alu instid0(VALU_DEP_1)
	v_cmp_eq_u32_e32 vcc_lo, 0, v2
	s_or_b32 s0, vcc_lo, s0
	s_wait_alu 0xfffe
	s_and_saveexec_b32 s15, s0
	s_cbranch_execz .LBB159_41
; %bb.43:                               ;   in Loop: Header=BB159_42 Depth=1
	global_load_b32 v1, v[41:42], off
	v_add_nc_u32_e32 v69, v58, v46
	s_delay_alu instid0(VALU_DEP_1)
	v_add_nc_u32_e32 v67, 1, v69
	v_or_b32_e32 v66, 3, v69
	v_or_b32_e32 v68, 2, v69
	;; [unrolled: 1-line block ×6, first 2 shown]
	s_wait_loadcnt 0x0
	v_mad_co_i64_i32 v[1:2], null, v1, s9, 0
	s_delay_alu instid0(VALU_DEP_1) | instskip(NEXT) | instid1(VALU_DEP_1)
	v_lshlrev_b64_e32 v[1:2], 1, v[1:2]
	v_add_co_u32 v9, vcc_lo, v59, v1
	s_wait_alu 0xfffd
	s_delay_alu instid0(VALU_DEP_2)
	v_add_co_ci_u32_e64 v10, null, v60, v2, vcc_lo
	v_cmp_eq_u32_e32 vcc_lo, s10, v47
	global_load_b128 v[1:4], v[9:10], off
	ds_load_2addr_b64 v[29:32], v61 offset1:1
	ds_load_2addr_b64 v[25:28], v61 offset0:2 offset1:3
	s_and_saveexec_b32 s17, vcc_lo
	s_cbranch_execnz .LBB159_51
; %bb.44:                               ;   in Loop: Header=BB159_42 Depth=1
	s_wait_alu 0xfffe
	s_or_b32 exec_lo, exec_lo, s17
	global_load_b128 v[5:8], v[9:10], off offset:512
	s_and_saveexec_b32 s17, vcc_lo
	s_cbranch_execnz .LBB159_52
.LBB159_45:                             ;   in Loop: Header=BB159_42 Depth=1
	s_wait_alu 0xfffe
	s_or_b32 exec_lo, exec_lo, s17
	global_load_b128 v[13:16], v[9:10], off offset:1024
	s_and_saveexec_b32 s17, vcc_lo
	s_cbranch_execnz .LBB159_53
.LBB159_46:                             ;   in Loop: Header=BB159_42 Depth=1
	s_wait_alu 0xfffe
	s_or_b32 exec_lo, exec_lo, s17
	global_load_b128 v[17:20], v[9:10], off offset:1536
	s_and_saveexec_b32 s17, vcc_lo
	s_cbranch_execnz .LBB159_54
.LBB159_47:                             ;   in Loop: Header=BB159_42 Depth=1
	s_wait_alu 0xfffe
	s_or_b32 exec_lo, exec_lo, s17
	global_load_b128 v[21:24], v[9:10], off offset:2048
	s_and_saveexec_b32 s17, vcc_lo
	s_cbranch_execnz .LBB159_55
.LBB159_48:                             ;   in Loop: Header=BB159_42 Depth=1
	s_wait_alu 0xfffe
	s_or_b32 exec_lo, exec_lo, s17
	global_load_b128 v[33:36], v[9:10], off offset:2560
	s_and_saveexec_b32 s17, vcc_lo
	s_cbranch_execnz .LBB159_56
.LBB159_49:                             ;   in Loop: Header=BB159_42 Depth=1
	s_wait_alu 0xfffe
	s_or_b32 exec_lo, exec_lo, s17
	global_load_b128 v[37:40], v[9:10], off offset:3072
	s_and_saveexec_b32 s17, vcc_lo
	s_cbranch_execnz .LBB159_57
.LBB159_50:                             ;   in Loop: Header=BB159_42 Depth=1
	s_wait_alu 0xfffe
	s_or_b32 exec_lo, exec_lo, s17
	global_load_b128 v[9:12], v[9:10], off offset:3584
	s_and_saveexec_b32 s0, vcc_lo
	s_cbranch_execz .LBB159_40
	s_branch .LBB159_58
.LBB159_51:                             ;   in Loop: Header=BB159_42 Depth=1
	v_cmp_gt_i32_e64 s0, s31, v69
	s_wait_loadcnt 0x0
	v_lshrrev_b32_e32 v5, 16, v1
	v_lshrrev_b32_e32 v6, 16, v2
	;; [unrolled: 1-line block ×4, first 2 shown]
	s_wait_alu 0xf1ff
	v_cndmask_b32_e64 v1, 0, v1, s0
	v_cmp_gt_i32_e64 s0, s13, v67
	s_wait_alu 0xf1ff
	s_delay_alu instid0(VALU_DEP_1) | instskip(SKIP_1) | instid1(VALU_DEP_2)
	v_cndmask_b32_e64 v5, 0, v5, s0
	v_cmp_gt_i32_e64 s0, s31, v68
	v_perm_b32 v1, v5, v1, 0x5040100
	s_wait_alu 0xf1ff
	s_delay_alu instid0(VALU_DEP_2) | instskip(SKIP_2) | instid1(VALU_DEP_1)
	v_cndmask_b32_e64 v2, 0, v2, s0
	v_cmp_gt_i32_e64 s0, s13, v66
	s_wait_alu 0xf1ff
	v_cndmask_b32_e64 v6, 0, v6, s0
	v_cmp_gt_i32_e64 s0, s31, v65
	s_delay_alu instid0(VALU_DEP_2) | instskip(SKIP_1) | instid1(VALU_DEP_2)
	v_perm_b32 v2, v6, v2, 0x5040100
	s_wait_alu 0xf1ff
	v_cndmask_b32_e64 v3, 0, v3, s0
	v_cmp_gt_i32_e64 s0, s13, v63
	s_wait_alu 0xf1ff
	s_delay_alu instid0(VALU_DEP_1) | instskip(SKIP_1) | instid1(VALU_DEP_2)
	v_cndmask_b32_e64 v7, 0, v7, s0
	v_cmp_gt_i32_e64 s0, s31, v64
	v_perm_b32 v3, v7, v3, 0x5040100
	s_wait_alu 0xf1ff
	s_delay_alu instid0(VALU_DEP_2) | instskip(SKIP_2) | instid1(VALU_DEP_1)
	v_cndmask_b32_e64 v4, 0, v4, s0
	v_cmp_gt_i32_e64 s0, s13, v62
	s_wait_alu 0xf1ff
	v_cndmask_b32_e64 v8, 0, v8, s0
	s_delay_alu instid0(VALU_DEP_1)
	v_perm_b32 v4, v8, v4, 0x5040100
	s_wait_alu 0xfffe
	s_or_b32 exec_lo, exec_lo, s17
	global_load_b128 v[5:8], v[9:10], off offset:512
	s_and_saveexec_b32 s17, vcc_lo
	s_cbranch_execz .LBB159_45
.LBB159_52:                             ;   in Loop: Header=BB159_42 Depth=1
	v_cmp_gt_i32_e64 s0, s31, v69
	s_wait_loadcnt 0x0
	v_lshrrev_b32_e32 v11, 16, v5
	v_lshrrev_b32_e32 v12, 16, v6
	;; [unrolled: 1-line block ×4, first 2 shown]
	s_wait_alu 0xf1ff
	v_cndmask_b32_e64 v5, 0, v5, s0
	v_cmp_gt_i32_e64 s0, s13, v67
	s_wait_alu 0xf1ff
	s_delay_alu instid0(VALU_DEP_1) | instskip(SKIP_1) | instid1(VALU_DEP_2)
	v_cndmask_b32_e64 v11, 0, v11, s0
	v_cmp_gt_i32_e64 s0, s31, v68
	v_perm_b32 v5, v11, v5, 0x5040100
	s_wait_alu 0xf1ff
	s_delay_alu instid0(VALU_DEP_2) | instskip(SKIP_2) | instid1(VALU_DEP_1)
	v_cndmask_b32_e64 v6, 0, v6, s0
	v_cmp_gt_i32_e64 s0, s13, v66
	s_wait_alu 0xf1ff
	v_cndmask_b32_e64 v12, 0, v12, s0
	v_cmp_gt_i32_e64 s0, s31, v65
	s_delay_alu instid0(VALU_DEP_2) | instskip(SKIP_1) | instid1(VALU_DEP_2)
	v_perm_b32 v6, v12, v6, 0x5040100
	s_wait_alu 0xf1ff
	v_cndmask_b32_e64 v7, 0, v7, s0
	v_cmp_gt_i32_e64 s0, s13, v63
	s_wait_alu 0xf1ff
	s_delay_alu instid0(VALU_DEP_1) | instskip(SKIP_1) | instid1(VALU_DEP_2)
	v_cndmask_b32_e64 v13, 0, v13, s0
	v_cmp_gt_i32_e64 s0, s31, v64
	v_perm_b32 v7, v13, v7, 0x5040100
	s_wait_alu 0xf1ff
	s_delay_alu instid0(VALU_DEP_2) | instskip(SKIP_2) | instid1(VALU_DEP_1)
	v_cndmask_b32_e64 v8, 0, v8, s0
	v_cmp_gt_i32_e64 s0, s13, v62
	s_wait_alu 0xf1ff
	v_cndmask_b32_e64 v14, 0, v14, s0
	s_delay_alu instid0(VALU_DEP_1)
	v_perm_b32 v8, v14, v8, 0x5040100
	s_wait_alu 0xfffe
	s_or_b32 exec_lo, exec_lo, s17
	global_load_b128 v[13:16], v[9:10], off offset:1024
	s_and_saveexec_b32 s17, vcc_lo
	s_cbranch_execz .LBB159_46
.LBB159_53:                             ;   in Loop: Header=BB159_42 Depth=1
	v_cmp_gt_i32_e64 s0, s31, v69
	s_wait_loadcnt 0x0
	v_lshrrev_b32_e32 v11, 16, v13
	v_lshrrev_b32_e32 v18, 16, v16
	s_wait_alu 0xf1ff
	v_cndmask_b32_e64 v12, 0, v13, s0
	v_cmp_gt_i32_e64 s0, s13, v67
	v_lshrrev_b32_e32 v13, 16, v14
	s_wait_alu 0xf1ff
	s_delay_alu instid0(VALU_DEP_2) | instskip(SKIP_2) | instid1(VALU_DEP_1)
	v_cndmask_b32_e64 v11, 0, v11, s0
	v_cmp_gt_i32_e64 s0, s31, v68
	s_wait_alu 0xf1ff
	v_cndmask_b32_e64 v14, 0, v14, s0
	v_cmp_gt_i32_e64 s0, s13, v66
	s_wait_alu 0xf1ff
	s_delay_alu instid0(VALU_DEP_1) | instskip(SKIP_2) | instid1(VALU_DEP_3)
	v_cndmask_b32_e64 v17, 0, v13, s0
	v_cmp_gt_i32_e64 s0, s31, v65
	v_lshrrev_b32_e32 v13, 16, v15
	v_perm_b32 v14, v17, v14, 0x5040100
	s_wait_alu 0xf1ff
	s_delay_alu instid0(VALU_DEP_3) | instskip(SKIP_2) | instid1(VALU_DEP_1)
	v_cndmask_b32_e64 v15, 0, v15, s0
	v_cmp_gt_i32_e64 s0, s13, v63
	s_wait_alu 0xf1ff
	v_cndmask_b32_e64 v19, 0, v13, s0
	v_cmp_gt_i32_e64 s0, s31, v64
	v_perm_b32 v13, v11, v12, 0x5040100
	s_delay_alu instid0(VALU_DEP_3) | instskip(SKIP_1) | instid1(VALU_DEP_3)
	v_perm_b32 v15, v19, v15, 0x5040100
	s_wait_alu 0xf1ff
	v_cndmask_b32_e64 v16, 0, v16, s0
	v_cmp_gt_i32_e64 s0, s13, v62
	s_wait_alu 0xf1ff
	s_delay_alu instid0(VALU_DEP_1) | instskip(NEXT) | instid1(VALU_DEP_1)
	v_cndmask_b32_e64 v18, 0, v18, s0
	v_perm_b32 v16, v18, v16, 0x5040100
	s_wait_alu 0xfffe
	s_or_b32 exec_lo, exec_lo, s17
	global_load_b128 v[17:20], v[9:10], off offset:1536
	s_and_saveexec_b32 s17, vcc_lo
	s_cbranch_execz .LBB159_47
.LBB159_54:                             ;   in Loop: Header=BB159_42 Depth=1
	v_cmp_gt_i32_e64 s0, s31, v69
	s_wait_loadcnt 0x0
	v_lshrrev_b32_e32 v11, 16, v17
	v_lshrrev_b32_e32 v22, 16, v20
	s_wait_alu 0xf1ff
	v_cndmask_b32_e64 v12, 0, v17, s0
	v_cmp_gt_i32_e64 s0, s13, v67
	v_lshrrev_b32_e32 v17, 16, v18
	s_wait_alu 0xf1ff
	s_delay_alu instid0(VALU_DEP_2) | instskip(SKIP_2) | instid1(VALU_DEP_1)
	v_cndmask_b32_e64 v11, 0, v11, s0
	v_cmp_gt_i32_e64 s0, s31, v68
	s_wait_alu 0xf1ff
	v_cndmask_b32_e64 v18, 0, v18, s0
	v_cmp_gt_i32_e64 s0, s13, v66
	s_wait_alu 0xf1ff
	s_delay_alu instid0(VALU_DEP_1) | instskip(SKIP_2) | instid1(VALU_DEP_3)
	v_cndmask_b32_e64 v21, 0, v17, s0
	v_cmp_gt_i32_e64 s0, s31, v65
	v_lshrrev_b32_e32 v17, 16, v19
	v_perm_b32 v18, v21, v18, 0x5040100
	s_wait_alu 0xf1ff
	s_delay_alu instid0(VALU_DEP_3) | instskip(SKIP_2) | instid1(VALU_DEP_1)
	v_cndmask_b32_e64 v19, 0, v19, s0
	v_cmp_gt_i32_e64 s0, s13, v63
	s_wait_alu 0xf1ff
	v_cndmask_b32_e64 v23, 0, v17, s0
	v_cmp_gt_i32_e64 s0, s31, v64
	v_perm_b32 v17, v11, v12, 0x5040100
	s_delay_alu instid0(VALU_DEP_3) | instskip(SKIP_1) | instid1(VALU_DEP_3)
	v_perm_b32 v19, v23, v19, 0x5040100
	s_wait_alu 0xf1ff
	v_cndmask_b32_e64 v20, 0, v20, s0
	v_cmp_gt_i32_e64 s0, s13, v62
	s_wait_alu 0xf1ff
	s_delay_alu instid0(VALU_DEP_1) | instskip(NEXT) | instid1(VALU_DEP_1)
	v_cndmask_b32_e64 v22, 0, v22, s0
	v_perm_b32 v20, v22, v20, 0x5040100
	s_wait_alu 0xfffe
	s_or_b32 exec_lo, exec_lo, s17
	global_load_b128 v[21:24], v[9:10], off offset:2048
	s_and_saveexec_b32 s17, vcc_lo
	s_cbranch_execz .LBB159_48
.LBB159_55:                             ;   in Loop: Header=BB159_42 Depth=1
	v_cmp_gt_i32_e64 s0, s31, v69
	s_wait_loadcnt 0x0
	v_lshrrev_b32_e32 v11, 16, v21
	v_lshrrev_b32_e32 v34, 16, v24
	s_wait_alu 0xf1ff
	v_cndmask_b32_e64 v12, 0, v21, s0
	v_cmp_gt_i32_e64 s0, s13, v67
	v_lshrrev_b32_e32 v21, 16, v22
	s_wait_alu 0xf1ff
	s_delay_alu instid0(VALU_DEP_2) | instskip(SKIP_2) | instid1(VALU_DEP_1)
	v_cndmask_b32_e64 v11, 0, v11, s0
	v_cmp_gt_i32_e64 s0, s31, v68
	s_wait_alu 0xf1ff
	v_cndmask_b32_e64 v22, 0, v22, s0
	v_cmp_gt_i32_e64 s0, s13, v66
	s_wait_alu 0xf1ff
	s_delay_alu instid0(VALU_DEP_1) | instskip(SKIP_2) | instid1(VALU_DEP_3)
	v_cndmask_b32_e64 v33, 0, v21, s0
	v_cmp_gt_i32_e64 s0, s31, v65
	v_lshrrev_b32_e32 v21, 16, v23
	v_perm_b32 v22, v33, v22, 0x5040100
	s_wait_alu 0xf1ff
	s_delay_alu instid0(VALU_DEP_3) | instskip(SKIP_2) | instid1(VALU_DEP_1)
	v_cndmask_b32_e64 v23, 0, v23, s0
	v_cmp_gt_i32_e64 s0, s13, v63
	s_wait_alu 0xf1ff
	v_cndmask_b32_e64 v35, 0, v21, s0
	v_cmp_gt_i32_e64 s0, s31, v64
	v_perm_b32 v21, v11, v12, 0x5040100
	s_delay_alu instid0(VALU_DEP_3) | instskip(SKIP_1) | instid1(VALU_DEP_3)
	v_perm_b32 v23, v35, v23, 0x5040100
	s_wait_alu 0xf1ff
	v_cndmask_b32_e64 v24, 0, v24, s0
	v_cmp_gt_i32_e64 s0, s13, v62
	s_wait_alu 0xf1ff
	s_delay_alu instid0(VALU_DEP_1) | instskip(NEXT) | instid1(VALU_DEP_1)
	v_cndmask_b32_e64 v34, 0, v34, s0
	v_perm_b32 v24, v34, v24, 0x5040100
	s_wait_alu 0xfffe
	s_or_b32 exec_lo, exec_lo, s17
	global_load_b128 v[33:36], v[9:10], off offset:2560
	s_and_saveexec_b32 s17, vcc_lo
	s_cbranch_execz .LBB159_49
.LBB159_56:                             ;   in Loop: Header=BB159_42 Depth=1
	v_cmp_gt_i32_e64 s0, s31, v69
	s_wait_loadcnt 0x0
	v_lshrrev_b32_e32 v11, 16, v33
	v_lshrrev_b32_e32 v38, 16, v36
	s_wait_alu 0xf1ff
	v_cndmask_b32_e64 v12, 0, v33, s0
	v_cmp_gt_i32_e64 s0, s13, v67
	v_lshrrev_b32_e32 v33, 16, v34
	s_wait_alu 0xf1ff
	s_delay_alu instid0(VALU_DEP_2) | instskip(SKIP_2) | instid1(VALU_DEP_1)
	v_cndmask_b32_e64 v11, 0, v11, s0
	v_cmp_gt_i32_e64 s0, s31, v68
	s_wait_alu 0xf1ff
	v_cndmask_b32_e64 v34, 0, v34, s0
	v_cmp_gt_i32_e64 s0, s13, v66
	s_wait_alu 0xf1ff
	s_delay_alu instid0(VALU_DEP_1) | instskip(SKIP_2) | instid1(VALU_DEP_3)
	v_cndmask_b32_e64 v37, 0, v33, s0
	v_cmp_gt_i32_e64 s0, s31, v65
	v_lshrrev_b32_e32 v33, 16, v35
	v_perm_b32 v34, v37, v34, 0x5040100
	s_wait_alu 0xf1ff
	s_delay_alu instid0(VALU_DEP_3) | instskip(SKIP_2) | instid1(VALU_DEP_1)
	v_cndmask_b32_e64 v35, 0, v35, s0
	v_cmp_gt_i32_e64 s0, s13, v63
	s_wait_alu 0xf1ff
	v_cndmask_b32_e64 v39, 0, v33, s0
	v_cmp_gt_i32_e64 s0, s31, v64
	v_perm_b32 v33, v11, v12, 0x5040100
	s_delay_alu instid0(VALU_DEP_3) | instskip(SKIP_1) | instid1(VALU_DEP_3)
	v_perm_b32 v35, v39, v35, 0x5040100
	s_wait_alu 0xf1ff
	v_cndmask_b32_e64 v36, 0, v36, s0
	v_cmp_gt_i32_e64 s0, s13, v62
	s_wait_alu 0xf1ff
	s_delay_alu instid0(VALU_DEP_1) | instskip(NEXT) | instid1(VALU_DEP_1)
	v_cndmask_b32_e64 v38, 0, v38, s0
	v_perm_b32 v36, v38, v36, 0x5040100
	s_wait_alu 0xfffe
	s_or_b32 exec_lo, exec_lo, s17
	global_load_b128 v[37:40], v[9:10], off offset:3072
	s_and_saveexec_b32 s17, vcc_lo
	s_cbranch_execz .LBB159_50
.LBB159_57:                             ;   in Loop: Header=BB159_42 Depth=1
	v_cmp_gt_i32_e64 s0, s31, v69
	s_wait_loadcnt 0x0
	v_lshrrev_b32_e32 v11, 16, v37
	v_lshrrev_b32_e32 v71, 16, v40
	s_wait_alu 0xf1ff
	v_cndmask_b32_e64 v12, 0, v37, s0
	v_cmp_gt_i32_e64 s0, s13, v67
	v_lshrrev_b32_e32 v37, 16, v38
	s_wait_alu 0xf1ff
	s_delay_alu instid0(VALU_DEP_2) | instskip(SKIP_2) | instid1(VALU_DEP_1)
	v_cndmask_b32_e64 v11, 0, v11, s0
	v_cmp_gt_i32_e64 s0, s31, v68
	s_wait_alu 0xf1ff
	v_cndmask_b32_e64 v38, 0, v38, s0
	v_cmp_gt_i32_e64 s0, s13, v66
	s_wait_alu 0xf1ff
	s_delay_alu instid0(VALU_DEP_1) | instskip(SKIP_2) | instid1(VALU_DEP_3)
	v_cndmask_b32_e64 v70, 0, v37, s0
	v_cmp_gt_i32_e64 s0, s31, v65
	v_lshrrev_b32_e32 v37, 16, v39
	v_perm_b32 v38, v70, v38, 0x5040100
	s_wait_alu 0xf1ff
	s_delay_alu instid0(VALU_DEP_3) | instskip(SKIP_2) | instid1(VALU_DEP_1)
	v_cndmask_b32_e64 v39, 0, v39, s0
	v_cmp_gt_i32_e64 s0, s13, v63
	s_wait_alu 0xf1ff
	v_cndmask_b32_e64 v72, 0, v37, s0
	v_cmp_gt_i32_e64 s0, s31, v64
	v_perm_b32 v37, v11, v12, 0x5040100
	s_delay_alu instid0(VALU_DEP_3) | instskip(SKIP_1) | instid1(VALU_DEP_3)
	v_perm_b32 v39, v72, v39, 0x5040100
	s_wait_alu 0xf1ff
	v_cndmask_b32_e64 v40, 0, v40, s0
	v_cmp_gt_i32_e64 s0, s13, v62
	s_wait_alu 0xf1ff
	s_delay_alu instid0(VALU_DEP_1) | instskip(NEXT) | instid1(VALU_DEP_1)
	v_cndmask_b32_e64 v71, 0, v71, s0
	v_perm_b32 v40, v71, v40, 0x5040100
	s_wait_alu 0xfffe
	s_or_b32 exec_lo, exec_lo, s17
	global_load_b128 v[9:12], v[9:10], off offset:3584
	s_and_saveexec_b32 s0, vcc_lo
	s_cbranch_execz .LBB159_40
.LBB159_58:                             ;   in Loop: Header=BB159_42 Depth=1
	v_cmp_gt_i32_e32 vcc_lo, s31, v69
	s_wait_loadcnt 0x0
	v_lshrrev_b32_e32 v70, 16, v9
	v_lshrrev_b32_e32 v69, 16, v10
	s_wait_alu 0xfffd
	v_cndmask_b32_e32 v9, 0, v9, vcc_lo
	v_cmp_gt_i32_e32 vcc_lo, s13, v67
	s_wait_alu 0xfffd
	v_cndmask_b32_e32 v67, 0, v70, vcc_lo
	v_cmp_gt_i32_e32 vcc_lo, s31, v68
	v_lshrrev_b32_e32 v68, 16, v11
	s_wait_alu 0xfffd
	v_cndmask_b32_e32 v10, 0, v10, vcc_lo
	v_cmp_gt_i32_e32 vcc_lo, s13, v66
	s_wait_alu 0xfffd
	v_cndmask_b32_e32 v66, 0, v69, vcc_lo
	v_cmp_gt_i32_e32 vcc_lo, s31, v65
	v_lshrrev_b32_e32 v65, 16, v12
	v_perm_b32 v9, v67, v9, 0x5040100
	s_delay_alu instid0(VALU_DEP_4)
	v_perm_b32 v10, v66, v10, 0x5040100
	s_wait_alu 0xfffd
	v_cndmask_b32_e32 v11, 0, v11, vcc_lo
	v_cmp_gt_i32_e32 vcc_lo, s13, v63
	s_wait_alu 0xfffd
	v_cndmask_b32_e32 v63, 0, v68, vcc_lo
	v_cmp_gt_i32_e32 vcc_lo, s31, v64
	;; [unrolled: 3-line block ×3, first 2 shown]
	s_wait_alu 0xfffd
	v_cndmask_b32_e32 v62, 0, v65, vcc_lo
	v_perm_b32 v11, v63, v11, 0x5040100
	s_delay_alu instid0(VALU_DEP_2)
	v_perm_b32 v12, v62, v12, 0x5040100
	s_branch .LBB159_40
.LBB159_59:
	s_or_b32 exec_lo, exec_lo, s12
.LBB159_60:
	s_wait_alu 0xfffe
	s_or_b32 exec_lo, exec_lo, s1
	ds_bpermute_b32 v1, v49, v57
	ds_bpermute_b32 v2, v49, v56
	;; [unrolled: 1-line block ×8, first 2 shown]
	v_lshrrev_b32_e32 v9, 1, v48
	v_lshlrev_b32_e32 v11, 9, v45
	v_and_b32_e32 v16, 0x3c1, v0
	s_mov_b32 s0, exec_lo
	s_wait_storecnt 0x0
	s_wait_loadcnt_dscnt 0x0
	v_lshl_add_u32 v10, v9, 2, 0x120
	s_barrier_signal -1
	s_barrier_wait -1
	global_inv scope:SCOPE_SE
	v_dual_add_f32 v8, v57, v1 :: v_dual_add_f32 v7, v56, v2
	v_dual_add_f32 v6, v55, v3 :: v_dual_add_f32 v5, v54, v4
	;; [unrolled: 1-line block ×4, first 2 shown]
	v_cmpx_eq_u32_e32 64, v16
	s_cbranch_execz .LBB159_62
; %bb.61:
	v_add_nc_u32_e32 v12, v10, v11
	s_delay_alu instid0(VALU_DEP_1)
	v_add_nc_u32_e32 v13, 0xfffffc00, v12
	v_add_nc_u32_e32 v14, 0xfffffc40, v12
	;; [unrolled: 1-line block ×8, first 2 shown]
	ds_store_b32 v13, v8
	ds_store_b32 v14, v7
	;; [unrolled: 1-line block ×8, first 2 shown]
.LBB159_62:
	s_wait_alu 0xfffe
	s_or_b32 exec_lo, exec_lo, s0
	v_lshlrev_b32_e32 v9, 2, v9
	s_mov_b32 s1, exec_lo
	v_cmp_eq_u32_e32 vcc_lo, 0, v44
	s_wait_loadcnt_dscnt 0x0
	s_barrier_signal -1
	v_add3_u32 v9, 0x120, v11, v9
	s_barrier_wait -1
	global_inv scope:SCOPE_SE
	v_cmpx_gt_u32_e32 64, v0
	s_cbranch_execz .LBB159_73
; %bb.63:
	s_and_saveexec_b32 s0, vcc_lo
	s_cbranch_execnz .LBB159_89
; %bb.64:
	s_wait_alu 0xfffe
	s_or_b32 exec_lo, exec_lo, s0
	s_and_saveexec_b32 s0, vcc_lo
	s_cbranch_execnz .LBB159_90
.LBB159_65:
	s_wait_alu 0xfffe
	s_or_b32 exec_lo, exec_lo, s0
	s_and_saveexec_b32 s0, vcc_lo
	s_cbranch_execnz .LBB159_91
.LBB159_66:
	s_wait_alu 0xfffe
	s_or_b32 exec_lo, exec_lo, s0
	s_and_saveexec_b32 s0, vcc_lo
	s_cbranch_execnz .LBB159_92
.LBB159_67:
	s_wait_alu 0xfffe
	s_or_b32 exec_lo, exec_lo, s0
	s_and_saveexec_b32 s0, vcc_lo
	s_cbranch_execnz .LBB159_93
.LBB159_68:
	s_wait_alu 0xfffe
	s_or_b32 exec_lo, exec_lo, s0
	s_and_saveexec_b32 s0, vcc_lo
	s_cbranch_execnz .LBB159_94
.LBB159_69:
	s_wait_alu 0xfffe
	s_or_b32 exec_lo, exec_lo, s0
	s_and_saveexec_b32 s0, vcc_lo
	s_cbranch_execnz .LBB159_95
.LBB159_70:
	s_wait_alu 0xfffe
	s_or_b32 exec_lo, exec_lo, s0
	s_and_saveexec_b32 s0, vcc_lo
	s_cbranch_execz .LBB159_72
.LBB159_71:
	ds_load_b32 v11, v9 offset:448
	s_wait_dscnt 0x0
	v_add_f32_e32 v1, v1, v11
.LBB159_72:
	s_wait_alu 0xfffe
	s_or_b32 exec_lo, exec_lo, s0
.LBB159_73:
	s_wait_alu 0xfffe
	s_or_b32 exec_lo, exec_lo, s1
	v_and_b32_e32 v0, 0x3e1, v0
	s_mov_b32 s1, exec_lo
	s_wait_loadcnt 0x0
	s_barrier_signal -1
	s_barrier_wait -1
	global_inv scope:SCOPE_SE
	v_cmpx_eq_u32_e32 32, v0
	s_cbranch_execz .LBB159_75
; %bb.74:
	ds_store_2addr_b32 v10, v8, v7 offset1:16
	ds_store_2addr_b32 v10, v6, v5 offset0:32 offset1:48
	ds_store_2addr_b32 v10, v4, v3 offset0:64 offset1:80
	;; [unrolled: 1-line block ×3, first 2 shown]
.LBB159_75:
	s_wait_alu 0xfffe
	s_or_b32 exec_lo, exec_lo, s1
	s_wait_loadcnt_dscnt 0x0
	s_barrier_signal -1
	s_barrier_wait -1
	global_inv scope:SCOPE_SE
	s_and_saveexec_b32 s0, s2
	s_cbranch_execz .LBB159_86
; %bb.76:
	s_and_saveexec_b32 s1, vcc_lo
	s_cbranch_execnz .LBB159_96
; %bb.77:
	s_wait_alu 0xfffe
	s_or_b32 exec_lo, exec_lo, s1
	s_and_saveexec_b32 s1, vcc_lo
	s_cbranch_execnz .LBB159_97
.LBB159_78:
	s_wait_alu 0xfffe
	s_or_b32 exec_lo, exec_lo, s1
	s_and_saveexec_b32 s1, vcc_lo
	s_cbranch_execnz .LBB159_98
.LBB159_79:
	s_wait_alu 0xfffe
	s_or_b32 exec_lo, exec_lo, s1
	s_and_saveexec_b32 s1, vcc_lo
	s_cbranch_execnz .LBB159_99
.LBB159_80:
	s_wait_alu 0xfffe
	s_or_b32 exec_lo, exec_lo, s1
	s_and_saveexec_b32 s1, vcc_lo
	s_cbranch_execnz .LBB159_100
.LBB159_81:
	s_wait_alu 0xfffe
	s_or_b32 exec_lo, exec_lo, s1
	s_and_saveexec_b32 s1, vcc_lo
	s_cbranch_execnz .LBB159_101
.LBB159_82:
	s_wait_alu 0xfffe
	s_or_b32 exec_lo, exec_lo, s1
	s_and_saveexec_b32 s1, vcc_lo
	s_cbranch_execnz .LBB159_102
.LBB159_83:
	s_wait_alu 0xfffe
	s_or_b32 exec_lo, exec_lo, s1
	s_and_saveexec_b32 s1, vcc_lo
	s_cbranch_execz .LBB159_85
.LBB159_84:
	ds_load_b32 v9, v9 offset:448
	s_wait_dscnt 0x0
	v_add_f32_e32 v1, v1, v9
.LBB159_85:
	s_wait_alu 0xfffe
	s_or_b32 exec_lo, exec_lo, s1
.LBB159_86:
	s_wait_alu 0xfffe
	s_or_b32 exec_lo, exec_lo, s0
	s_mov_b32 s1, 0
	s_wait_loadcnt 0x0
	s_barrier_signal -1
	s_barrier_wait -1
	global_inv scope:SCOPE_SE
	s_mov_b32 s0, exec_lo
	v_cmpx_eq_u32_e32 0, v0
	s_cbranch_execz .LBB159_88
; %bb.87:
	v_bfe_u32 v0, v8, 16, 1
	v_bfe_u32 v9, v7, 16, 1
	v_or_b32_e32 v11, 0x400000, v8
	v_cmp_u_f32_e32 vcc_lo, v8, v8
	v_or_b32_e32 v12, 0x400000, v7
	v_add3_u32 v0, v0, v8, 0x7fff
	v_add3_u32 v9, v9, v7, 0x7fff
	v_bfe_u32 v13, v6, 16, 1
	v_or_b32_e32 v14, 0x400000, v1
	v_bfe_u32 v8, v5, 16, 1
	s_wait_alu 0xfffd
	v_cndmask_b32_e32 v0, v0, v11, vcc_lo
	v_cmp_u_f32_e32 vcc_lo, v7, v7
	v_lshlrev_b32_e32 v10, 1, v43
	v_or_b32_e32 v11, 0x400000, v6
	v_add3_u32 v8, v8, v5, 0x7fff
	s_lshl_b32 s2, s4, 7
	s_wait_alu 0xfffd
	v_cndmask_b32_e32 v7, v9, v12, vcc_lo
	v_add3_u32 v9, v13, v6, 0x7fff
	v_cmp_u_f32_e32 vcc_lo, v6, v6
	v_bfe_u32 v12, v4, 16, 1
	v_or_b32_e32 v13, 0x400000, v5
	s_mul_i32 s4, s8, s20
	s_wait_alu 0xfffe
	s_ashr_i32 s3, s2, 31
	s_wait_alu 0xfffd
	v_cndmask_b32_e32 v6, v9, v11, vcc_lo
	v_cmp_u_f32_e32 vcc_lo, v5, v5
	v_add3_u32 v9, v12, v4, 0x7fff
	v_or_b32_e32 v11, 0x400000, v4
	v_bfe_u32 v12, v2, 16, 1
	s_ashr_i32 s5, s4, 31
	s_wait_alu 0xfffd
	v_cndmask_b32_e32 v5, v8, v13, vcc_lo
	v_bfe_u32 v8, v3, 16, 1
	v_cmp_u_f32_e32 vcc_lo, v4, v4
	v_add3_u32 v12, v12, v2, 0x7fff
	v_or_b32_e32 v13, 0x400000, v2
	s_wait_alu 0xfffe
	s_lshl_b64 s[2:3], s[2:3], 1
	v_add3_u32 v8, v8, v3, 0x7fff
	s_wait_alu 0xfffd
	v_cndmask_b32_e32 v4, v9, v11, vcc_lo
	v_or_b32_e32 v11, 0x400000, v3
	v_cmp_u_f32_e32 vcc_lo, v3, v3
	v_bfe_u32 v9, v1, 16, 1
	s_lshl_b64 s[4:5], s[4:5], 1
	s_wait_kmcnt 0x0
	s_wait_alu 0xfffe
	s_add_nc_u64 s[2:3], s[6:7], s[2:3]
	s_lshl_b32 s0, s30, 8
	s_wait_alu 0xfffd
	v_cndmask_b32_e32 v3, v8, v11, vcc_lo
	v_cmp_u_f32_e32 vcc_lo, v2, v2
	v_add3_u32 v9, v9, v1, 0x7fff
	s_wait_alu 0xfffe
	s_add_nc_u64 s[2:3], s[2:3], s[4:5]
	s_wait_alu 0xfffe
	s_add_nc_u64 s[0:1], s[2:3], s[0:1]
	s_wait_alu 0xfffd
	v_cndmask_b32_e32 v2, v12, v13, vcc_lo
	v_cmp_u_f32_e32 vcc_lo, v1, v1
	s_wait_alu 0xfffd
	v_cndmask_b32_e32 v1, v9, v14, vcc_lo
	s_clause 0x7
	global_store_d16_hi_b16 v10, v0, s[0:1]
	global_store_d16_hi_b16 v10, v7, s[0:1] offset:32
	global_store_d16_hi_b16 v10, v6, s[0:1] offset:64
	;; [unrolled: 1-line block ×7, first 2 shown]
.LBB159_88:
	s_nop 0
	s_sendmsg sendmsg(MSG_DEALLOC_VGPRS)
	s_endpgm
.LBB159_89:
	ds_load_b32 v11, v9
	s_wait_dscnt 0x0
	v_add_f32_e32 v8, v8, v11
	s_wait_alu 0xfffe
	s_or_b32 exec_lo, exec_lo, s0
	s_and_saveexec_b32 s0, vcc_lo
	s_cbranch_execz .LBB159_65
.LBB159_90:
	ds_load_b32 v11, v9 offset:64
	s_wait_dscnt 0x0
	v_add_f32_e32 v7, v7, v11
	s_wait_alu 0xfffe
	s_or_b32 exec_lo, exec_lo, s0
	s_and_saveexec_b32 s0, vcc_lo
	s_cbranch_execz .LBB159_66
.LBB159_91:
	ds_load_b32 v11, v9 offset:128
	s_wait_dscnt 0x0
	v_add_f32_e32 v6, v6, v11
	s_wait_alu 0xfffe
	s_or_b32 exec_lo, exec_lo, s0
	s_and_saveexec_b32 s0, vcc_lo
	s_cbranch_execz .LBB159_67
.LBB159_92:
	ds_load_b32 v11, v9 offset:192
	s_wait_dscnt 0x0
	v_add_f32_e32 v5, v5, v11
	s_wait_alu 0xfffe
	s_or_b32 exec_lo, exec_lo, s0
	s_and_saveexec_b32 s0, vcc_lo
	s_cbranch_execz .LBB159_68
.LBB159_93:
	ds_load_b32 v11, v9 offset:256
	s_wait_dscnt 0x0
	v_add_f32_e32 v4, v4, v11
	s_wait_alu 0xfffe
	s_or_b32 exec_lo, exec_lo, s0
	s_and_saveexec_b32 s0, vcc_lo
	s_cbranch_execz .LBB159_69
.LBB159_94:
	ds_load_b32 v11, v9 offset:320
	s_wait_dscnt 0x0
	v_add_f32_e32 v3, v3, v11
	s_wait_alu 0xfffe
	s_or_b32 exec_lo, exec_lo, s0
	s_and_saveexec_b32 s0, vcc_lo
	s_cbranch_execz .LBB159_70
.LBB159_95:
	ds_load_b32 v11, v9 offset:384
	s_wait_dscnt 0x0
	v_add_f32_e32 v2, v2, v11
	s_wait_alu 0xfffe
	s_or_b32 exec_lo, exec_lo, s0
	s_and_saveexec_b32 s0, vcc_lo
	s_cbranch_execnz .LBB159_71
	s_branch .LBB159_72
.LBB159_96:
	ds_load_b32 v10, v9
	s_wait_dscnt 0x0
	v_add_f32_e32 v8, v8, v10
	s_wait_alu 0xfffe
	s_or_b32 exec_lo, exec_lo, s1
	s_and_saveexec_b32 s1, vcc_lo
	s_cbranch_execz .LBB159_78
.LBB159_97:
	ds_load_b32 v10, v9 offset:64
	s_wait_dscnt 0x0
	v_add_f32_e32 v7, v7, v10
	s_wait_alu 0xfffe
	s_or_b32 exec_lo, exec_lo, s1
	s_and_saveexec_b32 s1, vcc_lo
	s_cbranch_execz .LBB159_79
.LBB159_98:
	ds_load_b32 v10, v9 offset:128
	s_wait_dscnt 0x0
	v_add_f32_e32 v6, v6, v10
	s_wait_alu 0xfffe
	s_or_b32 exec_lo, exec_lo, s1
	s_and_saveexec_b32 s1, vcc_lo
	s_cbranch_execz .LBB159_80
.LBB159_99:
	ds_load_b32 v10, v9 offset:192
	s_wait_dscnt 0x0
	v_add_f32_e32 v5, v5, v10
	s_wait_alu 0xfffe
	s_or_b32 exec_lo, exec_lo, s1
	s_and_saveexec_b32 s1, vcc_lo
	s_cbranch_execz .LBB159_81
.LBB159_100:
	ds_load_b32 v10, v9 offset:256
	s_wait_dscnt 0x0
	v_add_f32_e32 v4, v4, v10
	s_wait_alu 0xfffe
	s_or_b32 exec_lo, exec_lo, s1
	s_and_saveexec_b32 s1, vcc_lo
	s_cbranch_execz .LBB159_82
.LBB159_101:
	ds_load_b32 v10, v9 offset:320
	s_wait_dscnt 0x0
	v_add_f32_e32 v3, v3, v10
	s_wait_alu 0xfffe
	s_or_b32 exec_lo, exec_lo, s1
	s_and_saveexec_b32 s1, vcc_lo
	s_cbranch_execz .LBB159_83
.LBB159_102:
	ds_load_b32 v10, v9 offset:384
	s_wait_dscnt 0x0
	v_add_f32_e32 v2, v2, v10
	s_wait_alu 0xfffe
	s_or_b32 exec_lo, exec_lo, s1
	s_and_saveexec_b32 s1, vcc_lo
	s_cbranch_execnz .LBB159_84
	s_branch .LBB159_85
	.section	.rodata,"a",@progbits
	.p2align	6, 0x0
	.amdhsa_kernel _ZN4vllm25paged_attention_v2_kernelI14__hip_bfloat16S1_Li128ELi16ELi128ELNS_18Fp8KVCacheDataTypeE0ELb1ELi512EEEvPfS3_PT_PKS4_PKT0_SA_ifPKiSC_iPKfiiiSE_SE_iiiii
		.amdhsa_group_segment_fixed_size 288
		.amdhsa_private_segment_fixed_size 0
		.amdhsa_kernarg_size 400
		.amdhsa_user_sgpr_count 2
		.amdhsa_user_sgpr_dispatch_ptr 0
		.amdhsa_user_sgpr_queue_ptr 0
		.amdhsa_user_sgpr_kernarg_segment_ptr 1
		.amdhsa_user_sgpr_dispatch_id 0
		.amdhsa_user_sgpr_private_segment_size 0
		.amdhsa_wavefront_size32 1
		.amdhsa_uses_dynamic_stack 0
		.amdhsa_enable_private_segment 0
		.amdhsa_system_sgpr_workgroup_id_x 1
		.amdhsa_system_sgpr_workgroup_id_y 1
		.amdhsa_system_sgpr_workgroup_id_z 1
		.amdhsa_system_sgpr_workgroup_info 0
		.amdhsa_system_vgpr_workitem_id 0
		.amdhsa_next_free_vgpr 129
		.amdhsa_next_free_sgpr 44
		.amdhsa_reserve_vcc 1
		.amdhsa_float_round_mode_32 0
		.amdhsa_float_round_mode_16_64 0
		.amdhsa_float_denorm_mode_32 3
		.amdhsa_float_denorm_mode_16_64 3
		.amdhsa_fp16_overflow 0
		.amdhsa_workgroup_processor_mode 1
		.amdhsa_memory_ordered 1
		.amdhsa_forward_progress 1
		.amdhsa_inst_pref_size 109
		.amdhsa_round_robin_scheduling 0
		.amdhsa_exception_fp_ieee_invalid_op 0
		.amdhsa_exception_fp_denorm_src 0
		.amdhsa_exception_fp_ieee_div_zero 0
		.amdhsa_exception_fp_ieee_overflow 0
		.amdhsa_exception_fp_ieee_underflow 0
		.amdhsa_exception_fp_ieee_inexact 0
		.amdhsa_exception_int_div_zero 0
	.end_amdhsa_kernel
	.section	.text._ZN4vllm25paged_attention_v2_kernelI14__hip_bfloat16S1_Li128ELi16ELi128ELNS_18Fp8KVCacheDataTypeE0ELb1ELi512EEEvPfS3_PT_PKS4_PKT0_SA_ifPKiSC_iPKfiiiSE_SE_iiiii,"axG",@progbits,_ZN4vllm25paged_attention_v2_kernelI14__hip_bfloat16S1_Li128ELi16ELi128ELNS_18Fp8KVCacheDataTypeE0ELb1ELi512EEEvPfS3_PT_PKS4_PKT0_SA_ifPKiSC_iPKfiiiSE_SE_iiiii,comdat
.Lfunc_end159:
	.size	_ZN4vllm25paged_attention_v2_kernelI14__hip_bfloat16S1_Li128ELi16ELi128ELNS_18Fp8KVCacheDataTypeE0ELb1ELi512EEEvPfS3_PT_PKS4_PKT0_SA_ifPKiSC_iPKfiiiSE_SE_iiiii, .Lfunc_end159-_ZN4vllm25paged_attention_v2_kernelI14__hip_bfloat16S1_Li128ELi16ELi128ELNS_18Fp8KVCacheDataTypeE0ELb1ELi512EEEvPfS3_PT_PKS4_PKT0_SA_ifPKiSC_iPKfiiiSE_SE_iiiii
                                        ; -- End function
	.set _ZN4vllm25paged_attention_v2_kernelI14__hip_bfloat16S1_Li128ELi16ELi128ELNS_18Fp8KVCacheDataTypeE0ELb1ELi512EEEvPfS3_PT_PKS4_PKT0_SA_ifPKiSC_iPKfiiiSE_SE_iiiii.num_vgpr, 129
	.set _ZN4vllm25paged_attention_v2_kernelI14__hip_bfloat16S1_Li128ELi16ELi128ELNS_18Fp8KVCacheDataTypeE0ELb1ELi512EEEvPfS3_PT_PKS4_PKT0_SA_ifPKiSC_iPKfiiiSE_SE_iiiii.num_agpr, 0
	.set _ZN4vllm25paged_attention_v2_kernelI14__hip_bfloat16S1_Li128ELi16ELi128ELNS_18Fp8KVCacheDataTypeE0ELb1ELi512EEEvPfS3_PT_PKS4_PKT0_SA_ifPKiSC_iPKfiiiSE_SE_iiiii.numbered_sgpr, 44
	.set _ZN4vllm25paged_attention_v2_kernelI14__hip_bfloat16S1_Li128ELi16ELi128ELNS_18Fp8KVCacheDataTypeE0ELb1ELi512EEEvPfS3_PT_PKS4_PKT0_SA_ifPKiSC_iPKfiiiSE_SE_iiiii.num_named_barrier, 0
	.set _ZN4vllm25paged_attention_v2_kernelI14__hip_bfloat16S1_Li128ELi16ELi128ELNS_18Fp8KVCacheDataTypeE0ELb1ELi512EEEvPfS3_PT_PKS4_PKT0_SA_ifPKiSC_iPKfiiiSE_SE_iiiii.private_seg_size, 0
	.set _ZN4vllm25paged_attention_v2_kernelI14__hip_bfloat16S1_Li128ELi16ELi128ELNS_18Fp8KVCacheDataTypeE0ELb1ELi512EEEvPfS3_PT_PKS4_PKT0_SA_ifPKiSC_iPKfiiiSE_SE_iiiii.uses_vcc, 1
	.set _ZN4vllm25paged_attention_v2_kernelI14__hip_bfloat16S1_Li128ELi16ELi128ELNS_18Fp8KVCacheDataTypeE0ELb1ELi512EEEvPfS3_PT_PKS4_PKT0_SA_ifPKiSC_iPKfiiiSE_SE_iiiii.uses_flat_scratch, 0
	.set _ZN4vllm25paged_attention_v2_kernelI14__hip_bfloat16S1_Li128ELi16ELi128ELNS_18Fp8KVCacheDataTypeE0ELb1ELi512EEEvPfS3_PT_PKS4_PKT0_SA_ifPKiSC_iPKfiiiSE_SE_iiiii.has_dyn_sized_stack, 0
	.set _ZN4vllm25paged_attention_v2_kernelI14__hip_bfloat16S1_Li128ELi16ELi128ELNS_18Fp8KVCacheDataTypeE0ELb1ELi512EEEvPfS3_PT_PKS4_PKT0_SA_ifPKiSC_iPKfiiiSE_SE_iiiii.has_recursion, 0
	.set _ZN4vllm25paged_attention_v2_kernelI14__hip_bfloat16S1_Li128ELi16ELi128ELNS_18Fp8KVCacheDataTypeE0ELb1ELi512EEEvPfS3_PT_PKS4_PKT0_SA_ifPKiSC_iPKfiiiSE_SE_iiiii.has_indirect_call, 0
	.section	.AMDGPU.csdata,"",@progbits
; Kernel info:
; codeLenInByte = 13916
; TotalNumSgprs: 46
; NumVgprs: 129
; ScratchSize: 0
; MemoryBound: 0
; FloatMode: 240
; IeeeMode: 1
; LDSByteSize: 288 bytes/workgroup (compile time only)
; SGPRBlocks: 0
; VGPRBlocks: 16
; NumSGPRsForWavesPerEU: 46
; NumVGPRsForWavesPerEU: 129
; Occupancy: 10
; WaveLimiterHint : 1
; COMPUTE_PGM_RSRC2:SCRATCH_EN: 0
; COMPUTE_PGM_RSRC2:USER_SGPR: 2
; COMPUTE_PGM_RSRC2:TRAP_HANDLER: 0
; COMPUTE_PGM_RSRC2:TGID_X_EN: 1
; COMPUTE_PGM_RSRC2:TGID_Y_EN: 1
; COMPUTE_PGM_RSRC2:TGID_Z_EN: 1
; COMPUTE_PGM_RSRC2:TIDIG_COMP_CNT: 0
	.section	.text._ZN4vllm25paged_attention_v2_kernelI14__hip_bfloat16S1_Li192ELi16ELi128ELNS_18Fp8KVCacheDataTypeE0ELb1ELi512EEEvPfS3_PT_PKS4_PKT0_SA_ifPKiSC_iPKfiiiSE_SE_iiiii,"axG",@progbits,_ZN4vllm25paged_attention_v2_kernelI14__hip_bfloat16S1_Li192ELi16ELi128ELNS_18Fp8KVCacheDataTypeE0ELb1ELi512EEEvPfS3_PT_PKS4_PKT0_SA_ifPKiSC_iPKfiiiSE_SE_iiiii,comdat
	.protected	_ZN4vllm25paged_attention_v2_kernelI14__hip_bfloat16S1_Li192ELi16ELi128ELNS_18Fp8KVCacheDataTypeE0ELb1ELi512EEEvPfS3_PT_PKS4_PKT0_SA_ifPKiSC_iPKfiiiSE_SE_iiiii ; -- Begin function _ZN4vllm25paged_attention_v2_kernelI14__hip_bfloat16S1_Li192ELi16ELi128ELNS_18Fp8KVCacheDataTypeE0ELb1ELi512EEEvPfS3_PT_PKS4_PKT0_SA_ifPKiSC_iPKfiiiSE_SE_iiiii
	.globl	_ZN4vllm25paged_attention_v2_kernelI14__hip_bfloat16S1_Li192ELi16ELi128ELNS_18Fp8KVCacheDataTypeE0ELb1ELi512EEEvPfS3_PT_PKS4_PKT0_SA_ifPKiSC_iPKfiiiSE_SE_iiiii
	.p2align	8
	.type	_ZN4vllm25paged_attention_v2_kernelI14__hip_bfloat16S1_Li192ELi16ELi128ELNS_18Fp8KVCacheDataTypeE0ELb1ELi512EEEvPfS3_PT_PKS4_PKT0_SA_ifPKiSC_iPKfiiiSE_SE_iiiii,@function
_ZN4vllm25paged_attention_v2_kernelI14__hip_bfloat16S1_Li192ELi16ELi128ELNS_18Fp8KVCacheDataTypeE0ELb1ELi512EEEvPfS3_PT_PKS4_PKT0_SA_ifPKiSC_iPKfiiiSE_SE_iiiii: ; @_ZN4vllm25paged_attention_v2_kernelI14__hip_bfloat16S1_Li192ELi16ELi128ELNS_18Fp8KVCacheDataTypeE0ELb1ELi512EEEvPfS3_PT_PKS4_PKT0_SA_ifPKiSC_iPKfiiiSE_SE_iiiii
; %bb.0:
	s_load_b64 s[2:3], s[0:1], 0x40
	s_and_b32 s20, ttmp7, 0xffff
	s_lshr_b32 s30, ttmp7, 16
	s_lshl_b32 s4, s20, 2
	s_lshl_b32 s33, s30, 9
	s_wait_kmcnt 0x0
	s_load_b32 s31, s[2:3], s4 offset:0x0
	s_wait_kmcnt 0x0
	s_cmp_ge_i32 s33, s31
	s_cbranch_scc1 .LBB160_104
; %bb.1:
	s_clause 0x1
	s_load_b32 s21, s[0:1], 0x90
	s_load_b64 s[6:7], s[0:1], 0x30
	s_wait_kmcnt 0x0
	s_abs_i32 s5, s21
	s_abs_i32 s2, s6
	s_delay_alu instid0(SALU_CYCLE_1) | instskip(SKIP_1) | instid1(SALU_CYCLE_2)
	s_cvt_f32_u32 s3, s2
	s_sub_co_i32 s4, 0, s2
	v_rcp_iflag_f32_e32 v1, s3
	s_delay_alu instid0(TRANS32_DEP_1) | instskip(SKIP_2) | instid1(SALU_CYCLE_2)
	v_readfirstlane_b32 s3, v1
	s_mul_f32 s3, s3, 0x4f7ffffe
	s_wait_alu 0xfffe
	s_cvt_u32_f32 s3, s3
	s_wait_alu 0xfffe
	s_delay_alu instid0(SALU_CYCLE_2) | instskip(NEXT) | instid1(SALU_CYCLE_1)
	s_mul_i32 s4, s4, s3
	s_mul_hi_u32 s4, s3, s4
	s_delay_alu instid0(SALU_CYCLE_1)
	s_add_co_i32 s3, s3, s4
	s_xor_b32 s4, s21, s6
	s_wait_alu 0xfffe
	s_mul_hi_u32 s3, s5, s3
	s_ashr_i32 s4, s4, 31
	s_wait_alu 0xfffe
	s_mul_i32 s8, s3, s2
	s_delay_alu instid0(SALU_CYCLE_1)
	s_sub_co_i32 s5, s5, s8
	s_add_co_i32 s8, s3, 1
	s_sub_co_i32 s9, s5, s2
	s_cmp_ge_u32 s5, s2
	s_cselect_b32 s3, s8, s3
	s_cselect_b32 s5, s9, s5
	s_wait_alu 0xfffe
	s_add_co_i32 s8, s3, 1
	s_cmp_ge_u32 s5, s2
	s_cselect_b32 s2, s8, s3
	s_load_b64 s[8:9], s[0:1], 0x50
	s_xor_b32 s2, s2, s4
	s_mov_b32 s3, 0
	s_wait_alu 0xfffe
	s_sub_co_i32 s10, s2, s4
	s_mov_b32 s15, s3
	s_abs_i32 s18, s10
	s_delay_alu instid0(SALU_CYCLE_1) | instskip(SKIP_1) | instid1(SALU_CYCLE_2)
	s_cvt_f32_u32 s2, s18
	s_wait_alu 0xfffe
	v_rcp_iflag_f32_e32 v1, s2
	s_delay_alu instid0(TRANS32_DEP_1) | instskip(SKIP_2) | instid1(SALU_CYCLE_2)
	v_readfirstlane_b32 s2, v1
	s_mul_f32 s2, s2, 0x4f7ffffe
	s_wait_alu 0xfffe
	s_cvt_u32_f32 s4, s2
	s_sub_co_i32 s2, 0, s18
	s_wait_alu 0xfffe
	s_delay_alu instid0(SALU_CYCLE_1)
	s_mul_i32 s2, s2, s4
	s_wait_alu 0xfffe
	s_mul_hi_u32 s5, s4, s2
	s_abs_i32 s2, ttmp9
	s_add_co_i32 s4, s4, s5
	s_mov_b32 s5, s3
	s_wait_kmcnt 0x0
	s_cmp_eq_u64 s[8:9], 0
	s_cbranch_scc1 .LBB160_3
; %bb.2:
	s_mov_b32 s12, ttmp9
	s_ashr_i32 s13, ttmp9, 31
	s_delay_alu instid0(SALU_CYCLE_1) | instskip(NEXT) | instid1(SALU_CYCLE_1)
	s_lshl_b64 s[12:13], s[12:13], 2
	s_add_nc_u64 s[8:9], s[8:9], s[12:13]
	s_load_b32 s15, s[8:9], 0x0
.LBB160_3:
	s_load_b96 s[12:14], s[0:1], 0x58
	v_lshrrev_b32_e32 v59, 1, v0
	v_and_b32_e32 v60, 1, v0
	v_lshlrev_b32_e32 v9, 3, v0
	s_mul_u64 s[4:5], s[2:3], s[4:5]
	s_ashr_i32 s3, ttmp9, 31
	s_ashr_i32 s4, s10, 31
	s_mul_i32 s16, ttmp9, 0xc0
	s_mov_b32 s8, exec_lo
	v_cmpx_gt_u32_e32 48, v0
	s_cbranch_execz .LBB160_5
; %bb.4:
	s_load_b64 s[10:11], s[0:1], 0x18
	s_wait_kmcnt 0x0
	s_mul_i32 s22, s12, s20
	s_ashr_i32 s17, s16, 31
	s_ashr_i32 s23, s22, 31
	v_lshlrev_b32_e32 v3, 3, v59
	s_lshl_b64 s[22:23], s[22:23], 1
	s_delay_alu instid0(VALU_DEP_1) | instskip(SKIP_2) | instid1(SALU_CYCLE_1)
	v_mad_u32_u24 v3, 0xc0, v60, v3
	s_add_nc_u64 s[10:11], s[10:11], s[22:23]
	s_lshl_b64 s[22:23], s[16:17], 1
	s_add_nc_u64 s[10:11], s[10:11], s[22:23]
	global_load_b64 v[1:2], v9, s[10:11]
	s_wait_loadcnt 0x0
	ds_store_b64 v3, v[1:2]
.LBB160_5:
	s_or_b32 exec_lo, exec_lo, s8
	s_clause 0x1
	s_load_b128 s[8:11], s[0:1], 0x78
	s_load_b32 s22, s[0:1], 0x88
	s_wait_kmcnt 0x0
	s_mul_i32 s12, s5, s18
	s_xor_b32 s3, s3, s4
	s_sub_co_i32 s2, s2, s12
	s_add_co_i32 s4, s5, 1
	s_wait_alu 0xfffe
	s_sub_co_i32 s12, s2, s18
	s_cmp_ge_u32 s2, s18
	s_mov_b32 s24, -1
	s_cselect_b32 s4, s4, s5
	s_cselect_b32 s2, s12, s2
	s_add_co_i32 s5, s4, 1
	s_wait_alu 0xfffe
	s_cmp_ge_u32 s2, s18
	s_wait_dscnt 0x0
	s_cselect_b32 s2, s5, s4
	s_add_co_i32 s23, s31, -1
	s_wait_alu 0xfffe
	s_xor_b32 s2, s2, s3
	s_barrier_signal -1
	s_wait_alu 0xfffe
	s_sub_co_i32 s26, s2, s3
	s_barrier_wait -1
	s_abs_i32 s12, s11
	global_inv scope:SCOPE_SE
	s_cvt_f32_u32 s4, s12
                                        ; implicit-def: $sgpr17
	s_delay_alu instid0(SALU_CYCLE_3) | instskip(NEXT) | instid1(TRANS32_DEP_1)
	v_rcp_iflag_f32_e32 v1, s4
	v_readfirstlane_b32 s4, v1
	s_mul_f32 s2, s4, 0x4f7ffffe
	s_wait_alu 0xfffe
	s_delay_alu instid0(SALU_CYCLE_2) | instskip(SKIP_2) | instid1(SALU_CYCLE_1)
	s_cvt_u32_f32 s4, s2
	s_sub_co_i32 s2, 0, s12
	s_wait_alu 0xfffe
	s_mul_i32 s3, s2, s4
	s_abs_i32 s2, s23
	s_wait_alu 0xfffe
	s_mul_hi_u32 s5, s4, s3
	s_mov_b32 s3, 0
	s_wait_alu 0xfffe
	s_add_co_i32 s18, s4, s5
	s_cmp_lt_i32 s22, 0
	s_mov_b32 s19, s3
	s_cbranch_scc0 .LBB160_7
; %bb.6:
	s_mul_i32 s4, s8, s6
	s_mov_b32 s24, s3
	s_wait_alu 0xfffe
	s_add_co_i32 s4, s26, s4
	s_wait_alu 0xfffe
	s_mul_i32 s4, s4, s22
	s_wait_alu 0xfffe
	s_sub_co_i32 s17, 1, s4
.LBB160_7:
	s_mul_u64 s[4:5], s[2:3], s[18:19]
	s_ashr_i32 s3, s23, 31
	s_and_not1_b32 vcc_lo, exec_lo, s24
	s_ashr_i32 s11, s11, 31
	s_cbranch_vccnz .LBB160_9
; %bb.8:
	s_mul_i32 s4, s21, s8
	s_wait_alu 0xfffe
	s_add_co_i32 s4, s4, ttmp9
	s_wait_alu 0xfffe
	s_mul_i32 s4, s4, s22
	s_wait_alu 0xfffe
	s_add_co_i32 s17, s4, 1
.LBB160_9:
	s_clause 0x2
	s_load_b32 s4, s[0:1], 0x48
	s_load_b64 s[22:23], s[0:1], 0x38
	s_load_b32 s8, s[0:1], 0x98
	s_mul_i32 s6, s5, s12
	s_xor_b32 s3, s3, s11
	s_sub_co_i32 s2, s2, s6
	s_add_co_i32 s19, s5, 1
	v_lshrrev_b32_e32 v61, 5, v0
	v_mov_b32_e32 v12, 0xff7fffff
	v_mbcnt_lo_u32_b32 v11, -1, 0
	s_mul_i32 s26, s26, s14
	s_delay_alu instid0(VALU_DEP_3)
	v_lshl_add_u32 v62, v61, 4, s33
	s_wait_kmcnt 0x0
	s_mul_i32 s24, s4, s20
	s_wait_alu 0xfffe
	s_sub_co_i32 s4, s2, s12
	s_ashr_i32 s25, s24, 31
	s_cmp_ge_u32 s2, s12
	s_cselect_b32 s5, s19, s5
	s_wait_alu 0xfffe
	s_cselect_b32 s2, s4, s2
	s_add_co_i32 s4, s5, 1
	s_wait_alu 0xfffe
	s_cmp_ge_u32 s2, s12
	s_cselect_b32 s2, s4, s5
	s_add_co_i32 s4, s31, 15
	s_lshl_b32 s36, s30, 5
	s_wait_alu 0xfffe
	s_ashr_i32 s5, s4, 31
	v_or_b32_e32 v63, s36, v61
	s_wait_alu 0xfffe
	s_lshr_b32 s5, s5, 28
	s_wait_alu 0xfffe
	s_add_co_i32 s4, s4, s5
	s_add_co_i32 s5, s36, 32
	s_wait_alu 0xfffe
	s_ashr_i32 s34, s4, 4
	s_xor_b32 s4, s2, s3
	s_min_i32 s19, s5, s34
	v_lshlrev_b32_e32 v10, 2, v63
	v_cmp_gt_i32_e64 s2, s19, v63
	s_wait_alu 0xfffe
	s_sub_co_i32 s35, s4, s3
	s_and_saveexec_b32 s6, s2
	s_cbranch_execz .LBB160_21
; %bb.10:
	s_ashr_i32 s27, s26, 31
	s_sub_co_i32 s14, s35, s9
	s_lshl_b64 s[4:5], s[26:27], 1
	s_cmp_neq_f32 s15, 0
	s_load_b64 s[38:39], s[0:1], 0x20
	v_bfe_u32 v13, v0, 1, 4
	v_and_b32_e32 v2, 8, v9
	s_cselect_b32 vcc_lo, -1, 0
	s_abs_i32 s27, s10
	s_delay_alu instid0(VALU_DEP_2)
	v_dual_mov_b32 v20, 0xff7fffff :: v_dual_lshlrev_b32 v3, 4, v13
	s_cvt_f32_u32 s3, s27
	v_dual_mov_b32 v12, 0xff7fffff :: v_dual_lshlrev_b32 v5, 2, v13
	s_lshl_b64 s[40:41], s[24:25], 2
	s_wait_alu 0xfffe
	v_rcp_iflag_f32_e32 v1, s3
	v_subrev_nc_u32_e32 v4, s31, v13
	s_add_nc_u64 s[40:41], s[22:23], s[40:41]
	s_sub_co_i32 s37, 0, s27
	v_cmp_eq_u32_e64 s3, 0, v60
	v_mul_u32_u24_e32 v14, 0xc0, v60
	v_lshl_add_u32 v17, v61, 4, s33
	v_add_nc_u32_e32 v18, 1, v4
	v_xor_b32_e32 v21, 1, v11
	s_wait_kmcnt 0x0
	s_add_nc_u64 s[4:5], s[38:39], s[4:5]
	v_readfirstlane_b32 s29, v1
	s_wait_alu 0xfffe
	v_add_co_u32 v3, s4, s4, v3
	v_lshl_or_b32 v1, v61, 6, v5
	s_wait_alu 0xf1ff
	v_add_co_ci_u32_e64 v5, null, s5, 0, s4
	s_mul_f32 s29, s29, 0x4f7ffffe
	v_add_co_u32 v15, s4, v3, v2
	s_wait_alu 0xf1ff
	v_add_co_ci_u32_e64 v16, null, 0, v5, s4
	s_cvt_u32_f32 s5, s29
	v_add_co_u32 v5, s4, s40, v10
	s_wait_alu 0xf1ff
	v_add_co_ci_u32_e64 v6, null, s41, 0, s4
	s_wait_alu 0xfffe
	s_mul_i32 s37, s37, s5
	v_dual_mov_b32 v22, v63 :: v_dual_add_nc_u32 v19, 0x1a0, v1
	s_wait_alu 0xfffe
	s_mul_hi_u32 s4, s5, s37
	s_mov_b32 s28, 0
	s_mov_b32 s29, s13
	s_wait_alu 0xfffe
	s_add_co_i32 s37, s5, s4
	s_branch .LBB160_13
.LBB160_11:                             ;   in Loop: Header=BB160_13 Depth=1
	s_or_b32 exec_lo, exec_lo, s38
.LBB160_12:                             ;   in Loop: Header=BB160_13 Depth=1
	s_wait_alu 0xfffe
	s_or_b32 exec_lo, exec_lo, s5
	v_add_nc_u32_e32 v22, 4, v22
	v_add_co_u32 v5, s5, v5, 16
	s_wait_alu 0xf1ff
	v_add_co_ci_u32_e64 v6, null, 0, v6, s5
	s_delay_alu instid0(VALU_DEP_3)
	v_cmp_le_i32_e64 s4, s19, v22
	v_add_nc_u32_e32 v17, 64, v17
	v_add_nc_u32_e32 v19, 0x100, v19
	s_or_b32 s28, s4, s28
	s_wait_alu 0xfffe
	s_and_not1_b32 exec_lo, exec_lo, s28
	s_cbranch_execz .LBB160_20
.LBB160_13:                             ; =>This Inner Loop Header: Depth=1
	v_sub_nc_u32_e32 v1, 0, v17
	s_delay_alu instid0(VALU_DEP_1) | instskip(SKIP_1) | instid1(VALU_DEP_1)
	v_max_i32_e32 v1, v17, v1
	s_wait_dscnt 0x0
	v_mul_hi_u32 v2, v1, s18
	s_delay_alu instid0(VALU_DEP_1) | instskip(NEXT) | instid1(VALU_DEP_1)
	v_mul_lo_u32 v3, v2, s12
	v_sub_nc_u32_e32 v1, v1, v3
	v_add_nc_u32_e32 v3, 1, v2
	s_delay_alu instid0(VALU_DEP_2) | instskip(SKIP_2) | instid1(VALU_DEP_1)
	v_subrev_nc_u32_e32 v4, s12, v1
	v_cmp_le_u32_e64 s4, s12, v1
	s_wait_alu 0xf1ff
	v_cndmask_b32_e64 v2, v2, v3, s4
	s_delay_alu instid0(VALU_DEP_3) | instskip(SKIP_1) | instid1(VALU_DEP_3)
	v_cndmask_b32_e64 v1, v1, v4, s4
	v_ashrrev_i32_e32 v3, 31, v17
	v_add_nc_u32_e32 v4, 1, v2
	s_delay_alu instid0(VALU_DEP_3) | instskip(NEXT) | instid1(VALU_DEP_3)
	v_cmp_le_u32_e64 s4, s12, v1
	v_xor_b32_e32 v3, s11, v3
	s_wait_alu 0xf1ff
	s_delay_alu instid0(VALU_DEP_2) | instskip(NEXT) | instid1(VALU_DEP_1)
	v_cndmask_b32_e64 v1, v2, v4, s4
	v_xor_b32_e32 v1, v1, v3
	s_delay_alu instid0(VALU_DEP_1) | instskip(NEXT) | instid1(VALU_DEP_1)
	v_sub_nc_u32_e32 v1, v1, v3
	v_add_nc_u32_e32 v2, s17, v1
	v_cmp_ge_i32_e64 s5, s14, v1
	s_delay_alu instid0(VALU_DEP_2) | instskip(NEXT) | instid1(VALU_DEP_1)
	v_sub_nc_u32_e32 v3, 0, v2
	v_max_i32_e32 v3, v2, v3
	v_ashrrev_i32_e32 v2, 31, v2
	s_wait_alu 0xfffe
	s_delay_alu instid0(VALU_DEP_2) | instskip(NEXT) | instid1(VALU_DEP_1)
	v_mul_hi_u32 v4, v3, s37
	v_mul_lo_u32 v4, v4, s27
	s_delay_alu instid0(VALU_DEP_1) | instskip(NEXT) | instid1(VALU_DEP_1)
	v_sub_nc_u32_e32 v3, v3, v4
	v_subrev_nc_u32_e32 v4, s27, v3
	v_cmp_le_u32_e64 s4, s27, v3
	s_wait_alu 0xf1ff
	s_delay_alu instid0(VALU_DEP_1) | instskip(NEXT) | instid1(VALU_DEP_1)
	v_cndmask_b32_e64 v3, v3, v4, s4
	v_subrev_nc_u32_e32 v4, s27, v3
	v_cmp_le_u32_e64 s4, s27, v3
	s_wait_alu 0xf1ff
	s_delay_alu instid0(VALU_DEP_1) | instskip(NEXT) | instid1(VALU_DEP_1)
	v_cndmask_b32_e64 v3, v3, v4, s4
	v_xor_b32_e32 v3, v3, v2
	s_delay_alu instid0(VALU_DEP_1) | instskip(NEXT) | instid1(VALU_DEP_1)
	v_sub_nc_u32_e32 v2, v3, v2
	v_cmp_ne_u32_e64 s4, 0, v2
	s_and_b32 s4, s4, s5
	s_wait_alu 0xfffe
	s_and_saveexec_b32 s5, s4
	s_wait_alu 0xfffe
	s_xor_b32 s4, exec_lo, s5
	s_cbranch_execz .LBB160_17
; %bb.14:                               ;   in Loop: Header=BB160_13 Depth=1
	s_and_saveexec_b32 s5, s3
; %bb.15:                               ;   in Loop: Header=BB160_13 Depth=1
	ds_store_b32 v19, v20
; %bb.16:                               ;   in Loop: Header=BB160_13 Depth=1
	s_wait_alu 0xfffe
	s_or_b32 exec_lo, exec_lo, s5
.LBB160_17:                             ;   in Loop: Header=BB160_13 Depth=1
	s_wait_alu 0xfffe
	s_and_not1_saveexec_b32 s5, s4
	s_cbranch_execz .LBB160_12
; %bb.18:                               ;   in Loop: Header=BB160_13 Depth=1
	global_load_b32 v1, v[5:6], off
	s_wait_loadcnt 0x0
	v_mad_co_i64_i32 v[1:2], null, v1, s29, 0
	s_delay_alu instid0(VALU_DEP_1) | instskip(NEXT) | instid1(VALU_DEP_1)
	v_lshlrev_b64_e32 v[1:2], 1, v[1:2]
	v_add_co_u32 v72, s4, v15, v1
	s_wait_alu 0xf1ff
	s_delay_alu instid0(VALU_DEP_2)
	v_add_co_ci_u32_e64 v73, null, v16, v2, s4
	v_cmp_gt_i32_e64 s4, 32, v21
	s_clause 0x3
	global_load_b64 v[74:75], v[72:73], off offset:256
	global_load_b64 v[7:8], v[72:73], off offset:512
	;; [unrolled: 1-line block ×3, first 2 shown]
	global_load_b64 v[78:79], v[72:73], off
	ds_load_b128 v[23:26], v14
	ds_load_b128 v[27:30], v14 offset:16
	ds_load_b128 v[31:34], v14 offset:32
	;; [unrolled: 1-line block ×11, first 2 shown]
	s_wait_dscnt 0xb
	v_and_b32_e32 v109, 0xffff0000, v26
	s_wait_dscnt 0xa
	v_and_b32_e32 v111, 0xffff0000, v28
	;; [unrolled: 2-line block ×3, first 2 shown]
	v_and_b32_e32 v113, 0xffff0000, v30
	s_wait_dscnt 0x7
	v_lshlrev_b32_e32 v98, 16, v41
	v_and_b32_e32 v107, 0xffff0000, v24
	s_wait_dscnt 0x5
	v_and_b32_e32 v133, 0xffff0000, v49
	v_and_b32_e32 v130, 0xffff0000, v47
	;; [unrolled: 1-line block ×5, first 2 shown]
	s_wait_dscnt 0x4
	v_and_b32_e32 v141, 0xffff0000, v53
	v_lshlrev_b32_e32 v136, 16, v51
	v_and_b32_e32 v137, 0xffff0000, v51
	v_lshlrev_b32_e32 v134, 16, v50
	;; [unrolled: 2-line block ×3, first 2 shown]
	s_wait_dscnt 0x2
	v_lshlrev_b32_e32 v152, 16, v64
	v_and_b32_e32 v153, 0xffff0000, v64
	v_and_b32_e32 v135, 0xffff0000, v50
	v_lshlrev_b32_e32 v138, 16, v52
	v_and_b32_e32 v139, 0xffff0000, v52
	v_lshlrev_b32_e32 v140, 16, v53
	;; [unrolled: 2-line block ×7, first 2 shown]
	v_and_b32_e32 v125, 0xffff0000, v42
	v_and_b32_e32 v120, 0xffff0000, v37
	;; [unrolled: 1-line block ×3, first 2 shown]
	v_lshlrev_b32_e32 v142, 16, v54
	v_lshlrev_b32_e32 v150, 16, v58
	v_and_b32_e32 v151, 0xffff0000, v58
	v_and_b32_e32 v157, 0xffff0000, v66
	v_lshlrev_b32_e32 v156, 16, v66
	s_wait_dscnt 0x1
	v_lshlrev_b32_e32 v160, 16, v68
	v_lshlrev_b32_e32 v162, 16, v70
	v_and_b32_e32 v70, 0xffff0000, v70
	v_and_b32_e32 v68, 0xffff0000, v68
	v_lshlrev_b32_e32 v158, 16, v67
	v_and_b32_e32 v159, 0xffff0000, v67
	s_wait_loadcnt 0x3
	v_lshlrev_b32_e32 v49, 16, v74
	v_and_b32_e32 v51, 0xffff0000, v74
	v_lshlrev_b32_e32 v82, 16, v25
	v_and_b32_e32 v64, 0xffff0000, v75
	v_lshlrev_b32_e32 v80, 16, v23
	s_wait_loadcnt 0x0
	v_lshlrev_b32_e32 v53, 16, v78
	v_lshlrev_b32_e32 v52, 16, v75
	;; [unrolled: 1-line block ×3, first 2 shown]
	v_and_b32_e32 v65, 0xffff0000, v79
	v_mul_f32_e32 v75, v108, v51
	v_dual_mul_f32 v74, v82, v49 :: v_dual_lshlrev_b32 v81, 16, v24
	v_mul_f32_e32 v79, v109, v64
	v_lshlrev_b32_e32 v83, 16, v26
	v_lshlrev_b32_e32 v84, 16, v27
	s_clause 0x1
	global_load_b64 v[23:24], v[72:73], off offset:1024
	global_load_b64 v[25:26], v[72:73], off offset:1280
	v_dual_fmac_f32 v74, v80, v53 :: v_dual_lshlrev_b32 v87, 16, v30
	v_fmac_f32_e32 v79, v107, v65
	s_wait_dscnt 0x0
	v_lshlrev_b32_e32 v107, 16, v4
	v_dual_mul_f32 v78, v83, v52 :: v_dual_and_b32 v55, 0xffff0000, v78
	v_lshlrev_b32_e32 v85, 16, v28
	v_lshlrev_b32_e32 v86, 16, v29
	;; [unrolled: 1-line block ×3, first 2 shown]
	s_delay_alu instid0(VALU_DEP_4)
	v_dual_fmac_f32 v75, v106, v55 :: v_dual_fmac_f32 v78, v81, v57
	v_lshlrev_b32_e32 v95, 16, v38
	v_and_b32_e32 v121, 0xffff0000, v38
	v_and_b32_e32 v110, 0xffff0000, v27
	global_load_b64 v[27:28], v[72:73], off offset:1536
	v_lshlrev_b32_e32 v99, 16, v42
	v_and_b32_e32 v129, 0xffff0000, v46
	v_and_b32_e32 v128, 0xffff0000, v45
	;; [unrolled: 1-line block ×4, first 2 shown]
	global_load_b64 v[29:30], v[72:73], off offset:1792
	v_lshlrev_b32_e32 v90, 16, v33
	v_lshlrev_b32_e32 v92, 16, v35
	;; [unrolled: 1-line block ×4, first 2 shown]
	v_and_b32_e32 v117, 0xffff0000, v34
	v_and_b32_e32 v123, 0xffff0000, v40
	;; [unrolled: 1-line block ×3, first 2 shown]
	v_lshlrev_b32_e32 v102, 16, v45
	v_and_b32_e32 v119, 0xffff0000, v36
	v_lshlrev_b32_e32 v104, 16, v47
	global_load_b64 v[33:34], v[72:73], off offset:2304
	s_wait_loadcnt 0x4
	v_lshlrev_b32_e32 v80, 16, v23
	s_wait_loadcnt 0x3
	v_lshlrev_b32_e32 v81, 16, v25
	v_lshlrev_b32_e32 v89, 16, v32
	v_and_b32_e32 v23, 0xffff0000, v23
	v_and_b32_e32 v25, 0xffff0000, v25
	v_lshlrev_b32_e32 v100, 16, v43
	s_wait_loadcnt 0x2
	v_lshlrev_b32_e32 v82, 16, v27
	v_lshlrev_b32_e32 v93, 16, v36
	;; [unrolled: 1-line block ×4, first 2 shown]
	v_and_b32_e32 v127, 0xffff0000, v44
	v_and_b32_e32 v124, 0xffff0000, v41
	;; [unrolled: 1-line block ×3, first 2 shown]
	s_clause 0x1
	global_load_b64 v[31:32], v[72:73], off offset:2048
	global_load_b64 v[35:36], v[72:73], off offset:2560
	v_lshlrev_b32_e32 v94, 16, v37
	s_clause 0x2
	global_load_b64 v[37:38], v[72:73], off offset:2816
	global_load_b64 v[39:40], v[72:73], off offset:3072
	;; [unrolled: 1-line block ×3, first 2 shown]
	s_wait_loadcnt 0x6
	v_lshlrev_b32_e32 v83, 16, v29
	v_lshlrev_b32_e32 v101, 16, v44
	s_clause 0x9
	global_load_b64 v[43:44], v[72:73], off offset:3584
	global_load_b64 v[45:46], v[72:73], off offset:3840
	;; [unrolled: 1-line block ×10, first 2 shown]
	v_lshlrev_b32_e32 v72, 16, v7
	v_and_b32_e32 v7, 0xffff0000, v7
	v_and_b32_e32 v27, 0xffff0000, v27
	;; [unrolled: 1-line block ×3, first 2 shown]
	s_delay_alu instid0(VALU_DEP_4) | instskip(NEXT) | instid1(VALU_DEP_4)
	v_dual_fmac_f32 v74, v84, v72 :: v_dual_lshlrev_b32 v73, 16, v2
	v_dual_fmac_f32 v75, v110, v7 :: v_dual_lshlrev_b32 v72, 16, v8
	v_and_b32_e32 v8, 0xffff0000, v8
	v_lshlrev_b32_e32 v7, 16, v1
	s_delay_alu instid0(VALU_DEP_3) | instskip(SKIP_3) | instid1(VALU_DEP_3)
	v_dual_fmac_f32 v78, v85, v72 :: v_dual_and_b32 v1, 0xffff0000, v1
	v_lshlrev_b32_e32 v72, 16, v76
	v_and_b32_e32 v76, 0xffff0000, v76
	v_dual_fmac_f32 v79, v111, v8 :: v_dual_lshlrev_b32 v8, 16, v3
	v_dual_fmac_f32 v74, v86, v72 :: v_dual_and_b32 v3, 0xffff0000, v3
	s_delay_alu instid0(VALU_DEP_3) | instskip(SKIP_1) | instid1(VALU_DEP_3)
	v_dual_fmac_f32 v75, v112, v76 :: v_dual_lshlrev_b32 v72, 16, v77
	v_lshlrev_b32_e32 v76, 16, v24
	v_dual_fmac_f32 v74, v88, v80 :: v_dual_and_b32 v77, 0xffff0000, v77
	s_delay_alu instid0(VALU_DEP_3)
	v_fmac_f32_e32 v78, v87, v72
	v_lshlrev_b32_e32 v72, 16, v26
	v_and_b32_e32 v24, 0xffff0000, v24
	v_lshlrev_b32_e32 v80, 16, v30
	v_fmac_f32_e32 v74, v90, v81
	v_fmac_f32_e32 v78, v89, v76
	v_fmac_f32_e32 v79, v113, v77
	v_lshlrev_b32_e32 v77, 16, v28
	v_and_b32_e32 v26, 0xffff0000, v26
	v_fmac_f32_e32 v74, v92, v82
	v_dual_fmac_f32 v78, v91, v72 :: v_dual_fmac_f32 v75, v114, v23
	v_fmac_f32_e32 v79, v115, v24
	v_and_b32_e32 v28, 0xffff0000, v28
	v_and_b32_e32 v30, 0xffff0000, v30
	s_delay_alu instid0(VALU_DEP_4) | instskip(NEXT) | instid1(VALU_DEP_4)
	v_fmac_f32_e32 v78, v93, v77
	v_dual_fmac_f32 v74, v94, v83 :: v_dual_fmac_f32 v79, v117, v26
	s_wait_loadcnt 0xf
	v_lshlrev_b32_e32 v76, 16, v34
	v_and_b32_e32 v34, 0xffff0000, v34
	v_dual_fmac_f32 v78, v95, v80 :: v_dual_lshlrev_b32 v85, 16, v33
	v_fmac_f32_e32 v79, v119, v28
	v_and_b32_e32 v33, 0xffff0000, v33
	s_wait_loadcnt 0xe
	s_delay_alu instid0(VALU_DEP_2)
	v_dual_fmac_f32 v79, v121, v30 :: v_dual_lshlrev_b32 v84, 16, v31
	v_and_b32_e32 v23, 0xffff0000, v31
	v_lshlrev_b32_e32 v31, 16, v32
	s_wait_loadcnt 0xd
	v_lshlrev_b32_e32 v86, 16, v35
	v_and_b32_e32 v24, 0xffff0000, v35
	v_lshlrev_b32_e32 v35, 16, v36
	v_and_b32_e32 v32, 0xffff0000, v32
	s_wait_loadcnt 0xc
	v_dual_fmac_f32 v78, v97, v31 :: v_dual_lshlrev_b32 v81, 16, v38
	v_fmac_f32_e32 v74, v96, v84
	v_and_b32_e32 v36, 0xffff0000, v36
	s_wait_loadcnt 0xb
	v_lshlrev_b32_e32 v88, 16, v39
	v_dual_fmac_f32 v78, v99, v76 :: v_dual_lshlrev_b32 v87, 16, v37
	v_and_b32_e32 v37, 0xffff0000, v37
	v_and_b32_e32 v38, 0xffff0000, v38
	v_fmac_f32_e32 v74, v98, v85
	s_wait_loadcnt 0xa
	v_dual_fmac_f32 v78, v101, v35 :: v_dual_lshlrev_b32 v89, 16, v41
	v_and_b32_e32 v41, 0xffff0000, v41
	v_lshlrev_b32_e32 v72, 16, v42
	s_wait_loadcnt 0x9
	v_and_b32_e32 v26, 0xffff0000, v43
	v_fmac_f32_e32 v78, v103, v81
	v_fmac_f32_e32 v79, v123, v32
	;; [unrolled: 1-line block ×3, first 2 shown]
	v_and_b32_e32 v25, 0xffff0000, v39
	v_dual_fmac_f32 v74, v100, v86 :: v_dual_lshlrev_b32 v39, 16, v40
	s_delay_alu instid0(VALU_DEP_4) | instskip(NEXT) | instid1(VALU_DEP_4)
	v_fmac_f32_e32 v79, v125, v34
	v_dual_fmac_f32 v75, v118, v27 :: v_dual_and_b32 v40, 0xffff0000, v40
	s_delay_alu instid0(VALU_DEP_3) | instskip(NEXT) | instid1(VALU_DEP_3)
	v_fmac_f32_e32 v78, v105, v39
	v_dual_fmac_f32 v74, v102, v87 :: v_dual_fmac_f32 v79, v127, v36
	s_delay_alu instid0(VALU_DEP_3) | instskip(SKIP_1) | instid1(VALU_DEP_3)
	v_dual_fmac_f32 v75, v120, v29 :: v_dual_and_b32 v42, 0xffff0000, v42
	v_lshlrev_b32_e32 v90, 16, v43
	v_dual_fmac_f32 v74, v104, v88 :: v_dual_fmac_f32 v79, v129, v38
	s_delay_alu instid0(VALU_DEP_3)
	v_fmac_f32_e32 v75, v122, v23
	s_wait_loadcnt 0x8
	v_lshlrev_b32_e32 v91, 16, v45
	v_and_b32_e32 v45, 0xffff0000, v45
	v_lshlrev_b32_e32 v43, 16, v44
	v_dual_fmac_f32 v75, v124, v33 :: v_dual_and_b32 v44, 0xffff0000, v44
	s_wait_loadcnt 0x7
	v_and_b32_e32 v27, 0xffff0000, v47
	v_lshlrev_b32_e32 v82, 16, v46
	v_and_b32_e32 v46, 0xffff0000, v46
	v_dual_fmac_f32 v75, v126, v24 :: v_dual_lshlrev_b32 v92, 16, v47
	s_wait_loadcnt 0x6
	v_lshlrev_b32_e32 v106, 16, v49
	v_and_b32_e32 v49, 0xffff0000, v49
	v_lshlrev_b32_e32 v47, 16, v48
	v_dual_fmac_f32 v75, v128, v37 :: v_dual_and_b32 v48, 0xffff0000, v48
	v_lshlrev_b32_e32 v77, 16, v50
	v_and_b32_e32 v50, 0xffff0000, v50
	s_wait_loadcnt 0x5
	v_lshlrev_b32_e32 v93, 16, v51
	v_dual_fmac_f32 v75, v130, v25 :: v_dual_and_b32 v28, 0xffff0000, v51
	v_lshlrev_b32_e32 v51, 16, v52
	v_and_b32_e32 v52, 0xffff0000, v52
	s_wait_loadcnt 0x4
	v_lshlrev_b32_e32 v83, 16, v53
	v_and_b32_e32 v53, 0xffff0000, v53
	v_fmac_f32_e32 v75, v41, v133
	v_lshlrev_b32_e32 v29, 16, v54
	v_and_b32_e32 v54, 0xffff0000, v54
	s_wait_loadcnt 0x3
	v_lshlrev_b32_e32 v23, 16, v55
	v_dual_fmac_f32 v75, v26, v137 :: v_dual_and_b32 v30, 0xffff0000, v55
	v_dual_fmac_f32 v78, v72, v134 :: v_dual_fmac_f32 v79, v131, v40
	v_fmac_f32_e32 v74, v89, v132
	s_delay_alu instid0(VALU_DEP_3)
	v_dual_fmac_f32 v75, v45, v141 :: v_dual_lshlrev_b32 v24, 16, v56
	s_wait_loadcnt 0x2
	v_lshlrev_b32_e32 v25, 16, v57
	v_fmac_f32_e32 v79, v42, v135
	v_fmac_f32_e32 v74, v90, v136
	;; [unrolled: 1-line block ×4, first 2 shown]
	s_delay_alu instid0(VALU_DEP_4) | instskip(NEXT) | instid1(VALU_DEP_4)
	v_dual_fmac_f32 v79, v44, v139 :: v_dual_and_b32 v32, 0xffff0000, v57
	v_fmac_f32_e32 v74, v91, v140
	s_delay_alu instid0(VALU_DEP_3)
	v_dual_fmac_f32 v78, v82, v142 :: v_dual_fmac_f32 v75, v49, v149
	v_lshlrev_b32_e32 v26, 16, v58
	s_wait_loadcnt 0x1
	v_lshlrev_b32_e32 v27, 16, v64
	v_dual_fmac_f32 v74, v92, v144 :: v_dual_fmac_f32 v79, v46, v143
	v_dual_fmac_f32 v78, v47, v146 :: v_dual_fmac_f32 v75, v28, v153
	v_and_b32_e32 v34, 0xffff0000, v64
	s_delay_alu instid0(VALU_DEP_3) | instskip(NEXT) | instid1(VALU_DEP_4)
	v_dual_fmac_f32 v79, v48, v147 :: v_dual_lshlrev_b32 v28, 16, v65
	v_fmac_f32_e32 v74, v106, v148
	s_delay_alu instid0(VALU_DEP_4) | instskip(SKIP_2) | instid1(VALU_DEP_4)
	v_fmac_f32_e32 v78, v77, v150
	v_fmac_f32_e32 v75, v53, v157
	v_and_b32_e32 v31, 0xffff0000, v56
	v_dual_fmac_f32 v74, v93, v152 :: v_dual_and_b32 v33, 0xffff0000, v58
	v_fmac_f32_e32 v79, v50, v151
	s_delay_alu instid0(VALU_DEP_4) | instskip(NEXT) | instid1(VALU_DEP_3)
	v_fmac_f32_e32 v75, v30, v68
	v_dual_fmac_f32 v74, v83, v156 :: v_dual_and_b32 v35, 0xffff0000, v65
	s_delay_alu instid0(VALU_DEP_3) | instskip(NEXT) | instid1(VALU_DEP_3)
	v_dual_fmac_f32 v79, v52, v155 :: v_dual_fmac_f32 v78, v51, v154
	v_fmac_f32_e32 v75, v32, v70
	s_delay_alu instid0(VALU_DEP_2) | instskip(NEXT) | instid1(VALU_DEP_4)
	v_dual_fmac_f32 v78, v29, v158 :: v_dual_fmac_f32 v79, v54, v159
	v_dual_fmac_f32 v74, v23, v160 :: v_dual_lshlrev_b32 v161, 16, v69
	v_and_b32_e32 v69, 0xffff0000, v69
	v_lshlrev_b32_e32 v163, 16, v71
	s_wait_loadcnt 0x0
	s_delay_alu instid0(VALU_DEP_3) | instskip(SKIP_3) | instid1(VALU_DEP_4)
	v_dual_fmac_f32 v78, v24, v161 :: v_dual_lshlrev_b32 v23, 16, v66
	v_fmac_f32_e32 v74, v25, v162
	v_dual_fmac_f32 v75, v34, v1 :: v_dual_and_b32 v24, 0xffff0000, v66
	v_lshlrev_b32_e32 v1, 16, v67
	v_fmac_f32_e32 v78, v26, v163
	s_delay_alu instid0(VALU_DEP_4)
	v_fmac_f32_e32 v74, v27, v7
	v_and_b32_e32 v71, 0xffff0000, v71
	v_fmac_f32_e32 v75, v24, v3
	v_fmac_f32_e32 v79, v31, v69
	;; [unrolled: 1-line block ×3, first 2 shown]
	v_dual_fmac_f32 v74, v23, v8 :: v_dual_and_b32 v3, 0xffff0000, v67
	s_delay_alu instid0(VALU_DEP_3) | instskip(NEXT) | instid1(VALU_DEP_3)
	v_fmac_f32_e32 v79, v33, v71
	v_fmac_f32_e32 v78, v1, v107
	s_delay_alu instid0(VALU_DEP_3) | instskip(NEXT) | instid1(VALU_DEP_1)
	v_add_f32_e32 v1, v74, v75
	v_add_f32_e32 v1, v1, v78
	v_and_b32_e32 v2, 0xffff0000, v2
	s_delay_alu instid0(VALU_DEP_1) | instskip(SKIP_2) | instid1(VALU_DEP_1)
	v_dual_fmac_f32 v79, v35, v2 :: v_dual_and_b32 v2, 0xffff0000, v4
	s_wait_alu 0xf1ff
	v_cndmask_b32_e64 v4, v11, v21, s4
	v_dual_fmac_f32 v79, v3, v2 :: v_dual_lshlrev_b32 v2, 2, v4
	s_delay_alu instid0(VALU_DEP_1)
	v_add_f32_e32 v1, v79, v1
	ds_bpermute_b32 v2, v2, v1
	s_and_saveexec_b32 s38, s3
	s_cbranch_execz .LBB160_11
; %bb.19:                               ;   in Loop: Header=BB160_13 Depth=1
	v_add_nc_u32_e32 v3, v18, v17
	s_wait_dscnt 0x0
	v_add_f32_e32 v1, v1, v2
	s_delay_alu instid0(VALU_DEP_2) | instskip(NEXT) | instid1(VALU_DEP_1)
	v_cvt_f32_i32_e32 v3, v3
	v_mul_f32_e32 v3, s15, v3
	s_delay_alu instid0(VALU_DEP_1) | instskip(NEXT) | instid1(VALU_DEP_1)
	v_dual_cndmask_b32 v2, 0, v3 :: v_dual_max_num_f32 v3, v12, v12
	v_fmac_f32_e32 v2, s7, v1
	v_add_nc_u32_e32 v1, v13, v17
	s_delay_alu instid0(VALU_DEP_2) | instskip(NEXT) | instid1(VALU_DEP_2)
	v_max_num_f32_e32 v3, v3, v2
	v_cmp_gt_i32_e64 s4, s31, v1
	s_wait_alu 0xf1ff
	s_delay_alu instid0(VALU_DEP_1) | instskip(NEXT) | instid1(VALU_DEP_3)
	v_cndmask_b32_e64 v1, 0, v2, s4
	v_cndmask_b32_e64 v12, v12, v3, s4
	ds_store_b32 v19, v1
	s_branch .LBB160_11
.LBB160_20:
	s_or_b32 exec_lo, exec_lo, s28
.LBB160_21:
	s_delay_alu instid0(SALU_CYCLE_1)
	s_or_b32 exec_lo, exec_lo, s6
	v_xor_b32_e32 v1, 16, v11
	s_wait_dscnt 0x0
	v_xor_b32_e32 v2, 8, v11
	s_clause 0x2
	s_load_b128 s[4:7], s[0:1], 0x0
	s_load_b64 s[14:15], s[0:1], 0x10
	s_load_b64 s[28:29], s[0:1], 0x28
	v_lshlrev_b32_e32 v7, 2, v61
	v_and_b32_e32 v64, 31, v0
	v_cmp_gt_i32_e32 vcc_lo, 32, v1
	s_wait_alu 0xfffd
	v_cndmask_b32_e32 v1, v11, v1, vcc_lo
	v_cmp_gt_i32_e32 vcc_lo, 32, v2
	s_wait_alu 0xfffd
	v_dual_max_num_f32 v5, v12, v12 :: v_dual_cndmask_b32 v2, v11, v2
	s_delay_alu instid0(VALU_DEP_1) | instskip(SKIP_4) | instid1(VALU_DEP_1)
	v_lshlrev_b32_e32 v4, 2, v2
	v_lshlrev_b32_e32 v3, 2, v1
	ds_bpermute_b32 v1, v3, v12
	s_wait_dscnt 0x0
	v_max_num_f32_e32 v1, v1, v1
	v_max_num_f32_e32 v1, v5, v1
	v_xor_b32_e32 v5, 4, v11
	ds_bpermute_b32 v2, v4, v1
	v_cmp_gt_i32_e32 vcc_lo, 32, v5
	s_wait_dscnt 0x0
	s_wait_alu 0xfffd
	v_dual_cndmask_b32 v5, v11, v5 :: v_dual_max_num_f32 v2, v2, v2
	s_delay_alu instid0(VALU_DEP_1) | instskip(SKIP_1) | instid1(VALU_DEP_3)
	v_lshlrev_b32_e32 v6, 2, v5
	v_xor_b32_e32 v5, 2, v11
	v_max_num_f32_e32 v1, v1, v2
	s_delay_alu instid0(VALU_DEP_2)
	v_cmp_gt_i32_e32 vcc_lo, 32, v5
	ds_bpermute_b32 v2, v6, v1
	s_wait_alu 0xfffd
	v_cndmask_b32_e32 v5, v11, v5, vcc_lo
	v_cmp_eq_u32_e32 vcc_lo, 0, v64
	s_wait_dscnt 0x0
	v_max_num_f32_e32 v2, v2, v2
	s_delay_alu instid0(VALU_DEP_1)
	v_dual_max_num_f32 v1, v1, v2 :: v_dual_lshlrev_b32 v2, 2, v5
	ds_bpermute_b32 v5, v2, v1
	s_and_saveexec_b32 s0, vcc_lo
	s_cbranch_execz .LBB160_23
; %bb.22:
	s_wait_dscnt 0x0
	v_max_num_f32_e32 v5, v5, v5
	v_max_num_f32_e32 v1, v1, v1
	s_delay_alu instid0(VALU_DEP_1)
	v_max_num_f32_e32 v1, v1, v5
	ds_store_b32 v7, v1 offset:384
.LBB160_23:
	s_or_b32 exec_lo, exec_lo, s0
	v_cmp_gt_u32_e64 s0, 4, v64
	v_dual_mov_b32 v1, 0xff7fffff :: v_dual_lshlrev_b32 v8, 2, v64
	s_wait_loadcnt_dscnt 0x0
	s_barrier_signal -1
	s_barrier_wait -1
	global_inv scope:SCOPE_SE
	s_and_saveexec_b32 s1, s0
; %bb.24:
	ds_load_b32 v1, v8 offset:384
; %bb.25:
	s_or_b32 exec_lo, exec_lo, s1
	s_wait_dscnt 0x0
	ds_bpermute_b32 v5, v2, v1
	v_xor_b32_e32 v12, 1, v11
	v_max_num_f32_e32 v1, v1, v1
	s_delay_alu instid0(VALU_DEP_2) | instskip(NEXT) | instid1(VALU_DEP_1)
	v_cmp_gt_i32_e64 s1, 32, v12
	v_cndmask_b32_e64 v11, v11, v12, s1
	s_sub_co_i32 s1, s19, s36
	s_wait_alu 0xfffe
	s_lshl_b32 s1, s1, 4
	s_delay_alu instid0(VALU_DEP_1)
	v_lshlrev_b32_e32 v65, 2, v11
	v_mov_b32_e32 v11, 0
	s_wait_alu 0xfffe
	s_add_co_i32 s1, s1, s33
	s_wait_alu 0xfffe
	s_min_i32 s1, s1, s31
	s_wait_dscnt 0x0
	v_max_num_f32_e32 v5, v5, v5
	s_wait_alu 0xfffe
	s_sub_co_i32 s27, s1, s33
	s_wait_alu 0xfffe
	v_cmp_gt_i32_e64 s1, s27, v0
	v_max_num_f32_e32 v1, v1, v5
	ds_bpermute_b32 v5, v65, v1
	s_wait_dscnt 0x0
	v_max_num_f32_e32 v5, v5, v5
	s_delay_alu instid0(VALU_DEP_1)
	v_max_num_f32_e32 v1, v1, v5
	v_lshl_add_u32 v5, v0, 2, 0x1a0
	ds_bpermute_b32 v1, v11, v1
	s_and_saveexec_b32 s33, s1
	s_cbranch_execz .LBB160_29
; %bb.26:
	v_lshl_add_u32 v12, v0, 2, 0x1a0
	v_mov_b32_e32 v11, 0
	v_mov_b32_e32 v13, v0
	s_mov_b32 s36, 0
.LBB160_27:                             ; =>This Inner Loop Header: Depth=1
	ds_load_b32 v14, v12
	v_add_nc_u32_e32 v13, 0x80, v13
	s_delay_alu instid0(VALU_DEP_1) | instskip(SKIP_4) | instid1(VALU_DEP_1)
	v_cmp_le_i32_e64 s3, s27, v13
	s_wait_alu 0xfffe
	s_or_b32 s36, s3, s36
	s_wait_dscnt 0x0
	v_sub_f32_e32 v14, v14, v1
	v_mul_f32_e32 v14, 0x3fb8aa3b, v14
	s_delay_alu instid0(VALU_DEP_1)
	v_exp_f32_e32 v14, v14
	ds_store_b32 v12, v14
	v_dual_add_f32 v11, v11, v14 :: v_dual_add_nc_u32 v12, 0x200, v12
	s_wait_alu 0xfffe
	s_and_not1_b32 exec_lo, exec_lo, s36
	s_cbranch_execnz .LBB160_27
; %bb.28:
	s_or_b32 exec_lo, exec_lo, s36
.LBB160_29:
	s_wait_alu 0xfffe
	s_or_b32 exec_lo, exec_lo, s33
	ds_bpermute_b32 v3, v3, v11
	s_wait_dscnt 0x0
	v_add_f32_e32 v3, v11, v3
	ds_bpermute_b32 v4, v4, v3
	s_wait_dscnt 0x0
	v_add_f32_e32 v3, v3, v4
	;; [unrolled: 3-line block ×5, first 2 shown]
	s_and_saveexec_b32 s3, vcc_lo
; %bb.30:
	ds_store_b32 v7, v3 offset:400
; %bb.31:
	s_wait_alu 0xfffe
	s_or_b32 exec_lo, exec_lo, s3
	s_wait_loadcnt_dscnt 0x0
	s_barrier_signal -1
	s_barrier_wait -1
	global_inv scope:SCOPE_SE
	s_and_saveexec_b32 s3, s0
; %bb.32:
	ds_load_b32 v3, v8 offset:400
; %bb.33:
	s_wait_alu 0xfffe
	s_or_b32 exec_lo, exec_lo, s3
	s_wait_dscnt 0x0
	ds_bpermute_b32 v2, v2, v3
	s_wait_dscnt 0x0
	v_add_f32_e32 v2, v3, v2
	ds_bpermute_b32 v3, v65, v2
	s_wait_dscnt 0x0
	v_dual_add_f32 v2, v2, v3 :: v_dual_mov_b32 v3, 0
	ds_bpermute_b32 v2, v3, v2
	s_and_saveexec_b32 s0, s1
	s_cbranch_execz .LBB160_36
; %bb.34:
	s_wait_dscnt 0x0
	v_add_f32_e32 v3, 0x358637bd, v2
	s_mov_b32 s1, 0
	s_delay_alu instid0(VALU_DEP_1) | instskip(SKIP_1) | instid1(VALU_DEP_2)
	v_div_scale_f32 v4, null, v3, v3, 1.0
	v_div_scale_f32 v8, vcc_lo, 1.0, v3, 1.0
	v_rcp_f32_e32 v6, v4
	s_delay_alu instid0(TRANS32_DEP_1) | instskip(NEXT) | instid1(VALU_DEP_1)
	v_fma_f32 v7, -v4, v6, 1.0
	v_fmac_f32_e32 v6, v7, v6
	s_delay_alu instid0(VALU_DEP_1) | instskip(NEXT) | instid1(VALU_DEP_1)
	v_mul_f32_e32 v7, v8, v6
	v_fma_f32 v11, -v4, v7, v8
	s_delay_alu instid0(VALU_DEP_1) | instskip(NEXT) | instid1(VALU_DEP_1)
	v_fmac_f32_e32 v7, v11, v6
	v_fma_f32 v4, -v4, v7, v8
	s_wait_alu 0xfffd
	s_delay_alu instid0(VALU_DEP_1) | instskip(NEXT) | instid1(VALU_DEP_1)
	v_div_fmas_f32 v4, v4, v6, v7
	v_div_fixup_f32 v3, v4, v3, 1.0
	v_mov_b32_e32 v4, v0
.LBB160_35:                             ; =>This Inner Loop Header: Depth=1
	ds_load_b32 v6, v5
	v_add_nc_u32_e32 v4, 0x80, v4
	s_delay_alu instid0(VALU_DEP_1)
	v_cmp_le_i32_e32 vcc_lo, s27, v4
	s_wait_alu 0xfffe
	s_or_b32 s1, vcc_lo, s1
	s_wait_dscnt 0x0
	v_mul_f32_e32 v6, v3, v6
	ds_store_b32 v5, v6
	v_add_nc_u32_e32 v5, 0x200, v5
	s_wait_alu 0xfffe
	s_and_not1_b32 exec_lo, exec_lo, s1
	s_cbranch_execnz .LBB160_35
.LBB160_36:
	s_wait_alu 0xfffe
	s_or_b32 exec_lo, exec_lo, s0
	s_mul_i32 s0, s8, s20
	s_wait_loadcnt_dscnt 0x0
	s_wait_alu 0xfffe
	s_mul_i32 s20, s0, s21
	s_mov_b32 s0, exec_lo
	s_barrier_signal -1
	s_barrier_wait -1
	global_inv scope:SCOPE_SE
	v_cmpx_eq_u32_e32 0, v0
	s_cbranch_execz .LBB160_38
; %bb.37:
	s_ashr_i32 s21, s20, 31
	s_wait_alu 0xfffe
	s_mul_i32 s36, s8, ttmp9
	s_lshl_b32 s1, s30, 2
	s_lshl_b64 s[38:39], s[20:21], 2
	s_wait_alu 0xfffe
	s_ashr_i32 s37, s36, 31
	v_mov_b32_e32 v3, s1
	s_wait_kmcnt 0x0
	s_add_nc_u64 s[6:7], s[6:7], s[38:39]
	s_wait_alu 0xfffe
	s_lshl_b64 s[36:37], s[36:37], 2
	s_add_nc_u64 s[4:5], s[4:5], s[38:39]
	s_wait_alu 0xfffe
	s_add_nc_u64 s[6:7], s[6:7], s[36:37]
	s_add_nc_u64 s[4:5], s[4:5], s[36:37]
	s_clause 0x1
	global_store_b32 v3, v1, s[6:7]
	global_store_b32 v3, v2, s[4:5]
.LBB160_38:
	s_wait_alu 0xfffe
	s_or_b32 exec_lo, exec_lo, s0
	v_dual_mov_b32 v77, 0 :: v_dual_mov_b32 v76, 0
	v_dual_mov_b32 v75, 0 :: v_dual_mov_b32 v74, 0
	;; [unrolled: 1-line block ×6, first 2 shown]
	s_and_saveexec_b32 s1, s2
	s_cbranch_execz .LBB160_68
; %bb.39:
	s_abs_i32 s2, s10
	v_dual_mov_b32 v69, 0 :: v_dual_lshlrev_b32 v2, 4, v0
	s_wait_alu 0xfffe
	s_cvt_f32_u32 s0, s2
	s_ashr_i32 s27, s26, 31
	v_mov_b32_e32 v66, 0
	v_dual_mov_b32 v71, 0 :: v_dual_and_b32 v2, 0x1f0, v2
	s_wait_alu 0xfffe
	v_rcp_iflag_f32_e32 v1, s0
	s_lshl_b64 s[24:25], s[24:25], 2
	s_lshl_b64 s[26:27], s[26:27], 1
	s_add_nc_u64 s[22:23], s[22:23], s[24:25]
	s_wait_kmcnt 0x0
	s_wait_alu 0xfffe
	s_add_nc_u64 s[24:25], s[28:29], s[26:27]
	s_sub_co_i32 s3, s35, s9
	v_add_co_u32 v79, s9, s24, v2
	s_sub_co_i32 s7, 0, s2
	v_add_co_ci_u32_e64 v80, null, s25, 0, s9
	v_readfirstlane_b32 s0, v1
	v_lshlrev_b32_e32 v1, 5, v60
	v_add_co_u32 v57, s9, s22, v10
	v_dual_mov_b32 v67, 0 :: v_dual_and_b32 v78, 8, v9
	s_delay_alu instid0(VALU_DEP_4) | instskip(NEXT) | instid1(VALU_DEP_3)
	s_mul_f32 s0, s0, 0x4f7ffffe
	v_lshl_or_b32 v1, v61, 6, v1
	v_add_co_ci_u32_e64 v58, null, s23, 0, s9
	s_wait_alu 0xfffe
	s_cvt_u32_f32 s0, s0
	s_delay_alu instid0(VALU_DEP_2)
	v_dual_mov_b32 v68, 0 :: v_dual_add_nc_u32 v81, 0x1a0, v1
	v_dual_mov_b32 v70, 0 :: v_dual_mov_b32 v73, 0
	s_wait_alu 0xfffe
	s_mul_i32 s7, s7, s0
	v_dual_mov_b32 v72, 0 :: v_dual_mov_b32 v75, 0
	v_dual_mov_b32 v74, 0 :: v_dual_mov_b32 v77, 0
	v_mov_b32_e32 v76, 0
	s_wait_alu 0xfffe
	s_mul_hi_u32 s9, s0, s7
	s_mov_b32 s4, s13
	s_add_co_i32 s5, s34, -1
	s_mov_b32 s6, 0
	s_mov_b32 s7, s31
	s_wait_alu 0xfffe
	s_add_co_i32 s9, s0, s9
	s_branch .LBB160_42
.LBB160_40:                             ;   in Loop: Header=BB160_42 Depth=1
	s_wait_alu 0xfffe
	s_or_b32 exec_lo, exec_lo, s0
	s_wait_dscnt 0x1
	v_bfe_u32 v82, v41, 16, 1
	v_or_b32_e32 v83, 0x400000, v41
	v_bfe_u32 v84, v42, 16, 1
	v_cmp_u_f32_e32 vcc_lo, v41, v41
	v_bfe_u32 v85, v43, 16, 1
	v_add3_u32 v82, v82, v41, 0x7fff
	v_or_b32_e32 v86, 0x400000, v42
	v_add3_u32 v84, v84, v42, 0x7fff
	v_or_b32_e32 v87, 0x400000, v43
	v_add3_u32 v85, v85, v43, 0x7fff
	s_wait_alu 0xfffd
	v_cndmask_b32_e32 v41, v82, v83, vcc_lo
	v_cmp_u_f32_e32 vcc_lo, v42, v42
	v_bfe_u32 v82, v44, 16, 1
	s_wait_dscnt 0x0
	v_bfe_u32 v83, v33, 16, 1
	s_wait_alu 0xfffd
	v_cndmask_b32_e32 v42, v84, v86, vcc_lo
	v_cmp_u_f32_e32 vcc_lo, v43, v43
	v_add3_u32 v82, v82, v44, 0x7fff
	v_or_b32_e32 v84, 0x400000, v44
	v_add3_u32 v83, v83, v33, 0x7fff
	v_bfe_u32 v86, v34, 16, 1
	s_wait_alu 0xfffd
	v_cndmask_b32_e32 v43, v85, v87, vcc_lo
	v_cmp_u_f32_e32 vcc_lo, v44, v44
	v_or_b32_e32 v85, 0x400000, v33
	s_wait_alu 0xfffd
	v_dual_cndmask_b32 v44, v82, v84 :: v_dual_and_b32 v41, 0xffff0000, v41
	v_cmp_u_f32_e32 vcc_lo, v33, v33
	v_or_b32_e32 v84, 0x400000, v34
	s_wait_alu 0xfffd
	v_dual_cndmask_b32 v82, v83, v85 :: v_dual_and_b32 v33, 0xffff0000, v42
	v_add3_u32 v83, v86, v34, 0x7fff
	v_bfe_u32 v85, v35, 16, 1
	v_cmp_u_f32_e32 vcc_lo, v34, v34
	s_wait_loadcnt 0x1
	v_and_b32_e32 v42, 0xffff0000, v53
	s_delay_alu instid0(VALU_DEP_3)
	v_add3_u32 v34, v85, v35, 0x7fff
	s_wait_alu 0xfffd
	v_cndmask_b32_e32 v83, v83, v84, vcc_lo
	v_or_b32_e32 v84, 0x400000, v35
	v_bfe_u32 v85, v36, 16, 1
	v_mul_f32_e32 v42, v33, v42
	v_cmp_u_f32_e32 vcc_lo, v35, v35
	v_lshlrev_b32_e32 v53, 16, v53
	s_delay_alu instid0(VALU_DEP_4)
	v_add3_u32 v35, v85, v36, 0x7fff
	v_or_b32_e32 v85, 0x400000, v36
	s_wait_alu 0xfffd
	v_cndmask_b32_e32 v84, v34, v84, vcc_lo
	v_bfe_u32 v86, v42, 16, 1
	v_dual_mul_f32 v53, v41, v53 :: v_dual_and_b32 v34, 0xffff0000, v44
	v_cmp_u_f32_e32 vcc_lo, v36, v36
	s_wait_alu 0xfffd
	v_cndmask_b32_e32 v36, v35, v85, vcc_lo
	v_add3_u32 v35, v86, v42, 0x7fff
	v_bfe_u32 v86, v53, 16, 1
	v_or_b32_e32 v85, 0x400000, v42
	v_cmp_u_f32_e32 vcc_lo, v42, v42
	v_and_b32_e32 v43, 0xffff0000, v43
	s_delay_alu instid0(VALU_DEP_4) | instskip(SKIP_1) | instid1(VALU_DEP_1)
	v_add3_u32 v42, v86, v53, 0x7fff
	v_and_b32_e32 v44, 0xffff0000, v54
	v_dual_mul_f32 v87, v34, v44 :: v_dual_lshlrev_b32 v44, 16, v54
	s_wait_alu 0xfffd
	v_cndmask_b32_e32 v54, v35, v85, vcc_lo
	v_or_b32_e32 v85, 0x400000, v53
	v_cmp_u_f32_e32 vcc_lo, v53, v53
	v_bfe_u32 v86, v87, 16, 1
	v_dual_mul_f32 v88, v43, v44 :: v_dual_and_b32 v35, 0xffff0000, v83
	s_wait_alu 0xfffd
	v_dual_cndmask_b32 v53, v42, v85 :: v_dual_and_b32 v44, 0xffff0000, v55
	s_delay_alu instid0(VALU_DEP_3)
	v_add3_u32 v42, v86, v87, 0x7fff
	v_or_b32_e32 v83, 0x400000, v87
	v_bfe_u32 v85, v88, 16, 1
	v_cmp_u_f32_e32 vcc_lo, v87, v87
	v_dual_mul_f32 v86, v35, v44 :: v_dual_lshlrev_b32 v55, 16, v55
	v_and_b32_e32 v87, 0xffff0000, v56
	v_and_b32_e32 v54, 0xffff0000, v54
	;; [unrolled: 1-line block ×4, first 2 shown]
	s_wait_alu 0xfffd
	v_dual_cndmask_b32 v82, v42, v83 :: v_dual_and_b32 v53, 0xffff0000, v53
	v_add3_u32 v42, v85, v88, 0x7fff
	v_or_b32_e32 v83, 0x400000, v88
	v_cmp_u_f32_e32 vcc_lo, v88, v88
	s_delay_alu instid0(VALU_DEP_4) | instskip(SKIP_4) | instid1(VALU_DEP_3)
	v_and_b32_e32 v82, 0xffff0000, v82
	v_bfe_u32 v85, v86, 16, 1
	v_add_f32_e32 v53, v53, v54
	s_wait_alu 0xfffd
	v_dual_cndmask_b32 v83, v42, v83 :: v_dual_and_b32 v42, 0xffff0000, v84
	v_add3_u32 v85, v85, v86, 0x7fff
	v_or_b32_e32 v84, 0x400000, v86
	v_cmp_u_f32_e32 vcc_lo, v86, v86
	s_wait_alu 0xfffd
	s_delay_alu instid0(VALU_DEP_2) | instskip(NEXT) | instid1(VALU_DEP_1)
	v_dual_cndmask_b32 v84, v85, v84 :: v_dual_and_b32 v83, 0xffff0000, v83
	v_dual_add_f32 v54, v83, v82 :: v_dual_mul_f32 v87, v36, v87
	v_dual_mul_f32 v55, v44, v55 :: v_dual_lshlrev_b32 v56, 16, v56
	s_delay_alu instid0(VALU_DEP_2) | instskip(NEXT) | instid1(VALU_DEP_3)
	v_add_f32_e32 v53, v54, v53
	v_bfe_u32 v90, v87, 16, 1
	s_delay_alu instid0(VALU_DEP_3)
	v_bfe_u32 v88, v55, 16, 1
	v_or_b32_e32 v89, 0x400000, v55
	v_cmp_u_f32_e32 vcc_lo, v55, v55
	v_and_b32_e32 v82, 0xffff0000, v84
	v_add3_u32 v85, v90, v87, 0x7fff
	v_add3_u32 v88, v88, v55, 0x7fff
	s_wait_alu 0xfffd
	s_delay_alu instid0(VALU_DEP_1) | instskip(SKIP_1) | instid1(VALU_DEP_2)
	v_dual_cndmask_b32 v55, v88, v89 :: v_dual_mul_f32 v56, v42, v56
	v_or_b32_e32 v88, 0x400000, v87
	v_and_b32_e32 v55, 0xffff0000, v55
	s_delay_alu instid0(VALU_DEP_3) | instskip(SKIP_2) | instid1(VALU_DEP_4)
	v_bfe_u32 v86, v56, 16, 1
	v_or_b32_e32 v89, 0x400000, v56
	v_cmp_u_f32_e32 vcc_lo, v56, v56
	v_add_f32_e32 v54, v55, v82
	s_delay_alu instid0(VALU_DEP_4) | instskip(SKIP_2) | instid1(VALU_DEP_4)
	v_add3_u32 v86, v86, v56, 0x7fff
	v_and_b32_e32 v55, 0xffff0000, v49
	v_lshlrev_b32_e32 v49, 16, v49
	v_add_f32_e32 v53, v54, v53
	s_wait_alu 0xfffd
	v_cndmask_b32_e32 v56, v86, v89, vcc_lo
	v_cmp_u_f32_e32 vcc_lo, v87, v87
	v_mul_f32_e32 v49, v41, v49
	s_delay_alu instid0(VALU_DEP_3) | instskip(SKIP_2) | instid1(VALU_DEP_3)
	v_dual_mul_f32 v55, v33, v55 :: v_dual_and_b32 v56, 0xffff0000, v56
	s_wait_alu 0xfffd
	v_cndmask_b32_e32 v83, v85, v88, vcc_lo
	v_or_b32_e32 v84, 0x400000, v49
	s_delay_alu instid0(VALU_DEP_3) | instskip(NEXT) | instid1(VALU_DEP_3)
	v_cmp_u_f32_e32 vcc_lo, v55, v55
	v_and_b32_e32 v82, 0xffff0000, v83
	v_bfe_u32 v83, v49, 16, 1
	s_delay_alu instid0(VALU_DEP_1) | instskip(NEXT) | instid1(VALU_DEP_3)
	v_add3_u32 v83, v83, v49, 0x7fff
	v_add_f32_e32 v54, v56, v82
	v_and_b32_e32 v56, 0xffff0000, v50
	v_bfe_u32 v82, v55, 16, 1
	s_delay_alu instid0(VALU_DEP_3) | instskip(NEXT) | instid1(VALU_DEP_3)
	v_add_f32_e32 v53, v54, v53
	v_mul_f32_e32 v54, v34, v56
	s_delay_alu instid0(VALU_DEP_3) | instskip(SKIP_2) | instid1(VALU_DEP_1)
	v_add3_u32 v56, v82, v55, 0x7fff
	v_or_b32_e32 v82, 0x400000, v55
	s_wait_alu 0xfffd
	v_cndmask_b32_e32 v55, v56, v82, vcc_lo
	v_cmp_u_f32_e32 vcc_lo, v49, v49
	v_bfe_u32 v85, v54, 16, 1
	v_or_b32_e32 v82, 0x400000, v54
	s_delay_alu instid0(VALU_DEP_4)
	v_and_b32_e32 v55, 0xffff0000, v55
	s_wait_alu 0xfffd
	v_cndmask_b32_e32 v49, v83, v84, vcc_lo
	v_add3_u32 v56, v85, v54, 0x7fff
	v_and_b32_e32 v83, 0xffff0000, v51
	v_cmp_u_f32_e32 vcc_lo, v54, v54
	v_lshlrev_b32_e32 v51, 16, v51
	v_and_b32_e32 v49, 0xffff0000, v49
	v_lshlrev_b32_e32 v50, 16, v50
	s_wait_alu 0xfffd
	v_cndmask_b32_e32 v54, v56, v82, vcc_lo
	v_mul_f32_e32 v56, v35, v83
	s_delay_alu instid0(VALU_DEP_3) | instskip(NEXT) | instid1(VALU_DEP_3)
	v_dual_add_f32 v49, v49, v55 :: v_dual_mul_f32 v50, v43, v50
	v_dual_mul_f32 v51, v44, v51 :: v_dual_and_b32 v54, 0xffff0000, v54
	s_delay_alu instid0(VALU_DEP_3) | instskip(NEXT) | instid1(VALU_DEP_3)
	v_bfe_u32 v85, v56, 16, 1
	v_bfe_u32 v84, v50, 16, 1
	v_or_b32_e32 v83, 0x400000, v50
	v_cmp_u_f32_e32 vcc_lo, v50, v50
	v_bfe_u32 v86, v51, 16, 1
	s_delay_alu instid0(VALU_DEP_4) | instskip(SKIP_1) | instid1(VALU_DEP_1)
	v_add3_u32 v82, v84, v50, 0x7fff
	s_wait_alu 0xfffd
	v_cndmask_b32_e32 v50, v82, v83, vcc_lo
	v_add3_u32 v83, v85, v56, 0x7fff
	v_cmp_u_f32_e32 vcc_lo, v56, v56
	v_add3_u32 v85, v86, v51, 0x7fff
	v_or_b32_e32 v86, 0x400000, v51
	v_and_b32_e32 v50, 0xffff0000, v50
	s_delay_alu instid0(VALU_DEP_1) | instskip(SKIP_3) | instid1(VALU_DEP_3)
	v_add_f32_e32 v50, v50, v54
	v_and_b32_e32 v84, 0xffff0000, v52
	v_and_b32_e32 v54, 0xffff0000, v45
	v_lshlrev_b32_e32 v45, 16, v45
	v_dual_add_f32 v49, v50, v49 :: v_dual_mul_f32 v82, v36, v84
	v_or_b32_e32 v84, 0x400000, v56
	s_wait_alu 0xfffd
	s_delay_alu instid0(VALU_DEP_1) | instskip(SKIP_1) | instid1(VALU_DEP_2)
	v_dual_mul_f32 v45, v41, v45 :: v_dual_cndmask_b32 v56, v83, v84
	v_cmp_u_f32_e32 vcc_lo, v51, v51
	v_and_b32_e32 v55, 0xffff0000, v56
	s_wait_alu 0xfffd
	v_cndmask_b32_e32 v51, v85, v86, vcc_lo
	s_delay_alu instid0(VALU_DEP_1)
	v_and_b32_e32 v51, 0xffff0000, v51
	v_bfe_u32 v87, v82, 16, 1
	v_lshlrev_b32_e32 v52, 16, v52
	v_or_b32_e32 v84, 0x400000, v82
	v_cmp_u_f32_e32 vcc_lo, v82, v82
	v_add_f32_e32 v51, v51, v55
	v_add3_u32 v83, v87, v82, 0x7fff
	s_delay_alu instid0(VALU_DEP_2) | instskip(SKIP_1) | instid1(VALU_DEP_2)
	v_dual_mul_f32 v52, v42, v52 :: v_dual_add_f32 v49, v51, v49
	s_wait_alu 0xfffd
	v_cndmask_b32_e32 v82, v83, v84, vcc_lo
	s_delay_alu instid0(VALU_DEP_2)
	v_bfe_u32 v83, v52, 16, 1
	v_cmp_u_f32_e32 vcc_lo, v52, v52
	v_and_b32_e32 v84, 0xffff0000, v48
	v_and_b32_e32 v51, 0xffff0000, v46
	v_lshlrev_b32_e32 v48, 16, v48
	v_add3_u32 v56, v83, v52, 0x7fff
	v_or_b32_e32 v83, 0x400000, v52
	s_delay_alu instid0(VALU_DEP_4) | instskip(NEXT) | instid1(VALU_DEP_4)
	v_mul_f32_e32 v51, v34, v51
	v_mul_f32_e32 v48, v42, v48
	s_wait_alu 0xfffd
	s_delay_alu instid0(VALU_DEP_3)
	v_cndmask_b32_e32 v52, v56, v83, vcc_lo
	v_and_b32_e32 v83, 0xffff0000, v47
	v_lshlrev_b32_e32 v47, 16, v47
	v_bfe_u32 v56, v45, 16, 1
	v_lshlrev_b32_e32 v46, 16, v46
	v_bfe_u32 v87, v48, 16, 1
	v_dual_mul_f32 v83, v35, v83 :: v_dual_mul_f32 v50, v33, v54
	v_mul_f32_e32 v47, v44, v47
	s_delay_alu instid0(VALU_DEP_2) | instskip(SKIP_2) | instid1(VALU_DEP_4)
	v_bfe_u32 v54, v50, 16, 1
	v_or_b32_e32 v55, 0x400000, v50
	v_cmp_u_f32_e32 vcc_lo, v50, v50
	v_or_b32_e32 v85, 0x400000, v47
	v_mul_f32_e32 v46, v43, v46
	v_add3_u32 v54, v54, v50, 0x7fff
	s_wait_alu 0xfffd
	s_delay_alu instid0(VALU_DEP_1)
	v_cndmask_b32_e32 v50, v54, v55, vcc_lo
	v_add3_u32 v54, v56, v45, 0x7fff
	v_or_b32_e32 v55, 0x400000, v45
	v_bfe_u32 v56, v51, 16, 1
	v_cmp_u_f32_e32 vcc_lo, v45, v45
	s_wait_alu 0xfffd
	s_delay_alu instid0(VALU_DEP_3) | instskip(NEXT) | instid1(VALU_DEP_3)
	v_cndmask_b32_e32 v45, v54, v55, vcc_lo
	v_add3_u32 v54, v56, v51, 0x7fff
	v_or_b32_e32 v55, 0x400000, v51
	v_bfe_u32 v56, v46, 16, 1
	v_cmp_u_f32_e32 vcc_lo, v51, v51
	v_and_b32_e32 v52, 0xffff0000, v52
	v_and_b32_e32 v45, 0xffff0000, v45
	s_wait_alu 0xfffd
	v_cndmask_b32_e32 v51, v54, v55, vcc_lo
	v_add3_u32 v54, v56, v46, 0x7fff
	v_or_b32_e32 v55, 0x400000, v46
	v_bfe_u32 v56, v83, 16, 1
	v_cmp_u_f32_e32 vcc_lo, v46, v46
	s_wait_alu 0xfffd
	s_delay_alu instid0(VALU_DEP_3)
	v_cndmask_b32_e32 v46, v54, v55, vcc_lo
	v_bfe_u32 v54, v47, 16, 1
	v_add3_u32 v55, v56, v83, 0x7fff
	v_mul_f32_e32 v56, v36, v84
	v_or_b32_e32 v84, 0x400000, v83
	v_cmp_u_f32_e32 vcc_lo, v83, v83
	v_add3_u32 v54, v54, v47, 0x7fff
	v_add3_u32 v83, v87, v48, 0x7fff
	v_and_b32_e32 v46, 0xffff0000, v46
	v_bfe_u32 v86, v56, 16, 1
	s_wait_alu 0xfffd
	v_cndmask_b32_e32 v55, v55, v84, vcc_lo
	v_cmp_u_f32_e32 vcc_lo, v47, v47
	v_or_b32_e32 v84, 0x400000, v48
	s_wait_alu 0xfffd
	v_cndmask_b32_e32 v47, v54, v85, vcc_lo
	v_cmp_u_f32_e32 vcc_lo, v48, v48
	v_and_b32_e32 v51, 0xffff0000, v51
	v_add3_u32 v54, v86, v56, 0x7fff
	v_or_b32_e32 v85, 0x400000, v56
	s_wait_alu 0xfffd
	v_dual_cndmask_b32 v48, v83, v84 :: v_dual_and_b32 v47, 0xffff0000, v47
	v_add_f32_e32 v46, v46, v51
	v_and_b32_e32 v50, 0xffff0000, v50
	v_cmp_u_f32_e32 vcc_lo, v56, v56
	s_delay_alu instid0(VALU_DEP_2) | instskip(SKIP_2) | instid1(VALU_DEP_2)
	v_add_f32_e32 v45, v45, v50
	s_wait_alu 0xfffd
	v_cndmask_b32_e32 v51, v54, v85, vcc_lo
	v_dual_add_f32 v45, v46, v45 :: v_dual_and_b32 v54, 0xffff0000, v82
	v_and_b32_e32 v50, 0xffff0000, v55
	s_delay_alu instid0(VALU_DEP_1) | instskip(SKIP_3) | instid1(VALU_DEP_4)
	v_dual_add_f32 v46, v47, v50 :: v_dual_and_b32 v47, 0xffff0000, v48
	v_and_b32_e32 v50, 0xffff0000, v37
	v_and_b32_e32 v48, 0xffff0000, v51
	v_lshlrev_b32_e32 v37, 16, v37
	v_add_f32_e32 v45, v46, v45
	s_delay_alu instid0(VALU_DEP_3) | instskip(SKIP_1) | instid1(VALU_DEP_4)
	v_dual_add_f32 v51, v52, v54 :: v_dual_add_f32 v46, v47, v48
	v_mul_f32_e32 v47, v33, v50
	v_mul_f32_e32 v37, v41, v37
	s_delay_alu instid0(VALU_DEP_3) | instskip(NEXT) | instid1(VALU_DEP_4)
	v_dual_add_f32 v48, v51, v49 :: v_dual_and_b32 v49, 0xffff0000, v38
	v_dual_add_f32 v45, v46, v45 :: v_dual_lshlrev_b32 v38, 16, v38
	s_delay_alu instid0(VALU_DEP_4) | instskip(NEXT) | instid1(VALU_DEP_3)
	v_bfe_u32 v46, v47, 16, 1
	v_dual_add_f32 v67, v67, v53 :: v_dual_add_f32 v68, v68, v48
	v_bfe_u32 v48, v37, 16, 1
	s_delay_alu instid0(VALU_DEP_4) | instskip(NEXT) | instid1(VALU_DEP_4)
	v_dual_add_f32 v69, v69, v45 :: v_dual_mul_f32 v38, v43, v38
	v_add3_u32 v45, v46, v47, 0x7fff
	v_or_b32_e32 v46, 0x400000, v47
	v_mul_f32_e32 v49, v34, v49
	v_cmp_u_f32_e32 vcc_lo, v47, v47
	v_add3_u32 v48, v48, v37, 0x7fff
	v_or_b32_e32 v50, 0x400000, v37
	v_and_b32_e32 v51, 0xffff0000, v40
	s_wait_alu 0xfffd
	v_dual_cndmask_b32 v45, v45, v46 :: v_dual_lshlrev_b32 v40, 16, v40
	v_bfe_u32 v46, v49, 16, 1
	v_cmp_u_f32_e32 vcc_lo, v37, v37
	s_delay_alu instid0(VALU_DEP_3) | instskip(NEXT) | instid1(VALU_DEP_3)
	v_dual_mul_f32 v40, v42, v40 :: v_dual_and_b32 v45, 0xffff0000, v45
	v_add3_u32 v46, v46, v49, 0x7fff
	s_wait_alu 0xfffd
	v_cndmask_b32_e32 v37, v48, v50, vcc_lo
	v_or_b32_e32 v48, 0x400000, v49
	v_bfe_u32 v50, v38, 16, 1
	v_cmp_u_f32_e32 vcc_lo, v49, v49
	v_or_b32_e32 v49, 0x400000, v38
	s_wait_alu 0xfffd
	v_cndmask_b32_e32 v46, v46, v48, vcc_lo
	v_add3_u32 v48, v50, v38, 0x7fff
	v_cmp_u_f32_e32 vcc_lo, v38, v38
	v_and_b32_e32 v47, 0xffff0000, v39
	v_lshlrev_b32_e32 v39, 16, v39
	v_and_b32_e32 v37, 0xffff0000, v37
	v_and_b32_e32 v46, 0xffff0000, v46
	s_wait_alu 0xfffd
	v_dual_cndmask_b32 v38, v48, v49 :: v_dual_mul_f32 v47, v35, v47
	v_mul_f32_e32 v39, v44, v39
	v_add_f32_e32 v37, v37, v45
	v_and_b32_e32 v45, 0xffff0000, v29
	s_delay_alu instid0(VALU_DEP_4)
	v_and_b32_e32 v38, 0xffff0000, v38
	v_bfe_u32 v50, v47, 16, 1
	v_bfe_u32 v52, v39, 16, 1
	v_mul_f32_e32 v49, v36, v51
	v_cmp_u_f32_e32 vcc_lo, v47, v47
	v_add_f32_e32 v38, v38, v46
	v_add3_u32 v48, v50, v47, 0x7fff
	v_or_b32_e32 v50, 0x400000, v47
	v_add3_u32 v51, v52, v39, 0x7fff
	v_or_b32_e32 v52, 0x400000, v39
	v_bfe_u32 v53, v49, 16, 1
	v_add_f32_e32 v37, v38, v37
	s_wait_alu 0xfffd
	v_dual_cndmask_b32 v47, v48, v50 :: v_dual_mul_f32 v38, v33, v45
	v_cmp_u_f32_e32 vcc_lo, v39, v39
	v_add3_u32 v48, v53, v49, 0x7fff
	v_or_b32_e32 v50, 0x400000, v49
	s_wait_alu 0xfffd
	v_dual_cndmask_b32 v39, v51, v52 :: v_dual_and_b32 v46, 0xffff0000, v47
	v_bfe_u32 v51, v40, 16, 1
	v_cmp_u_f32_e32 vcc_lo, v49, v49
	s_delay_alu instid0(VALU_DEP_2) | instskip(SKIP_4) | instid1(VALU_DEP_3)
	v_add3_u32 v49, v51, v40, 0x7fff
	s_wait_alu 0xfffd
	v_cndmask_b32_e32 v48, v48, v50, vcc_lo
	v_or_b32_e32 v50, 0x400000, v40
	v_cmp_u_f32_e32 vcc_lo, v40, v40
	v_and_b32_e32 v45, 0xffff0000, v48
	v_and_b32_e32 v48, 0xffff0000, v31
	s_wait_alu 0xfffd
	v_cndmask_b32_e32 v40, v49, v50, vcc_lo
	v_cmp_u_f32_e32 vcc_lo, v38, v38
	v_and_b32_e32 v49, 0xffff0000, v32
	v_lshlrev_b32_e32 v32, 16, v32
	v_mul_f32_e32 v48, v35, v48
	v_and_b32_e32 v40, 0xffff0000, v40
	s_delay_alu instid0(VALU_DEP_3) | instskip(NEXT) | instid1(VALU_DEP_1)
	v_dual_mul_f32 v32, v42, v32 :: v_dual_and_b32 v39, 0xffff0000, v39
	v_dual_add_f32 v40, v40, v45 :: v_dual_add_f32 v39, v39, v46
	v_bfe_u32 v46, v38, 16, 1
	s_delay_alu instid0(VALU_DEP_2) | instskip(NEXT) | instid1(VALU_DEP_2)
	v_add_f32_e32 v37, v39, v37
	v_add3_u32 v45, v46, v38, 0x7fff
	v_or_b32_e32 v46, 0x400000, v38
	v_lshlrev_b32_e32 v29, 16, v29
	v_and_b32_e32 v39, 0xffff0000, v30
	v_lshlrev_b32_e32 v30, 16, v30
	s_wait_alu 0xfffd
	v_cndmask_b32_e32 v38, v45, v46, vcc_lo
	v_mul_f32_e32 v29, v41, v29
	s_delay_alu instid0(VALU_DEP_3) | instskip(NEXT) | instid1(VALU_DEP_3)
	v_dual_mul_f32 v39, v34, v39 :: v_dual_mul_f32 v30, v43, v30
	v_and_b32_e32 v38, 0xffff0000, v38
	s_delay_alu instid0(VALU_DEP_3) | instskip(SKIP_2) | instid1(VALU_DEP_3)
	v_bfe_u32 v47, v29, 16, 1
	v_or_b32_e32 v46, 0x400000, v29
	v_cmp_u_f32_e32 vcc_lo, v29, v29
	v_add3_u32 v45, v47, v29, 0x7fff
	v_bfe_u32 v47, v39, 16, 1
	s_wait_alu 0xfffd
	s_delay_alu instid0(VALU_DEP_2) | instskip(NEXT) | instid1(VALU_DEP_2)
	v_cndmask_b32_e32 v29, v45, v46, vcc_lo
	v_add3_u32 v45, v47, v39, 0x7fff
	v_or_b32_e32 v46, 0x400000, v39
	v_bfe_u32 v47, v30, 16, 1
	v_cmp_u_f32_e32 vcc_lo, v39, v39
	s_wait_alu 0xfffd
	s_delay_alu instid0(VALU_DEP_3) | instskip(NEXT) | instid1(VALU_DEP_3)
	v_cndmask_b32_e32 v39, v45, v46, vcc_lo
	v_add3_u32 v45, v47, v30, 0x7fff
	v_or_b32_e32 v46, 0x400000, v30
	v_bfe_u32 v47, v48, 16, 1
	v_cmp_u_f32_e32 vcc_lo, v30, v30
	s_wait_alu 0xfffd
	s_delay_alu instid0(VALU_DEP_3) | instskip(NEXT) | instid1(VALU_DEP_3)
	v_cndmask_b32_e32 v30, v45, v46, vcc_lo
	v_add3_u32 v46, v47, v48, 0x7fff
	v_mul_f32_e32 v47, v36, v49
	v_or_b32_e32 v49, 0x400000, v48
	v_cmp_u_f32_e32 vcc_lo, v48, v48
	v_bfe_u32 v48, v32, 16, 1
	v_dual_add_f32 v37, v40, v37 :: v_dual_and_b32 v30, 0xffff0000, v30
	s_wait_alu 0xfffd
	v_cndmask_b32_e32 v46, v46, v49, vcc_lo
	s_delay_alu instid0(VALU_DEP_3) | instskip(NEXT) | instid1(VALU_DEP_3)
	v_add3_u32 v48, v48, v32, 0x7fff
	v_dual_add_f32 v70, v70, v37 :: v_dual_lshlrev_b32 v31, 16, v31
	s_delay_alu instid0(VALU_DEP_1) | instskip(NEXT) | instid1(VALU_DEP_1)
	v_mul_f32_e32 v31, v44, v31
	v_bfe_u32 v45, v31, 16, 1
	v_or_b32_e32 v50, 0x400000, v31
	v_cmp_u_f32_e32 vcc_lo, v31, v31
	s_delay_alu instid0(VALU_DEP_3) | instskip(SKIP_1) | instid1(VALU_DEP_1)
	v_add3_u32 v45, v45, v31, 0x7fff
	s_wait_alu 0xfffd
	v_cndmask_b32_e32 v31, v45, v50, vcc_lo
	v_or_b32_e32 v50, 0x400000, v32
	v_cmp_u_f32_e32 vcc_lo, v32, v32
	s_wait_alu 0xfffd
	s_delay_alu instid0(VALU_DEP_2) | instskip(NEXT) | instid1(VALU_DEP_1)
	v_dual_cndmask_b32 v32, v48, v50 :: v_dual_and_b32 v31, 0xffff0000, v31
	v_and_b32_e32 v32, 0xffff0000, v32
	v_and_b32_e32 v39, 0xffff0000, v39
	s_delay_alu instid0(VALU_DEP_1) | instskip(NEXT) | instid1(VALU_DEP_1)
	v_dual_add_f32 v30, v30, v39 :: v_dual_and_b32 v29, 0xffff0000, v29
	v_add_f32_e32 v29, v29, v38
	v_and_b32_e32 v38, 0xffff0000, v46
	v_bfe_u32 v51, v47, 16, 1
	v_or_b32_e32 v49, 0x400000, v47
	v_cmp_u_f32_e32 vcc_lo, v47, v47
	s_delay_alu instid0(VALU_DEP_4) | instskip(NEXT) | instid1(VALU_DEP_4)
	v_dual_add_f32 v29, v30, v29 :: v_dual_add_f32 v30, v31, v38
	v_add3_u32 v45, v51, v47, 0x7fff
	v_and_b32_e32 v31, 0xffff0000, v25
	v_lshlrev_b32_e32 v25, 16, v25
	s_delay_alu instid0(VALU_DEP_4) | instskip(SKIP_3) | instid1(VALU_DEP_2)
	v_add_f32_e32 v29, v30, v29
	s_wait_alu 0xfffd
	v_cndmask_b32_e32 v39, v45, v49, vcc_lo
	v_mul_f32_e32 v31, v33, v31
	v_dual_mul_f32 v25, v41, v25 :: v_dual_and_b32 v38, 0xffff0000, v39
	s_delay_alu instid0(VALU_DEP_2) | instskip(NEXT) | instid1(VALU_DEP_2)
	v_cmp_u_f32_e32 vcc_lo, v31, v31
	v_bfe_u32 v37, v25, 16, 1
	v_or_b32_e32 v39, 0x400000, v25
	s_delay_alu instid0(VALU_DEP_4)
	v_add_f32_e32 v30, v32, v38
	v_and_b32_e32 v32, 0xffff0000, v26
	v_bfe_u32 v38, v31, 16, 1
	v_lshlrev_b32_e32 v26, 16, v26
	v_add3_u32 v37, v37, v25, 0x7fff
	v_add_f32_e32 v29, v30, v29
	v_mul_f32_e32 v30, v34, v32
	v_add3_u32 v32, v38, v31, 0x7fff
	v_or_b32_e32 v38, 0x400000, v31
	v_mul_f32_e32 v26, v43, v26
	s_delay_alu instid0(VALU_DEP_4) | instskip(SKIP_1) | instid1(VALU_DEP_3)
	v_bfe_u32 v40, v30, 16, 1
	s_wait_alu 0xfffd
	v_cndmask_b32_e32 v31, v32, v38, vcc_lo
	v_cmp_u_f32_e32 vcc_lo, v25, v25
	v_and_b32_e32 v38, 0xffff0000, v27
	v_add3_u32 v32, v40, v30, 0x7fff
	s_wait_alu 0xfffd
	v_cndmask_b32_e32 v25, v37, v39, vcc_lo
	v_or_b32_e32 v37, 0x400000, v30
	v_bfe_u32 v39, v26, 16, 1
	v_cmp_u_f32_e32 vcc_lo, v30, v30
	s_wait_alu 0xfffd
	s_delay_alu instid0(VALU_DEP_3)
	v_cndmask_b32_e32 v30, v32, v37, vcc_lo
	v_mul_f32_e32 v32, v35, v38
	v_add3_u32 v37, v39, v26, 0x7fff
	v_or_b32_e32 v38, 0x400000, v26
	v_cmp_u_f32_e32 vcc_lo, v26, v26
	v_and_b32_e32 v30, 0xffff0000, v30
	v_and_b32_e32 v25, 0xffff0000, v25
	v_bfe_u32 v40, v32, 16, 1
	s_wait_alu 0xfffd
	v_cndmask_b32_e32 v26, v37, v38, vcc_lo
	v_cmp_u_f32_e32 vcc_lo, v32, v32
	s_delay_alu instid0(VALU_DEP_3) | instskip(NEXT) | instid1(VALU_DEP_3)
	v_add3_u32 v38, v40, v32, 0x7fff
	v_and_b32_e32 v26, 0xffff0000, v26
	v_lshlrev_b32_e32 v27, 16, v27
	s_delay_alu instid0(VALU_DEP_2) | instskip(NEXT) | instid1(VALU_DEP_2)
	v_dual_add_f32 v71, v71, v29 :: v_dual_add_f32 v26, v26, v30
	v_dual_mul_f32 v27, v44, v27 :: v_dual_and_b32 v30, 0xffff0000, v21
	v_and_b32_e32 v39, 0xffff0000, v28
	v_lshlrev_b32_e32 v28, 16, v28
	s_delay_alu instid0(VALU_DEP_3) | instskip(NEXT) | instid1(VALU_DEP_2)
	v_bfe_u32 v45, v27, 16, 1
	v_dual_mul_f32 v28, v42, v28 :: v_dual_and_b32 v31, 0xffff0000, v31
	s_delay_alu instid0(VALU_DEP_2) | instskip(SKIP_1) | instid1(VALU_DEP_3)
	v_add3_u32 v40, v45, v27, 0x7fff
	v_or_b32_e32 v45, 0x400000, v27
	v_add_f32_e32 v25, v25, v31
	s_delay_alu instid0(VALU_DEP_1) | instskip(SKIP_2) | instid1(VALU_DEP_3)
	v_dual_add_f32 v25, v26, v25 :: v_dual_mul_f32 v26, v33, v30
	v_mul_f32_e32 v37, v36, v39
	v_or_b32_e32 v39, 0x400000, v32
	v_bfe_u32 v30, v26, 16, 1
	s_delay_alu instid0(VALU_DEP_3) | instskip(SKIP_1) | instid1(VALU_DEP_3)
	v_bfe_u32 v46, v37, 16, 1
	s_wait_alu 0xfffd
	v_cndmask_b32_e32 v32, v38, v39, vcc_lo
	v_cmp_u_f32_e32 vcc_lo, v27, v27
	v_or_b32_e32 v39, 0x400000, v37
	v_add3_u32 v30, v30, v26, 0x7fff
	v_add3_u32 v38, v46, v37, 0x7fff
	s_wait_alu 0xfffd
	v_cndmask_b32_e32 v27, v40, v45, vcc_lo
	v_cmp_u_f32_e32 vcc_lo, v37, v37
	s_wait_alu 0xfffd
	v_cndmask_b32_e32 v37, v38, v39, vcc_lo
	v_bfe_u32 v38, v28, 16, 1
	v_cmp_u_f32_e32 vcc_lo, v28, v28
	v_and_b32_e32 v39, 0xffff0000, v24
	v_and_b32_e32 v31, 0xffff0000, v32
	v_lshlrev_b32_e32 v24, 16, v24
	v_and_b32_e32 v27, 0xffff0000, v27
	v_add3_u32 v32, v38, v28, 0x7fff
	v_or_b32_e32 v38, 0x400000, v28
	s_delay_alu instid0(VALU_DEP_3) | instskip(SKIP_2) | instid1(VALU_DEP_3)
	v_dual_mul_f32 v24, v42, v24 :: v_dual_add_f32 v27, v27, v31
	v_or_b32_e32 v31, 0x400000, v26
	s_wait_alu 0xfffd
	v_cndmask_b32_e32 v28, v32, v38, vcc_lo
	v_cmp_u_f32_e32 vcc_lo, v26, v26
	v_lshlrev_b32_e32 v21, 16, v21
	v_and_b32_e32 v38, 0xffff0000, v23
	v_bfe_u32 v46, v24, 16, 1
	v_and_b32_e32 v28, 0xffff0000, v28
	s_wait_alu 0xfffd
	v_dual_cndmask_b32 v26, v30, v31 :: v_dual_mul_f32 v21, v41, v21
	v_mul_f32_e32 v38, v35, v38
	s_delay_alu instid0(VALU_DEP_2) | instskip(SKIP_1) | instid1(VALU_DEP_4)
	v_dual_add_f32 v25, v27, v25 :: v_dual_and_b32 v26, 0xffff0000, v26
	v_and_b32_e32 v27, 0xffff0000, v22
	v_bfe_u32 v32, v21, 16, 1
	v_lshlrev_b32_e32 v22, 16, v22
	v_or_b32_e32 v31, 0x400000, v21
	v_cmp_u_f32_e32 vcc_lo, v21, v21
	v_mul_f32_e32 v27, v34, v27
	v_add3_u32 v30, v32, v21, 0x7fff
	v_mul_f32_e32 v22, v43, v22
	s_delay_alu instid0(VALU_DEP_3) | instskip(SKIP_1) | instid1(VALU_DEP_3)
	v_bfe_u32 v32, v27, 16, 1
	s_wait_alu 0xfffd
	v_cndmask_b32_e32 v21, v30, v31, vcc_lo
	v_or_b32_e32 v31, 0x400000, v27
	v_cmp_u_f32_e32 vcc_lo, v27, v27
	v_add3_u32 v30, v32, v27, 0x7fff
	v_bfe_u32 v32, v22, 16, 1
	v_and_b32_e32 v21, 0xffff0000, v21
	s_wait_alu 0xfffd
	s_delay_alu instid0(VALU_DEP_3) | instskip(NEXT) | instid1(VALU_DEP_3)
	v_cndmask_b32_e32 v27, v30, v31, vcc_lo
	v_add3_u32 v30, v32, v22, 0x7fff
	v_or_b32_e32 v31, 0x400000, v22
	v_cmp_u_f32_e32 vcc_lo, v22, v22
	v_bfe_u32 v32, v38, 16, 1
	v_and_b32_e32 v27, 0xffff0000, v27
	s_wait_alu 0xfffd
	v_cndmask_b32_e32 v22, v30, v31, vcc_lo
	v_lshlrev_b32_e32 v23, 16, v23
	v_add3_u32 v31, v32, v38, 0x7fff
	v_cmp_u_f32_e32 vcc_lo, v38, v38
	s_delay_alu instid0(VALU_DEP_3) | instskip(NEXT) | instid1(VALU_DEP_1)
	v_dual_mul_f32 v23, v44, v23 :: v_dual_and_b32 v22, 0xffff0000, v22
	v_add_f32_e32 v22, v22, v27
	s_delay_alu instid0(VALU_DEP_2)
	v_bfe_u32 v30, v23, 16, 1
	v_mul_f32_e32 v32, v36, v39
	v_or_b32_e32 v39, 0x400000, v38
	v_or_b32_e32 v40, 0x400000, v23
	v_add3_u32 v38, v46, v24, 0x7fff
	v_add3_u32 v30, v30, v23, 0x7fff
	v_bfe_u32 v45, v32, 16, 1
	s_wait_alu 0xfffd
	v_cndmask_b32_e32 v31, v31, v39, vcc_lo
	v_cmp_u_f32_e32 vcc_lo, v23, v23
	v_or_b32_e32 v39, 0x400000, v24
	s_wait_alu 0xfffd
	v_cndmask_b32_e32 v23, v30, v40, vcc_lo
	v_cmp_u_f32_e32 vcc_lo, v24, v24
	v_add3_u32 v30, v45, v32, 0x7fff
	v_or_b32_e32 v40, 0x400000, v32
	s_wait_alu 0xfffd
	v_cndmask_b32_e32 v24, v38, v39, vcc_lo
	v_cmp_u_f32_e32 vcc_lo, v32, v32
	s_wait_alu 0xfffd
	v_cndmask_b32_e32 v27, v30, v40, vcc_lo
	v_dual_add_f32 v21, v21, v26 :: v_dual_and_b32 v26, 0xffff0000, v31
	v_and_b32_e32 v23, 0xffff0000, v23
	v_and_b32_e32 v30, 0xffff0000, v37
	s_delay_alu instid0(VALU_DEP_2) | instskip(SKIP_2) | instid1(VALU_DEP_4)
	v_dual_add_f32 v21, v22, v21 :: v_dual_add_f32 v22, v23, v26
	v_and_b32_e32 v23, 0xffff0000, v24
	v_and_b32_e32 v24, 0xffff0000, v27
	v_dual_add_f32 v27, v28, v30 :: v_dual_and_b32 v26, 0xffff0000, v13
	v_lshlrev_b32_e32 v13, 16, v13
	s_delay_alu instid0(VALU_DEP_3) | instskip(NEXT) | instid1(VALU_DEP_3)
	v_dual_add_f32 v21, v22, v21 :: v_dual_add_f32 v22, v23, v24
	v_dual_mul_f32 v23, v33, v26 :: v_dual_add_f32 v24, v27, v25
	s_delay_alu instid0(VALU_DEP_3) | instskip(SKIP_1) | instid1(VALU_DEP_4)
	v_mul_f32_e32 v13, v41, v13
	v_and_b32_e32 v25, 0xffff0000, v14
	v_add_f32_e32 v21, v22, v21
	s_delay_alu instid0(VALU_DEP_4)
	v_bfe_u32 v22, v23, 16, 1
	v_add_f32_e32 v72, v72, v24
	v_bfe_u32 v24, v13, 16, 1
	v_mul_f32_e32 v25, v34, v25
	v_add_f32_e32 v73, v73, v21
	v_add3_u32 v21, v22, v23, 0x7fff
	v_or_b32_e32 v22, 0x400000, v23
	v_lshlrev_b32_e32 v14, 16, v14
	v_cmp_u_f32_e32 vcc_lo, v23, v23
	v_add3_u32 v24, v24, v13, 0x7fff
	v_or_b32_e32 v26, 0x400000, v13
	s_delay_alu instid0(VALU_DEP_4)
	v_dual_mul_f32 v14, v43, v14 :: v_dual_and_b32 v23, 0xffff0000, v15
	s_wait_alu 0xfffd
	v_cndmask_b32_e32 v21, v21, v22, vcc_lo
	v_bfe_u32 v22, v25, 16, 1
	v_cmp_u_f32_e32 vcc_lo, v13, v13
	v_lshlrev_b32_e32 v15, 16, v15
	v_mul_f32_e32 v23, v35, v23
	v_and_b32_e32 v27, 0xffff0000, v16
	v_add3_u32 v22, v22, v25, 0x7fff
	s_wait_alu 0xfffd
	v_cndmask_b32_e32 v13, v24, v26, vcc_lo
	v_or_b32_e32 v24, 0x400000, v25
	v_bfe_u32 v26, v14, 16, 1
	v_cmp_u_f32_e32 vcc_lo, v25, v25
	v_mul_f32_e32 v15, v44, v15
	v_or_b32_e32 v25, 0x400000, v14
	v_lshlrev_b32_e32 v16, 16, v16
	s_wait_alu 0xfffd
	v_cndmask_b32_e32 v22, v22, v24, vcc_lo
	v_add3_u32 v24, v26, v14, 0x7fff
	v_bfe_u32 v26, v23, 16, 1
	v_cmp_u_f32_e32 vcc_lo, v14, v14
	v_bfe_u32 v28, v15, 16, 1
	v_mul_f32_e32 v16, v42, v16
	v_and_b32_e32 v22, 0xffff0000, v22
	s_wait_alu 0xfffd
	v_cndmask_b32_e32 v14, v24, v25, vcc_lo
	v_add3_u32 v24, v26, v23, 0x7fff
	v_mul_f32_e32 v25, v36, v27
	v_or_b32_e32 v26, 0x400000, v23
	v_cmp_u_f32_e32 vcc_lo, v23, v23
	v_add3_u32 v27, v28, v15, 0x7fff
	v_or_b32_e32 v28, 0x400000, v15
	v_bfe_u32 v29, v25, 16, 1
	v_and_b32_e32 v14, 0xffff0000, v14
	s_wait_alu 0xfffd
	v_cndmask_b32_e32 v23, v24, v26, vcc_lo
	v_cmp_u_f32_e32 vcc_lo, v15, v15
	v_or_b32_e32 v26, 0x400000, v25
	v_add3_u32 v24, v29, v25, 0x7fff
	v_add_f32_e32 v14, v14, v22
	s_wait_alu 0xfffd
	v_dual_cndmask_b32 v15, v27, v28 :: v_dual_and_b32 v22, 0xffff0000, v9
	v_bfe_u32 v27, v16, 16, 1
	v_cmp_u_f32_e32 vcc_lo, v25, v25
	v_lshlrev_b32_e32 v9, 16, v9
	s_delay_alu instid0(VALU_DEP_4) | instskip(NEXT) | instid1(VALU_DEP_4)
	v_and_b32_e32 v15, 0xffff0000, v15
	v_add3_u32 v25, v27, v16, 0x7fff
	s_wait_alu 0xfffd
	v_cndmask_b32_e32 v24, v24, v26, vcc_lo
	v_or_b32_e32 v26, 0x400000, v16
	v_cmp_u_f32_e32 vcc_lo, v16, v16
	s_wait_alu 0xfffd
	s_delay_alu instid0(VALU_DEP_2) | instskip(SKIP_2) | instid1(VALU_DEP_3)
	v_dual_cndmask_b32 v16, v25, v26 :: v_dual_and_b32 v25, 0xffff0000, v12
	v_lshlrev_b32_e32 v12, 16, v12
	v_and_b32_e32 v21, 0xffff0000, v21
	v_and_b32_e32 v16, 0xffff0000, v16
	s_delay_alu instid0(VALU_DEP_3) | instskip(NEXT) | instid1(VALU_DEP_1)
	v_dual_mul_f32 v12, v42, v12 :: v_dual_and_b32 v13, 0xffff0000, v13
	v_add_f32_e32 v13, v13, v21
	v_and_b32_e32 v21, 0xffff0000, v23
	s_delay_alu instid0(VALU_DEP_2) | instskip(NEXT) | instid1(VALU_DEP_2)
	v_dual_add_f32 v13, v14, v13 :: v_dual_mul_f32 v14, v33, v22
	v_add_f32_e32 v15, v15, v21
	v_dual_mul_f32 v21, v41, v9 :: v_dual_and_b32 v22, 0xffff0000, v24
	v_and_b32_e32 v24, 0xffff0000, v10
	s_delay_alu instid0(VALU_DEP_4) | instskip(NEXT) | instid1(VALU_DEP_4)
	v_bfe_u32 v23, v14, 16, 1
	v_add_f32_e32 v9, v15, v13
	s_delay_alu instid0(VALU_DEP_4)
	v_bfe_u32 v15, v21, 16, 1
	v_add_f32_e32 v13, v16, v22
	v_or_b32_e32 v22, 0x400000, v14
	v_add3_u32 v16, v23, v14, 0x7fff
	v_dual_mul_f32 v23, v34, v24 :: v_dual_lshlrev_b32 v10, 16, v10
	v_cmp_u_f32_e32 vcc_lo, v14, v14
	v_add3_u32 v15, v15, v21, 0x7fff
	v_or_b32_e32 v24, 0x400000, v21
	s_delay_alu instid0(VALU_DEP_4)
	v_mul_f32_e32 v10, v43, v10
	s_wait_alu 0xfffd
	v_cndmask_b32_e32 v14, v16, v22, vcc_lo
	v_bfe_u32 v16, v23, 16, 1
	v_cmp_u_f32_e32 vcc_lo, v21, v21
	v_or_b32_e32 v22, 0x400000, v23
	s_delay_alu instid0(VALU_DEP_4) | instskip(NEXT) | instid1(VALU_DEP_4)
	v_and_b32_e32 v14, 0xffff0000, v14
	v_add3_u32 v16, v16, v23, 0x7fff
	s_wait_alu 0xfffd
	v_cndmask_b32_e32 v15, v15, v24, vcc_lo
	v_bfe_u32 v24, v10, 16, 1
	v_cmp_u_f32_e32 vcc_lo, v23, v23
	v_or_b32_e32 v23, 0x400000, v10
	s_wait_alu 0xfffd
	v_dual_cndmask_b32 v16, v16, v22 :: v_dual_and_b32 v15, 0xffff0000, v15
	v_add3_u32 v22, v24, v10, 0x7fff
	v_cmp_u_f32_e32 vcc_lo, v10, v10
	s_delay_alu instid0(VALU_DEP_3) | instskip(NEXT) | instid1(VALU_DEP_4)
	v_add_f32_e32 v14, v15, v14
	v_and_b32_e32 v16, 0xffff0000, v16
	s_wait_alu 0xfffd
	v_dual_cndmask_b32 v10, v22, v23 :: v_dual_mul_f32 v23, v36, v25
	s_delay_alu instid0(VALU_DEP_1) | instskip(NEXT) | instid1(VALU_DEP_2)
	v_and_b32_e32 v10, 0xffff0000, v10
	v_bfe_u32 v27, v23, 16, 1
	s_delay_alu instid0(VALU_DEP_2) | instskip(SKIP_1) | instid1(VALU_DEP_2)
	v_add_f32_e32 v10, v10, v16
	v_and_b32_e32 v16, 0xffff0000, v5
	v_dual_add_f32 v10, v10, v14 :: v_dual_lshlrev_b32 v5, 16, v5
	s_delay_alu instid0(VALU_DEP_2) | instskip(SKIP_4) | instid1(VALU_DEP_3)
	v_mul_f32_e32 v14, v33, v16
	v_and_b32_e32 v16, 0xffff0000, v6
	v_lshlrev_b32_e32 v6, 16, v6
	v_and_b32_e32 v21, 0xffff0000, v11
	v_lshlrev_b32_e32 v11, 16, v11
	v_dual_mul_f32 v5, v41, v5 :: v_dual_mul_f32 v6, v43, v6
	s_delay_alu instid0(VALU_DEP_3) | instskip(NEXT) | instid1(VALU_DEP_3)
	v_mul_f32_e32 v21, v35, v21
	v_mul_f32_e32 v11, v44, v11
	s_delay_alu instid0(VALU_DEP_2) | instskip(NEXT) | instid1(VALU_DEP_2)
	v_bfe_u32 v24, v21, 16, 1
	v_bfe_u32 v26, v11, 16, 1
	v_cmp_u_f32_e32 vcc_lo, v21, v21
	s_delay_alu instid0(VALU_DEP_3) | instskip(SKIP_1) | instid1(VALU_DEP_4)
	v_add3_u32 v22, v24, v21, 0x7fff
	v_or_b32_e32 v24, 0x400000, v21
	v_add3_u32 v25, v26, v11, 0x7fff
	v_or_b32_e32 v26, 0x400000, v11
	s_wait_alu 0xfffd
	s_delay_alu instid0(VALU_DEP_3) | instskip(SKIP_3) | instid1(VALU_DEP_4)
	v_cndmask_b32_e32 v21, v22, v24, vcc_lo
	v_cmp_u_f32_e32 vcc_lo, v11, v11
	v_add3_u32 v22, v27, v23, 0x7fff
	v_or_b32_e32 v24, 0x400000, v23
	v_and_b32_e32 v15, 0xffff0000, v21
	s_wait_alu 0xfffd
	v_cndmask_b32_e32 v11, v25, v26, vcc_lo
	v_bfe_u32 v25, v12, 16, 1
	v_cmp_u_f32_e32 vcc_lo, v23, v23
	v_bfe_u32 v21, v14, 16, 1
	s_delay_alu instid0(VALU_DEP_4) | instskip(NEXT) | instid1(VALU_DEP_4)
	v_and_b32_e32 v11, 0xffff0000, v11
	v_add3_u32 v23, v25, v12, 0x7fff
	s_wait_alu 0xfffd
	v_cndmask_b32_e32 v22, v22, v24, vcc_lo
	v_or_b32_e32 v24, 0x400000, v12
	v_cmp_u_f32_e32 vcc_lo, v12, v12
	v_add_f32_e32 v11, v11, v15
	s_delay_alu instid0(VALU_DEP_4)
	v_and_b32_e32 v15, 0xffff0000, v22
	v_or_b32_e32 v22, 0x400000, v5
	s_wait_alu 0xfffd
	v_cndmask_b32_e32 v12, v23, v24, vcc_lo
	v_add_f32_e32 v10, v11, v10
	v_bfe_u32 v11, v5, 16, 1
	v_cmp_u_f32_e32 vcc_lo, v14, v14
	s_delay_alu instid0(VALU_DEP_4) | instskip(NEXT) | instid1(VALU_DEP_3)
	v_and_b32_e32 v12, 0xffff0000, v12
	v_add3_u32 v11, v11, v5, 0x7fff
	s_delay_alu instid0(VALU_DEP_2) | instskip(SKIP_2) | instid1(VALU_DEP_3)
	v_dual_add_f32 v12, v12, v15 :: v_dual_mul_f32 v15, v34, v16
	v_add3_u32 v16, v21, v14, 0x7fff
	v_or_b32_e32 v21, 0x400000, v14
	v_bfe_u32 v23, v15, 16, 1
	s_wait_alu 0xfffd
	s_delay_alu instid0(VALU_DEP_2)
	v_cndmask_b32_e32 v14, v16, v21, vcc_lo
	v_cmp_u_f32_e32 vcc_lo, v5, v5
	v_and_b32_e32 v21, 0xffff0000, v7
	v_or_b32_e32 v16, 0x400000, v15
	v_lshlrev_b32_e32 v7, 16, v7
	v_and_b32_e32 v14, 0xffff0000, v14
	s_wait_alu 0xfffd
	v_cndmask_b32_e32 v5, v11, v22, vcc_lo
	v_add3_u32 v11, v23, v15, 0x7fff
	v_bfe_u32 v22, v6, 16, 1
	v_cmp_u_f32_e32 vcc_lo, v15, v15
	v_mul_f32_e32 v15, v35, v21
	v_mul_f32_e32 v7, v44, v7
	v_or_b32_e32 v21, 0x400000, v6
	v_and_b32_e32 v5, 0xffff0000, v5
	s_wait_alu 0xfffd
	v_cndmask_b32_e32 v11, v11, v16, vcc_lo
	v_add3_u32 v16, v22, v6, 0x7fff
	v_and_b32_e32 v22, 0xffff0000, v8
	v_bfe_u32 v23, v15, 16, 1
	v_cmp_u_f32_e32 vcc_lo, v6, v6
	v_bfe_u32 v24, v7, 16, 1
	v_lshlrev_b32_e32 v8, 16, v8
	v_and_b32_e32 v11, 0xffff0000, v11
	s_wait_alu 0xfffd
	v_dual_add_f32 v5, v5, v14 :: v_dual_cndmask_b32 v6, v16, v21
	v_mul_f32_e32 v16, v36, v22
	v_add3_u32 v21, v23, v15, 0x7fff
	v_or_b32_e32 v22, 0x400000, v15
	v_cmp_u_f32_e32 vcc_lo, v15, v15
	v_add3_u32 v23, v24, v7, 0x7fff
	v_or_b32_e32 v24, 0x400000, v7
	v_bfe_u32 v25, v16, 16, 1
	v_and_b32_e32 v6, 0xffff0000, v6
	s_wait_alu 0xfffd
	v_cndmask_b32_e32 v15, v21, v22, vcc_lo
	v_cmp_u_f32_e32 vcc_lo, v7, v7
	v_or_b32_e32 v22, 0x400000, v16
	v_add3_u32 v21, v25, v16, 0x7fff
	v_mul_f32_e32 v8, v42, v8
	s_wait_alu 0xfffd
	v_dual_add_f32 v6, v6, v11 :: v_dual_cndmask_b32 v7, v23, v24
	v_cmp_u_f32_e32 vcc_lo, v16, v16
	v_and_b32_e32 v11, 0xffff0000, v1
	s_delay_alu instid0(VALU_DEP_3) | instskip(SKIP_4) | instid1(VALU_DEP_3)
	v_dual_add_f32 v5, v6, v5 :: v_dual_and_b32 v14, 0xffff0000, v15
	s_wait_alu 0xfffd
	v_dual_cndmask_b32 v16, v21, v22 :: v_dual_and_b32 v7, 0xffff0000, v7
	v_bfe_u32 v21, v8, 16, 1
	v_dual_mul_f32 v6, v33, v11 :: v_dual_lshlrev_b32 v1, 16, v1
	v_add_f32_e32 v7, v7, v14
	v_cmp_u_f32_e32 vcc_lo, v8, v8
	s_delay_alu instid0(VALU_DEP_4)
	v_add3_u32 v15, v21, v8, 0x7fff
	v_or_b32_e32 v21, 0x400000, v8
	v_bfe_u32 v11, v6, 16, 1
	v_add_f32_e32 v5, v7, v5
	v_and_b32_e32 v7, 0xffff0000, v2
	v_mul_f32_e32 v1, v41, v1
	s_wait_alu 0xfffd
	v_cndmask_b32_e32 v8, v15, v21, vcc_lo
	v_add3_u32 v11, v11, v6, 0x7fff
	v_or_b32_e32 v14, 0x400000, v6
	v_mul_f32_e32 v7, v34, v7
	v_and_b32_e32 v15, 0xffff0000, v16
	v_bfe_u32 v16, v1, 16, 1
	v_cmp_u_f32_e32 vcc_lo, v6, v6
	v_lshlrev_b32_e32 v2, 16, v2
	v_or_b32_e32 v21, 0x400000, v1
	v_or_b32_e32 v22, 0x400000, v7
	v_and_b32_e32 v8, 0xffff0000, v8
	s_wait_alu 0xfffd
	v_cndmask_b32_e32 v6, v11, v14, vcc_lo
	v_bfe_u32 v11, v7, 16, 1
	v_add3_u32 v14, v16, v1, 0x7fff
	v_and_b32_e32 v16, 0xffff0000, v3
	v_mul_f32_e32 v2, v43, v2
	v_cmp_u_f32_e32 vcc_lo, v1, v1
	v_add3_u32 v11, v11, v7, 0x7fff
	s_delay_alu instid0(VALU_DEP_4)
	v_dual_mul_f32 v16, v35, v16 :: v_dual_lshlrev_b32 v3, 16, v3
	s_wait_alu 0xfffd
	v_dual_cndmask_b32 v1, v14, v21 :: v_dual_and_b32 v6, 0xffff0000, v6
	v_bfe_u32 v14, v2, 16, 1
	v_cmp_u_f32_e32 vcc_lo, v7, v7
	v_and_b32_e32 v21, 0xffff0000, v4
	v_mul_f32_e32 v3, v44, v3
	v_or_b32_e32 v23, 0x400000, v16
	v_add3_u32 v14, v14, v2, 0x7fff
	s_wait_alu 0xfffd
	v_cndmask_b32_e32 v7, v11, v22, vcc_lo
	v_bfe_u32 v11, v16, 16, 1
	v_or_b32_e32 v22, 0x400000, v2
	v_cmp_u_f32_e32 vcc_lo, v2, v2
	v_dual_mul_f32 v21, v36, v21 :: v_dual_lshlrev_b32 v4, 16, v4
	s_delay_alu instid0(VALU_DEP_4)
	v_add3_u32 v11, v11, v16, 0x7fff
	s_wait_alu 0xfffd
	v_dual_cndmask_b32 v2, v14, v22 :: v_dual_and_b32 v1, 0xffff0000, v1
	v_bfe_u32 v14, v3, 16, 1
	v_cmp_u_f32_e32 vcc_lo, v16, v16
	v_bfe_u32 v22, v21, 16, 1
	v_or_b32_e32 v16, 0x400000, v3
	v_mul_f32_e32 v4, v42, v4
	v_add3_u32 v14, v14, v3, 0x7fff
	s_wait_alu 0xfffd
	v_cndmask_b32_e32 v11, v11, v23, vcc_lo
	v_cmp_u_f32_e32 vcc_lo, v3, v3
	v_add3_u32 v22, v22, v21, 0x7fff
	v_or_b32_e32 v23, 0x400000, v21
	v_and_b32_e32 v2, 0xffff0000, v2
	v_and_b32_e32 v7, 0xffff0000, v7
	s_wait_alu 0xfffd
	v_cndmask_b32_e32 v3, v14, v16, vcc_lo
	v_cmp_u_f32_e32 vcc_lo, v21, v21
	v_bfe_u32 v16, v4, 16, 1
	v_dual_add_f32 v1, v1, v6 :: v_dual_add_f32 v2, v2, v7
	s_delay_alu instid0(VALU_DEP_4)
	v_and_b32_e32 v3, 0xffff0000, v3
	s_wait_alu 0xfffd
	v_cndmask_b32_e32 v14, v22, v23, vcc_lo
	s_wait_loadcnt 0x0
	v_lshlrev_b32_e32 v22, 16, v17
	v_and_b32_e32 v6, 0xffff0000, v11
	v_and_b32_e32 v11, 0xffff0000, v17
	v_add3_u32 v16, v16, v4, 0x7fff
	v_or_b32_e32 v21, 0x400000, v4
	v_mul_f32_e32 v7, v41, v22
	v_cmp_u_f32_e32 vcc_lo, v4, v4
	v_dual_add_f32 v1, v2, v1 :: v_dual_and_b32 v14, 0xffff0000, v14
	v_add_f32_e32 v3, v3, v6
	s_delay_alu instid0(VALU_DEP_4)
	v_bfe_u32 v2, v7, 16, 1
	v_dual_mul_f32 v6, v33, v11 :: v_dual_lshlrev_b32 v11, 16, v18
	s_wait_alu 0xfffd
	v_cndmask_b32_e32 v4, v16, v21, vcc_lo
	v_or_b32_e32 v16, 0x400000, v7
	v_add3_u32 v2, v2, v7, 0x7fff
	v_bfe_u32 v17, v6, 16, 1
	v_dual_mul_f32 v11, v43, v11 :: v_dual_and_b32 v18, 0xffff0000, v18
	v_cmp_u_f32_e32 vcc_lo, v7, v7
	v_lshlrev_b32_e32 v21, 16, v19
	s_delay_alu instid0(VALU_DEP_4) | instskip(NEXT) | instid1(VALU_DEP_4)
	v_add3_u32 v7, v17, v6, 0x7fff
	v_bfe_u32 v17, v11, 16, 1
	v_mul_f32_e32 v18, v34, v18
	s_wait_alu 0xfffd
	v_cndmask_b32_e32 v2, v2, v16, vcc_lo
	v_or_b32_e32 v16, 0x400000, v6
	v_cmp_u_f32_e32 vcc_lo, v6, v6
	v_mul_f32_e32 v21, v44, v21
	v_and_b32_e32 v19, 0xffff0000, v19
	v_lshlrev_b32_e32 v22, 16, v20
	v_and_b32_e32 v20, 0xffff0000, v20
	s_wait_alu 0xfffd
	v_cndmask_b32_e32 v6, v7, v16, vcc_lo
	v_add3_u32 v7, v17, v11, 0x7fff
	v_or_b32_e32 v16, 0x400000, v11
	v_bfe_u32 v17, v18, 16, 1
	v_cmp_u_f32_e32 vcc_lo, v11, v11
	v_dual_mul_f32 v19, v35, v19 :: v_dual_mul_f32 v20, v36, v20
	v_and_b32_e32 v6, 0xffff0000, v6
	s_delay_alu instid0(VALU_DEP_4)
	v_add3_u32 v11, v17, v18, 0x7fff
	s_wait_alu 0xfffd
	v_cndmask_b32_e32 v7, v7, v16, vcc_lo
	v_or_b32_e32 v16, 0x400000, v18
	v_bfe_u32 v17, v21, 16, 1
	v_cmp_u_f32_e32 vcc_lo, v18, v18
	v_mul_f32_e32 v18, v42, v22
	v_or_b32_e32 v22, 0x400000, v21
	v_or_b32_e32 v23, 0x400000, v19
	v_add3_u32 v17, v17, v21, 0x7fff
	s_wait_alu 0xfffd
	v_cndmask_b32_e32 v11, v11, v16, vcc_lo
	v_bfe_u32 v16, v19, 16, 1
	v_cmp_u_f32_e32 vcc_lo, v21, v21
	v_bfe_u32 v25, v20, 16, 1
	v_bfe_u32 v24, v18, 16, 1
	v_and_b32_e32 v2, 0xffff0000, v2
	v_add3_u32 v16, v16, v19, 0x7fff
	s_wait_alu 0xfffd
	v_cndmask_b32_e32 v17, v17, v22, vcc_lo
	v_cmp_u_f32_e32 vcc_lo, v19, v19
	v_add3_u32 v21, v25, v20, 0x7fff
	v_or_b32_e32 v22, 0x400000, v20
	v_add3_u32 v19, v24, v18, 0x7fff
	v_and_b32_e32 v11, 0xffff0000, v11
	s_wait_alu 0xfffd
	v_cndmask_b32_e32 v16, v16, v23, vcc_lo
	v_cmp_u_f32_e32 vcc_lo, v20, v20
	v_and_b32_e32 v7, 0xffff0000, v7
	v_or_b32_e32 v23, 0x400000, v18
	v_add_f32_e32 v2, v2, v6
	v_and_b32_e32 v4, 0xffff0000, v4
	s_wait_alu 0xfffd
	v_cndmask_b32_e32 v20, v21, v22, vcc_lo
	v_cmp_u_f32_e32 vcc_lo, v18, v18
	v_dual_add_f32 v6, v7, v11 :: v_dual_and_b32 v7, 0xffff0000, v16
	v_dual_add_f32 v8, v8, v15 :: v_dual_and_b32 v11, 0xffff0000, v17
	s_wait_alu 0xfffd
	v_cndmask_b32_e32 v16, v19, v23, vcc_lo
	s_delay_alu instid0(VALU_DEP_3) | instskip(NEXT) | instid1(VALU_DEP_3)
	v_add_f32_e32 v2, v6, v2
	v_dual_add_f32 v6, v11, v7 :: v_dual_and_b32 v7, 0xffff0000, v20
	s_delay_alu instid0(VALU_DEP_3) | instskip(NEXT) | instid1(VALU_DEP_2)
	v_and_b32_e32 v11, 0xffff0000, v16
	v_dual_add_f32 v5, v8, v5 :: v_dual_add_f32 v2, v6, v2
	v_add_f32_e32 v6, v13, v9
	v_add_f32_e32 v1, v3, v1
	s_delay_alu instid0(VALU_DEP_4) | instskip(SKIP_1) | instid1(VALU_DEP_4)
	v_dual_add_f32 v3, v4, v14 :: v_dual_add_f32 v4, v11, v7
	v_add_f32_e32 v7, v12, v10
	v_add_f32_e32 v74, v74, v6
	;; [unrolled: 1-line block ×3, first 2 shown]
	s_delay_alu instid0(VALU_DEP_4) | instskip(NEXT) | instid1(VALU_DEP_4)
	v_dual_add_f32 v1, v3, v1 :: v_dual_add_f32 v2, v4, v2
	v_add_f32_e32 v75, v75, v7
	s_delay_alu instid0(VALU_DEP_2)
	v_dual_add_f32 v77, v77, v1 :: v_dual_add_f32 v66, v66, v2
.LBB160_41:                             ;   in Loop: Header=BB160_42 Depth=1
	s_wait_alu 0xfffe
	s_or_b32 exec_lo, exec_lo, s10
	v_add_nc_u32_e32 v63, 4, v63
	v_add_co_u32 v57, s0, v57, 16
	s_wait_alu 0xf1ff
	v_add_co_ci_u32_e64 v58, null, 0, v58, s0
	s_delay_alu instid0(VALU_DEP_3)
	v_cmp_le_i32_e32 vcc_lo, s19, v63
	v_add_nc_u32_e32 v62, 64, v62
	v_add_nc_u32_e32 v81, 0x100, v81
	s_or_b32 s6, vcc_lo, s6
	s_wait_alu 0xfffe
	s_and_not1_b32 exec_lo, exec_lo, s6
	s_cbranch_execz .LBB160_67
.LBB160_42:                             ; =>This Inner Loop Header: Depth=1
	v_sub_nc_u32_e32 v1, 0, v62
	s_delay_alu instid0(VALU_DEP_1) | instskip(NEXT) | instid1(VALU_DEP_1)
	v_max_i32_e32 v1, v62, v1
	v_mul_hi_u32 v2, v1, s18
	s_delay_alu instid0(VALU_DEP_1) | instskip(NEXT) | instid1(VALU_DEP_1)
	v_mul_lo_u32 v3, v2, s12
	v_sub_nc_u32_e32 v1, v1, v3
	v_add_nc_u32_e32 v3, 1, v2
	s_delay_alu instid0(VALU_DEP_2) | instskip(SKIP_2) | instid1(VALU_DEP_2)
	v_subrev_nc_u32_e32 v4, s12, v1
	v_cmp_le_u32_e32 vcc_lo, s12, v1
	s_wait_alu 0xfffd
	v_dual_cndmask_b32 v2, v2, v3 :: v_dual_cndmask_b32 v1, v1, v4
	v_ashrrev_i32_e32 v3, 31, v62
	s_delay_alu instid0(VALU_DEP_2) | instskip(NEXT) | instid1(VALU_DEP_3)
	v_add_nc_u32_e32 v4, 1, v2
	v_cmp_le_u32_e32 vcc_lo, s12, v1
	s_delay_alu instid0(VALU_DEP_3) | instskip(SKIP_1) | instid1(VALU_DEP_3)
	v_xor_b32_e32 v3, s11, v3
	s_wait_alu 0xfffd
	v_cndmask_b32_e32 v1, v2, v4, vcc_lo
	s_delay_alu instid0(VALU_DEP_1) | instskip(NEXT) | instid1(VALU_DEP_1)
	v_xor_b32_e32 v1, v1, v3
	v_sub_nc_u32_e32 v1, v1, v3
	s_delay_alu instid0(VALU_DEP_1) | instskip(SKIP_1) | instid1(VALU_DEP_2)
	v_add_nc_u32_e32 v2, s17, v1
	v_cmp_lt_i32_e64 s0, s3, v1
	v_sub_nc_u32_e32 v3, 0, v2
	s_delay_alu instid0(VALU_DEP_1) | instskip(SKIP_1) | instid1(VALU_DEP_1)
	v_max_i32_e32 v3, v2, v3
	s_wait_alu 0xfffe
	v_mul_hi_u32 v4, v3, s9
	s_delay_alu instid0(VALU_DEP_1) | instskip(NEXT) | instid1(VALU_DEP_1)
	v_mul_lo_u32 v4, v4, s2
	v_sub_nc_u32_e32 v3, v3, v4
	s_delay_alu instid0(VALU_DEP_1) | instskip(SKIP_2) | instid1(VALU_DEP_2)
	v_subrev_nc_u32_e32 v4, s2, v3
	v_cmp_le_u32_e32 vcc_lo, s2, v3
	s_wait_alu 0xfffd
	v_cndmask_b32_e32 v3, v3, v4, vcc_lo
	v_ashrrev_i32_e32 v2, 31, v2
	s_delay_alu instid0(VALU_DEP_2) | instskip(SKIP_2) | instid1(VALU_DEP_2)
	v_subrev_nc_u32_e32 v4, s2, v3
	v_cmp_le_u32_e32 vcc_lo, s2, v3
	s_wait_alu 0xfffd
	v_cndmask_b32_e32 v3, v3, v4, vcc_lo
	s_delay_alu instid0(VALU_DEP_1) | instskip(NEXT) | instid1(VALU_DEP_1)
	v_xor_b32_e32 v3, v3, v2
	v_sub_nc_u32_e32 v2, v3, v2
	s_delay_alu instid0(VALU_DEP_1)
	v_cmp_eq_u32_e32 vcc_lo, 0, v2
	s_or_b32 s0, vcc_lo, s0
	s_wait_alu 0xfffe
	s_and_saveexec_b32 s10, s0
	s_cbranch_execz .LBB160_41
; %bb.43:                               ;   in Loop: Header=BB160_42 Depth=1
	global_load_b32 v1, v[57:58], off
	v_add_nc_u32_e32 v89, v78, v62
	s_delay_alu instid0(VALU_DEP_1)
	v_add_nc_u32_e32 v87, 1, v89
	v_or_b32_e32 v86, 3, v89
	v_or_b32_e32 v88, 2, v89
	;; [unrolled: 1-line block ×6, first 2 shown]
	s_wait_loadcnt 0x0
	v_mad_co_i64_i32 v[1:2], null, v1, s4, 0
	s_delay_alu instid0(VALU_DEP_1) | instskip(NEXT) | instid1(VALU_DEP_1)
	v_lshlrev_b64_e32 v[1:2], 1, v[1:2]
	v_add_co_u32 v17, vcc_lo, v79, v1
	s_wait_alu 0xfffd
	s_delay_alu instid0(VALU_DEP_2)
	v_add_co_ci_u32_e64 v18, null, v80, v2, vcc_lo
	v_cmp_eq_u32_e32 vcc_lo, s5, v63
	global_load_b128 v[1:4], v[17:18], off
	ds_load_2addr_b64 v[41:44], v81 offset1:1
	ds_load_2addr_b64 v[33:36], v81 offset0:2 offset1:3
	s_and_saveexec_b32 s13, vcc_lo
	s_cbranch_execnz .LBB160_55
; %bb.44:                               ;   in Loop: Header=BB160_42 Depth=1
	s_wait_alu 0xfffe
	s_or_b32 exec_lo, exec_lo, s13
	global_load_b128 v[5:8], v[17:18], off offset:512
	s_and_saveexec_b32 s13, vcc_lo
	s_cbranch_execnz .LBB160_56
.LBB160_45:                             ;   in Loop: Header=BB160_42 Depth=1
	s_wait_alu 0xfffe
	s_or_b32 exec_lo, exec_lo, s13
	global_load_b128 v[9:12], v[17:18], off offset:1024
	s_and_saveexec_b32 s13, vcc_lo
	s_cbranch_execnz .LBB160_57
.LBB160_46:                             ;   in Loop: Header=BB160_42 Depth=1
	s_wait_alu 0xfffe
	s_or_b32 exec_lo, exec_lo, s13
	global_load_b128 v[13:16], v[17:18], off offset:1536
	s_and_saveexec_b32 s13, vcc_lo
	s_cbranch_execnz .LBB160_58
.LBB160_47:                             ;   in Loop: Header=BB160_42 Depth=1
	s_wait_alu 0xfffe
	s_or_b32 exec_lo, exec_lo, s13
	global_load_b128 v[21:24], v[17:18], off offset:2048
	s_and_saveexec_b32 s13, vcc_lo
	s_cbranch_execnz .LBB160_59
.LBB160_48:                             ;   in Loop: Header=BB160_42 Depth=1
	s_wait_alu 0xfffe
	s_or_b32 exec_lo, exec_lo, s13
	global_load_b128 v[25:28], v[17:18], off offset:2560
	s_and_saveexec_b32 s13, vcc_lo
	s_cbranch_execnz .LBB160_60
.LBB160_49:                             ;   in Loop: Header=BB160_42 Depth=1
	s_wait_alu 0xfffe
	s_or_b32 exec_lo, exec_lo, s13
	global_load_b128 v[29:32], v[17:18], off offset:3072
	s_and_saveexec_b32 s13, vcc_lo
	s_cbranch_execnz .LBB160_61
.LBB160_50:                             ;   in Loop: Header=BB160_42 Depth=1
	s_wait_alu 0xfffe
	s_or_b32 exec_lo, exec_lo, s13
	global_load_b128 v[37:40], v[17:18], off offset:3584
	s_and_saveexec_b32 s13, vcc_lo
	s_cbranch_execnz .LBB160_62
.LBB160_51:                             ;   in Loop: Header=BB160_42 Depth=1
	s_wait_alu 0xfffe
	s_or_b32 exec_lo, exec_lo, s13
	global_load_b128 v[45:48], v[17:18], off offset:4096
	s_and_saveexec_b32 s13, vcc_lo
	s_cbranch_execnz .LBB160_63
.LBB160_52:                             ;   in Loop: Header=BB160_42 Depth=1
	s_wait_alu 0xfffe
	s_or_b32 exec_lo, exec_lo, s13
	global_load_b128 v[49:52], v[17:18], off offset:4608
	s_and_saveexec_b32 s13, vcc_lo
	s_cbranch_execnz .LBB160_64
.LBB160_53:                             ;   in Loop: Header=BB160_42 Depth=1
	s_wait_alu 0xfffe
	s_or_b32 exec_lo, exec_lo, s13
	global_load_b128 v[53:56], v[17:18], off offset:5120
	s_and_saveexec_b32 s13, vcc_lo
	s_cbranch_execnz .LBB160_65
.LBB160_54:                             ;   in Loop: Header=BB160_42 Depth=1
	s_wait_alu 0xfffe
	s_or_b32 exec_lo, exec_lo, s13
	global_load_b128 v[17:20], v[17:18], off offset:5632
	s_and_saveexec_b32 s0, vcc_lo
	s_cbranch_execz .LBB160_40
	s_branch .LBB160_66
.LBB160_55:                             ;   in Loop: Header=BB160_42 Depth=1
	v_cmp_gt_i32_e64 s0, s31, v89
	s_wait_loadcnt 0x0
	v_lshrrev_b32_e32 v5, 16, v1
	v_lshrrev_b32_e32 v6, 16, v2
	;; [unrolled: 1-line block ×4, first 2 shown]
	s_wait_alu 0xf1ff
	v_cndmask_b32_e64 v1, 0, v1, s0
	v_cmp_gt_i32_e64 s0, s7, v87
	s_wait_alu 0xf1ff
	s_delay_alu instid0(VALU_DEP_1) | instskip(SKIP_1) | instid1(VALU_DEP_2)
	v_cndmask_b32_e64 v5, 0, v5, s0
	v_cmp_gt_i32_e64 s0, s31, v88
	v_perm_b32 v1, v5, v1, 0x5040100
	s_wait_alu 0xf1ff
	s_delay_alu instid0(VALU_DEP_2) | instskip(SKIP_2) | instid1(VALU_DEP_1)
	v_cndmask_b32_e64 v2, 0, v2, s0
	v_cmp_gt_i32_e64 s0, s7, v86
	s_wait_alu 0xf1ff
	v_cndmask_b32_e64 v6, 0, v6, s0
	v_cmp_gt_i32_e64 s0, s31, v85
	s_delay_alu instid0(VALU_DEP_2) | instskip(SKIP_1) | instid1(VALU_DEP_2)
	v_perm_b32 v2, v6, v2, 0x5040100
	s_wait_alu 0xf1ff
	v_cndmask_b32_e64 v3, 0, v3, s0
	v_cmp_gt_i32_e64 s0, s7, v83
	s_wait_alu 0xf1ff
	s_delay_alu instid0(VALU_DEP_1) | instskip(SKIP_1) | instid1(VALU_DEP_2)
	v_cndmask_b32_e64 v7, 0, v7, s0
	v_cmp_gt_i32_e64 s0, s31, v84
	v_perm_b32 v3, v7, v3, 0x5040100
	s_wait_alu 0xf1ff
	s_delay_alu instid0(VALU_DEP_2) | instskip(SKIP_2) | instid1(VALU_DEP_1)
	v_cndmask_b32_e64 v4, 0, v4, s0
	v_cmp_gt_i32_e64 s0, s7, v82
	s_wait_alu 0xf1ff
	v_cndmask_b32_e64 v8, 0, v8, s0
	s_delay_alu instid0(VALU_DEP_1)
	v_perm_b32 v4, v8, v4, 0x5040100
	s_wait_alu 0xfffe
	s_or_b32 exec_lo, exec_lo, s13
	global_load_b128 v[5:8], v[17:18], off offset:512
	s_and_saveexec_b32 s13, vcc_lo
	s_cbranch_execz .LBB160_45
.LBB160_56:                             ;   in Loop: Header=BB160_42 Depth=1
	v_cmp_gt_i32_e64 s0, s31, v89
	s_wait_loadcnt 0x0
	v_lshrrev_b32_e32 v9, 16, v5
	v_lshrrev_b32_e32 v10, 16, v6
	;; [unrolled: 1-line block ×4, first 2 shown]
	s_wait_alu 0xf1ff
	v_cndmask_b32_e64 v5, 0, v5, s0
	v_cmp_gt_i32_e64 s0, s7, v87
	s_wait_alu 0xf1ff
	s_delay_alu instid0(VALU_DEP_1) | instskip(SKIP_1) | instid1(VALU_DEP_2)
	v_cndmask_b32_e64 v9, 0, v9, s0
	v_cmp_gt_i32_e64 s0, s31, v88
	v_perm_b32 v5, v9, v5, 0x5040100
	s_wait_alu 0xf1ff
	s_delay_alu instid0(VALU_DEP_2) | instskip(SKIP_2) | instid1(VALU_DEP_1)
	v_cndmask_b32_e64 v6, 0, v6, s0
	v_cmp_gt_i32_e64 s0, s7, v86
	s_wait_alu 0xf1ff
	v_cndmask_b32_e64 v10, 0, v10, s0
	v_cmp_gt_i32_e64 s0, s31, v85
	s_delay_alu instid0(VALU_DEP_2) | instskip(SKIP_1) | instid1(VALU_DEP_2)
	v_perm_b32 v6, v10, v6, 0x5040100
	s_wait_alu 0xf1ff
	v_cndmask_b32_e64 v7, 0, v7, s0
	v_cmp_gt_i32_e64 s0, s7, v83
	s_wait_alu 0xf1ff
	s_delay_alu instid0(VALU_DEP_1) | instskip(SKIP_1) | instid1(VALU_DEP_2)
	v_cndmask_b32_e64 v11, 0, v11, s0
	v_cmp_gt_i32_e64 s0, s31, v84
	v_perm_b32 v7, v11, v7, 0x5040100
	s_wait_alu 0xf1ff
	s_delay_alu instid0(VALU_DEP_2) | instskip(SKIP_2) | instid1(VALU_DEP_1)
	v_cndmask_b32_e64 v8, 0, v8, s0
	v_cmp_gt_i32_e64 s0, s7, v82
	s_wait_alu 0xf1ff
	v_cndmask_b32_e64 v12, 0, v12, s0
	s_delay_alu instid0(VALU_DEP_1)
	v_perm_b32 v8, v12, v8, 0x5040100
	s_wait_alu 0xfffe
	s_or_b32 exec_lo, exec_lo, s13
	global_load_b128 v[9:12], v[17:18], off offset:1024
	s_and_saveexec_b32 s13, vcc_lo
	s_cbranch_execz .LBB160_46
.LBB160_57:                             ;   in Loop: Header=BB160_42 Depth=1
	v_cmp_gt_i32_e64 s0, s31, v89
	s_wait_loadcnt 0x0
	v_lshrrev_b32_e32 v13, 16, v9
	v_lshrrev_b32_e32 v14, 16, v10
	;; [unrolled: 1-line block ×4, first 2 shown]
	s_wait_alu 0xf1ff
	v_cndmask_b32_e64 v9, 0, v9, s0
	v_cmp_gt_i32_e64 s0, s7, v87
	s_wait_alu 0xf1ff
	s_delay_alu instid0(VALU_DEP_1) | instskip(SKIP_1) | instid1(VALU_DEP_2)
	v_cndmask_b32_e64 v13, 0, v13, s0
	v_cmp_gt_i32_e64 s0, s31, v88
	v_perm_b32 v9, v13, v9, 0x5040100
	s_wait_alu 0xf1ff
	s_delay_alu instid0(VALU_DEP_2) | instskip(SKIP_2) | instid1(VALU_DEP_1)
	v_cndmask_b32_e64 v10, 0, v10, s0
	v_cmp_gt_i32_e64 s0, s7, v86
	s_wait_alu 0xf1ff
	v_cndmask_b32_e64 v14, 0, v14, s0
	v_cmp_gt_i32_e64 s0, s31, v85
	s_delay_alu instid0(VALU_DEP_2) | instskip(SKIP_1) | instid1(VALU_DEP_2)
	v_perm_b32 v10, v14, v10, 0x5040100
	s_wait_alu 0xf1ff
	v_cndmask_b32_e64 v11, 0, v11, s0
	v_cmp_gt_i32_e64 s0, s7, v83
	s_wait_alu 0xf1ff
	s_delay_alu instid0(VALU_DEP_1) | instskip(SKIP_1) | instid1(VALU_DEP_2)
	v_cndmask_b32_e64 v15, 0, v15, s0
	v_cmp_gt_i32_e64 s0, s31, v84
	v_perm_b32 v11, v15, v11, 0x5040100
	s_wait_alu 0xf1ff
	s_delay_alu instid0(VALU_DEP_2) | instskip(SKIP_2) | instid1(VALU_DEP_1)
	v_cndmask_b32_e64 v12, 0, v12, s0
	v_cmp_gt_i32_e64 s0, s7, v82
	s_wait_alu 0xf1ff
	v_cndmask_b32_e64 v16, 0, v16, s0
	s_delay_alu instid0(VALU_DEP_1)
	v_perm_b32 v12, v16, v12, 0x5040100
	s_wait_alu 0xfffe
	s_or_b32 exec_lo, exec_lo, s13
	global_load_b128 v[13:16], v[17:18], off offset:1536
	s_and_saveexec_b32 s13, vcc_lo
	s_cbranch_execz .LBB160_47
.LBB160_58:                             ;   in Loop: Header=BB160_42 Depth=1
	v_cmp_gt_i32_e64 s0, s31, v89
	s_wait_loadcnt 0x0
	v_lshrrev_b32_e32 v19, 16, v13
	v_lshrrev_b32_e32 v20, 16, v14
	;; [unrolled: 1-line block ×4, first 2 shown]
	s_wait_alu 0xf1ff
	v_cndmask_b32_e64 v13, 0, v13, s0
	v_cmp_gt_i32_e64 s0, s7, v87
	s_wait_alu 0xf1ff
	s_delay_alu instid0(VALU_DEP_1) | instskip(SKIP_1) | instid1(VALU_DEP_2)
	v_cndmask_b32_e64 v19, 0, v19, s0
	v_cmp_gt_i32_e64 s0, s31, v88
	v_perm_b32 v13, v19, v13, 0x5040100
	s_wait_alu 0xf1ff
	s_delay_alu instid0(VALU_DEP_2) | instskip(SKIP_2) | instid1(VALU_DEP_1)
	v_cndmask_b32_e64 v14, 0, v14, s0
	v_cmp_gt_i32_e64 s0, s7, v86
	s_wait_alu 0xf1ff
	v_cndmask_b32_e64 v20, 0, v20, s0
	v_cmp_gt_i32_e64 s0, s31, v85
	s_delay_alu instid0(VALU_DEP_2) | instskip(SKIP_1) | instid1(VALU_DEP_2)
	v_perm_b32 v14, v20, v14, 0x5040100
	s_wait_alu 0xf1ff
	v_cndmask_b32_e64 v15, 0, v15, s0
	v_cmp_gt_i32_e64 s0, s7, v83
	s_wait_alu 0xf1ff
	s_delay_alu instid0(VALU_DEP_1) | instskip(SKIP_1) | instid1(VALU_DEP_2)
	v_cndmask_b32_e64 v21, 0, v21, s0
	v_cmp_gt_i32_e64 s0, s31, v84
	v_perm_b32 v15, v21, v15, 0x5040100
	s_wait_alu 0xf1ff
	s_delay_alu instid0(VALU_DEP_2) | instskip(SKIP_2) | instid1(VALU_DEP_1)
	v_cndmask_b32_e64 v16, 0, v16, s0
	v_cmp_gt_i32_e64 s0, s7, v82
	s_wait_alu 0xf1ff
	v_cndmask_b32_e64 v22, 0, v22, s0
	s_delay_alu instid0(VALU_DEP_1)
	v_perm_b32 v16, v22, v16, 0x5040100
	s_wait_alu 0xfffe
	s_or_b32 exec_lo, exec_lo, s13
	global_load_b128 v[21:24], v[17:18], off offset:2048
	s_and_saveexec_b32 s13, vcc_lo
	s_cbranch_execz .LBB160_48
.LBB160_59:                             ;   in Loop: Header=BB160_42 Depth=1
	v_cmp_gt_i32_e64 s0, s31, v89
	s_wait_loadcnt 0x0
	v_lshrrev_b32_e32 v19, 16, v21
	v_lshrrev_b32_e32 v26, 16, v24
	s_wait_alu 0xf1ff
	v_cndmask_b32_e64 v20, 0, v21, s0
	v_cmp_gt_i32_e64 s0, s7, v87
	v_lshrrev_b32_e32 v21, 16, v22
	s_wait_alu 0xf1ff
	s_delay_alu instid0(VALU_DEP_2) | instskip(SKIP_2) | instid1(VALU_DEP_1)
	v_cndmask_b32_e64 v19, 0, v19, s0
	v_cmp_gt_i32_e64 s0, s31, v88
	s_wait_alu 0xf1ff
	v_cndmask_b32_e64 v22, 0, v22, s0
	v_cmp_gt_i32_e64 s0, s7, v86
	s_wait_alu 0xf1ff
	s_delay_alu instid0(VALU_DEP_1) | instskip(SKIP_2) | instid1(VALU_DEP_3)
	v_cndmask_b32_e64 v25, 0, v21, s0
	v_cmp_gt_i32_e64 s0, s31, v85
	v_lshrrev_b32_e32 v21, 16, v23
	v_perm_b32 v22, v25, v22, 0x5040100
	s_wait_alu 0xf1ff
	s_delay_alu instid0(VALU_DEP_3) | instskip(SKIP_2) | instid1(VALU_DEP_1)
	v_cndmask_b32_e64 v23, 0, v23, s0
	v_cmp_gt_i32_e64 s0, s7, v83
	s_wait_alu 0xf1ff
	v_cndmask_b32_e64 v27, 0, v21, s0
	v_cmp_gt_i32_e64 s0, s31, v84
	v_perm_b32 v21, v19, v20, 0x5040100
	s_delay_alu instid0(VALU_DEP_3) | instskip(SKIP_1) | instid1(VALU_DEP_3)
	v_perm_b32 v23, v27, v23, 0x5040100
	s_wait_alu 0xf1ff
	v_cndmask_b32_e64 v24, 0, v24, s0
	v_cmp_gt_i32_e64 s0, s7, v82
	s_wait_alu 0xf1ff
	s_delay_alu instid0(VALU_DEP_1) | instskip(NEXT) | instid1(VALU_DEP_1)
	v_cndmask_b32_e64 v26, 0, v26, s0
	v_perm_b32 v24, v26, v24, 0x5040100
	s_wait_alu 0xfffe
	s_or_b32 exec_lo, exec_lo, s13
	global_load_b128 v[25:28], v[17:18], off offset:2560
	s_and_saveexec_b32 s13, vcc_lo
	s_cbranch_execz .LBB160_49
.LBB160_60:                             ;   in Loop: Header=BB160_42 Depth=1
	v_cmp_gt_i32_e64 s0, s31, v89
	s_wait_loadcnt 0x0
	v_lshrrev_b32_e32 v19, 16, v25
	v_lshrrev_b32_e32 v30, 16, v28
	s_wait_alu 0xf1ff
	v_cndmask_b32_e64 v20, 0, v25, s0
	v_cmp_gt_i32_e64 s0, s7, v87
	v_lshrrev_b32_e32 v25, 16, v26
	s_wait_alu 0xf1ff
	s_delay_alu instid0(VALU_DEP_2) | instskip(SKIP_2) | instid1(VALU_DEP_1)
	v_cndmask_b32_e64 v19, 0, v19, s0
	v_cmp_gt_i32_e64 s0, s31, v88
	s_wait_alu 0xf1ff
	v_cndmask_b32_e64 v26, 0, v26, s0
	v_cmp_gt_i32_e64 s0, s7, v86
	s_wait_alu 0xf1ff
	s_delay_alu instid0(VALU_DEP_1) | instskip(SKIP_2) | instid1(VALU_DEP_3)
	v_cndmask_b32_e64 v29, 0, v25, s0
	v_cmp_gt_i32_e64 s0, s31, v85
	v_lshrrev_b32_e32 v25, 16, v27
	v_perm_b32 v26, v29, v26, 0x5040100
	s_wait_alu 0xf1ff
	s_delay_alu instid0(VALU_DEP_3) | instskip(SKIP_2) | instid1(VALU_DEP_1)
	v_cndmask_b32_e64 v27, 0, v27, s0
	v_cmp_gt_i32_e64 s0, s7, v83
	s_wait_alu 0xf1ff
	v_cndmask_b32_e64 v31, 0, v25, s0
	v_cmp_gt_i32_e64 s0, s31, v84
	v_perm_b32 v25, v19, v20, 0x5040100
	s_delay_alu instid0(VALU_DEP_3) | instskip(SKIP_1) | instid1(VALU_DEP_3)
	v_perm_b32 v27, v31, v27, 0x5040100
	s_wait_alu 0xf1ff
	v_cndmask_b32_e64 v28, 0, v28, s0
	v_cmp_gt_i32_e64 s0, s7, v82
	s_wait_alu 0xf1ff
	s_delay_alu instid0(VALU_DEP_1) | instskip(NEXT) | instid1(VALU_DEP_1)
	v_cndmask_b32_e64 v30, 0, v30, s0
	v_perm_b32 v28, v30, v28, 0x5040100
	s_wait_alu 0xfffe
	s_or_b32 exec_lo, exec_lo, s13
	global_load_b128 v[29:32], v[17:18], off offset:3072
	s_and_saveexec_b32 s13, vcc_lo
	s_cbranch_execz .LBB160_50
.LBB160_61:                             ;   in Loop: Header=BB160_42 Depth=1
	v_cmp_gt_i32_e64 s0, s31, v89
	s_wait_loadcnt 0x0
	v_lshrrev_b32_e32 v19, 16, v29
	v_lshrrev_b32_e32 v38, 16, v32
	s_wait_alu 0xf1ff
	v_cndmask_b32_e64 v20, 0, v29, s0
	v_cmp_gt_i32_e64 s0, s7, v87
	v_lshrrev_b32_e32 v29, 16, v30
	s_wait_alu 0xf1ff
	s_delay_alu instid0(VALU_DEP_2) | instskip(SKIP_2) | instid1(VALU_DEP_1)
	v_cndmask_b32_e64 v19, 0, v19, s0
	v_cmp_gt_i32_e64 s0, s31, v88
	s_wait_alu 0xf1ff
	v_cndmask_b32_e64 v30, 0, v30, s0
	v_cmp_gt_i32_e64 s0, s7, v86
	s_wait_alu 0xf1ff
	s_delay_alu instid0(VALU_DEP_1) | instskip(SKIP_2) | instid1(VALU_DEP_3)
	v_cndmask_b32_e64 v37, 0, v29, s0
	v_cmp_gt_i32_e64 s0, s31, v85
	v_lshrrev_b32_e32 v29, 16, v31
	v_perm_b32 v30, v37, v30, 0x5040100
	s_wait_alu 0xf1ff
	s_delay_alu instid0(VALU_DEP_3) | instskip(SKIP_2) | instid1(VALU_DEP_1)
	v_cndmask_b32_e64 v31, 0, v31, s0
	v_cmp_gt_i32_e64 s0, s7, v83
	s_wait_alu 0xf1ff
	v_cndmask_b32_e64 v39, 0, v29, s0
	v_cmp_gt_i32_e64 s0, s31, v84
	v_perm_b32 v29, v19, v20, 0x5040100
	s_delay_alu instid0(VALU_DEP_3) | instskip(SKIP_1) | instid1(VALU_DEP_3)
	v_perm_b32 v31, v39, v31, 0x5040100
	s_wait_alu 0xf1ff
	v_cndmask_b32_e64 v32, 0, v32, s0
	v_cmp_gt_i32_e64 s0, s7, v82
	s_wait_alu 0xf1ff
	s_delay_alu instid0(VALU_DEP_1) | instskip(NEXT) | instid1(VALU_DEP_1)
	v_cndmask_b32_e64 v38, 0, v38, s0
	v_perm_b32 v32, v38, v32, 0x5040100
	s_wait_alu 0xfffe
	s_or_b32 exec_lo, exec_lo, s13
	global_load_b128 v[37:40], v[17:18], off offset:3584
	s_and_saveexec_b32 s13, vcc_lo
	s_cbranch_execz .LBB160_51
.LBB160_62:                             ;   in Loop: Header=BB160_42 Depth=1
	v_cmp_gt_i32_e64 s0, s31, v89
	s_wait_loadcnt 0x0
	v_lshrrev_b32_e32 v19, 16, v37
	v_lshrrev_b32_e32 v46, 16, v40
	s_wait_alu 0xf1ff
	v_cndmask_b32_e64 v20, 0, v37, s0
	v_cmp_gt_i32_e64 s0, s7, v87
	v_lshrrev_b32_e32 v37, 16, v38
	s_wait_alu 0xf1ff
	s_delay_alu instid0(VALU_DEP_2) | instskip(SKIP_2) | instid1(VALU_DEP_1)
	v_cndmask_b32_e64 v19, 0, v19, s0
	v_cmp_gt_i32_e64 s0, s31, v88
	s_wait_alu 0xf1ff
	v_cndmask_b32_e64 v38, 0, v38, s0
	v_cmp_gt_i32_e64 s0, s7, v86
	s_wait_alu 0xf1ff
	s_delay_alu instid0(VALU_DEP_1) | instskip(SKIP_2) | instid1(VALU_DEP_3)
	v_cndmask_b32_e64 v45, 0, v37, s0
	v_cmp_gt_i32_e64 s0, s31, v85
	v_lshrrev_b32_e32 v37, 16, v39
	v_perm_b32 v38, v45, v38, 0x5040100
	s_wait_alu 0xf1ff
	s_delay_alu instid0(VALU_DEP_3) | instskip(SKIP_2) | instid1(VALU_DEP_1)
	v_cndmask_b32_e64 v39, 0, v39, s0
	v_cmp_gt_i32_e64 s0, s7, v83
	s_wait_alu 0xf1ff
	v_cndmask_b32_e64 v47, 0, v37, s0
	v_cmp_gt_i32_e64 s0, s31, v84
	v_perm_b32 v37, v19, v20, 0x5040100
	s_delay_alu instid0(VALU_DEP_3) | instskip(SKIP_1) | instid1(VALU_DEP_3)
	v_perm_b32 v39, v47, v39, 0x5040100
	s_wait_alu 0xf1ff
	v_cndmask_b32_e64 v40, 0, v40, s0
	v_cmp_gt_i32_e64 s0, s7, v82
	s_wait_alu 0xf1ff
	s_delay_alu instid0(VALU_DEP_1) | instskip(NEXT) | instid1(VALU_DEP_1)
	v_cndmask_b32_e64 v46, 0, v46, s0
	v_perm_b32 v40, v46, v40, 0x5040100
	s_wait_alu 0xfffe
	s_or_b32 exec_lo, exec_lo, s13
	global_load_b128 v[45:48], v[17:18], off offset:4096
	s_and_saveexec_b32 s13, vcc_lo
	s_cbranch_execz .LBB160_52
.LBB160_63:                             ;   in Loop: Header=BB160_42 Depth=1
	v_cmp_gt_i32_e64 s0, s31, v89
	s_wait_loadcnt 0x0
	v_lshrrev_b32_e32 v19, 16, v45
	v_lshrrev_b32_e32 v50, 16, v48
	s_wait_alu 0xf1ff
	v_cndmask_b32_e64 v20, 0, v45, s0
	v_cmp_gt_i32_e64 s0, s7, v87
	v_lshrrev_b32_e32 v45, 16, v46
	s_wait_alu 0xf1ff
	s_delay_alu instid0(VALU_DEP_2) | instskip(SKIP_2) | instid1(VALU_DEP_1)
	v_cndmask_b32_e64 v19, 0, v19, s0
	v_cmp_gt_i32_e64 s0, s31, v88
	s_wait_alu 0xf1ff
	v_cndmask_b32_e64 v46, 0, v46, s0
	v_cmp_gt_i32_e64 s0, s7, v86
	s_wait_alu 0xf1ff
	s_delay_alu instid0(VALU_DEP_1) | instskip(SKIP_2) | instid1(VALU_DEP_3)
	v_cndmask_b32_e64 v49, 0, v45, s0
	v_cmp_gt_i32_e64 s0, s31, v85
	v_lshrrev_b32_e32 v45, 16, v47
	v_perm_b32 v46, v49, v46, 0x5040100
	s_wait_alu 0xf1ff
	s_delay_alu instid0(VALU_DEP_3) | instskip(SKIP_2) | instid1(VALU_DEP_1)
	v_cndmask_b32_e64 v47, 0, v47, s0
	v_cmp_gt_i32_e64 s0, s7, v83
	s_wait_alu 0xf1ff
	v_cndmask_b32_e64 v51, 0, v45, s0
	v_cmp_gt_i32_e64 s0, s31, v84
	v_perm_b32 v45, v19, v20, 0x5040100
	s_delay_alu instid0(VALU_DEP_3) | instskip(SKIP_1) | instid1(VALU_DEP_3)
	v_perm_b32 v47, v51, v47, 0x5040100
	s_wait_alu 0xf1ff
	v_cndmask_b32_e64 v48, 0, v48, s0
	v_cmp_gt_i32_e64 s0, s7, v82
	s_wait_alu 0xf1ff
	s_delay_alu instid0(VALU_DEP_1) | instskip(NEXT) | instid1(VALU_DEP_1)
	v_cndmask_b32_e64 v50, 0, v50, s0
	v_perm_b32 v48, v50, v48, 0x5040100
	s_wait_alu 0xfffe
	s_or_b32 exec_lo, exec_lo, s13
	global_load_b128 v[49:52], v[17:18], off offset:4608
	s_and_saveexec_b32 s13, vcc_lo
	s_cbranch_execz .LBB160_53
.LBB160_64:                             ;   in Loop: Header=BB160_42 Depth=1
	v_cmp_gt_i32_e64 s0, s31, v89
	s_wait_loadcnt 0x0
	v_lshrrev_b32_e32 v19, 16, v49
	v_lshrrev_b32_e32 v54, 16, v52
	s_wait_alu 0xf1ff
	v_cndmask_b32_e64 v20, 0, v49, s0
	v_cmp_gt_i32_e64 s0, s7, v87
	v_lshrrev_b32_e32 v49, 16, v50
	s_wait_alu 0xf1ff
	s_delay_alu instid0(VALU_DEP_2) | instskip(SKIP_2) | instid1(VALU_DEP_1)
	v_cndmask_b32_e64 v19, 0, v19, s0
	v_cmp_gt_i32_e64 s0, s31, v88
	s_wait_alu 0xf1ff
	v_cndmask_b32_e64 v50, 0, v50, s0
	v_cmp_gt_i32_e64 s0, s7, v86
	s_wait_alu 0xf1ff
	s_delay_alu instid0(VALU_DEP_1) | instskip(SKIP_2) | instid1(VALU_DEP_3)
	v_cndmask_b32_e64 v53, 0, v49, s0
	v_cmp_gt_i32_e64 s0, s31, v85
	v_lshrrev_b32_e32 v49, 16, v51
	v_perm_b32 v50, v53, v50, 0x5040100
	s_wait_alu 0xf1ff
	s_delay_alu instid0(VALU_DEP_3) | instskip(SKIP_2) | instid1(VALU_DEP_1)
	v_cndmask_b32_e64 v51, 0, v51, s0
	v_cmp_gt_i32_e64 s0, s7, v83
	s_wait_alu 0xf1ff
	v_cndmask_b32_e64 v55, 0, v49, s0
	v_cmp_gt_i32_e64 s0, s31, v84
	v_perm_b32 v49, v19, v20, 0x5040100
	s_delay_alu instid0(VALU_DEP_3) | instskip(SKIP_1) | instid1(VALU_DEP_3)
	v_perm_b32 v51, v55, v51, 0x5040100
	s_wait_alu 0xf1ff
	v_cndmask_b32_e64 v52, 0, v52, s0
	v_cmp_gt_i32_e64 s0, s7, v82
	s_wait_alu 0xf1ff
	s_delay_alu instid0(VALU_DEP_1) | instskip(NEXT) | instid1(VALU_DEP_1)
	v_cndmask_b32_e64 v54, 0, v54, s0
	v_perm_b32 v52, v54, v52, 0x5040100
	s_wait_alu 0xfffe
	s_or_b32 exec_lo, exec_lo, s13
	global_load_b128 v[53:56], v[17:18], off offset:5120
	s_and_saveexec_b32 s13, vcc_lo
	s_cbranch_execz .LBB160_54
.LBB160_65:                             ;   in Loop: Header=BB160_42 Depth=1
	v_cmp_gt_i32_e64 s0, s31, v89
	s_wait_loadcnt 0x0
	v_lshrrev_b32_e32 v19, 16, v53
	v_lshrrev_b32_e32 v91, 16, v56
	s_wait_alu 0xf1ff
	v_cndmask_b32_e64 v20, 0, v53, s0
	v_cmp_gt_i32_e64 s0, s7, v87
	v_lshrrev_b32_e32 v53, 16, v54
	s_wait_alu 0xf1ff
	s_delay_alu instid0(VALU_DEP_2) | instskip(SKIP_2) | instid1(VALU_DEP_1)
	v_cndmask_b32_e64 v19, 0, v19, s0
	v_cmp_gt_i32_e64 s0, s31, v88
	s_wait_alu 0xf1ff
	v_cndmask_b32_e64 v54, 0, v54, s0
	v_cmp_gt_i32_e64 s0, s7, v86
	s_wait_alu 0xf1ff
	s_delay_alu instid0(VALU_DEP_1) | instskip(SKIP_2) | instid1(VALU_DEP_3)
	v_cndmask_b32_e64 v90, 0, v53, s0
	v_cmp_gt_i32_e64 s0, s31, v85
	v_lshrrev_b32_e32 v53, 16, v55
	v_perm_b32 v54, v90, v54, 0x5040100
	s_wait_alu 0xf1ff
	s_delay_alu instid0(VALU_DEP_3) | instskip(SKIP_2) | instid1(VALU_DEP_1)
	v_cndmask_b32_e64 v55, 0, v55, s0
	v_cmp_gt_i32_e64 s0, s7, v83
	s_wait_alu 0xf1ff
	v_cndmask_b32_e64 v92, 0, v53, s0
	v_cmp_gt_i32_e64 s0, s31, v84
	v_perm_b32 v53, v19, v20, 0x5040100
	s_delay_alu instid0(VALU_DEP_3) | instskip(SKIP_1) | instid1(VALU_DEP_3)
	v_perm_b32 v55, v92, v55, 0x5040100
	s_wait_alu 0xf1ff
	v_cndmask_b32_e64 v56, 0, v56, s0
	v_cmp_gt_i32_e64 s0, s7, v82
	s_wait_alu 0xf1ff
	s_delay_alu instid0(VALU_DEP_1) | instskip(NEXT) | instid1(VALU_DEP_1)
	v_cndmask_b32_e64 v91, 0, v91, s0
	v_perm_b32 v56, v91, v56, 0x5040100
	s_wait_alu 0xfffe
	s_or_b32 exec_lo, exec_lo, s13
	global_load_b128 v[17:20], v[17:18], off offset:5632
	s_and_saveexec_b32 s0, vcc_lo
	s_cbranch_execz .LBB160_40
.LBB160_66:                             ;   in Loop: Header=BB160_42 Depth=1
	v_cmp_gt_i32_e32 vcc_lo, s31, v89
	s_wait_loadcnt 0x0
	v_lshrrev_b32_e32 v90, 16, v17
	v_lshrrev_b32_e32 v89, 16, v18
	s_wait_alu 0xfffd
	v_cndmask_b32_e32 v17, 0, v17, vcc_lo
	v_cmp_gt_i32_e32 vcc_lo, s7, v87
	s_wait_alu 0xfffd
	v_cndmask_b32_e32 v87, 0, v90, vcc_lo
	v_cmp_gt_i32_e32 vcc_lo, s31, v88
	v_lshrrev_b32_e32 v88, 16, v19
	s_wait_alu 0xfffd
	v_cndmask_b32_e32 v18, 0, v18, vcc_lo
	v_cmp_gt_i32_e32 vcc_lo, s7, v86
	s_wait_alu 0xfffd
	v_cndmask_b32_e32 v86, 0, v89, vcc_lo
	v_cmp_gt_i32_e32 vcc_lo, s31, v85
	v_lshrrev_b32_e32 v85, 16, v20
	v_perm_b32 v17, v87, v17, 0x5040100
	s_delay_alu instid0(VALU_DEP_4)
	v_perm_b32 v18, v86, v18, 0x5040100
	s_wait_alu 0xfffd
	v_cndmask_b32_e32 v19, 0, v19, vcc_lo
	v_cmp_gt_i32_e32 vcc_lo, s7, v83
	s_wait_alu 0xfffd
	v_cndmask_b32_e32 v83, 0, v88, vcc_lo
	v_cmp_gt_i32_e32 vcc_lo, s31, v84
	;; [unrolled: 3-line block ×3, first 2 shown]
	s_wait_alu 0xfffd
	v_cndmask_b32_e32 v82, 0, v85, vcc_lo
	v_perm_b32 v19, v83, v19, 0x5040100
	s_delay_alu instid0(VALU_DEP_2)
	v_perm_b32 v20, v82, v20, 0x5040100
	s_branch .LBB160_40
.LBB160_67:
	s_or_b32 exec_lo, exec_lo, s6
.LBB160_68:
	s_wait_alu 0xfffe
	s_or_b32 exec_lo, exec_lo, s1
	ds_bpermute_b32 v5, v65, v73
	ds_bpermute_b32 v6, v65, v72
	;; [unrolled: 1-line block ×12, first 2 shown]
	s_mov_b32 s0, exec_lo
	s_wait_storecnt 0x0
	s_wait_loadcnt_dscnt 0x0
	s_barrier_signal -1
	s_barrier_wait -1
	global_inv scope:SCOPE_SE
	v_dual_add_f32 v8, v73, v5 :: v_dual_add_f32 v7, v72, v6
	v_add_f32_e32 v6, v71, v13
	v_lshrrev_b32_e32 v13, 1, v64
	v_dual_add_f32 v12, v77, v1 :: v_dual_add_f32 v11, v76, v2
	v_dual_add_f32 v10, v75, v3 :: v_dual_add_f32 v9, v74, v4
	;; [unrolled: 1-line block ×3, first 2 shown]
	v_add_f32_e32 v1, v68, v16
	v_dual_add_f32 v3, v67, v17 :: v_dual_and_b32 v16, 0x3c1, v0
	v_add_f32_e32 v2, v66, v18
	v_lshl_add_u32 v14, v13, 2, 0x1a0
	v_mul_u32_u24_e32 v15, 0x300, v61
	s_delay_alu instid0(VALU_DEP_4)
	v_cmpx_eq_u32_e32 64, v16
	s_cbranch_execz .LBB160_70
; %bb.69:
	s_delay_alu instid0(VALU_DEP_2) | instskip(NEXT) | instid1(VALU_DEP_1)
	v_add_nc_u32_e32 v16, v14, v15
	v_add_nc_u32_e32 v17, 0xfffffa00, v16
	;; [unrolled: 1-line block ×13, first 2 shown]
	ds_store_b32 v17, v12
	ds_store_b32 v18, v11
	;; [unrolled: 1-line block ×12, first 2 shown]
.LBB160_70:
	s_wait_alu 0xfffe
	s_or_b32 exec_lo, exec_lo, s0
	v_lshlrev_b32_e32 v13, 2, v13
	s_mov_b32 s1, exec_lo
	v_cmp_eq_u32_e32 vcc_lo, 0, v60
	s_wait_loadcnt_dscnt 0x0
	s_barrier_signal -1
	v_add3_u32 v13, 0x1a0, v15, v13
	s_barrier_wait -1
	global_inv scope:SCOPE_SE
	v_cmpx_gt_u32_e32 64, v0
	s_cbranch_execz .LBB160_85
; %bb.71:
	s_and_saveexec_b32 s0, vcc_lo
	s_cbranch_execnz .LBB160_105
; %bb.72:
	s_wait_alu 0xfffe
	s_or_b32 exec_lo, exec_lo, s0
	s_and_saveexec_b32 s0, vcc_lo
	s_cbranch_execnz .LBB160_106
.LBB160_73:
	s_wait_alu 0xfffe
	s_or_b32 exec_lo, exec_lo, s0
	s_and_saveexec_b32 s0, vcc_lo
	s_cbranch_execnz .LBB160_107
.LBB160_74:
	s_wait_alu 0xfffe
	s_or_b32 exec_lo, exec_lo, s0
	s_and_saveexec_b32 s0, vcc_lo
	s_cbranch_execnz .LBB160_108
.LBB160_75:
	s_wait_alu 0xfffe
	s_or_b32 exec_lo, exec_lo, s0
	s_and_saveexec_b32 s0, vcc_lo
	s_cbranch_execnz .LBB160_109
.LBB160_76:
	s_wait_alu 0xfffe
	s_or_b32 exec_lo, exec_lo, s0
	s_and_saveexec_b32 s0, vcc_lo
	s_cbranch_execnz .LBB160_110
.LBB160_77:
	s_wait_alu 0xfffe
	s_or_b32 exec_lo, exec_lo, s0
	s_and_saveexec_b32 s0, vcc_lo
	s_cbranch_execnz .LBB160_111
.LBB160_78:
	s_wait_alu 0xfffe
	s_or_b32 exec_lo, exec_lo, s0
	s_and_saveexec_b32 s0, vcc_lo
	s_cbranch_execnz .LBB160_112
.LBB160_79:
	s_wait_alu 0xfffe
	s_or_b32 exec_lo, exec_lo, s0
	s_and_saveexec_b32 s0, vcc_lo
	s_cbranch_execnz .LBB160_113
.LBB160_80:
	s_wait_alu 0xfffe
	s_or_b32 exec_lo, exec_lo, s0
	s_and_saveexec_b32 s0, vcc_lo
	s_cbranch_execnz .LBB160_114
.LBB160_81:
	s_wait_alu 0xfffe
	s_or_b32 exec_lo, exec_lo, s0
	s_and_saveexec_b32 s0, vcc_lo
	s_cbranch_execnz .LBB160_115
.LBB160_82:
	s_wait_alu 0xfffe
	s_or_b32 exec_lo, exec_lo, s0
	s_and_saveexec_b32 s0, vcc_lo
	s_cbranch_execz .LBB160_84
.LBB160_83:
	ds_load_b32 v15, v13 offset:704
	s_wait_dscnt 0x0
	v_add_f32_e32 v2, v2, v15
.LBB160_84:
	s_wait_alu 0xfffe
	s_or_b32 exec_lo, exec_lo, s0
.LBB160_85:
	s_wait_alu 0xfffe
	s_or_b32 exec_lo, exec_lo, s1
	v_and_b32_e32 v15, 0x3e1, v0
	s_mov_b32 s1, exec_lo
	s_wait_loadcnt 0x0
	s_barrier_signal -1
	s_barrier_wait -1
	global_inv scope:SCOPE_SE
	v_cmpx_eq_u32_e32 32, v15
	s_cbranch_execz .LBB160_87
; %bb.86:
	ds_store_2addr_b32 v14, v12, v11 offset1:16
	ds_store_2addr_b32 v14, v10, v9 offset0:32 offset1:48
	ds_store_2addr_b32 v14, v8, v7 offset0:64 offset1:80
	;; [unrolled: 1-line block ×5, first 2 shown]
.LBB160_87:
	s_wait_alu 0xfffe
	s_or_b32 exec_lo, exec_lo, s1
	s_delay_alu instid0(SALU_CYCLE_1)
	s_mov_b32 s1, exec_lo
	s_wait_loadcnt_dscnt 0x0
	s_barrier_signal -1
	s_barrier_wait -1
	global_inv scope:SCOPE_SE
	v_cmpx_gt_u32_e32 32, v0
	s_cbranch_execz .LBB160_102
; %bb.88:
	s_and_saveexec_b32 s0, vcc_lo
	s_cbranch_execnz .LBB160_116
; %bb.89:
	s_wait_alu 0xfffe
	s_or_b32 exec_lo, exec_lo, s0
	s_and_saveexec_b32 s0, vcc_lo
	s_cbranch_execnz .LBB160_117
.LBB160_90:
	s_wait_alu 0xfffe
	s_or_b32 exec_lo, exec_lo, s0
	s_and_saveexec_b32 s0, vcc_lo
	s_cbranch_execnz .LBB160_118
.LBB160_91:
	s_wait_alu 0xfffe
	s_or_b32 exec_lo, exec_lo, s0
	s_and_saveexec_b32 s0, vcc_lo
	s_cbranch_execnz .LBB160_119
.LBB160_92:
	s_wait_alu 0xfffe
	s_or_b32 exec_lo, exec_lo, s0
	s_and_saveexec_b32 s0, vcc_lo
	s_cbranch_execnz .LBB160_120
.LBB160_93:
	s_wait_alu 0xfffe
	s_or_b32 exec_lo, exec_lo, s0
	s_and_saveexec_b32 s0, vcc_lo
	s_cbranch_execnz .LBB160_121
.LBB160_94:
	s_wait_alu 0xfffe
	s_or_b32 exec_lo, exec_lo, s0
	s_and_saveexec_b32 s0, vcc_lo
	s_cbranch_execnz .LBB160_122
.LBB160_95:
	s_wait_alu 0xfffe
	s_or_b32 exec_lo, exec_lo, s0
	s_and_saveexec_b32 s0, vcc_lo
	s_cbranch_execnz .LBB160_123
.LBB160_96:
	s_wait_alu 0xfffe
	s_or_b32 exec_lo, exec_lo, s0
	s_and_saveexec_b32 s0, vcc_lo
	s_cbranch_execnz .LBB160_124
.LBB160_97:
	s_wait_alu 0xfffe
	s_or_b32 exec_lo, exec_lo, s0
	s_and_saveexec_b32 s0, vcc_lo
	s_cbranch_execnz .LBB160_125
.LBB160_98:
	s_wait_alu 0xfffe
	s_or_b32 exec_lo, exec_lo, s0
	s_and_saveexec_b32 s0, vcc_lo
	s_cbranch_execnz .LBB160_126
.LBB160_99:
	s_wait_alu 0xfffe
	s_or_b32 exec_lo, exec_lo, s0
	s_and_saveexec_b32 s0, vcc_lo
	s_cbranch_execz .LBB160_101
.LBB160_100:
	ds_load_b32 v0, v13 offset:704
	s_wait_dscnt 0x0
	v_add_f32_e32 v2, v2, v0
.LBB160_101:
	s_wait_alu 0xfffe
	s_or_b32 exec_lo, exec_lo, s0
.LBB160_102:
	s_wait_alu 0xfffe
	s_or_b32 exec_lo, exec_lo, s1
	s_mov_b32 s1, 0
	s_wait_loadcnt 0x0
	s_barrier_signal -1
	s_barrier_wait -1
	global_inv scope:SCOPE_SE
	s_mov_b32 s0, exec_lo
	v_cmpx_eq_u32_e32 0, v15
	s_cbranch_execz .LBB160_104
; %bb.103:
	v_bfe_u32 v0, v12, 16, 1
	v_bfe_u32 v13, v11, 16, 1
	v_or_b32_e32 v15, 0x400000, v12
	v_cmp_u_f32_e32 vcc_lo, v12, v12
	v_or_b32_e32 v16, 0x400000, v11
	v_add3_u32 v0, v0, v12, 0x7fff
	v_add3_u32 v13, v13, v11, 0x7fff
	v_bfe_u32 v17, v10, 16, 1
	v_bfe_u32 v12, v9, 16, 1
	s_mul_i32 s2, s20, 0xc0
	s_wait_alu 0xfffd
	v_cndmask_b32_e32 v0, v0, v15, vcc_lo
	v_cmp_u_f32_e32 vcc_lo, v11, v11
	v_lshlrev_b32_e32 v14, 1, v59
	v_or_b32_e32 v15, 0x400000, v10
	v_add3_u32 v12, v12, v9, 0x7fff
	s_wait_kmcnt 0x0
	s_mul_i32 s4, s8, s16
	s_wait_alu 0xfffd
	v_cndmask_b32_e32 v11, v13, v16, vcc_lo
	v_add3_u32 v13, v17, v10, 0x7fff
	v_cmp_u_f32_e32 vcc_lo, v10, v10
	v_or_b32_e32 v16, 0x400000, v9
	v_bfe_u32 v17, v8, 16, 1
	s_wait_alu 0xfffe
	s_ashr_i32 s3, s2, 31
	v_or_b32_e32 v18, 0x400000, v2
	s_wait_alu 0xfffd
	v_cndmask_b32_e32 v10, v13, v15, vcc_lo
	v_cmp_u_f32_e32 vcc_lo, v9, v9
	v_bfe_u32 v13, v7, 16, 1
	v_or_b32_e32 v15, 0x400000, v8
	s_ashr_i32 s5, s4, 31
	s_wait_alu 0xfffe
	s_lshl_b64 s[2:3], s[2:3], 1
	s_wait_alu 0xfffd
	v_cndmask_b32_e32 v9, v12, v16, vcc_lo
	v_add3_u32 v12, v17, v8, 0x7fff
	v_cmp_u_f32_e32 vcc_lo, v8, v8
	v_add3_u32 v13, v13, v7, 0x7fff
	v_or_b32_e32 v16, 0x400000, v7
	v_bfe_u32 v17, v6, 16, 1
	s_lshl_b64 s[4:5], s[4:5], 1
	s_wait_alu 0xfffd
	v_cndmask_b32_e32 v8, v12, v15, vcc_lo
	v_cmp_u_f32_e32 vcc_lo, v7, v7
	v_bfe_u32 v12, v5, 16, 1
	v_or_b32_e32 v15, 0x400000, v6
	s_wait_alu 0xfffe
	s_add_nc_u64 s[2:3], s[14:15], s[2:3]
	s_mul_i32 s0, s30, 0x180
	s_wait_alu 0xfffd
	v_cndmask_b32_e32 v7, v13, v16, vcc_lo
	v_add3_u32 v13, v17, v6, 0x7fff
	v_cmp_u_f32_e32 vcc_lo, v6, v6
	v_bfe_u32 v16, v4, 16, 1
	v_add3_u32 v12, v12, v5, 0x7fff
	v_or_b32_e32 v17, 0x400000, v5
	s_wait_alu 0xfffe
	s_add_nc_u64 s[2:3], s[2:3], s[4:5]
	s_wait_alu 0xfffd
	v_cndmask_b32_e32 v6, v13, v15, vcc_lo
	v_cmp_u_f32_e32 vcc_lo, v5, v5
	v_add3_u32 v13, v16, v4, 0x7fff
	v_or_b32_e32 v15, 0x400000, v4
	v_bfe_u32 v16, v3, 16, 1
	s_wait_alu 0xfffe
	s_add_nc_u64 s[0:1], s[2:3], s[0:1]
	s_wait_alu 0xfffd
	v_cndmask_b32_e32 v5, v12, v17, vcc_lo
	v_bfe_u32 v12, v1, 16, 1
	v_cmp_u_f32_e32 vcc_lo, v4, v4
	v_add3_u32 v16, v16, v3, 0x7fff
	v_or_b32_e32 v17, 0x400000, v3
	s_delay_alu instid0(VALU_DEP_4)
	v_add3_u32 v12, v12, v1, 0x7fff
	s_wait_alu 0xfffd
	v_cndmask_b32_e32 v4, v13, v15, vcc_lo
	v_bfe_u32 v13, v2, 16, 1
	v_or_b32_e32 v15, 0x400000, v1
	v_cmp_u_f32_e32 vcc_lo, v1, v1
	s_delay_alu instid0(VALU_DEP_3) | instskip(SKIP_1) | instid1(VALU_DEP_3)
	v_add3_u32 v13, v13, v2, 0x7fff
	s_wait_alu 0xfffd
	v_cndmask_b32_e32 v1, v12, v15, vcc_lo
	v_cmp_u_f32_e32 vcc_lo, v3, v3
	s_wait_alu 0xfffd
	v_cndmask_b32_e32 v3, v16, v17, vcc_lo
	v_cmp_u_f32_e32 vcc_lo, v2, v2
	s_wait_alu 0xfffd
	v_cndmask_b32_e32 v2, v13, v18, vcc_lo
	s_clause 0xb
	global_store_d16_hi_b16 v14, v0, s[0:1]
	global_store_d16_hi_b16 v14, v11, s[0:1] offset:32
	global_store_d16_hi_b16 v14, v10, s[0:1] offset:64
	;; [unrolled: 1-line block ×11, first 2 shown]
.LBB160_104:
	s_nop 0
	s_sendmsg sendmsg(MSG_DEALLOC_VGPRS)
	s_endpgm
.LBB160_105:
	ds_load_b32 v15, v13
	s_wait_dscnt 0x0
	v_add_f32_e32 v12, v12, v15
	s_wait_alu 0xfffe
	s_or_b32 exec_lo, exec_lo, s0
	s_and_saveexec_b32 s0, vcc_lo
	s_cbranch_execz .LBB160_73
.LBB160_106:
	ds_load_b32 v15, v13 offset:64
	s_wait_dscnt 0x0
	v_add_f32_e32 v11, v11, v15
	s_wait_alu 0xfffe
	s_or_b32 exec_lo, exec_lo, s0
	s_and_saveexec_b32 s0, vcc_lo
	s_cbranch_execz .LBB160_74
.LBB160_107:
	ds_load_b32 v15, v13 offset:128
	s_wait_dscnt 0x0
	v_add_f32_e32 v10, v10, v15
	s_wait_alu 0xfffe
	s_or_b32 exec_lo, exec_lo, s0
	s_and_saveexec_b32 s0, vcc_lo
	s_cbranch_execz .LBB160_75
.LBB160_108:
	ds_load_b32 v15, v13 offset:192
	s_wait_dscnt 0x0
	v_add_f32_e32 v9, v9, v15
	s_wait_alu 0xfffe
	s_or_b32 exec_lo, exec_lo, s0
	s_and_saveexec_b32 s0, vcc_lo
	s_cbranch_execz .LBB160_76
.LBB160_109:
	ds_load_b32 v15, v13 offset:256
	s_wait_dscnt 0x0
	v_add_f32_e32 v8, v8, v15
	s_wait_alu 0xfffe
	s_or_b32 exec_lo, exec_lo, s0
	s_and_saveexec_b32 s0, vcc_lo
	s_cbranch_execz .LBB160_77
.LBB160_110:
	ds_load_b32 v15, v13 offset:320
	s_wait_dscnt 0x0
	v_add_f32_e32 v7, v7, v15
	s_wait_alu 0xfffe
	s_or_b32 exec_lo, exec_lo, s0
	s_and_saveexec_b32 s0, vcc_lo
	s_cbranch_execz .LBB160_78
.LBB160_111:
	ds_load_b32 v15, v13 offset:384
	s_wait_dscnt 0x0
	v_add_f32_e32 v6, v6, v15
	s_wait_alu 0xfffe
	s_or_b32 exec_lo, exec_lo, s0
	s_and_saveexec_b32 s0, vcc_lo
	s_cbranch_execz .LBB160_79
.LBB160_112:
	ds_load_b32 v15, v13 offset:448
	s_wait_dscnt 0x0
	v_add_f32_e32 v5, v5, v15
	s_wait_alu 0xfffe
	s_or_b32 exec_lo, exec_lo, s0
	s_and_saveexec_b32 s0, vcc_lo
	s_cbranch_execz .LBB160_80
.LBB160_113:
	ds_load_b32 v15, v13 offset:512
	s_wait_dscnt 0x0
	v_add_f32_e32 v4, v4, v15
	s_wait_alu 0xfffe
	s_or_b32 exec_lo, exec_lo, s0
	s_and_saveexec_b32 s0, vcc_lo
	s_cbranch_execz .LBB160_81
.LBB160_114:
	ds_load_b32 v15, v13 offset:576
	s_wait_dscnt 0x0
	v_add_f32_e32 v1, v1, v15
	s_wait_alu 0xfffe
	s_or_b32 exec_lo, exec_lo, s0
	s_and_saveexec_b32 s0, vcc_lo
	s_cbranch_execz .LBB160_82
.LBB160_115:
	ds_load_b32 v15, v13 offset:640
	s_wait_dscnt 0x0
	v_add_f32_e32 v3, v3, v15
	s_wait_alu 0xfffe
	s_or_b32 exec_lo, exec_lo, s0
	s_and_saveexec_b32 s0, vcc_lo
	s_cbranch_execnz .LBB160_83
	s_branch .LBB160_84
.LBB160_116:
	ds_load_b32 v0, v13
	s_wait_dscnt 0x0
	v_add_f32_e32 v12, v12, v0
	s_wait_alu 0xfffe
	s_or_b32 exec_lo, exec_lo, s0
	s_and_saveexec_b32 s0, vcc_lo
	s_cbranch_execz .LBB160_90
.LBB160_117:
	ds_load_b32 v0, v13 offset:64
	s_wait_dscnt 0x0
	v_add_f32_e32 v11, v11, v0
	s_wait_alu 0xfffe
	s_or_b32 exec_lo, exec_lo, s0
	s_and_saveexec_b32 s0, vcc_lo
	s_cbranch_execz .LBB160_91
.LBB160_118:
	ds_load_b32 v0, v13 offset:128
	s_wait_dscnt 0x0
	v_add_f32_e32 v10, v10, v0
	s_wait_alu 0xfffe
	s_or_b32 exec_lo, exec_lo, s0
	s_and_saveexec_b32 s0, vcc_lo
	s_cbranch_execz .LBB160_92
.LBB160_119:
	ds_load_b32 v0, v13 offset:192
	s_wait_dscnt 0x0
	v_add_f32_e32 v9, v9, v0
	s_wait_alu 0xfffe
	s_or_b32 exec_lo, exec_lo, s0
	s_and_saveexec_b32 s0, vcc_lo
	s_cbranch_execz .LBB160_93
.LBB160_120:
	ds_load_b32 v0, v13 offset:256
	s_wait_dscnt 0x0
	v_add_f32_e32 v8, v8, v0
	s_wait_alu 0xfffe
	s_or_b32 exec_lo, exec_lo, s0
	s_and_saveexec_b32 s0, vcc_lo
	s_cbranch_execz .LBB160_94
.LBB160_121:
	ds_load_b32 v0, v13 offset:320
	s_wait_dscnt 0x0
	v_add_f32_e32 v7, v7, v0
	s_wait_alu 0xfffe
	s_or_b32 exec_lo, exec_lo, s0
	s_and_saveexec_b32 s0, vcc_lo
	s_cbranch_execz .LBB160_95
.LBB160_122:
	ds_load_b32 v0, v13 offset:384
	s_wait_dscnt 0x0
	v_add_f32_e32 v6, v6, v0
	s_wait_alu 0xfffe
	s_or_b32 exec_lo, exec_lo, s0
	s_and_saveexec_b32 s0, vcc_lo
	s_cbranch_execz .LBB160_96
.LBB160_123:
	ds_load_b32 v0, v13 offset:448
	s_wait_dscnt 0x0
	v_add_f32_e32 v5, v5, v0
	s_wait_alu 0xfffe
	s_or_b32 exec_lo, exec_lo, s0
	s_and_saveexec_b32 s0, vcc_lo
	s_cbranch_execz .LBB160_97
.LBB160_124:
	ds_load_b32 v0, v13 offset:512
	s_wait_dscnt 0x0
	v_add_f32_e32 v4, v4, v0
	s_wait_alu 0xfffe
	s_or_b32 exec_lo, exec_lo, s0
	s_and_saveexec_b32 s0, vcc_lo
	s_cbranch_execz .LBB160_98
.LBB160_125:
	ds_load_b32 v0, v13 offset:576
	s_wait_dscnt 0x0
	v_add_f32_e32 v1, v1, v0
	s_wait_alu 0xfffe
	s_or_b32 exec_lo, exec_lo, s0
	s_and_saveexec_b32 s0, vcc_lo
	s_cbranch_execz .LBB160_99
.LBB160_126:
	ds_load_b32 v0, v13 offset:640
	s_wait_dscnt 0x0
	v_add_f32_e32 v3, v3, v0
	s_wait_alu 0xfffe
	s_or_b32 exec_lo, exec_lo, s0
	s_and_saveexec_b32 s0, vcc_lo
	s_cbranch_execnz .LBB160_100
	s_branch .LBB160_101
	.section	.rodata,"a",@progbits
	.p2align	6, 0x0
	.amdhsa_kernel _ZN4vllm25paged_attention_v2_kernelI14__hip_bfloat16S1_Li192ELi16ELi128ELNS_18Fp8KVCacheDataTypeE0ELb1ELi512EEEvPfS3_PT_PKS4_PKT0_SA_ifPKiSC_iPKfiiiSE_SE_iiiii
		.amdhsa_group_segment_fixed_size 416
		.amdhsa_private_segment_fixed_size 0
		.amdhsa_kernarg_size 400
		.amdhsa_user_sgpr_count 2
		.amdhsa_user_sgpr_dispatch_ptr 0
		.amdhsa_user_sgpr_queue_ptr 0
		.amdhsa_user_sgpr_kernarg_segment_ptr 1
		.amdhsa_user_sgpr_dispatch_id 0
		.amdhsa_user_sgpr_private_segment_size 0
		.amdhsa_wavefront_size32 1
		.amdhsa_uses_dynamic_stack 0
		.amdhsa_enable_private_segment 0
		.amdhsa_system_sgpr_workgroup_id_x 1
		.amdhsa_system_sgpr_workgroup_id_y 1
		.amdhsa_system_sgpr_workgroup_id_z 1
		.amdhsa_system_sgpr_workgroup_info 0
		.amdhsa_system_vgpr_workitem_id 0
		.amdhsa_next_free_vgpr 164
		.amdhsa_next_free_sgpr 42
		.amdhsa_reserve_vcc 1
		.amdhsa_float_round_mode_32 0
		.amdhsa_float_round_mode_16_64 0
		.amdhsa_float_denorm_mode_32 3
		.amdhsa_float_denorm_mode_16_64 3
		.amdhsa_fp16_overflow 0
		.amdhsa_workgroup_processor_mode 1
		.amdhsa_memory_ordered 1
		.amdhsa_forward_progress 1
		.amdhsa_inst_pref_size 148
		.amdhsa_round_robin_scheduling 0
		.amdhsa_exception_fp_ieee_invalid_op 0
		.amdhsa_exception_fp_denorm_src 0
		.amdhsa_exception_fp_ieee_div_zero 0
		.amdhsa_exception_fp_ieee_overflow 0
		.amdhsa_exception_fp_ieee_underflow 0
		.amdhsa_exception_fp_ieee_inexact 0
		.amdhsa_exception_int_div_zero 0
	.end_amdhsa_kernel
	.section	.text._ZN4vllm25paged_attention_v2_kernelI14__hip_bfloat16S1_Li192ELi16ELi128ELNS_18Fp8KVCacheDataTypeE0ELb1ELi512EEEvPfS3_PT_PKS4_PKT0_SA_ifPKiSC_iPKfiiiSE_SE_iiiii,"axG",@progbits,_ZN4vllm25paged_attention_v2_kernelI14__hip_bfloat16S1_Li192ELi16ELi128ELNS_18Fp8KVCacheDataTypeE0ELb1ELi512EEEvPfS3_PT_PKS4_PKT0_SA_ifPKiSC_iPKfiiiSE_SE_iiiii,comdat
.Lfunc_end160:
	.size	_ZN4vllm25paged_attention_v2_kernelI14__hip_bfloat16S1_Li192ELi16ELi128ELNS_18Fp8KVCacheDataTypeE0ELb1ELi512EEEvPfS3_PT_PKS4_PKT0_SA_ifPKiSC_iPKfiiiSE_SE_iiiii, .Lfunc_end160-_ZN4vllm25paged_attention_v2_kernelI14__hip_bfloat16S1_Li192ELi16ELi128ELNS_18Fp8KVCacheDataTypeE0ELb1ELi512EEEvPfS3_PT_PKS4_PKT0_SA_ifPKiSC_iPKfiiiSE_SE_iiiii
                                        ; -- End function
	.set _ZN4vllm25paged_attention_v2_kernelI14__hip_bfloat16S1_Li192ELi16ELi128ELNS_18Fp8KVCacheDataTypeE0ELb1ELi512EEEvPfS3_PT_PKS4_PKT0_SA_ifPKiSC_iPKfiiiSE_SE_iiiii.num_vgpr, 164
	.set _ZN4vllm25paged_attention_v2_kernelI14__hip_bfloat16S1_Li192ELi16ELi128ELNS_18Fp8KVCacheDataTypeE0ELb1ELi512EEEvPfS3_PT_PKS4_PKT0_SA_ifPKiSC_iPKfiiiSE_SE_iiiii.num_agpr, 0
	.set _ZN4vllm25paged_attention_v2_kernelI14__hip_bfloat16S1_Li192ELi16ELi128ELNS_18Fp8KVCacheDataTypeE0ELb1ELi512EEEvPfS3_PT_PKS4_PKT0_SA_ifPKiSC_iPKfiiiSE_SE_iiiii.numbered_sgpr, 42
	.set _ZN4vllm25paged_attention_v2_kernelI14__hip_bfloat16S1_Li192ELi16ELi128ELNS_18Fp8KVCacheDataTypeE0ELb1ELi512EEEvPfS3_PT_PKS4_PKT0_SA_ifPKiSC_iPKfiiiSE_SE_iiiii.num_named_barrier, 0
	.set _ZN4vllm25paged_attention_v2_kernelI14__hip_bfloat16S1_Li192ELi16ELi128ELNS_18Fp8KVCacheDataTypeE0ELb1ELi512EEEvPfS3_PT_PKS4_PKT0_SA_ifPKiSC_iPKfiiiSE_SE_iiiii.private_seg_size, 0
	.set _ZN4vllm25paged_attention_v2_kernelI14__hip_bfloat16S1_Li192ELi16ELi128ELNS_18Fp8KVCacheDataTypeE0ELb1ELi512EEEvPfS3_PT_PKS4_PKT0_SA_ifPKiSC_iPKfiiiSE_SE_iiiii.uses_vcc, 1
	.set _ZN4vllm25paged_attention_v2_kernelI14__hip_bfloat16S1_Li192ELi16ELi128ELNS_18Fp8KVCacheDataTypeE0ELb1ELi512EEEvPfS3_PT_PKS4_PKT0_SA_ifPKiSC_iPKfiiiSE_SE_iiiii.uses_flat_scratch, 0
	.set _ZN4vllm25paged_attention_v2_kernelI14__hip_bfloat16S1_Li192ELi16ELi128ELNS_18Fp8KVCacheDataTypeE0ELb1ELi512EEEvPfS3_PT_PKS4_PKT0_SA_ifPKiSC_iPKfiiiSE_SE_iiiii.has_dyn_sized_stack, 0
	.set _ZN4vllm25paged_attention_v2_kernelI14__hip_bfloat16S1_Li192ELi16ELi128ELNS_18Fp8KVCacheDataTypeE0ELb1ELi512EEEvPfS3_PT_PKS4_PKT0_SA_ifPKiSC_iPKfiiiSE_SE_iiiii.has_recursion, 0
	.set _ZN4vllm25paged_attention_v2_kernelI14__hip_bfloat16S1_Li192ELi16ELi128ELNS_18Fp8KVCacheDataTypeE0ELb1ELi512EEEvPfS3_PT_PKS4_PKT0_SA_ifPKiSC_iPKfiiiSE_SE_iiiii.has_indirect_call, 0
	.section	.AMDGPU.csdata,"",@progbits
; Kernel info:
; codeLenInByte = 18840
; TotalNumSgprs: 44
; NumVgprs: 164
; ScratchSize: 0
; MemoryBound: 0
; FloatMode: 240
; IeeeMode: 1
; LDSByteSize: 416 bytes/workgroup (compile time only)
; SGPRBlocks: 0
; VGPRBlocks: 20
; NumSGPRsForWavesPerEU: 44
; NumVGPRsForWavesPerEU: 164
; Occupancy: 9
; WaveLimiterHint : 1
; COMPUTE_PGM_RSRC2:SCRATCH_EN: 0
; COMPUTE_PGM_RSRC2:USER_SGPR: 2
; COMPUTE_PGM_RSRC2:TRAP_HANDLER: 0
; COMPUTE_PGM_RSRC2:TGID_X_EN: 1
; COMPUTE_PGM_RSRC2:TGID_Y_EN: 1
; COMPUTE_PGM_RSRC2:TGID_Z_EN: 1
; COMPUTE_PGM_RSRC2:TIDIG_COMP_CNT: 0
	.section	.text._ZN4vllm25paged_attention_v2_kernelI14__hip_bfloat16S1_Li256ELi16ELi128ELNS_18Fp8KVCacheDataTypeE0ELb1ELi512EEEvPfS3_PT_PKS4_PKT0_SA_ifPKiSC_iPKfiiiSE_SE_iiiii,"axG",@progbits,_ZN4vllm25paged_attention_v2_kernelI14__hip_bfloat16S1_Li256ELi16ELi128ELNS_18Fp8KVCacheDataTypeE0ELb1ELi512EEEvPfS3_PT_PKS4_PKT0_SA_ifPKiSC_iPKfiiiSE_SE_iiiii,comdat
	.protected	_ZN4vllm25paged_attention_v2_kernelI14__hip_bfloat16S1_Li256ELi16ELi128ELNS_18Fp8KVCacheDataTypeE0ELb1ELi512EEEvPfS3_PT_PKS4_PKT0_SA_ifPKiSC_iPKfiiiSE_SE_iiiii ; -- Begin function _ZN4vllm25paged_attention_v2_kernelI14__hip_bfloat16S1_Li256ELi16ELi128ELNS_18Fp8KVCacheDataTypeE0ELb1ELi512EEEvPfS3_PT_PKS4_PKT0_SA_ifPKiSC_iPKfiiiSE_SE_iiiii
	.globl	_ZN4vllm25paged_attention_v2_kernelI14__hip_bfloat16S1_Li256ELi16ELi128ELNS_18Fp8KVCacheDataTypeE0ELb1ELi512EEEvPfS3_PT_PKS4_PKT0_SA_ifPKiSC_iPKfiiiSE_SE_iiiii
	.p2align	8
	.type	_ZN4vllm25paged_attention_v2_kernelI14__hip_bfloat16S1_Li256ELi16ELi128ELNS_18Fp8KVCacheDataTypeE0ELb1ELi512EEEvPfS3_PT_PKS4_PKT0_SA_ifPKiSC_iPKfiiiSE_SE_iiiii,@function
_ZN4vllm25paged_attention_v2_kernelI14__hip_bfloat16S1_Li256ELi16ELi128ELNS_18Fp8KVCacheDataTypeE0ELb1ELi512EEEvPfS3_PT_PKS4_PKT0_SA_ifPKiSC_iPKfiiiSE_SE_iiiii: ; @_ZN4vllm25paged_attention_v2_kernelI14__hip_bfloat16S1_Li256ELi16ELi128ELNS_18Fp8KVCacheDataTypeE0ELb1ELi512EEEvPfS3_PT_PKS4_PKT0_SA_ifPKiSC_iPKfiiiSE_SE_iiiii
; %bb.0:
	s_load_b64 s[2:3], s[0:1], 0x40
	s_and_b32 s34, ttmp7, 0xffff
	s_lshr_b32 s33, ttmp7, 16
	s_lshl_b32 s4, s34, 2
	s_lshl_b32 s20, s33, 9
	scratch_store_b32 off, v0, off          ; 4-byte Folded Spill
	s_wait_kmcnt 0x0
	s_load_b32 s21, s[2:3], s4 offset:0x0
	s_wait_kmcnt 0x0
	s_cmp_ge_i32 s20, s21
	s_cbranch_scc1 .LBB161_120
; %bb.1:
	s_clause 0x1
	s_load_b32 s35, s[0:1], 0x90
	s_load_b64 s[6:7], s[0:1], 0x30
	s_wait_kmcnt 0x0
	s_abs_i32 s5, s35
	s_abs_i32 s2, s6
	s_delay_alu instid0(SALU_CYCLE_1) | instskip(SKIP_1) | instid1(SALU_CYCLE_2)
	s_cvt_f32_u32 s3, s2
	s_sub_co_i32 s4, 0, s2
	v_rcp_iflag_f32_e32 v1, s3
	s_delay_alu instid0(TRANS32_DEP_1) | instskip(SKIP_2) | instid1(SALU_CYCLE_2)
	v_readfirstlane_b32 s3, v1
	s_mul_f32 s3, s3, 0x4f7ffffe
	s_wait_alu 0xfffe
	s_cvt_u32_f32 s3, s3
	s_wait_alu 0xfffe
	s_delay_alu instid0(SALU_CYCLE_2) | instskip(NEXT) | instid1(SALU_CYCLE_1)
	s_mul_i32 s4, s4, s3
	s_mul_hi_u32 s4, s3, s4
	s_delay_alu instid0(SALU_CYCLE_1)
	s_add_co_i32 s3, s3, s4
	s_xor_b32 s4, s35, s6
	s_wait_alu 0xfffe
	s_mul_hi_u32 s3, s5, s3
	s_ashr_i32 s4, s4, 31
	s_wait_alu 0xfffe
	s_mul_i32 s8, s3, s2
	s_delay_alu instid0(SALU_CYCLE_1)
	s_sub_co_i32 s5, s5, s8
	s_add_co_i32 s8, s3, 1
	s_sub_co_i32 s9, s5, s2
	s_cmp_ge_u32 s5, s2
	s_cselect_b32 s3, s8, s3
	s_cselect_b32 s5, s9, s5
	s_wait_alu 0xfffe
	s_add_co_i32 s8, s3, 1
	s_cmp_ge_u32 s5, s2
	s_mov_b32 s5, 0
	s_cselect_b32 s2, s8, s3
	s_load_b64 s[8:9], s[0:1], 0x50
	s_xor_b32 s2, s2, s4
	s_mov_b32 s14, s5
	s_wait_alu 0xfffe
	s_sub_co_i32 s10, s2, s4
	s_abs_i32 s4, ttmp9
	s_abs_i32 s12, s10
	s_delay_alu instid0(SALU_CYCLE_1) | instskip(SKIP_2) | instid1(SALU_CYCLE_1)
	s_cvt_f32_u32 s2, s12
	s_sub_co_i32 s3, 0, s12
	s_wait_alu 0xfffe
	v_rcp_iflag_f32_e32 v1, s2
	s_delay_alu instid0(TRANS32_DEP_1) | instskip(SKIP_2) | instid1(SALU_CYCLE_2)
	v_readfirstlane_b32 s2, v1
	s_mul_f32 s2, s2, 0x4f7ffffe
	s_wait_alu 0xfffe
	s_cvt_u32_f32 s2, s2
	s_wait_alu 0xfffe
	s_delay_alu instid0(SALU_CYCLE_2)
	s_mul_i32 s3, s3, s2
	s_wait_alu 0xfffe
	s_mul_hi_u32 s3, s2, s3
	s_wait_alu 0xfffe
	s_add_co_i32 s2, s2, s3
	s_mov_b32 s3, s5
	s_wait_kmcnt 0x0
	s_cmp_eq_u64 s[8:9], 0
	s_cbranch_scc1 .LBB161_3
; %bb.2:
	s_mov_b32 s14, ttmp9
	s_ashr_i32 s15, ttmp9, 31
	s_delay_alu instid0(SALU_CYCLE_1) | instskip(NEXT) | instid1(SALU_CYCLE_1)
	s_lshl_b64 s[14:15], s[14:15], 2
	s_add_nc_u64 s[8:9], s[8:9], s[14:15]
	s_load_b32 s14, s[8:9], 0x0
.LBB161_3:
	scratch_load_b32 v1, off, off           ; 4-byte Folded Reload
	s_load_b96 s[16:18], s[0:1], 0x58
	s_mul_u64 s[2:3], s[4:5], s[2:3]
	s_ashr_i32 s5, ttmp9, 31
	s_ashr_i32 s13, s10, 31
	s_lshl_b32 s22, ttmp9, 8
	s_wait_loadcnt 0x0
	v_lshrrev_b32_e32 v0, 1, v1
	v_and_b32_e32 v2, 1, v1
	v_cmp_gt_u32_e64 s2, 64, v1
	v_lshlrev_b32_e32 v9, 3, v1
	scratch_store_b32 off, v2, off offset:44 ; 4-byte Folded Spill
	s_wait_alu 0xfffe
	s_and_saveexec_b32 s8, s2
	s_cbranch_execz .LBB161_5
; %bb.4:
	s_load_b64 s[10:11], s[0:1], 0x18
	s_wait_kmcnt 0x0
	s_mul_i32 s24, s16, s34
	s_ashr_i32 s23, s22, 31
	s_ashr_i32 s25, s24, 31
	scratch_load_b32 v4, off, off offset:44 ; 4-byte Folded Reload
	s_lshl_b64 s[24:25], s[24:25], 1
	v_lshlrev_b32_e32 v3, 3, v0
	s_add_nc_u64 s[10:11], s[10:11], s[24:25]
	s_lshl_b64 s[24:25], s[22:23], 1
	s_delay_alu instid0(SALU_CYCLE_1)
	s_add_nc_u64 s[10:11], s[10:11], s[24:25]
	global_load_b64 v[1:2], v9, s[10:11]
	s_wait_loadcnt 0x1
	v_lshl_add_u32 v3, v4, 8, v3
	s_wait_loadcnt 0x0
	ds_store_b64 v3, v[1:2]
.LBB161_5:
	s_or_b32 exec_lo, exec_lo, s8
	s_load_b128 s[8:11], s[0:1], 0x78
	s_mul_i32 s15, s3, s12
	s_xor_b32 s5, s5, s13
	s_sub_co_i32 s4, s4, s15
	s_add_co_i32 s13, s3, 1
	s_sub_co_i32 s15, s4, s12
	s_cmp_ge_u32 s4, s12
	s_mov_b32 s26, -1
	s_cselect_b32 s3, s13, s3
	s_cselect_b32 s4, s15, s4
	s_wait_alu 0xfffe
	s_add_co_i32 s13, s3, 1
	s_cmp_ge_u32 s4, s12
                                        ; implicit-def: $sgpr23
	s_cselect_b32 s4, s13, s3
	s_load_b32 s3, s[0:1], 0x88
	s_xor_b32 s4, s4, s5
	s_add_co_i32 s19, s21, -1
	s_sub_co_i32 s15, s4, s5
	s_wait_storecnt_dscnt 0x0
	s_barrier_signal -1
	s_wait_kmcnt 0x0
	s_abs_i32 s16, s11
	s_barrier_wait -1
	s_cvt_f32_u32 s12, s16
	global_inv scope:SCOPE_SE
	v_rcp_iflag_f32_e32 v1, s12
	s_delay_alu instid0(TRANS32_DEP_1) | instskip(SKIP_1) | instid1(SALU_CYCLE_3)
	v_readfirstlane_b32 s12, v1
	s_mul_f32 s4, s12, 0x4f7ffffe
	s_cvt_u32_f32 s12, s4
	s_sub_co_i32 s4, 0, s16
	s_wait_alu 0xfffe
	s_delay_alu instid0(SALU_CYCLE_1)
	s_mul_i32 s5, s4, s12
	s_abs_i32 s4, s19
	s_mul_hi_u32 s13, s12, s5
	s_mov_b32 s5, 0
	s_wait_alu 0xfffe
	s_add_co_i32 s24, s12, s13
	s_cmp_lt_i32 s3, 0
	s_mov_b32 s25, s5
	s_cbranch_scc0 .LBB161_7
; %bb.6:
	s_mul_i32 s6, s8, s6
	s_mov_b32 s26, s5
	s_add_co_i32 s6, s15, s6
	s_delay_alu instid0(SALU_CYCLE_1) | instskip(NEXT) | instid1(SALU_CYCLE_1)
	s_mul_i32 s6, s6, s3
	s_sub_co_i32 s23, 1, s6
.LBB161_7:
	s_mul_u64 s[12:13], s[4:5], s[24:25]
	s_ashr_i32 s5, s19, 31
	s_and_not1_b32 vcc_lo, exec_lo, s26
	s_ashr_i32 s11, s11, 31
	s_cbranch_vccnz .LBB161_9
; %bb.8:
	s_mul_i32 s6, s35, s8
	s_delay_alu instid0(SALU_CYCLE_1) | instskip(NEXT) | instid1(SALU_CYCLE_1)
	s_add_co_i32 s6, s6, ttmp9
	s_mul_i32 s3, s6, s3
	s_wait_alu 0xfffe
	s_add_co_i32 s23, s3, 1
.LBB161_9:
	scratch_store_b32 off, v0, off offset:48 ; 4-byte Folded Spill
	s_clause 0x2
	s_load_b32 s3, s[0:1], 0x48
	s_load_b64 s[26:27], s[0:1], 0x38
	s_load_b32 s8, s[0:1], 0x98
	scratch_load_b32 v0, off, off           ; 4-byte Folded Reload
	s_mul_i32 s6, s13, s16
	s_xor_b32 s5, s5, s11
	s_sub_co_i32 s4, s4, s6
	s_add_co_i32 s12, s13, 1
	v_mov_b32_e32 v4, 0xff7fffff
	s_mul_i32 s18, s15, s18
	s_wait_kmcnt 0x0
	s_mul_i32 s28, s3, s34
	s_sub_co_i32 s3, s4, s16
	s_ashr_i32 s29, s28, 31
	s_cmp_ge_u32 s4, s16
	s_wait_alu 0xfffe
	s_cselect_b32 s6, s12, s13
	s_cselect_b32 s3, s3, s4
	s_add_co_i32 s4, s6, 1
	s_wait_alu 0xfffe
	s_cmp_ge_u32 s3, s16
	s_cselect_b32 s3, s4, s6
	s_add_co_i32 s4, s21, 15
	s_lshl_b32 s38, s33, 5
	s_ashr_i32 s6, s4, 31
	s_delay_alu instid0(SALU_CYCLE_1) | instskip(NEXT) | instid1(SALU_CYCLE_1)
	s_lshr_b32 s6, s6, 28
	s_add_co_i32 s4, s4, s6
	s_add_co_i32 s6, s38, 32
	s_ashr_i32 s36, s4, 4
	s_wait_alu 0xfffe
	s_xor_b32 s4, s3, s5
	s_min_i32 s25, s6, s36
	s_sub_co_i32 s37, s4, s5
	s_wait_loadcnt 0x0
	v_lshrrev_b32_e32 v0, 5, v0
	s_delay_alu instid0(VALU_DEP_1)
	v_or_b32_e32 v111, s38, v0
	v_lshl_add_u32 v110, v0, 4, s20
	scratch_store_b32 off, v0, off offset:40 ; 4-byte Folded Spill
	v_lshlrev_b32_e32 v10, 2, v111
	v_cmp_gt_i32_e64 s3, s25, v111
	s_and_saveexec_b32 s12, s3
	s_cbranch_execz .LBB161_21
; %bb.10:
	scratch_load_b32 v0, off, off           ; 4-byte Folded Reload
	s_ashr_i32 s19, s18, 31
	s_sub_co_i32 s13, s37, s9
	s_lshl_b64 s[30:31], s[18:19], 1
	s_cmp_neq_f32 s14, 0
	s_load_b64 s[40:41], s[0:1], 0x20
	v_and_b32_e32 v2, 8, v9
	s_mov_b32 s19, 0
	s_cselect_b32 vcc_lo, -1, 0
	s_abs_i32 s15, s10
	s_lshl_b64 s[42:43], s[28:29], 2
	s_cvt_f32_u32 s4, s15
	s_add_nc_u64 s[42:43], s[26:27], s[42:43]
	s_sub_co_i32 s6, 0, s15
	v_mov_b32_e32 v22, v111
	v_rcp_iflag_f32_e32 v1, s4
	scratch_store_b32 off, v10, off offset:56 ; 4-byte Folded Spill
	v_readfirstlane_b32 s5, v1
	s_wait_kmcnt 0x0
	s_add_nc_u64 s[30:31], s[40:41], s[30:31]
	s_mul_f32 s5, s5, 0x4f7ffffe
	s_wait_loadcnt 0x0
	v_bfe_u32 v5, v0, 1, 4
	scratch_load_b32 v0, off, off offset:44 ; 4-byte Folded Reload
	v_lshlrev_b32_e32 v3, 4, v5
	v_subrev_nc_u32_e32 v4, s21, v5
	scratch_store_b32 off, v5, off offset:32 ; 4-byte Folded Spill
	v_lshlrev_b32_e32 v5, 2, v5
	s_wait_loadcnt 0x0
	v_cmp_eq_u32_e64 s4, 0, v0
	v_lshlrev_b32_e32 v0, 8, v0
	scratch_store_b32 off, v0, off offset:16 ; 4-byte Folded Spill
	scratch_load_b32 v0, off, off offset:40 ; 4-byte Folded Reload
	s_wait_loadcnt 0x0
	v_lshl_or_b32 v1, v0, 6, v5
	v_lshl_add_u32 v17, v0, 4, s20
	v_add_nc_u32_e32 v0, 1, v4
	s_delay_alu instid0(VALU_DEP_3) | instskip(SKIP_2) | instid1(VALU_DEP_1)
	v_add_nc_u32_e32 v19, 0x220, v1
	scratch_store_b32 off, v0, off offset:36 ; 4-byte Folded Spill
	v_mbcnt_lo_u32_b32 v0, -1, 0
	v_xor_b32_e32 v0, 1, v0
	scratch_store_b32 off, v0, off offset:28 ; 4-byte Folded Spill
	v_mov_b32_e32 v0, 0xff7fffff
	v_add_co_u32 v3, s30, s30, v3
	s_wait_alu 0xf1ff
	v_add_co_ci_u32_e64 v5, null, s31, 0, s30
	s_wait_alu 0xfffe
	s_cvt_u32_f32 s31, s5
	v_add_co_u32 v2, s5, v3, v2
	s_clause 0x1
	scratch_store_b32 off, v9, off offset:52
	scratch_store_b32 off, v0, off offset:4
	s_wait_alu 0xfffe
	s_mul_i32 s6, s6, s31
	scratch_store_b32 off, v2, off offset:20 ; 4-byte Folded Spill
	v_add_co_ci_u32_e64 v2, null, 0, v5, s5
	v_add_co_u32 v5, s5, s42, v10
	s_wait_alu 0xf1ff
	v_add_co_ci_u32_e64 v6, null, s43, 0, s5
	s_mul_hi_u32 s5, s31, s6
	s_mov_b32 s30, s17
	s_wait_alu 0xfffe
	s_add_co_i32 s31, s31, s5
	s_clause 0x2
	scratch_store_b32 off, v2, off offset:24
	scratch_store_b32 off, v110, off offset:8
	;; [unrolled: 1-line block ×3, first 2 shown]
	s_branch .LBB161_13
.LBB161_11:                             ;   in Loop: Header=BB161_13 Depth=1
	s_wait_alu 0xfffe
	s_or_b32 exec_lo, exec_lo, s39
	s_clause 0x1
	scratch_load_b32 v110, off, off offset:8
	scratch_load_b32 v111, off, off offset:12
.LBB161_12:                             ;   in Loop: Header=BB161_13 Depth=1
	s_wait_alu 0xfffe
	s_or_b32 exec_lo, exec_lo, s6
	v_add_nc_u32_e32 v22, 4, v22
	v_add_co_u32 v5, s6, v5, 16
	s_wait_alu 0xf1ff
	v_add_co_ci_u32_e64 v6, null, 0, v6, s6
	s_delay_alu instid0(VALU_DEP_3) | instskip(SKIP_3) | instid1(SALU_CYCLE_1)
	v_cmp_le_i32_e64 s5, s25, v22
	v_add_nc_u32_e32 v17, 64, v17
	v_add_nc_u32_e32 v19, 0x100, v19
	s_or_b32 s19, s5, s19
	s_and_not1_b32 exec_lo, exec_lo, s19
	s_cbranch_execz .LBB161_20
.LBB161_13:                             ; =>This Inner Loop Header: Depth=1
	v_sub_nc_u32_e32 v1, 0, v17
	s_delay_alu instid0(VALU_DEP_1) | instskip(SKIP_1) | instid1(VALU_DEP_1)
	v_max_i32_e32 v1, v17, v1
	s_wait_dscnt 0x0
	v_mul_hi_u32 v2, v1, s24
	s_delay_alu instid0(VALU_DEP_1) | instskip(NEXT) | instid1(VALU_DEP_1)
	v_mul_lo_u32 v3, v2, s16
	v_sub_nc_u32_e32 v1, v1, v3
	v_add_nc_u32_e32 v3, 1, v2
	s_delay_alu instid0(VALU_DEP_2) | instskip(SKIP_2) | instid1(VALU_DEP_1)
	v_subrev_nc_u32_e32 v4, s16, v1
	v_cmp_le_u32_e64 s5, s16, v1
	s_wait_alu 0xf1ff
	v_cndmask_b32_e64 v2, v2, v3, s5
	s_delay_alu instid0(VALU_DEP_3) | instskip(SKIP_1) | instid1(VALU_DEP_3)
	v_cndmask_b32_e64 v1, v1, v4, s5
	v_ashrrev_i32_e32 v3, 31, v17
	v_add_nc_u32_e32 v4, 1, v2
	s_delay_alu instid0(VALU_DEP_3) | instskip(NEXT) | instid1(VALU_DEP_3)
	v_cmp_le_u32_e64 s5, s16, v1
	v_xor_b32_e32 v3, s11, v3
	s_wait_alu 0xf1ff
	s_delay_alu instid0(VALU_DEP_2) | instskip(NEXT) | instid1(VALU_DEP_1)
	v_cndmask_b32_e64 v1, v2, v4, s5
	v_xor_b32_e32 v1, v1, v3
	s_delay_alu instid0(VALU_DEP_1) | instskip(NEXT) | instid1(VALU_DEP_1)
	v_sub_nc_u32_e32 v1, v1, v3
	v_add_nc_u32_e32 v2, s23, v1
	v_cmp_ge_i32_e64 s6, s13, v1
	s_delay_alu instid0(VALU_DEP_2) | instskip(NEXT) | instid1(VALU_DEP_1)
	v_sub_nc_u32_e32 v3, 0, v2
	v_max_i32_e32 v3, v2, v3
	v_ashrrev_i32_e32 v2, 31, v2
	s_wait_alu 0xfffe
	s_delay_alu instid0(VALU_DEP_2) | instskip(NEXT) | instid1(VALU_DEP_1)
	v_mul_hi_u32 v4, v3, s31
	v_mul_lo_u32 v4, v4, s15
	s_delay_alu instid0(VALU_DEP_1) | instskip(NEXT) | instid1(VALU_DEP_1)
	v_sub_nc_u32_e32 v3, v3, v4
	v_subrev_nc_u32_e32 v4, s15, v3
	v_cmp_le_u32_e64 s5, s15, v3
	s_wait_alu 0xf1ff
	s_delay_alu instid0(VALU_DEP_1) | instskip(NEXT) | instid1(VALU_DEP_1)
	v_cndmask_b32_e64 v3, v3, v4, s5
	v_subrev_nc_u32_e32 v4, s15, v3
	v_cmp_le_u32_e64 s5, s15, v3
	s_wait_alu 0xf1ff
	s_delay_alu instid0(VALU_DEP_1) | instskip(NEXT) | instid1(VALU_DEP_1)
	v_cndmask_b32_e64 v3, v3, v4, s5
	v_xor_b32_e32 v3, v3, v2
	s_delay_alu instid0(VALU_DEP_1) | instskip(NEXT) | instid1(VALU_DEP_1)
	v_sub_nc_u32_e32 v2, v3, v2
	v_cmp_ne_u32_e64 s5, 0, v2
	s_and_b32 s5, s5, s6
	s_wait_alu 0xfffe
	s_and_saveexec_b32 s6, s5
	s_wait_alu 0xfffe
	s_xor_b32 s5, exec_lo, s6
	s_cbranch_execz .LBB161_17
; %bb.14:                               ;   in Loop: Header=BB161_13 Depth=1
	s_and_saveexec_b32 s6, s4
; %bb.15:                               ;   in Loop: Header=BB161_13 Depth=1
	v_mov_b32_e32 v0, 0xff7fffff
	ds_store_b32 v19, v0
; %bb.16:                               ;   in Loop: Header=BB161_13 Depth=1
	s_wait_alu 0xfffe
	s_or_b32 exec_lo, exec_lo, s6
.LBB161_17:                             ;   in Loop: Header=BB161_13 Depth=1
	s_wait_alu 0xfffe
	s_and_not1_saveexec_b32 s6, s5
	s_cbranch_execz .LBB161_12
; %bb.18:                               ;   in Loop: Header=BB161_13 Depth=1
	global_load_b32 v1, v[5:6], off
	scratch_load_b32 v0, off, off offset:20 ; 4-byte Folded Reload
	s_wait_loadcnt 0x1
	v_mad_co_i64_i32 v[1:2], null, v1, s30, 0
	s_delay_alu instid0(VALU_DEP_1) | instskip(SKIP_1) | instid1(VALU_DEP_1)
	v_lshlrev_b64_e32 v[1:2], 1, v[1:2]
	s_wait_loadcnt 0x0
	v_add_co_u32 v7, s5, v0, v1
	scratch_load_b32 v0, off, off offset:24 ; 4-byte Folded Reload
	s_wait_loadcnt 0x0
	s_wait_alu 0xf1ff
	v_add_co_ci_u32_e64 v8, null, v0, v2, s5
	s_clause 0x5
	global_load_b64 v[72:73], v[7:8], off offset:256
	global_load_b64 v[92:93], v[7:8], off offset:512
	;; [unrolled: 1-line block ×3, first 2 shown]
	global_load_b64 v[96:97], v[7:8], off
	global_load_b64 v[98:99], v[7:8], off offset:1024
	global_load_b64 v[100:101], v[7:8], off offset:1280
	scratch_load_b32 v0, off, off offset:16 ; 4-byte Folded Reload
	s_wait_loadcnt 0x0
	ds_load_b128 v[24:27], v0
	ds_load_b128 v[28:31], v0 offset:16
	ds_load_b128 v[32:35], v0 offset:32
	;; [unrolled: 1-line block ×15, first 2 shown]
	s_wait_dscnt 0xb
	v_and_b32_e32 v143, 0xffff0000, v42
	s_wait_dscnt 0xa
	v_and_b32_e32 v145, 0xffff0000, v44
	s_wait_dscnt 0x9
	v_and_b32_e32 v149, 0xffff0000, v48
	v_lshlrev_b32_e32 v151, 16, v50
	v_lshlrev_b32_e32 v153, 16, v51
	s_wait_dscnt 0x8
	v_lshlrev_b32_e32 v159, 16, v54
	v_and_b32_e32 v134, 0xffff0000, v33
	v_and_b32_e32 v162, 0xffff0000, v55
	s_wait_dscnt 0x7
	v_lshlrev_b32_e32 v163, 16, v56
	v_and_b32_e32 v164, 0xffff0000, v56
	v_lshlrev_b32_e32 v165, 16, v57
	v_and_b32_e32 v166, 0xffff0000, v57
	v_and_b32_e32 v168, 0xffff0000, v58
	s_wait_dscnt 0x6
	v_and_b32_e32 v176, 0xffff0000, v62
	v_and_b32_e32 v178, 0xffff0000, v63
	s_wait_dscnt 0x5
	v_lshlrev_b32_e32 v179, 16, v64
	v_and_b32_e32 v152, 0xffff0000, v50
	v_lshlrev_b32_e32 v175, 16, v62
	v_and_b32_e32 v180, 0xffff0000, v64
	;; [unrolled: 2-line block ×3, first 2 shown]
	s_wait_dscnt 0x4
	v_lshlrev_b32_e32 v187, 16, v68
	v_and_b32_e32 v188, 0xffff0000, v68
	s_wait_dscnt 0x3
	v_lshlrev_b32_e32 v9, 16, v80
	v_and_b32_e32 v77, 0xffff0000, v80
	v_lshlrev_b32_e32 v18, 16, v82
	v_and_b32_e32 v128, 0xffff0000, v27
	s_wait_dscnt 0x2
	v_lshlrev_b32_e32 v0, 16, v84
	v_and_b32_e32 v132, 0xffff0000, v31
	;; [unrolled: 5-line block ×3, first 2 shown]
	v_lshlrev_b32_e32 v155, 16, v52
	v_and_b32_e32 v130, 0xffff0000, v29
	v_and_b32_e32 v56, 0xffff0000, v93
	v_lshlrev_b32_e32 v119, 16, v42
	v_and_b32_e32 v42, 0xffff0000, v72
	v_lshlrev_b32_e32 v57, 16, v94
	;; [unrolled: 2-line block ×3, first 2 shown]
	v_and_b32_e32 v126, 0xffff0000, v24
	v_and_b32_e32 v48, 0xffff0000, v73
	v_lshlrev_b32_e32 v107, 16, v30
	v_lshlrev_b32_e32 v104, 16, v27
	;; [unrolled: 1-line block ×3, first 2 shown]
	v_and_b32_e32 v127, 0xffff0000, v25
	v_and_b32_e32 v68, 0xffff0000, v99
	;; [unrolled: 1-line block ×6, first 2 shown]
	v_lshlrev_b32_e32 v167, 16, v58
	v_and_b32_e32 v58, 0xffff0000, v94
	v_lshlrev_b32_e32 v121, 16, v44
	v_lshlrev_b32_e32 v120, 16, v43
	;; [unrolled: 1-line block ×8, first 2 shown]
	v_and_b32_e32 v24, 0xffff0000, v26
	v_lshlrev_b32_e32 v105, 16, v28
	v_and_b32_e32 v148, 0xffff0000, v47
	v_lshlrev_b32_e32 v171, 16, v60
	;; [unrolled: 2-line block ×3, first 2 shown]
	v_lshlrev_b32_e32 v123, 16, v46
	v_and_b32_e32 v46, 0xffff0000, v96
	v_dual_mul_f32 v96, v24, v42 :: v_dual_lshlrev_b32 v109, 16, v32
	v_and_b32_e32 v156, 0xffff0000, v52
	v_dual_mul_f32 v24, v104, v43 :: v_dual_mul_f32 v25, v103, v25
	s_delay_alu instid0(VALU_DEP_3)
	v_fmac_f32_e32 v96, v126, v46
	v_and_b32_e32 v52, 0xffff0000, v92
	v_lshlrev_b32_e32 v72, 16, v101
	v_and_b32_e32 v135, 0xffff0000, v34
	v_and_b32_e32 v129, 0xffff0000, v28
	v_lshlrev_b32_e32 v115, 16, v38
	v_and_b32_e32 v154, 0xffff0000, v51
	global_load_b64 v[26:27], v[7:8], off offset:1536
	v_fmac_f32_e32 v25, v74, v44
	v_lshlrev_b32_e32 v51, 16, v92
	v_fmac_f32_e32 v96, v129, v52
	v_lshlrev_b32_e32 v106, 16, v29
	v_and_b32_e32 v138, 0xffff0000, v37
	v_and_b32_e32 v137, 0xffff0000, v36
	;; [unrolled: 1-line block ×3, first 2 shown]
	v_dual_fmac_f32 v25, v105, v51 :: v_dual_fmac_f32 v96, v131, v58
	v_and_b32_e32 v64, 0xffff0000, v98
	v_lshlrev_b32_e32 v23, 16, v49
	v_and_b32_e32 v150, 0xffff0000, v49
	global_load_b64 v[28:29], v[7:8], off offset:1792
	v_dual_mul_f32 v74, v128, v48 :: v_dual_lshlrev_b32 v49, 16, v97
	v_dual_fmac_f32 v25, v107, v57 :: v_dual_fmac_f32 v96, v133, v64
	v_lshlrev_b32_e32 v177, 16, v63
	v_lshlrev_b32_e32 v63, 16, v98
	;; [unrolled: 1-line block ×3, first 2 shown]
	v_dual_fmac_f32 v24, v102, v49 :: v_dual_lshlrev_b32 v111, 16, v34
	v_lshlrev_b32_e32 v161, 16, v55
	v_lshlrev_b32_e32 v191, 16, v70
	v_and_b32_e32 v75, 0xffff0000, v70
	v_dual_fmac_f32 v25, v109, v63 :: v_dual_lshlrev_b32 v70, 16, v100
	v_lshlrev_b32_e32 v108, 16, v31
	s_clause 0x1
	global_load_b64 v[30:31], v[7:8], off offset:2048
	global_load_b64 v[32:33], v[7:8], off offset:2304
	v_and_b32_e32 v160, 0xffff0000, v54
	v_lshlrev_b32_e32 v54, 16, v93
	v_lshlrev_b32_e32 v117, 16, v40
	v_dual_fmac_f32 v25, v111, v70 :: v_dual_and_b32 v50, 0xffff0000, v97
	v_lshlrev_b32_e32 v12, 16, v88
	s_delay_alu instid0(VALU_DEP_4)
	v_fmac_f32_e32 v24, v106, v54
	v_and_b32_e32 v140, 0xffff0000, v39
	v_and_b32_e32 v170, 0xffff0000, v59
	v_lshlrev_b32_e32 v173, 16, v61
	v_and_b32_e32 v174, 0xffff0000, v61
	v_fmac_f32_e32 v24, v108, v60
	v_and_b32_e32 v10, 0xffff0000, v71
	v_and_b32_e32 v70, 0xffff0000, v100
	;; [unrolled: 1-line block ×3, first 2 shown]
	v_lshlrev_b32_e32 v20, 16, v81
	v_dual_fmac_f32 v24, v110, v66 :: v_dual_lshlrev_b32 v113, 16, v36
	v_fmac_f32_e32 v74, v127, v50
	v_and_b32_e32 v182, 0xffff0000, v65
	v_and_b32_e32 v190, 0xffff0000, v69
	v_lshlrev_b32_e32 v76, 16, v71
	v_and_b32_e32 v82, 0xffff0000, v82
	v_fmac_f32_e32 v74, v130, v56
	v_and_b32_e32 v84, 0xffff0000, v84
	v_and_b32_e32 v86, 0xffff0000, v86
	;; [unrolled: 1-line block ×3, first 2 shown]
	v_lshlrev_b32_e32 v14, 16, v91
	v_fmac_f32_e32 v74, v132, v62
	v_and_b32_e32 v90, 0xffff0000, v90
	s_wait_loadcnt 0x3
	v_lshlrev_b32_e32 v92, 16, v26
	v_lshlrev_b32_e32 v112, 16, v35
	global_load_b64 v[34:35], v[7:8], off offset:2560
	v_dual_fmac_f32 v25, v113, v92 :: v_dual_and_b32 v26, 0xffff0000, v26
	v_lshlrev_b32_e32 v114, 16, v37
	v_fmac_f32_e32 v24, v112, v72
	v_lshlrev_b32_e32 v92, 16, v27
	v_dual_fmac_f32 v96, v135, v70 :: v_dual_and_b32 v27, 0xffff0000, v27
	s_delay_alu instid0(VALU_DEP_2)
	v_fmac_f32_e32 v24, v114, v92
	s_wait_loadcnt 0x3
	v_lshlrev_b32_e32 v92, 16, v28
	v_and_b32_e32 v28, 0xffff0000, v28
	s_wait_dscnt 0x0
	v_lshlrev_b32_e32 v114, 16, v4
	s_delay_alu instid0(VALU_DEP_3)
	v_dual_fmac_f32 v25, v115, v92 :: v_dual_lshlrev_b32 v92, 16, v29
	s_wait_loadcnt 0x2
	v_lshlrev_b32_e32 v94, 16, v30
	v_lshlrev_b32_e32 v116, 16, v39
	s_clause 0x7
	global_load_b64 v[36:37], v[7:8], off offset:2816
	global_load_b64 v[38:39], v[7:8], off offset:3072
	;; [unrolled: 1-line block ×8, first 2 shown]
	v_fmac_f32_e32 v25, v117, v94
	s_wait_loadcnt 0x9
	v_lshlrev_b32_e32 v95, 16, v32
	v_lshlrev_b32_e32 v118, 16, v41
	v_and_b32_e32 v32, 0xffff0000, v32
	v_lshlrev_b32_e32 v157, 16, v53
	global_load_b64 v[42:43], v[7:8], off offset:3584
	v_dual_fmac_f32 v25, v119, v95 :: v_dual_fmac_f32 v24, v116, v92
	v_lshlrev_b32_e32 v92, 16, v33
	s_clause 0x1
	global_load_b64 v[72:73], v[7:8], off offset:7424
	global_load_b64 v[70:71], v[7:8], off offset:7168
	s_wait_loadcnt 0xb
	v_lshlrev_b32_e32 v97, 16, v34
	s_delay_alu instid0(VALU_DEP_1)
	v_fmac_f32_e32 v25, v121, v97
	s_wait_loadcnt 0xa
	v_lshlrev_b32_e32 v94, 16, v37
	v_lshlrev_b32_e32 v169, 16, v59
	global_load_b64 v[58:59], v[7:8], off offset:5632
	v_lshlrev_b32_e32 v98, 16, v36
	v_lshlrev_b32_e32 v122, 16, v45
	s_wait_loadcnt 0xa
	v_lshlrev_b32_e32 v99, 16, v38
	s_wait_loadcnt 0x5
	v_lshlrev_b32_e32 v110, 16, v60
	v_and_b32_e32 v60, 0xffff0000, v60
	v_and_b32_e32 v29, 0xffff0000, v29
	;; [unrolled: 1-line block ×3, first 2 shown]
	s_wait_loadcnt 0x4
	v_lshlrev_b32_e32 v111, 16, v62
	v_lshlrev_b32_e32 v124, 16, v47
	global_load_b64 v[46:47], v[7:8], off offset:4096
	v_dual_fmac_f32 v25, v123, v98 :: v_dual_and_b32 v36, 0xffff0000, v36
	v_lshlrev_b32_e32 v107, 16, v54
	v_lshlrev_b32_e32 v108, 16, v56
	s_delay_alu instid0(VALU_DEP_3)
	v_dual_fmac_f32 v25, v125, v99 :: v_dual_lshlrev_b32 v98, 16, v61
	v_and_b32_e32 v61, 0xffff0000, v61
	s_wait_loadcnt 0x1
	v_lshlrev_b32_e32 v109, 16, v58
	v_and_b32_e32 v158, 0xffff0000, v53
	global_load_b64 v[52:53], v[7:8], off offset:4864
	v_lshlrev_b32_e32 v104, 16, v48
	v_and_b32_e32 v142, 0xffff0000, v41
	global_load_b64 v[40:41], v[7:8], off offset:3328
	;; [unrolled: 3-line block ×3, first 2 shown]
	v_lshlrev_b32_e32 v101, 16, v42
	s_wait_loadcnt 0x3
	v_lshlrev_b32_e32 v103, 16, v46
	v_and_b32_e32 v48, 0xffff0000, v48
	s_wait_loadcnt 0x2
	v_lshlrev_b32_e32 v106, 16, v52
	v_and_b32_e32 v52, 0xffff0000, v52
	v_lshlrev_b32_e32 v97, 16, v53
	s_wait_loadcnt 0x1
	v_lshlrev_b32_e32 v100, 16, v40
	s_wait_loadcnt 0x0
	v_lshlrev_b32_e32 v102, 16, v44
	s_delay_alu instid0(VALU_DEP_2) | instskip(NEXT) | instid1(VALU_DEP_1)
	v_dual_fmac_f32 v25, v100, v151 :: v_dual_and_b32 v44, 0xffff0000, v44
	v_fmac_f32_e32 v25, v101, v155
	s_delay_alu instid0(VALU_DEP_1) | instskip(NEXT) | instid1(VALU_DEP_1)
	v_fmac_f32_e32 v25, v102, v159
	v_dual_fmac_f32 v74, v134, v68 :: v_dual_fmac_f32 v25, v103, v163
	s_delay_alu instid0(VALU_DEP_1) | instskip(NEXT) | instid1(VALU_DEP_1)
	v_fmac_f32_e32 v74, v136, v80
	v_fmac_f32_e32 v74, v138, v27
	;; [unrolled: 1-line block ×3, first 2 shown]
	v_lshlrev_b32_e32 v26, 16, v1
	s_delay_alu instid0(VALU_DEP_3) | instskip(NEXT) | instid1(VALU_DEP_3)
	v_fmac_f32_e32 v74, v140, v29
	v_fmac_f32_e32 v96, v139, v28
	v_and_b32_e32 v28, 0xffff0000, v30
	v_lshlrev_b32_e32 v30, 16, v31
	v_and_b32_e32 v29, 0xffff0000, v34
	v_lshlrev_b32_e32 v34, 16, v35
	s_delay_alu instid0(VALU_DEP_4) | instskip(NEXT) | instid1(VALU_DEP_4)
	v_fmac_f32_e32 v96, v141, v28
	v_fmac_f32_e32 v24, v118, v30
	v_and_b32_e32 v28, 0xffff0000, v38
	v_and_b32_e32 v30, 0xffff0000, v40
	v_lshlrev_b32_e32 v40, 16, v41
	v_fmac_f32_e32 v96, v143, v32
	v_and_b32_e32 v32, 0xffff0000, v46
	v_fmac_f32_e32 v24, v120, v92
	v_lshlrev_b32_e32 v38, 16, v39
	v_lshlrev_b32_e32 v46, 16, v47
	v_dual_fmac_f32 v96, v145, v29 :: v_dual_and_b32 v29, 0xffff0000, v54
	s_delay_alu instid0(VALU_DEP_4) | instskip(SKIP_2) | instid1(VALU_DEP_4)
	v_fmac_f32_e32 v24, v122, v34
	v_and_b32_e32 v34, 0xffff0000, v56
	v_lshlrev_b32_e32 v92, 16, v49
	v_dual_fmac_f32 v96, v147, v36 :: v_dual_fmac_f32 v25, v104, v167
	v_and_b32_e32 v36, 0xffff0000, v62
	v_and_b32_e32 v31, 0xffff0000, v31
	v_lshlrev_b32_e32 v62, 16, v63
	v_and_b32_e32 v33, 0xffff0000, v33
	v_fmac_f32_e32 v25, v105, v171
	v_lshlrev_b32_e32 v54, 16, v55
	v_fmac_f32_e32 v74, v142, v31
	v_dual_fmac_f32 v96, v149, v28 :: v_dual_and_b32 v31, 0xffff0000, v42
	s_delay_alu instid0(VALU_DEP_4) | instskip(SKIP_1) | instid1(VALU_DEP_4)
	v_fmac_f32_e32 v25, v106, v175
	v_lshlrev_b32_e32 v42, 16, v43
	v_dual_fmac_f32 v74, v144, v33 :: v_dual_and_b32 v33, 0xffff0000, v50
	v_lshlrev_b32_e32 v50, 16, v51
	s_delay_alu instid0(VALU_DEP_4) | instskip(SKIP_3) | instid1(VALU_DEP_4)
	v_dual_fmac_f32 v25, v107, v179 :: v_dual_fmac_f32 v96, v30, v152
	v_lshlrev_b32_e32 v56, 16, v57
	v_and_b32_e32 v55, 0xffff0000, v55
	v_and_b32_e32 v57, 0xffff0000, v57
	v_fmac_f32_e32 v25, v108, v183
	v_dual_fmac_f32 v96, v31, v156 :: v_dual_lshlrev_b32 v181, 16, v65
	global_load_b64 v[64:65], v[7:8], off offset:6400
	v_and_b32_e32 v63, 0xffff0000, v63
	v_fmac_f32_e32 v25, v109, v187
	s_delay_alu instid0(VALU_DEP_1)
	v_fmac_f32_e32 v25, v110, v191
	v_dual_fmac_f32 v96, v44, v160 :: v_dual_lshlrev_b32 v189, 16, v69
	global_load_b64 v[68:69], v[7:8], off offset:6912
	v_dual_fmac_f32 v25, v111, v9 :: v_dual_fmac_f32 v24, v124, v94
	v_dual_fmac_f32 v96, v32, v164 :: v_dual_and_b32 v13, 0xffff0000, v81
	v_lshlrev_b32_e32 v32, 16, v70
	s_delay_alu instid0(VALU_DEP_3) | instskip(NEXT) | instid1(VALU_DEP_3)
	v_fmac_f32_e32 v24, v23, v38
	v_dual_fmac_f32 v96, v48, v168 :: v_dual_lshlrev_b32 v15, 16, v85
	v_and_b32_e32 v38, 0xffff0000, v71
	s_delay_alu instid0(VALU_DEP_3) | instskip(NEXT) | instid1(VALU_DEP_3)
	v_fmac_f32_e32 v24, v40, v153
	v_dual_fmac_f32 v96, v33, v172 :: v_dual_and_b32 v41, 0xffff0000, v41
	v_lshlrev_b32_e32 v185, 16, v67
	s_clause 0x2
	global_load_b64 v[66:67], v[7:8], off offset:6656
	global_load_b64 v[80:81], v[7:8], off offset:7680
	;; [unrolled: 1-line block ×3, first 2 shown]
	v_dual_fmac_f32 v96, v52, v176 :: v_dual_lshlrev_b32 v79, 16, v89
	v_dual_fmac_f32 v24, v42, v157 :: v_dual_lshlrev_b32 v33, 16, v71
	s_delay_alu instid0(VALU_DEP_2) | instskip(SKIP_1) | instid1(VALU_DEP_2)
	v_fmac_f32_e32 v96, v29, v180
	v_lshlrev_b32_e32 v29, 16, v72
	v_fmac_f32_e32 v96, v34, v184
	v_and_b32_e32 v34, 0xffff0000, v72
	s_wait_loadcnt 0x4
	v_lshlrev_b32_e32 v112, 16, v64
	v_and_b32_e32 v64, 0xffff0000, v64
	v_and_b32_e32 v35, 0xffff0000, v35
	v_lshlrev_b32_e32 v94, 16, v65
	v_and_b32_e32 v65, 0xffff0000, v65
	s_delay_alu instid0(VALU_DEP_3)
	v_dual_fmac_f32 v25, v112, v18 :: v_dual_fmac_f32 v74, v146, v35
	v_and_b32_e32 v35, 0xffff0000, v58
	v_lshlrev_b32_e32 v58, 16, v59
	s_wait_loadcnt 0x3
	v_lshlrev_b32_e32 v28, 16, v68
	v_and_b32_e32 v23, 0xffff0000, v68
	v_and_b32_e32 v39, 0xffff0000, v39
	;; [unrolled: 1-line block ×3, first 2 shown]
	v_dual_fmac_f32 v96, v35, v188 :: v_dual_lshlrev_b32 v95, 16, v45
	v_and_b32_e32 v45, 0xffff0000, v45
	v_lshlrev_b32_e32 v35, 16, v73
	v_and_b32_e32 v49, 0xffff0000, v49
	s_delay_alu instid0(VALU_DEP_4)
	v_fmac_f32_e32 v24, v95, v161
	v_fmac_f32_e32 v96, v60, v75
	v_lshlrev_b32_e32 v21, 16, v83
	v_and_b32_e32 v59, 0xffff0000, v59
	v_lshlrev_b32_e32 v30, 16, v69
	v_dual_fmac_f32 v24, v46, v165 :: v_dual_lshlrev_b32 v11, 16, v87
	s_wait_loadcnt 0x2
	v_lshlrev_b32_e32 v113, 16, v66
	v_and_b32_e32 v66, 0xffff0000, v66
	v_and_b32_e32 v37, 0xffff0000, v37
	s_wait_loadcnt 0x1
	v_dual_fmac_f32 v24, v92, v169 :: v_dual_lshlrev_b32 v9, 16, v80
	v_fmac_f32_e32 v25, v113, v0
	v_and_b32_e32 v87, 0xffff0000, v87
	v_lshlrev_b32_e32 v0, 16, v81
	s_delay_alu instid0(VALU_DEP_4) | instskip(NEXT) | instid1(VALU_DEP_4)
	v_dual_fmac_f32 v24, v50, v173 :: v_dual_lshlrev_b32 v99, 16, v67
	v_fmac_f32_e32 v25, v28, v16
	v_and_b32_e32 v91, 0xffff0000, v91
	s_delay_alu instid0(VALU_DEP_3) | instskip(NEXT) | instid1(VALU_DEP_1)
	v_dual_fmac_f32 v24, v97, v177 :: v_dual_and_b32 v67, 0xffff0000, v67
	v_dual_fmac_f32 v25, v32, v12 :: v_dual_fmac_f32 v24, v54, v181
	s_delay_alu instid0(VALU_DEP_1) | instskip(NEXT) | instid1(VALU_DEP_1)
	v_fmac_f32_e32 v25, v29, v78
	v_dual_fmac_f32 v25, v9, v26 :: v_dual_fmac_f32 v74, v148, v37
	v_and_b32_e32 v37, 0xffff0000, v70
	v_and_b32_e32 v43, 0xffff0000, v43
	s_delay_alu instid0(VALU_DEP_3) | instskip(NEXT) | instid1(VALU_DEP_1)
	v_dual_fmac_f32 v74, v150, v39 :: v_dual_and_b32 v39, 0xffff0000, v73
	v_fmac_f32_e32 v74, v41, v154
	v_dual_fmac_f32 v24, v56, v185 :: v_dual_lshlrev_b32 v93, 16, v2
	v_and_b32_e32 v2, 0xffff0000, v2
	s_delay_alu instid0(VALU_DEP_3) | instskip(NEXT) | instid1(VALU_DEP_3)
	v_dual_fmac_f32 v74, v43, v158 :: v_dual_and_b32 v53, 0xffff0000, v53
	v_dual_fmac_f32 v24, v58, v189 :: v_dual_and_b32 v51, 0xffff0000, v51
	s_delay_alu instid0(VALU_DEP_2) | instskip(SKIP_1) | instid1(VALU_DEP_3)
	v_fmac_f32_e32 v74, v45, v162
	v_fmac_f32_e32 v96, v36, v77
	;; [unrolled: 1-line block ×3, first 2 shown]
	s_delay_alu instid0(VALU_DEP_2) | instskip(NEXT) | instid1(VALU_DEP_2)
	v_fmac_f32_e32 v96, v64, v82
	v_fmac_f32_e32 v24, v62, v20
	s_delay_alu instid0(VALU_DEP_2) | instskip(NEXT) | instid1(VALU_DEP_2)
	v_fmac_f32_e32 v96, v66, v84
	v_fmac_f32_e32 v24, v94, v21
	;; [unrolled: 3-line block ×3, first 2 shown]
	s_delay_alu instid0(VALU_DEP_2) | instskip(NEXT) | instid1(VALU_DEP_2)
	v_dual_fmac_f32 v96, v37, v88 :: v_dual_and_b32 v47, 0xffff0000, v47
	v_fmac_f32_e32 v24, v30, v11
	s_wait_loadcnt 0x0
	v_lshlrev_b32_e32 v11, 16, v7
	s_delay_alu instid0(VALU_DEP_3) | instskip(SKIP_2) | instid1(VALU_DEP_2)
	v_dual_fmac_f32 v96, v34, v90 :: v_dual_and_b32 v7, 0xffff0000, v7
	v_dual_fmac_f32 v74, v47, v166 :: v_dual_and_b32 v83, 0xffff0000, v83
	;; [unrolled: 1-line block ×4, first 2 shown]
	s_delay_alu instid0(VALU_DEP_2) | instskip(NEXT) | instid1(VALU_DEP_2)
	v_fmac_f32_e32 v24, v35, v14
	v_fmac_f32_e32 v74, v51, v174
	s_delay_alu instid0(VALU_DEP_2) | instskip(SKIP_3) | instid1(VALU_DEP_1)
	v_fmac_f32_e32 v24, v0, v93
	v_and_b32_e32 v0, 0xffff0000, v4
	scratch_load_b32 v4, off, off offset:28 ; 4-byte Folded Reload
	v_dual_fmac_f32 v74, v53, v178 :: v_dual_and_b32 v1, 0xffff0000, v1
	v_fmac_f32_e32 v74, v55, v182
	s_delay_alu instid0(VALU_DEP_1) | instskip(NEXT) | instid1(VALU_DEP_1)
	v_dual_fmac_f32 v74, v57, v186 :: v_dual_lshlrev_b32 v27, 16, v3
	v_dual_fmac_f32 v74, v59, v190 :: v_dual_and_b32 v3, 0xffff0000, v3
	s_delay_alu instid0(VALU_DEP_1) | instskip(SKIP_1) | instid1(VALU_DEP_2)
	v_dual_fmac_f32 v25, v11, v27 :: v_dual_fmac_f32 v74, v61, v10
	v_and_b32_e32 v10, 0xffff0000, v80
	v_fmac_f32_e32 v74, v63, v13
	s_delay_alu instid0(VALU_DEP_2) | instskip(SKIP_1) | instid1(VALU_DEP_3)
	v_fmac_f32_e32 v96, v10, v1
	v_and_b32_e32 v13, 0xffff0000, v81
	v_dual_fmac_f32 v74, v65, v83 :: v_dual_lshlrev_b32 v1, 16, v8
	s_delay_alu instid0(VALU_DEP_3) | instskip(SKIP_1) | instid1(VALU_DEP_3)
	v_fmac_f32_e32 v96, v7, v3
	v_mbcnt_lo_u32_b32 v3, -1, 0
	v_fmac_f32_e32 v24, v1, v114
	s_delay_alu instid0(VALU_DEP_3) | instskip(NEXT) | instid1(VALU_DEP_1)
	v_dual_fmac_f32 v74, v67, v85 :: v_dual_add_f32 v1, v25, v96
	v_fmac_f32_e32 v74, v31, v87
	s_delay_alu instid0(VALU_DEP_1) | instskip(NEXT) | instid1(VALU_DEP_1)
	v_fmac_f32_e32 v74, v38, v89
	v_fmac_f32_e32 v74, v39, v91
	s_delay_alu instid0(VALU_DEP_1) | instskip(SKIP_1) | instid1(VALU_DEP_1)
	v_fmac_f32_e32 v74, v13, v2
	v_and_b32_e32 v2, 0xffff0000, v8
	v_fmac_f32_e32 v74, v2, v0
	v_add_f32_e32 v0, v1, v24
	s_delay_alu instid0(VALU_DEP_1) | instskip(SKIP_3) | instid1(VALU_DEP_1)
	v_add_f32_e32 v1, v74, v0
	s_wait_loadcnt 0x0
	v_cmp_gt_i32_e64 s5, 32, v4
	s_wait_alu 0xf1ff
	v_cndmask_b32_e64 v3, v3, v4, s5
	s_delay_alu instid0(VALU_DEP_1)
	v_lshlrev_b32_e32 v2, 2, v3
	ds_bpermute_b32 v2, v2, v1
	s_and_saveexec_b32 s39, s4
	s_cbranch_execz .LBB161_11
; %bb.19:                               ;   in Loop: Header=BB161_13 Depth=1
	s_clause 0x1
	scratch_load_b32 v0, off, off offset:36
	scratch_load_b32 v3, off, off offset:4
	s_wait_loadcnt_dscnt 0x100
	v_dual_add_f32 v1, v1, v2 :: v_dual_add_nc_u32 v0, v0, v17
	s_delay_alu instid0(VALU_DEP_1) | instskip(NEXT) | instid1(VALU_DEP_1)
	v_cvt_f32_i32_e32 v0, v0
	v_mul_f32_e32 v0, s14, v0
	s_delay_alu instid0(VALU_DEP_1) | instskip(NEXT) | instid1(VALU_DEP_1)
	v_cndmask_b32_e32 v0, 0, v0, vcc_lo
	v_fmac_f32_e32 v0, s7, v1
	scratch_load_b32 v1, off, off offset:32 ; 4-byte Folded Reload
	s_wait_loadcnt 0x1
	v_max_num_f32_e32 v2, v3, v3
	s_wait_loadcnt 0x0
	s_delay_alu instid0(VALU_DEP_1) | instskip(NEXT) | instid1(VALU_DEP_1)
	v_dual_max_num_f32 v2, v2, v0 :: v_dual_add_nc_u32 v1, v1, v17
	v_cmp_gt_i32_e64 s5, s21, v1
	s_wait_alu 0xf1ff
	s_delay_alu instid0(VALU_DEP_1) | instskip(NEXT) | instid1(VALU_DEP_3)
	v_cndmask_b32_e64 v0, 0, v0, s5
	v_cndmask_b32_e64 v3, v3, v2, s5
	ds_store_b32 v19, v0
	scratch_store_b32 off, v3, off offset:4 ; 4-byte Folded Spill
	s_branch .LBB161_11
.LBB161_20:
	s_or_b32 exec_lo, exec_lo, s19
	s_clause 0x2
	scratch_load_b32 v9, off, off offset:52
	scratch_load_b32 v10, off, off offset:56
	;; [unrolled: 1-line block ×3, first 2 shown]
.LBB161_21:
	s_wait_alu 0xfffe
	s_or_b32 exec_lo, exec_lo, s12
	v_mbcnt_lo_u32_b32 v0, -1, 0
	s_wait_loadcnt 0x0
	v_max_num_f32_e32 v5, v4, v4
	s_clause 0x2
	s_load_b128 s[12:15], s[0:1], 0x0
	s_load_b64 s[6:7], s[0:1], 0x10
	s_load_b64 s[30:31], s[0:1], 0x28
	v_xor_b32_e32 v1, 16, v0
	s_wait_dscnt 0x0
	v_xor_b32_e32 v2, 8, v0
	s_delay_alu instid0(VALU_DEP_2) | instskip(SKIP_2) | instid1(VALU_DEP_3)
	v_cmp_gt_i32_e32 vcc_lo, 32, v1
	s_wait_alu 0xfffd
	v_cndmask_b32_e32 v1, v0, v1, vcc_lo
	v_cmp_gt_i32_e32 vcc_lo, 32, v2
	s_wait_alu 0xfffd
	s_delay_alu instid0(VALU_DEP_2) | instskip(SKIP_3) | instid1(VALU_DEP_1)
	v_dual_cndmask_b32 v2, v0, v2 :: v_dual_lshlrev_b32 v3, 2, v1
	ds_bpermute_b32 v1, v3, v4
	s_wait_dscnt 0x0
	v_dual_max_num_f32 v1, v1, v1 :: v_dual_lshlrev_b32 v4, 2, v2
	v_max_num_f32_e32 v1, v5, v1
	v_xor_b32_e32 v5, 4, v0
	s_delay_alu instid0(VALU_DEP_1) | instskip(SKIP_2) | instid1(VALU_DEP_1)
	v_cmp_gt_i32_e32 vcc_lo, 32, v5
	s_wait_alu 0xfffd
	v_cndmask_b32_e32 v5, v0, v5, vcc_lo
	v_lshlrev_b32_e32 v6, 2, v5
	v_xor_b32_e32 v5, 2, v0
	s_delay_alu instid0(VALU_DEP_1)
	v_cmp_gt_i32_e32 vcc_lo, 32, v5
	s_wait_alu 0xfffd
	v_cndmask_b32_e32 v5, v0, v5, vcc_lo
	scratch_load_b32 v0, off, off           ; 4-byte Folded Reload
	s_wait_loadcnt 0x0
	v_and_b32_e32 v80, 31, v0
	scratch_load_b32 v0, off, off offset:40 ; 4-byte Folded Reload
	ds_bpermute_b32 v2, v4, v1
	v_cmp_eq_u32_e32 vcc_lo, 0, v80
	s_wait_dscnt 0x0
	v_max_num_f32_e32 v2, v2, v2
	s_delay_alu instid0(VALU_DEP_1) | instskip(SKIP_3) | instid1(VALU_DEP_1)
	v_max_num_f32_e32 v1, v1, v2
	ds_bpermute_b32 v2, v6, v1
	s_wait_dscnt 0x0
	v_max_num_f32_e32 v2, v2, v2
	v_dual_max_num_f32 v1, v1, v2 :: v_dual_lshlrev_b32 v2, 2, v5
	ds_bpermute_b32 v5, v2, v1
	s_wait_loadcnt 0x0
	v_lshlrev_b32_e32 v7, 2, v0
	s_and_saveexec_b32 s0, vcc_lo
	s_cbranch_execz .LBB161_23
; %bb.22:
	s_wait_dscnt 0x0
	v_max_num_f32_e32 v0, v5, v5
	v_max_num_f32_e32 v1, v1, v1
	s_delay_alu instid0(VALU_DEP_1)
	v_max_num_f32_e32 v0, v1, v0
	ds_store_b32 v7, v0 offset:512
.LBB161_23:
	s_or_b32 exec_lo, exec_lo, s0
	v_cmp_gt_u32_e64 s0, 4, v80
	v_dual_mov_b32 v1, 0xff7fffff :: v_dual_lshlrev_b32 v8, 2, v80
	s_wait_storecnt_dscnt 0x0
	s_barrier_signal -1
	s_barrier_wait -1
	global_inv scope:SCOPE_SE
	s_and_saveexec_b32 s1, s0
; %bb.24:
	ds_load_b32 v1, v8 offset:512
; %bb.25:
	s_or_b32 exec_lo, exec_lo, s1
	s_wait_dscnt 0x0
	ds_bpermute_b32 v0, v2, v1
	v_mbcnt_lo_u32_b32 v11, -1, 0
	v_max_num_f32_e32 v1, v1, v1
	s_delay_alu instid0(VALU_DEP_2) | instskip(NEXT) | instid1(VALU_DEP_1)
	v_xor_b32_e32 v5, 1, v11
	v_cmp_gt_i32_e64 s1, 32, v5
	s_delay_alu instid0(VALU_DEP_1)
	v_cndmask_b32_e64 v5, v11, v5, s1
	s_sub_co_i32 s1, s25, s38
	v_mov_b32_e32 v11, 0
	s_wait_alu 0xfffe
	s_lshl_b32 s1, s1, 4
	s_wait_dscnt 0x0
	v_dual_max_num_f32 v0, v0, v0 :: v_dual_lshlrev_b32 v81, 2, v5
	s_wait_alu 0xfffe
	s_add_co_i32 s1, s1, s20
	s_wait_alu 0xfffe
	s_min_i32 s1, s1, s21
	v_max_num_f32_e32 v0, v1, v0
	s_wait_alu 0xfffe
	s_sub_co_i32 s5, s1, s20
	ds_bpermute_b32 v1, v81, v0
	s_wait_dscnt 0x0
	v_max_num_f32_e32 v1, v1, v1
	s_delay_alu instid0(VALU_DEP_1)
	v_max_num_f32_e32 v0, v0, v1
	ds_bpermute_b32 v1, v11, v0
	scratch_load_b32 v0, off, off           ; 4-byte Folded Reload
	s_wait_loadcnt 0x0
	s_wait_alu 0xfffe
	v_cmp_gt_i32_e64 s1, s5, v0
	v_lshl_add_u32 v5, v0, 2, 0x220
	s_and_saveexec_b32 s19, s1
	s_cbranch_execz .LBB161_29
; %bb.26:
	scratch_load_b32 v13, off, off          ; 4-byte Folded Reload
	v_mov_b32_e32 v11, 0
	s_mov_b32 s38, 0
	s_wait_loadcnt 0x0
	v_lshl_add_u32 v12, v13, 2, 0x220
.LBB161_27:                             ; =>This Inner Loop Header: Depth=1
	ds_load_b32 v0, v12
	v_add_nc_u32_e32 v13, 0x80, v13
	s_delay_alu instid0(VALU_DEP_1) | instskip(SKIP_4) | instid1(VALU_DEP_1)
	v_cmp_le_i32_e64 s4, s5, v13
	s_wait_alu 0xfffe
	s_or_b32 s38, s4, s38
	s_wait_dscnt 0x0
	v_sub_f32_e32 v0, v0, v1
	v_mul_f32_e32 v0, 0x3fb8aa3b, v0
	s_delay_alu instid0(VALU_DEP_1)
	v_exp_f32_e32 v0, v0
	ds_store_b32 v12, v0
	v_add_f32_e32 v11, v11, v0
	v_add_nc_u32_e32 v12, 0x200, v12
	s_wait_alu 0xfffe
	s_and_not1_b32 exec_lo, exec_lo, s38
	s_cbranch_execnz .LBB161_27
; %bb.28:
	s_or_b32 exec_lo, exec_lo, s38
.LBB161_29:
	s_delay_alu instid0(SALU_CYCLE_1)
	s_or_b32 exec_lo, exec_lo, s19
	ds_bpermute_b32 v0, v3, v11
	s_wait_dscnt 0x0
	v_add_f32_e32 v0, v11, v0
	ds_bpermute_b32 v3, v4, v0
	s_wait_dscnt 0x0
	v_add_f32_e32 v0, v0, v3
	;; [unrolled: 3-line block ×5, first 2 shown]
	s_and_saveexec_b32 s4, vcc_lo
; %bb.30:
	ds_store_b32 v7, v3 offset:528
; %bb.31:
	s_wait_alu 0xfffe
	s_or_b32 exec_lo, exec_lo, s4
	s_wait_dscnt 0x0
	s_barrier_signal -1
	s_barrier_wait -1
	global_inv scope:SCOPE_SE
	s_and_saveexec_b32 s4, s0
; %bb.32:
	ds_load_b32 v3, v8 offset:528
; %bb.33:
	s_wait_alu 0xfffe
	s_or_b32 exec_lo, exec_lo, s4
	s_wait_dscnt 0x0
	ds_bpermute_b32 v0, v2, v3
	s_wait_dscnt 0x0
	v_add_f32_e32 v0, v3, v0
	ds_bpermute_b32 v2, v81, v0
	s_wait_dscnt 0x0
	v_add_f32_e32 v0, v0, v2
	v_mov_b32_e32 v2, 0
	ds_bpermute_b32 v2, v2, v0
	s_and_saveexec_b32 s0, s1
	s_cbranch_execz .LBB161_36
; %bb.34:
	s_wait_dscnt 0x0
	v_add_f32_e32 v0, 0x358637bd, v2
	s_mov_b32 s1, 0
	s_delay_alu instid0(VALU_DEP_1) | instskip(SKIP_1) | instid1(VALU_DEP_2)
	v_div_scale_f32 v3, null, v0, v0, 1.0
	v_div_scale_f32 v7, vcc_lo, 1.0, v0, 1.0
	v_rcp_f32_e32 v4, v3
	s_delay_alu instid0(TRANS32_DEP_1) | instskip(NEXT) | instid1(VALU_DEP_1)
	v_fma_f32 v6, -v3, v4, 1.0
	v_fmac_f32_e32 v4, v6, v4
	s_delay_alu instid0(VALU_DEP_1) | instskip(NEXT) | instid1(VALU_DEP_1)
	v_mul_f32_e32 v6, v7, v4
	v_fma_f32 v8, -v3, v6, v7
	s_delay_alu instid0(VALU_DEP_1) | instskip(NEXT) | instid1(VALU_DEP_1)
	v_fmac_f32_e32 v6, v8, v4
	v_fma_f32 v3, -v3, v6, v7
	s_wait_alu 0xfffd
	s_delay_alu instid0(VALU_DEP_1)
	v_div_fmas_f32 v3, v3, v4, v6
	scratch_load_b32 v4, off, off           ; 4-byte Folded Reload
	v_div_fixup_f32 v3, v3, v0, 1.0
.LBB161_35:                             ; =>This Inner Loop Header: Depth=1
	ds_load_b32 v0, v5
	s_wait_loadcnt 0x0
	v_add_nc_u32_e32 v4, 0x80, v4
	s_delay_alu instid0(VALU_DEP_1)
	v_cmp_le_i32_e32 vcc_lo, s5, v4
	s_wait_alu 0xfffe
	s_or_b32 s1, vcc_lo, s1
	s_wait_dscnt 0x0
	v_mul_f32_e32 v0, v3, v0
	ds_store_b32 v5, v0
	v_add_nc_u32_e32 v5, 0x200, v5
	s_wait_alu 0xfffe
	s_and_not1_b32 exec_lo, exec_lo, s1
	s_cbranch_execnz .LBB161_35
.LBB161_36:
	s_wait_alu 0xfffe
	s_or_b32 exec_lo, exec_lo, s0
	s_wait_loadcnt_dscnt 0x0
	s_barrier_signal -1
	scratch_load_b32 v0, off, off           ; 4-byte Folded Reload
	s_mul_i32 s0, s8, s34
	s_barrier_wait -1
	s_wait_alu 0xfffe
	s_mul_i32 s4, s0, s35
	s_mov_b32 s0, exec_lo
	s_wait_loadcnt 0x0
	global_inv scope:SCOPE_SE
	v_cmpx_eq_u32_e32 0, v0
	s_cbranch_execz .LBB161_38
; %bb.37:
	s_wait_alu 0xfffe
	s_ashr_i32 s5, s4, 31
	s_mul_i32 s34, s8, ttmp9
	s_lshl_b32 s1, s33, 2
	s_wait_alu 0xfffe
	s_lshl_b64 s[38:39], s[4:5], 2
	s_ashr_i32 s35, s34, 31
	v_mov_b32_e32 v0, s1
	s_wait_kmcnt 0x0
	s_wait_alu 0xfffe
	s_add_nc_u64 s[14:15], s[14:15], s[38:39]
	s_lshl_b64 s[34:35], s[34:35], 2
	s_add_nc_u64 s[12:13], s[12:13], s[38:39]
	s_wait_alu 0xfffe
	s_add_nc_u64 s[14:15], s[14:15], s[34:35]
	s_add_nc_u64 s[12:13], s[12:13], s[34:35]
	s_clause 0x1
	global_store_b32 v0, v1, s[14:15]
	global_store_b32 v0, v2, s[12:13]
.LBB161_38:
	s_wait_alu 0xfffe
	s_or_b32 exec_lo, exec_lo, s0
	v_dual_mov_b32 v97, 0 :: v_dual_mov_b32 v96, 0
	v_dual_mov_b32 v95, 0 :: v_dual_mov_b32 v94, 0
	;; [unrolled: 1-line block ×8, first 2 shown]
	s_and_saveexec_b32 s1, s3
	s_cbranch_execz .LBB161_76
; %bb.39:
	s_abs_i32 s3, s10
	s_clause 0x1
	scratch_load_b32 v1, off, off
	scratch_load_b32 v2, off, off offset:40
	s_wait_alu 0xfffe
	s_cvt_f32_u32 s0, s3
	s_ashr_i32 s19, s18, 31
	s_wait_kmcnt 0x0
	s_lshl_b64 s[14:15], s[28:29], 2
	s_lshl_b64 s[18:19], s[18:19], 1
	s_wait_alu 0xfffe
	v_rcp_iflag_f32_e32 v0, s0
	s_add_nc_u64 s[14:15], s[26:27], s[14:15]
	s_add_nc_u64 s[18:19], s[30:31], s[18:19]
	s_sub_co_i32 s13, 0, s3
	s_sub_co_i32 s5, s37, s9
	s_mov_b32 s9, s17
	s_wait_alu 0xfffe
	v_add_co_u32 v73, s14, s14, v10
	v_dual_mov_b32 v83, 0 :: v_dual_and_b32 v98, 8, v9
	s_delay_alu instid0(TRANS32_DEP_1)
	v_readfirstlane_b32 s0, v0
	scratch_load_b32 v0, off, off offset:44 ; 4-byte Folded Reload
	s_wait_alu 0xf1ff
	v_add_co_ci_u32_e64 v74, null, s15, 0, s14
	v_dual_mov_b32 v87, 0 :: v_dual_mov_b32 v88, 0
	s_mul_f32 s0, s0, 0x4f7ffffe
	v_dual_mov_b32 v89, 0 :: v_dual_mov_b32 v90, 0
	v_dual_mov_b32 v91, 0 :: v_dual_mov_b32 v92, 0
	s_wait_alu 0xfffe
	s_cvt_u32_f32 s0, s0
	v_dual_mov_b32 v93, 0 :: v_dual_mov_b32 v94, 0
	v_dual_mov_b32 v95, 0 :: v_dual_mov_b32 v96, 0
	s_wait_alu 0xfffe
	s_mul_i32 s13, s13, s0
	v_mov_b32_e32 v97, 0
	s_wait_alu 0xfffe
	s_mul_hi_u32 s14, s0, s13
	s_add_co_i32 s10, s36, -1
	s_mov_b32 s12, 0
	s_mov_b32 s13, s21
	s_wait_alu 0xfffe
	s_add_co_i32 s14, s0, s14
	v_mov_b32_e32 v82, 0
	v_dual_mov_b32 v84, 0 :: v_dual_mov_b32 v85, 0
	s_wait_loadcnt 0x2
	v_dual_mov_b32 v86, 0 :: v_dual_lshlrev_b32 v1, 4, v1
	s_delay_alu instid0(VALU_DEP_1) | instskip(NEXT) | instid1(VALU_DEP_1)
	v_and_b32_e32 v1, 0x1f0, v1
	v_add_co_u32 v99, s17, s18, v1
	s_wait_alu 0xf1ff
	v_add_co_ci_u32_e64 v100, null, s19, 0, s17
	s_wait_loadcnt 0x0
	v_lshlrev_b32_e32 v0, 5, v0
	s_delay_alu instid0(VALU_DEP_1) | instskip(NEXT) | instid1(VALU_DEP_1)
	v_lshl_or_b32 v0, v2, 6, v0
	v_add_nc_u32_e32 v101, 0x220, v0
	s_branch .LBB161_42
.LBB161_40:                             ;   in Loop: Header=BB161_42 Depth=1
	s_wait_alu 0xfffe
	s_or_b32 exec_lo, exec_lo, s0
	s_wait_dscnt 0x1
	v_bfe_u32 v0, v49, 16, 1
	v_or_b32_e32 v75, 0x400000, v49
	v_bfe_u32 v76, v50, 16, 1
	v_cmp_u_f32_e32 vcc_lo, v49, v49
	v_bfe_u32 v77, v51, 16, 1
	v_add3_u32 v0, v0, v49, 0x7fff
	v_or_b32_e32 v78, 0x400000, v50
	v_add3_u32 v76, v76, v50, 0x7fff
	v_or_b32_e32 v79, 0x400000, v51
	v_add3_u32 v77, v77, v51, 0x7fff
	s_wait_alu 0xfffd
	v_cndmask_b32_e32 v0, v0, v75, vcc_lo
	v_cmp_u_f32_e32 vcc_lo, v50, v50
	v_bfe_u32 v49, v52, 16, 1
	s_wait_dscnt 0x0
	v_bfe_u32 v75, v45, 16, 1
	s_wait_alu 0xfffd
	v_cndmask_b32_e32 v50, v76, v78, vcc_lo
	v_cmp_u_f32_e32 vcc_lo, v51, v51
	v_add3_u32 v49, v49, v52, 0x7fff
	v_or_b32_e32 v76, 0x400000, v52
	v_add3_u32 v75, v75, v45, 0x7fff
	v_bfe_u32 v78, v46, 16, 1
	s_wait_alu 0xfffd
	v_cndmask_b32_e32 v51, v77, v79, vcc_lo
	v_cmp_u_f32_e32 vcc_lo, v52, v52
	v_or_b32_e32 v77, 0x400000, v45
	s_wait_alu 0xfffd
	s_delay_alu instid0(VALU_DEP_3)
	v_dual_cndmask_b32 v52, v49, v76 :: v_dual_and_b32 v51, 0xffff0000, v51
	v_cmp_u_f32_e32 vcc_lo, v45, v45
	v_add3_u32 v49, v78, v46, 0x7fff
	v_or_b32_e32 v76, 0x400000, v46
	v_bfe_u32 v78, v48, 16, 1
	v_and_b32_e32 v45, 0xffff0000, v50
	s_wait_alu 0xfffd
	v_cndmask_b32_e32 v75, v75, v77, vcc_lo
	v_bfe_u32 v77, v47, 16, 1
	v_cmp_u_f32_e32 vcc_lo, v46, v46
	s_wait_loadcnt 0x1
	v_and_b32_e32 v50, 0xffff0000, v69
	s_delay_alu instid0(VALU_DEP_3)
	v_add3_u32 v46, v77, v47, 0x7fff
	v_or_b32_e32 v77, 0x400000, v47
	s_wait_alu 0xfffd
	v_cndmask_b32_e32 v76, v49, v76, vcc_lo
	v_cmp_u_f32_e32 vcc_lo, v47, v47
	v_add3_u32 v47, v78, v48, 0x7fff
	v_and_b32_e32 v49, 0xffff0000, v0
	v_lshlrev_b32_e32 v0, 16, v69
	s_wait_alu 0xfffd
	v_cndmask_b32_e32 v69, v46, v77, vcc_lo
	v_or_b32_e32 v77, 0x400000, v48
	v_cmp_u_f32_e32 vcc_lo, v48, v48
	v_and_b32_e32 v46, 0xffff0000, v52
	s_wait_alu 0xfffd
	s_delay_alu instid0(VALU_DEP_3) | instskip(SKIP_1) | instid1(VALU_DEP_2)
	v_cndmask_b32_e32 v48, v47, v77, vcc_lo
	v_mul_f32_e32 v0, v49, v0
	v_and_b32_e32 v48, 0xffff0000, v48
	v_and_b32_e32 v52, 0xffff0000, v70
	s_delay_alu instid0(VALU_DEP_1) | instskip(SKIP_1) | instid1(VALU_DEP_2)
	v_dual_mul_f32 v79, v46, v52 :: v_dual_mul_f32 v50, v45, v50
	v_lshlrev_b32_e32 v52, 16, v70
	v_bfe_u32 v78, v50, 16, 1
	v_or_b32_e32 v77, 0x400000, v50
	v_cmp_u_f32_e32 vcc_lo, v50, v50
	s_delay_alu instid0(VALU_DEP_4)
	v_mul_f32_e32 v102, v51, v52
	v_and_b32_e32 v52, 0xffff0000, v71
	v_add3_u32 v47, v78, v50, 0x7fff
	v_lshlrev_b32_e32 v71, 16, v71
	v_bfe_u32 v78, v0, 16, 1
	s_wait_alu 0xfffd
	s_delay_alu instid0(VALU_DEP_3) | instskip(NEXT) | instid1(VALU_DEP_2)
	v_dual_cndmask_b32 v70, v47, v77 :: v_dual_and_b32 v47, 0xffff0000, v76
	v_add3_u32 v50, v78, v0, 0x7fff
	v_or_b32_e32 v77, 0x400000, v0
	v_bfe_u32 v78, v79, 16, 1
	v_cmp_u_f32_e32 vcc_lo, v0, v0
	v_or_b32_e32 v76, 0x400000, v79
	v_and_b32_e32 v70, 0xffff0000, v70
	s_wait_alu 0xfffd
	v_cndmask_b32_e32 v0, v50, v77, vcc_lo
	v_add3_u32 v50, v78, v79, 0x7fff
	v_cmp_u_f32_e32 vcc_lo, v79, v79
	v_mul_f32_e32 v78, v47, v52
	v_and_b32_e32 v52, 0xffff0000, v75
	v_and_b32_e32 v79, 0xffff0000, v72
	s_wait_alu 0xfffd
	v_cndmask_b32_e32 v75, v50, v76, vcc_lo
	s_delay_alu instid0(VALU_DEP_3) | instskip(NEXT) | instid1(VALU_DEP_2)
	v_dual_mul_f32 v71, v52, v71 :: v_dual_and_b32 v0, 0xffff0000, v0
	v_and_b32_e32 v75, 0xffff0000, v75
	v_bfe_u32 v77, v102, 16, 1
	v_or_b32_e32 v76, 0x400000, v102
	v_cmp_u_f32_e32 vcc_lo, v102, v102
	v_or_b32_e32 v103, 0x400000, v71
	v_add_f32_e32 v0, v0, v70
	v_add3_u32 v50, v77, v102, 0x7fff
	v_bfe_u32 v77, v78, 16, 1
	v_bfe_u32 v102, v71, 16, 1
	s_wait_alu 0xfffd
	s_delay_alu instid0(VALU_DEP_3) | instskip(NEXT) | instid1(VALU_DEP_3)
	v_cndmask_b32_e32 v76, v50, v76, vcc_lo
	v_add3_u32 v77, v77, v78, 0x7fff
	v_and_b32_e32 v50, 0xffff0000, v69
	v_lshlrev_b32_e32 v69, 16, v72
	v_or_b32_e32 v72, 0x400000, v78
	v_cmp_u_f32_e32 vcc_lo, v78, v78
	v_add3_u32 v102, v102, v71, 0x7fff
	s_wait_alu 0xfffd
	s_delay_alu instid0(VALU_DEP_3) | instskip(SKIP_2) | instid1(VALU_DEP_2)
	v_cndmask_b32_e32 v72, v77, v72, vcc_lo
	v_cmp_u_f32_e32 vcc_lo, v71, v71
	s_wait_alu 0xfffd
	v_dual_cndmask_b32 v71, v102, v103 :: v_dual_and_b32 v72, 0xffff0000, v72
	s_delay_alu instid0(VALU_DEP_1) | instskip(SKIP_1) | instid1(VALU_DEP_1)
	v_and_b32_e32 v71, 0xffff0000, v71
	v_and_b32_e32 v76, 0xffff0000, v76
	v_add_f32_e32 v70, v76, v75
	s_delay_alu instid0(VALU_DEP_1) | instskip(NEXT) | instid1(VALU_DEP_4)
	v_add_f32_e32 v0, v70, v0
	v_dual_add_f32 v70, v71, v72 :: v_dual_and_b32 v71, 0xffff0000, v65
	s_delay_alu instid0(VALU_DEP_1) | instskip(NEXT) | instid1(VALU_DEP_2)
	v_dual_add_f32 v0, v70, v0 :: v_dual_lshlrev_b32 v65, 16, v65
	v_mul_f32_e32 v71, v45, v71
	v_mul_f32_e32 v69, v50, v69
	s_delay_alu instid0(VALU_DEP_3) | instskip(SKIP_1) | instid1(VALU_DEP_3)
	v_dual_mul_f32 v65, v49, v65 :: v_dual_and_b32 v70, 0xffff0000, v66
	v_lshlrev_b32_e32 v66, 16, v66
	v_bfe_u32 v78, v69, 16, 1
	v_or_b32_e32 v103, 0x400000, v69
	v_cmp_u_f32_e32 vcc_lo, v69, v69
	v_or_b32_e32 v76, 0x400000, v65
	s_delay_alu instid0(VALU_DEP_4) | instskip(SKIP_1) | instid1(VALU_DEP_1)
	v_add3_u32 v78, v78, v69, 0x7fff
	s_wait_alu 0xfffd
	v_cndmask_b32_e32 v69, v78, v103, vcc_lo
	v_mul_f32_e32 v79, v48, v79
	s_delay_alu instid0(VALU_DEP_2) | instskip(NEXT) | instid1(VALU_DEP_2)
	v_and_b32_e32 v69, 0xffff0000, v69
	v_bfe_u32 v104, v79, 16, 1
	v_or_b32_e32 v102, 0x400000, v79
	v_cmp_u_f32_e32 vcc_lo, v79, v79
	s_delay_alu instid0(VALU_DEP_3) | instskip(SKIP_1) | instid1(VALU_DEP_1)
	v_add3_u32 v77, v104, v79, 0x7fff
	s_wait_alu 0xfffd
	v_cndmask_b32_e32 v75, v77, v102, vcc_lo
	v_cmp_u_f32_e32 vcc_lo, v71, v71
	s_delay_alu instid0(VALU_DEP_2) | instskip(SKIP_1) | instid1(VALU_DEP_2)
	v_and_b32_e32 v72, 0xffff0000, v75
	v_bfe_u32 v75, v65, 16, 1
	v_add_f32_e32 v69, v69, v72
	v_bfe_u32 v72, v71, 16, 1
	s_delay_alu instid0(VALU_DEP_3) | instskip(NEXT) | instid1(VALU_DEP_3)
	v_add3_u32 v75, v75, v65, 0x7fff
	v_dual_add_f32 v0, v69, v0 :: v_dual_mul_f32 v69, v46, v70
	s_delay_alu instid0(VALU_DEP_3) | instskip(SKIP_1) | instid1(VALU_DEP_3)
	v_add3_u32 v70, v72, v71, 0x7fff
	v_or_b32_e32 v72, 0x400000, v71
	v_bfe_u32 v77, v69, 16, 1
	s_wait_alu 0xfffd
	s_delay_alu instid0(VALU_DEP_2)
	v_cndmask_b32_e32 v70, v70, v72, vcc_lo
	v_cmp_u_f32_e32 vcc_lo, v65, v65
	v_or_b32_e32 v72, 0x400000, v69
	v_add3_u32 v71, v77, v69, 0x7fff
	s_wait_alu 0xfffd
	v_cndmask_b32_e32 v65, v75, v76, vcc_lo
	v_cmp_u_f32_e32 vcc_lo, v69, v69
	v_and_b32_e32 v75, 0xffff0000, v67
	v_lshlrev_b32_e32 v67, 16, v67
	s_delay_alu instid0(VALU_DEP_4)
	v_and_b32_e32 v65, 0xffff0000, v65
	s_wait_alu 0xfffd
	v_cndmask_b32_e32 v69, v71, v72, vcc_lo
	v_mul_f32_e32 v66, v51, v66
	v_mul_f32_e32 v71, v47, v75
	v_mul_f32_e32 v67, v52, v67
	v_add_f32_e32 v83, v83, v0
	v_and_b32_e32 v69, 0xffff0000, v69
	v_bfe_u32 v76, v66, 16, 1
	v_or_b32_e32 v75, 0x400000, v66
	v_bfe_u32 v77, v71, 16, 1
	v_cmp_u_f32_e32 vcc_lo, v66, v66
	v_bfe_u32 v78, v67, 16, 1
	v_add3_u32 v72, v76, v66, 0x7fff
	v_and_b32_e32 v76, 0xffff0000, v68
	s_wait_alu 0xfffd
	s_delay_alu instid0(VALU_DEP_2) | instskip(NEXT) | instid1(VALU_DEP_2)
	v_cndmask_b32_e32 v66, v72, v75, vcc_lo
	v_mul_f32_e32 v72, v48, v76
	v_add3_u32 v75, v77, v71, 0x7fff
	v_or_b32_e32 v76, 0x400000, v71
	v_cmp_u_f32_e32 vcc_lo, v71, v71
	v_add3_u32 v77, v78, v67, 0x7fff
	v_or_b32_e32 v78, 0x400000, v67
	s_wait_alu 0xfffd
	v_dual_cndmask_b32 v71, v75, v76 :: v_dual_and_b32 v66, 0xffff0000, v66
	v_cmp_u_f32_e32 vcc_lo, v67, v67
	s_delay_alu instid0(VALU_DEP_2) | instskip(SKIP_4) | instid1(VALU_DEP_2)
	v_add_f32_e32 v66, v66, v69
	v_and_b32_e32 v69, 0xffff0000, v61
	v_lshlrev_b32_e32 v61, 16, v61
	s_wait_alu 0xfffd
	v_cndmask_b32_e32 v67, v77, v78, vcc_lo
	v_dual_mul_f32 v61, v49, v61 :: v_dual_and_b32 v70, 0xffff0000, v70
	s_delay_alu instid0(VALU_DEP_2) | instskip(SKIP_4) | instid1(VALU_DEP_4)
	v_and_b32_e32 v67, 0xffff0000, v67
	v_bfe_u32 v79, v72, 16, 1
	v_or_b32_e32 v76, 0x400000, v72
	v_cmp_u_f32_e32 vcc_lo, v72, v72
	v_dual_add_f32 v65, v65, v70 :: v_dual_lshlrev_b32 v68, 16, v68
	v_add3_u32 v75, v79, v72, 0x7fff
	s_wait_alu 0xfffd
	s_delay_alu instid0(VALU_DEP_1) | instskip(SKIP_3) | instid1(VALU_DEP_2)
	v_dual_add_f32 v65, v66, v65 :: v_dual_cndmask_b32 v72, v75, v76
	v_and_b32_e32 v76, 0xffff0000, v64
	v_and_b32_e32 v70, 0xffff0000, v71
	v_mul_f32_e32 v68, v50, v68
	v_dual_add_f32 v67, v67, v70 :: v_dual_lshlrev_b32 v64, 16, v64
	s_delay_alu instid0(VALU_DEP_2) | instskip(SKIP_1) | instid1(VALU_DEP_3)
	v_bfe_u32 v75, v68, 16, 1
	v_cmp_u_f32_e32 vcc_lo, v68, v68
	v_add_f32_e32 v65, v67, v65
	v_dual_mul_f32 v66, v45, v69 :: v_dual_and_b32 v67, 0xffff0000, v62
	s_delay_alu instid0(VALU_DEP_4) | instskip(SKIP_1) | instid1(VALU_DEP_3)
	v_add3_u32 v71, v75, v68, 0x7fff
	v_or_b32_e32 v75, 0x400000, v68
	v_mul_f32_e32 v67, v46, v67
	s_delay_alu instid0(VALU_DEP_4)
	v_bfe_u32 v69, v66, 16, 1
	v_or_b32_e32 v70, 0x400000, v66
	s_wait_alu 0xfffd
	v_cndmask_b32_e32 v68, v71, v75, vcc_lo
	v_cmp_u_f32_e32 vcc_lo, v66, v66
	v_bfe_u32 v71, v61, 16, 1
	v_add3_u32 v69, v69, v66, 0x7fff
	v_and_b32_e32 v75, 0xffff0000, v63
	v_lshlrev_b32_e32 v63, 16, v63
	v_lshlrev_b32_e32 v62, 16, v62
	s_wait_alu 0xfffd
	v_cndmask_b32_e32 v66, v69, v70, vcc_lo
	v_add3_u32 v69, v71, v61, 0x7fff
	v_or_b32_e32 v70, 0x400000, v61
	v_bfe_u32 v71, v67, 16, 1
	v_cmp_u_f32_e32 vcc_lo, v61, v61
	v_mul_f32_e32 v63, v52, v63
	v_dual_mul_f32 v75, v47, v75 :: v_dual_and_b32 v66, 0xffff0000, v66
	s_wait_alu 0xfffd
	v_cndmask_b32_e32 v61, v69, v70, vcc_lo
	v_add3_u32 v69, v71, v67, 0x7fff
	v_or_b32_e32 v70, 0x400000, v67
	v_cmp_u_f32_e32 vcc_lo, v67, v67
	v_or_b32_e32 v77, 0x400000, v63
	v_mul_f32_e32 v62, v51, v62
	v_and_b32_e32 v68, 0xffff0000, v68
	v_dual_mul_f32 v64, v50, v64 :: v_dual_and_b32 v61, 0xffff0000, v61
	s_wait_alu 0xfffd
	v_cndmask_b32_e32 v67, v69, v70, vcc_lo
	v_bfe_u32 v71, v62, 16, 1
	v_or_b32_e32 v70, 0x400000, v62
	v_cmp_u_f32_e32 vcc_lo, v62, v62
	v_add_f32_e32 v61, v61, v66
	v_bfe_u32 v79, v64, 16, 1
	v_add3_u32 v69, v71, v62, 0x7fff
	v_bfe_u32 v71, v75, 16, 1
	s_wait_alu 0xfffd
	s_delay_alu instid0(VALU_DEP_2) | instskip(SKIP_1) | instid1(VALU_DEP_3)
	v_dual_cndmask_b32 v62, v69, v70 :: v_dual_and_b32 v67, 0xffff0000, v67
	v_bfe_u32 v69, v63, 16, 1
	v_add3_u32 v70, v71, v75, 0x7fff
	v_mul_f32_e32 v71, v48, v76
	v_or_b32_e32 v76, 0x400000, v75
	v_cmp_u_f32_e32 vcc_lo, v75, v75
	v_add3_u32 v69, v69, v63, 0x7fff
	v_add3_u32 v75, v79, v64, 0x7fff
	v_bfe_u32 v78, v71, 16, 1
	v_and_b32_e32 v62, 0xffff0000, v62
	s_wait_alu 0xfffd
	v_cndmask_b32_e32 v70, v70, v76, vcc_lo
	v_cmp_u_f32_e32 vcc_lo, v63, v63
	v_or_b32_e32 v76, 0x400000, v64
	s_wait_alu 0xfffd
	v_dual_add_f32 v62, v62, v67 :: v_dual_cndmask_b32 v63, v69, v77
	v_cmp_u_f32_e32 vcc_lo, v64, v64
	v_add3_u32 v69, v78, v71, 0x7fff
	v_or_b32_e32 v77, 0x400000, v71
	s_wait_alu 0xfffd
	v_dual_cndmask_b32 v64, v75, v76 :: v_dual_and_b32 v63, 0xffff0000, v63
	v_cmp_u_f32_e32 vcc_lo, v71, v71
	s_wait_alu 0xfffd
	v_cndmask_b32_e32 v67, v69, v77, vcc_lo
	v_and_b32_e32 v69, 0xffff0000, v72
	v_dual_add_f32 v61, v62, v61 :: v_dual_and_b32 v66, 0xffff0000, v70
	s_delay_alu instid0(VALU_DEP_1) | instskip(NEXT) | instid1(VALU_DEP_4)
	v_dual_add_f32 v62, v63, v66 :: v_dual_and_b32 v63, 0xffff0000, v64
	v_and_b32_e32 v64, 0xffff0000, v67
	v_and_b32_e32 v66, 0xffff0000, v57
	v_add_f32_e32 v67, v68, v69
	v_lshlrev_b32_e32 v57, 16, v57
	s_delay_alu instid0(VALU_DEP_4) | instskip(NEXT) | instid1(VALU_DEP_3)
	v_dual_add_f32 v61, v62, v61 :: v_dual_add_f32 v62, v63, v64
	v_dual_mul_f32 v63, v45, v66 :: v_dual_add_f32 v64, v67, v65
	s_delay_alu instid0(VALU_DEP_3) | instskip(NEXT) | instid1(VALU_DEP_3)
	v_mul_f32_e32 v57, v49, v57
	v_add_f32_e32 v0, v62, v61
	s_delay_alu instid0(VALU_DEP_3) | instskip(NEXT) | instid1(VALU_DEP_4)
	v_bfe_u32 v61, v63, 16, 1
	v_add_f32_e32 v84, v84, v64
	s_delay_alu instid0(VALU_DEP_4) | instskip(NEXT) | instid1(VALU_DEP_4)
	v_bfe_u32 v62, v57, 16, 1
	v_dual_add_f32 v85, v85, v0 :: v_dual_and_b32 v64, 0xffff0000, v58
	s_delay_alu instid0(VALU_DEP_4)
	v_add3_u32 v0, v61, v63, 0x7fff
	v_or_b32_e32 v61, 0x400000, v63
	v_cmp_u_f32_e32 vcc_lo, v63, v63
	v_add3_u32 v62, v62, v57, 0x7fff
	v_mul_f32_e32 v64, v46, v64
	v_or_b32_e32 v65, 0x400000, v57
	s_wait_alu 0xfffd
	v_cndmask_b32_e32 v0, v0, v61, vcc_lo
	v_cmp_u_f32_e32 vcc_lo, v57, v57
	v_lshlrev_b32_e32 v58, 16, v58
	v_bfe_u32 v61, v64, 16, 1
	v_or_b32_e32 v63, 0x400000, v64
	s_wait_alu 0xfffd
	v_dual_cndmask_b32 v57, v62, v65 :: v_dual_and_b32 v62, 0xffff0000, v59
	v_dual_mul_f32 v58, v51, v58 :: v_dual_lshlrev_b32 v59, 16, v59
	v_add3_u32 v61, v61, v64, 0x7fff
	v_cmp_u_f32_e32 vcc_lo, v64, v64
	s_delay_alu instid0(VALU_DEP_4) | instskip(NEXT) | instid1(VALU_DEP_4)
	v_dual_mul_f32 v62, v47, v62 :: v_dual_and_b32 v57, 0xffff0000, v57
	v_mul_f32_e32 v59, v52, v59
	v_bfe_u32 v65, v58, 16, 1
	s_wait_alu 0xfffd
	v_cndmask_b32_e32 v61, v61, v63, vcc_lo
	v_or_b32_e32 v64, 0x400000, v58
	v_cmp_u_f32_e32 vcc_lo, v58, v58
	v_bfe_u32 v67, v59, 16, 1
	v_add3_u32 v63, v65, v58, 0x7fff
	v_bfe_u32 v65, v62, 16, 1
	s_wait_alu 0xfffd
	s_delay_alu instid0(VALU_DEP_2) | instskip(NEXT) | instid1(VALU_DEP_2)
	v_dual_cndmask_b32 v58, v63, v64 :: v_dual_and_b32 v61, 0xffff0000, v61
	v_add3_u32 v63, v65, v62, 0x7fff
	v_or_b32_e32 v65, 0x400000, v62
	v_cmp_u_f32_e32 vcc_lo, v62, v62
	s_delay_alu instid0(VALU_DEP_4) | instskip(SKIP_4) | instid1(VALU_DEP_3)
	v_and_b32_e32 v58, 0xffff0000, v58
	v_and_b32_e32 v66, 0xffff0000, v60
	s_wait_alu 0xfffd
	v_cndmask_b32_e32 v62, v63, v65, vcc_lo
	v_cmp_u_f32_e32 vcc_lo, v59, v59
	v_mul_f32_e32 v64, v48, v66
	v_add3_u32 v66, v67, v59, 0x7fff
	v_or_b32_e32 v67, 0x400000, v59
	s_wait_alu 0xfffd
	s_delay_alu instid0(VALU_DEP_1) | instskip(NEXT) | instid1(VALU_DEP_1)
	v_dual_cndmask_b32 v59, v66, v67 :: v_dual_and_b32 v0, 0xffff0000, v0
	v_dual_add_f32 v0, v57, v0 :: v_dual_add_f32 v57, v58, v61
	s_delay_alu instid0(VALU_DEP_2) | instskip(SKIP_4) | instid1(VALU_DEP_3)
	v_and_b32_e32 v58, 0xffff0000, v59
	v_and_b32_e32 v59, 0xffff0000, v53
	v_lshlrev_b32_e32 v60, 16, v60
	v_bfe_u32 v68, v64, 16, 1
	v_dual_add_f32 v0, v57, v0 :: v_dual_lshlrev_b32 v53, 16, v53
	v_dual_mul_f32 v57, v45, v59 :: v_dual_mul_f32 v60, v50, v60
	s_delay_alu instid0(VALU_DEP_3)
	v_add3_u32 v63, v68, v64, 0x7fff
	v_or_b32_e32 v65, 0x400000, v64
	v_cmp_u_f32_e32 vcc_lo, v64, v64
	v_mul_f32_e32 v53, v49, v53
	v_bfe_u32 v66, v60, 16, 1
	s_wait_alu 0xfffd
	v_cndmask_b32_e32 v63, v63, v65, vcc_lo
	v_or_b32_e32 v65, 0x400000, v60
	s_delay_alu instid0(VALU_DEP_3) | instskip(SKIP_2) | instid1(VALU_DEP_2)
	v_add3_u32 v64, v66, v60, 0x7fff
	v_cmp_u_f32_e32 vcc_lo, v60, v60
	s_wait_alu 0xfffd
	v_cndmask_b32_e32 v60, v64, v65, vcc_lo
	v_cmp_u_f32_e32 vcc_lo, v57, v57
	s_delay_alu instid0(VALU_DEP_2) | instskip(SKIP_4) | instid1(VALU_DEP_4)
	v_and_b32_e32 v59, 0xffff0000, v60
	v_and_b32_e32 v61, 0xffff0000, v62
	;; [unrolled: 1-line block ×4, first 2 shown]
	v_bfe_u32 v62, v53, 16, 1
	v_dual_add_f32 v58, v58, v61 :: v_dual_lshlrev_b32 v55, 16, v55
	v_bfe_u32 v61, v57, 16, 1
	v_add_f32_e32 v59, v59, v60
	v_mul_f32_e32 v63, v47, v63
	s_delay_alu instid0(VALU_DEP_4) | instskip(NEXT) | instid1(VALU_DEP_4)
	v_mul_f32_e32 v55, v52, v55
	v_add3_u32 v60, v61, v57, 0x7fff
	v_or_b32_e32 v61, 0x400000, v57
	s_delay_alu instid0(VALU_DEP_3) | instskip(SKIP_1) | instid1(VALU_DEP_2)
	v_or_b32_e32 v65, 0x400000, v55
	s_wait_alu 0xfffd
	v_cndmask_b32_e32 v57, v60, v61, vcc_lo
	v_add3_u32 v60, v62, v53, 0x7fff
	v_or_b32_e32 v61, 0x400000, v53
	v_cmp_u_f32_e32 vcc_lo, v53, v53
	s_delay_alu instid0(VALU_DEP_4) | instskip(SKIP_1) | instid1(VALU_DEP_3)
	v_and_b32_e32 v57, 0xffff0000, v57
	s_wait_alu 0xfffd
	v_dual_cndmask_b32 v53, v60, v61 :: v_dual_add_f32 v0, v58, v0
	v_and_b32_e32 v58, 0xffff0000, v54
	s_delay_alu instid0(VALU_DEP_2) | instskip(NEXT) | instid1(VALU_DEP_2)
	v_add_f32_e32 v0, v59, v0
	v_mul_f32_e32 v58, v46, v58
	s_delay_alu instid0(VALU_DEP_1) | instskip(SKIP_2) | instid1(VALU_DEP_3)
	v_bfe_u32 v62, v58, 16, 1
	v_or_b32_e32 v61, 0x400000, v58
	v_cmp_u_f32_e32 vcc_lo, v58, v58
	v_add3_u32 v60, v62, v58, 0x7fff
	s_wait_alu 0xfffd
	s_delay_alu instid0(VALU_DEP_1) | instskip(NEXT) | instid1(VALU_DEP_1)
	v_cndmask_b32_e32 v58, v60, v61, vcc_lo
	v_and_b32_e32 v58, 0xffff0000, v58
	v_and_b32_e32 v53, 0xffff0000, v53
	s_delay_alu instid0(VALU_DEP_1) | instskip(NEXT) | instid1(VALU_DEP_1)
	v_dual_add_f32 v53, v53, v57 :: v_dual_lshlrev_b32 v54, 16, v54
	v_mul_f32_e32 v54, v51, v54
	s_delay_alu instid0(VALU_DEP_1) | instskip(SKIP_2) | instid1(VALU_DEP_3)
	v_bfe_u32 v62, v54, 16, 1
	v_or_b32_e32 v61, 0x400000, v54
	v_cmp_u_f32_e32 vcc_lo, v54, v54
	v_add3_u32 v60, v62, v54, 0x7fff
	v_bfe_u32 v62, v63, 16, 1
	s_wait_alu 0xfffd
	s_delay_alu instid0(VALU_DEP_2) | instskip(SKIP_1) | instid1(VALU_DEP_3)
	v_cndmask_b32_e32 v54, v60, v61, vcc_lo
	v_bfe_u32 v60, v55, 16, 1
	v_add3_u32 v61, v62, v63, 0x7fff
	v_cmp_u_f32_e32 vcc_lo, v63, v63
	s_delay_alu instid0(VALU_DEP_4) | instskip(NEXT) | instid1(VALU_DEP_4)
	v_and_b32_e32 v54, 0xffff0000, v54
	v_add3_u32 v60, v60, v55, 0x7fff
	s_delay_alu instid0(VALU_DEP_2) | instskip(NEXT) | instid1(VALU_DEP_1)
	v_add_f32_e32 v54, v54, v58
	v_dual_add_f32 v53, v54, v53 :: v_dual_and_b32 v64, 0xffff0000, v56
	s_delay_alu instid0(VALU_DEP_1) | instskip(SKIP_2) | instid1(VALU_DEP_1)
	v_mul_f32_e32 v62, v48, v64
	v_or_b32_e32 v64, 0x400000, v63
	s_wait_alu 0xfffd
	v_cndmask_b32_e32 v61, v61, v64, vcc_lo
	v_cmp_u_f32_e32 vcc_lo, v55, v55
	s_delay_alu instid0(VALU_DEP_2) | instskip(SKIP_4) | instid1(VALU_DEP_3)
	v_and_b32_e32 v57, 0xffff0000, v61
	s_wait_alu 0xfffd
	v_cndmask_b32_e32 v55, v60, v65, vcc_lo
	v_bfe_u32 v66, v62, 16, 1
	v_or_b32_e32 v64, 0x400000, v62
	v_and_b32_e32 v55, 0xffff0000, v55
	s_delay_alu instid0(VALU_DEP_3) | instskip(NEXT) | instid1(VALU_DEP_2)
	v_add3_u32 v60, v66, v62, 0x7fff
	v_add_f32_e32 v54, v55, v57
	v_lshlrev_b32_e32 v56, 16, v56
	v_and_b32_e32 v55, 0xffff0000, v41
	v_lshlrev_b32_e32 v41, 16, v41
	s_delay_alu instid0(VALU_DEP_4) | instskip(NEXT) | instid1(VALU_DEP_3)
	v_add_f32_e32 v53, v54, v53
	v_dual_mul_f32 v56, v50, v56 :: v_dual_mul_f32 v55, v45, v55
	s_delay_alu instid0(VALU_DEP_3) | instskip(NEXT) | instid1(VALU_DEP_2)
	v_mul_f32_e32 v41, v49, v41
	v_bfe_u32 v63, v56, 16, 1
	v_or_b32_e32 v65, 0x400000, v56
	v_cmp_u_f32_e32 vcc_lo, v56, v56
	s_delay_alu instid0(VALU_DEP_3) | instskip(SKIP_1) | instid1(VALU_DEP_1)
	v_add3_u32 v63, v63, v56, 0x7fff
	s_wait_alu 0xfffd
	v_cndmask_b32_e32 v56, v63, v65, vcc_lo
	v_cmp_u_f32_e32 vcc_lo, v62, v62
	s_delay_alu instid0(VALU_DEP_2) | instskip(SKIP_3) | instid1(VALU_DEP_2)
	v_and_b32_e32 v56, 0xffff0000, v56
	s_wait_alu 0xfffd
	v_cndmask_b32_e32 v58, v60, v64, vcc_lo
	v_cmp_u_f32_e32 vcc_lo, v55, v55
	v_and_b32_e32 v57, 0xffff0000, v58
	v_or_b32_e32 v58, 0x400000, v41
	s_delay_alu instid0(VALU_DEP_2) | instskip(SKIP_2) | instid1(VALU_DEP_3)
	v_add_f32_e32 v54, v56, v57
	v_and_b32_e32 v56, 0xffff0000, v42
	v_bfe_u32 v57, v55, 16, 1
	v_dual_add_f32 v53, v54, v53 :: v_dual_lshlrev_b32 v42, 16, v42
	s_delay_alu instid0(VALU_DEP_3) | instskip(NEXT) | instid1(VALU_DEP_3)
	v_mul_f32_e32 v54, v46, v56
	v_add3_u32 v56, v57, v55, 0x7fff
	v_or_b32_e32 v57, 0x400000, v55
	v_add_f32_e32 v86, v86, v0
	v_bfe_u32 v0, v41, 16, 1
	v_bfe_u32 v59, v54, 16, 1
	v_add_f32_e32 v87, v87, v53
	s_wait_alu 0xfffd
	v_cndmask_b32_e32 v55, v56, v57, vcc_lo
	v_cmp_u_f32_e32 vcc_lo, v41, v41
	v_add3_u32 v0, v0, v41, 0x7fff
	v_mul_f32_e32 v41, v51, v42
	v_add3_u32 v42, v59, v54, 0x7fff
	v_or_b32_e32 v56, 0x400000, v54
	s_wait_alu 0xfffd
	v_dual_cndmask_b32 v0, v0, v58 :: v_dual_and_b32 v57, 0xffff0000, v43
	v_and_b32_e32 v55, 0xffff0000, v55
	v_bfe_u32 v58, v41, 16, 1
	v_cmp_u_f32_e32 vcc_lo, v54, v54
	s_delay_alu instid0(VALU_DEP_4)
	v_mul_f32_e32 v54, v47, v57
	v_or_b32_e32 v57, 0x400000, v41
	v_lshlrev_b32_e32 v43, 16, v43
	v_and_b32_e32 v0, 0xffff0000, v0
	s_wait_alu 0xfffd
	v_cndmask_b32_e32 v42, v42, v56, vcc_lo
	v_add3_u32 v56, v58, v41, 0x7fff
	v_cmp_u_f32_e32 vcc_lo, v41, v41
	v_dual_mul_f32 v43, v52, v43 :: v_dual_and_b32 v58, 0xffff0000, v44
	v_add_f32_e32 v0, v0, v55
	s_wait_alu 0xfffd
	v_cndmask_b32_e32 v41, v56, v57, vcc_lo
	s_delay_alu instid0(VALU_DEP_3) | instskip(NEXT) | instid1(VALU_DEP_2)
	v_bfe_u32 v60, v43, 16, 1
	v_dual_mul_f32 v56, v48, v58 :: v_dual_and_b32 v41, 0xffff0000, v41
	v_and_b32_e32 v42, 0xffff0000, v42
	s_delay_alu instid0(VALU_DEP_1) | instskip(SKIP_3) | instid1(VALU_DEP_4)
	v_add_f32_e32 v41, v41, v42
	v_bfe_u32 v59, v54, 16, 1
	v_or_b32_e32 v58, 0x400000, v54
	v_cmp_u_f32_e32 vcc_lo, v54, v54
	v_add_f32_e32 v0, v41, v0
	s_delay_alu instid0(VALU_DEP_4) | instskip(SKIP_3) | instid1(VALU_DEP_3)
	v_add3_u32 v57, v59, v54, 0x7fff
	v_add3_u32 v59, v60, v43, 0x7fff
	v_or_b32_e32 v60, 0x400000, v43
	s_wait_alu 0xfffd
	v_cndmask_b32_e32 v54, v57, v58, vcc_lo
	v_cmp_u_f32_e32 vcc_lo, v43, v43
	s_wait_alu 0xfffd
	v_cndmask_b32_e32 v43, v59, v60, vcc_lo
	s_delay_alu instid0(VALU_DEP_1)
	v_and_b32_e32 v42, 0xffff0000, v43
	v_and_b32_e32 v43, 0xffff0000, v37
	v_bfe_u32 v61, v56, 16, 1
	v_lshlrev_b32_e32 v37, 16, v37
	v_lshlrev_b32_e32 v44, 16, v44
	v_or_b32_e32 v58, 0x400000, v56
	v_cmp_u_f32_e32 vcc_lo, v56, v56
	v_add3_u32 v57, v61, v56, 0x7fff
	s_delay_alu instid0(VALU_DEP_4) | instskip(SKIP_2) | instid1(VALU_DEP_3)
	v_dual_mul_f32 v37, v49, v37 :: v_dual_mul_f32 v44, v50, v44
	v_mul_f32_e32 v41, v45, v43
	s_wait_alu 0xfffd
	v_cndmask_b32_e32 v56, v57, v58, vcc_lo
	v_and_b32_e32 v58, 0xffff0000, v40
	v_bfe_u32 v57, v44, 16, 1
	v_cmp_u_f32_e32 vcc_lo, v44, v44
	s_delay_alu instid0(VALU_DEP_2) | instskip(SKIP_3) | instid1(VALU_DEP_2)
	v_add3_u32 v55, v57, v44, 0x7fff
	v_or_b32_e32 v57, 0x400000, v44
	v_bfe_u32 v44, v41, 16, 1
	s_wait_alu 0xfffd
	v_cndmask_b32_e32 v43, v55, v57, vcc_lo
	v_and_b32_e32 v57, 0xffff0000, v39
	v_lshlrev_b32_e32 v39, 16, v39
	v_and_b32_e32 v54, 0xffff0000, v54
	v_add3_u32 v44, v44, v41, 0x7fff
	v_bfe_u32 v55, v37, 16, 1
	v_cmp_u_f32_e32 vcc_lo, v41, v41
	v_mul_f32_e32 v39, v52, v39
	v_mul_f32_e32 v57, v47, v57
	v_and_b32_e32 v43, 0xffff0000, v43
	s_delay_alu instid0(VALU_DEP_3) | instskip(SKIP_3) | instid1(VALU_DEP_1)
	v_or_b32_e32 v59, 0x400000, v39
	v_add_f32_e32 v42, v42, v54
	v_or_b32_e32 v54, 0x400000, v41
	s_wait_alu 0xfffd
	v_dual_add_f32 v0, v42, v0 :: v_dual_cndmask_b32 v41, v44, v54
	v_add3_u32 v44, v55, v37, 0x7fff
	v_or_b32_e32 v54, 0x400000, v37
	v_cmp_u_f32_e32 vcc_lo, v37, v37
	s_delay_alu instid0(VALU_DEP_4) | instskip(SKIP_1) | instid1(VALU_DEP_3)
	v_and_b32_e32 v41, 0xffff0000, v41
	s_wait_alu 0xfffd
	v_cndmask_b32_e32 v37, v44, v54, vcc_lo
	s_delay_alu instid0(VALU_DEP_1) | instskip(SKIP_1) | instid1(VALU_DEP_2)
	v_and_b32_e32 v37, 0xffff0000, v37
	v_and_b32_e32 v42, 0xffff0000, v38
	v_dual_add_f32 v37, v37, v41 :: v_dual_lshlrev_b32 v38, 16, v38
	s_delay_alu instid0(VALU_DEP_2) | instskip(NEXT) | instid1(VALU_DEP_2)
	v_mul_f32_e32 v42, v46, v42
	v_mul_f32_e32 v38, v51, v38
	s_delay_alu instid0(VALU_DEP_2) | instskip(SKIP_2) | instid1(VALU_DEP_3)
	v_bfe_u32 v55, v42, 16, 1
	v_or_b32_e32 v54, 0x400000, v42
	v_cmp_u_f32_e32 vcc_lo, v42, v42
	v_add3_u32 v44, v55, v42, 0x7fff
	v_bfe_u32 v55, v38, 16, 1
	s_wait_alu 0xfffd
	s_delay_alu instid0(VALU_DEP_2) | instskip(NEXT) | instid1(VALU_DEP_2)
	v_cndmask_b32_e32 v42, v44, v54, vcc_lo
	v_add3_u32 v44, v55, v38, 0x7fff
	v_or_b32_e32 v54, 0x400000, v38
	v_bfe_u32 v55, v57, 16, 1
	v_cmp_u_f32_e32 vcc_lo, v38, v38
	v_and_b32_e32 v42, 0xffff0000, v42
	s_wait_alu 0xfffd
	v_cndmask_b32_e32 v38, v44, v54, vcc_lo
	v_bfe_u32 v44, v39, 16, 1
	v_add3_u32 v54, v55, v57, 0x7fff
	v_mul_f32_e32 v55, v48, v58
	v_or_b32_e32 v58, 0x400000, v57
	v_cmp_u_f32_e32 vcc_lo, v57, v57
	v_add3_u32 v44, v44, v39, 0x7fff
	v_and_b32_e32 v38, 0xffff0000, v38
	v_bfe_u32 v60, v55, 16, 1
	s_wait_alu 0xfffd
	v_cndmask_b32_e32 v54, v54, v58, vcc_lo
	v_cmp_u_f32_e32 vcc_lo, v39, v39
	s_wait_alu 0xfffd
	v_dual_add_f32 v38, v38, v42 :: v_dual_cndmask_b32 v39, v44, v59
	v_add3_u32 v44, v60, v55, 0x7fff
	v_or_b32_e32 v59, 0x400000, v55
	v_and_b32_e32 v41, 0xffff0000, v54
	s_delay_alu instid0(VALU_DEP_4) | instskip(SKIP_1) | instid1(VALU_DEP_1)
	v_add_f32_e32 v37, v38, v37
	v_and_b32_e32 v39, 0xffff0000, v39
	v_add_f32_e32 v38, v39, v41
	v_and_b32_e32 v41, 0xffff0000, v33
	v_lshlrev_b32_e32 v33, 16, v33
	s_delay_alu instid0(VALU_DEP_3) | instskip(NEXT) | instid1(VALU_DEP_1)
	v_dual_add_f32 v37, v38, v37 :: v_dual_lshlrev_b32 v40, 16, v40
	v_dual_mul_f32 v33, v49, v33 :: v_dual_mul_f32 v40, v50, v40
	s_delay_alu instid0(VALU_DEP_1) | instskip(SKIP_2) | instid1(VALU_DEP_3)
	v_bfe_u32 v61, v40, 16, 1
	v_or_b32_e32 v58, 0x400000, v40
	v_cmp_u_f32_e32 vcc_lo, v40, v40
	v_add3_u32 v57, v61, v40, 0x7fff
	s_wait_alu 0xfffd
	s_delay_alu instid0(VALU_DEP_1) | instskip(SKIP_2) | instid1(VALU_DEP_2)
	v_cndmask_b32_e32 v40, v57, v58, vcc_lo
	v_cmp_u_f32_e32 vcc_lo, v55, v55
	s_wait_alu 0xfffd
	v_dual_cndmask_b32 v42, v44, v59 :: v_dual_and_b32 v39, 0xffff0000, v40
	s_delay_alu instid0(VALU_DEP_1) | instskip(NEXT) | instid1(VALU_DEP_1)
	v_and_b32_e32 v40, 0xffff0000, v42
	v_dual_add_f32 v38, v39, v40 :: v_dual_mul_f32 v39, v45, v41
	v_and_b32_e32 v40, 0xffff0000, v34
	v_lshlrev_b32_e32 v34, 16, v34
	v_or_b32_e32 v41, 0x400000, v33
	s_delay_alu instid0(VALU_DEP_4) | instskip(SKIP_2) | instid1(VALU_DEP_3)
	v_add_f32_e32 v37, v38, v37
	v_bfe_u32 v38, v39, 16, 1
	v_cmp_u_f32_e32 vcc_lo, v39, v39
	v_dual_mul_f32 v40, v46, v40 :: v_dual_add_f32 v89, v89, v37
	s_delay_alu instid0(VALU_DEP_3) | instskip(SKIP_2) | instid1(VALU_DEP_4)
	v_add3_u32 v37, v38, v39, 0x7fff
	v_or_b32_e32 v38, 0x400000, v39
	v_and_b32_e32 v44, 0xffff0000, v56
	v_or_b32_e32 v39, 0x400000, v40
	s_wait_alu 0xfffd
	s_delay_alu instid0(VALU_DEP_2) | instskip(SKIP_2) | instid1(VALU_DEP_3)
	v_dual_cndmask_b32 v37, v37, v38 :: v_dual_add_f32 v42, v43, v44
	v_bfe_u32 v38, v40, 16, 1
	v_cmp_u_f32_e32 vcc_lo, v33, v33
	v_dual_add_f32 v0, v42, v0 :: v_dual_and_b32 v37, 0xffff0000, v37
	s_delay_alu instid0(VALU_DEP_3) | instskip(SKIP_2) | instid1(VALU_DEP_4)
	v_add3_u32 v38, v38, v40, 0x7fff
	v_and_b32_e32 v42, 0xffff0000, v36
	v_lshlrev_b32_e32 v36, 16, v36
	v_add_f32_e32 v88, v88, v0
	v_bfe_u32 v0, v33, 16, 1
	s_delay_alu instid0(VALU_DEP_3) | instskip(NEXT) | instid1(VALU_DEP_2)
	v_mul_f32_e32 v36, v50, v36
	v_add3_u32 v0, v0, v33, 0x7fff
	v_dual_mul_f32 v33, v51, v34 :: v_dual_and_b32 v34, 0xffff0000, v35
	s_wait_alu 0xfffd
	s_delay_alu instid0(VALU_DEP_2) | instskip(NEXT) | instid1(VALU_DEP_2)
	v_dual_cndmask_b32 v0, v0, v41 :: v_dual_lshlrev_b32 v35, 16, v35
	v_bfe_u32 v41, v33, 16, 1
	s_delay_alu instid0(VALU_DEP_3) | instskip(SKIP_1) | instid1(VALU_DEP_4)
	v_mul_f32_e32 v34, v47, v34
	v_cmp_u_f32_e32 vcc_lo, v40, v40
	v_mul_f32_e32 v35, v52, v35
	v_or_b32_e32 v40, 0x400000, v33
	s_wait_alu 0xfffd
	v_cndmask_b32_e32 v38, v38, v39, vcc_lo
	v_add3_u32 v39, v41, v33, 0x7fff
	v_bfe_u32 v41, v34, 16, 1
	v_cmp_u_f32_e32 vcc_lo, v33, v33
	v_bfe_u32 v43, v35, 16, 1
	s_wait_alu 0xfffd
	v_cndmask_b32_e32 v33, v39, v40, vcc_lo
	v_add3_u32 v39, v41, v34, 0x7fff
	v_mul_f32_e32 v40, v48, v42
	v_or_b32_e32 v41, 0x400000, v34
	v_cmp_u_f32_e32 vcc_lo, v34, v34
	v_add3_u32 v42, v43, v35, 0x7fff
	v_or_b32_e32 v43, 0x400000, v35
	v_bfe_u32 v44, v40, 16, 1
	v_and_b32_e32 v33, 0xffff0000, v33
	s_wait_alu 0xfffd
	v_cndmask_b32_e32 v34, v39, v41, vcc_lo
	v_cmp_u_f32_e32 vcc_lo, v35, v35
	v_or_b32_e32 v41, 0x400000, v40
	v_add3_u32 v39, v44, v40, 0x7fff
	s_wait_alu 0xfffd
	v_dual_cndmask_b32 v35, v42, v43 :: v_dual_and_b32 v34, 0xffff0000, v34
	v_bfe_u32 v42, v36, 16, 1
	v_cmp_u_f32_e32 vcc_lo, v40, v40
	s_delay_alu instid0(VALU_DEP_3) | instskip(NEXT) | instid1(VALU_DEP_3)
	v_and_b32_e32 v35, 0xffff0000, v35
	v_add3_u32 v40, v42, v36, 0x7fff
	s_wait_alu 0xfffd
	v_cndmask_b32_e32 v39, v39, v41, vcc_lo
	v_or_b32_e32 v41, 0x400000, v36
	v_cmp_u_f32_e32 vcc_lo, v36, v36
	v_and_b32_e32 v0, 0xffff0000, v0
	v_add_f32_e32 v34, v35, v34
	s_wait_alu 0xfffd
	v_cndmask_b32_e32 v36, v40, v41, vcc_lo
	s_delay_alu instid0(VALU_DEP_3) | instskip(SKIP_2) | instid1(VALU_DEP_4)
	v_add_f32_e32 v0, v0, v37
	v_and_b32_e32 v37, 0xffff0000, v29
	v_lshlrev_b32_e32 v29, 16, v29
	v_and_b32_e32 v35, 0xffff0000, v36
	v_and_b32_e32 v36, 0xffff0000, v39
	v_and_b32_e32 v38, 0xffff0000, v38
	v_and_b32_e32 v39, 0xffff0000, v31
	v_lshlrev_b32_e32 v31, 16, v31
	v_mul_f32_e32 v29, v49, v29
	v_add_f32_e32 v35, v35, v36
	v_add_f32_e32 v33, v33, v38
	v_mul_f32_e32 v39, v47, v39
	v_mul_f32_e32 v31, v52, v31
	v_bfe_u32 v38, v29, 16, 1
	s_delay_alu instid0(VALU_DEP_2) | instskip(SKIP_2) | instid1(VALU_DEP_1)
	v_or_b32_e32 v41, 0x400000, v31
	v_add_f32_e32 v0, v33, v0
	v_mul_f32_e32 v33, v45, v37
	v_bfe_u32 v37, v33, 16, 1
	v_cmp_u_f32_e32 vcc_lo, v33, v33
	s_delay_alu instid0(VALU_DEP_2) | instskip(SKIP_2) | instid1(VALU_DEP_1)
	v_add3_u32 v36, v37, v33, 0x7fff
	v_or_b32_e32 v37, 0x400000, v33
	s_wait_alu 0xfffd
	v_cndmask_b32_e32 v33, v36, v37, vcc_lo
	v_add3_u32 v36, v38, v29, 0x7fff
	v_or_b32_e32 v37, 0x400000, v29
	v_cmp_u_f32_e32 vcc_lo, v29, v29
	s_delay_alu instid0(VALU_DEP_4) | instskip(SKIP_1) | instid1(VALU_DEP_3)
	v_and_b32_e32 v33, 0xffff0000, v33
	s_wait_alu 0xfffd
	v_cndmask_b32_e32 v29, v36, v37, vcc_lo
	s_delay_alu instid0(VALU_DEP_1) | instskip(NEXT) | instid1(VALU_DEP_1)
	v_dual_add_f32 v0, v34, v0 :: v_dual_and_b32 v29, 0xffff0000, v29
	v_dual_add_f32 v29, v29, v33 :: v_dual_and_b32 v34, 0xffff0000, v30
	v_lshlrev_b32_e32 v30, 16, v30
	s_delay_alu instid0(VALU_DEP_3) | instskip(NEXT) | instid1(VALU_DEP_3)
	v_add_f32_e32 v0, v35, v0
	v_mul_f32_e32 v34, v46, v34
	s_delay_alu instid0(VALU_DEP_3) | instskip(NEXT) | instid1(VALU_DEP_3)
	v_mul_f32_e32 v30, v51, v30
	v_add_f32_e32 v90, v90, v0
	s_delay_alu instid0(VALU_DEP_3) | instskip(SKIP_2) | instid1(VALU_DEP_3)
	v_bfe_u32 v38, v34, 16, 1
	v_or_b32_e32 v37, 0x400000, v34
	v_cmp_u_f32_e32 vcc_lo, v34, v34
	v_add3_u32 v36, v38, v34, 0x7fff
	v_bfe_u32 v38, v30, 16, 1
	s_wait_alu 0xfffd
	s_delay_alu instid0(VALU_DEP_2) | instskip(NEXT) | instid1(VALU_DEP_2)
	v_cndmask_b32_e32 v34, v36, v37, vcc_lo
	v_add3_u32 v36, v38, v30, 0x7fff
	v_or_b32_e32 v37, 0x400000, v30
	v_cmp_u_f32_e32 vcc_lo, v30, v30
	v_bfe_u32 v38, v39, 16, 1
	v_and_b32_e32 v34, 0xffff0000, v34
	s_wait_alu 0xfffd
	v_cndmask_b32_e32 v30, v36, v37, vcc_lo
	v_bfe_u32 v36, v31, 16, 1
	v_add3_u32 v37, v38, v39, 0x7fff
	v_cmp_u_f32_e32 vcc_lo, v39, v39
	s_delay_alu instid0(VALU_DEP_4) | instskip(NEXT) | instid1(VALU_DEP_4)
	v_and_b32_e32 v30, 0xffff0000, v30
	v_add3_u32 v36, v36, v31, 0x7fff
	s_delay_alu instid0(VALU_DEP_2) | instskip(NEXT) | instid1(VALU_DEP_1)
	v_add_f32_e32 v30, v30, v34
	v_dual_add_f32 v29, v30, v29 :: v_dual_and_b32 v40, 0xffff0000, v32
	s_delay_alu instid0(VALU_DEP_1) | instskip(SKIP_2) | instid1(VALU_DEP_1)
	v_mul_f32_e32 v38, v48, v40
	v_or_b32_e32 v40, 0x400000, v39
	s_wait_alu 0xfffd
	v_cndmask_b32_e32 v37, v37, v40, vcc_lo
	v_cmp_u_f32_e32 vcc_lo, v31, v31
	s_delay_alu instid0(VALU_DEP_2) | instskip(SKIP_2) | instid1(VALU_DEP_1)
	v_and_b32_e32 v33, 0xffff0000, v37
	s_wait_alu 0xfffd
	v_cndmask_b32_e32 v31, v36, v41, vcc_lo
	v_and_b32_e32 v31, 0xffff0000, v31
	s_delay_alu instid0(VALU_DEP_1)
	v_add_f32_e32 v30, v31, v33
	v_and_b32_e32 v31, 0xffff0000, v25
	v_lshlrev_b32_e32 v25, 16, v25
	v_lshlrev_b32_e32 v32, 16, v32
	v_bfe_u32 v42, v38, 16, 1
	v_or_b32_e32 v40, 0x400000, v38
	v_mul_f32_e32 v31, v45, v31
	s_delay_alu instid0(VALU_DEP_4) | instskip(NEXT) | instid1(VALU_DEP_4)
	v_dual_mul_f32 v25, v49, v25 :: v_dual_mul_f32 v32, v50, v32
	v_add3_u32 v36, v42, v38, 0x7fff
	v_add_f32_e32 v29, v30, v29
	s_delay_alu instid0(VALU_DEP_3) | instskip(NEXT) | instid1(VALU_DEP_4)
	v_bfe_u32 v0, v25, 16, 1
	v_bfe_u32 v39, v32, 16, 1
	v_or_b32_e32 v41, 0x400000, v32
	v_cmp_u_f32_e32 vcc_lo, v32, v32
	s_delay_alu instid0(VALU_DEP_4) | instskip(NEXT) | instid1(VALU_DEP_4)
	v_add3_u32 v0, v0, v25, 0x7fff
	v_add3_u32 v39, v39, v32, 0x7fff
	s_wait_alu 0xfffd
	s_delay_alu instid0(VALU_DEP_1) | instskip(SKIP_1) | instid1(VALU_DEP_2)
	v_cndmask_b32_e32 v32, v39, v41, vcc_lo
	v_cmp_u_f32_e32 vcc_lo, v38, v38
	v_and_b32_e32 v32, 0xffff0000, v32
	s_wait_alu 0xfffd
	v_cndmask_b32_e32 v34, v36, v40, vcc_lo
	v_cmp_u_f32_e32 vcc_lo, v31, v31
	s_delay_alu instid0(VALU_DEP_2) | instskip(SKIP_1) | instid1(VALU_DEP_2)
	v_and_b32_e32 v33, 0xffff0000, v34
	v_or_b32_e32 v34, 0x400000, v25
	v_add_f32_e32 v30, v32, v33
	v_and_b32_e32 v32, 0xffff0000, v26
	v_bfe_u32 v33, v31, 16, 1
	s_delay_alu instid0(VALU_DEP_3) | instskip(NEXT) | instid1(VALU_DEP_3)
	v_dual_add_f32 v29, v30, v29 :: v_dual_lshlrev_b32 v26, 16, v26
	v_mul_f32_e32 v30, v46, v32
	s_delay_alu instid0(VALU_DEP_3) | instskip(SKIP_1) | instid1(VALU_DEP_4)
	v_add3_u32 v32, v33, v31, 0x7fff
	v_or_b32_e32 v33, 0x400000, v31
	v_add_f32_e32 v91, v91, v29
	s_delay_alu instid0(VALU_DEP_4) | instskip(SKIP_1) | instid1(VALU_DEP_3)
	v_bfe_u32 v35, v30, 16, 1
	s_wait_alu 0xfffd
	v_cndmask_b32_e32 v31, v32, v33, vcc_lo
	v_cmp_u_f32_e32 vcc_lo, v25, v25
	v_mul_f32_e32 v25, v51, v26
	v_and_b32_e32 v33, 0xffff0000, v27
	v_add3_u32 v26, v35, v30, 0x7fff
	v_or_b32_e32 v32, 0x400000, v30
	s_wait_alu 0xfffd
	v_dual_cndmask_b32 v0, v0, v34 :: v_dual_lshlrev_b32 v27, 16, v27
	v_bfe_u32 v34, v25, 16, 1
	v_cmp_u_f32_e32 vcc_lo, v30, v30
	v_mul_f32_e32 v30, v47, v33
	v_or_b32_e32 v33, 0x400000, v25
	v_mul_f32_e32 v27, v52, v27
	s_wait_alu 0xfffd
	v_dual_cndmask_b32 v26, v26, v32 :: v_dual_and_b32 v31, 0xffff0000, v31
	v_add3_u32 v32, v34, v25, 0x7fff
	v_and_b32_e32 v34, 0xffff0000, v28
	v_bfe_u32 v35, v30, 16, 1
	v_cmp_u_f32_e32 vcc_lo, v25, v25
	v_bfe_u32 v36, v27, 16, 1
	v_lshlrev_b32_e32 v28, 16, v28
	s_wait_alu 0xfffd
	v_dual_cndmask_b32 v25, v32, v33 :: v_dual_and_b32 v26, 0xffff0000, v26
	v_mul_f32_e32 v32, v48, v34
	v_add3_u32 v33, v35, v30, 0x7fff
	v_or_b32_e32 v34, 0x400000, v30
	v_cmp_u_f32_e32 vcc_lo, v30, v30
	v_add3_u32 v35, v36, v27, 0x7fff
	v_or_b32_e32 v36, 0x400000, v27
	v_bfe_u32 v37, v32, 16, 1
	s_wait_alu 0xfffd
	v_dual_cndmask_b32 v30, v33, v34 :: v_dual_and_b32 v25, 0xffff0000, v25
	v_cmp_u_f32_e32 vcc_lo, v27, v27
	v_or_b32_e32 v34, 0x400000, v32
	v_add3_u32 v33, v37, v32, 0x7fff
	s_delay_alu instid0(VALU_DEP_4) | instskip(SKIP_3) | instid1(VALU_DEP_2)
	v_add_f32_e32 v25, v25, v26
	s_wait_alu 0xfffd
	v_cndmask_b32_e32 v27, v35, v36, vcc_lo
	v_cmp_u_f32_e32 vcc_lo, v32, v32
	v_and_b32_e32 v26, 0xffff0000, v27
	s_wait_alu 0xfffd
	v_cndmask_b32_e32 v32, v33, v34, vcc_lo
	v_and_b32_e32 v34, 0xffff0000, v20
	v_dual_mul_f32 v28, v50, v28 :: v_dual_and_b32 v27, 0xffff0000, v17
	v_lshlrev_b32_e32 v17, 16, v17
	v_and_b32_e32 v0, 0xffff0000, v0
	s_delay_alu instid0(VALU_DEP_3) | instskip(SKIP_1) | instid1(VALU_DEP_3)
	v_bfe_u32 v33, v28, 16, 1
	v_cmp_u_f32_e32 vcc_lo, v28, v28
	v_dual_mul_f32 v17, v49, v17 :: v_dual_add_f32 v0, v0, v31
	s_delay_alu instid0(VALU_DEP_3) | instskip(SKIP_1) | instid1(VALU_DEP_3)
	v_add3_u32 v31, v33, v28, 0x7fff
	v_or_b32_e32 v33, 0x400000, v28
	v_add_f32_e32 v0, v25, v0
	v_mul_f32_e32 v25, v45, v27
	s_wait_alu 0xfffd
	s_delay_alu instid0(VALU_DEP_3)
	v_cndmask_b32_e32 v27, v31, v33, vcc_lo
	v_and_b32_e32 v33, 0xffff0000, v19
	v_lshlrev_b32_e32 v19, 16, v19
	v_and_b32_e32 v30, 0xffff0000, v30
	v_bfe_u32 v28, v25, 16, 1
	v_bfe_u32 v31, v17, 16, 1
	v_cmp_u_f32_e32 vcc_lo, v25, v25
	s_delay_alu instid0(VALU_DEP_4) | instskip(NEXT) | instid1(VALU_DEP_4)
	v_dual_mul_f32 v33, v47, v33 :: v_dual_add_f32 v26, v26, v30
	v_add3_u32 v28, v28, v25, 0x7fff
	v_or_b32_e32 v30, 0x400000, v25
	v_mul_f32_e32 v19, v52, v19
	s_delay_alu instid0(VALU_DEP_4)
	v_dual_add_f32 v0, v26, v0 :: v_dual_and_b32 v27, 0xffff0000, v27
	v_and_b32_e32 v26, 0xffff0000, v18
	v_lshlrev_b32_e32 v18, 16, v18
	s_wait_alu 0xfffd
	v_cndmask_b32_e32 v25, v28, v30, vcc_lo
	v_add3_u32 v28, v31, v17, 0x7fff
	v_or_b32_e32 v30, 0x400000, v17
	v_mul_f32_e32 v26, v46, v26
	v_mul_f32_e32 v18, v51, v18
	v_cmp_u_f32_e32 vcc_lo, v17, v17
	v_or_b32_e32 v35, 0x400000, v19
	v_and_b32_e32 v25, 0xffff0000, v25
	v_bfe_u32 v31, v26, 16, 1
	s_wait_alu 0xfffd
	v_cndmask_b32_e32 v17, v28, v30, vcc_lo
	v_or_b32_e32 v30, 0x400000, v26
	v_cmp_u_f32_e32 vcc_lo, v26, v26
	v_add3_u32 v28, v31, v26, 0x7fff
	v_bfe_u32 v31, v18, 16, 1
	s_wait_alu 0xfffd
	s_delay_alu instid0(VALU_DEP_2) | instskip(NEXT) | instid1(VALU_DEP_2)
	v_dual_cndmask_b32 v26, v28, v30 :: v_dual_and_b32 v17, 0xffff0000, v17
	v_add3_u32 v28, v31, v18, 0x7fff
	v_or_b32_e32 v30, 0x400000, v18
	v_bfe_u32 v31, v33, 16, 1
	v_cmp_u_f32_e32 vcc_lo, v18, v18
	v_dual_add_f32 v17, v17, v25 :: v_dual_and_b32 v26, 0xffff0000, v26
	s_wait_alu 0xfffd
	v_cndmask_b32_e32 v18, v28, v30, vcc_lo
	v_bfe_u32 v28, v19, 16, 1
	v_add3_u32 v30, v31, v33, 0x7fff
	v_mul_f32_e32 v31, v48, v34
	v_or_b32_e32 v34, 0x400000, v33
	v_cmp_u_f32_e32 vcc_lo, v33, v33
	v_add3_u32 v28, v28, v19, 0x7fff
	v_and_b32_e32 v18, 0xffff0000, v18
	v_bfe_u32 v36, v31, 16, 1
	s_wait_alu 0xfffd
	v_cndmask_b32_e32 v30, v30, v34, vcc_lo
	v_cmp_u_f32_e32 vcc_lo, v19, v19
	v_add_f32_e32 v18, v18, v26
	s_delay_alu instid0(VALU_DEP_3) | instskip(SKIP_2) | instid1(VALU_DEP_3)
	v_and_b32_e32 v25, 0xffff0000, v30
	s_wait_alu 0xfffd
	v_cndmask_b32_e32 v19, v28, v35, vcc_lo
	v_add_f32_e32 v17, v18, v17
	v_add3_u32 v28, v36, v31, 0x7fff
	v_or_b32_e32 v35, 0x400000, v31
	s_delay_alu instid0(VALU_DEP_4) | instskip(NEXT) | instid1(VALU_DEP_1)
	v_and_b32_e32 v19, 0xffff0000, v19
	v_add_f32_e32 v18, v19, v25
	v_and_b32_e32 v25, 0xffff0000, v13
	v_lshlrev_b32_e32 v13, 16, v13
	s_delay_alu instid0(VALU_DEP_3) | instskip(NEXT) | instid1(VALU_DEP_1)
	v_dual_add_f32 v17, v18, v17 :: v_dual_lshlrev_b32 v20, 16, v20
	v_dual_mul_f32 v13, v49, v13 :: v_dual_mul_f32 v20, v50, v20
	s_delay_alu instid0(VALU_DEP_1) | instskip(SKIP_2) | instid1(VALU_DEP_3)
	v_bfe_u32 v37, v20, 16, 1
	v_or_b32_e32 v34, 0x400000, v20
	v_cmp_u_f32_e32 vcc_lo, v20, v20
	v_add3_u32 v33, v37, v20, 0x7fff
	s_wait_alu 0xfffd
	s_delay_alu instid0(VALU_DEP_1) | instskip(SKIP_2) | instid1(VALU_DEP_2)
	v_cndmask_b32_e32 v20, v33, v34, vcc_lo
	v_cmp_u_f32_e32 vcc_lo, v31, v31
	s_wait_alu 0xfffd
	v_dual_cndmask_b32 v26, v28, v35 :: v_dual_and_b32 v19, 0xffff0000, v20
	v_and_b32_e32 v28, 0xffff0000, v32
	s_delay_alu instid0(VALU_DEP_2) | instskip(NEXT) | instid1(VALU_DEP_2)
	v_and_b32_e32 v20, 0xffff0000, v26
	v_add_f32_e32 v26, v27, v28
	s_delay_alu instid0(VALU_DEP_2) | instskip(NEXT) | instid1(VALU_DEP_2)
	v_dual_add_f32 v18, v19, v20 :: v_dual_mul_f32 v19, v45, v25
	v_add_f32_e32 v0, v26, v0
	v_and_b32_e32 v20, 0xffff0000, v14
	s_delay_alu instid0(VALU_DEP_3) | instskip(NEXT) | instid1(VALU_DEP_4)
	v_dual_add_f32 v17, v18, v17 :: v_dual_lshlrev_b32 v14, 16, v14
	v_bfe_u32 v18, v19, 16, 1
	s_delay_alu instid0(VALU_DEP_4) | instskip(SKIP_1) | instid1(VALU_DEP_4)
	v_add_f32_e32 v92, v92, v0
	v_bfe_u32 v0, v13, 16, 1
	v_dual_mul_f32 v20, v46, v20 :: v_dual_add_f32 v93, v93, v17
	s_delay_alu instid0(VALU_DEP_4)
	v_add3_u32 v17, v18, v19, 0x7fff
	v_or_b32_e32 v18, 0x400000, v19
	v_cmp_u_f32_e32 vcc_lo, v19, v19
	v_add3_u32 v0, v0, v13, 0x7fff
	v_or_b32_e32 v25, 0x400000, v13
	v_or_b32_e32 v19, 0x400000, v20
	s_wait_alu 0xfffd
	v_dual_cndmask_b32 v17, v17, v18 :: v_dual_and_b32 v26, 0xffff0000, v16
	v_bfe_u32 v18, v20, 16, 1
	v_cmp_u_f32_e32 vcc_lo, v13, v13
	v_dual_mul_f32 v13, v51, v14 :: v_dual_and_b32 v14, 0xffff0000, v15
	v_lshlrev_b32_e32 v15, 16, v15
	s_delay_alu instid0(VALU_DEP_4)
	v_add3_u32 v18, v18, v20, 0x7fff
	s_wait_alu 0xfffd
	v_cndmask_b32_e32 v0, v0, v25, vcc_lo
	v_bfe_u32 v25, v13, 16, 1
	v_mul_f32_e32 v14, v47, v14
	v_cmp_u_f32_e32 vcc_lo, v20, v20
	v_mul_f32_e32 v15, v52, v15
	v_or_b32_e32 v20, 0x400000, v13
	v_lshlrev_b32_e32 v16, 16, v16
	v_and_b32_e32 v0, 0xffff0000, v0
	s_wait_alu 0xfffd
	v_cndmask_b32_e32 v18, v18, v19, vcc_lo
	v_add3_u32 v19, v25, v13, 0x7fff
	v_bfe_u32 v25, v14, 16, 1
	v_cmp_u_f32_e32 vcc_lo, v13, v13
	v_bfe_u32 v27, v15, 16, 1
	v_dual_mul_f32 v16, v50, v16 :: v_dual_and_b32 v17, 0xffff0000, v17
	s_wait_alu 0xfffd
	v_dual_cndmask_b32 v13, v19, v20 :: v_dual_and_b32 v18, 0xffff0000, v18
	v_add3_u32 v19, v25, v14, 0x7fff
	v_mul_f32_e32 v20, v48, v26
	v_or_b32_e32 v25, 0x400000, v14
	v_cmp_u_f32_e32 vcc_lo, v14, v14
	v_add3_u32 v26, v27, v15, 0x7fff
	v_or_b32_e32 v27, 0x400000, v15
	v_bfe_u32 v28, v20, 16, 1
	v_and_b32_e32 v13, 0xffff0000, v13
	s_wait_alu 0xfffd
	v_cndmask_b32_e32 v14, v19, v25, vcc_lo
	v_cmp_u_f32_e32 vcc_lo, v15, v15
	v_or_b32_e32 v25, 0x400000, v20
	v_add3_u32 v19, v28, v20, 0x7fff
	v_add_f32_e32 v0, v0, v17
	v_and_b32_e32 v17, 0xffff0000, v9
	s_wait_alu 0xfffd
	v_cndmask_b32_e32 v15, v26, v27, vcc_lo
	v_bfe_u32 v26, v16, 16, 1
	v_cmp_u_f32_e32 vcc_lo, v20, v20
	v_add_f32_e32 v13, v13, v18
	v_and_b32_e32 v14, 0xffff0000, v14
	v_and_b32_e32 v15, 0xffff0000, v15
	v_add3_u32 v20, v26, v16, 0x7fff
	s_wait_alu 0xfffd
	v_cndmask_b32_e32 v19, v19, v25, vcc_lo
	v_or_b32_e32 v25, 0x400000, v16
	v_cmp_u_f32_e32 vcc_lo, v16, v16
	v_lshlrev_b32_e32 v9, 16, v9
	v_mul_f32_e32 v17, v45, v17
	v_dual_add_f32 v0, v13, v0 :: v_dual_add_f32 v13, v15, v14
	s_wait_alu 0xfffd
	v_cndmask_b32_e32 v16, v20, v25, vcc_lo
	v_mul_f32_e32 v14, v49, v9
	v_bfe_u32 v18, v17, 16, 1
	v_cmp_u_f32_e32 vcc_lo, v17, v17
	v_add_f32_e32 v9, v13, v0
	v_and_b32_e32 v15, 0xffff0000, v16
	v_and_b32_e32 v16, 0xffff0000, v19
	v_bfe_u32 v0, v14, 16, 1
	v_and_b32_e32 v19, 0xffff0000, v10
	v_lshlrev_b32_e32 v10, 16, v10
	v_and_b32_e32 v20, 0xffff0000, v12
	v_add_f32_e32 v13, v15, v16
	v_add3_u32 v15, v18, v17, 0x7fff
	v_or_b32_e32 v16, 0x400000, v17
	v_add3_u32 v0, v0, v14, 0x7fff
	v_mul_f32_e32 v18, v46, v19
	v_or_b32_e32 v19, 0x400000, v14
	v_mul_f32_e32 v10, v51, v10
	s_wait_alu 0xfffd
	v_cndmask_b32_e32 v15, v15, v16, vcc_lo
	v_cmp_u_f32_e32 vcc_lo, v14, v14
	v_and_b32_e32 v14, 0xffff0000, v11
	v_lshlrev_b32_e32 v11, 16, v11
	v_lshlrev_b32_e32 v12, 16, v12
	v_and_b32_e32 v15, 0xffff0000, v15
	s_wait_alu 0xfffd
	v_cndmask_b32_e32 v0, v0, v19, vcc_lo
	v_bfe_u32 v19, v10, 16, 1
	v_dual_mul_f32 v14, v47, v14 :: v_dual_mul_f32 v11, v52, v11
	v_mul_f32_e32 v12, v50, v12
	s_delay_alu instid0(VALU_DEP_4) | instskip(NEXT) | instid1(VALU_DEP_3)
	v_and_b32_e32 v0, 0xffff0000, v0
	v_bfe_u32 v25, v11, 16, 1
	s_delay_alu instid0(VALU_DEP_2) | instskip(SKIP_4) | instid1(VALU_DEP_4)
	v_dual_add_f32 v0, v0, v15 :: v_dual_and_b32 v15, 0xffff0000, v5
	v_lshlrev_b32_e32 v5, 16, v5
	v_bfe_u32 v16, v18, 16, 1
	v_or_b32_e32 v17, 0x400000, v18
	v_cmp_u_f32_e32 vcc_lo, v18, v18
	v_mul_f32_e32 v5, v49, v5
	s_delay_alu instid0(VALU_DEP_4) | instskip(SKIP_2) | instid1(VALU_DEP_2)
	v_add3_u32 v16, v16, v18, 0x7fff
	v_or_b32_e32 v18, 0x400000, v10
	s_wait_alu 0xfffd
	v_cndmask_b32_e32 v16, v16, v17, vcc_lo
	v_add3_u32 v17, v19, v10, 0x7fff
	v_bfe_u32 v19, v14, 16, 1
	v_cmp_u_f32_e32 vcc_lo, v10, v10
	s_delay_alu instid0(VALU_DEP_4)
	v_and_b32_e32 v16, 0xffff0000, v16
	s_wait_alu 0xfffd
	v_cndmask_b32_e32 v10, v17, v18, vcc_lo
	v_add3_u32 v17, v19, v14, 0x7fff
	v_mul_f32_e32 v18, v48, v20
	v_or_b32_e32 v19, 0x400000, v14
	v_cmp_u_f32_e32 vcc_lo, v14, v14
	v_add3_u32 v20, v25, v11, 0x7fff
	v_or_b32_e32 v25, 0x400000, v11
	v_bfe_u32 v26, v18, 16, 1
	v_and_b32_e32 v10, 0xffff0000, v10
	s_wait_alu 0xfffd
	v_cndmask_b32_e32 v14, v17, v19, vcc_lo
	v_cmp_u_f32_e32 vcc_lo, v11, v11
	v_or_b32_e32 v19, 0x400000, v18
	v_add3_u32 v17, v26, v18, 0x7fff
	v_add_f32_e32 v10, v10, v16
	s_wait_alu 0xfffd
	v_dual_cndmask_b32 v11, v20, v25 :: v_dual_and_b32 v14, 0xffff0000, v14
	v_bfe_u32 v20, v12, 16, 1
	v_cmp_u_f32_e32 vcc_lo, v18, v18
	s_delay_alu instid0(VALU_DEP_3) | instskip(NEXT) | instid1(VALU_DEP_3)
	v_dual_add_f32 v0, v10, v0 :: v_dual_and_b32 v11, 0xffff0000, v11
	v_add3_u32 v18, v20, v12, 0x7fff
	s_wait_alu 0xfffd
	v_cndmask_b32_e32 v17, v17, v19, vcc_lo
	v_or_b32_e32 v19, 0x400000, v12
	v_cmp_u_f32_e32 vcc_lo, v12, v12
	v_dual_add_f32 v10, v11, v14 :: v_dual_mul_f32 v11, v45, v15
	s_delay_alu instid0(VALU_DEP_4) | instskip(SKIP_2) | instid1(VALU_DEP_3)
	v_and_b32_e32 v14, 0xffff0000, v17
	s_wait_alu 0xfffd
	v_dual_cndmask_b32 v12, v18, v19 :: v_dual_and_b32 v15, 0xffff0000, v6
	v_add_f32_e32 v0, v10, v0
	v_bfe_u32 v16, v11, 16, 1
	v_bfe_u32 v10, v5, 16, 1
	v_lshlrev_b32_e32 v6, 16, v6
	v_and_b32_e32 v12, 0xffff0000, v12
	v_cmp_u_f32_e32 vcc_lo, v11, v11
	v_or_b32_e32 v17, 0x400000, v5
	v_add3_u32 v10, v10, v5, 0x7fff
	v_mul_f32_e32 v6, v51, v6
	v_add_f32_e32 v12, v12, v14
	v_mul_f32_e32 v14, v46, v15
	v_add3_u32 v15, v16, v11, 0x7fff
	v_or_b32_e32 v16, 0x400000, v11
	s_delay_alu instid0(VALU_DEP_3) | instskip(SKIP_1) | instid1(VALU_DEP_2)
	v_bfe_u32 v18, v14, 16, 1
	s_wait_alu 0xfffd
	v_cndmask_b32_e32 v11, v15, v16, vcc_lo
	v_cmp_u_f32_e32 vcc_lo, v5, v5
	v_and_b32_e32 v16, 0xffff0000, v7
	v_or_b32_e32 v15, 0x400000, v14
	v_lshlrev_b32_e32 v7, 16, v7
	v_and_b32_e32 v11, 0xffff0000, v11
	s_wait_alu 0xfffd
	v_cndmask_b32_e32 v5, v10, v17, vcc_lo
	v_add3_u32 v10, v18, v14, 0x7fff
	v_bfe_u32 v17, v6, 16, 1
	v_cmp_u_f32_e32 vcc_lo, v14, v14
	v_dual_mul_f32 v14, v47, v16 :: v_dual_mul_f32 v7, v52, v7
	v_or_b32_e32 v16, 0x400000, v6
	s_wait_alu 0xfffd
	v_dual_cndmask_b32 v10, v10, v15 :: v_dual_and_b32 v5, 0xffff0000, v5
	v_add3_u32 v15, v17, v6, 0x7fff
	v_and_b32_e32 v17, 0xffff0000, v8
	v_bfe_u32 v18, v14, 16, 1
	v_cmp_u_f32_e32 vcc_lo, v6, v6
	v_bfe_u32 v19, v7, 16, 1
	v_dual_add_f32 v5, v5, v11 :: v_dual_lshlrev_b32 v8, 16, v8
	s_wait_alu 0xfffd
	v_dual_cndmask_b32 v6, v15, v16 :: v_dual_mul_f32 v15, v48, v17
	v_add3_u32 v16, v18, v14, 0x7fff
	v_or_b32_e32 v17, 0x400000, v14
	v_cmp_u_f32_e32 vcc_lo, v14, v14
	v_add3_u32 v18, v19, v7, 0x7fff
	v_or_b32_e32 v19, 0x400000, v7
	v_bfe_u32 v20, v15, 16, 1
	v_mul_f32_e32 v8, v50, v8
	s_wait_alu 0xfffd
	v_cndmask_b32_e32 v14, v16, v17, vcc_lo
	v_cmp_u_f32_e32 vcc_lo, v7, v7
	v_and_b32_e32 v6, 0xffff0000, v6
	v_add3_u32 v16, v20, v15, 0x7fff
	v_or_b32_e32 v17, 0x400000, v15
	v_and_b32_e32 v11, 0xffff0000, v14
	s_wait_alu 0xfffd
	v_cndmask_b32_e32 v7, v18, v19, vcc_lo
	s_wait_loadcnt 0x0
	v_and_b32_e32 v19, 0xffff0000, v23
	v_and_b32_e32 v10, 0xffff0000, v10
	v_cmp_u_f32_e32 vcc_lo, v15, v15
	v_lshlrev_b32_e32 v20, 16, v24
	v_and_b32_e32 v7, 0xffff0000, v7
	s_delay_alu instid0(VALU_DEP_4)
	v_dual_mul_f32 v19, v47, v19 :: v_dual_add_f32 v6, v6, v10
	v_and_b32_e32 v10, 0xffff0000, v1
	s_wait_alu 0xfffd
	v_cndmask_b32_e32 v15, v16, v17, vcc_lo
	v_bfe_u32 v16, v8, 16, 1
	v_add_f32_e32 v7, v7, v11
	v_dual_add_f32 v5, v6, v5 :: v_dual_mul_f32 v6, v45, v10
	v_lshlrev_b32_e32 v1, 16, v1
	s_delay_alu instid0(VALU_DEP_4)
	v_add3_u32 v14, v16, v8, 0x7fff
	v_or_b32_e32 v16, 0x400000, v8
	v_cmp_u_f32_e32 vcc_lo, v8, v8
	v_bfe_u32 v10, v6, 16, 1
	v_add_f32_e32 v5, v7, v5
	v_and_b32_e32 v7, 0xffff0000, v2
	s_wait_alu 0xfffd
	v_dual_mul_f32 v1, v49, v1 :: v_dual_cndmask_b32 v8, v14, v16
	v_add3_u32 v10, v10, v6, 0x7fff
	v_or_b32_e32 v11, 0x400000, v6
	v_mul_f32_e32 v7, v46, v7
	v_and_b32_e32 v14, 0xffff0000, v15
	v_bfe_u32 v15, v1, 16, 1
	v_cmp_u_f32_e32 vcc_lo, v6, v6
	v_lshlrev_b32_e32 v2, 16, v2
	v_or_b32_e32 v16, 0x400000, v1
	v_or_b32_e32 v17, 0x400000, v7
	s_wait_alu 0xfffd
	v_cndmask_b32_e32 v6, v10, v11, vcc_lo
	v_bfe_u32 v10, v7, 16, 1
	v_add3_u32 v11, v15, v1, 0x7fff
	v_dual_mul_f32 v2, v51, v2 :: v_dual_and_b32 v15, 0xffff0000, v3
	v_cmp_u_f32_e32 vcc_lo, v1, v1
	s_delay_alu instid0(VALU_DEP_4) | instskip(SKIP_1) | instid1(VALU_DEP_4)
	v_add3_u32 v10, v10, v7, 0x7fff
	v_lshlrev_b32_e32 v3, 16, v3
	v_mul_f32_e32 v15, v47, v15
	s_wait_alu 0xfffd
	v_cndmask_b32_e32 v1, v11, v16, vcc_lo
	v_bfe_u32 v11, v2, 16, 1
	v_cmp_u_f32_e32 vcc_lo, v7, v7
	v_dual_mul_f32 v3, v52, v3 :: v_dual_and_b32 v16, 0xffff0000, v4
	v_or_b32_e32 v18, 0x400000, v15
	s_delay_alu instid0(VALU_DEP_4)
	v_add3_u32 v11, v11, v2, 0x7fff
	s_wait_alu 0xfffd
	v_cndmask_b32_e32 v7, v10, v17, vcc_lo
	v_bfe_u32 v10, v15, 16, 1
	v_or_b32_e32 v17, 0x400000, v2
	v_cmp_u_f32_e32 vcc_lo, v2, v2
	v_mul_f32_e32 v16, v48, v16
	v_lshlrev_b32_e32 v4, 16, v4
	v_add3_u32 v10, v10, v15, 0x7fff
	v_and_b32_e32 v1, 0xffff0000, v1
	s_wait_alu 0xfffd
	v_cndmask_b32_e32 v2, v11, v17, vcc_lo
	v_bfe_u32 v11, v3, 16, 1
	v_cmp_u_f32_e32 vcc_lo, v15, v15
	v_bfe_u32 v17, v16, 16, 1
	v_or_b32_e32 v15, 0x400000, v3
	v_mul_f32_e32 v4, v50, v4
	v_add3_u32 v11, v11, v3, 0x7fff
	s_wait_alu 0xfffd
	v_cndmask_b32_e32 v10, v10, v18, vcc_lo
	v_cmp_u_f32_e32 vcc_lo, v3, v3
	v_add3_u32 v17, v17, v16, 0x7fff
	v_or_b32_e32 v18, 0x400000, v16
	v_and_b32_e32 v2, 0xffff0000, v2
	v_and_b32_e32 v7, 0xffff0000, v7
	s_wait_alu 0xfffd
	v_cndmask_b32_e32 v3, v11, v15, vcc_lo
	v_cmp_u_f32_e32 vcc_lo, v16, v16
	v_bfe_u32 v15, v4, 16, 1
	v_or_b32_e32 v16, 0x400000, v4
	v_add_f32_e32 v2, v2, v7
	v_and_b32_e32 v3, 0xffff0000, v3
	s_wait_alu 0xfffd
	v_cndmask_b32_e32 v11, v17, v18, vcc_lo
	v_dual_add_f32 v0, v12, v0 :: v_dual_lshlrev_b32 v17, 16, v21
	v_and_b32_e32 v6, 0xffff0000, v6
	v_add3_u32 v15, v15, v4, 0x7fff
	v_cmp_u_f32_e32 vcc_lo, v4, v4
	s_delay_alu instid0(VALU_DEP_4)
	v_mul_f32_e32 v7, v49, v17
	v_add_f32_e32 v95, v95, v0
	v_add_f32_e32 v1, v1, v6
	v_and_b32_e32 v6, 0xffff0000, v10
	v_and_b32_e32 v10, 0xffff0000, v21
	s_wait_alu 0xfffd
	v_cndmask_b32_e32 v4, v15, v16, vcc_lo
	v_or_b32_e32 v15, 0x400000, v7
	v_add_f32_e32 v1, v2, v1
	v_bfe_u32 v2, v7, 16, 1
	v_add_f32_e32 v3, v3, v6
	v_mul_f32_e32 v6, v45, v10
	v_lshlrev_b32_e32 v10, 16, v22
	v_and_b32_e32 v17, 0xffff0000, v22
	v_add3_u32 v2, v2, v7, 0x7fff
	v_cmp_u_f32_e32 vcc_lo, v7, v7
	v_bfe_u32 v16, v6, 16, 1
	s_delay_alu instid0(VALU_DEP_4)
	v_dual_mul_f32 v10, v51, v10 :: v_dual_mul_f32 v17, v46, v17
	v_lshlrev_b32_e32 v18, 16, v23
	s_wait_alu 0xfffd
	v_cndmask_b32_e32 v2, v2, v15, vcc_lo
	v_add3_u32 v7, v16, v6, 0x7fff
	v_or_b32_e32 v15, 0x400000, v6
	v_bfe_u32 v16, v10, 16, 1
	v_cmp_u_f32_e32 vcc_lo, v6, v6
	v_dual_mul_f32 v18, v52, v18 :: v_dual_and_b32 v21, 0xffff0000, v24
	v_or_b32_e32 v22, 0x400000, v19
	v_and_b32_e32 v2, 0xffff0000, v2
	s_wait_alu 0xfffd
	v_cndmask_b32_e32 v6, v7, v15, vcc_lo
	v_add3_u32 v7, v16, v10, 0x7fff
	v_or_b32_e32 v15, 0x400000, v10
	v_bfe_u32 v16, v17, 16, 1
	v_cmp_u_f32_e32 vcc_lo, v10, v10
	v_and_b32_e32 v6, 0xffff0000, v6
	v_and_b32_e32 v4, 0xffff0000, v4
	;; [unrolled: 1-line block ×3, first 2 shown]
	v_add3_u32 v10, v16, v17, 0x7fff
	s_wait_alu 0xfffd
	v_cndmask_b32_e32 v7, v7, v15, vcc_lo
	v_or_b32_e32 v15, 0x400000, v17
	v_bfe_u32 v16, v18, 16, 1
	v_cmp_u_f32_e32 vcc_lo, v17, v17
	v_dual_mul_f32 v17, v50, v20 :: v_dual_mul_f32 v20, v48, v21
	v_or_b32_e32 v21, 0x400000, v18
	s_delay_alu instid0(VALU_DEP_4)
	v_add3_u32 v16, v16, v18, 0x7fff
	s_wait_alu 0xfffd
	v_cndmask_b32_e32 v10, v10, v15, vcc_lo
	v_bfe_u32 v15, v19, 16, 1
	v_cmp_u_f32_e32 vcc_lo, v18, v18
	v_bfe_u32 v24, v20, 16, 1
	v_bfe_u32 v23, v17, 16, 1
	v_and_b32_e32 v10, 0xffff0000, v10
	v_add3_u32 v15, v15, v19, 0x7fff
	s_wait_alu 0xfffd
	v_cndmask_b32_e32 v16, v16, v21, vcc_lo
	v_cmp_u_f32_e32 vcc_lo, v19, v19
	v_add3_u32 v19, v24, v20, 0x7fff
	v_or_b32_e32 v21, 0x400000, v20
	v_add3_u32 v18, v23, v17, 0x7fff
	v_and_b32_e32 v7, 0xffff0000, v7
	s_wait_alu 0xfffd
	v_cndmask_b32_e32 v15, v15, v22, vcc_lo
	v_cmp_u_f32_e32 vcc_lo, v20, v20
	v_and_b32_e32 v8, 0xffff0000, v8
	v_or_b32_e32 v22, 0x400000, v17
	v_add_f32_e32 v2, v2, v6
	v_add_f32_e32 v6, v7, v10
	s_wait_alu 0xfffd
	v_cndmask_b32_e32 v19, v19, v21, vcc_lo
	v_cmp_u_f32_e32 vcc_lo, v17, v17
	v_and_b32_e32 v7, 0xffff0000, v15
	v_and_b32_e32 v10, 0xffff0000, v16
	v_dual_add_f32 v2, v6, v2 :: v_dual_add_f32 v1, v3, v1
	s_wait_alu 0xfffd
	v_cndmask_b32_e32 v15, v18, v22, vcc_lo
	v_add_f32_e32 v8, v8, v14
	v_add_f32_e32 v6, v10, v7
	v_and_b32_e32 v7, 0xffff0000, v19
	v_add_f32_e32 v3, v4, v11
	s_delay_alu instid0(VALU_DEP_4) | instskip(NEXT) | instid1(VALU_DEP_4)
	v_dual_add_f32 v5, v8, v5 :: v_dual_and_b32 v10, 0xffff0000, v15
	v_add_f32_e32 v2, v6, v2
	v_add_f32_e32 v6, v13, v9
	s_delay_alu instid0(VALU_DEP_3) | instskip(NEXT) | instid1(VALU_DEP_4)
	v_dual_add_f32 v1, v3, v1 :: v_dual_add_f32 v4, v10, v7
	v_add_f32_e32 v96, v96, v5
	s_delay_alu instid0(VALU_DEP_2) | instskip(NEXT) | instid1(VALU_DEP_3)
	v_dual_add_f32 v94, v94, v6 :: v_dual_add_f32 v97, v97, v1
	v_add_f32_e32 v2, v4, v2
	s_delay_alu instid0(VALU_DEP_1)
	v_add_f32_e32 v82, v82, v2
.LBB161_41:                             ;   in Loop: Header=BB161_42 Depth=1
	s_wait_alu 0xfffe
	s_or_b32 exec_lo, exec_lo, s15
	v_add_nc_u32_e32 v111, 4, v111
	v_add_co_u32 v73, s0, v73, 16
	s_wait_alu 0xf1ff
	v_add_co_ci_u32_e64 v74, null, 0, v74, s0
	s_delay_alu instid0(VALU_DEP_3)
	v_cmp_le_i32_e32 vcc_lo, s25, v111
	v_add_nc_u32_e32 v110, 64, v110
	v_add_nc_u32_e32 v101, 0x100, v101
	s_or_b32 s12, vcc_lo, s12
	s_wait_alu 0xfffe
	s_and_not1_b32 exec_lo, exec_lo, s12
	s_cbranch_execz .LBB161_75
.LBB161_42:                             ; =>This Inner Loop Header: Depth=1
	v_sub_nc_u32_e32 v0, 0, v110
	s_delay_alu instid0(VALU_DEP_1) | instskip(NEXT) | instid1(VALU_DEP_1)
	v_max_i32_e32 v0, v110, v0
	v_mul_hi_u32 v1, v0, s24
	s_delay_alu instid0(VALU_DEP_1) | instskip(NEXT) | instid1(VALU_DEP_1)
	v_mul_lo_u32 v2, v1, s16
	v_sub_nc_u32_e32 v0, v0, v2
	v_add_nc_u32_e32 v2, 1, v1
	s_delay_alu instid0(VALU_DEP_2) | instskip(SKIP_2) | instid1(VALU_DEP_2)
	v_subrev_nc_u32_e32 v3, s16, v0
	v_cmp_le_u32_e32 vcc_lo, s16, v0
	s_wait_alu 0xfffd
	v_dual_cndmask_b32 v1, v1, v2 :: v_dual_cndmask_b32 v0, v0, v3
	v_ashrrev_i32_e32 v2, 31, v110
	s_delay_alu instid0(VALU_DEP_2) | instskip(NEXT) | instid1(VALU_DEP_3)
	v_add_nc_u32_e32 v3, 1, v1
	v_cmp_le_u32_e32 vcc_lo, s16, v0
	s_delay_alu instid0(VALU_DEP_3) | instskip(SKIP_1) | instid1(VALU_DEP_3)
	v_xor_b32_e32 v2, s11, v2
	s_wait_alu 0xfffd
	v_cndmask_b32_e32 v0, v1, v3, vcc_lo
	s_delay_alu instid0(VALU_DEP_1) | instskip(NEXT) | instid1(VALU_DEP_1)
	v_xor_b32_e32 v0, v0, v2
	v_sub_nc_u32_e32 v0, v0, v2
	s_delay_alu instid0(VALU_DEP_1) | instskip(SKIP_1) | instid1(VALU_DEP_2)
	v_add_nc_u32_e32 v1, s23, v0
	v_cmp_lt_i32_e64 s0, s5, v0
	v_sub_nc_u32_e32 v2, 0, v1
	s_delay_alu instid0(VALU_DEP_1) | instskip(SKIP_1) | instid1(VALU_DEP_1)
	v_max_i32_e32 v2, v1, v2
	s_wait_alu 0xfffe
	v_mul_hi_u32 v3, v2, s14
	s_delay_alu instid0(VALU_DEP_1) | instskip(NEXT) | instid1(VALU_DEP_1)
	v_mul_lo_u32 v3, v3, s3
	v_sub_nc_u32_e32 v2, v2, v3
	s_delay_alu instid0(VALU_DEP_1) | instskip(SKIP_2) | instid1(VALU_DEP_2)
	v_subrev_nc_u32_e32 v3, s3, v2
	v_cmp_le_u32_e32 vcc_lo, s3, v2
	s_wait_alu 0xfffd
	v_cndmask_b32_e32 v2, v2, v3, vcc_lo
	v_ashrrev_i32_e32 v1, 31, v1
	s_delay_alu instid0(VALU_DEP_2) | instskip(SKIP_2) | instid1(VALU_DEP_2)
	v_subrev_nc_u32_e32 v3, s3, v2
	v_cmp_le_u32_e32 vcc_lo, s3, v2
	s_wait_alu 0xfffd
	v_cndmask_b32_e32 v2, v2, v3, vcc_lo
	s_delay_alu instid0(VALU_DEP_1) | instskip(NEXT) | instid1(VALU_DEP_1)
	v_xor_b32_e32 v2, v2, v1
	v_sub_nc_u32_e32 v1, v2, v1
	s_delay_alu instid0(VALU_DEP_1)
	v_cmp_eq_u32_e32 vcc_lo, 0, v1
	s_or_b32 s0, vcc_lo, s0
	s_wait_alu 0xfffe
	s_and_saveexec_b32 s15, s0
	s_cbranch_execz .LBB161_41
; %bb.43:                               ;   in Loop: Header=BB161_42 Depth=1
	global_load_b32 v0, v[73:74], off
	v_add_nc_u32_e32 v109, v98, v110
	s_delay_alu instid0(VALU_DEP_1)
	v_add_nc_u32_e32 v107, 1, v109
	v_or_b32_e32 v106, 3, v109
	v_or_b32_e32 v108, 2, v109
	;; [unrolled: 1-line block ×6, first 2 shown]
	s_wait_loadcnt 0x0
	v_mad_co_i64_i32 v[1:2], null, v0, s9, 0
	s_delay_alu instid0(VALU_DEP_1) | instskip(NEXT) | instid1(VALU_DEP_1)
	v_lshlrev_b64_e32 v[1:2], 1, v[1:2]
	v_add_co_u32 v21, vcc_lo, v99, v1
	s_wait_alu 0xfffd
	s_delay_alu instid0(VALU_DEP_2)
	v_add_co_ci_u32_e64 v22, null, v100, v2, vcc_lo
	v_cmp_eq_u32_e32 vcc_lo, s10, v111
	global_load_b128 v[1:4], v[21:22], off
	ds_load_2addr_b64 v[49:52], v101 offset1:1
	ds_load_2addr_b64 v[45:48], v101 offset0:2 offset1:3
	s_and_saveexec_b32 s17, vcc_lo
	s_cbranch_execnz .LBB161_59
; %bb.44:                               ;   in Loop: Header=BB161_42 Depth=1
	s_wait_alu 0xfffe
	s_or_b32 exec_lo, exec_lo, s17
	global_load_b128 v[5:8], v[21:22], off offset:512
	s_and_saveexec_b32 s17, vcc_lo
	s_cbranch_execnz .LBB161_60
.LBB161_45:                             ;   in Loop: Header=BB161_42 Depth=1
	s_wait_alu 0xfffe
	s_or_b32 exec_lo, exec_lo, s17
	global_load_b128 v[9:12], v[21:22], off offset:1024
	s_and_saveexec_b32 s17, vcc_lo
	s_cbranch_execnz .LBB161_61
.LBB161_46:                             ;   in Loop: Header=BB161_42 Depth=1
	s_wait_alu 0xfffe
	s_or_b32 exec_lo, exec_lo, s17
	global_load_b128 v[13:16], v[21:22], off offset:1536
	s_and_saveexec_b32 s17, vcc_lo
	s_cbranch_execnz .LBB161_62
.LBB161_47:                             ;   in Loop: Header=BB161_42 Depth=1
	s_wait_alu 0xfffe
	s_or_b32 exec_lo, exec_lo, s17
	global_load_b128 v[17:20], v[21:22], off offset:2048
	s_and_saveexec_b32 s17, vcc_lo
	s_cbranch_execnz .LBB161_63
.LBB161_48:                             ;   in Loop: Header=BB161_42 Depth=1
	s_wait_alu 0xfffe
	s_or_b32 exec_lo, exec_lo, s17
	global_load_b128 v[25:28], v[21:22], off offset:2560
	s_and_saveexec_b32 s17, vcc_lo
	s_cbranch_execnz .LBB161_64
.LBB161_49:                             ;   in Loop: Header=BB161_42 Depth=1
	s_wait_alu 0xfffe
	s_or_b32 exec_lo, exec_lo, s17
	global_load_b128 v[29:32], v[21:22], off offset:3072
	s_and_saveexec_b32 s17, vcc_lo
	s_cbranch_execnz .LBB161_65
.LBB161_50:                             ;   in Loop: Header=BB161_42 Depth=1
	s_wait_alu 0xfffe
	s_or_b32 exec_lo, exec_lo, s17
	global_load_b128 v[33:36], v[21:22], off offset:3584
	s_and_saveexec_b32 s17, vcc_lo
	s_cbranch_execnz .LBB161_66
.LBB161_51:                             ;   in Loop: Header=BB161_42 Depth=1
	s_wait_alu 0xfffe
	s_or_b32 exec_lo, exec_lo, s17
	global_load_b128 v[37:40], v[21:22], off offset:4096
	s_and_saveexec_b32 s17, vcc_lo
	s_cbranch_execnz .LBB161_67
.LBB161_52:                             ;   in Loop: Header=BB161_42 Depth=1
	s_wait_alu 0xfffe
	s_or_b32 exec_lo, exec_lo, s17
	global_load_b128 v[41:44], v[21:22], off offset:4608
	s_and_saveexec_b32 s17, vcc_lo
	s_cbranch_execnz .LBB161_68
.LBB161_53:                             ;   in Loop: Header=BB161_42 Depth=1
	s_wait_alu 0xfffe
	s_or_b32 exec_lo, exec_lo, s17
	global_load_b128 v[53:56], v[21:22], off offset:5120
	s_and_saveexec_b32 s17, vcc_lo
	s_cbranch_execnz .LBB161_69
.LBB161_54:                             ;   in Loop: Header=BB161_42 Depth=1
	s_wait_alu 0xfffe
	s_or_b32 exec_lo, exec_lo, s17
	global_load_b128 v[57:60], v[21:22], off offset:5632
	s_and_saveexec_b32 s17, vcc_lo
	s_cbranch_execnz .LBB161_70
.LBB161_55:                             ;   in Loop: Header=BB161_42 Depth=1
	s_wait_alu 0xfffe
	s_or_b32 exec_lo, exec_lo, s17
	global_load_b128 v[61:64], v[21:22], off offset:6144
	s_and_saveexec_b32 s17, vcc_lo
	s_cbranch_execnz .LBB161_71
.LBB161_56:                             ;   in Loop: Header=BB161_42 Depth=1
	s_wait_alu 0xfffe
	s_or_b32 exec_lo, exec_lo, s17
	global_load_b128 v[65:68], v[21:22], off offset:6656
	s_and_saveexec_b32 s17, vcc_lo
	s_cbranch_execnz .LBB161_72
.LBB161_57:                             ;   in Loop: Header=BB161_42 Depth=1
	s_wait_alu 0xfffe
	s_or_b32 exec_lo, exec_lo, s17
	global_load_b128 v[69:72], v[21:22], off offset:7168
	s_and_saveexec_b32 s17, vcc_lo
	s_cbranch_execnz .LBB161_73
.LBB161_58:                             ;   in Loop: Header=BB161_42 Depth=1
	s_wait_alu 0xfffe
	s_or_b32 exec_lo, exec_lo, s17
	global_load_b128 v[21:24], v[21:22], off offset:7680
	s_and_saveexec_b32 s0, vcc_lo
	s_cbranch_execz .LBB161_40
	s_branch .LBB161_74
.LBB161_59:                             ;   in Loop: Header=BB161_42 Depth=1
	v_cmp_gt_i32_e64 s0, s21, v109
	s_wait_loadcnt 0x0
	v_lshrrev_b32_e32 v0, 16, v1
	v_lshrrev_b32_e32 v5, 16, v2
	;; [unrolled: 1-line block ×4, first 2 shown]
	s_wait_alu 0xf1ff
	v_cndmask_b32_e64 v1, 0, v1, s0
	v_cmp_gt_i32_e64 s0, s13, v107
	s_wait_alu 0xf1ff
	s_delay_alu instid0(VALU_DEP_1) | instskip(SKIP_1) | instid1(VALU_DEP_2)
	v_cndmask_b32_e64 v0, 0, v0, s0
	v_cmp_gt_i32_e64 s0, s21, v108
	v_perm_b32 v1, v0, v1, 0x5040100
	s_wait_alu 0xf1ff
	s_delay_alu instid0(VALU_DEP_2) | instskip(SKIP_2) | instid1(VALU_DEP_1)
	v_cndmask_b32_e64 v2, 0, v2, s0
	v_cmp_gt_i32_e64 s0, s13, v106
	s_wait_alu 0xf1ff
	v_cndmask_b32_e64 v5, 0, v5, s0
	v_cmp_gt_i32_e64 s0, s21, v105
	s_delay_alu instid0(VALU_DEP_2) | instskip(SKIP_1) | instid1(VALU_DEP_2)
	v_perm_b32 v2, v5, v2, 0x5040100
	s_wait_alu 0xf1ff
	v_cndmask_b32_e64 v3, 0, v3, s0
	v_cmp_gt_i32_e64 s0, s13, v103
	s_wait_alu 0xf1ff
	s_delay_alu instid0(VALU_DEP_1) | instskip(SKIP_1) | instid1(VALU_DEP_2)
	v_cndmask_b32_e64 v6, 0, v6, s0
	v_cmp_gt_i32_e64 s0, s21, v104
	v_perm_b32 v3, v6, v3, 0x5040100
	s_wait_alu 0xf1ff
	s_delay_alu instid0(VALU_DEP_2) | instskip(SKIP_2) | instid1(VALU_DEP_1)
	v_cndmask_b32_e64 v4, 0, v4, s0
	v_cmp_gt_i32_e64 s0, s13, v102
	s_wait_alu 0xf1ff
	v_cndmask_b32_e64 v7, 0, v7, s0
	s_delay_alu instid0(VALU_DEP_1)
	v_perm_b32 v4, v7, v4, 0x5040100
	s_wait_alu 0xfffe
	s_or_b32 exec_lo, exec_lo, s17
	global_load_b128 v[5:8], v[21:22], off offset:512
	s_and_saveexec_b32 s17, vcc_lo
	s_cbranch_execz .LBB161_45
.LBB161_60:                             ;   in Loop: Header=BB161_42 Depth=1
	v_cmp_gt_i32_e64 s0, s21, v109
	s_wait_loadcnt 0x0
	v_lshrrev_b32_e32 v0, 16, v5
	v_lshrrev_b32_e32 v9, 16, v6
	;; [unrolled: 1-line block ×4, first 2 shown]
	s_wait_alu 0xf1ff
	v_cndmask_b32_e64 v5, 0, v5, s0
	v_cmp_gt_i32_e64 s0, s13, v107
	s_wait_alu 0xf1ff
	s_delay_alu instid0(VALU_DEP_1) | instskip(SKIP_1) | instid1(VALU_DEP_2)
	v_cndmask_b32_e64 v0, 0, v0, s0
	v_cmp_gt_i32_e64 s0, s21, v108
	v_perm_b32 v5, v0, v5, 0x5040100
	s_wait_alu 0xf1ff
	s_delay_alu instid0(VALU_DEP_2) | instskip(SKIP_2) | instid1(VALU_DEP_1)
	v_cndmask_b32_e64 v6, 0, v6, s0
	v_cmp_gt_i32_e64 s0, s13, v106
	s_wait_alu 0xf1ff
	v_cndmask_b32_e64 v9, 0, v9, s0
	v_cmp_gt_i32_e64 s0, s21, v105
	s_delay_alu instid0(VALU_DEP_2) | instskip(SKIP_1) | instid1(VALU_DEP_2)
	v_perm_b32 v6, v9, v6, 0x5040100
	s_wait_alu 0xf1ff
	v_cndmask_b32_e64 v7, 0, v7, s0
	v_cmp_gt_i32_e64 s0, s13, v103
	s_wait_alu 0xf1ff
	s_delay_alu instid0(VALU_DEP_1) | instskip(SKIP_1) | instid1(VALU_DEP_2)
	v_cndmask_b32_e64 v10, 0, v10, s0
	v_cmp_gt_i32_e64 s0, s21, v104
	v_perm_b32 v7, v10, v7, 0x5040100
	s_wait_alu 0xf1ff
	s_delay_alu instid0(VALU_DEP_2) | instskip(SKIP_2) | instid1(VALU_DEP_1)
	v_cndmask_b32_e64 v8, 0, v8, s0
	v_cmp_gt_i32_e64 s0, s13, v102
	s_wait_alu 0xf1ff
	v_cndmask_b32_e64 v11, 0, v11, s0
	s_delay_alu instid0(VALU_DEP_1)
	v_perm_b32 v8, v11, v8, 0x5040100
	s_wait_alu 0xfffe
	s_or_b32 exec_lo, exec_lo, s17
	global_load_b128 v[9:12], v[21:22], off offset:1024
	s_and_saveexec_b32 s17, vcc_lo
	s_cbranch_execz .LBB161_46
.LBB161_61:                             ;   in Loop: Header=BB161_42 Depth=1
	v_cmp_gt_i32_e64 s0, s21, v109
	s_wait_loadcnt 0x0
	v_lshrrev_b32_e32 v0, 16, v9
	v_lshrrev_b32_e32 v13, 16, v10
	v_lshrrev_b32_e32 v14, 16, v11
	v_lshrrev_b32_e32 v15, 16, v12
	s_wait_alu 0xf1ff
	v_cndmask_b32_e64 v9, 0, v9, s0
	v_cmp_gt_i32_e64 s0, s13, v107
	s_wait_alu 0xf1ff
	s_delay_alu instid0(VALU_DEP_1) | instskip(SKIP_1) | instid1(VALU_DEP_2)
	v_cndmask_b32_e64 v0, 0, v0, s0
	v_cmp_gt_i32_e64 s0, s21, v108
	v_perm_b32 v9, v0, v9, 0x5040100
	s_wait_alu 0xf1ff
	s_delay_alu instid0(VALU_DEP_2) | instskip(SKIP_2) | instid1(VALU_DEP_1)
	v_cndmask_b32_e64 v10, 0, v10, s0
	v_cmp_gt_i32_e64 s0, s13, v106
	s_wait_alu 0xf1ff
	v_cndmask_b32_e64 v13, 0, v13, s0
	v_cmp_gt_i32_e64 s0, s21, v105
	s_delay_alu instid0(VALU_DEP_2) | instskip(SKIP_1) | instid1(VALU_DEP_2)
	v_perm_b32 v10, v13, v10, 0x5040100
	s_wait_alu 0xf1ff
	v_cndmask_b32_e64 v11, 0, v11, s0
	v_cmp_gt_i32_e64 s0, s13, v103
	s_wait_alu 0xf1ff
	s_delay_alu instid0(VALU_DEP_1) | instskip(SKIP_1) | instid1(VALU_DEP_2)
	v_cndmask_b32_e64 v14, 0, v14, s0
	v_cmp_gt_i32_e64 s0, s21, v104
	v_perm_b32 v11, v14, v11, 0x5040100
	s_wait_alu 0xf1ff
	s_delay_alu instid0(VALU_DEP_2) | instskip(SKIP_2) | instid1(VALU_DEP_1)
	v_cndmask_b32_e64 v12, 0, v12, s0
	v_cmp_gt_i32_e64 s0, s13, v102
	s_wait_alu 0xf1ff
	v_cndmask_b32_e64 v15, 0, v15, s0
	s_delay_alu instid0(VALU_DEP_1)
	v_perm_b32 v12, v15, v12, 0x5040100
	s_wait_alu 0xfffe
	s_or_b32 exec_lo, exec_lo, s17
	global_load_b128 v[13:16], v[21:22], off offset:1536
	s_and_saveexec_b32 s17, vcc_lo
	s_cbranch_execz .LBB161_47
.LBB161_62:                             ;   in Loop: Header=BB161_42 Depth=1
	v_cmp_gt_i32_e64 s0, s21, v109
	s_wait_loadcnt 0x0
	v_lshrrev_b32_e32 v0, 16, v13
	v_lshrrev_b32_e32 v17, 16, v14
	;; [unrolled: 1-line block ×4, first 2 shown]
	s_wait_alu 0xf1ff
	v_cndmask_b32_e64 v13, 0, v13, s0
	v_cmp_gt_i32_e64 s0, s13, v107
	s_wait_alu 0xf1ff
	s_delay_alu instid0(VALU_DEP_1) | instskip(SKIP_1) | instid1(VALU_DEP_2)
	v_cndmask_b32_e64 v0, 0, v0, s0
	v_cmp_gt_i32_e64 s0, s21, v108
	v_perm_b32 v13, v0, v13, 0x5040100
	s_wait_alu 0xf1ff
	s_delay_alu instid0(VALU_DEP_2) | instskip(SKIP_2) | instid1(VALU_DEP_1)
	v_cndmask_b32_e64 v14, 0, v14, s0
	v_cmp_gt_i32_e64 s0, s13, v106
	s_wait_alu 0xf1ff
	v_cndmask_b32_e64 v17, 0, v17, s0
	v_cmp_gt_i32_e64 s0, s21, v105
	s_delay_alu instid0(VALU_DEP_2) | instskip(SKIP_1) | instid1(VALU_DEP_2)
	v_perm_b32 v14, v17, v14, 0x5040100
	s_wait_alu 0xf1ff
	v_cndmask_b32_e64 v15, 0, v15, s0
	v_cmp_gt_i32_e64 s0, s13, v103
	s_wait_alu 0xf1ff
	s_delay_alu instid0(VALU_DEP_1) | instskip(SKIP_1) | instid1(VALU_DEP_2)
	v_cndmask_b32_e64 v18, 0, v18, s0
	v_cmp_gt_i32_e64 s0, s21, v104
	v_perm_b32 v15, v18, v15, 0x5040100
	s_wait_alu 0xf1ff
	s_delay_alu instid0(VALU_DEP_2) | instskip(SKIP_2) | instid1(VALU_DEP_1)
	v_cndmask_b32_e64 v16, 0, v16, s0
	v_cmp_gt_i32_e64 s0, s13, v102
	s_wait_alu 0xf1ff
	v_cndmask_b32_e64 v19, 0, v19, s0
	s_delay_alu instid0(VALU_DEP_1)
	v_perm_b32 v16, v19, v16, 0x5040100
	s_wait_alu 0xfffe
	s_or_b32 exec_lo, exec_lo, s17
	global_load_b128 v[17:20], v[21:22], off offset:2048
	s_and_saveexec_b32 s17, vcc_lo
	s_cbranch_execz .LBB161_48
.LBB161_63:                             ;   in Loop: Header=BB161_42 Depth=1
	v_cmp_gt_i32_e64 s0, s21, v109
	s_wait_loadcnt 0x0
	v_lshrrev_b32_e32 v0, 16, v17
	v_lshrrev_b32_e32 v23, 16, v18
	;; [unrolled: 1-line block ×4, first 2 shown]
	s_wait_alu 0xf1ff
	v_cndmask_b32_e64 v17, 0, v17, s0
	v_cmp_gt_i32_e64 s0, s13, v107
	s_wait_alu 0xf1ff
	s_delay_alu instid0(VALU_DEP_1) | instskip(SKIP_1) | instid1(VALU_DEP_2)
	v_cndmask_b32_e64 v0, 0, v0, s0
	v_cmp_gt_i32_e64 s0, s21, v108
	v_perm_b32 v17, v0, v17, 0x5040100
	s_wait_alu 0xf1ff
	s_delay_alu instid0(VALU_DEP_2) | instskip(SKIP_2) | instid1(VALU_DEP_1)
	v_cndmask_b32_e64 v18, 0, v18, s0
	v_cmp_gt_i32_e64 s0, s13, v106
	s_wait_alu 0xf1ff
	v_cndmask_b32_e64 v23, 0, v23, s0
	v_cmp_gt_i32_e64 s0, s21, v105
	s_delay_alu instid0(VALU_DEP_2) | instskip(SKIP_1) | instid1(VALU_DEP_2)
	v_perm_b32 v18, v23, v18, 0x5040100
	s_wait_alu 0xf1ff
	v_cndmask_b32_e64 v19, 0, v19, s0
	v_cmp_gt_i32_e64 s0, s13, v103
	s_wait_alu 0xf1ff
	s_delay_alu instid0(VALU_DEP_1) | instskip(SKIP_1) | instid1(VALU_DEP_2)
	v_cndmask_b32_e64 v24, 0, v24, s0
	v_cmp_gt_i32_e64 s0, s21, v104
	v_perm_b32 v19, v24, v19, 0x5040100
	s_wait_alu 0xf1ff
	s_delay_alu instid0(VALU_DEP_2) | instskip(SKIP_2) | instid1(VALU_DEP_1)
	v_cndmask_b32_e64 v20, 0, v20, s0
	v_cmp_gt_i32_e64 s0, s13, v102
	s_wait_alu 0xf1ff
	v_cndmask_b32_e64 v25, 0, v25, s0
	s_delay_alu instid0(VALU_DEP_1)
	v_perm_b32 v20, v25, v20, 0x5040100
	s_wait_alu 0xfffe
	s_or_b32 exec_lo, exec_lo, s17
	global_load_b128 v[25:28], v[21:22], off offset:2560
	s_and_saveexec_b32 s17, vcc_lo
	s_cbranch_execz .LBB161_49
.LBB161_64:                             ;   in Loop: Header=BB161_42 Depth=1
	v_cmp_gt_i32_e64 s0, s21, v109
	s_wait_loadcnt 0x0
	v_lshrrev_b32_e32 v0, 16, v25
	v_lshrrev_b32_e32 v24, 16, v26
	;; [unrolled: 1-line block ×3, first 2 shown]
	s_wait_alu 0xf1ff
	v_cndmask_b32_e64 v23, 0, v25, s0
	v_cmp_gt_i32_e64 s0, s13, v107
	v_lshrrev_b32_e32 v25, 16, v27
	s_wait_alu 0xf1ff
	s_delay_alu instid0(VALU_DEP_2) | instskip(SKIP_2) | instid1(VALU_DEP_1)
	v_cndmask_b32_e64 v0, 0, v0, s0
	v_cmp_gt_i32_e64 s0, s21, v108
	s_wait_alu 0xf1ff
	v_cndmask_b32_e64 v26, 0, v26, s0
	v_cmp_gt_i32_e64 s0, s13, v106
	s_wait_alu 0xf1ff
	s_delay_alu instid0(VALU_DEP_1) | instskip(SKIP_1) | instid1(VALU_DEP_2)
	v_cndmask_b32_e64 v24, 0, v24, s0
	v_cmp_gt_i32_e64 s0, s21, v105
	v_perm_b32 v26, v24, v26, 0x5040100
	s_wait_alu 0xf1ff
	s_delay_alu instid0(VALU_DEP_2) | instskip(SKIP_2) | instid1(VALU_DEP_1)
	v_cndmask_b32_e64 v27, 0, v27, s0
	v_cmp_gt_i32_e64 s0, s13, v103
	s_wait_alu 0xf1ff
	v_cndmask_b32_e64 v30, 0, v25, s0
	v_cmp_gt_i32_e64 s0, s21, v104
	v_perm_b32 v25, v0, v23, 0x5040100
	s_delay_alu instid0(VALU_DEP_3) | instskip(SKIP_1) | instid1(VALU_DEP_3)
	v_perm_b32 v27, v30, v27, 0x5040100
	s_wait_alu 0xf1ff
	v_cndmask_b32_e64 v28, 0, v28, s0
	v_cmp_gt_i32_e64 s0, s13, v102
	s_wait_alu 0xf1ff
	s_delay_alu instid0(VALU_DEP_1) | instskip(NEXT) | instid1(VALU_DEP_1)
	v_cndmask_b32_e64 v29, 0, v29, s0
	v_perm_b32 v28, v29, v28, 0x5040100
	s_wait_alu 0xfffe
	s_or_b32 exec_lo, exec_lo, s17
	global_load_b128 v[29:32], v[21:22], off offset:3072
	s_and_saveexec_b32 s17, vcc_lo
	s_cbranch_execz .LBB161_50
.LBB161_65:                             ;   in Loop: Header=BB161_42 Depth=1
	v_cmp_gt_i32_e64 s0, s21, v109
	s_wait_loadcnt 0x0
	v_lshrrev_b32_e32 v0, 16, v29
	v_lshrrev_b32_e32 v24, 16, v30
	;; [unrolled: 1-line block ×3, first 2 shown]
	s_wait_alu 0xf1ff
	v_cndmask_b32_e64 v23, 0, v29, s0
	v_cmp_gt_i32_e64 s0, s13, v107
	v_lshrrev_b32_e32 v29, 16, v31
	s_wait_alu 0xf1ff
	s_delay_alu instid0(VALU_DEP_2) | instskip(SKIP_2) | instid1(VALU_DEP_1)
	v_cndmask_b32_e64 v0, 0, v0, s0
	v_cmp_gt_i32_e64 s0, s21, v108
	s_wait_alu 0xf1ff
	v_cndmask_b32_e64 v30, 0, v30, s0
	v_cmp_gt_i32_e64 s0, s13, v106
	s_wait_alu 0xf1ff
	s_delay_alu instid0(VALU_DEP_1) | instskip(SKIP_1) | instid1(VALU_DEP_2)
	v_cndmask_b32_e64 v24, 0, v24, s0
	v_cmp_gt_i32_e64 s0, s21, v105
	v_perm_b32 v30, v24, v30, 0x5040100
	s_wait_alu 0xf1ff
	s_delay_alu instid0(VALU_DEP_2) | instskip(SKIP_2) | instid1(VALU_DEP_1)
	v_cndmask_b32_e64 v31, 0, v31, s0
	v_cmp_gt_i32_e64 s0, s13, v103
	s_wait_alu 0xf1ff
	v_cndmask_b32_e64 v34, 0, v29, s0
	v_cmp_gt_i32_e64 s0, s21, v104
	v_perm_b32 v29, v0, v23, 0x5040100
	s_delay_alu instid0(VALU_DEP_3) | instskip(SKIP_1) | instid1(VALU_DEP_3)
	v_perm_b32 v31, v34, v31, 0x5040100
	s_wait_alu 0xf1ff
	v_cndmask_b32_e64 v32, 0, v32, s0
	v_cmp_gt_i32_e64 s0, s13, v102
	s_wait_alu 0xf1ff
	s_delay_alu instid0(VALU_DEP_1) | instskip(NEXT) | instid1(VALU_DEP_1)
	v_cndmask_b32_e64 v33, 0, v33, s0
	v_perm_b32 v32, v33, v32, 0x5040100
	s_wait_alu 0xfffe
	s_or_b32 exec_lo, exec_lo, s17
	global_load_b128 v[33:36], v[21:22], off offset:3584
	s_and_saveexec_b32 s17, vcc_lo
	s_cbranch_execz .LBB161_51
.LBB161_66:                             ;   in Loop: Header=BB161_42 Depth=1
	v_cmp_gt_i32_e64 s0, s21, v109
	s_wait_loadcnt 0x0
	v_lshrrev_b32_e32 v0, 16, v33
	v_lshrrev_b32_e32 v24, 16, v34
	;; [unrolled: 1-line block ×3, first 2 shown]
	s_wait_alu 0xf1ff
	v_cndmask_b32_e64 v23, 0, v33, s0
	v_cmp_gt_i32_e64 s0, s13, v107
	v_lshrrev_b32_e32 v33, 16, v35
	s_wait_alu 0xf1ff
	s_delay_alu instid0(VALU_DEP_2) | instskip(SKIP_2) | instid1(VALU_DEP_1)
	v_cndmask_b32_e64 v0, 0, v0, s0
	v_cmp_gt_i32_e64 s0, s21, v108
	s_wait_alu 0xf1ff
	v_cndmask_b32_e64 v34, 0, v34, s0
	v_cmp_gt_i32_e64 s0, s13, v106
	s_wait_alu 0xf1ff
	s_delay_alu instid0(VALU_DEP_1) | instskip(SKIP_1) | instid1(VALU_DEP_2)
	v_cndmask_b32_e64 v24, 0, v24, s0
	v_cmp_gt_i32_e64 s0, s21, v105
	v_perm_b32 v34, v24, v34, 0x5040100
	s_wait_alu 0xf1ff
	s_delay_alu instid0(VALU_DEP_2) | instskip(SKIP_2) | instid1(VALU_DEP_1)
	v_cndmask_b32_e64 v35, 0, v35, s0
	v_cmp_gt_i32_e64 s0, s13, v103
	s_wait_alu 0xf1ff
	v_cndmask_b32_e64 v38, 0, v33, s0
	v_cmp_gt_i32_e64 s0, s21, v104
	v_perm_b32 v33, v0, v23, 0x5040100
	s_delay_alu instid0(VALU_DEP_3) | instskip(SKIP_1) | instid1(VALU_DEP_3)
	v_perm_b32 v35, v38, v35, 0x5040100
	s_wait_alu 0xf1ff
	v_cndmask_b32_e64 v36, 0, v36, s0
	v_cmp_gt_i32_e64 s0, s13, v102
	s_wait_alu 0xf1ff
	s_delay_alu instid0(VALU_DEP_1) | instskip(NEXT) | instid1(VALU_DEP_1)
	v_cndmask_b32_e64 v37, 0, v37, s0
	v_perm_b32 v36, v37, v36, 0x5040100
	s_wait_alu 0xfffe
	s_or_b32 exec_lo, exec_lo, s17
	global_load_b128 v[37:40], v[21:22], off offset:4096
	s_and_saveexec_b32 s17, vcc_lo
	s_cbranch_execz .LBB161_52
.LBB161_67:                             ;   in Loop: Header=BB161_42 Depth=1
	v_cmp_gt_i32_e64 s0, s21, v109
	s_wait_loadcnt 0x0
	v_lshrrev_b32_e32 v0, 16, v37
	v_lshrrev_b32_e32 v24, 16, v38
	;; [unrolled: 1-line block ×3, first 2 shown]
	s_wait_alu 0xf1ff
	v_cndmask_b32_e64 v23, 0, v37, s0
	v_cmp_gt_i32_e64 s0, s13, v107
	v_lshrrev_b32_e32 v37, 16, v39
	s_wait_alu 0xf1ff
	s_delay_alu instid0(VALU_DEP_2) | instskip(SKIP_2) | instid1(VALU_DEP_1)
	v_cndmask_b32_e64 v0, 0, v0, s0
	v_cmp_gt_i32_e64 s0, s21, v108
	s_wait_alu 0xf1ff
	v_cndmask_b32_e64 v38, 0, v38, s0
	v_cmp_gt_i32_e64 s0, s13, v106
	s_wait_alu 0xf1ff
	s_delay_alu instid0(VALU_DEP_1) | instskip(SKIP_1) | instid1(VALU_DEP_2)
	v_cndmask_b32_e64 v24, 0, v24, s0
	v_cmp_gt_i32_e64 s0, s21, v105
	v_perm_b32 v38, v24, v38, 0x5040100
	s_wait_alu 0xf1ff
	s_delay_alu instid0(VALU_DEP_2) | instskip(SKIP_2) | instid1(VALU_DEP_1)
	v_cndmask_b32_e64 v39, 0, v39, s0
	v_cmp_gt_i32_e64 s0, s13, v103
	s_wait_alu 0xf1ff
	v_cndmask_b32_e64 v42, 0, v37, s0
	v_cmp_gt_i32_e64 s0, s21, v104
	v_perm_b32 v37, v0, v23, 0x5040100
	s_delay_alu instid0(VALU_DEP_3) | instskip(SKIP_1) | instid1(VALU_DEP_3)
	v_perm_b32 v39, v42, v39, 0x5040100
	s_wait_alu 0xf1ff
	v_cndmask_b32_e64 v40, 0, v40, s0
	v_cmp_gt_i32_e64 s0, s13, v102
	s_wait_alu 0xf1ff
	s_delay_alu instid0(VALU_DEP_1) | instskip(NEXT) | instid1(VALU_DEP_1)
	v_cndmask_b32_e64 v41, 0, v41, s0
	v_perm_b32 v40, v41, v40, 0x5040100
	s_wait_alu 0xfffe
	s_or_b32 exec_lo, exec_lo, s17
	global_load_b128 v[41:44], v[21:22], off offset:4608
	s_and_saveexec_b32 s17, vcc_lo
	s_cbranch_execz .LBB161_53
.LBB161_68:                             ;   in Loop: Header=BB161_42 Depth=1
	v_cmp_gt_i32_e64 s0, s21, v109
	s_wait_loadcnt 0x0
	v_lshrrev_b32_e32 v0, 16, v41
	v_lshrrev_b32_e32 v24, 16, v42
	;; [unrolled: 1-line block ×3, first 2 shown]
	s_wait_alu 0xf1ff
	v_cndmask_b32_e64 v23, 0, v41, s0
	v_cmp_gt_i32_e64 s0, s13, v107
	v_lshrrev_b32_e32 v41, 16, v43
	s_wait_alu 0xf1ff
	s_delay_alu instid0(VALU_DEP_2) | instskip(SKIP_2) | instid1(VALU_DEP_1)
	v_cndmask_b32_e64 v0, 0, v0, s0
	v_cmp_gt_i32_e64 s0, s21, v108
	s_wait_alu 0xf1ff
	v_cndmask_b32_e64 v42, 0, v42, s0
	v_cmp_gt_i32_e64 s0, s13, v106
	s_wait_alu 0xf1ff
	s_delay_alu instid0(VALU_DEP_1) | instskip(SKIP_1) | instid1(VALU_DEP_2)
	v_cndmask_b32_e64 v24, 0, v24, s0
	v_cmp_gt_i32_e64 s0, s21, v105
	v_perm_b32 v42, v24, v42, 0x5040100
	s_wait_alu 0xf1ff
	s_delay_alu instid0(VALU_DEP_2) | instskip(SKIP_2) | instid1(VALU_DEP_1)
	v_cndmask_b32_e64 v43, 0, v43, s0
	v_cmp_gt_i32_e64 s0, s13, v103
	s_wait_alu 0xf1ff
	v_cndmask_b32_e64 v54, 0, v41, s0
	v_cmp_gt_i32_e64 s0, s21, v104
	v_perm_b32 v41, v0, v23, 0x5040100
	s_delay_alu instid0(VALU_DEP_3) | instskip(SKIP_1) | instid1(VALU_DEP_3)
	v_perm_b32 v43, v54, v43, 0x5040100
	s_wait_alu 0xf1ff
	v_cndmask_b32_e64 v44, 0, v44, s0
	v_cmp_gt_i32_e64 s0, s13, v102
	s_wait_alu 0xf1ff
	s_delay_alu instid0(VALU_DEP_1) | instskip(NEXT) | instid1(VALU_DEP_1)
	v_cndmask_b32_e64 v53, 0, v53, s0
	v_perm_b32 v44, v53, v44, 0x5040100
	s_wait_alu 0xfffe
	s_or_b32 exec_lo, exec_lo, s17
	global_load_b128 v[53:56], v[21:22], off offset:5120
	s_and_saveexec_b32 s17, vcc_lo
	s_cbranch_execz .LBB161_54
.LBB161_69:                             ;   in Loop: Header=BB161_42 Depth=1
	v_cmp_gt_i32_e64 s0, s21, v109
	s_wait_loadcnt 0x0
	v_lshrrev_b32_e32 v0, 16, v53
	v_lshrrev_b32_e32 v24, 16, v54
	;; [unrolled: 1-line block ×3, first 2 shown]
	s_wait_alu 0xf1ff
	v_cndmask_b32_e64 v23, 0, v53, s0
	v_cmp_gt_i32_e64 s0, s13, v107
	v_lshrrev_b32_e32 v53, 16, v55
	s_wait_alu 0xf1ff
	s_delay_alu instid0(VALU_DEP_2) | instskip(SKIP_2) | instid1(VALU_DEP_1)
	v_cndmask_b32_e64 v0, 0, v0, s0
	v_cmp_gt_i32_e64 s0, s21, v108
	s_wait_alu 0xf1ff
	v_cndmask_b32_e64 v54, 0, v54, s0
	v_cmp_gt_i32_e64 s0, s13, v106
	s_wait_alu 0xf1ff
	s_delay_alu instid0(VALU_DEP_1) | instskip(SKIP_1) | instid1(VALU_DEP_2)
	v_cndmask_b32_e64 v24, 0, v24, s0
	v_cmp_gt_i32_e64 s0, s21, v105
	v_perm_b32 v54, v24, v54, 0x5040100
	s_wait_alu 0xf1ff
	s_delay_alu instid0(VALU_DEP_2) | instskip(SKIP_2) | instid1(VALU_DEP_1)
	v_cndmask_b32_e64 v55, 0, v55, s0
	v_cmp_gt_i32_e64 s0, s13, v103
	s_wait_alu 0xf1ff
	v_cndmask_b32_e64 v58, 0, v53, s0
	v_cmp_gt_i32_e64 s0, s21, v104
	v_perm_b32 v53, v0, v23, 0x5040100
	s_delay_alu instid0(VALU_DEP_3) | instskip(SKIP_1) | instid1(VALU_DEP_3)
	v_perm_b32 v55, v58, v55, 0x5040100
	s_wait_alu 0xf1ff
	v_cndmask_b32_e64 v56, 0, v56, s0
	v_cmp_gt_i32_e64 s0, s13, v102
	s_wait_alu 0xf1ff
	s_delay_alu instid0(VALU_DEP_1) | instskip(NEXT) | instid1(VALU_DEP_1)
	v_cndmask_b32_e64 v57, 0, v57, s0
	v_perm_b32 v56, v57, v56, 0x5040100
	s_wait_alu 0xfffe
	s_or_b32 exec_lo, exec_lo, s17
	global_load_b128 v[57:60], v[21:22], off offset:5632
	s_and_saveexec_b32 s17, vcc_lo
	s_cbranch_execz .LBB161_55
.LBB161_70:                             ;   in Loop: Header=BB161_42 Depth=1
	v_cmp_gt_i32_e64 s0, s21, v109
	s_wait_loadcnt 0x0
	v_lshrrev_b32_e32 v0, 16, v57
	v_lshrrev_b32_e32 v24, 16, v58
	;; [unrolled: 1-line block ×3, first 2 shown]
	s_wait_alu 0xf1ff
	v_cndmask_b32_e64 v23, 0, v57, s0
	v_cmp_gt_i32_e64 s0, s13, v107
	v_lshrrev_b32_e32 v57, 16, v59
	s_wait_alu 0xf1ff
	s_delay_alu instid0(VALU_DEP_2) | instskip(SKIP_2) | instid1(VALU_DEP_1)
	v_cndmask_b32_e64 v0, 0, v0, s0
	v_cmp_gt_i32_e64 s0, s21, v108
	s_wait_alu 0xf1ff
	v_cndmask_b32_e64 v58, 0, v58, s0
	v_cmp_gt_i32_e64 s0, s13, v106
	s_wait_alu 0xf1ff
	s_delay_alu instid0(VALU_DEP_1) | instskip(SKIP_1) | instid1(VALU_DEP_2)
	v_cndmask_b32_e64 v24, 0, v24, s0
	v_cmp_gt_i32_e64 s0, s21, v105
	v_perm_b32 v58, v24, v58, 0x5040100
	s_wait_alu 0xf1ff
	s_delay_alu instid0(VALU_DEP_2) | instskip(SKIP_2) | instid1(VALU_DEP_1)
	v_cndmask_b32_e64 v59, 0, v59, s0
	v_cmp_gt_i32_e64 s0, s13, v103
	s_wait_alu 0xf1ff
	v_cndmask_b32_e64 v62, 0, v57, s0
	v_cmp_gt_i32_e64 s0, s21, v104
	v_perm_b32 v57, v0, v23, 0x5040100
	s_delay_alu instid0(VALU_DEP_3) | instskip(SKIP_1) | instid1(VALU_DEP_3)
	v_perm_b32 v59, v62, v59, 0x5040100
	s_wait_alu 0xf1ff
	v_cndmask_b32_e64 v60, 0, v60, s0
	v_cmp_gt_i32_e64 s0, s13, v102
	s_wait_alu 0xf1ff
	s_delay_alu instid0(VALU_DEP_1) | instskip(NEXT) | instid1(VALU_DEP_1)
	v_cndmask_b32_e64 v61, 0, v61, s0
	v_perm_b32 v60, v61, v60, 0x5040100
	s_wait_alu 0xfffe
	s_or_b32 exec_lo, exec_lo, s17
	global_load_b128 v[61:64], v[21:22], off offset:6144
	s_and_saveexec_b32 s17, vcc_lo
	s_cbranch_execz .LBB161_56
.LBB161_71:                             ;   in Loop: Header=BB161_42 Depth=1
	v_cmp_gt_i32_e64 s0, s21, v109
	s_wait_loadcnt 0x0
	v_lshrrev_b32_e32 v0, 16, v61
	v_lshrrev_b32_e32 v24, 16, v62
	;; [unrolled: 1-line block ×3, first 2 shown]
	s_wait_alu 0xf1ff
	v_cndmask_b32_e64 v23, 0, v61, s0
	v_cmp_gt_i32_e64 s0, s13, v107
	v_lshrrev_b32_e32 v61, 16, v63
	s_wait_alu 0xf1ff
	s_delay_alu instid0(VALU_DEP_2) | instskip(SKIP_2) | instid1(VALU_DEP_1)
	v_cndmask_b32_e64 v0, 0, v0, s0
	v_cmp_gt_i32_e64 s0, s21, v108
	s_wait_alu 0xf1ff
	v_cndmask_b32_e64 v62, 0, v62, s0
	v_cmp_gt_i32_e64 s0, s13, v106
	s_wait_alu 0xf1ff
	s_delay_alu instid0(VALU_DEP_1) | instskip(SKIP_1) | instid1(VALU_DEP_2)
	v_cndmask_b32_e64 v24, 0, v24, s0
	v_cmp_gt_i32_e64 s0, s21, v105
	v_perm_b32 v62, v24, v62, 0x5040100
	s_wait_alu 0xf1ff
	s_delay_alu instid0(VALU_DEP_2) | instskip(SKIP_2) | instid1(VALU_DEP_1)
	v_cndmask_b32_e64 v63, 0, v63, s0
	v_cmp_gt_i32_e64 s0, s13, v103
	s_wait_alu 0xf1ff
	v_cndmask_b32_e64 v66, 0, v61, s0
	v_cmp_gt_i32_e64 s0, s21, v104
	v_perm_b32 v61, v0, v23, 0x5040100
	s_delay_alu instid0(VALU_DEP_3) | instskip(SKIP_1) | instid1(VALU_DEP_3)
	v_perm_b32 v63, v66, v63, 0x5040100
	s_wait_alu 0xf1ff
	v_cndmask_b32_e64 v64, 0, v64, s0
	v_cmp_gt_i32_e64 s0, s13, v102
	s_wait_alu 0xf1ff
	s_delay_alu instid0(VALU_DEP_1) | instskip(NEXT) | instid1(VALU_DEP_1)
	v_cndmask_b32_e64 v65, 0, v65, s0
	v_perm_b32 v64, v65, v64, 0x5040100
	s_wait_alu 0xfffe
	s_or_b32 exec_lo, exec_lo, s17
	global_load_b128 v[65:68], v[21:22], off offset:6656
	s_and_saveexec_b32 s17, vcc_lo
	s_cbranch_execz .LBB161_57
.LBB161_72:                             ;   in Loop: Header=BB161_42 Depth=1
	v_cmp_gt_i32_e64 s0, s21, v109
	s_wait_loadcnt 0x0
	v_lshrrev_b32_e32 v0, 16, v65
	v_lshrrev_b32_e32 v24, 16, v66
	;; [unrolled: 1-line block ×3, first 2 shown]
	s_wait_alu 0xf1ff
	v_cndmask_b32_e64 v23, 0, v65, s0
	v_cmp_gt_i32_e64 s0, s13, v107
	v_lshrrev_b32_e32 v65, 16, v67
	s_wait_alu 0xf1ff
	s_delay_alu instid0(VALU_DEP_2) | instskip(SKIP_2) | instid1(VALU_DEP_1)
	v_cndmask_b32_e64 v0, 0, v0, s0
	v_cmp_gt_i32_e64 s0, s21, v108
	s_wait_alu 0xf1ff
	v_cndmask_b32_e64 v66, 0, v66, s0
	v_cmp_gt_i32_e64 s0, s13, v106
	s_wait_alu 0xf1ff
	s_delay_alu instid0(VALU_DEP_1) | instskip(SKIP_1) | instid1(VALU_DEP_2)
	v_cndmask_b32_e64 v24, 0, v24, s0
	v_cmp_gt_i32_e64 s0, s21, v105
	v_perm_b32 v66, v24, v66, 0x5040100
	s_wait_alu 0xf1ff
	s_delay_alu instid0(VALU_DEP_2) | instskip(SKIP_2) | instid1(VALU_DEP_1)
	v_cndmask_b32_e64 v67, 0, v67, s0
	v_cmp_gt_i32_e64 s0, s13, v103
	s_wait_alu 0xf1ff
	v_cndmask_b32_e64 v70, 0, v65, s0
	v_cmp_gt_i32_e64 s0, s21, v104
	v_perm_b32 v65, v0, v23, 0x5040100
	s_delay_alu instid0(VALU_DEP_3) | instskip(SKIP_1) | instid1(VALU_DEP_3)
	v_perm_b32 v67, v70, v67, 0x5040100
	s_wait_alu 0xf1ff
	v_cndmask_b32_e64 v68, 0, v68, s0
	v_cmp_gt_i32_e64 s0, s13, v102
	s_wait_alu 0xf1ff
	s_delay_alu instid0(VALU_DEP_1) | instskip(NEXT) | instid1(VALU_DEP_1)
	v_cndmask_b32_e64 v69, 0, v69, s0
	v_perm_b32 v68, v69, v68, 0x5040100
	s_wait_alu 0xfffe
	s_or_b32 exec_lo, exec_lo, s17
	global_load_b128 v[69:72], v[21:22], off offset:7168
	s_and_saveexec_b32 s17, vcc_lo
	s_cbranch_execz .LBB161_58
.LBB161_73:                             ;   in Loop: Header=BB161_42 Depth=1
	v_cmp_gt_i32_e64 s0, s21, v109
	s_wait_loadcnt 0x0
	v_lshrrev_b32_e32 v0, 16, v69
	v_lshrrev_b32_e32 v24, 16, v70
	;; [unrolled: 1-line block ×3, first 2 shown]
	s_wait_alu 0xf1ff
	v_cndmask_b32_e64 v23, 0, v69, s0
	v_cmp_gt_i32_e64 s0, s13, v107
	v_lshrrev_b32_e32 v69, 16, v71
	s_wait_alu 0xf1ff
	s_delay_alu instid0(VALU_DEP_2) | instskip(SKIP_2) | instid1(VALU_DEP_1)
	v_cndmask_b32_e64 v0, 0, v0, s0
	v_cmp_gt_i32_e64 s0, s21, v108
	s_wait_alu 0xf1ff
	v_cndmask_b32_e64 v70, 0, v70, s0
	v_cmp_gt_i32_e64 s0, s13, v106
	s_wait_alu 0xf1ff
	s_delay_alu instid0(VALU_DEP_1) | instskip(SKIP_1) | instid1(VALU_DEP_2)
	v_cndmask_b32_e64 v24, 0, v24, s0
	v_cmp_gt_i32_e64 s0, s21, v105
	v_perm_b32 v70, v24, v70, 0x5040100
	s_wait_alu 0xf1ff
	s_delay_alu instid0(VALU_DEP_2) | instskip(SKIP_2) | instid1(VALU_DEP_1)
	v_cndmask_b32_e64 v71, 0, v71, s0
	v_cmp_gt_i32_e64 s0, s13, v103
	s_wait_alu 0xf1ff
	v_cndmask_b32_e64 v76, 0, v69, s0
	v_cmp_gt_i32_e64 s0, s21, v104
	v_perm_b32 v69, v0, v23, 0x5040100
	s_delay_alu instid0(VALU_DEP_3) | instskip(SKIP_1) | instid1(VALU_DEP_3)
	v_perm_b32 v71, v76, v71, 0x5040100
	s_wait_alu 0xf1ff
	v_cndmask_b32_e64 v72, 0, v72, s0
	v_cmp_gt_i32_e64 s0, s13, v102
	s_wait_alu 0xf1ff
	s_delay_alu instid0(VALU_DEP_1) | instskip(NEXT) | instid1(VALU_DEP_1)
	v_cndmask_b32_e64 v75, 0, v75, s0
	v_perm_b32 v72, v75, v72, 0x5040100
	s_wait_alu 0xfffe
	s_or_b32 exec_lo, exec_lo, s17
	global_load_b128 v[21:24], v[21:22], off offset:7680
	s_and_saveexec_b32 s0, vcc_lo
	s_cbranch_execz .LBB161_40
.LBB161_74:                             ;   in Loop: Header=BB161_42 Depth=1
	v_cmp_gt_i32_e32 vcc_lo, s21, v109
	s_wait_loadcnt 0x0
	v_lshrrev_b32_e32 v0, 16, v21
	v_lshrrev_b32_e32 v75, 16, v22
	;; [unrolled: 1-line block ×4, first 2 shown]
	s_wait_alu 0xfffd
	v_cndmask_b32_e32 v21, 0, v21, vcc_lo
	v_cmp_gt_i32_e32 vcc_lo, s13, v107
	s_wait_alu 0xfffd
	v_cndmask_b32_e32 v0, 0, v0, vcc_lo
	v_cmp_gt_i32_e32 vcc_lo, s21, v108
	s_delay_alu instid0(VALU_DEP_2)
	v_perm_b32 v21, v0, v21, 0x5040100
	s_wait_alu 0xfffd
	v_cndmask_b32_e32 v22, 0, v22, vcc_lo
	v_cmp_gt_i32_e32 vcc_lo, s13, v106
	s_wait_alu 0xfffd
	v_cndmask_b32_e32 v75, 0, v75, vcc_lo
	v_cmp_gt_i32_e32 vcc_lo, s21, v105
	s_delay_alu instid0(VALU_DEP_2)
	v_perm_b32 v22, v75, v22, 0x5040100
	;; [unrolled: 8-line block ×3, first 2 shown]
	s_wait_alu 0xfffd
	v_cndmask_b32_e32 v24, 0, v24, vcc_lo
	v_cmp_gt_i32_e32 vcc_lo, s13, v102
	s_wait_alu 0xfffd
	v_cndmask_b32_e32 v77, 0, v77, vcc_lo
	s_delay_alu instid0(VALU_DEP_1)
	v_perm_b32 v24, v77, v24, 0x5040100
	s_branch .LBB161_40
.LBB161_75:
	s_or_b32 exec_lo, exec_lo, s12
.LBB161_76:
	s_wait_alu 0xfffe
	s_or_b32 exec_lo, exec_lo, s1
	ds_bpermute_b32 v0, v81, v97
	ds_bpermute_b32 v4, v81, v93
	;; [unrolled: 1-line block ×16, first 2 shown]
	s_mov_b32 s0, exec_lo
	s_wait_dscnt 0xf
	v_add_f32_e32 v16, v97, v0
	s_wait_dscnt 0xd
	v_dual_add_f32 v12, v93, v4 :: v_dual_add_f32 v11, v92, v5
	s_wait_dscnt 0xc
	v_add_f32_e32 v10, v91, v6
	s_wait_dscnt 0xa
	v_dual_add_f32 v6, v87, v18 :: v_dual_add_f32 v5, v86, v19
	s_clause 0x1
	scratch_load_b32 v0, off, off
	scratch_load_b32 v19, off, off offset:40 th:TH_LOAD_LU
	s_wait_dscnt 0x7
	v_dual_add_f32 v9, v90, v7 :: v_dual_add_f32 v8, v89, v8
	s_wait_dscnt 0x6
	v_add_f32_e32 v7, v88, v17
	v_lshrrev_b32_e32 v17, 1, v80
	s_wait_dscnt 0x5
	v_dual_add_f32 v15, v96, v1 :: v_dual_add_f32 v14, v95, v2
	s_wait_dscnt 0x3
	v_dual_add_f32 v13, v94, v3 :: v_dual_add_f32 v4, v85, v20
	;; [unrolled: 2-line block ×3, first 2 shown]
	v_lshl_add_u32 v18, v17, 2, 0x220
	s_wait_loadcnt 0x0
	s_wait_storecnt 0x0
	s_barrier_signal -1
	s_barrier_wait -1
	global_inv scope:SCOPE_SE
	v_dual_add_f32 v3, v83, v22 :: v_dual_and_b32 v0, 0x3c1, v0
	v_lshlrev_b32_e32 v19, 10, v19
	s_delay_alu instid0(VALU_DEP_2)
	v_cmpx_eq_u32_e32 64, v0
	s_cbranch_execz .LBB161_78
; %bb.77:
	s_delay_alu instid0(VALU_DEP_2) | instskip(NEXT) | instid1(VALU_DEP_1)
	v_add_nc_u32_e32 v0, v18, v19
	v_add_nc_u32_e32 v20, 0xfffff800, v0
	v_add_nc_u32_e32 v21, 0xfffff840, v0
	v_add_nc_u32_e32 v22, 0xfffff880, v0
	v_add_nc_u32_e32 v23, 0xfffff8c0, v0
	v_add_nc_u32_e32 v24, 0xfffff900, v0
	v_add_nc_u32_e32 v25, 0xfffff940, v0
	v_add_nc_u32_e32 v26, 0xfffff980, v0
	v_add_nc_u32_e32 v27, 0xfffff9c0, v0
	ds_store_b32 v20, v16
	ds_store_b32 v21, v15
	;; [unrolled: 1-line block ×8, first 2 shown]
	v_add_nc_u32_e32 v20, 0xfffffa00, v0
	v_add_nc_u32_e32 v21, 0xfffffa40, v0
	;; [unrolled: 1-line block ×8, first 2 shown]
	ds_store_b32 v20, v8
	ds_store_b32 v21, v7
	;; [unrolled: 1-line block ×8, first 2 shown]
.LBB161_78:
	s_wait_alu 0xfffe
	s_or_b32 exec_lo, exec_lo, s0
	v_lshlrev_b32_e32 v0, 2, v17
	scratch_load_b32 v17, off, off offset:44 th:TH_LOAD_LU ; 4-byte Folded Reload
	s_wait_loadcnt_dscnt 0x0
	s_barrier_signal -1
	s_barrier_wait -1
	global_inv scope:SCOPE_SE
	v_cmp_eq_u32_e32 vcc_lo, 0, v17
	v_add3_u32 v17, 0x220, v19, v0
	s_and_saveexec_b32 s0, s2
	s_cbranch_execz .LBB161_97
; %bb.79:
	s_and_saveexec_b32 s1, vcc_lo
	s_cbranch_execnz .LBB161_121
; %bb.80:
	s_wait_alu 0xfffe
	s_or_b32 exec_lo, exec_lo, s1
	s_and_saveexec_b32 s1, vcc_lo
	s_cbranch_execnz .LBB161_122
.LBB161_81:
	s_wait_alu 0xfffe
	s_or_b32 exec_lo, exec_lo, s1
	s_and_saveexec_b32 s1, vcc_lo
	s_cbranch_execnz .LBB161_123
.LBB161_82:
	s_wait_alu 0xfffe
	s_or_b32 exec_lo, exec_lo, s1
	s_and_saveexec_b32 s1, vcc_lo
	s_cbranch_execnz .LBB161_124
.LBB161_83:
	s_wait_alu 0xfffe
	s_or_b32 exec_lo, exec_lo, s1
	s_and_saveexec_b32 s1, vcc_lo
	s_cbranch_execnz .LBB161_125
.LBB161_84:
	s_wait_alu 0xfffe
	s_or_b32 exec_lo, exec_lo, s1
	s_and_saveexec_b32 s1, vcc_lo
	s_cbranch_execnz .LBB161_126
.LBB161_85:
	s_wait_alu 0xfffe
	s_or_b32 exec_lo, exec_lo, s1
	s_and_saveexec_b32 s1, vcc_lo
	s_cbranch_execnz .LBB161_127
.LBB161_86:
	s_wait_alu 0xfffe
	s_or_b32 exec_lo, exec_lo, s1
	s_and_saveexec_b32 s1, vcc_lo
	s_cbranch_execnz .LBB161_128
.LBB161_87:
	s_wait_alu 0xfffe
	s_or_b32 exec_lo, exec_lo, s1
	s_and_saveexec_b32 s1, vcc_lo
	s_cbranch_execnz .LBB161_129
.LBB161_88:
	s_wait_alu 0xfffe
	s_or_b32 exec_lo, exec_lo, s1
	s_and_saveexec_b32 s1, vcc_lo
	s_cbranch_execnz .LBB161_130
.LBB161_89:
	s_wait_alu 0xfffe
	s_or_b32 exec_lo, exec_lo, s1
	s_and_saveexec_b32 s1, vcc_lo
	s_cbranch_execnz .LBB161_131
.LBB161_90:
	s_wait_alu 0xfffe
	s_or_b32 exec_lo, exec_lo, s1
	s_and_saveexec_b32 s1, vcc_lo
	s_cbranch_execnz .LBB161_132
.LBB161_91:
	s_wait_alu 0xfffe
	s_or_b32 exec_lo, exec_lo, s1
	s_and_saveexec_b32 s1, vcc_lo
	s_cbranch_execnz .LBB161_133
.LBB161_92:
	s_wait_alu 0xfffe
	s_or_b32 exec_lo, exec_lo, s1
	s_and_saveexec_b32 s1, vcc_lo
	s_cbranch_execnz .LBB161_134
.LBB161_93:
	s_wait_alu 0xfffe
	s_or_b32 exec_lo, exec_lo, s1
	s_and_saveexec_b32 s1, vcc_lo
	s_cbranch_execnz .LBB161_135
.LBB161_94:
	s_wait_alu 0xfffe
	s_or_b32 exec_lo, exec_lo, s1
	s_and_saveexec_b32 s1, vcc_lo
	s_cbranch_execz .LBB161_96
.LBB161_95:
	ds_load_b32 v0, v17 offset:960
	s_wait_dscnt 0x0
	v_add_f32_e32 v2, v2, v0
.LBB161_96:
	s_wait_alu 0xfffe
	s_or_b32 exec_lo, exec_lo, s1
.LBB161_97:
	s_wait_alu 0xfffe
	s_or_b32 exec_lo, exec_lo, s0
	scratch_load_b32 v0, off, off           ; 4-byte Folded Reload
	s_mov_b32 s1, exec_lo
	s_wait_loadcnt 0x0
	s_barrier_signal -1
	s_barrier_wait -1
	global_inv scope:SCOPE_SE
	v_and_b32_e32 v19, 0x3e1, v0
	s_delay_alu instid0(VALU_DEP_1)
	v_cmpx_eq_u32_e32 32, v19
	s_cbranch_execz .LBB161_99
; %bb.98:
	ds_store_2addr_b32 v18, v16, v15 offset1:16
	ds_store_2addr_b32 v18, v14, v13 offset0:32 offset1:48
	ds_store_2addr_b32 v18, v12, v11 offset0:64 offset1:80
	;; [unrolled: 1-line block ×7, first 2 shown]
.LBB161_99:
	s_wait_alu 0xfffe
	s_or_b32 exec_lo, exec_lo, s1
	scratch_load_b32 v0, off, off th:TH_LOAD_LU ; 4-byte Folded Reload
	s_mov_b32 s1, exec_lo
	s_wait_loadcnt_dscnt 0x0
	s_barrier_signal -1
	s_barrier_wait -1
	global_inv scope:SCOPE_SE
	v_cmpx_gt_u32_e32 32, v0
	s_cbranch_execz .LBB161_118
; %bb.100:
	s_and_saveexec_b32 s0, vcc_lo
	s_cbranch_execnz .LBB161_136
; %bb.101:
	s_wait_alu 0xfffe
	s_or_b32 exec_lo, exec_lo, s0
	s_and_saveexec_b32 s0, vcc_lo
	s_cbranch_execnz .LBB161_137
.LBB161_102:
	s_wait_alu 0xfffe
	s_or_b32 exec_lo, exec_lo, s0
	s_and_saveexec_b32 s0, vcc_lo
	s_cbranch_execnz .LBB161_138
.LBB161_103:
	s_wait_alu 0xfffe
	s_or_b32 exec_lo, exec_lo, s0
	s_and_saveexec_b32 s0, vcc_lo
	s_cbranch_execnz .LBB161_139
.LBB161_104:
	s_wait_alu 0xfffe
	s_or_b32 exec_lo, exec_lo, s0
	s_and_saveexec_b32 s0, vcc_lo
	s_cbranch_execnz .LBB161_140
.LBB161_105:
	s_wait_alu 0xfffe
	s_or_b32 exec_lo, exec_lo, s0
	s_and_saveexec_b32 s0, vcc_lo
	s_cbranch_execnz .LBB161_141
.LBB161_106:
	s_wait_alu 0xfffe
	s_or_b32 exec_lo, exec_lo, s0
	s_and_saveexec_b32 s0, vcc_lo
	s_cbranch_execnz .LBB161_142
.LBB161_107:
	s_wait_alu 0xfffe
	s_or_b32 exec_lo, exec_lo, s0
	s_and_saveexec_b32 s0, vcc_lo
	s_cbranch_execnz .LBB161_143
.LBB161_108:
	s_wait_alu 0xfffe
	s_or_b32 exec_lo, exec_lo, s0
	s_and_saveexec_b32 s0, vcc_lo
	s_cbranch_execnz .LBB161_144
.LBB161_109:
	s_wait_alu 0xfffe
	s_or_b32 exec_lo, exec_lo, s0
	s_and_saveexec_b32 s0, vcc_lo
	s_cbranch_execnz .LBB161_145
.LBB161_110:
	s_wait_alu 0xfffe
	s_or_b32 exec_lo, exec_lo, s0
	s_and_saveexec_b32 s0, vcc_lo
	s_cbranch_execnz .LBB161_146
.LBB161_111:
	s_wait_alu 0xfffe
	s_or_b32 exec_lo, exec_lo, s0
	s_and_saveexec_b32 s0, vcc_lo
	s_cbranch_execnz .LBB161_147
.LBB161_112:
	s_wait_alu 0xfffe
	s_or_b32 exec_lo, exec_lo, s0
	s_and_saveexec_b32 s0, vcc_lo
	s_cbranch_execnz .LBB161_148
.LBB161_113:
	s_wait_alu 0xfffe
	s_or_b32 exec_lo, exec_lo, s0
	s_and_saveexec_b32 s0, vcc_lo
	s_cbranch_execnz .LBB161_149
.LBB161_114:
	s_wait_alu 0xfffe
	s_or_b32 exec_lo, exec_lo, s0
	s_and_saveexec_b32 s0, vcc_lo
	s_cbranch_execnz .LBB161_150
.LBB161_115:
	s_wait_alu 0xfffe
	s_or_b32 exec_lo, exec_lo, s0
	s_and_saveexec_b32 s0, vcc_lo
	s_cbranch_execz .LBB161_117
.LBB161_116:
	ds_load_b32 v0, v17 offset:960
	s_wait_dscnt 0x0
	v_add_f32_e32 v2, v2, v0
.LBB161_117:
	s_wait_alu 0xfffe
	s_or_b32 exec_lo, exec_lo, s0
.LBB161_118:
	s_wait_alu 0xfffe
	s_or_b32 exec_lo, exec_lo, s1
	s_mov_b32 s21, 0
	s_wait_loadcnt 0x0
	s_barrier_signal -1
	s_barrier_wait -1
	global_inv scope:SCOPE_SE
	s_mov_b32 s0, exec_lo
	v_cmpx_eq_u32_e32 0, v19
	s_cbranch_execz .LBB161_120
; %bb.119:
	scratch_load_b32 v18, off, off offset:48 th:TH_LOAD_LU ; 4-byte Folded Reload
	v_bfe_u32 v0, v16, 16, 1
	v_bfe_u32 v17, v15, 16, 1
	v_or_b32_e32 v19, 0x400000, v16
	v_cmp_u_f32_e32 vcc_lo, v16, v16
	v_or_b32_e32 v20, 0x400000, v15
	v_add3_u32 v0, v0, v16, 0x7fff
	v_add3_u32 v17, v17, v15, 0x7fff
	v_bfe_u32 v21, v14, 16, 1
	v_or_b32_e32 v22, 0x400000, v9
	v_bfe_u32 v16, v13, 16, 1
	s_wait_alu 0xfffd
	v_cndmask_b32_e32 v0, v0, v19, vcc_lo
	v_cmp_u_f32_e32 vcc_lo, v15, v15
	v_or_b32_e32 v19, 0x400000, v14
	s_lshl_b32 s0, s4, 8
	v_add3_u32 v16, v16, v13, 0x7fff
	s_mul_i32 s2, s8, s22
	s_wait_alu 0xfffe
	s_ashr_i32 s1, s0, 31
	s_ashr_i32 s3, s2, 31
	s_wait_alu 0xfffe
	s_lshl_b64 s[0:1], s[0:1], 1
	s_lshl_b64 s[2:3], s[2:3], 1
	s_wait_kmcnt 0x0
	s_wait_alu 0xfffe
	s_add_nc_u64 s[0:1], s[6:7], s[0:1]
	s_wait_alu 0xfffd
	v_cndmask_b32_e32 v15, v17, v20, vcc_lo
	v_add3_u32 v17, v21, v14, 0x7fff
	v_cmp_u_f32_e32 vcc_lo, v14, v14
	v_bfe_u32 v20, v12, 16, 1
	v_or_b32_e32 v21, 0x400000, v13
	s_wait_alu 0xfffe
	s_add_nc_u64 s[0:1], s[0:1], s[2:3]
	s_wait_alu 0xfffe
	s_add_nc_u64 s[0:1], s[0:1], s[20:21]
	s_wait_alu 0xfffd
	v_cndmask_b32_e32 v14, v17, v19, vcc_lo
	v_cmp_u_f32_e32 vcc_lo, v13, v13
	v_add3_u32 v17, v20, v12, 0x7fff
	v_or_b32_e32 v19, 0x400000, v12
	v_bfe_u32 v20, v10, 16, 1
	s_wait_alu 0xfffd
	v_cndmask_b32_e32 v13, v16, v21, vcc_lo
	v_bfe_u32 v16, v11, 16, 1
	v_cmp_u_f32_e32 vcc_lo, v12, v12
	v_add3_u32 v20, v20, v10, 0x7fff
	v_or_b32_e32 v21, 0x400000, v10
	s_delay_alu instid0(VALU_DEP_4)
	v_add3_u32 v16, v16, v11, 0x7fff
	s_wait_alu 0xfffd
	v_cndmask_b32_e32 v12, v17, v19, vcc_lo
	v_or_b32_e32 v19, 0x400000, v11
	v_cmp_u_f32_e32 vcc_lo, v11, v11
	v_bfe_u32 v17, v9, 16, 1
	s_wait_alu 0xfffd
	s_delay_alu instid0(VALU_DEP_3) | instskip(SKIP_1) | instid1(VALU_DEP_3)
	v_cndmask_b32_e32 v11, v16, v19, vcc_lo
	v_cmp_u_f32_e32 vcc_lo, v10, v10
	v_add3_u32 v17, v17, v9, 0x7fff
	v_bfe_u32 v16, v8, 16, 1
	s_wait_alu 0xfffd
	v_cndmask_b32_e32 v10, v20, v21, vcc_lo
	v_cmp_u_f32_e32 vcc_lo, v9, v9
	s_wait_alu 0xfffd
	v_cndmask_b32_e32 v9, v17, v22, vcc_lo
	v_bfe_u32 v17, v7, 16, 1
	v_cmp_u_f32_e32 vcc_lo, v8, v8
	s_wait_loadcnt 0x0
	v_lshlrev_b32_e32 v18, 1, v18
	s_clause 0x7
	global_store_d16_hi_b16 v18, v0, s[0:1]
	global_store_d16_hi_b16 v18, v15, s[0:1] offset:32
	global_store_d16_hi_b16 v18, v14, s[0:1] offset:64
	;; [unrolled: 1-line block ×7, first 2 shown]
	v_add3_u32 v0, v16, v8, 0x7fff
	v_or_b32_e32 v11, 0x400000, v7
	v_bfe_u32 v12, v6, 16, 1
	v_or_b32_e32 v13, 0x400000, v2
	v_or_b32_e32 v9, 0x400000, v8
	v_bfe_u32 v8, v5, 16, 1
	v_add3_u32 v10, v17, v7, 0x7fff
	s_wait_alu 0xfffd
	s_delay_alu instid0(VALU_DEP_3)
	v_cndmask_b32_e32 v0, v0, v9, vcc_lo
	v_cmp_u_f32_e32 vcc_lo, v7, v7
	v_add3_u32 v9, v12, v6, 0x7fff
	v_add3_u32 v8, v8, v5, 0x7fff
	v_or_b32_e32 v12, 0x400000, v5
	s_wait_alu 0xfffd
	v_cndmask_b32_e32 v7, v10, v11, vcc_lo
	v_or_b32_e32 v10, 0x400000, v6
	v_cmp_u_f32_e32 vcc_lo, v6, v6
	v_bfe_u32 v11, v4, 16, 1
	s_wait_alu 0xfffd
	s_delay_alu instid0(VALU_DEP_3) | instskip(SKIP_1) | instid1(VALU_DEP_3)
	v_cndmask_b32_e32 v6, v9, v10, vcc_lo
	v_cmp_u_f32_e32 vcc_lo, v5, v5
	v_add3_u32 v9, v11, v4, 0x7fff
	v_or_b32_e32 v10, 0x400000, v4
	v_bfe_u32 v11, v3, 16, 1
	s_wait_alu 0xfffd
	v_cndmask_b32_e32 v5, v8, v12, vcc_lo
	v_bfe_u32 v8, v1, 16, 1
	v_cmp_u_f32_e32 vcc_lo, v4, v4
	v_add3_u32 v11, v11, v3, 0x7fff
	v_or_b32_e32 v12, 0x400000, v3
	s_delay_alu instid0(VALU_DEP_4)
	v_add3_u32 v8, v8, v1, 0x7fff
	s_wait_alu 0xfffd
	v_cndmask_b32_e32 v4, v9, v10, vcc_lo
	v_or_b32_e32 v10, 0x400000, v1
	v_cmp_u_f32_e32 vcc_lo, v1, v1
	v_bfe_u32 v9, v2, 16, 1
	s_wait_alu 0xfffd
	s_delay_alu instid0(VALU_DEP_3) | instskip(SKIP_1) | instid1(VALU_DEP_3)
	v_cndmask_b32_e32 v1, v8, v10, vcc_lo
	v_cmp_u_f32_e32 vcc_lo, v3, v3
	v_add3_u32 v9, v9, v2, 0x7fff
	s_wait_alu 0xfffd
	v_cndmask_b32_e32 v3, v11, v12, vcc_lo
	v_cmp_u_f32_e32 vcc_lo, v2, v2
	s_wait_alu 0xfffd
	v_cndmask_b32_e32 v2, v9, v13, vcc_lo
	s_clause 0x7
	global_store_d16_hi_b16 v18, v0, s[0:1] offset:256
	global_store_d16_hi_b16 v18, v7, s[0:1] offset:288
	;; [unrolled: 1-line block ×8, first 2 shown]
.LBB161_120:
	s_nop 0
	s_sendmsg sendmsg(MSG_DEALLOC_VGPRS)
	s_endpgm
.LBB161_121:
	ds_load_b32 v0, v17
	s_wait_dscnt 0x0
	v_add_f32_e32 v16, v16, v0
	s_wait_alu 0xfffe
	s_or_b32 exec_lo, exec_lo, s1
	s_and_saveexec_b32 s1, vcc_lo
	s_cbranch_execz .LBB161_81
.LBB161_122:
	ds_load_b32 v0, v17 offset:64
	s_wait_dscnt 0x0
	v_add_f32_e32 v15, v15, v0
	s_wait_alu 0xfffe
	s_or_b32 exec_lo, exec_lo, s1
	s_and_saveexec_b32 s1, vcc_lo
	s_cbranch_execz .LBB161_82
.LBB161_123:
	ds_load_b32 v0, v17 offset:128
	s_wait_dscnt 0x0
	v_add_f32_e32 v14, v14, v0
	s_wait_alu 0xfffe
	s_or_b32 exec_lo, exec_lo, s1
	s_and_saveexec_b32 s1, vcc_lo
	s_cbranch_execz .LBB161_83
.LBB161_124:
	ds_load_b32 v0, v17 offset:192
	s_wait_dscnt 0x0
	v_add_f32_e32 v13, v13, v0
	s_wait_alu 0xfffe
	s_or_b32 exec_lo, exec_lo, s1
	s_and_saveexec_b32 s1, vcc_lo
	s_cbranch_execz .LBB161_84
.LBB161_125:
	ds_load_b32 v0, v17 offset:256
	s_wait_dscnt 0x0
	v_add_f32_e32 v12, v12, v0
	s_wait_alu 0xfffe
	s_or_b32 exec_lo, exec_lo, s1
	s_and_saveexec_b32 s1, vcc_lo
	s_cbranch_execz .LBB161_85
.LBB161_126:
	ds_load_b32 v0, v17 offset:320
	s_wait_dscnt 0x0
	v_add_f32_e32 v11, v11, v0
	s_wait_alu 0xfffe
	s_or_b32 exec_lo, exec_lo, s1
	s_and_saveexec_b32 s1, vcc_lo
	s_cbranch_execz .LBB161_86
.LBB161_127:
	ds_load_b32 v0, v17 offset:384
	s_wait_dscnt 0x0
	v_add_f32_e32 v10, v10, v0
	s_wait_alu 0xfffe
	s_or_b32 exec_lo, exec_lo, s1
	s_and_saveexec_b32 s1, vcc_lo
	s_cbranch_execz .LBB161_87
.LBB161_128:
	ds_load_b32 v0, v17 offset:448
	s_wait_dscnt 0x0
	v_add_f32_e32 v9, v9, v0
	s_wait_alu 0xfffe
	s_or_b32 exec_lo, exec_lo, s1
	s_and_saveexec_b32 s1, vcc_lo
	s_cbranch_execz .LBB161_88
.LBB161_129:
	ds_load_b32 v0, v17 offset:512
	s_wait_dscnt 0x0
	v_add_f32_e32 v8, v8, v0
	s_wait_alu 0xfffe
	s_or_b32 exec_lo, exec_lo, s1
	s_and_saveexec_b32 s1, vcc_lo
	s_cbranch_execz .LBB161_89
.LBB161_130:
	ds_load_b32 v0, v17 offset:576
	s_wait_dscnt 0x0
	v_add_f32_e32 v7, v7, v0
	s_wait_alu 0xfffe
	s_or_b32 exec_lo, exec_lo, s1
	s_and_saveexec_b32 s1, vcc_lo
	s_cbranch_execz .LBB161_90
.LBB161_131:
	ds_load_b32 v0, v17 offset:640
	s_wait_dscnt 0x0
	v_add_f32_e32 v6, v6, v0
	s_wait_alu 0xfffe
	s_or_b32 exec_lo, exec_lo, s1
	s_and_saveexec_b32 s1, vcc_lo
	s_cbranch_execz .LBB161_91
.LBB161_132:
	ds_load_b32 v0, v17 offset:704
	s_wait_dscnt 0x0
	v_add_f32_e32 v5, v5, v0
	s_wait_alu 0xfffe
	s_or_b32 exec_lo, exec_lo, s1
	s_and_saveexec_b32 s1, vcc_lo
	s_cbranch_execz .LBB161_92
.LBB161_133:
	ds_load_b32 v0, v17 offset:768
	s_wait_dscnt 0x0
	v_add_f32_e32 v4, v4, v0
	s_wait_alu 0xfffe
	s_or_b32 exec_lo, exec_lo, s1
	s_and_saveexec_b32 s1, vcc_lo
	s_cbranch_execz .LBB161_93
.LBB161_134:
	ds_load_b32 v0, v17 offset:832
	s_wait_dscnt 0x0
	v_add_f32_e32 v1, v1, v0
	s_wait_alu 0xfffe
	s_or_b32 exec_lo, exec_lo, s1
	s_and_saveexec_b32 s1, vcc_lo
	s_cbranch_execz .LBB161_94
.LBB161_135:
	ds_load_b32 v0, v17 offset:896
	s_wait_dscnt 0x0
	v_add_f32_e32 v3, v3, v0
	s_wait_alu 0xfffe
	s_or_b32 exec_lo, exec_lo, s1
	s_and_saveexec_b32 s1, vcc_lo
	s_cbranch_execnz .LBB161_95
	s_branch .LBB161_96
.LBB161_136:
	ds_load_b32 v0, v17
	s_wait_dscnt 0x0
	v_add_f32_e32 v16, v16, v0
	s_wait_alu 0xfffe
	s_or_b32 exec_lo, exec_lo, s0
	s_and_saveexec_b32 s0, vcc_lo
	s_cbranch_execz .LBB161_102
.LBB161_137:
	ds_load_b32 v0, v17 offset:64
	s_wait_dscnt 0x0
	v_add_f32_e32 v15, v15, v0
	s_wait_alu 0xfffe
	s_or_b32 exec_lo, exec_lo, s0
	s_and_saveexec_b32 s0, vcc_lo
	s_cbranch_execz .LBB161_103
.LBB161_138:
	ds_load_b32 v0, v17 offset:128
	s_wait_dscnt 0x0
	v_add_f32_e32 v14, v14, v0
	s_wait_alu 0xfffe
	s_or_b32 exec_lo, exec_lo, s0
	s_and_saveexec_b32 s0, vcc_lo
	s_cbranch_execz .LBB161_104
.LBB161_139:
	ds_load_b32 v0, v17 offset:192
	s_wait_dscnt 0x0
	v_add_f32_e32 v13, v13, v0
	s_wait_alu 0xfffe
	s_or_b32 exec_lo, exec_lo, s0
	s_and_saveexec_b32 s0, vcc_lo
	s_cbranch_execz .LBB161_105
.LBB161_140:
	ds_load_b32 v0, v17 offset:256
	s_wait_dscnt 0x0
	v_add_f32_e32 v12, v12, v0
	s_wait_alu 0xfffe
	s_or_b32 exec_lo, exec_lo, s0
	s_and_saveexec_b32 s0, vcc_lo
	s_cbranch_execz .LBB161_106
.LBB161_141:
	ds_load_b32 v0, v17 offset:320
	s_wait_dscnt 0x0
	v_add_f32_e32 v11, v11, v0
	s_wait_alu 0xfffe
	s_or_b32 exec_lo, exec_lo, s0
	s_and_saveexec_b32 s0, vcc_lo
	s_cbranch_execz .LBB161_107
.LBB161_142:
	ds_load_b32 v0, v17 offset:384
	s_wait_dscnt 0x0
	v_add_f32_e32 v10, v10, v0
	s_wait_alu 0xfffe
	s_or_b32 exec_lo, exec_lo, s0
	s_and_saveexec_b32 s0, vcc_lo
	s_cbranch_execz .LBB161_108
.LBB161_143:
	ds_load_b32 v0, v17 offset:448
	s_wait_dscnt 0x0
	v_add_f32_e32 v9, v9, v0
	s_wait_alu 0xfffe
	s_or_b32 exec_lo, exec_lo, s0
	s_and_saveexec_b32 s0, vcc_lo
	s_cbranch_execz .LBB161_109
.LBB161_144:
	ds_load_b32 v0, v17 offset:512
	s_wait_dscnt 0x0
	v_add_f32_e32 v8, v8, v0
	s_wait_alu 0xfffe
	s_or_b32 exec_lo, exec_lo, s0
	s_and_saveexec_b32 s0, vcc_lo
	s_cbranch_execz .LBB161_110
.LBB161_145:
	ds_load_b32 v0, v17 offset:576
	s_wait_dscnt 0x0
	v_add_f32_e32 v7, v7, v0
	s_wait_alu 0xfffe
	s_or_b32 exec_lo, exec_lo, s0
	s_and_saveexec_b32 s0, vcc_lo
	s_cbranch_execz .LBB161_111
.LBB161_146:
	ds_load_b32 v0, v17 offset:640
	s_wait_dscnt 0x0
	v_add_f32_e32 v6, v6, v0
	s_wait_alu 0xfffe
	s_or_b32 exec_lo, exec_lo, s0
	s_and_saveexec_b32 s0, vcc_lo
	s_cbranch_execz .LBB161_112
.LBB161_147:
	ds_load_b32 v0, v17 offset:704
	s_wait_dscnt 0x0
	v_add_f32_e32 v5, v5, v0
	s_wait_alu 0xfffe
	s_or_b32 exec_lo, exec_lo, s0
	s_and_saveexec_b32 s0, vcc_lo
	s_cbranch_execz .LBB161_113
.LBB161_148:
	ds_load_b32 v0, v17 offset:768
	s_wait_dscnt 0x0
	v_add_f32_e32 v4, v4, v0
	s_wait_alu 0xfffe
	s_or_b32 exec_lo, exec_lo, s0
	s_and_saveexec_b32 s0, vcc_lo
	s_cbranch_execz .LBB161_114
.LBB161_149:
	ds_load_b32 v0, v17 offset:832
	s_wait_dscnt 0x0
	v_add_f32_e32 v1, v1, v0
	s_wait_alu 0xfffe
	s_or_b32 exec_lo, exec_lo, s0
	s_and_saveexec_b32 s0, vcc_lo
	s_cbranch_execz .LBB161_115
.LBB161_150:
	ds_load_b32 v0, v17 offset:896
	s_wait_dscnt 0x0
	v_add_f32_e32 v3, v3, v0
	s_wait_alu 0xfffe
	s_or_b32 exec_lo, exec_lo, s0
	s_and_saveexec_b32 s0, vcc_lo
	s_cbranch_execnz .LBB161_116
	s_branch .LBB161_117
	.section	.rodata,"a",@progbits
	.p2align	6, 0x0
	.amdhsa_kernel _ZN4vllm25paged_attention_v2_kernelI14__hip_bfloat16S1_Li256ELi16ELi128ELNS_18Fp8KVCacheDataTypeE0ELb1ELi512EEEvPfS3_PT_PKS4_PKT0_SA_ifPKiSC_iPKfiiiSE_SE_iiiii
		.amdhsa_group_segment_fixed_size 544
		.amdhsa_private_segment_fixed_size 64
		.amdhsa_kernarg_size 400
		.amdhsa_user_sgpr_count 2
		.amdhsa_user_sgpr_dispatch_ptr 0
		.amdhsa_user_sgpr_queue_ptr 0
		.amdhsa_user_sgpr_kernarg_segment_ptr 1
		.amdhsa_user_sgpr_dispatch_id 0
		.amdhsa_user_sgpr_private_segment_size 0
		.amdhsa_wavefront_size32 1
		.amdhsa_uses_dynamic_stack 0
		.amdhsa_enable_private_segment 1
		.amdhsa_system_sgpr_workgroup_id_x 1
		.amdhsa_system_sgpr_workgroup_id_y 1
		.amdhsa_system_sgpr_workgroup_id_z 1
		.amdhsa_system_sgpr_workgroup_info 0
		.amdhsa_system_vgpr_workitem_id 0
		.amdhsa_next_free_vgpr 192
		.amdhsa_next_free_sgpr 44
		.amdhsa_reserve_vcc 1
		.amdhsa_float_round_mode_32 0
		.amdhsa_float_round_mode_16_64 0
		.amdhsa_float_denorm_mode_32 3
		.amdhsa_float_denorm_mode_16_64 3
		.amdhsa_fp16_overflow 0
		.amdhsa_workgroup_processor_mode 1
		.amdhsa_memory_ordered 1
		.amdhsa_forward_progress 1
		.amdhsa_inst_pref_size 191
		.amdhsa_round_robin_scheduling 0
		.amdhsa_exception_fp_ieee_invalid_op 0
		.amdhsa_exception_fp_denorm_src 0
		.amdhsa_exception_fp_ieee_div_zero 0
		.amdhsa_exception_fp_ieee_overflow 0
		.amdhsa_exception_fp_ieee_underflow 0
		.amdhsa_exception_fp_ieee_inexact 0
		.amdhsa_exception_int_div_zero 0
	.end_amdhsa_kernel
	.section	.text._ZN4vllm25paged_attention_v2_kernelI14__hip_bfloat16S1_Li256ELi16ELi128ELNS_18Fp8KVCacheDataTypeE0ELb1ELi512EEEvPfS3_PT_PKS4_PKT0_SA_ifPKiSC_iPKfiiiSE_SE_iiiii,"axG",@progbits,_ZN4vllm25paged_attention_v2_kernelI14__hip_bfloat16S1_Li256ELi16ELi128ELNS_18Fp8KVCacheDataTypeE0ELb1ELi512EEEvPfS3_PT_PKS4_PKT0_SA_ifPKiSC_iPKfiiiSE_SE_iiiii,comdat
.Lfunc_end161:
	.size	_ZN4vllm25paged_attention_v2_kernelI14__hip_bfloat16S1_Li256ELi16ELi128ELNS_18Fp8KVCacheDataTypeE0ELb1ELi512EEEvPfS3_PT_PKS4_PKT0_SA_ifPKiSC_iPKfiiiSE_SE_iiiii, .Lfunc_end161-_ZN4vllm25paged_attention_v2_kernelI14__hip_bfloat16S1_Li256ELi16ELi128ELNS_18Fp8KVCacheDataTypeE0ELb1ELi512EEEvPfS3_PT_PKS4_PKT0_SA_ifPKiSC_iPKfiiiSE_SE_iiiii
                                        ; -- End function
	.set _ZN4vllm25paged_attention_v2_kernelI14__hip_bfloat16S1_Li256ELi16ELi128ELNS_18Fp8KVCacheDataTypeE0ELb1ELi512EEEvPfS3_PT_PKS4_PKT0_SA_ifPKiSC_iPKfiiiSE_SE_iiiii.num_vgpr, 192
	.set _ZN4vllm25paged_attention_v2_kernelI14__hip_bfloat16S1_Li256ELi16ELi128ELNS_18Fp8KVCacheDataTypeE0ELb1ELi512EEEvPfS3_PT_PKS4_PKT0_SA_ifPKiSC_iPKfiiiSE_SE_iiiii.num_agpr, 0
	.set _ZN4vllm25paged_attention_v2_kernelI14__hip_bfloat16S1_Li256ELi16ELi128ELNS_18Fp8KVCacheDataTypeE0ELb1ELi512EEEvPfS3_PT_PKS4_PKT0_SA_ifPKiSC_iPKfiiiSE_SE_iiiii.numbered_sgpr, 44
	.set _ZN4vllm25paged_attention_v2_kernelI14__hip_bfloat16S1_Li256ELi16ELi128ELNS_18Fp8KVCacheDataTypeE0ELb1ELi512EEEvPfS3_PT_PKS4_PKT0_SA_ifPKiSC_iPKfiiiSE_SE_iiiii.num_named_barrier, 0
	.set _ZN4vllm25paged_attention_v2_kernelI14__hip_bfloat16S1_Li256ELi16ELi128ELNS_18Fp8KVCacheDataTypeE0ELb1ELi512EEEvPfS3_PT_PKS4_PKT0_SA_ifPKiSC_iPKfiiiSE_SE_iiiii.private_seg_size, 64
	.set _ZN4vllm25paged_attention_v2_kernelI14__hip_bfloat16S1_Li256ELi16ELi128ELNS_18Fp8KVCacheDataTypeE0ELb1ELi512EEEvPfS3_PT_PKS4_PKT0_SA_ifPKiSC_iPKfiiiSE_SE_iiiii.uses_vcc, 1
	.set _ZN4vllm25paged_attention_v2_kernelI14__hip_bfloat16S1_Li256ELi16ELi128ELNS_18Fp8KVCacheDataTypeE0ELb1ELi512EEEvPfS3_PT_PKS4_PKT0_SA_ifPKiSC_iPKfiiiSE_SE_iiiii.uses_flat_scratch, 1
	.set _ZN4vllm25paged_attention_v2_kernelI14__hip_bfloat16S1_Li256ELi16ELi128ELNS_18Fp8KVCacheDataTypeE0ELb1ELi512EEEvPfS3_PT_PKS4_PKT0_SA_ifPKiSC_iPKfiiiSE_SE_iiiii.has_dyn_sized_stack, 0
	.set _ZN4vllm25paged_attention_v2_kernelI14__hip_bfloat16S1_Li256ELi16ELi128ELNS_18Fp8KVCacheDataTypeE0ELb1ELi512EEEvPfS3_PT_PKS4_PKT0_SA_ifPKiSC_iPKfiiiSE_SE_iiiii.has_recursion, 0
	.set _ZN4vllm25paged_attention_v2_kernelI14__hip_bfloat16S1_Li256ELi16ELi128ELNS_18Fp8KVCacheDataTypeE0ELb1ELi512EEEvPfS3_PT_PKS4_PKT0_SA_ifPKiSC_iPKfiiiSE_SE_iiiii.has_indirect_call, 0
	.section	.AMDGPU.csdata,"",@progbits
; Kernel info:
; codeLenInByte = 24368
; TotalNumSgprs: 46
; NumVgprs: 192
; ScratchSize: 64
; MemoryBound: 0
; FloatMode: 240
; IeeeMode: 1
; LDSByteSize: 544 bytes/workgroup (compile time only)
; SGPRBlocks: 0
; VGPRBlocks: 23
; NumSGPRsForWavesPerEU: 46
; NumVGPRsForWavesPerEU: 192
; Occupancy: 8
; WaveLimiterHint : 1
; COMPUTE_PGM_RSRC2:SCRATCH_EN: 1
; COMPUTE_PGM_RSRC2:USER_SGPR: 2
; COMPUTE_PGM_RSRC2:TRAP_HANDLER: 0
; COMPUTE_PGM_RSRC2:TGID_X_EN: 1
; COMPUTE_PGM_RSRC2:TGID_Y_EN: 1
; COMPUTE_PGM_RSRC2:TGID_Z_EN: 1
; COMPUTE_PGM_RSRC2:TIDIG_COMP_CNT: 0
	.section	.text._ZN4vllm25paged_attention_v2_kernelI14__hip_bfloat16S1_Li32ELi16ELi128ELNS_18Fp8KVCacheDataTypeE0ELb0ELi512EEEvPfS3_PT_PKS4_PKT0_SA_ifPKiSC_iPKfiiiSE_SE_iiiii,"axG",@progbits,_ZN4vllm25paged_attention_v2_kernelI14__hip_bfloat16S1_Li32ELi16ELi128ELNS_18Fp8KVCacheDataTypeE0ELb0ELi512EEEvPfS3_PT_PKS4_PKT0_SA_ifPKiSC_iPKfiiiSE_SE_iiiii,comdat
	.protected	_ZN4vllm25paged_attention_v2_kernelI14__hip_bfloat16S1_Li32ELi16ELi128ELNS_18Fp8KVCacheDataTypeE0ELb0ELi512EEEvPfS3_PT_PKS4_PKT0_SA_ifPKiSC_iPKfiiiSE_SE_iiiii ; -- Begin function _ZN4vllm25paged_attention_v2_kernelI14__hip_bfloat16S1_Li32ELi16ELi128ELNS_18Fp8KVCacheDataTypeE0ELb0ELi512EEEvPfS3_PT_PKS4_PKT0_SA_ifPKiSC_iPKfiiiSE_SE_iiiii
	.globl	_ZN4vllm25paged_attention_v2_kernelI14__hip_bfloat16S1_Li32ELi16ELi128ELNS_18Fp8KVCacheDataTypeE0ELb0ELi512EEEvPfS3_PT_PKS4_PKT0_SA_ifPKiSC_iPKfiiiSE_SE_iiiii
	.p2align	8
	.type	_ZN4vllm25paged_attention_v2_kernelI14__hip_bfloat16S1_Li32ELi16ELi128ELNS_18Fp8KVCacheDataTypeE0ELb0ELi512EEEvPfS3_PT_PKS4_PKT0_SA_ifPKiSC_iPKfiiiSE_SE_iiiii,@function
_ZN4vllm25paged_attention_v2_kernelI14__hip_bfloat16S1_Li32ELi16ELi128ELNS_18Fp8KVCacheDataTypeE0ELb0ELi512EEEvPfS3_PT_PKS4_PKT0_SA_ifPKiSC_iPKfiiiSE_SE_iiiii: ; @_ZN4vllm25paged_attention_v2_kernelI14__hip_bfloat16S1_Li32ELi16ELi128ELNS_18Fp8KVCacheDataTypeE0ELb0ELi512EEEvPfS3_PT_PKS4_PKT0_SA_ifPKiSC_iPKfiiiSE_SE_iiiii
; %bb.0:
	s_load_b64 s[2:3], s[0:1], 0x40
	s_and_b32 s14, ttmp7, 0xffff
	s_lshr_b32 s27, ttmp7, 16
	s_lshl_b32 s4, s14, 2
	s_lshl_b32 s26, s27, 9
	s_wait_kmcnt 0x0
	s_load_b32 s24, s[2:3], s4 offset:0x0
	s_wait_kmcnt 0x0
	s_cmp_ge_i32 s26, s24
	s_cbranch_scc1 .LBB162_56
; %bb.1:
	s_clause 0x1
	s_load_b32 s15, s[0:1], 0x90
	s_load_b64 s[6:7], s[0:1], 0x30
	s_wait_kmcnt 0x0
	s_abs_i32 s5, s15
	s_abs_i32 s2, s6
	s_delay_alu instid0(SALU_CYCLE_1) | instskip(SKIP_1) | instid1(SALU_CYCLE_2)
	s_cvt_f32_u32 s3, s2
	s_sub_co_i32 s4, 0, s2
	v_rcp_iflag_f32_e32 v1, s3
	s_delay_alu instid0(TRANS32_DEP_1) | instskip(SKIP_2) | instid1(SALU_CYCLE_2)
	v_readfirstlane_b32 s3, v1
	s_mul_f32 s3, s3, 0x4f7ffffe
	s_wait_alu 0xfffe
	s_cvt_u32_f32 s3, s3
	s_wait_alu 0xfffe
	s_delay_alu instid0(SALU_CYCLE_2) | instskip(NEXT) | instid1(SALU_CYCLE_1)
	s_mul_i32 s4, s4, s3
	s_mul_hi_u32 s4, s3, s4
	s_delay_alu instid0(SALU_CYCLE_1)
	s_add_co_i32 s3, s3, s4
	s_xor_b32 s4, s15, s6
	s_wait_alu 0xfffe
	s_mul_hi_u32 s3, s5, s3
	s_ashr_i32 s4, s4, 31
	s_wait_alu 0xfffe
	s_mul_i32 s6, s3, s2
	s_delay_alu instid0(SALU_CYCLE_1)
	s_sub_co_i32 s5, s5, s6
	s_add_co_i32 s6, s3, 1
	s_sub_co_i32 s8, s5, s2
	s_cmp_ge_u32 s5, s2
	s_cselect_b32 s3, s6, s3
	s_cselect_b32 s5, s8, s5
	s_wait_alu 0xfffe
	s_add_co_i32 s6, s3, 1
	s_cmp_ge_u32 s5, s2
	s_load_b64 s[8:9], s[0:1], 0x50
	s_cselect_b32 s2, s6, s3
	s_mov_b32 s3, 0
	s_wait_alu 0xfffe
	s_xor_b32 s2, s2, s4
	s_mov_b32 s6, s3
	s_wait_alu 0xfffe
	s_sub_co_i32 s12, s2, s4
	s_delay_alu instid0(SALU_CYCLE_1) | instskip(NEXT) | instid1(SALU_CYCLE_1)
	s_abs_i32 s11, s12
	s_cvt_f32_u32 s2, s11
	s_wait_alu 0xfffe
	s_delay_alu instid0(SALU_CYCLE_2) | instskip(NEXT) | instid1(TRANS32_DEP_1)
	v_rcp_iflag_f32_e32 v1, s2
	v_readfirstlane_b32 s2, v1
	s_mul_f32 s2, s2, 0x4f7ffffe
	s_wait_alu 0xfffe
	s_delay_alu instid0(SALU_CYCLE_2) | instskip(SKIP_2) | instid1(SALU_CYCLE_1)
	s_cvt_u32_f32 s4, s2
	s_sub_co_i32 s2, 0, s11
	s_wait_alu 0xfffe
	s_mul_i32 s2, s2, s4
	s_wait_alu 0xfffe
	s_mul_hi_u32 s5, s4, s2
	s_abs_i32 s2, ttmp9
	s_add_co_i32 s4, s4, s5
	s_mov_b32 s5, s3
	s_wait_kmcnt 0x0
	s_cmp_eq_u64 s[8:9], 0
	s_cbranch_scc1 .LBB162_3
; %bb.2:
	s_mov_b32 s16, ttmp9
	s_ashr_i32 s17, ttmp9, 31
	s_delay_alu instid0(SALU_CYCLE_1) | instskip(NEXT) | instid1(SALU_CYCLE_1)
	s_lshl_b64 s[16:17], s[16:17], 2
	s_add_nc_u64 s[8:9], s[8:9], s[16:17]
	s_load_b32 s6, s[8:9], 0x0
.LBB162_3:
	s_load_b96 s[8:10], s[0:1], 0x58
	v_lshrrev_b32_e32 v19, 1, v0
	v_and_b32_e32 v20, 1, v0
	v_lshlrev_b32_e32 v3, 3, v0
	s_mul_u64 s[4:5], s[2:3], s[4:5]
	s_ashr_i32 s3, ttmp9, 31
	s_ashr_i32 s4, s12, 31
	s_lshl_b32 s12, ttmp9, 5
	s_mov_b32 s16, exec_lo
	v_cmpx_gt_u32_e32 8, v0
	s_cbranch_execz .LBB162_5
; %bb.4:
	s_load_b64 s[18:19], s[0:1], 0x18
	s_wait_kmcnt 0x0
	s_mul_i32 s20, s8, s14
	s_ashr_i32 s13, s12, 31
	s_ashr_i32 s21, s20, 31
	v_lshlrev_b32_e32 v4, 3, v19
	s_lshl_b64 s[20:21], s[20:21], 1
	s_delay_alu instid0(VALU_DEP_1) | instskip(SKIP_2) | instid1(SALU_CYCLE_1)
	v_lshl_add_u32 v4, v20, 5, v4
	s_add_nc_u64 s[18:19], s[18:19], s[20:21]
	s_lshl_b64 s[20:21], s[12:13], 1
	s_add_nc_u64 s[18:19], s[18:19], s[20:21]
	global_load_b64 v[1:2], v3, s[18:19]
	s_wait_loadcnt 0x0
	ds_store_b64 v4, v[1:2]
.LBB162_5:
	s_or_b32 exec_lo, exec_lo, s16
	s_add_co_i32 s13, s24, 15
	s_wait_alu 0xfffe
	s_xor_b32 s3, s3, s4
	s_ashr_i32 s16, s13, 31
	s_wait_kmcnt 0x0
	s_lshl_b32 s8, s27, 5
	s_lshr_b32 s4, s16, 28
	s_mul_i32 s16, s5, s11
	s_add_co_i32 s13, s13, s4
	s_add_co_i32 s4, s8, 32
	s_ashr_i32 s28, s13, 4
	s_load_b32 s13, s[0:1], 0x48
	s_sub_co_i32 s2, s2, s16
	s_min_i32 s25, s4, s28
	s_add_co_i32 s4, s5, 1
	s_wait_alu 0xfffe
	s_sub_co_i32 s16, s2, s11
	s_cmp_ge_u32 s2, s11
	v_lshrrev_b32_e32 v21, 5, v0
	s_cselect_b32 s4, s4, s5
	s_cselect_b32 s2, s16, s2
	s_add_co_i32 s5, s4, 1
	s_wait_alu 0xfffe
	s_cmp_ge_u32 s2, s11
	v_or_b32_e32 v22, s8, v21
	s_cselect_b32 s2, s5, s4
	v_mbcnt_lo_u32_b32 v6, -1, 0
	s_wait_alu 0xfffe
	s_xor_b32 s2, s2, s3
	s_mov_b32 s4, exec_lo
	s_wait_alu 0xfffe
	s_sub_co_i32 s3, s2, s3
	v_cmp_gt_i32_e64 s2, s25, v22
	s_wait_dscnt 0x0
	s_barrier_signal -1
	s_wait_kmcnt 0x0
	s_mul_i32 s16, s13, s14
	s_barrier_wait -1
	s_ashr_i32 s17, s16, 31
	global_inv scope:SCOPE_SE
                                        ; implicit-def: $vgpr7
                                        ; implicit-def: $vgpr8
	v_cmpx_le_i32_e64 s25, v22
	s_xor_b32 s4, exec_lo, s4
; %bb.6:
	v_dual_mov_b32 v7, 0 :: v_dual_mov_b32 v8, 32
	v_mbcnt_lo_u32_b32 v6, -1, 0
; %bb.7:
	s_or_saveexec_b32 s11, s4
	s_clause 0x1
	s_load_b64 s[18:19], s[0:1], 0x38
	s_load_b32 s13, s[0:1], 0x98
	v_dual_mov_b32 v18, 0xff7fffff :: v_dual_lshlrev_b32 v5, 4, v21
	v_lshlrev_b32_e32 v4, 2, v22
	s_mul_i32 s20, s3, s10
	s_xor_b32 exec_lo, exec_lo, s11
	s_cbranch_execz .LBB162_13
; %bb.8:
	s_load_b64 s[4:5], s[0:1], 0x20
	v_lshlrev_b32_e32 v1, 5, v20
	v_bfe_u32 v2, v0, 1, 4
	s_ashr_i32 s21, s20, 31
	v_dual_mov_b32 v7, 0 :: v_dual_and_b32 v8, 8, v3
	ds_load_b128 v[13:16], v1
	ds_load_b128 v[28:31], v1 offset:16
	v_lshlrev_b32_e32 v1, 4, v2
	s_lshl_b64 s[22:23], s[20:21], 1
	s_cmp_neq_f32 s6, 0
	v_add3_u32 v33, s26, v5, v2
	s_mov_b32 s21, s9
	s_mov_b32 s10, 0
	v_mov_b32_e32 v35, v22
	s_wait_kmcnt 0x0
	s_add_nc_u64 s[4:5], s[4:5], s[22:23]
	s_delay_alu instid0(SALU_CYCLE_1)
	v_add_co_u32 v1, s3, s4, v1
	s_wait_alu 0xf1ff
	v_add_co_ci_u32_e64 v18, null, s5, 0, s3
	s_cselect_b32 s3, -1, 0
	v_add_co_u32 v23, vcc_lo, v1, v8
	v_xor_b32_e32 v1, 1, v6
	v_add_co_ci_u32_e64 v24, null, 0, v18, vcc_lo
	v_lshlrev_b32_e32 v18, 2, v2
	s_lshl_b64 s[4:5], s[16:17], 2
	s_delay_alu instid0(VALU_DEP_3)
	v_cmp_gt_i32_e32 vcc_lo, 32, v1
	s_wait_dscnt 0x1
	v_and_b32_e32 v12, 0xffff0000, v14
	s_wait_alu 0xfffe
	s_add_nc_u64 s[4:5], s[18:19], s[4:5]
	v_lshlrev_b32_e32 v9, 16, v13
	v_and_b32_e32 v10, 0xffff0000, v13
	s_wait_alu 0xfffd
	v_cndmask_b32_e32 v1, v6, v1, vcc_lo
	v_lshlrev_b32_e32 v11, 16, v14
	v_lshlrev_b32_e32 v13, 16, v15
	v_and_b32_e32 v14, 0xffff0000, v15
	v_lshlrev_b32_e32 v15, 16, v16
	v_lshlrev_b32_e32 v32, 2, v1
	v_lshl_or_b32 v1, v21, 6, v18
	v_and_b32_e32 v16, 0xffff0000, v16
	s_wait_dscnt 0x0
	v_lshlrev_b32_e32 v17, 16, v28
	v_and_b32_e32 v25, 0xffff0000, v28
	v_lshlrev_b32_e32 v26, 16, v29
	v_add_nc_u32_e32 v34, 0x60, v1
	s_wait_alu 0xfffe
	v_add_co_u32 v1, s4, s4, v4
	v_and_b32_e32 v27, 0xffff0000, v29
	v_lshlrev_b32_e32 v28, 16, v30
	v_and_b32_e32 v29, 0xffff0000, v30
	v_lshlrev_b32_e32 v30, 16, v31
	v_dual_mov_b32 v8, 32 :: v_dual_and_b32 v31, 0xffff0000, v31
	s_wait_alu 0xf1ff
	v_add_co_ci_u32_e64 v2, null, s5, 0, s4
	v_mov_b32_e32 v18, 0xff7fffff
	s_sub_co_i32 s22, 1, s24
	v_cmp_eq_u32_e32 vcc_lo, 0, v20
	s_branch .LBB162_10
.LBB162_9:                              ;   in Loop: Header=BB162_10 Depth=1
	s_wait_alu 0xfffe
	s_or_b32 exec_lo, exec_lo, s5
	v_add_nc_u32_e32 v35, 4, v35
	v_add_co_u32 v1, s5, v1, 16
	v_add_nc_u32_e32 v33, 64, v33
	v_add_nc_u32_e32 v34, 0x100, v34
	s_delay_alu instid0(VALU_DEP_4) | instskip(SKIP_3) | instid1(SALU_CYCLE_1)
	v_cmp_le_i32_e64 s4, s25, v35
	s_wait_alu 0xf1ff
	v_add_co_ci_u32_e64 v2, null, 0, v2, s5
	s_or_b32 s10, s4, s10
	s_and_not1_b32 exec_lo, exec_lo, s10
	s_cbranch_execz .LBB162_12
.LBB162_10:                             ; =>This Inner Loop Header: Depth=1
	global_load_b32 v36, v[1:2], off
	s_wait_loadcnt_dscnt 0x0
	v_mad_co_i64_i32 v[36:37], null, v36, s21, 0
	s_delay_alu instid0(VALU_DEP_1) | instskip(NEXT) | instid1(VALU_DEP_1)
	v_lshlrev_b64_e32 v[36:37], 1, v[36:37]
	v_add_co_u32 v36, s4, v23, v36
	s_wait_alu 0xf1ff
	s_delay_alu instid0(VALU_DEP_2)
	v_add_co_ci_u32_e64 v37, null, v24, v37, s4
	s_clause 0x3
	global_load_b64 v[38:39], v[36:37], off
	global_load_b64 v[40:41], v[36:37], off offset:256
	global_load_b64 v[42:43], v[36:37], off offset:512
	;; [unrolled: 1-line block ×3, first 2 shown]
	s_wait_loadcnt 0x1
	v_lshlrev_b32_e32 v49, 16, v43
	v_lshlrev_b32_e32 v46, 16, v40
	v_lshlrev_b32_e32 v45, 16, v39
	v_lshlrev_b32_e32 v48, 16, v42
	v_and_b32_e32 v42, 0xffff0000, v42
	s_wait_loadcnt 0x0
	v_lshlrev_b32_e32 v50, 16, v36
	v_dual_mul_f32 v46, v13, v46 :: v_dual_lshlrev_b32 v47, 16, v41
	v_lshlrev_b32_e32 v44, 16, v38
	s_delay_alu instid0(VALU_DEP_2) | instskip(SKIP_1) | instid1(VALU_DEP_3)
	v_dual_mul_f32 v47, v15, v47 :: v_dual_and_b32 v36, 0xffff0000, v36
	v_and_b32_e32 v38, 0xffff0000, v38
	v_dual_fmac_f32 v46, v9, v44 :: v_dual_and_b32 v43, 0xffff0000, v43
	s_delay_alu instid0(VALU_DEP_1) | instskip(NEXT) | instid1(VALU_DEP_1)
	v_dual_fmac_f32 v47, v11, v45 :: v_dual_fmac_f32 v46, v17, v48
	v_dual_fmac_f32 v47, v26, v49 :: v_dual_and_b32 v40, 0xffff0000, v40
	s_delay_alu instid0(VALU_DEP_2) | instskip(NEXT) | instid1(VALU_DEP_2)
	v_dual_fmac_f32 v46, v28, v50 :: v_dual_and_b32 v39, 0xffff0000, v39
	v_dual_mul_f32 v40, v14, v40 :: v_dual_and_b32 v41, 0xffff0000, v41
	s_delay_alu instid0(VALU_DEP_1) | instskip(NEXT) | instid1(VALU_DEP_2)
	v_fmac_f32_e32 v40, v10, v38
	v_mul_f32_e32 v38, v16, v41
	s_delay_alu instid0(VALU_DEP_2) | instskip(NEXT) | instid1(VALU_DEP_1)
	v_dual_fmac_f32 v40, v25, v42 :: v_dual_lshlrev_b32 v41, 16, v37
	v_dual_fmac_f32 v38, v12, v39 :: v_dual_fmac_f32 v47, v30, v41
	s_delay_alu instid0(VALU_DEP_2) | instskip(NEXT) | instid1(VALU_DEP_2)
	v_fmac_f32_e32 v40, v29, v36
	v_fmac_f32_e32 v38, v27, v43
	s_delay_alu instid0(VALU_DEP_2) | instskip(NEXT) | instid1(VALU_DEP_1)
	v_dual_add_f32 v37, v46, v40 :: v_dual_and_b32 v36, 0xffff0000, v37
	v_fmac_f32_e32 v38, v31, v36
	s_delay_alu instid0(VALU_DEP_2) | instskip(NEXT) | instid1(VALU_DEP_1)
	v_add_f32_e32 v36, v37, v47
	v_add_f32_e32 v36, v38, v36
	ds_bpermute_b32 v37, v32, v36
	s_and_saveexec_b32 s5, vcc_lo
	s_cbranch_execz .LBB162_9
; %bb.11:                               ;   in Loop: Header=BB162_10 Depth=1
	s_wait_dscnt 0x0
	v_add_f32_e32 v36, v36, v37
	v_add_nc_u32_e32 v38, s22, v33
	v_cmp_gt_i32_e64 s4, s24, v33
	s_delay_alu instid0(VALU_DEP_2) | instskip(NEXT) | instid1(VALU_DEP_1)
	v_cvt_f32_i32_e32 v38, v38
	v_mul_f32_e32 v38, s6, v38
	s_delay_alu instid0(VALU_DEP_1) | instskip(NEXT) | instid1(VALU_DEP_1)
	v_cndmask_b32_e64 v37, 0, v38, s3
	v_dual_max_num_f32 v38, v18, v18 :: v_dual_fmac_f32 v37, s7, v36
	s_delay_alu instid0(VALU_DEP_1) | instskip(SKIP_2) | instid1(VALU_DEP_2)
	v_max_num_f32_e32 v36, v38, v37
	s_wait_alu 0xf1ff
	v_cndmask_b32_e64 v37, 0, v37, s4
	v_cndmask_b32_e64 v18, v18, v36, s4
	ds_store_b32 v34, v37
	s_branch .LBB162_9
.LBB162_12:
	s_or_b32 exec_lo, exec_lo, s10
.LBB162_13:
	s_delay_alu instid0(SALU_CYCLE_1)
	s_or_b32 exec_lo, exec_lo, s11
	v_xor_b32_e32 v1, 16, v6
	v_xor_b32_e32 v2, 8, v6
	v_max_num_f32_e32 v11, v18, v18
	v_xor_b32_e32 v12, 2, v6
	s_clause 0x2
	s_load_b128 s[4:7], s[0:1], 0x0
	s_load_b64 s[10:11], s[0:1], 0x10
	s_load_b64 s[22:23], s[0:1], 0x28
	v_cmp_lt_i32_e32 vcc_lo, v1, v8
	v_and_b32_e32 v23, 31, v0
	s_wait_alu 0xfffd
	v_cndmask_b32_e32 v1, v6, v1, vcc_lo
	v_cmp_lt_i32_e32 vcc_lo, v2, v8
	s_wait_alu 0xfffd
	v_cndmask_b32_e32 v2, v6, v2, vcc_lo
	s_delay_alu instid0(VALU_DEP_1) | instskip(SKIP_4) | instid1(VALU_DEP_1)
	v_lshlrev_b32_e32 v10, 2, v2
	v_lshlrev_b32_e32 v9, 2, v1
	ds_bpermute_b32 v1, v9, v18
	s_wait_dscnt 0x0
	v_max_num_f32_e32 v1, v1, v1
	v_max_num_f32_e32 v1, v11, v1
	v_xor_b32_e32 v11, 4, v6
	ds_bpermute_b32 v2, v10, v1
	v_cmp_lt_i32_e32 vcc_lo, v11, v8
	s_wait_alu 0xfffd
	v_cndmask_b32_e32 v11, v6, v11, vcc_lo
	v_cmp_lt_i32_e32 vcc_lo, v12, v8
	s_wait_alu 0xfffd
	s_delay_alu instid0(VALU_DEP_2) | instskip(SKIP_3) | instid1(VALU_DEP_1)
	v_dual_cndmask_b32 v12, v6, v12 :: v_dual_lshlrev_b32 v11, 2, v11
	v_cmp_eq_u32_e32 vcc_lo, 0, v23
	s_wait_dscnt 0x0
	v_max_num_f32_e32 v2, v2, v2
	v_max_num_f32_e32 v1, v1, v2
	ds_bpermute_b32 v2, v11, v1
	s_wait_dscnt 0x0
	v_max_num_f32_e32 v2, v2, v2
	s_delay_alu instid0(VALU_DEP_1)
	v_dual_max_num_f32 v1, v1, v2 :: v_dual_lshlrev_b32 v2, 2, v12
	v_lshlrev_b32_e32 v12, 2, v21
	ds_bpermute_b32 v13, v2, v1
	s_and_saveexec_b32 s0, vcc_lo
	s_cbranch_execz .LBB162_15
; %bb.14:
	s_wait_dscnt 0x0
	v_max_num_f32_e32 v13, v13, v13
	v_max_num_f32_e32 v1, v1, v1
	s_delay_alu instid0(VALU_DEP_1)
	v_max_num_f32_e32 v1, v1, v13
	ds_store_b32 v12, v1 offset:64
.LBB162_15:
	s_or_b32 exec_lo, exec_lo, s0
	v_cmp_gt_u32_e64 s0, 4, v23
	v_mov_b32_e32 v1, 0xff7fffff
	s_wait_dscnt 0x0
	v_lshlrev_b32_e32 v13, 2, v23
	s_wait_loadcnt 0x0
	s_barrier_signal -1
	s_barrier_wait -1
	global_inv scope:SCOPE_SE
	s_and_saveexec_b32 s1, s0
; %bb.16:
	ds_load_b32 v1, v13 offset:64
; %bb.17:
	s_or_b32 exec_lo, exec_lo, s1
	s_wait_dscnt 0x0
	ds_bpermute_b32 v14, v2, v1
	v_xor_b32_e32 v15, 1, v6
	v_max_num_f32_e32 v1, v1, v1
	v_lshlrev_b32_e32 v7, 2, v7
	s_delay_alu instid0(VALU_DEP_3) | instskip(NEXT) | instid1(VALU_DEP_1)
	v_cmp_lt_i32_e64 s1, v15, v8
	v_cndmask_b32_e64 v8, v6, v15, s1
	s_sub_co_i32 s1, s25, s8
	s_wait_alu 0xfffe
	s_lshl_b32 s1, s1, 4
	s_wait_alu 0xfffe
	s_add_co_i32 s1, s1, s26
	s_wait_alu 0xfffe
	s_min_i32 s1, s1, s24
	s_wait_dscnt 0x0
	v_max_num_f32_e32 v14, v14, v14
	v_lshlrev_b32_e32 v24, 2, v8
	s_wait_alu 0xfffe
	s_sub_co_i32 s21, s1, s26
	s_wait_alu 0xfffe
	v_cmp_gt_i32_e64 s1, s21, v0
	v_max_num_f32_e32 v1, v1, v14
	ds_bpermute_b32 v8, v24, v1
	s_wait_dscnt 0x0
	v_max_num_f32_e32 v8, v8, v8
	s_delay_alu instid0(VALU_DEP_1)
	v_dual_max_num_f32 v1, v1, v8 :: v_dual_mov_b32 v8, 0
	ds_bpermute_b32 v1, v7, v1
	v_lshl_add_u32 v7, v0, 2, 0x60
	s_and_saveexec_b32 s29, s1
	s_cbranch_execz .LBB162_21
; %bb.18:
	v_lshl_add_u32 v14, v0, 2, 0x60
	v_dual_mov_b32 v8, 0 :: v_dual_mov_b32 v15, v0
	s_mov_b32 s30, 0
.LBB162_19:                             ; =>This Inner Loop Header: Depth=1
	ds_load_b32 v16, v14
	v_add_nc_u32_e32 v15, 0x80, v15
	s_delay_alu instid0(VALU_DEP_1) | instskip(SKIP_3) | instid1(VALU_DEP_1)
	v_cmp_le_i32_e64 s3, s21, v15
	s_or_b32 s30, s3, s30
	s_wait_dscnt 0x0
	v_sub_f32_e32 v16, v16, v1
	v_mul_f32_e32 v16, 0x3fb8aa3b, v16
	s_delay_alu instid0(VALU_DEP_1)
	v_exp_f32_e32 v16, v16
	ds_store_b32 v14, v16
	v_add_f32_e32 v8, v8, v16
	v_add_nc_u32_e32 v14, 0x200, v14
	s_and_not1_b32 exec_lo, exec_lo, s30
	s_cbranch_execnz .LBB162_19
; %bb.20:
	s_or_b32 exec_lo, exec_lo, s30
.LBB162_21:
	s_delay_alu instid0(SALU_CYCLE_1)
	s_or_b32 exec_lo, exec_lo, s29
	ds_bpermute_b32 v9, v9, v8
	s_wait_dscnt 0x0
	v_add_f32_e32 v8, v8, v9
	ds_bpermute_b32 v9, v10, v8
	s_wait_dscnt 0x0
	v_add_f32_e32 v8, v8, v9
	;; [unrolled: 3-line block ×5, first 2 shown]
	s_and_saveexec_b32 s3, vcc_lo
; %bb.22:
	ds_store_b32 v12, v8 offset:80
; %bb.23:
	s_wait_alu 0xfffe
	s_or_b32 exec_lo, exec_lo, s3
	s_wait_loadcnt_dscnt 0x0
	s_barrier_signal -1
	s_barrier_wait -1
	global_inv scope:SCOPE_SE
	s_and_saveexec_b32 s3, s0
; %bb.24:
	ds_load_b32 v8, v13 offset:80
; %bb.25:
	s_wait_alu 0xfffe
	s_or_b32 exec_lo, exec_lo, s3
	s_wait_dscnt 0x0
	ds_bpermute_b32 v2, v2, v8
	v_lshlrev_b32_e32 v6, 2, v6
	s_delay_alu instid0(VALU_DEP_1)
	v_and_b32_e32 v6, 0xffffff80, v6
	s_wait_dscnt 0x0
	v_add_f32_e32 v2, v8, v2
	ds_bpermute_b32 v8, v24, v2
	s_wait_dscnt 0x0
	v_add_f32_e32 v2, v2, v8
	ds_bpermute_b32 v2, v6, v2
	s_and_saveexec_b32 s0, s1
	s_cbranch_execz .LBB162_28
; %bb.26:
	s_wait_dscnt 0x0
	v_add_f32_e32 v6, 0x358637bd, v2
	s_mov_b32 s1, 0
	s_delay_alu instid0(VALU_DEP_1) | instskip(NEXT) | instid1(VALU_DEP_1)
	v_div_scale_f32 v8, null, v6, v6, 1.0
	v_rcp_f32_e32 v9, v8
	s_delay_alu instid0(TRANS32_DEP_1) | instskip(NEXT) | instid1(VALU_DEP_1)
	v_fma_f32 v10, -v8, v9, 1.0
	v_fmac_f32_e32 v9, v10, v9
	v_div_scale_f32 v11, vcc_lo, 1.0, v6, 1.0
	s_delay_alu instid0(VALU_DEP_1) | instskip(NEXT) | instid1(VALU_DEP_1)
	v_mul_f32_e32 v10, v11, v9
	v_fma_f32 v12, -v8, v10, v11
	s_delay_alu instid0(VALU_DEP_1) | instskip(NEXT) | instid1(VALU_DEP_1)
	v_fmac_f32_e32 v10, v12, v9
	v_fma_f32 v8, -v8, v10, v11
	s_wait_alu 0xfffd
	s_delay_alu instid0(VALU_DEP_1) | instskip(NEXT) | instid1(VALU_DEP_1)
	v_div_fmas_f32 v8, v8, v9, v10
	v_div_fixup_f32 v6, v8, v6, 1.0
	v_mov_b32_e32 v8, v0
.LBB162_27:                             ; =>This Inner Loop Header: Depth=1
	ds_load_b32 v9, v7
	s_wait_dscnt 0x0
	v_dual_mul_f32 v9, v6, v9 :: v_dual_add_nc_u32 v8, 0x80, v8
	s_delay_alu instid0(VALU_DEP_1)
	v_cmp_le_i32_e32 vcc_lo, s21, v8
	ds_store_b32 v7, v9
	v_add_nc_u32_e32 v7, 0x200, v7
	s_wait_alu 0xfffe
	s_or_b32 s1, vcc_lo, s1
	s_wait_alu 0xfffe
	s_and_not1_b32 exec_lo, exec_lo, s1
	s_cbranch_execnz .LBB162_27
.LBB162_28:
	s_wait_alu 0xfffe
	s_or_b32 exec_lo, exec_lo, s0
	s_wait_kmcnt 0x0
	s_mul_i32 s0, s13, s14
	s_wait_loadcnt_dscnt 0x0
	s_wait_alu 0xfffe
	s_mul_i32 s14, s0, s15
	s_mov_b32 s0, exec_lo
	s_barrier_signal -1
	s_barrier_wait -1
	global_inv scope:SCOPE_SE
	v_cmpx_eq_u32_e32 0, v0
	s_cbranch_execz .LBB162_30
; %bb.29:
	s_ashr_i32 s15, s14, 31
	s_wait_alu 0xfffe
	s_mul_i32 s30, s13, ttmp9
	s_lshl_b32 s1, s27, 2
	s_lshl_b64 s[34:35], s[14:15], 2
	s_ashr_i32 s31, s30, 31
	s_wait_alu 0xfffe
	v_mov_b32_e32 v6, s1
	s_add_nc_u64 s[6:7], s[6:7], s[34:35]
	s_lshl_b64 s[30:31], s[30:31], 2
	s_add_nc_u64 s[4:5], s[4:5], s[34:35]
	s_wait_alu 0xfffe
	s_add_nc_u64 s[6:7], s[6:7], s[30:31]
	s_add_nc_u64 s[4:5], s[4:5], s[30:31]
	s_clause 0x1
	global_store_b32 v6, v1, s[6:7]
	global_store_b32 v6, v2, s[4:5]
.LBB162_30:
	s_wait_alu 0xfffe
	s_or_b32 exec_lo, exec_lo, s0
	v_dual_mov_b32 v26, 0 :: v_dual_mov_b32 v25, 0
	s_and_saveexec_b32 s1, s2
	s_cbranch_execz .LBB162_38
; %bb.31:
	v_dual_mov_b32 v25, 0 :: v_dual_lshlrev_b32 v2, 4, v0
	s_ashr_i32 s21, s20, 31
	v_dual_mov_b32 v26, 0 :: v_dual_and_b32 v1, 8, v3
	s_delay_alu instid0(VALU_DEP_2)
	v_and_b32_e32 v2, 0x1f0, v2
	s_wait_alu 0xfffe
	s_lshl_b64 s[4:5], s[20:21], 1
	v_lshlrev_b32_e32 v3, 5, v20
	s_wait_alu 0xfffe
	s_add_nc_u64 s[4:5], s[22:23], s[4:5]
	v_add3_u32 v29, s26, v5, v1
	s_wait_alu 0xfffe
	v_add_co_u32 v27, s0, s4, v2
	s_wait_alu 0xf1ff
	v_add_co_ci_u32_e64 v28, null, s5, 0, s0
	s_lshl_b64 s[4:5], s[16:17], 2
	v_lshl_or_b32 v3, v21, 6, v3
	s_wait_alu 0xfffe
	s_add_nc_u64 s[4:5], s[18:19], s[4:5]
	s_mov_b32 s2, s9
	s_wait_alu 0xfffe
	v_add_co_u32 v17, s0, s4, v4
	v_add_nc_u32_e32 v30, 0x60, v3
	s_wait_alu 0xf1ff
	v_add_co_ci_u32_e64 v18, null, s5, 0, s0
	s_add_co_i32 s28, s28, -1
	s_mov_b32 s4, s24
	s_mov_b32 s3, 0
	s_branch .LBB162_33
.LBB162_32:                             ;   in Loop: Header=BB162_33 Depth=1
	s_wait_alu 0xfffe
	s_or_b32 exec_lo, exec_lo, s0
	s_wait_dscnt 0x1
	v_bfe_u32 v31, v13, 16, 1
	v_or_b32_e32 v32, 0x400000, v13
	v_bfe_u32 v33, v14, 16, 1
	v_cmp_u_f32_e32 vcc_lo, v13, v13
	v_bfe_u32 v34, v15, 16, 1
	v_add3_u32 v31, v31, v13, 0x7fff
	v_or_b32_e32 v35, 0x400000, v14
	v_add3_u32 v33, v33, v14, 0x7fff
	v_or_b32_e32 v36, 0x400000, v15
	v_add3_u32 v34, v34, v15, 0x7fff
	s_wait_alu 0xfffd
	v_cndmask_b32_e32 v13, v31, v32, vcc_lo
	v_cmp_u_f32_e32 vcc_lo, v14, v14
	v_bfe_u32 v31, v16, 16, 1
	s_wait_dscnt 0x0
	v_bfe_u32 v32, v9, 16, 1
	v_add_co_u32 v17, s0, v17, 16
	s_wait_alu 0xfffd
	v_cndmask_b32_e32 v14, v33, v35, vcc_lo
	v_cmp_u_f32_e32 vcc_lo, v15, v15
	v_add3_u32 v31, v31, v16, 0x7fff
	v_or_b32_e32 v33, 0x400000, v16
	v_add3_u32 v32, v32, v9, 0x7fff
	v_bfe_u32 v35, v10, 16, 1
	s_wait_alu 0xfffd
	v_cndmask_b32_e32 v15, v34, v36, vcc_lo
	v_cmp_u_f32_e32 vcc_lo, v16, v16
	v_or_b32_e32 v34, 0x400000, v9
	v_add_nc_u32_e32 v29, 64, v29
	s_wait_alu 0xf1ff
	v_add_co_ci_u32_e64 v18, null, 0, v18, s0
	s_wait_alu 0xfffd
	v_cndmask_b32_e32 v16, v31, v33, vcc_lo
	v_cmp_u_f32_e32 vcc_lo, v9, v9
	v_add3_u32 v31, v35, v10, 0x7fff
	v_bfe_u32 v33, v11, 16, 1
	s_wait_loadcnt 0x1
	v_lshlrev_b32_e32 v35, 16, v6
	v_add_nc_u32_e32 v22, 4, v22
	s_wait_alu 0xfffd
	v_dual_cndmask_b32 v9, v32, v34 :: v_dual_lshlrev_b32 v34, 16, v5
	v_or_b32_e32 v32, 0x400000, v10
	v_cmp_u_f32_e32 vcc_lo, v10, v10
	v_and_b32_e32 v13, 0xffff0000, v13
	v_and_b32_e32 v5, 0xffff0000, v5
	v_add_nc_u32_e32 v30, 0x100, v30
	s_wait_alu 0xfffd
	v_cndmask_b32_e32 v10, v31, v32, vcc_lo
	v_add3_u32 v31, v33, v11, 0x7fff
	v_or_b32_e32 v32, 0x400000, v11
	v_bfe_u32 v33, v12, 16, 1
	v_mul_f32_e32 v34, v13, v34
	v_cmp_u_f32_e32 vcc_lo, v11, v11
	v_and_b32_e32 v14, 0xffff0000, v14
	s_wait_alu 0xfffd
	v_dual_cndmask_b32 v11, v31, v32 :: v_dual_and_b32 v10, 0xffff0000, v10
	v_add3_u32 v31, v33, v12, 0x7fff
	v_or_b32_e32 v32, 0x400000, v12
	v_bfe_u32 v33, v34, 16, 1
	v_cmp_u_f32_e32 vcc_lo, v12, v12
	v_mul_f32_e32 v5, v14, v5
	s_wait_alu 0xfffd
	v_dual_cndmask_b32 v12, v31, v32 :: v_dual_and_b32 v11, 0xffff0000, v11
	v_add3_u32 v31, v33, v34, 0x7fff
	v_or_b32_e32 v32, 0x400000, v34
	v_bfe_u32 v33, v5, 16, 1
	v_cmp_u_f32_e32 vcc_lo, v34, v34
	v_and_b32_e32 v6, 0xffff0000, v6
	v_or_b32_e32 v36, 0x400000, v5
	s_wait_alu 0xfffd
	v_cndmask_b32_e32 v31, v31, v32, vcc_lo
	v_add3_u32 v32, v33, v5, 0x7fff
	v_cmp_u_f32_e32 vcc_lo, v5, v5
	v_lshlrev_b32_e32 v34, 16, v7
	v_and_b32_e32 v7, 0xffff0000, v7
	v_and_b32_e32 v16, 0xffff0000, v16
	v_and_b32_e32 v31, 0xffff0000, v31
	s_wait_alu 0xfffd
	v_cndmask_b32_e32 v5, v32, v36, vcc_lo
	v_dual_mul_f32 v7, v10, v7 :: v_dual_lshlrev_b32 v36, 16, v8
	v_dual_mul_f32 v6, v16, v6 :: v_dual_and_b32 v15, 0xffff0000, v15
	s_delay_alu instid0(VALU_DEP_2) | instskip(NEXT) | instid1(VALU_DEP_2)
	v_dual_mul_f32 v36, v11, v36 :: v_dual_and_b32 v9, 0xffff0000, v9
	v_mul_f32_e32 v35, v15, v35
	s_delay_alu instid0(VALU_DEP_3) | instskip(NEXT) | instid1(VALU_DEP_3)
	v_bfe_u32 v38, v6, 16, 1
	v_mul_f32_e32 v34, v9, v34
	s_delay_alu instid0(VALU_DEP_3) | instskip(SKIP_2) | instid1(VALU_DEP_3)
	v_bfe_u32 v33, v35, 16, 1
	v_or_b32_e32 v37, 0x400000, v35
	v_cmp_u_f32_e32 vcc_lo, v35, v35
	v_add3_u32 v33, v33, v35, 0x7fff
	v_bfe_u32 v35, v34, 16, 1
	s_wait_alu 0xfffd
	s_delay_alu instid0(VALU_DEP_2)
	v_cndmask_b32_e32 v32, v33, v37, vcc_lo
	v_add3_u32 v33, v38, v6, 0x7fff
	v_or_b32_e32 v37, 0x400000, v6
	v_cmp_u_f32_e32 vcc_lo, v6, v6
	v_add3_u32 v35, v35, v34, 0x7fff
	v_or_b32_e32 v38, 0x400000, v34
	v_and_b32_e32 v32, 0xffff0000, v32
	s_wait_alu 0xfffd
	v_cndmask_b32_e32 v6, v33, v37, vcc_lo
	v_bfe_u32 v33, v7, 16, 1
	v_cmp_u_f32_e32 vcc_lo, v34, v34
	v_or_b32_e32 v37, 0x400000, v7
	s_delay_alu instid0(VALU_DEP_4) | instskip(NEXT) | instid1(VALU_DEP_4)
	v_and_b32_e32 v6, 0xffff0000, v6
	v_add3_u32 v33, v33, v7, 0x7fff
	s_wait_alu 0xfffd
	v_cndmask_b32_e32 v34, v35, v38, vcc_lo
	v_cmp_u_f32_e32 vcc_lo, v7, v7
	v_bfe_u32 v35, v36, 16, 1
	v_dual_add_f32 v6, v32, v6 :: v_dual_and_b32 v5, 0xffff0000, v5
	s_wait_alu 0xfffd
	v_dual_cndmask_b32 v7, v33, v37 :: v_dual_and_b32 v12, 0xffff0000, v12
	s_wait_loadcnt 0x0
	v_lshlrev_b32_e32 v37, 16, v1
	v_and_b32_e32 v1, 0xffff0000, v1
	v_add3_u32 v35, v35, v36, 0x7fff
	v_or_b32_e32 v38, 0x400000, v36
	v_cmp_u_f32_e32 vcc_lo, v36, v36
	v_add_f32_e32 v5, v31, v5
	v_dual_mul_f32 v1, v14, v1 :: v_dual_lshlrev_b32 v14, 16, v2
	v_and_b32_e32 v7, 0xffff0000, v7
	s_wait_alu 0xfffd
	v_cndmask_b32_e32 v33, v35, v38, vcc_lo
	v_and_b32_e32 v31, 0xffff0000, v34
	v_dual_add_f32 v5, v6, v5 :: v_dual_mul_f32 v14, v15, v14
	v_dual_mul_f32 v13, v13, v37 :: v_dual_and_b32 v8, 0xffff0000, v8
	s_delay_alu instid0(VALU_DEP_3) | instskip(SKIP_2) | instid1(VALU_DEP_4)
	v_add_f32_e32 v7, v31, v7
	v_bfe_u32 v32, v1, 16, 1
	v_and_b32_e32 v2, 0xffff0000, v2
	v_mul_f32_e32 v8, v12, v8
	v_bfe_u32 v6, v13, 16, 1
	v_or_b32_e32 v31, 0x400000, v13
	v_or_b32_e32 v15, 0x400000, v1
	v_mul_f32_e32 v2, v16, v2
	v_bfe_u32 v35, v8, 16, 1
	v_or_b32_e32 v36, 0x400000, v8
	v_cmp_u_f32_e32 vcc_lo, v8, v8
	v_add3_u32 v6, v6, v13, 0x7fff
	v_lshlrev_b32_e32 v16, 16, v3
	v_add3_u32 v35, v35, v8, 0x7fff
	v_and_b32_e32 v3, 0xffff0000, v3
	s_delay_alu instid0(VALU_DEP_3) | instskip(SKIP_1) | instid1(VALU_DEP_3)
	v_mul_f32_e32 v9, v9, v16
	s_wait_alu 0xfffd
	v_cndmask_b32_e32 v8, v35, v36, vcc_lo
	v_cmp_u_f32_e32 vcc_lo, v13, v13
	v_add3_u32 v13, v32, v1, 0x7fff
	v_mul_f32_e32 v3, v10, v3
	v_bfe_u32 v16, v9, 16, 1
	v_lshlrev_b32_e32 v10, 16, v4
	s_wait_alu 0xfffd
	v_cndmask_b32_e32 v6, v6, v31, vcc_lo
	v_bfe_u32 v31, v14, 16, 1
	v_cmp_u_f32_e32 vcc_lo, v1, v1
	v_and_b32_e32 v8, 0xffff0000, v8
	s_wait_alu 0xfffd
	v_dual_cndmask_b32 v1, v13, v15 :: v_dual_and_b32 v4, 0xffff0000, v4
	v_add3_u32 v13, v31, v14, 0x7fff
	v_or_b32_e32 v15, 0x400000, v14
	v_bfe_u32 v31, v2, 16, 1
	v_cmp_u_f32_e32 vcc_lo, v14, v14
	v_dual_mul_f32 v10, v11, v10 :: v_dual_and_b32 v1, 0xffff0000, v1
	v_or_b32_e32 v11, 0x400000, v9
	s_delay_alu instid0(VALU_DEP_4)
	v_add3_u32 v14, v31, v2, 0x7fff
	s_wait_alu 0xfffd
	v_cndmask_b32_e32 v13, v13, v15, vcc_lo
	v_or_b32_e32 v15, 0x400000, v2
	v_cmp_u_f32_e32 vcc_lo, v2, v2
	s_wait_alu 0xfffd
	s_delay_alu instid0(VALU_DEP_2)
	v_cndmask_b32_e32 v2, v14, v15, vcc_lo
	v_bfe_u32 v14, v3, 16, 1
	v_add3_u32 v15, v16, v9, 0x7fff
	v_cmp_u_f32_e32 vcc_lo, v9, v9
	v_mul_f32_e32 v4, v12, v4
	v_bfe_u32 v16, v10, 16, 1
	v_add3_u32 v12, v14, v3, 0x7fff
	v_or_b32_e32 v14, 0x400000, v3
	s_wait_alu 0xfffd
	v_cndmask_b32_e32 v9, v15, v11, vcc_lo
	v_bfe_u32 v31, v4, 16, 1
	v_cmp_u_f32_e32 vcc_lo, v3, v3
	v_add3_u32 v11, v16, v10, 0x7fff
	v_or_b32_e32 v15, 0x400000, v10
	s_wait_alu 0xfffd
	v_cndmask_b32_e32 v3, v12, v14, vcc_lo
	v_add3_u32 v12, v31, v4, 0x7fff
	v_or_b32_e32 v14, 0x400000, v4
	v_cmp_u_f32_e32 vcc_lo, v4, v4
	v_and_b32_e32 v13, 0xffff0000, v13
	s_wait_alu 0xfffd
	s_delay_alu instid0(VALU_DEP_3)
	v_dual_cndmask_b32 v4, v12, v14 :: v_dual_and_b32 v3, 0xffff0000, v3
	v_cmp_u_f32_e32 vcc_lo, v10, v10
	v_and_b32_e32 v6, 0xffff0000, v6
	v_and_b32_e32 v2, 0xffff0000, v2
	v_and_b32_e32 v10, 0xffff0000, v33
	v_add_f32_e32 v5, v7, v5
	s_delay_alu instid0(VALU_DEP_3) | instskip(SKIP_3) | instid1(VALU_DEP_3)
	v_dual_add_f32 v1, v6, v1 :: v_dual_add_f32 v2, v13, v2
	s_wait_alu 0xfffd
	v_dual_cndmask_b32 v9, v11, v15 :: v_dual_and_b32 v6, 0xffff0000, v9
	v_cmp_le_i32_e32 vcc_lo, s25, v22
	v_add_f32_e32 v1, v2, v1
	s_delay_alu instid0(VALU_DEP_3) | instskip(NEXT) | instid1(VALU_DEP_4)
	v_dual_add_f32 v2, v6, v3 :: v_dual_and_b32 v3, 0xffff0000, v4
	v_and_b32_e32 v4, 0xffff0000, v9
	v_add_f32_e32 v6, v10, v8
	s_or_b32 s3, vcc_lo, s3
	s_delay_alu instid0(VALU_DEP_2) | instskip(NEXT) | instid1(VALU_DEP_2)
	v_dual_add_f32 v1, v2, v1 :: v_dual_add_f32 v2, v4, v3
	v_add_f32_e32 v3, v6, v5
	s_delay_alu instid0(VALU_DEP_2) | instskip(NEXT) | instid1(VALU_DEP_1)
	v_add_f32_e32 v1, v2, v1
	v_dual_add_f32 v25, v25, v3 :: v_dual_add_f32 v26, v26, v1
	s_wait_alu 0xfffe
	s_and_not1_b32 exec_lo, exec_lo, s3
	s_cbranch_execz .LBB162_37
.LBB162_33:                             ; =>This Inner Loop Header: Depth=1
	global_load_b32 v1, v[17:18], off
	v_add_nc_u32_e32 v36, 1, v29
	v_or_b32_e32 v35, 3, v29
	v_or_b32_e32 v37, 2, v29
	;; [unrolled: 1-line block ×6, first 2 shown]
	s_wait_loadcnt 0x0
	v_mad_co_i64_i32 v[1:2], null, v1, s2, 0
	s_delay_alu instid0(VALU_DEP_1) | instskip(NEXT) | instid1(VALU_DEP_1)
	v_lshlrev_b64_e32 v[1:2], 1, v[1:2]
	v_add_co_u32 v1, vcc_lo, v27, v1
	s_wait_alu 0xfffd
	s_delay_alu instid0(VALU_DEP_2)
	v_add_co_ci_u32_e64 v2, null, v28, v2, vcc_lo
	v_cmp_eq_u32_e32 vcc_lo, s28, v22
	global_load_b128 v[5:8], v[1:2], off
	ds_load_2addr_b64 v[13:16], v30 offset1:1
	ds_load_2addr_b64 v[9:12], v30 offset0:2 offset1:3
	s_and_saveexec_b32 s5, vcc_lo
	s_cbranch_execz .LBB162_35
; %bb.34:                               ;   in Loop: Header=BB162_33 Depth=1
	v_cmp_gt_i32_e64 s0, s24, v29
	s_wait_loadcnt 0x0
	v_lshrrev_b32_e32 v3, 16, v5
	v_lshrrev_b32_e32 v39, 16, v8
	s_wait_alu 0xf1ff
	v_cndmask_b32_e64 v4, 0, v5, s0
	s_wait_alu 0xfffe
	v_cmp_gt_i32_e64 s0, s4, v36
	v_lshrrev_b32_e32 v5, 16, v6
	s_wait_alu 0xf1ff
	s_delay_alu instid0(VALU_DEP_2) | instskip(SKIP_2) | instid1(VALU_DEP_1)
	v_cndmask_b32_e64 v3, 0, v3, s0
	v_cmp_gt_i32_e64 s0, s24, v37
	s_wait_alu 0xf1ff
	v_cndmask_b32_e64 v6, 0, v6, s0
	v_cmp_gt_i32_e64 s0, s4, v35
	s_wait_alu 0xf1ff
	s_delay_alu instid0(VALU_DEP_1) | instskip(SKIP_2) | instid1(VALU_DEP_3)
	v_cndmask_b32_e64 v38, 0, v5, s0
	v_cmp_gt_i32_e64 s0, s24, v34
	v_lshrrev_b32_e32 v5, 16, v7
	v_perm_b32 v6, v38, v6, 0x5040100
	s_wait_alu 0xf1ff
	s_delay_alu instid0(VALU_DEP_3) | instskip(SKIP_2) | instid1(VALU_DEP_1)
	v_cndmask_b32_e64 v7, 0, v7, s0
	v_cmp_gt_i32_e64 s0, s4, v32
	s_wait_alu 0xf1ff
	v_cndmask_b32_e64 v40, 0, v5, s0
	v_cmp_gt_i32_e64 s0, s24, v33
	v_perm_b32 v5, v3, v4, 0x5040100
	s_delay_alu instid0(VALU_DEP_3) | instskip(SKIP_1) | instid1(VALU_DEP_3)
	v_perm_b32 v7, v40, v7, 0x5040100
	s_wait_alu 0xf1ff
	v_cndmask_b32_e64 v8, 0, v8, s0
	v_cmp_gt_i32_e64 s0, s4, v31
	s_wait_alu 0xf1ff
	s_delay_alu instid0(VALU_DEP_1) | instskip(NEXT) | instid1(VALU_DEP_1)
	v_cndmask_b32_e64 v39, 0, v39, s0
	v_perm_b32 v8, v39, v8, 0x5040100
.LBB162_35:                             ;   in Loop: Header=BB162_33 Depth=1
	s_wait_alu 0xfffe
	s_or_b32 exec_lo, exec_lo, s5
	global_load_b128 v[1:4], v[1:2], off offset:512
	s_and_saveexec_b32 s0, vcc_lo
	s_cbranch_execz .LBB162_32
; %bb.36:                               ;   in Loop: Header=BB162_33 Depth=1
	v_cmp_gt_i32_e32 vcc_lo, s24, v29
	s_wait_loadcnt 0x0
	v_lshrrev_b32_e32 v38, 16, v1
	v_lshrrev_b32_e32 v39, 16, v2
	s_wait_alu 0xfffd
	v_cndmask_b32_e32 v1, 0, v1, vcc_lo
	v_cmp_gt_i32_e32 vcc_lo, s4, v36
	s_wait_alu 0xfffd
	v_cndmask_b32_e32 v36, 0, v38, vcc_lo
	v_cmp_gt_i32_e32 vcc_lo, s24, v37
	v_lshrrev_b32_e32 v37, 16, v3
	s_delay_alu instid0(VALU_DEP_3)
	v_perm_b32 v1, v36, v1, 0x5040100
	s_wait_alu 0xfffd
	v_cndmask_b32_e32 v2, 0, v2, vcc_lo
	v_cmp_gt_i32_e32 vcc_lo, s4, v35
	s_wait_alu 0xfffd
	v_cndmask_b32_e32 v35, 0, v39, vcc_lo
	v_cmp_gt_i32_e32 vcc_lo, s24, v34
	v_lshrrev_b32_e32 v34, 16, v4
	s_delay_alu instid0(VALU_DEP_3)
	v_perm_b32 v2, v35, v2, 0x5040100
	s_wait_alu 0xfffd
	v_cndmask_b32_e32 v3, 0, v3, vcc_lo
	v_cmp_gt_i32_e32 vcc_lo, s4, v32
	s_wait_alu 0xfffd
	v_cndmask_b32_e32 v32, 0, v37, vcc_lo
	v_cmp_gt_i32_e32 vcc_lo, s24, v33
	s_delay_alu instid0(VALU_DEP_2)
	v_perm_b32 v3, v32, v3, 0x5040100
	s_wait_alu 0xfffd
	v_cndmask_b32_e32 v4, 0, v4, vcc_lo
	v_cmp_gt_i32_e32 vcc_lo, s4, v31
	s_wait_alu 0xfffd
	v_cndmask_b32_e32 v31, 0, v34, vcc_lo
	s_delay_alu instid0(VALU_DEP_1)
	v_perm_b32 v4, v31, v4, 0x5040100
	s_branch .LBB162_32
.LBB162_37:
	s_or_b32 exec_lo, exec_lo, s3
.LBB162_38:
	s_wait_alu 0xfffe
	s_or_b32 exec_lo, exec_lo, s1
	ds_bpermute_b32 v1, v24, v25
	ds_bpermute_b32 v5, v24, v26
	v_lshrrev_b32_e32 v3, 1, v23
	v_and_b32_e32 v6, 0x3c1, v0
	s_mov_b32 s0, exec_lo
	s_wait_storecnt 0x0
	s_wait_loadcnt_dscnt 0x0
	s_barrier_signal -1
	v_lshl_add_u32 v4, v3, 2, 0x60
	s_barrier_wait -1
	global_inv scope:SCOPE_SE
	v_add_f32_e32 v2, v25, v1
	v_add_f32_e32 v1, v26, v5
	v_cmpx_eq_u32_e32 64, v6
	s_cbranch_execz .LBB162_40
; %bb.39:
	v_lshl_add_u32 v5, v21, 7, v4
	s_delay_alu instid0(VALU_DEP_1)
	v_add_nc_u32_e32 v6, 0xffffff00, v5
	v_add_nc_u32_e32 v5, 0xffffff40, v5
	ds_store_b32 v6, v2
	ds_store_b32 v5, v1
.LBB162_40:
	s_wait_alu 0xfffe
	s_or_b32 exec_lo, exec_lo, s0
	v_and_b32_e32 v5, 0x3e0, v0
	v_lshlrev_b32_e32 v3, 2, v3
	s_mov_b32 s1, exec_lo
	v_cmp_eq_u32_e32 vcc_lo, 0, v20
	s_wait_loadcnt_dscnt 0x0
	v_lshlrev_b32_e32 v5, 2, v5
	s_barrier_signal -1
	s_barrier_wait -1
	global_inv scope:SCOPE_SE
	v_add3_u32 v3, 0x60, v5, v3
	v_cmpx_gt_u32_e32 64, v0
	s_cbranch_execz .LBB162_46
; %bb.41:
	s_and_saveexec_b32 s0, vcc_lo
	s_cbranch_execz .LBB162_43
; %bb.42:
	ds_load_b32 v5, v3
	s_wait_dscnt 0x0
	v_add_f32_e32 v2, v2, v5
.LBB162_43:
	s_wait_alu 0xfffe
	s_or_b32 exec_lo, exec_lo, s0
	s_and_saveexec_b32 s0, vcc_lo
	s_cbranch_execz .LBB162_45
; %bb.44:
	ds_load_b32 v5, v3 offset:64
	s_wait_dscnt 0x0
	v_add_f32_e32 v1, v1, v5
.LBB162_45:
	s_wait_alu 0xfffe
	s_or_b32 exec_lo, exec_lo, s0
.LBB162_46:
	s_wait_alu 0xfffe
	s_or_b32 exec_lo, exec_lo, s1
	v_and_b32_e32 v5, 0x3e1, v0
	s_mov_b32 s1, exec_lo
	s_wait_loadcnt 0x0
	s_barrier_signal -1
	s_barrier_wait -1
	global_inv scope:SCOPE_SE
	v_cmpx_eq_u32_e32 32, v5
; %bb.47:
	ds_store_2addr_b32 v4, v2, v1 offset1:16
; %bb.48:
	s_wait_alu 0xfffe
	s_or_b32 exec_lo, exec_lo, s1
	s_delay_alu instid0(SALU_CYCLE_1)
	s_mov_b32 s1, exec_lo
	s_wait_loadcnt_dscnt 0x0
	s_barrier_signal -1
	s_barrier_wait -1
	global_inv scope:SCOPE_SE
	v_cmpx_gt_u32_e32 32, v0
	s_cbranch_execz .LBB162_54
; %bb.49:
	s_and_saveexec_b32 s0, vcc_lo
	s_cbranch_execz .LBB162_51
; %bb.50:
	ds_load_b32 v0, v3
	s_wait_dscnt 0x0
	v_add_f32_e32 v2, v2, v0
.LBB162_51:
	s_wait_alu 0xfffe
	s_or_b32 exec_lo, exec_lo, s0
	s_and_saveexec_b32 s0, vcc_lo
	s_cbranch_execz .LBB162_53
; %bb.52:
	ds_load_b32 v0, v3 offset:64
	s_wait_dscnt 0x0
	v_add_f32_e32 v1, v1, v0
.LBB162_53:
	s_wait_alu 0xfffe
	s_or_b32 exec_lo, exec_lo, s0
.LBB162_54:
	s_wait_alu 0xfffe
	s_or_b32 exec_lo, exec_lo, s1
	s_mov_b32 s1, 0
	s_wait_loadcnt 0x0
	s_barrier_signal -1
	s_barrier_wait -1
	global_inv scope:SCOPE_SE
	s_mov_b32 s0, exec_lo
	v_cmpx_eq_u32_e32 0, v5
	s_cbranch_execz .LBB162_56
; %bb.55:
	v_bfe_u32 v0, v2, 16, 1
	v_bfe_u32 v3, v1, 16, 1
	v_or_b32_e32 v4, 0x400000, v2
	v_cmp_u_f32_e32 vcc_lo, v2, v2
	s_lshl_b32 s2, s14, 5
	v_add3_u32 v0, v0, v2, 0x7fff
	s_mul_i32 s4, s13, s12
	s_wait_alu 0xfffe
	s_ashr_i32 s3, s2, 31
	v_add3_u32 v3, v3, v1, 0x7fff
	v_or_b32_e32 v5, 0x400000, v1
	s_wait_alu 0xfffd
	v_cndmask_b32_e32 v0, v0, v4, vcc_lo
	v_cmp_u_f32_e32 vcc_lo, v1, v1
	s_wait_alu 0xfffe
	s_lshl_b64 s[2:3], s[2:3], 1
	s_ashr_i32 s5, s4, 31
	s_wait_alu 0xfffe
	s_add_nc_u64 s[2:3], s[10:11], s[2:3]
	s_lshl_b64 s[4:5], s[4:5], 1
	v_lshlrev_b32_e32 v2, 1, v19
	s_wait_alu 0xfffe
	s_add_nc_u64 s[2:3], s[2:3], s[4:5]
	s_lshl_b32 s0, s8, 1
	s_wait_alu 0xfffd
	v_cndmask_b32_e32 v1, v3, v5, vcc_lo
	s_wait_alu 0xfffe
	s_add_nc_u64 s[0:1], s[2:3], s[0:1]
	s_clause 0x1
	global_store_d16_hi_b16 v2, v0, s[0:1]
	global_store_d16_hi_b16 v2, v1, s[0:1] offset:32
.LBB162_56:
	s_endpgm
	.section	.rodata,"a",@progbits
	.p2align	6, 0x0
	.amdhsa_kernel _ZN4vllm25paged_attention_v2_kernelI14__hip_bfloat16S1_Li32ELi16ELi128ELNS_18Fp8KVCacheDataTypeE0ELb0ELi512EEEvPfS3_PT_PKS4_PKT0_SA_ifPKiSC_iPKfiiiSE_SE_iiiii
		.amdhsa_group_segment_fixed_size 96
		.amdhsa_private_segment_fixed_size 0
		.amdhsa_kernarg_size 400
		.amdhsa_user_sgpr_count 2
		.amdhsa_user_sgpr_dispatch_ptr 0
		.amdhsa_user_sgpr_queue_ptr 0
		.amdhsa_user_sgpr_kernarg_segment_ptr 1
		.amdhsa_user_sgpr_dispatch_id 0
		.amdhsa_user_sgpr_private_segment_size 0
		.amdhsa_wavefront_size32 1
		.amdhsa_uses_dynamic_stack 0
		.amdhsa_enable_private_segment 0
		.amdhsa_system_sgpr_workgroup_id_x 1
		.amdhsa_system_sgpr_workgroup_id_y 1
		.amdhsa_system_sgpr_workgroup_id_z 1
		.amdhsa_system_sgpr_workgroup_info 0
		.amdhsa_system_vgpr_workitem_id 0
		.amdhsa_next_free_vgpr 51
		.amdhsa_next_free_sgpr 36
		.amdhsa_reserve_vcc 1
		.amdhsa_float_round_mode_32 0
		.amdhsa_float_round_mode_16_64 0
		.amdhsa_float_denorm_mode_32 3
		.amdhsa_float_denorm_mode_16_64 3
		.amdhsa_fp16_overflow 0
		.amdhsa_workgroup_processor_mode 1
		.amdhsa_memory_ordered 1
		.amdhsa_forward_progress 1
		.amdhsa_inst_pref_size 45
		.amdhsa_round_robin_scheduling 0
		.amdhsa_exception_fp_ieee_invalid_op 0
		.amdhsa_exception_fp_denorm_src 0
		.amdhsa_exception_fp_ieee_div_zero 0
		.amdhsa_exception_fp_ieee_overflow 0
		.amdhsa_exception_fp_ieee_underflow 0
		.amdhsa_exception_fp_ieee_inexact 0
		.amdhsa_exception_int_div_zero 0
	.end_amdhsa_kernel
	.section	.text._ZN4vllm25paged_attention_v2_kernelI14__hip_bfloat16S1_Li32ELi16ELi128ELNS_18Fp8KVCacheDataTypeE0ELb0ELi512EEEvPfS3_PT_PKS4_PKT0_SA_ifPKiSC_iPKfiiiSE_SE_iiiii,"axG",@progbits,_ZN4vllm25paged_attention_v2_kernelI14__hip_bfloat16S1_Li32ELi16ELi128ELNS_18Fp8KVCacheDataTypeE0ELb0ELi512EEEvPfS3_PT_PKS4_PKT0_SA_ifPKiSC_iPKfiiiSE_SE_iiiii,comdat
.Lfunc_end162:
	.size	_ZN4vllm25paged_attention_v2_kernelI14__hip_bfloat16S1_Li32ELi16ELi128ELNS_18Fp8KVCacheDataTypeE0ELb0ELi512EEEvPfS3_PT_PKS4_PKT0_SA_ifPKiSC_iPKfiiiSE_SE_iiiii, .Lfunc_end162-_ZN4vllm25paged_attention_v2_kernelI14__hip_bfloat16S1_Li32ELi16ELi128ELNS_18Fp8KVCacheDataTypeE0ELb0ELi512EEEvPfS3_PT_PKS4_PKT0_SA_ifPKiSC_iPKfiiiSE_SE_iiiii
                                        ; -- End function
	.set _ZN4vllm25paged_attention_v2_kernelI14__hip_bfloat16S1_Li32ELi16ELi128ELNS_18Fp8KVCacheDataTypeE0ELb0ELi512EEEvPfS3_PT_PKS4_PKT0_SA_ifPKiSC_iPKfiiiSE_SE_iiiii.num_vgpr, 51
	.set _ZN4vllm25paged_attention_v2_kernelI14__hip_bfloat16S1_Li32ELi16ELi128ELNS_18Fp8KVCacheDataTypeE0ELb0ELi512EEEvPfS3_PT_PKS4_PKT0_SA_ifPKiSC_iPKfiiiSE_SE_iiiii.num_agpr, 0
	.set _ZN4vllm25paged_attention_v2_kernelI14__hip_bfloat16S1_Li32ELi16ELi128ELNS_18Fp8KVCacheDataTypeE0ELb0ELi512EEEvPfS3_PT_PKS4_PKT0_SA_ifPKiSC_iPKfiiiSE_SE_iiiii.numbered_sgpr, 36
	.set _ZN4vllm25paged_attention_v2_kernelI14__hip_bfloat16S1_Li32ELi16ELi128ELNS_18Fp8KVCacheDataTypeE0ELb0ELi512EEEvPfS3_PT_PKS4_PKT0_SA_ifPKiSC_iPKfiiiSE_SE_iiiii.num_named_barrier, 0
	.set _ZN4vllm25paged_attention_v2_kernelI14__hip_bfloat16S1_Li32ELi16ELi128ELNS_18Fp8KVCacheDataTypeE0ELb0ELi512EEEvPfS3_PT_PKS4_PKT0_SA_ifPKiSC_iPKfiiiSE_SE_iiiii.private_seg_size, 0
	.set _ZN4vllm25paged_attention_v2_kernelI14__hip_bfloat16S1_Li32ELi16ELi128ELNS_18Fp8KVCacheDataTypeE0ELb0ELi512EEEvPfS3_PT_PKS4_PKT0_SA_ifPKiSC_iPKfiiiSE_SE_iiiii.uses_vcc, 1
	.set _ZN4vllm25paged_attention_v2_kernelI14__hip_bfloat16S1_Li32ELi16ELi128ELNS_18Fp8KVCacheDataTypeE0ELb0ELi512EEEvPfS3_PT_PKS4_PKT0_SA_ifPKiSC_iPKfiiiSE_SE_iiiii.uses_flat_scratch, 0
	.set _ZN4vllm25paged_attention_v2_kernelI14__hip_bfloat16S1_Li32ELi16ELi128ELNS_18Fp8KVCacheDataTypeE0ELb0ELi512EEEvPfS3_PT_PKS4_PKT0_SA_ifPKiSC_iPKfiiiSE_SE_iiiii.has_dyn_sized_stack, 0
	.set _ZN4vllm25paged_attention_v2_kernelI14__hip_bfloat16S1_Li32ELi16ELi128ELNS_18Fp8KVCacheDataTypeE0ELb0ELi512EEEvPfS3_PT_PKS4_PKT0_SA_ifPKiSC_iPKfiiiSE_SE_iiiii.has_recursion, 0
	.set _ZN4vllm25paged_attention_v2_kernelI14__hip_bfloat16S1_Li32ELi16ELi128ELNS_18Fp8KVCacheDataTypeE0ELb0ELi512EEEvPfS3_PT_PKS4_PKT0_SA_ifPKiSC_iPKfiiiSE_SE_iiiii.has_indirect_call, 0
	.section	.AMDGPU.csdata,"",@progbits
; Kernel info:
; codeLenInByte = 5696
; TotalNumSgprs: 38
; NumVgprs: 51
; ScratchSize: 0
; MemoryBound: 0
; FloatMode: 240
; IeeeMode: 1
; LDSByteSize: 96 bytes/workgroup (compile time only)
; SGPRBlocks: 0
; VGPRBlocks: 6
; NumSGPRsForWavesPerEU: 38
; NumVGPRsForWavesPerEU: 51
; Occupancy: 16
; WaveLimiterHint : 1
; COMPUTE_PGM_RSRC2:SCRATCH_EN: 0
; COMPUTE_PGM_RSRC2:USER_SGPR: 2
; COMPUTE_PGM_RSRC2:TRAP_HANDLER: 0
; COMPUTE_PGM_RSRC2:TGID_X_EN: 1
; COMPUTE_PGM_RSRC2:TGID_Y_EN: 1
; COMPUTE_PGM_RSRC2:TGID_Z_EN: 1
; COMPUTE_PGM_RSRC2:TIDIG_COMP_CNT: 0
	.section	.text._ZN4vllm25paged_attention_v2_kernelI14__hip_bfloat16S1_Li64ELi16ELi128ELNS_18Fp8KVCacheDataTypeE0ELb0ELi512EEEvPfS3_PT_PKS4_PKT0_SA_ifPKiSC_iPKfiiiSE_SE_iiiii,"axG",@progbits,_ZN4vllm25paged_attention_v2_kernelI14__hip_bfloat16S1_Li64ELi16ELi128ELNS_18Fp8KVCacheDataTypeE0ELb0ELi512EEEvPfS3_PT_PKS4_PKT0_SA_ifPKiSC_iPKfiiiSE_SE_iiiii,comdat
	.protected	_ZN4vllm25paged_attention_v2_kernelI14__hip_bfloat16S1_Li64ELi16ELi128ELNS_18Fp8KVCacheDataTypeE0ELb0ELi512EEEvPfS3_PT_PKS4_PKT0_SA_ifPKiSC_iPKfiiiSE_SE_iiiii ; -- Begin function _ZN4vllm25paged_attention_v2_kernelI14__hip_bfloat16S1_Li64ELi16ELi128ELNS_18Fp8KVCacheDataTypeE0ELb0ELi512EEEvPfS3_PT_PKS4_PKT0_SA_ifPKiSC_iPKfiiiSE_SE_iiiii
	.globl	_ZN4vllm25paged_attention_v2_kernelI14__hip_bfloat16S1_Li64ELi16ELi128ELNS_18Fp8KVCacheDataTypeE0ELb0ELi512EEEvPfS3_PT_PKS4_PKT0_SA_ifPKiSC_iPKfiiiSE_SE_iiiii
	.p2align	8
	.type	_ZN4vllm25paged_attention_v2_kernelI14__hip_bfloat16S1_Li64ELi16ELi128ELNS_18Fp8KVCacheDataTypeE0ELb0ELi512EEEvPfS3_PT_PKS4_PKT0_SA_ifPKiSC_iPKfiiiSE_SE_iiiii,@function
_ZN4vllm25paged_attention_v2_kernelI14__hip_bfloat16S1_Li64ELi16ELi128ELNS_18Fp8KVCacheDataTypeE0ELb0ELi512EEEvPfS3_PT_PKS4_PKT0_SA_ifPKiSC_iPKfiiiSE_SE_iiiii: ; @_ZN4vllm25paged_attention_v2_kernelI14__hip_bfloat16S1_Li64ELi16ELi128ELNS_18Fp8KVCacheDataTypeE0ELb0ELi512EEEvPfS3_PT_PKS4_PKT0_SA_ifPKiSC_iPKfiiiSE_SE_iiiii
; %bb.0:
	s_load_b64 s[2:3], s[0:1], 0x40
	s_and_b32 s14, ttmp7, 0xffff
	s_lshr_b32 s24, ttmp7, 16
	s_lshl_b32 s4, s14, 2
	s_lshl_b32 s26, s24, 9
	s_wait_kmcnt 0x0
	s_load_b32 s25, s[2:3], s4 offset:0x0
	s_wait_kmcnt 0x0
	s_cmp_ge_i32 s26, s25
	s_cbranch_scc1 .LBB163_62
; %bb.1:
	s_clause 0x1
	s_load_b32 s15, s[0:1], 0x90
	s_load_b64 s[6:7], s[0:1], 0x30
	s_wait_kmcnt 0x0
	s_abs_i32 s5, s15
	s_abs_i32 s2, s6
	s_delay_alu instid0(SALU_CYCLE_1) | instskip(SKIP_1) | instid1(SALU_CYCLE_2)
	s_cvt_f32_u32 s3, s2
	s_sub_co_i32 s4, 0, s2
	v_rcp_iflag_f32_e32 v1, s3
	s_delay_alu instid0(TRANS32_DEP_1) | instskip(SKIP_2) | instid1(SALU_CYCLE_2)
	v_readfirstlane_b32 s3, v1
	s_mul_f32 s3, s3, 0x4f7ffffe
	s_wait_alu 0xfffe
	s_cvt_u32_f32 s3, s3
	s_wait_alu 0xfffe
	s_delay_alu instid0(SALU_CYCLE_2) | instskip(NEXT) | instid1(SALU_CYCLE_1)
	s_mul_i32 s4, s4, s3
	s_mul_hi_u32 s4, s3, s4
	s_delay_alu instid0(SALU_CYCLE_1)
	s_add_co_i32 s3, s3, s4
	s_xor_b32 s4, s15, s6
	s_wait_alu 0xfffe
	s_mul_hi_u32 s3, s5, s3
	s_ashr_i32 s4, s4, 31
	s_wait_alu 0xfffe
	s_mul_i32 s6, s3, s2
	s_delay_alu instid0(SALU_CYCLE_1)
	s_sub_co_i32 s5, s5, s6
	s_add_co_i32 s6, s3, 1
	s_sub_co_i32 s8, s5, s2
	s_cmp_ge_u32 s5, s2
	s_cselect_b32 s3, s6, s3
	s_cselect_b32 s5, s8, s5
	s_wait_alu 0xfffe
	s_add_co_i32 s6, s3, 1
	s_cmp_ge_u32 s5, s2
	s_load_b64 s[8:9], s[0:1], 0x50
	s_cselect_b32 s2, s6, s3
	s_mov_b32 s3, 0
	s_wait_alu 0xfffe
	s_xor_b32 s2, s2, s4
	s_mov_b32 s6, s3
	s_wait_alu 0xfffe
	s_sub_co_i32 s12, s2, s4
	s_delay_alu instid0(SALU_CYCLE_1) | instskip(NEXT) | instid1(SALU_CYCLE_1)
	s_abs_i32 s11, s12
	s_cvt_f32_u32 s2, s11
	s_wait_alu 0xfffe
	s_delay_alu instid0(SALU_CYCLE_2) | instskip(NEXT) | instid1(TRANS32_DEP_1)
	v_rcp_iflag_f32_e32 v1, s2
	v_readfirstlane_b32 s2, v1
	s_mul_f32 s2, s2, 0x4f7ffffe
	s_wait_alu 0xfffe
	s_delay_alu instid0(SALU_CYCLE_2) | instskip(SKIP_2) | instid1(SALU_CYCLE_1)
	s_cvt_u32_f32 s4, s2
	s_sub_co_i32 s2, 0, s11
	s_wait_alu 0xfffe
	s_mul_i32 s2, s2, s4
	s_wait_alu 0xfffe
	s_mul_hi_u32 s5, s4, s2
	s_abs_i32 s2, ttmp9
	s_add_co_i32 s4, s4, s5
	s_mov_b32 s5, s3
	s_wait_kmcnt 0x0
	s_cmp_eq_u64 s[8:9], 0
	s_cbranch_scc1 .LBB163_3
; %bb.2:
	s_mov_b32 s16, ttmp9
	s_ashr_i32 s17, ttmp9, 31
	s_delay_alu instid0(SALU_CYCLE_1) | instskip(NEXT) | instid1(SALU_CYCLE_1)
	s_lshl_b64 s[16:17], s[16:17], 2
	s_add_nc_u64 s[8:9], s[8:9], s[16:17]
	s_load_b32 s6, s[8:9], 0x0
.LBB163_3:
	s_load_b96 s[8:10], s[0:1], 0x58
	v_lshrrev_b32_e32 v27, 1, v0
	v_and_b32_e32 v28, 1, v0
	v_lshlrev_b32_e32 v3, 3, v0
	s_mul_u64 s[4:5], s[2:3], s[4:5]
	s_ashr_i32 s3, ttmp9, 31
	s_ashr_i32 s4, s12, 31
	s_lshl_b32 s12, ttmp9, 6
	s_mov_b32 s16, exec_lo
	v_cmpx_gt_u32_e32 16, v0
	s_cbranch_execz .LBB163_5
; %bb.4:
	s_load_b64 s[18:19], s[0:1], 0x18
	s_wait_kmcnt 0x0
	s_mul_i32 s20, s8, s14
	s_ashr_i32 s13, s12, 31
	s_ashr_i32 s21, s20, 31
	v_lshlrev_b32_e32 v4, 3, v27
	s_lshl_b64 s[20:21], s[20:21], 1
	s_delay_alu instid0(VALU_DEP_1) | instskip(SKIP_2) | instid1(SALU_CYCLE_1)
	v_lshl_add_u32 v4, v28, 6, v4
	s_add_nc_u64 s[18:19], s[18:19], s[20:21]
	s_lshl_b64 s[20:21], s[12:13], 1
	s_add_nc_u64 s[18:19], s[18:19], s[20:21]
	global_load_b64 v[1:2], v3, s[18:19]
	s_wait_loadcnt 0x0
	ds_store_b64 v4, v[1:2]
.LBB163_5:
	s_or_b32 exec_lo, exec_lo, s16
	s_wait_kmcnt 0x0
	s_add_co_i32 s8, s25, 15
	s_wait_alu 0xfffe
	s_xor_b32 s3, s3, s4
	s_ashr_i32 s13, s8, 31
	s_lshl_b32 s28, s24, 5
	s_lshr_b32 s4, s13, 28
	s_mul_i32 s13, s5, s11
	s_add_co_i32 s8, s8, s4
	s_add_co_i32 s4, s28, 32
	s_ashr_i32 s27, s8, 4
	s_load_b32 s8, s[0:1], 0x48
	s_sub_co_i32 s2, s2, s13
	s_min_i32 s13, s4, s27
	s_add_co_i32 s4, s5, 1
	s_wait_alu 0xfffe
	s_sub_co_i32 s16, s2, s11
	s_cmp_ge_u32 s2, s11
	v_lshrrev_b32_e32 v29, 5, v0
	s_cselect_b32 s4, s4, s5
	s_cselect_b32 s2, s16, s2
	s_add_co_i32 s5, s4, 1
	s_wait_alu 0xfffe
	s_cmp_ge_u32 s2, s11
	v_or_b32_e32 v30, s28, v29
	s_cselect_b32 s2, s5, s4
	v_mbcnt_lo_u32_b32 v6, -1, 0
	s_wait_alu 0xfffe
	s_xor_b32 s2, s2, s3
	s_mov_b32 s4, exec_lo
	s_wait_alu 0xfffe
	s_sub_co_i32 s3, s2, s3
	v_cmp_gt_i32_e64 s2, s13, v30
	s_wait_dscnt 0x0
	s_barrier_signal -1
	s_wait_kmcnt 0x0
	s_mul_i32 s16, s8, s14
	s_barrier_wait -1
	s_ashr_i32 s17, s16, 31
	global_inv scope:SCOPE_SE
                                        ; implicit-def: $vgpr7
                                        ; implicit-def: $vgpr8
	v_cmpx_le_i32_e64 s13, v30
	s_xor_b32 s4, exec_lo, s4
; %bb.6:
	v_dual_mov_b32 v7, 0 :: v_dual_mov_b32 v8, 32
	v_mbcnt_lo_u32_b32 v6, -1, 0
; %bb.7:
	s_or_saveexec_b32 s11, s4
	s_clause 0x1
	s_load_b64 s[18:19], s[0:1], 0x38
	s_load_b32 s8, s[0:1], 0x98
	v_dual_mov_b32 v38, 0xff7fffff :: v_dual_lshlrev_b32 v5, 4, v29
	v_lshlrev_b32_e32 v4, 2, v30
	s_mul_i32 s20, s3, s10
	s_xor_b32 exec_lo, exec_lo, s11
	s_cbranch_execz .LBB163_13
; %bb.8:
	s_load_b64 s[4:5], s[0:1], 0x20
	v_lshlrev_b32_e32 v1, 6, v28
	v_bfe_u32 v2, v0, 1, 4
	s_ashr_i32 s21, s20, 31
	v_dual_mov_b32 v7, 0 :: v_dual_and_b32 v8, 8, v3
	ds_load_b128 v[15:18], v1
	v_lshlrev_b32_e32 v9, 4, v2
	s_lshl_b64 s[22:23], s[20:21], 1
	ds_load_b128 v[23:26], v1 offset:16
	ds_load_b128 v[35:38], v1 offset:32
	;; [unrolled: 1-line block ×3, first 2 shown]
	s_cmp_neq_f32 s6, 0
	v_add3_u32 v49, s26, v5, v2
	s_mov_b32 s21, s9
	s_mov_b32 s10, 0
	v_mov_b32_e32 v51, v30
	s_wait_kmcnt 0x0
	s_add_nc_u64 s[4:5], s[4:5], s[22:23]
	s_delay_alu instid0(SALU_CYCLE_1)
	v_add_co_u32 v1, s3, s4, v9
	s_wait_alu 0xf1ff
	v_add_co_ci_u32_e64 v19, null, s5, 0, s3
	s_wait_dscnt 0x3
	v_lshlrev_b32_e32 v11, 16, v16
	v_and_b32_e32 v12, 0xffff0000, v16
	v_add_co_u32 v16, vcc_lo, v1, v8
	v_xor_b32_e32 v1, 1, v6
	v_lshlrev_b32_e32 v13, 16, v17
	v_and_b32_e32 v14, 0xffff0000, v17
	v_add_co_ci_u32_e64 v17, null, 0, v19, vcc_lo
	s_delay_alu instid0(VALU_DEP_4)
	v_cmp_gt_i32_e32 vcc_lo, 32, v1
	v_and_b32_e32 v10, 0xffff0000, v15
	s_wait_dscnt 0x1
	v_lshlrev_b32_e32 v31, 16, v35
	v_and_b32_e32 v32, 0xffff0000, v35
	v_lshlrev_b32_e32 v33, 16, v36
	v_and_b32_e32 v34, 0xffff0000, v36
	;; [unrolled: 2-line block ×4, first 2 shown]
	s_wait_alu 0xfffd
	v_dual_cndmask_b32 v1, v6, v1 :: v_dual_lshlrev_b32 v38, 2, v2
	s_cselect_b32 s3, -1, 0
	s_lshl_b64 s[4:5], s[16:17], 2
	v_lshlrev_b32_e32 v9, 16, v15
	s_delay_alu instid0(VALU_DEP_2)
	v_lshlrev_b32_e32 v48, 2, v1
	v_lshl_or_b32 v1, v29, 6, v38
	s_wait_alu 0xfffe
	s_add_nc_u64 s[4:5], s[18:19], s[4:5]
	v_lshlrev_b32_e32 v15, 16, v18
	v_and_b32_e32 v18, 0xffff0000, v18
	v_lshlrev_b32_e32 v19, 16, v23
	v_add_nc_u32_e32 v50, 0xa0, v1
	s_wait_alu 0xfffe
	v_add_co_u32 v1, s4, s4, v4
	v_and_b32_e32 v20, 0xffff0000, v23
	v_lshlrev_b32_e32 v21, 16, v24
	v_and_b32_e32 v22, 0xffff0000, v24
	v_lshlrev_b32_e32 v23, 16, v25
	;; [unrolled: 2-line block ×3, first 2 shown]
	v_and_b32_e32 v26, 0xffff0000, v26
	s_wait_dscnt 0x0
	v_lshlrev_b32_e32 v40, 16, v44
	v_and_b32_e32 v41, 0xffff0000, v44
	v_lshlrev_b32_e32 v42, 16, v45
	v_and_b32_e32 v43, 0xffff0000, v45
	;; [unrolled: 2-line block ×3, first 2 shown]
	v_lshlrev_b32_e32 v46, 16, v47
	v_dual_mov_b32 v8, 32 :: v_dual_and_b32 v47, 0xffff0000, v47
	s_wait_alu 0xf1ff
	v_add_co_ci_u32_e64 v2, null, s5, 0, s4
	v_mov_b32_e32 v38, 0xff7fffff
	s_sub_co_i32 s22, 1, s25
	v_cmp_eq_u32_e32 vcc_lo, 0, v28
	s_branch .LBB163_10
.LBB163_9:                              ;   in Loop: Header=BB163_10 Depth=1
	s_wait_alu 0xfffe
	s_or_b32 exec_lo, exec_lo, s5
	v_add_nc_u32_e32 v51, 4, v51
	v_add_co_u32 v1, s5, v1, 16
	v_add_nc_u32_e32 v49, 64, v49
	v_add_nc_u32_e32 v50, 0x100, v50
	s_delay_alu instid0(VALU_DEP_4) | instskip(SKIP_3) | instid1(SALU_CYCLE_1)
	v_cmp_le_i32_e64 s4, s13, v51
	s_wait_alu 0xf1ff
	v_add_co_ci_u32_e64 v2, null, 0, v2, s5
	s_or_b32 s10, s4, s10
	s_and_not1_b32 exec_lo, exec_lo, s10
	s_cbranch_execz .LBB163_12
.LBB163_10:                             ; =>This Inner Loop Header: Depth=1
	global_load_b32 v52, v[1:2], off
	s_wait_loadcnt_dscnt 0x0
	v_mad_co_i64_i32 v[52:53], null, v52, s21, 0
	s_delay_alu instid0(VALU_DEP_1) | instskip(NEXT) | instid1(VALU_DEP_1)
	v_lshlrev_b64_e32 v[52:53], 1, v[52:53]
	v_add_co_u32 v52, s4, v16, v52
	s_wait_alu 0xf1ff
	s_delay_alu instid0(VALU_DEP_2)
	v_add_co_ci_u32_e64 v53, null, v17, v53, s4
	s_clause 0x7
	global_load_b64 v[54:55], v[52:53], off
	global_load_b64 v[56:57], v[52:53], off offset:256
	global_load_b64 v[58:59], v[52:53], off offset:512
	;; [unrolled: 1-line block ×7, first 2 shown]
	s_wait_loadcnt 0x6
	v_lshlrev_b32_e32 v71, 16, v57
	v_and_b32_e32 v57, 0xffff0000, v57
	v_lshlrev_b32_e32 v68, 16, v54
	s_delay_alu instid0(VALU_DEP_3) | instskip(NEXT) | instid1(VALU_DEP_3)
	v_dual_mul_f32 v71, v15, v71 :: v_dual_and_b32 v54, 0xffff0000, v54
	v_dual_mul_f32 v57, v18, v57 :: v_dual_lshlrev_b32 v70, 16, v56
	v_and_b32_e32 v56, 0xffff0000, v56
	v_lshlrev_b32_e32 v69, 16, v55
	s_delay_alu instid0(VALU_DEP_3) | instskip(NEXT) | instid1(VALU_DEP_2)
	v_dual_mul_f32 v70, v13, v70 :: v_dual_and_b32 v55, 0xffff0000, v55
	v_dual_mul_f32 v56, v14, v56 :: v_dual_fmac_f32 v71, v11, v69
	s_delay_alu instid0(VALU_DEP_2) | instskip(SKIP_4) | instid1(VALU_DEP_3)
	v_dual_fmac_f32 v57, v12, v55 :: v_dual_fmac_f32 v70, v9, v68
	s_wait_loadcnt 0x5
	v_lshlrev_b32_e32 v73, 16, v59
	v_lshlrev_b32_e32 v72, 16, v58
	v_dual_fmac_f32 v56, v10, v54 :: v_dual_and_b32 v59, 0xffff0000, v59
	v_dual_fmac_f32 v71, v21, v73 :: v_dual_and_b32 v58, 0xffff0000, v58
	s_wait_loadcnt 0x4
	s_delay_alu instid0(VALU_DEP_3) | instskip(NEXT) | instid1(VALU_DEP_3)
	v_dual_fmac_f32 v70, v19, v72 :: v_dual_lshlrev_b32 v75, 16, v61
	v_dual_fmac_f32 v57, v22, v59 :: v_dual_lshlrev_b32 v74, 16, v60
	s_delay_alu instid0(VALU_DEP_3) | instskip(NEXT) | instid1(VALU_DEP_3)
	v_dual_fmac_f32 v56, v20, v58 :: v_dual_and_b32 v61, 0xffff0000, v61
	v_dual_fmac_f32 v71, v25, v75 :: v_dual_and_b32 v60, 0xffff0000, v60
	s_wait_loadcnt 0x3
	s_delay_alu instid0(VALU_DEP_3) | instskip(NEXT) | instid1(VALU_DEP_3)
	v_dual_fmac_f32 v70, v23, v74 :: v_dual_lshlrev_b32 v77, 16, v63
	v_dual_fmac_f32 v57, v26, v61 :: v_dual_lshlrev_b32 v76, 16, v62
	s_delay_alu instid0(VALU_DEP_3) | instskip(NEXT) | instid1(VALU_DEP_3)
	;; [unrolled: 7-line block ×3, first 2 shown]
	v_dual_fmac_f32 v56, v32, v62 :: v_dual_and_b32 v65, 0xffff0000, v65
	v_dual_fmac_f32 v71, v37, v79 :: v_dual_and_b32 v64, 0xffff0000, v64
	s_wait_loadcnt 0x1
	s_delay_alu instid0(VALU_DEP_3) | instskip(NEXT) | instid1(VALU_DEP_3)
	v_dual_fmac_f32 v70, v35, v78 :: v_dual_and_b32 v55, 0xffff0000, v67
	v_dual_fmac_f32 v57, v39, v65 :: v_dual_lshlrev_b32 v80, 16, v66
	s_delay_alu instid0(VALU_DEP_3) | instskip(SKIP_2) | instid1(VALU_DEP_3)
	v_fmac_f32_e32 v56, v36, v64
	s_wait_loadcnt 0x0
	v_lshlrev_b32_e32 v59, 16, v52
	v_dual_fmac_f32 v57, v43, v55 :: v_dual_fmac_f32 v70, v40, v80
	s_delay_alu instid0(VALU_DEP_1) | instskip(SKIP_1) | instid1(VALU_DEP_1)
	v_fmac_f32_e32 v70, v44, v59
	v_and_b32_e32 v54, 0xffff0000, v66
	v_fmac_f32_e32 v56, v41, v54
	v_lshlrev_b32_e32 v54, 16, v53
	v_lshlrev_b32_e32 v58, 16, v67
	s_delay_alu instid0(VALU_DEP_1) | instskip(NEXT) | instid1(VALU_DEP_1)
	v_dual_fmac_f32 v71, v42, v58 :: v_dual_and_b32 v52, 0xffff0000, v52
	v_fmac_f32_e32 v56, v45, v52
	s_delay_alu instid0(VALU_DEP_1) | instskip(NEXT) | instid1(VALU_DEP_1)
	v_dual_add_f32 v53, v70, v56 :: v_dual_and_b32 v52, 0xffff0000, v53
	v_fmac_f32_e32 v57, v47, v52
	s_delay_alu instid0(VALU_DEP_4) | instskip(NEXT) | instid1(VALU_DEP_1)
	v_fmac_f32_e32 v71, v46, v54
	v_add_f32_e32 v52, v53, v71
	s_delay_alu instid0(VALU_DEP_1)
	v_add_f32_e32 v52, v57, v52
	ds_bpermute_b32 v53, v48, v52
	s_and_saveexec_b32 s5, vcc_lo
	s_cbranch_execz .LBB163_9
; %bb.11:                               ;   in Loop: Header=BB163_10 Depth=1
	s_wait_dscnt 0x0
	v_add_f32_e32 v52, v52, v53
	v_add_nc_u32_e32 v54, s22, v49
	v_cmp_gt_i32_e64 s4, s25, v49
	s_delay_alu instid0(VALU_DEP_2) | instskip(NEXT) | instid1(VALU_DEP_1)
	v_cvt_f32_i32_e32 v54, v54
	v_mul_f32_e32 v54, s6, v54
	s_delay_alu instid0(VALU_DEP_1) | instskip(NEXT) | instid1(VALU_DEP_1)
	v_cndmask_b32_e64 v53, 0, v54, s3
	v_dual_max_num_f32 v54, v38, v38 :: v_dual_fmac_f32 v53, s7, v52
	s_delay_alu instid0(VALU_DEP_1) | instskip(SKIP_2) | instid1(VALU_DEP_2)
	v_max_num_f32_e32 v52, v54, v53
	s_wait_alu 0xf1ff
	v_cndmask_b32_e64 v53, 0, v53, s4
	v_cndmask_b32_e64 v38, v38, v52, s4
	ds_store_b32 v50, v53
	s_branch .LBB163_9
.LBB163_12:
	s_or_b32 exec_lo, exec_lo, s10
.LBB163_13:
	s_delay_alu instid0(SALU_CYCLE_1)
	s_or_b32 exec_lo, exec_lo, s11
	v_xor_b32_e32 v1, 16, v6
	v_xor_b32_e32 v2, 8, v6
	v_max_num_f32_e32 v11, v38, v38
	v_xor_b32_e32 v12, 2, v6
	s_clause 0x2
	s_load_b128 s[4:7], s[0:1], 0x0
	s_load_b64 s[10:11], s[0:1], 0x10
	s_load_b64 s[22:23], s[0:1], 0x28
	v_cmp_lt_i32_e32 vcc_lo, v1, v8
	v_and_b32_e32 v31, 31, v0
	s_wait_alu 0xfffd
	v_cndmask_b32_e32 v1, v6, v1, vcc_lo
	v_cmp_lt_i32_e32 vcc_lo, v2, v8
	s_wait_alu 0xfffd
	v_cndmask_b32_e32 v2, v6, v2, vcc_lo
	s_delay_alu instid0(VALU_DEP_1) | instskip(SKIP_4) | instid1(VALU_DEP_1)
	v_lshlrev_b32_e32 v10, 2, v2
	v_lshlrev_b32_e32 v9, 2, v1
	ds_bpermute_b32 v1, v9, v38
	s_wait_dscnt 0x0
	v_max_num_f32_e32 v1, v1, v1
	v_max_num_f32_e32 v1, v11, v1
	v_xor_b32_e32 v11, 4, v6
	ds_bpermute_b32 v2, v10, v1
	v_cmp_lt_i32_e32 vcc_lo, v11, v8
	s_wait_alu 0xfffd
	v_cndmask_b32_e32 v11, v6, v11, vcc_lo
	v_cmp_lt_i32_e32 vcc_lo, v12, v8
	s_wait_alu 0xfffd
	s_delay_alu instid0(VALU_DEP_2) | instskip(SKIP_3) | instid1(VALU_DEP_1)
	v_dual_cndmask_b32 v12, v6, v12 :: v_dual_lshlrev_b32 v11, 2, v11
	v_cmp_eq_u32_e32 vcc_lo, 0, v31
	s_wait_dscnt 0x0
	v_max_num_f32_e32 v2, v2, v2
	v_max_num_f32_e32 v1, v1, v2
	ds_bpermute_b32 v2, v11, v1
	s_wait_dscnt 0x0
	v_max_num_f32_e32 v2, v2, v2
	s_delay_alu instid0(VALU_DEP_1)
	v_dual_max_num_f32 v1, v1, v2 :: v_dual_lshlrev_b32 v2, 2, v12
	v_lshlrev_b32_e32 v12, 2, v29
	ds_bpermute_b32 v13, v2, v1
	s_and_saveexec_b32 s0, vcc_lo
	s_cbranch_execz .LBB163_15
; %bb.14:
	s_wait_dscnt 0x0
	v_max_num_f32_e32 v13, v13, v13
	v_max_num_f32_e32 v1, v1, v1
	s_delay_alu instid0(VALU_DEP_1)
	v_max_num_f32_e32 v1, v1, v13
	ds_store_b32 v12, v1 offset:128
.LBB163_15:
	s_or_b32 exec_lo, exec_lo, s0
	v_cmp_gt_u32_e64 s0, 4, v31
	v_mov_b32_e32 v1, 0xff7fffff
	s_wait_dscnt 0x0
	v_lshlrev_b32_e32 v13, 2, v31
	s_wait_loadcnt 0x0
	s_barrier_signal -1
	s_barrier_wait -1
	global_inv scope:SCOPE_SE
	s_and_saveexec_b32 s1, s0
; %bb.16:
	ds_load_b32 v1, v13 offset:128
; %bb.17:
	s_or_b32 exec_lo, exec_lo, s1
	s_wait_dscnt 0x0
	ds_bpermute_b32 v14, v2, v1
	v_xor_b32_e32 v15, 1, v6
	v_max_num_f32_e32 v1, v1, v1
	v_lshlrev_b32_e32 v7, 2, v7
	s_delay_alu instid0(VALU_DEP_3) | instskip(NEXT) | instid1(VALU_DEP_1)
	v_cmp_lt_i32_e64 s1, v15, v8
	v_cndmask_b32_e64 v8, v6, v15, s1
	s_sub_co_i32 s1, s13, s28
	s_wait_alu 0xfffe
	s_lshl_b32 s1, s1, 4
	s_wait_alu 0xfffe
	s_add_co_i32 s1, s1, s26
	s_wait_alu 0xfffe
	s_min_i32 s1, s1, s25
	s_wait_dscnt 0x0
	v_max_num_f32_e32 v14, v14, v14
	v_lshlrev_b32_e32 v32, 2, v8
	s_wait_alu 0xfffe
	s_sub_co_i32 s21, s1, s26
	s_wait_alu 0xfffe
	v_cmp_gt_i32_e64 s1, s21, v0
	v_max_num_f32_e32 v1, v1, v14
	ds_bpermute_b32 v8, v32, v1
	s_wait_dscnt 0x0
	v_max_num_f32_e32 v8, v8, v8
	s_delay_alu instid0(VALU_DEP_1)
	v_dual_max_num_f32 v1, v1, v8 :: v_dual_mov_b32 v8, 0
	ds_bpermute_b32 v1, v7, v1
	v_lshl_add_u32 v7, v0, 2, 0xa0
	s_and_saveexec_b32 s28, s1
	s_cbranch_execz .LBB163_21
; %bb.18:
	v_lshl_add_u32 v14, v0, 2, 0xa0
	v_dual_mov_b32 v8, 0 :: v_dual_mov_b32 v15, v0
	s_mov_b32 s29, 0
.LBB163_19:                             ; =>This Inner Loop Header: Depth=1
	ds_load_b32 v16, v14
	v_add_nc_u32_e32 v15, 0x80, v15
	s_delay_alu instid0(VALU_DEP_1) | instskip(SKIP_4) | instid1(VALU_DEP_1)
	v_cmp_le_i32_e64 s3, s21, v15
	s_wait_alu 0xfffe
	s_or_b32 s29, s3, s29
	s_wait_dscnt 0x0
	v_sub_f32_e32 v16, v16, v1
	v_mul_f32_e32 v16, 0x3fb8aa3b, v16
	s_delay_alu instid0(VALU_DEP_1)
	v_exp_f32_e32 v16, v16
	ds_store_b32 v14, v16
	v_add_f32_e32 v8, v8, v16
	v_add_nc_u32_e32 v14, 0x200, v14
	s_wait_alu 0xfffe
	s_and_not1_b32 exec_lo, exec_lo, s29
	s_cbranch_execnz .LBB163_19
; %bb.20:
	s_or_b32 exec_lo, exec_lo, s29
.LBB163_21:
	s_wait_alu 0xfffe
	s_or_b32 exec_lo, exec_lo, s28
	ds_bpermute_b32 v9, v9, v8
	s_wait_dscnt 0x0
	v_add_f32_e32 v8, v8, v9
	ds_bpermute_b32 v9, v10, v8
	s_wait_dscnt 0x0
	v_add_f32_e32 v8, v8, v9
	;; [unrolled: 3-line block ×5, first 2 shown]
	s_and_saveexec_b32 s3, vcc_lo
; %bb.22:
	ds_store_b32 v12, v8 offset:144
; %bb.23:
	s_wait_alu 0xfffe
	s_or_b32 exec_lo, exec_lo, s3
	s_wait_loadcnt_dscnt 0x0
	s_barrier_signal -1
	s_barrier_wait -1
	global_inv scope:SCOPE_SE
	s_and_saveexec_b32 s3, s0
; %bb.24:
	ds_load_b32 v8, v13 offset:144
; %bb.25:
	s_wait_alu 0xfffe
	s_or_b32 exec_lo, exec_lo, s3
	s_wait_dscnt 0x0
	ds_bpermute_b32 v2, v2, v8
	v_lshlrev_b32_e32 v6, 2, v6
	s_delay_alu instid0(VALU_DEP_1)
	v_and_b32_e32 v6, 0xffffff80, v6
	s_wait_dscnt 0x0
	v_add_f32_e32 v2, v8, v2
	ds_bpermute_b32 v8, v32, v2
	s_wait_dscnt 0x0
	v_add_f32_e32 v2, v2, v8
	ds_bpermute_b32 v2, v6, v2
	s_and_saveexec_b32 s0, s1
	s_cbranch_execz .LBB163_28
; %bb.26:
	s_wait_dscnt 0x0
	v_add_f32_e32 v6, 0x358637bd, v2
	s_mov_b32 s1, 0
	s_delay_alu instid0(VALU_DEP_1) | instskip(NEXT) | instid1(VALU_DEP_1)
	v_div_scale_f32 v8, null, v6, v6, 1.0
	v_rcp_f32_e32 v9, v8
	s_delay_alu instid0(TRANS32_DEP_1) | instskip(NEXT) | instid1(VALU_DEP_1)
	v_fma_f32 v10, -v8, v9, 1.0
	v_fmac_f32_e32 v9, v10, v9
	v_div_scale_f32 v11, vcc_lo, 1.0, v6, 1.0
	s_delay_alu instid0(VALU_DEP_1) | instskip(NEXT) | instid1(VALU_DEP_1)
	v_mul_f32_e32 v10, v11, v9
	v_fma_f32 v12, -v8, v10, v11
	s_delay_alu instid0(VALU_DEP_1) | instskip(NEXT) | instid1(VALU_DEP_1)
	v_fmac_f32_e32 v10, v12, v9
	v_fma_f32 v8, -v8, v10, v11
	s_wait_alu 0xfffd
	s_delay_alu instid0(VALU_DEP_1) | instskip(NEXT) | instid1(VALU_DEP_1)
	v_div_fmas_f32 v8, v8, v9, v10
	v_div_fixup_f32 v6, v8, v6, 1.0
	v_mov_b32_e32 v8, v0
.LBB163_27:                             ; =>This Inner Loop Header: Depth=1
	ds_load_b32 v9, v7
	s_wait_dscnt 0x0
	v_dual_mul_f32 v9, v6, v9 :: v_dual_add_nc_u32 v8, 0x80, v8
	s_delay_alu instid0(VALU_DEP_1)
	v_cmp_le_i32_e32 vcc_lo, s21, v8
	ds_store_b32 v7, v9
	v_add_nc_u32_e32 v7, 0x200, v7
	s_wait_alu 0xfffe
	s_or_b32 s1, vcc_lo, s1
	s_wait_alu 0xfffe
	s_and_not1_b32 exec_lo, exec_lo, s1
	s_cbranch_execnz .LBB163_27
.LBB163_28:
	s_wait_alu 0xfffe
	s_or_b32 exec_lo, exec_lo, s0
	s_wait_kmcnt 0x0
	s_mul_i32 s0, s8, s14
	s_wait_loadcnt_dscnt 0x0
	s_wait_alu 0xfffe
	s_mul_i32 s14, s0, s15
	s_mov_b32 s0, exec_lo
	s_barrier_signal -1
	s_barrier_wait -1
	global_inv scope:SCOPE_SE
	v_cmpx_eq_u32_e32 0, v0
	s_cbranch_execz .LBB163_30
; %bb.29:
	s_ashr_i32 s15, s14, 31
	s_wait_alu 0xfffe
	s_mul_i32 s28, s8, ttmp9
	s_lshl_b32 s1, s24, 2
	s_lshl_b64 s[30:31], s[14:15], 2
	s_wait_alu 0xfffe
	s_ashr_i32 s29, s28, 31
	v_mov_b32_e32 v6, s1
	s_add_nc_u64 s[6:7], s[6:7], s[30:31]
	s_wait_alu 0xfffe
	s_lshl_b64 s[28:29], s[28:29], 2
	s_add_nc_u64 s[4:5], s[4:5], s[30:31]
	s_wait_alu 0xfffe
	s_add_nc_u64 s[6:7], s[6:7], s[28:29]
	s_add_nc_u64 s[4:5], s[4:5], s[28:29]
	s_clause 0x1
	global_store_b32 v6, v1, s[6:7]
	global_store_b32 v6, v2, s[4:5]
.LBB163_30:
	s_wait_alu 0xfffe
	s_or_b32 exec_lo, exec_lo, s0
	v_dual_mov_b32 v35, 0 :: v_dual_mov_b32 v36, 0
	v_dual_mov_b32 v34, 0 :: v_dual_mov_b32 v33, 0
	s_and_saveexec_b32 s1, s2
	s_cbranch_execz .LBB163_42
; %bb.31:
	v_dual_mov_b32 v33, 0 :: v_dual_lshlrev_b32 v2, 4, v0
	s_ashr_i32 s21, s20, 31
	v_dual_mov_b32 v34, 0 :: v_dual_and_b32 v1, 8, v3
	s_delay_alu instid0(VALU_DEP_2)
	v_dual_mov_b32 v35, 0 :: v_dual_and_b32 v2, 0x1f0, v2
	s_wait_alu 0xfffe
	s_lshl_b64 s[4:5], s[20:21], 1
	v_dual_mov_b32 v36, 0 :: v_dual_lshlrev_b32 v3, 5, v28
	s_wait_alu 0xfffe
	s_add_nc_u64 s[4:5], s[22:23], s[4:5]
	v_add3_u32 v39, s26, v5, v1
	s_wait_alu 0xfffe
	v_add_co_u32 v37, s0, s4, v2
	s_wait_alu 0xf1ff
	v_add_co_ci_u32_e64 v38, null, s5, 0, s0
	s_lshl_b64 s[4:5], s[16:17], 2
	v_lshl_or_b32 v3, v29, 6, v3
	s_wait_alu 0xfffe
	s_add_nc_u64 s[4:5], s[18:19], s[4:5]
	s_mov_b32 s2, s9
	s_wait_alu 0xfffe
	v_add_co_u32 v25, s0, s4, v4
	v_add_nc_u32_e32 v40, 0xa0, v3
	s_wait_alu 0xf1ff
	v_add_co_ci_u32_e64 v26, null, s5, 0, s0
	s_add_co_i32 s3, s27, -1
	s_mov_b32 s5, s25
	s_mov_b32 s4, 0
	s_branch .LBB163_33
.LBB163_32:                             ;   in Loop: Header=BB163_33 Depth=1
	s_wait_alu 0xfffe
	s_or_b32 exec_lo, exec_lo, s0
	s_wait_dscnt 0x1
	v_bfe_u32 v41, v17, 16, 1
	v_bfe_u32 v42, v18, 16, 1
	v_or_b32_e32 v43, 0x400000, v17
	v_cmp_u_f32_e32 vcc_lo, v17, v17
	v_or_b32_e32 v44, 0x400000, v18
	v_add3_u32 v41, v41, v17, 0x7fff
	v_bfe_u32 v45, v19, 16, 1
	v_add3_u32 v42, v42, v18, 0x7fff
	v_bfe_u32 v46, v20, 16, 1
	s_wait_loadcnt 0x1
	s_wait_alu 0xfffd
	v_dual_cndmask_b32 v17, v41, v43 :: v_dual_and_b32 v48, 0xffff0000, v24
	v_cmp_u_f32_e32 vcc_lo, v18, v18
	v_add3_u32 v41, v45, v19, 0x7fff
	v_add3_u32 v43, v46, v20, 0x7fff
	s_wait_dscnt 0x0
	v_bfe_u32 v45, v13, 16, 1
	v_add_co_u32 v25, s0, v25, 16
	s_wait_alu 0xfffd
	v_cndmask_b32_e32 v18, v42, v44, vcc_lo
	v_or_b32_e32 v42, 0x400000, v19
	v_cmp_u_f32_e32 vcc_lo, v19, v19
	v_or_b32_e32 v44, 0x400000, v20
	v_add_nc_u32_e32 v39, 64, v39
	s_wait_alu 0xf1ff
	v_add_co_ci_u32_e64 v26, null, 0, v26, s0
	s_wait_alu 0xfffd
	v_cndmask_b32_e32 v19, v41, v42, vcc_lo
	v_cmp_u_f32_e32 vcc_lo, v20, v20
	v_bfe_u32 v41, v14, 16, 1
	v_add3_u32 v42, v45, v13, 0x7fff
	v_bfe_u32 v45, v15, 16, 1
	v_add_nc_u32_e32 v30, 4, v30
	s_wait_alu 0xfffd
	v_cndmask_b32_e32 v20, v43, v44, vcc_lo
	v_or_b32_e32 v43, 0x400000, v13
	v_cmp_u_f32_e32 vcc_lo, v13, v13
	v_add3_u32 v41, v41, v14, 0x7fff
	v_or_b32_e32 v44, 0x400000, v14
	v_and_b32_e32 v19, 0xffff0000, v19
	s_wait_alu 0xfffd
	v_dual_cndmask_b32 v13, v42, v43 :: v_dual_and_b32 v20, 0xffff0000, v20
	v_cmp_u_f32_e32 vcc_lo, v14, v14
	v_bfe_u32 v42, v16, 16, 1
	v_add_nc_u32_e32 v40, 0x100, v40
	s_wait_alu 0xfffd
	v_cndmask_b32_e32 v14, v41, v44, vcc_lo
	v_add3_u32 v41, v45, v15, 0x7fff
	v_or_b32_e32 v44, 0x400000, v15
	v_cmp_u_f32_e32 vcc_lo, v15, v15
	v_add3_u32 v42, v42, v16, 0x7fff
	v_or_b32_e32 v45, 0x400000, v16
	v_and_b32_e32 v13, 0xffff0000, v13
	s_wait_alu 0xfffd
	v_dual_cndmask_b32 v15, v41, v44 :: v_dual_and_b32 v14, 0xffff0000, v14
	v_cmp_u_f32_e32 vcc_lo, v16, v16
	v_and_b32_e32 v44, 0xffff0000, v22
	v_lshlrev_b32_e32 v22, 16, v22
	v_and_b32_e32 v43, 0xffff0000, v21
	v_and_b32_e32 v17, 0xffff0000, v17
	s_wait_alu 0xfffd
	v_cndmask_b32_e32 v16, v42, v45, vcc_lo
	v_mul_f32_e32 v44, v20, v44
	v_dual_mul_f32 v22, v19, v22 :: v_dual_and_b32 v15, 0xffff0000, v15
	s_delay_alu instid0(VALU_DEP_3) | instskip(SKIP_1) | instid1(VALU_DEP_1)
	v_and_b32_e32 v16, 0xffff0000, v16
	v_lshlrev_b32_e32 v21, 16, v21
	v_dual_mul_f32 v21, v17, v21 :: v_dual_and_b32 v18, 0xffff0000, v18
	s_delay_alu instid0(VALU_DEP_1) | instskip(NEXT) | instid1(VALU_DEP_2)
	v_mul_f32_e32 v43, v18, v43
	v_bfe_u32 v42, v21, 16, 1
	s_delay_alu instid0(VALU_DEP_2)
	v_bfe_u32 v41, v43, 16, 1
	v_or_b32_e32 v45, 0x400000, v43
	v_cmp_u_f32_e32 vcc_lo, v43, v43
	v_or_b32_e32 v46, 0x400000, v21
	v_add3_u32 v42, v42, v21, 0x7fff
	v_add3_u32 v41, v41, v43, 0x7fff
	s_wait_alu 0xfffd
	s_delay_alu instid0(VALU_DEP_1) | instskip(SKIP_2) | instid1(VALU_DEP_3)
	v_cndmask_b32_e32 v41, v41, v45, vcc_lo
	v_cmp_u_f32_e32 vcc_lo, v21, v21
	v_or_b32_e32 v45, 0x400000, v44
	v_and_b32_e32 v41, 0xffff0000, v41
	s_wait_alu 0xfffd
	v_cndmask_b32_e32 v21, v42, v46, vcc_lo
	v_bfe_u32 v42, v44, 16, 1
	v_bfe_u32 v46, v22, 16, 1
	v_cmp_u_f32_e32 vcc_lo, v44, v44
	s_delay_alu instid0(VALU_DEP_3) | instskip(NEXT) | instid1(VALU_DEP_3)
	v_add3_u32 v42, v42, v44, 0x7fff
	v_add3_u32 v44, v46, v22, 0x7fff
	s_wait_alu 0xfffd
	s_delay_alu instid0(VALU_DEP_2) | instskip(SKIP_2) | instid1(VALU_DEP_3)
	v_cndmask_b32_e32 v42, v42, v45, vcc_lo
	v_or_b32_e32 v45, 0x400000, v22
	v_cmp_u_f32_e32 vcc_lo, v22, v22
	v_and_b32_e32 v42, 0xffff0000, v42
	s_wait_alu 0xfffd
	s_delay_alu instid0(VALU_DEP_3) | instskip(SKIP_1) | instid1(VALU_DEP_1)
	v_cndmask_b32_e32 v22, v44, v45, vcc_lo
	v_and_b32_e32 v21, 0xffff0000, v21
	v_dual_add_f32 v21, v21, v41 :: v_dual_and_b32 v22, 0xffff0000, v22
	s_delay_alu instid0(VALU_DEP_1) | instskip(SKIP_3) | instid1(VALU_DEP_4)
	v_add_f32_e32 v22, v22, v42
	v_lshlrev_b32_e32 v24, 16, v24
	v_and_b32_e32 v42, 0xffff0000, v9
	v_lshlrev_b32_e32 v9, 16, v9
	v_add_f32_e32 v21, v22, v21
	s_delay_alu instid0(VALU_DEP_4) | instskip(NEXT) | instid1(VALU_DEP_3)
	v_dual_mul_f32 v24, v15, v24 :: v_dual_and_b32 v43, 0xffff0000, v23
	v_mul_f32_e32 v9, v17, v9
	s_delay_alu instid0(VALU_DEP_2) | instskip(NEXT) | instid1(VALU_DEP_1)
	v_mul_f32_e32 v43, v14, v43
	v_bfe_u32 v46, v43, 16, 1
	v_or_b32_e32 v45, 0x400000, v43
	v_cmp_u_f32_e32 vcc_lo, v43, v43
	s_delay_alu instid0(VALU_DEP_3) | instskip(SKIP_1) | instid1(VALU_DEP_1)
	v_add3_u32 v44, v46, v43, 0x7fff
	s_wait_alu 0xfffd
	v_cndmask_b32_e32 v43, v44, v45, vcc_lo
	s_delay_alu instid0(VALU_DEP_1) | instskip(NEXT) | instid1(VALU_DEP_1)
	v_dual_mul_f32 v46, v16, v48 :: v_dual_and_b32 v41, 0xffff0000, v43
	v_bfe_u32 v49, v46, 16, 1
	v_or_b32_e32 v45, 0x400000, v46
	s_delay_alu instid0(VALU_DEP_2) | instskip(SKIP_1) | instid1(VALU_DEP_1)
	v_add3_u32 v44, v49, v46, 0x7fff
	v_lshlrev_b32_e32 v23, 16, v23
	v_mul_f32_e32 v23, v13, v23
	s_delay_alu instid0(VALU_DEP_1) | instskip(SKIP_2) | instid1(VALU_DEP_3)
	v_bfe_u32 v47, v23, 16, 1
	v_or_b32_e32 v48, 0x400000, v23
	v_cmp_u_f32_e32 vcc_lo, v23, v23
	v_add3_u32 v47, v47, v23, 0x7fff
	s_wait_alu 0xfffd
	s_delay_alu instid0(VALU_DEP_1)
	v_cndmask_b32_e32 v23, v47, v48, vcc_lo
	v_bfe_u32 v47, v24, 16, 1
	v_cmp_u_f32_e32 vcc_lo, v46, v46
	v_or_b32_e32 v46, 0x400000, v24
	s_wait_alu 0xfffd
	v_cndmask_b32_e32 v44, v44, v45, vcc_lo
	v_add3_u32 v45, v47, v24, 0x7fff
	v_cmp_u_f32_e32 vcc_lo, v24, v24
	s_wait_alu 0xfffd
	s_delay_alu instid0(VALU_DEP_2) | instskip(NEXT) | instid1(VALU_DEP_1)
	v_cndmask_b32_e32 v24, v45, v46, vcc_lo
	v_and_b32_e32 v24, 0xffff0000, v24
	v_and_b32_e32 v23, 0xffff0000, v23
	s_delay_alu instid0(VALU_DEP_1) | instskip(SKIP_2) | instid1(VALU_DEP_3)
	v_dual_add_f32 v22, v23, v41 :: v_dual_mul_f32 v23, v18, v42
	v_and_b32_e32 v41, 0xffff0000, v44
	v_or_b32_e32 v44, 0x400000, v9
	v_add_f32_e32 v21, v22, v21
	v_bfe_u32 v22, v9, 16, 1
	v_bfe_u32 v43, v23, 16, 1
	v_add_f32_e32 v24, v24, v41
	v_cmp_u_f32_e32 vcc_lo, v23, v23
	s_delay_alu instid0(VALU_DEP_4) | instskip(SKIP_1) | instid1(VALU_DEP_1)
	v_add3_u32 v22, v22, v9, 0x7fff
	v_and_b32_e32 v42, 0xffff0000, v10
	v_mul_f32_e32 v41, v20, v42
	v_add3_u32 v42, v43, v23, 0x7fff
	v_or_b32_e32 v43, 0x400000, v23
	v_lshlrev_b32_e32 v10, 16, v10
	s_delay_alu instid0(VALU_DEP_4) | instskip(SKIP_1) | instid1(VALU_DEP_3)
	v_bfe_u32 v45, v41, 16, 1
	s_wait_alu 0xfffd
	v_cndmask_b32_e32 v23, v42, v43, vcc_lo
	v_cmp_u_f32_e32 vcc_lo, v9, v9
	v_mul_f32_e32 v10, v19, v10
	v_or_b32_e32 v42, 0x400000, v41
	s_delay_alu instid0(VALU_DEP_4)
	v_and_b32_e32 v23, 0xffff0000, v23
	s_wait_alu 0xfffd
	v_cndmask_b32_e32 v9, v22, v44, vcc_lo
	v_add3_u32 v22, v45, v41, 0x7fff
	v_bfe_u32 v44, v10, 16, 1
	v_cmp_u_f32_e32 vcc_lo, v41, v41
	s_wait_alu 0xfffd
	s_delay_alu instid0(VALU_DEP_3) | instskip(NEXT) | instid1(VALU_DEP_3)
	v_dual_cndmask_b32 v22, v22, v42 :: v_dual_and_b32 v9, 0xffff0000, v9
	v_add3_u32 v42, v44, v10, 0x7fff
	v_and_b32_e32 v44, 0xffff0000, v12
	s_delay_alu instid0(VALU_DEP_3) | instskip(SKIP_3) | instid1(VALU_DEP_3)
	v_dual_add_f32 v9, v9, v23 :: v_dual_lshlrev_b32 v12, 16, v12
	v_and_b32_e32 v43, 0xffff0000, v11
	v_cmp_u_f32_e32 vcc_lo, v10, v10
	v_and_b32_e32 v22, 0xffff0000, v22
	v_dual_mul_f32 v12, v15, v12 :: v_dual_mul_f32 v41, v14, v43
	v_or_b32_e32 v43, 0x400000, v10
	s_wait_alu 0xfffd
	s_delay_alu instid0(VALU_DEP_1) | instskip(SKIP_1) | instid1(VALU_DEP_2)
	v_cndmask_b32_e32 v10, v42, v43, vcc_lo
	v_mul_f32_e32 v42, v16, v44
	v_and_b32_e32 v10, 0xffff0000, v10
	v_bfe_u32 v45, v41, 16, 1
	v_or_b32_e32 v44, 0x400000, v41
	s_delay_alu instid0(VALU_DEP_4) | instskip(SKIP_4) | instid1(VALU_DEP_1)
	v_bfe_u32 v47, v42, 16, 1
	v_cmp_u_f32_e32 vcc_lo, v41, v41
	v_add_f32_e32 v10, v10, v22
	v_add3_u32 v43, v45, v41, 0x7fff
	s_wait_alu 0xfffd
	v_dual_cndmask_b32 v41, v43, v44 :: v_dual_and_b32 v22, 0xffff0000, v1
	v_add3_u32 v43, v47, v42, 0x7fff
	v_or_b32_e32 v44, 0x400000, v42
	v_lshlrev_b32_e32 v11, 16, v11
	s_delay_alu instid0(VALU_DEP_1) | instskip(NEXT) | instid1(VALU_DEP_1)
	v_mul_f32_e32 v11, v13, v11
	v_bfe_u32 v46, v11, 16, 1
	v_cmp_u_f32_e32 vcc_lo, v11, v11
	s_delay_alu instid0(VALU_DEP_2) | instskip(SKIP_2) | instid1(VALU_DEP_1)
	v_add3_u32 v45, v46, v11, 0x7fff
	v_or_b32_e32 v46, 0x400000, v11
	s_wait_alu 0xfffd
	v_cndmask_b32_e32 v11, v45, v46, vcc_lo
	v_cmp_u_f32_e32 vcc_lo, v42, v42
	s_wait_alu 0xfffd
	s_delay_alu instid0(VALU_DEP_2) | instskip(SKIP_3) | instid1(VALU_DEP_3)
	v_dual_cndmask_b32 v42, v43, v44 :: v_dual_and_b32 v11, 0xffff0000, v11
	v_bfe_u32 v43, v12, 16, 1
	v_cmp_u_f32_e32 vcc_lo, v12, v12
	v_and_b32_e32 v23, 0xffff0000, v41
	v_add3_u32 v41, v43, v12, 0x7fff
	v_or_b32_e32 v43, 0x400000, v12
	s_wait_alu 0xfffd
	s_delay_alu instid0(VALU_DEP_1) | instskip(SKIP_2) | instid1(VALU_DEP_3)
	v_dual_cndmask_b32 v12, v41, v43 :: v_dual_add_f32 v9, v10, v9
	v_dual_mul_f32 v10, v18, v22 :: v_dual_add_f32 v11, v11, v23
	v_and_b32_e32 v41, 0xffff0000, v42
	v_and_b32_e32 v12, 0xffff0000, v12
	s_delay_alu instid0(VALU_DEP_3)
	v_bfe_u32 v22, v10, 16, 1
	v_or_b32_e32 v23, 0x400000, v10
	v_cmp_u_f32_e32 vcc_lo, v10, v10
	v_add_f32_e32 v9, v11, v9
	v_and_b32_e32 v11, 0xffff0000, v2
	v_add3_u32 v22, v22, v10, 0x7fff
	v_lshlrev_b32_e32 v1, 16, v1
	v_lshlrev_b32_e32 v2, 16, v2
	s_wait_alu 0xfffd
	s_delay_alu instid0(VALU_DEP_2) | instskip(NEXT) | instid1(VALU_DEP_2)
	v_dual_cndmask_b32 v10, v22, v23 :: v_dual_mul_f32 v1, v17, v1
	v_mul_f32_e32 v2, v19, v2
	s_delay_alu instid0(VALU_DEP_2) | instskip(NEXT) | instid1(VALU_DEP_3)
	v_and_b32_e32 v10, 0xffff0000, v10
	v_bfe_u32 v42, v1, 16, 1
	v_or_b32_e32 v43, 0x400000, v1
	v_cmp_u_f32_e32 vcc_lo, v1, v1
	s_delay_alu instid0(VALU_DEP_3) | instskip(SKIP_3) | instid1(VALU_DEP_2)
	v_add3_u32 v23, v42, v1, 0x7fff
	v_and_b32_e32 v42, 0xffff0000, v3
	v_lshlrev_b32_e32 v3, 16, v3
	s_wait_alu 0xfffd
	v_dual_cndmask_b32 v1, v23, v43 :: v_dual_mul_f32 v42, v14, v42
	v_bfe_u32 v23, v2, 16, 1
	s_delay_alu instid0(VALU_DEP_3) | instskip(NEXT) | instid1(VALU_DEP_3)
	v_mul_f32_e32 v3, v13, v3
	v_and_b32_e32 v1, 0xffff0000, v1
	s_delay_alu instid0(VALU_DEP_4) | instskip(SKIP_2) | instid1(VALU_DEP_4)
	v_or_b32_e32 v45, 0x400000, v42
	v_mul_f32_e32 v11, v20, v11
	v_add3_u32 v23, v23, v2, 0x7fff
	v_add_f32_e32 v1, v1, v10
	s_delay_alu instid0(VALU_DEP_3) | instskip(SKIP_2) | instid1(VALU_DEP_3)
	v_bfe_u32 v22, v11, 16, 1
	v_or_b32_e32 v44, 0x400000, v11
	v_cmp_u_f32_e32 vcc_lo, v11, v11
	v_add3_u32 v22, v22, v11, 0x7fff
	s_wait_alu 0xfffd
	s_delay_alu instid0(VALU_DEP_1) | instskip(SKIP_4) | instid1(VALU_DEP_3)
	v_cndmask_b32_e32 v11, v22, v44, vcc_lo
	v_or_b32_e32 v44, 0x400000, v2
	v_cmp_u_f32_e32 vcc_lo, v2, v2
	v_bfe_u32 v22, v42, 16, 1
	s_wait_alu 0xfffd
	v_cndmask_b32_e32 v2, v23, v44, vcc_lo
	s_delay_alu instid0(VALU_DEP_2)
	v_add3_u32 v22, v22, v42, 0x7fff
	v_cmp_u_f32_e32 vcc_lo, v42, v42
	v_bfe_u32 v23, v3, 16, 1
	v_or_b32_e32 v42, 0x400000, v3
	v_and_b32_e32 v2, 0xffff0000, v2
	v_and_b32_e32 v11, 0xffff0000, v11
	s_wait_alu 0xfffd
	v_dual_cndmask_b32 v22, v22, v45 :: v_dual_and_b32 v43, 0xffff0000, v4
	v_lshlrev_b32_e32 v4, 16, v4
	v_add3_u32 v23, v23, v3, 0x7fff
	v_add_f32_e32 v2, v2, v11
	s_delay_alu instid0(VALU_DEP_4) | instskip(NEXT) | instid1(VALU_DEP_4)
	v_dual_mul_f32 v43, v16, v43 :: v_dual_and_b32 v10, 0xffff0000, v22
	v_mul_f32_e32 v4, v15, v4
	v_cmp_u_f32_e32 vcc_lo, v3, v3
	s_delay_alu instid0(VALU_DEP_3)
	v_bfe_u32 v44, v43, 16, 1
	v_or_b32_e32 v45, 0x400000, v43
	s_wait_alu 0xfffd
	v_cndmask_b32_e32 v3, v23, v42, vcc_lo
	v_cmp_u_f32_e32 vcc_lo, v43, v43
	v_add3_u32 v44, v44, v43, 0x7fff
	v_bfe_u32 v42, v4, 16, 1
	v_or_b32_e32 v43, 0x400000, v4
	s_wait_alu 0xfffd
	s_delay_alu instid0(VALU_DEP_3) | instskip(NEXT) | instid1(VALU_DEP_3)
	v_cndmask_b32_e32 v23, v44, v45, vcc_lo
	v_add3_u32 v42, v42, v4, 0x7fff
	v_cmp_u_f32_e32 vcc_lo, v4, v4
	s_wait_loadcnt 0x0
	v_lshlrev_b32_e32 v44, 16, v5
	s_wait_alu 0xfffd
	v_cndmask_b32_e32 v4, v42, v43, vcc_lo
	v_and_b32_e32 v3, 0xffff0000, v3
	s_delay_alu instid0(VALU_DEP_3) | instskip(NEXT) | instid1(VALU_DEP_2)
	v_mul_f32_e32 v11, v17, v44
	v_dual_add_f32 v3, v3, v10 :: v_dual_and_b32 v4, 0xffff0000, v4
	v_dual_add_f32 v1, v2, v1 :: v_dual_lshlrev_b32 v10, 16, v6
	v_and_b32_e32 v6, 0xffff0000, v6
	s_delay_alu instid0(VALU_DEP_4) | instskip(SKIP_1) | instid1(VALU_DEP_4)
	v_bfe_u32 v2, v11, 16, 1
	v_or_b32_e32 v17, 0x400000, v11
	v_dual_mul_f32 v10, v19, v10 :: v_dual_lshlrev_b32 v19, 16, v7
	v_and_b32_e32 v7, 0xffff0000, v7
	s_delay_alu instid0(VALU_DEP_4) | instskip(SKIP_1) | instid1(VALU_DEP_3)
	v_add3_u32 v2, v2, v11, 0x7fff
	v_cmp_u_f32_e32 vcc_lo, v11, v11
	v_dual_mul_f32 v6, v20, v6 :: v_dual_mul_f32 v7, v14, v7
	v_lshlrev_b32_e32 v14, 16, v8
	v_and_b32_e32 v5, 0xffff0000, v5
	v_and_b32_e32 v8, 0xffff0000, v8
	s_wait_alu 0xfffd
	v_cndmask_b32_e32 v2, v2, v17, vcc_lo
	s_delay_alu instid0(VALU_DEP_3) | instskip(NEXT) | instid1(VALU_DEP_3)
	v_dual_mul_f32 v14, v15, v14 :: v_dual_mul_f32 v5, v18, v5
	v_mul_f32_e32 v8, v16, v8
	s_delay_alu instid0(VALU_DEP_3) | instskip(NEXT) | instid1(VALU_DEP_3)
	v_and_b32_e32 v2, 0xffff0000, v2
	v_bfe_u32 v18, v5, 16, 1
	v_or_b32_e32 v17, 0x400000, v5
	v_cmp_u_f32_e32 vcc_lo, v5, v5
	s_delay_alu instid0(VALU_DEP_3) | instskip(SKIP_2) | instid1(VALU_DEP_2)
	v_add3_u32 v11, v18, v5, 0x7fff
	v_bfe_u32 v18, v10, 16, 1
	s_wait_alu 0xfffd
	v_cndmask_b32_e32 v5, v11, v17, vcc_lo
	s_delay_alu instid0(VALU_DEP_2)
	v_add3_u32 v11, v18, v10, 0x7fff
	v_or_b32_e32 v17, 0x400000, v10
	v_bfe_u32 v18, v6, 16, 1
	v_cmp_u_f32_e32 vcc_lo, v10, v10
	v_and_b32_e32 v5, 0xffff0000, v5
	s_wait_alu 0xfffd
	v_cndmask_b32_e32 v10, v11, v17, vcc_lo
	v_add3_u32 v11, v18, v6, 0x7fff
	v_or_b32_e32 v17, 0x400000, v6
	v_cmp_u_f32_e32 vcc_lo, v6, v6
	v_add_f32_e32 v2, v2, v5
	v_and_b32_e32 v10, 0xffff0000, v10
	v_or_b32_e32 v16, 0x400000, v7
	s_wait_alu 0xfffd
	v_dual_cndmask_b32 v6, v11, v17 :: v_dual_mul_f32 v13, v13, v19
	v_bfe_u32 v11, v7, 16, 1
	v_bfe_u32 v19, v8, 16, 1
	s_delay_alu instid0(VALU_DEP_3) | instskip(NEXT) | instid1(VALU_DEP_4)
	v_and_b32_e32 v6, 0xffff0000, v6
	v_bfe_u32 v18, v13, 16, 1
	v_or_b32_e32 v15, 0x400000, v13
	v_cmp_u_f32_e32 vcc_lo, v13, v13
	v_add3_u32 v11, v11, v7, 0x7fff
	v_add_f32_e32 v5, v10, v6
	v_add3_u32 v17, v18, v13, 0x7fff
	v_bfe_u32 v18, v14, 16, 1
	s_delay_alu instid0(VALU_DEP_3) | instskip(SKIP_1) | instid1(VALU_DEP_3)
	v_add_f32_e32 v2, v5, v2
	s_wait_alu 0xfffd
	v_cndmask_b32_e32 v13, v17, v15, vcc_lo
	v_cmp_u_f32_e32 vcc_lo, v7, v7
	v_add3_u32 v15, v19, v8, 0x7fff
	v_or_b32_e32 v17, 0x400000, v14
	s_wait_alu 0xfffd
	v_cndmask_b32_e32 v7, v11, v16, vcc_lo
	v_or_b32_e32 v16, 0x400000, v8
	v_cmp_u_f32_e32 vcc_lo, v8, v8
	v_add3_u32 v11, v18, v14, 0x7fff
	s_delay_alu instid0(VALU_DEP_4) | instskip(SKIP_3) | instid1(VALU_DEP_2)
	v_and_b32_e32 v6, 0xffff0000, v7
	s_wait_alu 0xfffd
	v_dual_cndmask_b32 v8, v15, v16 :: v_dual_and_b32 v7, 0xffff0000, v13
	v_cmp_u_f32_e32 vcc_lo, v14, v14
	v_dual_add_f32 v5, v7, v6 :: v_dual_and_b32 v6, 0xffff0000, v8
	s_wait_alu 0xfffd
	v_dual_cndmask_b32 v10, v11, v17 :: v_dual_and_b32 v11, 0xffff0000, v23
	v_add_f32_e32 v8, v12, v41
	s_delay_alu instid0(VALU_DEP_3) | instskip(NEXT) | instid1(VALU_DEP_3)
	v_dual_add_f32 v2, v5, v2 :: v_dual_add_f32 v1, v3, v1
	v_and_b32_e32 v7, 0xffff0000, v10
	v_add_f32_e32 v5, v24, v21
	v_add_f32_e32 v3, v4, v11
	v_cmp_le_i32_e32 vcc_lo, s13, v30
	s_delay_alu instid0(VALU_DEP_4) | instskip(NEXT) | instid1(VALU_DEP_4)
	v_add_f32_e32 v4, v7, v6
	v_add_f32_e32 v34, v34, v5
	s_or_b32 s4, vcc_lo, s4
	s_delay_alu instid0(VALU_DEP_2) | instskip(NEXT) | instid1(VALU_DEP_1)
	v_add_f32_e32 v2, v4, v2
	v_dual_add_f32 v6, v8, v9 :: v_dual_add_f32 v33, v33, v2
	s_delay_alu instid0(VALU_DEP_1) | instskip(NEXT) | instid1(VALU_DEP_1)
	v_dual_add_f32 v1, v3, v1 :: v_dual_add_f32 v36, v36, v6
	v_add_f32_e32 v35, v35, v1
	s_wait_alu 0xfffe
	s_and_not1_b32 exec_lo, exec_lo, s4
	s_cbranch_execz .LBB163_41
.LBB163_33:                             ; =>This Inner Loop Header: Depth=1
	global_load_b32 v1, v[25:26], off
	v_add_nc_u32_e32 v46, 1, v39
	v_or_b32_e32 v45, 3, v39
	v_or_b32_e32 v47, 2, v39
	v_or_b32_e32 v42, 5, v39
	v_or_b32_e32 v44, 4, v39
	v_or_b32_e32 v41, 7, v39
	v_or_b32_e32 v43, 6, v39
	s_wait_loadcnt 0x0
	v_mad_co_i64_i32 v[1:2], null, v1, s2, 0
	s_delay_alu instid0(VALU_DEP_1) | instskip(NEXT) | instid1(VALU_DEP_1)
	v_lshlrev_b64_e32 v[1:2], 1, v[1:2]
	v_add_co_u32 v5, vcc_lo, v37, v1
	s_wait_alu 0xfffd
	s_delay_alu instid0(VALU_DEP_2)
	v_add_co_ci_u32_e64 v6, null, v38, v2, vcc_lo
	s_wait_alu 0xfffe
	v_cmp_eq_u32_e32 vcc_lo, s3, v30
	global_load_b128 v[1:4], v[5:6], off
	ds_load_2addr_b64 v[17:20], v40 offset1:1
	ds_load_2addr_b64 v[13:16], v40 offset0:2 offset1:3
	s_and_saveexec_b32 s6, vcc_lo
	s_cbranch_execnz .LBB163_37
; %bb.34:                               ;   in Loop: Header=BB163_33 Depth=1
	s_wait_alu 0xfffe
	s_or_b32 exec_lo, exec_lo, s6
	global_load_b128 v[9:12], v[5:6], off offset:512
	s_and_saveexec_b32 s6, vcc_lo
	s_cbranch_execnz .LBB163_38
.LBB163_35:                             ;   in Loop: Header=BB163_33 Depth=1
	s_wait_alu 0xfffe
	s_or_b32 exec_lo, exec_lo, s6
	global_load_b128 v[21:24], v[5:6], off offset:1024
	s_and_saveexec_b32 s6, vcc_lo
	s_cbranch_execnz .LBB163_39
.LBB163_36:                             ;   in Loop: Header=BB163_33 Depth=1
	s_wait_alu 0xfffe
	s_or_b32 exec_lo, exec_lo, s6
	global_load_b128 v[5:8], v[5:6], off offset:1536
	s_and_saveexec_b32 s0, vcc_lo
	s_cbranch_execz .LBB163_32
	s_branch .LBB163_40
.LBB163_37:                             ;   in Loop: Header=BB163_33 Depth=1
	v_cmp_gt_i32_e64 s0, s25, v39
	s_wait_loadcnt 0x0
	v_lshrrev_b32_e32 v7, 16, v1
	v_lshrrev_b32_e32 v8, 16, v2
	;; [unrolled: 1-line block ×4, first 2 shown]
	s_wait_alu 0xf1ff
	v_cndmask_b32_e64 v1, 0, v1, s0
	v_cmp_gt_i32_e64 s0, s5, v46
	s_wait_alu 0xf1ff
	s_delay_alu instid0(VALU_DEP_1) | instskip(SKIP_1) | instid1(VALU_DEP_2)
	v_cndmask_b32_e64 v7, 0, v7, s0
	v_cmp_gt_i32_e64 s0, s25, v47
	v_perm_b32 v1, v7, v1, 0x5040100
	s_wait_alu 0xf1ff
	s_delay_alu instid0(VALU_DEP_2) | instskip(SKIP_2) | instid1(VALU_DEP_1)
	v_cndmask_b32_e64 v2, 0, v2, s0
	v_cmp_gt_i32_e64 s0, s5, v45
	s_wait_alu 0xf1ff
	v_cndmask_b32_e64 v8, 0, v8, s0
	v_cmp_gt_i32_e64 s0, s25, v44
	s_delay_alu instid0(VALU_DEP_2) | instskip(SKIP_1) | instid1(VALU_DEP_2)
	v_perm_b32 v2, v8, v2, 0x5040100
	s_wait_alu 0xf1ff
	v_cndmask_b32_e64 v3, 0, v3, s0
	v_cmp_gt_i32_e64 s0, s5, v42
	s_wait_alu 0xf1ff
	s_delay_alu instid0(VALU_DEP_1) | instskip(SKIP_1) | instid1(VALU_DEP_2)
	v_cndmask_b32_e64 v9, 0, v9, s0
	v_cmp_gt_i32_e64 s0, s25, v43
	v_perm_b32 v3, v9, v3, 0x5040100
	s_wait_alu 0xf1ff
	s_delay_alu instid0(VALU_DEP_2) | instskip(SKIP_2) | instid1(VALU_DEP_1)
	v_cndmask_b32_e64 v4, 0, v4, s0
	v_cmp_gt_i32_e64 s0, s5, v41
	s_wait_alu 0xf1ff
	v_cndmask_b32_e64 v10, 0, v10, s0
	s_delay_alu instid0(VALU_DEP_1)
	v_perm_b32 v4, v10, v4, 0x5040100
	s_wait_alu 0xfffe
	s_or_b32 exec_lo, exec_lo, s6
	global_load_b128 v[9:12], v[5:6], off offset:512
	s_and_saveexec_b32 s6, vcc_lo
	s_cbranch_execz .LBB163_35
.LBB163_38:                             ;   in Loop: Header=BB163_33 Depth=1
	v_cmp_gt_i32_e64 s0, s25, v39
	s_wait_loadcnt 0x0
	v_lshrrev_b32_e32 v7, 16, v9
	v_lshrrev_b32_e32 v22, 16, v12
	s_wait_alu 0xf1ff
	v_cndmask_b32_e64 v8, 0, v9, s0
	v_cmp_gt_i32_e64 s0, s5, v46
	v_lshrrev_b32_e32 v9, 16, v10
	s_wait_alu 0xf1ff
	s_delay_alu instid0(VALU_DEP_2) | instskip(SKIP_2) | instid1(VALU_DEP_1)
	v_cndmask_b32_e64 v7, 0, v7, s0
	v_cmp_gt_i32_e64 s0, s25, v47
	s_wait_alu 0xf1ff
	v_cndmask_b32_e64 v10, 0, v10, s0
	v_cmp_gt_i32_e64 s0, s5, v45
	s_wait_alu 0xf1ff
	s_delay_alu instid0(VALU_DEP_1) | instskip(SKIP_2) | instid1(VALU_DEP_3)
	v_cndmask_b32_e64 v21, 0, v9, s0
	v_cmp_gt_i32_e64 s0, s25, v44
	v_lshrrev_b32_e32 v9, 16, v11
	v_perm_b32 v10, v21, v10, 0x5040100
	s_wait_alu 0xf1ff
	s_delay_alu instid0(VALU_DEP_3) | instskip(SKIP_2) | instid1(VALU_DEP_1)
	v_cndmask_b32_e64 v11, 0, v11, s0
	v_cmp_gt_i32_e64 s0, s5, v42
	s_wait_alu 0xf1ff
	v_cndmask_b32_e64 v23, 0, v9, s0
	v_cmp_gt_i32_e64 s0, s25, v43
	v_perm_b32 v9, v7, v8, 0x5040100
	s_delay_alu instid0(VALU_DEP_3) | instskip(SKIP_1) | instid1(VALU_DEP_3)
	v_perm_b32 v11, v23, v11, 0x5040100
	s_wait_alu 0xf1ff
	v_cndmask_b32_e64 v12, 0, v12, s0
	v_cmp_gt_i32_e64 s0, s5, v41
	s_wait_alu 0xf1ff
	s_delay_alu instid0(VALU_DEP_1) | instskip(NEXT) | instid1(VALU_DEP_1)
	v_cndmask_b32_e64 v22, 0, v22, s0
	v_perm_b32 v12, v22, v12, 0x5040100
	s_wait_alu 0xfffe
	s_or_b32 exec_lo, exec_lo, s6
	global_load_b128 v[21:24], v[5:6], off offset:1024
	s_and_saveexec_b32 s6, vcc_lo
	s_cbranch_execz .LBB163_36
.LBB163_39:                             ;   in Loop: Header=BB163_33 Depth=1
	v_cmp_gt_i32_e64 s0, s25, v39
	s_wait_loadcnt 0x0
	v_lshrrev_b32_e32 v7, 16, v21
	v_lshrrev_b32_e32 v49, 16, v24
	s_wait_alu 0xf1ff
	v_cndmask_b32_e64 v8, 0, v21, s0
	v_cmp_gt_i32_e64 s0, s5, v46
	v_lshrrev_b32_e32 v21, 16, v22
	s_wait_alu 0xf1ff
	s_delay_alu instid0(VALU_DEP_2) | instskip(SKIP_2) | instid1(VALU_DEP_1)
	v_cndmask_b32_e64 v7, 0, v7, s0
	v_cmp_gt_i32_e64 s0, s25, v47
	s_wait_alu 0xf1ff
	v_cndmask_b32_e64 v22, 0, v22, s0
	v_cmp_gt_i32_e64 s0, s5, v45
	s_wait_alu 0xf1ff
	s_delay_alu instid0(VALU_DEP_1) | instskip(SKIP_2) | instid1(VALU_DEP_3)
	v_cndmask_b32_e64 v48, 0, v21, s0
	v_cmp_gt_i32_e64 s0, s25, v44
	v_lshrrev_b32_e32 v21, 16, v23
	v_perm_b32 v22, v48, v22, 0x5040100
	s_wait_alu 0xf1ff
	s_delay_alu instid0(VALU_DEP_3) | instskip(SKIP_2) | instid1(VALU_DEP_1)
	v_cndmask_b32_e64 v23, 0, v23, s0
	v_cmp_gt_i32_e64 s0, s5, v42
	s_wait_alu 0xf1ff
	v_cndmask_b32_e64 v50, 0, v21, s0
	v_cmp_gt_i32_e64 s0, s25, v43
	v_perm_b32 v21, v7, v8, 0x5040100
	s_delay_alu instid0(VALU_DEP_3) | instskip(SKIP_1) | instid1(VALU_DEP_3)
	v_perm_b32 v23, v50, v23, 0x5040100
	s_wait_alu 0xf1ff
	v_cndmask_b32_e64 v24, 0, v24, s0
	v_cmp_gt_i32_e64 s0, s5, v41
	s_wait_alu 0xf1ff
	s_delay_alu instid0(VALU_DEP_1) | instskip(NEXT) | instid1(VALU_DEP_1)
	v_cndmask_b32_e64 v49, 0, v49, s0
	v_perm_b32 v24, v49, v24, 0x5040100
	s_wait_alu 0xfffe
	s_or_b32 exec_lo, exec_lo, s6
	global_load_b128 v[5:8], v[5:6], off offset:1536
	s_and_saveexec_b32 s0, vcc_lo
	s_cbranch_execz .LBB163_32
.LBB163_40:                             ;   in Loop: Header=BB163_33 Depth=1
	v_cmp_gt_i32_e32 vcc_lo, s25, v39
	s_wait_loadcnt 0x0
	v_lshrrev_b32_e32 v48, 16, v5
	v_lshrrev_b32_e32 v49, 16, v6
	s_wait_alu 0xfffd
	v_cndmask_b32_e32 v5, 0, v5, vcc_lo
	v_cmp_gt_i32_e32 vcc_lo, s5, v46
	s_wait_alu 0xfffd
	v_cndmask_b32_e32 v46, 0, v48, vcc_lo
	v_cmp_gt_i32_e32 vcc_lo, s25, v47
	v_lshrrev_b32_e32 v47, 16, v7
	s_delay_alu instid0(VALU_DEP_3)
	v_perm_b32 v5, v46, v5, 0x5040100
	s_wait_alu 0xfffd
	v_cndmask_b32_e32 v6, 0, v6, vcc_lo
	v_cmp_gt_i32_e32 vcc_lo, s5, v45
	s_wait_alu 0xfffd
	v_cndmask_b32_e32 v45, 0, v49, vcc_lo
	v_cmp_gt_i32_e32 vcc_lo, s25, v44
	v_lshrrev_b32_e32 v44, 16, v8
	s_delay_alu instid0(VALU_DEP_3)
	v_perm_b32 v6, v45, v6, 0x5040100
	s_wait_alu 0xfffd
	v_cndmask_b32_e32 v7, 0, v7, vcc_lo
	v_cmp_gt_i32_e32 vcc_lo, s5, v42
	s_wait_alu 0xfffd
	v_cndmask_b32_e32 v42, 0, v47, vcc_lo
	v_cmp_gt_i32_e32 vcc_lo, s25, v43
	;; [unrolled: 3-line block ×3, first 2 shown]
	s_wait_alu 0xfffd
	v_cndmask_b32_e32 v41, 0, v44, vcc_lo
	v_perm_b32 v7, v42, v7, 0x5040100
	s_delay_alu instid0(VALU_DEP_2)
	v_perm_b32 v8, v41, v8, 0x5040100
	s_branch .LBB163_32
.LBB163_41:
	s_or_b32 exec_lo, exec_lo, s4
.LBB163_42:
	s_wait_alu 0xfffe
	s_or_b32 exec_lo, exec_lo, s1
	ds_bpermute_b32 v1, v32, v35
	ds_bpermute_b32 v2, v32, v36
	;; [unrolled: 1-line block ×4, first 2 shown]
	v_lshrrev_b32_e32 v5, 1, v31
	v_lshlrev_b32_e32 v7, 8, v29
	v_and_b32_e32 v10, 0x3c1, v0
	s_mov_b32 s0, exec_lo
	s_wait_storecnt 0x0
	s_wait_loadcnt_dscnt 0x0
	v_lshl_add_u32 v6, v5, 2, 0xa0
	s_barrier_signal -1
	s_barrier_wait -1
	global_inv scope:SCOPE_SE
	v_dual_add_f32 v4, v35, v1 :: v_dual_add_f32 v3, v36, v2
	v_dual_add_f32 v2, v34, v8 :: v_dual_add_f32 v1, v33, v9
	v_cmpx_eq_u32_e32 64, v10
	s_cbranch_execz .LBB163_44
; %bb.43:
	v_add_nc_u32_e32 v8, v6, v7
	s_delay_alu instid0(VALU_DEP_1)
	v_add_nc_u32_e32 v9, 0xfffffe00, v8
	v_add_nc_u32_e32 v10, 0xfffffe40, v8
	;; [unrolled: 1-line block ×4, first 2 shown]
	ds_store_b32 v9, v4
	ds_store_b32 v10, v3
	ds_store_b32 v11, v2
	ds_store_b32 v8, v1
.LBB163_44:
	s_wait_alu 0xfffe
	s_or_b32 exec_lo, exec_lo, s0
	v_lshlrev_b32_e32 v5, 2, v5
	s_mov_b32 s1, exec_lo
	v_cmp_eq_u32_e32 vcc_lo, 0, v28
	s_wait_loadcnt_dscnt 0x0
	s_barrier_signal -1
	v_add3_u32 v5, 0xa0, v7, v5
	s_barrier_wait -1
	global_inv scope:SCOPE_SE
	v_cmpx_gt_u32_e32 64, v0
	s_cbranch_execz .LBB163_51
; %bb.45:
	s_and_saveexec_b32 s0, vcc_lo
	s_cbranch_execnz .LBB163_63
; %bb.46:
	s_wait_alu 0xfffe
	s_or_b32 exec_lo, exec_lo, s0
	s_and_saveexec_b32 s0, vcc_lo
	s_cbranch_execnz .LBB163_64
.LBB163_47:
	s_wait_alu 0xfffe
	s_or_b32 exec_lo, exec_lo, s0
	s_and_saveexec_b32 s0, vcc_lo
	s_cbranch_execnz .LBB163_65
.LBB163_48:
	s_wait_alu 0xfffe
	s_or_b32 exec_lo, exec_lo, s0
	s_and_saveexec_b32 s0, vcc_lo
	s_cbranch_execz .LBB163_50
.LBB163_49:
	ds_load_b32 v7, v5 offset:192
	s_wait_dscnt 0x0
	v_add_f32_e32 v1, v1, v7
.LBB163_50:
	s_wait_alu 0xfffe
	s_or_b32 exec_lo, exec_lo, s0
.LBB163_51:
	s_wait_alu 0xfffe
	s_or_b32 exec_lo, exec_lo, s1
	v_and_b32_e32 v7, 0x3e1, v0
	s_mov_b32 s1, exec_lo
	s_wait_loadcnt 0x0
	s_barrier_signal -1
	s_barrier_wait -1
	global_inv scope:SCOPE_SE
	v_cmpx_eq_u32_e32 32, v7
	s_cbranch_execz .LBB163_53
; %bb.52:
	ds_store_2addr_b32 v6, v4, v3 offset1:16
	ds_store_2addr_b32 v6, v2, v1 offset0:32 offset1:48
.LBB163_53:
	s_wait_alu 0xfffe
	s_or_b32 exec_lo, exec_lo, s1
	s_delay_alu instid0(SALU_CYCLE_1)
	s_mov_b32 s1, exec_lo
	s_wait_loadcnt_dscnt 0x0
	s_barrier_signal -1
	s_barrier_wait -1
	global_inv scope:SCOPE_SE
	v_cmpx_gt_u32_e32 32, v0
	s_cbranch_execz .LBB163_60
; %bb.54:
	s_and_saveexec_b32 s0, vcc_lo
	s_cbranch_execnz .LBB163_66
; %bb.55:
	s_wait_alu 0xfffe
	s_or_b32 exec_lo, exec_lo, s0
	s_and_saveexec_b32 s0, vcc_lo
	s_cbranch_execnz .LBB163_67
.LBB163_56:
	s_wait_alu 0xfffe
	s_or_b32 exec_lo, exec_lo, s0
	s_and_saveexec_b32 s0, vcc_lo
	s_cbranch_execnz .LBB163_68
.LBB163_57:
	s_wait_alu 0xfffe
	s_or_b32 exec_lo, exec_lo, s0
	s_and_saveexec_b32 s0, vcc_lo
	s_cbranch_execz .LBB163_59
.LBB163_58:
	ds_load_b32 v0, v5 offset:192
	s_wait_dscnt 0x0
	v_add_f32_e32 v1, v1, v0
.LBB163_59:
	s_wait_alu 0xfffe
	s_or_b32 exec_lo, exec_lo, s0
.LBB163_60:
	s_wait_alu 0xfffe
	s_or_b32 exec_lo, exec_lo, s1
	s_mov_b32 s1, 0
	s_wait_loadcnt 0x0
	s_barrier_signal -1
	s_barrier_wait -1
	global_inv scope:SCOPE_SE
	s_mov_b32 s0, exec_lo
	v_cmpx_eq_u32_e32 0, v7
	s_cbranch_execz .LBB163_62
; %bb.61:
	v_bfe_u32 v0, v4, 16, 1
	v_or_b32_e32 v5, 0x400000, v4
	v_bfe_u32 v7, v3, 16, 1
	v_cmp_u_f32_e32 vcc_lo, v4, v4
	v_bfe_u32 v8, v2, 16, 1
	v_add3_u32 v0, v0, v4, 0x7fff
	s_lshl_b32 s2, s14, 6
	v_bfe_u32 v4, v1, 16, 1
	v_or_b32_e32 v9, 0x400000, v2
	v_add3_u32 v8, v8, v2, 0x7fff
	s_wait_alu 0xfffd
	v_cndmask_b32_e32 v0, v0, v5, vcc_lo
	v_add3_u32 v5, v7, v3, 0x7fff
	v_or_b32_e32 v7, 0x400000, v3
	v_cmp_u_f32_e32 vcc_lo, v3, v3
	s_mul_i32 s4, s8, s12
	s_wait_alu 0xfffe
	s_ashr_i32 s3, s2, 31
	s_ashr_i32 s5, s4, 31
	s_wait_alu 0xfffe
	s_lshl_b64 s[2:3], s[2:3], 1
	s_wait_alu 0xfffd
	v_cndmask_b32_e32 v3, v5, v7, vcc_lo
	v_cmp_u_f32_e32 vcc_lo, v2, v2
	v_add3_u32 v4, v4, v1, 0x7fff
	v_or_b32_e32 v10, 0x400000, v1
	s_lshl_b64 s[4:5], s[4:5], 1
	s_wait_alu 0xfffe
	s_add_nc_u64 s[2:3], s[10:11], s[2:3]
	s_wait_alu 0xfffd
	v_cndmask_b32_e32 v2, v8, v9, vcc_lo
	v_cmp_u_f32_e32 vcc_lo, v1, v1
	v_lshlrev_b32_e32 v6, 1, v27
	s_lshl_b32 s0, s24, 7
	s_wait_alu 0xfffe
	s_add_nc_u64 s[2:3], s[2:3], s[4:5]
	s_wait_alu 0xfffe
	s_add_nc_u64 s[0:1], s[2:3], s[0:1]
	s_wait_alu 0xfffd
	v_cndmask_b32_e32 v1, v4, v10, vcc_lo
	s_clause 0x3
	global_store_d16_hi_b16 v6, v0, s[0:1]
	global_store_d16_hi_b16 v6, v3, s[0:1] offset:32
	global_store_d16_hi_b16 v6, v2, s[0:1] offset:64
	;; [unrolled: 1-line block ×3, first 2 shown]
.LBB163_62:
	s_endpgm
.LBB163_63:
	ds_load_b32 v7, v5
	s_wait_dscnt 0x0
	v_add_f32_e32 v4, v4, v7
	s_wait_alu 0xfffe
	s_or_b32 exec_lo, exec_lo, s0
	s_and_saveexec_b32 s0, vcc_lo
	s_cbranch_execz .LBB163_47
.LBB163_64:
	ds_load_b32 v7, v5 offset:64
	s_wait_dscnt 0x0
	v_add_f32_e32 v3, v3, v7
	s_wait_alu 0xfffe
	s_or_b32 exec_lo, exec_lo, s0
	s_and_saveexec_b32 s0, vcc_lo
	s_cbranch_execz .LBB163_48
.LBB163_65:
	ds_load_b32 v7, v5 offset:128
	s_wait_dscnt 0x0
	v_add_f32_e32 v2, v2, v7
	s_wait_alu 0xfffe
	s_or_b32 exec_lo, exec_lo, s0
	s_and_saveexec_b32 s0, vcc_lo
	s_cbranch_execnz .LBB163_49
	s_branch .LBB163_50
.LBB163_66:
	ds_load_b32 v0, v5
	s_wait_dscnt 0x0
	v_add_f32_e32 v4, v4, v0
	s_wait_alu 0xfffe
	s_or_b32 exec_lo, exec_lo, s0
	s_and_saveexec_b32 s0, vcc_lo
	s_cbranch_execz .LBB163_56
.LBB163_67:
	ds_load_b32 v0, v5 offset:64
	s_wait_dscnt 0x0
	v_add_f32_e32 v3, v3, v0
	s_wait_alu 0xfffe
	s_or_b32 exec_lo, exec_lo, s0
	s_and_saveexec_b32 s0, vcc_lo
	s_cbranch_execz .LBB163_57
.LBB163_68:
	ds_load_b32 v0, v5 offset:128
	s_wait_dscnt 0x0
	v_add_f32_e32 v2, v2, v0
	s_wait_alu 0xfffe
	s_or_b32 exec_lo, exec_lo, s0
	s_and_saveexec_b32 s0, vcc_lo
	s_cbranch_execnz .LBB163_58
	s_branch .LBB163_59
	.section	.rodata,"a",@progbits
	.p2align	6, 0x0
	.amdhsa_kernel _ZN4vllm25paged_attention_v2_kernelI14__hip_bfloat16S1_Li64ELi16ELi128ELNS_18Fp8KVCacheDataTypeE0ELb0ELi512EEEvPfS3_PT_PKS4_PKT0_SA_ifPKiSC_iPKfiiiSE_SE_iiiii
		.amdhsa_group_segment_fixed_size 160
		.amdhsa_private_segment_fixed_size 0
		.amdhsa_kernarg_size 400
		.amdhsa_user_sgpr_count 2
		.amdhsa_user_sgpr_dispatch_ptr 0
		.amdhsa_user_sgpr_queue_ptr 0
		.amdhsa_user_sgpr_kernarg_segment_ptr 1
		.amdhsa_user_sgpr_dispatch_id 0
		.amdhsa_user_sgpr_private_segment_size 0
		.amdhsa_wavefront_size32 1
		.amdhsa_uses_dynamic_stack 0
		.amdhsa_enable_private_segment 0
		.amdhsa_system_sgpr_workgroup_id_x 1
		.amdhsa_system_sgpr_workgroup_id_y 1
		.amdhsa_system_sgpr_workgroup_id_z 1
		.amdhsa_system_sgpr_workgroup_info 0
		.amdhsa_system_vgpr_workitem_id 0
		.amdhsa_next_free_vgpr 81
		.amdhsa_next_free_sgpr 32
		.amdhsa_reserve_vcc 1
		.amdhsa_float_round_mode_32 0
		.amdhsa_float_round_mode_16_64 0
		.amdhsa_float_denorm_mode_32 3
		.amdhsa_float_denorm_mode_16_64 3
		.amdhsa_fp16_overflow 0
		.amdhsa_workgroup_processor_mode 1
		.amdhsa_memory_ordered 1
		.amdhsa_forward_progress 1
		.amdhsa_inst_pref_size 65
		.amdhsa_round_robin_scheduling 0
		.amdhsa_exception_fp_ieee_invalid_op 0
		.amdhsa_exception_fp_denorm_src 0
		.amdhsa_exception_fp_ieee_div_zero 0
		.amdhsa_exception_fp_ieee_overflow 0
		.amdhsa_exception_fp_ieee_underflow 0
		.amdhsa_exception_fp_ieee_inexact 0
		.amdhsa_exception_int_div_zero 0
	.end_amdhsa_kernel
	.section	.text._ZN4vllm25paged_attention_v2_kernelI14__hip_bfloat16S1_Li64ELi16ELi128ELNS_18Fp8KVCacheDataTypeE0ELb0ELi512EEEvPfS3_PT_PKS4_PKT0_SA_ifPKiSC_iPKfiiiSE_SE_iiiii,"axG",@progbits,_ZN4vllm25paged_attention_v2_kernelI14__hip_bfloat16S1_Li64ELi16ELi128ELNS_18Fp8KVCacheDataTypeE0ELb0ELi512EEEvPfS3_PT_PKS4_PKT0_SA_ifPKiSC_iPKfiiiSE_SE_iiiii,comdat
.Lfunc_end163:
	.size	_ZN4vllm25paged_attention_v2_kernelI14__hip_bfloat16S1_Li64ELi16ELi128ELNS_18Fp8KVCacheDataTypeE0ELb0ELi512EEEvPfS3_PT_PKS4_PKT0_SA_ifPKiSC_iPKfiiiSE_SE_iiiii, .Lfunc_end163-_ZN4vllm25paged_attention_v2_kernelI14__hip_bfloat16S1_Li64ELi16ELi128ELNS_18Fp8KVCacheDataTypeE0ELb0ELi512EEEvPfS3_PT_PKS4_PKT0_SA_ifPKiSC_iPKfiiiSE_SE_iiiii
                                        ; -- End function
	.set _ZN4vllm25paged_attention_v2_kernelI14__hip_bfloat16S1_Li64ELi16ELi128ELNS_18Fp8KVCacheDataTypeE0ELb0ELi512EEEvPfS3_PT_PKS4_PKT0_SA_ifPKiSC_iPKfiiiSE_SE_iiiii.num_vgpr, 81
	.set _ZN4vllm25paged_attention_v2_kernelI14__hip_bfloat16S1_Li64ELi16ELi128ELNS_18Fp8KVCacheDataTypeE0ELb0ELi512EEEvPfS3_PT_PKS4_PKT0_SA_ifPKiSC_iPKfiiiSE_SE_iiiii.num_agpr, 0
	.set _ZN4vllm25paged_attention_v2_kernelI14__hip_bfloat16S1_Li64ELi16ELi128ELNS_18Fp8KVCacheDataTypeE0ELb0ELi512EEEvPfS3_PT_PKS4_PKT0_SA_ifPKiSC_iPKfiiiSE_SE_iiiii.numbered_sgpr, 32
	.set _ZN4vllm25paged_attention_v2_kernelI14__hip_bfloat16S1_Li64ELi16ELi128ELNS_18Fp8KVCacheDataTypeE0ELb0ELi512EEEvPfS3_PT_PKS4_PKT0_SA_ifPKiSC_iPKfiiiSE_SE_iiiii.num_named_barrier, 0
	.set _ZN4vllm25paged_attention_v2_kernelI14__hip_bfloat16S1_Li64ELi16ELi128ELNS_18Fp8KVCacheDataTypeE0ELb0ELi512EEEvPfS3_PT_PKS4_PKT0_SA_ifPKiSC_iPKfiiiSE_SE_iiiii.private_seg_size, 0
	.set _ZN4vllm25paged_attention_v2_kernelI14__hip_bfloat16S1_Li64ELi16ELi128ELNS_18Fp8KVCacheDataTypeE0ELb0ELi512EEEvPfS3_PT_PKS4_PKT0_SA_ifPKiSC_iPKfiiiSE_SE_iiiii.uses_vcc, 1
	.set _ZN4vllm25paged_attention_v2_kernelI14__hip_bfloat16S1_Li64ELi16ELi128ELNS_18Fp8KVCacheDataTypeE0ELb0ELi512EEEvPfS3_PT_PKS4_PKT0_SA_ifPKiSC_iPKfiiiSE_SE_iiiii.uses_flat_scratch, 0
	.set _ZN4vllm25paged_attention_v2_kernelI14__hip_bfloat16S1_Li64ELi16ELi128ELNS_18Fp8KVCacheDataTypeE0ELb0ELi512EEEvPfS3_PT_PKS4_PKT0_SA_ifPKiSC_iPKfiiiSE_SE_iiiii.has_dyn_sized_stack, 0
	.set _ZN4vllm25paged_attention_v2_kernelI14__hip_bfloat16S1_Li64ELi16ELi128ELNS_18Fp8KVCacheDataTypeE0ELb0ELi512EEEvPfS3_PT_PKS4_PKT0_SA_ifPKiSC_iPKfiiiSE_SE_iiiii.has_recursion, 0
	.set _ZN4vllm25paged_attention_v2_kernelI14__hip_bfloat16S1_Li64ELi16ELi128ELNS_18Fp8KVCacheDataTypeE0ELb0ELi512EEEvPfS3_PT_PKS4_PKT0_SA_ifPKiSC_iPKfiiiSE_SE_iiiii.has_indirect_call, 0
	.section	.AMDGPU.csdata,"",@progbits
; Kernel info:
; codeLenInByte = 8288
; TotalNumSgprs: 34
; NumVgprs: 81
; ScratchSize: 0
; MemoryBound: 0
; FloatMode: 240
; IeeeMode: 1
; LDSByteSize: 160 bytes/workgroup (compile time only)
; SGPRBlocks: 0
; VGPRBlocks: 10
; NumSGPRsForWavesPerEU: 34
; NumVGPRsForWavesPerEU: 81
; Occupancy: 16
; WaveLimiterHint : 1
; COMPUTE_PGM_RSRC2:SCRATCH_EN: 0
; COMPUTE_PGM_RSRC2:USER_SGPR: 2
; COMPUTE_PGM_RSRC2:TRAP_HANDLER: 0
; COMPUTE_PGM_RSRC2:TGID_X_EN: 1
; COMPUTE_PGM_RSRC2:TGID_Y_EN: 1
; COMPUTE_PGM_RSRC2:TGID_Z_EN: 1
; COMPUTE_PGM_RSRC2:TIDIG_COMP_CNT: 0
	.section	.text._ZN4vllm25paged_attention_v2_kernelI14__hip_bfloat16S1_Li80ELi16ELi128ELNS_18Fp8KVCacheDataTypeE0ELb0ELi512EEEvPfS3_PT_PKS4_PKT0_SA_ifPKiSC_iPKfiiiSE_SE_iiiii,"axG",@progbits,_ZN4vllm25paged_attention_v2_kernelI14__hip_bfloat16S1_Li80ELi16ELi128ELNS_18Fp8KVCacheDataTypeE0ELb0ELi512EEEvPfS3_PT_PKS4_PKT0_SA_ifPKiSC_iPKfiiiSE_SE_iiiii,comdat
	.protected	_ZN4vllm25paged_attention_v2_kernelI14__hip_bfloat16S1_Li80ELi16ELi128ELNS_18Fp8KVCacheDataTypeE0ELb0ELi512EEEvPfS3_PT_PKS4_PKT0_SA_ifPKiSC_iPKfiiiSE_SE_iiiii ; -- Begin function _ZN4vllm25paged_attention_v2_kernelI14__hip_bfloat16S1_Li80ELi16ELi128ELNS_18Fp8KVCacheDataTypeE0ELb0ELi512EEEvPfS3_PT_PKS4_PKT0_SA_ifPKiSC_iPKfiiiSE_SE_iiiii
	.globl	_ZN4vllm25paged_attention_v2_kernelI14__hip_bfloat16S1_Li80ELi16ELi128ELNS_18Fp8KVCacheDataTypeE0ELb0ELi512EEEvPfS3_PT_PKS4_PKT0_SA_ifPKiSC_iPKfiiiSE_SE_iiiii
	.p2align	8
	.type	_ZN4vllm25paged_attention_v2_kernelI14__hip_bfloat16S1_Li80ELi16ELi128ELNS_18Fp8KVCacheDataTypeE0ELb0ELi512EEEvPfS3_PT_PKS4_PKT0_SA_ifPKiSC_iPKfiiiSE_SE_iiiii,@function
_ZN4vllm25paged_attention_v2_kernelI14__hip_bfloat16S1_Li80ELi16ELi128ELNS_18Fp8KVCacheDataTypeE0ELb0ELi512EEEvPfS3_PT_PKS4_PKT0_SA_ifPKiSC_iPKfiiiSE_SE_iiiii: ; @_ZN4vllm25paged_attention_v2_kernelI14__hip_bfloat16S1_Li80ELi16ELi128ELNS_18Fp8KVCacheDataTypeE0ELb0ELi512EEEvPfS3_PT_PKS4_PKT0_SA_ifPKiSC_iPKfiiiSE_SE_iiiii
; %bb.0:
	s_load_b64 s[2:3], s[0:1], 0x40
	s_and_b32 s14, ttmp7, 0xffff
	s_lshr_b32 s24, ttmp7, 16
	s_lshl_b32 s4, s14, 2
	s_lshl_b32 s26, s24, 9
	s_wait_kmcnt 0x0
	s_load_b32 s25, s[2:3], s4 offset:0x0
	s_wait_kmcnt 0x0
	s_cmp_ge_i32 s26, s25
	s_cbranch_scc1 .LBB164_66
; %bb.1:
	s_clause 0x1
	s_load_b32 s15, s[0:1], 0x90
	s_load_b64 s[6:7], s[0:1], 0x30
	s_wait_kmcnt 0x0
	s_abs_i32 s5, s15
	s_abs_i32 s2, s6
	s_delay_alu instid0(SALU_CYCLE_1) | instskip(SKIP_1) | instid1(SALU_CYCLE_2)
	s_cvt_f32_u32 s3, s2
	s_sub_co_i32 s4, 0, s2
	v_rcp_iflag_f32_e32 v1, s3
	s_delay_alu instid0(TRANS32_DEP_1) | instskip(SKIP_2) | instid1(SALU_CYCLE_2)
	v_readfirstlane_b32 s3, v1
	s_mul_f32 s3, s3, 0x4f7ffffe
	s_wait_alu 0xfffe
	s_cvt_u32_f32 s3, s3
	s_wait_alu 0xfffe
	s_delay_alu instid0(SALU_CYCLE_2) | instskip(NEXT) | instid1(SALU_CYCLE_1)
	s_mul_i32 s4, s4, s3
	s_mul_hi_u32 s4, s3, s4
	s_delay_alu instid0(SALU_CYCLE_1)
	s_add_co_i32 s3, s3, s4
	s_xor_b32 s4, s15, s6
	s_wait_alu 0xfffe
	s_mul_hi_u32 s3, s5, s3
	s_ashr_i32 s4, s4, 31
	s_wait_alu 0xfffe
	s_mul_i32 s6, s3, s2
	s_delay_alu instid0(SALU_CYCLE_1)
	s_sub_co_i32 s5, s5, s6
	s_add_co_i32 s6, s3, 1
	s_sub_co_i32 s8, s5, s2
	s_cmp_ge_u32 s5, s2
	s_cselect_b32 s3, s6, s3
	s_cselect_b32 s5, s8, s5
	s_wait_alu 0xfffe
	s_add_co_i32 s6, s3, 1
	s_cmp_ge_u32 s5, s2
	s_load_b64 s[8:9], s[0:1], 0x50
	s_cselect_b32 s2, s6, s3
	s_mov_b32 s3, 0
	s_wait_alu 0xfffe
	s_xor_b32 s2, s2, s4
	s_mov_b32 s6, s3
	s_wait_alu 0xfffe
	s_sub_co_i32 s12, s2, s4
	s_delay_alu instid0(SALU_CYCLE_1) | instskip(NEXT) | instid1(SALU_CYCLE_1)
	s_abs_i32 s11, s12
	s_cvt_f32_u32 s2, s11
	s_wait_alu 0xfffe
	s_delay_alu instid0(SALU_CYCLE_2) | instskip(NEXT) | instid1(TRANS32_DEP_1)
	v_rcp_iflag_f32_e32 v1, s2
	v_readfirstlane_b32 s2, v1
	s_mul_f32 s2, s2, 0x4f7ffffe
	s_wait_alu 0xfffe
	s_delay_alu instid0(SALU_CYCLE_2) | instskip(SKIP_2) | instid1(SALU_CYCLE_1)
	s_cvt_u32_f32 s4, s2
	s_sub_co_i32 s2, 0, s11
	s_wait_alu 0xfffe
	s_mul_i32 s2, s2, s4
	s_wait_alu 0xfffe
	s_mul_hi_u32 s5, s4, s2
	s_abs_i32 s2, ttmp9
	s_add_co_i32 s4, s4, s5
	s_mov_b32 s5, s3
	s_wait_kmcnt 0x0
	s_cmp_eq_u64 s[8:9], 0
	s_cbranch_scc1 .LBB164_3
; %bb.2:
	s_mov_b32 s16, ttmp9
	s_ashr_i32 s17, ttmp9, 31
	s_delay_alu instid0(SALU_CYCLE_1) | instskip(NEXT) | instid1(SALU_CYCLE_1)
	s_lshl_b64 s[16:17], s[16:17], 2
	s_add_nc_u64 s[8:9], s[8:9], s[16:17]
	s_load_b32 s6, s[8:9], 0x0
.LBB164_3:
	s_load_b96 s[8:10], s[0:1], 0x58
	v_lshrrev_b32_e32 v31, 1, v0
	v_and_b32_e32 v32, 1, v0
	v_lshlrev_b32_e32 v3, 3, v0
	s_mul_u64 s[4:5], s[2:3], s[4:5]
	s_ashr_i32 s3, ttmp9, 31
	s_ashr_i32 s4, s12, 31
	s_mul_i32 s12, ttmp9, 0x50
	s_mov_b32 s16, exec_lo
	v_cmpx_gt_u32_e32 20, v0
	s_cbranch_execz .LBB164_5
; %bb.4:
	s_load_b64 s[18:19], s[0:1], 0x18
	s_wait_kmcnt 0x0
	s_mul_i32 s20, s8, s14
	s_ashr_i32 s13, s12, 31
	s_ashr_i32 s21, s20, 31
	v_lshlrev_b32_e32 v4, 3, v31
	s_lshl_b64 s[20:21], s[20:21], 1
	s_delay_alu instid0(VALU_DEP_1) | instskip(SKIP_2) | instid1(SALU_CYCLE_1)
	v_mad_u32_u24 v4, 0x50, v32, v4
	s_add_nc_u64 s[18:19], s[18:19], s[20:21]
	s_lshl_b64 s[20:21], s[12:13], 1
	s_add_nc_u64 s[18:19], s[18:19], s[20:21]
	global_load_b64 v[1:2], v3, s[18:19]
	s_wait_loadcnt 0x0
	ds_store_b64 v4, v[1:2]
.LBB164_5:
	s_or_b32 exec_lo, exec_lo, s16
	s_wait_kmcnt 0x0
	s_add_co_i32 s8, s25, 15
	s_wait_alu 0xfffe
	s_xor_b32 s3, s3, s4
	s_ashr_i32 s13, s8, 31
	s_lshl_b32 s28, s24, 5
	s_lshr_b32 s4, s13, 28
	s_mul_i32 s13, s5, s11
	s_add_co_i32 s8, s8, s4
	s_add_co_i32 s4, s28, 32
	s_ashr_i32 s27, s8, 4
	s_load_b32 s8, s[0:1], 0x48
	s_sub_co_i32 s2, s2, s13
	s_min_i32 s13, s4, s27
	s_add_co_i32 s4, s5, 1
	s_wait_alu 0xfffe
	s_sub_co_i32 s16, s2, s11
	s_cmp_ge_u32 s2, s11
	v_lshrrev_b32_e32 v33, 5, v0
	s_cselect_b32 s4, s4, s5
	s_cselect_b32 s2, s16, s2
	s_add_co_i32 s5, s4, 1
	s_wait_alu 0xfffe
	s_cmp_ge_u32 s2, s11
	v_or_b32_e32 v34, s28, v33
	s_cselect_b32 s2, s5, s4
	v_mbcnt_lo_u32_b32 v6, -1, 0
	s_wait_alu 0xfffe
	s_xor_b32 s2, s2, s3
	s_mov_b32 s4, exec_lo
	s_wait_alu 0xfffe
	s_sub_co_i32 s3, s2, s3
	v_cmp_gt_i32_e64 s2, s13, v34
	s_wait_dscnt 0x0
	s_barrier_signal -1
	s_wait_kmcnt 0x0
	s_mul_i32 s16, s8, s14
	s_barrier_wait -1
	s_ashr_i32 s17, s16, 31
	global_inv scope:SCOPE_SE
                                        ; implicit-def: $vgpr7
                                        ; implicit-def: $vgpr8
	v_cmpx_le_i32_e64 s13, v34
	s_xor_b32 s4, exec_lo, s4
; %bb.6:
	v_dual_mov_b32 v7, 0 :: v_dual_mov_b32 v8, 32
	v_mbcnt_lo_u32_b32 v6, -1, 0
; %bb.7:
	s_or_saveexec_b32 s11, s4
	s_clause 0x1
	s_load_b64 s[18:19], s[0:1], 0x38
	s_load_b32 s8, s[0:1], 0x98
	v_dual_mov_b32 v46, 0xff7fffff :: v_dual_lshlrev_b32 v5, 4, v33
	v_lshlrev_b32_e32 v4, 2, v34
	s_mul_i32 s20, s3, s10
	s_xor_b32 exec_lo, exec_lo, s11
	s_cbranch_execz .LBB164_13
; %bb.8:
	s_load_b64 s[4:5], s[0:1], 0x20
	v_mul_u32_u24_e32 v1, 0x50, v32
	v_bfe_u32 v2, v0, 1, 4
	s_ashr_i32 s21, s20, 31
	v_dual_mov_b32 v7, 0 :: v_dual_and_b32 v8, 8, v3
	ds_load_b128 v[15:18], v1
	ds_load_b128 v[23:26], v1 offset:16
	ds_load_b128 v[35:38], v1 offset:32
	;; [unrolled: 1-line block ×3, first 2 shown]
	v_lshlrev_b32_e32 v9, 4, v2
	s_lshl_b64 s[22:23], s[20:21], 1
	ds_load_b128 v[52:55], v1 offset:64
	v_xor_b32_e32 v1, 1, v6
	s_cmp_neq_f32 s6, 0
	v_add3_u32 v57, s26, v5, v2
	s_mov_b32 s21, s9
	s_mov_b32 s10, 0
	v_mov_b32_e32 v59, v34
	s_wait_kmcnt 0x0
	s_add_nc_u64 s[4:5], s[4:5], s[22:23]
	s_delay_alu instid0(SALU_CYCLE_1)
	v_add_co_u32 v19, s3, s4, v9
	s_wait_alu 0xf1ff
	v_add_co_ci_u32_e64 v20, null, s5, 0, s3
	s_wait_dscnt 0x4
	v_lshlrev_b32_e32 v11, 16, v16
	v_and_b32_e32 v12, 0xffff0000, v16
	v_add_co_u32 v16, vcc_lo, v19, v8
	v_lshlrev_b32_e32 v13, 16, v17
	v_and_b32_e32 v14, 0xffff0000, v17
	v_add_co_ci_u32_e64 v17, null, 0, v20, vcc_lo
	v_cmp_gt_i32_e32 vcc_lo, 32, v1
	v_and_b32_e32 v10, 0xffff0000, v15
	s_wait_dscnt 0x1
	v_lshlrev_b32_e32 v39, 16, v43
	v_and_b32_e32 v40, 0xffff0000, v43
	v_lshlrev_b32_e32 v41, 16, v44
	v_and_b32_e32 v42, 0xffff0000, v44
	;; [unrolled: 2-line block ×4, first 2 shown]
	s_wait_alu 0xfffd
	v_dual_cndmask_b32 v1, v6, v1 :: v_dual_lshlrev_b32 v46, 2, v2
	s_cselect_b32 s3, -1, 0
	s_lshl_b64 s[4:5], s[16:17], 2
	v_lshlrev_b32_e32 v9, 16, v15
	s_delay_alu instid0(VALU_DEP_2)
	v_lshlrev_b32_e32 v56, 2, v1
	v_lshl_or_b32 v1, v33, 6, v46
	s_wait_alu 0xfffe
	s_add_nc_u64 s[4:5], s[18:19], s[4:5]
	v_lshlrev_b32_e32 v15, 16, v18
	v_and_b32_e32 v18, 0xffff0000, v18
	v_lshlrev_b32_e32 v19, 16, v23
	v_add_nc_u32_e32 v58, 0xc0, v1
	s_wait_alu 0xfffe
	v_add_co_u32 v1, s4, s4, v4
	v_and_b32_e32 v20, 0xffff0000, v23
	v_lshlrev_b32_e32 v21, 16, v24
	v_and_b32_e32 v22, 0xffff0000, v24
	v_lshlrev_b32_e32 v23, 16, v25
	;; [unrolled: 2-line block ×7, first 2 shown]
	v_and_b32_e32 v38, 0xffff0000, v38
	s_wait_dscnt 0x0
	v_lshlrev_b32_e32 v48, 16, v52
	v_and_b32_e32 v49, 0xffff0000, v52
	v_lshlrev_b32_e32 v50, 16, v53
	v_and_b32_e32 v51, 0xffff0000, v53
	;; [unrolled: 2-line block ×3, first 2 shown]
	v_lshlrev_b32_e32 v54, 16, v55
	v_dual_mov_b32 v8, 32 :: v_dual_and_b32 v55, 0xffff0000, v55
	s_wait_alu 0xf1ff
	v_add_co_ci_u32_e64 v2, null, s5, 0, s4
	v_mov_b32_e32 v46, 0xff7fffff
	s_sub_co_i32 s22, 1, s25
	v_cmp_eq_u32_e32 vcc_lo, 0, v32
	s_branch .LBB164_10
.LBB164_9:                              ;   in Loop: Header=BB164_10 Depth=1
	s_wait_alu 0xfffe
	s_or_b32 exec_lo, exec_lo, s5
	v_add_nc_u32_e32 v59, 4, v59
	v_add_co_u32 v1, s5, v1, 16
	v_add_nc_u32_e32 v57, 64, v57
	v_add_nc_u32_e32 v58, 0x100, v58
	s_delay_alu instid0(VALU_DEP_4) | instskip(SKIP_3) | instid1(SALU_CYCLE_1)
	v_cmp_le_i32_e64 s4, s13, v59
	s_wait_alu 0xf1ff
	v_add_co_ci_u32_e64 v2, null, 0, v2, s5
	s_or_b32 s10, s4, s10
	s_and_not1_b32 exec_lo, exec_lo, s10
	s_cbranch_execz .LBB164_12
.LBB164_10:                             ; =>This Inner Loop Header: Depth=1
	global_load_b32 v60, v[1:2], off
	s_wait_loadcnt_dscnt 0x0
	v_mad_co_i64_i32 v[60:61], null, v60, s21, 0
	s_delay_alu instid0(VALU_DEP_1) | instskip(NEXT) | instid1(VALU_DEP_1)
	v_lshlrev_b64_e32 v[60:61], 1, v[60:61]
	v_add_co_u32 v60, s4, v16, v60
	s_wait_alu 0xf1ff
	s_delay_alu instid0(VALU_DEP_2)
	v_add_co_ci_u32_e64 v61, null, v17, v61, s4
	s_clause 0x9
	global_load_b64 v[62:63], v[60:61], off
	global_load_b64 v[64:65], v[60:61], off offset:256
	global_load_b64 v[66:67], v[60:61], off offset:512
	global_load_b64 v[68:69], v[60:61], off offset:768
	global_load_b64 v[70:71], v[60:61], off offset:1024
	global_load_b64 v[72:73], v[60:61], off offset:1280
	global_load_b64 v[74:75], v[60:61], off offset:1536
	global_load_b64 v[76:77], v[60:61], off offset:1792
	global_load_b64 v[78:79], v[60:61], off offset:2048
	global_load_b64 v[60:61], v[60:61], off offset:2304
	s_wait_loadcnt 0x8
	v_lshlrev_b32_e32 v83, 16, v65
	v_lshlrev_b32_e32 v80, 16, v62
	v_and_b32_e32 v65, 0xffff0000, v65
	s_delay_alu instid0(VALU_DEP_3) | instskip(SKIP_2) | instid1(VALU_DEP_4)
	v_dual_mul_f32 v83, v15, v83 :: v_dual_and_b32 v62, 0xffff0000, v62
	v_lshlrev_b32_e32 v82, 16, v64
	v_lshlrev_b32_e32 v81, 16, v63
	v_dual_mul_f32 v65, v18, v65 :: v_dual_and_b32 v64, 0xffff0000, v64
	s_delay_alu instid0(VALU_DEP_3) | instskip(NEXT) | instid1(VALU_DEP_2)
	v_dual_mul_f32 v82, v13, v82 :: v_dual_and_b32 v63, 0xffff0000, v63
	v_dual_fmac_f32 v83, v11, v81 :: v_dual_mul_f32 v64, v14, v64
	s_delay_alu instid0(VALU_DEP_2) | instskip(SKIP_4) | instid1(VALU_DEP_3)
	v_dual_fmac_f32 v65, v12, v63 :: v_dual_fmac_f32 v82, v9, v80
	s_wait_loadcnt 0x7
	v_lshlrev_b32_e32 v85, 16, v67
	v_lshlrev_b32_e32 v84, 16, v66
	v_dual_fmac_f32 v64, v10, v62 :: v_dual_and_b32 v67, 0xffff0000, v67
	v_dual_fmac_f32 v83, v21, v85 :: v_dual_and_b32 v66, 0xffff0000, v66
	s_wait_loadcnt 0x6
	s_delay_alu instid0(VALU_DEP_3) | instskip(NEXT) | instid1(VALU_DEP_3)
	v_dual_fmac_f32 v82, v19, v84 :: v_dual_lshlrev_b32 v87, 16, v69
	v_dual_fmac_f32 v65, v22, v67 :: v_dual_lshlrev_b32 v86, 16, v68
	s_delay_alu instid0(VALU_DEP_3) | instskip(NEXT) | instid1(VALU_DEP_2)
	v_dual_fmac_f32 v64, v20, v66 :: v_dual_and_b32 v69, 0xffff0000, v69
	v_dual_fmac_f32 v83, v25, v87 :: v_dual_fmac_f32 v82, v23, v86
	s_wait_loadcnt 0x5
	v_lshlrev_b32_e32 v89, 16, v71
	v_lshlrev_b32_e32 v88, 16, v70
	v_dual_fmac_f32 v65, v26, v69 :: v_dual_and_b32 v68, 0xffff0000, v68
	s_delay_alu instid0(VALU_DEP_2) | instskip(SKIP_4) | instid1(VALU_DEP_3)
	v_dual_fmac_f32 v83, v29, v89 :: v_dual_fmac_f32 v82, v27, v88
	s_wait_loadcnt 0x4
	v_lshlrev_b32_e32 v91, 16, v73
	v_lshlrev_b32_e32 v90, 16, v72
	v_dual_fmac_f32 v64, v24, v68 :: v_dual_and_b32 v71, 0xffff0000, v71
	v_dual_fmac_f32 v83, v37, v91 :: v_dual_and_b32 v70, 0xffff0000, v70
	s_wait_loadcnt 0x3
	s_delay_alu instid0(VALU_DEP_3) | instskip(NEXT) | instid1(VALU_DEP_3)
	v_dual_fmac_f32 v82, v35, v90 :: v_dual_lshlrev_b32 v93, 16, v75
	v_dual_fmac_f32 v65, v30, v71 :: v_dual_lshlrev_b32 v92, 16, v74
	s_delay_alu instid0(VALU_DEP_3) | instskip(NEXT) | instid1(VALU_DEP_3)
	v_dual_fmac_f32 v64, v28, v70 :: v_dual_and_b32 v73, 0xffff0000, v73
	v_dual_fmac_f32 v83, v41, v93 :: v_dual_and_b32 v72, 0xffff0000, v72
	s_wait_loadcnt 0x2
	s_delay_alu instid0(VALU_DEP_3) | instskip(NEXT) | instid1(VALU_DEP_3)
	v_dual_fmac_f32 v82, v39, v92 :: v_dual_lshlrev_b32 v95, 16, v77
	v_dual_fmac_f32 v65, v38, v73 :: v_dual_lshlrev_b32 v94, 16, v76
	s_delay_alu instid0(VALU_DEP_3) | instskip(NEXT) | instid1(VALU_DEP_3)
	v_dual_fmac_f32 v64, v36, v72 :: v_dual_and_b32 v75, 0xffff0000, v75
	v_dual_fmac_f32 v83, v45, v95 :: v_dual_and_b32 v74, 0xffff0000, v74
	s_wait_loadcnt 0x1
	s_delay_alu instid0(VALU_DEP_3) | instskip(NEXT) | instid1(VALU_DEP_3)
	v_dual_fmac_f32 v82, v43, v94 :: v_dual_lshlrev_b32 v67, 16, v79
	v_dual_fmac_f32 v65, v42, v75 :: v_dual_and_b32 v62, 0xffff0000, v77
	s_delay_alu instid0(VALU_DEP_2) | instskip(NEXT) | instid1(VALU_DEP_2)
	v_dual_fmac_f32 v64, v40, v74 :: v_dual_fmac_f32 v83, v50, v67
	v_dual_fmac_f32 v65, v47, v62 :: v_dual_and_b32 v76, 0xffff0000, v76
	s_delay_alu instid0(VALU_DEP_1) | instskip(SKIP_1) | instid1(VALU_DEP_1)
	v_dual_fmac_f32 v64, v44, v76 :: v_dual_and_b32 v63, 0xffff0000, v78
	s_wait_loadcnt 0x0
	v_dual_fmac_f32 v64, v49, v63 :: v_dual_lshlrev_b32 v69, 16, v60
	v_lshlrev_b32_e32 v63, 16, v61
	s_delay_alu instid0(VALU_DEP_1) | instskip(NEXT) | instid1(VALU_DEP_1)
	v_dual_fmac_f32 v83, v54, v63 :: v_dual_and_b32 v60, 0xffff0000, v60
	v_fmac_f32_e32 v64, v53, v60
	v_and_b32_e32 v68, 0xffff0000, v79
	v_lshlrev_b32_e32 v66, 16, v78
	s_delay_alu instid0(VALU_DEP_2) | instskip(NEXT) | instid1(VALU_DEP_1)
	v_dual_fmac_f32 v65, v51, v68 :: v_dual_and_b32 v60, 0xffff0000, v61
	v_dual_fmac_f32 v82, v48, v66 :: v_dual_fmac_f32 v65, v55, v60
	s_delay_alu instid0(VALU_DEP_1) | instskip(NEXT) | instid1(VALU_DEP_1)
	v_fmac_f32_e32 v82, v52, v69
	v_add_f32_e32 v61, v82, v64
	s_delay_alu instid0(VALU_DEP_1) | instskip(NEXT) | instid1(VALU_DEP_1)
	v_add_f32_e32 v60, v61, v83
	v_add_f32_e32 v60, v65, v60
	ds_bpermute_b32 v61, v56, v60
	s_and_saveexec_b32 s5, vcc_lo
	s_cbranch_execz .LBB164_9
; %bb.11:                               ;   in Loop: Header=BB164_10 Depth=1
	s_wait_dscnt 0x0
	v_add_f32_e32 v60, v60, v61
	v_add_nc_u32_e32 v62, s22, v57
	v_cmp_gt_i32_e64 s4, s25, v57
	s_delay_alu instid0(VALU_DEP_2) | instskip(NEXT) | instid1(VALU_DEP_1)
	v_cvt_f32_i32_e32 v62, v62
	v_mul_f32_e32 v62, s6, v62
	s_delay_alu instid0(VALU_DEP_1) | instskip(NEXT) | instid1(VALU_DEP_1)
	v_cndmask_b32_e64 v61, 0, v62, s3
	v_dual_max_num_f32 v62, v46, v46 :: v_dual_fmac_f32 v61, s7, v60
	s_delay_alu instid0(VALU_DEP_1) | instskip(SKIP_2) | instid1(VALU_DEP_2)
	v_max_num_f32_e32 v60, v62, v61
	s_wait_alu 0xf1ff
	v_cndmask_b32_e64 v61, 0, v61, s4
	v_cndmask_b32_e64 v46, v46, v60, s4
	ds_store_b32 v58, v61
	s_branch .LBB164_9
.LBB164_12:
	s_or_b32 exec_lo, exec_lo, s10
.LBB164_13:
	s_delay_alu instid0(SALU_CYCLE_1)
	s_or_b32 exec_lo, exec_lo, s11
	v_xor_b32_e32 v1, 16, v6
	v_xor_b32_e32 v2, 8, v6
	v_max_num_f32_e32 v11, v46, v46
	v_xor_b32_e32 v12, 2, v6
	s_clause 0x2
	s_load_b128 s[4:7], s[0:1], 0x0
	s_load_b64 s[10:11], s[0:1], 0x10
	s_load_b64 s[22:23], s[0:1], 0x28
	v_cmp_lt_i32_e32 vcc_lo, v1, v8
	v_and_b32_e32 v35, 31, v0
	s_wait_alu 0xfffd
	v_cndmask_b32_e32 v1, v6, v1, vcc_lo
	v_cmp_lt_i32_e32 vcc_lo, v2, v8
	s_wait_alu 0xfffd
	v_cndmask_b32_e32 v2, v6, v2, vcc_lo
	s_delay_alu instid0(VALU_DEP_1) | instskip(SKIP_4) | instid1(VALU_DEP_1)
	v_lshlrev_b32_e32 v10, 2, v2
	v_lshlrev_b32_e32 v9, 2, v1
	ds_bpermute_b32 v1, v9, v46
	s_wait_dscnt 0x0
	v_max_num_f32_e32 v1, v1, v1
	v_max_num_f32_e32 v1, v11, v1
	v_xor_b32_e32 v11, 4, v6
	ds_bpermute_b32 v2, v10, v1
	v_cmp_lt_i32_e32 vcc_lo, v11, v8
	s_wait_alu 0xfffd
	v_cndmask_b32_e32 v11, v6, v11, vcc_lo
	v_cmp_lt_i32_e32 vcc_lo, v12, v8
	s_wait_alu 0xfffd
	s_delay_alu instid0(VALU_DEP_2) | instskip(SKIP_3) | instid1(VALU_DEP_1)
	v_dual_cndmask_b32 v12, v6, v12 :: v_dual_lshlrev_b32 v11, 2, v11
	v_cmp_eq_u32_e32 vcc_lo, 0, v35
	s_wait_dscnt 0x0
	v_max_num_f32_e32 v2, v2, v2
	v_max_num_f32_e32 v1, v1, v2
	ds_bpermute_b32 v2, v11, v1
	s_wait_dscnt 0x0
	v_max_num_f32_e32 v2, v2, v2
	s_delay_alu instid0(VALU_DEP_1)
	v_dual_max_num_f32 v1, v1, v2 :: v_dual_lshlrev_b32 v2, 2, v12
	v_lshlrev_b32_e32 v12, 2, v33
	ds_bpermute_b32 v13, v2, v1
	s_and_saveexec_b32 s0, vcc_lo
	s_cbranch_execz .LBB164_15
; %bb.14:
	s_wait_dscnt 0x0
	v_max_num_f32_e32 v13, v13, v13
	v_max_num_f32_e32 v1, v1, v1
	s_delay_alu instid0(VALU_DEP_1)
	v_max_num_f32_e32 v1, v1, v13
	ds_store_b32 v12, v1 offset:160
.LBB164_15:
	s_or_b32 exec_lo, exec_lo, s0
	v_cmp_gt_u32_e64 s0, 4, v35
	v_mov_b32_e32 v1, 0xff7fffff
	s_wait_dscnt 0x0
	v_lshlrev_b32_e32 v13, 2, v35
	s_wait_loadcnt 0x0
	s_barrier_signal -1
	s_barrier_wait -1
	global_inv scope:SCOPE_SE
	s_and_saveexec_b32 s1, s0
; %bb.16:
	ds_load_b32 v1, v13 offset:160
; %bb.17:
	s_or_b32 exec_lo, exec_lo, s1
	s_wait_dscnt 0x0
	ds_bpermute_b32 v14, v2, v1
	v_xor_b32_e32 v15, 1, v6
	v_max_num_f32_e32 v1, v1, v1
	v_lshlrev_b32_e32 v7, 2, v7
	s_delay_alu instid0(VALU_DEP_3) | instskip(NEXT) | instid1(VALU_DEP_1)
	v_cmp_lt_i32_e64 s1, v15, v8
	v_cndmask_b32_e64 v8, v6, v15, s1
	s_sub_co_i32 s1, s13, s28
	s_wait_alu 0xfffe
	s_lshl_b32 s1, s1, 4
	s_wait_alu 0xfffe
	s_add_co_i32 s1, s1, s26
	s_wait_alu 0xfffe
	s_min_i32 s1, s1, s25
	s_wait_dscnt 0x0
	v_max_num_f32_e32 v14, v14, v14
	v_lshlrev_b32_e32 v36, 2, v8
	s_wait_alu 0xfffe
	s_sub_co_i32 s21, s1, s26
	s_wait_alu 0xfffe
	v_cmp_gt_i32_e64 s1, s21, v0
	v_max_num_f32_e32 v1, v1, v14
	ds_bpermute_b32 v8, v36, v1
	s_wait_dscnt 0x0
	v_max_num_f32_e32 v8, v8, v8
	s_delay_alu instid0(VALU_DEP_1)
	v_dual_max_num_f32 v1, v1, v8 :: v_dual_mov_b32 v8, 0
	ds_bpermute_b32 v1, v7, v1
	v_lshl_add_u32 v7, v0, 2, 0xc0
	s_and_saveexec_b32 s28, s1
	s_cbranch_execz .LBB164_21
; %bb.18:
	v_lshl_add_u32 v14, v0, 2, 0xc0
	v_dual_mov_b32 v8, 0 :: v_dual_mov_b32 v15, v0
	s_mov_b32 s29, 0
.LBB164_19:                             ; =>This Inner Loop Header: Depth=1
	ds_load_b32 v16, v14
	v_add_nc_u32_e32 v15, 0x80, v15
	s_delay_alu instid0(VALU_DEP_1) | instskip(SKIP_4) | instid1(VALU_DEP_1)
	v_cmp_le_i32_e64 s3, s21, v15
	s_wait_alu 0xfffe
	s_or_b32 s29, s3, s29
	s_wait_dscnt 0x0
	v_sub_f32_e32 v16, v16, v1
	v_mul_f32_e32 v16, 0x3fb8aa3b, v16
	s_delay_alu instid0(VALU_DEP_1)
	v_exp_f32_e32 v16, v16
	ds_store_b32 v14, v16
	v_add_f32_e32 v8, v8, v16
	v_add_nc_u32_e32 v14, 0x200, v14
	s_wait_alu 0xfffe
	s_and_not1_b32 exec_lo, exec_lo, s29
	s_cbranch_execnz .LBB164_19
; %bb.20:
	s_or_b32 exec_lo, exec_lo, s29
.LBB164_21:
	s_wait_alu 0xfffe
	s_or_b32 exec_lo, exec_lo, s28
	ds_bpermute_b32 v9, v9, v8
	s_wait_dscnt 0x0
	v_add_f32_e32 v8, v8, v9
	ds_bpermute_b32 v9, v10, v8
	s_wait_dscnt 0x0
	v_add_f32_e32 v8, v8, v9
	;; [unrolled: 3-line block ×5, first 2 shown]
	s_and_saveexec_b32 s3, vcc_lo
; %bb.22:
	ds_store_b32 v12, v8 offset:176
; %bb.23:
	s_wait_alu 0xfffe
	s_or_b32 exec_lo, exec_lo, s3
	s_wait_loadcnt_dscnt 0x0
	s_barrier_signal -1
	s_barrier_wait -1
	global_inv scope:SCOPE_SE
	s_and_saveexec_b32 s3, s0
; %bb.24:
	ds_load_b32 v8, v13 offset:176
; %bb.25:
	s_wait_alu 0xfffe
	s_or_b32 exec_lo, exec_lo, s3
	s_wait_dscnt 0x0
	ds_bpermute_b32 v2, v2, v8
	v_lshlrev_b32_e32 v6, 2, v6
	s_delay_alu instid0(VALU_DEP_1)
	v_and_b32_e32 v6, 0xffffff80, v6
	s_wait_dscnt 0x0
	v_add_f32_e32 v2, v8, v2
	ds_bpermute_b32 v8, v36, v2
	s_wait_dscnt 0x0
	v_add_f32_e32 v2, v2, v8
	ds_bpermute_b32 v2, v6, v2
	s_and_saveexec_b32 s0, s1
	s_cbranch_execz .LBB164_28
; %bb.26:
	s_wait_dscnt 0x0
	v_add_f32_e32 v6, 0x358637bd, v2
	s_mov_b32 s1, 0
	s_delay_alu instid0(VALU_DEP_1) | instskip(NEXT) | instid1(VALU_DEP_1)
	v_div_scale_f32 v8, null, v6, v6, 1.0
	v_rcp_f32_e32 v9, v8
	s_delay_alu instid0(TRANS32_DEP_1) | instskip(NEXT) | instid1(VALU_DEP_1)
	v_fma_f32 v10, -v8, v9, 1.0
	v_fmac_f32_e32 v9, v10, v9
	v_div_scale_f32 v11, vcc_lo, 1.0, v6, 1.0
	s_delay_alu instid0(VALU_DEP_1) | instskip(NEXT) | instid1(VALU_DEP_1)
	v_mul_f32_e32 v10, v11, v9
	v_fma_f32 v12, -v8, v10, v11
	s_delay_alu instid0(VALU_DEP_1) | instskip(NEXT) | instid1(VALU_DEP_1)
	v_fmac_f32_e32 v10, v12, v9
	v_fma_f32 v8, -v8, v10, v11
	s_wait_alu 0xfffd
	s_delay_alu instid0(VALU_DEP_1) | instskip(NEXT) | instid1(VALU_DEP_1)
	v_div_fmas_f32 v8, v8, v9, v10
	v_div_fixup_f32 v6, v8, v6, 1.0
	v_mov_b32_e32 v8, v0
.LBB164_27:                             ; =>This Inner Loop Header: Depth=1
	ds_load_b32 v9, v7
	s_wait_dscnt 0x0
	v_dual_mul_f32 v9, v6, v9 :: v_dual_add_nc_u32 v8, 0x80, v8
	s_delay_alu instid0(VALU_DEP_1)
	v_cmp_le_i32_e32 vcc_lo, s21, v8
	ds_store_b32 v7, v9
	v_add_nc_u32_e32 v7, 0x200, v7
	s_wait_alu 0xfffe
	s_or_b32 s1, vcc_lo, s1
	s_wait_alu 0xfffe
	s_and_not1_b32 exec_lo, exec_lo, s1
	s_cbranch_execnz .LBB164_27
.LBB164_28:
	s_wait_alu 0xfffe
	s_or_b32 exec_lo, exec_lo, s0
	s_wait_kmcnt 0x0
	s_mul_i32 s0, s8, s14
	s_wait_loadcnt_dscnt 0x0
	s_wait_alu 0xfffe
	s_mul_i32 s14, s0, s15
	s_mov_b32 s0, exec_lo
	s_barrier_signal -1
	s_barrier_wait -1
	global_inv scope:SCOPE_SE
	v_cmpx_eq_u32_e32 0, v0
	s_cbranch_execz .LBB164_30
; %bb.29:
	s_ashr_i32 s15, s14, 31
	s_wait_alu 0xfffe
	s_mul_i32 s28, s8, ttmp9
	s_lshl_b32 s1, s24, 2
	s_lshl_b64 s[30:31], s[14:15], 2
	s_wait_alu 0xfffe
	s_ashr_i32 s29, s28, 31
	v_mov_b32_e32 v6, s1
	s_add_nc_u64 s[6:7], s[6:7], s[30:31]
	s_wait_alu 0xfffe
	s_lshl_b64 s[28:29], s[28:29], 2
	s_add_nc_u64 s[4:5], s[4:5], s[30:31]
	s_wait_alu 0xfffe
	s_add_nc_u64 s[6:7], s[6:7], s[28:29]
	s_add_nc_u64 s[4:5], s[4:5], s[28:29]
	s_clause 0x1
	global_store_b32 v6, v1, s[6:7]
	global_store_b32 v6, v2, s[4:5]
.LBB164_30:
	s_wait_alu 0xfffe
	s_or_b32 exec_lo, exec_lo, s0
	v_dual_mov_b32 v40, 0 :: v_dual_mov_b32 v41, 0
	v_dual_mov_b32 v39, 0 :: v_dual_mov_b32 v38, 0
	v_mov_b32_e32 v37, 0
	s_and_saveexec_b32 s1, s2
	s_cbranch_execz .LBB164_44
; %bb.31:
	v_dual_mov_b32 v37, 0 :: v_dual_lshlrev_b32 v2, 4, v0
	s_ashr_i32 s21, s20, 31
	v_dual_mov_b32 v38, 0 :: v_dual_and_b32 v1, 8, v3
	s_delay_alu instid0(VALU_DEP_2)
	v_dual_mov_b32 v39, 0 :: v_dual_and_b32 v2, 0x1f0, v2
	s_wait_alu 0xfffe
	s_lshl_b64 s[4:5], s[20:21], 1
	v_dual_mov_b32 v40, 0 :: v_dual_lshlrev_b32 v3, 5, v32
	s_wait_alu 0xfffe
	s_add_nc_u64 s[4:5], s[22:23], s[4:5]
	v_add3_u32 v44, s26, v5, v1
	s_wait_alu 0xfffe
	v_add_co_u32 v42, s0, s4, v2
	s_wait_alu 0xf1ff
	v_add_co_ci_u32_e64 v43, null, s5, 0, s0
	s_lshl_b64 s[4:5], s[16:17], 2
	v_lshl_or_b32 v3, v33, 6, v3
	s_wait_alu 0xfffe
	s_add_nc_u64 s[4:5], s[18:19], s[4:5]
	v_mov_b32_e32 v41, 0
	s_wait_alu 0xfffe
	v_add_co_u32 v29, s0, s4, v4
	v_add_nc_u32_e32 v45, 0xc0, v3
	s_wait_alu 0xf1ff
	v_add_co_ci_u32_e64 v30, null, s5, 0, s0
	s_mov_b32 s2, s9
	s_add_co_i32 s3, s27, -1
	s_mov_b32 s5, s25
	s_mov_b32 s4, 0
	s_branch .LBB164_33
.LBB164_32:                             ;   in Loop: Header=BB164_33 Depth=1
	s_wait_alu 0xfffe
	s_or_b32 exec_lo, exec_lo, s0
	s_wait_dscnt 0x1
	v_bfe_u32 v46, v21, 16, 1
	v_bfe_u32 v47, v22, 16, 1
	v_or_b32_e32 v48, 0x400000, v21
	v_cmp_u_f32_e32 vcc_lo, v21, v21
	v_or_b32_e32 v49, 0x400000, v22
	v_add3_u32 v46, v46, v21, 0x7fff
	v_bfe_u32 v50, v23, 16, 1
	v_add3_u32 v47, v47, v22, 0x7fff
	v_bfe_u32 v51, v24, 16, 1
	s_wait_alu 0xfffd
	v_dual_cndmask_b32 v21, v46, v48 :: v_dual_add_nc_u32 v34, 4, v34
	v_cmp_u_f32_e32 vcc_lo, v22, v22
	v_add3_u32 v46, v50, v23, 0x7fff
	v_add3_u32 v48, v51, v24, 0x7fff
	s_wait_dscnt 0x0
	v_bfe_u32 v50, v17, 16, 1
	v_add_co_u32 v29, s0, v29, 16
	s_wait_alu 0xfffd
	v_cndmask_b32_e32 v22, v47, v49, vcc_lo
	v_or_b32_e32 v47, 0x400000, v23
	v_cmp_u_f32_e32 vcc_lo, v23, v23
	v_or_b32_e32 v49, 0x400000, v24
	s_wait_alu 0xf1ff
	v_add_co_ci_u32_e64 v30, null, 0, v30, s0
	v_add_nc_u32_e32 v45, 0x100, v45
	s_wait_alu 0xfffd
	v_cndmask_b32_e32 v23, v46, v47, vcc_lo
	v_cmp_u_f32_e32 vcc_lo, v24, v24
	v_bfe_u32 v46, v18, 16, 1
	v_add3_u32 v47, v50, v17, 0x7fff
	v_bfe_u32 v50, v19, 16, 1
	v_add_nc_u32_e32 v44, 64, v44
	s_wait_alu 0xfffd
	v_cndmask_b32_e32 v24, v48, v49, vcc_lo
	v_or_b32_e32 v48, 0x400000, v17
	v_cmp_u_f32_e32 vcc_lo, v17, v17
	v_add3_u32 v46, v46, v18, 0x7fff
	v_or_b32_e32 v49, 0x400000, v18
	s_wait_alu 0xfffd
	v_cndmask_b32_e32 v47, v47, v48, vcc_lo
	v_cmp_u_f32_e32 vcc_lo, v18, v18
	v_add3_u32 v18, v50, v19, 0x7fff
	v_bfe_u32 v48, v20, 16, 1
	v_or_b32_e32 v50, 0x400000, v20
	s_wait_alu 0xfffd
	v_cndmask_b32_e32 v46, v46, v49, vcc_lo
	v_or_b32_e32 v49, 0x400000, v19
	v_cmp_u_f32_e32 vcc_lo, v19, v19
	v_add3_u32 v48, v48, v20, 0x7fff
	s_wait_alu 0xfffd
	s_delay_alu instid0(VALU_DEP_3)
	v_dual_cndmask_b32 v49, v18, v49 :: v_dual_and_b32 v18, 0xffff0000, v24
	s_wait_loadcnt 0x1
	v_and_b32_e32 v24, 0xffff0000, v26
	v_and_b32_e32 v17, 0xffff0000, v22
	;; [unrolled: 1-line block ×3, first 2 shown]
	v_cmp_u_f32_e32 vcc_lo, v20, v20
	s_delay_alu instid0(VALU_DEP_4) | instskip(NEXT) | instid1(VALU_DEP_3)
	v_dual_mul_f32 v52, v18, v24 :: v_dual_lshlrev_b32 v25, 16, v25
	v_dual_mul_f32 v22, v17, v22 :: v_dual_and_b32 v21, 0xffff0000, v21
	s_wait_alu 0xfffd
	v_cndmask_b32_e32 v20, v48, v50, vcc_lo
	v_and_b32_e32 v24, 0xffff0000, v23
	v_lshlrev_b32_e32 v23, 16, v26
	v_mul_f32_e32 v25, v21, v25
	v_bfe_u32 v19, v22, 16, 1
	v_or_b32_e32 v50, 0x400000, v22
	v_cmp_u_f32_e32 vcc_lo, v22, v22
	v_mul_f32_e32 v23, v24, v23
	v_bfe_u32 v48, v25, 16, 1
	v_add3_u32 v19, v19, v22, 0x7fff
	v_or_b32_e32 v51, 0x400000, v25
	v_and_b32_e32 v20, 0xffff0000, v20
	s_delay_alu instid0(VALU_DEP_4)
	v_add3_u32 v48, v48, v25, 0x7fff
	s_wait_alu 0xfffd
	v_cndmask_b32_e32 v26, v19, v50, vcc_lo
	v_cmp_u_f32_e32 vcc_lo, v25, v25
	v_bfe_u32 v50, v23, 16, 1
	s_wait_alu 0xfffd
	s_delay_alu instid0(VALU_DEP_3) | instskip(SKIP_3) | instid1(VALU_DEP_4)
	v_dual_cndmask_b32 v25, v48, v51 :: v_dual_and_b32 v26, 0xffff0000, v26
	v_bfe_u32 v48, v52, 16, 1
	v_cmp_u_f32_e32 vcc_lo, v52, v52
	v_and_b32_e32 v22, 0xffff0000, v47
	v_and_b32_e32 v25, 0xffff0000, v25
	s_delay_alu instid0(VALU_DEP_4) | instskip(SKIP_1) | instid1(VALU_DEP_3)
	v_add3_u32 v47, v48, v52, 0x7fff
	v_or_b32_e32 v48, 0x400000, v52
	v_add_f32_e32 v25, v25, v26
	s_wait_alu 0xfffd
	s_delay_alu instid0(VALU_DEP_2)
	v_cndmask_b32_e32 v47, v47, v48, vcc_lo
	v_add3_u32 v48, v50, v23, 0x7fff
	v_or_b32_e32 v50, 0x400000, v23
	v_cmp_u_f32_e32 vcc_lo, v23, v23
	v_and_b32_e32 v53, 0xffff0000, v28
	v_and_b32_e32 v47, 0xffff0000, v47
	v_lshlrev_b32_e32 v28, 16, v28
	s_wait_alu 0xfffd
	v_cndmask_b32_e32 v48, v48, v50, vcc_lo
	s_delay_alu instid0(VALU_DEP_1) | instskip(SKIP_1) | instid1(VALU_DEP_2)
	v_dual_mul_f32 v53, v20, v53 :: v_dual_and_b32 v48, 0xffff0000, v48
	v_and_b32_e32 v23, 0xffff0000, v49
	v_bfe_u32 v54, v53, 16, 1
	s_delay_alu instid0(VALU_DEP_3) | instskip(NEXT) | instid1(VALU_DEP_3)
	v_dual_add_f32 v26, v48, v47 :: v_dual_and_b32 v19, 0xffff0000, v46
	v_mul_f32_e32 v28, v23, v28
	v_and_b32_e32 v46, 0xffff0000, v27
	v_lshlrev_b32_e32 v27, 16, v27
	s_delay_alu instid0(VALU_DEP_2) | instskip(NEXT) | instid1(VALU_DEP_2)
	v_dual_add_f32 v25, v26, v25 :: v_dual_mul_f32 v46, v19, v46
	v_mul_f32_e32 v27, v22, v27
	s_delay_alu instid0(VALU_DEP_2) | instskip(NEXT) | instid1(VALU_DEP_2)
	v_bfe_u32 v51, v46, 16, 1
	v_bfe_u32 v52, v27, 16, 1
	v_cmp_u_f32_e32 vcc_lo, v46, v46
	v_or_b32_e32 v49, 0x400000, v27
	s_delay_alu instid0(VALU_DEP_4) | instskip(SKIP_3) | instid1(VALU_DEP_2)
	v_add3_u32 v50, v51, v46, 0x7fff
	v_or_b32_e32 v51, 0x400000, v46
	v_add3_u32 v52, v52, v27, 0x7fff
	s_wait_alu 0xfffd
	v_cndmask_b32_e32 v46, v50, v51, vcc_lo
	v_cmp_u_f32_e32 vcc_lo, v27, v27
	v_or_b32_e32 v50, 0x400000, v53
	v_bfe_u32 v51, v28, 16, 1
	s_wait_alu 0xfffd
	v_dual_cndmask_b32 v27, v52, v49 :: v_dual_and_b32 v46, 0xffff0000, v46
	v_add3_u32 v49, v54, v53, 0x7fff
	v_cmp_u_f32_e32 vcc_lo, v53, v53
	s_delay_alu instid0(VALU_DEP_3) | instskip(SKIP_1) | instid1(VALU_DEP_3)
	v_and_b32_e32 v27, 0xffff0000, v27
	s_wait_alu 0xfffd
	v_dual_cndmask_b32 v49, v49, v50 :: v_dual_and_b32 v26, 0xffff0000, v13
	v_add3_u32 v50, v51, v28, 0x7fff
	v_or_b32_e32 v51, 0x400000, v28
	v_cmp_u_f32_e32 vcc_lo, v28, v28
	v_add_f32_e32 v27, v27, v46
	v_dual_mul_f32 v26, v17, v26 :: v_dual_lshlrev_b32 v13, 16, v13
	s_wait_alu 0xfffd
	v_cndmask_b32_e32 v28, v50, v51, vcc_lo
	s_delay_alu instid0(VALU_DEP_2) | instskip(SKIP_1) | instid1(VALU_DEP_3)
	v_cmp_u_f32_e32 vcc_lo, v26, v26
	v_and_b32_e32 v46, 0xffff0000, v49
	v_dual_mul_f32 v47, v21, v13 :: v_dual_and_b32 v28, 0xffff0000, v28
	v_add_f32_e32 v13, v27, v25
	v_bfe_u32 v27, v26, 16, 1
	v_and_b32_e32 v49, 0xffff0000, v16
	s_delay_alu instid0(VALU_DEP_4) | instskip(SKIP_3) | instid1(VALU_DEP_3)
	v_or_b32_e32 v48, 0x400000, v47
	v_add_f32_e32 v25, v28, v46
	v_bfe_u32 v28, v47, 16, 1
	v_and_b32_e32 v46, 0xffff0000, v14
	v_dual_add_f32 v13, v25, v13 :: v_dual_lshlrev_b32 v16, 16, v16
	v_add3_u32 v25, v27, v26, 0x7fff
	v_or_b32_e32 v27, 0x400000, v26
	v_add3_u32 v28, v28, v47, 0x7fff
	v_mul_f32_e32 v46, v18, v46
	s_wait_alu 0xfffd
	s_delay_alu instid0(VALU_DEP_3)
	v_dual_add_f32 v38, v38, v13 :: v_dual_cndmask_b32 v25, v25, v27
	v_cmp_u_f32_e32 vcc_lo, v47, v47
	v_lshlrev_b32_e32 v14, 16, v14
	v_bfe_u32 v26, v46, 16, 1
	v_or_b32_e32 v47, 0x400000, v46
	s_wait_alu 0xfffd
	v_cndmask_b32_e32 v27, v28, v48, vcc_lo
	v_mul_f32_e32 v14, v24, v14
	v_and_b32_e32 v28, 0xffff0000, v15
	v_add3_u32 v26, v26, v46, 0x7fff
	v_lshlrev_b32_e32 v15, 16, v15
	v_cmp_u_f32_e32 vcc_lo, v46, v46
	v_bfe_u32 v48, v14, 16, 1
	v_mul_f32_e32 v28, v19, v28
	v_dual_mul_f32 v16, v23, v16 :: v_dual_and_b32 v27, 0xffff0000, v27
	s_wait_alu 0xfffd
	v_cndmask_b32_e32 v26, v26, v47, vcc_lo
	v_mul_f32_e32 v15, v22, v15
	v_add3_u32 v46, v48, v14, 0x7fff
	v_or_b32_e32 v47, 0x400000, v14
	v_bfe_u32 v48, v28, 16, 1
	v_cmp_u_f32_e32 vcc_lo, v14, v14
	v_bfe_u32 v50, v15, 16, 1
	s_wait_alu 0xfffd
	v_dual_cndmask_b32 v14, v46, v47 :: v_dual_mul_f32 v47, v20, v49
	v_add3_u32 v46, v48, v28, 0x7fff
	v_or_b32_e32 v48, 0x400000, v28
	v_cmp_u_f32_e32 vcc_lo, v28, v28
	v_add3_u32 v49, v50, v15, 0x7fff
	v_or_b32_e32 v50, 0x400000, v15
	v_bfe_u32 v51, v47, 16, 1
	s_wait_alu 0xfffd
	v_cndmask_b32_e32 v28, v46, v48, vcc_lo
	v_cmp_u_f32_e32 vcc_lo, v15, v15
	v_or_b32_e32 v48, 0x400000, v47
	v_add3_u32 v46, v51, v47, 0x7fff
	s_wait_alu 0xfffd
	v_cndmask_b32_e32 v15, v49, v50, vcc_lo
	v_bfe_u32 v49, v16, 16, 1
	v_cmp_u_f32_e32 vcc_lo, v47, v47
	v_and_b32_e32 v25, 0xffff0000, v25
	s_delay_alu instid0(VALU_DEP_4) | instskip(NEXT) | instid1(VALU_DEP_4)
	v_and_b32_e32 v15, 0xffff0000, v15
	v_add3_u32 v47, v49, v16, 0x7fff
	s_wait_alu 0xfffd
	v_cndmask_b32_e32 v46, v46, v48, vcc_lo
	v_or_b32_e32 v48, 0x400000, v16
	v_cmp_u_f32_e32 vcc_lo, v16, v16
	v_dual_add_f32 v25, v27, v25 :: v_dual_and_b32 v14, 0xffff0000, v14
	s_wait_alu 0xfffd
	s_delay_alu instid0(VALU_DEP_3) | instskip(SKIP_1) | instid1(VALU_DEP_1)
	v_dual_cndmask_b32 v16, v47, v48 :: v_dual_and_b32 v27, 0xffff0000, v9
	v_and_b32_e32 v26, 0xffff0000, v26
	v_add_f32_e32 v14, v14, v26
	s_delay_alu instid0(VALU_DEP_1) | instskip(SKIP_3) | instid1(VALU_DEP_3)
	v_add_f32_e32 v14, v14, v25
	v_lshlrev_b32_e32 v9, 16, v9
	v_dual_mul_f32 v25, v17, v27 :: v_dual_and_b32 v26, 0xffff0000, v28
	v_and_b32_e32 v27, 0xffff0000, v10
	v_mul_f32_e32 v9, v21, v9
	s_delay_alu instid0(VALU_DEP_3) | instskip(NEXT) | instid1(VALU_DEP_4)
	v_add_f32_e32 v15, v15, v26
	v_bfe_u32 v28, v25, 16, 1
	v_cmp_u_f32_e32 vcc_lo, v25, v25
	v_and_b32_e32 v26, 0xffff0000, v46
	v_or_b32_e32 v46, 0x400000, v9
	v_add_f32_e32 v14, v15, v14
	v_bfe_u32 v15, v9, 16, 1
	s_delay_alu instid0(VALU_DEP_1) | instskip(SKIP_1) | instid1(VALU_DEP_1)
	v_add3_u32 v15, v15, v9, 0x7fff
	v_and_b32_e32 v16, 0xffff0000, v16
	v_add_f32_e32 v16, v16, v26
	v_mul_f32_e32 v26, v18, v27
	v_add3_u32 v27, v28, v25, 0x7fff
	v_or_b32_e32 v28, 0x400000, v25
	s_delay_alu instid0(VALU_DEP_3) | instskip(SKIP_1) | instid1(VALU_DEP_2)
	v_bfe_u32 v47, v26, 16, 1
	s_wait_alu 0xfffd
	v_cndmask_b32_e32 v25, v27, v28, vcc_lo
	v_cmp_u_f32_e32 vcc_lo, v9, v9
	v_or_b32_e32 v27, 0x400000, v26
	v_and_b32_e32 v28, 0xffff0000, v11
	v_lshlrev_b32_e32 v11, 16, v11
	s_wait_alu 0xfffd
	v_cndmask_b32_e32 v9, v15, v46, vcc_lo
	v_add3_u32 v15, v47, v26, 0x7fff
	v_cmp_u_f32_e32 vcc_lo, v26, v26
	v_dual_mul_f32 v11, v22, v11 :: v_dual_lshlrev_b32 v10, 16, v10
	s_delay_alu instid0(VALU_DEP_4) | instskip(SKIP_1) | instid1(VALU_DEP_2)
	v_dual_mul_f32 v26, v19, v28 :: v_dual_and_b32 v9, 0xffff0000, v9
	s_wait_alu 0xfffd
	v_dual_cndmask_b32 v15, v15, v27 :: v_dual_mul_f32 v10, v24, v10
	s_delay_alu instid0(VALU_DEP_3) | instskip(NEXT) | instid1(VALU_DEP_3)
	v_bfe_u32 v48, v11, 16, 1
	v_bfe_u32 v47, v26, 16, 1
	s_delay_alu instid0(VALU_DEP_3) | instskip(NEXT) | instid1(VALU_DEP_4)
	v_and_b32_e32 v15, 0xffff0000, v15
	v_bfe_u32 v46, v10, 16, 1
	v_or_b32_e32 v28, 0x400000, v10
	v_cmp_u_f32_e32 vcc_lo, v10, v10
	s_delay_alu instid0(VALU_DEP_3) | instskip(SKIP_1) | instid1(VALU_DEP_1)
	v_add3_u32 v27, v46, v10, 0x7fff
	s_wait_alu 0xfffd
	v_cndmask_b32_e32 v10, v27, v28, vcc_lo
	v_add3_u32 v28, v47, v26, 0x7fff
	v_cmp_u_f32_e32 vcc_lo, v26, v26
	v_add3_u32 v47, v48, v11, 0x7fff
	v_or_b32_e32 v48, 0x400000, v11
	v_and_b32_e32 v10, 0xffff0000, v10
	v_and_b32_e32 v25, 0xffff0000, v25
	s_delay_alu instid0(VALU_DEP_1) | instskip(NEXT) | instid1(VALU_DEP_1)
	v_dual_add_f32 v9, v9, v25 :: v_dual_and_b32 v46, 0xffff0000, v12
	v_mul_f32_e32 v27, v20, v46
	v_or_b32_e32 v46, 0x400000, v26
	s_delay_alu instid0(VALU_DEP_2) | instskip(SKIP_1) | instid1(VALU_DEP_2)
	v_bfe_u32 v49, v27, 16, 1
	s_wait_alu 0xfffd
	v_cndmask_b32_e32 v26, v28, v46, vcc_lo
	v_cmp_u_f32_e32 vcc_lo, v11, v11
	v_or_b32_e32 v46, 0x400000, v27
	v_add3_u32 v28, v49, v27, 0x7fff
	s_delay_alu instid0(VALU_DEP_4) | instskip(SKIP_4) | instid1(VALU_DEP_3)
	v_and_b32_e32 v25, 0xffff0000, v26
	s_wait_alu 0xfffd
	v_cndmask_b32_e32 v11, v47, v48, vcc_lo
	v_cmp_u_f32_e32 vcc_lo, v27, v27
	v_lshlrev_b32_e32 v12, 16, v12
	v_and_b32_e32 v11, 0xffff0000, v11
	s_wait_alu 0xfffd
	s_delay_alu instid0(VALU_DEP_2) | instskip(NEXT) | instid1(VALU_DEP_2)
	v_dual_cndmask_b32 v27, v28, v46 :: v_dual_mul_f32 v12, v23, v12
	v_dual_add_f32 v11, v11, v25 :: v_dual_add_f32 v10, v10, v15
	s_delay_alu instid0(VALU_DEP_2) | instskip(SKIP_1) | instid1(VALU_DEP_2)
	v_bfe_u32 v28, v12, 16, 1
	v_cmp_u_f32_e32 vcc_lo, v12, v12
	v_add3_u32 v26, v28, v12, 0x7fff
	v_or_b32_e32 v28, 0x400000, v12
	s_wait_alu 0xfffd
	s_delay_alu instid0(VALU_DEP_1) | instskip(NEXT) | instid1(VALU_DEP_1)
	v_dual_cndmask_b32 v12, v26, v28 :: v_dual_and_b32 v15, 0xffff0000, v1
	v_dual_add_f32 v9, v10, v9 :: v_dual_mul_f32 v10, v17, v15
	v_and_b32_e32 v26, 0xffff0000, v27
	s_delay_alu instid0(VALU_DEP_2) | instskip(NEXT) | instid1(VALU_DEP_3)
	v_dual_add_f32 v9, v11, v9 :: v_dual_and_b32 v12, 0xffff0000, v12
	v_bfe_u32 v15, v10, 16, 1
	v_or_b32_e32 v25, 0x400000, v10
	v_cmp_u_f32_e32 vcc_lo, v10, v10
	s_delay_alu instid0(VALU_DEP_3) | instskip(SKIP_4) | instid1(VALU_DEP_3)
	v_add3_u32 v15, v15, v10, 0x7fff
	v_and_b32_e32 v11, 0xffff0000, v2
	v_lshlrev_b32_e32 v2, 16, v2
	v_lshlrev_b32_e32 v1, 16, v1
	s_wait_alu 0xfffd
	v_dual_cndmask_b32 v10, v15, v25 :: v_dual_mul_f32 v11, v18, v11
	s_delay_alu instid0(VALU_DEP_2) | instskip(NEXT) | instid1(VALU_DEP_2)
	v_dual_mul_f32 v2, v24, v2 :: v_dual_mul_f32 v1, v21, v1
	v_and_b32_e32 v10, 0xffff0000, v10
	s_delay_alu instid0(VALU_DEP_3) | instskip(SKIP_1) | instid1(VALU_DEP_4)
	v_bfe_u32 v15, v11, 16, 1
	v_or_b32_e32 v46, 0x400000, v11
	v_bfe_u32 v27, v1, 16, 1
	v_or_b32_e32 v28, 0x400000, v1
	v_cmp_u_f32_e32 vcc_lo, v1, v1
	v_add3_u32 v15, v15, v11, 0x7fff
	s_delay_alu instid0(VALU_DEP_4) | instskip(SKIP_1) | instid1(VALU_DEP_1)
	v_add3_u32 v25, v27, v1, 0x7fff
	s_wait_alu 0xfffd
	v_cndmask_b32_e32 v1, v25, v28, vcc_lo
	v_bfe_u32 v25, v2, 16, 1
	v_cmp_u_f32_e32 vcc_lo, v11, v11
	v_and_b32_e32 v28, 0xffff0000, v4
	v_and_b32_e32 v27, 0xffff0000, v3
	v_lshlrev_b32_e32 v4, 16, v4
	v_lshlrev_b32_e32 v3, 16, v3
	s_wait_alu 0xfffd
	v_cndmask_b32_e32 v11, v15, v46, vcc_lo
	v_add3_u32 v25, v25, v2, 0x7fff
	v_or_b32_e32 v46, 0x400000, v2
	v_mul_f32_e32 v28, v20, v28
	v_cmp_u_f32_e32 vcc_lo, v2, v2
	v_mul_f32_e32 v27, v19, v27
	v_dual_mul_f32 v4, v23, v4 :: v_dual_and_b32 v11, 0xffff0000, v11
	s_wait_alu 0xfffd
	v_cndmask_b32_e32 v2, v25, v46, vcc_lo
	s_delay_alu instid0(VALU_DEP_3)
	v_bfe_u32 v15, v27, 16, 1
	v_mul_f32_e32 v3, v22, v3
	v_or_b32_e32 v47, 0x400000, v27
	v_cmp_u_f32_e32 vcc_lo, v27, v27
	v_and_b32_e32 v2, 0xffff0000, v2
	v_add3_u32 v15, v15, v27, 0x7fff
	v_bfe_u32 v25, v3, 16, 1
	v_bfe_u32 v46, v28, 16, 1
	v_or_b32_e32 v27, 0x400000, v3
	v_dual_add_f32 v2, v2, v11 :: v_dual_and_b32 v1, 0xffff0000, v1
	s_wait_alu 0xfffd
	v_cndmask_b32_e32 v15, v15, v47, vcc_lo
	v_add3_u32 v25, v25, v3, 0x7fff
	v_cmp_u_f32_e32 vcc_lo, v3, v3
	v_add3_u32 v46, v46, v28, 0x7fff
	v_or_b32_e32 v47, 0x400000, v28
	s_wait_alu 0xfffd
	v_cndmask_b32_e32 v3, v25, v27, vcc_lo
	v_cmp_u_f32_e32 vcc_lo, v28, v28
	v_bfe_u32 v27, v4, 16, 1
	v_or_b32_e32 v28, 0x400000, v4
	s_wait_alu 0xfffd
	v_cndmask_b32_e32 v25, v46, v47, vcc_lo
	s_delay_alu instid0(VALU_DEP_3)
	v_add3_u32 v27, v27, v4, 0x7fff
	s_wait_loadcnt 0x0
	v_lshlrev_b32_e32 v46, 16, v5
	v_cmp_u_f32_e32 vcc_lo, v4, v4
	v_dual_add_f32 v1, v1, v10 :: v_dual_and_b32 v10, 0xffff0000, v15
	s_wait_alu 0xfffd
	s_delay_alu instid0(VALU_DEP_3) | instskip(SKIP_1) | instid1(VALU_DEP_2)
	v_dual_cndmask_b32 v4, v27, v28 :: v_dual_mul_f32 v11, v21, v46
	v_and_b32_e32 v3, 0xffff0000, v3
	v_dual_add_f32 v1, v2, v1 :: v_dual_and_b32 v4, 0xffff0000, v4
	s_delay_alu instid0(VALU_DEP_3) | instskip(NEXT) | instid1(VALU_DEP_3)
	v_bfe_u32 v2, v11, 16, 1
	v_add_f32_e32 v3, v3, v10
	v_lshlrev_b32_e32 v10, 16, v6
	v_or_b32_e32 v15, 0x400000, v11
	v_and_b32_e32 v6, 0xffff0000, v6
	v_add3_u32 v2, v2, v11, 0x7fff
	v_cmp_u_f32_e32 vcc_lo, v11, v11
	v_dual_mul_f32 v10, v24, v10 :: v_dual_and_b32 v5, 0xffff0000, v5
	s_delay_alu instid0(VALU_DEP_4) | instskip(SKIP_2) | instid1(VALU_DEP_3)
	v_mul_f32_e32 v6, v18, v6
	v_lshlrev_b32_e32 v18, 16, v7
	s_wait_alu 0xfffd
	v_dual_cndmask_b32 v2, v2, v15 :: v_dual_mul_f32 v5, v17, v5
	v_and_b32_e32 v7, 0xffff0000, v7
	s_delay_alu instid0(VALU_DEP_3) | instskip(NEXT) | instid1(VALU_DEP_3)
	v_dual_add_f32 v1, v3, v1 :: v_dual_mul_f32 v18, v22, v18
	v_and_b32_e32 v2, 0xffff0000, v2
	s_delay_alu instid0(VALU_DEP_4)
	v_bfe_u32 v17, v5, 16, 1
	v_or_b32_e32 v15, 0x400000, v5
	v_cmp_u_f32_e32 vcc_lo, v5, v5
	v_mul_f32_e32 v7, v19, v7
	v_lshlrev_b32_e32 v19, 16, v8
	v_add3_u32 v11, v17, v5, 0x7fff
	v_bfe_u32 v17, v10, 16, 1
	s_wait_alu 0xfffd
	s_delay_alu instid0(VALU_DEP_2) | instskip(NEXT) | instid1(VALU_DEP_2)
	v_dual_cndmask_b32 v5, v11, v15 :: v_dual_and_b32 v8, 0xffff0000, v8
	v_add3_u32 v11, v17, v10, 0x7fff
	v_or_b32_e32 v15, 0x400000, v10
	v_bfe_u32 v17, v6, 16, 1
	v_cmp_u_f32_e32 vcc_lo, v10, v10
	v_dual_mul_f32 v8, v20, v8 :: v_dual_and_b32 v5, 0xffff0000, v5
	v_or_b32_e32 v20, 0x400000, v7
	s_wait_alu 0xfffd
	v_cndmask_b32_e32 v10, v11, v15, vcc_lo
	v_add3_u32 v11, v17, v6, 0x7fff
	v_or_b32_e32 v15, 0x400000, v6
	v_bfe_u32 v17, v18, 16, 1
	v_cmp_u_f32_e32 vcc_lo, v6, v6
	v_bfe_u32 v22, v8, 16, 1
	v_and_b32_e32 v10, 0xffff0000, v10
	s_wait_alu 0xfffd
	v_cndmask_b32_e32 v6, v11, v15, vcc_lo
	v_bfe_u32 v11, v7, 16, 1
	v_add3_u32 v15, v17, v18, 0x7fff
	v_mul_f32_e32 v17, v23, v19
	v_or_b32_e32 v19, 0x400000, v18
	v_cmp_u_f32_e32 vcc_lo, v18, v18
	v_add3_u32 v11, v11, v7, 0x7fff
	v_add3_u32 v18, v22, v8, 0x7fff
	v_and_b32_e32 v6, 0xffff0000, v6
	v_bfe_u32 v21, v17, 16, 1
	s_wait_alu 0xfffd
	v_cndmask_b32_e32 v15, v15, v19, vcc_lo
	v_cmp_u_f32_e32 vcc_lo, v7, v7
	v_or_b32_e32 v19, 0x400000, v8
	s_wait_alu 0xfffd
	v_dual_add_f32 v2, v2, v5 :: v_dual_cndmask_b32 v7, v11, v20
	v_cmp_u_f32_e32 vcc_lo, v8, v8
	v_add3_u32 v11, v21, v17, 0x7fff
	v_or_b32_e32 v20, 0x400000, v17
	s_wait_alu 0xfffd
	v_cndmask_b32_e32 v8, v18, v19, vcc_lo
	v_cmp_u_f32_e32 vcc_lo, v17, v17
	v_dual_add_f32 v5, v10, v6 :: v_dual_and_b32 v6, 0xffff0000, v7
	s_wait_alu 0xfffd
	v_dual_cndmask_b32 v10, v11, v20 :: v_dual_and_b32 v7, 0xffff0000, v15
	s_delay_alu instid0(VALU_DEP_2) | instskip(NEXT) | instid1(VALU_DEP_2)
	v_dual_add_f32 v2, v5, v2 :: v_dual_and_b32 v11, 0xffff0000, v25
	v_dual_add_f32 v5, v7, v6 :: v_dual_and_b32 v6, 0xffff0000, v8
	v_cmp_le_i32_e32 vcc_lo, s13, v34
	s_delay_alu instid0(VALU_DEP_2) | instskip(SKIP_2) | instid1(VALU_DEP_3)
	v_dual_add_f32 v3, v4, v11 :: v_dual_add_f32 v2, v5, v2
	v_add_f32_e32 v8, v12, v26
	v_add_f32_e32 v5, v16, v14
	;; [unrolled: 1-line block ×3, first 2 shown]
	v_and_b32_e32 v7, 0xffff0000, v10
	s_or_b32 s4, vcc_lo, s4
	s_delay_alu instid0(VALU_DEP_3) | instskip(NEXT) | instid1(VALU_DEP_3)
	v_add_f32_e32 v39, v39, v5
	v_add_f32_e32 v40, v40, v1
	s_delay_alu instid0(VALU_DEP_3) | instskip(SKIP_1) | instid1(VALU_DEP_2)
	v_add_f32_e32 v4, v7, v6
	v_add_f32_e32 v6, v8, v9
	;; [unrolled: 1-line block ×3, first 2 shown]
	s_delay_alu instid0(VALU_DEP_2) | instskip(NEXT) | instid1(VALU_DEP_2)
	v_add_f32_e32 v41, v41, v6
	v_add_f32_e32 v37, v37, v2
	s_wait_alu 0xfffe
	s_and_not1_b32 exec_lo, exec_lo, s4
	s_cbranch_execz .LBB164_43
.LBB164_33:                             ; =>This Inner Loop Header: Depth=1
	global_load_b32 v1, v[29:30], off
	v_add_nc_u32_e32 v51, 1, v44
	v_or_b32_e32 v50, 3, v44
	v_or_b32_e32 v52, 2, v44
	;; [unrolled: 1-line block ×6, first 2 shown]
	s_wait_loadcnt 0x0
	s_wait_alu 0xfffe
	v_mad_co_i64_i32 v[1:2], null, v1, s2, 0
	s_delay_alu instid0(VALU_DEP_1) | instskip(NEXT) | instid1(VALU_DEP_1)
	v_lshlrev_b64_e32 v[1:2], 1, v[1:2]
	v_add_co_u32 v5, vcc_lo, v42, v1
	s_wait_alu 0xfffd
	s_delay_alu instid0(VALU_DEP_2)
	v_add_co_ci_u32_e64 v6, null, v43, v2, vcc_lo
	v_cmp_eq_u32_e32 vcc_lo, s3, v34
	global_load_b128 v[1:4], v[5:6], off
	ds_load_2addr_b64 v[21:24], v45 offset1:1
	ds_load_2addr_b64 v[17:20], v45 offset0:2 offset1:3
	s_and_saveexec_b32 s6, vcc_lo
	s_cbranch_execnz .LBB164_38
; %bb.34:                               ;   in Loop: Header=BB164_33 Depth=1
	s_wait_alu 0xfffe
	s_or_b32 exec_lo, exec_lo, s6
	global_load_b128 v[9:12], v[5:6], off offset:512
	s_and_saveexec_b32 s6, vcc_lo
	s_cbranch_execnz .LBB164_39
.LBB164_35:                             ;   in Loop: Header=BB164_33 Depth=1
	s_wait_alu 0xfffe
	s_or_b32 exec_lo, exec_lo, s6
	global_load_b128 v[13:16], v[5:6], off offset:1024
	s_and_saveexec_b32 s6, vcc_lo
	s_cbranch_execnz .LBB164_40
.LBB164_36:                             ;   in Loop: Header=BB164_33 Depth=1
	s_wait_alu 0xfffe
	s_or_b32 exec_lo, exec_lo, s6
	global_load_b128 v[25:28], v[5:6], off offset:1536
	s_and_saveexec_b32 s6, vcc_lo
	s_cbranch_execnz .LBB164_41
.LBB164_37:                             ;   in Loop: Header=BB164_33 Depth=1
	s_wait_alu 0xfffe
	s_or_b32 exec_lo, exec_lo, s6
	global_load_b128 v[5:8], v[5:6], off offset:2048
	s_and_saveexec_b32 s0, vcc_lo
	s_cbranch_execz .LBB164_32
	s_branch .LBB164_42
.LBB164_38:                             ;   in Loop: Header=BB164_33 Depth=1
	v_cmp_gt_i32_e64 s0, s25, v44
	s_wait_loadcnt 0x0
	v_lshrrev_b32_e32 v7, 16, v1
	v_lshrrev_b32_e32 v8, 16, v2
	;; [unrolled: 1-line block ×4, first 2 shown]
	s_wait_alu 0xf1ff
	v_cndmask_b32_e64 v1, 0, v1, s0
	v_cmp_gt_i32_e64 s0, s5, v51
	s_wait_alu 0xf1ff
	s_delay_alu instid0(VALU_DEP_1) | instskip(SKIP_1) | instid1(VALU_DEP_2)
	v_cndmask_b32_e64 v7, 0, v7, s0
	v_cmp_gt_i32_e64 s0, s25, v52
	v_perm_b32 v1, v7, v1, 0x5040100
	s_wait_alu 0xf1ff
	s_delay_alu instid0(VALU_DEP_2) | instskip(SKIP_2) | instid1(VALU_DEP_1)
	v_cndmask_b32_e64 v2, 0, v2, s0
	v_cmp_gt_i32_e64 s0, s5, v50
	s_wait_alu 0xf1ff
	v_cndmask_b32_e64 v8, 0, v8, s0
	v_cmp_gt_i32_e64 s0, s25, v49
	s_delay_alu instid0(VALU_DEP_2) | instskip(SKIP_1) | instid1(VALU_DEP_2)
	v_perm_b32 v2, v8, v2, 0x5040100
	s_wait_alu 0xf1ff
	v_cndmask_b32_e64 v3, 0, v3, s0
	v_cmp_gt_i32_e64 s0, s5, v47
	s_wait_alu 0xf1ff
	s_delay_alu instid0(VALU_DEP_1) | instskip(SKIP_1) | instid1(VALU_DEP_2)
	v_cndmask_b32_e64 v9, 0, v9, s0
	v_cmp_gt_i32_e64 s0, s25, v48
	v_perm_b32 v3, v9, v3, 0x5040100
	s_wait_alu 0xf1ff
	s_delay_alu instid0(VALU_DEP_2) | instskip(SKIP_2) | instid1(VALU_DEP_1)
	v_cndmask_b32_e64 v4, 0, v4, s0
	v_cmp_gt_i32_e64 s0, s5, v46
	s_wait_alu 0xf1ff
	v_cndmask_b32_e64 v10, 0, v10, s0
	s_delay_alu instid0(VALU_DEP_1)
	v_perm_b32 v4, v10, v4, 0x5040100
	s_wait_alu 0xfffe
	s_or_b32 exec_lo, exec_lo, s6
	global_load_b128 v[9:12], v[5:6], off offset:512
	s_and_saveexec_b32 s6, vcc_lo
	s_cbranch_execz .LBB164_35
.LBB164_39:                             ;   in Loop: Header=BB164_33 Depth=1
	v_cmp_gt_i32_e64 s0, s25, v44
	s_wait_loadcnt 0x0
	v_lshrrev_b32_e32 v7, 16, v9
	v_lshrrev_b32_e32 v14, 16, v12
	s_wait_alu 0xf1ff
	v_cndmask_b32_e64 v8, 0, v9, s0
	v_cmp_gt_i32_e64 s0, s5, v51
	v_lshrrev_b32_e32 v9, 16, v10
	s_wait_alu 0xf1ff
	s_delay_alu instid0(VALU_DEP_2) | instskip(SKIP_2) | instid1(VALU_DEP_1)
	v_cndmask_b32_e64 v7, 0, v7, s0
	v_cmp_gt_i32_e64 s0, s25, v52
	s_wait_alu 0xf1ff
	v_cndmask_b32_e64 v10, 0, v10, s0
	v_cmp_gt_i32_e64 s0, s5, v50
	s_wait_alu 0xf1ff
	s_delay_alu instid0(VALU_DEP_1) | instskip(SKIP_2) | instid1(VALU_DEP_3)
	v_cndmask_b32_e64 v13, 0, v9, s0
	v_cmp_gt_i32_e64 s0, s25, v49
	v_lshrrev_b32_e32 v9, 16, v11
	v_perm_b32 v10, v13, v10, 0x5040100
	s_wait_alu 0xf1ff
	s_delay_alu instid0(VALU_DEP_3) | instskip(SKIP_2) | instid1(VALU_DEP_1)
	v_cndmask_b32_e64 v11, 0, v11, s0
	v_cmp_gt_i32_e64 s0, s5, v47
	s_wait_alu 0xf1ff
	v_cndmask_b32_e64 v15, 0, v9, s0
	v_cmp_gt_i32_e64 s0, s25, v48
	v_perm_b32 v9, v7, v8, 0x5040100
	s_delay_alu instid0(VALU_DEP_3) | instskip(SKIP_1) | instid1(VALU_DEP_3)
	v_perm_b32 v11, v15, v11, 0x5040100
	s_wait_alu 0xf1ff
	v_cndmask_b32_e64 v12, 0, v12, s0
	v_cmp_gt_i32_e64 s0, s5, v46
	s_wait_alu 0xf1ff
	s_delay_alu instid0(VALU_DEP_1) | instskip(NEXT) | instid1(VALU_DEP_1)
	v_cndmask_b32_e64 v14, 0, v14, s0
	v_perm_b32 v12, v14, v12, 0x5040100
	s_wait_alu 0xfffe
	s_or_b32 exec_lo, exec_lo, s6
	global_load_b128 v[13:16], v[5:6], off offset:1024
	s_and_saveexec_b32 s6, vcc_lo
	s_cbranch_execz .LBB164_36
.LBB164_40:                             ;   in Loop: Header=BB164_33 Depth=1
	v_cmp_gt_i32_e64 s0, s25, v44
	s_wait_loadcnt 0x0
	v_lshrrev_b32_e32 v7, 16, v13
	v_lshrrev_b32_e32 v26, 16, v16
	s_wait_alu 0xf1ff
	v_cndmask_b32_e64 v8, 0, v13, s0
	v_cmp_gt_i32_e64 s0, s5, v51
	v_lshrrev_b32_e32 v13, 16, v14
	s_wait_alu 0xf1ff
	s_delay_alu instid0(VALU_DEP_2) | instskip(SKIP_2) | instid1(VALU_DEP_1)
	v_cndmask_b32_e64 v7, 0, v7, s0
	v_cmp_gt_i32_e64 s0, s25, v52
	s_wait_alu 0xf1ff
	v_cndmask_b32_e64 v14, 0, v14, s0
	v_cmp_gt_i32_e64 s0, s5, v50
	s_wait_alu 0xf1ff
	s_delay_alu instid0(VALU_DEP_1) | instskip(SKIP_2) | instid1(VALU_DEP_3)
	v_cndmask_b32_e64 v25, 0, v13, s0
	v_cmp_gt_i32_e64 s0, s25, v49
	v_lshrrev_b32_e32 v13, 16, v15
	v_perm_b32 v14, v25, v14, 0x5040100
	s_wait_alu 0xf1ff
	s_delay_alu instid0(VALU_DEP_3) | instskip(SKIP_2) | instid1(VALU_DEP_1)
	v_cndmask_b32_e64 v15, 0, v15, s0
	v_cmp_gt_i32_e64 s0, s5, v47
	s_wait_alu 0xf1ff
	v_cndmask_b32_e64 v27, 0, v13, s0
	v_cmp_gt_i32_e64 s0, s25, v48
	v_perm_b32 v13, v7, v8, 0x5040100
	s_delay_alu instid0(VALU_DEP_3) | instskip(SKIP_1) | instid1(VALU_DEP_3)
	v_perm_b32 v15, v27, v15, 0x5040100
	s_wait_alu 0xf1ff
	v_cndmask_b32_e64 v16, 0, v16, s0
	v_cmp_gt_i32_e64 s0, s5, v46
	s_wait_alu 0xf1ff
	s_delay_alu instid0(VALU_DEP_1) | instskip(NEXT) | instid1(VALU_DEP_1)
	v_cndmask_b32_e64 v26, 0, v26, s0
	v_perm_b32 v16, v26, v16, 0x5040100
	s_wait_alu 0xfffe
	s_or_b32 exec_lo, exec_lo, s6
	global_load_b128 v[25:28], v[5:6], off offset:1536
	s_and_saveexec_b32 s6, vcc_lo
	s_cbranch_execz .LBB164_37
.LBB164_41:                             ;   in Loop: Header=BB164_33 Depth=1
	v_cmp_gt_i32_e64 s0, s25, v44
	s_wait_loadcnt 0x0
	v_lshrrev_b32_e32 v7, 16, v25
	v_lshrrev_b32_e32 v54, 16, v28
	s_wait_alu 0xf1ff
	v_cndmask_b32_e64 v8, 0, v25, s0
	v_cmp_gt_i32_e64 s0, s5, v51
	v_lshrrev_b32_e32 v25, 16, v26
	s_wait_alu 0xf1ff
	s_delay_alu instid0(VALU_DEP_2) | instskip(SKIP_2) | instid1(VALU_DEP_1)
	v_cndmask_b32_e64 v7, 0, v7, s0
	v_cmp_gt_i32_e64 s0, s25, v52
	s_wait_alu 0xf1ff
	v_cndmask_b32_e64 v26, 0, v26, s0
	v_cmp_gt_i32_e64 s0, s5, v50
	s_wait_alu 0xf1ff
	s_delay_alu instid0(VALU_DEP_1) | instskip(SKIP_2) | instid1(VALU_DEP_3)
	v_cndmask_b32_e64 v53, 0, v25, s0
	v_cmp_gt_i32_e64 s0, s25, v49
	v_lshrrev_b32_e32 v25, 16, v27
	v_perm_b32 v26, v53, v26, 0x5040100
	s_wait_alu 0xf1ff
	s_delay_alu instid0(VALU_DEP_3) | instskip(SKIP_2) | instid1(VALU_DEP_1)
	v_cndmask_b32_e64 v27, 0, v27, s0
	v_cmp_gt_i32_e64 s0, s5, v47
	s_wait_alu 0xf1ff
	v_cndmask_b32_e64 v55, 0, v25, s0
	v_cmp_gt_i32_e64 s0, s25, v48
	v_perm_b32 v25, v7, v8, 0x5040100
	s_delay_alu instid0(VALU_DEP_3) | instskip(SKIP_1) | instid1(VALU_DEP_3)
	v_perm_b32 v27, v55, v27, 0x5040100
	s_wait_alu 0xf1ff
	v_cndmask_b32_e64 v28, 0, v28, s0
	v_cmp_gt_i32_e64 s0, s5, v46
	s_wait_alu 0xf1ff
	s_delay_alu instid0(VALU_DEP_1) | instskip(NEXT) | instid1(VALU_DEP_1)
	v_cndmask_b32_e64 v54, 0, v54, s0
	v_perm_b32 v28, v54, v28, 0x5040100
	s_wait_alu 0xfffe
	s_or_b32 exec_lo, exec_lo, s6
	global_load_b128 v[5:8], v[5:6], off offset:2048
	s_and_saveexec_b32 s0, vcc_lo
	s_cbranch_execz .LBB164_32
.LBB164_42:                             ;   in Loop: Header=BB164_33 Depth=1
	v_cmp_gt_i32_e32 vcc_lo, s25, v44
	s_wait_loadcnt 0x0
	v_lshrrev_b32_e32 v53, 16, v5
	v_lshrrev_b32_e32 v54, 16, v6
	s_wait_alu 0xfffd
	v_cndmask_b32_e32 v5, 0, v5, vcc_lo
	v_cmp_gt_i32_e32 vcc_lo, s5, v51
	s_wait_alu 0xfffd
	v_cndmask_b32_e32 v51, 0, v53, vcc_lo
	v_cmp_gt_i32_e32 vcc_lo, s25, v52
	v_lshrrev_b32_e32 v52, 16, v7
	s_wait_alu 0xfffd
	v_cndmask_b32_e32 v6, 0, v6, vcc_lo
	v_cmp_gt_i32_e32 vcc_lo, s5, v50
	s_wait_alu 0xfffd
	v_cndmask_b32_e32 v50, 0, v54, vcc_lo
	v_cmp_gt_i32_e32 vcc_lo, s25, v49
	v_lshrrev_b32_e32 v49, 16, v8
	v_perm_b32 v5, v51, v5, 0x5040100
	s_delay_alu instid0(VALU_DEP_4)
	v_perm_b32 v6, v50, v6, 0x5040100
	s_wait_alu 0xfffd
	v_cndmask_b32_e32 v7, 0, v7, vcc_lo
	v_cmp_gt_i32_e32 vcc_lo, s5, v47
	s_wait_alu 0xfffd
	v_cndmask_b32_e32 v47, 0, v52, vcc_lo
	v_cmp_gt_i32_e32 vcc_lo, s25, v48
	;; [unrolled: 3-line block ×3, first 2 shown]
	s_wait_alu 0xfffd
	v_cndmask_b32_e32 v46, 0, v49, vcc_lo
	v_perm_b32 v7, v47, v7, 0x5040100
	s_delay_alu instid0(VALU_DEP_2)
	v_perm_b32 v8, v46, v8, 0x5040100
	s_branch .LBB164_32
.LBB164_43:
	s_or_b32 exec_lo, exec_lo, s4
.LBB164_44:
	s_wait_alu 0xfffe
	s_or_b32 exec_lo, exec_lo, s1
	ds_bpermute_b32 v1, v36, v40
	ds_bpermute_b32 v2, v36, v41
	;; [unrolled: 1-line block ×5, first 2 shown]
	v_lshrrev_b32_e32 v6, 1, v35
	v_mul_u32_u24_e32 v8, 0x140, v33
	v_and_b32_e32 v11, 0x3c1, v0
	s_mov_b32 s0, exec_lo
	s_wait_storecnt 0x0
	s_wait_loadcnt_dscnt 0x0
	v_lshl_add_u32 v7, v6, 2, 0xc0
	s_barrier_signal -1
	s_barrier_wait -1
	global_inv scope:SCOPE_SE
	v_dual_add_f32 v5, v40, v1 :: v_dual_add_f32 v4, v41, v2
	v_dual_add_f32 v3, v39, v3 :: v_dual_add_f32 v2, v38, v9
	v_add_f32_e32 v1, v37, v10
	v_cmpx_eq_u32_e32 64, v11
	s_cbranch_execz .LBB164_46
; %bb.45:
	v_add_nc_u32_e32 v9, v7, v8
	s_delay_alu instid0(VALU_DEP_1)
	v_add_nc_u32_e32 v10, 0xfffffd80, v9
	v_add_nc_u32_e32 v11, 0xfffffdc0, v9
	;; [unrolled: 1-line block ×5, first 2 shown]
	ds_store_b32 v10, v5
	ds_store_b32 v11, v4
	;; [unrolled: 1-line block ×5, first 2 shown]
.LBB164_46:
	s_wait_alu 0xfffe
	s_or_b32 exec_lo, exec_lo, s0
	v_lshlrev_b32_e32 v6, 2, v6
	s_mov_b32 s1, exec_lo
	v_cmp_eq_u32_e32 vcc_lo, 0, v32
	s_wait_loadcnt_dscnt 0x0
	s_barrier_signal -1
	v_add3_u32 v6, 0xc0, v8, v6
	s_barrier_wait -1
	global_inv scope:SCOPE_SE
	v_cmpx_gt_u32_e32 64, v0
	s_cbranch_execz .LBB164_54
; %bb.47:
	s_and_saveexec_b32 s0, vcc_lo
	s_cbranch_execnz .LBB164_67
; %bb.48:
	s_wait_alu 0xfffe
	s_or_b32 exec_lo, exec_lo, s0
	s_and_saveexec_b32 s0, vcc_lo
	s_cbranch_execnz .LBB164_68
.LBB164_49:
	s_wait_alu 0xfffe
	s_or_b32 exec_lo, exec_lo, s0
	s_and_saveexec_b32 s0, vcc_lo
	s_cbranch_execnz .LBB164_69
.LBB164_50:
	s_wait_alu 0xfffe
	s_or_b32 exec_lo, exec_lo, s0
	s_and_saveexec_b32 s0, vcc_lo
	s_cbranch_execnz .LBB164_70
.LBB164_51:
	s_wait_alu 0xfffe
	s_or_b32 exec_lo, exec_lo, s0
	s_and_saveexec_b32 s0, vcc_lo
	s_cbranch_execz .LBB164_53
.LBB164_52:
	ds_load_b32 v8, v6 offset:256
	s_wait_dscnt 0x0
	v_add_f32_e32 v1, v1, v8
.LBB164_53:
	s_wait_alu 0xfffe
	s_or_b32 exec_lo, exec_lo, s0
.LBB164_54:
	s_wait_alu 0xfffe
	s_or_b32 exec_lo, exec_lo, s1
	v_and_b32_e32 v8, 0x3e1, v0
	s_mov_b32 s1, exec_lo
	s_wait_loadcnt 0x0
	s_barrier_signal -1
	s_barrier_wait -1
	global_inv scope:SCOPE_SE
	v_cmpx_eq_u32_e32 32, v8
	s_cbranch_execz .LBB164_56
; %bb.55:
	ds_store_2addr_b32 v7, v5, v4 offset1:16
	ds_store_2addr_b32 v7, v3, v2 offset0:32 offset1:48
	ds_store_b32 v7, v1 offset:256
.LBB164_56:
	s_wait_alu 0xfffe
	s_or_b32 exec_lo, exec_lo, s1
	s_delay_alu instid0(SALU_CYCLE_1)
	s_mov_b32 s1, exec_lo
	s_wait_loadcnt_dscnt 0x0
	s_barrier_signal -1
	s_barrier_wait -1
	global_inv scope:SCOPE_SE
	v_cmpx_gt_u32_e32 32, v0
	s_cbranch_execz .LBB164_64
; %bb.57:
	s_and_saveexec_b32 s0, vcc_lo
	s_cbranch_execnz .LBB164_71
; %bb.58:
	s_wait_alu 0xfffe
	s_or_b32 exec_lo, exec_lo, s0
	s_and_saveexec_b32 s0, vcc_lo
	s_cbranch_execnz .LBB164_72
.LBB164_59:
	s_wait_alu 0xfffe
	s_or_b32 exec_lo, exec_lo, s0
	s_and_saveexec_b32 s0, vcc_lo
	s_cbranch_execnz .LBB164_73
.LBB164_60:
	s_wait_alu 0xfffe
	s_or_b32 exec_lo, exec_lo, s0
	s_and_saveexec_b32 s0, vcc_lo
	s_cbranch_execnz .LBB164_74
.LBB164_61:
	s_wait_alu 0xfffe
	s_or_b32 exec_lo, exec_lo, s0
	s_and_saveexec_b32 s0, vcc_lo
	s_cbranch_execz .LBB164_63
.LBB164_62:
	ds_load_b32 v0, v6 offset:256
	s_wait_dscnt 0x0
	v_add_f32_e32 v1, v1, v0
.LBB164_63:
	s_wait_alu 0xfffe
	s_or_b32 exec_lo, exec_lo, s0
.LBB164_64:
	s_wait_alu 0xfffe
	s_or_b32 exec_lo, exec_lo, s1
	s_mov_b32 s1, 0
	s_wait_loadcnt 0x0
	s_barrier_signal -1
	s_barrier_wait -1
	global_inv scope:SCOPE_SE
	s_mov_b32 s0, exec_lo
	v_cmpx_eq_u32_e32 0, v8
	s_cbranch_execz .LBB164_66
; %bb.65:
	v_bfe_u32 v0, v5, 16, 1
	v_bfe_u32 v6, v4, 16, 1
	v_or_b32_e32 v7, 0x400000, v5
	v_cmp_u_f32_e32 vcc_lo, v5, v5
	v_or_b32_e32 v9, 0x400000, v4
	v_add3_u32 v0, v0, v5, 0x7fff
	v_add3_u32 v6, v6, v4, 0x7fff
	v_bfe_u32 v5, v3, 16, 1
	s_mul_i32 s2, s14, 0x50
	v_or_b32_e32 v10, 0x400000, v2
	s_wait_alu 0xfffd
	v_cndmask_b32_e32 v0, v0, v7, vcc_lo
	v_cmp_u_f32_e32 vcc_lo, v4, v4
	v_bfe_u32 v7, v2, 16, 1
	v_add3_u32 v5, v5, v3, 0x7fff
	s_mul_i32 s4, s8, s12
	s_wait_alu 0xfffe
	s_ashr_i32 s3, s2, 31
	s_wait_alu 0xfffd
	v_cndmask_b32_e32 v4, v6, v9, vcc_lo
	v_or_b32_e32 v9, 0x400000, v3
	v_cmp_u_f32_e32 vcc_lo, v3, v3
	v_lshlrev_b32_e32 v8, 1, v31
	v_bfe_u32 v6, v1, 16, 1
	v_add3_u32 v7, v7, v2, 0x7fff
	s_ashr_i32 s5, s4, 31
	s_wait_alu 0xfffd
	v_cndmask_b32_e32 v3, v5, v9, vcc_lo
	v_cmp_u_f32_e32 vcc_lo, v2, v2
	s_wait_alu 0xfffe
	s_lshl_b64 s[2:3], s[2:3], 1
	s_lshl_b64 s[4:5], s[4:5], 1
	s_wait_alu 0xfffe
	s_add_nc_u64 s[2:3], s[10:11], s[2:3]
	v_add3_u32 v6, v6, v1, 0x7fff
	v_or_b32_e32 v11, 0x400000, v1
	s_wait_alu 0xfffd
	v_cndmask_b32_e32 v2, v7, v10, vcc_lo
	v_cmp_u_f32_e32 vcc_lo, v1, v1
	s_wait_alu 0xfffe
	s_add_nc_u64 s[2:3], s[2:3], s[4:5]
	s_mul_i32 s0, s24, 0xa0
	s_wait_alu 0xfffe
	s_add_nc_u64 s[0:1], s[2:3], s[0:1]
	s_wait_alu 0xfffd
	v_cndmask_b32_e32 v1, v6, v11, vcc_lo
	s_clause 0x4
	global_store_d16_hi_b16 v8, v0, s[0:1]
	global_store_d16_hi_b16 v8, v4, s[0:1] offset:32
	global_store_d16_hi_b16 v8, v3, s[0:1] offset:64
	;; [unrolled: 1-line block ×4, first 2 shown]
.LBB164_66:
	s_endpgm
.LBB164_67:
	ds_load_b32 v8, v6
	s_wait_dscnt 0x0
	v_add_f32_e32 v5, v5, v8
	s_wait_alu 0xfffe
	s_or_b32 exec_lo, exec_lo, s0
	s_and_saveexec_b32 s0, vcc_lo
	s_cbranch_execz .LBB164_49
.LBB164_68:
	ds_load_b32 v8, v6 offset:64
	s_wait_dscnt 0x0
	v_add_f32_e32 v4, v4, v8
	s_wait_alu 0xfffe
	s_or_b32 exec_lo, exec_lo, s0
	s_and_saveexec_b32 s0, vcc_lo
	s_cbranch_execz .LBB164_50
.LBB164_69:
	ds_load_b32 v8, v6 offset:128
	s_wait_dscnt 0x0
	v_add_f32_e32 v3, v3, v8
	s_wait_alu 0xfffe
	s_or_b32 exec_lo, exec_lo, s0
	s_and_saveexec_b32 s0, vcc_lo
	s_cbranch_execz .LBB164_51
.LBB164_70:
	ds_load_b32 v8, v6 offset:192
	s_wait_dscnt 0x0
	v_add_f32_e32 v2, v2, v8
	s_wait_alu 0xfffe
	s_or_b32 exec_lo, exec_lo, s0
	s_and_saveexec_b32 s0, vcc_lo
	s_cbranch_execnz .LBB164_52
	s_branch .LBB164_53
.LBB164_71:
	ds_load_b32 v0, v6
	s_wait_dscnt 0x0
	v_add_f32_e32 v5, v5, v0
	s_wait_alu 0xfffe
	s_or_b32 exec_lo, exec_lo, s0
	s_and_saveexec_b32 s0, vcc_lo
	s_cbranch_execz .LBB164_59
.LBB164_72:
	ds_load_b32 v0, v6 offset:64
	s_wait_dscnt 0x0
	v_add_f32_e32 v4, v4, v0
	s_wait_alu 0xfffe
	s_or_b32 exec_lo, exec_lo, s0
	s_and_saveexec_b32 s0, vcc_lo
	s_cbranch_execz .LBB164_60
.LBB164_73:
	ds_load_b32 v0, v6 offset:128
	s_wait_dscnt 0x0
	v_add_f32_e32 v3, v3, v0
	s_wait_alu 0xfffe
	s_or_b32 exec_lo, exec_lo, s0
	s_and_saveexec_b32 s0, vcc_lo
	s_cbranch_execz .LBB164_61
.LBB164_74:
	ds_load_b32 v0, v6 offset:192
	s_wait_dscnt 0x0
	v_add_f32_e32 v2, v2, v0
	s_wait_alu 0xfffe
	s_or_b32 exec_lo, exec_lo, s0
	s_and_saveexec_b32 s0, vcc_lo
	s_cbranch_execnz .LBB164_62
	s_branch .LBB164_63
	.section	.rodata,"a",@progbits
	.p2align	6, 0x0
	.amdhsa_kernel _ZN4vllm25paged_attention_v2_kernelI14__hip_bfloat16S1_Li80ELi16ELi128ELNS_18Fp8KVCacheDataTypeE0ELb0ELi512EEEvPfS3_PT_PKS4_PKT0_SA_ifPKiSC_iPKfiiiSE_SE_iiiii
		.amdhsa_group_segment_fixed_size 192
		.amdhsa_private_segment_fixed_size 0
		.amdhsa_kernarg_size 400
		.amdhsa_user_sgpr_count 2
		.amdhsa_user_sgpr_dispatch_ptr 0
		.amdhsa_user_sgpr_queue_ptr 0
		.amdhsa_user_sgpr_kernarg_segment_ptr 1
		.amdhsa_user_sgpr_dispatch_id 0
		.amdhsa_user_sgpr_private_segment_size 0
		.amdhsa_wavefront_size32 1
		.amdhsa_uses_dynamic_stack 0
		.amdhsa_enable_private_segment 0
		.amdhsa_system_sgpr_workgroup_id_x 1
		.amdhsa_system_sgpr_workgroup_id_y 1
		.amdhsa_system_sgpr_workgroup_id_z 1
		.amdhsa_system_sgpr_workgroup_info 0
		.amdhsa_system_vgpr_workitem_id 0
		.amdhsa_next_free_vgpr 96
		.amdhsa_next_free_sgpr 32
		.amdhsa_reserve_vcc 1
		.amdhsa_float_round_mode_32 0
		.amdhsa_float_round_mode_16_64 0
		.amdhsa_float_denorm_mode_32 3
		.amdhsa_float_denorm_mode_16_64 3
		.amdhsa_fp16_overflow 0
		.amdhsa_workgroup_processor_mode 1
		.amdhsa_memory_ordered 1
		.amdhsa_forward_progress 1
		.amdhsa_inst_pref_size 74
		.amdhsa_round_robin_scheduling 0
		.amdhsa_exception_fp_ieee_invalid_op 0
		.amdhsa_exception_fp_denorm_src 0
		.amdhsa_exception_fp_ieee_div_zero 0
		.amdhsa_exception_fp_ieee_overflow 0
		.amdhsa_exception_fp_ieee_underflow 0
		.amdhsa_exception_fp_ieee_inexact 0
		.amdhsa_exception_int_div_zero 0
	.end_amdhsa_kernel
	.section	.text._ZN4vllm25paged_attention_v2_kernelI14__hip_bfloat16S1_Li80ELi16ELi128ELNS_18Fp8KVCacheDataTypeE0ELb0ELi512EEEvPfS3_PT_PKS4_PKT0_SA_ifPKiSC_iPKfiiiSE_SE_iiiii,"axG",@progbits,_ZN4vllm25paged_attention_v2_kernelI14__hip_bfloat16S1_Li80ELi16ELi128ELNS_18Fp8KVCacheDataTypeE0ELb0ELi512EEEvPfS3_PT_PKS4_PKT0_SA_ifPKiSC_iPKfiiiSE_SE_iiiii,comdat
.Lfunc_end164:
	.size	_ZN4vllm25paged_attention_v2_kernelI14__hip_bfloat16S1_Li80ELi16ELi128ELNS_18Fp8KVCacheDataTypeE0ELb0ELi512EEEvPfS3_PT_PKS4_PKT0_SA_ifPKiSC_iPKfiiiSE_SE_iiiii, .Lfunc_end164-_ZN4vllm25paged_attention_v2_kernelI14__hip_bfloat16S1_Li80ELi16ELi128ELNS_18Fp8KVCacheDataTypeE0ELb0ELi512EEEvPfS3_PT_PKS4_PKT0_SA_ifPKiSC_iPKfiiiSE_SE_iiiii
                                        ; -- End function
	.set _ZN4vllm25paged_attention_v2_kernelI14__hip_bfloat16S1_Li80ELi16ELi128ELNS_18Fp8KVCacheDataTypeE0ELb0ELi512EEEvPfS3_PT_PKS4_PKT0_SA_ifPKiSC_iPKfiiiSE_SE_iiiii.num_vgpr, 96
	.set _ZN4vllm25paged_attention_v2_kernelI14__hip_bfloat16S1_Li80ELi16ELi128ELNS_18Fp8KVCacheDataTypeE0ELb0ELi512EEEvPfS3_PT_PKS4_PKT0_SA_ifPKiSC_iPKfiiiSE_SE_iiiii.num_agpr, 0
	.set _ZN4vllm25paged_attention_v2_kernelI14__hip_bfloat16S1_Li80ELi16ELi128ELNS_18Fp8KVCacheDataTypeE0ELb0ELi512EEEvPfS3_PT_PKS4_PKT0_SA_ifPKiSC_iPKfiiiSE_SE_iiiii.numbered_sgpr, 32
	.set _ZN4vllm25paged_attention_v2_kernelI14__hip_bfloat16S1_Li80ELi16ELi128ELNS_18Fp8KVCacheDataTypeE0ELb0ELi512EEEvPfS3_PT_PKS4_PKT0_SA_ifPKiSC_iPKfiiiSE_SE_iiiii.num_named_barrier, 0
	.set _ZN4vllm25paged_attention_v2_kernelI14__hip_bfloat16S1_Li80ELi16ELi128ELNS_18Fp8KVCacheDataTypeE0ELb0ELi512EEEvPfS3_PT_PKS4_PKT0_SA_ifPKiSC_iPKfiiiSE_SE_iiiii.private_seg_size, 0
	.set _ZN4vllm25paged_attention_v2_kernelI14__hip_bfloat16S1_Li80ELi16ELi128ELNS_18Fp8KVCacheDataTypeE0ELb0ELi512EEEvPfS3_PT_PKS4_PKT0_SA_ifPKiSC_iPKfiiiSE_SE_iiiii.uses_vcc, 1
	.set _ZN4vllm25paged_attention_v2_kernelI14__hip_bfloat16S1_Li80ELi16ELi128ELNS_18Fp8KVCacheDataTypeE0ELb0ELi512EEEvPfS3_PT_PKS4_PKT0_SA_ifPKiSC_iPKfiiiSE_SE_iiiii.uses_flat_scratch, 0
	.set _ZN4vllm25paged_attention_v2_kernelI14__hip_bfloat16S1_Li80ELi16ELi128ELNS_18Fp8KVCacheDataTypeE0ELb0ELi512EEEvPfS3_PT_PKS4_PKT0_SA_ifPKiSC_iPKfiiiSE_SE_iiiii.has_dyn_sized_stack, 0
	.set _ZN4vllm25paged_attention_v2_kernelI14__hip_bfloat16S1_Li80ELi16ELi128ELNS_18Fp8KVCacheDataTypeE0ELb0ELi512EEEvPfS3_PT_PKS4_PKT0_SA_ifPKiSC_iPKfiiiSE_SE_iiiii.has_recursion, 0
	.set _ZN4vllm25paged_attention_v2_kernelI14__hip_bfloat16S1_Li80ELi16ELi128ELNS_18Fp8KVCacheDataTypeE0ELb0ELi512EEEvPfS3_PT_PKS4_PKT0_SA_ifPKiSC_iPKfiiiSE_SE_iiiii.has_indirect_call, 0
	.section	.AMDGPU.csdata,"",@progbits
; Kernel info:
; codeLenInByte = 9448
; TotalNumSgprs: 34
; NumVgprs: 96
; ScratchSize: 0
; MemoryBound: 0
; FloatMode: 240
; IeeeMode: 1
; LDSByteSize: 192 bytes/workgroup (compile time only)
; SGPRBlocks: 0
; VGPRBlocks: 11
; NumSGPRsForWavesPerEU: 34
; NumVGPRsForWavesPerEU: 96
; Occupancy: 16
; WaveLimiterHint : 1
; COMPUTE_PGM_RSRC2:SCRATCH_EN: 0
; COMPUTE_PGM_RSRC2:USER_SGPR: 2
; COMPUTE_PGM_RSRC2:TRAP_HANDLER: 0
; COMPUTE_PGM_RSRC2:TGID_X_EN: 1
; COMPUTE_PGM_RSRC2:TGID_Y_EN: 1
; COMPUTE_PGM_RSRC2:TGID_Z_EN: 1
; COMPUTE_PGM_RSRC2:TIDIG_COMP_CNT: 0
	.section	.text._ZN4vllm25paged_attention_v2_kernelI14__hip_bfloat16S1_Li96ELi16ELi128ELNS_18Fp8KVCacheDataTypeE0ELb0ELi512EEEvPfS3_PT_PKS4_PKT0_SA_ifPKiSC_iPKfiiiSE_SE_iiiii,"axG",@progbits,_ZN4vllm25paged_attention_v2_kernelI14__hip_bfloat16S1_Li96ELi16ELi128ELNS_18Fp8KVCacheDataTypeE0ELb0ELi512EEEvPfS3_PT_PKS4_PKT0_SA_ifPKiSC_iPKfiiiSE_SE_iiiii,comdat
	.protected	_ZN4vllm25paged_attention_v2_kernelI14__hip_bfloat16S1_Li96ELi16ELi128ELNS_18Fp8KVCacheDataTypeE0ELb0ELi512EEEvPfS3_PT_PKS4_PKT0_SA_ifPKiSC_iPKfiiiSE_SE_iiiii ; -- Begin function _ZN4vllm25paged_attention_v2_kernelI14__hip_bfloat16S1_Li96ELi16ELi128ELNS_18Fp8KVCacheDataTypeE0ELb0ELi512EEEvPfS3_PT_PKS4_PKT0_SA_ifPKiSC_iPKfiiiSE_SE_iiiii
	.globl	_ZN4vllm25paged_attention_v2_kernelI14__hip_bfloat16S1_Li96ELi16ELi128ELNS_18Fp8KVCacheDataTypeE0ELb0ELi512EEEvPfS3_PT_PKS4_PKT0_SA_ifPKiSC_iPKfiiiSE_SE_iiiii
	.p2align	8
	.type	_ZN4vllm25paged_attention_v2_kernelI14__hip_bfloat16S1_Li96ELi16ELi128ELNS_18Fp8KVCacheDataTypeE0ELb0ELi512EEEvPfS3_PT_PKS4_PKT0_SA_ifPKiSC_iPKfiiiSE_SE_iiiii,@function
_ZN4vllm25paged_attention_v2_kernelI14__hip_bfloat16S1_Li96ELi16ELi128ELNS_18Fp8KVCacheDataTypeE0ELb0ELi512EEEvPfS3_PT_PKS4_PKT0_SA_ifPKiSC_iPKfiiiSE_SE_iiiii: ; @_ZN4vllm25paged_attention_v2_kernelI14__hip_bfloat16S1_Li96ELi16ELi128ELNS_18Fp8KVCacheDataTypeE0ELb0ELi512EEEvPfS3_PT_PKS4_PKT0_SA_ifPKiSC_iPKfiiiSE_SE_iiiii
; %bb.0:
	s_load_b64 s[2:3], s[0:1], 0x40
	s_and_b32 s14, ttmp7, 0xffff
	s_lshr_b32 s24, ttmp7, 16
	s_lshl_b32 s4, s14, 2
	s_lshl_b32 s26, s24, 9
	s_wait_kmcnt 0x0
	s_load_b32 s25, s[2:3], s4 offset:0x0
	s_wait_kmcnt 0x0
	s_cmp_ge_i32 s26, s25
	s_cbranch_scc1 .LBB165_70
; %bb.1:
	s_clause 0x1
	s_load_b32 s15, s[0:1], 0x90
	s_load_b64 s[6:7], s[0:1], 0x30
	s_wait_kmcnt 0x0
	s_abs_i32 s5, s15
	s_abs_i32 s2, s6
	s_delay_alu instid0(SALU_CYCLE_1) | instskip(SKIP_1) | instid1(SALU_CYCLE_2)
	s_cvt_f32_u32 s3, s2
	s_sub_co_i32 s4, 0, s2
	v_rcp_iflag_f32_e32 v1, s3
	s_delay_alu instid0(TRANS32_DEP_1) | instskip(SKIP_2) | instid1(SALU_CYCLE_2)
	v_readfirstlane_b32 s3, v1
	s_mul_f32 s3, s3, 0x4f7ffffe
	s_wait_alu 0xfffe
	s_cvt_u32_f32 s3, s3
	s_wait_alu 0xfffe
	s_delay_alu instid0(SALU_CYCLE_2) | instskip(NEXT) | instid1(SALU_CYCLE_1)
	s_mul_i32 s4, s4, s3
	s_mul_hi_u32 s4, s3, s4
	s_delay_alu instid0(SALU_CYCLE_1)
	s_add_co_i32 s3, s3, s4
	s_xor_b32 s4, s15, s6
	s_wait_alu 0xfffe
	s_mul_hi_u32 s3, s5, s3
	s_ashr_i32 s4, s4, 31
	s_wait_alu 0xfffe
	s_mul_i32 s6, s3, s2
	s_delay_alu instid0(SALU_CYCLE_1)
	s_sub_co_i32 s5, s5, s6
	s_add_co_i32 s6, s3, 1
	s_sub_co_i32 s8, s5, s2
	s_cmp_ge_u32 s5, s2
	s_cselect_b32 s3, s6, s3
	s_cselect_b32 s5, s8, s5
	s_wait_alu 0xfffe
	s_add_co_i32 s6, s3, 1
	s_cmp_ge_u32 s5, s2
	s_load_b64 s[8:9], s[0:1], 0x50
	s_cselect_b32 s2, s6, s3
	s_mov_b32 s3, 0
	s_wait_alu 0xfffe
	s_xor_b32 s2, s2, s4
	s_mov_b32 s6, s3
	s_wait_alu 0xfffe
	s_sub_co_i32 s12, s2, s4
	s_delay_alu instid0(SALU_CYCLE_1) | instskip(NEXT) | instid1(SALU_CYCLE_1)
	s_abs_i32 s11, s12
	s_cvt_f32_u32 s2, s11
	s_wait_alu 0xfffe
	s_delay_alu instid0(SALU_CYCLE_2) | instskip(NEXT) | instid1(TRANS32_DEP_1)
	v_rcp_iflag_f32_e32 v1, s2
	v_readfirstlane_b32 s2, v1
	s_mul_f32 s2, s2, 0x4f7ffffe
	s_wait_alu 0xfffe
	s_delay_alu instid0(SALU_CYCLE_2) | instskip(SKIP_2) | instid1(SALU_CYCLE_1)
	s_cvt_u32_f32 s4, s2
	s_sub_co_i32 s2, 0, s11
	s_wait_alu 0xfffe
	s_mul_i32 s2, s2, s4
	s_wait_alu 0xfffe
	s_mul_hi_u32 s5, s4, s2
	s_abs_i32 s2, ttmp9
	s_add_co_i32 s4, s4, s5
	s_mov_b32 s5, s3
	s_wait_kmcnt 0x0
	s_cmp_eq_u64 s[8:9], 0
	s_cbranch_scc1 .LBB165_3
; %bb.2:
	s_mov_b32 s16, ttmp9
	s_ashr_i32 s17, ttmp9, 31
	s_delay_alu instid0(SALU_CYCLE_1) | instskip(NEXT) | instid1(SALU_CYCLE_1)
	s_lshl_b64 s[16:17], s[16:17], 2
	s_add_nc_u64 s[8:9], s[8:9], s[16:17]
	s_load_b32 s6, s[8:9], 0x0
.LBB165_3:
	s_load_b96 s[8:10], s[0:1], 0x58
	v_lshrrev_b32_e32 v35, 1, v0
	v_and_b32_e32 v36, 1, v0
	v_lshlrev_b32_e32 v3, 3, v0
	s_mul_u64 s[4:5], s[2:3], s[4:5]
	s_ashr_i32 s3, ttmp9, 31
	s_ashr_i32 s4, s12, 31
	s_mul_i32 s12, ttmp9, 0x60
	s_mov_b32 s16, exec_lo
	v_cmpx_gt_u32_e32 24, v0
	s_cbranch_execz .LBB165_5
; %bb.4:
	s_load_b64 s[18:19], s[0:1], 0x18
	s_wait_kmcnt 0x0
	s_mul_i32 s20, s8, s14
	s_ashr_i32 s13, s12, 31
	s_ashr_i32 s21, s20, 31
	v_lshlrev_b32_e32 v4, 3, v35
	s_lshl_b64 s[20:21], s[20:21], 1
	s_delay_alu instid0(VALU_DEP_1) | instskip(SKIP_2) | instid1(SALU_CYCLE_1)
	v_mad_u32_u24 v4, 0x60, v36, v4
	s_add_nc_u64 s[18:19], s[18:19], s[20:21]
	s_lshl_b64 s[20:21], s[12:13], 1
	s_add_nc_u64 s[18:19], s[18:19], s[20:21]
	global_load_b64 v[1:2], v3, s[18:19]
	s_wait_loadcnt 0x0
	ds_store_b64 v4, v[1:2]
.LBB165_5:
	s_or_b32 exec_lo, exec_lo, s16
	s_wait_kmcnt 0x0
	s_add_co_i32 s8, s25, 15
	s_wait_alu 0xfffe
	s_xor_b32 s3, s3, s4
	s_ashr_i32 s13, s8, 31
	s_lshl_b32 s28, s24, 5
	s_lshr_b32 s4, s13, 28
	s_mul_i32 s13, s5, s11
	s_add_co_i32 s8, s8, s4
	s_add_co_i32 s4, s28, 32
	s_ashr_i32 s27, s8, 4
	s_load_b32 s8, s[0:1], 0x48
	s_sub_co_i32 s2, s2, s13
	s_min_i32 s13, s4, s27
	s_add_co_i32 s4, s5, 1
	s_wait_alu 0xfffe
	s_sub_co_i32 s16, s2, s11
	s_cmp_ge_u32 s2, s11
	v_lshrrev_b32_e32 v37, 5, v0
	s_cselect_b32 s4, s4, s5
	s_cselect_b32 s2, s16, s2
	s_add_co_i32 s5, s4, 1
	s_wait_alu 0xfffe
	s_cmp_ge_u32 s2, s11
	v_or_b32_e32 v38, s28, v37
	s_cselect_b32 s2, s5, s4
	v_mbcnt_lo_u32_b32 v6, -1, 0
	s_wait_alu 0xfffe
	s_xor_b32 s2, s2, s3
	s_mov_b32 s4, exec_lo
	s_wait_alu 0xfffe
	s_sub_co_i32 s3, s2, s3
	v_cmp_gt_i32_e64 s2, s13, v38
	s_wait_dscnt 0x0
	s_barrier_signal -1
	s_wait_kmcnt 0x0
	s_mul_i32 s16, s8, s14
	s_barrier_wait -1
	s_ashr_i32 s17, s16, 31
	global_inv scope:SCOPE_SE
                                        ; implicit-def: $vgpr7
                                        ; implicit-def: $vgpr8
	v_cmpx_le_i32_e64 s13, v38
	s_xor_b32 s4, exec_lo, s4
; %bb.6:
	v_dual_mov_b32 v7, 0 :: v_dual_mov_b32 v8, 32
	v_mbcnt_lo_u32_b32 v6, -1, 0
; %bb.7:
	s_or_saveexec_b32 s11, s4
	s_clause 0x1
	s_load_b64 s[18:19], s[0:1], 0x38
	s_load_b32 s8, s[0:1], 0x98
	v_dual_mov_b32 v54, 0xff7fffff :: v_dual_lshlrev_b32 v5, 4, v37
	v_lshlrev_b32_e32 v4, 2, v38
	s_mul_i32 s20, s3, s10
	s_xor_b32 exec_lo, exec_lo, s11
	s_cbranch_execz .LBB165_13
; %bb.8:
	s_load_b64 s[4:5], s[0:1], 0x20
	v_mul_u32_u24_e32 v1, 0x60, v36
	v_bfe_u32 v2, v0, 1, 4
	s_ashr_i32 s21, s20, 31
	v_dual_mov_b32 v7, 0 :: v_dual_and_b32 v8, 8, v3
	ds_load_b128 v[15:18], v1
	ds_load_b128 v[23:26], v1 offset:16
	ds_load_b128 v[31:34], v1 offset:32
	;; [unrolled: 1-line block ×5, first 2 shown]
	v_lshlrev_b32_e32 v9, 4, v2
	s_lshl_b64 s[22:23], s[20:21], 1
	v_xor_b32_e32 v1, 1, v6
	s_cmp_neq_f32 s6, 0
	v_add3_u32 v65, s26, v5, v2
	s_mov_b32 s21, s9
	s_mov_b32 s10, 0
	v_mov_b32_e32 v67, v38
	s_wait_kmcnt 0x0
	s_add_nc_u64 s[4:5], s[4:5], s[22:23]
	s_delay_alu instid0(SALU_CYCLE_1)
	v_add_co_u32 v19, s3, s4, v9
	s_wait_alu 0xf1ff
	v_add_co_ci_u32_e64 v20, null, s5, 0, s3
	s_wait_dscnt 0x5
	v_lshlrev_b32_e32 v11, 16, v16
	v_and_b32_e32 v12, 0xffff0000, v16
	v_add_co_u32 v16, vcc_lo, v19, v8
	v_lshlrev_b32_e32 v13, 16, v17
	v_and_b32_e32 v14, 0xffff0000, v17
	v_add_co_ci_u32_e64 v17, null, 0, v20, vcc_lo
	v_cmp_gt_i32_e32 vcc_lo, 32, v1
	v_and_b32_e32 v10, 0xffff0000, v15
	s_wait_dscnt 0x1
	v_lshlrev_b32_e32 v47, 16, v51
	v_and_b32_e32 v48, 0xffff0000, v51
	v_lshlrev_b32_e32 v49, 16, v52
	v_and_b32_e32 v50, 0xffff0000, v52
	;; [unrolled: 2-line block ×4, first 2 shown]
	s_wait_alu 0xfffd
	v_dual_cndmask_b32 v1, v6, v1 :: v_dual_lshlrev_b32 v54, 2, v2
	s_cselect_b32 s3, -1, 0
	s_lshl_b64 s[4:5], s[16:17], 2
	v_lshlrev_b32_e32 v9, 16, v15
	s_delay_alu instid0(VALU_DEP_2)
	v_lshlrev_b32_e32 v64, 2, v1
	v_lshl_or_b32 v1, v37, 6, v54
	s_wait_alu 0xfffe
	s_add_nc_u64 s[4:5], s[18:19], s[4:5]
	v_lshlrev_b32_e32 v15, 16, v18
	v_and_b32_e32 v18, 0xffff0000, v18
	v_lshlrev_b32_e32 v19, 16, v23
	v_add_nc_u32_e32 v66, 0xe0, v1
	s_wait_alu 0xfffe
	v_add_co_u32 v1, s4, s4, v4
	v_and_b32_e32 v20, 0xffff0000, v23
	v_lshlrev_b32_e32 v21, 16, v24
	v_and_b32_e32 v22, 0xffff0000, v24
	v_lshlrev_b32_e32 v23, 16, v25
	;; [unrolled: 2-line block ×11, first 2 shown]
	v_and_b32_e32 v46, 0xffff0000, v46
	s_wait_dscnt 0x0
	v_lshlrev_b32_e32 v56, 16, v60
	v_and_b32_e32 v57, 0xffff0000, v60
	v_lshlrev_b32_e32 v58, 16, v61
	v_and_b32_e32 v59, 0xffff0000, v61
	;; [unrolled: 2-line block ×3, first 2 shown]
	v_lshlrev_b32_e32 v62, 16, v63
	v_dual_mov_b32 v8, 32 :: v_dual_and_b32 v63, 0xffff0000, v63
	s_wait_alu 0xf1ff
	v_add_co_ci_u32_e64 v2, null, s5, 0, s4
	v_mov_b32_e32 v54, 0xff7fffff
	s_sub_co_i32 s22, 1, s25
	v_cmp_eq_u32_e32 vcc_lo, 0, v36
	s_branch .LBB165_10
.LBB165_9:                              ;   in Loop: Header=BB165_10 Depth=1
	s_wait_alu 0xfffe
	s_or_b32 exec_lo, exec_lo, s5
	v_add_nc_u32_e32 v67, 4, v67
	v_add_co_u32 v1, s5, v1, 16
	v_add_nc_u32_e32 v65, 64, v65
	v_add_nc_u32_e32 v66, 0x100, v66
	s_delay_alu instid0(VALU_DEP_4) | instskip(SKIP_3) | instid1(SALU_CYCLE_1)
	v_cmp_le_i32_e64 s4, s13, v67
	s_wait_alu 0xf1ff
	v_add_co_ci_u32_e64 v2, null, 0, v2, s5
	s_or_b32 s10, s4, s10
	s_and_not1_b32 exec_lo, exec_lo, s10
	s_cbranch_execz .LBB165_12
.LBB165_10:                             ; =>This Inner Loop Header: Depth=1
	global_load_b32 v68, v[1:2], off
	s_wait_loadcnt_dscnt 0x0
	v_mad_co_i64_i32 v[68:69], null, v68, s21, 0
	s_delay_alu instid0(VALU_DEP_1) | instskip(NEXT) | instid1(VALU_DEP_1)
	v_lshlrev_b64_e32 v[68:69], 1, v[68:69]
	v_add_co_u32 v68, s4, v16, v68
	s_wait_alu 0xf1ff
	s_delay_alu instid0(VALU_DEP_2)
	v_add_co_ci_u32_e64 v69, null, v17, v69, s4
	s_clause 0xb
	global_load_b64 v[70:71], v[68:69], off
	global_load_b64 v[72:73], v[68:69], off offset:256
	global_load_b64 v[74:75], v[68:69], off offset:512
	;; [unrolled: 1-line block ×11, first 2 shown]
	s_wait_loadcnt 0xa
	v_lshlrev_b32_e32 v95, 16, v73
	v_and_b32_e32 v73, 0xffff0000, v73
	v_lshlrev_b32_e32 v92, 16, v70
	s_delay_alu instid0(VALU_DEP_3) | instskip(NEXT) | instid1(VALU_DEP_3)
	v_dual_mul_f32 v95, v15, v95 :: v_dual_and_b32 v70, 0xffff0000, v70
	v_dual_mul_f32 v73, v18, v73 :: v_dual_lshlrev_b32 v94, 16, v72
	v_and_b32_e32 v72, 0xffff0000, v72
	v_lshlrev_b32_e32 v93, 16, v71
	s_delay_alu instid0(VALU_DEP_3) | instskip(NEXT) | instid1(VALU_DEP_2)
	v_dual_mul_f32 v94, v13, v94 :: v_dual_and_b32 v71, 0xffff0000, v71
	v_dual_mul_f32 v72, v14, v72 :: v_dual_fmac_f32 v95, v11, v93
	s_delay_alu instid0(VALU_DEP_2) | instskip(SKIP_4) | instid1(VALU_DEP_3)
	v_dual_fmac_f32 v73, v12, v71 :: v_dual_fmac_f32 v94, v9, v92
	s_wait_loadcnt 0x9
	v_lshlrev_b32_e32 v97, 16, v75
	v_lshlrev_b32_e32 v96, 16, v74
	v_dual_fmac_f32 v72, v10, v70 :: v_dual_and_b32 v75, 0xffff0000, v75
	v_dual_fmac_f32 v95, v21, v97 :: v_dual_and_b32 v74, 0xffff0000, v74
	s_wait_loadcnt 0x8
	s_delay_alu instid0(VALU_DEP_3) | instskip(NEXT) | instid1(VALU_DEP_3)
	v_dual_fmac_f32 v94, v19, v96 :: v_dual_lshlrev_b32 v99, 16, v77
	v_dual_fmac_f32 v73, v22, v75 :: v_dual_lshlrev_b32 v98, 16, v76
	s_delay_alu instid0(VALU_DEP_3) | instskip(NEXT) | instid1(VALU_DEP_3)
	v_dual_fmac_f32 v72, v20, v74 :: v_dual_and_b32 v77, 0xffff0000, v77
	v_dual_fmac_f32 v95, v25, v99 :: v_dual_and_b32 v76, 0xffff0000, v76
	s_wait_loadcnt 0x7
	s_delay_alu instid0(VALU_DEP_3) | instskip(NEXT) | instid1(VALU_DEP_3)
	v_dual_fmac_f32 v94, v23, v98 :: v_dual_lshlrev_b32 v101, 16, v79
	v_dual_fmac_f32 v73, v26, v77 :: v_dual_lshlrev_b32 v100, 16, v78
	s_delay_alu instid0(VALU_DEP_3) | instskip(NEXT) | instid1(VALU_DEP_3)
	;; [unrolled: 7-line block ×6, first 2 shown]
	v_dual_fmac_f32 v72, v44, v84 :: v_dual_and_b32 v87, 0xffff0000, v87
	v_dual_fmac_f32 v95, v49, v109 :: v_dual_and_b32 v86, 0xffff0000, v86
	s_wait_loadcnt 0x2
	s_delay_alu instid0(VALU_DEP_3) | instskip(NEXT) | instid1(VALU_DEP_3)
	v_dual_fmac_f32 v94, v47, v108 :: v_dual_and_b32 v71, 0xffff0000, v89
	v_dual_fmac_f32 v73, v50, v87 :: v_dual_and_b32 v70, 0xffff0000, v88
	s_delay_alu instid0(VALU_DEP_1) | instskip(SKIP_1) | instid1(VALU_DEP_1)
	v_dual_fmac_f32 v72, v48, v86 :: v_dual_fmac_f32 v73, v55, v71
	s_wait_loadcnt 0x1
	v_dual_fmac_f32 v72, v52, v70 :: v_dual_lshlrev_b32 v77, 16, v91
	s_wait_loadcnt 0x0
	v_lshlrev_b32_e32 v70, 16, v69
	v_and_b32_e32 v78, 0xffff0000, v91
	s_delay_alu instid0(VALU_DEP_1) | instskip(NEXT) | instid1(VALU_DEP_1)
	v_dual_fmac_f32 v73, v59, v78 :: v_dual_lshlrev_b32 v74, 16, v89
	v_dual_fmac_f32 v95, v53, v74 :: v_dual_lshlrev_b32 v110, 16, v88
	v_and_b32_e32 v76, 0xffff0000, v90
	s_delay_alu instid0(VALU_DEP_2) | instskip(NEXT) | instid1(VALU_DEP_2)
	v_dual_fmac_f32 v94, v51, v110 :: v_dual_fmac_f32 v95, v58, v77
	v_dual_fmac_f32 v72, v57, v76 :: v_dual_lshlrev_b32 v75, 16, v90
	v_lshlrev_b32_e32 v79, 16, v68
	v_and_b32_e32 v68, 0xffff0000, v68
	s_delay_alu instid0(VALU_DEP_3) | instskip(NEXT) | instid1(VALU_DEP_2)
	v_fmac_f32_e32 v94, v56, v75
	v_fmac_f32_e32 v72, v61, v68
	v_and_b32_e32 v68, 0xffff0000, v69
	s_delay_alu instid0(VALU_DEP_1) | instskip(NEXT) | instid1(VALU_DEP_1)
	v_dual_fmac_f32 v94, v60, v79 :: v_dual_fmac_f32 v73, v63, v68
	v_add_f32_e32 v69, v94, v72
	v_fmac_f32_e32 v95, v62, v70
	s_delay_alu instid0(VALU_DEP_1) | instskip(NEXT) | instid1(VALU_DEP_1)
	v_add_f32_e32 v68, v69, v95
	v_add_f32_e32 v68, v73, v68
	ds_bpermute_b32 v69, v64, v68
	s_and_saveexec_b32 s5, vcc_lo
	s_cbranch_execz .LBB165_9
; %bb.11:                               ;   in Loop: Header=BB165_10 Depth=1
	s_wait_dscnt 0x0
	v_add_f32_e32 v68, v68, v69
	v_add_nc_u32_e32 v70, s22, v65
	v_cmp_gt_i32_e64 s4, s25, v65
	s_delay_alu instid0(VALU_DEP_2) | instskip(NEXT) | instid1(VALU_DEP_1)
	v_cvt_f32_i32_e32 v70, v70
	v_mul_f32_e32 v70, s6, v70
	s_delay_alu instid0(VALU_DEP_1) | instskip(NEXT) | instid1(VALU_DEP_1)
	v_cndmask_b32_e64 v69, 0, v70, s3
	v_dual_max_num_f32 v70, v54, v54 :: v_dual_fmac_f32 v69, s7, v68
	s_delay_alu instid0(VALU_DEP_1) | instskip(SKIP_2) | instid1(VALU_DEP_2)
	v_max_num_f32_e32 v68, v70, v69
	s_wait_alu 0xf1ff
	v_cndmask_b32_e64 v69, 0, v69, s4
	v_cndmask_b32_e64 v54, v54, v68, s4
	ds_store_b32 v66, v69
	s_branch .LBB165_9
.LBB165_12:
	s_or_b32 exec_lo, exec_lo, s10
.LBB165_13:
	s_delay_alu instid0(SALU_CYCLE_1)
	s_or_b32 exec_lo, exec_lo, s11
	v_xor_b32_e32 v1, 16, v6
	v_xor_b32_e32 v2, 8, v6
	v_max_num_f32_e32 v11, v54, v54
	v_xor_b32_e32 v12, 2, v6
	s_clause 0x2
	s_load_b128 s[4:7], s[0:1], 0x0
	s_load_b64 s[10:11], s[0:1], 0x10
	s_load_b64 s[22:23], s[0:1], 0x28
	v_cmp_lt_i32_e32 vcc_lo, v1, v8
	v_and_b32_e32 v39, 31, v0
	s_wait_alu 0xfffd
	v_cndmask_b32_e32 v1, v6, v1, vcc_lo
	v_cmp_lt_i32_e32 vcc_lo, v2, v8
	s_wait_alu 0xfffd
	v_cndmask_b32_e32 v2, v6, v2, vcc_lo
	s_delay_alu instid0(VALU_DEP_1) | instskip(SKIP_4) | instid1(VALU_DEP_1)
	v_lshlrev_b32_e32 v10, 2, v2
	v_lshlrev_b32_e32 v9, 2, v1
	ds_bpermute_b32 v1, v9, v54
	s_wait_dscnt 0x0
	v_max_num_f32_e32 v1, v1, v1
	v_max_num_f32_e32 v1, v11, v1
	v_xor_b32_e32 v11, 4, v6
	ds_bpermute_b32 v2, v10, v1
	v_cmp_lt_i32_e32 vcc_lo, v11, v8
	s_wait_alu 0xfffd
	v_cndmask_b32_e32 v11, v6, v11, vcc_lo
	v_cmp_lt_i32_e32 vcc_lo, v12, v8
	s_wait_alu 0xfffd
	s_delay_alu instid0(VALU_DEP_2) | instskip(SKIP_3) | instid1(VALU_DEP_1)
	v_dual_cndmask_b32 v12, v6, v12 :: v_dual_lshlrev_b32 v11, 2, v11
	v_cmp_eq_u32_e32 vcc_lo, 0, v39
	s_wait_dscnt 0x0
	v_max_num_f32_e32 v2, v2, v2
	v_max_num_f32_e32 v1, v1, v2
	ds_bpermute_b32 v2, v11, v1
	s_wait_dscnt 0x0
	v_max_num_f32_e32 v2, v2, v2
	s_delay_alu instid0(VALU_DEP_1)
	v_dual_max_num_f32 v1, v1, v2 :: v_dual_lshlrev_b32 v2, 2, v12
	v_lshlrev_b32_e32 v12, 2, v37
	ds_bpermute_b32 v13, v2, v1
	s_and_saveexec_b32 s0, vcc_lo
	s_cbranch_execz .LBB165_15
; %bb.14:
	s_wait_dscnt 0x0
	v_max_num_f32_e32 v13, v13, v13
	v_max_num_f32_e32 v1, v1, v1
	s_delay_alu instid0(VALU_DEP_1)
	v_max_num_f32_e32 v1, v1, v13
	ds_store_b32 v12, v1 offset:192
.LBB165_15:
	s_or_b32 exec_lo, exec_lo, s0
	v_cmp_gt_u32_e64 s0, 4, v39
	v_mov_b32_e32 v1, 0xff7fffff
	s_wait_dscnt 0x0
	v_lshlrev_b32_e32 v13, 2, v39
	s_wait_loadcnt 0x0
	s_barrier_signal -1
	s_barrier_wait -1
	global_inv scope:SCOPE_SE
	s_and_saveexec_b32 s1, s0
; %bb.16:
	ds_load_b32 v1, v13 offset:192
; %bb.17:
	s_or_b32 exec_lo, exec_lo, s1
	s_wait_dscnt 0x0
	ds_bpermute_b32 v14, v2, v1
	v_xor_b32_e32 v15, 1, v6
	v_max_num_f32_e32 v1, v1, v1
	v_lshlrev_b32_e32 v7, 2, v7
	s_delay_alu instid0(VALU_DEP_3) | instskip(NEXT) | instid1(VALU_DEP_1)
	v_cmp_lt_i32_e64 s1, v15, v8
	v_cndmask_b32_e64 v8, v6, v15, s1
	s_sub_co_i32 s1, s13, s28
	s_wait_alu 0xfffe
	s_lshl_b32 s1, s1, 4
	s_wait_alu 0xfffe
	s_add_co_i32 s1, s1, s26
	s_wait_alu 0xfffe
	s_min_i32 s1, s1, s25
	s_wait_dscnt 0x0
	v_max_num_f32_e32 v14, v14, v14
	v_lshlrev_b32_e32 v40, 2, v8
	s_wait_alu 0xfffe
	s_sub_co_i32 s21, s1, s26
	s_wait_alu 0xfffe
	v_cmp_gt_i32_e64 s1, s21, v0
	v_max_num_f32_e32 v1, v1, v14
	ds_bpermute_b32 v8, v40, v1
	s_wait_dscnt 0x0
	v_max_num_f32_e32 v8, v8, v8
	s_delay_alu instid0(VALU_DEP_1)
	v_dual_max_num_f32 v1, v1, v8 :: v_dual_mov_b32 v8, 0
	ds_bpermute_b32 v1, v7, v1
	v_lshl_add_u32 v7, v0, 2, 0xe0
	s_and_saveexec_b32 s28, s1
	s_cbranch_execz .LBB165_21
; %bb.18:
	v_lshl_add_u32 v14, v0, 2, 0xe0
	v_dual_mov_b32 v8, 0 :: v_dual_mov_b32 v15, v0
	s_mov_b32 s29, 0
.LBB165_19:                             ; =>This Inner Loop Header: Depth=1
	ds_load_b32 v16, v14
	v_add_nc_u32_e32 v15, 0x80, v15
	s_delay_alu instid0(VALU_DEP_1) | instskip(SKIP_4) | instid1(VALU_DEP_1)
	v_cmp_le_i32_e64 s3, s21, v15
	s_wait_alu 0xfffe
	s_or_b32 s29, s3, s29
	s_wait_dscnt 0x0
	v_sub_f32_e32 v16, v16, v1
	v_mul_f32_e32 v16, 0x3fb8aa3b, v16
	s_delay_alu instid0(VALU_DEP_1)
	v_exp_f32_e32 v16, v16
	ds_store_b32 v14, v16
	v_add_f32_e32 v8, v8, v16
	v_add_nc_u32_e32 v14, 0x200, v14
	s_wait_alu 0xfffe
	s_and_not1_b32 exec_lo, exec_lo, s29
	s_cbranch_execnz .LBB165_19
; %bb.20:
	s_or_b32 exec_lo, exec_lo, s29
.LBB165_21:
	s_wait_alu 0xfffe
	s_or_b32 exec_lo, exec_lo, s28
	ds_bpermute_b32 v9, v9, v8
	s_wait_dscnt 0x0
	v_add_f32_e32 v8, v8, v9
	ds_bpermute_b32 v9, v10, v8
	s_wait_dscnt 0x0
	v_add_f32_e32 v8, v8, v9
	;; [unrolled: 3-line block ×5, first 2 shown]
	s_and_saveexec_b32 s3, vcc_lo
; %bb.22:
	ds_store_b32 v12, v8 offset:208
; %bb.23:
	s_wait_alu 0xfffe
	s_or_b32 exec_lo, exec_lo, s3
	s_wait_loadcnt_dscnt 0x0
	s_barrier_signal -1
	s_barrier_wait -1
	global_inv scope:SCOPE_SE
	s_and_saveexec_b32 s3, s0
; %bb.24:
	ds_load_b32 v8, v13 offset:208
; %bb.25:
	s_wait_alu 0xfffe
	s_or_b32 exec_lo, exec_lo, s3
	s_wait_dscnt 0x0
	ds_bpermute_b32 v2, v2, v8
	v_lshlrev_b32_e32 v6, 2, v6
	s_delay_alu instid0(VALU_DEP_1)
	v_and_b32_e32 v6, 0xffffff80, v6
	s_wait_dscnt 0x0
	v_add_f32_e32 v2, v8, v2
	ds_bpermute_b32 v8, v40, v2
	s_wait_dscnt 0x0
	v_add_f32_e32 v2, v2, v8
	ds_bpermute_b32 v2, v6, v2
	s_and_saveexec_b32 s0, s1
	s_cbranch_execz .LBB165_28
; %bb.26:
	s_wait_dscnt 0x0
	v_add_f32_e32 v6, 0x358637bd, v2
	s_mov_b32 s1, 0
	s_delay_alu instid0(VALU_DEP_1) | instskip(NEXT) | instid1(VALU_DEP_1)
	v_div_scale_f32 v8, null, v6, v6, 1.0
	v_rcp_f32_e32 v9, v8
	s_delay_alu instid0(TRANS32_DEP_1) | instskip(NEXT) | instid1(VALU_DEP_1)
	v_fma_f32 v10, -v8, v9, 1.0
	v_fmac_f32_e32 v9, v10, v9
	v_div_scale_f32 v11, vcc_lo, 1.0, v6, 1.0
	s_delay_alu instid0(VALU_DEP_1) | instskip(NEXT) | instid1(VALU_DEP_1)
	v_mul_f32_e32 v10, v11, v9
	v_fma_f32 v12, -v8, v10, v11
	s_delay_alu instid0(VALU_DEP_1) | instskip(NEXT) | instid1(VALU_DEP_1)
	v_fmac_f32_e32 v10, v12, v9
	v_fma_f32 v8, -v8, v10, v11
	s_wait_alu 0xfffd
	s_delay_alu instid0(VALU_DEP_1) | instskip(NEXT) | instid1(VALU_DEP_1)
	v_div_fmas_f32 v8, v8, v9, v10
	v_div_fixup_f32 v6, v8, v6, 1.0
	v_mov_b32_e32 v8, v0
.LBB165_27:                             ; =>This Inner Loop Header: Depth=1
	ds_load_b32 v9, v7
	s_wait_dscnt 0x0
	v_dual_mul_f32 v9, v6, v9 :: v_dual_add_nc_u32 v8, 0x80, v8
	s_delay_alu instid0(VALU_DEP_1)
	v_cmp_le_i32_e32 vcc_lo, s21, v8
	ds_store_b32 v7, v9
	v_add_nc_u32_e32 v7, 0x200, v7
	s_wait_alu 0xfffe
	s_or_b32 s1, vcc_lo, s1
	s_wait_alu 0xfffe
	s_and_not1_b32 exec_lo, exec_lo, s1
	s_cbranch_execnz .LBB165_27
.LBB165_28:
	s_wait_alu 0xfffe
	s_or_b32 exec_lo, exec_lo, s0
	s_wait_kmcnt 0x0
	s_mul_i32 s0, s8, s14
	s_wait_loadcnt_dscnt 0x0
	s_wait_alu 0xfffe
	s_mul_i32 s14, s0, s15
	s_mov_b32 s0, exec_lo
	s_barrier_signal -1
	s_barrier_wait -1
	global_inv scope:SCOPE_SE
	v_cmpx_eq_u32_e32 0, v0
	s_cbranch_execz .LBB165_30
; %bb.29:
	s_ashr_i32 s15, s14, 31
	s_wait_alu 0xfffe
	s_mul_i32 s28, s8, ttmp9
	s_lshl_b32 s1, s24, 2
	s_lshl_b64 s[30:31], s[14:15], 2
	s_wait_alu 0xfffe
	s_ashr_i32 s29, s28, 31
	v_mov_b32_e32 v6, s1
	s_add_nc_u64 s[6:7], s[6:7], s[30:31]
	s_wait_alu 0xfffe
	s_lshl_b64 s[28:29], s[28:29], 2
	s_add_nc_u64 s[4:5], s[4:5], s[30:31]
	s_wait_alu 0xfffe
	s_add_nc_u64 s[6:7], s[6:7], s[28:29]
	s_add_nc_u64 s[4:5], s[4:5], s[28:29]
	s_clause 0x1
	global_store_b32 v6, v1, s[6:7]
	global_store_b32 v6, v2, s[4:5]
.LBB165_30:
	s_wait_alu 0xfffe
	s_or_b32 exec_lo, exec_lo, s0
	v_dual_mov_b32 v45, 0 :: v_dual_mov_b32 v46, 0
	v_dual_mov_b32 v44, 0 :: v_dual_mov_b32 v43, 0
	v_dual_mov_b32 v42, 0 :: v_dual_mov_b32 v41, 0
	s_and_saveexec_b32 s1, s2
	s_cbranch_execz .LBB165_46
; %bb.31:
	v_dual_mov_b32 v41, 0 :: v_dual_lshlrev_b32 v2, 4, v0
	s_ashr_i32 s21, s20, 31
	v_dual_mov_b32 v42, 0 :: v_dual_and_b32 v1, 8, v3
	s_delay_alu instid0(VALU_DEP_2)
	v_dual_mov_b32 v43, 0 :: v_dual_and_b32 v2, 0x1f0, v2
	s_wait_alu 0xfffe
	s_lshl_b64 s[4:5], s[20:21], 1
	v_dual_mov_b32 v44, 0 :: v_dual_lshlrev_b32 v3, 5, v36
	s_wait_alu 0xfffe
	s_add_nc_u64 s[4:5], s[22:23], s[4:5]
	v_add3_u32 v49, s26, v5, v1
	s_wait_alu 0xfffe
	v_add_co_u32 v47, s0, s4, v2
	s_wait_alu 0xf1ff
	v_add_co_ci_u32_e64 v48, null, s5, 0, s0
	s_lshl_b64 s[4:5], s[16:17], 2
	v_lshl_or_b32 v3, v37, 6, v3
	s_wait_alu 0xfffe
	s_add_nc_u64 s[4:5], s[18:19], s[4:5]
	v_mov_b32_e32 v46, 0
	s_wait_alu 0xfffe
	v_add_co_u32 v33, s0, s4, v4
	v_dual_mov_b32 v45, 0 :: v_dual_add_nc_u32 v50, 0xe0, v3
	s_wait_alu 0xf1ff
	v_add_co_ci_u32_e64 v34, null, s5, 0, s0
	s_mov_b32 s2, s9
	s_add_co_i32 s3, s27, -1
	s_mov_b32 s5, s25
	s_mov_b32 s4, 0
	s_branch .LBB165_33
.LBB165_32:                             ;   in Loop: Header=BB165_33 Depth=1
	s_wait_alu 0xfffe
	s_or_b32 exec_lo, exec_lo, s0
	s_wait_dscnt 0x1
	v_bfe_u32 v51, v25, 16, 1
	v_bfe_u32 v52, v26, 16, 1
	v_or_b32_e32 v53, 0x400000, v25
	v_cmp_u_f32_e32 vcc_lo, v25, v25
	v_or_b32_e32 v54, 0x400000, v26
	v_add3_u32 v51, v51, v25, 0x7fff
	v_bfe_u32 v55, v27, 16, 1
	v_add3_u32 v52, v52, v26, 0x7fff
	v_bfe_u32 v56, v28, 16, 1
	s_wait_loadcnt 0x1
	s_wait_alu 0xfffd
	v_dual_cndmask_b32 v25, v51, v53 :: v_dual_and_b32 v58, 0xffff0000, v32
	v_cmp_u_f32_e32 vcc_lo, v26, v26
	v_add3_u32 v51, v55, v27, 0x7fff
	v_add3_u32 v53, v56, v28, 0x7fff
	s_wait_dscnt 0x0
	v_bfe_u32 v55, v17, 16, 1
	v_add_co_u32 v33, s0, v33, 16
	s_wait_alu 0xfffd
	v_cndmask_b32_e32 v26, v52, v54, vcc_lo
	v_or_b32_e32 v52, 0x400000, v27
	v_cmp_u_f32_e32 vcc_lo, v27, v27
	v_or_b32_e32 v54, 0x400000, v28
	v_add_nc_u32_e32 v49, 64, v49
	s_wait_alu 0xf1ff
	v_add_co_ci_u32_e64 v34, null, 0, v34, s0
	s_wait_alu 0xfffd
	v_cndmask_b32_e32 v27, v51, v52, vcc_lo
	v_cmp_u_f32_e32 vcc_lo, v28, v28
	v_bfe_u32 v51, v18, 16, 1
	v_add3_u32 v52, v55, v17, 0x7fff
	v_bfe_u32 v55, v19, 16, 1
	v_add_nc_u32_e32 v50, 0x100, v50
	s_wait_alu 0xfffd
	v_cndmask_b32_e32 v28, v53, v54, vcc_lo
	v_or_b32_e32 v53, 0x400000, v17
	v_cmp_u_f32_e32 vcc_lo, v17, v17
	v_add3_u32 v51, v51, v18, 0x7fff
	v_or_b32_e32 v54, 0x400000, v18
	v_add_nc_u32_e32 v38, 4, v38
	s_wait_alu 0xfffd
	v_cndmask_b32_e32 v52, v52, v53, vcc_lo
	v_cmp_u_f32_e32 vcc_lo, v18, v18
	v_add3_u32 v18, v55, v19, 0x7fff
	v_bfe_u32 v53, v20, 16, 1
	v_or_b32_e32 v55, 0x400000, v20
	s_wait_alu 0xfffd
	v_cndmask_b32_e32 v51, v51, v54, vcc_lo
	v_or_b32_e32 v54, 0x400000, v19
	v_cmp_u_f32_e32 vcc_lo, v19, v19
	v_add3_u32 v53, v53, v20, 0x7fff
	s_wait_alu 0xfffd
	s_delay_alu instid0(VALU_DEP_3)
	v_cndmask_b32_e32 v54, v18, v54, vcc_lo
	v_cmp_u_f32_e32 vcc_lo, v20, v20
	v_and_b32_e32 v17, 0xffff0000, v26
	v_and_b32_e32 v18, 0xffff0000, v28
	;; [unrolled: 1-line block ×4, first 2 shown]
	s_wait_alu 0xfffd
	s_delay_alu instid0(VALU_DEP_2) | instskip(NEXT) | instid1(VALU_DEP_2)
	v_dual_cndmask_b32 v20, v53, v55 :: v_dual_mul_f32 v57, v18, v28
	v_dual_mul_f32 v26, v17, v26 :: v_dual_and_b32 v25, 0xffff0000, v25
	v_and_b32_e32 v28, 0xffff0000, v27
	v_lshlrev_b32_e32 v27, 16, v30
	s_delay_alu instid0(VALU_DEP_3) | instskip(SKIP_2) | instid1(VALU_DEP_3)
	v_bfe_u32 v19, v26, 16, 1
	v_or_b32_e32 v55, 0x400000, v26
	v_cmp_u_f32_e32 vcc_lo, v26, v26
	v_add3_u32 v19, v19, v26, 0x7fff
	v_lshlrev_b32_e32 v29, 16, v29
	v_and_b32_e32 v26, 0xffff0000, v52
	s_wait_alu 0xfffd
	s_delay_alu instid0(VALU_DEP_2) | instskip(NEXT) | instid1(VALU_DEP_1)
	v_dual_cndmask_b32 v30, v19, v55 :: v_dual_mul_f32 v29, v25, v29
	v_and_b32_e32 v30, 0xffff0000, v30
	s_delay_alu instid0(VALU_DEP_2) | instskip(SKIP_2) | instid1(VALU_DEP_3)
	v_bfe_u32 v53, v29, 16, 1
	v_or_b32_e32 v56, 0x400000, v29
	v_cmp_u_f32_e32 vcc_lo, v29, v29
	v_add3_u32 v53, v53, v29, 0x7fff
	s_wait_alu 0xfffd
	s_delay_alu instid0(VALU_DEP_1) | instskip(SKIP_2) | instid1(VALU_DEP_3)
	v_cndmask_b32_e32 v29, v53, v56, vcc_lo
	v_bfe_u32 v53, v57, 16, 1
	v_cmp_u_f32_e32 vcc_lo, v57, v57
	v_and_b32_e32 v29, 0xffff0000, v29
	s_delay_alu instid0(VALU_DEP_3) | instskip(SKIP_1) | instid1(VALU_DEP_3)
	v_add3_u32 v52, v53, v57, 0x7fff
	v_or_b32_e32 v53, 0x400000, v57
	v_dual_add_f32 v29, v29, v30 :: v_dual_lshlrev_b32 v32, 16, v32
	s_wait_alu 0xfffd
	s_delay_alu instid0(VALU_DEP_2) | instskip(NEXT) | instid1(VALU_DEP_1)
	v_cndmask_b32_e32 v52, v52, v53, vcc_lo
	v_dual_mul_f32 v27, v28, v27 :: v_dual_and_b32 v52, 0xffff0000, v52
	s_delay_alu instid0(VALU_DEP_1) | instskip(SKIP_1) | instid1(VALU_DEP_2)
	v_bfe_u32 v55, v27, 16, 1
	v_cmp_u_f32_e32 vcc_lo, v27, v27
	v_add3_u32 v53, v55, v27, 0x7fff
	v_or_b32_e32 v55, 0x400000, v27
	v_and_b32_e32 v20, 0xffff0000, v20
	v_and_b32_e32 v27, 0xffff0000, v54
	s_wait_alu 0xfffd
	s_delay_alu instid0(VALU_DEP_3) | instskip(NEXT) | instid1(VALU_DEP_3)
	v_cndmask_b32_e32 v53, v53, v55, vcc_lo
	v_dual_mul_f32 v58, v20, v58 :: v_dual_and_b32 v19, 0xffff0000, v51
	s_delay_alu instid0(VALU_DEP_3) | instskip(NEXT) | instid1(VALU_DEP_3)
	v_dual_mul_f32 v32, v27, v32 :: v_dual_and_b32 v51, 0xffff0000, v31
	v_and_b32_e32 v53, 0xffff0000, v53
	v_lshlrev_b32_e32 v31, 16, v31
	s_delay_alu instid0(VALU_DEP_4) | instskip(NEXT) | instid1(VALU_DEP_3)
	v_bfe_u32 v59, v58, 16, 1
	v_dual_mul_f32 v51, v19, v51 :: v_dual_add_f32 v30, v53, v52
	s_delay_alu instid0(VALU_DEP_3) | instskip(NEXT) | instid1(VALU_DEP_2)
	v_dual_mul_f32 v31, v26, v31 :: v_dual_and_b32 v52, 0xffff0000, v21
	v_bfe_u32 v56, v51, 16, 1
	v_cmp_u_f32_e32 vcc_lo, v51, v51
	s_delay_alu instid0(VALU_DEP_4) | instskip(NEXT) | instid1(VALU_DEP_4)
	v_add_f32_e32 v29, v30, v29
	v_bfe_u32 v57, v31, 16, 1
	v_or_b32_e32 v54, 0x400000, v31
	v_add3_u32 v55, v56, v51, 0x7fff
	v_or_b32_e32 v56, 0x400000, v51
	v_mul_f32_e32 v30, v17, v52
	v_add3_u32 v57, v57, v31, 0x7fff
	s_wait_alu 0xfffd
	s_delay_alu instid0(VALU_DEP_3)
	v_cndmask_b32_e32 v51, v55, v56, vcc_lo
	v_cmp_u_f32_e32 vcc_lo, v31, v31
	v_or_b32_e32 v55, 0x400000, v58
	v_bfe_u32 v56, v32, 16, 1
	v_bfe_u32 v52, v30, 16, 1
	s_wait_alu 0xfffd
	v_cndmask_b32_e32 v31, v57, v54, vcc_lo
	v_add3_u32 v54, v59, v58, 0x7fff
	v_cmp_u_f32_e32 vcc_lo, v58, v58
	s_wait_alu 0xfffd
	s_delay_alu instid0(VALU_DEP_2)
	v_cndmask_b32_e32 v54, v54, v55, vcc_lo
	v_add3_u32 v55, v56, v32, 0x7fff
	v_or_b32_e32 v56, 0x400000, v32
	v_cmp_u_f32_e32 vcc_lo, v32, v32
	v_and_b32_e32 v53, 0xffff0000, v22
	v_lshlrev_b32_e32 v22, 16, v22
	s_wait_alu 0xfffd
	v_dual_cndmask_b32 v32, v55, v56 :: v_dual_and_b32 v51, 0xffff0000, v51
	v_cmp_u_f32_e32 vcc_lo, v30, v30
	s_delay_alu instid0(VALU_DEP_3) | instskip(SKIP_1) | instid1(VALU_DEP_2)
	v_dual_mul_f32 v22, v28, v22 :: v_dual_and_b32 v31, 0xffff0000, v31
	v_and_b32_e32 v55, 0xffff0000, v24
	v_dual_add_f32 v31, v31, v51 :: v_dual_lshlrev_b32 v24, 16, v24
	v_and_b32_e32 v32, 0xffff0000, v32
	s_delay_alu instid0(VALU_DEP_2) | instskip(NEXT) | instid1(VALU_DEP_3)
	v_dual_mul_f32 v24, v27, v24 :: v_dual_and_b32 v51, 0xffff0000, v54
	v_add_f32_e32 v29, v31, v29
	s_delay_alu instid0(VALU_DEP_2) | instskip(SKIP_2) | instid1(VALU_DEP_3)
	v_dual_add_f32 v32, v32, v51 :: v_dual_lshlrev_b32 v21, 16, v21
	v_add3_u32 v51, v52, v30, 0x7fff
	v_or_b32_e32 v52, 0x400000, v30
	v_mul_f32_e32 v21, v25, v21
	s_delay_alu instid0(VALU_DEP_4) | instskip(SKIP_1) | instid1(VALU_DEP_3)
	v_dual_add_f32 v29, v32, v29 :: v_dual_and_b32 v32, 0xffff0000, v16
	s_wait_alu 0xfffd
	v_dual_cndmask_b32 v30, v51, v52 :: v_dual_mul_f32 v53, v18, v53
	s_delay_alu instid0(VALU_DEP_3) | instskip(SKIP_2) | instid1(VALU_DEP_4)
	v_bfe_u32 v31, v21, 16, 1
	v_or_b32_e32 v54, 0x400000, v21
	v_cmp_u_f32_e32 vcc_lo, v21, v21
	v_and_b32_e32 v30, 0xffff0000, v30
	v_bfe_u32 v51, v53, 16, 1
	v_add3_u32 v31, v31, v21, 0x7fff
	v_or_b32_e32 v52, 0x400000, v53
	v_dual_add_f32 v42, v42, v29 :: v_dual_and_b32 v29, 0xffff0000, v14
	s_delay_alu instid0(VALU_DEP_4)
	v_add3_u32 v51, v51, v53, 0x7fff
	s_wait_alu 0xfffd
	v_cndmask_b32_e32 v21, v31, v54, vcc_lo
	v_bfe_u32 v54, v22, 16, 1
	v_cmp_u_f32_e32 vcc_lo, v53, v53
	v_or_b32_e32 v53, 0x400000, v22
	v_and_b32_e32 v31, 0xffff0000, v23
	v_lshlrev_b32_e32 v14, 16, v14
	v_lshlrev_b32_e32 v23, 16, v23
	s_wait_alu 0xfffd
	v_cndmask_b32_e32 v51, v51, v52, vcc_lo
	v_add3_u32 v52, v54, v22, 0x7fff
	v_cmp_u_f32_e32 vcc_lo, v22, v22
	v_dual_mul_f32 v31, v19, v31 :: v_dual_mul_f32 v14, v28, v14
	v_dual_mul_f32 v23, v26, v23 :: v_dual_lshlrev_b32 v16, 16, v16
	s_wait_alu 0xfffd
	v_cndmask_b32_e32 v22, v52, v53, vcc_lo
	s_delay_alu instid0(VALU_DEP_3) | instskip(SKIP_2) | instid1(VALU_DEP_4)
	v_bfe_u32 v54, v31, 16, 1
	v_cmp_u_f32_e32 vcc_lo, v31, v31
	v_mul_f32_e32 v16, v27, v16
	v_and_b32_e32 v22, 0xffff0000, v22
	v_and_b32_e32 v51, 0xffff0000, v51
	v_add3_u32 v52, v54, v31, 0x7fff
	v_or_b32_e32 v54, 0x400000, v31
	v_mul_f32_e32 v29, v18, v29
	s_delay_alu instid0(VALU_DEP_4) | instskip(SKIP_1) | instid1(VALU_DEP_3)
	v_dual_add_f32 v22, v22, v51 :: v_dual_and_b32 v21, 0xffff0000, v21
	s_wait_alu 0xfffd
	v_cndmask_b32_e32 v31, v52, v54, vcc_lo
	s_delay_alu instid0(VALU_DEP_1) | instskip(NEXT) | instid1(VALU_DEP_1)
	v_dual_add_f32 v21, v21, v30 :: v_dual_and_b32 v30, 0xffff0000, v31
	v_add_f32_e32 v21, v22, v21
	v_and_b32_e32 v22, 0xffff0000, v13
	v_bfe_u32 v56, v23, 16, 1
	v_cmp_u_f32_e32 vcc_lo, v23, v23
	s_delay_alu instid0(VALU_DEP_3) | instskip(SKIP_1) | instid1(VALU_DEP_4)
	v_dual_mul_f32 v22, v17, v22 :: v_dual_lshlrev_b32 v13, 16, v13
	v_mul_f32_e32 v53, v20, v55
	v_add3_u32 v55, v56, v23, 0x7fff
	v_or_b32_e32 v56, 0x400000, v23
	s_delay_alu instid0(VALU_DEP_4) | instskip(NEXT) | instid1(VALU_DEP_4)
	v_mul_f32_e32 v31, v25, v13
	v_bfe_u32 v57, v53, 16, 1
	v_or_b32_e32 v54, 0x400000, v53
	s_wait_alu 0xfffd
	v_cndmask_b32_e32 v23, v55, v56, vcc_lo
	v_bfe_u32 v55, v24, 16, 1
	v_cmp_u_f32_e32 vcc_lo, v53, v53
	v_add3_u32 v52, v57, v53, 0x7fff
	s_delay_alu instid0(VALU_DEP_4) | instskip(NEXT) | instid1(VALU_DEP_4)
	v_and_b32_e32 v23, 0xffff0000, v23
	v_add3_u32 v53, v55, v24, 0x7fff
	s_wait_alu 0xfffd
	s_delay_alu instid0(VALU_DEP_3) | instskip(SKIP_2) | instid1(VALU_DEP_3)
	v_cndmask_b32_e32 v52, v52, v54, vcc_lo
	v_or_b32_e32 v54, 0x400000, v24
	v_cmp_u_f32_e32 vcc_lo, v24, v24
	v_dual_add_f32 v23, v23, v30 :: v_dual_and_b32 v30, 0xffff0000, v52
	s_wait_alu 0xfffd
	s_delay_alu instid0(VALU_DEP_1) | instskip(SKIP_2) | instid1(VALU_DEP_3)
	v_dual_cndmask_b32 v24, v53, v54 :: v_dual_add_f32 v13, v23, v21
	v_bfe_u32 v23, v22, 16, 1
	v_cmp_u_f32_e32 vcc_lo, v22, v22
	v_and_b32_e32 v24, 0xffff0000, v24
	s_delay_alu instid0(VALU_DEP_1) | instskip(SKIP_2) | instid1(VALU_DEP_3)
	v_add_f32_e32 v21, v24, v30
	v_bfe_u32 v24, v31, 16, 1
	v_or_b32_e32 v30, 0x400000, v31
	v_add_f32_e32 v13, v21, v13
	v_add3_u32 v21, v23, v22, 0x7fff
	v_or_b32_e32 v23, 0x400000, v22
	v_add3_u32 v24, v24, v31, 0x7fff
	v_bfe_u32 v22, v29, 16, 1
	s_wait_alu 0xfffd
	s_delay_alu instid0(VALU_DEP_3) | instskip(SKIP_1) | instid1(VALU_DEP_3)
	v_cndmask_b32_e32 v21, v21, v23, vcc_lo
	v_cmp_u_f32_e32 vcc_lo, v31, v31
	v_add3_u32 v22, v22, v29, 0x7fff
	v_bfe_u32 v31, v14, 16, 1
	s_wait_alu 0xfffd
	v_dual_cndmask_b32 v23, v24, v30 :: v_dual_and_b32 v24, 0xffff0000, v15
	v_or_b32_e32 v30, 0x400000, v29
	v_cmp_u_f32_e32 vcc_lo, v29, v29
	v_add3_u32 v29, v31, v14, 0x7fff
	s_delay_alu instid0(VALU_DEP_4)
	v_mul_f32_e32 v24, v19, v24
	s_wait_alu 0xfffd
	v_cndmask_b32_e32 v22, v22, v30, vcc_lo
	v_or_b32_e32 v30, 0x400000, v14
	v_cmp_u_f32_e32 vcc_lo, v14, v14
	v_bfe_u32 v31, v24, 16, 1
	s_delay_alu instid0(VALU_DEP_4) | instskip(SKIP_2) | instid1(VALU_DEP_3)
	v_and_b32_e32 v22, 0xffff0000, v22
	s_wait_alu 0xfffd
	v_cndmask_b32_e32 v14, v29, v30, vcc_lo
	v_add3_u32 v29, v31, v24, 0x7fff
	v_or_b32_e32 v31, 0x400000, v24
	v_cmp_u_f32_e32 vcc_lo, v24, v24
	v_mul_f32_e32 v30, v20, v32
	v_dual_add_f32 v43, v43, v13 :: v_dual_and_b32 v14, 0xffff0000, v14
	s_wait_alu 0xfffd
	v_cndmask_b32_e32 v24, v29, v31, vcc_lo
	s_delay_alu instid0(VALU_DEP_3) | instskip(NEXT) | instid1(VALU_DEP_3)
	v_bfe_u32 v52, v30, 16, 1
	v_dual_add_f32 v14, v14, v22 :: v_dual_and_b32 v21, 0xffff0000, v21
	v_or_b32_e32 v31, 0x400000, v30
	s_delay_alu instid0(VALU_DEP_4) | instskip(SKIP_2) | instid1(VALU_DEP_2)
	v_and_b32_e32 v22, 0xffff0000, v24
	v_and_b32_e32 v23, 0xffff0000, v23
	v_add3_u32 v29, v52, v30, 0x7fff
	v_add_f32_e32 v21, v23, v21
	v_lshlrev_b32_e32 v15, 16, v15
	v_and_b32_e32 v23, 0xffff0000, v5
	v_lshlrev_b32_e32 v5, 16, v5
	s_delay_alu instid0(VALU_DEP_4) | instskip(NEXT) | instid1(VALU_DEP_4)
	v_add_f32_e32 v14, v14, v21
	v_mul_f32_e32 v15, v26, v15
	s_delay_alu instid0(VALU_DEP_4) | instskip(SKIP_2) | instid1(VALU_DEP_4)
	v_mul_f32_e32 v21, v17, v23
	v_and_b32_e32 v23, 0xffff0000, v6
	v_dual_mul_f32 v5, v25, v5 :: v_dual_lshlrev_b32 v6, 16, v6
	v_bfe_u32 v51, v15, 16, 1
	v_cmp_u_f32_e32 vcc_lo, v15, v15
	v_bfe_u32 v24, v21, 16, 1
	s_delay_alu instid0(VALU_DEP_4) | instskip(NEXT) | instid1(VALU_DEP_4)
	v_mul_f32_e32 v6, v28, v6
	v_add3_u32 v32, v51, v15, 0x7fff
	v_or_b32_e32 v51, 0x400000, v15
	s_wait_alu 0xfffd
	s_delay_alu instid0(VALU_DEP_1) | instskip(SKIP_2) | instid1(VALU_DEP_3)
	v_cndmask_b32_e32 v15, v32, v51, vcc_lo
	v_bfe_u32 v32, v16, 16, 1
	v_cmp_u_f32_e32 vcc_lo, v30, v30
	v_and_b32_e32 v15, 0xffff0000, v15
	s_delay_alu instid0(VALU_DEP_3) | instskip(SKIP_4) | instid1(VALU_DEP_3)
	v_add3_u32 v30, v32, v16, 0x7fff
	s_wait_alu 0xfffd
	v_cndmask_b32_e32 v29, v29, v31, vcc_lo
	v_or_b32_e32 v31, 0x400000, v16
	v_cmp_u_f32_e32 vcc_lo, v16, v16
	v_dual_add_f32 v15, v15, v22 :: v_dual_and_b32 v22, 0xffff0000, v29
	v_or_b32_e32 v29, 0x400000, v5
	s_wait_alu 0xfffd
	v_cndmask_b32_e32 v16, v30, v31, vcc_lo
	v_cmp_u_f32_e32 vcc_lo, v21, v21
	s_delay_alu instid0(VALU_DEP_2) | instskip(NEXT) | instid1(VALU_DEP_1)
	v_and_b32_e32 v16, 0xffff0000, v16
	v_add_f32_e32 v16, v16, v22
	v_mul_f32_e32 v22, v18, v23
	v_add3_u32 v23, v24, v21, 0x7fff
	v_or_b32_e32 v24, 0x400000, v21
	s_delay_alu instid0(VALU_DEP_3) | instskip(SKIP_1) | instid1(VALU_DEP_2)
	v_bfe_u32 v30, v22, 16, 1
	s_wait_alu 0xfffd
	v_dual_cndmask_b32 v21, v23, v24 :: v_dual_and_b32 v24, 0xffff0000, v7
	v_add_f32_e32 v14, v15, v14
	v_bfe_u32 v15, v5, 16, 1
	v_cmp_u_f32_e32 vcc_lo, v5, v5
	v_or_b32_e32 v23, 0x400000, v22
	s_delay_alu instid0(VALU_DEP_3) | instskip(SKIP_1) | instid1(VALU_DEP_1)
	v_add3_u32 v15, v15, v5, 0x7fff
	s_wait_alu 0xfffd
	v_cndmask_b32_e32 v5, v15, v29, vcc_lo
	v_add3_u32 v15, v30, v22, 0x7fff
	v_bfe_u32 v29, v6, 16, 1
	v_cmp_u_f32_e32 vcc_lo, v22, v22
	v_mul_f32_e32 v22, v19, v24
	v_or_b32_e32 v24, 0x400000, v6
	s_wait_alu 0xfffd
	v_cndmask_b32_e32 v15, v15, v23, vcc_lo
	v_add3_u32 v23, v29, v6, 0x7fff
	v_cmp_u_f32_e32 vcc_lo, v6, v6
	v_bfe_u32 v30, v22, 16, 1
	s_wait_alu 0xfffd
	s_delay_alu instid0(VALU_DEP_3) | instskip(NEXT) | instid1(VALU_DEP_2)
	v_dual_cndmask_b32 v6, v23, v24 :: v_dual_and_b32 v15, 0xffff0000, v15
	v_add3_u32 v24, v30, v22, 0x7fff
	v_cmp_u_f32_e32 vcc_lo, v22, v22
	s_delay_alu instid0(VALU_DEP_3) | instskip(NEXT) | instid1(VALU_DEP_1)
	v_and_b32_e32 v6, 0xffff0000, v6
	v_dual_add_f32 v6, v6, v15 :: v_dual_and_b32 v21, 0xffff0000, v21
	v_and_b32_e32 v5, 0xffff0000, v5
	v_and_b32_e32 v15, 0xffff0000, v1
	;; [unrolled: 1-line block ×3, first 2 shown]
	v_lshlrev_b32_e32 v8, 16, v8
	v_lshlrev_b32_e32 v7, 16, v7
	v_add_f32_e32 v5, v5, v21
	s_delay_alu instid0(VALU_DEP_3) | instskip(NEXT) | instid1(VALU_DEP_3)
	v_dual_mul_f32 v8, v27, v8 :: v_dual_lshlrev_b32 v1, 16, v1
	v_mul_f32_e32 v7, v26, v7
	s_delay_alu instid0(VALU_DEP_3) | instskip(SKIP_2) | instid1(VALU_DEP_4)
	v_dual_add_f32 v5, v6, v5 :: v_dual_mul_f32 v6, v17, v15
	v_mul_f32_e32 v23, v20, v29
	v_or_b32_e32 v29, 0x400000, v22
	v_bfe_u32 v31, v7, 16, 1
	v_mul_f32_e32 v1, v25, v1
	v_bfe_u32 v15, v6, 16, 1
	s_wait_alu 0xfffd
	v_cndmask_b32_e32 v22, v24, v29, vcc_lo
	v_add3_u32 v30, v31, v7, 0x7fff
	v_or_b32_e32 v31, 0x400000, v7
	v_cmp_u_f32_e32 vcc_lo, v7, v7
	v_add3_u32 v15, v15, v6, 0x7fff
	v_and_b32_e32 v21, 0xffff0000, v22
	s_wait_alu 0xfffd
	v_cndmask_b32_e32 v7, v30, v31, vcc_lo
	s_delay_alu instid0(VALU_DEP_1) | instskip(NEXT) | instid1(VALU_DEP_1)
	v_and_b32_e32 v7, 0xffff0000, v7
	v_add_f32_e32 v7, v7, v21
	v_or_b32_e32 v21, 0x400000, v6
	s_delay_alu instid0(VALU_DEP_2)
	v_add_f32_e32 v5, v7, v5
	v_and_b32_e32 v7, 0xffff0000, v2
	v_lshlrev_b32_e32 v2, 16, v2
	v_bfe_u32 v32, v23, 16, 1
	v_or_b32_e32 v29, 0x400000, v23
	v_cmp_u_f32_e32 vcc_lo, v23, v23
	s_delay_alu instid0(VALU_DEP_4) | instskip(NEXT) | instid1(VALU_DEP_4)
	v_dual_mul_f32 v7, v18, v7 :: v_dual_mul_f32 v2, v28, v2
	v_add3_u32 v24, v32, v23, 0x7fff
	s_wait_alu 0xfffd
	s_delay_alu instid0(VALU_DEP_1) | instskip(SKIP_3) | instid1(VALU_DEP_3)
	v_cndmask_b32_e32 v23, v24, v29, vcc_lo
	v_bfe_u32 v24, v8, 16, 1
	v_cmp_u_f32_e32 vcc_lo, v8, v8
	v_or_b32_e32 v29, 0x400000, v7
	v_add3_u32 v22, v24, v8, 0x7fff
	v_or_b32_e32 v24, 0x400000, v8
	s_wait_alu 0xfffd
	s_delay_alu instid0(VALU_DEP_1)
	v_cndmask_b32_e32 v8, v22, v24, vcc_lo
	v_and_b32_e32 v22, 0xffff0000, v23
	v_bfe_u32 v23, v1, 16, 1
	v_cmp_u_f32_e32 vcc_lo, v6, v6
	v_or_b32_e32 v24, 0x400000, v1
	v_and_b32_e32 v8, 0xffff0000, v8
	s_wait_alu 0xfffd
	v_cndmask_b32_e32 v6, v15, v21, vcc_lo
	v_bfe_u32 v15, v7, 16, 1
	v_add3_u32 v21, v23, v1, 0x7fff
	v_and_b32_e32 v23, 0xffff0000, v3
	v_cmp_u_f32_e32 vcc_lo, v1, v1
	v_lshlrev_b32_e32 v3, 16, v3
	v_add3_u32 v15, v15, v7, 0x7fff
	s_delay_alu instid0(VALU_DEP_4)
	v_dual_mul_f32 v23, v19, v23 :: v_dual_and_b32 v6, 0xffff0000, v6
	s_wait_alu 0xfffd
	v_cndmask_b32_e32 v1, v21, v24, vcc_lo
	v_bfe_u32 v21, v2, 16, 1
	v_cmp_u_f32_e32 vcc_lo, v7, v7
	v_dual_mul_f32 v3, v26, v3 :: v_dual_and_b32 v24, 0xffff0000, v4
	v_or_b32_e32 v30, 0x400000, v23
	s_delay_alu instid0(VALU_DEP_4)
	v_add3_u32 v21, v21, v2, 0x7fff
	s_wait_alu 0xfffd
	v_cndmask_b32_e32 v7, v15, v29, vcc_lo
	v_bfe_u32 v15, v23, 16, 1
	v_or_b32_e32 v29, 0x400000, v2
	v_cmp_u_f32_e32 vcc_lo, v2, v2
	v_dual_mul_f32 v24, v20, v24 :: v_dual_and_b32 v1, 0xffff0000, v1
	s_delay_alu instid0(VALU_DEP_4)
	v_add3_u32 v15, v15, v23, 0x7fff
	v_add_f32_e32 v8, v8, v22
	s_wait_alu 0xfffd
	v_cndmask_b32_e32 v2, v21, v29, vcc_lo
	v_bfe_u32 v21, v3, 16, 1
	v_cmp_u_f32_e32 vcc_lo, v23, v23
	v_bfe_u32 v29, v24, 16, 1
	v_or_b32_e32 v23, 0x400000, v3
	v_add_f32_e32 v1, v1, v6
	v_add3_u32 v21, v21, v3, 0x7fff
	s_wait_alu 0xfffd
	v_cndmask_b32_e32 v15, v15, v30, vcc_lo
	v_cmp_u_f32_e32 vcc_lo, v3, v3
	v_add3_u32 v29, v29, v24, 0x7fff
	v_or_b32_e32 v30, 0x400000, v24
	v_and_b32_e32 v2, 0xffff0000, v2
	v_and_b32_e32 v6, 0xffff0000, v15
	s_wait_alu 0xfffd
	v_cndmask_b32_e32 v3, v21, v23, vcc_lo
	v_cmp_u_f32_e32 vcc_lo, v24, v24
	v_dual_add_f32 v5, v8, v5 :: v_dual_lshlrev_b32 v4, 16, v4
	s_delay_alu instid0(VALU_DEP_3)
	v_and_b32_e32 v3, 0xffff0000, v3
	s_wait_alu 0xfffd
	v_cndmask_b32_e32 v21, v29, v30, vcc_lo
	s_wait_loadcnt 0x0
	v_lshlrev_b32_e32 v29, 16, v9
	v_dual_mul_f32 v4, v27, v4 :: v_dual_and_b32 v9, 0xffff0000, v9
	v_dual_add_f32 v3, v3, v6 :: v_dual_add_f32 v46, v46, v5
	s_delay_alu instid0(VALU_DEP_2) | instskip(SKIP_1) | instid1(VALU_DEP_4)
	v_dual_mul_f32 v6, v17, v9 :: v_dual_lshlrev_b32 v9, 16, v10
	v_and_b32_e32 v10, 0xffff0000, v10
	v_bfe_u32 v23, v4, 16, 1
	v_or_b32_e32 v24, 0x400000, v4
	v_cmp_u_f32_e32 vcc_lo, v4, v4
	v_bfe_u32 v17, v6, 16, 1
	v_mul_f32_e32 v10, v18, v10
	v_lshlrev_b32_e32 v18, 16, v11
	v_add3_u32 v23, v23, v4, 0x7fff
	v_mul_f32_e32 v9, v28, v9
	s_delay_alu instid0(VALU_DEP_3) | instskip(SKIP_1) | instid1(VALU_DEP_3)
	v_dual_mul_f32 v18, v26, v18 :: v_dual_and_b32 v11, 0xffff0000, v11
	s_wait_alu 0xfffd
	v_dual_cndmask_b32 v4, v23, v24 :: v_dual_and_b32 v7, 0xffff0000, v7
	s_delay_alu instid0(VALU_DEP_2) | instskip(SKIP_2) | instid1(VALU_DEP_4)
	v_mul_f32_e32 v11, v19, v11
	v_lshlrev_b32_e32 v19, 16, v12
	v_and_b32_e32 v12, 0xffff0000, v12
	v_dual_add_f32 v2, v2, v7 :: v_dual_mul_f32 v7, v25, v29
	v_and_b32_e32 v4, 0xffff0000, v4
	s_delay_alu instid0(VALU_DEP_2) | instskip(NEXT) | instid1(VALU_DEP_3)
	v_dual_mul_f32 v12, v20, v12 :: v_dual_add_f32 v1, v2, v1
	v_bfe_u32 v2, v7, 16, 1
	v_or_b32_e32 v15, 0x400000, v7
	v_cmp_u_f32_e32 vcc_lo, v7, v7
	v_or_b32_e32 v20, 0x400000, v11
	v_bfe_u32 v24, v12, 16, 1
	v_add3_u32 v2, v2, v7, 0x7fff
	v_add3_u32 v7, v17, v6, 0x7fff
	v_bfe_u32 v17, v9, 16, 1
	s_wait_alu 0xfffd
	s_delay_alu instid0(VALU_DEP_3) | instskip(SKIP_2) | instid1(VALU_DEP_3)
	v_cndmask_b32_e32 v2, v2, v15, vcc_lo
	v_or_b32_e32 v15, 0x400000, v6
	v_cmp_u_f32_e32 vcc_lo, v6, v6
	v_and_b32_e32 v2, 0xffff0000, v2
	s_wait_alu 0xfffd
	s_delay_alu instid0(VALU_DEP_3)
	v_cndmask_b32_e32 v6, v7, v15, vcc_lo
	v_add3_u32 v7, v17, v9, 0x7fff
	v_or_b32_e32 v15, 0x400000, v9
	v_bfe_u32 v17, v10, 16, 1
	v_cmp_u_f32_e32 vcc_lo, v9, v9
	v_and_b32_e32 v6, 0xffff0000, v6
	s_delay_alu instid0(VALU_DEP_3)
	v_add3_u32 v9, v17, v10, 0x7fff
	s_wait_alu 0xfffd
	v_cndmask_b32_e32 v7, v7, v15, vcc_lo
	v_or_b32_e32 v15, 0x400000, v10
	v_bfe_u32 v17, v18, 16, 1
	v_cmp_u_f32_e32 vcc_lo, v10, v10
	v_bfe_u32 v10, v11, 16, 1
	v_dual_add_f32 v2, v2, v6 :: v_dual_and_b32 v7, 0xffff0000, v7
	s_wait_alu 0xfffd
	v_cndmask_b32_e32 v9, v9, v15, vcc_lo
	v_add3_u32 v15, v17, v18, 0x7fff
	v_mul_f32_e32 v17, v27, v19
	v_or_b32_e32 v19, 0x400000, v18
	v_cmp_u_f32_e32 vcc_lo, v18, v18
	v_add3_u32 v10, v10, v11, 0x7fff
	v_add3_u32 v18, v24, v12, 0x7fff
	v_bfe_u32 v23, v17, 16, 1
	v_and_b32_e32 v9, 0xffff0000, v9
	s_wait_alu 0xfffd
	v_cndmask_b32_e32 v15, v15, v19, vcc_lo
	v_cmp_u_f32_e32 vcc_lo, v11, v11
	v_or_b32_e32 v19, 0x400000, v12
	v_add3_u32 v11, v23, v17, 0x7fff
	s_delay_alu instid0(VALU_DEP_4)
	v_dual_add_f32 v6, v7, v9 :: v_dual_and_b32 v9, 0xffff0000, v15
	s_wait_alu 0xfffd
	v_cndmask_b32_e32 v10, v10, v20, vcc_lo
	v_cmp_u_f32_e32 vcc_lo, v12, v12
	v_or_b32_e32 v20, 0x400000, v17
	v_add_f32_e32 v2, v6, v2
	s_wait_alu 0xfffd
	v_dual_cndmask_b32 v12, v18, v19 :: v_dual_and_b32 v7, 0xffff0000, v10
	v_cmp_u_f32_e32 vcc_lo, v17, v17
	s_delay_alu instid0(VALU_DEP_2) | instskip(SKIP_2) | instid1(VALU_DEP_2)
	v_dual_add_f32 v6, v9, v7 :: v_dual_and_b32 v7, 0xffff0000, v12
	s_wait_alu 0xfffd
	v_dual_cndmask_b32 v10, v11, v20 :: v_dual_and_b32 v11, 0xffff0000, v21
	v_dual_add_f32 v1, v3, v1 :: v_dual_add_f32 v2, v6, v2
	v_add_f32_e32 v6, v16, v14
	s_delay_alu instid0(VALU_DEP_3) | instskip(NEXT) | instid1(VALU_DEP_4)
	v_and_b32_e32 v9, 0xffff0000, v10
	v_add_f32_e32 v3, v4, v11
	v_cmp_le_i32_e32 vcc_lo, s13, v38
	s_delay_alu instid0(VALU_DEP_4) | instskip(NEXT) | instid1(VALU_DEP_3)
	v_add_f32_e32 v44, v44, v6
	v_dual_add_f32 v4, v9, v7 :: v_dual_add_f32 v1, v3, v1
	s_or_b32 s4, vcc_lo, s4
	s_delay_alu instid0(VALU_DEP_1) | instskip(NEXT) | instid1(VALU_DEP_1)
	v_dual_add_f32 v2, v4, v2 :: v_dual_add_f32 v45, v45, v1
	v_add_f32_e32 v41, v41, v2
	s_wait_alu 0xfffe
	s_and_not1_b32 exec_lo, exec_lo, s4
	s_cbranch_execz .LBB165_45
.LBB165_33:                             ; =>This Inner Loop Header: Depth=1
	global_load_b32 v1, v[33:34], off
	v_add_nc_u32_e32 v56, 1, v49
	v_or_b32_e32 v55, 3, v49
	v_or_b32_e32 v57, 2, v49
	;; [unrolled: 1-line block ×6, first 2 shown]
	s_wait_loadcnt 0x0
	s_wait_alu 0xfffe
	v_mad_co_i64_i32 v[1:2], null, v1, s2, 0
	s_delay_alu instid0(VALU_DEP_1) | instskip(NEXT) | instid1(VALU_DEP_1)
	v_lshlrev_b64_e32 v[1:2], 1, v[1:2]
	v_add_co_u32 v9, vcc_lo, v47, v1
	s_wait_alu 0xfffd
	s_delay_alu instid0(VALU_DEP_2)
	v_add_co_ci_u32_e64 v10, null, v48, v2, vcc_lo
	v_cmp_eq_u32_e32 vcc_lo, s3, v38
	global_load_b128 v[1:4], v[9:10], off
	ds_load_2addr_b64 v[25:28], v50 offset1:1
	ds_load_2addr_b64 v[17:20], v50 offset0:2 offset1:3
	s_and_saveexec_b32 s6, vcc_lo
	s_cbranch_execnz .LBB165_39
; %bb.34:                               ;   in Loop: Header=BB165_33 Depth=1
	s_wait_alu 0xfffe
	s_or_b32 exec_lo, exec_lo, s6
	global_load_b128 v[5:8], v[9:10], off offset:512
	s_and_saveexec_b32 s6, vcc_lo
	s_cbranch_execnz .LBB165_40
.LBB165_35:                             ;   in Loop: Header=BB165_33 Depth=1
	s_wait_alu 0xfffe
	s_or_b32 exec_lo, exec_lo, s6
	global_load_b128 v[13:16], v[9:10], off offset:1024
	s_and_saveexec_b32 s6, vcc_lo
	s_cbranch_execnz .LBB165_41
.LBB165_36:                             ;   in Loop: Header=BB165_33 Depth=1
	s_wait_alu 0xfffe
	s_or_b32 exec_lo, exec_lo, s6
	global_load_b128 v[21:24], v[9:10], off offset:1536
	s_and_saveexec_b32 s6, vcc_lo
	s_cbranch_execnz .LBB165_42
.LBB165_37:                             ;   in Loop: Header=BB165_33 Depth=1
	s_wait_alu 0xfffe
	s_or_b32 exec_lo, exec_lo, s6
	global_load_b128 v[29:32], v[9:10], off offset:2048
	s_and_saveexec_b32 s6, vcc_lo
	s_cbranch_execnz .LBB165_43
.LBB165_38:                             ;   in Loop: Header=BB165_33 Depth=1
	s_wait_alu 0xfffe
	s_or_b32 exec_lo, exec_lo, s6
	global_load_b128 v[9:12], v[9:10], off offset:2560
	s_and_saveexec_b32 s0, vcc_lo
	s_cbranch_execz .LBB165_32
	s_branch .LBB165_44
.LBB165_39:                             ;   in Loop: Header=BB165_33 Depth=1
	v_cmp_gt_i32_e64 s0, s25, v49
	s_wait_loadcnt 0x0
	v_lshrrev_b32_e32 v5, 16, v1
	v_lshrrev_b32_e32 v6, 16, v2
	;; [unrolled: 1-line block ×4, first 2 shown]
	s_wait_alu 0xf1ff
	v_cndmask_b32_e64 v1, 0, v1, s0
	v_cmp_gt_i32_e64 s0, s5, v56
	s_wait_alu 0xf1ff
	s_delay_alu instid0(VALU_DEP_1) | instskip(SKIP_1) | instid1(VALU_DEP_2)
	v_cndmask_b32_e64 v5, 0, v5, s0
	v_cmp_gt_i32_e64 s0, s25, v57
	v_perm_b32 v1, v5, v1, 0x5040100
	s_wait_alu 0xf1ff
	s_delay_alu instid0(VALU_DEP_2) | instskip(SKIP_2) | instid1(VALU_DEP_1)
	v_cndmask_b32_e64 v2, 0, v2, s0
	v_cmp_gt_i32_e64 s0, s5, v55
	s_wait_alu 0xf1ff
	v_cndmask_b32_e64 v6, 0, v6, s0
	v_cmp_gt_i32_e64 s0, s25, v54
	s_delay_alu instid0(VALU_DEP_2) | instskip(SKIP_1) | instid1(VALU_DEP_2)
	v_perm_b32 v2, v6, v2, 0x5040100
	s_wait_alu 0xf1ff
	v_cndmask_b32_e64 v3, 0, v3, s0
	v_cmp_gt_i32_e64 s0, s5, v52
	s_wait_alu 0xf1ff
	s_delay_alu instid0(VALU_DEP_1) | instskip(SKIP_1) | instid1(VALU_DEP_2)
	v_cndmask_b32_e64 v7, 0, v7, s0
	v_cmp_gt_i32_e64 s0, s25, v53
	v_perm_b32 v3, v7, v3, 0x5040100
	s_wait_alu 0xf1ff
	s_delay_alu instid0(VALU_DEP_2) | instskip(SKIP_2) | instid1(VALU_DEP_1)
	v_cndmask_b32_e64 v4, 0, v4, s0
	v_cmp_gt_i32_e64 s0, s5, v51
	s_wait_alu 0xf1ff
	v_cndmask_b32_e64 v8, 0, v8, s0
	s_delay_alu instid0(VALU_DEP_1)
	v_perm_b32 v4, v8, v4, 0x5040100
	s_wait_alu 0xfffe
	s_or_b32 exec_lo, exec_lo, s6
	global_load_b128 v[5:8], v[9:10], off offset:512
	s_and_saveexec_b32 s6, vcc_lo
	s_cbranch_execz .LBB165_35
.LBB165_40:                             ;   in Loop: Header=BB165_33 Depth=1
	v_cmp_gt_i32_e64 s0, s25, v49
	s_wait_loadcnt 0x0
	v_lshrrev_b32_e32 v11, 16, v5
	v_lshrrev_b32_e32 v12, 16, v6
	;; [unrolled: 1-line block ×4, first 2 shown]
	s_wait_alu 0xf1ff
	v_cndmask_b32_e64 v5, 0, v5, s0
	v_cmp_gt_i32_e64 s0, s5, v56
	s_wait_alu 0xf1ff
	s_delay_alu instid0(VALU_DEP_1) | instskip(SKIP_1) | instid1(VALU_DEP_2)
	v_cndmask_b32_e64 v11, 0, v11, s0
	v_cmp_gt_i32_e64 s0, s25, v57
	v_perm_b32 v5, v11, v5, 0x5040100
	s_wait_alu 0xf1ff
	s_delay_alu instid0(VALU_DEP_2) | instskip(SKIP_2) | instid1(VALU_DEP_1)
	v_cndmask_b32_e64 v6, 0, v6, s0
	v_cmp_gt_i32_e64 s0, s5, v55
	s_wait_alu 0xf1ff
	v_cndmask_b32_e64 v12, 0, v12, s0
	v_cmp_gt_i32_e64 s0, s25, v54
	s_delay_alu instid0(VALU_DEP_2) | instskip(SKIP_1) | instid1(VALU_DEP_2)
	v_perm_b32 v6, v12, v6, 0x5040100
	s_wait_alu 0xf1ff
	v_cndmask_b32_e64 v7, 0, v7, s0
	v_cmp_gt_i32_e64 s0, s5, v52
	s_wait_alu 0xf1ff
	s_delay_alu instid0(VALU_DEP_1) | instskip(SKIP_1) | instid1(VALU_DEP_2)
	v_cndmask_b32_e64 v13, 0, v13, s0
	v_cmp_gt_i32_e64 s0, s25, v53
	v_perm_b32 v7, v13, v7, 0x5040100
	s_wait_alu 0xf1ff
	s_delay_alu instid0(VALU_DEP_2) | instskip(SKIP_2) | instid1(VALU_DEP_1)
	v_cndmask_b32_e64 v8, 0, v8, s0
	v_cmp_gt_i32_e64 s0, s5, v51
	s_wait_alu 0xf1ff
	v_cndmask_b32_e64 v14, 0, v14, s0
	s_delay_alu instid0(VALU_DEP_1)
	v_perm_b32 v8, v14, v8, 0x5040100
	s_wait_alu 0xfffe
	s_or_b32 exec_lo, exec_lo, s6
	global_load_b128 v[13:16], v[9:10], off offset:1024
	s_and_saveexec_b32 s6, vcc_lo
	s_cbranch_execz .LBB165_36
.LBB165_41:                             ;   in Loop: Header=BB165_33 Depth=1
	v_cmp_gt_i32_e64 s0, s25, v49
	s_wait_loadcnt 0x0
	v_lshrrev_b32_e32 v11, 16, v13
	v_lshrrev_b32_e32 v22, 16, v16
	s_wait_alu 0xf1ff
	v_cndmask_b32_e64 v12, 0, v13, s0
	v_cmp_gt_i32_e64 s0, s5, v56
	v_lshrrev_b32_e32 v13, 16, v14
	s_wait_alu 0xf1ff
	s_delay_alu instid0(VALU_DEP_2) | instskip(SKIP_2) | instid1(VALU_DEP_1)
	v_cndmask_b32_e64 v11, 0, v11, s0
	v_cmp_gt_i32_e64 s0, s25, v57
	s_wait_alu 0xf1ff
	v_cndmask_b32_e64 v14, 0, v14, s0
	v_cmp_gt_i32_e64 s0, s5, v55
	s_wait_alu 0xf1ff
	s_delay_alu instid0(VALU_DEP_1) | instskip(SKIP_2) | instid1(VALU_DEP_3)
	v_cndmask_b32_e64 v21, 0, v13, s0
	v_cmp_gt_i32_e64 s0, s25, v54
	v_lshrrev_b32_e32 v13, 16, v15
	v_perm_b32 v14, v21, v14, 0x5040100
	s_wait_alu 0xf1ff
	s_delay_alu instid0(VALU_DEP_3) | instskip(SKIP_2) | instid1(VALU_DEP_1)
	v_cndmask_b32_e64 v15, 0, v15, s0
	v_cmp_gt_i32_e64 s0, s5, v52
	s_wait_alu 0xf1ff
	v_cndmask_b32_e64 v23, 0, v13, s0
	v_cmp_gt_i32_e64 s0, s25, v53
	v_perm_b32 v13, v11, v12, 0x5040100
	s_delay_alu instid0(VALU_DEP_3) | instskip(SKIP_1) | instid1(VALU_DEP_3)
	v_perm_b32 v15, v23, v15, 0x5040100
	s_wait_alu 0xf1ff
	v_cndmask_b32_e64 v16, 0, v16, s0
	v_cmp_gt_i32_e64 s0, s5, v51
	s_wait_alu 0xf1ff
	s_delay_alu instid0(VALU_DEP_1) | instskip(NEXT) | instid1(VALU_DEP_1)
	v_cndmask_b32_e64 v22, 0, v22, s0
	v_perm_b32 v16, v22, v16, 0x5040100
	s_wait_alu 0xfffe
	s_or_b32 exec_lo, exec_lo, s6
	global_load_b128 v[21:24], v[9:10], off offset:1536
	s_and_saveexec_b32 s6, vcc_lo
	s_cbranch_execz .LBB165_37
.LBB165_42:                             ;   in Loop: Header=BB165_33 Depth=1
	v_cmp_gt_i32_e64 s0, s25, v49
	s_wait_loadcnt 0x0
	v_lshrrev_b32_e32 v11, 16, v21
	v_lshrrev_b32_e32 v30, 16, v24
	s_wait_alu 0xf1ff
	v_cndmask_b32_e64 v12, 0, v21, s0
	v_cmp_gt_i32_e64 s0, s5, v56
	v_lshrrev_b32_e32 v21, 16, v22
	s_wait_alu 0xf1ff
	s_delay_alu instid0(VALU_DEP_2) | instskip(SKIP_2) | instid1(VALU_DEP_1)
	v_cndmask_b32_e64 v11, 0, v11, s0
	v_cmp_gt_i32_e64 s0, s25, v57
	s_wait_alu 0xf1ff
	v_cndmask_b32_e64 v22, 0, v22, s0
	v_cmp_gt_i32_e64 s0, s5, v55
	s_wait_alu 0xf1ff
	s_delay_alu instid0(VALU_DEP_1) | instskip(SKIP_2) | instid1(VALU_DEP_3)
	v_cndmask_b32_e64 v29, 0, v21, s0
	v_cmp_gt_i32_e64 s0, s25, v54
	v_lshrrev_b32_e32 v21, 16, v23
	v_perm_b32 v22, v29, v22, 0x5040100
	s_wait_alu 0xf1ff
	s_delay_alu instid0(VALU_DEP_3) | instskip(SKIP_2) | instid1(VALU_DEP_1)
	v_cndmask_b32_e64 v23, 0, v23, s0
	v_cmp_gt_i32_e64 s0, s5, v52
	s_wait_alu 0xf1ff
	v_cndmask_b32_e64 v31, 0, v21, s0
	v_cmp_gt_i32_e64 s0, s25, v53
	v_perm_b32 v21, v11, v12, 0x5040100
	s_delay_alu instid0(VALU_DEP_3) | instskip(SKIP_1) | instid1(VALU_DEP_3)
	v_perm_b32 v23, v31, v23, 0x5040100
	s_wait_alu 0xf1ff
	v_cndmask_b32_e64 v24, 0, v24, s0
	v_cmp_gt_i32_e64 s0, s5, v51
	s_wait_alu 0xf1ff
	s_delay_alu instid0(VALU_DEP_1) | instskip(NEXT) | instid1(VALU_DEP_1)
	v_cndmask_b32_e64 v30, 0, v30, s0
	v_perm_b32 v24, v30, v24, 0x5040100
	s_wait_alu 0xfffe
	s_or_b32 exec_lo, exec_lo, s6
	global_load_b128 v[29:32], v[9:10], off offset:2048
	s_and_saveexec_b32 s6, vcc_lo
	s_cbranch_execz .LBB165_38
.LBB165_43:                             ;   in Loop: Header=BB165_33 Depth=1
	v_cmp_gt_i32_e64 s0, s25, v49
	s_wait_loadcnt 0x0
	v_lshrrev_b32_e32 v11, 16, v29
	v_lshrrev_b32_e32 v59, 16, v32
	s_wait_alu 0xf1ff
	v_cndmask_b32_e64 v12, 0, v29, s0
	v_cmp_gt_i32_e64 s0, s5, v56
	v_lshrrev_b32_e32 v29, 16, v30
	s_wait_alu 0xf1ff
	s_delay_alu instid0(VALU_DEP_2) | instskip(SKIP_2) | instid1(VALU_DEP_1)
	v_cndmask_b32_e64 v11, 0, v11, s0
	v_cmp_gt_i32_e64 s0, s25, v57
	s_wait_alu 0xf1ff
	v_cndmask_b32_e64 v30, 0, v30, s0
	v_cmp_gt_i32_e64 s0, s5, v55
	s_wait_alu 0xf1ff
	s_delay_alu instid0(VALU_DEP_1) | instskip(SKIP_2) | instid1(VALU_DEP_3)
	v_cndmask_b32_e64 v58, 0, v29, s0
	v_cmp_gt_i32_e64 s0, s25, v54
	v_lshrrev_b32_e32 v29, 16, v31
	v_perm_b32 v30, v58, v30, 0x5040100
	s_wait_alu 0xf1ff
	s_delay_alu instid0(VALU_DEP_3) | instskip(SKIP_2) | instid1(VALU_DEP_1)
	v_cndmask_b32_e64 v31, 0, v31, s0
	v_cmp_gt_i32_e64 s0, s5, v52
	s_wait_alu 0xf1ff
	v_cndmask_b32_e64 v60, 0, v29, s0
	v_cmp_gt_i32_e64 s0, s25, v53
	v_perm_b32 v29, v11, v12, 0x5040100
	s_delay_alu instid0(VALU_DEP_3) | instskip(SKIP_1) | instid1(VALU_DEP_3)
	v_perm_b32 v31, v60, v31, 0x5040100
	s_wait_alu 0xf1ff
	v_cndmask_b32_e64 v32, 0, v32, s0
	v_cmp_gt_i32_e64 s0, s5, v51
	s_wait_alu 0xf1ff
	s_delay_alu instid0(VALU_DEP_1) | instskip(NEXT) | instid1(VALU_DEP_1)
	v_cndmask_b32_e64 v59, 0, v59, s0
	v_perm_b32 v32, v59, v32, 0x5040100
	s_wait_alu 0xfffe
	s_or_b32 exec_lo, exec_lo, s6
	global_load_b128 v[9:12], v[9:10], off offset:2560
	s_and_saveexec_b32 s0, vcc_lo
	s_cbranch_execz .LBB165_32
.LBB165_44:                             ;   in Loop: Header=BB165_33 Depth=1
	v_cmp_gt_i32_e32 vcc_lo, s25, v49
	s_wait_loadcnt 0x0
	v_lshrrev_b32_e32 v58, 16, v9
	v_lshrrev_b32_e32 v59, 16, v10
	s_wait_alu 0xfffd
	v_cndmask_b32_e32 v9, 0, v9, vcc_lo
	v_cmp_gt_i32_e32 vcc_lo, s5, v56
	s_wait_alu 0xfffd
	v_cndmask_b32_e32 v56, 0, v58, vcc_lo
	v_cmp_gt_i32_e32 vcc_lo, s25, v57
	v_lshrrev_b32_e32 v57, 16, v11
	s_delay_alu instid0(VALU_DEP_3)
	v_perm_b32 v9, v56, v9, 0x5040100
	s_wait_alu 0xfffd
	v_cndmask_b32_e32 v10, 0, v10, vcc_lo
	v_cmp_gt_i32_e32 vcc_lo, s5, v55
	s_wait_alu 0xfffd
	v_cndmask_b32_e32 v55, 0, v59, vcc_lo
	v_cmp_gt_i32_e32 vcc_lo, s25, v54
	v_lshrrev_b32_e32 v54, 16, v12
	s_delay_alu instid0(VALU_DEP_3)
	v_perm_b32 v10, v55, v10, 0x5040100
	s_wait_alu 0xfffd
	v_cndmask_b32_e32 v11, 0, v11, vcc_lo
	v_cmp_gt_i32_e32 vcc_lo, s5, v52
	s_wait_alu 0xfffd
	v_cndmask_b32_e32 v52, 0, v57, vcc_lo
	v_cmp_gt_i32_e32 vcc_lo, s25, v53
	s_delay_alu instid0(VALU_DEP_2)
	v_perm_b32 v11, v52, v11, 0x5040100
	s_wait_alu 0xfffd
	v_cndmask_b32_e32 v12, 0, v12, vcc_lo
	v_cmp_gt_i32_e32 vcc_lo, s5, v51
	s_wait_alu 0xfffd
	v_cndmask_b32_e32 v51, 0, v54, vcc_lo
	s_delay_alu instid0(VALU_DEP_1)
	v_perm_b32 v12, v51, v12, 0x5040100
	s_branch .LBB165_32
.LBB165_45:
	s_or_b32 exec_lo, exec_lo, s4
.LBB165_46:
	s_wait_alu 0xfffe
	s_or_b32 exec_lo, exec_lo, s1
	ds_bpermute_b32 v1, v40, v45
	ds_bpermute_b32 v2, v40, v46
	;; [unrolled: 1-line block ×6, first 2 shown]
	v_lshrrev_b32_e32 v7, 1, v39
	v_mul_u32_u24_e32 v9, 0x180, v37
	v_and_b32_e32 v13, 0x3c1, v0
	s_mov_b32 s0, exec_lo
	s_wait_storecnt 0x0
	s_wait_loadcnt_dscnt 0x0
	v_lshl_add_u32 v8, v7, 2, 0xe0
	s_barrier_signal -1
	s_barrier_wait -1
	global_inv scope:SCOPE_SE
	v_dual_add_f32 v6, v45, v1 :: v_dual_add_f32 v5, v46, v2
	v_dual_add_f32 v4, v44, v3 :: v_dual_add_f32 v3, v43, v10
	;; [unrolled: 1-line block ×3, first 2 shown]
	v_cmpx_eq_u32_e32 64, v13
	s_cbranch_execz .LBB165_48
; %bb.47:
	v_add_nc_u32_e32 v10, v8, v9
	s_delay_alu instid0(VALU_DEP_1)
	v_add_nc_u32_e32 v11, 0xfffffd00, v10
	v_add_nc_u32_e32 v12, 0xfffffd40, v10
	;; [unrolled: 1-line block ×6, first 2 shown]
	ds_store_b32 v11, v6
	ds_store_b32 v12, v5
	;; [unrolled: 1-line block ×6, first 2 shown]
.LBB165_48:
	s_wait_alu 0xfffe
	s_or_b32 exec_lo, exec_lo, s0
	v_lshlrev_b32_e32 v7, 2, v7
	s_mov_b32 s1, exec_lo
	v_cmp_eq_u32_e32 vcc_lo, 0, v36
	s_wait_loadcnt_dscnt 0x0
	s_barrier_signal -1
	v_add3_u32 v7, 0xe0, v9, v7
	s_barrier_wait -1
	global_inv scope:SCOPE_SE
	v_cmpx_gt_u32_e32 64, v0
	s_cbranch_execz .LBB165_57
; %bb.49:
	s_and_saveexec_b32 s0, vcc_lo
	s_cbranch_execnz .LBB165_71
; %bb.50:
	s_wait_alu 0xfffe
	s_or_b32 exec_lo, exec_lo, s0
	s_and_saveexec_b32 s0, vcc_lo
	s_cbranch_execnz .LBB165_72
.LBB165_51:
	s_wait_alu 0xfffe
	s_or_b32 exec_lo, exec_lo, s0
	s_and_saveexec_b32 s0, vcc_lo
	s_cbranch_execnz .LBB165_73
.LBB165_52:
	s_wait_alu 0xfffe
	s_or_b32 exec_lo, exec_lo, s0
	s_and_saveexec_b32 s0, vcc_lo
	s_cbranch_execnz .LBB165_74
.LBB165_53:
	s_wait_alu 0xfffe
	s_or_b32 exec_lo, exec_lo, s0
	s_and_saveexec_b32 s0, vcc_lo
	s_cbranch_execnz .LBB165_75
.LBB165_54:
	s_wait_alu 0xfffe
	s_or_b32 exec_lo, exec_lo, s0
	s_and_saveexec_b32 s0, vcc_lo
	s_cbranch_execz .LBB165_56
.LBB165_55:
	ds_load_b32 v9, v7 offset:320
	s_wait_dscnt 0x0
	v_add_f32_e32 v1, v1, v9
.LBB165_56:
	s_wait_alu 0xfffe
	s_or_b32 exec_lo, exec_lo, s0
.LBB165_57:
	s_wait_alu 0xfffe
	s_or_b32 exec_lo, exec_lo, s1
	v_and_b32_e32 v9, 0x3e1, v0
	s_mov_b32 s1, exec_lo
	s_wait_loadcnt 0x0
	s_barrier_signal -1
	s_barrier_wait -1
	global_inv scope:SCOPE_SE
	v_cmpx_eq_u32_e32 32, v9
	s_cbranch_execz .LBB165_59
; %bb.58:
	ds_store_2addr_b32 v8, v6, v5 offset1:16
	ds_store_2addr_b32 v8, v4, v3 offset0:32 offset1:48
	ds_store_2addr_b32 v8, v2, v1 offset0:64 offset1:80
.LBB165_59:
	s_wait_alu 0xfffe
	s_or_b32 exec_lo, exec_lo, s1
	s_delay_alu instid0(SALU_CYCLE_1)
	s_mov_b32 s1, exec_lo
	s_wait_loadcnt_dscnt 0x0
	s_barrier_signal -1
	s_barrier_wait -1
	global_inv scope:SCOPE_SE
	v_cmpx_gt_u32_e32 32, v0
	s_cbranch_execz .LBB165_68
; %bb.60:
	s_and_saveexec_b32 s0, vcc_lo
	s_cbranch_execnz .LBB165_76
; %bb.61:
	s_wait_alu 0xfffe
	s_or_b32 exec_lo, exec_lo, s0
	s_and_saveexec_b32 s0, vcc_lo
	s_cbranch_execnz .LBB165_77
.LBB165_62:
	s_wait_alu 0xfffe
	s_or_b32 exec_lo, exec_lo, s0
	s_and_saveexec_b32 s0, vcc_lo
	s_cbranch_execnz .LBB165_78
.LBB165_63:
	s_wait_alu 0xfffe
	s_or_b32 exec_lo, exec_lo, s0
	s_and_saveexec_b32 s0, vcc_lo
	s_cbranch_execnz .LBB165_79
.LBB165_64:
	s_wait_alu 0xfffe
	s_or_b32 exec_lo, exec_lo, s0
	s_and_saveexec_b32 s0, vcc_lo
	s_cbranch_execnz .LBB165_80
.LBB165_65:
	s_wait_alu 0xfffe
	s_or_b32 exec_lo, exec_lo, s0
	s_and_saveexec_b32 s0, vcc_lo
	s_cbranch_execz .LBB165_67
.LBB165_66:
	ds_load_b32 v0, v7 offset:320
	s_wait_dscnt 0x0
	v_add_f32_e32 v1, v1, v0
.LBB165_67:
	s_wait_alu 0xfffe
	s_or_b32 exec_lo, exec_lo, s0
.LBB165_68:
	s_wait_alu 0xfffe
	s_or_b32 exec_lo, exec_lo, s1
	s_mov_b32 s1, 0
	s_wait_loadcnt 0x0
	s_barrier_signal -1
	s_barrier_wait -1
	global_inv scope:SCOPE_SE
	s_mov_b32 s0, exec_lo
	v_cmpx_eq_u32_e32 0, v9
	s_cbranch_execz .LBB165_70
; %bb.69:
	v_bfe_u32 v0, v6, 16, 1
	v_bfe_u32 v7, v5, 16, 1
	v_or_b32_e32 v9, 0x400000, v6
	v_cmp_u_f32_e32 vcc_lo, v6, v6
	v_bfe_u32 v10, v4, 16, 1
	v_add3_u32 v0, v0, v6, 0x7fff
	v_add3_u32 v7, v7, v5, 0x7fff
	v_or_b32_e32 v11, 0x400000, v5
	s_mul_i32 s2, s14, 0x60
	v_add3_u32 v6, v10, v4, 0x7fff
	s_wait_alu 0xfffd
	v_cndmask_b32_e32 v0, v0, v9, vcc_lo
	v_cmp_u_f32_e32 vcc_lo, v5, v5
	v_or_b32_e32 v9, 0x400000, v4
	v_bfe_u32 v10, v2, 16, 1
	s_mul_i32 s4, s8, s12
	s_wait_alu 0xfffe
	s_ashr_i32 s3, s2, 31
	s_wait_alu 0xfffd
	v_cndmask_b32_e32 v5, v7, v11, vcc_lo
	v_bfe_u32 v7, v3, 16, 1
	v_cmp_u_f32_e32 vcc_lo, v4, v4
	v_add3_u32 v10, v10, v2, 0x7fff
	v_or_b32_e32 v11, 0x400000, v2
	s_ashr_i32 s5, s4, 31
	v_add3_u32 v7, v7, v3, 0x7fff
	s_wait_alu 0xfffd
	v_cndmask_b32_e32 v4, v6, v9, vcc_lo
	v_or_b32_e32 v9, 0x400000, v3
	v_cmp_u_f32_e32 vcc_lo, v3, v3
	v_lshlrev_b32_e32 v8, 1, v35
	v_bfe_u32 v6, v1, 16, 1
	s_wait_alu 0xfffe
	s_lshl_b64 s[2:3], s[2:3], 1
	s_lshl_b64 s[4:5], s[4:5], 1
	s_wait_alu 0xfffd
	v_cndmask_b32_e32 v3, v7, v9, vcc_lo
	v_cmp_u_f32_e32 vcc_lo, v2, v2
	s_wait_alu 0xfffe
	s_add_nc_u64 s[2:3], s[10:11], s[2:3]
	v_add3_u32 v6, v6, v1, 0x7fff
	v_or_b32_e32 v12, 0x400000, v1
	s_mul_i32 s0, s24, 0xc0
	s_wait_alu 0xfffd
	v_cndmask_b32_e32 v2, v10, v11, vcc_lo
	v_cmp_u_f32_e32 vcc_lo, v1, v1
	s_wait_alu 0xfffe
	s_add_nc_u64 s[2:3], s[2:3], s[4:5]
	s_wait_alu 0xfffe
	s_add_nc_u64 s[0:1], s[2:3], s[0:1]
	s_wait_alu 0xfffd
	v_cndmask_b32_e32 v1, v6, v12, vcc_lo
	s_clause 0x5
	global_store_d16_hi_b16 v8, v0, s[0:1]
	global_store_d16_hi_b16 v8, v5, s[0:1] offset:32
	global_store_d16_hi_b16 v8, v4, s[0:1] offset:64
	;; [unrolled: 1-line block ×5, first 2 shown]
.LBB165_70:
	s_nop 0
	s_sendmsg sendmsg(MSG_DEALLOC_VGPRS)
	s_endpgm
.LBB165_71:
	ds_load_b32 v9, v7
	s_wait_dscnt 0x0
	v_add_f32_e32 v6, v6, v9
	s_wait_alu 0xfffe
	s_or_b32 exec_lo, exec_lo, s0
	s_and_saveexec_b32 s0, vcc_lo
	s_cbranch_execz .LBB165_51
.LBB165_72:
	ds_load_b32 v9, v7 offset:64
	s_wait_dscnt 0x0
	v_add_f32_e32 v5, v5, v9
	s_wait_alu 0xfffe
	s_or_b32 exec_lo, exec_lo, s0
	s_and_saveexec_b32 s0, vcc_lo
	s_cbranch_execz .LBB165_52
.LBB165_73:
	ds_load_b32 v9, v7 offset:128
	s_wait_dscnt 0x0
	v_add_f32_e32 v4, v4, v9
	s_wait_alu 0xfffe
	s_or_b32 exec_lo, exec_lo, s0
	s_and_saveexec_b32 s0, vcc_lo
	s_cbranch_execz .LBB165_53
.LBB165_74:
	ds_load_b32 v9, v7 offset:192
	s_wait_dscnt 0x0
	v_add_f32_e32 v3, v3, v9
	s_wait_alu 0xfffe
	s_or_b32 exec_lo, exec_lo, s0
	s_and_saveexec_b32 s0, vcc_lo
	s_cbranch_execz .LBB165_54
.LBB165_75:
	ds_load_b32 v9, v7 offset:256
	s_wait_dscnt 0x0
	v_add_f32_e32 v2, v2, v9
	s_wait_alu 0xfffe
	s_or_b32 exec_lo, exec_lo, s0
	s_and_saveexec_b32 s0, vcc_lo
	s_cbranch_execnz .LBB165_55
	s_branch .LBB165_56
.LBB165_76:
	ds_load_b32 v0, v7
	s_wait_dscnt 0x0
	v_add_f32_e32 v6, v6, v0
	s_wait_alu 0xfffe
	s_or_b32 exec_lo, exec_lo, s0
	s_and_saveexec_b32 s0, vcc_lo
	s_cbranch_execz .LBB165_62
.LBB165_77:
	ds_load_b32 v0, v7 offset:64
	s_wait_dscnt 0x0
	v_add_f32_e32 v5, v5, v0
	s_wait_alu 0xfffe
	s_or_b32 exec_lo, exec_lo, s0
	s_and_saveexec_b32 s0, vcc_lo
	s_cbranch_execz .LBB165_63
.LBB165_78:
	ds_load_b32 v0, v7 offset:128
	s_wait_dscnt 0x0
	v_add_f32_e32 v4, v4, v0
	s_wait_alu 0xfffe
	s_or_b32 exec_lo, exec_lo, s0
	s_and_saveexec_b32 s0, vcc_lo
	s_cbranch_execz .LBB165_64
.LBB165_79:
	ds_load_b32 v0, v7 offset:192
	s_wait_dscnt 0x0
	v_add_f32_e32 v3, v3, v0
	s_wait_alu 0xfffe
	s_or_b32 exec_lo, exec_lo, s0
	s_and_saveexec_b32 s0, vcc_lo
	s_cbranch_execz .LBB165_65
.LBB165_80:
	ds_load_b32 v0, v7 offset:256
	s_wait_dscnt 0x0
	v_add_f32_e32 v2, v2, v0
	s_wait_alu 0xfffe
	s_or_b32 exec_lo, exec_lo, s0
	s_and_saveexec_b32 s0, vcc_lo
	s_cbranch_execnz .LBB165_66
	s_branch .LBB165_67
	.section	.rodata,"a",@progbits
	.p2align	6, 0x0
	.amdhsa_kernel _ZN4vllm25paged_attention_v2_kernelI14__hip_bfloat16S1_Li96ELi16ELi128ELNS_18Fp8KVCacheDataTypeE0ELb0ELi512EEEvPfS3_PT_PKS4_PKT0_SA_ifPKiSC_iPKfiiiSE_SE_iiiii
		.amdhsa_group_segment_fixed_size 224
		.amdhsa_private_segment_fixed_size 0
		.amdhsa_kernarg_size 400
		.amdhsa_user_sgpr_count 2
		.amdhsa_user_sgpr_dispatch_ptr 0
		.amdhsa_user_sgpr_queue_ptr 0
		.amdhsa_user_sgpr_kernarg_segment_ptr 1
		.amdhsa_user_sgpr_dispatch_id 0
		.amdhsa_user_sgpr_private_segment_size 0
		.amdhsa_wavefront_size32 1
		.amdhsa_uses_dynamic_stack 0
		.amdhsa_enable_private_segment 0
		.amdhsa_system_sgpr_workgroup_id_x 1
		.amdhsa_system_sgpr_workgroup_id_y 1
		.amdhsa_system_sgpr_workgroup_id_z 1
		.amdhsa_system_sgpr_workgroup_info 0
		.amdhsa_system_vgpr_workitem_id 0
		.amdhsa_next_free_vgpr 111
		.amdhsa_next_free_sgpr 32
		.amdhsa_reserve_vcc 1
		.amdhsa_float_round_mode_32 0
		.amdhsa_float_round_mode_16_64 0
		.amdhsa_float_denorm_mode_32 3
		.amdhsa_float_denorm_mode_16_64 3
		.amdhsa_fp16_overflow 0
		.amdhsa_workgroup_processor_mode 1
		.amdhsa_memory_ordered 1
		.amdhsa_forward_progress 1
		.amdhsa_inst_pref_size 84
		.amdhsa_round_robin_scheduling 0
		.amdhsa_exception_fp_ieee_invalid_op 0
		.amdhsa_exception_fp_denorm_src 0
		.amdhsa_exception_fp_ieee_div_zero 0
		.amdhsa_exception_fp_ieee_overflow 0
		.amdhsa_exception_fp_ieee_underflow 0
		.amdhsa_exception_fp_ieee_inexact 0
		.amdhsa_exception_int_div_zero 0
	.end_amdhsa_kernel
	.section	.text._ZN4vllm25paged_attention_v2_kernelI14__hip_bfloat16S1_Li96ELi16ELi128ELNS_18Fp8KVCacheDataTypeE0ELb0ELi512EEEvPfS3_PT_PKS4_PKT0_SA_ifPKiSC_iPKfiiiSE_SE_iiiii,"axG",@progbits,_ZN4vllm25paged_attention_v2_kernelI14__hip_bfloat16S1_Li96ELi16ELi128ELNS_18Fp8KVCacheDataTypeE0ELb0ELi512EEEvPfS3_PT_PKS4_PKT0_SA_ifPKiSC_iPKfiiiSE_SE_iiiii,comdat
.Lfunc_end165:
	.size	_ZN4vllm25paged_attention_v2_kernelI14__hip_bfloat16S1_Li96ELi16ELi128ELNS_18Fp8KVCacheDataTypeE0ELb0ELi512EEEvPfS3_PT_PKS4_PKT0_SA_ifPKiSC_iPKfiiiSE_SE_iiiii, .Lfunc_end165-_ZN4vllm25paged_attention_v2_kernelI14__hip_bfloat16S1_Li96ELi16ELi128ELNS_18Fp8KVCacheDataTypeE0ELb0ELi512EEEvPfS3_PT_PKS4_PKT0_SA_ifPKiSC_iPKfiiiSE_SE_iiiii
                                        ; -- End function
	.set _ZN4vllm25paged_attention_v2_kernelI14__hip_bfloat16S1_Li96ELi16ELi128ELNS_18Fp8KVCacheDataTypeE0ELb0ELi512EEEvPfS3_PT_PKS4_PKT0_SA_ifPKiSC_iPKfiiiSE_SE_iiiii.num_vgpr, 111
	.set _ZN4vllm25paged_attention_v2_kernelI14__hip_bfloat16S1_Li96ELi16ELi128ELNS_18Fp8KVCacheDataTypeE0ELb0ELi512EEEvPfS3_PT_PKS4_PKT0_SA_ifPKiSC_iPKfiiiSE_SE_iiiii.num_agpr, 0
	.set _ZN4vllm25paged_attention_v2_kernelI14__hip_bfloat16S1_Li96ELi16ELi128ELNS_18Fp8KVCacheDataTypeE0ELb0ELi512EEEvPfS3_PT_PKS4_PKT0_SA_ifPKiSC_iPKfiiiSE_SE_iiiii.numbered_sgpr, 32
	.set _ZN4vllm25paged_attention_v2_kernelI14__hip_bfloat16S1_Li96ELi16ELi128ELNS_18Fp8KVCacheDataTypeE0ELb0ELi512EEEvPfS3_PT_PKS4_PKT0_SA_ifPKiSC_iPKfiiiSE_SE_iiiii.num_named_barrier, 0
	.set _ZN4vllm25paged_attention_v2_kernelI14__hip_bfloat16S1_Li96ELi16ELi128ELNS_18Fp8KVCacheDataTypeE0ELb0ELi512EEEvPfS3_PT_PKS4_PKT0_SA_ifPKiSC_iPKfiiiSE_SE_iiiii.private_seg_size, 0
	.set _ZN4vllm25paged_attention_v2_kernelI14__hip_bfloat16S1_Li96ELi16ELi128ELNS_18Fp8KVCacheDataTypeE0ELb0ELi512EEEvPfS3_PT_PKS4_PKT0_SA_ifPKiSC_iPKfiiiSE_SE_iiiii.uses_vcc, 1
	.set _ZN4vllm25paged_attention_v2_kernelI14__hip_bfloat16S1_Li96ELi16ELi128ELNS_18Fp8KVCacheDataTypeE0ELb0ELi512EEEvPfS3_PT_PKS4_PKT0_SA_ifPKiSC_iPKfiiiSE_SE_iiiii.uses_flat_scratch, 0
	.set _ZN4vllm25paged_attention_v2_kernelI14__hip_bfloat16S1_Li96ELi16ELi128ELNS_18Fp8KVCacheDataTypeE0ELb0ELi512EEEvPfS3_PT_PKS4_PKT0_SA_ifPKiSC_iPKfiiiSE_SE_iiiii.has_dyn_sized_stack, 0
	.set _ZN4vllm25paged_attention_v2_kernelI14__hip_bfloat16S1_Li96ELi16ELi128ELNS_18Fp8KVCacheDataTypeE0ELb0ELi512EEEvPfS3_PT_PKS4_PKT0_SA_ifPKiSC_iPKfiiiSE_SE_iiiii.has_recursion, 0
	.set _ZN4vllm25paged_attention_v2_kernelI14__hip_bfloat16S1_Li96ELi16ELi128ELNS_18Fp8KVCacheDataTypeE0ELb0ELi512EEEvPfS3_PT_PKS4_PKT0_SA_ifPKiSC_iPKfiiiSE_SE_iiiii.has_indirect_call, 0
	.section	.AMDGPU.csdata,"",@progbits
; Kernel info:
; codeLenInByte = 10720
; TotalNumSgprs: 34
; NumVgprs: 111
; ScratchSize: 0
; MemoryBound: 0
; FloatMode: 240
; IeeeMode: 1
; LDSByteSize: 224 bytes/workgroup (compile time only)
; SGPRBlocks: 0
; VGPRBlocks: 13
; NumSGPRsForWavesPerEU: 34
; NumVGPRsForWavesPerEU: 111
; Occupancy: 12
; WaveLimiterHint : 1
; COMPUTE_PGM_RSRC2:SCRATCH_EN: 0
; COMPUTE_PGM_RSRC2:USER_SGPR: 2
; COMPUTE_PGM_RSRC2:TRAP_HANDLER: 0
; COMPUTE_PGM_RSRC2:TGID_X_EN: 1
; COMPUTE_PGM_RSRC2:TGID_Y_EN: 1
; COMPUTE_PGM_RSRC2:TGID_Z_EN: 1
; COMPUTE_PGM_RSRC2:TIDIG_COMP_CNT: 0
	.section	.text._ZN4vllm25paged_attention_v2_kernelI14__hip_bfloat16S1_Li112ELi16ELi128ELNS_18Fp8KVCacheDataTypeE0ELb0ELi512EEEvPfS3_PT_PKS4_PKT0_SA_ifPKiSC_iPKfiiiSE_SE_iiiii,"axG",@progbits,_ZN4vllm25paged_attention_v2_kernelI14__hip_bfloat16S1_Li112ELi16ELi128ELNS_18Fp8KVCacheDataTypeE0ELb0ELi512EEEvPfS3_PT_PKS4_PKT0_SA_ifPKiSC_iPKfiiiSE_SE_iiiii,comdat
	.protected	_ZN4vllm25paged_attention_v2_kernelI14__hip_bfloat16S1_Li112ELi16ELi128ELNS_18Fp8KVCacheDataTypeE0ELb0ELi512EEEvPfS3_PT_PKS4_PKT0_SA_ifPKiSC_iPKfiiiSE_SE_iiiii ; -- Begin function _ZN4vllm25paged_attention_v2_kernelI14__hip_bfloat16S1_Li112ELi16ELi128ELNS_18Fp8KVCacheDataTypeE0ELb0ELi512EEEvPfS3_PT_PKS4_PKT0_SA_ifPKiSC_iPKfiiiSE_SE_iiiii
	.globl	_ZN4vllm25paged_attention_v2_kernelI14__hip_bfloat16S1_Li112ELi16ELi128ELNS_18Fp8KVCacheDataTypeE0ELb0ELi512EEEvPfS3_PT_PKS4_PKT0_SA_ifPKiSC_iPKfiiiSE_SE_iiiii
	.p2align	8
	.type	_ZN4vllm25paged_attention_v2_kernelI14__hip_bfloat16S1_Li112ELi16ELi128ELNS_18Fp8KVCacheDataTypeE0ELb0ELi512EEEvPfS3_PT_PKS4_PKT0_SA_ifPKiSC_iPKfiiiSE_SE_iiiii,@function
_ZN4vllm25paged_attention_v2_kernelI14__hip_bfloat16S1_Li112ELi16ELi128ELNS_18Fp8KVCacheDataTypeE0ELb0ELi512EEEvPfS3_PT_PKS4_PKT0_SA_ifPKiSC_iPKfiiiSE_SE_iiiii: ; @_ZN4vllm25paged_attention_v2_kernelI14__hip_bfloat16S1_Li112ELi16ELi128ELNS_18Fp8KVCacheDataTypeE0ELb0ELi512EEEvPfS3_PT_PKS4_PKT0_SA_ifPKiSC_iPKfiiiSE_SE_iiiii
; %bb.0:
	s_load_b64 s[2:3], s[0:1], 0x40
	s_and_b32 s14, ttmp7, 0xffff
	s_lshr_b32 s24, ttmp7, 16
	s_lshl_b32 s4, s14, 2
	s_lshl_b32 s26, s24, 9
	s_wait_kmcnt 0x0
	s_load_b32 s25, s[2:3], s4 offset:0x0
	s_wait_kmcnt 0x0
	s_cmp_ge_i32 s26, s25
	s_cbranch_scc1 .LBB166_74
; %bb.1:
	s_clause 0x1
	s_load_b32 s15, s[0:1], 0x90
	s_load_b64 s[6:7], s[0:1], 0x30
	s_wait_kmcnt 0x0
	s_abs_i32 s5, s15
	s_abs_i32 s2, s6
	s_delay_alu instid0(SALU_CYCLE_1) | instskip(SKIP_1) | instid1(SALU_CYCLE_2)
	s_cvt_f32_u32 s3, s2
	s_sub_co_i32 s4, 0, s2
	v_rcp_iflag_f32_e32 v1, s3
	s_delay_alu instid0(TRANS32_DEP_1) | instskip(SKIP_2) | instid1(SALU_CYCLE_2)
	v_readfirstlane_b32 s3, v1
	s_mul_f32 s3, s3, 0x4f7ffffe
	s_wait_alu 0xfffe
	s_cvt_u32_f32 s3, s3
	s_wait_alu 0xfffe
	s_delay_alu instid0(SALU_CYCLE_2) | instskip(NEXT) | instid1(SALU_CYCLE_1)
	s_mul_i32 s4, s4, s3
	s_mul_hi_u32 s4, s3, s4
	s_delay_alu instid0(SALU_CYCLE_1)
	s_add_co_i32 s3, s3, s4
	s_xor_b32 s4, s15, s6
	s_wait_alu 0xfffe
	s_mul_hi_u32 s3, s5, s3
	s_ashr_i32 s4, s4, 31
	s_wait_alu 0xfffe
	s_mul_i32 s6, s3, s2
	s_delay_alu instid0(SALU_CYCLE_1)
	s_sub_co_i32 s5, s5, s6
	s_add_co_i32 s6, s3, 1
	s_sub_co_i32 s8, s5, s2
	s_cmp_ge_u32 s5, s2
	s_cselect_b32 s3, s6, s3
	s_cselect_b32 s5, s8, s5
	s_wait_alu 0xfffe
	s_add_co_i32 s6, s3, 1
	s_cmp_ge_u32 s5, s2
	s_load_b64 s[8:9], s[0:1], 0x50
	s_cselect_b32 s2, s6, s3
	s_mov_b32 s3, 0
	s_wait_alu 0xfffe
	s_xor_b32 s2, s2, s4
	s_mov_b32 s6, s3
	s_wait_alu 0xfffe
	s_sub_co_i32 s12, s2, s4
	s_delay_alu instid0(SALU_CYCLE_1) | instskip(NEXT) | instid1(SALU_CYCLE_1)
	s_abs_i32 s11, s12
	s_cvt_f32_u32 s2, s11
	s_wait_alu 0xfffe
	s_delay_alu instid0(SALU_CYCLE_2) | instskip(NEXT) | instid1(TRANS32_DEP_1)
	v_rcp_iflag_f32_e32 v1, s2
	v_readfirstlane_b32 s2, v1
	s_mul_f32 s2, s2, 0x4f7ffffe
	s_wait_alu 0xfffe
	s_delay_alu instid0(SALU_CYCLE_2) | instskip(SKIP_2) | instid1(SALU_CYCLE_1)
	s_cvt_u32_f32 s4, s2
	s_sub_co_i32 s2, 0, s11
	s_wait_alu 0xfffe
	s_mul_i32 s2, s2, s4
	s_wait_alu 0xfffe
	s_mul_hi_u32 s5, s4, s2
	s_abs_i32 s2, ttmp9
	s_add_co_i32 s4, s4, s5
	s_mov_b32 s5, s3
	s_wait_kmcnt 0x0
	s_cmp_eq_u64 s[8:9], 0
	s_cbranch_scc1 .LBB166_3
; %bb.2:
	s_mov_b32 s16, ttmp9
	s_ashr_i32 s17, ttmp9, 31
	s_delay_alu instid0(SALU_CYCLE_1) | instskip(NEXT) | instid1(SALU_CYCLE_1)
	s_lshl_b64 s[16:17], s[16:17], 2
	s_add_nc_u64 s[8:9], s[8:9], s[16:17]
	s_load_b32 s6, s[8:9], 0x0
.LBB166_3:
	s_load_b96 s[8:10], s[0:1], 0x58
	v_lshrrev_b32_e32 v39, 1, v0
	v_and_b32_e32 v40, 1, v0
	v_lshlrev_b32_e32 v3, 3, v0
	s_mul_u64 s[4:5], s[2:3], s[4:5]
	s_ashr_i32 s3, ttmp9, 31
	s_ashr_i32 s4, s12, 31
	s_mul_i32 s12, ttmp9, 0x70
	s_mov_b32 s16, exec_lo
	v_cmpx_gt_u32_e32 28, v0
	s_cbranch_execz .LBB166_5
; %bb.4:
	s_load_b64 s[18:19], s[0:1], 0x18
	s_wait_kmcnt 0x0
	s_mul_i32 s20, s8, s14
	s_ashr_i32 s13, s12, 31
	s_ashr_i32 s21, s20, 31
	v_lshlrev_b32_e32 v4, 3, v39
	s_lshl_b64 s[20:21], s[20:21], 1
	s_delay_alu instid0(VALU_DEP_1) | instskip(SKIP_2) | instid1(SALU_CYCLE_1)
	v_mad_u32_u24 v4, 0x70, v40, v4
	s_add_nc_u64 s[18:19], s[18:19], s[20:21]
	s_lshl_b64 s[20:21], s[12:13], 1
	s_add_nc_u64 s[18:19], s[18:19], s[20:21]
	global_load_b64 v[1:2], v3, s[18:19]
	s_wait_loadcnt 0x0
	ds_store_b64 v4, v[1:2]
.LBB166_5:
	s_or_b32 exec_lo, exec_lo, s16
	s_wait_kmcnt 0x0
	s_add_co_i32 s8, s25, 15
	s_wait_alu 0xfffe
	s_xor_b32 s3, s3, s4
	s_ashr_i32 s13, s8, 31
	s_lshl_b32 s28, s24, 5
	s_lshr_b32 s4, s13, 28
	s_mul_i32 s13, s5, s11
	s_add_co_i32 s8, s8, s4
	s_add_co_i32 s4, s28, 32
	s_ashr_i32 s27, s8, 4
	s_load_b32 s8, s[0:1], 0x48
	s_sub_co_i32 s2, s2, s13
	s_min_i32 s13, s4, s27
	s_add_co_i32 s4, s5, 1
	s_wait_alu 0xfffe
	s_sub_co_i32 s16, s2, s11
	s_cmp_ge_u32 s2, s11
	v_lshrrev_b32_e32 v41, 5, v0
	s_cselect_b32 s4, s4, s5
	s_cselect_b32 s2, s16, s2
	s_add_co_i32 s5, s4, 1
	s_wait_alu 0xfffe
	s_cmp_ge_u32 s2, s11
	v_or_b32_e32 v42, s28, v41
	s_cselect_b32 s2, s5, s4
	v_mbcnt_lo_u32_b32 v6, -1, 0
	s_wait_alu 0xfffe
	s_xor_b32 s2, s2, s3
	s_mov_b32 s4, exec_lo
	s_wait_alu 0xfffe
	s_sub_co_i32 s3, s2, s3
	v_cmp_gt_i32_e64 s2, s13, v42
	s_wait_dscnt 0x0
	s_barrier_signal -1
	s_wait_kmcnt 0x0
	s_mul_i32 s16, s8, s14
	s_barrier_wait -1
	s_ashr_i32 s17, s16, 31
	global_inv scope:SCOPE_SE
                                        ; implicit-def: $vgpr7
                                        ; implicit-def: $vgpr8
	v_cmpx_le_i32_e64 s13, v42
	s_xor_b32 s4, exec_lo, s4
; %bb.6:
	v_dual_mov_b32 v7, 0 :: v_dual_mov_b32 v8, 32
	v_mbcnt_lo_u32_b32 v6, -1, 0
; %bb.7:
	s_or_saveexec_b32 s11, s4
	s_clause 0x1
	s_load_b64 s[18:19], s[0:1], 0x38
	s_load_b32 s8, s[0:1], 0x98
	v_dual_mov_b32 v61, 0xff7fffff :: v_dual_lshlrev_b32 v4, 2, v42
	v_lshlrev_b32_e32 v5, 4, v41
	s_mul_i32 s20, s3, s10
	s_xor_b32 exec_lo, exec_lo, s11
	s_cbranch_execz .LBB166_13
; %bb.8:
	s_load_b64 s[4:5], s[0:1], 0x20
	v_mul_u32_u24_e32 v1, 0x70, v40
	v_bfe_u32 v2, v0, 1, 4
	s_ashr_i32 s21, s20, 31
	v_dual_mov_b32 v7, 0 :: v_dual_and_b32 v8, 8, v3
	ds_load_b128 v[15:18], v1
	v_lshlrev_b32_e32 v9, 4, v2
	s_lshl_b64 s[22:23], s[20:21], 1
	ds_load_b128 v[23:26], v1 offset:16
	ds_load_b128 v[31:34], v1 offset:32
	;; [unrolled: 1-line block ×6, first 2 shown]
	v_xor_b32_e32 v1, 1, v6
	s_cmp_neq_f32 s6, 0
	v_add3_u32 v73, s26, v5, v2
	s_mov_b32 s21, s9
	s_mov_b32 s10, 0
	v_mov_b32_e32 v75, v42
	s_wait_kmcnt 0x0
	s_add_nc_u64 s[4:5], s[4:5], s[22:23]
	s_delay_alu instid0(SALU_CYCLE_1)
	v_add_co_u32 v19, s3, s4, v9
	s_wait_alu 0xf1ff
	v_add_co_ci_u32_e64 v20, null, s5, 0, s3
	s_wait_dscnt 0x6
	v_lshlrev_b32_e32 v11, 16, v16
	v_and_b32_e32 v12, 0xffff0000, v16
	v_add_co_u32 v16, vcc_lo, v19, v8
	v_lshlrev_b32_e32 v13, 16, v17
	v_and_b32_e32 v14, 0xffff0000, v17
	v_add_co_ci_u32_e64 v17, null, 0, v20, vcc_lo
	v_cmp_gt_i32_e32 vcc_lo, 32, v1
	v_and_b32_e32 v10, 0xffff0000, v15
	s_cselect_b32 s3, -1, 0
	s_lshl_b64 s[4:5], s[16:17], 2
	v_lshlrev_b32_e32 v9, 16, v15
	s_wait_alu 0xfffd
	v_cndmask_b32_e32 v1, v6, v1, vcc_lo
	s_wait_alu 0xfffe
	s_add_nc_u64 s[4:5], s[18:19], s[4:5]
	v_lshlrev_b32_e32 v15, 16, v18
	v_and_b32_e32 v18, 0xffff0000, v18
	s_wait_dscnt 0x5
	v_lshlrev_b32_e32 v19, 16, v23
	v_lshlrev_b32_e32 v68, 2, v1
	;; [unrolled: 1-line block ×3, first 2 shown]
	v_and_b32_e32 v20, 0xffff0000, v23
	v_lshlrev_b32_e32 v21, 16, v24
	v_and_b32_e32 v22, 0xffff0000, v24
	v_lshlrev_b32_e32 v23, 16, v25
	v_lshl_or_b32 v1, v41, 6, v1
	v_and_b32_e32 v24, 0xffff0000, v25
	v_lshlrev_b32_e32 v25, 16, v26
	v_and_b32_e32 v26, 0xffff0000, v26
	s_wait_dscnt 0x4
	v_lshlrev_b32_e32 v27, 16, v31
	v_add_nc_u32_e32 v74, 0x100, v1
	s_wait_alu 0xfffe
	v_add_co_u32 v1, s4, s4, v4
	v_and_b32_e32 v28, 0xffff0000, v31
	v_lshlrev_b32_e32 v29, 16, v32
	v_and_b32_e32 v30, 0xffff0000, v32
	v_lshlrev_b32_e32 v31, 16, v33
	v_and_b32_e32 v32, 0xffff0000, v33
	v_lshlrev_b32_e32 v33, 16, v34
	v_and_b32_e32 v34, 0xffff0000, v34
	s_wait_dscnt 0x3
	v_lshlrev_b32_e32 v35, 16, v43
	v_and_b32_e32 v36, 0xffff0000, v43
	v_lshlrev_b32_e32 v37, 16, v44
	v_and_b32_e32 v38, 0xffff0000, v44
	v_lshlrev_b32_e32 v43, 16, v45
	v_and_b32_e32 v44, 0xffff0000, v45
	v_lshlrev_b32_e32 v45, 16, v46
	v_and_b32_e32 v46, 0xffff0000, v46
	s_wait_dscnt 0x2
	v_lshlrev_b32_e32 v47, 16, v51
	;; [unrolled: 9-line block ×4, first 2 shown]
	v_and_b32_e32 v65, 0xffff0000, v69
	v_lshlrev_b32_e32 v66, 16, v70
	v_dual_mov_b32 v8, 32 :: v_dual_and_b32 v67, 0xffff0000, v70
	v_lshlrev_b32_e32 v69, 16, v71
	v_and_b32_e32 v70, 0xffff0000, v71
	v_lshlrev_b32_e32 v71, 16, v72
	v_and_b32_e32 v72, 0xffff0000, v72
	s_wait_alu 0xf1ff
	v_add_co_ci_u32_e64 v2, null, s5, 0, s4
	v_mov_b32_e32 v61, 0xff7fffff
	s_sub_co_i32 s22, 1, s25
	v_cmp_eq_u32_e32 vcc_lo, 0, v40
	s_branch .LBB166_10
.LBB166_9:                              ;   in Loop: Header=BB166_10 Depth=1
	s_wait_alu 0xfffe
	s_or_b32 exec_lo, exec_lo, s5
	v_add_nc_u32_e32 v75, 4, v75
	v_add_co_u32 v1, s5, v1, 16
	v_add_nc_u32_e32 v73, 64, v73
	v_add_nc_u32_e32 v74, 0x100, v74
	s_delay_alu instid0(VALU_DEP_4) | instskip(SKIP_3) | instid1(SALU_CYCLE_1)
	v_cmp_le_i32_e64 s4, s13, v75
	s_wait_alu 0xf1ff
	v_add_co_ci_u32_e64 v2, null, 0, v2, s5
	s_or_b32 s10, s4, s10
	s_and_not1_b32 exec_lo, exec_lo, s10
	s_cbranch_execz .LBB166_12
.LBB166_10:                             ; =>This Inner Loop Header: Depth=1
	global_load_b32 v76, v[1:2], off
	s_wait_loadcnt_dscnt 0x0
	v_mad_co_i64_i32 v[76:77], null, v76, s21, 0
	s_delay_alu instid0(VALU_DEP_1) | instskip(NEXT) | instid1(VALU_DEP_1)
	v_lshlrev_b64_e32 v[76:77], 1, v[76:77]
	v_add_co_u32 v76, s4, v16, v76
	s_wait_alu 0xf1ff
	s_delay_alu instid0(VALU_DEP_2)
	v_add_co_ci_u32_e64 v77, null, v17, v77, s4
	s_clause 0xd
	global_load_b64 v[78:79], v[76:77], off
	global_load_b64 v[80:81], v[76:77], off offset:256
	global_load_b64 v[82:83], v[76:77], off offset:512
	;; [unrolled: 1-line block ×13, first 2 shown]
	s_wait_loadcnt 0xc
	v_lshlrev_b32_e32 v107, 16, v81
	v_lshlrev_b32_e32 v104, 16, v78
	v_and_b32_e32 v81, 0xffff0000, v81
	s_delay_alu instid0(VALU_DEP_3) | instskip(SKIP_2) | instid1(VALU_DEP_4)
	v_dual_mul_f32 v107, v15, v107 :: v_dual_and_b32 v78, 0xffff0000, v78
	v_lshlrev_b32_e32 v106, 16, v80
	v_lshlrev_b32_e32 v105, 16, v79
	v_dual_mul_f32 v81, v18, v81 :: v_dual_and_b32 v80, 0xffff0000, v80
	s_delay_alu instid0(VALU_DEP_3) | instskip(NEXT) | instid1(VALU_DEP_2)
	v_dual_mul_f32 v106, v13, v106 :: v_dual_and_b32 v79, 0xffff0000, v79
	v_dual_fmac_f32 v107, v11, v105 :: v_dual_mul_f32 v80, v14, v80
	s_delay_alu instid0(VALU_DEP_2) | instskip(SKIP_4) | instid1(VALU_DEP_3)
	v_dual_fmac_f32 v81, v12, v79 :: v_dual_fmac_f32 v106, v9, v104
	s_wait_loadcnt 0xb
	v_lshlrev_b32_e32 v109, 16, v83
	v_lshlrev_b32_e32 v108, 16, v82
	v_dual_fmac_f32 v80, v10, v78 :: v_dual_and_b32 v83, 0xffff0000, v83
	v_dual_fmac_f32 v107, v21, v109 :: v_dual_and_b32 v82, 0xffff0000, v82
	s_wait_loadcnt 0xa
	s_delay_alu instid0(VALU_DEP_3) | instskip(NEXT) | instid1(VALU_DEP_3)
	v_dual_fmac_f32 v106, v19, v108 :: v_dual_lshlrev_b32 v111, 16, v85
	v_dual_fmac_f32 v81, v22, v83 :: v_dual_lshlrev_b32 v110, 16, v84
	s_delay_alu instid0(VALU_DEP_3) | instskip(NEXT) | instid1(VALU_DEP_3)
	v_dual_fmac_f32 v80, v20, v82 :: v_dual_and_b32 v85, 0xffff0000, v85
	v_dual_fmac_f32 v107, v25, v111 :: v_dual_and_b32 v84, 0xffff0000, v84
	s_wait_loadcnt 0x9
	s_delay_alu instid0(VALU_DEP_3) | instskip(NEXT) | instid1(VALU_DEP_3)
	v_dual_fmac_f32 v106, v23, v110 :: v_dual_lshlrev_b32 v113, 16, v87
	v_dual_fmac_f32 v81, v26, v85 :: v_dual_lshlrev_b32 v112, 16, v86
	s_delay_alu instid0(VALU_DEP_3) | instskip(NEXT) | instid1(VALU_DEP_3)
	v_dual_fmac_f32 v80, v24, v84 :: v_dual_and_b32 v87, 0xffff0000, v87
	v_dual_fmac_f32 v107, v29, v113 :: v_dual_and_b32 v86, 0xffff0000, v86
	s_wait_loadcnt 0x8
	s_delay_alu instid0(VALU_DEP_3) | instskip(NEXT) | instid1(VALU_DEP_3)
	v_dual_fmac_f32 v106, v27, v112 :: v_dual_lshlrev_b32 v115, 16, v89
	v_dual_fmac_f32 v81, v30, v87 :: v_dual_lshlrev_b32 v114, 16, v88
	s_delay_alu instid0(VALU_DEP_3) | instskip(NEXT) | instid1(VALU_DEP_3)
	v_dual_fmac_f32 v80, v28, v86 :: v_dual_and_b32 v89, 0xffff0000, v89
	v_dual_fmac_f32 v107, v33, v115 :: v_dual_and_b32 v88, 0xffff0000, v88
	s_wait_loadcnt 0x7
	s_delay_alu instid0(VALU_DEP_3) | instskip(NEXT) | instid1(VALU_DEP_3)
	v_dual_fmac_f32 v106, v31, v114 :: v_dual_lshlrev_b32 v117, 16, v91
	v_dual_fmac_f32 v81, v34, v89 :: v_dual_lshlrev_b32 v116, 16, v90
	s_delay_alu instid0(VALU_DEP_3) | instskip(NEXT) | instid1(VALU_DEP_3)
	v_dual_fmac_f32 v80, v32, v88 :: v_dual_and_b32 v91, 0xffff0000, v91
	v_dual_fmac_f32 v107, v37, v117 :: v_dual_and_b32 v90, 0xffff0000, v90
	s_wait_loadcnt 0x6
	s_delay_alu instid0(VALU_DEP_3) | instskip(NEXT) | instid1(VALU_DEP_3)
	v_dual_fmac_f32 v106, v35, v116 :: v_dual_lshlrev_b32 v119, 16, v93
	v_dual_fmac_f32 v81, v38, v91 :: v_dual_lshlrev_b32 v118, 16, v92
	s_delay_alu instid0(VALU_DEP_3) | instskip(NEXT) | instid1(VALU_DEP_3)
	v_dual_fmac_f32 v80, v36, v90 :: v_dual_and_b32 v93, 0xffff0000, v93
	v_dual_fmac_f32 v107, v45, v119 :: v_dual_and_b32 v92, 0xffff0000, v92
	s_wait_loadcnt 0x5
	s_delay_alu instid0(VALU_DEP_3) | instskip(NEXT) | instid1(VALU_DEP_3)
	v_dual_fmac_f32 v106, v43, v118 :: v_dual_lshlrev_b32 v121, 16, v95
	v_dual_fmac_f32 v81, v46, v93 :: v_dual_lshlrev_b32 v120, 16, v94
	s_delay_alu instid0(VALU_DEP_3) | instskip(NEXT) | instid1(VALU_DEP_3)
	v_dual_fmac_f32 v80, v44, v92 :: v_dual_and_b32 v95, 0xffff0000, v95
	v_dual_fmac_f32 v107, v49, v121 :: v_dual_and_b32 v94, 0xffff0000, v94
	s_wait_loadcnt 0x4
	s_delay_alu instid0(VALU_DEP_3) | instskip(NEXT) | instid1(VALU_DEP_3)
	v_dual_fmac_f32 v106, v47, v120 :: v_dual_lshlrev_b32 v123, 16, v97
	v_dual_fmac_f32 v81, v50, v95 :: v_dual_lshlrev_b32 v122, 16, v96
	s_delay_alu instid0(VALU_DEP_3) | instskip(NEXT) | instid1(VALU_DEP_2)
	v_dual_fmac_f32 v80, v48, v94 :: v_dual_and_b32 v97, 0xffff0000, v97
	v_dual_fmac_f32 v107, v53, v123 :: v_dual_fmac_f32 v106, v51, v122
	s_wait_loadcnt 0x3
	v_lshlrev_b32_e32 v125, 16, v99
	v_lshlrev_b32_e32 v124, 16, v98
	v_dual_fmac_f32 v81, v54, v97 :: v_dual_and_b32 v96, 0xffff0000, v96
	s_wait_loadcnt 0x1
	v_lshlrev_b32_e32 v87, 16, v103
	v_and_b32_e32 v84, 0xffff0000, v101
	v_and_b32_e32 v78, 0xffff0000, v99
	v_dual_fmac_f32 v107, v57, v125 :: v_dual_lshlrev_b32 v82, 16, v100
	v_fmac_f32_e32 v106, v55, v124
	s_delay_alu instid0(VALU_DEP_3) | instskip(SKIP_4) | instid1(VALU_DEP_3)
	v_dual_fmac_f32 v80, v52, v96 :: v_dual_fmac_f32 v81, v58, v78
	v_lshlrev_b32_e32 v83, 16, v101
	s_wait_loadcnt 0x0
	v_lshlrev_b32_e32 v78, 16, v77
	v_fmac_f32_e32 v106, v59, v82
	v_dual_fmac_f32 v107, v62, v83 :: v_dual_and_b32 v98, 0xffff0000, v98
	s_delay_alu instid0(VALU_DEP_1) | instskip(NEXT) | instid1(VALU_DEP_1)
	v_dual_fmac_f32 v80, v56, v98 :: v_dual_and_b32 v79, 0xffff0000, v100
	v_dual_fmac_f32 v80, v60, v79 :: v_dual_lshlrev_b32 v85, 16, v102
	s_delay_alu instid0(VALU_DEP_1) | instskip(SKIP_1) | instid1(VALU_DEP_2)
	v_dual_fmac_f32 v106, v64, v85 :: v_dual_fmac_f32 v107, v66, v87
	v_dual_fmac_f32 v81, v63, v84 :: v_dual_and_b32 v88, 0xffff0000, v103
	v_fmac_f32_e32 v107, v71, v78
	s_delay_alu instid0(VALU_DEP_2) | instskip(SKIP_2) | instid1(VALU_DEP_3)
	v_dual_fmac_f32 v81, v67, v88 :: v_dual_and_b32 v86, 0xffff0000, v102
	v_lshlrev_b32_e32 v89, 16, v76
	v_and_b32_e32 v76, 0xffff0000, v76
	v_fmac_f32_e32 v80, v65, v86
	s_delay_alu instid0(VALU_DEP_1) | instskip(SKIP_1) | instid1(VALU_DEP_1)
	v_fmac_f32_e32 v80, v70, v76
	v_and_b32_e32 v76, 0xffff0000, v77
	v_dual_fmac_f32 v106, v69, v89 :: v_dual_fmac_f32 v81, v72, v76
	s_delay_alu instid0(VALU_DEP_1) | instskip(NEXT) | instid1(VALU_DEP_1)
	v_add_f32_e32 v77, v106, v80
	v_add_f32_e32 v76, v77, v107
	s_delay_alu instid0(VALU_DEP_1)
	v_add_f32_e32 v76, v81, v76
	ds_bpermute_b32 v77, v68, v76
	s_and_saveexec_b32 s5, vcc_lo
	s_cbranch_execz .LBB166_9
; %bb.11:                               ;   in Loop: Header=BB166_10 Depth=1
	s_wait_dscnt 0x0
	v_add_f32_e32 v76, v76, v77
	v_add_nc_u32_e32 v78, s22, v73
	v_cmp_gt_i32_e64 s4, s25, v73
	s_delay_alu instid0(VALU_DEP_2) | instskip(NEXT) | instid1(VALU_DEP_1)
	v_cvt_f32_i32_e32 v78, v78
	v_mul_f32_e32 v78, s6, v78
	s_delay_alu instid0(VALU_DEP_1) | instskip(NEXT) | instid1(VALU_DEP_1)
	v_cndmask_b32_e64 v77, 0, v78, s3
	v_dual_max_num_f32 v78, v61, v61 :: v_dual_fmac_f32 v77, s7, v76
	s_delay_alu instid0(VALU_DEP_1) | instskip(SKIP_2) | instid1(VALU_DEP_2)
	v_max_num_f32_e32 v76, v78, v77
	s_wait_alu 0xf1ff
	v_cndmask_b32_e64 v77, 0, v77, s4
	v_cndmask_b32_e64 v61, v61, v76, s4
	ds_store_b32 v74, v77
	s_branch .LBB166_9
.LBB166_12:
	s_or_b32 exec_lo, exec_lo, s10
.LBB166_13:
	s_delay_alu instid0(SALU_CYCLE_1)
	s_or_b32 exec_lo, exec_lo, s11
	v_xor_b32_e32 v1, 16, v6
	v_xor_b32_e32 v2, 8, v6
	;; [unrolled: 1-line block ×3, first 2 shown]
	s_clause 0x2
	s_load_b128 s[4:7], s[0:1], 0x0
	s_load_b64 s[10:11], s[0:1], 0x10
	s_load_b64 s[22:23], s[0:1], 0x28
	v_and_b32_e32 v43, 31, v0
	v_cmp_lt_i32_e32 vcc_lo, v1, v8
	s_wait_alu 0xfffd
	v_cndmask_b32_e32 v1, v6, v1, vcc_lo
	v_cmp_lt_i32_e32 vcc_lo, v2, v8
	s_wait_alu 0xfffd
	v_dual_max_num_f32 v11, v61, v61 :: v_dual_cndmask_b32 v2, v6, v2
	s_delay_alu instid0(VALU_DEP_1) | instskip(SKIP_4) | instid1(VALU_DEP_1)
	v_lshlrev_b32_e32 v10, 2, v2
	v_lshlrev_b32_e32 v9, 2, v1
	ds_bpermute_b32 v1, v9, v61
	s_wait_dscnt 0x0
	v_max_num_f32_e32 v1, v1, v1
	v_max_num_f32_e32 v1, v11, v1
	v_xor_b32_e32 v11, 4, v6
	s_delay_alu instid0(VALU_DEP_1) | instskip(SKIP_4) | instid1(VALU_DEP_2)
	v_cmp_lt_i32_e32 vcc_lo, v11, v8
	s_wait_alu 0xfffd
	v_cndmask_b32_e32 v11, v6, v11, vcc_lo
	v_cmp_lt_i32_e32 vcc_lo, v12, v8
	s_wait_alu 0xfffd
	v_dual_cndmask_b32 v12, v6, v12 :: v_dual_lshlrev_b32 v11, 2, v11
	ds_bpermute_b32 v2, v10, v1
	v_cmp_eq_u32_e32 vcc_lo, 0, v43
	s_wait_dscnt 0x0
	v_max_num_f32_e32 v2, v2, v2
	s_delay_alu instid0(VALU_DEP_1) | instskip(SKIP_3) | instid1(VALU_DEP_1)
	v_max_num_f32_e32 v1, v1, v2
	ds_bpermute_b32 v2, v11, v1
	s_wait_dscnt 0x0
	v_max_num_f32_e32 v2, v2, v2
	v_dual_max_num_f32 v1, v1, v2 :: v_dual_lshlrev_b32 v2, 2, v12
	v_lshlrev_b32_e32 v12, 2, v41
	ds_bpermute_b32 v13, v2, v1
	s_and_saveexec_b32 s0, vcc_lo
	s_cbranch_execz .LBB166_15
; %bb.14:
	s_wait_dscnt 0x0
	v_max_num_f32_e32 v13, v13, v13
	v_max_num_f32_e32 v1, v1, v1
	s_delay_alu instid0(VALU_DEP_1)
	v_max_num_f32_e32 v1, v1, v13
	ds_store_b32 v12, v1 offset:224
.LBB166_15:
	s_or_b32 exec_lo, exec_lo, s0
	v_cmp_gt_u32_e64 s0, 4, v43
	v_mov_b32_e32 v1, 0xff7fffff
	s_wait_dscnt 0x0
	v_lshlrev_b32_e32 v13, 2, v43
	s_wait_loadcnt 0x0
	s_barrier_signal -1
	s_barrier_wait -1
	global_inv scope:SCOPE_SE
	s_and_saveexec_b32 s1, s0
; %bb.16:
	ds_load_b32 v1, v13 offset:224
; %bb.17:
	s_or_b32 exec_lo, exec_lo, s1
	s_wait_dscnt 0x0
	ds_bpermute_b32 v14, v2, v1
	v_xor_b32_e32 v15, 1, v6
	v_max_num_f32_e32 v1, v1, v1
	v_lshlrev_b32_e32 v7, 2, v7
	s_delay_alu instid0(VALU_DEP_3) | instskip(NEXT) | instid1(VALU_DEP_1)
	v_cmp_lt_i32_e64 s1, v15, v8
	v_cndmask_b32_e64 v8, v6, v15, s1
	s_sub_co_i32 s1, s13, s28
	s_wait_alu 0xfffe
	s_lshl_b32 s1, s1, 4
	s_wait_alu 0xfffe
	s_add_co_i32 s1, s1, s26
	s_wait_alu 0xfffe
	s_min_i32 s1, s1, s25
	s_wait_dscnt 0x0
	v_max_num_f32_e32 v14, v14, v14
	v_lshlrev_b32_e32 v44, 2, v8
	s_wait_alu 0xfffe
	s_sub_co_i32 s21, s1, s26
	s_wait_alu 0xfffe
	v_cmp_gt_i32_e64 s1, s21, v0
	v_max_num_f32_e32 v1, v1, v14
	ds_bpermute_b32 v8, v44, v1
	s_wait_dscnt 0x0
	v_max_num_f32_e32 v8, v8, v8
	s_delay_alu instid0(VALU_DEP_1)
	v_dual_max_num_f32 v1, v1, v8 :: v_dual_mov_b32 v8, 0
	ds_bpermute_b32 v1, v7, v1
	v_lshl_add_u32 v7, v0, 2, 0x100
	s_and_saveexec_b32 s28, s1
	s_cbranch_execz .LBB166_21
; %bb.18:
	v_lshl_add_u32 v14, v0, 2, 0x100
	v_dual_mov_b32 v8, 0 :: v_dual_mov_b32 v15, v0
	s_mov_b32 s29, 0
.LBB166_19:                             ; =>This Inner Loop Header: Depth=1
	ds_load_b32 v16, v14
	v_add_nc_u32_e32 v15, 0x80, v15
	s_delay_alu instid0(VALU_DEP_1) | instskip(SKIP_4) | instid1(VALU_DEP_1)
	v_cmp_le_i32_e64 s3, s21, v15
	s_wait_alu 0xfffe
	s_or_b32 s29, s3, s29
	s_wait_dscnt 0x0
	v_sub_f32_e32 v16, v16, v1
	v_mul_f32_e32 v16, 0x3fb8aa3b, v16
	s_delay_alu instid0(VALU_DEP_1)
	v_exp_f32_e32 v16, v16
	ds_store_b32 v14, v16
	v_add_f32_e32 v8, v8, v16
	v_add_nc_u32_e32 v14, 0x200, v14
	s_wait_alu 0xfffe
	s_and_not1_b32 exec_lo, exec_lo, s29
	s_cbranch_execnz .LBB166_19
; %bb.20:
	s_or_b32 exec_lo, exec_lo, s29
.LBB166_21:
	s_wait_alu 0xfffe
	s_or_b32 exec_lo, exec_lo, s28
	ds_bpermute_b32 v9, v9, v8
	s_wait_dscnt 0x0
	v_add_f32_e32 v8, v8, v9
	ds_bpermute_b32 v9, v10, v8
	s_wait_dscnt 0x0
	v_add_f32_e32 v8, v8, v9
	;; [unrolled: 3-line block ×5, first 2 shown]
	s_and_saveexec_b32 s3, vcc_lo
; %bb.22:
	ds_store_b32 v12, v8 offset:240
; %bb.23:
	s_wait_alu 0xfffe
	s_or_b32 exec_lo, exec_lo, s3
	s_wait_loadcnt_dscnt 0x0
	s_barrier_signal -1
	s_barrier_wait -1
	global_inv scope:SCOPE_SE
	s_and_saveexec_b32 s3, s0
; %bb.24:
	ds_load_b32 v8, v13 offset:240
; %bb.25:
	s_wait_alu 0xfffe
	s_or_b32 exec_lo, exec_lo, s3
	s_wait_dscnt 0x0
	ds_bpermute_b32 v2, v2, v8
	v_lshlrev_b32_e32 v6, 2, v6
	s_delay_alu instid0(VALU_DEP_1)
	v_and_b32_e32 v6, 0xffffff80, v6
	s_wait_dscnt 0x0
	v_add_f32_e32 v2, v8, v2
	ds_bpermute_b32 v8, v44, v2
	s_wait_dscnt 0x0
	v_add_f32_e32 v2, v2, v8
	ds_bpermute_b32 v2, v6, v2
	s_and_saveexec_b32 s0, s1
	s_cbranch_execz .LBB166_28
; %bb.26:
	s_wait_dscnt 0x0
	v_add_f32_e32 v6, 0x358637bd, v2
	s_mov_b32 s1, 0
	s_delay_alu instid0(VALU_DEP_1) | instskip(NEXT) | instid1(VALU_DEP_1)
	v_div_scale_f32 v8, null, v6, v6, 1.0
	v_rcp_f32_e32 v9, v8
	s_delay_alu instid0(TRANS32_DEP_1) | instskip(NEXT) | instid1(VALU_DEP_1)
	v_fma_f32 v10, -v8, v9, 1.0
	v_fmac_f32_e32 v9, v10, v9
	v_div_scale_f32 v11, vcc_lo, 1.0, v6, 1.0
	s_delay_alu instid0(VALU_DEP_1) | instskip(NEXT) | instid1(VALU_DEP_1)
	v_mul_f32_e32 v10, v11, v9
	v_fma_f32 v12, -v8, v10, v11
	s_delay_alu instid0(VALU_DEP_1) | instskip(NEXT) | instid1(VALU_DEP_1)
	v_fmac_f32_e32 v10, v12, v9
	v_fma_f32 v8, -v8, v10, v11
	s_wait_alu 0xfffd
	s_delay_alu instid0(VALU_DEP_1) | instskip(NEXT) | instid1(VALU_DEP_1)
	v_div_fmas_f32 v8, v8, v9, v10
	v_div_fixup_f32 v6, v8, v6, 1.0
	v_mov_b32_e32 v8, v0
.LBB166_27:                             ; =>This Inner Loop Header: Depth=1
	ds_load_b32 v9, v7
	s_wait_dscnt 0x0
	v_dual_mul_f32 v9, v6, v9 :: v_dual_add_nc_u32 v8, 0x80, v8
	s_delay_alu instid0(VALU_DEP_1)
	v_cmp_le_i32_e32 vcc_lo, s21, v8
	ds_store_b32 v7, v9
	v_add_nc_u32_e32 v7, 0x200, v7
	s_wait_alu 0xfffe
	s_or_b32 s1, vcc_lo, s1
	s_wait_alu 0xfffe
	s_and_not1_b32 exec_lo, exec_lo, s1
	s_cbranch_execnz .LBB166_27
.LBB166_28:
	s_wait_alu 0xfffe
	s_or_b32 exec_lo, exec_lo, s0
	s_wait_kmcnt 0x0
	s_mul_i32 s0, s8, s14
	s_wait_loadcnt_dscnt 0x0
	s_wait_alu 0xfffe
	s_mul_i32 s14, s0, s15
	s_mov_b32 s0, exec_lo
	s_barrier_signal -1
	s_barrier_wait -1
	global_inv scope:SCOPE_SE
	v_cmpx_eq_u32_e32 0, v0
	s_cbranch_execz .LBB166_30
; %bb.29:
	s_ashr_i32 s15, s14, 31
	s_wait_alu 0xfffe
	s_mul_i32 s28, s8, ttmp9
	s_lshl_b32 s1, s24, 2
	s_lshl_b64 s[30:31], s[14:15], 2
	s_wait_alu 0xfffe
	s_ashr_i32 s29, s28, 31
	v_mov_b32_e32 v6, s1
	s_add_nc_u64 s[6:7], s[6:7], s[30:31]
	s_wait_alu 0xfffe
	s_lshl_b64 s[28:29], s[28:29], 2
	s_add_nc_u64 s[4:5], s[4:5], s[30:31]
	s_wait_alu 0xfffe
	s_add_nc_u64 s[6:7], s[6:7], s[28:29]
	s_add_nc_u64 s[4:5], s[4:5], s[28:29]
	s_clause 0x1
	global_store_b32 v6, v1, s[6:7]
	global_store_b32 v6, v2, s[4:5]
.LBB166_30:
	s_wait_alu 0xfffe
	s_or_b32 exec_lo, exec_lo, s0
	v_dual_mov_b32 v50, 0 :: v_dual_mov_b32 v51, 0
	v_dual_mov_b32 v49, 0 :: v_dual_mov_b32 v48, 0
	;; [unrolled: 1-line block ×3, first 2 shown]
	v_mov_b32_e32 v45, 0
	s_and_saveexec_b32 s1, s2
	s_cbranch_execz .LBB166_48
; %bb.31:
	v_dual_mov_b32 v45, 0 :: v_dual_lshlrev_b32 v2, 4, v0
	s_ashr_i32 s21, s20, 31
	v_dual_mov_b32 v46, 0 :: v_dual_and_b32 v1, 8, v3
	s_delay_alu instid0(VALU_DEP_2)
	v_dual_mov_b32 v47, 0 :: v_dual_and_b32 v2, 0x1f0, v2
	s_wait_alu 0xfffe
	s_lshl_b64 s[4:5], s[20:21], 1
	v_dual_mov_b32 v48, 0 :: v_dual_lshlrev_b32 v3, 5, v40
	s_wait_alu 0xfffe
	s_add_nc_u64 s[4:5], s[22:23], s[4:5]
	v_add3_u32 v54, s26, v5, v1
	s_wait_alu 0xfffe
	v_add_co_u32 v52, s0, s4, v2
	s_wait_alu 0xf1ff
	v_add_co_ci_u32_e64 v53, null, s5, 0, s0
	s_lshl_b64 s[4:5], s[16:17], 2
	v_lshl_or_b32 v3, v41, 6, v3
	s_wait_alu 0xfffe
	s_add_nc_u64 s[4:5], s[18:19], s[4:5]
	v_mov_b32_e32 v49, 0
	s_wait_alu 0xfffe
	v_add_co_u32 v37, s0, s4, v4
	v_dual_mov_b32 v50, 0 :: v_dual_add_nc_u32 v55, 0x100, v3
	s_wait_alu 0xf1ff
	v_add_co_ci_u32_e64 v38, null, s5, 0, s0
	v_mov_b32_e32 v51, 0
	s_mov_b32 s2, s9
	s_add_co_i32 s3, s27, -1
	s_mov_b32 s5, s25
	s_mov_b32 s4, 0
	s_branch .LBB166_33
.LBB166_32:                             ;   in Loop: Header=BB166_33 Depth=1
	s_wait_alu 0xfffe
	s_or_b32 exec_lo, exec_lo, s0
	s_wait_dscnt 0x1
	v_bfe_u32 v56, v25, 16, 1
	v_or_b32_e32 v57, 0x400000, v25
	v_bfe_u32 v58, v26, 16, 1
	v_cmp_u_f32_e32 vcc_lo, v25, v25
	v_bfe_u32 v59, v27, 16, 1
	v_add3_u32 v56, v56, v25, 0x7fff
	v_or_b32_e32 v60, 0x400000, v26
	v_add3_u32 v58, v58, v26, 0x7fff
	v_or_b32_e32 v61, 0x400000, v27
	v_add3_u32 v59, v59, v27, 0x7fff
	s_wait_alu 0xfffd
	v_cndmask_b32_e32 v25, v56, v57, vcc_lo
	v_cmp_u_f32_e32 vcc_lo, v26, v26
	v_bfe_u32 v56, v28, 16, 1
	s_wait_dscnt 0x0
	v_bfe_u32 v57, v21, 16, 1
	s_wait_loadcnt 0x1
	v_and_b32_e32 v63, 0xffff0000, v36
	v_add_co_u32 v37, s0, v37, 16
	s_wait_alu 0xfffd
	v_cndmask_b32_e32 v26, v58, v60, vcc_lo
	v_cmp_u_f32_e32 vcc_lo, v27, v27
	v_add3_u32 v56, v56, v28, 0x7fff
	v_or_b32_e32 v58, 0x400000, v28
	v_add3_u32 v57, v57, v21, 0x7fff
	v_bfe_u32 v60, v22, 16, 1
	s_wait_alu 0xfffd
	v_cndmask_b32_e32 v27, v59, v61, vcc_lo
	v_cmp_u_f32_e32 vcc_lo, v28, v28
	v_or_b32_e32 v59, 0x400000, v21
	v_add_nc_u32_e32 v55, 0x100, v55
	s_wait_alu 0xf1ff
	v_add_co_ci_u32_e64 v38, null, 0, v38, s0
	s_wait_alu 0xfffd
	v_cndmask_b32_e32 v28, v56, v58, vcc_lo
	v_cmp_u_f32_e32 vcc_lo, v21, v21
	v_or_b32_e32 v58, 0x400000, v22
	v_and_b32_e32 v21, 0xffff0000, v26
	v_add_nc_u32_e32 v42, 4, v42
	v_add_nc_u32_e32 v54, 64, v54
	s_wait_alu 0xfffd
	v_cndmask_b32_e32 v56, v57, v59, vcc_lo
	v_add3_u32 v57, v60, v22, 0x7fff
	v_bfe_u32 v59, v23, 16, 1
	v_cmp_u_f32_e32 vcc_lo, v22, v22
	v_and_b32_e32 v26, 0xffff0000, v33
	s_delay_alu instid0(VALU_DEP_3)
	v_add3_u32 v22, v59, v23, 0x7fff
	s_wait_alu 0xfffd
	v_cndmask_b32_e32 v57, v57, v58, vcc_lo
	v_or_b32_e32 v58, 0x400000, v23
	v_bfe_u32 v59, v24, 16, 1
	v_cmp_u_f32_e32 vcc_lo, v23, v23
	v_mul_f32_e32 v60, v21, v26
	v_and_b32_e32 v26, 0xffff0000, v25
	v_lshlrev_b32_e32 v25, 16, v33
	v_add3_u32 v23, v59, v24, 0x7fff
	s_wait_alu 0xfffd
	v_cndmask_b32_e32 v33, v22, v58, vcc_lo
	v_or_b32_e32 v58, 0x400000, v24
	v_cmp_u_f32_e32 vcc_lo, v24, v24
	v_bfe_u32 v59, v60, 16, 1
	v_dual_mul_f32 v25, v26, v25 :: v_dual_and_b32 v22, 0xffff0000, v28
	v_and_b32_e32 v28, 0xffff0000, v34
	s_wait_alu 0xfffd
	v_cndmask_b32_e32 v24, v23, v58, vcc_lo
	v_add3_u32 v23, v59, v60, 0x7fff
	v_or_b32_e32 v58, 0x400000, v60
	v_bfe_u32 v59, v25, 16, 1
	v_mul_f32_e32 v61, v22, v28
	v_cmp_u_f32_e32 vcc_lo, v60, v60
	v_and_b32_e32 v27, 0xffff0000, v27
	v_and_b32_e32 v24, 0xffff0000, v24
	v_lshlrev_b32_e32 v28, 16, v34
	v_bfe_u32 v60, v61, 16, 1
	s_wait_alu 0xfffd
	v_cndmask_b32_e32 v34, v23, v58, vcc_lo
	v_add3_u32 v58, v59, v25, 0x7fff
	v_or_b32_e32 v59, 0x400000, v25
	v_dual_mul_f32 v62, v27, v28 :: v_dual_and_b32 v23, 0xffff0000, v57
	v_and_b32_e32 v28, 0xffff0000, v35
	v_cmp_u_f32_e32 vcc_lo, v25, v25
	v_add3_u32 v25, v60, v61, 0x7fff
	v_lshlrev_b32_e32 v35, 16, v35
	v_and_b32_e32 v34, 0xffff0000, v34
	s_wait_alu 0xfffd
	v_dual_mul_f32 v60, v23, v28 :: v_dual_cndmask_b32 v57, v58, v59
	v_or_b32_e32 v58, 0x400000, v61
	v_bfe_u32 v59, v62, 16, 1
	v_cmp_u_f32_e32 vcc_lo, v61, v61
	v_and_b32_e32 v28, 0xffff0000, v56
	v_bfe_u32 v61, v60, 16, 1
	s_wait_alu 0xfffd
	v_dual_cndmask_b32 v56, v25, v58 :: v_dual_and_b32 v57, 0xffff0000, v57
	v_add3_u32 v58, v59, v62, 0x7fff
	v_or_b32_e32 v59, 0x400000, v62
	v_cmp_u_f32_e32 vcc_lo, v62, v62
	s_delay_alu instid0(VALU_DEP_4)
	v_dual_add_f32 v34, v57, v34 :: v_dual_and_b32 v25, 0xffff0000, v33
	v_lshlrev_b32_e32 v33, 16, v36
	v_or_b32_e32 v62, 0x400000, v60
	s_wait_alu 0xfffd
	v_cndmask_b32_e32 v36, v58, v59, vcc_lo
	v_add3_u32 v59, v61, v60, 0x7fff
	v_cmp_u_f32_e32 vcc_lo, v60, v60
	s_delay_alu instid0(VALU_DEP_3) | instskip(SKIP_1) | instid1(VALU_DEP_3)
	v_dual_mul_f32 v61, v24, v63 :: v_dual_and_b32 v36, 0xffff0000, v36
	s_wait_alu 0xfffd
	v_cndmask_b32_e32 v59, v59, v62, vcc_lo
	v_dual_mul_f32 v35, v28, v35 :: v_dual_and_b32 v56, 0xffff0000, v56
	s_delay_alu instid0(VALU_DEP_3) | instskip(NEXT) | instid1(VALU_DEP_2)
	v_bfe_u32 v64, v61, 16, 1
	v_bfe_u32 v58, v35, 16, 1
	s_delay_alu instid0(VALU_DEP_3) | instskip(SKIP_2) | instid1(VALU_DEP_4)
	v_add_f32_e32 v36, v36, v56
	v_or_b32_e32 v63, 0x400000, v35
	v_cmp_u_f32_e32 vcc_lo, v35, v35
	v_add3_u32 v58, v58, v35, 0x7fff
	s_delay_alu instid0(VALU_DEP_4) | instskip(SKIP_1) | instid1(VALU_DEP_2)
	v_dual_add_f32 v34, v36, v34 :: v_dual_mul_f32 v33, v25, v33
	s_wait_alu 0xfffd
	v_cndmask_b32_e32 v35, v58, v63, vcc_lo
	v_add3_u32 v58, v64, v61, 0x7fff
	s_delay_alu instid0(VALU_DEP_3)
	v_bfe_u32 v65, v33, 16, 1
	v_or_b32_e32 v62, 0x400000, v33
	v_cmp_u_f32_e32 vcc_lo, v33, v33
	v_or_b32_e32 v63, 0x400000, v61
	v_and_b32_e32 v35, 0xffff0000, v35
	v_add3_u32 v60, v65, v33, 0x7fff
	s_wait_alu 0xfffd
	s_delay_alu instid0(VALU_DEP_1) | instskip(SKIP_1) | instid1(VALU_DEP_2)
	v_cndmask_b32_e32 v33, v60, v62, vcc_lo
	v_cmp_u_f32_e32 vcc_lo, v61, v61
	v_and_b32_e32 v33, 0xffff0000, v33
	s_wait_alu 0xfffd
	v_dual_cndmask_b32 v57, v58, v63 :: v_dual_and_b32 v58, 0xffff0000, v32
	v_lshlrev_b32_e32 v32, 16, v32
	s_delay_alu instid0(VALU_DEP_2) | instskip(SKIP_1) | instid1(VALU_DEP_3)
	v_and_b32_e32 v36, 0xffff0000, v57
	v_and_b32_e32 v56, 0xffff0000, v59
	v_mul_f32_e32 v32, v25, v32
	s_delay_alu instid0(VALU_DEP_3) | instskip(NEXT) | instid1(VALU_DEP_3)
	v_add_f32_e32 v33, v33, v36
	v_dual_add_f32 v35, v35, v56 :: v_dual_and_b32 v56, 0xffff0000, v29
	s_delay_alu instid0(VALU_DEP_1) | instskip(SKIP_2) | instid1(VALU_DEP_3)
	v_dual_add_f32 v34, v35, v34 :: v_dual_mul_f32 v35, v21, v56
	v_and_b32_e32 v56, 0xffff0000, v30
	v_lshlrev_b32_e32 v29, 16, v29
	v_add_f32_e32 v33, v33, v34
	s_delay_alu instid0(VALU_DEP_4) | instskip(NEXT) | instid1(VALU_DEP_4)
	v_bfe_u32 v34, v35, 16, 1
	v_mul_f32_e32 v56, v22, v56
	s_delay_alu instid0(VALU_DEP_4)
	v_mul_f32_e32 v29, v26, v29
	v_cmp_u_f32_e32 vcc_lo, v35, v35
	v_add_f32_e32 v46, v46, v33
	v_add3_u32 v33, v34, v35, 0x7fff
	v_or_b32_e32 v34, 0x400000, v35
	v_bfe_u32 v36, v29, 16, 1
	v_and_b32_e32 v35, 0xffff0000, v31
	v_lshlrev_b32_e32 v30, 16, v30
	v_or_b32_e32 v57, 0x400000, v29
	s_wait_alu 0xfffd
	v_cndmask_b32_e32 v33, v33, v34, vcc_lo
	v_add3_u32 v36, v36, v29, 0x7fff
	v_bfe_u32 v34, v56, 16, 1
	v_cmp_u_f32_e32 vcc_lo, v29, v29
	v_mul_f32_e32 v35, v23, v35
	v_dual_mul_f32 v30, v27, v30 :: v_dual_lshlrev_b32 v31, 16, v31
	s_delay_alu instid0(VALU_DEP_4)
	v_add3_u32 v34, v34, v56, 0x7fff
	s_wait_alu 0xfffd
	v_cndmask_b32_e32 v29, v36, v57, vcc_lo
	v_or_b32_e32 v36, 0x400000, v56
	v_bfe_u32 v57, v30, 16, 1
	v_cmp_u_f32_e32 vcc_lo, v56, v56
	v_mul_f32_e32 v31, v28, v31
	v_or_b32_e32 v56, 0x400000, v30
	s_wait_alu 0xfffd
	v_cndmask_b32_e32 v34, v34, v36, vcc_lo
	v_add3_u32 v36, v57, v30, 0x7fff
	v_bfe_u32 v57, v35, 16, 1
	v_cmp_u_f32_e32 vcc_lo, v30, v30
	v_bfe_u32 v59, v31, 16, 1
	v_and_b32_e32 v34, 0xffff0000, v34
	s_wait_alu 0xfffd
	v_cndmask_b32_e32 v30, v36, v56, vcc_lo
	v_add3_u32 v36, v57, v35, 0x7fff
	v_or_b32_e32 v57, 0x400000, v35
	v_cmp_u_f32_e32 vcc_lo, v35, v35
	s_delay_alu instid0(VALU_DEP_4)
	v_and_b32_e32 v30, 0xffff0000, v30
	v_and_b32_e32 v29, 0xffff0000, v29
	s_wait_alu 0xfffd
	v_cndmask_b32_e32 v35, v36, v57, vcc_lo
	v_cmp_u_f32_e32 vcc_lo, v31, v31
	v_mul_f32_e32 v56, v24, v58
	v_add3_u32 v58, v59, v31, 0x7fff
	v_or_b32_e32 v59, 0x400000, v31
	v_add_f32_e32 v30, v30, v34
	v_and_b32_e32 v34, 0xffff0000, v17
	v_and_b32_e32 v33, 0xffff0000, v33
	s_wait_alu 0xfffd
	v_cndmask_b32_e32 v31, v58, v59, vcc_lo
	v_bfe_u32 v60, v56, 16, 1
	v_or_b32_e32 v57, 0x400000, v56
	v_bfe_u32 v58, v32, 16, 1
	v_cmp_u_f32_e32 vcc_lo, v56, v56
	v_add_f32_e32 v29, v29, v33
	v_add3_u32 v36, v60, v56, 0x7fff
	v_and_b32_e32 v31, 0xffff0000, v31
	v_add3_u32 v56, v58, v32, 0x7fff
	s_delay_alu instid0(VALU_DEP_4)
	v_add_f32_e32 v29, v30, v29
	s_wait_alu 0xfffd
	v_cndmask_b32_e32 v36, v36, v57, vcc_lo
	v_or_b32_e32 v57, 0x400000, v32
	v_cmp_u_f32_e32 vcc_lo, v32, v32
	s_wait_alu 0xfffd
	s_delay_alu instid0(VALU_DEP_2) | instskip(NEXT) | instid1(VALU_DEP_1)
	v_dual_cndmask_b32 v32, v56, v57 :: v_dual_and_b32 v33, 0xffff0000, v35
	v_add_f32_e32 v31, v31, v33
	v_and_b32_e32 v33, 0xffff0000, v36
	v_and_b32_e32 v56, 0xffff0000, v20
	v_lshlrev_b32_e32 v20, 16, v20
	v_and_b32_e32 v32, 0xffff0000, v32
	v_and_b32_e32 v35, 0xffff0000, v18
	v_dual_add_f32 v29, v31, v29 :: v_dual_lshlrev_b32 v18, 16, v18
	s_delay_alu instid0(VALU_DEP_4) | instskip(NEXT) | instid1(VALU_DEP_3)
	v_mul_f32_e32 v20, v25, v20
	v_dual_add_f32 v32, v32, v33 :: v_dual_mul_f32 v35, v22, v35
	v_mul_f32_e32 v30, v21, v34
	s_delay_alu instid0(VALU_DEP_2) | instskip(SKIP_1) | instid1(VALU_DEP_3)
	v_dual_mul_f32 v18, v27, v18 :: v_dual_add_f32 v29, v32, v29
	v_and_b32_e32 v32, 0xffff0000, v16
	v_bfe_u32 v34, v30, 16, 1
	v_cmp_u_f32_e32 vcc_lo, v30, v30
	s_delay_alu instid0(VALU_DEP_4) | instskip(SKIP_1) | instid1(VALU_DEP_4)
	v_dual_add_f32 v47, v47, v29 :: v_dual_lshlrev_b32 v16, 16, v16
	v_and_b32_e32 v29, 0xffff0000, v14
	v_add3_u32 v33, v34, v30, 0x7fff
	v_or_b32_e32 v34, 0x400000, v30
	v_lshlrev_b32_e32 v17, 16, v17
	s_delay_alu instid0(VALU_DEP_4) | instskip(SKIP_2) | instid1(VALU_DEP_3)
	v_dual_mul_f32 v29, v22, v29 :: v_dual_lshlrev_b32 v14, 16, v14
	v_mul_f32_e32 v16, v25, v16
	s_wait_alu 0xfffd
	v_dual_cndmask_b32 v30, v33, v34 :: v_dual_mul_f32 v17, v26, v17
	v_bfe_u32 v33, v35, 16, 1
	v_or_b32_e32 v34, 0x400000, v35
	v_mul_f32_e32 v14, v27, v14
	s_delay_alu instid0(VALU_DEP_4) | instskip(SKIP_4) | instid1(VALU_DEP_4)
	v_and_b32_e32 v30, 0xffff0000, v30
	v_bfe_u32 v31, v17, 16, 1
	v_or_b32_e32 v36, 0x400000, v17
	v_cmp_u_f32_e32 vcc_lo, v17, v17
	v_add3_u32 v33, v33, v35, 0x7fff
	v_add3_u32 v31, v31, v17, 0x7fff
	s_wait_alu 0xfffd
	s_delay_alu instid0(VALU_DEP_1)
	v_cndmask_b32_e32 v17, v31, v36, vcc_lo
	v_cmp_u_f32_e32 vcc_lo, v35, v35
	v_and_b32_e32 v31, 0xffff0000, v19
	v_bfe_u32 v36, v18, 16, 1
	v_or_b32_e32 v35, 0x400000, v18
	s_wait_alu 0xfffd
	v_cndmask_b32_e32 v33, v33, v34, vcc_lo
	v_mul_f32_e32 v31, v23, v31
	v_add3_u32 v34, v36, v18, 0x7fff
	v_cmp_u_f32_e32 vcc_lo, v18, v18
	s_delay_alu instid0(VALU_DEP_4) | instskip(NEXT) | instid1(VALU_DEP_4)
	v_and_b32_e32 v33, 0xffff0000, v33
	v_bfe_u32 v36, v31, 16, 1
	s_wait_alu 0xfffd
	v_dual_cndmask_b32 v18, v34, v35 :: v_dual_mul_f32 v35, v24, v56
	v_cmp_u_f32_e32 vcc_lo, v31, v31
	s_delay_alu instid0(VALU_DEP_3) | instskip(SKIP_4) | instid1(VALU_DEP_3)
	v_add3_u32 v34, v36, v31, 0x7fff
	v_or_b32_e32 v36, 0x400000, v31
	v_and_b32_e32 v17, 0xffff0000, v17
	v_bfe_u32 v58, v35, 16, 1
	s_wait_alu 0xfffd
	v_dual_cndmask_b32 v31, v34, v36 :: v_dual_and_b32 v18, 0xffff0000, v18
	v_or_b32_e32 v36, 0x400000, v35
	s_delay_alu instid0(VALU_DEP_3) | instskip(SKIP_1) | instid1(VALU_DEP_4)
	v_add3_u32 v34, v58, v35, 0x7fff
	v_lshlrev_b32_e32 v19, 16, v19
	v_dual_add_f32 v17, v17, v30 :: v_dual_add_f32 v18, v18, v33
	s_delay_alu instid0(VALU_DEP_2) | instskip(NEXT) | instid1(VALU_DEP_2)
	v_mul_f32_e32 v19, v28, v19
	v_add_f32_e32 v17, v18, v17
	v_and_b32_e32 v18, 0xffff0000, v13
	v_lshlrev_b32_e32 v13, 16, v13
	s_delay_alu instid0(VALU_DEP_4) | instskip(SKIP_2) | instid1(VALU_DEP_4)
	v_bfe_u32 v57, v19, 16, 1
	v_cmp_u_f32_e32 vcc_lo, v19, v19
	v_and_b32_e32 v30, 0xffff0000, v31
	v_dual_mul_f32 v18, v21, v18 :: v_dual_mul_f32 v31, v26, v13
	s_delay_alu instid0(VALU_DEP_4) | instskip(SKIP_2) | instid1(VALU_DEP_1)
	v_add3_u32 v56, v57, v19, 0x7fff
	v_or_b32_e32 v57, 0x400000, v19
	s_wait_alu 0xfffd
	v_cndmask_b32_e32 v19, v56, v57, vcc_lo
	v_bfe_u32 v56, v20, 16, 1
	v_cmp_u_f32_e32 vcc_lo, v35, v35
	s_delay_alu instid0(VALU_DEP_3) | instskip(NEXT) | instid1(VALU_DEP_3)
	v_and_b32_e32 v19, 0xffff0000, v19
	v_add3_u32 v35, v56, v20, 0x7fff
	s_wait_alu 0xfffd
	v_cndmask_b32_e32 v34, v34, v36, vcc_lo
	v_or_b32_e32 v36, 0x400000, v20
	v_cmp_u_f32_e32 vcc_lo, v20, v20
	v_add_f32_e32 v19, v19, v30
	s_delay_alu instid0(VALU_DEP_4) | instskip(SKIP_2) | instid1(VALU_DEP_3)
	v_and_b32_e32 v30, 0xffff0000, v34
	s_wait_alu 0xfffd
	v_cndmask_b32_e32 v20, v35, v36, vcc_lo
	v_add_f32_e32 v13, v19, v17
	v_bfe_u32 v19, v18, 16, 1
	v_cmp_u_f32_e32 vcc_lo, v18, v18
	s_delay_alu instid0(VALU_DEP_4) | instskip(NEXT) | instid1(VALU_DEP_1)
	v_and_b32_e32 v20, 0xffff0000, v20
	v_add_f32_e32 v17, v20, v30
	v_bfe_u32 v20, v31, 16, 1
	v_or_b32_e32 v30, 0x400000, v31
	s_delay_alu instid0(VALU_DEP_3)
	v_add_f32_e32 v13, v17, v13
	v_add3_u32 v17, v19, v18, 0x7fff
	v_or_b32_e32 v19, 0x400000, v18
	v_add3_u32 v20, v20, v31, 0x7fff
	v_bfe_u32 v18, v29, 16, 1
	s_wait_alu 0xfffd
	s_delay_alu instid0(VALU_DEP_3) | instskip(SKIP_1) | instid1(VALU_DEP_3)
	v_cndmask_b32_e32 v17, v17, v19, vcc_lo
	v_cmp_u_f32_e32 vcc_lo, v31, v31
	v_add3_u32 v18, v18, v29, 0x7fff
	v_bfe_u32 v31, v14, 16, 1
	s_wait_alu 0xfffd
	v_dual_cndmask_b32 v19, v20, v30 :: v_dual_and_b32 v20, 0xffff0000, v15
	v_or_b32_e32 v30, 0x400000, v29
	v_cmp_u_f32_e32 vcc_lo, v29, v29
	v_add3_u32 v29, v31, v14, 0x7fff
	s_delay_alu instid0(VALU_DEP_4)
	v_mul_f32_e32 v20, v23, v20
	s_wait_alu 0xfffd
	v_cndmask_b32_e32 v18, v18, v30, vcc_lo
	v_or_b32_e32 v30, 0x400000, v14
	v_cmp_u_f32_e32 vcc_lo, v14, v14
	v_bfe_u32 v31, v20, 16, 1
	s_delay_alu instid0(VALU_DEP_4) | instskip(SKIP_2) | instid1(VALU_DEP_3)
	v_and_b32_e32 v18, 0xffff0000, v18
	s_wait_alu 0xfffd
	v_cndmask_b32_e32 v14, v29, v30, vcc_lo
	v_add3_u32 v29, v31, v20, 0x7fff
	v_or_b32_e32 v31, 0x400000, v20
	v_cmp_u_f32_e32 vcc_lo, v20, v20
	v_mul_f32_e32 v30, v24, v32
	v_and_b32_e32 v14, 0xffff0000, v14
	v_dual_add_f32 v48, v48, v13 :: v_dual_lshlrev_b32 v15, 16, v15
	s_wait_alu 0xfffd
	v_cndmask_b32_e32 v20, v29, v31, vcc_lo
	v_bfe_u32 v34, v30, 16, 1
	s_delay_alu instid0(VALU_DEP_3) | instskip(SKIP_1) | instid1(VALU_DEP_4)
	v_dual_add_f32 v14, v14, v18 :: v_dual_mul_f32 v15, v28, v15
	v_or_b32_e32 v31, 0x400000, v30
	v_and_b32_e32 v18, 0xffff0000, v20
	s_delay_alu instid0(VALU_DEP_4) | instskip(SKIP_3) | instid1(VALU_DEP_2)
	v_add3_u32 v29, v34, v30, 0x7fff
	v_and_b32_e32 v19, 0xffff0000, v19
	v_bfe_u32 v33, v15, 16, 1
	v_cmp_u_f32_e32 vcc_lo, v15, v15
	v_add3_u32 v32, v33, v15, 0x7fff
	v_or_b32_e32 v33, 0x400000, v15
	s_wait_alu 0xfffd
	s_delay_alu instid0(VALU_DEP_1) | instskip(SKIP_2) | instid1(VALU_DEP_2)
	v_cndmask_b32_e32 v15, v32, v33, vcc_lo
	v_bfe_u32 v32, v16, 16, 1
	v_cmp_u_f32_e32 vcc_lo, v30, v30
	v_add3_u32 v30, v32, v16, 0x7fff
	s_wait_alu 0xfffd
	v_cndmask_b32_e32 v29, v29, v31, vcc_lo
	v_or_b32_e32 v31, 0x400000, v16
	v_cmp_u_f32_e32 vcc_lo, v16, v16
	s_wait_alu 0xfffd
	s_delay_alu instid0(VALU_DEP_2) | instskip(SKIP_1) | instid1(VALU_DEP_1)
	v_cndmask_b32_e32 v16, v30, v31, vcc_lo
	v_and_b32_e32 v15, 0xffff0000, v15
	v_dual_add_f32 v15, v15, v18 :: v_dual_and_b32 v16, 0xffff0000, v16
	v_and_b32_e32 v18, 0xffff0000, v29
	s_delay_alu instid0(VALU_DEP_1) | instskip(NEXT) | instid1(VALU_DEP_1)
	v_dual_add_f32 v16, v16, v18 :: v_dual_and_b32 v17, 0xffff0000, v17
	v_add_f32_e32 v17, v19, v17
	v_and_b32_e32 v19, 0xffff0000, v5
	s_delay_alu instid0(VALU_DEP_1) | instskip(SKIP_3) | instid1(VALU_DEP_4)
	v_dual_add_f32 v14, v14, v17 :: v_dual_mul_f32 v17, v21, v19
	v_and_b32_e32 v19, 0xffff0000, v6
	v_lshlrev_b32_e32 v5, 16, v5
	v_lshlrev_b32_e32 v6, 16, v6
	v_add_f32_e32 v14, v15, v14
	v_bfe_u32 v20, v17, 16, 1
	v_mul_f32_e32 v18, v22, v19
	v_mul_f32_e32 v5, v26, v5
	v_cmp_u_f32_e32 vcc_lo, v17, v17
	v_mul_f32_e32 v6, v27, v6
	v_add3_u32 v19, v20, v17, 0x7fff
	v_or_b32_e32 v20, 0x400000, v17
	v_bfe_u32 v30, v18, 16, 1
	s_wait_alu 0xfffd
	s_delay_alu instid0(VALU_DEP_2) | instskip(SKIP_4) | instid1(VALU_DEP_4)
	v_dual_cndmask_b32 v17, v19, v20 :: v_dual_and_b32 v20, 0xffff0000, v7
	v_bfe_u32 v15, v5, 16, 1
	v_or_b32_e32 v29, 0x400000, v5
	v_cmp_u_f32_e32 vcc_lo, v5, v5
	v_or_b32_e32 v19, 0x400000, v18
	v_add3_u32 v15, v15, v5, 0x7fff
	s_wait_alu 0xfffd
	s_delay_alu instid0(VALU_DEP_1)
	v_cndmask_b32_e32 v5, v15, v29, vcc_lo
	v_add3_u32 v15, v30, v18, 0x7fff
	v_bfe_u32 v29, v6, 16, 1
	v_cmp_u_f32_e32 vcc_lo, v18, v18
	v_mul_f32_e32 v18, v23, v20
	v_or_b32_e32 v20, 0x400000, v6
	s_wait_alu 0xfffd
	v_cndmask_b32_e32 v15, v15, v19, vcc_lo
	v_add3_u32 v19, v29, v6, 0x7fff
	v_cmp_u_f32_e32 vcc_lo, v6, v6
	v_lshlrev_b32_e32 v7, 16, v7
	v_bfe_u32 v30, v18, 16, 1
	s_wait_alu 0xfffd
	s_delay_alu instid0(VALU_DEP_2) | instskip(NEXT) | instid1(VALU_DEP_2)
	v_dual_cndmask_b32 v6, v19, v20 :: v_dual_mul_f32 v7, v28, v7
	v_add3_u32 v20, v30, v18, 0x7fff
	v_cmp_u_f32_e32 vcc_lo, v18, v18
	s_delay_alu instid0(VALU_DEP_3)
	v_and_b32_e32 v6, 0xffff0000, v6
	v_and_b32_e32 v29, 0xffff0000, v8
	v_lshlrev_b32_e32 v8, 16, v8
	v_and_b32_e32 v5, 0xffff0000, v5
	v_and_b32_e32 v17, 0xffff0000, v17
	v_bfe_u32 v31, v7, 16, 1
	s_delay_alu instid0(VALU_DEP_4) | instskip(NEXT) | instid1(VALU_DEP_3)
	v_dual_mul_f32 v8, v25, v8 :: v_dual_and_b32 v15, 0xffff0000, v15
	v_add_f32_e32 v5, v5, v17
	s_delay_alu instid0(VALU_DEP_3) | instskip(SKIP_1) | instid1(VALU_DEP_4)
	v_add3_u32 v30, v31, v7, 0x7fff
	v_or_b32_e32 v31, 0x400000, v7
	v_dual_add_f32 v6, v6, v15 :: v_dual_and_b32 v15, 0xffff0000, v1
	v_mul_f32_e32 v19, v24, v29
	v_or_b32_e32 v29, 0x400000, v18
	v_lshlrev_b32_e32 v1, 16, v1
	s_delay_alu instid0(VALU_DEP_4) | instskip(NEXT) | instid1(VALU_DEP_4)
	v_dual_add_f32 v5, v6, v5 :: v_dual_mul_f32 v6, v21, v15
	v_bfe_u32 v32, v19, 16, 1
	s_wait_alu 0xfffd
	v_cndmask_b32_e32 v18, v20, v29, vcc_lo
	v_cmp_u_f32_e32 vcc_lo, v7, v7
	v_or_b32_e32 v29, 0x400000, v19
	v_bfe_u32 v15, v6, 16, 1
	v_add3_u32 v20, v32, v19, 0x7fff
	v_and_b32_e32 v17, 0xffff0000, v18
	s_wait_alu 0xfffd
	v_cndmask_b32_e32 v7, v30, v31, vcc_lo
	v_cmp_u_f32_e32 vcc_lo, v19, v19
	v_add3_u32 v15, v15, v6, 0x7fff
	v_mul_f32_e32 v1, v26, v1
	s_wait_alu 0xfffd
	v_cndmask_b32_e32 v19, v20, v29, vcc_lo
	v_bfe_u32 v20, v8, 16, 1
	v_cmp_u_f32_e32 vcc_lo, v8, v8
	s_delay_alu instid0(VALU_DEP_2) | instskip(SKIP_2) | instid1(VALU_DEP_1)
	v_add3_u32 v18, v20, v8, 0x7fff
	v_or_b32_e32 v20, 0x400000, v8
	s_wait_alu 0xfffd
	v_cndmask_b32_e32 v8, v18, v20, vcc_lo
	v_cmp_u_f32_e32 vcc_lo, v6, v6
	v_or_b32_e32 v20, 0x400000, v1
	s_delay_alu instid0(VALU_DEP_3) | instskip(SKIP_1) | instid1(VALU_DEP_1)
	v_and_b32_e32 v8, 0xffff0000, v8
	v_and_b32_e32 v7, 0xffff0000, v7
	v_add_f32_e32 v7, v7, v17
	v_or_b32_e32 v17, 0x400000, v6
	s_wait_alu 0xfffd
	s_delay_alu instid0(VALU_DEP_1) | instskip(NEXT) | instid1(VALU_DEP_3)
	v_cndmask_b32_e32 v6, v15, v17, vcc_lo
	v_add_f32_e32 v5, v7, v5
	v_and_b32_e32 v7, 0xffff0000, v2
	v_lshlrev_b32_e32 v2, 16, v2
	v_and_b32_e32 v18, 0xffff0000, v19
	v_bfe_u32 v19, v1, 16, 1
	v_cmp_u_f32_e32 vcc_lo, v1, v1
	s_delay_alu instid0(VALU_DEP_4) | instskip(SKIP_1) | instid1(VALU_DEP_4)
	v_dual_mul_f32 v7, v22, v7 :: v_dual_mul_f32 v2, v27, v2
	v_and_b32_e32 v6, 0xffff0000, v6
	v_add3_u32 v17, v19, v1, 0x7fff
	v_and_b32_e32 v19, 0xffff0000, v3
	s_delay_alu instid0(VALU_DEP_4)
	v_bfe_u32 v15, v7, 16, 1
	v_or_b32_e32 v29, 0x400000, v7
	v_lshlrev_b32_e32 v3, 16, v3
	s_wait_alu 0xfffd
	v_cndmask_b32_e32 v1, v17, v20, vcc_lo
	v_mul_f32_e32 v19, v23, v19
	v_add3_u32 v15, v15, v7, 0x7fff
	v_bfe_u32 v17, v2, 16, 1
	v_cmp_u_f32_e32 vcc_lo, v7, v7
	v_dual_mul_f32 v3, v28, v3 :: v_dual_and_b32 v20, 0xffff0000, v4
	v_or_b32_e32 v30, 0x400000, v19
	s_delay_alu instid0(VALU_DEP_4)
	v_add3_u32 v17, v17, v2, 0x7fff
	s_wait_alu 0xfffd
	v_cndmask_b32_e32 v7, v15, v29, vcc_lo
	v_bfe_u32 v15, v19, 16, 1
	v_or_b32_e32 v29, 0x400000, v2
	v_cmp_u_f32_e32 vcc_lo, v2, v2
	v_mul_f32_e32 v20, v24, v20
	v_lshlrev_b32_e32 v4, 16, v4
	v_add3_u32 v15, v15, v19, 0x7fff
	v_and_b32_e32 v1, 0xffff0000, v1
	s_wait_alu 0xfffd
	v_cndmask_b32_e32 v2, v17, v29, vcc_lo
	v_bfe_u32 v17, v3, 16, 1
	v_cmp_u_f32_e32 vcc_lo, v19, v19
	v_bfe_u32 v29, v20, 16, 1
	v_or_b32_e32 v19, 0x400000, v3
	v_mul_f32_e32 v4, v25, v4
	v_add3_u32 v17, v17, v3, 0x7fff
	s_wait_alu 0xfffd
	v_cndmask_b32_e32 v15, v15, v30, vcc_lo
	v_cmp_u_f32_e32 vcc_lo, v3, v3
	v_add3_u32 v29, v29, v20, 0x7fff
	v_or_b32_e32 v30, 0x400000, v20
	v_and_b32_e32 v2, 0xffff0000, v2
	v_and_b32_e32 v7, 0xffff0000, v7
	s_wait_alu 0xfffd
	v_cndmask_b32_e32 v3, v17, v19, vcc_lo
	v_cmp_u_f32_e32 vcc_lo, v20, v20
	v_bfe_u32 v19, v4, 16, 1
	v_or_b32_e32 v20, 0x400000, v4
	v_dual_add_f32 v1, v1, v6 :: v_dual_add_f32 v2, v2, v7
	s_wait_alu 0xfffd
	v_cndmask_b32_e32 v17, v29, v30, vcc_lo
	v_add3_u32 v19, v19, v4, 0x7fff
	s_wait_loadcnt 0x0
	v_lshlrev_b32_e32 v29, 16, v9
	v_cmp_u_f32_e32 vcc_lo, v4, v4
	v_and_b32_e32 v3, 0xffff0000, v3
	v_and_b32_e32 v9, 0xffff0000, v9
	v_add_f32_e32 v1, v2, v1
	s_wait_alu 0xfffd
	v_dual_mul_f32 v7, v26, v29 :: v_dual_cndmask_b32 v4, v19, v20
	v_lshlrev_b32_e32 v20, 16, v11
	v_and_b32_e32 v6, 0xffff0000, v15
	v_add_f32_e32 v8, v8, v18
	s_delay_alu instid0(VALU_DEP_4)
	v_bfe_u32 v2, v7, 16, 1
	v_or_b32_e32 v15, 0x400000, v7
	v_cmp_u_f32_e32 vcc_lo, v7, v7
	v_dual_add_f32 v3, v3, v6 :: v_dual_mul_f32 v6, v21, v9
	v_lshlrev_b32_e32 v9, 16, v10
	v_add3_u32 v2, v2, v7, 0x7fff
	v_and_b32_e32 v10, 0xffff0000, v10
	v_mul_f32_e32 v20, v28, v20
	v_bfe_u32 v19, v6, 16, 1
	s_wait_alu 0xfffd
	v_dual_mul_f32 v9, v27, v9 :: v_dual_cndmask_b32 v2, v2, v15
	v_or_b32_e32 v15, 0x400000, v6
	v_mul_f32_e32 v10, v22, v10
	v_add3_u32 v7, v19, v6, 0x7fff
	s_delay_alu instid0(VALU_DEP_4)
	v_bfe_u32 v19, v9, 16, 1
	v_cmp_u_f32_e32 vcc_lo, v6, v6
	v_and_b32_e32 v2, 0xffff0000, v2
	v_lshlrev_b32_e32 v21, 16, v12
	v_and_b32_e32 v12, 0xffff0000, v12
	v_and_b32_e32 v4, 0xffff0000, v4
	s_wait_alu 0xfffd
	v_cndmask_b32_e32 v6, v7, v15, vcc_lo
	v_add3_u32 v7, v19, v9, 0x7fff
	v_or_b32_e32 v15, 0x400000, v9
	v_bfe_u32 v19, v10, 16, 1
	v_cmp_u_f32_e32 vcc_lo, v9, v9
	v_and_b32_e32 v6, 0xffff0000, v6
	v_mul_f32_e32 v12, v24, v12
	v_add_f32_e32 v5, v8, v5
	v_add3_u32 v9, v19, v10, 0x7fff
	s_wait_alu 0xfffd
	v_cndmask_b32_e32 v7, v7, v15, vcc_lo
	v_or_b32_e32 v15, 0x400000, v10
	v_cmp_u_f32_e32 vcc_lo, v10, v10
	v_add_f32_e32 v2, v2, v6
	v_bfe_u32 v19, v20, 16, 1
	v_and_b32_e32 v7, 0xffff0000, v7
	v_bfe_u32 v24, v12, 16, 1
	s_wait_alu 0xfffd
	v_cndmask_b32_e32 v9, v9, v15, vcc_lo
	v_cmp_u_f32_e32 vcc_lo, v20, v20
	v_add3_u32 v15, v19, v20, 0x7fff
	v_mul_f32_e32 v19, v25, v21
	v_or_b32_e32 v21, 0x400000, v20
	v_and_b32_e32 v9, 0xffff0000, v9
	v_add3_u32 v20, v24, v12, 0x7fff
	v_add_f32_e32 v51, v51, v5
	s_wait_alu 0xfffd
	v_cndmask_b32_e32 v15, v15, v21, vcc_lo
	v_add_f32_e32 v6, v7, v9
	v_or_b32_e32 v21, 0x400000, v12
	s_delay_alu instid0(VALU_DEP_2) | instskip(SKIP_1) | instid1(VALU_DEP_1)
	v_dual_add_f32 v2, v6, v2 :: v_dual_and_b32 v9, 0xffff0000, v15
	v_and_b32_e32 v11, 0xffff0000, v11
	v_mul_f32_e32 v11, v23, v11
	v_bfe_u32 v23, v19, 16, 1
	s_delay_alu instid0(VALU_DEP_2) | instskip(SKIP_2) | instid1(VALU_DEP_3)
	v_bfe_u32 v10, v11, 16, 1
	v_or_b32_e32 v22, 0x400000, v11
	v_cmp_u_f32_e32 vcc_lo, v11, v11
	v_add3_u32 v10, v10, v11, 0x7fff
	v_add3_u32 v11, v23, v19, 0x7fff
	s_wait_alu 0xfffd
	s_delay_alu instid0(VALU_DEP_2) | instskip(SKIP_3) | instid1(VALU_DEP_3)
	v_cndmask_b32_e32 v10, v10, v22, vcc_lo
	v_cmp_u_f32_e32 vcc_lo, v12, v12
	v_or_b32_e32 v22, 0x400000, v19
	s_wait_alu 0xfffd
	v_dual_cndmask_b32 v12, v20, v21 :: v_dual_and_b32 v7, 0xffff0000, v10
	v_cmp_u_f32_e32 vcc_lo, v19, v19
	s_delay_alu instid0(VALU_DEP_2) | instskip(SKIP_2) | instid1(VALU_DEP_2)
	v_dual_add_f32 v6, v9, v7 :: v_dual_and_b32 v7, 0xffff0000, v12
	s_wait_alu 0xfffd
	v_dual_cndmask_b32 v10, v11, v22 :: v_dual_and_b32 v11, 0xffff0000, v17
	v_dual_add_f32 v1, v3, v1 :: v_dual_add_f32 v2, v6, v2
	v_add_f32_e32 v6, v16, v14
	s_delay_alu instid0(VALU_DEP_3) | instskip(NEXT) | instid1(VALU_DEP_4)
	v_and_b32_e32 v9, 0xffff0000, v10
	v_add_f32_e32 v3, v4, v11
	v_cmp_le_i32_e32 vcc_lo, s13, v42
	s_delay_alu instid0(VALU_DEP_4) | instskip(NEXT) | instid1(VALU_DEP_3)
	v_add_f32_e32 v49, v49, v6
	v_dual_add_f32 v4, v9, v7 :: v_dual_add_f32 v1, v3, v1
	s_or_b32 s4, vcc_lo, s4
	s_delay_alu instid0(VALU_DEP_1) | instskip(NEXT) | instid1(VALU_DEP_1)
	v_add_f32_e32 v2, v4, v2
	v_dual_add_f32 v50, v50, v1 :: v_dual_add_f32 v45, v45, v2
	s_wait_alu 0xfffe
	s_and_not1_b32 exec_lo, exec_lo, s4
	s_cbranch_execz .LBB166_47
.LBB166_33:                             ; =>This Inner Loop Header: Depth=1
	global_load_b32 v1, v[37:38], off
	v_add_nc_u32_e32 v61, 1, v54
	v_or_b32_e32 v60, 3, v54
	v_or_b32_e32 v62, 2, v54
	;; [unrolled: 1-line block ×6, first 2 shown]
	s_wait_loadcnt 0x0
	s_wait_alu 0xfffe
	v_mad_co_i64_i32 v[1:2], null, v1, s2, 0
	s_delay_alu instid0(VALU_DEP_1) | instskip(NEXT) | instid1(VALU_DEP_1)
	v_lshlrev_b64_e32 v[1:2], 1, v[1:2]
	v_add_co_u32 v9, vcc_lo, v52, v1
	s_wait_alu 0xfffd
	s_delay_alu instid0(VALU_DEP_2)
	v_add_co_ci_u32_e64 v10, null, v53, v2, vcc_lo
	v_cmp_eq_u32_e32 vcc_lo, s3, v42
	global_load_b128 v[1:4], v[9:10], off
	ds_load_2addr_b64 v[25:28], v55 offset1:1
	ds_load_2addr_b64 v[21:24], v55 offset0:2 offset1:3
	s_and_saveexec_b32 s6, vcc_lo
	s_cbranch_execnz .LBB166_40
; %bb.34:                               ;   in Loop: Header=BB166_33 Depth=1
	s_wait_alu 0xfffe
	s_or_b32 exec_lo, exec_lo, s6
	global_load_b128 v[5:8], v[9:10], off offset:512
	s_and_saveexec_b32 s6, vcc_lo
	s_cbranch_execnz .LBB166_41
.LBB166_35:                             ;   in Loop: Header=BB166_33 Depth=1
	s_wait_alu 0xfffe
	s_or_b32 exec_lo, exec_lo, s6
	global_load_b128 v[13:16], v[9:10], off offset:1024
	s_and_saveexec_b32 s6, vcc_lo
	s_cbranch_execnz .LBB166_42
.LBB166_36:                             ;   in Loop: Header=BB166_33 Depth=1
	s_wait_alu 0xfffe
	s_or_b32 exec_lo, exec_lo, s6
	global_load_b128 v[17:20], v[9:10], off offset:1536
	s_and_saveexec_b32 s6, vcc_lo
	s_cbranch_execnz .LBB166_43
.LBB166_37:                             ;   in Loop: Header=BB166_33 Depth=1
	s_wait_alu 0xfffe
	s_or_b32 exec_lo, exec_lo, s6
	global_load_b128 v[29:32], v[9:10], off offset:2048
	s_and_saveexec_b32 s6, vcc_lo
	s_cbranch_execnz .LBB166_44
.LBB166_38:                             ;   in Loop: Header=BB166_33 Depth=1
	s_wait_alu 0xfffe
	s_or_b32 exec_lo, exec_lo, s6
	global_load_b128 v[33:36], v[9:10], off offset:2560
	s_and_saveexec_b32 s6, vcc_lo
	s_cbranch_execnz .LBB166_45
.LBB166_39:                             ;   in Loop: Header=BB166_33 Depth=1
	s_wait_alu 0xfffe
	s_or_b32 exec_lo, exec_lo, s6
	global_load_b128 v[9:12], v[9:10], off offset:3072
	s_and_saveexec_b32 s0, vcc_lo
	s_cbranch_execz .LBB166_32
	s_branch .LBB166_46
.LBB166_40:                             ;   in Loop: Header=BB166_33 Depth=1
	v_cmp_gt_i32_e64 s0, s25, v54
	s_wait_loadcnt 0x0
	v_lshrrev_b32_e32 v5, 16, v1
	v_lshrrev_b32_e32 v6, 16, v2
	;; [unrolled: 1-line block ×4, first 2 shown]
	s_wait_alu 0xf1ff
	v_cndmask_b32_e64 v1, 0, v1, s0
	v_cmp_gt_i32_e64 s0, s5, v61
	s_wait_alu 0xf1ff
	s_delay_alu instid0(VALU_DEP_1) | instskip(SKIP_1) | instid1(VALU_DEP_2)
	v_cndmask_b32_e64 v5, 0, v5, s0
	v_cmp_gt_i32_e64 s0, s25, v62
	v_perm_b32 v1, v5, v1, 0x5040100
	s_wait_alu 0xf1ff
	s_delay_alu instid0(VALU_DEP_2) | instskip(SKIP_2) | instid1(VALU_DEP_1)
	v_cndmask_b32_e64 v2, 0, v2, s0
	v_cmp_gt_i32_e64 s0, s5, v60
	s_wait_alu 0xf1ff
	v_cndmask_b32_e64 v6, 0, v6, s0
	v_cmp_gt_i32_e64 s0, s25, v59
	s_delay_alu instid0(VALU_DEP_2) | instskip(SKIP_1) | instid1(VALU_DEP_2)
	v_perm_b32 v2, v6, v2, 0x5040100
	s_wait_alu 0xf1ff
	v_cndmask_b32_e64 v3, 0, v3, s0
	v_cmp_gt_i32_e64 s0, s5, v57
	s_wait_alu 0xf1ff
	s_delay_alu instid0(VALU_DEP_1) | instskip(SKIP_1) | instid1(VALU_DEP_2)
	v_cndmask_b32_e64 v7, 0, v7, s0
	v_cmp_gt_i32_e64 s0, s25, v58
	v_perm_b32 v3, v7, v3, 0x5040100
	s_wait_alu 0xf1ff
	s_delay_alu instid0(VALU_DEP_2) | instskip(SKIP_2) | instid1(VALU_DEP_1)
	v_cndmask_b32_e64 v4, 0, v4, s0
	v_cmp_gt_i32_e64 s0, s5, v56
	s_wait_alu 0xf1ff
	v_cndmask_b32_e64 v8, 0, v8, s0
	s_delay_alu instid0(VALU_DEP_1)
	v_perm_b32 v4, v8, v4, 0x5040100
	s_wait_alu 0xfffe
	s_or_b32 exec_lo, exec_lo, s6
	global_load_b128 v[5:8], v[9:10], off offset:512
	s_and_saveexec_b32 s6, vcc_lo
	s_cbranch_execz .LBB166_35
.LBB166_41:                             ;   in Loop: Header=BB166_33 Depth=1
	v_cmp_gt_i32_e64 s0, s25, v54
	s_wait_loadcnt 0x0
	v_lshrrev_b32_e32 v11, 16, v5
	v_lshrrev_b32_e32 v12, 16, v6
	;; [unrolled: 1-line block ×4, first 2 shown]
	s_wait_alu 0xf1ff
	v_cndmask_b32_e64 v5, 0, v5, s0
	v_cmp_gt_i32_e64 s0, s5, v61
	s_wait_alu 0xf1ff
	s_delay_alu instid0(VALU_DEP_1) | instskip(SKIP_1) | instid1(VALU_DEP_2)
	v_cndmask_b32_e64 v11, 0, v11, s0
	v_cmp_gt_i32_e64 s0, s25, v62
	v_perm_b32 v5, v11, v5, 0x5040100
	s_wait_alu 0xf1ff
	s_delay_alu instid0(VALU_DEP_2) | instskip(SKIP_2) | instid1(VALU_DEP_1)
	v_cndmask_b32_e64 v6, 0, v6, s0
	v_cmp_gt_i32_e64 s0, s5, v60
	s_wait_alu 0xf1ff
	v_cndmask_b32_e64 v12, 0, v12, s0
	v_cmp_gt_i32_e64 s0, s25, v59
	s_delay_alu instid0(VALU_DEP_2) | instskip(SKIP_1) | instid1(VALU_DEP_2)
	v_perm_b32 v6, v12, v6, 0x5040100
	s_wait_alu 0xf1ff
	v_cndmask_b32_e64 v7, 0, v7, s0
	v_cmp_gt_i32_e64 s0, s5, v57
	s_wait_alu 0xf1ff
	s_delay_alu instid0(VALU_DEP_1) | instskip(SKIP_1) | instid1(VALU_DEP_2)
	v_cndmask_b32_e64 v13, 0, v13, s0
	v_cmp_gt_i32_e64 s0, s25, v58
	v_perm_b32 v7, v13, v7, 0x5040100
	s_wait_alu 0xf1ff
	s_delay_alu instid0(VALU_DEP_2) | instskip(SKIP_2) | instid1(VALU_DEP_1)
	v_cndmask_b32_e64 v8, 0, v8, s0
	v_cmp_gt_i32_e64 s0, s5, v56
	s_wait_alu 0xf1ff
	v_cndmask_b32_e64 v14, 0, v14, s0
	s_delay_alu instid0(VALU_DEP_1)
	v_perm_b32 v8, v14, v8, 0x5040100
	s_wait_alu 0xfffe
	s_or_b32 exec_lo, exec_lo, s6
	global_load_b128 v[13:16], v[9:10], off offset:1024
	s_and_saveexec_b32 s6, vcc_lo
	s_cbranch_execz .LBB166_36
.LBB166_42:                             ;   in Loop: Header=BB166_33 Depth=1
	v_cmp_gt_i32_e64 s0, s25, v54
	s_wait_loadcnt 0x0
	v_lshrrev_b32_e32 v11, 16, v13
	v_lshrrev_b32_e32 v18, 16, v16
	s_wait_alu 0xf1ff
	v_cndmask_b32_e64 v12, 0, v13, s0
	v_cmp_gt_i32_e64 s0, s5, v61
	v_lshrrev_b32_e32 v13, 16, v14
	s_wait_alu 0xf1ff
	s_delay_alu instid0(VALU_DEP_2) | instskip(SKIP_2) | instid1(VALU_DEP_1)
	v_cndmask_b32_e64 v11, 0, v11, s0
	v_cmp_gt_i32_e64 s0, s25, v62
	s_wait_alu 0xf1ff
	v_cndmask_b32_e64 v14, 0, v14, s0
	v_cmp_gt_i32_e64 s0, s5, v60
	s_wait_alu 0xf1ff
	s_delay_alu instid0(VALU_DEP_1) | instskip(SKIP_2) | instid1(VALU_DEP_3)
	v_cndmask_b32_e64 v17, 0, v13, s0
	v_cmp_gt_i32_e64 s0, s25, v59
	v_lshrrev_b32_e32 v13, 16, v15
	v_perm_b32 v14, v17, v14, 0x5040100
	s_wait_alu 0xf1ff
	s_delay_alu instid0(VALU_DEP_3) | instskip(SKIP_2) | instid1(VALU_DEP_1)
	v_cndmask_b32_e64 v15, 0, v15, s0
	v_cmp_gt_i32_e64 s0, s5, v57
	s_wait_alu 0xf1ff
	v_cndmask_b32_e64 v19, 0, v13, s0
	v_cmp_gt_i32_e64 s0, s25, v58
	v_perm_b32 v13, v11, v12, 0x5040100
	s_delay_alu instid0(VALU_DEP_3) | instskip(SKIP_1) | instid1(VALU_DEP_3)
	v_perm_b32 v15, v19, v15, 0x5040100
	s_wait_alu 0xf1ff
	v_cndmask_b32_e64 v16, 0, v16, s0
	v_cmp_gt_i32_e64 s0, s5, v56
	s_wait_alu 0xf1ff
	s_delay_alu instid0(VALU_DEP_1) | instskip(NEXT) | instid1(VALU_DEP_1)
	v_cndmask_b32_e64 v18, 0, v18, s0
	v_perm_b32 v16, v18, v16, 0x5040100
	s_wait_alu 0xfffe
	s_or_b32 exec_lo, exec_lo, s6
	global_load_b128 v[17:20], v[9:10], off offset:1536
	s_and_saveexec_b32 s6, vcc_lo
	s_cbranch_execz .LBB166_37
.LBB166_43:                             ;   in Loop: Header=BB166_33 Depth=1
	v_cmp_gt_i32_e64 s0, s25, v54
	s_wait_loadcnt 0x0
	v_lshrrev_b32_e32 v11, 16, v17
	v_lshrrev_b32_e32 v30, 16, v20
	s_wait_alu 0xf1ff
	v_cndmask_b32_e64 v12, 0, v17, s0
	v_cmp_gt_i32_e64 s0, s5, v61
	v_lshrrev_b32_e32 v17, 16, v18
	s_wait_alu 0xf1ff
	s_delay_alu instid0(VALU_DEP_2) | instskip(SKIP_2) | instid1(VALU_DEP_1)
	v_cndmask_b32_e64 v11, 0, v11, s0
	v_cmp_gt_i32_e64 s0, s25, v62
	s_wait_alu 0xf1ff
	v_cndmask_b32_e64 v18, 0, v18, s0
	v_cmp_gt_i32_e64 s0, s5, v60
	s_wait_alu 0xf1ff
	s_delay_alu instid0(VALU_DEP_1) | instskip(SKIP_2) | instid1(VALU_DEP_3)
	v_cndmask_b32_e64 v29, 0, v17, s0
	v_cmp_gt_i32_e64 s0, s25, v59
	v_lshrrev_b32_e32 v17, 16, v19
	v_perm_b32 v18, v29, v18, 0x5040100
	s_wait_alu 0xf1ff
	s_delay_alu instid0(VALU_DEP_3) | instskip(SKIP_2) | instid1(VALU_DEP_1)
	v_cndmask_b32_e64 v19, 0, v19, s0
	v_cmp_gt_i32_e64 s0, s5, v57
	s_wait_alu 0xf1ff
	v_cndmask_b32_e64 v31, 0, v17, s0
	v_cmp_gt_i32_e64 s0, s25, v58
	v_perm_b32 v17, v11, v12, 0x5040100
	s_delay_alu instid0(VALU_DEP_3) | instskip(SKIP_1) | instid1(VALU_DEP_3)
	v_perm_b32 v19, v31, v19, 0x5040100
	s_wait_alu 0xf1ff
	v_cndmask_b32_e64 v20, 0, v20, s0
	v_cmp_gt_i32_e64 s0, s5, v56
	s_wait_alu 0xf1ff
	s_delay_alu instid0(VALU_DEP_1) | instskip(NEXT) | instid1(VALU_DEP_1)
	v_cndmask_b32_e64 v30, 0, v30, s0
	v_perm_b32 v20, v30, v20, 0x5040100
	s_wait_alu 0xfffe
	s_or_b32 exec_lo, exec_lo, s6
	global_load_b128 v[29:32], v[9:10], off offset:2048
	s_and_saveexec_b32 s6, vcc_lo
	s_cbranch_execz .LBB166_38
.LBB166_44:                             ;   in Loop: Header=BB166_33 Depth=1
	v_cmp_gt_i32_e64 s0, s25, v54
	s_wait_loadcnt 0x0
	v_lshrrev_b32_e32 v11, 16, v29
	v_lshrrev_b32_e32 v34, 16, v32
	s_wait_alu 0xf1ff
	v_cndmask_b32_e64 v12, 0, v29, s0
	v_cmp_gt_i32_e64 s0, s5, v61
	v_lshrrev_b32_e32 v29, 16, v30
	s_wait_alu 0xf1ff
	s_delay_alu instid0(VALU_DEP_2) | instskip(SKIP_2) | instid1(VALU_DEP_1)
	v_cndmask_b32_e64 v11, 0, v11, s0
	v_cmp_gt_i32_e64 s0, s25, v62
	s_wait_alu 0xf1ff
	v_cndmask_b32_e64 v30, 0, v30, s0
	v_cmp_gt_i32_e64 s0, s5, v60
	s_wait_alu 0xf1ff
	s_delay_alu instid0(VALU_DEP_1) | instskip(SKIP_2) | instid1(VALU_DEP_3)
	v_cndmask_b32_e64 v33, 0, v29, s0
	v_cmp_gt_i32_e64 s0, s25, v59
	v_lshrrev_b32_e32 v29, 16, v31
	v_perm_b32 v30, v33, v30, 0x5040100
	s_wait_alu 0xf1ff
	s_delay_alu instid0(VALU_DEP_3) | instskip(SKIP_2) | instid1(VALU_DEP_1)
	v_cndmask_b32_e64 v31, 0, v31, s0
	v_cmp_gt_i32_e64 s0, s5, v57
	s_wait_alu 0xf1ff
	v_cndmask_b32_e64 v35, 0, v29, s0
	v_cmp_gt_i32_e64 s0, s25, v58
	v_perm_b32 v29, v11, v12, 0x5040100
	s_delay_alu instid0(VALU_DEP_3) | instskip(SKIP_1) | instid1(VALU_DEP_3)
	v_perm_b32 v31, v35, v31, 0x5040100
	s_wait_alu 0xf1ff
	v_cndmask_b32_e64 v32, 0, v32, s0
	v_cmp_gt_i32_e64 s0, s5, v56
	s_wait_alu 0xf1ff
	s_delay_alu instid0(VALU_DEP_1) | instskip(NEXT) | instid1(VALU_DEP_1)
	v_cndmask_b32_e64 v34, 0, v34, s0
	v_perm_b32 v32, v34, v32, 0x5040100
	s_wait_alu 0xfffe
	s_or_b32 exec_lo, exec_lo, s6
	global_load_b128 v[33:36], v[9:10], off offset:2560
	s_and_saveexec_b32 s6, vcc_lo
	s_cbranch_execz .LBB166_39
.LBB166_45:                             ;   in Loop: Header=BB166_33 Depth=1
	v_cmp_gt_i32_e64 s0, s25, v54
	s_wait_loadcnt 0x0
	v_lshrrev_b32_e32 v11, 16, v33
	v_lshrrev_b32_e32 v64, 16, v36
	s_wait_alu 0xf1ff
	v_cndmask_b32_e64 v12, 0, v33, s0
	v_cmp_gt_i32_e64 s0, s5, v61
	v_lshrrev_b32_e32 v33, 16, v34
	s_wait_alu 0xf1ff
	s_delay_alu instid0(VALU_DEP_2) | instskip(SKIP_2) | instid1(VALU_DEP_1)
	v_cndmask_b32_e64 v11, 0, v11, s0
	v_cmp_gt_i32_e64 s0, s25, v62
	s_wait_alu 0xf1ff
	v_cndmask_b32_e64 v34, 0, v34, s0
	v_cmp_gt_i32_e64 s0, s5, v60
	s_wait_alu 0xf1ff
	s_delay_alu instid0(VALU_DEP_1) | instskip(SKIP_2) | instid1(VALU_DEP_3)
	v_cndmask_b32_e64 v63, 0, v33, s0
	v_cmp_gt_i32_e64 s0, s25, v59
	v_lshrrev_b32_e32 v33, 16, v35
	v_perm_b32 v34, v63, v34, 0x5040100
	s_wait_alu 0xf1ff
	s_delay_alu instid0(VALU_DEP_3) | instskip(SKIP_2) | instid1(VALU_DEP_1)
	v_cndmask_b32_e64 v35, 0, v35, s0
	v_cmp_gt_i32_e64 s0, s5, v57
	s_wait_alu 0xf1ff
	v_cndmask_b32_e64 v65, 0, v33, s0
	v_cmp_gt_i32_e64 s0, s25, v58
	v_perm_b32 v33, v11, v12, 0x5040100
	s_delay_alu instid0(VALU_DEP_3) | instskip(SKIP_1) | instid1(VALU_DEP_3)
	v_perm_b32 v35, v65, v35, 0x5040100
	s_wait_alu 0xf1ff
	v_cndmask_b32_e64 v36, 0, v36, s0
	v_cmp_gt_i32_e64 s0, s5, v56
	s_wait_alu 0xf1ff
	s_delay_alu instid0(VALU_DEP_1) | instskip(NEXT) | instid1(VALU_DEP_1)
	v_cndmask_b32_e64 v64, 0, v64, s0
	v_perm_b32 v36, v64, v36, 0x5040100
	s_wait_alu 0xfffe
	s_or_b32 exec_lo, exec_lo, s6
	global_load_b128 v[9:12], v[9:10], off offset:3072
	s_and_saveexec_b32 s0, vcc_lo
	s_cbranch_execz .LBB166_32
.LBB166_46:                             ;   in Loop: Header=BB166_33 Depth=1
	v_cmp_gt_i32_e32 vcc_lo, s25, v54
	s_wait_loadcnt 0x0
	v_lshrrev_b32_e32 v63, 16, v9
	v_lshrrev_b32_e32 v64, 16, v10
	s_wait_alu 0xfffd
	v_cndmask_b32_e32 v9, 0, v9, vcc_lo
	v_cmp_gt_i32_e32 vcc_lo, s5, v61
	s_wait_alu 0xfffd
	v_cndmask_b32_e32 v61, 0, v63, vcc_lo
	v_cmp_gt_i32_e32 vcc_lo, s25, v62
	v_lshrrev_b32_e32 v62, 16, v11
	s_wait_alu 0xfffd
	v_cndmask_b32_e32 v10, 0, v10, vcc_lo
	v_cmp_gt_i32_e32 vcc_lo, s5, v60
	s_wait_alu 0xfffd
	v_cndmask_b32_e32 v60, 0, v64, vcc_lo
	v_cmp_gt_i32_e32 vcc_lo, s25, v59
	v_lshrrev_b32_e32 v59, 16, v12
	v_perm_b32 v9, v61, v9, 0x5040100
	s_delay_alu instid0(VALU_DEP_4)
	v_perm_b32 v10, v60, v10, 0x5040100
	s_wait_alu 0xfffd
	v_cndmask_b32_e32 v11, 0, v11, vcc_lo
	v_cmp_gt_i32_e32 vcc_lo, s5, v57
	s_wait_alu 0xfffd
	v_cndmask_b32_e32 v57, 0, v62, vcc_lo
	v_cmp_gt_i32_e32 vcc_lo, s25, v58
	;; [unrolled: 3-line block ×3, first 2 shown]
	s_wait_alu 0xfffd
	v_cndmask_b32_e32 v56, 0, v59, vcc_lo
	v_perm_b32 v11, v57, v11, 0x5040100
	s_delay_alu instid0(VALU_DEP_2)
	v_perm_b32 v12, v56, v12, 0x5040100
	s_branch .LBB166_32
.LBB166_47:
	s_or_b32 exec_lo, exec_lo, s4
.LBB166_48:
	s_wait_alu 0xfffe
	s_or_b32 exec_lo, exec_lo, s1
	ds_bpermute_b32 v1, v44, v50
	ds_bpermute_b32 v2, v44, v51
	;; [unrolled: 1-line block ×7, first 2 shown]
	v_lshrrev_b32_e32 v8, 1, v43
	v_mul_u32_u24_e32 v10, 0x1c0, v41
	v_and_b32_e32 v14, 0x3c1, v0
	s_mov_b32 s0, exec_lo
	s_wait_storecnt 0x0
	s_wait_loadcnt_dscnt 0x0
	v_lshl_add_u32 v9, v8, 2, 0x100
	s_barrier_signal -1
	s_barrier_wait -1
	global_inv scope:SCOPE_SE
	v_dual_add_f32 v7, v50, v1 :: v_dual_add_f32 v6, v51, v2
	v_dual_add_f32 v5, v49, v3 :: v_dual_add_f32 v4, v48, v4
	;; [unrolled: 1-line block ×3, first 2 shown]
	v_add_f32_e32 v1, v45, v13
	v_cmpx_eq_u32_e32 64, v14
	s_cbranch_execz .LBB166_50
; %bb.49:
	v_add_nc_u32_e32 v11, v9, v10
	s_delay_alu instid0(VALU_DEP_1)
	v_add_nc_u32_e32 v12, 0xfffffc80, v11
	v_add_nc_u32_e32 v13, 0xfffffcc0, v11
	;; [unrolled: 1-line block ×7, first 2 shown]
	ds_store_b32 v12, v7
	ds_store_b32 v13, v6
	;; [unrolled: 1-line block ×7, first 2 shown]
.LBB166_50:
	s_wait_alu 0xfffe
	s_or_b32 exec_lo, exec_lo, s0
	v_lshlrev_b32_e32 v8, 2, v8
	s_mov_b32 s1, exec_lo
	v_cmp_eq_u32_e32 vcc_lo, 0, v40
	s_wait_loadcnt_dscnt 0x0
	s_barrier_signal -1
	v_add3_u32 v8, 0x100, v10, v8
	s_barrier_wait -1
	global_inv scope:SCOPE_SE
	v_cmpx_gt_u32_e32 64, v0
	s_cbranch_execz .LBB166_60
; %bb.51:
	s_and_saveexec_b32 s0, vcc_lo
	s_cbranch_execnz .LBB166_75
; %bb.52:
	s_wait_alu 0xfffe
	s_or_b32 exec_lo, exec_lo, s0
	s_and_saveexec_b32 s0, vcc_lo
	s_cbranch_execnz .LBB166_76
.LBB166_53:
	s_wait_alu 0xfffe
	s_or_b32 exec_lo, exec_lo, s0
	s_and_saveexec_b32 s0, vcc_lo
	s_cbranch_execnz .LBB166_77
.LBB166_54:
	s_wait_alu 0xfffe
	s_or_b32 exec_lo, exec_lo, s0
	s_and_saveexec_b32 s0, vcc_lo
	s_cbranch_execnz .LBB166_78
.LBB166_55:
	s_wait_alu 0xfffe
	s_or_b32 exec_lo, exec_lo, s0
	s_and_saveexec_b32 s0, vcc_lo
	s_cbranch_execnz .LBB166_79
.LBB166_56:
	s_wait_alu 0xfffe
	s_or_b32 exec_lo, exec_lo, s0
	s_and_saveexec_b32 s0, vcc_lo
	s_cbranch_execnz .LBB166_80
.LBB166_57:
	s_wait_alu 0xfffe
	s_or_b32 exec_lo, exec_lo, s0
	s_and_saveexec_b32 s0, vcc_lo
	s_cbranch_execz .LBB166_59
.LBB166_58:
	ds_load_b32 v10, v8 offset:384
	s_wait_dscnt 0x0
	v_add_f32_e32 v1, v1, v10
.LBB166_59:
	s_wait_alu 0xfffe
	s_or_b32 exec_lo, exec_lo, s0
.LBB166_60:
	s_wait_alu 0xfffe
	s_or_b32 exec_lo, exec_lo, s1
	v_and_b32_e32 v10, 0x3e1, v0
	s_mov_b32 s1, exec_lo
	s_wait_loadcnt 0x0
	s_barrier_signal -1
	s_barrier_wait -1
	global_inv scope:SCOPE_SE
	v_cmpx_eq_u32_e32 32, v10
	s_cbranch_execz .LBB166_62
; %bb.61:
	ds_store_2addr_b32 v9, v7, v6 offset1:16
	ds_store_2addr_b32 v9, v5, v4 offset0:32 offset1:48
	ds_store_2addr_b32 v9, v3, v2 offset0:64 offset1:80
	ds_store_b32 v9, v1 offset:384
.LBB166_62:
	s_wait_alu 0xfffe
	s_or_b32 exec_lo, exec_lo, s1
	s_delay_alu instid0(SALU_CYCLE_1)
	s_mov_b32 s1, exec_lo
	s_wait_loadcnt_dscnt 0x0
	s_barrier_signal -1
	s_barrier_wait -1
	global_inv scope:SCOPE_SE
	v_cmpx_gt_u32_e32 32, v0
	s_cbranch_execz .LBB166_72
; %bb.63:
	s_and_saveexec_b32 s0, vcc_lo
	s_cbranch_execnz .LBB166_81
; %bb.64:
	s_wait_alu 0xfffe
	s_or_b32 exec_lo, exec_lo, s0
	s_and_saveexec_b32 s0, vcc_lo
	s_cbranch_execnz .LBB166_82
.LBB166_65:
	s_wait_alu 0xfffe
	s_or_b32 exec_lo, exec_lo, s0
	s_and_saveexec_b32 s0, vcc_lo
	s_cbranch_execnz .LBB166_83
.LBB166_66:
	s_wait_alu 0xfffe
	s_or_b32 exec_lo, exec_lo, s0
	s_and_saveexec_b32 s0, vcc_lo
	s_cbranch_execnz .LBB166_84
.LBB166_67:
	s_wait_alu 0xfffe
	s_or_b32 exec_lo, exec_lo, s0
	s_and_saveexec_b32 s0, vcc_lo
	s_cbranch_execnz .LBB166_85
.LBB166_68:
	s_wait_alu 0xfffe
	s_or_b32 exec_lo, exec_lo, s0
	s_and_saveexec_b32 s0, vcc_lo
	s_cbranch_execnz .LBB166_86
.LBB166_69:
	s_wait_alu 0xfffe
	s_or_b32 exec_lo, exec_lo, s0
	s_and_saveexec_b32 s0, vcc_lo
	s_cbranch_execz .LBB166_71
.LBB166_70:
	ds_load_b32 v0, v8 offset:384
	s_wait_dscnt 0x0
	v_add_f32_e32 v1, v1, v0
.LBB166_71:
	s_wait_alu 0xfffe
	s_or_b32 exec_lo, exec_lo, s0
.LBB166_72:
	s_wait_alu 0xfffe
	s_or_b32 exec_lo, exec_lo, s1
	s_mov_b32 s1, 0
	s_wait_loadcnt 0x0
	s_barrier_signal -1
	s_barrier_wait -1
	global_inv scope:SCOPE_SE
	s_mov_b32 s0, exec_lo
	v_cmpx_eq_u32_e32 0, v10
	s_cbranch_execz .LBB166_74
; %bb.73:
	v_bfe_u32 v0, v7, 16, 1
	v_or_b32_e32 v8, 0x400000, v7
	v_bfe_u32 v9, v6, 16, 1
	v_cmp_u_f32_e32 vcc_lo, v7, v7
	v_bfe_u32 v11, v5, 16, 1
	v_add3_u32 v0, v0, v7, 0x7fff
	v_or_b32_e32 v13, 0x400000, v1
	v_add3_u32 v7, v9, v6, 0x7fff
	v_bfe_u32 v9, v4, 16, 1
	v_add3_u32 v11, v11, v5, 0x7fff
	s_wait_alu 0xfffd
	v_cndmask_b32_e32 v0, v0, v8, vcc_lo
	v_or_b32_e32 v8, 0x400000, v6
	v_cmp_u_f32_e32 vcc_lo, v6, v6
	v_or_b32_e32 v12, 0x400000, v5
	s_mul_i32 s2, s14, 0x70
	s_mul_i32 s4, s8, s12
	s_wait_alu 0xfffe
	s_ashr_i32 s3, s2, 31
	s_wait_alu 0xfffd
	v_cndmask_b32_e32 v6, v7, v8, vcc_lo
	v_cmp_u_f32_e32 vcc_lo, v5, v5
	v_lshlrev_b32_e32 v10, 1, v39
	v_add3_u32 v7, v9, v4, 0x7fff
	v_or_b32_e32 v8, 0x400000, v4
	v_bfe_u32 v9, v3, 16, 1
	s_wait_alu 0xfffd
	v_cndmask_b32_e32 v5, v11, v12, vcc_lo
	v_cmp_u_f32_e32 vcc_lo, v4, v4
	v_bfe_u32 v11, v2, 16, 1
	v_or_b32_e32 v12, 0x400000, v2
	s_ashr_i32 s5, s4, 31
	s_wait_alu 0xfffe
	s_lshl_b64 s[2:3], s[2:3], 1
	s_wait_alu 0xfffd
	v_cndmask_b32_e32 v4, v7, v8, vcc_lo
	v_add3_u32 v8, v9, v3, 0x7fff
	v_or_b32_e32 v9, 0x400000, v3
	v_cmp_u_f32_e32 vcc_lo, v3, v3
	v_bfe_u32 v7, v1, 16, 1
	v_add3_u32 v11, v11, v2, 0x7fff
	s_lshl_b64 s[4:5], s[4:5], 1
	s_wait_alu 0xfffe
	s_add_nc_u64 s[2:3], s[10:11], s[2:3]
	s_wait_alu 0xfffd
	v_cndmask_b32_e32 v3, v8, v9, vcc_lo
	v_cmp_u_f32_e32 vcc_lo, v2, v2
	v_add3_u32 v7, v7, v1, 0x7fff
	s_mul_i32 s0, s24, 0xe0
	s_wait_alu 0xfffe
	s_add_nc_u64 s[2:3], s[2:3], s[4:5]
	s_wait_alu 0xfffd
	v_cndmask_b32_e32 v2, v11, v12, vcc_lo
	v_cmp_u_f32_e32 vcc_lo, v1, v1
	s_wait_alu 0xfffe
	s_add_nc_u64 s[0:1], s[2:3], s[0:1]
	s_wait_alu 0xfffd
	v_cndmask_b32_e32 v1, v7, v13, vcc_lo
	s_clause 0x6
	global_store_d16_hi_b16 v10, v0, s[0:1]
	global_store_d16_hi_b16 v10, v6, s[0:1] offset:32
	global_store_d16_hi_b16 v10, v5, s[0:1] offset:64
	;; [unrolled: 1-line block ×6, first 2 shown]
.LBB166_74:
	s_nop 0
	s_sendmsg sendmsg(MSG_DEALLOC_VGPRS)
	s_endpgm
.LBB166_75:
	ds_load_b32 v10, v8
	s_wait_dscnt 0x0
	v_add_f32_e32 v7, v7, v10
	s_wait_alu 0xfffe
	s_or_b32 exec_lo, exec_lo, s0
	s_and_saveexec_b32 s0, vcc_lo
	s_cbranch_execz .LBB166_53
.LBB166_76:
	ds_load_b32 v10, v8 offset:64
	s_wait_dscnt 0x0
	v_add_f32_e32 v6, v6, v10
	s_wait_alu 0xfffe
	s_or_b32 exec_lo, exec_lo, s0
	s_and_saveexec_b32 s0, vcc_lo
	s_cbranch_execz .LBB166_54
.LBB166_77:
	ds_load_b32 v10, v8 offset:128
	s_wait_dscnt 0x0
	v_add_f32_e32 v5, v5, v10
	s_wait_alu 0xfffe
	s_or_b32 exec_lo, exec_lo, s0
	s_and_saveexec_b32 s0, vcc_lo
	s_cbranch_execz .LBB166_55
.LBB166_78:
	ds_load_b32 v10, v8 offset:192
	s_wait_dscnt 0x0
	v_add_f32_e32 v4, v4, v10
	s_wait_alu 0xfffe
	s_or_b32 exec_lo, exec_lo, s0
	s_and_saveexec_b32 s0, vcc_lo
	s_cbranch_execz .LBB166_56
.LBB166_79:
	ds_load_b32 v10, v8 offset:256
	s_wait_dscnt 0x0
	v_add_f32_e32 v3, v3, v10
	s_wait_alu 0xfffe
	s_or_b32 exec_lo, exec_lo, s0
	s_and_saveexec_b32 s0, vcc_lo
	s_cbranch_execz .LBB166_57
.LBB166_80:
	ds_load_b32 v10, v8 offset:320
	s_wait_dscnt 0x0
	v_add_f32_e32 v2, v2, v10
	s_wait_alu 0xfffe
	s_or_b32 exec_lo, exec_lo, s0
	s_and_saveexec_b32 s0, vcc_lo
	s_cbranch_execnz .LBB166_58
	s_branch .LBB166_59
.LBB166_81:
	ds_load_b32 v0, v8
	s_wait_dscnt 0x0
	v_add_f32_e32 v7, v7, v0
	s_wait_alu 0xfffe
	s_or_b32 exec_lo, exec_lo, s0
	s_and_saveexec_b32 s0, vcc_lo
	s_cbranch_execz .LBB166_65
.LBB166_82:
	ds_load_b32 v0, v8 offset:64
	s_wait_dscnt 0x0
	v_add_f32_e32 v6, v6, v0
	s_wait_alu 0xfffe
	s_or_b32 exec_lo, exec_lo, s0
	s_and_saveexec_b32 s0, vcc_lo
	s_cbranch_execz .LBB166_66
.LBB166_83:
	ds_load_b32 v0, v8 offset:128
	s_wait_dscnt 0x0
	v_add_f32_e32 v5, v5, v0
	s_wait_alu 0xfffe
	s_or_b32 exec_lo, exec_lo, s0
	s_and_saveexec_b32 s0, vcc_lo
	s_cbranch_execz .LBB166_67
.LBB166_84:
	ds_load_b32 v0, v8 offset:192
	s_wait_dscnt 0x0
	v_add_f32_e32 v4, v4, v0
	s_wait_alu 0xfffe
	s_or_b32 exec_lo, exec_lo, s0
	s_and_saveexec_b32 s0, vcc_lo
	s_cbranch_execz .LBB166_68
.LBB166_85:
	ds_load_b32 v0, v8 offset:256
	s_wait_dscnt 0x0
	v_add_f32_e32 v3, v3, v0
	s_wait_alu 0xfffe
	s_or_b32 exec_lo, exec_lo, s0
	s_and_saveexec_b32 s0, vcc_lo
	s_cbranch_execz .LBB166_69
.LBB166_86:
	ds_load_b32 v0, v8 offset:320
	s_wait_dscnt 0x0
	v_add_f32_e32 v2, v2, v0
	s_wait_alu 0xfffe
	s_or_b32 exec_lo, exec_lo, s0
	s_and_saveexec_b32 s0, vcc_lo
	s_cbranch_execnz .LBB166_70
	s_branch .LBB166_71
	.section	.rodata,"a",@progbits
	.p2align	6, 0x0
	.amdhsa_kernel _ZN4vllm25paged_attention_v2_kernelI14__hip_bfloat16S1_Li112ELi16ELi128ELNS_18Fp8KVCacheDataTypeE0ELb0ELi512EEEvPfS3_PT_PKS4_PKT0_SA_ifPKiSC_iPKfiiiSE_SE_iiiii
		.amdhsa_group_segment_fixed_size 256
		.amdhsa_private_segment_fixed_size 0
		.amdhsa_kernarg_size 400
		.amdhsa_user_sgpr_count 2
		.amdhsa_user_sgpr_dispatch_ptr 0
		.amdhsa_user_sgpr_queue_ptr 0
		.amdhsa_user_sgpr_kernarg_segment_ptr 1
		.amdhsa_user_sgpr_dispatch_id 0
		.amdhsa_user_sgpr_private_segment_size 0
		.amdhsa_wavefront_size32 1
		.amdhsa_uses_dynamic_stack 0
		.amdhsa_enable_private_segment 0
		.amdhsa_system_sgpr_workgroup_id_x 1
		.amdhsa_system_sgpr_workgroup_id_y 1
		.amdhsa_system_sgpr_workgroup_id_z 1
		.amdhsa_system_sgpr_workgroup_info 0
		.amdhsa_system_vgpr_workitem_id 0
		.amdhsa_next_free_vgpr 126
		.amdhsa_next_free_sgpr 32
		.amdhsa_reserve_vcc 1
		.amdhsa_float_round_mode_32 0
		.amdhsa_float_round_mode_16_64 0
		.amdhsa_float_denorm_mode_32 3
		.amdhsa_float_denorm_mode_16_64 3
		.amdhsa_fp16_overflow 0
		.amdhsa_workgroup_processor_mode 1
		.amdhsa_memory_ordered 1
		.amdhsa_forward_progress 1
		.amdhsa_inst_pref_size 93
		.amdhsa_round_robin_scheduling 0
		.amdhsa_exception_fp_ieee_invalid_op 0
		.amdhsa_exception_fp_denorm_src 0
		.amdhsa_exception_fp_ieee_div_zero 0
		.amdhsa_exception_fp_ieee_overflow 0
		.amdhsa_exception_fp_ieee_underflow 0
		.amdhsa_exception_fp_ieee_inexact 0
		.amdhsa_exception_int_div_zero 0
	.end_amdhsa_kernel
	.section	.text._ZN4vllm25paged_attention_v2_kernelI14__hip_bfloat16S1_Li112ELi16ELi128ELNS_18Fp8KVCacheDataTypeE0ELb0ELi512EEEvPfS3_PT_PKS4_PKT0_SA_ifPKiSC_iPKfiiiSE_SE_iiiii,"axG",@progbits,_ZN4vllm25paged_attention_v2_kernelI14__hip_bfloat16S1_Li112ELi16ELi128ELNS_18Fp8KVCacheDataTypeE0ELb0ELi512EEEvPfS3_PT_PKS4_PKT0_SA_ifPKiSC_iPKfiiiSE_SE_iiiii,comdat
.Lfunc_end166:
	.size	_ZN4vllm25paged_attention_v2_kernelI14__hip_bfloat16S1_Li112ELi16ELi128ELNS_18Fp8KVCacheDataTypeE0ELb0ELi512EEEvPfS3_PT_PKS4_PKT0_SA_ifPKiSC_iPKfiiiSE_SE_iiiii, .Lfunc_end166-_ZN4vllm25paged_attention_v2_kernelI14__hip_bfloat16S1_Li112ELi16ELi128ELNS_18Fp8KVCacheDataTypeE0ELb0ELi512EEEvPfS3_PT_PKS4_PKT0_SA_ifPKiSC_iPKfiiiSE_SE_iiiii
                                        ; -- End function
	.set _ZN4vllm25paged_attention_v2_kernelI14__hip_bfloat16S1_Li112ELi16ELi128ELNS_18Fp8KVCacheDataTypeE0ELb0ELi512EEEvPfS3_PT_PKS4_PKT0_SA_ifPKiSC_iPKfiiiSE_SE_iiiii.num_vgpr, 126
	.set _ZN4vllm25paged_attention_v2_kernelI14__hip_bfloat16S1_Li112ELi16ELi128ELNS_18Fp8KVCacheDataTypeE0ELb0ELi512EEEvPfS3_PT_PKS4_PKT0_SA_ifPKiSC_iPKfiiiSE_SE_iiiii.num_agpr, 0
	.set _ZN4vllm25paged_attention_v2_kernelI14__hip_bfloat16S1_Li112ELi16ELi128ELNS_18Fp8KVCacheDataTypeE0ELb0ELi512EEEvPfS3_PT_PKS4_PKT0_SA_ifPKiSC_iPKfiiiSE_SE_iiiii.numbered_sgpr, 32
	.set _ZN4vllm25paged_attention_v2_kernelI14__hip_bfloat16S1_Li112ELi16ELi128ELNS_18Fp8KVCacheDataTypeE0ELb0ELi512EEEvPfS3_PT_PKS4_PKT0_SA_ifPKiSC_iPKfiiiSE_SE_iiiii.num_named_barrier, 0
	.set _ZN4vllm25paged_attention_v2_kernelI14__hip_bfloat16S1_Li112ELi16ELi128ELNS_18Fp8KVCacheDataTypeE0ELb0ELi512EEEvPfS3_PT_PKS4_PKT0_SA_ifPKiSC_iPKfiiiSE_SE_iiiii.private_seg_size, 0
	.set _ZN4vllm25paged_attention_v2_kernelI14__hip_bfloat16S1_Li112ELi16ELi128ELNS_18Fp8KVCacheDataTypeE0ELb0ELi512EEEvPfS3_PT_PKS4_PKT0_SA_ifPKiSC_iPKfiiiSE_SE_iiiii.uses_vcc, 1
	.set _ZN4vllm25paged_attention_v2_kernelI14__hip_bfloat16S1_Li112ELi16ELi128ELNS_18Fp8KVCacheDataTypeE0ELb0ELi512EEEvPfS3_PT_PKS4_PKT0_SA_ifPKiSC_iPKfiiiSE_SE_iiiii.uses_flat_scratch, 0
	.set _ZN4vllm25paged_attention_v2_kernelI14__hip_bfloat16S1_Li112ELi16ELi128ELNS_18Fp8KVCacheDataTypeE0ELb0ELi512EEEvPfS3_PT_PKS4_PKT0_SA_ifPKiSC_iPKfiiiSE_SE_iiiii.has_dyn_sized_stack, 0
	.set _ZN4vllm25paged_attention_v2_kernelI14__hip_bfloat16S1_Li112ELi16ELi128ELNS_18Fp8KVCacheDataTypeE0ELb0ELi512EEEvPfS3_PT_PKS4_PKT0_SA_ifPKiSC_iPKfiiiSE_SE_iiiii.has_recursion, 0
	.set _ZN4vllm25paged_attention_v2_kernelI14__hip_bfloat16S1_Li112ELi16ELi128ELNS_18Fp8KVCacheDataTypeE0ELb0ELi512EEEvPfS3_PT_PKS4_PKT0_SA_ifPKiSC_iPKfiiiSE_SE_iiiii.has_indirect_call, 0
	.section	.AMDGPU.csdata,"",@progbits
; Kernel info:
; codeLenInByte = 11868
; TotalNumSgprs: 34
; NumVgprs: 126
; ScratchSize: 0
; MemoryBound: 0
; FloatMode: 240
; IeeeMode: 1
; LDSByteSize: 256 bytes/workgroup (compile time only)
; SGPRBlocks: 0
; VGPRBlocks: 15
; NumSGPRsForWavesPerEU: 34
; NumVGPRsForWavesPerEU: 126
; Occupancy: 10
; WaveLimiterHint : 1
; COMPUTE_PGM_RSRC2:SCRATCH_EN: 0
; COMPUTE_PGM_RSRC2:USER_SGPR: 2
; COMPUTE_PGM_RSRC2:TRAP_HANDLER: 0
; COMPUTE_PGM_RSRC2:TGID_X_EN: 1
; COMPUTE_PGM_RSRC2:TGID_Y_EN: 1
; COMPUTE_PGM_RSRC2:TGID_Z_EN: 1
; COMPUTE_PGM_RSRC2:TIDIG_COMP_CNT: 0
	.section	.text._ZN4vllm25paged_attention_v2_kernelI14__hip_bfloat16S1_Li120ELi16ELi128ELNS_18Fp8KVCacheDataTypeE0ELb0ELi512EEEvPfS3_PT_PKS4_PKT0_SA_ifPKiSC_iPKfiiiSE_SE_iiiii,"axG",@progbits,_ZN4vllm25paged_attention_v2_kernelI14__hip_bfloat16S1_Li120ELi16ELi128ELNS_18Fp8KVCacheDataTypeE0ELb0ELi512EEEvPfS3_PT_PKS4_PKT0_SA_ifPKiSC_iPKfiiiSE_SE_iiiii,comdat
	.protected	_ZN4vllm25paged_attention_v2_kernelI14__hip_bfloat16S1_Li120ELi16ELi128ELNS_18Fp8KVCacheDataTypeE0ELb0ELi512EEEvPfS3_PT_PKS4_PKT0_SA_ifPKiSC_iPKfiiiSE_SE_iiiii ; -- Begin function _ZN4vllm25paged_attention_v2_kernelI14__hip_bfloat16S1_Li120ELi16ELi128ELNS_18Fp8KVCacheDataTypeE0ELb0ELi512EEEvPfS3_PT_PKS4_PKT0_SA_ifPKiSC_iPKfiiiSE_SE_iiiii
	.globl	_ZN4vllm25paged_attention_v2_kernelI14__hip_bfloat16S1_Li120ELi16ELi128ELNS_18Fp8KVCacheDataTypeE0ELb0ELi512EEEvPfS3_PT_PKS4_PKT0_SA_ifPKiSC_iPKfiiiSE_SE_iiiii
	.p2align	8
	.type	_ZN4vllm25paged_attention_v2_kernelI14__hip_bfloat16S1_Li120ELi16ELi128ELNS_18Fp8KVCacheDataTypeE0ELb0ELi512EEEvPfS3_PT_PKS4_PKT0_SA_ifPKiSC_iPKfiiiSE_SE_iiiii,@function
_ZN4vllm25paged_attention_v2_kernelI14__hip_bfloat16S1_Li120ELi16ELi128ELNS_18Fp8KVCacheDataTypeE0ELb0ELi512EEEvPfS3_PT_PKS4_PKT0_SA_ifPKiSC_iPKfiiiSE_SE_iiiii: ; @_ZN4vllm25paged_attention_v2_kernelI14__hip_bfloat16S1_Li120ELi16ELi128ELNS_18Fp8KVCacheDataTypeE0ELb0ELi512EEEvPfS3_PT_PKS4_PKT0_SA_ifPKiSC_iPKfiiiSE_SE_iiiii
; %bb.0:
	s_load_b64 s[2:3], s[0:1], 0x40
	s_and_b32 s14, ttmp7, 0xffff
	s_lshr_b32 s24, ttmp7, 16
	s_lshl_b32 s4, s14, 2
	s_lshl_b32 s26, s24, 9
	s_wait_kmcnt 0x0
	s_load_b32 s25, s[2:3], s4 offset:0x0
	s_wait_kmcnt 0x0
	s_cmp_ge_i32 s26, s25
	s_cbranch_scc1 .LBB167_105
; %bb.1:
	s_clause 0x1
	s_load_b32 s15, s[0:1], 0x90
	s_load_b64 s[6:7], s[0:1], 0x30
	s_wait_kmcnt 0x0
	s_abs_i32 s5, s15
	s_abs_i32 s2, s6
	s_delay_alu instid0(SALU_CYCLE_1) | instskip(SKIP_1) | instid1(SALU_CYCLE_2)
	s_cvt_f32_u32 s3, s2
	s_sub_co_i32 s4, 0, s2
	v_rcp_iflag_f32_e32 v1, s3
	s_delay_alu instid0(TRANS32_DEP_1) | instskip(SKIP_2) | instid1(SALU_CYCLE_2)
	v_readfirstlane_b32 s3, v1
	s_mul_f32 s3, s3, 0x4f7ffffe
	s_wait_alu 0xfffe
	s_cvt_u32_f32 s3, s3
	s_wait_alu 0xfffe
	s_delay_alu instid0(SALU_CYCLE_2) | instskip(NEXT) | instid1(SALU_CYCLE_1)
	s_mul_i32 s4, s4, s3
	s_mul_hi_u32 s4, s3, s4
	s_delay_alu instid0(SALU_CYCLE_1)
	s_add_co_i32 s3, s3, s4
	s_xor_b32 s4, s15, s6
	s_wait_alu 0xfffe
	s_mul_hi_u32 s3, s5, s3
	s_ashr_i32 s4, s4, 31
	s_wait_alu 0xfffe
	s_mul_i32 s6, s3, s2
	s_delay_alu instid0(SALU_CYCLE_1)
	s_sub_co_i32 s5, s5, s6
	s_add_co_i32 s6, s3, 1
	s_sub_co_i32 s8, s5, s2
	s_cmp_ge_u32 s5, s2
	s_cselect_b32 s3, s6, s3
	s_cselect_b32 s5, s8, s5
	s_wait_alu 0xfffe
	s_add_co_i32 s6, s3, 1
	s_cmp_ge_u32 s5, s2
	s_load_b64 s[8:9], s[0:1], 0x50
	s_cselect_b32 s2, s6, s3
	s_mov_b32 s3, 0
	s_wait_alu 0xfffe
	s_xor_b32 s2, s2, s4
	s_mov_b32 s6, s3
	s_wait_alu 0xfffe
	s_sub_co_i32 s12, s2, s4
	s_delay_alu instid0(SALU_CYCLE_1) | instskip(NEXT) | instid1(SALU_CYCLE_1)
	s_abs_i32 s11, s12
	s_cvt_f32_u32 s2, s11
	s_wait_alu 0xfffe
	s_delay_alu instid0(SALU_CYCLE_2) | instskip(NEXT) | instid1(TRANS32_DEP_1)
	v_rcp_iflag_f32_e32 v1, s2
	v_readfirstlane_b32 s2, v1
	s_mul_f32 s2, s2, 0x4f7ffffe
	s_wait_alu 0xfffe
	s_delay_alu instid0(SALU_CYCLE_2) | instskip(SKIP_2) | instid1(SALU_CYCLE_1)
	s_cvt_u32_f32 s4, s2
	s_sub_co_i32 s2, 0, s11
	s_wait_alu 0xfffe
	s_mul_i32 s2, s2, s4
	s_wait_alu 0xfffe
	s_mul_hi_u32 s5, s4, s2
	s_abs_i32 s2, ttmp9
	s_add_co_i32 s4, s4, s5
	s_mov_b32 s5, s3
	s_wait_kmcnt 0x0
	s_cmp_eq_u64 s[8:9], 0
	s_cbranch_scc1 .LBB167_3
; %bb.2:
	s_mov_b32 s16, ttmp9
	s_ashr_i32 s17, ttmp9, 31
	s_delay_alu instid0(SALU_CYCLE_1) | instskip(NEXT) | instid1(SALU_CYCLE_1)
	s_lshl_b64 s[16:17], s[16:17], 2
	s_add_nc_u64 s[8:9], s[8:9], s[16:17]
	s_load_b32 s6, s[8:9], 0x0
.LBB167_3:
	s_load_b96 s[8:10], s[0:1], 0x58
	v_lshrrev_b32_e32 v39, 1, v0
	v_and_b32_e32 v40, 1, v0
	v_lshlrev_b32_e32 v3, 3, v0
	s_mul_u64 s[4:5], s[2:3], s[4:5]
	s_ashr_i32 s3, ttmp9, 31
	s_ashr_i32 s4, s12, 31
	s_mul_i32 s12, ttmp9, 0x78
	s_mov_b32 s16, exec_lo
	v_cmpx_gt_u32_e32 30, v0
	s_cbranch_execz .LBB167_5
; %bb.4:
	s_load_b64 s[18:19], s[0:1], 0x18
	s_wait_kmcnt 0x0
	s_mul_i32 s20, s8, s14
	s_ashr_i32 s13, s12, 31
	s_ashr_i32 s21, s20, 31
	v_lshlrev_b32_e32 v4, 3, v39
	s_lshl_b64 s[20:21], s[20:21], 1
	s_delay_alu instid0(VALU_DEP_1) | instskip(SKIP_2) | instid1(SALU_CYCLE_1)
	v_mad_u32_u24 v4, 0x78, v40, v4
	s_add_nc_u64 s[18:19], s[18:19], s[20:21]
	s_lshl_b64 s[20:21], s[12:13], 1
	s_add_nc_u64 s[18:19], s[18:19], s[20:21]
	global_load_b64 v[1:2], v3, s[18:19]
	s_wait_loadcnt 0x0
	ds_store_b64 v4, v[1:2]
.LBB167_5:
	s_or_b32 exec_lo, exec_lo, s16
	s_wait_kmcnt 0x0
	s_add_co_i32 s8, s25, 15
	s_wait_alu 0xfffe
	s_xor_b32 s3, s3, s4
	s_ashr_i32 s13, s8, 31
	s_lshl_b32 s28, s24, 5
	s_lshr_b32 s4, s13, 28
	s_mul_i32 s13, s5, s11
	s_add_co_i32 s8, s8, s4
	s_add_co_i32 s4, s28, 32
	s_ashr_i32 s27, s8, 4
	s_sub_co_i32 s2, s2, s13
	s_min_i32 s13, s4, s27
	s_load_b32 s4, s[0:1], 0x48
	s_add_co_i32 s8, s5, 1
	s_sub_co_i32 s16, s2, s11
	s_cmp_ge_u32 s2, s11
	v_lshrrev_b32_e32 v41, 5, v0
	s_cselect_b32 s5, s8, s5
	s_cselect_b32 s2, s16, s2
	s_add_co_i32 s8, s5, 1
	s_wait_alu 0xfffe
	s_cmp_ge_u32 s2, s11
	v_or_b32_e32 v42, s28, v41
	s_cselect_b32 s2, s8, s5
	v_mbcnt_lo_u32_b32 v6, -1, 0
	s_wait_alu 0xfffe
	s_xor_b32 s2, s2, s3
	s_wait_dscnt 0x0
	s_wait_alu 0xfffe
	s_sub_co_i32 s3, s2, s3
	v_cmp_le_i32_e64 s2, s13, v42
	s_barrier_signal -1
	s_barrier_wait -1
	global_inv scope:SCOPE_SE
                                        ; implicit-def: $vgpr7
                                        ; implicit-def: $vgpr8
	s_wait_kmcnt 0x0
	s_mul_i32 s16, s4, s14
	s_delay_alu instid0(SALU_CYCLE_1) | instskip(SKIP_1) | instid1(SALU_CYCLE_1)
	s_ashr_i32 s17, s16, 31
	s_and_saveexec_b32 s4, s2
	s_xor_b32 s4, exec_lo, s4
; %bb.6:
	v_dual_mov_b32 v7, 0 :: v_dual_mov_b32 v8, 32
	v_mbcnt_lo_u32_b32 v6, -1, 0
; %bb.7:
	s_or_saveexec_b32 s11, s4
	s_clause 0x1
	s_load_b64 s[18:19], s[0:1], 0x38
	s_load_b32 s8, s[0:1], 0x98
	v_dual_mov_b32 v61, 0xff7fffff :: v_dual_lshlrev_b32 v4, 2, v42
	v_lshlrev_b32_e32 v5, 4, v41
	s_mul_i32 s20, s3, s10
	s_xor_b32 exec_lo, exec_lo, s11
	s_cbranch_execz .LBB167_13
; %bb.8:
	s_load_b64 s[4:5], s[0:1], 0x20
	v_mul_u32_u24_e32 v1, 0x78, v40
	v_bfe_u32 v77, v0, 1, 4
	s_ashr_i32 s21, s20, 31
	v_dual_mov_b32 v7, 0 :: v_dual_and_b32 v2, 8, v3
	ds_load_2addr_b64 v[15:18], v1 offset1:1
	v_lshlrev_b32_e32 v8, 4, v77
	ds_load_2addr_b64 v[23:26], v1 offset0:2 offset1:3
	ds_load_2addr_b64 v[31:34], v1 offset0:4 offset1:5
	;; [unrolled: 1-line block ×5, first 2 shown]
	s_lshl_b64 s[22:23], s[20:21], 1
	ds_load_2addr_b64 v[69:72], v1 offset0:12 offset1:13
	s_cmp_neq_f32 s6, 0
	s_mov_b32 s21, s9
	s_mov_b32 s10, 0
	v_mov_b32_e32 v79, v42
	s_wait_kmcnt 0x0
	s_add_nc_u64 s[4:5], s[4:5], s[22:23]
	s_delay_alu instid0(SALU_CYCLE_1)
	v_add_co_u32 v8, s3, s4, v8
	s_wait_alu 0xf1ff
	v_add_co_ci_u32_e64 v19, null, s5, 0, s3
	s_wait_dscnt 0x6
	v_lshlrev_b32_e32 v11, 16, v16
	v_and_b32_e32 v12, 0xffff0000, v16
	v_add_co_u32 v16, vcc_lo, v8, v2
	ds_load_b64 v[1:2], v1 offset:112
	v_xor_b32_e32 v8, 1, v6
	v_lshlrev_b32_e32 v13, 16, v17
	v_and_b32_e32 v14, 0xffff0000, v17
	v_add_co_ci_u32_e64 v17, null, 0, v19, vcc_lo
	s_delay_alu instid0(VALU_DEP_4)
	v_cmp_gt_i32_e32 vcc_lo, 32, v8
	v_and_b32_e32 v10, 0xffff0000, v15
	s_wait_dscnt 0x2
	v_lshlrev_b32_e32 v62, 16, v61
	v_and_b32_e32 v63, 0xffff0000, v61
	s_cselect_b32 s3, -1, 0
	s_wait_alu 0xfffd
	v_cndmask_b32_e32 v61, v6, v8, vcc_lo
	s_lshl_b64 s[4:5], s[16:17], 2
	v_dual_mov_b32 v8, 32 :: v_dual_lshlrev_b32 v9, 16, v15
	s_wait_alu 0xfffe
	s_add_nc_u64 s[4:5], s[18:19], s[4:5]
	v_lshlrev_b32_e32 v68, 2, v61
	v_lshlrev_b32_e32 v61, 2, v77
	;; [unrolled: 1-line block ×3, first 2 shown]
	v_and_b32_e32 v18, 0xffff0000, v18
	s_wait_dscnt 0x0
	v_lshlrev_b32_e32 v73, 16, v1
	v_and_b32_e32 v74, 0xffff0000, v1
	v_lshl_or_b32 v1, v41, 6, v61
	v_lshlrev_b32_e32 v19, 16, v23
	v_and_b32_e32 v20, 0xffff0000, v23
	v_lshlrev_b32_e32 v21, 16, v24
	v_and_b32_e32 v22, 0xffff0000, v24
	v_add_nc_u32_e32 v78, 0x110, v1
	s_wait_alu 0xfffe
	v_add_co_u32 v1, s4, s4, v4
	v_lshlrev_b32_e32 v23, 16, v25
	v_and_b32_e32 v24, 0xffff0000, v25
	v_lshlrev_b32_e32 v25, 16, v26
	v_and_b32_e32 v26, 0xffff0000, v26
	;; [unrolled: 2-line block ×22, first 2 shown]
	v_add3_u32 v77, s26, v5, v77
	s_wait_alu 0xf1ff
	v_add_co_ci_u32_e64 v2, null, s5, 0, s4
	v_mov_b32_e32 v61, 0xff7fffff
	s_sub_co_i32 s22, 1, s25
	v_cmp_eq_u32_e32 vcc_lo, 0, v40
	s_branch .LBB167_10
.LBB167_9:                              ;   in Loop: Header=BB167_10 Depth=1
	s_wait_alu 0xfffe
	s_or_b32 exec_lo, exec_lo, s5
	v_add_nc_u32_e32 v79, 4, v79
	v_add_co_u32 v1, s5, v1, 16
	v_add_nc_u32_e32 v77, 64, v77
	v_add_nc_u32_e32 v78, 0x100, v78
	s_delay_alu instid0(VALU_DEP_4) | instskip(SKIP_3) | instid1(SALU_CYCLE_1)
	v_cmp_le_i32_e64 s4, s13, v79
	s_wait_alu 0xf1ff
	v_add_co_ci_u32_e64 v2, null, 0, v2, s5
	s_or_b32 s10, s4, s10
	s_and_not1_b32 exec_lo, exec_lo, s10
	s_cbranch_execz .LBB167_12
.LBB167_10:                             ; =>This Inner Loop Header: Depth=1
	global_load_b32 v80, v[1:2], off
	s_wait_loadcnt_dscnt 0x0
	v_mad_co_i64_i32 v[80:81], null, v80, s21, 0
	s_delay_alu instid0(VALU_DEP_1) | instskip(NEXT) | instid1(VALU_DEP_1)
	v_lshlrev_b64_e32 v[80:81], 1, v[80:81]
	v_add_co_u32 v80, s4, v16, v80
	s_wait_alu 0xf1ff
	s_delay_alu instid0(VALU_DEP_2)
	v_add_co_ci_u32_e64 v81, null, v17, v81, s4
	s_clause 0xc
	global_load_b64 v[82:83], v[80:81], off
	global_load_b64 v[84:85], v[80:81], off offset:256
	global_load_b64 v[86:87], v[80:81], off offset:512
	;; [unrolled: 1-line block ×12, first 2 shown]
	s_wait_loadcnt 0xc
	v_and_b32_e32 v109, 0xffff0000, v82
	s_wait_loadcnt 0xb
	v_lshlrev_b32_e32 v112, 16, v85
	v_and_b32_e32 v85, 0xffff0000, v85
	v_lshlrev_b32_e32 v108, 16, v82
	s_wait_loadcnt 0xa
	v_lshlrev_b32_e32 v113, 16, v86
	v_lshlrev_b32_e32 v82, 16, v84
	v_dual_mul_f32 v85, v18, v85 :: v_dual_lshlrev_b32 v110, 16, v83
	s_wait_loadcnt 0x8
	v_lshlrev_b32_e32 v117, 16, v90
	s_wait_loadcnt 0x7
	v_lshlrev_b32_e32 v119, 16, v92
	v_mul_f32_e32 v129, v13, v82
	s_wait_loadcnt 0x6
	v_lshlrev_b32_e32 v121, 16, v94
	s_wait_loadcnt 0x5
	v_lshlrev_b32_e32 v123, 16, v96
	;; [unrolled: 2-line block ×4, first 2 shown]
	v_fmac_f32_e32 v129, v9, v108
	v_dual_mul_f32 v108, v15, v112 :: v_dual_and_b32 v111, 0xffff0000, v83
	s_clause 0x1
	global_load_b64 v[82:83], v[80:81], off offset:3328
	global_load_b64 v[80:81], v[80:81], off offset:3584
	v_and_b32_e32 v84, 0xffff0000, v84
	s_wait_loadcnt 0x4
	v_dual_fmac_f32 v85, v12, v111 :: v_dual_lshlrev_b32 v130, 16, v102
	v_dual_fmac_f32 v108, v11, v110 :: v_dual_lshlrev_b32 v115, 16, v88
	s_delay_alu instid0(VALU_DEP_3) | instskip(SKIP_2) | instid1(VALU_DEP_3)
	v_dual_mul_f32 v84, v14, v84 :: v_dual_lshlrev_b32 v131, 16, v103
	v_and_b32_e32 v103, 0xffff0000, v103
	v_lshlrev_b32_e32 v128, 16, v101
	v_fmac_f32_e32 v84, v10, v109
	v_dual_fmac_f32 v129, v19, v113 :: v_dual_and_b32 v86, 0xffff0000, v86
	s_wait_loadcnt 0x3
	v_lshlrev_b32_e32 v109, 16, v104
	s_delay_alu instid0(VALU_DEP_2) | instskip(SKIP_2) | instid1(VALU_DEP_3)
	v_fmac_f32_e32 v129, v23, v115
	v_lshlrev_b32_e32 v114, 16, v87
	v_dual_fmac_f32 v84, v20, v86 :: v_dual_and_b32 v87, 0xffff0000, v87
	v_dual_fmac_f32 v129, v27, v117 :: v_dual_and_b32 v88, 0xffff0000, v88
	s_delay_alu instid0(VALU_DEP_2) | instskip(NEXT) | instid1(VALU_DEP_2)
	v_dual_fmac_f32 v85, v22, v87 :: v_dual_lshlrev_b32 v116, 16, v89
	v_dual_fmac_f32 v84, v24, v88 :: v_dual_and_b32 v89, 0xffff0000, v89
	s_delay_alu instid0(VALU_DEP_3) | instskip(NEXT) | instid1(VALU_DEP_2)
	v_dual_fmac_f32 v129, v31, v119 :: v_dual_and_b32 v90, 0xffff0000, v90
	v_dual_fmac_f32 v85, v26, v89 :: v_dual_lshlrev_b32 v118, 16, v91
	s_delay_alu instid0(VALU_DEP_2) | instskip(SKIP_1) | instid1(VALU_DEP_4)
	v_dual_fmac_f32 v84, v28, v90 :: v_dual_and_b32 v91, 0xffff0000, v91
	v_and_b32_e32 v92, 0xffff0000, v92
	v_dual_fmac_f32 v108, v21, v114 :: v_dual_fmac_f32 v129, v35, v121
	s_delay_alu instid0(VALU_DEP_3) | instskip(NEXT) | instid1(VALU_DEP_3)
	v_dual_fmac_f32 v85, v30, v91 :: v_dual_lshlrev_b32 v120, 16, v93
	v_dual_fmac_f32 v84, v32, v92 :: v_dual_and_b32 v93, 0xffff0000, v93
	v_and_b32_e32 v94, 0xffff0000, v94
	s_delay_alu instid0(VALU_DEP_4) | instskip(NEXT) | instid1(VALU_DEP_3)
	v_dual_fmac_f32 v108, v25, v116 :: v_dual_fmac_f32 v129, v43, v123
	v_dual_fmac_f32 v85, v34, v93 :: v_dual_lshlrev_b32 v122, 16, v95
	s_delay_alu instid0(VALU_DEP_3) | instskip(SKIP_1) | instid1(VALU_DEP_4)
	v_dual_fmac_f32 v84, v36, v94 :: v_dual_and_b32 v95, 0xffff0000, v95
	v_and_b32_e32 v96, 0xffff0000, v96
	v_dual_fmac_f32 v108, v29, v118 :: v_dual_fmac_f32 v129, v47, v125
	s_delay_alu instid0(VALU_DEP_3) | instskip(NEXT) | instid1(VALU_DEP_3)
	v_dual_fmac_f32 v85, v38, v95 :: v_dual_lshlrev_b32 v124, 16, v97
	v_dual_fmac_f32 v84, v44, v96 :: v_dual_and_b32 v97, 0xffff0000, v97
	v_and_b32_e32 v98, 0xffff0000, v98
	s_delay_alu instid0(VALU_DEP_4) | instskip(NEXT) | instid1(VALU_DEP_3)
	v_dual_fmac_f32 v108, v33, v120 :: v_dual_fmac_f32 v129, v51, v127
	v_dual_fmac_f32 v85, v46, v97 :: v_dual_lshlrev_b32 v126, 16, v99
	s_delay_alu instid0(VALU_DEP_3) | instskip(SKIP_1) | instid1(VALU_DEP_2)
	v_dual_fmac_f32 v84, v48, v98 :: v_dual_and_b32 v99, 0xffff0000, v99
	v_and_b32_e32 v100, 0xffff0000, v100
	v_dual_fmac_f32 v108, v37, v122 :: v_dual_fmac_f32 v85, v50, v99
	s_delay_alu instid0(VALU_DEP_2) | instskip(NEXT) | instid1(VALU_DEP_1)
	v_dual_fmac_f32 v84, v52, v100 :: v_dual_and_b32 v101, 0xffff0000, v101
	v_dual_fmac_f32 v108, v45, v124 :: v_dual_fmac_f32 v85, v54, v101
	v_fmac_f32_e32 v129, v55, v130
	v_and_b32_e32 v102, 0xffff0000, v102
	s_delay_alu instid0(VALU_DEP_2) | instskip(NEXT) | instid1(VALU_DEP_2)
	v_dual_fmac_f32 v108, v49, v126 :: v_dual_fmac_f32 v129, v59, v109
	v_dual_fmac_f32 v84, v56, v102 :: v_dual_fmac_f32 v85, v58, v103
	s_delay_alu instid0(VALU_DEP_2) | instskip(SKIP_1) | instid1(VALU_DEP_1)
	v_fmac_f32_e32 v108, v53, v128
	s_wait_loadcnt 0x1
	v_dual_fmac_f32 v108, v57, v131 :: v_dual_lshlrev_b32 v91, 16, v82
	s_wait_loadcnt 0x0
	v_lshlrev_b32_e32 v93, 16, v80
	v_lshlrev_b32_e32 v88, 16, v106
	;; [unrolled: 1-line block ×3, first 2 shown]
	v_and_b32_e32 v80, 0xffff0000, v80
	s_delay_alu instid0(VALU_DEP_3) | instskip(NEXT) | instid1(VALU_DEP_3)
	v_dual_fmac_f32 v129, v64, v88 :: v_dual_and_b32 v86, 0xffff0000, v105
	v_dual_fmac_f32 v108, v62, v110 :: v_dual_lshlrev_b32 v89, 16, v107
	s_delay_alu instid0(VALU_DEP_2) | instskip(NEXT) | instid1(VALU_DEP_3)
	v_dual_fmac_f32 v129, v69, v91 :: v_dual_and_b32 v104, 0xffff0000, v104
	v_fmac_f32_e32 v85, v63, v86
	v_and_b32_e32 v87, 0xffff0000, v106
	v_lshlrev_b32_e32 v92, 16, v83
	v_dual_fmac_f32 v108, v66, v89 :: v_dual_and_b32 v83, 0xffff0000, v83
	v_fmac_f32_e32 v84, v60, v104
	v_and_b32_e32 v82, 0xffff0000, v82
	s_delay_alu instid0(VALU_DEP_2) | instskip(NEXT) | instid1(VALU_DEP_1)
	v_fmac_f32_e32 v84, v65, v87
	v_dual_fmac_f32 v84, v70, v82 :: v_dual_fmac_f32 v129, v73, v93
	s_delay_alu instid0(VALU_DEP_1) | instskip(SKIP_2) | instid1(VALU_DEP_3)
	v_fmac_f32_e32 v84, v74, v80
	v_and_b32_e32 v90, 0xffff0000, v107
	v_and_b32_e32 v80, 0xffff0000, v81
	v_dual_add_f32 v81, v129, v84 :: v_dual_lshlrev_b32 v82, 16, v81
	s_delay_alu instid0(VALU_DEP_3) | instskip(NEXT) | instid1(VALU_DEP_1)
	v_fmac_f32_e32 v85, v67, v90
	v_dual_fmac_f32 v108, v71, v92 :: v_dual_fmac_f32 v85, v72, v83
	s_delay_alu instid0(VALU_DEP_1) | instskip(NEXT) | instid1(VALU_DEP_1)
	v_dual_fmac_f32 v85, v76, v80 :: v_dual_fmac_f32 v108, v75, v82
	v_add_f32_e32 v80, v81, v108
	s_delay_alu instid0(VALU_DEP_1)
	v_add_f32_e32 v80, v85, v80
	ds_bpermute_b32 v81, v68, v80
	s_and_saveexec_b32 s5, vcc_lo
	s_cbranch_execz .LBB167_9
; %bb.11:                               ;   in Loop: Header=BB167_10 Depth=1
	s_wait_dscnt 0x0
	v_add_f32_e32 v80, v80, v81
	v_add_nc_u32_e32 v82, s22, v77
	v_cmp_gt_i32_e64 s4, s25, v77
	s_delay_alu instid0(VALU_DEP_2) | instskip(NEXT) | instid1(VALU_DEP_1)
	v_cvt_f32_i32_e32 v82, v82
	v_mul_f32_e32 v82, s6, v82
	s_delay_alu instid0(VALU_DEP_1) | instskip(NEXT) | instid1(VALU_DEP_1)
	v_cndmask_b32_e64 v81, 0, v82, s3
	v_dual_max_num_f32 v82, v61, v61 :: v_dual_fmac_f32 v81, s7, v80
	s_delay_alu instid0(VALU_DEP_1) | instskip(SKIP_2) | instid1(VALU_DEP_2)
	v_max_num_f32_e32 v80, v82, v81
	s_wait_alu 0xf1ff
	v_cndmask_b32_e64 v81, 0, v81, s4
	v_cndmask_b32_e64 v61, v61, v80, s4
	ds_store_b32 v78, v81
	s_branch .LBB167_9
.LBB167_12:
	s_or_b32 exec_lo, exec_lo, s10
.LBB167_13:
	s_delay_alu instid0(SALU_CYCLE_1)
	s_or_b32 exec_lo, exec_lo, s11
	v_xor_b32_e32 v1, 16, v6
	v_xor_b32_e32 v2, 8, v6
	s_clause 0x2
	s_load_b128 s[4:7], s[0:1], 0x0
	s_load_b64 s[10:11], s[0:1], 0x10
	s_load_b64 s[22:23], s[0:1], 0x28
	v_lshlrev_b32_e32 v13, 2, v41
	v_cmp_lt_i32_e32 vcc_lo, v1, v8
	s_wait_alu 0xfffd
	v_cndmask_b32_e32 v1, v6, v1, vcc_lo
	v_cmp_lt_i32_e32 vcc_lo, v2, v8
	v_max_num_f32_e32 v9, v61, v61
	s_delay_alu instid0(VALU_DEP_3)
	v_lshlrev_b32_e32 v10, 2, v1
	s_wait_alu 0xfffd
	v_cndmask_b32_e32 v2, v6, v2, vcc_lo
	ds_bpermute_b32 v1, v10, v61
	v_lshlrev_b32_e32 v11, 2, v2
	s_wait_dscnt 0x0
	v_max_num_f32_e32 v1, v1, v1
	s_delay_alu instid0(VALU_DEP_1)
	v_max_num_f32_e32 v1, v9, v1
	v_xor_b32_e32 v9, 4, v6
	ds_bpermute_b32 v2, v11, v1
	v_cmp_lt_i32_e32 vcc_lo, v9, v8
	s_wait_dscnt 0x0
	v_max_num_f32_e32 v2, v2, v2
	s_delay_alu instid0(VALU_DEP_1) | instskip(SKIP_2) | instid1(VALU_DEP_1)
	v_max_num_f32_e32 v1, v1, v2
	s_wait_alu 0xfffd
	v_cndmask_b32_e32 v9, v6, v9, vcc_lo
	v_lshlrev_b32_e32 v12, 2, v9
	v_xor_b32_e32 v9, 2, v6
	ds_bpermute_b32 v2, v12, v1
	v_cmp_lt_i32_e32 vcc_lo, v9, v8
	s_wait_alu 0xfffd
	v_cndmask_b32_e32 v9, v6, v9, vcc_lo
	s_wait_dscnt 0x0
	s_delay_alu instid0(VALU_DEP_1) | instskip(NEXT) | instid1(VALU_DEP_1)
	v_dual_max_num_f32 v2, v2, v2 :: v_dual_lshlrev_b32 v9, 2, v9
	v_dual_max_num_f32 v2, v1, v2 :: v_dual_and_b32 v1, 31, v0
	ds_bpermute_b32 v14, v9, v2
	v_cmp_eq_u32_e32 vcc_lo, 0, v1
	s_and_saveexec_b32 s0, vcc_lo
	s_cbranch_execz .LBB167_15
; %bb.14:
	s_wait_dscnt 0x0
	v_max_num_f32_e32 v14, v14, v14
	v_max_num_f32_e32 v2, v2, v2
	s_delay_alu instid0(VALU_DEP_1)
	v_max_num_f32_e32 v2, v2, v14
	ds_store_b32 v13, v2 offset:240
.LBB167_15:
	s_or_b32 exec_lo, exec_lo, s0
	v_cmp_gt_u32_e64 s0, 4, v1
	v_mov_b32_e32 v2, 0xff7fffff
	s_wait_dscnt 0x0
	v_lshlrev_b32_e32 v14, 2, v1
	s_wait_loadcnt 0x0
	s_barrier_signal -1
	s_barrier_wait -1
	global_inv scope:SCOPE_SE
	s_and_saveexec_b32 s1, s0
; %bb.16:
	ds_load_b32 v2, v14 offset:240
; %bb.17:
	s_or_b32 exec_lo, exec_lo, s1
	s_wait_dscnt 0x0
	ds_bpermute_b32 v15, v9, v2
	v_xor_b32_e32 v16, 1, v6
	v_dual_max_num_f32 v2, v2, v2 :: v_dual_lshlrev_b32 v7, 2, v7
	s_delay_alu instid0(VALU_DEP_2) | instskip(NEXT) | instid1(VALU_DEP_1)
	v_cmp_lt_i32_e64 s1, v16, v8
	v_cndmask_b32_e64 v8, v6, v16, s1
	s_sub_co_i32 s1, s13, s28
	s_wait_alu 0xfffe
	s_lshl_b32 s1, s1, 4
	s_delay_alu instid0(VALU_DEP_1)
	v_lshlrev_b32_e32 v44, 2, v8
	s_wait_alu 0xfffe
	s_add_co_i32 s1, s1, s26
	s_wait_alu 0xfffe
	s_min_i32 s1, s1, s25
	s_wait_dscnt 0x0
	v_max_num_f32_e32 v15, v15, v15
	s_wait_alu 0xfffe
	s_sub_co_i32 s21, s1, s26
	s_wait_alu 0xfffe
	v_cmp_gt_i32_e64 s1, s21, v0
	v_max_num_f32_e32 v2, v2, v15
	ds_bpermute_b32 v8, v44, v2
	s_wait_dscnt 0x0
	v_max_num_f32_e32 v8, v8, v8
	s_delay_alu instid0(VALU_DEP_1)
	v_max_num_f32_e32 v2, v2, v8
	v_mov_b32_e32 v8, 0
	ds_bpermute_b32 v2, v7, v2
	v_lshl_add_u32 v7, v0, 2, 0x110
	s_and_saveexec_b32 s28, s1
	s_cbranch_execz .LBB167_21
; %bb.18:
	v_lshl_add_u32 v15, v0, 2, 0x110
	v_mov_b32_e32 v8, 0
	v_mov_b32_e32 v16, v0
	s_mov_b32 s29, 0
.LBB167_19:                             ; =>This Inner Loop Header: Depth=1
	ds_load_b32 v17, v15
	v_add_nc_u32_e32 v16, 0x80, v16
	s_delay_alu instid0(VALU_DEP_1) | instskip(SKIP_4) | instid1(VALU_DEP_1)
	v_cmp_le_i32_e64 s3, s21, v16
	s_wait_alu 0xfffe
	s_or_b32 s29, s3, s29
	s_wait_dscnt 0x0
	v_sub_f32_e32 v17, v17, v2
	v_mul_f32_e32 v17, 0x3fb8aa3b, v17
	s_delay_alu instid0(VALU_DEP_1)
	v_exp_f32_e32 v17, v17
	ds_store_b32 v15, v17
	v_dual_add_f32 v8, v8, v17 :: v_dual_add_nc_u32 v15, 0x200, v15
	s_wait_alu 0xfffe
	s_and_not1_b32 exec_lo, exec_lo, s29
	s_cbranch_execnz .LBB167_19
; %bb.20:
	s_or_b32 exec_lo, exec_lo, s29
.LBB167_21:
	s_wait_alu 0xfffe
	s_or_b32 exec_lo, exec_lo, s28
	ds_bpermute_b32 v10, v10, v8
	s_wait_dscnt 0x0
	v_add_f32_e32 v8, v8, v10
	ds_bpermute_b32 v10, v11, v8
	s_wait_dscnt 0x0
	v_add_f32_e32 v8, v8, v10
	ds_bpermute_b32 v10, v12, v8
	s_wait_dscnt 0x0
	v_add_f32_e32 v8, v8, v10
	ds_bpermute_b32 v10, v9, v8
	s_wait_dscnt 0x0
	v_add_f32_e32 v8, v8, v10
	ds_bpermute_b32 v10, v44, v8
	s_wait_dscnt 0x0
	v_add_f32_e32 v8, v8, v10
	s_and_saveexec_b32 s3, vcc_lo
; %bb.22:
	ds_store_b32 v13, v8 offset:256
; %bb.23:
	s_wait_alu 0xfffe
	s_or_b32 exec_lo, exec_lo, s3
	s_wait_loadcnt_dscnt 0x0
	s_barrier_signal -1
	s_barrier_wait -1
	global_inv scope:SCOPE_SE
	s_and_saveexec_b32 s3, s0
; %bb.24:
	ds_load_b32 v8, v14 offset:256
; %bb.25:
	s_wait_alu 0xfffe
	s_or_b32 exec_lo, exec_lo, s3
	s_wait_dscnt 0x0
	ds_bpermute_b32 v9, v9, v8
	v_lshlrev_b32_e32 v6, 2, v6
	s_delay_alu instid0(VALU_DEP_1)
	v_and_b32_e32 v6, 0xffffff80, v6
	s_wait_dscnt 0x0
	v_add_f32_e32 v8, v8, v9
	ds_bpermute_b32 v9, v44, v8
	s_wait_dscnt 0x0
	v_add_f32_e32 v8, v8, v9
	ds_bpermute_b32 v6, v6, v8
	s_and_saveexec_b32 s0, s1
	s_cbranch_execz .LBB167_28
; %bb.26:
	s_wait_dscnt 0x0
	v_add_f32_e32 v8, 0x358637bd, v6
	s_mov_b32 s1, 0
	s_delay_alu instid0(VALU_DEP_1) | instskip(SKIP_1) | instid1(VALU_DEP_2)
	v_div_scale_f32 v9, null, v8, v8, 1.0
	v_div_scale_f32 v12, vcc_lo, 1.0, v8, 1.0
	v_rcp_f32_e32 v10, v9
	s_delay_alu instid0(TRANS32_DEP_1) | instskip(NEXT) | instid1(VALU_DEP_1)
	v_fma_f32 v11, -v9, v10, 1.0
	v_fmac_f32_e32 v10, v11, v10
	s_delay_alu instid0(VALU_DEP_1) | instskip(NEXT) | instid1(VALU_DEP_1)
	v_mul_f32_e32 v11, v12, v10
	v_fma_f32 v13, -v9, v11, v12
	s_delay_alu instid0(VALU_DEP_1) | instskip(NEXT) | instid1(VALU_DEP_1)
	v_fmac_f32_e32 v11, v13, v10
	v_fma_f32 v9, -v9, v11, v12
	s_wait_alu 0xfffd
	s_delay_alu instid0(VALU_DEP_1) | instskip(NEXT) | instid1(VALU_DEP_1)
	v_div_fmas_f32 v9, v9, v10, v11
	v_div_fixup_f32 v8, v9, v8, 1.0
	v_mov_b32_e32 v9, v0
.LBB167_27:                             ; =>This Inner Loop Header: Depth=1
	ds_load_b32 v10, v7
	s_wait_dscnt 0x0
	v_dual_mul_f32 v10, v8, v10 :: v_dual_add_nc_u32 v9, 0x80, v9
	s_delay_alu instid0(VALU_DEP_1)
	v_cmp_le_i32_e32 vcc_lo, s21, v9
	ds_store_b32 v7, v10
	v_add_nc_u32_e32 v7, 0x200, v7
	s_wait_alu 0xfffe
	s_or_b32 s1, vcc_lo, s1
	s_wait_alu 0xfffe
	s_and_not1_b32 exec_lo, exec_lo, s1
	s_cbranch_execnz .LBB167_27
.LBB167_28:
	s_wait_alu 0xfffe
	s_or_b32 exec_lo, exec_lo, s0
	s_wait_kmcnt 0x0
	s_mul_i32 s0, s8, s14
	s_wait_loadcnt_dscnt 0x0
	s_wait_alu 0xfffe
	s_mul_i32 s14, s0, s15
	s_mov_b32 s0, exec_lo
	s_barrier_signal -1
	s_barrier_wait -1
	global_inv scope:SCOPE_SE
	v_cmpx_eq_u32_e32 0, v0
	s_cbranch_execz .LBB167_30
; %bb.29:
	s_ashr_i32 s15, s14, 31
	s_wait_alu 0xfffe
	s_mul_i32 s28, s8, ttmp9
	s_lshl_b32 s1, s24, 2
	s_lshl_b64 s[30:31], s[14:15], 2
	s_wait_alu 0xfffe
	s_ashr_i32 s29, s28, 31
	v_mov_b32_e32 v7, s1
	s_add_nc_u64 s[6:7], s[6:7], s[30:31]
	s_wait_alu 0xfffe
	s_lshl_b64 s[28:29], s[28:29], 2
	s_add_nc_u64 s[4:5], s[4:5], s[30:31]
	s_wait_alu 0xfffe
	s_add_nc_u64 s[6:7], s[6:7], s[28:29]
	s_add_nc_u64 s[4:5], s[4:5], s[28:29]
	s_clause 0x1
	global_store_b32 v7, v2, s[6:7]
	global_store_b32 v7, v6, s[4:5]
.LBB167_30:
	s_wait_alu 0xfffe
	s_or_b32 exec_lo, exec_lo, s0
	v_lshrrev_b32_e32 v43, 1, v1
	s_and_saveexec_b32 s0, s2
	s_wait_alu 0xfffe
	s_xor_b32 s0, exec_lo, s0
; %bb.31:
	v_lshrrev_b32_e32 v43, 1, v1
                                        ; implicit-def: $vgpr42
                                        ; implicit-def: $vgpr3
                                        ; implicit-def: $vgpr5
                                        ; implicit-def: $vgpr4
; %bb.32:
	s_wait_alu 0xfffe
	s_or_saveexec_b32 s4, s0
	v_dual_mov_b32 v51, 0 :: v_dual_mov_b32 v52, 0
	v_dual_mov_b32 v50, 0 :: v_dual_mov_b32 v49, 0
	;; [unrolled: 1-line block ×4, first 2 shown]
	s_wait_alu 0xfffe
	s_xor_b32 exec_lo, exec_lo, s4
	s_cbranch_execz .LBB167_54
; %bb.33:
	v_dual_mov_b32 v46, 0 :: v_dual_and_b32 v1, 8, v3
	s_ashr_i32 s21, s20, 31
	v_dual_mov_b32 v45, 0 :: v_dual_lshlrev_b32 v2, 5, v40
	v_or_b32_e32 v3, 0x70, v43
	s_wait_alu 0xfffe
	s_lshl_b64 s[0:1], s[20:21], 1
	v_lshl_or_b32 v6, v43, 4, v1
	s_wait_alu 0xfffe
	s_add_nc_u64 s[2:3], s[22:23], s[0:1]
	s_lshl_b64 s[0:1], s[16:17], 2
	v_lshl_or_b32 v2, v41, 6, v2
	v_cmp_gt_u32_e32 vcc_lo, 0x78, v3
	v_lshl_or_b32 v3, v3, 4, v1
	s_wait_alu 0xfffe
	s_add_nc_u64 s[0:1], s[18:19], s[0:1]
	v_add3_u32 v53, s26, v5, v1
	s_wait_alu 0xfffe
	v_add_co_u32 v37, s0, s0, v4
	v_dual_mov_b32 v47, 0 :: v_dual_add_nc_u32 v54, 0x110, v2
	s_wait_alu 0xf1ff
	v_add_co_ci_u32_e64 v38, null, s1, 0, s0
	v_dual_mov_b32 v48, 0 :: v_dual_lshlrev_b32 v55, 1, v6
	v_dual_mov_b32 v49, 0 :: v_dual_lshlrev_b32 v56, 1, v3
	v_dual_mov_b32 v50, 0 :: v_dual_mov_b32 v51, 0
	v_mov_b32_e32 v52, 0
	s_mov_b32 s5, s9
	s_add_co_i32 s6, s27, -1
	s_mov_b32 s9, s25
	s_mov_b32 s7, 0
	s_branch .LBB167_36
.LBB167_34:                             ;   in Loop: Header=BB167_36 Depth=1
	s_wait_alu 0xfffe
	s_or_b32 exec_lo, exec_lo, s1
	v_lshlrev_b32_e32 v57, 16, v59
	s_wait_loadcnt 0x0
	v_lshlrev_b32_e32 v60, 16, v26
	v_and_b32_e32 v26, 0xffff0000, v26
	v_and_b32_e32 v61, 0xffff0000, v29
	v_lshlrev_b32_e32 v31, 16, v25
	v_and_b32_e32 v65, 0xffff0000, v32
	s_delay_alu instid0(VALU_DEP_3) | instskip(NEXT) | instid1(VALU_DEP_3)
	v_dual_mul_f32 v26, v61, v26 :: v_dual_and_b32 v25, 0xffff0000, v25
	v_mul_f32_e32 v31, v57, v31
	v_lshlrev_b32_e32 v57, 16, v29
	v_and_b32_e32 v58, 0xffff0000, v59
	s_delay_alu instid0(VALU_DEP_3) | instskip(NEXT) | instid1(VALU_DEP_3)
	v_or_b32_e32 v61, 0x400000, v31
	v_mul_f32_e32 v57, v57, v60
	s_delay_alu instid0(VALU_DEP_3) | instskip(SKIP_2) | instid1(VALU_DEP_4)
	v_mul_f32_e32 v25, v58, v25
	v_bfe_u32 v58, v31, 16, 1
	v_cmp_u_f32_e64 s0, v31, v31
	v_bfe_u32 v63, v57, 16, 1
	s_delay_alu instid0(VALU_DEP_4) | instskip(NEXT) | instid1(VALU_DEP_4)
	v_bfe_u32 v60, v25, 16, 1
	v_add3_u32 v58, v58, v31, 0x7fff
	v_or_b32_e32 v62, 0x400000, v25
	s_delay_alu instid0(VALU_DEP_3) | instskip(SKIP_1) | instid1(VALU_DEP_3)
	v_add3_u32 v60, v60, v25, 0x7fff
	s_wait_alu 0xf1ff
	v_cndmask_b32_e64 v31, v58, v61, s0
	v_cmp_u_f32_e64 s0, v25, v25
	v_lshlrev_b32_e32 v61, 16, v30
	s_delay_alu instid0(VALU_DEP_3) | instskip(SKIP_1) | instid1(VALU_DEP_3)
	v_and_b32_e32 v31, 0xffff0000, v31
	s_wait_alu 0xf1ff
	v_cndmask_b32_e64 v25, v60, v62, s0
	v_add3_u32 v60, v63, v57, 0x7fff
	v_or_b32_e32 v62, 0x400000, v57
	v_bfe_u32 v63, v26, 16, 1
	v_cmp_u_f32_e64 s0, v57, v57
	v_and_b32_e32 v25, 0xffff0000, v25
	v_lshlrev_b32_e32 v64, 16, v32
	s_wait_alu 0xf1ff
	s_delay_alu instid0(VALU_DEP_3) | instskip(NEXT) | instid1(VALU_DEP_3)
	v_cndmask_b32_e64 v57, v60, v62, s0
	v_dual_add_f32 v25, v31, v25 :: v_dual_lshlrev_b32 v58, 16, v27
	v_and_b32_e32 v27, 0xffff0000, v27
	v_add3_u32 v60, v63, v26, 0x7fff
	v_or_b32_e32 v62, 0x400000, v26
	v_cmp_u_f32_e64 s0, v26, v26
	v_mul_f32_e32 v58, v61, v58
	v_and_b32_e32 v61, 0xffff0000, v30
	v_and_b32_e32 v57, 0xffff0000, v57
	s_wait_alu 0xf1ff
	v_cndmask_b32_e64 v26, v60, v62, s0
	v_bfe_u32 v63, v58, 16, 1
	v_mul_f32_e32 v27, v61, v27
	v_lshlrev_b32_e32 v61, 16, v28
	v_and_b32_e32 v28, 0xffff0000, v28
	v_cmp_u_f32_e64 s0, v58, v58
	v_add3_u32 v62, v63, v58, 0x7fff
	v_bfe_u32 v60, v27, 16, 1
	v_or_b32_e32 v63, 0x400000, v58
	v_dual_mul_f32 v28, v65, v28 :: v_dual_mul_f32 v61, v64, v61
	v_or_b32_e32 v64, 0x400000, v27
	s_delay_alu instid0(VALU_DEP_4)
	v_add3_u32 v60, v60, v27, 0x7fff
	s_wait_alu 0xf1ff
	v_cndmask_b32_e64 v58, v62, v63, s0
	v_bfe_u32 v66, v28, 16, 1
	v_cmp_u_f32_e64 s0, v27, v27
	v_bfe_u32 v65, v61, 16, 1
	v_or_b32_e32 v63, 0x400000, v28
	v_and_b32_e32 v26, 0xffff0000, v26
	v_add3_u32 v62, v66, v28, 0x7fff
	s_wait_alu 0xf1ff
	v_cndmask_b32_e64 v27, v60, v64, s0
	v_cmp_u_f32_e64 s0, v28, v28
	v_add3_u32 v60, v65, v61, 0x7fff
	v_or_b32_e32 v64, 0x400000, v61
	s_delay_alu instid0(VALU_DEP_4)
	v_dual_add_f32 v26, v57, v26 :: v_dual_and_b32 v27, 0xffff0000, v27
	s_wait_alu 0xf1ff
	v_cndmask_b32_e64 v28, v62, v63, s0
	v_cmp_u_f32_e64 s0, v61, v61
	v_and_b32_e32 v31, 0xffff0000, v58
	v_add_f32_e32 v25, v26, v25
	s_wait_alu 0xf1ff
	s_delay_alu instid0(VALU_DEP_3) | instskip(NEXT) | instid1(VALU_DEP_3)
	v_cndmask_b32_e64 v57, v60, v64, s0
	v_dual_add_f32 v26, v31, v27 :: v_dual_and_b32 v27, 0xffff0000, v28
	s_delay_alu instid0(VALU_DEP_2) | instskip(NEXT) | instid1(VALU_DEP_1)
	v_and_b32_e32 v28, 0xffff0000, v57
	v_dual_add_f32 v25, v26, v25 :: v_dual_add_f32 v26, v28, v27
	s_delay_alu instid0(VALU_DEP_1) | instskip(NEXT) | instid1(VALU_DEP_1)
	v_add_f32_e32 v25, v26, v25
	v_add_f32_e32 v45, v45, v25
.LBB167_35:                             ;   in Loop: Header=BB167_36 Depth=1
	s_or_b32 exec_lo, exec_lo, s15
	s_wait_loadcnt 0x0
	v_lshlrev_b32_e32 v26, 16, v33
	v_lshlrev_b32_e32 v28, 16, v59
	v_and_b32_e32 v25, 0xffff0000, v33
	v_and_b32_e32 v63, 0xffff0000, v36
	;; [unrolled: 1-line block ×3, first 2 shown]
	v_lshlrev_b32_e32 v36, 16, v36
	v_and_b32_e32 v27, 0xffff0000, v29
	v_lshlrev_b32_e32 v34, 16, v34
	v_mul_f32_e32 v26, v28, v26
	v_add_co_u32 v37, s1, v37, 16
	s_delay_alu instid0(VALU_DEP_4) | instskip(SKIP_1) | instid1(VALU_DEP_4)
	v_mul_f32_e32 v33, v27, v33
	v_and_b32_e32 v31, 0xffff0000, v59
	v_bfe_u32 v58, v26, 16, 1
	v_or_b32_e32 v60, 0x400000, v26
	v_add_nc_u32_e32 v53, 64, v53
	v_bfe_u32 v61, v33, 16, 1
	v_mul_f32_e32 v57, v31, v25
	v_lshlrev_b32_e32 v25, 16, v29
	v_add3_u32 v58, v58, v26, 0x7fff
	s_wait_alu 0xf1ff
	v_add_co_ci_u32_e64 v38, null, 0, v38, s1
	v_bfe_u32 v29, v57, 16, 1
	v_or_b32_e32 v59, 0x400000, v57
	v_cmp_u_f32_e64 s0, v57, v57
	v_mul_f32_e32 v34, v25, v34
	v_add_nc_u32_e32 v54, 0x100, v54
	v_add3_u32 v29, v29, v57, 0x7fff
	v_add_nc_u32_e32 v42, 4, v42
	s_wait_alu 0xf1ff
	s_delay_alu instid0(VALU_DEP_2)
	v_cndmask_b32_e64 v57, v29, v59, s0
	v_cmp_u_f32_e64 s0, v26, v26
	v_add3_u32 v26, v61, v33, 0x7fff
	v_bfe_u32 v61, v34, 16, 1
	v_and_b32_e32 v59, 0xffff0000, v35
	v_and_b32_e32 v29, 0xffff0000, v30
	s_wait_alu 0xf1ff
	v_cndmask_b32_e64 v58, v58, v60, s0
	v_or_b32_e32 v60, 0x400000, v33
	v_cmp_u_f32_e64 s0, v33, v33
	v_lshlrev_b32_e32 v35, 16, v35
	s_delay_alu instid0(VALU_DEP_4)
	v_dual_mul_f32 v59, v29, v59 :: v_dual_and_b32 v58, 0xffff0000, v58
	v_and_b32_e32 v57, 0xffff0000, v57
	s_wait_alu 0xf1ff
	v_cndmask_b32_e64 v33, v26, v60, s0
	v_add3_u32 v60, v61, v34, 0x7fff
	v_or_b32_e32 v61, 0x400000, v34
	v_cmp_u_f32_e64 s0, v34, v34
	v_dual_add_f32 v57, v58, v57 :: v_dual_lshlrev_b32 v30, 16, v30
	v_and_b32_e32 v33, 0xffff0000, v33
	v_bfe_u32 v62, v59, 16, 1
	s_wait_alu 0xf1ff
	v_cndmask_b32_e64 v34, v60, v61, s0
	v_dual_mul_f32 v35, v30, v35 :: v_dual_and_b32 v26, 0xffff0000, v32
	v_cmp_u_f32_e64 s0, v59, v59
	v_add3_u32 v61, v62, v59, 0x7fff
	s_delay_alu instid0(VALU_DEP_4) | instskip(NEXT) | instid1(VALU_DEP_4)
	v_and_b32_e32 v34, 0xffff0000, v34
	v_bfe_u32 v60, v35, 16, 1
	v_mul_f32_e32 v62, v26, v63
	v_or_b32_e32 v63, 0x400000, v59
	v_or_b32_e32 v64, 0x400000, v35
	v_dual_add_f32 v33, v34, v33 :: v_dual_lshlrev_b32 v32, 16, v32
	v_add3_u32 v60, v60, v35, 0x7fff
	s_wait_alu 0xf1ff
	v_cndmask_b32_e64 v59, v61, v63, s0
	v_cmp_u_f32_e64 s0, v35, v35
	v_dual_add_f32 v33, v33, v57 :: v_dual_mul_f32 v36, v32, v36
	v_bfe_u32 v65, v62, 16, 1
	v_and_b32_e32 v57, 0xffff0000, v21
	s_wait_alu 0xf1ff
	v_cndmask_b32_e64 v35, v60, v64, s0
	v_or_b32_e32 v64, 0x400000, v62
	v_bfe_u32 v66, v36, 16, 1
	v_or_b32_e32 v63, 0x400000, v36
	v_cmp_u_f32_e64 s0, v36, v36
	v_add3_u32 v60, v65, v62, 0x7fff
	v_lshlrev_b32_e32 v21, 16, v21
	v_add3_u32 v61, v66, v36, 0x7fff
	v_and_b32_e32 v34, 0xffff0000, v35
	v_and_b32_e32 v35, 0xffff0000, v59
	;; [unrolled: 1-line block ×3, first 2 shown]
	v_mul_f32_e32 v21, v28, v21
	s_wait_alu 0xf1ff
	v_cndmask_b32_e64 v36, v61, v63, s0
	v_cmp_u_f32_e64 s0, v62, v62
	v_add_f32_e32 v34, v34, v35
	v_lshlrev_b32_e32 v24, 16, v24
	s_delay_alu instid0(VALU_DEP_4) | instskip(SKIP_2) | instid1(VALU_DEP_3)
	v_and_b32_e32 v35, 0xffff0000, v36
	s_wait_alu 0xf1ff
	v_cndmask_b32_e64 v58, v60, v64, s0
	v_dual_add_f32 v33, v34, v33 :: v_dual_mul_f32 v24, v32, v24
	s_delay_alu instid0(VALU_DEP_2) | instskip(SKIP_1) | instid1(VALU_DEP_2)
	v_and_b32_e32 v36, 0xffff0000, v58
	v_or_b32_e32 v58, 0x400000, v21
	v_add_f32_e32 v34, v35, v36
	v_mul_f32_e32 v35, v31, v57
	v_and_b32_e32 v57, 0xffff0000, v22
	v_bfe_u32 v36, v21, 16, 1
	s_delay_alu instid0(VALU_DEP_4) | instskip(NEXT) | instid1(VALU_DEP_4)
	v_dual_add_f32 v33, v34, v33 :: v_dual_lshlrev_b32 v22, 16, v22
	v_bfe_u32 v34, v35, 16, 1
	s_delay_alu instid0(VALU_DEP_4)
	v_mul_f32_e32 v57, v27, v57
	v_cmp_u_f32_e64 s0, v35, v35
	v_add3_u32 v36, v36, v21, 0x7fff
	v_add_f32_e32 v46, v46, v33
	v_add3_u32 v33, v34, v35, 0x7fff
	v_or_b32_e32 v34, 0x400000, v35
	v_dual_mul_f32 v22, v25, v22 :: v_dual_and_b32 v35, 0xffff0000, v23
	v_lshlrev_b32_e32 v23, 16, v23
	s_wait_alu 0xf1ff
	s_delay_alu instid0(VALU_DEP_3) | instskip(SKIP_3) | instid1(VALU_DEP_4)
	v_cndmask_b32_e64 v33, v33, v34, s0
	v_bfe_u32 v34, v57, 16, 1
	v_cmp_u_f32_e64 s0, v21, v21
	v_mul_f32_e32 v35, v29, v35
	v_and_b32_e32 v33, 0xffff0000, v33
	s_delay_alu instid0(VALU_DEP_4)
	v_add3_u32 v34, v34, v57, 0x7fff
	s_wait_alu 0xf1ff
	v_cndmask_b32_e64 v21, v36, v58, s0
	v_or_b32_e32 v36, 0x400000, v57
	v_bfe_u32 v58, v22, 16, 1
	v_cmp_u_f32_e64 s0, v57, v57
	v_or_b32_e32 v57, 0x400000, v22
	v_and_b32_e32 v21, 0xffff0000, v21
	s_wait_alu 0xf1ff
	s_delay_alu instid0(VALU_DEP_3) | instskip(SKIP_3) | instid1(VALU_DEP_4)
	v_cndmask_b32_e64 v34, v34, v36, s0
	v_add3_u32 v36, v58, v22, 0x7fff
	v_cmp_u_f32_e64 s0, v22, v22
	v_bfe_u32 v58, v35, 16, 1
	v_and_b32_e32 v34, 0xffff0000, v34
	s_wait_alu 0xf1ff
	s_delay_alu instid0(VALU_DEP_3)
	v_cndmask_b32_e64 v22, v36, v57, s0
	v_mul_f32_e32 v23, v30, v23
	v_add3_u32 v36, v58, v35, 0x7fff
	v_mul_f32_e32 v57, v26, v59
	v_or_b32_e32 v58, 0x400000, v35
	v_cmp_u_f32_e64 s0, v35, v35
	v_and_b32_e32 v22, 0xffff0000, v22
	v_bfe_u32 v60, v23, 16, 1
	v_bfe_u32 v61, v57, 16, 1
	s_wait_alu 0xf1ff
	v_cndmask_b32_e64 v35, v36, v58, s0
	v_cmp_u_f32_e64 s0, v23, v23
	v_add3_u32 v59, v60, v23, 0x7fff
	v_or_b32_e32 v60, 0x400000, v23
	v_add3_u32 v36, v61, v57, 0x7fff
	v_or_b32_e32 v58, 0x400000, v57
	v_add_f32_e32 v22, v22, v34
	s_wait_alu 0xf1ff
	v_cndmask_b32_e64 v23, v59, v60, s0
	v_bfe_u32 v59, v24, 16, 1
	v_cmp_u_f32_e64 s0, v57, v57
	s_delay_alu instid0(VALU_DEP_3) | instskip(NEXT) | instid1(VALU_DEP_3)
	v_and_b32_e32 v23, 0xffff0000, v23
	v_add3_u32 v57, v59, v24, 0x7fff
	s_wait_alu 0xf1ff
	s_delay_alu instid0(VALU_DEP_3) | instskip(SKIP_3) | instid1(VALU_DEP_1)
	v_cndmask_b32_e64 v36, v36, v58, s0
	v_or_b32_e32 v58, 0x400000, v24
	v_cmp_u_f32_e64 s0, v24, v24
	s_wait_alu 0xf1ff
	v_cndmask_b32_e64 v24, v57, v58, s0
	v_add_f32_e32 v21, v21, v33
	v_and_b32_e32 v33, 0xffff0000, v35
	v_and_b32_e32 v35, 0xffff0000, v18
	;; [unrolled: 1-line block ×3, first 2 shown]
	s_delay_alu instid0(VALU_DEP_4) | instskip(NEXT) | instid1(VALU_DEP_3)
	v_dual_add_f32 v21, v22, v21 :: v_dual_and_b32 v24, 0xffff0000, v24
	v_dual_mul_f32 v35, v27, v35 :: v_dual_lshlrev_b32 v18, 16, v18
	s_delay_alu instid0(VALU_DEP_3)
	v_mul_f32_e32 v22, v31, v34
	v_add_f32_e32 v23, v23, v33
	v_and_b32_e32 v33, 0xffff0000, v36
	v_lshlrev_b32_e32 v17, 16, v17
	v_and_b32_e32 v57, 0xffff0000, v20
	v_bfe_u32 v34, v22, 16, 1
	v_cmp_u_f32_e64 s0, v22, v22
	v_add_f32_e32 v24, v24, v33
	v_dual_add_f32 v21, v23, v21 :: v_dual_lshlrev_b32 v20, 16, v20
	s_delay_alu instid0(VALU_DEP_4) | instskip(SKIP_2) | instid1(VALU_DEP_4)
	v_add3_u32 v33, v34, v22, 0x7fff
	v_or_b32_e32 v34, 0x400000, v22
	v_mul_f32_e32 v18, v25, v18
	v_mul_f32_e32 v20, v32, v20
	s_wait_alu 0xf1ff
	s_delay_alu instid0(VALU_DEP_3) | instskip(SKIP_3) | instid1(VALU_DEP_4)
	v_cndmask_b32_e64 v22, v33, v34, s0
	v_mul_f32_e32 v17, v28, v17
	v_bfe_u32 v33, v35, 16, 1
	v_or_b32_e32 v34, 0x400000, v35
	v_and_b32_e32 v22, 0xffff0000, v22
	s_delay_alu instid0(VALU_DEP_4) | instskip(SKIP_3) | instid1(VALU_DEP_4)
	v_bfe_u32 v23, v17, 16, 1
	v_or_b32_e32 v36, 0x400000, v17
	v_cmp_u_f32_e64 s0, v17, v17
	v_add3_u32 v33, v33, v35, 0x7fff
	v_add3_u32 v23, v23, v17, 0x7fff
	s_wait_alu 0xf1ff
	s_delay_alu instid0(VALU_DEP_1)
	v_cndmask_b32_e64 v17, v23, v36, s0
	v_bfe_u32 v36, v18, 16, 1
	v_cmp_u_f32_e64 s0, v35, v35
	v_or_b32_e32 v35, 0x400000, v18
	v_and_b32_e32 v23, 0xffff0000, v19
	v_and_b32_e32 v17, 0xffff0000, v17
	v_lshlrev_b32_e32 v19, 16, v19
	s_wait_alu 0xf1ff
	v_cndmask_b32_e64 v33, v33, v34, s0
	v_add3_u32 v34, v36, v18, 0x7fff
	v_cmp_u_f32_e64 s0, v18, v18
	v_mul_f32_e32 v23, v29, v23
	v_add_f32_e32 v17, v17, v22
	v_and_b32_e32 v33, 0xffff0000, v33
	v_mul_f32_e32 v19, v30, v19
	s_wait_alu 0xf1ff
	v_cndmask_b32_e64 v18, v34, v35, s0
	s_delay_alu instid0(VALU_DEP_2) | instskip(NEXT) | instid1(VALU_DEP_2)
	v_bfe_u32 v58, v19, 16, 1
	v_dual_add_f32 v21, v24, v21 :: v_dual_and_b32 v18, 0xffff0000, v18
	v_and_b32_e32 v24, 0xffff0000, v16
	v_lshlrev_b32_e32 v16, 16, v16
	s_delay_alu instid0(VALU_DEP_3) | instskip(NEXT) | instid1(VALU_DEP_4)
	v_add_f32_e32 v18, v18, v33
	v_add_f32_e32 v47, v47, v21
	v_and_b32_e32 v21, 0xffff0000, v14
	v_lshlrev_b32_e32 v14, 16, v14
	s_delay_alu instid0(VALU_DEP_4)
	v_dual_mul_f32 v16, v32, v16 :: v_dual_add_f32 v17, v18, v17
	v_and_b32_e32 v18, 0xffff0000, v13
	v_bfe_u32 v36, v23, 16, 1
	v_cmp_u_f32_e64 s0, v23, v23
	v_lshlrev_b32_e32 v13, 16, v13
	v_mul_f32_e32 v21, v27, v21
	v_mul_f32_e32 v18, v31, v18
	v_add3_u32 v34, v36, v23, 0x7fff
	v_or_b32_e32 v36, 0x400000, v23
	v_mul_f32_e32 v14, v25, v14
	s_wait_alu 0xf1ff
	s_delay_alu instid0(VALU_DEP_2)
	v_cndmask_b32_e64 v23, v34, v36, s0
	v_mul_f32_e32 v35, v26, v57
	v_add3_u32 v57, v58, v19, 0x7fff
	v_or_b32_e32 v58, 0x400000, v19
	v_cmp_u_f32_e64 s0, v19, v19
	v_and_b32_e32 v22, 0xffff0000, v23
	v_bfe_u32 v59, v35, 16, 1
	v_or_b32_e32 v36, 0x400000, v35
	v_mul_f32_e32 v23, v28, v13
	s_wait_alu 0xf1ff
	v_cndmask_b32_e64 v19, v57, v58, s0
	v_bfe_u32 v57, v20, 16, 1
	v_add3_u32 v34, v59, v35, 0x7fff
	v_cmp_u_f32_e64 s0, v35, v35
	s_delay_alu instid0(VALU_DEP_4) | instskip(NEXT) | instid1(VALU_DEP_4)
	v_and_b32_e32 v19, 0xffff0000, v19
	v_add3_u32 v35, v57, v20, 0x7fff
	s_wait_alu 0xf1ff
	s_delay_alu instid0(VALU_DEP_3) | instskip(SKIP_3) | instid1(VALU_DEP_4)
	v_cndmask_b32_e64 v34, v34, v36, s0
	v_or_b32_e32 v36, 0x400000, v20
	v_cmp_u_f32_e64 s0, v20, v20
	v_add_f32_e32 v19, v19, v22
	v_and_b32_e32 v22, 0xffff0000, v34
	s_wait_alu 0xf1ff
	s_delay_alu instid0(VALU_DEP_3) | instskip(NEXT) | instid1(VALU_DEP_3)
	v_cndmask_b32_e64 v20, v35, v36, s0
	v_add_f32_e32 v13, v19, v17
	v_bfe_u32 v19, v18, 16, 1
	v_cmp_u_f32_e64 s0, v18, v18
	s_delay_alu instid0(VALU_DEP_4) | instskip(NEXT) | instid1(VALU_DEP_1)
	v_and_b32_e32 v20, 0xffff0000, v20
	v_add_f32_e32 v17, v20, v22
	v_bfe_u32 v20, v23, 16, 1
	v_or_b32_e32 v22, 0x400000, v23
	s_delay_alu instid0(VALU_DEP_3)
	v_add_f32_e32 v13, v17, v13
	v_add3_u32 v17, v19, v18, 0x7fff
	v_or_b32_e32 v19, 0x400000, v18
	v_add3_u32 v20, v20, v23, 0x7fff
	v_bfe_u32 v18, v21, 16, 1
	s_wait_alu 0xf1ff
	s_delay_alu instid0(VALU_DEP_3) | instskip(SKIP_1) | instid1(VALU_DEP_3)
	v_cndmask_b32_e64 v17, v17, v19, s0
	v_cmp_u_f32_e64 s0, v23, v23
	v_add3_u32 v18, v18, v21, 0x7fff
	v_bfe_u32 v23, v14, 16, 1
	s_delay_alu instid0(VALU_DEP_4)
	v_and_b32_e32 v17, 0xffff0000, v17
	s_wait_alu 0xf1ff
	v_cndmask_b32_e64 v19, v20, v22, s0
	v_and_b32_e32 v20, 0xffff0000, v15
	v_or_b32_e32 v22, 0x400000, v21
	v_lshlrev_b32_e32 v15, 16, v15
	v_cmp_u_f32_e64 s0, v21, v21
	v_add3_u32 v21, v23, v14, 0x7fff
	v_dual_mul_f32 v20, v29, v20 :: v_dual_and_b32 v19, 0xffff0000, v19
	s_delay_alu instid0(VALU_DEP_4)
	v_mul_f32_e32 v15, v30, v15
	s_wait_alu 0xf1ff
	v_cndmask_b32_e64 v18, v18, v22, s0
	v_or_b32_e32 v22, 0x400000, v14
	v_bfe_u32 v23, v20, 16, 1
	v_cmp_u_f32_e64 s0, v14, v14
	v_bfe_u32 v33, v15, 16, 1
	v_dual_add_f32 v17, v19, v17 :: v_dual_and_b32 v18, 0xffff0000, v18
	v_and_b32_e32 v19, 0xffff0000, v9
	s_wait_alu 0xf1ff
	v_cndmask_b32_e64 v14, v21, v22, s0
	v_add3_u32 v21, v23, v20, 0x7fff
	v_mul_f32_e32 v22, v26, v24
	v_or_b32_e32 v23, 0x400000, v20
	v_cmp_u_f32_e64 s0, v20, v20
	v_add3_u32 v24, v33, v15, 0x7fff
	v_or_b32_e32 v33, 0x400000, v15
	v_bfe_u32 v34, v22, 16, 1
	v_and_b32_e32 v14, 0xffff0000, v14
	s_wait_alu 0xf1ff
	v_cndmask_b32_e64 v20, v21, v23, s0
	v_cmp_u_f32_e64 s0, v15, v15
	v_or_b32_e32 v23, 0x400000, v22
	v_add3_u32 v21, v34, v22, 0x7fff
	v_add_f32_e32 v14, v14, v18
	v_and_b32_e32 v18, 0xffff0000, v20
	s_wait_alu 0xf1ff
	v_cndmask_b32_e64 v15, v24, v33, s0
	v_bfe_u32 v24, v16, 16, 1
	v_cmp_u_f32_e64 s0, v22, v22
	v_lshlrev_b32_e32 v9, 16, v9
	s_delay_alu instid0(VALU_DEP_4) | instskip(NEXT) | instid1(VALU_DEP_4)
	v_dual_add_f32 v14, v14, v17 :: v_dual_and_b32 v15, 0xffff0000, v15
	v_add3_u32 v22, v24, v16, 0x7fff
	s_wait_alu 0xf1ff
	v_cndmask_b32_e64 v21, v21, v23, s0
	v_or_b32_e32 v23, 0x400000, v16
	v_cmp_u_f32_e64 s0, v16, v16
	v_mul_f32_e32 v17, v31, v19
	v_add_f32_e32 v15, v15, v18
	v_mul_f32_e32 v9, v28, v9
	v_and_b32_e32 v18, 0xffff0000, v21
	s_wait_alu 0xf1ff
	v_cndmask_b32_e64 v16, v22, v23, s0
	v_and_b32_e32 v19, 0xffff0000, v10
	v_bfe_u32 v20, v17, 16, 1
	v_add_f32_e32 v14, v15, v14
	v_bfe_u32 v15, v9, 16, 1
	v_and_b32_e32 v16, 0xffff0000, v16
	v_lshlrev_b32_e32 v10, 16, v10
	v_cmp_u_f32_e64 s0, v17, v17
	v_or_b32_e32 v21, 0x400000, v9
	v_add3_u32 v15, v15, v9, 0x7fff
	v_add_f32_e32 v16, v16, v18
	v_mul_f32_e32 v18, v27, v19
	v_add3_u32 v19, v20, v17, 0x7fff
	v_or_b32_e32 v20, 0x400000, v17
	v_mul_f32_e32 v10, v25, v10
	v_add_f32_e32 v48, v48, v13
	v_bfe_u32 v22, v18, 16, 1
	s_wait_alu 0xf1ff
	v_cndmask_b32_e64 v17, v19, v20, s0
	v_cmp_u_f32_e64 s0, v9, v9
	v_and_b32_e32 v20, 0xffff0000, v11
	v_or_b32_e32 v19, 0x400000, v18
	v_lshlrev_b32_e32 v11, 16, v11
	v_and_b32_e32 v17, 0xffff0000, v17
	s_wait_alu 0xf1ff
	v_cndmask_b32_e64 v9, v15, v21, s0
	v_add3_u32 v15, v22, v18, 0x7fff
	v_bfe_u32 v21, v10, 16, 1
	v_cmp_u_f32_e64 s0, v18, v18
	v_dual_mul_f32 v18, v29, v20 :: v_dual_mul_f32 v11, v30, v11
	v_or_b32_e32 v20, 0x400000, v10
	v_and_b32_e32 v9, 0xffff0000, v9
	s_wait_alu 0xf1ff
	v_cndmask_b32_e64 v15, v15, v19, s0
	v_add3_u32 v19, v21, v10, 0x7fff
	v_and_b32_e32 v21, 0xffff0000, v12
	v_bfe_u32 v22, v18, 16, 1
	v_cmp_u_f32_e64 s0, v10, v10
	v_bfe_u32 v23, v11, 16, 1
	v_lshlrev_b32_e32 v12, 16, v12
	v_and_b32_e32 v15, 0xffff0000, v15
	s_wait_alu 0xf1ff
	v_cndmask_b32_e64 v10, v19, v20, s0
	v_mul_f32_e32 v19, v26, v21
	v_add3_u32 v20, v22, v18, 0x7fff
	v_or_b32_e32 v21, 0x400000, v18
	v_cmp_u_f32_e64 s0, v18, v18
	v_add3_u32 v22, v23, v11, 0x7fff
	v_or_b32_e32 v23, 0x400000, v11
	v_bfe_u32 v24, v19, 16, 1
	v_mul_f32_e32 v12, v32, v12
	s_wait_alu 0xf1ff
	v_cndmask_b32_e64 v18, v20, v21, s0
	v_cmp_u_f32_e64 s0, v11, v11
	v_or_b32_e32 v21, 0x400000, v19
	v_add3_u32 v20, v24, v19, 0x7fff
	v_and_b32_e32 v10, 0xffff0000, v10
	s_wait_alu 0xf1ff
	v_cndmask_b32_e64 v11, v22, v23, s0
	v_cmp_u_f32_e64 s0, v19, v19
	s_delay_alu instid0(VALU_DEP_3) | instskip(SKIP_2) | instid1(VALU_DEP_3)
	v_dual_add_f32 v10, v10, v15 :: v_dual_and_b32 v15, 0xffff0000, v5
	v_lshlrev_b32_e32 v5, 16, v5
	s_wait_alu 0xf1ff
	v_cndmask_b32_e64 v19, v20, v21, s0
	v_bfe_u32 v20, v12, 16, 1
	v_add_f32_e32 v9, v9, v17
	v_and_b32_e32 v17, 0xffff0000, v18
	v_cmp_u_f32_e64 s0, v12, v12
	v_and_b32_e32 v11, 0xffff0000, v11
	v_add3_u32 v18, v20, v12, 0x7fff
	v_or_b32_e32 v20, 0x400000, v12
	v_mul_f32_e32 v5, v28, v5
	s_delay_alu instid0(VALU_DEP_4) | instskip(SKIP_1) | instid1(VALU_DEP_3)
	v_add_f32_e32 v11, v11, v17
	s_wait_alu 0xf1ff
	v_cndmask_b32_e64 v12, v18, v20, s0
	v_dual_add_f32 v9, v10, v9 :: v_dual_and_b32 v18, 0xffff0000, v19
	v_mul_f32_e32 v10, v31, v15
	v_bfe_u32 v19, v5, 16, 1
	v_or_b32_e32 v20, 0x400000, v5
	v_and_b32_e32 v12, 0xffff0000, v12
	s_delay_alu instid0(VALU_DEP_4) | instskip(SKIP_2) | instid1(VALU_DEP_3)
	v_bfe_u32 v15, v10, 16, 1
	v_or_b32_e32 v17, 0x400000, v10
	v_cmp_u_f32_e64 s0, v10, v10
	v_add3_u32 v15, v15, v10, 0x7fff
	s_wait_alu 0xf1ff
	s_delay_alu instid0(VALU_DEP_1)
	v_cndmask_b32_e64 v10, v15, v17, s0
	v_add3_u32 v17, v19, v5, 0x7fff
	v_cmp_u_f32_e64 s0, v5, v5
	v_and_b32_e32 v19, 0xffff0000, v7
	v_lshlrev_b32_e32 v7, 16, v7
	v_and_b32_e32 v10, 0xffff0000, v10
	s_wait_alu 0xf1ff
	v_cndmask_b32_e64 v5, v17, v20, s0
	v_and_b32_e32 v20, 0xffff0000, v8
	v_dual_add_f32 v9, v11, v9 :: v_dual_lshlrev_b32 v8, 16, v8
	v_and_b32_e32 v11, 0xffff0000, v6
	v_dual_mul_f32 v19, v29, v19 :: v_dual_lshlrev_b32 v6, 16, v6
	v_mul_f32_e32 v7, v30, v7
	s_delay_alu instid0(VALU_DEP_3) | instskip(NEXT) | instid1(VALU_DEP_3)
	v_dual_mul_f32 v20, v26, v20 :: v_dual_mul_f32 v11, v27, v11
	v_mul_f32_e32 v6, v25, v6
	s_delay_alu instid0(VALU_DEP_4) | instskip(SKIP_1) | instid1(VALU_DEP_4)
	v_or_b32_e32 v22, 0x400000, v19
	v_dual_mul_f32 v8, v32, v8 :: v_dual_and_b32 v5, 0xffff0000, v5
	v_bfe_u32 v15, v11, 16, 1
	v_or_b32_e32 v21, 0x400000, v11
	v_bfe_u32 v17, v6, 16, 1
	v_cmp_u_f32_e64 s0, v11, v11
	v_add_f32_e32 v5, v5, v10
	v_add3_u32 v15, v15, v11, 0x7fff
	s_delay_alu instid0(VALU_DEP_4) | instskip(SKIP_1) | instid1(VALU_DEP_2)
	v_add3_u32 v17, v17, v6, 0x7fff
	s_wait_alu 0xf1ff
	v_cndmask_b32_e64 v11, v15, v21, s0
	v_bfe_u32 v15, v19, 16, 1
	v_or_b32_e32 v21, 0x400000, v6
	v_cmp_u_f32_e64 s0, v6, v6
	s_delay_alu instid0(VALU_DEP_4) | instskip(NEXT) | instid1(VALU_DEP_4)
	v_and_b32_e32 v11, 0xffff0000, v11
	v_add3_u32 v15, v15, v19, 0x7fff
	s_wait_alu 0xf1ff
	s_delay_alu instid0(VALU_DEP_3)
	v_cndmask_b32_e64 v6, v17, v21, s0
	v_bfe_u32 v17, v7, 16, 1
	v_cmp_u_f32_e64 s0, v19, v19
	v_bfe_u32 v21, v20, 16, 1
	v_or_b32_e32 v19, 0x400000, v7
	v_and_b32_e32 v6, 0xffff0000, v6
	v_add3_u32 v17, v17, v7, 0x7fff
	s_wait_alu 0xf1ff
	v_cndmask_b32_e64 v15, v15, v22, s0
	v_cmp_u_f32_e64 s0, v7, v7
	v_add3_u32 v21, v21, v20, 0x7fff
	v_or_b32_e32 v22, 0x400000, v20
	v_add_f32_e32 v6, v6, v11
	v_and_b32_e32 v10, 0xffff0000, v15
	s_wait_alu 0xf1ff
	v_cndmask_b32_e64 v7, v17, v19, s0
	v_cmp_u_f32_e64 s0, v20, v20
	v_bfe_u32 v19, v8, 16, 1
	v_or_b32_e32 v20, 0x400000, v8
	s_delay_alu instid0(VALU_DEP_4)
	v_and_b32_e32 v7, 0xffff0000, v7
	s_wait_alu 0xf1ff
	v_cndmask_b32_e64 v17, v21, v22, s0
	v_and_b32_e32 v21, 0xffff0000, v1
	v_add3_u32 v19, v19, v8, 0x7fff
	v_lshlrev_b32_e32 v1, 16, v1
	v_cmp_u_f32_e64 s0, v8, v8
	v_add_f32_e32 v7, v7, v10
	v_dual_mul_f32 v11, v31, v21 :: v_dual_and_b32 v10, 0xffff0000, v2
	s_delay_alu instid0(VALU_DEP_4)
	v_mul_f32_e32 v1, v28, v1
	s_wait_alu 0xf1ff
	v_cndmask_b32_e64 v8, v19, v20, s0
	v_dual_add_f32 v5, v6, v5 :: v_dual_and_b32 v20, 0xffff0000, v3
	v_and_b32_e32 v21, 0xffff0000, v4
	v_lshlrev_b32_e32 v4, 16, v4
	v_bfe_u32 v6, v11, 16, 1
	v_or_b32_e32 v15, 0x400000, v11
	v_bfe_u32 v19, v1, 16, 1
	v_mul_f32_e32 v10, v27, v10
	v_lshlrev_b32_e32 v2, 16, v2
	v_add3_u32 v6, v6, v11, 0x7fff
	v_cmp_u_f32_e64 s0, v11, v11
	v_add3_u32 v11, v19, v1, 0x7fff
	v_bfe_u32 v19, v10, 16, 1
	v_mul_f32_e32 v2, v25, v2
	v_mul_f32_e32 v20, v29, v20
	s_wait_alu 0xf1ff
	v_cndmask_b32_e64 v6, v6, v15, s0
	v_or_b32_e32 v15, 0x400000, v1
	v_cmp_u_f32_e64 s0, v1, v1
	v_dual_mul_f32 v4, v32, v4 :: v_dual_lshlrev_b32 v3, 16, v3
	s_delay_alu instid0(VALU_DEP_4)
	v_and_b32_e32 v6, 0xffff0000, v6
	v_and_b32_e32 v8, 0xffff0000, v8
	s_wait_alu 0xf1ff
	v_cndmask_b32_e64 v1, v11, v15, s0
	v_add3_u32 v11, v19, v10, 0x7fff
	v_or_b32_e32 v15, 0x400000, v10
	v_bfe_u32 v19, v2, 16, 1
	v_cmp_u_f32_e64 s0, v10, v10
	v_bfe_u32 v24, v4, 16, 1
	v_and_b32_e32 v1, 0xffff0000, v1
	s_wait_alu 0xf1ff
	s_delay_alu instid0(VALU_DEP_3) | instskip(SKIP_3) | instid1(VALU_DEP_4)
	v_cndmask_b32_e64 v10, v11, v15, s0
	v_add3_u32 v11, v19, v2, 0x7fff
	v_or_b32_e32 v15, 0x400000, v2
	v_bfe_u32 v19, v20, 16, 1
	v_dual_mul_f32 v3, v30, v3 :: v_dual_and_b32 v10, 0xffff0000, v10
	v_cmp_u_f32_e64 s0, v2, v2
	v_add_f32_e32 v1, v1, v6
	s_delay_alu instid0(VALU_DEP_3) | instskip(SKIP_1) | instid1(VALU_DEP_3)
	v_or_b32_e32 v22, 0x400000, v3
	s_wait_alu 0xf1ff
	v_cndmask_b32_e64 v2, v11, v15, s0
	v_bfe_u32 v11, v3, 16, 1
	v_add3_u32 v15, v19, v20, 0x7fff
	v_mul_f32_e32 v19, v26, v21
	v_or_b32_e32 v21, 0x400000, v20
	v_cmp_u_f32_e64 s0, v20, v20
	v_add3_u32 v11, v11, v3, 0x7fff
	v_add3_u32 v20, v24, v4, 0x7fff
	v_bfe_u32 v23, v19, 16, 1
	v_and_b32_e32 v2, 0xffff0000, v2
	s_wait_alu 0xf1ff
	v_cndmask_b32_e64 v15, v15, v21, s0
	v_cmp_u_f32_e64 s0, v3, v3
	v_or_b32_e32 v21, 0x400000, v4
	v_add_f32_e32 v2, v2, v10
	s_delay_alu instid0(VALU_DEP_4)
	v_and_b32_e32 v6, 0xffff0000, v15
	s_wait_alu 0xf1ff
	v_cndmask_b32_e64 v3, v11, v22, s0
	v_cmp_u_f32_e64 s0, v4, v4
	v_add3_u32 v11, v23, v19, 0x7fff
	v_or_b32_e32 v22, 0x400000, v19
	v_add_f32_e32 v1, v2, v1
	v_and_b32_e32 v3, 0xffff0000, v3
	s_wait_alu 0xf1ff
	v_cndmask_b32_e64 v4, v20, v21, s0
	v_cmp_u_f32_e64 s0, v19, v19
	v_add_f32_e32 v5, v7, v5
	s_delay_alu instid0(VALU_DEP_3) | instskip(SKIP_1) | instid1(VALU_DEP_3)
	v_dual_add_f32 v2, v3, v6 :: v_dual_and_b32 v3, 0xffff0000, v4
	s_wait_alu 0xf1ff
	v_cndmask_b32_e64 v10, v11, v22, s0
	v_dual_add_f32 v6, v12, v18 :: v_dual_and_b32 v11, 0xffff0000, v17
	s_delay_alu instid0(VALU_DEP_3) | instskip(SKIP_1) | instid1(VALU_DEP_3)
	v_add_f32_e32 v1, v2, v1
	v_cmp_le_i32_e64 s0, s13, v42
	v_dual_add_f32 v7, v8, v11 :: v_dual_and_b32 v4, 0xffff0000, v10
	s_or_b32 s7, s0, s7
	s_delay_alu instid0(VALU_DEP_1) | instskip(SKIP_1) | instid1(VALU_DEP_3)
	v_dual_add_f32 v2, v3, v4 :: v_dual_add_f32 v3, v16, v14
	v_add_f32_e32 v4, v6, v9
	v_add_f32_e32 v5, v7, v5
	s_delay_alu instid0(VALU_DEP_3) | instskip(NEXT) | instid1(VALU_DEP_3)
	v_add_f32_e32 v1, v2, v1
	v_dual_add_f32 v49, v49, v3 :: v_dual_add_f32 v50, v50, v4
	s_delay_alu instid0(VALU_DEP_3) | instskip(NEXT) | instid1(VALU_DEP_3)
	v_add_f32_e32 v52, v52, v5
	v_add_f32_e32 v51, v51, v1
	s_wait_alu 0xfffe
	s_and_not1_b32 exec_lo, exec_lo, s7
	s_cbranch_execz .LBB167_53
.LBB167_36:                             ; =>This Inner Loop Header: Depth=1
	global_load_b32 v1, v[37:38], off
	s_wait_loadcnt 0x0
	s_wait_alu 0xfffe
	v_mad_co_i64_i32 v[1:2], null, v1, s5, 0
	s_delay_alu instid0(VALU_DEP_1) | instskip(NEXT) | instid1(VALU_DEP_1)
	v_lshlrev_b64_e32 v[1:2], 1, v[1:2]
	v_add_co_u32 v57, s0, s2, v1
	s_wait_alu 0xf1ff
	s_delay_alu instid0(VALU_DEP_2) | instskip(NEXT) | instid1(VALU_DEP_2)
	v_add_co_ci_u32_e64 v58, null, s3, v2, s0
	v_add_co_u32 v33, s0, v57, v55
	s_wait_alu 0xf1ff
	s_delay_alu instid0(VALU_DEP_2)
	v_add_co_ci_u32_e64 v34, null, 0, v58, s0
	v_cmp_eq_u32_e64 s0, s6, v42
	global_load_b128 v[1:4], v[33:34], off
	ds_load_2addr_b64 v[29:32], v54 offset1:1
	ds_load_2addr_b64 v[25:28], v54 offset0:2 offset1:3
	s_and_saveexec_b32 s15, s0
	s_cbranch_execnz .LBB167_47
; %bb.37:                               ;   in Loop: Header=BB167_36 Depth=1
	s_or_b32 exec_lo, exec_lo, s15
	global_load_b128 v[5:8], v[33:34], off offset:512
	s_and_saveexec_b32 s15, s0
	s_cbranch_execnz .LBB167_48
.LBB167_38:                             ;   in Loop: Header=BB167_36 Depth=1
	s_or_b32 exec_lo, exec_lo, s15
	global_load_b128 v[9:12], v[33:34], off offset:1024
	s_and_saveexec_b32 s15, s0
	s_cbranch_execnz .LBB167_49
.LBB167_39:                             ;   in Loop: Header=BB167_36 Depth=1
	s_or_b32 exec_lo, exec_lo, s15
	global_load_b128 v[13:16], v[33:34], off offset:1536
	s_and_saveexec_b32 s15, s0
	s_cbranch_execnz .LBB167_50
.LBB167_40:                             ;   in Loop: Header=BB167_36 Depth=1
	s_or_b32 exec_lo, exec_lo, s15
	global_load_b128 v[17:20], v[33:34], off offset:2048
	s_and_saveexec_b32 s15, s0
	s_cbranch_execnz .LBB167_51
.LBB167_41:                             ;   in Loop: Header=BB167_36 Depth=1
	s_or_b32 exec_lo, exec_lo, s15
	global_load_b128 v[21:24], v[33:34], off offset:2560
	s_and_saveexec_b32 s15, s0
	s_cbranch_execnz .LBB167_52
.LBB167_42:                             ;   in Loop: Header=BB167_36 Depth=1
	s_or_b32 exec_lo, exec_lo, s15
	global_load_b128 v[33:36], v[33:34], off offset:3072
	s_and_saveexec_b32 s15, s0
	s_cbranch_execz .LBB167_44
.LBB167_43:                             ;   in Loop: Header=BB167_36 Depth=1
	v_add_nc_u32_e32 v59, 1, v53
	s_wait_loadcnt 0x0
	v_lshrrev_b32_e32 v60, 16, v33
	v_or_b32_e32 v61, 2, v53
	v_lshrrev_b32_e32 v62, 16, v34
	v_or_b32_e32 v63, 4, v53
	v_cmp_gt_i32_e64 s1, s9, v59
	v_or_b32_e32 v64, 7, v53
	v_lshrrev_b32_e32 v65, 16, v36
	s_wait_alu 0xf1ff
	s_delay_alu instid0(VALU_DEP_3) | instskip(SKIP_3) | instid1(VALU_DEP_2)
	v_cndmask_b32_e64 v59, 0, v60, s1
	v_cmp_gt_i32_e64 s1, s25, v53
	v_or_b32_e32 v60, 3, v53
	s_wait_alu 0xf1ff
	v_cndmask_b32_e64 v33, 0, v33, s1
	v_cmp_gt_i32_e64 s1, s25, v61
	v_or_b32_e32 v61, 5, v53
	s_delay_alu instid0(VALU_DEP_3) | instskip(SKIP_1) | instid1(VALU_DEP_3)
	v_perm_b32 v33, v59, v33, 0x5040100
	s_wait_alu 0xf1ff
	v_cndmask_b32_e64 v34, 0, v34, s1
	v_cmp_gt_i32_e64 s1, s9, v60
	s_wait_alu 0xf1ff
	s_delay_alu instid0(VALU_DEP_1) | instskip(SKIP_2) | instid1(VALU_DEP_3)
	v_cndmask_b32_e64 v60, 0, v62, s1
	v_cmp_gt_i32_e64 s1, s25, v63
	v_or_b32_e32 v63, 6, v53
	v_perm_b32 v34, v60, v34, 0x5040100
	s_wait_alu 0xf1ff
	s_delay_alu instid0(VALU_DEP_3) | instskip(SKIP_3) | instid1(VALU_DEP_1)
	v_cndmask_b32_e64 v62, 0, v35, s1
	v_lshrrev_b32_e32 v35, 16, v35
	v_cmp_gt_i32_e64 s1, s9, v61
	s_wait_alu 0xf1ff
	v_cndmask_b32_e64 v35, 0, v35, s1
	v_cmp_gt_i32_e64 s1, s25, v63
	s_delay_alu instid0(VALU_DEP_2) | instskip(SKIP_1) | instid1(VALU_DEP_2)
	v_perm_b32 v35, v35, v62, 0x5040100
	s_wait_alu 0xf1ff
	v_cndmask_b32_e64 v36, 0, v36, s1
	v_cmp_gt_i32_e64 s1, s9, v64
	s_wait_alu 0xf1ff
	s_delay_alu instid0(VALU_DEP_1) | instskip(NEXT) | instid1(VALU_DEP_1)
	v_cndmask_b32_e64 v61, 0, v65, s1
	v_perm_b32 v36, v61, v36, 0x5040100
.LBB167_44:                             ;   in Loop: Header=BB167_36 Depth=1
	s_or_b32 exec_lo, exec_lo, s15
	s_wait_dscnt 0x1
	v_bfe_u32 v59, v29, 16, 1
	v_bfe_u32 v60, v30, 16, 1
	v_or_b32_e32 v61, 0x400000, v29
	v_cmp_u_f32_e64 s1, v29, v29
	v_or_b32_e32 v62, 0x400000, v30
	v_add3_u32 v59, v59, v29, 0x7fff
	v_bfe_u32 v63, v31, 16, 1
	v_add3_u32 v60, v60, v30, 0x7fff
	v_bfe_u32 v64, v32, 16, 1
	s_wait_alu 0xf1ff
	v_cndmask_b32_e64 v29, v59, v61, s1
	v_cmp_u_f32_e64 s1, v30, v30
	v_add3_u32 v59, v63, v31, 0x7fff
	s_wait_dscnt 0x0
	v_bfe_u32 v61, v25, 16, 1
	v_or_b32_e32 v63, 0x400000, v32
	s_wait_alu 0xf1ff
	v_cndmask_b32_e64 v30, v60, v62, s1
	v_or_b32_e32 v60, 0x400000, v31
	v_cmp_u_f32_e64 s1, v31, v31
	v_add3_u32 v62, v64, v32, 0x7fff
	v_or_b32_e32 v64, 0x400000, v28
	s_wait_alu 0xf1ff
	s_delay_alu instid0(VALU_DEP_3)
	v_cndmask_b32_e64 v31, v59, v60, s1
	v_cmp_u_f32_e64 s1, v32, v32
	v_add3_u32 v59, v61, v25, 0x7fff
	v_or_b32_e32 v60, 0x400000, v25
	v_bfe_u32 v61, v26, 16, 1
	s_wait_alu 0xf1ff
	v_cndmask_b32_e64 v32, v62, v63, s1
	v_cmp_u_f32_e64 s1, v25, v25
	v_bfe_u32 v62, v27, 16, 1
	v_or_b32_e32 v63, 0x400000, v27
	s_wait_alu 0xf1ff
	s_delay_alu instid0(VALU_DEP_3)
	v_cndmask_b32_e64 v25, v59, v60, s1
	v_add3_u32 v60, v61, v26, 0x7fff
	v_or_b32_e32 v61, 0x400000, v26
	v_cmp_u_f32_e64 s1, v26, v26
	v_bfe_u32 v59, v28, 16, 1
	v_add3_u32 v62, v62, v27, 0x7fff
	s_wait_alu 0xf1ff
	s_delay_alu instid0(VALU_DEP_3) | instskip(SKIP_3) | instid1(VALU_DEP_2)
	v_cndmask_b32_e64 v26, v60, v61, s1
	v_cmp_u_f32_e64 s1, v27, v27
	v_add3_u32 v59, v59, v28, 0x7fff
	s_wait_alu 0xf1ff
	v_cndmask_b32_e64 v27, v62, v63, s1
	v_cmp_u_f32_e64 s1, v28, v28
	s_wait_alu 0xf1ff
	s_delay_alu instid0(VALU_DEP_1) | instskip(SKIP_3) | instid1(VALU_DEP_4)
	v_cndmask_b32_e64 v28, v59, v64, s1
	v_perm_b32 v59, v30, v29, 0x7060302
	v_perm_b32 v29, v32, v31, 0x7060302
	;; [unrolled: 1-line block ×4, first 2 shown]
	s_and_saveexec_b32 s15, vcc_lo
	s_cbranch_execz .LBB167_35
; %bb.45:                               ;   in Loop: Header=BB167_36 Depth=1
	v_add_co_u32 v25, s1, v57, v56
	s_wait_alu 0xf1ff
	v_add_co_ci_u32_e64 v26, null, 0, v58, s1
	global_load_b128 v[25:28], v[25:26], off
	s_and_saveexec_b32 s1, s0
	s_cbranch_execz .LBB167_34
; %bb.46:                               ;   in Loop: Header=BB167_36 Depth=1
	v_add_nc_u32_e32 v31, 1, v53
	s_wait_loadcnt 0x0
	v_lshrrev_b32_e32 v57, 16, v25
	v_or_b32_e32 v58, 2, v53
	v_lshrrev_b32_e32 v60, 16, v26
	v_or_b32_e32 v61, 4, v53
	v_cmp_gt_i32_e64 s0, s9, v31
	v_or_b32_e32 v62, 7, v53
	v_lshrrev_b32_e32 v63, 16, v28
	s_wait_alu 0xf1ff
	s_delay_alu instid0(VALU_DEP_3) | instskip(SKIP_3) | instid1(VALU_DEP_2)
	v_cndmask_b32_e64 v31, 0, v57, s0
	v_cmp_gt_i32_e64 s0, s25, v53
	v_or_b32_e32 v57, 3, v53
	s_wait_alu 0xf1ff
	v_cndmask_b32_e64 v25, 0, v25, s0
	v_cmp_gt_i32_e64 s0, s25, v58
	v_or_b32_e32 v58, 5, v53
	s_delay_alu instid0(VALU_DEP_3) | instskip(SKIP_1) | instid1(VALU_DEP_3)
	v_perm_b32 v25, v31, v25, 0x5040100
	s_wait_alu 0xf1ff
	v_cndmask_b32_e64 v26, 0, v26, s0
	v_cmp_gt_i32_e64 s0, s9, v57
	s_wait_alu 0xf1ff
	s_delay_alu instid0(VALU_DEP_1) | instskip(SKIP_2) | instid1(VALU_DEP_3)
	v_cndmask_b32_e64 v57, 0, v60, s0
	v_cmp_gt_i32_e64 s0, s25, v61
	v_or_b32_e32 v61, 6, v53
	v_perm_b32 v26, v57, v26, 0x5040100
	s_wait_alu 0xf1ff
	s_delay_alu instid0(VALU_DEP_3) | instskip(SKIP_3) | instid1(VALU_DEP_1)
	v_cndmask_b32_e64 v60, 0, v27, s0
	v_lshrrev_b32_e32 v27, 16, v27
	v_cmp_gt_i32_e64 s0, s9, v58
	s_wait_alu 0xf1ff
	v_cndmask_b32_e64 v27, 0, v27, s0
	v_cmp_gt_i32_e64 s0, s25, v61
	s_delay_alu instid0(VALU_DEP_2) | instskip(SKIP_1) | instid1(VALU_DEP_2)
	v_perm_b32 v27, v27, v60, 0x5040100
	s_wait_alu 0xf1ff
	v_cndmask_b32_e64 v28, 0, v28, s0
	v_cmp_gt_i32_e64 s0, s9, v62
	s_wait_alu 0xf1ff
	s_delay_alu instid0(VALU_DEP_1) | instskip(NEXT) | instid1(VALU_DEP_1)
	v_cndmask_b32_e64 v58, 0, v63, s0
	v_perm_b32 v28, v58, v28, 0x5040100
	s_branch .LBB167_34
.LBB167_47:                             ;   in Loop: Header=BB167_36 Depth=1
	v_add_nc_u32_e32 v5, 1, v53
	s_wait_loadcnt 0x0
	v_lshrrev_b32_e32 v6, 16, v1
	v_or_b32_e32 v7, 2, v53
	v_lshrrev_b32_e32 v8, 16, v2
	v_or_b32_e32 v9, 4, v53
	v_cmp_gt_i32_e64 s1, s9, v5
	v_or_b32_e32 v10, 7, v53
	v_lshrrev_b32_e32 v11, 16, v4
	s_wait_alu 0xf1ff
	s_delay_alu instid0(VALU_DEP_3) | instskip(SKIP_3) | instid1(VALU_DEP_2)
	v_cndmask_b32_e64 v5, 0, v6, s1
	v_cmp_gt_i32_e64 s1, s25, v53
	v_or_b32_e32 v6, 3, v53
	s_wait_alu 0xf1ff
	v_cndmask_b32_e64 v1, 0, v1, s1
	v_cmp_gt_i32_e64 s1, s25, v7
	v_or_b32_e32 v7, 5, v53
	s_delay_alu instid0(VALU_DEP_3) | instskip(SKIP_1) | instid1(VALU_DEP_3)
	v_perm_b32 v1, v5, v1, 0x5040100
	s_wait_alu 0xf1ff
	v_cndmask_b32_e64 v2, 0, v2, s1
	v_cmp_gt_i32_e64 s1, s9, v6
	s_wait_alu 0xf1ff
	s_delay_alu instid0(VALU_DEP_1) | instskip(SKIP_2) | instid1(VALU_DEP_3)
	v_cndmask_b32_e64 v6, 0, v8, s1
	v_cmp_gt_i32_e64 s1, s25, v9
	v_or_b32_e32 v9, 6, v53
	v_perm_b32 v2, v6, v2, 0x5040100
	s_wait_alu 0xf1ff
	s_delay_alu instid0(VALU_DEP_3) | instskip(SKIP_3) | instid1(VALU_DEP_1)
	v_cndmask_b32_e64 v8, 0, v3, s1
	v_lshrrev_b32_e32 v3, 16, v3
	v_cmp_gt_i32_e64 s1, s9, v7
	s_wait_alu 0xf1ff
	v_cndmask_b32_e64 v3, 0, v3, s1
	v_cmp_gt_i32_e64 s1, s25, v9
	s_delay_alu instid0(VALU_DEP_2) | instskip(SKIP_1) | instid1(VALU_DEP_2)
	v_perm_b32 v3, v3, v8, 0x5040100
	s_wait_alu 0xf1ff
	v_cndmask_b32_e64 v4, 0, v4, s1
	v_cmp_gt_i32_e64 s1, s9, v10
	s_wait_alu 0xf1ff
	s_delay_alu instid0(VALU_DEP_1) | instskip(NEXT) | instid1(VALU_DEP_1)
	v_cndmask_b32_e64 v7, 0, v11, s1
	v_perm_b32 v4, v7, v4, 0x5040100
	s_or_b32 exec_lo, exec_lo, s15
	global_load_b128 v[5:8], v[33:34], off offset:512
	s_and_saveexec_b32 s15, s0
	s_cbranch_execz .LBB167_38
.LBB167_48:                             ;   in Loop: Header=BB167_36 Depth=1
	v_add_nc_u32_e32 v9, 1, v53
	s_wait_loadcnt 0x0
	v_lshrrev_b32_e32 v10, 16, v5
	v_or_b32_e32 v11, 2, v53
	v_lshrrev_b32_e32 v12, 16, v6
	v_or_b32_e32 v13, 4, v53
	v_cmp_gt_i32_e64 s1, s9, v9
	v_or_b32_e32 v14, 7, v53
	v_lshrrev_b32_e32 v15, 16, v8
	s_wait_alu 0xf1ff
	s_delay_alu instid0(VALU_DEP_3) | instskip(SKIP_3) | instid1(VALU_DEP_2)
	v_cndmask_b32_e64 v9, 0, v10, s1
	v_cmp_gt_i32_e64 s1, s25, v53
	v_or_b32_e32 v10, 3, v53
	s_wait_alu 0xf1ff
	v_cndmask_b32_e64 v5, 0, v5, s1
	v_cmp_gt_i32_e64 s1, s25, v11
	v_or_b32_e32 v11, 5, v53
	s_delay_alu instid0(VALU_DEP_3) | instskip(SKIP_1) | instid1(VALU_DEP_3)
	v_perm_b32 v5, v9, v5, 0x5040100
	s_wait_alu 0xf1ff
	v_cndmask_b32_e64 v6, 0, v6, s1
	v_cmp_gt_i32_e64 s1, s9, v10
	s_wait_alu 0xf1ff
	s_delay_alu instid0(VALU_DEP_1) | instskip(SKIP_2) | instid1(VALU_DEP_3)
	v_cndmask_b32_e64 v10, 0, v12, s1
	v_cmp_gt_i32_e64 s1, s25, v13
	v_or_b32_e32 v13, 6, v53
	v_perm_b32 v6, v10, v6, 0x5040100
	s_wait_alu 0xf1ff
	s_delay_alu instid0(VALU_DEP_3) | instskip(SKIP_3) | instid1(VALU_DEP_1)
	v_cndmask_b32_e64 v12, 0, v7, s1
	v_lshrrev_b32_e32 v7, 16, v7
	v_cmp_gt_i32_e64 s1, s9, v11
	s_wait_alu 0xf1ff
	v_cndmask_b32_e64 v7, 0, v7, s1
	v_cmp_gt_i32_e64 s1, s25, v13
	s_delay_alu instid0(VALU_DEP_2) | instskip(SKIP_1) | instid1(VALU_DEP_2)
	v_perm_b32 v7, v7, v12, 0x5040100
	s_wait_alu 0xf1ff
	v_cndmask_b32_e64 v8, 0, v8, s1
	v_cmp_gt_i32_e64 s1, s9, v14
	s_wait_alu 0xf1ff
	s_delay_alu instid0(VALU_DEP_1) | instskip(NEXT) | instid1(VALU_DEP_1)
	v_cndmask_b32_e64 v11, 0, v15, s1
	v_perm_b32 v8, v11, v8, 0x5040100
	s_or_b32 exec_lo, exec_lo, s15
	global_load_b128 v[9:12], v[33:34], off offset:1024
	s_and_saveexec_b32 s15, s0
	s_cbranch_execz .LBB167_39
.LBB167_49:                             ;   in Loop: Header=BB167_36 Depth=1
	v_add_nc_u32_e32 v13, 1, v53
	s_wait_loadcnt 0x0
	v_lshrrev_b32_e32 v14, 16, v9
	v_or_b32_e32 v15, 2, v53
	v_lshrrev_b32_e32 v16, 16, v10
	v_or_b32_e32 v17, 4, v53
	v_cmp_gt_i32_e64 s1, s9, v13
	v_or_b32_e32 v18, 7, v53
	v_lshrrev_b32_e32 v19, 16, v12
	s_wait_alu 0xf1ff
	s_delay_alu instid0(VALU_DEP_3) | instskip(SKIP_3) | instid1(VALU_DEP_2)
	v_cndmask_b32_e64 v13, 0, v14, s1
	v_cmp_gt_i32_e64 s1, s25, v53
	v_or_b32_e32 v14, 3, v53
	s_wait_alu 0xf1ff
	v_cndmask_b32_e64 v9, 0, v9, s1
	v_cmp_gt_i32_e64 s1, s25, v15
	v_or_b32_e32 v15, 5, v53
	s_delay_alu instid0(VALU_DEP_3) | instskip(SKIP_1) | instid1(VALU_DEP_3)
	v_perm_b32 v9, v13, v9, 0x5040100
	s_wait_alu 0xf1ff
	v_cndmask_b32_e64 v10, 0, v10, s1
	v_cmp_gt_i32_e64 s1, s9, v14
	s_wait_alu 0xf1ff
	s_delay_alu instid0(VALU_DEP_1) | instskip(SKIP_2) | instid1(VALU_DEP_3)
	v_cndmask_b32_e64 v14, 0, v16, s1
	v_cmp_gt_i32_e64 s1, s25, v17
	v_or_b32_e32 v17, 6, v53
	v_perm_b32 v10, v14, v10, 0x5040100
	s_wait_alu 0xf1ff
	s_delay_alu instid0(VALU_DEP_3) | instskip(SKIP_3) | instid1(VALU_DEP_1)
	v_cndmask_b32_e64 v16, 0, v11, s1
	v_lshrrev_b32_e32 v11, 16, v11
	v_cmp_gt_i32_e64 s1, s9, v15
	s_wait_alu 0xf1ff
	v_cndmask_b32_e64 v11, 0, v11, s1
	v_cmp_gt_i32_e64 s1, s25, v17
	s_delay_alu instid0(VALU_DEP_2) | instskip(SKIP_1) | instid1(VALU_DEP_2)
	v_perm_b32 v11, v11, v16, 0x5040100
	s_wait_alu 0xf1ff
	v_cndmask_b32_e64 v12, 0, v12, s1
	v_cmp_gt_i32_e64 s1, s9, v18
	s_wait_alu 0xf1ff
	s_delay_alu instid0(VALU_DEP_1) | instskip(NEXT) | instid1(VALU_DEP_1)
	v_cndmask_b32_e64 v15, 0, v19, s1
	v_perm_b32 v12, v15, v12, 0x5040100
	s_or_b32 exec_lo, exec_lo, s15
	global_load_b128 v[13:16], v[33:34], off offset:1536
	s_and_saveexec_b32 s15, s0
	s_cbranch_execz .LBB167_40
.LBB167_50:                             ;   in Loop: Header=BB167_36 Depth=1
	v_add_nc_u32_e32 v17, 1, v53
	s_wait_loadcnt 0x0
	v_lshrrev_b32_e32 v18, 16, v13
	v_or_b32_e32 v19, 2, v53
	v_lshrrev_b32_e32 v20, 16, v14
	v_or_b32_e32 v21, 4, v53
	v_cmp_gt_i32_e64 s1, s9, v17
	v_or_b32_e32 v22, 7, v53
	v_lshrrev_b32_e32 v23, 16, v16
	s_wait_alu 0xf1ff
	s_delay_alu instid0(VALU_DEP_3) | instskip(SKIP_3) | instid1(VALU_DEP_2)
	v_cndmask_b32_e64 v17, 0, v18, s1
	v_cmp_gt_i32_e64 s1, s25, v53
	v_or_b32_e32 v18, 3, v53
	s_wait_alu 0xf1ff
	v_cndmask_b32_e64 v13, 0, v13, s1
	v_cmp_gt_i32_e64 s1, s25, v19
	v_or_b32_e32 v19, 5, v53
	s_delay_alu instid0(VALU_DEP_3) | instskip(SKIP_1) | instid1(VALU_DEP_3)
	v_perm_b32 v13, v17, v13, 0x5040100
	s_wait_alu 0xf1ff
	v_cndmask_b32_e64 v14, 0, v14, s1
	v_cmp_gt_i32_e64 s1, s9, v18
	s_wait_alu 0xf1ff
	s_delay_alu instid0(VALU_DEP_1) | instskip(SKIP_2) | instid1(VALU_DEP_3)
	v_cndmask_b32_e64 v18, 0, v20, s1
	v_cmp_gt_i32_e64 s1, s25, v21
	v_or_b32_e32 v21, 6, v53
	v_perm_b32 v14, v18, v14, 0x5040100
	s_wait_alu 0xf1ff
	s_delay_alu instid0(VALU_DEP_3) | instskip(SKIP_3) | instid1(VALU_DEP_1)
	v_cndmask_b32_e64 v20, 0, v15, s1
	v_lshrrev_b32_e32 v15, 16, v15
	v_cmp_gt_i32_e64 s1, s9, v19
	s_wait_alu 0xf1ff
	v_cndmask_b32_e64 v15, 0, v15, s1
	v_cmp_gt_i32_e64 s1, s25, v21
	s_delay_alu instid0(VALU_DEP_2) | instskip(SKIP_1) | instid1(VALU_DEP_2)
	v_perm_b32 v15, v15, v20, 0x5040100
	s_wait_alu 0xf1ff
	v_cndmask_b32_e64 v16, 0, v16, s1
	v_cmp_gt_i32_e64 s1, s9, v22
	s_wait_alu 0xf1ff
	s_delay_alu instid0(VALU_DEP_1) | instskip(NEXT) | instid1(VALU_DEP_1)
	v_cndmask_b32_e64 v19, 0, v23, s1
	v_perm_b32 v16, v19, v16, 0x5040100
	s_or_b32 exec_lo, exec_lo, s15
	global_load_b128 v[17:20], v[33:34], off offset:2048
	s_and_saveexec_b32 s15, s0
	s_cbranch_execz .LBB167_41
.LBB167_51:                             ;   in Loop: Header=BB167_36 Depth=1
	v_add_nc_u32_e32 v21, 1, v53
	s_wait_loadcnt 0x0
	v_lshrrev_b32_e32 v22, 16, v17
	v_or_b32_e32 v23, 2, v53
	v_lshrrev_b32_e32 v24, 16, v18
	v_or_b32_e32 v35, 4, v53
	v_cmp_gt_i32_e64 s1, s9, v21
	v_or_b32_e32 v36, 7, v53
	v_lshrrev_b32_e32 v59, 16, v20
	s_wait_alu 0xf1ff
	s_delay_alu instid0(VALU_DEP_3) | instskip(SKIP_3) | instid1(VALU_DEP_2)
	v_cndmask_b32_e64 v21, 0, v22, s1
	v_cmp_gt_i32_e64 s1, s25, v53
	v_or_b32_e32 v22, 3, v53
	s_wait_alu 0xf1ff
	v_cndmask_b32_e64 v17, 0, v17, s1
	v_cmp_gt_i32_e64 s1, s25, v23
	v_or_b32_e32 v23, 5, v53
	s_delay_alu instid0(VALU_DEP_3) | instskip(SKIP_1) | instid1(VALU_DEP_3)
	v_perm_b32 v17, v21, v17, 0x5040100
	s_wait_alu 0xf1ff
	v_cndmask_b32_e64 v18, 0, v18, s1
	v_cmp_gt_i32_e64 s1, s9, v22
	s_wait_alu 0xf1ff
	s_delay_alu instid0(VALU_DEP_1) | instskip(SKIP_2) | instid1(VALU_DEP_3)
	v_cndmask_b32_e64 v22, 0, v24, s1
	v_cmp_gt_i32_e64 s1, s25, v35
	v_or_b32_e32 v35, 6, v53
	v_perm_b32 v18, v22, v18, 0x5040100
	s_wait_alu 0xf1ff
	s_delay_alu instid0(VALU_DEP_3) | instskip(SKIP_3) | instid1(VALU_DEP_1)
	v_cndmask_b32_e64 v24, 0, v19, s1
	v_lshrrev_b32_e32 v19, 16, v19
	v_cmp_gt_i32_e64 s1, s9, v23
	s_wait_alu 0xf1ff
	v_cndmask_b32_e64 v19, 0, v19, s1
	v_cmp_gt_i32_e64 s1, s25, v35
	s_delay_alu instid0(VALU_DEP_2) | instskip(SKIP_1) | instid1(VALU_DEP_2)
	v_perm_b32 v19, v19, v24, 0x5040100
	s_wait_alu 0xf1ff
	v_cndmask_b32_e64 v20, 0, v20, s1
	v_cmp_gt_i32_e64 s1, s9, v36
	s_wait_alu 0xf1ff
	s_delay_alu instid0(VALU_DEP_1) | instskip(NEXT) | instid1(VALU_DEP_1)
	v_cndmask_b32_e64 v23, 0, v59, s1
	v_perm_b32 v20, v23, v20, 0x5040100
	s_or_b32 exec_lo, exec_lo, s15
	global_load_b128 v[21:24], v[33:34], off offset:2560
	s_and_saveexec_b32 s15, s0
	s_cbranch_execz .LBB167_42
.LBB167_52:                             ;   in Loop: Header=BB167_36 Depth=1
	v_add_nc_u32_e32 v35, 1, v53
	s_wait_loadcnt 0x0
	v_lshrrev_b32_e32 v36, 16, v21
	v_or_b32_e32 v59, 2, v53
	v_lshrrev_b32_e32 v60, 16, v22
	v_or_b32_e32 v61, 4, v53
	v_cmp_gt_i32_e64 s1, s9, v35
	v_or_b32_e32 v62, 7, v53
	v_lshrrev_b32_e32 v63, 16, v24
	s_wait_alu 0xf1ff
	s_delay_alu instid0(VALU_DEP_3) | instskip(SKIP_3) | instid1(VALU_DEP_2)
	v_cndmask_b32_e64 v35, 0, v36, s1
	v_cmp_gt_i32_e64 s1, s25, v53
	v_or_b32_e32 v36, 3, v53
	s_wait_alu 0xf1ff
	v_cndmask_b32_e64 v21, 0, v21, s1
	v_cmp_gt_i32_e64 s1, s25, v59
	v_or_b32_e32 v59, 5, v53
	s_delay_alu instid0(VALU_DEP_3) | instskip(SKIP_1) | instid1(VALU_DEP_3)
	v_perm_b32 v21, v35, v21, 0x5040100
	s_wait_alu 0xf1ff
	v_cndmask_b32_e64 v22, 0, v22, s1
	v_cmp_gt_i32_e64 s1, s9, v36
	s_wait_alu 0xf1ff
	s_delay_alu instid0(VALU_DEP_1) | instskip(SKIP_2) | instid1(VALU_DEP_3)
	v_cndmask_b32_e64 v36, 0, v60, s1
	v_cmp_gt_i32_e64 s1, s25, v61
	v_or_b32_e32 v61, 6, v53
	v_perm_b32 v22, v36, v22, 0x5040100
	s_wait_alu 0xf1ff
	s_delay_alu instid0(VALU_DEP_3) | instskip(SKIP_3) | instid1(VALU_DEP_1)
	v_cndmask_b32_e64 v60, 0, v23, s1
	v_lshrrev_b32_e32 v23, 16, v23
	v_cmp_gt_i32_e64 s1, s9, v59
	s_wait_alu 0xf1ff
	v_cndmask_b32_e64 v23, 0, v23, s1
	v_cmp_gt_i32_e64 s1, s25, v61
	s_delay_alu instid0(VALU_DEP_2) | instskip(SKIP_1) | instid1(VALU_DEP_2)
	v_perm_b32 v23, v23, v60, 0x5040100
	s_wait_alu 0xf1ff
	v_cndmask_b32_e64 v24, 0, v24, s1
	v_cmp_gt_i32_e64 s1, s9, v62
	s_wait_alu 0xf1ff
	s_delay_alu instid0(VALU_DEP_1) | instskip(NEXT) | instid1(VALU_DEP_1)
	v_cndmask_b32_e64 v59, 0, v63, s1
	v_perm_b32 v24, v59, v24, 0x5040100
	s_or_b32 exec_lo, exec_lo, s15
	global_load_b128 v[33:36], v[33:34], off offset:3072
	s_and_saveexec_b32 s15, s0
	s_cbranch_execnz .LBB167_43
	s_branch .LBB167_44
.LBB167_53:
	s_or_b32 exec_lo, exec_lo, s7
.LBB167_54:
	s_delay_alu instid0(SALU_CYCLE_1)
	s_or_b32 exec_lo, exec_lo, s4
	ds_bpermute_b32 v1, v44, v51
	ds_bpermute_b32 v2, v44, v52
	;; [unrolled: 1-line block ×8, first 2 shown]
	s_movk_i32 s0, 0x1e0
	v_and_b32_e32 v14, 0x3c0, v0
	s_wait_alu 0xfffe
	v_mad_u32_u24 v9, v41, s0, 0x110
	s_mov_b32 s1, exec_lo
	v_cmp_eq_u32_e32 vcc_lo, 0, v40
	s_wait_storecnt 0x0
	s_wait_loadcnt_dscnt 0x0
	s_barrier_signal -1
	s_barrier_wait -1
	global_inv scope:SCOPE_SE
	v_dual_add_f32 v8, v51, v1 :: v_dual_add_f32 v7, v52, v2
	v_dual_add_f32 v6, v50, v3 :: v_dual_add_f32 v5, v49, v4
	;; [unrolled: 1-line block ×4, first 2 shown]
	v_cmpx_eq_u32_e32 64, v14
	s_cbranch_execz .LBB167_59
; %bb.55:
	v_add_nc_u32_e32 v10, 0xfffffc40, v9
	s_and_saveexec_b32 s0, vcc_lo
	s_cbranch_execz .LBB167_57
; %bb.56:
	s_delay_alu instid0(VALU_DEP_1)
	v_lshl_add_u32 v11, v43, 2, v10
	ds_store_2addr_b32 v11, v8, v7 offset1:16
	ds_store_2addr_b32 v11, v6, v5 offset0:32 offset1:48
	ds_store_2addr_b32 v11, v4, v3 offset0:64 offset1:80
	ds_store_b32 v11, v2 offset:384
.LBB167_57:
	s_wait_alu 0xfffe
	s_or_b32 exec_lo, exec_lo, s0
	v_or_b32_e32 v11, 0x70, v43
	s_delay_alu instid0(VALU_DEP_1)
	v_cmp_gt_u32_e64 s0, 0x78, v11
	s_and_b32 s0, vcc_lo, s0
	s_wait_alu 0xfffe
	s_and_b32 exec_lo, exec_lo, s0
; %bb.58:
	v_lshl_add_u32 v10, v11, 2, v10
	ds_store_b32 v10, v1
.LBB167_59:
	s_wait_alu 0xfffe
	s_or_b32 exec_lo, exec_lo, s1
	s_delay_alu instid0(SALU_CYCLE_1)
	s_mov_b32 s1, exec_lo
	s_wait_loadcnt_dscnt 0x0
	s_barrier_signal -1
	s_barrier_wait -1
	global_inv scope:SCOPE_SE
	v_cmpx_gt_u32_e32 64, v0
	s_cbranch_execz .LBB167_71
; %bb.60:
	s_and_saveexec_b32 s0, vcc_lo
	s_cbranch_execnz .LBB167_106
; %bb.61:
	s_wait_alu 0xfffe
	s_or_b32 exec_lo, exec_lo, s0
	s_and_saveexec_b32 s0, vcc_lo
	s_cbranch_execnz .LBB167_107
.LBB167_62:
	s_wait_alu 0xfffe
	s_or_b32 exec_lo, exec_lo, s0
	s_and_saveexec_b32 s0, vcc_lo
	s_cbranch_execnz .LBB167_108
.LBB167_63:
	s_wait_alu 0xfffe
	s_or_b32 exec_lo, exec_lo, s0
	s_and_saveexec_b32 s0, vcc_lo
	s_cbranch_execnz .LBB167_109
.LBB167_64:
	s_wait_alu 0xfffe
	s_or_b32 exec_lo, exec_lo, s0
	s_and_saveexec_b32 s0, vcc_lo
	s_cbranch_execnz .LBB167_110
.LBB167_65:
	s_wait_alu 0xfffe
	s_or_b32 exec_lo, exec_lo, s0
	s_and_saveexec_b32 s0, vcc_lo
	s_cbranch_execnz .LBB167_111
.LBB167_66:
	s_wait_alu 0xfffe
	s_or_b32 exec_lo, exec_lo, s0
	s_and_saveexec_b32 s0, vcc_lo
	s_cbranch_execz .LBB167_68
.LBB167_67:
	v_lshl_add_u32 v10, v43, 2, v9
	ds_load_b32 v10, v10 offset:384
	s_wait_dscnt 0x0
	v_add_f32_e32 v2, v2, v10
.LBB167_68:
	s_wait_alu 0xfffe
	s_or_b32 exec_lo, exec_lo, s0
	v_or_b32_e32 v10, 0x70, v43
	s_delay_alu instid0(VALU_DEP_1)
	v_cmp_gt_u32_e64 s0, 0x78, v10
	s_and_b32 s2, vcc_lo, s0
	s_wait_alu 0xfffe
	s_and_saveexec_b32 s0, s2
	s_cbranch_execz .LBB167_70
; %bb.69:
	v_lshl_add_u32 v10, v43, 2, v9
	ds_load_b32 v10, v10 offset:448
	s_wait_dscnt 0x0
	v_add_f32_e32 v1, v1, v10
.LBB167_70:
	s_wait_alu 0xfffe
	s_or_b32 exec_lo, exec_lo, s0
.LBB167_71:
	s_wait_alu 0xfffe
	s_or_b32 exec_lo, exec_lo, s1
	v_and_b32_e32 v10, 0x3e0, v0
	s_mov_b32 s1, exec_lo
	s_wait_loadcnt 0x0
	s_barrier_signal -1
	s_barrier_wait -1
	global_inv scope:SCOPE_SE
	v_cmpx_eq_u32_e32 32, v10
	s_cbranch_execz .LBB167_76
; %bb.72:
	v_lshl_add_u32 v10, v43, 2, 0x110
	s_and_saveexec_b32 s0, vcc_lo
	s_cbranch_execz .LBB167_74
; %bb.73:
	ds_store_2addr_b32 v10, v8, v7 offset1:16
	ds_store_2addr_b32 v10, v6, v5 offset0:32 offset1:48
	ds_store_2addr_b32 v10, v4, v3 offset0:64 offset1:80
	ds_store_b32 v10, v2 offset:384
.LBB167_74:
	s_wait_alu 0xfffe
	s_or_b32 exec_lo, exec_lo, s0
	v_or_b32_e32 v11, 0x70, v43
	s_delay_alu instid0(VALU_DEP_1)
	v_cmp_gt_u32_e64 s0, 0x78, v11
	s_and_b32 s0, vcc_lo, s0
	s_wait_alu 0xfffe
	s_and_b32 exec_lo, exec_lo, s0
; %bb.75:
	ds_store_b32 v10, v1 offset:448
.LBB167_76:
	s_wait_alu 0xfffe
	s_or_b32 exec_lo, exec_lo, s1
	v_cmp_gt_u32_e64 s0, 32, v0
	s_wait_loadcnt_dscnt 0x0
	s_barrier_signal -1
	s_barrier_wait -1
	global_inv scope:SCOPE_SE
	s_and_saveexec_b32 s2, s0
	s_cbranch_execz .LBB167_88
; %bb.77:
	v_lshl_add_u32 v0, v43, 2, v9
	s_and_saveexec_b32 s1, vcc_lo
	s_cbranch_execnz .LBB167_112
; %bb.78:
	s_wait_alu 0xfffe
	s_or_b32 exec_lo, exec_lo, s1
	s_and_saveexec_b32 s1, vcc_lo
	s_cbranch_execnz .LBB167_113
.LBB167_79:
	s_wait_alu 0xfffe
	s_or_b32 exec_lo, exec_lo, s1
	s_and_saveexec_b32 s1, vcc_lo
	s_cbranch_execnz .LBB167_114
.LBB167_80:
	s_wait_alu 0xfffe
	s_or_b32 exec_lo, exec_lo, s1
	s_and_saveexec_b32 s1, vcc_lo
	s_cbranch_execnz .LBB167_115
.LBB167_81:
	s_wait_alu 0xfffe
	s_or_b32 exec_lo, exec_lo, s1
	s_and_saveexec_b32 s1, vcc_lo
	s_cbranch_execnz .LBB167_116
.LBB167_82:
	s_wait_alu 0xfffe
	s_or_b32 exec_lo, exec_lo, s1
	s_and_saveexec_b32 s1, vcc_lo
	s_cbranch_execnz .LBB167_117
.LBB167_83:
	s_wait_alu 0xfffe
	s_or_b32 exec_lo, exec_lo, s1
	s_and_saveexec_b32 s1, vcc_lo
	s_cbranch_execz .LBB167_85
.LBB167_84:
	ds_load_b32 v9, v0 offset:384
	s_wait_dscnt 0x0
	v_add_f32_e32 v2, v2, v9
.LBB167_85:
	s_wait_alu 0xfffe
	s_or_b32 exec_lo, exec_lo, s1
	v_or_b32_e32 v9, 0x70, v43
	s_delay_alu instid0(VALU_DEP_1)
	v_cmp_gt_u32_e64 s1, 0x78, v9
	s_and_b32 s3, vcc_lo, s1
	s_wait_alu 0xfffe
	s_and_saveexec_b32 s1, s3
	s_cbranch_execz .LBB167_87
; %bb.86:
	ds_load_b32 v0, v0 offset:448
	s_wait_dscnt 0x0
	v_add_f32_e32 v1, v1, v0
.LBB167_87:
	s_wait_alu 0xfffe
	s_or_b32 exec_lo, exec_lo, s1
.LBB167_88:
	s_wait_alu 0xfffe
	s_or_b32 exec_lo, exec_lo, s2
	s_wait_loadcnt 0x0
	s_barrier_signal -1
	s_barrier_wait -1
	global_inv scope:SCOPE_SE
	s_and_saveexec_b32 s1, s0
	s_cbranch_execz .LBB167_105
; %bb.89:
	s_mul_i32 s0, s14, 0x78
	s_mul_i32 s2, s8, s12
	s_wait_alu 0xfffe
	s_ashr_i32 s1, s0, 31
	s_ashr_i32 s3, s2, 31
	s_wait_alu 0xfffe
	s_lshl_b64 s[0:1], s[0:1], 1
	s_lshl_b64 s[2:3], s[2:3], 1
	s_wait_alu 0xfffe
	s_add_nc_u64 s[0:1], s[10:11], s[0:1]
	v_lshlrev_b32_e32 v0, 1, v39
	s_mul_i32 s4, s24, 0xf0
	s_wait_alu 0xfffe
	s_add_nc_u64 s[0:1], s[0:1], s[2:3]
	s_mov_b32 s5, 0
	s_wait_alu 0xfffe
	s_add_nc_u64 s[2:3], s[0:1], s[4:5]
	s_and_saveexec_b32 s1, vcc_lo
	s_cbranch_execz .LBB167_91
; %bb.90:
	v_bfe_u32 v9, v8, 16, 1
	v_or_b32_e32 v10, 0x400000, v8
	v_cmp_u_f32_e64 s0, v8, v8
	s_delay_alu instid0(VALU_DEP_3) | instskip(SKIP_1) | instid1(VALU_DEP_1)
	v_add3_u32 v9, v9, v8, 0x7fff
	s_wait_alu 0xf1ff
	v_cndmask_b32_e64 v8, v9, v10, s0
	global_store_d16_hi_b16 v0, v8, s[2:3]
.LBB167_91:
	s_wait_alu 0xfffe
	s_or_b32 exec_lo, exec_lo, s1
	v_or_b32_e32 v8, 16, v39
	s_delay_alu instid0(VALU_DEP_1)
	v_cmp_gt_u32_e64 s0, 0x78, v8
	s_and_b32 s0, vcc_lo, s0
	s_wait_alu 0xfffe
	s_and_saveexec_b32 s1, s0
	s_cbranch_execz .LBB167_93
; %bb.92:
	v_bfe_u32 v8, v7, 16, 1
	v_or_b32_e32 v9, 0x400000, v7
	v_cmp_u_f32_e64 s0, v7, v7
	s_delay_alu instid0(VALU_DEP_3) | instskip(SKIP_1) | instid1(VALU_DEP_1)
	v_add3_u32 v8, v8, v7, 0x7fff
	s_wait_alu 0xf1ff
	v_cndmask_b32_e64 v7, v8, v9, s0
	global_store_d16_hi_b16 v0, v7, s[2:3] offset:32
.LBB167_93:
	s_wait_alu 0xfffe
	s_or_b32 exec_lo, exec_lo, s1
	v_or_b32_e32 v7, 32, v39
	s_delay_alu instid0(VALU_DEP_1)
	v_cmp_gt_u32_e64 s0, 0x78, v7
	s_and_b32 s0, vcc_lo, s0
	s_wait_alu 0xfffe
	s_and_saveexec_b32 s1, s0
	s_cbranch_execz .LBB167_95
; %bb.94:
	v_bfe_u32 v7, v6, 16, 1
	v_or_b32_e32 v8, 0x400000, v6
	v_cmp_u_f32_e64 s0, v6, v6
	s_delay_alu instid0(VALU_DEP_3) | instskip(SKIP_1) | instid1(VALU_DEP_1)
	v_add3_u32 v7, v7, v6, 0x7fff
	s_wait_alu 0xf1ff
	v_cndmask_b32_e64 v6, v7, v8, s0
	global_store_d16_hi_b16 v0, v6, s[2:3] offset:64
.LBB167_95:
	;; [unrolled: 19-line block ×6, first 2 shown]
	s_wait_alu 0xfffe
	s_or_b32 exec_lo, exec_lo, s1
	v_or_b32_e32 v2, 0x70, v39
	s_delay_alu instid0(VALU_DEP_1)
	v_cmp_gt_u32_e64 s0, 0x78, v2
	s_and_b32 s0, vcc_lo, s0
	s_wait_alu 0xfffe
	s_and_b32 exec_lo, exec_lo, s0
	s_cbranch_execz .LBB167_105
; %bb.104:
	v_bfe_u32 v2, v1, 16, 1
	v_or_b32_e32 v3, 0x400000, v1
	v_cmp_u_f32_e32 vcc_lo, v1, v1
	s_delay_alu instid0(VALU_DEP_3) | instskip(SKIP_1) | instid1(VALU_DEP_1)
	v_add3_u32 v2, v2, v1, 0x7fff
	s_wait_alu 0xfffd
	v_cndmask_b32_e32 v1, v2, v3, vcc_lo
	global_store_d16_hi_b16 v0, v1, s[2:3] offset:224
.LBB167_105:
	s_nop 0
	s_sendmsg sendmsg(MSG_DEALLOC_VGPRS)
	s_endpgm
.LBB167_106:
	v_lshl_add_u32 v10, v43, 2, v9
	ds_load_b32 v10, v10
	s_wait_dscnt 0x0
	v_add_f32_e32 v8, v8, v10
	s_wait_alu 0xfffe
	s_or_b32 exec_lo, exec_lo, s0
	s_and_saveexec_b32 s0, vcc_lo
	s_cbranch_execz .LBB167_62
.LBB167_107:
	v_lshl_add_u32 v10, v43, 2, v9
	ds_load_b32 v10, v10 offset:64
	s_wait_dscnt 0x0
	v_add_f32_e32 v7, v7, v10
	s_wait_alu 0xfffe
	s_or_b32 exec_lo, exec_lo, s0
	s_and_saveexec_b32 s0, vcc_lo
	s_cbranch_execz .LBB167_63
.LBB167_108:
	v_lshl_add_u32 v10, v43, 2, v9
	ds_load_b32 v10, v10 offset:128
	s_wait_dscnt 0x0
	v_add_f32_e32 v6, v6, v10
	s_wait_alu 0xfffe
	s_or_b32 exec_lo, exec_lo, s0
	s_and_saveexec_b32 s0, vcc_lo
	s_cbranch_execz .LBB167_64
.LBB167_109:
	v_lshl_add_u32 v10, v43, 2, v9
	ds_load_b32 v10, v10 offset:192
	s_wait_dscnt 0x0
	v_add_f32_e32 v5, v5, v10
	s_wait_alu 0xfffe
	s_or_b32 exec_lo, exec_lo, s0
	s_and_saveexec_b32 s0, vcc_lo
	s_cbranch_execz .LBB167_65
.LBB167_110:
	v_lshl_add_u32 v10, v43, 2, v9
	ds_load_b32 v10, v10 offset:256
	s_wait_dscnt 0x0
	v_add_f32_e32 v4, v4, v10
	s_wait_alu 0xfffe
	s_or_b32 exec_lo, exec_lo, s0
	s_and_saveexec_b32 s0, vcc_lo
	s_cbranch_execz .LBB167_66
.LBB167_111:
	v_lshl_add_u32 v10, v43, 2, v9
	ds_load_b32 v10, v10 offset:320
	s_wait_dscnt 0x0
	v_add_f32_e32 v3, v3, v10
	s_wait_alu 0xfffe
	s_or_b32 exec_lo, exec_lo, s0
	s_and_saveexec_b32 s0, vcc_lo
	s_cbranch_execnz .LBB167_67
	s_branch .LBB167_68
.LBB167_112:
	ds_load_b32 v9, v0
	s_wait_dscnt 0x0
	v_add_f32_e32 v8, v8, v9
	s_wait_alu 0xfffe
	s_or_b32 exec_lo, exec_lo, s1
	s_and_saveexec_b32 s1, vcc_lo
	s_cbranch_execz .LBB167_79
.LBB167_113:
	ds_load_b32 v9, v0 offset:64
	s_wait_dscnt 0x0
	v_add_f32_e32 v7, v7, v9
	s_wait_alu 0xfffe
	s_or_b32 exec_lo, exec_lo, s1
	s_and_saveexec_b32 s1, vcc_lo
	s_cbranch_execz .LBB167_80
.LBB167_114:
	ds_load_b32 v9, v0 offset:128
	s_wait_dscnt 0x0
	v_add_f32_e32 v6, v6, v9
	s_wait_alu 0xfffe
	s_or_b32 exec_lo, exec_lo, s1
	s_and_saveexec_b32 s1, vcc_lo
	s_cbranch_execz .LBB167_81
.LBB167_115:
	ds_load_b32 v9, v0 offset:192
	s_wait_dscnt 0x0
	v_add_f32_e32 v5, v5, v9
	s_wait_alu 0xfffe
	s_or_b32 exec_lo, exec_lo, s1
	s_and_saveexec_b32 s1, vcc_lo
	s_cbranch_execz .LBB167_82
.LBB167_116:
	ds_load_b32 v9, v0 offset:256
	s_wait_dscnt 0x0
	v_add_f32_e32 v4, v4, v9
	s_wait_alu 0xfffe
	s_or_b32 exec_lo, exec_lo, s1
	s_and_saveexec_b32 s1, vcc_lo
	s_cbranch_execz .LBB167_83
.LBB167_117:
	ds_load_b32 v9, v0 offset:320
	s_wait_dscnt 0x0
	v_add_f32_e32 v3, v3, v9
	s_wait_alu 0xfffe
	s_or_b32 exec_lo, exec_lo, s1
	s_and_saveexec_b32 s1, vcc_lo
	s_cbranch_execnz .LBB167_84
	s_branch .LBB167_85
	.section	.rodata,"a",@progbits
	.p2align	6, 0x0
	.amdhsa_kernel _ZN4vllm25paged_attention_v2_kernelI14__hip_bfloat16S1_Li120ELi16ELi128ELNS_18Fp8KVCacheDataTypeE0ELb0ELi512EEEvPfS3_PT_PKS4_PKT0_SA_ifPKiSC_iPKfiiiSE_SE_iiiii
		.amdhsa_group_segment_fixed_size 272
		.amdhsa_private_segment_fixed_size 0
		.amdhsa_kernarg_size 400
		.amdhsa_user_sgpr_count 2
		.amdhsa_user_sgpr_dispatch_ptr 0
		.amdhsa_user_sgpr_queue_ptr 0
		.amdhsa_user_sgpr_kernarg_segment_ptr 1
		.amdhsa_user_sgpr_dispatch_id 0
		.amdhsa_user_sgpr_private_segment_size 0
		.amdhsa_wavefront_size32 1
		.amdhsa_uses_dynamic_stack 0
		.amdhsa_enable_private_segment 0
		.amdhsa_system_sgpr_workgroup_id_x 1
		.amdhsa_system_sgpr_workgroup_id_y 1
		.amdhsa_system_sgpr_workgroup_id_z 1
		.amdhsa_system_sgpr_workgroup_info 0
		.amdhsa_system_vgpr_workitem_id 0
		.amdhsa_next_free_vgpr 132
		.amdhsa_next_free_sgpr 32
		.amdhsa_reserve_vcc 1
		.amdhsa_float_round_mode_32 0
		.amdhsa_float_round_mode_16_64 0
		.amdhsa_float_denorm_mode_32 3
		.amdhsa_float_denorm_mode_16_64 3
		.amdhsa_fp16_overflow 0
		.amdhsa_workgroup_processor_mode 1
		.amdhsa_memory_ordered 1
		.amdhsa_forward_progress 1
		.amdhsa_inst_pref_size 113
		.amdhsa_round_robin_scheduling 0
		.amdhsa_exception_fp_ieee_invalid_op 0
		.amdhsa_exception_fp_denorm_src 0
		.amdhsa_exception_fp_ieee_div_zero 0
		.amdhsa_exception_fp_ieee_overflow 0
		.amdhsa_exception_fp_ieee_underflow 0
		.amdhsa_exception_fp_ieee_inexact 0
		.amdhsa_exception_int_div_zero 0
	.end_amdhsa_kernel
	.section	.text._ZN4vllm25paged_attention_v2_kernelI14__hip_bfloat16S1_Li120ELi16ELi128ELNS_18Fp8KVCacheDataTypeE0ELb0ELi512EEEvPfS3_PT_PKS4_PKT0_SA_ifPKiSC_iPKfiiiSE_SE_iiiii,"axG",@progbits,_ZN4vllm25paged_attention_v2_kernelI14__hip_bfloat16S1_Li120ELi16ELi128ELNS_18Fp8KVCacheDataTypeE0ELb0ELi512EEEvPfS3_PT_PKS4_PKT0_SA_ifPKiSC_iPKfiiiSE_SE_iiiii,comdat
.Lfunc_end167:
	.size	_ZN4vllm25paged_attention_v2_kernelI14__hip_bfloat16S1_Li120ELi16ELi128ELNS_18Fp8KVCacheDataTypeE0ELb0ELi512EEEvPfS3_PT_PKS4_PKT0_SA_ifPKiSC_iPKfiiiSE_SE_iiiii, .Lfunc_end167-_ZN4vllm25paged_attention_v2_kernelI14__hip_bfloat16S1_Li120ELi16ELi128ELNS_18Fp8KVCacheDataTypeE0ELb0ELi512EEEvPfS3_PT_PKS4_PKT0_SA_ifPKiSC_iPKfiiiSE_SE_iiiii
                                        ; -- End function
	.set _ZN4vllm25paged_attention_v2_kernelI14__hip_bfloat16S1_Li120ELi16ELi128ELNS_18Fp8KVCacheDataTypeE0ELb0ELi512EEEvPfS3_PT_PKS4_PKT0_SA_ifPKiSC_iPKfiiiSE_SE_iiiii.num_vgpr, 132
	.set _ZN4vllm25paged_attention_v2_kernelI14__hip_bfloat16S1_Li120ELi16ELi128ELNS_18Fp8KVCacheDataTypeE0ELb0ELi512EEEvPfS3_PT_PKS4_PKT0_SA_ifPKiSC_iPKfiiiSE_SE_iiiii.num_agpr, 0
	.set _ZN4vllm25paged_attention_v2_kernelI14__hip_bfloat16S1_Li120ELi16ELi128ELNS_18Fp8KVCacheDataTypeE0ELb0ELi512EEEvPfS3_PT_PKS4_PKT0_SA_ifPKiSC_iPKfiiiSE_SE_iiiii.numbered_sgpr, 32
	.set _ZN4vllm25paged_attention_v2_kernelI14__hip_bfloat16S1_Li120ELi16ELi128ELNS_18Fp8KVCacheDataTypeE0ELb0ELi512EEEvPfS3_PT_PKS4_PKT0_SA_ifPKiSC_iPKfiiiSE_SE_iiiii.num_named_barrier, 0
	.set _ZN4vllm25paged_attention_v2_kernelI14__hip_bfloat16S1_Li120ELi16ELi128ELNS_18Fp8KVCacheDataTypeE0ELb0ELi512EEEvPfS3_PT_PKS4_PKT0_SA_ifPKiSC_iPKfiiiSE_SE_iiiii.private_seg_size, 0
	.set _ZN4vllm25paged_attention_v2_kernelI14__hip_bfloat16S1_Li120ELi16ELi128ELNS_18Fp8KVCacheDataTypeE0ELb0ELi512EEEvPfS3_PT_PKS4_PKT0_SA_ifPKiSC_iPKfiiiSE_SE_iiiii.uses_vcc, 1
	.set _ZN4vllm25paged_attention_v2_kernelI14__hip_bfloat16S1_Li120ELi16ELi128ELNS_18Fp8KVCacheDataTypeE0ELb0ELi512EEEvPfS3_PT_PKS4_PKT0_SA_ifPKiSC_iPKfiiiSE_SE_iiiii.uses_flat_scratch, 0
	.set _ZN4vllm25paged_attention_v2_kernelI14__hip_bfloat16S1_Li120ELi16ELi128ELNS_18Fp8KVCacheDataTypeE0ELb0ELi512EEEvPfS3_PT_PKS4_PKT0_SA_ifPKiSC_iPKfiiiSE_SE_iiiii.has_dyn_sized_stack, 0
	.set _ZN4vllm25paged_attention_v2_kernelI14__hip_bfloat16S1_Li120ELi16ELi128ELNS_18Fp8KVCacheDataTypeE0ELb0ELi512EEEvPfS3_PT_PKS4_PKT0_SA_ifPKiSC_iPKfiiiSE_SE_iiiii.has_recursion, 0
	.set _ZN4vllm25paged_attention_v2_kernelI14__hip_bfloat16S1_Li120ELi16ELi128ELNS_18Fp8KVCacheDataTypeE0ELb0ELi512EEEvPfS3_PT_PKS4_PKT0_SA_ifPKiSC_iPKfiiiSE_SE_iiiii.has_indirect_call, 0
	.section	.AMDGPU.csdata,"",@progbits
; Kernel info:
; codeLenInByte = 14460
; TotalNumSgprs: 34
; NumVgprs: 132
; ScratchSize: 0
; MemoryBound: 0
; FloatMode: 240
; IeeeMode: 1
; LDSByteSize: 272 bytes/workgroup (compile time only)
; SGPRBlocks: 0
; VGPRBlocks: 16
; NumSGPRsForWavesPerEU: 34
; NumVGPRsForWavesPerEU: 132
; Occupancy: 10
; WaveLimiterHint : 1
; COMPUTE_PGM_RSRC2:SCRATCH_EN: 0
; COMPUTE_PGM_RSRC2:USER_SGPR: 2
; COMPUTE_PGM_RSRC2:TRAP_HANDLER: 0
; COMPUTE_PGM_RSRC2:TGID_X_EN: 1
; COMPUTE_PGM_RSRC2:TGID_Y_EN: 1
; COMPUTE_PGM_RSRC2:TGID_Z_EN: 1
; COMPUTE_PGM_RSRC2:TIDIG_COMP_CNT: 0
	.section	.text._ZN4vllm25paged_attention_v2_kernelI14__hip_bfloat16S1_Li128ELi16ELi128ELNS_18Fp8KVCacheDataTypeE0ELb0ELi512EEEvPfS3_PT_PKS4_PKT0_SA_ifPKiSC_iPKfiiiSE_SE_iiiii,"axG",@progbits,_ZN4vllm25paged_attention_v2_kernelI14__hip_bfloat16S1_Li128ELi16ELi128ELNS_18Fp8KVCacheDataTypeE0ELb0ELi512EEEvPfS3_PT_PKS4_PKT0_SA_ifPKiSC_iPKfiiiSE_SE_iiiii,comdat
	.protected	_ZN4vllm25paged_attention_v2_kernelI14__hip_bfloat16S1_Li128ELi16ELi128ELNS_18Fp8KVCacheDataTypeE0ELb0ELi512EEEvPfS3_PT_PKS4_PKT0_SA_ifPKiSC_iPKfiiiSE_SE_iiiii ; -- Begin function _ZN4vllm25paged_attention_v2_kernelI14__hip_bfloat16S1_Li128ELi16ELi128ELNS_18Fp8KVCacheDataTypeE0ELb0ELi512EEEvPfS3_PT_PKS4_PKT0_SA_ifPKiSC_iPKfiiiSE_SE_iiiii
	.globl	_ZN4vllm25paged_attention_v2_kernelI14__hip_bfloat16S1_Li128ELi16ELi128ELNS_18Fp8KVCacheDataTypeE0ELb0ELi512EEEvPfS3_PT_PKS4_PKT0_SA_ifPKiSC_iPKfiiiSE_SE_iiiii
	.p2align	8
	.type	_ZN4vllm25paged_attention_v2_kernelI14__hip_bfloat16S1_Li128ELi16ELi128ELNS_18Fp8KVCacheDataTypeE0ELb0ELi512EEEvPfS3_PT_PKS4_PKT0_SA_ifPKiSC_iPKfiiiSE_SE_iiiii,@function
_ZN4vllm25paged_attention_v2_kernelI14__hip_bfloat16S1_Li128ELi16ELi128ELNS_18Fp8KVCacheDataTypeE0ELb0ELi512EEEvPfS3_PT_PKS4_PKT0_SA_ifPKiSC_iPKfiiiSE_SE_iiiii: ; @_ZN4vllm25paged_attention_v2_kernelI14__hip_bfloat16S1_Li128ELi16ELi128ELNS_18Fp8KVCacheDataTypeE0ELb0ELi512EEEvPfS3_PT_PKS4_PKT0_SA_ifPKiSC_iPKfiiiSE_SE_iiiii
; %bb.0:
	s_load_b64 s[2:3], s[0:1], 0x40
	s_and_b32 s27, ttmp7, 0xffff
	s_lshr_b32 s24, ttmp7, 16
	s_lshl_b32 s4, s27, 2
	s_lshl_b32 s26, s24, 9
	s_wait_kmcnt 0x0
	s_load_b32 s25, s[2:3], s4 offset:0x0
	s_wait_kmcnt 0x0
	s_cmp_ge_i32 s26, s25
	s_cbranch_scc1 .LBB168_78
; %bb.1:
	s_clause 0x1
	s_load_b32 s28, s[0:1], 0x90
	s_load_b64 s[6:7], s[0:1], 0x30
	s_wait_kmcnt 0x0
	s_abs_i32 s5, s28
	s_abs_i32 s2, s6
	s_delay_alu instid0(SALU_CYCLE_1) | instskip(SKIP_1) | instid1(SALU_CYCLE_2)
	s_cvt_f32_u32 s3, s2
	s_sub_co_i32 s4, 0, s2
	v_rcp_iflag_f32_e32 v1, s3
	s_delay_alu instid0(TRANS32_DEP_1) | instskip(SKIP_2) | instid1(SALU_CYCLE_2)
	v_readfirstlane_b32 s3, v1
	s_mul_f32 s3, s3, 0x4f7ffffe
	s_wait_alu 0xfffe
	s_cvt_u32_f32 s3, s3
	s_wait_alu 0xfffe
	s_delay_alu instid0(SALU_CYCLE_2) | instskip(NEXT) | instid1(SALU_CYCLE_1)
	s_mul_i32 s4, s4, s3
	s_mul_hi_u32 s4, s3, s4
	s_delay_alu instid0(SALU_CYCLE_1)
	s_add_co_i32 s3, s3, s4
	s_xor_b32 s4, s28, s6
	s_wait_alu 0xfffe
	s_mul_hi_u32 s3, s5, s3
	s_ashr_i32 s4, s4, 31
	s_wait_alu 0xfffe
	s_mul_i32 s6, s3, s2
	s_delay_alu instid0(SALU_CYCLE_1)
	s_sub_co_i32 s5, s5, s6
	s_add_co_i32 s6, s3, 1
	s_sub_co_i32 s8, s5, s2
	s_cmp_ge_u32 s5, s2
	s_cselect_b32 s3, s6, s3
	s_cselect_b32 s5, s8, s5
	s_wait_alu 0xfffe
	s_add_co_i32 s6, s3, 1
	s_cmp_ge_u32 s5, s2
	s_load_b64 s[8:9], s[0:1], 0x50
	s_cselect_b32 s2, s6, s3
	s_mov_b32 s5, 0
	s_wait_alu 0xfffe
	s_xor_b32 s2, s2, s4
	s_mov_b32 s10, s5
	s_wait_alu 0xfffe
	s_sub_co_i32 s11, s2, s4
	s_abs_i32 s4, ttmp9
	s_abs_i32 s6, s11
	s_delay_alu instid0(SALU_CYCLE_1) | instskip(SKIP_2) | instid1(SALU_CYCLE_1)
	s_cvt_f32_u32 s2, s6
	s_sub_co_i32 s3, 0, s6
	s_wait_alu 0xfffe
	v_rcp_iflag_f32_e32 v1, s2
	s_delay_alu instid0(TRANS32_DEP_1) | instskip(SKIP_2) | instid1(SALU_CYCLE_2)
	v_readfirstlane_b32 s2, v1
	s_mul_f32 s2, s2, 0x4f7ffffe
	s_wait_alu 0xfffe
	s_cvt_u32_f32 s2, s2
	s_wait_alu 0xfffe
	s_delay_alu instid0(SALU_CYCLE_2)
	s_mul_i32 s3, s3, s2
	s_wait_alu 0xfffe
	s_mul_hi_u32 s3, s2, s3
	s_wait_alu 0xfffe
	s_add_co_i32 s2, s2, s3
	s_mov_b32 s3, s5
	s_wait_kmcnt 0x0
	s_cmp_eq_u64 s[8:9], 0
	s_cbranch_scc1 .LBB168_3
; %bb.2:
	s_mov_b32 s12, ttmp9
	s_ashr_i32 s13, ttmp9, 31
	s_delay_alu instid0(SALU_CYCLE_1) | instskip(NEXT) | instid1(SALU_CYCLE_1)
	s_lshl_b64 s[12:13], s[12:13], 2
	s_add_nc_u64 s[8:9], s[8:9], s[12:13]
	s_load_b32 s10, s[8:9], 0x0
.LBB168_3:
	s_load_b96 s[12:14], s[0:1], 0x58
	s_mul_u64 s[2:3], s[4:5], s[2:3]
	v_lshrrev_b32_e32 v43, 1, v0
	v_and_b32_e32 v44, 1, v0
	v_cmp_gt_u32_e64 s2, 32, v0
	v_lshlrev_b32_e32 v3, 3, v0
	s_ashr_i32 s5, ttmp9, 31
	s_ashr_i32 s8, s11, 31
	s_lshl_b32 s16, ttmp9, 7
	s_wait_alu 0xfffe
	s_and_saveexec_b32 s9, s2
	s_cbranch_execz .LBB168_5
; %bb.4:
	s_load_b64 s[18:19], s[0:1], 0x18
	s_wait_kmcnt 0x0
	s_mul_i32 s20, s12, s27
	s_ashr_i32 s17, s16, 31
	s_ashr_i32 s21, s20, 31
	v_lshlrev_b32_e32 v4, 3, v43
	s_lshl_b64 s[20:21], s[20:21], 1
	s_delay_alu instid0(VALU_DEP_1) | instskip(SKIP_2) | instid1(SALU_CYCLE_1)
	v_lshl_add_u32 v4, v44, 7, v4
	s_add_nc_u64 s[18:19], s[18:19], s[20:21]
	s_lshl_b64 s[20:21], s[16:17], 1
	s_add_nc_u64 s[18:19], s[18:19], s[20:21]
	global_load_b64 v[1:2], v3, s[18:19]
	s_wait_loadcnt 0x0
	ds_store_b64 v4, v[1:2]
.LBB168_5:
	s_or_b32 exec_lo, exec_lo, s9
	s_add_co_i32 s9, s25, 15
	s_xor_b32 s5, s5, s8
	s_ashr_i32 s11, s9, 31
	s_lshl_b32 s30, s24, 5
	s_lshr_b32 s8, s11, 28
	s_mul_i32 s11, s3, s6
	s_add_co_i32 s9, s9, s8
	s_add_co_i32 s8, s30, 32
	s_ashr_i32 s29, s9, 4
	s_load_b32 s9, s[0:1], 0x48
	s_sub_co_i32 s4, s4, s11
	s_min_i32 s17, s8, s29
	s_add_co_i32 s8, s3, 1
	s_sub_co_i32 s11, s4, s6
	s_cmp_ge_u32 s4, s6
	v_lshrrev_b32_e32 v45, 5, v0
	s_cselect_b32 s3, s8, s3
	s_cselect_b32 s4, s11, s4
	s_wait_alu 0xfffe
	s_add_co_i32 s8, s3, 1
	s_cmp_ge_u32 s4, s6
	v_or_b32_e32 v46, s30, v45
	s_cselect_b32 s3, s8, s3
	v_mbcnt_lo_u32_b32 v6, -1, 0
	s_wait_alu 0xfffe
	s_xor_b32 s3, s3, s5
	s_wait_dscnt 0x0
	s_wait_alu 0xfffe
	s_sub_co_i32 s4, s3, s5
	v_cmp_gt_i32_e64 s3, s17, v46
	s_mov_b32 s5, exec_lo
	s_barrier_signal -1
	s_wait_kmcnt 0x0
	s_mul_i32 s18, s9, s27
	s_barrier_wait -1
	s_ashr_i32 s19, s18, 31
	global_inv scope:SCOPE_SE
                                        ; implicit-def: $vgpr7
                                        ; implicit-def: $vgpr8
	v_cmpx_le_i32_e64 s17, v46
	s_xor_b32 s5, exec_lo, s5
; %bb.6:
	v_dual_mov_b32 v7, 0 :: v_dual_mov_b32 v8, 32
	v_mbcnt_lo_u32_b32 v6, -1, 0
; %bb.7:
	s_or_saveexec_b32 s8, s5
	s_clause 0x1
	s_load_b64 s[20:21], s[0:1], 0x38
	s_load_b32 s12, s[0:1], 0x98
	v_dual_mov_b32 v64, 0xff7fffff :: v_dual_lshlrev_b32 v5, 4, v45
	v_lshlrev_b32_e32 v4, 2, v46
	s_mul_i32 s14, s4, s14
	s_xor_b32 exec_lo, exec_lo, s8
	s_cbranch_execz .LBB168_13
; %bb.8:
	s_load_b64 s[4:5], s[0:1], 0x20
	v_lshlrev_b32_e32 v1, 7, v44
	v_bfe_u32 v2, v0, 1, 4
	s_ashr_i32 s15, s14, 31
	v_dual_mov_b32 v7, 0 :: v_dual_and_b32 v8, 8, v3
	ds_load_b128 v[15:18], v1
	v_dual_mov_b32 v64, 0xff7fffff :: v_dual_lshlrev_b32 v9, 4, v2
	s_lshl_b64 s[22:23], s[14:15], 1
	s_cmp_neq_f32 s10, 0
	v_add3_u32 v81, s26, v5, v2
	s_mov_b32 s11, s13
	s_mov_b32 s9, 0
	v_mov_b32_e32 v83, v46
	s_wait_kmcnt 0x0
	s_add_nc_u64 s[4:5], s[4:5], s[22:23]
	s_delay_alu instid0(SALU_CYCLE_1)
	v_add_co_u32 v19, s4, s4, v9
	s_wait_alu 0xf1ff
	v_add_co_ci_u32_e64 v20, null, s5, 0, s4
	s_wait_dscnt 0x0
	v_lshlrev_b32_e32 v11, 16, v16
	v_and_b32_e32 v12, 0xffff0000, v16
	v_add_co_u32 v16, vcc_lo, v19, v8
	v_mov_b32_e32 v8, 32
	ds_load_b128 v[23:26], v1 offset:16
	ds_load_b128 v[31:34], v1 offset:32
	;; [unrolled: 1-line block ×7, first 2 shown]
	v_xor_b32_e32 v1, 1, v6
	v_lshlrev_b32_e32 v13, 16, v17
	v_and_b32_e32 v14, 0xffff0000, v17
	v_add_co_ci_u32_e64 v17, null, 0, v20, vcc_lo
	s_delay_alu instid0(VALU_DEP_4)
	v_cmp_gt_i32_e32 vcc_lo, 32, v1
	v_and_b32_e32 v10, 0xffff0000, v15
	s_cselect_b32 s4, -1, 0
	s_lshl_b64 s[22:23], s[18:19], 2
	v_lshlrev_b32_e32 v9, 16, v15
	s_wait_alu 0xfffd
	v_cndmask_b32_e32 v1, v6, v1, vcc_lo
	s_add_nc_u64 s[22:23], s[20:21], s[22:23]
	v_lshlrev_b32_e32 v15, 16, v18
	v_and_b32_e32 v18, 0xffff0000, v18
	s_wait_dscnt 0x6
	v_lshlrev_b32_e32 v19, 16, v23
	v_lshlrev_b32_e32 v68, 2, v1
	;; [unrolled: 1-line block ×3, first 2 shown]
	v_and_b32_e32 v20, 0xffff0000, v23
	v_lshlrev_b32_e32 v21, 16, v24
	v_and_b32_e32 v22, 0xffff0000, v24
	v_lshlrev_b32_e32 v23, 16, v25
	v_lshl_or_b32 v1, v45, 6, v1
	v_and_b32_e32 v24, 0xffff0000, v25
	v_lshlrev_b32_e32 v25, 16, v26
	v_and_b32_e32 v26, 0xffff0000, v26
	s_wait_dscnt 0x5
	v_lshlrev_b32_e32 v27, 16, v31
	v_add_nc_u32_e32 v82, 0x120, v1
	v_add_co_u32 v1, s5, s22, v4
	v_and_b32_e32 v28, 0xffff0000, v31
	v_lshlrev_b32_e32 v29, 16, v32
	v_and_b32_e32 v30, 0xffff0000, v32
	v_lshlrev_b32_e32 v31, 16, v33
	v_and_b32_e32 v32, 0xffff0000, v33
	v_lshlrev_b32_e32 v33, 16, v34
	v_and_b32_e32 v34, 0xffff0000, v34
	s_wait_dscnt 0x4
	v_lshlrev_b32_e32 v35, 16, v39
	v_and_b32_e32 v36, 0xffff0000, v39
	v_lshlrev_b32_e32 v37, 16, v40
	v_and_b32_e32 v38, 0xffff0000, v40
	v_lshlrev_b32_e32 v39, 16, v41
	v_and_b32_e32 v40, 0xffff0000, v41
	v_lshlrev_b32_e32 v41, 16, v42
	v_and_b32_e32 v42, 0xffff0000, v42
	s_wait_dscnt 0x3
	v_lshlrev_b32_e32 v47, 16, v51
	;; [unrolled: 9-line block ×5, first 2 shown]
	v_and_b32_e32 v74, 0xffff0000, v77
	v_lshlrev_b32_e32 v75, 16, v78
	v_and_b32_e32 v76, 0xffff0000, v78
	v_lshlrev_b32_e32 v77, 16, v79
	v_and_b32_e32 v78, 0xffff0000, v79
	v_lshlrev_b32_e32 v79, 16, v80
	v_and_b32_e32 v80, 0xffff0000, v80
	s_wait_alu 0xf1ff
	v_add_co_ci_u32_e64 v2, null, s23, 0, s5
	s_sub_co_i32 s15, 1, s25
	v_cmp_eq_u32_e32 vcc_lo, 0, v44
	s_branch .LBB168_10
.LBB168_9:                              ;   in Loop: Header=BB168_10 Depth=1
	s_wait_alu 0xfffe
	s_or_b32 exec_lo, exec_lo, s6
	v_add_nc_u32_e32 v83, 4, v83
	v_add_co_u32 v1, s6, v1, 16
	v_add_nc_u32_e32 v81, 64, v81
	v_add_nc_u32_e32 v82, 0x100, v82
	s_delay_alu instid0(VALU_DEP_4) | instskip(SKIP_3) | instid1(SALU_CYCLE_1)
	v_cmp_le_i32_e64 s5, s17, v83
	s_wait_alu 0xf1ff
	v_add_co_ci_u32_e64 v2, null, 0, v2, s6
	s_or_b32 s9, s5, s9
	s_and_not1_b32 exec_lo, exec_lo, s9
	s_cbranch_execz .LBB168_12
.LBB168_10:                             ; =>This Inner Loop Header: Depth=1
	global_load_b32 v84, v[1:2], off
	s_wait_loadcnt_dscnt 0x0
	v_mad_co_i64_i32 v[84:85], null, v84, s11, 0
	s_delay_alu instid0(VALU_DEP_1) | instskip(NEXT) | instid1(VALU_DEP_1)
	v_lshlrev_b64_e32 v[84:85], 1, v[84:85]
	v_add_co_u32 v84, s5, v16, v84
	s_wait_alu 0xf1ff
	s_delay_alu instid0(VALU_DEP_2)
	v_add_co_ci_u32_e64 v85, null, v17, v85, s5
	s_clause 0xb
	global_load_b64 v[86:87], v[84:85], off
	global_load_b64 v[88:89], v[84:85], off offset:256
	global_load_b64 v[90:91], v[84:85], off offset:512
	;; [unrolled: 1-line block ×11, first 2 shown]
	s_wait_loadcnt 0xa
	v_lshlrev_b32_e32 v113, 16, v89
	v_and_b32_e32 v89, 0xffff0000, v89
	v_lshlrev_b32_e32 v112, 16, v88
	v_lshlrev_b32_e32 v110, 16, v86
	;; [unrolled: 1-line block ×3, first 2 shown]
	s_delay_alu instid0(VALU_DEP_3) | instskip(SKIP_2) | instid1(VALU_DEP_3)
	v_dual_mul_f32 v113, v15, v113 :: v_dual_mul_f32 v112, v13, v112
	v_and_b32_e32 v86, 0xffff0000, v86
	v_and_b32_e32 v87, 0xffff0000, v87
	v_fmac_f32_e32 v113, v11, v111
	s_delay_alu instid0(VALU_DEP_4) | instskip(SKIP_3) | instid1(VALU_DEP_3)
	v_dual_mul_f32 v111, v18, v89 :: v_dual_fmac_f32 v112, v9, v110
	v_and_b32_e32 v88, 0xffff0000, v88
	s_wait_loadcnt 0x9
	v_lshlrev_b32_e32 v115, 16, v91
	v_dual_fmac_f32 v111, v12, v87 :: v_dual_lshlrev_b32 v114, 16, v90
	s_delay_alu instid0(VALU_DEP_2)
	v_dual_mul_f32 v110, v14, v88 :: v_dual_fmac_f32 v113, v21, v115
	global_load_b64 v[88:89], v[84:85], off offset:3328
	s_wait_loadcnt 0x9
	v_dual_fmac_f32 v112, v19, v114 :: v_dual_lshlrev_b32 v117, 16, v93
	v_fmac_f32_e32 v110, v10, v86
	global_load_b64 v[86:87], v[84:85], off offset:3072
	v_dual_fmac_f32 v113, v25, v117 :: v_dual_and_b32 v116, 0xffff0000, v91
	s_delay_alu instid0(VALU_DEP_1) | instskip(NEXT) | instid1(VALU_DEP_1)
	v_dual_fmac_f32 v111, v22, v116 :: v_dual_and_b32 v90, 0xffff0000, v90
	v_dual_fmac_f32 v110, v20, v90 :: v_dual_lshlrev_b32 v91, 16, v92
	v_and_b32_e32 v93, 0xffff0000, v93
	v_and_b32_e32 v92, 0xffff0000, v92
	s_delay_alu instid0(VALU_DEP_3)
	v_fmac_f32_e32 v112, v23, v91
	s_clause 0x1
	global_load_b64 v[90:91], v[84:85], off offset:3584
	global_load_b64 v[84:85], v[84:85], off offset:3840
	s_wait_loadcnt 0xb
	v_lshlrev_b32_e32 v119, 16, v95
	v_dual_fmac_f32 v111, v26, v93 :: v_dual_lshlrev_b32 v118, 16, v94
	v_dual_fmac_f32 v110, v24, v92 :: v_dual_and_b32 v95, 0xffff0000, v95
	s_delay_alu instid0(VALU_DEP_3) | instskip(SKIP_1) | instid1(VALU_DEP_3)
	v_dual_fmac_f32 v113, v29, v119 :: v_dual_and_b32 v94, 0xffff0000, v94
	s_wait_loadcnt 0xa
	v_dual_fmac_f32 v112, v27, v118 :: v_dual_lshlrev_b32 v121, 16, v97
	s_delay_alu instid0(VALU_DEP_3) | instskip(NEXT) | instid1(VALU_DEP_3)
	v_dual_fmac_f32 v111, v30, v95 :: v_dual_lshlrev_b32 v120, 16, v96
	v_dual_fmac_f32 v110, v28, v94 :: v_dual_and_b32 v97, 0xffff0000, v97
	s_delay_alu instid0(VALU_DEP_3) | instskip(SKIP_1) | instid1(VALU_DEP_3)
	v_dual_fmac_f32 v113, v33, v121 :: v_dual_and_b32 v96, 0xffff0000, v96
	s_wait_loadcnt 0x9
	v_dual_fmac_f32 v112, v31, v120 :: v_dual_lshlrev_b32 v123, 16, v99
	s_delay_alu instid0(VALU_DEP_3) | instskip(NEXT) | instid1(VALU_DEP_3)
	;; [unrolled: 7-line block ×7, first 2 shown]
	v_dual_fmac_f32 v111, v58, v107 :: v_dual_lshlrev_b32 v132, 16, v108
	v_dual_fmac_f32 v110, v56, v106 :: v_dual_and_b32 v109, 0xffff0000, v109
	s_delay_alu instid0(VALU_DEP_3) | instskip(NEXT) | instid1(VALU_DEP_2)
	v_dual_fmac_f32 v113, v61, v133 :: v_dual_and_b32 v108, 0xffff0000, v108
	v_dual_fmac_f32 v112, v59, v132 :: v_dual_fmac_f32 v111, v62, v109
	s_wait_loadcnt 0x3
	s_delay_alu instid0(VALU_DEP_2) | instskip(SKIP_4) | instid1(VALU_DEP_1)
	v_dual_fmac_f32 v110, v60, v108 :: v_dual_lshlrev_b32 v93, 16, v89
	v_and_b32_e32 v89, 0xffff0000, v89
	s_wait_loadcnt 0x2
	v_lshlrev_b32_e32 v114, 16, v87
	v_and_b32_e32 v87, 0xffff0000, v87
	v_dual_fmac_f32 v111, v67, v87 :: v_dual_lshlrev_b32 v92, 16, v86
	s_delay_alu instid0(VALU_DEP_1) | instskip(NEXT) | instid1(VALU_DEP_4)
	v_dual_fmac_f32 v112, v63, v92 :: v_dual_fmac_f32 v111, v72, v89
	v_dual_fmac_f32 v113, v66, v114 :: v_dual_lshlrev_b32 v94, 16, v88
	v_and_b32_e32 v86, 0xffff0000, v86
	s_wait_loadcnt 0x1
	v_lshlrev_b32_e32 v96, 16, v91
	v_and_b32_e32 v91, 0xffff0000, v91
	v_dual_fmac_f32 v113, v71, v93 :: v_dual_and_b32 v88, 0xffff0000, v88
	v_fmac_f32_e32 v110, v65, v86
	s_delay_alu instid0(VALU_DEP_3) | instskip(SKIP_1) | instid1(VALU_DEP_4)
	v_dual_fmac_f32 v112, v69, v94 :: v_dual_fmac_f32 v111, v76, v91
	v_lshlrev_b32_e32 v95, 16, v90
	v_dual_fmac_f32 v113, v75, v96 :: v_dual_and_b32 v90, 0xffff0000, v90
	s_wait_loadcnt 0x0
	v_dual_fmac_f32 v110, v70, v88 :: v_dual_lshlrev_b32 v87, 16, v85
	s_delay_alu instid0(VALU_DEP_3) | instskip(SKIP_2) | instid1(VALU_DEP_4)
	v_fmac_f32_e32 v112, v73, v95
	v_lshlrev_b32_e32 v86, 16, v84
	v_and_b32_e32 v84, 0xffff0000, v84
	v_dual_fmac_f32 v110, v74, v90 :: v_dual_fmac_f32 v113, v79, v87
	s_delay_alu instid0(VALU_DEP_1) | instskip(SKIP_1) | instid1(VALU_DEP_1)
	v_fmac_f32_e32 v110, v78, v84
	v_and_b32_e32 v84, 0xffff0000, v85
	v_dual_fmac_f32 v112, v77, v86 :: v_dual_fmac_f32 v111, v80, v84
	s_delay_alu instid0(VALU_DEP_1) | instskip(NEXT) | instid1(VALU_DEP_1)
	v_add_f32_e32 v85, v112, v110
	v_add_f32_e32 v84, v85, v113
	s_delay_alu instid0(VALU_DEP_1)
	v_add_f32_e32 v84, v111, v84
	ds_bpermute_b32 v85, v68, v84
	s_and_saveexec_b32 s6, vcc_lo
	s_cbranch_execz .LBB168_9
; %bb.11:                               ;   in Loop: Header=BB168_10 Depth=1
	s_wait_dscnt 0x0
	v_add_f32_e32 v84, v84, v85
	v_add_nc_u32_e32 v86, s15, v81
	v_cmp_gt_i32_e64 s5, s25, v81
	s_delay_alu instid0(VALU_DEP_2) | instskip(NEXT) | instid1(VALU_DEP_1)
	v_cvt_f32_i32_e32 v86, v86
	v_mul_f32_e32 v86, s10, v86
	s_wait_alu 0xfffe
	s_delay_alu instid0(VALU_DEP_1) | instskip(SKIP_1) | instid1(VALU_DEP_2)
	v_cndmask_b32_e64 v85, 0, v86, s4
	v_max_num_f32_e32 v86, v64, v64
	v_fmac_f32_e32 v85, s7, v84
	s_delay_alu instid0(VALU_DEP_1) | instskip(SKIP_2) | instid1(VALU_DEP_2)
	v_max_num_f32_e32 v84, v86, v85
	s_wait_alu 0xf1ff
	v_cndmask_b32_e64 v85, 0, v85, s5
	v_cndmask_b32_e64 v64, v64, v84, s5
	ds_store_b32 v82, v85
	s_branch .LBB168_9
.LBB168_12:
	s_or_b32 exec_lo, exec_lo, s9
.LBB168_13:
	s_delay_alu instid0(SALU_CYCLE_1)
	s_or_b32 exec_lo, exec_lo, s8
	v_xor_b32_e32 v1, 16, v6
	v_xor_b32_e32 v2, 8, v6
	;; [unrolled: 1-line block ×3, first 2 shown]
	s_clause 0x2
	s_load_b128 s[8:11], s[0:1], 0x0
	s_load_b64 s[6:7], s[0:1], 0x10
	s_load_b64 s[22:23], s[0:1], 0x28
	v_and_b32_e32 v47, 31, v0
	v_cmp_lt_i32_e32 vcc_lo, v1, v8
	s_wait_alu 0xfffd
	v_cndmask_b32_e32 v1, v6, v1, vcc_lo
	v_cmp_lt_i32_e32 vcc_lo, v2, v8
	s_wait_alu 0xfffd
	v_dual_max_num_f32 v11, v64, v64 :: v_dual_cndmask_b32 v2, v6, v2
	s_delay_alu instid0(VALU_DEP_1) | instskip(SKIP_4) | instid1(VALU_DEP_1)
	v_lshlrev_b32_e32 v10, 2, v2
	v_lshlrev_b32_e32 v9, 2, v1
	ds_bpermute_b32 v1, v9, v64
	s_wait_dscnt 0x0
	v_max_num_f32_e32 v1, v1, v1
	v_max_num_f32_e32 v1, v11, v1
	v_xor_b32_e32 v11, 4, v6
	s_delay_alu instid0(VALU_DEP_1) | instskip(SKIP_4) | instid1(VALU_DEP_2)
	v_cmp_lt_i32_e32 vcc_lo, v11, v8
	s_wait_alu 0xfffd
	v_cndmask_b32_e32 v11, v6, v11, vcc_lo
	v_cmp_lt_i32_e32 vcc_lo, v12, v8
	s_wait_alu 0xfffd
	v_dual_cndmask_b32 v12, v6, v12 :: v_dual_lshlrev_b32 v11, 2, v11
	ds_bpermute_b32 v2, v10, v1
	v_cmp_eq_u32_e32 vcc_lo, 0, v47
	s_wait_dscnt 0x0
	v_max_num_f32_e32 v2, v2, v2
	s_delay_alu instid0(VALU_DEP_1) | instskip(SKIP_3) | instid1(VALU_DEP_1)
	v_max_num_f32_e32 v1, v1, v2
	ds_bpermute_b32 v2, v11, v1
	s_wait_dscnt 0x0
	v_max_num_f32_e32 v2, v2, v2
	v_dual_max_num_f32 v1, v1, v2 :: v_dual_lshlrev_b32 v2, 2, v12
	v_lshlrev_b32_e32 v12, 2, v45
	ds_bpermute_b32 v13, v2, v1
	s_and_saveexec_b32 s0, vcc_lo
	s_cbranch_execz .LBB168_15
; %bb.14:
	s_wait_dscnt 0x0
	v_max_num_f32_e32 v13, v13, v13
	v_max_num_f32_e32 v1, v1, v1
	s_delay_alu instid0(VALU_DEP_1)
	v_max_num_f32_e32 v1, v1, v13
	ds_store_b32 v12, v1 offset:256
.LBB168_15:
	s_or_b32 exec_lo, exec_lo, s0
	v_cmp_gt_u32_e64 s0, 4, v47
	v_mov_b32_e32 v1, 0xff7fffff
	s_wait_dscnt 0x0
	v_lshlrev_b32_e32 v13, 2, v47
	s_wait_loadcnt 0x0
	s_barrier_signal -1
	s_barrier_wait -1
	global_inv scope:SCOPE_SE
	s_and_saveexec_b32 s1, s0
; %bb.16:
	ds_load_b32 v1, v13 offset:256
; %bb.17:
	s_or_b32 exec_lo, exec_lo, s1
	s_wait_dscnt 0x0
	ds_bpermute_b32 v14, v2, v1
	v_xor_b32_e32 v15, 1, v6
	v_max_num_f32_e32 v1, v1, v1
	v_lshlrev_b32_e32 v7, 2, v7
	s_delay_alu instid0(VALU_DEP_3) | instskip(NEXT) | instid1(VALU_DEP_1)
	v_cmp_lt_i32_e64 s1, v15, v8
	v_cndmask_b32_e64 v8, v6, v15, s1
	s_sub_co_i32 s1, s17, s30
	s_wait_alu 0xfffe
	s_lshl_b32 s1, s1, 4
	s_wait_alu 0xfffe
	s_add_co_i32 s1, s1, s26
	s_wait_alu 0xfffe
	s_min_i32 s1, s1, s25
	s_wait_dscnt 0x0
	v_max_num_f32_e32 v14, v14, v14
	v_lshlrev_b32_e32 v48, 2, v8
	s_wait_alu 0xfffe
	s_sub_co_i32 s5, s1, s26
	s_wait_alu 0xfffe
	v_cmp_gt_i32_e64 s1, s5, v0
	v_max_num_f32_e32 v1, v1, v14
	ds_bpermute_b32 v8, v48, v1
	s_wait_dscnt 0x0
	v_max_num_f32_e32 v8, v8, v8
	s_delay_alu instid0(VALU_DEP_1)
	v_dual_max_num_f32 v1, v1, v8 :: v_dual_mov_b32 v8, 0
	ds_bpermute_b32 v1, v7, v1
	v_lshl_add_u32 v7, v0, 2, 0x120
	s_and_saveexec_b32 s15, s1
	s_cbranch_execz .LBB168_21
; %bb.18:
	v_lshl_add_u32 v14, v0, 2, 0x120
	v_dual_mov_b32 v8, 0 :: v_dual_mov_b32 v15, v0
	s_mov_b32 s30, 0
.LBB168_19:                             ; =>This Inner Loop Header: Depth=1
	ds_load_b32 v16, v14
	v_add_nc_u32_e32 v15, 0x80, v15
	s_delay_alu instid0(VALU_DEP_1) | instskip(SKIP_4) | instid1(VALU_DEP_1)
	v_cmp_le_i32_e64 s4, s5, v15
	s_wait_alu 0xfffe
	s_or_b32 s30, s4, s30
	s_wait_dscnt 0x0
	v_sub_f32_e32 v16, v16, v1
	v_mul_f32_e32 v16, 0x3fb8aa3b, v16
	s_delay_alu instid0(VALU_DEP_1)
	v_exp_f32_e32 v16, v16
	ds_store_b32 v14, v16
	v_add_f32_e32 v8, v8, v16
	v_add_nc_u32_e32 v14, 0x200, v14
	s_wait_alu 0xfffe
	s_and_not1_b32 exec_lo, exec_lo, s30
	s_cbranch_execnz .LBB168_19
; %bb.20:
	s_or_b32 exec_lo, exec_lo, s30
.LBB168_21:
	s_wait_alu 0xfffe
	s_or_b32 exec_lo, exec_lo, s15
	ds_bpermute_b32 v9, v9, v8
	s_wait_dscnt 0x0
	v_add_f32_e32 v8, v8, v9
	ds_bpermute_b32 v9, v10, v8
	s_wait_dscnt 0x0
	v_add_f32_e32 v8, v8, v9
	;; [unrolled: 3-line block ×5, first 2 shown]
	s_and_saveexec_b32 s4, vcc_lo
; %bb.22:
	ds_store_b32 v12, v8 offset:272
; %bb.23:
	s_wait_alu 0xfffe
	s_or_b32 exec_lo, exec_lo, s4
	s_wait_loadcnt_dscnt 0x0
	s_barrier_signal -1
	s_barrier_wait -1
	global_inv scope:SCOPE_SE
	s_and_saveexec_b32 s4, s0
; %bb.24:
	ds_load_b32 v8, v13 offset:272
; %bb.25:
	s_wait_alu 0xfffe
	s_or_b32 exec_lo, exec_lo, s4
	s_wait_dscnt 0x0
	ds_bpermute_b32 v2, v2, v8
	v_lshlrev_b32_e32 v6, 2, v6
	s_delay_alu instid0(VALU_DEP_1)
	v_and_b32_e32 v6, 0xffffff80, v6
	s_wait_dscnt 0x0
	v_add_f32_e32 v2, v8, v2
	ds_bpermute_b32 v8, v48, v2
	s_wait_dscnt 0x0
	v_add_f32_e32 v2, v2, v8
	ds_bpermute_b32 v2, v6, v2
	s_and_saveexec_b32 s0, s1
	s_cbranch_execz .LBB168_28
; %bb.26:
	s_wait_dscnt 0x0
	v_add_f32_e32 v6, 0x358637bd, v2
	s_mov_b32 s1, 0
	s_delay_alu instid0(VALU_DEP_1) | instskip(NEXT) | instid1(VALU_DEP_1)
	v_div_scale_f32 v8, null, v6, v6, 1.0
	v_rcp_f32_e32 v9, v8
	s_delay_alu instid0(TRANS32_DEP_1) | instskip(NEXT) | instid1(VALU_DEP_1)
	v_fma_f32 v10, -v8, v9, 1.0
	v_fmac_f32_e32 v9, v10, v9
	v_div_scale_f32 v11, vcc_lo, 1.0, v6, 1.0
	s_delay_alu instid0(VALU_DEP_1) | instskip(NEXT) | instid1(VALU_DEP_1)
	v_mul_f32_e32 v10, v11, v9
	v_fma_f32 v12, -v8, v10, v11
	s_delay_alu instid0(VALU_DEP_1) | instskip(NEXT) | instid1(VALU_DEP_1)
	v_fmac_f32_e32 v10, v12, v9
	v_fma_f32 v8, -v8, v10, v11
	s_wait_alu 0xfffd
	s_delay_alu instid0(VALU_DEP_1) | instskip(NEXT) | instid1(VALU_DEP_1)
	v_div_fmas_f32 v8, v8, v9, v10
	v_div_fixup_f32 v6, v8, v6, 1.0
	v_mov_b32_e32 v8, v0
.LBB168_27:                             ; =>This Inner Loop Header: Depth=1
	ds_load_b32 v9, v7
	s_wait_dscnt 0x0
	v_dual_mul_f32 v9, v6, v9 :: v_dual_add_nc_u32 v8, 0x80, v8
	s_delay_alu instid0(VALU_DEP_1)
	v_cmp_le_i32_e32 vcc_lo, s5, v8
	ds_store_b32 v7, v9
	v_add_nc_u32_e32 v7, 0x200, v7
	s_wait_alu 0xfffe
	s_or_b32 s1, vcc_lo, s1
	s_wait_alu 0xfffe
	s_and_not1_b32 exec_lo, exec_lo, s1
	s_cbranch_execnz .LBB168_27
.LBB168_28:
	s_wait_alu 0xfffe
	s_or_b32 exec_lo, exec_lo, s0
	s_wait_kmcnt 0x0
	s_mul_i32 s0, s12, s27
	s_wait_loadcnt_dscnt 0x0
	s_wait_alu 0xfffe
	s_mul_i32 s4, s0, s28
	s_mov_b32 s0, exec_lo
	s_barrier_signal -1
	s_barrier_wait -1
	global_inv scope:SCOPE_SE
	v_cmpx_eq_u32_e32 0, v0
	s_cbranch_execz .LBB168_30
; %bb.29:
	s_wait_alu 0xfffe
	s_ashr_i32 s5, s4, 31
	s_mul_i32 s30, s12, ttmp9
	s_lshl_b32 s1, s24, 2
	s_wait_alu 0xfffe
	s_lshl_b64 s[34:35], s[4:5], 2
	s_ashr_i32 s31, s30, 31
	v_mov_b32_e32 v6, s1
	s_add_nc_u64 s[10:11], s[10:11], s[34:35]
	s_wait_alu 0xfffe
	s_lshl_b64 s[30:31], s[30:31], 2
	s_add_nc_u64 s[8:9], s[8:9], s[34:35]
	s_wait_alu 0xfffe
	s_add_nc_u64 s[10:11], s[10:11], s[30:31]
	s_add_nc_u64 s[8:9], s[8:9], s[30:31]
	s_clause 0x1
	global_store_b32 v6, v1, s[10:11]
	global_store_b32 v6, v2, s[8:9]
.LBB168_30:
	s_wait_alu 0xfffe
	s_or_b32 exec_lo, exec_lo, s0
	v_dual_mov_b32 v55, 0 :: v_dual_mov_b32 v56, 0
	v_dual_mov_b32 v54, 0 :: v_dual_mov_b32 v53, 0
	;; [unrolled: 1-line block ×4, first 2 shown]
	s_and_saveexec_b32 s1, s3
	s_cbranch_execz .LBB168_50
; %bb.31:
	v_dual_mov_b32 v49, 0 :: v_dual_lshlrev_b32 v2, 4, v0
	s_ashr_i32 s15, s14, 31
	v_dual_mov_b32 v50, 0 :: v_dual_and_b32 v1, 8, v3
	s_delay_alu instid0(VALU_DEP_2)
	v_dual_mov_b32 v51, 0 :: v_dual_and_b32 v2, 0x1f0, v2
	s_wait_alu 0xfffe
	s_lshl_b64 s[8:9], s[14:15], 1
	v_dual_mov_b32 v52, 0 :: v_dual_lshlrev_b32 v3, 5, v44
	s_add_nc_u64 s[8:9], s[22:23], s[8:9]
	v_add3_u32 v59, s26, v5, v1
	v_add_co_u32 v57, s0, s8, v2
	s_wait_alu 0xf1ff
	v_add_co_ci_u32_e64 v58, null, s9, 0, s0
	s_lshl_b64 s[8:9], s[18:19], 2
	v_lshl_or_b32 v3, v45, 6, v3
	s_wait_alu 0xfffe
	s_add_nc_u64 s[8:9], s[20:21], s[8:9]
	v_mov_b32_e32 v53, 0
	s_wait_alu 0xfffe
	v_add_co_u32 v41, s0, s8, v4
	v_add_nc_u32_e32 v60, 0x120, v3
	s_wait_alu 0xf1ff
	v_add_co_ci_u32_e64 v42, null, s9, 0, s0
	v_dual_mov_b32 v54, 0 :: v_dual_mov_b32 v55, 0
	v_mov_b32_e32 v56, 0
	s_mov_b32 s3, s13
	s_add_co_i32 s5, s29, -1
	s_mov_b32 s9, s25
	s_mov_b32 s8, 0
	s_branch .LBB168_33
.LBB168_32:                             ;   in Loop: Header=BB168_33 Depth=1
	s_wait_alu 0xfffe
	s_or_b32 exec_lo, exec_lo, s0
	s_wait_dscnt 0x1
	v_bfe_u32 v61, v29, 16, 1
	v_bfe_u32 v62, v30, 16, 1
	v_or_b32_e32 v63, 0x400000, v29
	v_cmp_u_f32_e32 vcc_lo, v29, v29
	v_or_b32_e32 v64, 0x400000, v30
	v_add3_u32 v61, v61, v29, 0x7fff
	v_bfe_u32 v65, v31, 16, 1
	v_add3_u32 v62, v62, v30, 0x7fff
	v_bfe_u32 v66, v32, 16, 1
	v_add_co_u32 v41, s0, v41, 16
	s_wait_alu 0xfffd
	v_cndmask_b32_e32 v29, v61, v63, vcc_lo
	v_cmp_u_f32_e32 vcc_lo, v30, v30
	v_add3_u32 v61, v65, v31, 0x7fff
	s_wait_dscnt 0x0
	v_bfe_u32 v63, v25, 16, 1
	v_or_b32_e32 v65, 0x400000, v32
	s_wait_alu 0xfffd
	v_dual_cndmask_b32 v30, v62, v64 :: v_dual_add_nc_u32 v59, 64, v59
	v_or_b32_e32 v62, 0x400000, v31
	v_cmp_u_f32_e32 vcc_lo, v31, v31
	v_add3_u32 v64, v66, v32, 0x7fff
	s_wait_alu 0xf1ff
	v_add_co_ci_u32_e64 v42, null, 0, v42, s0
	v_and_b32_e32 v29, 0xffff0000, v29
	s_wait_alu 0xfffd
	v_cndmask_b32_e32 v31, v61, v62, vcc_lo
	v_cmp_u_f32_e32 vcc_lo, v32, v32
	v_add3_u32 v61, v63, v25, 0x7fff
	v_or_b32_e32 v62, 0x400000, v25
	v_bfe_u32 v63, v26, 16, 1
	v_add_nc_u32_e32 v60, 0x100, v60
	s_wait_alu 0xfffd
	v_cndmask_b32_e32 v32, v64, v65, vcc_lo
	v_cmp_u_f32_e32 vcc_lo, v25, v25
	v_or_b32_e32 v64, 0x400000, v26
	v_add3_u32 v63, v63, v26, 0x7fff
	v_or_b32_e32 v65, 0x400000, v27
	v_add_nc_u32_e32 v46, 4, v46
	s_wait_alu 0xfffd
	v_cndmask_b32_e32 v61, v61, v62, vcc_lo
	v_bfe_u32 v62, v27, 16, 1
	v_cmp_u_f32_e32 vcc_lo, v26, v26
	v_and_b32_e32 v25, 0xffff0000, v30
	s_wait_loadcnt 0x1
	v_and_b32_e32 v30, 0xffff0000, v37
	v_add3_u32 v62, v62, v27, 0x7fff
	s_wait_alu 0xfffd
	v_cndmask_b32_e32 v26, v63, v64, vcc_lo
	v_bfe_u32 v63, v28, 16, 1
	v_mul_f32_e32 v30, v25, v30
	v_cmp_u_f32_e32 vcc_lo, v27, v27
	v_or_b32_e32 v64, 0x400000, v28
	v_and_b32_e32 v26, 0xffff0000, v26
	v_add3_u32 v63, v63, v28, 0x7fff
	v_bfe_u32 v27, v30, 16, 1
	s_wait_alu 0xfffd
	v_cndmask_b32_e32 v62, v62, v65, vcc_lo
	v_cmp_u_f32_e32 vcc_lo, v28, v28
	v_lshlrev_b32_e32 v37, 16, v37
	v_or_b32_e32 v66, 0x400000, v30
	v_add3_u32 v65, v27, v30, 0x7fff
	v_and_b32_e32 v27, 0xffff0000, v32
	v_and_b32_e32 v32, 0xffff0000, v38
	s_wait_alu 0xfffd
	v_dual_cndmask_b32 v28, v63, v64 :: v_dual_mul_f32 v37, v29, v37
	v_cmp_u_f32_e32 vcc_lo, v30, v30
	v_and_b32_e32 v30, 0xffff0000, v31
	v_lshlrev_b32_e32 v31, 16, v38
	s_delay_alu instid0(VALU_DEP_4)
	v_and_b32_e32 v28, 0xffff0000, v28
	v_bfe_u32 v64, v37, 16, 1
	s_wait_alu 0xfffd
	v_cndmask_b32_e32 v63, v65, v66, vcc_lo
	v_mul_f32_e32 v65, v27, v32
	v_cmp_u_f32_e32 vcc_lo, v37, v37
	v_add3_u32 v38, v64, v37, 0x7fff
	v_or_b32_e32 v64, 0x400000, v37
	s_delay_alu instid0(VALU_DEP_4)
	v_bfe_u32 v66, v65, 16, 1
	v_and_b32_e32 v32, 0xffff0000, v39
	v_and_b32_e32 v63, 0xffff0000, v63
	s_wait_alu 0xfffd
	v_cndmask_b32_e32 v37, v38, v64, vcc_lo
	v_add3_u32 v38, v66, v65, 0x7fff
	v_or_b32_e32 v64, 0x400000, v65
	v_cmp_u_f32_e32 vcc_lo, v65, v65
	v_dual_mul_f32 v67, v26, v32 :: v_dual_and_b32 v32, 0xffff0000, v61
	s_wait_alu 0xfffd
	s_delay_alu instid0(VALU_DEP_3) | instskip(SKIP_1) | instid1(VALU_DEP_2)
	v_dual_cndmask_b32 v38, v38, v64 :: v_dual_and_b32 v37, 0xffff0000, v37
	v_mul_f32_e32 v31, v30, v31
	v_dual_add_f32 v37, v37, v63 :: v_dual_and_b32 v38, 0xffff0000, v38
	s_delay_alu instid0(VALU_DEP_2) | instskip(SKIP_2) | instid1(VALU_DEP_3)
	v_bfe_u32 v66, v31, 16, 1
	v_or_b32_e32 v64, 0x400000, v31
	v_cmp_u_f32_e32 vcc_lo, v31, v31
	v_add3_u32 v61, v66, v31, 0x7fff
	v_and_b32_e32 v66, 0xffff0000, v40
	v_and_b32_e32 v31, 0xffff0000, v62
	v_lshlrev_b32_e32 v40, 16, v40
	v_lshlrev_b32_e32 v39, 16, v39
	s_wait_alu 0xfffd
	v_dual_cndmask_b32 v61, v61, v64 :: v_dual_mul_f32 v64, v28, v66
	v_bfe_u32 v68, v67, 16, 1
	s_delay_alu instid0(VALU_DEP_3) | instskip(SKIP_1) | instid1(VALU_DEP_3)
	v_dual_mul_f32 v40, v31, v40 :: v_dual_mul_f32 v39, v32, v39
	v_cmp_u_f32_e32 vcc_lo, v67, v67
	v_add3_u32 v65, v68, v67, 0x7fff
	v_or_b32_e32 v68, 0x400000, v67
	s_delay_alu instid0(VALU_DEP_4) | instskip(SKIP_2) | instid1(VALU_DEP_3)
	v_bfe_u32 v69, v39, 16, 1
	v_or_b32_e32 v67, 0x400000, v39
	s_wait_alu 0xfffd
	v_cndmask_b32_e32 v65, v65, v68, vcc_lo
	s_delay_alu instid0(VALU_DEP_3) | instskip(SKIP_2) | instid1(VALU_DEP_4)
	v_add3_u32 v66, v69, v39, 0x7fff
	v_bfe_u32 v68, v64, 16, 1
	v_cmp_u_f32_e32 vcc_lo, v39, v39
	v_and_b32_e32 v63, 0xffff0000, v65
	v_or_b32_e32 v65, 0x400000, v40
	s_delay_alu instid0(VALU_DEP_4)
	v_add3_u32 v62, v68, v64, 0x7fff
	s_wait_alu 0xfffd
	v_cndmask_b32_e32 v39, v66, v67, vcc_lo
	v_or_b32_e32 v66, 0x400000, v64
	v_cmp_u_f32_e32 vcc_lo, v64, v64
	v_bfe_u32 v64, v40, 16, 1
	s_wait_alu 0xfffd
	s_delay_alu instid0(VALU_DEP_3) | instskip(NEXT) | instid1(VALU_DEP_2)
	v_cndmask_b32_e32 v62, v62, v66, vcc_lo
	v_add3_u32 v64, v64, v40, 0x7fff
	v_cmp_u_f32_e32 vcc_lo, v40, v40
	v_and_b32_e32 v61, 0xffff0000, v61
	v_and_b32_e32 v66, 0xffff0000, v36
	v_and_b32_e32 v39, 0xffff0000, v39
	v_lshlrev_b32_e32 v36, 16, v36
	s_wait_alu 0xfffd
	v_dual_cndmask_b32 v40, v64, v65 :: v_dual_and_b32 v65, 0xffff0000, v35
	s_delay_alu instid0(VALU_DEP_3) | instskip(SKIP_1) | instid1(VALU_DEP_3)
	v_dual_add_f32 v38, v61, v38 :: v_dual_add_f32 v39, v39, v63
	v_and_b32_e32 v61, 0xffff0000, v33
	v_dual_mul_f32 v65, v26, v65 :: v_dual_and_b32 v40, 0xffff0000, v40
	s_delay_alu instid0(VALU_DEP_3) | instskip(NEXT) | instid1(VALU_DEP_3)
	v_add_f32_e32 v37, v38, v37
	v_mul_f32_e32 v38, v25, v61
	v_mul_f32_e32 v36, v31, v36
	s_delay_alu instid0(VALU_DEP_3) | instskip(SKIP_1) | instid1(VALU_DEP_4)
	v_add_f32_e32 v37, v39, v37
	v_and_b32_e32 v39, 0xffff0000, v34
	v_bfe_u32 v61, v38, 16, 1
	v_or_b32_e32 v63, 0x400000, v38
	v_cmp_u_f32_e32 vcc_lo, v38, v38
	s_delay_alu instid0(VALU_DEP_4) | instskip(NEXT) | instid1(VALU_DEP_4)
	v_dual_mul_f32 v39, v27, v39 :: v_dual_lshlrev_b32 v34, 16, v34
	v_add3_u32 v61, v61, v38, 0x7fff
	v_lshlrev_b32_e32 v33, 16, v33
	s_delay_alu instid0(VALU_DEP_3) | instskip(SKIP_4) | instid1(VALU_DEP_2)
	v_dual_mul_f32 v34, v30, v34 :: v_dual_lshlrev_b32 v35, 16, v35
	v_bfe_u32 v69, v36, 16, 1
	s_wait_alu 0xfffd
	v_cndmask_b32_e32 v38, v61, v63, vcc_lo
	v_mul_f32_e32 v33, v29, v33
	v_dual_mul_f32 v35, v32, v35 :: v_dual_and_b32 v38, 0xffff0000, v38
	s_delay_alu instid0(VALU_DEP_2) | instskip(SKIP_2) | instid1(VALU_DEP_4)
	v_bfe_u32 v64, v33, 16, 1
	v_or_b32_e32 v63, 0x400000, v33
	v_cmp_u_f32_e32 vcc_lo, v33, v33
	v_or_b32_e32 v67, 0x400000, v35
	s_delay_alu instid0(VALU_DEP_4) | instskip(SKIP_2) | instid1(VALU_DEP_2)
	v_add3_u32 v61, v64, v33, 0x7fff
	v_bfe_u32 v64, v39, 16, 1
	s_wait_alu 0xfffd
	v_cndmask_b32_e32 v33, v61, v63, vcc_lo
	s_delay_alu instid0(VALU_DEP_2)
	v_add3_u32 v61, v64, v39, 0x7fff
	v_or_b32_e32 v63, 0x400000, v39
	v_bfe_u32 v64, v34, 16, 1
	v_cmp_u_f32_e32 vcc_lo, v39, v39
	v_and_b32_e32 v33, 0xffff0000, v33
	s_wait_alu 0xfffd
	v_cndmask_b32_e32 v39, v61, v63, vcc_lo
	v_add3_u32 v61, v64, v34, 0x7fff
	v_or_b32_e32 v63, 0x400000, v34
	v_bfe_u32 v64, v65, 16, 1
	v_cmp_u_f32_e32 vcc_lo, v34, v34
	v_and_b32_e32 v39, 0xffff0000, v39
	s_wait_alu 0xfffd
	v_cndmask_b32_e32 v34, v61, v63, vcc_lo
	v_bfe_u32 v61, v35, 16, 1
	v_add3_u32 v63, v64, v65, 0x7fff
	v_mul_f32_e32 v64, v28, v66
	v_or_b32_e32 v66, 0x400000, v65
	v_cmp_u_f32_e32 vcc_lo, v65, v65
	v_add3_u32 v61, v61, v35, 0x7fff
	v_and_b32_e32 v34, 0xffff0000, v34
	v_bfe_u32 v68, v64, 16, 1
	v_add3_u32 v65, v69, v36, 0x7fff
	s_wait_alu 0xfffd
	v_cndmask_b32_e32 v63, v63, v66, vcc_lo
	v_cmp_u_f32_e32 vcc_lo, v35, v35
	v_or_b32_e32 v66, 0x400000, v36
	v_dual_add_f32 v34, v34, v39 :: v_dual_add_f32 v33, v33, v38
	s_delay_alu instid0(VALU_DEP_4)
	v_and_b32_e32 v38, 0xffff0000, v63
	s_wait_alu 0xfffd
	v_cndmask_b32_e32 v35, v61, v67, vcc_lo
	v_cmp_u_f32_e32 vcc_lo, v36, v36
	v_add3_u32 v61, v68, v64, 0x7fff
	v_or_b32_e32 v67, 0x400000, v64
	s_wait_alu 0xfffd
	v_dual_cndmask_b32 v36, v65, v66 :: v_dual_and_b32 v35, 0xffff0000, v35
	v_cmp_u_f32_e32 vcc_lo, v64, v64
	s_wait_alu 0xfffd
	v_cndmask_b32_e32 v39, v61, v67, vcc_lo
	v_and_b32_e32 v61, 0xffff0000, v62
	v_dual_add_f32 v33, v34, v33 :: v_dual_add_f32 v34, v35, v38
	v_and_b32_e32 v35, 0xffff0000, v36
	s_delay_alu instid0(VALU_DEP_4) | instskip(SKIP_3) | instid1(VALU_DEP_4)
	v_and_b32_e32 v36, 0xffff0000, v39
	v_and_b32_e32 v38, 0xffff0000, v21
	v_add_f32_e32 v39, v40, v61
	v_lshlrev_b32_e32 v21, 16, v21
	v_dual_add_f32 v33, v34, v33 :: v_dual_add_f32 v34, v35, v36
	s_delay_alu instid0(VALU_DEP_3) | instskip(NEXT) | instid1(VALU_DEP_3)
	v_dual_mul_f32 v35, v25, v38 :: v_dual_add_f32 v36, v39, v37
	v_mul_f32_e32 v21, v29, v21
	v_and_b32_e32 v37, 0xffff0000, v22
	s_delay_alu instid0(VALU_DEP_4) | instskip(NEXT) | instid1(VALU_DEP_4)
	v_add_f32_e32 v33, v34, v33
	v_bfe_u32 v34, v35, 16, 1
	v_add_f32_e32 v50, v50, v36
	v_bfe_u32 v36, v21, 16, 1
	v_mul_f32_e32 v37, v27, v37
	v_add_f32_e32 v51, v51, v33
	v_add3_u32 v33, v34, v35, 0x7fff
	v_or_b32_e32 v34, 0x400000, v35
	v_lshlrev_b32_e32 v22, 16, v22
	v_cmp_u_f32_e32 vcc_lo, v35, v35
	v_add3_u32 v36, v36, v21, 0x7fff
	v_or_b32_e32 v38, 0x400000, v21
	s_delay_alu instid0(VALU_DEP_4)
	v_dual_mul_f32 v22, v30, v22 :: v_dual_and_b32 v35, 0xffff0000, v23
	s_wait_alu 0xfffd
	v_cndmask_b32_e32 v33, v33, v34, vcc_lo
	v_bfe_u32 v34, v37, 16, 1
	v_cmp_u_f32_e32 vcc_lo, v21, v21
	v_lshlrev_b32_e32 v23, 16, v23
	v_mul_f32_e32 v35, v26, v35
	v_and_b32_e32 v39, 0xffff0000, v24
	v_add3_u32 v34, v34, v37, 0x7fff
	s_wait_alu 0xfffd
	v_cndmask_b32_e32 v21, v36, v38, vcc_lo
	v_or_b32_e32 v36, 0x400000, v37
	v_bfe_u32 v38, v22, 16, 1
	v_cmp_u_f32_e32 vcc_lo, v37, v37
	v_mul_f32_e32 v23, v32, v23
	v_or_b32_e32 v37, 0x400000, v22
	v_lshlrev_b32_e32 v24, 16, v24
	s_wait_alu 0xfffd
	v_dual_cndmask_b32 v34, v34, v36 :: v_dual_and_b32 v33, 0xffff0000, v33
	v_add3_u32 v36, v38, v22, 0x7fff
	v_bfe_u32 v38, v35, 16, 1
	v_cmp_u_f32_e32 vcc_lo, v22, v22
	v_bfe_u32 v40, v23, 16, 1
	v_mul_f32_e32 v24, v31, v24
	v_and_b32_e32 v34, 0xffff0000, v34
	s_wait_alu 0xfffd
	v_cndmask_b32_e32 v22, v36, v37, vcc_lo
	v_add3_u32 v36, v38, v35, 0x7fff
	v_mul_f32_e32 v37, v28, v39
	v_or_b32_e32 v38, 0x400000, v35
	v_cmp_u_f32_e32 vcc_lo, v35, v35
	v_add3_u32 v39, v40, v23, 0x7fff
	v_or_b32_e32 v40, 0x400000, v23
	v_bfe_u32 v61, v37, 16, 1
	v_and_b32_e32 v22, 0xffff0000, v22
	s_wait_alu 0xfffd
	v_cndmask_b32_e32 v35, v36, v38, vcc_lo
	v_cmp_u_f32_e32 vcc_lo, v23, v23
	v_or_b32_e32 v38, 0x400000, v37
	v_add3_u32 v36, v61, v37, 0x7fff
	v_add_f32_e32 v22, v22, v34
	s_wait_alu 0xfffd
	v_dual_cndmask_b32 v23, v39, v40 :: v_dual_and_b32 v34, 0xffff0000, v17
	v_bfe_u32 v39, v24, 16, 1
	v_cmp_u_f32_e32 vcc_lo, v37, v37
	v_lshlrev_b32_e32 v17, 16, v17
	s_delay_alu instid0(VALU_DEP_4) | instskip(NEXT) | instid1(VALU_DEP_4)
	v_and_b32_e32 v23, 0xffff0000, v23
	v_add3_u32 v37, v39, v24, 0x7fff
	s_wait_alu 0xfffd
	v_cndmask_b32_e32 v36, v36, v38, vcc_lo
	v_or_b32_e32 v38, 0x400000, v24
	v_cmp_u_f32_e32 vcc_lo, v24, v24
	v_mul_f32_e32 v17, v29, v17
	s_wait_alu 0xfffd
	s_delay_alu instid0(VALU_DEP_3) | instskip(SKIP_2) | instid1(VALU_DEP_3)
	v_dual_cndmask_b32 v24, v37, v38 :: v_dual_and_b32 v37, 0xffff0000, v20
	v_lshlrev_b32_e32 v20, 16, v20
	v_and_b32_e32 v21, 0xffff0000, v21
	v_and_b32_e32 v24, 0xffff0000, v24
	s_delay_alu instid0(VALU_DEP_2) | instskip(SKIP_1) | instid1(VALU_DEP_2)
	v_dual_mul_f32 v20, v31, v20 :: v_dual_add_f32 v21, v21, v33
	v_and_b32_e32 v33, 0xffff0000, v35
	v_add_f32_e32 v21, v22, v21
	s_delay_alu instid0(VALU_DEP_2) | instskip(SKIP_1) | instid1(VALU_DEP_2)
	v_add_f32_e32 v23, v23, v33
	v_dual_mul_f32 v22, v25, v34 :: v_dual_and_b32 v33, 0xffff0000, v36
	v_add_f32_e32 v21, v23, v21
	s_delay_alu instid0(VALU_DEP_2) | instskip(NEXT) | instid1(VALU_DEP_3)
	v_add_f32_e32 v24, v24, v33
	v_bfe_u32 v34, v22, 16, 1
	v_cmp_u_f32_e32 vcc_lo, v22, v22
	s_delay_alu instid0(VALU_DEP_3) | instskip(NEXT) | instid1(VALU_DEP_3)
	v_add_f32_e32 v21, v24, v21
	v_add3_u32 v33, v34, v22, 0x7fff
	v_or_b32_e32 v34, 0x400000, v22
	v_and_b32_e32 v24, 0xffff0000, v16
	s_delay_alu instid0(VALU_DEP_4)
	v_dual_add_f32 v52, v52, v21 :: v_dual_and_b32 v35, 0xffff0000, v18
	v_and_b32_e32 v21, 0xffff0000, v14
	v_lshlrev_b32_e32 v14, 16, v14
	v_bfe_u32 v23, v17, 16, 1
	v_or_b32_e32 v36, 0x400000, v17
	s_wait_alu 0xfffd
	v_cndmask_b32_e32 v22, v33, v34, vcc_lo
	v_cmp_u_f32_e32 vcc_lo, v17, v17
	v_mul_f32_e32 v35, v27, v35
	v_add3_u32 v23, v23, v17, 0x7fff
	v_lshlrev_b32_e32 v18, 16, v18
	v_and_b32_e32 v22, 0xffff0000, v22
	v_lshlrev_b32_e32 v16, 16, v16
	v_bfe_u32 v33, v35, 16, 1
	s_wait_alu 0xfffd
	v_cndmask_b32_e32 v17, v23, v36, vcc_lo
	v_or_b32_e32 v34, 0x400000, v35
	v_cmp_u_f32_e32 vcc_lo, v35, v35
	v_mul_f32_e32 v18, v30, v18
	v_add3_u32 v33, v33, v35, 0x7fff
	v_and_b32_e32 v17, 0xffff0000, v17
	v_dual_mul_f32 v16, v31, v16 :: v_dual_and_b32 v23, 0xffff0000, v19
	v_lshlrev_b32_e32 v19, 16, v19
	s_wait_alu 0xfffd
	v_cndmask_b32_e32 v33, v33, v34, vcc_lo
	v_add_f32_e32 v17, v17, v22
	v_bfe_u32 v36, v18, 16, 1
	v_mul_f32_e32 v23, v26, v23
	v_mul_f32_e32 v19, v32, v19
	v_or_b32_e32 v35, 0x400000, v18
	v_cmp_u_f32_e32 vcc_lo, v18, v18
	v_add3_u32 v34, v36, v18, 0x7fff
	v_bfe_u32 v36, v23, 16, 1
	v_bfe_u32 v38, v19, 16, 1
	v_and_b32_e32 v33, 0xffff0000, v33
	s_wait_alu 0xfffd
	v_dual_mul_f32 v21, v27, v21 :: v_dual_cndmask_b32 v18, v34, v35
	v_add3_u32 v34, v36, v23, 0x7fff
	v_mul_f32_e32 v35, v28, v37
	v_or_b32_e32 v36, 0x400000, v23
	v_cmp_u_f32_e32 vcc_lo, v23, v23
	v_add3_u32 v37, v38, v19, 0x7fff
	v_or_b32_e32 v38, 0x400000, v19
	v_bfe_u32 v39, v35, 16, 1
	s_wait_alu 0xfffd
	v_dual_cndmask_b32 v23, v34, v36 :: v_dual_and_b32 v18, 0xffff0000, v18
	v_cmp_u_f32_e32 vcc_lo, v19, v19
	v_or_b32_e32 v36, 0x400000, v35
	v_add3_u32 v34, v39, v35, 0x7fff
	s_delay_alu instid0(VALU_DEP_4)
	v_add_f32_e32 v18, v18, v33
	s_wait_alu 0xfffd
	v_dual_cndmask_b32 v19, v37, v38 :: v_dual_and_b32 v22, 0xffff0000, v23
	v_bfe_u32 v37, v20, 16, 1
	v_cmp_u_f32_e32 vcc_lo, v35, v35
	v_add_f32_e32 v17, v18, v17
	v_and_b32_e32 v18, 0xffff0000, v13
	v_and_b32_e32 v19, 0xffff0000, v19
	v_add3_u32 v35, v37, v20, 0x7fff
	s_wait_alu 0xfffd
	v_cndmask_b32_e32 v34, v34, v36, vcc_lo
	v_or_b32_e32 v36, 0x400000, v20
	v_cmp_u_f32_e32 vcc_lo, v20, v20
	v_add_f32_e32 v19, v19, v22
	v_lshlrev_b32_e32 v13, 16, v13
	v_and_b32_e32 v22, 0xffff0000, v34
	v_mul_f32_e32 v18, v25, v18
	s_wait_alu 0xfffd
	v_cndmask_b32_e32 v20, v35, v36, vcc_lo
	v_dual_mul_f32 v14, v30, v14 :: v_dual_mul_f32 v23, v29, v13
	v_add_f32_e32 v13, v19, v17
	v_bfe_u32 v19, v18, 16, 1
	s_delay_alu instid0(VALU_DEP_4) | instskip(SKIP_1) | instid1(VALU_DEP_2)
	v_and_b32_e32 v20, 0xffff0000, v20
	v_cmp_u_f32_e32 vcc_lo, v18, v18
	v_add_f32_e32 v17, v20, v22
	v_bfe_u32 v20, v23, 16, 1
	v_or_b32_e32 v22, 0x400000, v23
	s_delay_alu instid0(VALU_DEP_3)
	v_add_f32_e32 v13, v17, v13
	v_add3_u32 v17, v19, v18, 0x7fff
	v_or_b32_e32 v19, 0x400000, v18
	v_add3_u32 v20, v20, v23, 0x7fff
	v_bfe_u32 v18, v21, 16, 1
	s_wait_alu 0xfffd
	s_delay_alu instid0(VALU_DEP_3) | instskip(SKIP_1) | instid1(VALU_DEP_3)
	v_cndmask_b32_e32 v17, v17, v19, vcc_lo
	v_cmp_u_f32_e32 vcc_lo, v23, v23
	v_add3_u32 v18, v18, v21, 0x7fff
	v_bfe_u32 v23, v14, 16, 1
	s_delay_alu instid0(VALU_DEP_4)
	v_and_b32_e32 v17, 0xffff0000, v17
	s_wait_alu 0xfffd
	v_dual_cndmask_b32 v19, v20, v22 :: v_dual_and_b32 v20, 0xffff0000, v15
	v_or_b32_e32 v22, 0x400000, v21
	v_lshlrev_b32_e32 v15, 16, v15
	v_cmp_u_f32_e32 vcc_lo, v21, v21
	v_add3_u32 v21, v23, v14, 0x7fff
	v_dual_mul_f32 v20, v26, v20 :: v_dual_and_b32 v19, 0xffff0000, v19
	s_wait_alu 0xfffd
	v_dual_mul_f32 v15, v32, v15 :: v_dual_cndmask_b32 v18, v18, v22
	v_or_b32_e32 v22, 0x400000, v14
	s_delay_alu instid0(VALU_DEP_3) | instskip(SKIP_1) | instid1(VALU_DEP_4)
	v_bfe_u32 v23, v20, 16, 1
	v_cmp_u_f32_e32 vcc_lo, v14, v14
	v_bfe_u32 v33, v15, 16, 1
	v_dual_add_f32 v17, v19, v17 :: v_dual_and_b32 v18, 0xffff0000, v18
	s_wait_alu 0xfffd
	v_dual_cndmask_b32 v14, v21, v22 :: v_dual_and_b32 v19, 0xffff0000, v5
	v_add3_u32 v21, v23, v20, 0x7fff
	v_mul_f32_e32 v22, v28, v24
	v_or_b32_e32 v23, 0x400000, v20
	v_cmp_u_f32_e32 vcc_lo, v20, v20
	v_add3_u32 v24, v33, v15, 0x7fff
	v_or_b32_e32 v33, 0x400000, v15
	v_bfe_u32 v34, v22, 16, 1
	v_and_b32_e32 v14, 0xffff0000, v14
	s_wait_alu 0xfffd
	v_cndmask_b32_e32 v20, v21, v23, vcc_lo
	v_cmp_u_f32_e32 vcc_lo, v15, v15
	v_or_b32_e32 v23, 0x400000, v22
	v_add3_u32 v21, v34, v22, 0x7fff
	v_add_f32_e32 v14, v14, v18
	s_wait_alu 0xfffd
	v_dual_cndmask_b32 v15, v24, v33 :: v_dual_and_b32 v18, 0xffff0000, v20
	v_bfe_u32 v24, v16, 16, 1
	v_cmp_u_f32_e32 vcc_lo, v22, v22
	v_lshlrev_b32_e32 v5, 16, v5
	s_delay_alu instid0(VALU_DEP_4) | instskip(NEXT) | instid1(VALU_DEP_4)
	v_dual_add_f32 v14, v14, v17 :: v_dual_and_b32 v15, 0xffff0000, v15
	v_add3_u32 v22, v24, v16, 0x7fff
	s_wait_alu 0xfffd
	v_cndmask_b32_e32 v21, v21, v23, vcc_lo
	v_or_b32_e32 v23, 0x400000, v16
	v_cmp_u_f32_e32 vcc_lo, v16, v16
	v_mul_f32_e32 v17, v25, v19
	v_add_f32_e32 v15, v15, v18
	v_mul_f32_e32 v5, v29, v5
	v_and_b32_e32 v18, 0xffff0000, v21
	s_wait_alu 0xfffd
	v_dual_cndmask_b32 v16, v22, v23 :: v_dual_and_b32 v19, 0xffff0000, v6
	v_bfe_u32 v20, v17, 16, 1
	v_add_f32_e32 v14, v15, v14
	v_bfe_u32 v15, v5, 16, 1
	s_delay_alu instid0(VALU_DEP_4)
	v_and_b32_e32 v16, 0xffff0000, v16
	v_lshlrev_b32_e32 v6, 16, v6
	v_cmp_u_f32_e32 vcc_lo, v17, v17
	v_or_b32_e32 v21, 0x400000, v5
	v_add3_u32 v15, v15, v5, 0x7fff
	v_add_f32_e32 v16, v16, v18
	v_mul_f32_e32 v18, v27, v19
	v_add3_u32 v19, v20, v17, 0x7fff
	v_or_b32_e32 v20, 0x400000, v17
	v_mul_f32_e32 v6, v30, v6
	s_delay_alu instid0(VALU_DEP_4) | instskip(SKIP_1) | instid1(VALU_DEP_3)
	v_bfe_u32 v22, v18, 16, 1
	s_wait_alu 0xfffd
	v_cndmask_b32_e32 v17, v19, v20, vcc_lo
	v_cmp_u_f32_e32 vcc_lo, v5, v5
	v_and_b32_e32 v20, 0xffff0000, v7
	v_or_b32_e32 v19, 0x400000, v18
	v_lshlrev_b32_e32 v7, 16, v7
	v_and_b32_e32 v17, 0xffff0000, v17
	s_wait_alu 0xfffd
	v_cndmask_b32_e32 v5, v15, v21, vcc_lo
	v_add3_u32 v15, v22, v18, 0x7fff
	v_bfe_u32 v21, v6, 16, 1
	v_cmp_u_f32_e32 vcc_lo, v18, v18
	v_dual_mul_f32 v18, v26, v20 :: v_dual_mul_f32 v7, v32, v7
	v_or_b32_e32 v20, 0x400000, v6
	v_and_b32_e32 v5, 0xffff0000, v5
	s_wait_alu 0xfffd
	v_cndmask_b32_e32 v15, v15, v19, vcc_lo
	v_add3_u32 v19, v21, v6, 0x7fff
	v_and_b32_e32 v21, 0xffff0000, v8
	v_bfe_u32 v22, v18, 16, 1
	v_cmp_u_f32_e32 vcc_lo, v6, v6
	v_bfe_u32 v23, v7, 16, 1
	v_lshlrev_b32_e32 v8, 16, v8
	v_and_b32_e32 v15, 0xffff0000, v15
	s_wait_alu 0xfffd
	v_dual_add_f32 v5, v5, v17 :: v_dual_cndmask_b32 v6, v19, v20
	v_mul_f32_e32 v19, v28, v21
	v_add3_u32 v20, v22, v18, 0x7fff
	v_or_b32_e32 v21, 0x400000, v18
	v_cmp_u_f32_e32 vcc_lo, v18, v18
	v_add3_u32 v22, v23, v7, 0x7fff
	v_or_b32_e32 v23, 0x400000, v7
	v_bfe_u32 v24, v19, 16, 1
	v_mul_f32_e32 v8, v31, v8
	s_wait_alu 0xfffd
	v_cndmask_b32_e32 v18, v20, v21, vcc_lo
	v_cmp_u_f32_e32 vcc_lo, v7, v7
	v_or_b32_e32 v21, 0x400000, v19
	v_add3_u32 v20, v24, v19, 0x7fff
	v_and_b32_e32 v6, 0xffff0000, v6
	v_and_b32_e32 v17, 0xffff0000, v18
	s_wait_alu 0xfffd
	v_cndmask_b32_e32 v7, v22, v23, vcc_lo
	v_cmp_u_f32_e32 vcc_lo, v19, v19
	v_dual_add_f32 v53, v53, v13 :: v_dual_add_f32 v6, v6, v15
	v_and_b32_e32 v15, 0xffff0000, v1
	s_delay_alu instid0(VALU_DEP_4)
	v_and_b32_e32 v7, 0xffff0000, v7
	s_wait_alu 0xfffd
	v_cndmask_b32_e32 v19, v20, v21, vcc_lo
	v_bfe_u32 v20, v8, 16, 1
	v_cmp_u_f32_e32 vcc_lo, v8, v8
	v_dual_add_f32 v5, v6, v5 :: v_dual_mul_f32 v6, v25, v15
	v_add_f32_e32 v7, v7, v17
	s_delay_alu instid0(VALU_DEP_4)
	v_add3_u32 v18, v20, v8, 0x7fff
	v_or_b32_e32 v20, 0x400000, v8
	v_lshlrev_b32_e32 v1, 16, v1
	v_bfe_u32 v15, v6, 16, 1
	v_add_f32_e32 v5, v7, v5
	s_wait_alu 0xfffd
	v_dual_cndmask_b32 v8, v18, v20 :: v_dual_and_b32 v7, 0xffff0000, v2
	v_and_b32_e32 v18, 0xffff0000, v19
	v_add3_u32 v15, v15, v6, 0x7fff
	v_or_b32_e32 v17, 0x400000, v6
	s_delay_alu instid0(VALU_DEP_4) | instskip(SKIP_3) | instid1(VALU_DEP_4)
	v_dual_mul_f32 v7, v27, v7 :: v_dual_and_b32 v8, 0xffff0000, v8
	v_mul_f32_e32 v1, v29, v1
	v_cmp_u_f32_e32 vcc_lo, v6, v6
	v_lshlrev_b32_e32 v2, 16, v2
	v_or_b32_e32 v21, 0x400000, v7
	v_add_f32_e32 v8, v8, v18
	v_bfe_u32 v19, v1, 16, 1
	s_wait_alu 0xfffd
	v_cndmask_b32_e32 v6, v15, v17, vcc_lo
	v_bfe_u32 v15, v7, 16, 1
	v_or_b32_e32 v20, 0x400000, v1
	v_mul_f32_e32 v2, v30, v2
	v_add3_u32 v17, v19, v1, 0x7fff
	v_and_b32_e32 v19, 0xffff0000, v3
	v_cmp_u_f32_e32 vcc_lo, v1, v1
	v_add3_u32 v15, v15, v7, 0x7fff
	v_lshlrev_b32_e32 v3, 16, v3
	s_delay_alu instid0(VALU_DEP_4)
	v_dual_mul_f32 v19, v26, v19 :: v_dual_and_b32 v6, 0xffff0000, v6
	s_wait_alu 0xfffd
	v_cndmask_b32_e32 v1, v17, v20, vcc_lo
	v_bfe_u32 v17, v2, 16, 1
	v_cmp_u_f32_e32 vcc_lo, v7, v7
	v_dual_mul_f32 v3, v32, v3 :: v_dual_and_b32 v20, 0xffff0000, v4
	v_or_b32_e32 v22, 0x400000, v19
	s_delay_alu instid0(VALU_DEP_4)
	v_add3_u32 v17, v17, v2, 0x7fff
	s_wait_alu 0xfffd
	v_cndmask_b32_e32 v7, v15, v21, vcc_lo
	v_bfe_u32 v15, v19, 16, 1
	v_or_b32_e32 v21, 0x400000, v2
	v_cmp_u_f32_e32 vcc_lo, v2, v2
	v_mul_f32_e32 v20, v28, v20
	v_lshlrev_b32_e32 v4, 16, v4
	v_add3_u32 v15, v15, v19, 0x7fff
	v_and_b32_e32 v1, 0xffff0000, v1
	s_wait_alu 0xfffd
	v_cndmask_b32_e32 v2, v17, v21, vcc_lo
	v_bfe_u32 v17, v3, 16, 1
	v_cmp_u_f32_e32 vcc_lo, v19, v19
	v_bfe_u32 v21, v20, 16, 1
	v_or_b32_e32 v19, 0x400000, v3
	v_mul_f32_e32 v4, v31, v4
	v_add3_u32 v17, v17, v3, 0x7fff
	s_wait_alu 0xfffd
	v_cndmask_b32_e32 v15, v15, v22, vcc_lo
	v_cmp_u_f32_e32 vcc_lo, v3, v3
	v_add3_u32 v21, v21, v20, 0x7fff
	v_or_b32_e32 v22, 0x400000, v20
	v_and_b32_e32 v2, 0xffff0000, v2
	v_and_b32_e32 v7, 0xffff0000, v7
	s_wait_alu 0xfffd
	v_cndmask_b32_e32 v3, v17, v19, vcc_lo
	v_cmp_u_f32_e32 vcc_lo, v20, v20
	v_bfe_u32 v19, v4, 16, 1
	v_dual_add_f32 v1, v1, v6 :: v_dual_add_f32 v2, v2, v7
	s_delay_alu instid0(VALU_DEP_4)
	v_and_b32_e32 v3, 0xffff0000, v3
	s_wait_alu 0xfffd
	v_cndmask_b32_e32 v17, v21, v22, vcc_lo
	s_wait_loadcnt 0x0
	v_lshlrev_b32_e32 v21, 16, v9
	v_and_b32_e32 v6, 0xffff0000, v15
	v_and_b32_e32 v9, 0xffff0000, v9
	v_add3_u32 v19, v19, v4, 0x7fff
	v_or_b32_e32 v20, 0x400000, v4
	v_mul_f32_e32 v7, v29, v21
	v_cmp_u_f32_e32 vcc_lo, v4, v4
	v_add_f32_e32 v1, v2, v1
	v_dual_add_f32 v3, v3, v6 :: v_dual_mul_f32 v6, v25, v9
	s_delay_alu instid0(VALU_DEP_4)
	v_bfe_u32 v2, v7, 16, 1
	s_wait_alu 0xfffd
	v_dual_cndmask_b32 v4, v19, v20 :: v_dual_lshlrev_b32 v9, 16, v10
	v_or_b32_e32 v15, 0x400000, v7
	v_bfe_u32 v19, v6, 16, 1
	v_add3_u32 v2, v2, v7, 0x7fff
	s_delay_alu instid0(VALU_DEP_4) | instskip(SKIP_1) | instid1(VALU_DEP_4)
	v_dual_mul_f32 v9, v30, v9 :: v_dual_and_b32 v10, 0xffff0000, v10
	v_cmp_u_f32_e32 vcc_lo, v7, v7
	v_add3_u32 v7, v19, v6, 0x7fff
	v_lshlrev_b32_e32 v20, 16, v11
	s_delay_alu instid0(VALU_DEP_4)
	v_bfe_u32 v19, v9, 16, 1
	v_mul_f32_e32 v10, v27, v10
	s_wait_alu 0xfffd
	v_cndmask_b32_e32 v2, v2, v15, vcc_lo
	v_or_b32_e32 v15, 0x400000, v6
	v_cmp_u_f32_e32 vcc_lo, v6, v6
	v_dual_mul_f32 v20, v32, v20 :: v_dual_and_b32 v11, 0xffff0000, v11
	v_lshlrev_b32_e32 v21, 16, v12
	v_and_b32_e32 v12, 0xffff0000, v12
	s_wait_alu 0xfffd
	v_cndmask_b32_e32 v6, v7, v15, vcc_lo
	v_add3_u32 v7, v19, v9, 0x7fff
	v_or_b32_e32 v15, 0x400000, v9
	v_bfe_u32 v19, v10, 16, 1
	v_cmp_u_f32_e32 vcc_lo, v9, v9
	v_dual_mul_f32 v11, v26, v11 :: v_dual_mul_f32 v12, v28, v12
	v_and_b32_e32 v6, 0xffff0000, v6
	s_delay_alu instid0(VALU_DEP_4)
	v_add3_u32 v9, v19, v10, 0x7fff
	s_wait_alu 0xfffd
	v_cndmask_b32_e32 v7, v7, v15, vcc_lo
	v_or_b32_e32 v15, 0x400000, v10
	v_bfe_u32 v19, v20, 16, 1
	v_cmp_u_f32_e32 vcc_lo, v10, v10
	v_bfe_u32 v10, v11, 16, 1
	v_or_b32_e32 v22, 0x400000, v11
	v_bfe_u32 v24, v12, 16, 1
	s_wait_alu 0xfffd
	v_dual_cndmask_b32 v9, v9, v15 :: v_dual_and_b32 v2, 0xffff0000, v2
	v_add3_u32 v15, v19, v20, 0x7fff
	v_mul_f32_e32 v19, v31, v21
	v_or_b32_e32 v21, 0x400000, v20
	v_cmp_u_f32_e32 vcc_lo, v20, v20
	v_add3_u32 v10, v10, v11, 0x7fff
	v_add3_u32 v20, v24, v12, 0x7fff
	v_bfe_u32 v23, v19, 16, 1
	v_and_b32_e32 v9, 0xffff0000, v9
	s_wait_alu 0xfffd
	v_cndmask_b32_e32 v15, v15, v21, vcc_lo
	v_cmp_u_f32_e32 vcc_lo, v11, v11
	v_or_b32_e32 v21, 0x400000, v12
	v_add3_u32 v11, v23, v19, 0x7fff
	v_dual_add_f32 v2, v2, v6 :: v_dual_and_b32 v7, 0xffff0000, v7
	s_wait_alu 0xfffd
	v_cndmask_b32_e32 v10, v10, v22, vcc_lo
	v_cmp_u_f32_e32 vcc_lo, v12, v12
	v_or_b32_e32 v22, 0x400000, v19
	v_dual_add_f32 v6, v7, v9 :: v_dual_and_b32 v9, 0xffff0000, v15
	s_wait_alu 0xfffd
	v_dual_cndmask_b32 v12, v20, v21 :: v_dual_and_b32 v7, 0xffff0000, v10
	v_cmp_u_f32_e32 vcc_lo, v19, v19
	v_and_b32_e32 v4, 0xffff0000, v4
	v_add_f32_e32 v2, v6, v2
	s_delay_alu instid0(VALU_DEP_4) | instskip(SKIP_2) | instid1(VALU_DEP_2)
	v_dual_add_f32 v6, v9, v7 :: v_dual_and_b32 v7, 0xffff0000, v12
	s_wait_alu 0xfffd
	v_dual_cndmask_b32 v10, v11, v22 :: v_dual_and_b32 v11, 0xffff0000, v17
	v_dual_add_f32 v1, v3, v1 :: v_dual_add_f32 v2, v6, v2
	v_add_f32_e32 v6, v16, v14
	s_delay_alu instid0(VALU_DEP_3) | instskip(NEXT) | instid1(VALU_DEP_4)
	v_and_b32_e32 v9, 0xffff0000, v10
	v_add_f32_e32 v3, v4, v11
	v_add_f32_e32 v5, v8, v5
	v_cmp_le_i32_e32 vcc_lo, s17, v46
	v_add_f32_e32 v54, v54, v6
	s_delay_alu instid0(VALU_DEP_4) | instskip(NEXT) | instid1(VALU_DEP_4)
	v_dual_add_f32 v4, v9, v7 :: v_dual_add_f32 v1, v3, v1
	v_add_f32_e32 v56, v56, v5
	s_or_b32 s8, vcc_lo, s8
	s_delay_alu instid0(VALU_DEP_2) | instskip(NEXT) | instid1(VALU_DEP_1)
	v_dual_add_f32 v2, v4, v2 :: v_dual_add_f32 v55, v55, v1
	v_add_f32_e32 v49, v49, v2
	s_wait_alu 0xfffe
	s_and_not1_b32 exec_lo, exec_lo, s8
	s_cbranch_execz .LBB168_49
.LBB168_33:                             ; =>This Inner Loop Header: Depth=1
	global_load_b32 v1, v[41:42], off
	v_add_nc_u32_e32 v66, 1, v59
	v_or_b32_e32 v65, 3, v59
	v_or_b32_e32 v67, 2, v59
	;; [unrolled: 1-line block ×6, first 2 shown]
	s_wait_loadcnt 0x0
	s_wait_alu 0xfffe
	v_mad_co_i64_i32 v[1:2], null, v1, s3, 0
	s_delay_alu instid0(VALU_DEP_1) | instskip(NEXT) | instid1(VALU_DEP_1)
	v_lshlrev_b64_e32 v[1:2], 1, v[1:2]
	v_add_co_u32 v9, vcc_lo, v57, v1
	s_wait_alu 0xfffd
	s_delay_alu instid0(VALU_DEP_2)
	v_add_co_ci_u32_e64 v10, null, v58, v2, vcc_lo
	v_cmp_eq_u32_e32 vcc_lo, s5, v46
	global_load_b128 v[1:4], v[9:10], off
	ds_load_2addr_b64 v[29:32], v60 offset1:1
	ds_load_2addr_b64 v[25:28], v60 offset0:2 offset1:3
	s_and_saveexec_b32 s10, vcc_lo
	s_cbranch_execnz .LBB168_41
; %bb.34:                               ;   in Loop: Header=BB168_33 Depth=1
	s_wait_alu 0xfffe
	s_or_b32 exec_lo, exec_lo, s10
	global_load_b128 v[5:8], v[9:10], off offset:512
	s_and_saveexec_b32 s10, vcc_lo
	s_cbranch_execnz .LBB168_42
.LBB168_35:                             ;   in Loop: Header=BB168_33 Depth=1
	s_wait_alu 0xfffe
	s_or_b32 exec_lo, exec_lo, s10
	global_load_b128 v[13:16], v[9:10], off offset:1024
	s_and_saveexec_b32 s10, vcc_lo
	s_cbranch_execnz .LBB168_43
.LBB168_36:                             ;   in Loop: Header=BB168_33 Depth=1
	s_wait_alu 0xfffe
	s_or_b32 exec_lo, exec_lo, s10
	global_load_b128 v[17:20], v[9:10], off offset:1536
	s_and_saveexec_b32 s10, vcc_lo
	s_cbranch_execnz .LBB168_44
.LBB168_37:                             ;   in Loop: Header=BB168_33 Depth=1
	s_wait_alu 0xfffe
	s_or_b32 exec_lo, exec_lo, s10
	global_load_b128 v[21:24], v[9:10], off offset:2048
	s_and_saveexec_b32 s10, vcc_lo
	s_cbranch_execnz .LBB168_45
.LBB168_38:                             ;   in Loop: Header=BB168_33 Depth=1
	s_wait_alu 0xfffe
	s_or_b32 exec_lo, exec_lo, s10
	global_load_b128 v[33:36], v[9:10], off offset:2560
	s_and_saveexec_b32 s10, vcc_lo
	s_cbranch_execnz .LBB168_46
.LBB168_39:                             ;   in Loop: Header=BB168_33 Depth=1
	s_wait_alu 0xfffe
	s_or_b32 exec_lo, exec_lo, s10
	global_load_b128 v[37:40], v[9:10], off offset:3072
	s_and_saveexec_b32 s10, vcc_lo
	s_cbranch_execnz .LBB168_47
.LBB168_40:                             ;   in Loop: Header=BB168_33 Depth=1
	s_wait_alu 0xfffe
	s_or_b32 exec_lo, exec_lo, s10
	global_load_b128 v[9:12], v[9:10], off offset:3584
	s_and_saveexec_b32 s0, vcc_lo
	s_cbranch_execz .LBB168_32
	s_branch .LBB168_48
.LBB168_41:                             ;   in Loop: Header=BB168_33 Depth=1
	v_cmp_gt_i32_e64 s0, s25, v59
	s_wait_loadcnt 0x0
	v_lshrrev_b32_e32 v5, 16, v1
	v_lshrrev_b32_e32 v6, 16, v2
	;; [unrolled: 1-line block ×4, first 2 shown]
	s_wait_alu 0xf1ff
	v_cndmask_b32_e64 v1, 0, v1, s0
	v_cmp_gt_i32_e64 s0, s9, v66
	s_wait_alu 0xf1ff
	s_delay_alu instid0(VALU_DEP_1) | instskip(SKIP_1) | instid1(VALU_DEP_2)
	v_cndmask_b32_e64 v5, 0, v5, s0
	v_cmp_gt_i32_e64 s0, s25, v67
	v_perm_b32 v1, v5, v1, 0x5040100
	s_wait_alu 0xf1ff
	s_delay_alu instid0(VALU_DEP_2) | instskip(SKIP_2) | instid1(VALU_DEP_1)
	v_cndmask_b32_e64 v2, 0, v2, s0
	v_cmp_gt_i32_e64 s0, s9, v65
	s_wait_alu 0xf1ff
	v_cndmask_b32_e64 v6, 0, v6, s0
	v_cmp_gt_i32_e64 s0, s25, v64
	s_delay_alu instid0(VALU_DEP_2) | instskip(SKIP_1) | instid1(VALU_DEP_2)
	v_perm_b32 v2, v6, v2, 0x5040100
	s_wait_alu 0xf1ff
	v_cndmask_b32_e64 v3, 0, v3, s0
	v_cmp_gt_i32_e64 s0, s9, v62
	s_wait_alu 0xf1ff
	s_delay_alu instid0(VALU_DEP_1) | instskip(SKIP_1) | instid1(VALU_DEP_2)
	v_cndmask_b32_e64 v7, 0, v7, s0
	v_cmp_gt_i32_e64 s0, s25, v63
	v_perm_b32 v3, v7, v3, 0x5040100
	s_wait_alu 0xf1ff
	s_delay_alu instid0(VALU_DEP_2) | instskip(SKIP_2) | instid1(VALU_DEP_1)
	v_cndmask_b32_e64 v4, 0, v4, s0
	v_cmp_gt_i32_e64 s0, s9, v61
	s_wait_alu 0xf1ff
	v_cndmask_b32_e64 v8, 0, v8, s0
	s_delay_alu instid0(VALU_DEP_1)
	v_perm_b32 v4, v8, v4, 0x5040100
	s_wait_alu 0xfffe
	s_or_b32 exec_lo, exec_lo, s10
	global_load_b128 v[5:8], v[9:10], off offset:512
	s_and_saveexec_b32 s10, vcc_lo
	s_cbranch_execz .LBB168_35
.LBB168_42:                             ;   in Loop: Header=BB168_33 Depth=1
	v_cmp_gt_i32_e64 s0, s25, v59
	s_wait_loadcnt 0x0
	v_lshrrev_b32_e32 v11, 16, v5
	v_lshrrev_b32_e32 v12, 16, v6
	;; [unrolled: 1-line block ×4, first 2 shown]
	s_wait_alu 0xf1ff
	v_cndmask_b32_e64 v5, 0, v5, s0
	v_cmp_gt_i32_e64 s0, s9, v66
	s_wait_alu 0xf1ff
	s_delay_alu instid0(VALU_DEP_1) | instskip(SKIP_1) | instid1(VALU_DEP_2)
	v_cndmask_b32_e64 v11, 0, v11, s0
	v_cmp_gt_i32_e64 s0, s25, v67
	v_perm_b32 v5, v11, v5, 0x5040100
	s_wait_alu 0xf1ff
	s_delay_alu instid0(VALU_DEP_2) | instskip(SKIP_2) | instid1(VALU_DEP_1)
	v_cndmask_b32_e64 v6, 0, v6, s0
	v_cmp_gt_i32_e64 s0, s9, v65
	s_wait_alu 0xf1ff
	v_cndmask_b32_e64 v12, 0, v12, s0
	v_cmp_gt_i32_e64 s0, s25, v64
	s_delay_alu instid0(VALU_DEP_2) | instskip(SKIP_1) | instid1(VALU_DEP_2)
	v_perm_b32 v6, v12, v6, 0x5040100
	s_wait_alu 0xf1ff
	v_cndmask_b32_e64 v7, 0, v7, s0
	v_cmp_gt_i32_e64 s0, s9, v62
	s_wait_alu 0xf1ff
	s_delay_alu instid0(VALU_DEP_1) | instskip(SKIP_1) | instid1(VALU_DEP_2)
	v_cndmask_b32_e64 v13, 0, v13, s0
	v_cmp_gt_i32_e64 s0, s25, v63
	v_perm_b32 v7, v13, v7, 0x5040100
	s_wait_alu 0xf1ff
	s_delay_alu instid0(VALU_DEP_2) | instskip(SKIP_2) | instid1(VALU_DEP_1)
	v_cndmask_b32_e64 v8, 0, v8, s0
	v_cmp_gt_i32_e64 s0, s9, v61
	s_wait_alu 0xf1ff
	v_cndmask_b32_e64 v14, 0, v14, s0
	s_delay_alu instid0(VALU_DEP_1)
	v_perm_b32 v8, v14, v8, 0x5040100
	s_wait_alu 0xfffe
	s_or_b32 exec_lo, exec_lo, s10
	global_load_b128 v[13:16], v[9:10], off offset:1024
	s_and_saveexec_b32 s10, vcc_lo
	s_cbranch_execz .LBB168_36
.LBB168_43:                             ;   in Loop: Header=BB168_33 Depth=1
	v_cmp_gt_i32_e64 s0, s25, v59
	s_wait_loadcnt 0x0
	v_lshrrev_b32_e32 v11, 16, v13
	v_lshrrev_b32_e32 v18, 16, v16
	s_wait_alu 0xf1ff
	v_cndmask_b32_e64 v12, 0, v13, s0
	v_cmp_gt_i32_e64 s0, s9, v66
	v_lshrrev_b32_e32 v13, 16, v14
	s_wait_alu 0xf1ff
	s_delay_alu instid0(VALU_DEP_2) | instskip(SKIP_2) | instid1(VALU_DEP_1)
	v_cndmask_b32_e64 v11, 0, v11, s0
	v_cmp_gt_i32_e64 s0, s25, v67
	s_wait_alu 0xf1ff
	v_cndmask_b32_e64 v14, 0, v14, s0
	v_cmp_gt_i32_e64 s0, s9, v65
	s_wait_alu 0xf1ff
	s_delay_alu instid0(VALU_DEP_1) | instskip(SKIP_2) | instid1(VALU_DEP_3)
	v_cndmask_b32_e64 v17, 0, v13, s0
	v_cmp_gt_i32_e64 s0, s25, v64
	v_lshrrev_b32_e32 v13, 16, v15
	v_perm_b32 v14, v17, v14, 0x5040100
	s_wait_alu 0xf1ff
	s_delay_alu instid0(VALU_DEP_3) | instskip(SKIP_2) | instid1(VALU_DEP_1)
	v_cndmask_b32_e64 v15, 0, v15, s0
	v_cmp_gt_i32_e64 s0, s9, v62
	s_wait_alu 0xf1ff
	v_cndmask_b32_e64 v19, 0, v13, s0
	v_cmp_gt_i32_e64 s0, s25, v63
	v_perm_b32 v13, v11, v12, 0x5040100
	s_delay_alu instid0(VALU_DEP_3) | instskip(SKIP_1) | instid1(VALU_DEP_3)
	v_perm_b32 v15, v19, v15, 0x5040100
	s_wait_alu 0xf1ff
	v_cndmask_b32_e64 v16, 0, v16, s0
	v_cmp_gt_i32_e64 s0, s9, v61
	s_wait_alu 0xf1ff
	s_delay_alu instid0(VALU_DEP_1) | instskip(NEXT) | instid1(VALU_DEP_1)
	v_cndmask_b32_e64 v18, 0, v18, s0
	v_perm_b32 v16, v18, v16, 0x5040100
	s_wait_alu 0xfffe
	s_or_b32 exec_lo, exec_lo, s10
	global_load_b128 v[17:20], v[9:10], off offset:1536
	s_and_saveexec_b32 s10, vcc_lo
	s_cbranch_execz .LBB168_37
.LBB168_44:                             ;   in Loop: Header=BB168_33 Depth=1
	v_cmp_gt_i32_e64 s0, s25, v59
	s_wait_loadcnt 0x0
	v_lshrrev_b32_e32 v11, 16, v17
	v_lshrrev_b32_e32 v22, 16, v20
	s_wait_alu 0xf1ff
	v_cndmask_b32_e64 v12, 0, v17, s0
	v_cmp_gt_i32_e64 s0, s9, v66
	v_lshrrev_b32_e32 v17, 16, v18
	s_wait_alu 0xf1ff
	s_delay_alu instid0(VALU_DEP_2) | instskip(SKIP_2) | instid1(VALU_DEP_1)
	v_cndmask_b32_e64 v11, 0, v11, s0
	v_cmp_gt_i32_e64 s0, s25, v67
	s_wait_alu 0xf1ff
	v_cndmask_b32_e64 v18, 0, v18, s0
	v_cmp_gt_i32_e64 s0, s9, v65
	s_wait_alu 0xf1ff
	s_delay_alu instid0(VALU_DEP_1) | instskip(SKIP_2) | instid1(VALU_DEP_3)
	v_cndmask_b32_e64 v21, 0, v17, s0
	v_cmp_gt_i32_e64 s0, s25, v64
	v_lshrrev_b32_e32 v17, 16, v19
	v_perm_b32 v18, v21, v18, 0x5040100
	s_wait_alu 0xf1ff
	s_delay_alu instid0(VALU_DEP_3) | instskip(SKIP_2) | instid1(VALU_DEP_1)
	v_cndmask_b32_e64 v19, 0, v19, s0
	v_cmp_gt_i32_e64 s0, s9, v62
	s_wait_alu 0xf1ff
	v_cndmask_b32_e64 v23, 0, v17, s0
	v_cmp_gt_i32_e64 s0, s25, v63
	v_perm_b32 v17, v11, v12, 0x5040100
	s_delay_alu instid0(VALU_DEP_3) | instskip(SKIP_1) | instid1(VALU_DEP_3)
	v_perm_b32 v19, v23, v19, 0x5040100
	s_wait_alu 0xf1ff
	v_cndmask_b32_e64 v20, 0, v20, s0
	v_cmp_gt_i32_e64 s0, s9, v61
	s_wait_alu 0xf1ff
	s_delay_alu instid0(VALU_DEP_1) | instskip(NEXT) | instid1(VALU_DEP_1)
	v_cndmask_b32_e64 v22, 0, v22, s0
	v_perm_b32 v20, v22, v20, 0x5040100
	s_wait_alu 0xfffe
	s_or_b32 exec_lo, exec_lo, s10
	global_load_b128 v[21:24], v[9:10], off offset:2048
	s_and_saveexec_b32 s10, vcc_lo
	s_cbranch_execz .LBB168_38
.LBB168_45:                             ;   in Loop: Header=BB168_33 Depth=1
	v_cmp_gt_i32_e64 s0, s25, v59
	s_wait_loadcnt 0x0
	v_lshrrev_b32_e32 v11, 16, v21
	v_lshrrev_b32_e32 v34, 16, v24
	s_wait_alu 0xf1ff
	v_cndmask_b32_e64 v12, 0, v21, s0
	v_cmp_gt_i32_e64 s0, s9, v66
	v_lshrrev_b32_e32 v21, 16, v22
	s_wait_alu 0xf1ff
	s_delay_alu instid0(VALU_DEP_2) | instskip(SKIP_2) | instid1(VALU_DEP_1)
	v_cndmask_b32_e64 v11, 0, v11, s0
	v_cmp_gt_i32_e64 s0, s25, v67
	s_wait_alu 0xf1ff
	v_cndmask_b32_e64 v22, 0, v22, s0
	v_cmp_gt_i32_e64 s0, s9, v65
	s_wait_alu 0xf1ff
	s_delay_alu instid0(VALU_DEP_1) | instskip(SKIP_2) | instid1(VALU_DEP_3)
	v_cndmask_b32_e64 v33, 0, v21, s0
	v_cmp_gt_i32_e64 s0, s25, v64
	v_lshrrev_b32_e32 v21, 16, v23
	v_perm_b32 v22, v33, v22, 0x5040100
	s_wait_alu 0xf1ff
	s_delay_alu instid0(VALU_DEP_3) | instskip(SKIP_2) | instid1(VALU_DEP_1)
	v_cndmask_b32_e64 v23, 0, v23, s0
	v_cmp_gt_i32_e64 s0, s9, v62
	s_wait_alu 0xf1ff
	v_cndmask_b32_e64 v35, 0, v21, s0
	v_cmp_gt_i32_e64 s0, s25, v63
	v_perm_b32 v21, v11, v12, 0x5040100
	s_delay_alu instid0(VALU_DEP_3) | instskip(SKIP_1) | instid1(VALU_DEP_3)
	v_perm_b32 v23, v35, v23, 0x5040100
	s_wait_alu 0xf1ff
	v_cndmask_b32_e64 v24, 0, v24, s0
	v_cmp_gt_i32_e64 s0, s9, v61
	s_wait_alu 0xf1ff
	s_delay_alu instid0(VALU_DEP_1) | instskip(NEXT) | instid1(VALU_DEP_1)
	v_cndmask_b32_e64 v34, 0, v34, s0
	v_perm_b32 v24, v34, v24, 0x5040100
	s_wait_alu 0xfffe
	s_or_b32 exec_lo, exec_lo, s10
	global_load_b128 v[33:36], v[9:10], off offset:2560
	s_and_saveexec_b32 s10, vcc_lo
	s_cbranch_execz .LBB168_39
.LBB168_46:                             ;   in Loop: Header=BB168_33 Depth=1
	v_cmp_gt_i32_e64 s0, s25, v59
	s_wait_loadcnt 0x0
	v_lshrrev_b32_e32 v11, 16, v33
	v_lshrrev_b32_e32 v38, 16, v36
	s_wait_alu 0xf1ff
	v_cndmask_b32_e64 v12, 0, v33, s0
	v_cmp_gt_i32_e64 s0, s9, v66
	v_lshrrev_b32_e32 v33, 16, v34
	s_wait_alu 0xf1ff
	s_delay_alu instid0(VALU_DEP_2) | instskip(SKIP_2) | instid1(VALU_DEP_1)
	v_cndmask_b32_e64 v11, 0, v11, s0
	v_cmp_gt_i32_e64 s0, s25, v67
	s_wait_alu 0xf1ff
	v_cndmask_b32_e64 v34, 0, v34, s0
	v_cmp_gt_i32_e64 s0, s9, v65
	s_wait_alu 0xf1ff
	s_delay_alu instid0(VALU_DEP_1) | instskip(SKIP_2) | instid1(VALU_DEP_3)
	v_cndmask_b32_e64 v37, 0, v33, s0
	v_cmp_gt_i32_e64 s0, s25, v64
	v_lshrrev_b32_e32 v33, 16, v35
	v_perm_b32 v34, v37, v34, 0x5040100
	s_wait_alu 0xf1ff
	s_delay_alu instid0(VALU_DEP_3) | instskip(SKIP_2) | instid1(VALU_DEP_1)
	v_cndmask_b32_e64 v35, 0, v35, s0
	v_cmp_gt_i32_e64 s0, s9, v62
	s_wait_alu 0xf1ff
	v_cndmask_b32_e64 v39, 0, v33, s0
	v_cmp_gt_i32_e64 s0, s25, v63
	v_perm_b32 v33, v11, v12, 0x5040100
	s_delay_alu instid0(VALU_DEP_3) | instskip(SKIP_1) | instid1(VALU_DEP_3)
	v_perm_b32 v35, v39, v35, 0x5040100
	s_wait_alu 0xf1ff
	v_cndmask_b32_e64 v36, 0, v36, s0
	v_cmp_gt_i32_e64 s0, s9, v61
	s_wait_alu 0xf1ff
	s_delay_alu instid0(VALU_DEP_1) | instskip(NEXT) | instid1(VALU_DEP_1)
	v_cndmask_b32_e64 v38, 0, v38, s0
	v_perm_b32 v36, v38, v36, 0x5040100
	s_wait_alu 0xfffe
	s_or_b32 exec_lo, exec_lo, s10
	global_load_b128 v[37:40], v[9:10], off offset:3072
	s_and_saveexec_b32 s10, vcc_lo
	s_cbranch_execz .LBB168_40
.LBB168_47:                             ;   in Loop: Header=BB168_33 Depth=1
	v_cmp_gt_i32_e64 s0, s25, v59
	s_wait_loadcnt 0x0
	v_lshrrev_b32_e32 v11, 16, v37
	v_lshrrev_b32_e32 v69, 16, v40
	s_wait_alu 0xf1ff
	v_cndmask_b32_e64 v12, 0, v37, s0
	v_cmp_gt_i32_e64 s0, s9, v66
	v_lshrrev_b32_e32 v37, 16, v38
	s_wait_alu 0xf1ff
	s_delay_alu instid0(VALU_DEP_2) | instskip(SKIP_2) | instid1(VALU_DEP_1)
	v_cndmask_b32_e64 v11, 0, v11, s0
	v_cmp_gt_i32_e64 s0, s25, v67
	s_wait_alu 0xf1ff
	v_cndmask_b32_e64 v38, 0, v38, s0
	v_cmp_gt_i32_e64 s0, s9, v65
	s_wait_alu 0xf1ff
	s_delay_alu instid0(VALU_DEP_1) | instskip(SKIP_2) | instid1(VALU_DEP_3)
	v_cndmask_b32_e64 v68, 0, v37, s0
	v_cmp_gt_i32_e64 s0, s25, v64
	v_lshrrev_b32_e32 v37, 16, v39
	v_perm_b32 v38, v68, v38, 0x5040100
	s_wait_alu 0xf1ff
	s_delay_alu instid0(VALU_DEP_3) | instskip(SKIP_2) | instid1(VALU_DEP_1)
	v_cndmask_b32_e64 v39, 0, v39, s0
	v_cmp_gt_i32_e64 s0, s9, v62
	s_wait_alu 0xf1ff
	v_cndmask_b32_e64 v70, 0, v37, s0
	v_cmp_gt_i32_e64 s0, s25, v63
	v_perm_b32 v37, v11, v12, 0x5040100
	s_delay_alu instid0(VALU_DEP_3) | instskip(SKIP_1) | instid1(VALU_DEP_3)
	v_perm_b32 v39, v70, v39, 0x5040100
	s_wait_alu 0xf1ff
	v_cndmask_b32_e64 v40, 0, v40, s0
	v_cmp_gt_i32_e64 s0, s9, v61
	s_wait_alu 0xf1ff
	s_delay_alu instid0(VALU_DEP_1) | instskip(NEXT) | instid1(VALU_DEP_1)
	v_cndmask_b32_e64 v69, 0, v69, s0
	v_perm_b32 v40, v69, v40, 0x5040100
	s_wait_alu 0xfffe
	s_or_b32 exec_lo, exec_lo, s10
	global_load_b128 v[9:12], v[9:10], off offset:3584
	s_and_saveexec_b32 s0, vcc_lo
	s_cbranch_execz .LBB168_32
.LBB168_48:                             ;   in Loop: Header=BB168_33 Depth=1
	v_cmp_gt_i32_e32 vcc_lo, s25, v59
	s_wait_loadcnt 0x0
	v_lshrrev_b32_e32 v68, 16, v9
	v_lshrrev_b32_e32 v69, 16, v10
	s_wait_alu 0xfffd
	v_cndmask_b32_e32 v9, 0, v9, vcc_lo
	v_cmp_gt_i32_e32 vcc_lo, s9, v66
	s_wait_alu 0xfffd
	v_cndmask_b32_e32 v66, 0, v68, vcc_lo
	v_cmp_gt_i32_e32 vcc_lo, s25, v67
	v_lshrrev_b32_e32 v67, 16, v11
	s_delay_alu instid0(VALU_DEP_3)
	v_perm_b32 v9, v66, v9, 0x5040100
	s_wait_alu 0xfffd
	v_cndmask_b32_e32 v10, 0, v10, vcc_lo
	v_cmp_gt_i32_e32 vcc_lo, s9, v65
	s_wait_alu 0xfffd
	v_cndmask_b32_e32 v65, 0, v69, vcc_lo
	v_cmp_gt_i32_e32 vcc_lo, s25, v64
	v_lshrrev_b32_e32 v64, 16, v12
	s_delay_alu instid0(VALU_DEP_3)
	v_perm_b32 v10, v65, v10, 0x5040100
	s_wait_alu 0xfffd
	v_cndmask_b32_e32 v11, 0, v11, vcc_lo
	v_cmp_gt_i32_e32 vcc_lo, s9, v62
	s_wait_alu 0xfffd
	v_cndmask_b32_e32 v62, 0, v67, vcc_lo
	v_cmp_gt_i32_e32 vcc_lo, s25, v63
	;; [unrolled: 3-line block ×3, first 2 shown]
	s_wait_alu 0xfffd
	v_cndmask_b32_e32 v61, 0, v64, vcc_lo
	v_perm_b32 v11, v62, v11, 0x5040100
	s_delay_alu instid0(VALU_DEP_2)
	v_perm_b32 v12, v61, v12, 0x5040100
	s_branch .LBB168_32
.LBB168_49:
	s_or_b32 exec_lo, exec_lo, s8
.LBB168_50:
	s_wait_alu 0xfffe
	s_or_b32 exec_lo, exec_lo, s1
	ds_bpermute_b32 v1, v48, v55
	ds_bpermute_b32 v2, v48, v56
	;; [unrolled: 1-line block ×8, first 2 shown]
	v_lshrrev_b32_e32 v9, 1, v47
	v_lshlrev_b32_e32 v11, 9, v45
	v_and_b32_e32 v16, 0x3c1, v0
	s_mov_b32 s0, exec_lo
	s_wait_storecnt 0x0
	s_wait_loadcnt_dscnt 0x0
	v_lshl_add_u32 v10, v9, 2, 0x120
	s_barrier_signal -1
	s_barrier_wait -1
	global_inv scope:SCOPE_SE
	v_dual_add_f32 v8, v55, v1 :: v_dual_add_f32 v7, v56, v2
	v_dual_add_f32 v6, v54, v3 :: v_dual_add_f32 v5, v53, v4
	;; [unrolled: 1-line block ×4, first 2 shown]
	v_cmpx_eq_u32_e32 64, v16
	s_cbranch_execz .LBB168_52
; %bb.51:
	v_add_nc_u32_e32 v12, v10, v11
	s_delay_alu instid0(VALU_DEP_1)
	v_add_nc_u32_e32 v13, 0xfffffc00, v12
	v_add_nc_u32_e32 v14, 0xfffffc40, v12
	;; [unrolled: 1-line block ×8, first 2 shown]
	ds_store_b32 v13, v8
	ds_store_b32 v14, v7
	;; [unrolled: 1-line block ×8, first 2 shown]
.LBB168_52:
	s_wait_alu 0xfffe
	s_or_b32 exec_lo, exec_lo, s0
	v_lshlrev_b32_e32 v9, 2, v9
	s_mov_b32 s1, exec_lo
	v_cmp_eq_u32_e32 vcc_lo, 0, v44
	s_wait_loadcnt_dscnt 0x0
	s_barrier_signal -1
	v_add3_u32 v9, 0x120, v11, v9
	s_barrier_wait -1
	global_inv scope:SCOPE_SE
	v_cmpx_gt_u32_e32 64, v0
	s_cbranch_execz .LBB168_63
; %bb.53:
	s_and_saveexec_b32 s0, vcc_lo
	s_cbranch_execnz .LBB168_79
; %bb.54:
	s_wait_alu 0xfffe
	s_or_b32 exec_lo, exec_lo, s0
	s_and_saveexec_b32 s0, vcc_lo
	s_cbranch_execnz .LBB168_80
.LBB168_55:
	s_wait_alu 0xfffe
	s_or_b32 exec_lo, exec_lo, s0
	s_and_saveexec_b32 s0, vcc_lo
	s_cbranch_execnz .LBB168_81
.LBB168_56:
	s_wait_alu 0xfffe
	s_or_b32 exec_lo, exec_lo, s0
	s_and_saveexec_b32 s0, vcc_lo
	s_cbranch_execnz .LBB168_82
.LBB168_57:
	s_wait_alu 0xfffe
	s_or_b32 exec_lo, exec_lo, s0
	s_and_saveexec_b32 s0, vcc_lo
	s_cbranch_execnz .LBB168_83
.LBB168_58:
	s_wait_alu 0xfffe
	s_or_b32 exec_lo, exec_lo, s0
	s_and_saveexec_b32 s0, vcc_lo
	s_cbranch_execnz .LBB168_84
.LBB168_59:
	s_wait_alu 0xfffe
	s_or_b32 exec_lo, exec_lo, s0
	s_and_saveexec_b32 s0, vcc_lo
	s_cbranch_execnz .LBB168_85
.LBB168_60:
	s_wait_alu 0xfffe
	s_or_b32 exec_lo, exec_lo, s0
	s_and_saveexec_b32 s0, vcc_lo
	s_cbranch_execz .LBB168_62
.LBB168_61:
	ds_load_b32 v11, v9 offset:448
	s_wait_dscnt 0x0
	v_add_f32_e32 v1, v1, v11
.LBB168_62:
	s_wait_alu 0xfffe
	s_or_b32 exec_lo, exec_lo, s0
.LBB168_63:
	s_wait_alu 0xfffe
	s_or_b32 exec_lo, exec_lo, s1
	v_and_b32_e32 v0, 0x3e1, v0
	s_mov_b32 s1, exec_lo
	s_wait_loadcnt 0x0
	s_barrier_signal -1
	s_barrier_wait -1
	global_inv scope:SCOPE_SE
	v_cmpx_eq_u32_e32 32, v0
	s_cbranch_execz .LBB168_65
; %bb.64:
	ds_store_2addr_b32 v10, v8, v7 offset1:16
	ds_store_2addr_b32 v10, v6, v5 offset0:32 offset1:48
	ds_store_2addr_b32 v10, v4, v3 offset0:64 offset1:80
	;; [unrolled: 1-line block ×3, first 2 shown]
.LBB168_65:
	s_wait_alu 0xfffe
	s_or_b32 exec_lo, exec_lo, s1
	s_wait_loadcnt_dscnt 0x0
	s_barrier_signal -1
	s_barrier_wait -1
	global_inv scope:SCOPE_SE
	s_and_saveexec_b32 s0, s2
	s_cbranch_execz .LBB168_76
; %bb.66:
	s_and_saveexec_b32 s1, vcc_lo
	s_cbranch_execnz .LBB168_86
; %bb.67:
	s_wait_alu 0xfffe
	s_or_b32 exec_lo, exec_lo, s1
	s_and_saveexec_b32 s1, vcc_lo
	s_cbranch_execnz .LBB168_87
.LBB168_68:
	s_wait_alu 0xfffe
	s_or_b32 exec_lo, exec_lo, s1
	s_and_saveexec_b32 s1, vcc_lo
	s_cbranch_execnz .LBB168_88
.LBB168_69:
	s_wait_alu 0xfffe
	s_or_b32 exec_lo, exec_lo, s1
	s_and_saveexec_b32 s1, vcc_lo
	s_cbranch_execnz .LBB168_89
.LBB168_70:
	s_wait_alu 0xfffe
	s_or_b32 exec_lo, exec_lo, s1
	s_and_saveexec_b32 s1, vcc_lo
	s_cbranch_execnz .LBB168_90
.LBB168_71:
	s_wait_alu 0xfffe
	s_or_b32 exec_lo, exec_lo, s1
	s_and_saveexec_b32 s1, vcc_lo
	s_cbranch_execnz .LBB168_91
.LBB168_72:
	s_wait_alu 0xfffe
	s_or_b32 exec_lo, exec_lo, s1
	s_and_saveexec_b32 s1, vcc_lo
	s_cbranch_execnz .LBB168_92
.LBB168_73:
	s_wait_alu 0xfffe
	s_or_b32 exec_lo, exec_lo, s1
	s_and_saveexec_b32 s1, vcc_lo
	s_cbranch_execz .LBB168_75
.LBB168_74:
	ds_load_b32 v9, v9 offset:448
	s_wait_dscnt 0x0
	v_add_f32_e32 v1, v1, v9
.LBB168_75:
	s_wait_alu 0xfffe
	s_or_b32 exec_lo, exec_lo, s1
.LBB168_76:
	s_wait_alu 0xfffe
	s_or_b32 exec_lo, exec_lo, s0
	s_mov_b32 s1, 0
	s_wait_loadcnt 0x0
	s_barrier_signal -1
	s_barrier_wait -1
	global_inv scope:SCOPE_SE
	s_mov_b32 s0, exec_lo
	v_cmpx_eq_u32_e32 0, v0
	s_cbranch_execz .LBB168_78
; %bb.77:
	v_bfe_u32 v0, v8, 16, 1
	v_bfe_u32 v9, v7, 16, 1
	v_or_b32_e32 v11, 0x400000, v8
	v_cmp_u_f32_e32 vcc_lo, v8, v8
	v_or_b32_e32 v12, 0x400000, v7
	v_add3_u32 v0, v0, v8, 0x7fff
	v_add3_u32 v9, v9, v7, 0x7fff
	v_bfe_u32 v13, v6, 16, 1
	v_or_b32_e32 v14, 0x400000, v1
	v_bfe_u32 v8, v5, 16, 1
	s_wait_alu 0xfffd
	v_cndmask_b32_e32 v0, v0, v11, vcc_lo
	v_cmp_u_f32_e32 vcc_lo, v7, v7
	v_lshlrev_b32_e32 v10, 1, v43
	v_or_b32_e32 v11, 0x400000, v6
	v_add3_u32 v8, v8, v5, 0x7fff
	s_lshl_b32 s2, s4, 7
	s_wait_alu 0xfffd
	v_cndmask_b32_e32 v7, v9, v12, vcc_lo
	v_add3_u32 v9, v13, v6, 0x7fff
	v_cmp_u_f32_e32 vcc_lo, v6, v6
	v_bfe_u32 v12, v4, 16, 1
	v_or_b32_e32 v13, 0x400000, v5
	s_mul_i32 s4, s12, s16
	s_wait_alu 0xfffe
	s_ashr_i32 s3, s2, 31
	s_wait_alu 0xfffd
	v_cndmask_b32_e32 v6, v9, v11, vcc_lo
	v_cmp_u_f32_e32 vcc_lo, v5, v5
	v_add3_u32 v9, v12, v4, 0x7fff
	v_or_b32_e32 v11, 0x400000, v4
	v_bfe_u32 v12, v2, 16, 1
	s_ashr_i32 s5, s4, 31
	s_wait_alu 0xfffd
	v_cndmask_b32_e32 v5, v8, v13, vcc_lo
	v_bfe_u32 v8, v3, 16, 1
	v_cmp_u_f32_e32 vcc_lo, v4, v4
	v_add3_u32 v12, v12, v2, 0x7fff
	v_or_b32_e32 v13, 0x400000, v2
	s_wait_alu 0xfffe
	s_lshl_b64 s[2:3], s[2:3], 1
	v_add3_u32 v8, v8, v3, 0x7fff
	s_wait_alu 0xfffd
	v_cndmask_b32_e32 v4, v9, v11, vcc_lo
	v_or_b32_e32 v11, 0x400000, v3
	v_cmp_u_f32_e32 vcc_lo, v3, v3
	v_bfe_u32 v9, v1, 16, 1
	s_lshl_b64 s[4:5], s[4:5], 1
	s_wait_alu 0xfffe
	s_add_nc_u64 s[2:3], s[6:7], s[2:3]
	s_lshl_b32 s0, s24, 8
	s_wait_alu 0xfffd
	v_cndmask_b32_e32 v3, v8, v11, vcc_lo
	v_cmp_u_f32_e32 vcc_lo, v2, v2
	v_add3_u32 v9, v9, v1, 0x7fff
	s_wait_alu 0xfffe
	s_add_nc_u64 s[2:3], s[2:3], s[4:5]
	s_wait_alu 0xfffe
	s_add_nc_u64 s[0:1], s[2:3], s[0:1]
	s_wait_alu 0xfffd
	v_cndmask_b32_e32 v2, v12, v13, vcc_lo
	v_cmp_u_f32_e32 vcc_lo, v1, v1
	s_wait_alu 0xfffd
	v_cndmask_b32_e32 v1, v9, v14, vcc_lo
	s_clause 0x7
	global_store_d16_hi_b16 v10, v0, s[0:1]
	global_store_d16_hi_b16 v10, v7, s[0:1] offset:32
	global_store_d16_hi_b16 v10, v6, s[0:1] offset:64
	;; [unrolled: 1-line block ×7, first 2 shown]
.LBB168_78:
	s_nop 0
	s_sendmsg sendmsg(MSG_DEALLOC_VGPRS)
	s_endpgm
.LBB168_79:
	ds_load_b32 v11, v9
	s_wait_dscnt 0x0
	v_add_f32_e32 v8, v8, v11
	s_wait_alu 0xfffe
	s_or_b32 exec_lo, exec_lo, s0
	s_and_saveexec_b32 s0, vcc_lo
	s_cbranch_execz .LBB168_55
.LBB168_80:
	ds_load_b32 v11, v9 offset:64
	s_wait_dscnt 0x0
	v_add_f32_e32 v7, v7, v11
	s_wait_alu 0xfffe
	s_or_b32 exec_lo, exec_lo, s0
	s_and_saveexec_b32 s0, vcc_lo
	s_cbranch_execz .LBB168_56
.LBB168_81:
	ds_load_b32 v11, v9 offset:128
	s_wait_dscnt 0x0
	v_add_f32_e32 v6, v6, v11
	s_wait_alu 0xfffe
	s_or_b32 exec_lo, exec_lo, s0
	s_and_saveexec_b32 s0, vcc_lo
	s_cbranch_execz .LBB168_57
.LBB168_82:
	ds_load_b32 v11, v9 offset:192
	s_wait_dscnt 0x0
	v_add_f32_e32 v5, v5, v11
	s_wait_alu 0xfffe
	s_or_b32 exec_lo, exec_lo, s0
	s_and_saveexec_b32 s0, vcc_lo
	s_cbranch_execz .LBB168_58
.LBB168_83:
	ds_load_b32 v11, v9 offset:256
	s_wait_dscnt 0x0
	v_add_f32_e32 v4, v4, v11
	s_wait_alu 0xfffe
	s_or_b32 exec_lo, exec_lo, s0
	s_and_saveexec_b32 s0, vcc_lo
	s_cbranch_execz .LBB168_59
.LBB168_84:
	ds_load_b32 v11, v9 offset:320
	s_wait_dscnt 0x0
	v_add_f32_e32 v3, v3, v11
	s_wait_alu 0xfffe
	s_or_b32 exec_lo, exec_lo, s0
	s_and_saveexec_b32 s0, vcc_lo
	s_cbranch_execz .LBB168_60
.LBB168_85:
	ds_load_b32 v11, v9 offset:384
	s_wait_dscnt 0x0
	v_add_f32_e32 v2, v2, v11
	s_wait_alu 0xfffe
	s_or_b32 exec_lo, exec_lo, s0
	s_and_saveexec_b32 s0, vcc_lo
	s_cbranch_execnz .LBB168_61
	s_branch .LBB168_62
.LBB168_86:
	ds_load_b32 v10, v9
	s_wait_dscnt 0x0
	v_add_f32_e32 v8, v8, v10
	s_wait_alu 0xfffe
	s_or_b32 exec_lo, exec_lo, s1
	s_and_saveexec_b32 s1, vcc_lo
	s_cbranch_execz .LBB168_68
.LBB168_87:
	ds_load_b32 v10, v9 offset:64
	s_wait_dscnt 0x0
	v_add_f32_e32 v7, v7, v10
	s_wait_alu 0xfffe
	s_or_b32 exec_lo, exec_lo, s1
	s_and_saveexec_b32 s1, vcc_lo
	s_cbranch_execz .LBB168_69
.LBB168_88:
	ds_load_b32 v10, v9 offset:128
	s_wait_dscnt 0x0
	v_add_f32_e32 v6, v6, v10
	s_wait_alu 0xfffe
	s_or_b32 exec_lo, exec_lo, s1
	s_and_saveexec_b32 s1, vcc_lo
	s_cbranch_execz .LBB168_70
.LBB168_89:
	ds_load_b32 v10, v9 offset:192
	s_wait_dscnt 0x0
	v_add_f32_e32 v5, v5, v10
	s_wait_alu 0xfffe
	s_or_b32 exec_lo, exec_lo, s1
	s_and_saveexec_b32 s1, vcc_lo
	s_cbranch_execz .LBB168_71
.LBB168_90:
	ds_load_b32 v10, v9 offset:256
	s_wait_dscnt 0x0
	v_add_f32_e32 v4, v4, v10
	s_wait_alu 0xfffe
	s_or_b32 exec_lo, exec_lo, s1
	s_and_saveexec_b32 s1, vcc_lo
	s_cbranch_execz .LBB168_72
.LBB168_91:
	ds_load_b32 v10, v9 offset:320
	s_wait_dscnt 0x0
	v_add_f32_e32 v3, v3, v10
	s_wait_alu 0xfffe
	s_or_b32 exec_lo, exec_lo, s1
	s_and_saveexec_b32 s1, vcc_lo
	s_cbranch_execz .LBB168_73
.LBB168_92:
	ds_load_b32 v10, v9 offset:384
	s_wait_dscnt 0x0
	v_add_f32_e32 v2, v2, v10
	s_wait_alu 0xfffe
	s_or_b32 exec_lo, exec_lo, s1
	s_and_saveexec_b32 s1, vcc_lo
	s_cbranch_execnz .LBB168_74
	s_branch .LBB168_75
	.section	.rodata,"a",@progbits
	.p2align	6, 0x0
	.amdhsa_kernel _ZN4vllm25paged_attention_v2_kernelI14__hip_bfloat16S1_Li128ELi16ELi128ELNS_18Fp8KVCacheDataTypeE0ELb0ELi512EEEvPfS3_PT_PKS4_PKT0_SA_ifPKiSC_iPKfiiiSE_SE_iiiii
		.amdhsa_group_segment_fixed_size 288
		.amdhsa_private_segment_fixed_size 0
		.amdhsa_kernarg_size 400
		.amdhsa_user_sgpr_count 2
		.amdhsa_user_sgpr_dispatch_ptr 0
		.amdhsa_user_sgpr_queue_ptr 0
		.amdhsa_user_sgpr_kernarg_segment_ptr 1
		.amdhsa_user_sgpr_dispatch_id 0
		.amdhsa_user_sgpr_private_segment_size 0
		.amdhsa_wavefront_size32 1
		.amdhsa_uses_dynamic_stack 0
		.amdhsa_enable_private_segment 0
		.amdhsa_system_sgpr_workgroup_id_x 1
		.amdhsa_system_sgpr_workgroup_id_y 1
		.amdhsa_system_sgpr_workgroup_id_z 1
		.amdhsa_system_sgpr_workgroup_info 0
		.amdhsa_system_vgpr_workitem_id 0
		.amdhsa_next_free_vgpr 134
		.amdhsa_next_free_sgpr 36
		.amdhsa_reserve_vcc 1
		.amdhsa_float_round_mode_32 0
		.amdhsa_float_round_mode_16_64 0
		.amdhsa_float_denorm_mode_32 3
		.amdhsa_float_denorm_mode_16_64 3
		.amdhsa_fp16_overflow 0
		.amdhsa_workgroup_processor_mode 1
		.amdhsa_memory_ordered 1
		.amdhsa_forward_progress 1
		.amdhsa_inst_pref_size 102
		.amdhsa_round_robin_scheduling 0
		.amdhsa_exception_fp_ieee_invalid_op 0
		.amdhsa_exception_fp_denorm_src 0
		.amdhsa_exception_fp_ieee_div_zero 0
		.amdhsa_exception_fp_ieee_overflow 0
		.amdhsa_exception_fp_ieee_underflow 0
		.amdhsa_exception_fp_ieee_inexact 0
		.amdhsa_exception_int_div_zero 0
	.end_amdhsa_kernel
	.section	.text._ZN4vllm25paged_attention_v2_kernelI14__hip_bfloat16S1_Li128ELi16ELi128ELNS_18Fp8KVCacheDataTypeE0ELb0ELi512EEEvPfS3_PT_PKS4_PKT0_SA_ifPKiSC_iPKfiiiSE_SE_iiiii,"axG",@progbits,_ZN4vllm25paged_attention_v2_kernelI14__hip_bfloat16S1_Li128ELi16ELi128ELNS_18Fp8KVCacheDataTypeE0ELb0ELi512EEEvPfS3_PT_PKS4_PKT0_SA_ifPKiSC_iPKfiiiSE_SE_iiiii,comdat
.Lfunc_end168:
	.size	_ZN4vllm25paged_attention_v2_kernelI14__hip_bfloat16S1_Li128ELi16ELi128ELNS_18Fp8KVCacheDataTypeE0ELb0ELi512EEEvPfS3_PT_PKS4_PKT0_SA_ifPKiSC_iPKfiiiSE_SE_iiiii, .Lfunc_end168-_ZN4vllm25paged_attention_v2_kernelI14__hip_bfloat16S1_Li128ELi16ELi128ELNS_18Fp8KVCacheDataTypeE0ELb0ELi512EEEvPfS3_PT_PKS4_PKT0_SA_ifPKiSC_iPKfiiiSE_SE_iiiii
                                        ; -- End function
	.set _ZN4vllm25paged_attention_v2_kernelI14__hip_bfloat16S1_Li128ELi16ELi128ELNS_18Fp8KVCacheDataTypeE0ELb0ELi512EEEvPfS3_PT_PKS4_PKT0_SA_ifPKiSC_iPKfiiiSE_SE_iiiii.num_vgpr, 134
	.set _ZN4vllm25paged_attention_v2_kernelI14__hip_bfloat16S1_Li128ELi16ELi128ELNS_18Fp8KVCacheDataTypeE0ELb0ELi512EEEvPfS3_PT_PKS4_PKT0_SA_ifPKiSC_iPKfiiiSE_SE_iiiii.num_agpr, 0
	.set _ZN4vllm25paged_attention_v2_kernelI14__hip_bfloat16S1_Li128ELi16ELi128ELNS_18Fp8KVCacheDataTypeE0ELb0ELi512EEEvPfS3_PT_PKS4_PKT0_SA_ifPKiSC_iPKfiiiSE_SE_iiiii.numbered_sgpr, 36
	.set _ZN4vllm25paged_attention_v2_kernelI14__hip_bfloat16S1_Li128ELi16ELi128ELNS_18Fp8KVCacheDataTypeE0ELb0ELi512EEEvPfS3_PT_PKS4_PKT0_SA_ifPKiSC_iPKfiiiSE_SE_iiiii.num_named_barrier, 0
	.set _ZN4vllm25paged_attention_v2_kernelI14__hip_bfloat16S1_Li128ELi16ELi128ELNS_18Fp8KVCacheDataTypeE0ELb0ELi512EEEvPfS3_PT_PKS4_PKT0_SA_ifPKiSC_iPKfiiiSE_SE_iiiii.private_seg_size, 0
	.set _ZN4vllm25paged_attention_v2_kernelI14__hip_bfloat16S1_Li128ELi16ELi128ELNS_18Fp8KVCacheDataTypeE0ELb0ELi512EEEvPfS3_PT_PKS4_PKT0_SA_ifPKiSC_iPKfiiiSE_SE_iiiii.uses_vcc, 1
	.set _ZN4vllm25paged_attention_v2_kernelI14__hip_bfloat16S1_Li128ELi16ELi128ELNS_18Fp8KVCacheDataTypeE0ELb0ELi512EEEvPfS3_PT_PKS4_PKT0_SA_ifPKiSC_iPKfiiiSE_SE_iiiii.uses_flat_scratch, 0
	.set _ZN4vllm25paged_attention_v2_kernelI14__hip_bfloat16S1_Li128ELi16ELi128ELNS_18Fp8KVCacheDataTypeE0ELb0ELi512EEEvPfS3_PT_PKS4_PKT0_SA_ifPKiSC_iPKfiiiSE_SE_iiiii.has_dyn_sized_stack, 0
	.set _ZN4vllm25paged_attention_v2_kernelI14__hip_bfloat16S1_Li128ELi16ELi128ELNS_18Fp8KVCacheDataTypeE0ELb0ELi512EEEvPfS3_PT_PKS4_PKT0_SA_ifPKiSC_iPKfiiiSE_SE_iiiii.has_recursion, 0
	.set _ZN4vllm25paged_attention_v2_kernelI14__hip_bfloat16S1_Li128ELi16ELi128ELNS_18Fp8KVCacheDataTypeE0ELb0ELi512EEEvPfS3_PT_PKS4_PKT0_SA_ifPKiSC_iPKfiiiSE_SE_iiiii.has_indirect_call, 0
	.section	.AMDGPU.csdata,"",@progbits
; Kernel info:
; codeLenInByte = 12960
; TotalNumSgprs: 38
; NumVgprs: 134
; ScratchSize: 0
; MemoryBound: 0
; FloatMode: 240
; IeeeMode: 1
; LDSByteSize: 288 bytes/workgroup (compile time only)
; SGPRBlocks: 0
; VGPRBlocks: 16
; NumSGPRsForWavesPerEU: 38
; NumVGPRsForWavesPerEU: 134
; Occupancy: 10
; WaveLimiterHint : 1
; COMPUTE_PGM_RSRC2:SCRATCH_EN: 0
; COMPUTE_PGM_RSRC2:USER_SGPR: 2
; COMPUTE_PGM_RSRC2:TRAP_HANDLER: 0
; COMPUTE_PGM_RSRC2:TGID_X_EN: 1
; COMPUTE_PGM_RSRC2:TGID_Y_EN: 1
; COMPUTE_PGM_RSRC2:TGID_Z_EN: 1
; COMPUTE_PGM_RSRC2:TIDIG_COMP_CNT: 0
	.section	.text._ZN4vllm25paged_attention_v2_kernelI14__hip_bfloat16S1_Li192ELi16ELi128ELNS_18Fp8KVCacheDataTypeE0ELb0ELi512EEEvPfS3_PT_PKS4_PKT0_SA_ifPKiSC_iPKfiiiSE_SE_iiiii,"axG",@progbits,_ZN4vllm25paged_attention_v2_kernelI14__hip_bfloat16S1_Li192ELi16ELi128ELNS_18Fp8KVCacheDataTypeE0ELb0ELi512EEEvPfS3_PT_PKS4_PKT0_SA_ifPKiSC_iPKfiiiSE_SE_iiiii,comdat
	.protected	_ZN4vllm25paged_attention_v2_kernelI14__hip_bfloat16S1_Li192ELi16ELi128ELNS_18Fp8KVCacheDataTypeE0ELb0ELi512EEEvPfS3_PT_PKS4_PKT0_SA_ifPKiSC_iPKfiiiSE_SE_iiiii ; -- Begin function _ZN4vllm25paged_attention_v2_kernelI14__hip_bfloat16S1_Li192ELi16ELi128ELNS_18Fp8KVCacheDataTypeE0ELb0ELi512EEEvPfS3_PT_PKS4_PKT0_SA_ifPKiSC_iPKfiiiSE_SE_iiiii
	.globl	_ZN4vllm25paged_attention_v2_kernelI14__hip_bfloat16S1_Li192ELi16ELi128ELNS_18Fp8KVCacheDataTypeE0ELb0ELi512EEEvPfS3_PT_PKS4_PKT0_SA_ifPKiSC_iPKfiiiSE_SE_iiiii
	.p2align	8
	.type	_ZN4vllm25paged_attention_v2_kernelI14__hip_bfloat16S1_Li192ELi16ELi128ELNS_18Fp8KVCacheDataTypeE0ELb0ELi512EEEvPfS3_PT_PKS4_PKT0_SA_ifPKiSC_iPKfiiiSE_SE_iiiii,@function
_ZN4vllm25paged_attention_v2_kernelI14__hip_bfloat16S1_Li192ELi16ELi128ELNS_18Fp8KVCacheDataTypeE0ELb0ELi512EEEvPfS3_PT_PKS4_PKT0_SA_ifPKiSC_iPKfiiiSE_SE_iiiii: ; @_ZN4vllm25paged_attention_v2_kernelI14__hip_bfloat16S1_Li192ELi16ELi128ELNS_18Fp8KVCacheDataTypeE0ELb0ELi512EEEvPfS3_PT_PKS4_PKT0_SA_ifPKiSC_iPKfiiiSE_SE_iiiii
; %bb.0:
	s_load_b64 s[2:3], s[0:1], 0x40
	s_and_b32 s14, ttmp7, 0xffff
	s_lshr_b32 s24, ttmp7, 16
	s_lshl_b32 s4, s14, 2
	s_lshl_b32 s26, s24, 9
	s_wait_kmcnt 0x0
	s_load_b32 s25, s[2:3], s4 offset:0x0
	s_wait_kmcnt 0x0
	s_cmp_ge_i32 s26, s25
	s_cbranch_scc1 .LBB169_94
; %bb.1:
	s_clause 0x1
	s_load_b32 s15, s[0:1], 0x90
	s_load_b64 s[6:7], s[0:1], 0x30
	s_wait_kmcnt 0x0
	s_abs_i32 s5, s15
	s_abs_i32 s2, s6
	s_delay_alu instid0(SALU_CYCLE_1) | instskip(SKIP_1) | instid1(SALU_CYCLE_2)
	s_cvt_f32_u32 s3, s2
	s_sub_co_i32 s4, 0, s2
	v_rcp_iflag_f32_e32 v1, s3
	s_delay_alu instid0(TRANS32_DEP_1) | instskip(SKIP_2) | instid1(SALU_CYCLE_2)
	v_readfirstlane_b32 s3, v1
	s_mul_f32 s3, s3, 0x4f7ffffe
	s_wait_alu 0xfffe
	s_cvt_u32_f32 s3, s3
	s_wait_alu 0xfffe
	s_delay_alu instid0(SALU_CYCLE_2) | instskip(NEXT) | instid1(SALU_CYCLE_1)
	s_mul_i32 s4, s4, s3
	s_mul_hi_u32 s4, s3, s4
	s_delay_alu instid0(SALU_CYCLE_1)
	s_add_co_i32 s3, s3, s4
	s_xor_b32 s4, s15, s6
	s_wait_alu 0xfffe
	s_mul_hi_u32 s3, s5, s3
	s_ashr_i32 s4, s4, 31
	s_wait_alu 0xfffe
	s_mul_i32 s6, s3, s2
	s_delay_alu instid0(SALU_CYCLE_1)
	s_sub_co_i32 s5, s5, s6
	s_add_co_i32 s6, s3, 1
	s_sub_co_i32 s8, s5, s2
	s_cmp_ge_u32 s5, s2
	s_cselect_b32 s3, s6, s3
	s_cselect_b32 s5, s8, s5
	s_wait_alu 0xfffe
	s_add_co_i32 s6, s3, 1
	s_cmp_ge_u32 s5, s2
	s_load_b64 s[8:9], s[0:1], 0x50
	s_cselect_b32 s2, s6, s3
	s_mov_b32 s3, 0
	s_wait_alu 0xfffe
	s_xor_b32 s2, s2, s4
	s_mov_b32 s6, s3
	s_wait_alu 0xfffe
	s_sub_co_i32 s12, s2, s4
	s_delay_alu instid0(SALU_CYCLE_1) | instskip(NEXT) | instid1(SALU_CYCLE_1)
	s_abs_i32 s11, s12
	s_cvt_f32_u32 s2, s11
	s_wait_alu 0xfffe
	s_delay_alu instid0(SALU_CYCLE_2) | instskip(NEXT) | instid1(TRANS32_DEP_1)
	v_rcp_iflag_f32_e32 v1, s2
	v_readfirstlane_b32 s2, v1
	s_mul_f32 s2, s2, 0x4f7ffffe
	s_wait_alu 0xfffe
	s_delay_alu instid0(SALU_CYCLE_2) | instskip(SKIP_2) | instid1(SALU_CYCLE_1)
	s_cvt_u32_f32 s4, s2
	s_sub_co_i32 s2, 0, s11
	s_wait_alu 0xfffe
	s_mul_i32 s2, s2, s4
	s_wait_alu 0xfffe
	s_mul_hi_u32 s5, s4, s2
	s_abs_i32 s2, ttmp9
	s_add_co_i32 s4, s4, s5
	s_mov_b32 s5, s3
	s_wait_kmcnt 0x0
	s_cmp_eq_u64 s[8:9], 0
	s_cbranch_scc1 .LBB169_3
; %bb.2:
	s_mov_b32 s16, ttmp9
	s_ashr_i32 s17, ttmp9, 31
	s_delay_alu instid0(SALU_CYCLE_1) | instskip(NEXT) | instid1(SALU_CYCLE_1)
	s_lshl_b64 s[16:17], s[16:17], 2
	s_add_nc_u64 s[8:9], s[8:9], s[16:17]
	s_load_b32 s6, s[8:9], 0x0
.LBB169_3:
	s_load_b96 s[8:10], s[0:1], 0x58
	v_lshrrev_b32_e32 v59, 1, v0
	v_and_b32_e32 v60, 1, v0
	v_lshlrev_b32_e32 v5, 3, v0
	s_mul_u64 s[4:5], s[2:3], s[4:5]
	s_ashr_i32 s3, ttmp9, 31
	s_ashr_i32 s4, s12, 31
	s_mul_i32 s12, ttmp9, 0xc0
	s_mov_b32 s16, exec_lo
	v_cmpx_gt_u32_e32 48, v0
	s_cbranch_execz .LBB169_5
; %bb.4:
	s_load_b64 s[18:19], s[0:1], 0x18
	s_wait_kmcnt 0x0
	s_mul_i32 s20, s8, s14
	s_ashr_i32 s13, s12, 31
	s_ashr_i32 s21, s20, 31
	v_lshlrev_b32_e32 v3, 3, v59
	s_lshl_b64 s[20:21], s[20:21], 1
	s_delay_alu instid0(VALU_DEP_1) | instskip(SKIP_2) | instid1(SALU_CYCLE_1)
	v_mad_u32_u24 v3, 0xc0, v60, v3
	s_add_nc_u64 s[18:19], s[18:19], s[20:21]
	s_lshl_b64 s[20:21], s[12:13], 1
	s_add_nc_u64 s[18:19], s[18:19], s[20:21]
	global_load_b64 v[1:2], v5, s[18:19]
	s_wait_loadcnt 0x0
	ds_store_b64 v3, v[1:2]
.LBB169_5:
	s_or_b32 exec_lo, exec_lo, s16
	s_wait_kmcnt 0x0
	s_add_co_i32 s8, s25, 15
	s_wait_alu 0xfffe
	s_xor_b32 s3, s3, s4
	s_ashr_i32 s13, s8, 31
	s_lshl_b32 s28, s24, 5
	s_lshr_b32 s4, s13, 28
	s_mul_i32 s13, s5, s11
	s_add_co_i32 s8, s8, s4
	s_add_co_i32 s4, s28, 32
	s_ashr_i32 s27, s8, 4
	s_load_b32 s8, s[0:1], 0x48
	s_sub_co_i32 s2, s2, s13
	s_min_i32 s13, s4, s27
	s_add_co_i32 s4, s5, 1
	s_wait_alu 0xfffe
	s_sub_co_i32 s16, s2, s11
	s_cmp_ge_u32 s2, s11
	v_lshrrev_b32_e32 v61, 5, v0
	s_cselect_b32 s4, s4, s5
	s_cselect_b32 s2, s16, s2
	s_add_co_i32 s5, s4, 1
	s_wait_alu 0xfffe
	s_cmp_ge_u32 s2, s11
	v_or_b32_e32 v62, s28, v61
	s_cselect_b32 s2, s5, s4
	v_mbcnt_lo_u32_b32 v8, -1, 0
	s_wait_alu 0xfffe
	s_xor_b32 s2, s2, s3
	s_mov_b32 s4, exec_lo
	s_wait_alu 0xfffe
	s_sub_co_i32 s3, s2, s3
	v_cmp_gt_i32_e64 s2, s13, v62
	s_wait_dscnt 0x0
	s_barrier_signal -1
	s_wait_kmcnt 0x0
	s_mul_i32 s16, s8, s14
	s_barrier_wait -1
	s_ashr_i32 s17, s16, 31
	global_inv scope:SCOPE_SE
                                        ; implicit-def: $vgpr55
                                        ; implicit-def: $vgpr65
	v_cmpx_le_i32_e64 s13, v62
	s_xor_b32 s4, exec_lo, s4
; %bb.6:
	v_mov_b32_e32 v55, 0
	v_mbcnt_lo_u32_b32 v8, -1, 0
	v_mov_b32_e32 v65, 32
; %bb.7:
	s_or_saveexec_b32 s11, s4
	s_clause 0x1
	s_load_b64 s[18:19], s[0:1], 0x38
	s_load_b32 s8, s[0:1], 0x98
	v_dual_mov_b32 v110, 0xff7fffff :: v_dual_lshlrev_b32 v7, 4, v61
	v_lshlrev_b32_e32 v6, 2, v62
	s_mul_i32 s20, s3, s10
	s_xor_b32 exec_lo, exec_lo, s11
	s_cbranch_execz .LBB169_13
; %bb.8:
	v_mul_u32_u24_e32 v55, 0xc0, v60
	s_load_b64 s[4:5], s[0:1], 0x20
	s_ashr_i32 s21, s20, 31
	s_mov_b32 s10, 0
	s_lshl_b64 s[22:23], s[20:21], 1
	ds_load_b128 v[1:4], v55
	ds_load_b128 v[21:24], v55 offset:16
	ds_load_b128 v[29:32], v55 offset:32
	;; [unrolled: 1-line block ×7, first 2 shown]
	s_cmp_neq_f32 s6, 0
	s_mov_b32 s21, s9
	ds_load_b128 v[67:70], v55 offset:96
	v_mov_b32_e32 v117, v62
	ds_load_b128 v[99:102], v55 offset:160
	s_wait_dscnt 0x9
	v_lshlrev_b32_e32 v9, 16, v1
	v_and_b32_e32 v10, 0xffff0000, v1
	v_lshlrev_b32_e32 v11, 16, v2
	v_and_b32_e32 v12, 0xffff0000, v2
	;; [unrolled: 2-line block ×4, first 2 shown]
	ds_load_b128 v[1:4], v55 offset:80
	s_wait_kmcnt 0x0
	s_add_nc_u64 s[4:5], s[4:5], s[22:23]
	s_wait_dscnt 0x9
	v_lshlrev_b32_e32 v17, 16, v21
	v_and_b32_e32 v18, 0xffff0000, v21
	v_lshlrev_b32_e32 v19, 16, v22
	v_and_b32_e32 v20, 0xffff0000, v22
	;; [unrolled: 2-line block ×4, first 2 shown]
	s_wait_dscnt 0x8
	v_lshlrev_b32_e32 v25, 16, v29
	v_and_b32_e32 v26, 0xffff0000, v29
	v_lshlrev_b32_e32 v27, 16, v30
	v_and_b32_e32 v28, 0xffff0000, v30
	;; [unrolled: 2-line block ×4, first 2 shown]
	s_wait_dscnt 0x7
	v_lshlrev_b32_e32 v33, 16, v37
	v_and_b32_e32 v34, 0xffff0000, v37
	s_wait_dscnt 0x0
	v_lshlrev_b32_e32 v49, 16, v1
	v_and_b32_e32 v50, 0xffff0000, v1
	v_lshlrev_b32_e32 v51, 16, v2
	v_and_b32_e32 v52, 0xffff0000, v2
	;; [unrolled: 2-line block ×4, first 2 shown]
	ds_load_b128 v[1:4], v55 offset:144
	v_lshlrev_b32_e32 v35, 16, v38
	v_and_b32_e32 v36, 0xffff0000, v38
	v_lshlrev_b32_e32 v37, 16, v39
	v_and_b32_e32 v38, 0xffff0000, v39
	;; [unrolled: 2-line block ×9, first 2 shown]
	v_lshlrev_b32_e32 v67, 16, v69
	s_wait_dscnt 0x0
	v_lshlrev_b32_e32 v87, 16, v1
	v_and_b32_e32 v88, 0xffff0000, v1
	v_bfe_u32 v1, v0, 1, 4
	v_lshlrev_b32_e32 v89, 16, v2
	v_and_b32_e32 v90, 0xffff0000, v2
	v_lshlrev_b32_e32 v93, 16, v4
	v_and_b32_e32 v94, 0xffff0000, v4
	v_lshlrev_b32_e32 v2, 4, v1
	v_xor_b32_e32 v4, 1, v8
	v_lshlrev_b32_e32 v91, 16, v3
	v_and_b32_e32 v92, 0xffff0000, v3
	v_and_b32_e32 v3, 8, v5
	v_add_co_u32 v2, s3, s4, v2
	v_cmp_gt_i32_e32 vcc_lo, 32, v4
	v_lshlrev_b32_e32 v65, 2, v1
	s_wait_alu 0xf1ff
	v_add_co_ci_u32_e64 v55, null, s5, 0, s3
	s_cselect_b32 s3, -1, 0
	s_lshl_b64 s[4:5], s[16:17], 2
	v_cndmask_b32_e32 v4, v8, v4, vcc_lo
	v_add_co_u32 v112, vcc_lo, v2, v3
	v_lshl_or_b32 v2, v61, 6, v65
	s_wait_alu 0xfffe
	s_add_nc_u64 s[4:5], s[18:19], s[4:5]
	v_add3_u32 v115, s26, v7, v1
	s_wait_alu 0xfffe
	v_add_co_u32 v1, s4, s4, v6
	v_and_b32_e32 v68, 0xffff0000, v69
	v_lshlrev_b32_e32 v69, 16, v70
	v_and_b32_e32 v70, 0xffff0000, v70
	v_lshlrev_b32_e32 v71, 16, v75
	;; [unrolled: 2-line block ×17, first 2 shown]
	v_and_b32_e32 v111, 0xffff0000, v110
	s_wait_alu 0xfffd
	v_add_co_ci_u32_e64 v113, null, 0, v55, vcc_lo
	v_lshlrev_b32_e32 v114, 2, v4
	v_add_nc_u32_e32 v116, 0x1a0, v2
	s_wait_alu 0xf1ff
	v_add_co_ci_u32_e64 v2, null, s5, 0, s4
	v_mov_b32_e32 v55, 0
	v_dual_mov_b32 v65, 32 :: v_dual_mov_b32 v110, 0xff7fffff
	s_sub_co_i32 s22, 1, s25
	v_cmp_eq_u32_e32 vcc_lo, 0, v60
	s_branch .LBB169_10
.LBB169_9:                              ;   in Loop: Header=BB169_10 Depth=1
	s_wait_alu 0xfffe
	s_or_b32 exec_lo, exec_lo, s5
	v_add_nc_u32_e32 v117, 4, v117
	v_add_co_u32 v1, s5, v1, 16
	v_add_nc_u32_e32 v115, 64, v115
	v_add_nc_u32_e32 v116, 0x100, v116
	s_delay_alu instid0(VALU_DEP_4) | instskip(SKIP_3) | instid1(SALU_CYCLE_1)
	v_cmp_le_i32_e64 s4, s13, v117
	s_wait_alu 0xf1ff
	v_add_co_ci_u32_e64 v2, null, 0, v2, s5
	s_or_b32 s10, s4, s10
	s_and_not1_b32 exec_lo, exec_lo, s10
	s_cbranch_execz .LBB169_12
.LBB169_10:                             ; =>This Inner Loop Header: Depth=1
	global_load_b32 v3, v[1:2], off
	s_wait_loadcnt_dscnt 0x0
	v_mad_co_i64_i32 v[3:4], null, v3, s21, 0
	s_delay_alu instid0(VALU_DEP_1) | instskip(NEXT) | instid1(VALU_DEP_1)
	v_lshlrev_b64_e32 v[3:4], 1, v[3:4]
	v_add_co_u32 v3, s4, v112, v3
	s_wait_alu 0xf1ff
	s_delay_alu instid0(VALU_DEP_2)
	v_add_co_ci_u32_e64 v4, null, v113, v4, s4
	s_clause 0xf
	global_load_b64 v[118:119], v[3:4], off
	global_load_b64 v[120:121], v[3:4], off offset:256
	global_load_b64 v[122:123], v[3:4], off offset:512
	global_load_b64 v[124:125], v[3:4], off offset:768
	global_load_b64 v[126:127], v[3:4], off offset:1024
	global_load_b64 v[128:129], v[3:4], off offset:1280
	global_load_b64 v[130:131], v[3:4], off offset:1536
	global_load_b64 v[132:133], v[3:4], off offset:1792
	global_load_b64 v[134:135], v[3:4], off offset:2048
	global_load_b64 v[136:137], v[3:4], off offset:2304
	global_load_b64 v[138:139], v[3:4], off offset:2560
	global_load_b64 v[140:141], v[3:4], off offset:2816
	global_load_b64 v[142:143], v[3:4], off offset:3072
	global_load_b64 v[144:145], v[3:4], off offset:3328
	global_load_b64 v[146:147], v[3:4], off offset:3584
	global_load_b64 v[148:149], v[3:4], off offset:3840
	s_wait_loadcnt 0xe
	v_lshlrev_b32_e32 v153, 16, v121
	v_lshlrev_b32_e32 v150, 16, v118
	v_and_b32_e32 v121, 0xffff0000, v121
	v_lshlrev_b32_e32 v152, 16, v120
	v_lshlrev_b32_e32 v151, 16, v119
	s_delay_alu instid0(VALU_DEP_2) | instskip(NEXT) | instid1(VALU_DEP_1)
	v_dual_mul_f32 v153, v15, v153 :: v_dual_mul_f32 v152, v13, v152
	v_dual_fmac_f32 v153, v11, v151 :: v_dual_and_b32 v118, 0xffff0000, v118
	v_and_b32_e32 v119, 0xffff0000, v119
	s_delay_alu instid0(VALU_DEP_3) | instskip(SKIP_3) | instid1(VALU_DEP_3)
	v_dual_mul_f32 v151, v16, v121 :: v_dual_fmac_f32 v152, v9, v150
	v_and_b32_e32 v120, 0xffff0000, v120
	s_wait_loadcnt 0xd
	v_and_b32_e32 v157, 0xffff0000, v123
	v_fmac_f32_e32 v151, v12, v119
	v_lshlrev_b32_e32 v156, 16, v123
	s_delay_alu instid0(VALU_DEP_2) | instskip(NEXT) | instid1(VALU_DEP_2)
	v_dual_mul_f32 v150, v14, v120 :: v_dual_fmac_f32 v151, v20, v157
	v_dual_fmac_f32 v153, v19, v156 :: v_dual_lshlrev_b32 v154, 16, v122
	s_wait_loadcnt 0xc
	s_delay_alu instid0(VALU_DEP_2) | instskip(SKIP_1) | instid1(VALU_DEP_3)
	v_dual_fmac_f32 v150, v10, v118 :: v_dual_and_b32 v159, 0xffff0000, v124
	v_and_b32_e32 v155, 0xffff0000, v122
	v_dual_fmac_f32 v152, v17, v154 :: v_dual_and_b32 v161, 0xffff0000, v125
	v_lshlrev_b32_e32 v158, 16, v124
	s_delay_alu instid0(VALU_DEP_2) | instskip(SKIP_1) | instid1(VALU_DEP_2)
	v_dual_fmac_f32 v150, v18, v155 :: v_dual_fmac_f32 v151, v24, v161
	s_wait_loadcnt 0xb
	v_dual_fmac_f32 v152, v21, v158 :: v_dual_lshlrev_b32 v163, 16, v127
	v_lshlrev_b32_e32 v160, 16, v125
	s_clause 0x3
	global_load_b64 v[118:119], v[3:4], off offset:4096
	global_load_b64 v[120:121], v[3:4], off offset:4352
	global_load_b64 v[122:123], v[3:4], off offset:4608
	global_load_b64 v[124:125], v[3:4], off offset:4864
	v_lshlrev_b32_e32 v162, 16, v126
	v_fmac_f32_e32 v150, v22, v159
	v_and_b32_e32 v127, 0xffff0000, v127
	v_dual_fmac_f32 v153, v23, v160 :: v_dual_and_b32 v126, 0xffff0000, v126
	s_wait_loadcnt 0xe
	v_dual_fmac_f32 v152, v25, v162 :: v_dual_lshlrev_b32 v165, 16, v129
	s_delay_alu instid0(VALU_DEP_3) | instskip(NEXT) | instid1(VALU_DEP_3)
	v_fmac_f32_e32 v151, v28, v127
	v_dual_fmac_f32 v153, v27, v163 :: v_dual_lshlrev_b32 v164, 16, v128
	v_dual_fmac_f32 v150, v26, v126 :: v_dual_and_b32 v129, 0xffff0000, v129
	s_delay_alu instid0(VALU_DEP_2) | instskip(SKIP_1) | instid1(VALU_DEP_3)
	v_dual_fmac_f32 v153, v31, v165 :: v_dual_and_b32 v128, 0xffff0000, v128
	s_wait_loadcnt 0xd
	v_dual_fmac_f32 v152, v29, v164 :: v_dual_lshlrev_b32 v167, 16, v131
	s_delay_alu instid0(VALU_DEP_3) | instskip(NEXT) | instid1(VALU_DEP_3)
	v_dual_fmac_f32 v151, v32, v129 :: v_dual_lshlrev_b32 v166, 16, v130
	v_dual_fmac_f32 v150, v30, v128 :: v_dual_and_b32 v131, 0xffff0000, v131
	s_delay_alu instid0(VALU_DEP_3) | instskip(SKIP_1) | instid1(VALU_DEP_3)
	v_dual_fmac_f32 v153, v35, v167 :: v_dual_and_b32 v130, 0xffff0000, v130
	s_wait_loadcnt 0xc
	v_dual_fmac_f32 v152, v33, v166 :: v_dual_lshlrev_b32 v169, 16, v133
	s_delay_alu instid0(VALU_DEP_3) | instskip(NEXT) | instid1(VALU_DEP_3)
	v_dual_fmac_f32 v151, v36, v131 :: v_dual_lshlrev_b32 v168, 16, v132
	v_dual_fmac_f32 v150, v34, v130 :: v_dual_and_b32 v133, 0xffff0000, v133
	s_delay_alu instid0(VALU_DEP_3) | instskip(SKIP_1) | instid1(VALU_DEP_3)
	;; [unrolled: 7-line block ×9, first 2 shown]
	v_dual_fmac_f32 v153, v73, v183 :: v_dual_and_b32 v146, 0xffff0000, v146
	s_wait_loadcnt 0x4
	v_dual_fmac_f32 v152, v71, v182 :: v_dual_lshlrev_b32 v185, 16, v149
	s_delay_alu instid0(VALU_DEP_3) | instskip(NEXT) | instid1(VALU_DEP_3)
	v_dual_fmac_f32 v151, v74, v147 :: v_dual_lshlrev_b32 v184, 16, v148
	v_dual_fmac_f32 v150, v72, v146 :: v_dual_and_b32 v149, 0xffff0000, v149
	s_delay_alu instid0(VALU_DEP_2) | instskip(NEXT) | instid1(VALU_DEP_2)
	v_dual_fmac_f32 v153, v77, v185 :: v_dual_fmac_f32 v152, v75, v184
	v_dual_fmac_f32 v151, v78, v149 :: v_dual_and_b32 v148, 0xffff0000, v148
	s_wait_loadcnt 0x3
	s_delay_alu instid0(VALU_DEP_1) | instskip(NEXT) | instid1(VALU_DEP_1)
	v_dual_fmac_f32 v150, v76, v148 :: v_dual_lshlrev_b32 v187, 16, v119
	v_dual_fmac_f32 v153, v81, v187 :: v_dual_lshlrev_b32 v154, 16, v118
	s_wait_loadcnt 0x2
	s_delay_alu instid0(VALU_DEP_1) | instskip(NEXT) | instid1(VALU_DEP_1)
	v_dual_fmac_f32 v152, v79, v154 :: v_dual_lshlrev_b32 v157, 16, v121
	v_dual_fmac_f32 v153, v85, v157 :: v_dual_and_b32 v188, 0xffff0000, v119
	s_delay_alu instid0(VALU_DEP_1)
	v_dual_fmac_f32 v151, v82, v188 :: v_dual_and_b32 v186, 0xffff0000, v118
	v_lshlrev_b32_e32 v155, 16, v120
	global_load_b64 v[118:119], v[3:4], off offset:5120
	v_fmac_f32_e32 v150, v80, v186
	s_wait_loadcnt 0x1
	v_dual_fmac_f32 v152, v83, v155 :: v_dual_lshlrev_b32 v127, 16, v125
	v_and_b32_e32 v125, 0xffff0000, v125
	v_and_b32_e32 v162, 0xffff0000, v123
	;; [unrolled: 1-line block ×4, first 2 shown]
	global_load_b64 v[120:121], v[3:4], off offset:5376
	v_fmac_f32_e32 v151, v86, v158
	v_dual_fmac_f32 v150, v84, v156 :: v_dual_lshlrev_b32 v159, 16, v122
	v_lshlrev_b32_e32 v161, 16, v123
	v_and_b32_e32 v160, 0xffff0000, v122
	s_clause 0x1
	global_load_b64 v[122:123], v[3:4], off offset:5632
	global_load_b64 v[3:4], v[3:4], off offset:5888
	v_dual_fmac_f32 v152, v87, v159 :: v_dual_fmac_f32 v151, v90, v162
	v_dual_fmac_f32 v153, v89, v161 :: v_dual_lshlrev_b32 v126, 16, v124
	s_delay_alu instid0(VALU_DEP_1) | instskip(NEXT) | instid1(VALU_DEP_2)
	v_dual_fmac_f32 v150, v88, v160 :: v_dual_fmac_f32 v153, v93, v127
	v_dual_fmac_f32 v152, v91, v126 :: v_dual_fmac_f32 v151, v94, v125
	s_wait_loadcnt 0x3
	v_lshlrev_b32_e32 v129, 16, v119
	v_and_b32_e32 v124, 0xffff0000, v124
	v_and_b32_e32 v119, 0xffff0000, v119
	s_delay_alu instid0(VALU_DEP_3) | instskip(NEXT) | instid1(VALU_DEP_2)
	v_dual_fmac_f32 v153, v97, v129 :: v_dual_lshlrev_b32 v128, 16, v118
	v_dual_fmac_f32 v150, v92, v124 :: v_dual_fmac_f32 v151, v98, v119
	s_wait_loadcnt 0x2
	s_delay_alu instid0(VALU_DEP_2) | instskip(SKIP_2) | instid1(VALU_DEP_3)
	v_dual_fmac_f32 v152, v95, v128 :: v_dual_lshlrev_b32 v131, 16, v121
	v_and_b32_e32 v118, 0xffff0000, v118
	v_and_b32_e32 v121, 0xffff0000, v121
	v_dual_fmac_f32 v153, v101, v131 :: v_dual_lshlrev_b32 v130, 16, v120
	s_wait_loadcnt 0x1
	s_delay_alu instid0(VALU_DEP_3) | instskip(NEXT) | instid1(VALU_DEP_3)
	v_dual_fmac_f32 v150, v96, v118 :: v_dual_lshlrev_b32 v133, 16, v123
	v_dual_fmac_f32 v151, v102, v121 :: v_dual_and_b32 v120, 0xffff0000, v120
	s_delay_alu instid0(VALU_DEP_3) | instskip(NEXT) | instid1(VALU_DEP_3)
	v_dual_fmac_f32 v152, v99, v130 :: v_dual_and_b32 v123, 0xffff0000, v123
	v_dual_fmac_f32 v153, v105, v133 :: v_dual_lshlrev_b32 v132, 16, v122
	s_delay_alu instid0(VALU_DEP_2) | instskip(NEXT) | instid1(VALU_DEP_2)
	v_dual_fmac_f32 v150, v100, v120 :: v_dual_fmac_f32 v151, v106, v123
	v_fmac_f32_e32 v152, v103, v132
	s_wait_loadcnt 0x0
	v_lshlrev_b32_e32 v119, 16, v4
	s_delay_alu instid0(VALU_DEP_1) | instskip(SKIP_1) | instid1(VALU_DEP_2)
	v_dual_fmac_f32 v153, v109, v119 :: v_dual_and_b32 v122, 0xffff0000, v122
	v_lshlrev_b32_e32 v118, 16, v3
	v_dual_fmac_f32 v150, v104, v122 :: v_dual_and_b32 v3, 0xffff0000, v3
	s_delay_alu instid0(VALU_DEP_2) | instskip(NEXT) | instid1(VALU_DEP_2)
	v_fmac_f32_e32 v152, v107, v118
	v_dual_fmac_f32 v150, v108, v3 :: v_dual_and_b32 v3, 0xffff0000, v4
	s_delay_alu instid0(VALU_DEP_1) | instskip(NEXT) | instid1(VALU_DEP_1)
	v_dual_add_f32 v4, v152, v150 :: v_dual_fmac_f32 v151, v111, v3
	v_add_f32_e32 v3, v4, v153
	s_delay_alu instid0(VALU_DEP_1)
	v_add_f32_e32 v3, v151, v3
	ds_bpermute_b32 v4, v114, v3
	s_and_saveexec_b32 s5, vcc_lo
	s_cbranch_execz .LBB169_9
; %bb.11:                               ;   in Loop: Header=BB169_10 Depth=1
	s_wait_dscnt 0x0
	v_dual_add_f32 v3, v3, v4 :: v_dual_add_nc_u32 v118, s22, v115
	v_cmp_gt_i32_e64 s4, s25, v115
	s_delay_alu instid0(VALU_DEP_2) | instskip(NEXT) | instid1(VALU_DEP_1)
	v_cvt_f32_i32_e32 v118, v118
	v_mul_f32_e32 v118, s6, v118
	s_delay_alu instid0(VALU_DEP_1) | instskip(SKIP_1) | instid1(VALU_DEP_2)
	v_cndmask_b32_e64 v4, 0, v118, s3
	v_max_num_f32_e32 v118, v110, v110
	v_fmac_f32_e32 v4, s7, v3
	s_delay_alu instid0(VALU_DEP_1) | instskip(SKIP_2) | instid1(VALU_DEP_2)
	v_max_num_f32_e32 v3, v118, v4
	s_wait_alu 0xf1ff
	v_cndmask_b32_e64 v4, 0, v4, s4
	v_cndmask_b32_e64 v110, v110, v3, s4
	ds_store_b32 v116, v4
	s_branch .LBB169_9
.LBB169_12:
	s_or_b32 exec_lo, exec_lo, s10
.LBB169_13:
	s_delay_alu instid0(SALU_CYCLE_1)
	s_or_b32 exec_lo, exec_lo, s11
	v_xor_b32_e32 v1, 16, v8
	v_xor_b32_e32 v2, 8, v8
	s_clause 0x2
	s_load_b128 s[4:7], s[0:1], 0x0
	s_load_b64 s[10:11], s[0:1], 0x10
	s_load_b64 s[22:23], s[0:1], 0x28
	s_wait_dscnt 0x0
	v_dual_max_num_f32 v4, v110, v110 :: v_dual_lshlrev_b32 v11, 2, v61
	v_cmp_lt_i32_e32 vcc_lo, v1, v65
	v_and_b32_e32 v63, 31, v0
	s_wait_alu 0xfffd
	v_cndmask_b32_e32 v1, v8, v1, vcc_lo
	v_cmp_lt_i32_e32 vcc_lo, v2, v65
	s_wait_alu 0xfffd
	s_delay_alu instid0(VALU_DEP_2) | instskip(SKIP_3) | instid1(VALU_DEP_1)
	v_dual_cndmask_b32 v2, v8, v2 :: v_dual_lshlrev_b32 v3, 2, v1
	ds_bpermute_b32 v1, v3, v110
	s_wait_dscnt 0x0
	v_max_num_f32_e32 v1, v1, v1
	v_max_num_f32_e32 v1, v4, v1
	v_xor_b32_e32 v4, 4, v8
	s_delay_alu instid0(VALU_DEP_1) | instskip(SKIP_2) | instid1(VALU_DEP_1)
	v_cmp_lt_i32_e32 vcc_lo, v4, v65
	s_wait_alu 0xfffd
	v_cndmask_b32_e32 v4, v8, v4, vcc_lo
	v_lshlrev_b32_e32 v10, 2, v4
	v_xor_b32_e32 v4, 2, v8
	s_delay_alu instid0(VALU_DEP_1)
	v_cmp_lt_i32_e32 vcc_lo, v4, v65
	s_wait_alu 0xfffd
	v_dual_cndmask_b32 v4, v8, v4 :: v_dual_lshlrev_b32 v9, 2, v2
	ds_bpermute_b32 v2, v9, v1
	v_cmp_eq_u32_e32 vcc_lo, 0, v63
	s_wait_dscnt 0x0
	v_max_num_f32_e32 v2, v2, v2
	s_delay_alu instid0(VALU_DEP_1) | instskip(SKIP_3) | instid1(VALU_DEP_1)
	v_max_num_f32_e32 v1, v1, v2
	ds_bpermute_b32 v2, v10, v1
	s_wait_dscnt 0x0
	v_max_num_f32_e32 v2, v2, v2
	v_dual_max_num_f32 v1, v1, v2 :: v_dual_lshlrev_b32 v2, 2, v4
	ds_bpermute_b32 v4, v2, v1
	s_and_saveexec_b32 s0, vcc_lo
	s_cbranch_execz .LBB169_15
; %bb.14:
	s_wait_dscnt 0x0
	v_dual_max_num_f32 v4, v4, v4 :: v_dual_max_num_f32 v1, v1, v1
	s_delay_alu instid0(VALU_DEP_1)
	v_max_num_f32_e32 v1, v1, v4
	ds_store_b32 v11, v1 offset:384
.LBB169_15:
	s_or_b32 exec_lo, exec_lo, s0
	v_cmp_gt_u32_e64 s0, 4, v63
	v_dual_mov_b32 v1, 0xff7fffff :: v_dual_lshlrev_b32 v12, 2, v63
	s_wait_loadcnt_dscnt 0x0
	s_barrier_signal -1
	s_barrier_wait -1
	global_inv scope:SCOPE_SE
	s_and_saveexec_b32 s1, s0
; %bb.16:
	ds_load_b32 v1, v12 offset:384
; %bb.17:
	s_or_b32 exec_lo, exec_lo, s1
	s_wait_dscnt 0x0
	ds_bpermute_b32 v4, v2, v1
	v_xor_b32_e32 v13, 1, v8
	v_max_num_f32_e32 v1, v1, v1
	s_delay_alu instid0(VALU_DEP_2) | instskip(NEXT) | instid1(VALU_DEP_1)
	v_cmp_lt_i32_e64 s1, v13, v65
	v_cndmask_b32_e64 v13, v8, v13, s1
	s_sub_co_i32 s1, s13, s28
	s_wait_alu 0xfffe
	s_lshl_b32 s1, s1, 4
	s_wait_alu 0xfffe
	s_add_co_i32 s1, s1, s26
	s_wait_alu 0xfffe
	s_min_i32 s1, s1, s25
	s_wait_alu 0xfffe
	s_sub_co_i32 s21, s1, s26
	s_wait_dscnt 0x0
	v_max_num_f32_e32 v4, v4, v4
	v_lshlrev_b32_e32 v64, 2, v13
	s_wait_alu 0xfffe
	v_cmp_gt_i32_e64 s1, s21, v0
	v_mov_b32_e32 v13, 0
	v_max_num_f32_e32 v1, v1, v4
	ds_bpermute_b32 v4, v64, v1
	s_wait_dscnt 0x0
	v_max_num_f32_e32 v4, v4, v4
	s_delay_alu instid0(VALU_DEP_1)
	v_dual_max_num_f32 v1, v1, v4 :: v_dual_lshlrev_b32 v4, 2, v55
	ds_bpermute_b32 v1, v4, v1
	v_lshl_add_u32 v4, v0, 2, 0x1a0
	s_and_saveexec_b32 s28, s1
	s_cbranch_execz .LBB169_21
; %bb.18:
	v_lshl_add_u32 v14, v0, 2, 0x1a0
	v_mov_b32_e32 v13, 0
	v_mov_b32_e32 v15, v0
	s_mov_b32 s29, 0
.LBB169_19:                             ; =>This Inner Loop Header: Depth=1
	ds_load_b32 v16, v14
	v_add_nc_u32_e32 v15, 0x80, v15
	s_delay_alu instid0(VALU_DEP_1) | instskip(SKIP_4) | instid1(VALU_DEP_1)
	v_cmp_le_i32_e64 s3, s21, v15
	s_wait_alu 0xfffe
	s_or_b32 s29, s3, s29
	s_wait_dscnt 0x0
	v_sub_f32_e32 v16, v16, v1
	v_mul_f32_e32 v16, 0x3fb8aa3b, v16
	s_delay_alu instid0(VALU_DEP_1)
	v_exp_f32_e32 v16, v16
	ds_store_b32 v14, v16
	v_dual_add_f32 v13, v13, v16 :: v_dual_add_nc_u32 v14, 0x200, v14
	s_wait_alu 0xfffe
	s_and_not1_b32 exec_lo, exec_lo, s29
	s_cbranch_execnz .LBB169_19
; %bb.20:
	s_or_b32 exec_lo, exec_lo, s29
.LBB169_21:
	s_wait_alu 0xfffe
	s_or_b32 exec_lo, exec_lo, s28
	ds_bpermute_b32 v3, v3, v13
	s_wait_dscnt 0x0
	v_add_f32_e32 v3, v13, v3
	ds_bpermute_b32 v9, v9, v3
	s_wait_dscnt 0x0
	v_add_f32_e32 v3, v3, v9
	;; [unrolled: 3-line block ×5, first 2 shown]
	s_and_saveexec_b32 s3, vcc_lo
; %bb.22:
	ds_store_b32 v11, v3 offset:400
; %bb.23:
	s_wait_alu 0xfffe
	s_or_b32 exec_lo, exec_lo, s3
	s_wait_loadcnt_dscnt 0x0
	s_barrier_signal -1
	s_barrier_wait -1
	global_inv scope:SCOPE_SE
	s_and_saveexec_b32 s3, s0
; %bb.24:
	ds_load_b32 v3, v12 offset:400
; %bb.25:
	s_wait_alu 0xfffe
	s_or_b32 exec_lo, exec_lo, s3
	s_wait_dscnt 0x0
	ds_bpermute_b32 v2, v2, v3
	v_lshlrev_b32_e32 v8, 2, v8
	s_wait_dscnt 0x0
	v_add_f32_e32 v2, v3, v2
	ds_bpermute_b32 v3, v64, v2
	s_wait_dscnt 0x0
	v_dual_add_f32 v2, v2, v3 :: v_dual_and_b32 v3, 0xffffff80, v8
	ds_bpermute_b32 v2, v3, v2
	s_and_saveexec_b32 s0, s1
	s_cbranch_execz .LBB169_28
; %bb.26:
	s_wait_dscnt 0x0
	v_add_f32_e32 v3, 0x358637bd, v2
	s_mov_b32 s1, 0
	s_delay_alu instid0(VALU_DEP_1) | instskip(SKIP_1) | instid1(VALU_DEP_2)
	v_div_scale_f32 v8, null, v3, v3, 1.0
	v_div_scale_f32 v11, vcc_lo, 1.0, v3, 1.0
	v_rcp_f32_e32 v9, v8
	s_delay_alu instid0(TRANS32_DEP_1) | instskip(NEXT) | instid1(VALU_DEP_1)
	v_fma_f32 v10, -v8, v9, 1.0
	v_fmac_f32_e32 v9, v10, v9
	s_delay_alu instid0(VALU_DEP_1) | instskip(NEXT) | instid1(VALU_DEP_1)
	v_mul_f32_e32 v10, v11, v9
	v_fma_f32 v12, -v8, v10, v11
	s_delay_alu instid0(VALU_DEP_1) | instskip(NEXT) | instid1(VALU_DEP_1)
	v_fmac_f32_e32 v10, v12, v9
	v_fma_f32 v8, -v8, v10, v11
	s_wait_alu 0xfffd
	s_delay_alu instid0(VALU_DEP_1) | instskip(NEXT) | instid1(VALU_DEP_1)
	v_div_fmas_f32 v8, v8, v9, v10
	v_div_fixup_f32 v3, v8, v3, 1.0
	v_mov_b32_e32 v8, v0
.LBB169_27:                             ; =>This Inner Loop Header: Depth=1
	ds_load_b32 v9, v4
	s_wait_dscnt 0x0
	v_dual_mul_f32 v9, v3, v9 :: v_dual_add_nc_u32 v8, 0x80, v8
	s_delay_alu instid0(VALU_DEP_1)
	v_cmp_le_i32_e32 vcc_lo, s21, v8
	ds_store_b32 v4, v9
	v_add_nc_u32_e32 v4, 0x200, v4
	s_wait_alu 0xfffe
	s_or_b32 s1, vcc_lo, s1
	s_wait_alu 0xfffe
	s_and_not1_b32 exec_lo, exec_lo, s1
	s_cbranch_execnz .LBB169_27
.LBB169_28:
	s_wait_alu 0xfffe
	s_or_b32 exec_lo, exec_lo, s0
	s_wait_kmcnt 0x0
	s_mul_i32 s0, s8, s14
	s_wait_loadcnt_dscnt 0x0
	s_wait_alu 0xfffe
	s_mul_i32 s14, s0, s15
	s_mov_b32 s0, exec_lo
	s_barrier_signal -1
	s_barrier_wait -1
	global_inv scope:SCOPE_SE
	v_cmpx_eq_u32_e32 0, v0
	s_cbranch_execz .LBB169_30
; %bb.29:
	s_ashr_i32 s15, s14, 31
	s_wait_alu 0xfffe
	s_mul_i32 s28, s8, ttmp9
	s_lshl_b32 s1, s24, 2
	s_lshl_b64 s[30:31], s[14:15], 2
	s_wait_alu 0xfffe
	s_ashr_i32 s29, s28, 31
	v_mov_b32_e32 v3, s1
	s_add_nc_u64 s[6:7], s[6:7], s[30:31]
	s_wait_alu 0xfffe
	s_lshl_b64 s[28:29], s[28:29], 2
	s_add_nc_u64 s[4:5], s[4:5], s[30:31]
	s_wait_alu 0xfffe
	s_add_nc_u64 s[6:7], s[6:7], s[28:29]
	s_add_nc_u64 s[4:5], s[4:5], s[28:29]
	s_clause 0x1
	global_store_b32 v3, v1, s[6:7]
	global_store_b32 v3, v2, s[4:5]
.LBB169_30:
	s_wait_alu 0xfffe
	s_or_b32 exec_lo, exec_lo, s0
	v_dual_mov_b32 v75, 0 :: v_dual_mov_b32 v76, 0
	v_dual_mov_b32 v74, 0 :: v_dual_mov_b32 v73, 0
	v_dual_mov_b32 v72, 0 :: v_dual_mov_b32 v71, 0
	v_dual_mov_b32 v70, 0 :: v_dual_mov_b32 v69, 0
	v_dual_mov_b32 v68, 0 :: v_dual_mov_b32 v67, 0
	v_dual_mov_b32 v66, 0 :: v_dual_mov_b32 v65, 0
	s_and_saveexec_b32 s1, s2
	s_cbranch_execz .LBB169_58
; %bb.31:
	v_dual_mov_b32 v65, 0 :: v_dual_lshlrev_b32 v2, 4, v0
	s_ashr_i32 s21, s20, 31
	v_dual_mov_b32 v68, 0 :: v_dual_lshlrev_b32 v3, 5, v60
	s_delay_alu instid0(VALU_DEP_2)
	v_dual_mov_b32 v67, 0 :: v_dual_and_b32 v2, 0x1f0, v2
	s_wait_alu 0xfffe
	s_lshl_b64 s[4:5], s[20:21], 1
	v_dual_mov_b32 v66, 0 :: v_dual_and_b32 v1, 8, v5
	s_wait_alu 0xfffe
	s_add_nc_u64 s[4:5], s[22:23], s[4:5]
	v_lshl_or_b32 v3, v61, 6, v3
	s_wait_alu 0xfffe
	v_add_co_u32 v77, s0, s4, v2
	s_wait_alu 0xf1ff
	v_add_co_ci_u32_e64 v78, null, s5, 0, s0
	s_lshl_b64 s[4:5], s[16:17], 2
	v_add3_u32 v79, s26, v7, v1
	s_wait_alu 0xfffe
	s_add_nc_u64 s[4:5], s[18:19], s[4:5]
	v_dual_mov_b32 v69, 0 :: v_dual_add_nc_u32 v80, 0x1a0, v3
	s_wait_alu 0xfffe
	v_add_co_u32 v57, s0, s4, v6
	s_wait_alu 0xf1ff
	v_add_co_ci_u32_e64 v58, null, s5, 0, s0
	v_dual_mov_b32 v70, 0 :: v_dual_mov_b32 v71, 0
	v_dual_mov_b32 v72, 0 :: v_dual_mov_b32 v73, 0
	;; [unrolled: 1-line block ×3, first 2 shown]
	v_mov_b32_e32 v76, 0
	s_mov_b32 s2, s9
	s_add_co_i32 s3, s27, -1
	s_mov_b32 s5, s25
	s_mov_b32 s4, 0
	s_branch .LBB169_33
.LBB169_32:                             ;   in Loop: Header=BB169_33 Depth=1
	s_wait_alu 0xfffe
	s_or_b32 exec_lo, exec_lo, s0
	s_wait_dscnt 0x1
	v_bfe_u32 v81, v41, 16, 1
	v_bfe_u32 v82, v42, 16, 1
	v_or_b32_e32 v83, 0x400000, v41
	v_cmp_u_f32_e32 vcc_lo, v41, v41
	v_or_b32_e32 v84, 0x400000, v42
	v_add3_u32 v81, v81, v41, 0x7fff
	v_bfe_u32 v85, v43, 16, 1
	v_add3_u32 v82, v82, v42, 0x7fff
	v_bfe_u32 v86, v44, 16, 1
	v_add_co_u32 v57, s0, v57, 16
	s_wait_alu 0xfffd
	v_cndmask_b32_e32 v41, v81, v83, vcc_lo
	v_cmp_u_f32_e32 vcc_lo, v42, v42
	v_add3_u32 v81, v85, v43, 0x7fff
	s_wait_dscnt 0x0
	v_bfe_u32 v83, v33, 16, 1
	v_or_b32_e32 v85, 0x400000, v44
	s_wait_alu 0xfffd
	v_dual_cndmask_b32 v42, v82, v84 :: v_dual_add_nc_u32 v79, 64, v79
	v_or_b32_e32 v82, 0x400000, v43
	v_cmp_u_f32_e32 vcc_lo, v43, v43
	v_add3_u32 v84, v86, v44, 0x7fff
	s_wait_alu 0xf1ff
	v_add_co_ci_u32_e64 v58, null, 0, v58, s0
	v_and_b32_e32 v41, 0xffff0000, v41
	s_wait_alu 0xfffd
	v_cndmask_b32_e32 v43, v81, v82, vcc_lo
	v_cmp_u_f32_e32 vcc_lo, v44, v44
	v_add3_u32 v81, v83, v33, 0x7fff
	v_or_b32_e32 v82, 0x400000, v33
	v_bfe_u32 v83, v34, 16, 1
	v_add_nc_u32_e32 v80, 0x100, v80
	s_wait_alu 0xfffd
	v_cndmask_b32_e32 v44, v84, v85, vcc_lo
	v_cmp_u_f32_e32 vcc_lo, v33, v33
	v_or_b32_e32 v84, 0x400000, v34
	v_add3_u32 v83, v83, v34, 0x7fff
	v_or_b32_e32 v85, 0x400000, v35
	v_add_nc_u32_e32 v62, 4, v62
	s_wait_alu 0xfffd
	v_cndmask_b32_e32 v81, v81, v82, vcc_lo
	v_bfe_u32 v82, v35, 16, 1
	v_cmp_u_f32_e32 vcc_lo, v34, v34
	v_and_b32_e32 v33, 0xffff0000, v42
	s_wait_loadcnt 0x1
	v_and_b32_e32 v42, 0xffff0000, v53
	v_add3_u32 v82, v82, v35, 0x7fff
	s_wait_alu 0xfffd
	v_cndmask_b32_e32 v34, v83, v84, vcc_lo
	v_bfe_u32 v83, v36, 16, 1
	v_mul_f32_e32 v42, v33, v42
	v_cmp_u_f32_e32 vcc_lo, v35, v35
	v_or_b32_e32 v84, 0x400000, v36
	v_and_b32_e32 v34, 0xffff0000, v34
	v_add3_u32 v83, v83, v36, 0x7fff
	v_bfe_u32 v35, v42, 16, 1
	s_wait_alu 0xfffd
	v_cndmask_b32_e32 v82, v82, v85, vcc_lo
	v_cmp_u_f32_e32 vcc_lo, v36, v36
	v_lshlrev_b32_e32 v53, 16, v53
	v_or_b32_e32 v86, 0x400000, v42
	v_add3_u32 v85, v35, v42, 0x7fff
	v_and_b32_e32 v35, 0xffff0000, v44
	v_and_b32_e32 v44, 0xffff0000, v54
	s_wait_alu 0xfffd
	v_dual_cndmask_b32 v36, v83, v84 :: v_dual_mul_f32 v53, v41, v53
	v_cmp_u_f32_e32 vcc_lo, v42, v42
	v_and_b32_e32 v42, 0xffff0000, v43
	v_lshlrev_b32_e32 v43, 16, v54
	s_delay_alu instid0(VALU_DEP_4)
	v_and_b32_e32 v36, 0xffff0000, v36
	v_bfe_u32 v84, v53, 16, 1
	s_wait_alu 0xfffd
	v_cndmask_b32_e32 v83, v85, v86, vcc_lo
	v_mul_f32_e32 v85, v35, v44
	v_cmp_u_f32_e32 vcc_lo, v53, v53
	v_add3_u32 v54, v84, v53, 0x7fff
	v_or_b32_e32 v84, 0x400000, v53
	s_delay_alu instid0(VALU_DEP_4)
	v_bfe_u32 v86, v85, 16, 1
	v_and_b32_e32 v44, 0xffff0000, v55
	v_and_b32_e32 v83, 0xffff0000, v83
	s_wait_alu 0xfffd
	v_cndmask_b32_e32 v53, v54, v84, vcc_lo
	v_add3_u32 v54, v86, v85, 0x7fff
	v_or_b32_e32 v84, 0x400000, v85
	v_cmp_u_f32_e32 vcc_lo, v85, v85
	v_dual_mul_f32 v87, v34, v44 :: v_dual_and_b32 v44, 0xffff0000, v81
	s_wait_alu 0xfffd
	s_delay_alu instid0(VALU_DEP_3) | instskip(SKIP_1) | instid1(VALU_DEP_2)
	v_dual_cndmask_b32 v54, v54, v84 :: v_dual_and_b32 v53, 0xffff0000, v53
	v_mul_f32_e32 v43, v42, v43
	v_dual_add_f32 v53, v53, v83 :: v_dual_and_b32 v54, 0xffff0000, v54
	s_delay_alu instid0(VALU_DEP_2) | instskip(SKIP_2) | instid1(VALU_DEP_3)
	v_bfe_u32 v86, v43, 16, 1
	v_or_b32_e32 v84, 0x400000, v43
	v_cmp_u_f32_e32 vcc_lo, v43, v43
	v_add3_u32 v81, v86, v43, 0x7fff
	v_and_b32_e32 v86, 0xffff0000, v56
	v_and_b32_e32 v43, 0xffff0000, v82
	v_lshlrev_b32_e32 v56, 16, v56
	v_lshlrev_b32_e32 v55, 16, v55
	s_wait_alu 0xfffd
	v_dual_cndmask_b32 v81, v81, v84 :: v_dual_mul_f32 v84, v36, v86
	v_bfe_u32 v88, v87, 16, 1
	s_delay_alu instid0(VALU_DEP_3) | instskip(SKIP_1) | instid1(VALU_DEP_3)
	v_dual_mul_f32 v56, v43, v56 :: v_dual_mul_f32 v55, v44, v55
	v_cmp_u_f32_e32 vcc_lo, v87, v87
	v_add3_u32 v85, v88, v87, 0x7fff
	v_or_b32_e32 v88, 0x400000, v87
	s_delay_alu instid0(VALU_DEP_4) | instskip(SKIP_2) | instid1(VALU_DEP_3)
	v_bfe_u32 v89, v55, 16, 1
	v_or_b32_e32 v87, 0x400000, v55
	s_wait_alu 0xfffd
	v_cndmask_b32_e32 v85, v85, v88, vcc_lo
	s_delay_alu instid0(VALU_DEP_3) | instskip(SKIP_2) | instid1(VALU_DEP_4)
	v_add3_u32 v86, v89, v55, 0x7fff
	v_bfe_u32 v88, v84, 16, 1
	v_cmp_u_f32_e32 vcc_lo, v55, v55
	v_and_b32_e32 v83, 0xffff0000, v85
	v_or_b32_e32 v85, 0x400000, v56
	s_delay_alu instid0(VALU_DEP_4)
	v_add3_u32 v82, v88, v84, 0x7fff
	s_wait_alu 0xfffd
	v_cndmask_b32_e32 v55, v86, v87, vcc_lo
	v_or_b32_e32 v86, 0x400000, v84
	v_cmp_u_f32_e32 vcc_lo, v84, v84
	v_bfe_u32 v84, v56, 16, 1
	s_wait_alu 0xfffd
	s_delay_alu instid0(VALU_DEP_3) | instskip(NEXT) | instid1(VALU_DEP_2)
	v_cndmask_b32_e32 v82, v82, v86, vcc_lo
	v_add3_u32 v84, v84, v56, 0x7fff
	v_cmp_u_f32_e32 vcc_lo, v56, v56
	v_and_b32_e32 v81, 0xffff0000, v81
	v_and_b32_e32 v86, 0xffff0000, v52
	;; [unrolled: 1-line block ×3, first 2 shown]
	v_lshlrev_b32_e32 v52, 16, v52
	s_wait_alu 0xfffd
	v_dual_cndmask_b32 v56, v84, v85 :: v_dual_and_b32 v85, 0xffff0000, v51
	s_delay_alu instid0(VALU_DEP_3) | instskip(SKIP_1) | instid1(VALU_DEP_3)
	v_dual_add_f32 v54, v81, v54 :: v_dual_add_f32 v55, v55, v83
	v_and_b32_e32 v81, 0xffff0000, v49
	v_dual_mul_f32 v85, v34, v85 :: v_dual_and_b32 v56, 0xffff0000, v56
	s_delay_alu instid0(VALU_DEP_3) | instskip(NEXT) | instid1(VALU_DEP_3)
	v_add_f32_e32 v53, v54, v53
	v_mul_f32_e32 v54, v33, v81
	v_mul_f32_e32 v52, v43, v52
	s_delay_alu instid0(VALU_DEP_3) | instskip(SKIP_1) | instid1(VALU_DEP_4)
	v_add_f32_e32 v53, v55, v53
	v_and_b32_e32 v55, 0xffff0000, v50
	v_bfe_u32 v81, v54, 16, 1
	v_or_b32_e32 v83, 0x400000, v54
	v_cmp_u_f32_e32 vcc_lo, v54, v54
	s_delay_alu instid0(VALU_DEP_4) | instskip(NEXT) | instid1(VALU_DEP_4)
	v_dual_mul_f32 v55, v35, v55 :: v_dual_lshlrev_b32 v50, 16, v50
	v_add3_u32 v81, v81, v54, 0x7fff
	v_lshlrev_b32_e32 v49, 16, v49
	s_delay_alu instid0(VALU_DEP_3) | instskip(SKIP_4) | instid1(VALU_DEP_2)
	v_dual_mul_f32 v50, v42, v50 :: v_dual_lshlrev_b32 v51, 16, v51
	v_bfe_u32 v89, v52, 16, 1
	s_wait_alu 0xfffd
	v_cndmask_b32_e32 v54, v81, v83, vcc_lo
	v_mul_f32_e32 v49, v41, v49
	v_dual_mul_f32 v51, v44, v51 :: v_dual_and_b32 v54, 0xffff0000, v54
	s_delay_alu instid0(VALU_DEP_2) | instskip(SKIP_2) | instid1(VALU_DEP_4)
	v_bfe_u32 v84, v49, 16, 1
	v_or_b32_e32 v83, 0x400000, v49
	v_cmp_u_f32_e32 vcc_lo, v49, v49
	v_or_b32_e32 v87, 0x400000, v51
	s_delay_alu instid0(VALU_DEP_4) | instskip(SKIP_2) | instid1(VALU_DEP_2)
	v_add3_u32 v81, v84, v49, 0x7fff
	v_bfe_u32 v84, v55, 16, 1
	s_wait_alu 0xfffd
	v_cndmask_b32_e32 v49, v81, v83, vcc_lo
	s_delay_alu instid0(VALU_DEP_2)
	v_add3_u32 v81, v84, v55, 0x7fff
	v_or_b32_e32 v83, 0x400000, v55
	v_bfe_u32 v84, v50, 16, 1
	v_cmp_u_f32_e32 vcc_lo, v55, v55
	v_and_b32_e32 v49, 0xffff0000, v49
	s_wait_alu 0xfffd
	v_cndmask_b32_e32 v55, v81, v83, vcc_lo
	v_add3_u32 v81, v84, v50, 0x7fff
	v_or_b32_e32 v83, 0x400000, v50
	v_bfe_u32 v84, v85, 16, 1
	v_cmp_u_f32_e32 vcc_lo, v50, v50
	v_and_b32_e32 v55, 0xffff0000, v55
	s_wait_alu 0xfffd
	v_cndmask_b32_e32 v50, v81, v83, vcc_lo
	v_bfe_u32 v81, v51, 16, 1
	v_add3_u32 v83, v84, v85, 0x7fff
	v_mul_f32_e32 v84, v36, v86
	v_or_b32_e32 v86, 0x400000, v85
	v_cmp_u_f32_e32 vcc_lo, v85, v85
	v_add3_u32 v81, v81, v51, 0x7fff
	v_and_b32_e32 v50, 0xffff0000, v50
	v_bfe_u32 v88, v84, 16, 1
	v_add3_u32 v85, v89, v52, 0x7fff
	s_wait_alu 0xfffd
	v_cndmask_b32_e32 v83, v83, v86, vcc_lo
	v_cmp_u_f32_e32 vcc_lo, v51, v51
	v_or_b32_e32 v86, 0x400000, v52
	v_dual_add_f32 v50, v50, v55 :: v_dual_add_f32 v49, v49, v54
	s_delay_alu instid0(VALU_DEP_4)
	v_and_b32_e32 v54, 0xffff0000, v83
	s_wait_alu 0xfffd
	v_cndmask_b32_e32 v51, v81, v87, vcc_lo
	v_cmp_u_f32_e32 vcc_lo, v52, v52
	v_add3_u32 v81, v88, v84, 0x7fff
	v_or_b32_e32 v87, 0x400000, v84
	s_wait_alu 0xfffd
	v_dual_cndmask_b32 v52, v85, v86 :: v_dual_and_b32 v51, 0xffff0000, v51
	v_cmp_u_f32_e32 vcc_lo, v84, v84
	s_wait_alu 0xfffd
	v_cndmask_b32_e32 v55, v81, v87, vcc_lo
	v_and_b32_e32 v81, 0xffff0000, v82
	v_dual_add_f32 v49, v50, v49 :: v_dual_add_f32 v50, v51, v54
	v_and_b32_e32 v51, 0xffff0000, v52
	s_delay_alu instid0(VALU_DEP_4) | instskip(SKIP_3) | instid1(VALU_DEP_4)
	v_and_b32_e32 v52, 0xffff0000, v55
	v_and_b32_e32 v54, 0xffff0000, v45
	v_add_f32_e32 v55, v56, v81
	v_lshlrev_b32_e32 v45, 16, v45
	v_dual_add_f32 v49, v50, v49 :: v_dual_add_f32 v50, v51, v52
	s_delay_alu instid0(VALU_DEP_3) | instskip(NEXT) | instid1(VALU_DEP_3)
	v_dual_mul_f32 v51, v33, v54 :: v_dual_add_f32 v52, v55, v53
	v_mul_f32_e32 v45, v41, v45
	v_and_b32_e32 v55, 0xffff0000, v48
	s_delay_alu instid0(VALU_DEP_4) | instskip(NEXT) | instid1(VALU_DEP_4)
	v_add_f32_e32 v49, v50, v49
	v_bfe_u32 v50, v51, 16, 1
	v_add_f32_e32 v66, v66, v52
	v_bfe_u32 v52, v45, 16, 1
	v_cmp_u_f32_e32 vcc_lo, v51, v51
	v_add_f32_e32 v67, v67, v49
	v_add3_u32 v49, v50, v51, 0x7fff
	v_or_b32_e32 v50, 0x400000, v51
	v_add3_u32 v52, v52, v45, 0x7fff
	v_or_b32_e32 v54, 0x400000, v45
	v_and_b32_e32 v51, 0xffff0000, v47
	v_lshlrev_b32_e32 v47, 16, v47
	s_wait_alu 0xfffd
	v_cndmask_b32_e32 v49, v49, v50, vcc_lo
	v_cmp_u_f32_e32 vcc_lo, v45, v45
	v_dual_mul_f32 v51, v34, v51 :: v_dual_lshlrev_b32 v48, 16, v48
	v_mul_f32_e32 v47, v44, v47
	s_delay_alu instid0(VALU_DEP_4) | instskip(SKIP_1) | instid1(VALU_DEP_3)
	v_and_b32_e32 v49, 0xffff0000, v49
	s_wait_alu 0xfffd
	v_dual_cndmask_b32 v45, v52, v54 :: v_dual_mul_f32 v48, v43, v48
	s_delay_alu instid0(VALU_DEP_3) | instskip(NEXT) | instid1(VALU_DEP_2)
	v_bfe_u32 v56, v47, 16, 1
	v_and_b32_e32 v45, 0xffff0000, v45
	s_delay_alu instid0(VALU_DEP_1) | instskip(SKIP_4) | instid1(VALU_DEP_2)
	v_add_f32_e32 v45, v45, v49
	v_and_b32_e32 v49, 0xffff0000, v37
	v_and_b32_e32 v53, 0xffff0000, v46
	v_lshlrev_b32_e32 v46, 16, v46
	v_lshlrev_b32_e32 v37, 16, v37
	v_dual_mul_f32 v53, v35, v53 :: v_dual_mul_f32 v46, v42, v46
	s_delay_alu instid0(VALU_DEP_2) | instskip(NEXT) | instid1(VALU_DEP_2)
	v_mul_f32_e32 v37, v41, v37
	v_bfe_u32 v50, v53, 16, 1
	v_or_b32_e32 v52, 0x400000, v53
	s_delay_alu instid0(VALU_DEP_4) | instskip(SKIP_1) | instid1(VALU_DEP_4)
	v_bfe_u32 v54, v46, 16, 1
	v_cmp_u_f32_e32 vcc_lo, v53, v53
	v_add3_u32 v50, v50, v53, 0x7fff
	v_or_b32_e32 v53, 0x400000, v46
	s_wait_alu 0xfffd
	s_delay_alu instid0(VALU_DEP_2) | instskip(SKIP_3) | instid1(VALU_DEP_4)
	v_cndmask_b32_e32 v50, v50, v52, vcc_lo
	v_add3_u32 v52, v54, v46, 0x7fff
	v_bfe_u32 v54, v51, 16, 1
	v_cmp_u_f32_e32 vcc_lo, v46, v46
	v_and_b32_e32 v50, 0xffff0000, v50
	s_wait_alu 0xfffd
	v_cndmask_b32_e32 v46, v52, v53, vcc_lo
	v_add3_u32 v52, v54, v51, 0x7fff
	v_mul_f32_e32 v53, v36, v55
	v_or_b32_e32 v54, 0x400000, v51
	v_cmp_u_f32_e32 vcc_lo, v51, v51
	v_add3_u32 v55, v56, v47, 0x7fff
	v_or_b32_e32 v56, 0x400000, v47
	v_bfe_u32 v81, v53, 16, 1
	v_and_b32_e32 v46, 0xffff0000, v46
	s_wait_alu 0xfffd
	v_cndmask_b32_e32 v51, v52, v54, vcc_lo
	v_cmp_u_f32_e32 vcc_lo, v47, v47
	v_or_b32_e32 v54, 0x400000, v53
	v_add3_u32 v52, v81, v53, 0x7fff
	v_add_f32_e32 v46, v46, v50
	s_wait_alu 0xfffd
	v_dual_cndmask_b32 v47, v55, v56 :: v_dual_and_b32 v50, 0xffff0000, v51
	v_bfe_u32 v55, v48, 16, 1
	v_cmp_u_f32_e32 vcc_lo, v53, v53
	v_add_f32_e32 v45, v46, v45
	s_delay_alu instid0(VALU_DEP_4) | instskip(NEXT) | instid1(VALU_DEP_4)
	v_dual_mul_f32 v46, v33, v49 :: v_dual_and_b32 v47, 0xffff0000, v47
	v_add3_u32 v53, v55, v48, 0x7fff
	s_wait_alu 0xfffd
	v_cndmask_b32_e32 v52, v52, v54, vcc_lo
	v_or_b32_e32 v54, 0x400000, v48
	v_cmp_u_f32_e32 vcc_lo, v48, v48
	v_add_f32_e32 v47, v47, v50
	v_bfe_u32 v50, v46, 16, 1
	v_and_b32_e32 v49, 0xffff0000, v52
	v_bfe_u32 v51, v37, 16, 1
	s_wait_alu 0xfffd
	v_dual_cndmask_b32 v48, v53, v54 :: v_dual_add_f32 v45, v47, v45
	v_and_b32_e32 v47, 0xffff0000, v38
	v_lshlrev_b32_e32 v38, 16, v38
	v_cmp_u_f32_e32 vcc_lo, v46, v46
	s_delay_alu instid0(VALU_DEP_4) | instskip(SKIP_1) | instid1(VALU_DEP_4)
	v_and_b32_e32 v48, 0xffff0000, v48
	v_and_b32_e32 v52, 0xffff0000, v39
	v_dual_mul_f32 v47, v35, v47 :: v_dual_mul_f32 v38, v42, v38
	s_delay_alu instid0(VALU_DEP_3) | instskip(SKIP_2) | instid1(VALU_DEP_3)
	v_dual_add_f32 v48, v48, v49 :: v_dual_lshlrev_b32 v39, 16, v39
	v_add3_u32 v49, v50, v46, 0x7fff
	v_or_b32_e32 v50, 0x400000, v46
	v_dual_mul_f32 v52, v34, v52 :: v_dual_mul_f32 v39, v44, v39
	v_and_b32_e32 v53, 0xffff0000, v40
	v_lshlrev_b32_e32 v40, 16, v40
	s_wait_alu 0xfffd
	v_cndmask_b32_e32 v46, v49, v50, vcc_lo
	v_add3_u32 v49, v51, v37, 0x7fff
	v_or_b32_e32 v50, 0x400000, v37
	v_bfe_u32 v51, v47, 16, 1
	v_cmp_u_f32_e32 vcc_lo, v37, v37
	v_mul_f32_e32 v40, v43, v40
	v_or_b32_e32 v54, 0x400000, v39
	v_and_b32_e32 v46, 0xffff0000, v46
	s_wait_alu 0xfffd
	v_cndmask_b32_e32 v37, v49, v50, vcc_lo
	v_add3_u32 v49, v51, v47, 0x7fff
	v_or_b32_e32 v50, 0x400000, v47
	v_bfe_u32 v51, v38, 16, 1
	v_cmp_u_f32_e32 vcc_lo, v47, v47
	v_and_b32_e32 v37, 0xffff0000, v37
	s_wait_alu 0xfffd
	v_cndmask_b32_e32 v47, v49, v50, vcc_lo
	v_add3_u32 v49, v51, v38, 0x7fff
	v_or_b32_e32 v50, 0x400000, v38
	v_bfe_u32 v51, v52, 16, 1
	v_cmp_u_f32_e32 vcc_lo, v38, v38
	v_and_b32_e32 v47, 0xffff0000, v47
	v_add_f32_e32 v37, v37, v46
	s_wait_alu 0xfffd
	v_cndmask_b32_e32 v38, v49, v50, vcc_lo
	v_bfe_u32 v49, v39, 16, 1
	v_add3_u32 v50, v51, v52, 0x7fff
	v_mul_f32_e32 v51, v36, v53
	v_or_b32_e32 v53, 0x400000, v52
	v_cmp_u_f32_e32 vcc_lo, v52, v52
	v_add3_u32 v49, v49, v39, 0x7fff
	v_bfe_u32 v52, v40, 16, 1
	v_bfe_u32 v55, v51, 16, 1
	v_and_b32_e32 v38, 0xffff0000, v38
	s_wait_alu 0xfffd
	v_cndmask_b32_e32 v50, v50, v53, vcc_lo
	v_cmp_u_f32_e32 vcc_lo, v39, v39
	v_add3_u32 v52, v52, v40, 0x7fff
	v_or_b32_e32 v53, 0x400000, v51
	v_add_f32_e32 v38, v38, v47
	v_and_b32_e32 v46, 0xffff0000, v50
	s_wait_alu 0xfffd
	v_cndmask_b32_e32 v39, v49, v54, vcc_lo
	v_or_b32_e32 v54, 0x400000, v40
	v_cmp_u_f32_e32 vcc_lo, v40, v40
	v_add3_u32 v49, v55, v51, 0x7fff
	v_add_f32_e32 v37, v38, v37
	s_wait_alu 0xfffd
	v_dual_cndmask_b32 v40, v52, v54 :: v_dual_and_b32 v39, 0xffff0000, v39
	v_cmp_u_f32_e32 vcc_lo, v51, v51
	s_delay_alu instid0(VALU_DEP_2) | instskip(SKIP_1) | instid1(VALU_DEP_3)
	v_dual_add_f32 v38, v39, v46 :: v_dual_and_b32 v39, 0xffff0000, v29
	s_wait_alu 0xfffd
	v_dual_cndmask_b32 v47, v49, v53 :: v_dual_and_b32 v40, 0xffff0000, v40
	v_lshlrev_b32_e32 v29, 16, v29
	s_delay_alu instid0(VALU_DEP_3) | instskip(SKIP_1) | instid1(VALU_DEP_4)
	v_add_f32_e32 v37, v38, v37
	v_mul_f32_e32 v39, v33, v39
	v_dual_add_f32 v45, v48, v45 :: v_dual_and_b32 v46, 0xffff0000, v47
	s_delay_alu instid0(VALU_DEP_4) | instskip(NEXT) | instid1(VALU_DEP_3)
	v_mul_f32_e32 v29, v41, v29
	v_cmp_u_f32_e32 vcc_lo, v39, v39
	s_delay_alu instid0(VALU_DEP_3) | instskip(SKIP_4) | instid1(VALU_DEP_4)
	v_add_f32_e32 v38, v40, v46
	v_and_b32_e32 v40, 0xffff0000, v30
	v_bfe_u32 v46, v39, 16, 1
	v_add_f32_e32 v68, v68, v45
	v_bfe_u32 v45, v29, 16, 1
	v_dual_add_f32 v37, v38, v37 :: v_dual_mul_f32 v38, v35, v40
	s_delay_alu instid0(VALU_DEP_4) | instskip(SKIP_1) | instid1(VALU_DEP_4)
	v_add3_u32 v40, v46, v39, 0x7fff
	v_or_b32_e32 v46, 0x400000, v39
	v_add3_u32 v45, v45, v29, 0x7fff
	v_or_b32_e32 v47, 0x400000, v29
	v_bfe_u32 v48, v38, 16, 1
	v_lshlrev_b32_e32 v30, 16, v30
	s_wait_alu 0xfffd
	v_cndmask_b32_e32 v39, v40, v46, vcc_lo
	v_cmp_u_f32_e32 vcc_lo, v29, v29
	v_and_b32_e32 v46, 0xffff0000, v31
	v_add3_u32 v40, v48, v38, 0x7fff
	v_dual_mul_f32 v30, v42, v30 :: v_dual_lshlrev_b32 v31, 16, v31
	s_wait_alu 0xfffd
	v_cndmask_b32_e32 v29, v45, v47, vcc_lo
	v_or_b32_e32 v45, 0x400000, v38
	v_cmp_u_f32_e32 vcc_lo, v38, v38
	v_bfe_u32 v47, v30, 16, 1
	v_mul_f32_e32 v31, v44, v31
	v_and_b32_e32 v29, 0xffff0000, v29
	s_wait_alu 0xfffd
	v_cndmask_b32_e32 v38, v40, v45, vcc_lo
	v_mul_f32_e32 v40, v34, v46
	v_add3_u32 v45, v47, v30, 0x7fff
	v_or_b32_e32 v46, 0x400000, v30
	v_and_b32_e32 v47, 0xffff0000, v32
	v_cmp_u_f32_e32 vcc_lo, v30, v30
	v_bfe_u32 v48, v40, 16, 1
	v_bfe_u32 v49, v31, 16, 1
	v_lshlrev_b32_e32 v32, 16, v32
	v_and_b32_e32 v38, 0xffff0000, v38
	s_wait_alu 0xfffd
	v_dual_cndmask_b32 v30, v45, v46 :: v_dual_mul_f32 v45, v36, v47
	v_add3_u32 v46, v48, v40, 0x7fff
	v_or_b32_e32 v47, 0x400000, v40
	v_cmp_u_f32_e32 vcc_lo, v40, v40
	v_add3_u32 v48, v49, v31, 0x7fff
	v_or_b32_e32 v49, 0x400000, v31
	v_bfe_u32 v50, v45, 16, 1
	v_and_b32_e32 v30, 0xffff0000, v30
	s_wait_alu 0xfffd
	v_cndmask_b32_e32 v40, v46, v47, vcc_lo
	v_cmp_u_f32_e32 vcc_lo, v31, v31
	v_or_b32_e32 v47, 0x400000, v45
	v_add3_u32 v46, v50, v45, 0x7fff
	v_mul_f32_e32 v32, v43, v32
	s_wait_alu 0xfffd
	v_dual_add_f32 v30, v30, v38 :: v_dual_cndmask_b32 v31, v48, v49
	v_cmp_u_f32_e32 vcc_lo, v45, v45
	v_and_b32_e32 v38, 0xffff0000, v25
	v_lshlrev_b32_e32 v25, 16, v25
	s_delay_alu instid0(VALU_DEP_4)
	v_and_b32_e32 v31, 0xffff0000, v31
	s_wait_alu 0xfffd
	v_cndmask_b32_e32 v45, v46, v47, vcc_lo
	v_and_b32_e32 v47, 0xffff0000, v28
	v_lshlrev_b32_e32 v28, 16, v28
	v_bfe_u32 v46, v32, 16, 1
	v_cmp_u_f32_e32 vcc_lo, v32, v32
	s_delay_alu instid0(VALU_DEP_3) | instskip(SKIP_1) | instid1(VALU_DEP_2)
	v_dual_mul_f32 v25, v41, v25 :: v_dual_mul_f32 v28, v43, v28
	v_and_b32_e32 v39, 0xffff0000, v39
	v_bfe_u32 v50, v28, 16, 1
	s_delay_alu instid0(VALU_DEP_2) | instskip(SKIP_3) | instid1(VALU_DEP_4)
	v_add_f32_e32 v29, v29, v39
	v_and_b32_e32 v39, 0xffff0000, v40
	v_add3_u32 v40, v46, v32, 0x7fff
	v_or_b32_e32 v46, 0x400000, v32
	v_dual_add_f32 v29, v30, v29 :: v_dual_mul_f32 v30, v33, v38
	s_wait_alu 0xfffd
	s_delay_alu instid0(VALU_DEP_2) | instskip(SKIP_3) | instid1(VALU_DEP_4)
	v_dual_add_f32 v31, v31, v39 :: v_dual_cndmask_b32 v32, v40, v46
	v_bfe_u32 v40, v25, 16, 1
	v_and_b32_e32 v46, 0xffff0000, v27
	v_bfe_u32 v38, v30, 16, 1
	v_add_f32_e32 v29, v31, v29
	v_and_b32_e32 v31, 0xffff0000, v26
	v_or_b32_e32 v39, 0x400000, v30
	v_lshlrev_b32_e32 v26, 16, v26
	v_add3_u32 v38, v38, v30, 0x7fff
	v_cmp_u_f32_e32 vcc_lo, v30, v30
	v_dual_mul_f32 v31, v35, v31 :: v_dual_mul_f32 v46, v34, v46
	s_delay_alu instid0(VALU_DEP_4)
	v_dual_mul_f32 v26, v42, v26 :: v_dual_lshlrev_b32 v27, 16, v27
	s_wait_alu 0xfffd
	v_cndmask_b32_e32 v30, v38, v39, vcc_lo
	v_add3_u32 v38, v40, v25, 0x7fff
	v_or_b32_e32 v39, 0x400000, v25
	v_bfe_u32 v40, v31, 16, 1
	v_cmp_u_f32_e32 vcc_lo, v25, v25
	v_dual_mul_f32 v27, v44, v27 :: v_dual_and_b32 v30, 0xffff0000, v30
	s_wait_alu 0xfffd
	v_dual_cndmask_b32 v25, v38, v39 :: v_dual_and_b32 v32, 0xffff0000, v32
	v_add3_u32 v38, v40, v31, 0x7fff
	v_or_b32_e32 v39, 0x400000, v31
	v_bfe_u32 v40, v26, 16, 1
	v_cmp_u_f32_e32 vcc_lo, v31, v31
	v_or_b32_e32 v48, 0x400000, v27
	v_and_b32_e32 v25, 0xffff0000, v25
	s_wait_alu 0xfffd
	v_cndmask_b32_e32 v31, v38, v39, vcc_lo
	v_add3_u32 v38, v40, v26, 0x7fff
	v_or_b32_e32 v39, 0x400000, v26
	v_bfe_u32 v40, v46, 16, 1
	v_cmp_u_f32_e32 vcc_lo, v26, v26
	v_and_b32_e32 v31, 0xffff0000, v31
	s_wait_alu 0xfffd
	v_dual_add_f32 v25, v25, v30 :: v_dual_cndmask_b32 v26, v38, v39
	v_bfe_u32 v38, v27, 16, 1
	v_add3_u32 v39, v40, v46, 0x7fff
	v_mul_f32_e32 v40, v36, v47
	v_or_b32_e32 v47, 0x400000, v46
	v_cmp_u_f32_e32 vcc_lo, v46, v46
	v_add3_u32 v38, v38, v27, 0x7fff
	v_add3_u32 v46, v50, v28, 0x7fff
	v_bfe_u32 v49, v40, 16, 1
	s_wait_alu 0xfffd
	v_dual_cndmask_b32 v39, v39, v47 :: v_dual_and_b32 v26, 0xffff0000, v26
	v_cmp_u_f32_e32 vcc_lo, v27, v27
	v_or_b32_e32 v47, 0x400000, v28
	s_delay_alu instid0(VALU_DEP_3)
	v_dual_add_f32 v69, v69, v37 :: v_dual_add_f32 v26, v26, v31
	s_wait_alu 0xfffd
	v_dual_cndmask_b32 v27, v38, v48 :: v_dual_and_b32 v30, 0xffff0000, v39
	v_cmp_u_f32_e32 vcc_lo, v28, v28
	v_add3_u32 v38, v49, v40, 0x7fff
	v_or_b32_e32 v48, 0x400000, v40
	v_add_f32_e32 v25, v26, v25
	v_and_b32_e32 v27, 0xffff0000, v27
	s_wait_alu 0xfffd
	v_cndmask_b32_e32 v28, v46, v47, vcc_lo
	v_cmp_u_f32_e32 vcc_lo, v40, v40
	s_delay_alu instid0(VALU_DEP_2) | instskip(SKIP_4) | instid1(VALU_DEP_3)
	v_dual_add_f32 v26, v27, v30 :: v_dual_and_b32 v27, 0xffff0000, v28
	s_wait_alu 0xfffd
	v_dual_cndmask_b32 v31, v38, v48 :: v_dual_and_b32 v38, 0xffff0000, v45
	v_and_b32_e32 v30, 0xffff0000, v21
	v_lshlrev_b32_e32 v21, 16, v21
	v_dual_add_f32 v25, v26, v25 :: v_dual_and_b32 v28, 0xffff0000, v31
	s_delay_alu instid0(VALU_DEP_4) | instskip(NEXT) | instid1(VALU_DEP_2)
	v_add_f32_e32 v31, v32, v38
	v_dual_mul_f32 v21, v41, v21 :: v_dual_add_f32 v26, v27, v28
	s_delay_alu instid0(VALU_DEP_2) | instskip(SKIP_1) | instid1(VALU_DEP_3)
	v_dual_mul_f32 v27, v33, v30 :: v_dual_add_f32 v28, v31, v29
	v_and_b32_e32 v29, 0xffff0000, v22
	v_dual_add_f32 v25, v26, v25 :: v_dual_lshlrev_b32 v22, 16, v22
	s_delay_alu instid0(VALU_DEP_3) | instskip(NEXT) | instid1(VALU_DEP_4)
	v_bfe_u32 v26, v27, 16, 1
	v_add_f32_e32 v70, v70, v28
	v_bfe_u32 v28, v21, 16, 1
	v_mul_f32_e32 v29, v35, v29
	v_add_f32_e32 v71, v71, v25
	v_add3_u32 v25, v26, v27, 0x7fff
	v_or_b32_e32 v26, 0x400000, v27
	v_cmp_u_f32_e32 vcc_lo, v27, v27
	v_add3_u32 v28, v28, v21, 0x7fff
	v_or_b32_e32 v30, 0x400000, v21
	v_dual_mul_f32 v22, v42, v22 :: v_dual_and_b32 v27, 0xffff0000, v23
	s_wait_alu 0xfffd
	v_cndmask_b32_e32 v25, v25, v26, vcc_lo
	v_bfe_u32 v26, v29, 16, 1
	v_cmp_u_f32_e32 vcc_lo, v21, v21
	v_lshlrev_b32_e32 v23, 16, v23
	v_mul_f32_e32 v27, v34, v27
	v_and_b32_e32 v31, 0xffff0000, v24
	v_add3_u32 v26, v26, v29, 0x7fff
	s_wait_alu 0xfffd
	v_cndmask_b32_e32 v21, v28, v30, vcc_lo
	v_or_b32_e32 v28, 0x400000, v29
	v_bfe_u32 v30, v22, 16, 1
	v_cmp_u_f32_e32 vcc_lo, v29, v29
	v_mul_f32_e32 v23, v44, v23
	v_or_b32_e32 v29, 0x400000, v22
	v_lshlrev_b32_e32 v24, 16, v24
	s_wait_alu 0xfffd
	v_dual_cndmask_b32 v26, v26, v28 :: v_dual_and_b32 v21, 0xffff0000, v21
	v_add3_u32 v28, v30, v22, 0x7fff
	v_bfe_u32 v30, v27, 16, 1
	v_cmp_u_f32_e32 vcc_lo, v22, v22
	v_bfe_u32 v32, v23, 16, 1
	v_dual_mul_f32 v24, v43, v24 :: v_dual_and_b32 v25, 0xffff0000, v25
	v_and_b32_e32 v26, 0xffff0000, v26
	s_wait_alu 0xfffd
	v_cndmask_b32_e32 v22, v28, v29, vcc_lo
	v_add3_u32 v28, v30, v27, 0x7fff
	v_mul_f32_e32 v29, v36, v31
	v_or_b32_e32 v30, 0x400000, v27
	v_cmp_u_f32_e32 vcc_lo, v27, v27
	v_add3_u32 v31, v32, v23, 0x7fff
	v_or_b32_e32 v32, 0x400000, v23
	v_bfe_u32 v37, v29, 16, 1
	v_and_b32_e32 v22, 0xffff0000, v22
	s_wait_alu 0xfffd
	v_cndmask_b32_e32 v27, v28, v30, vcc_lo
	v_cmp_u_f32_e32 vcc_lo, v23, v23
	v_or_b32_e32 v30, 0x400000, v29
	v_add3_u32 v28, v37, v29, 0x7fff
	v_dual_add_f32 v21, v21, v25 :: v_dual_add_f32 v22, v22, v26
	s_wait_alu 0xfffd
	v_cndmask_b32_e32 v23, v31, v32, vcc_lo
	v_bfe_u32 v31, v24, 16, 1
	v_cmp_u_f32_e32 vcc_lo, v29, v29
	v_and_b32_e32 v26, 0xffff0000, v13
	v_and_b32_e32 v25, 0xffff0000, v27
	;; [unrolled: 1-line block ×3, first 2 shown]
	v_add3_u32 v29, v31, v24, 0x7fff
	s_wait_alu 0xfffd
	v_cndmask_b32_e32 v28, v28, v30, vcc_lo
	v_or_b32_e32 v30, 0x400000, v24
	v_cmp_u_f32_e32 vcc_lo, v24, v24
	v_lshlrev_b32_e32 v13, 16, v13
	v_dual_add_f32 v21, v22, v21 :: v_dual_mul_f32 v22, v33, v26
	s_wait_alu 0xfffd
	v_dual_add_f32 v23, v23, v25 :: v_dual_cndmask_b32 v24, v29, v30
	s_delay_alu instid0(VALU_DEP_3) | instskip(SKIP_2) | instid1(VALU_DEP_4)
	v_mul_f32_e32 v13, v41, v13
	v_and_b32_e32 v25, 0xffff0000, v28
	v_bfe_u32 v26, v22, 16, 1
	v_dual_add_f32 v21, v23, v21 :: v_dual_and_b32 v24, 0xffff0000, v24
	s_delay_alu instid0(VALU_DEP_4)
	v_bfe_u32 v23, v13, 16, 1
	v_and_b32_e32 v27, 0xffff0000, v14
	v_cmp_u_f32_e32 vcc_lo, v22, v22
	v_or_b32_e32 v28, 0x400000, v13
	v_add_f32_e32 v24, v24, v25
	v_add3_u32 v25, v26, v22, 0x7fff
	v_or_b32_e32 v26, 0x400000, v22
	v_add3_u32 v23, v23, v13, 0x7fff
	v_dual_mul_f32 v27, v35, v27 :: v_dual_lshlrev_b32 v14, 16, v14
	s_wait_alu 0xfffd
	s_delay_alu instid0(VALU_DEP_3) | instskip(SKIP_1) | instid1(VALU_DEP_3)
	v_dual_cndmask_b32 v22, v25, v26 :: v_dual_and_b32 v29, 0xffff0000, v16
	v_cmp_u_f32_e32 vcc_lo, v13, v13
	v_bfe_u32 v25, v27, 16, 1
	v_mul_f32_e32 v14, v42, v14
	v_or_b32_e32 v26, 0x400000, v27
	v_lshlrev_b32_e32 v16, 16, v16
	s_wait_alu 0xfffd
	v_cndmask_b32_e32 v13, v23, v28, vcc_lo
	v_and_b32_e32 v23, 0xffff0000, v15
	v_add3_u32 v25, v25, v27, 0x7fff
	v_lshlrev_b32_e32 v15, 16, v15
	v_bfe_u32 v28, v14, 16, 1
	v_cmp_u_f32_e32 vcc_lo, v27, v27
	v_mul_f32_e32 v23, v34, v23
	v_or_b32_e32 v27, 0x400000, v14
	v_dual_mul_f32 v15, v44, v15 :: v_dual_mul_f32 v16, v43, v16
	s_wait_alu 0xfffd
	v_cndmask_b32_e32 v25, v25, v26, vcc_lo
	v_add3_u32 v26, v28, v14, 0x7fff
	v_bfe_u32 v28, v23, 16, 1
	v_cmp_u_f32_e32 vcc_lo, v14, v14
	v_bfe_u32 v30, v15, 16, 1
	v_and_b32_e32 v13, 0xffff0000, v13
	v_and_b32_e32 v22, 0xffff0000, v22
	s_wait_alu 0xfffd
	v_dual_cndmask_b32 v14, v26, v27 :: v_dual_and_b32 v25, 0xffff0000, v25
	v_add3_u32 v26, v28, v23, 0x7fff
	v_mul_f32_e32 v27, v36, v29
	v_or_b32_e32 v28, 0x400000, v23
	v_cmp_u_f32_e32 vcc_lo, v23, v23
	v_add3_u32 v29, v30, v15, 0x7fff
	v_or_b32_e32 v30, 0x400000, v15
	v_bfe_u32 v31, v27, 16, 1
	s_wait_alu 0xfffd
	v_dual_cndmask_b32 v23, v26, v28 :: v_dual_and_b32 v14, 0xffff0000, v14
	v_cmp_u_f32_e32 vcc_lo, v15, v15
	v_or_b32_e32 v28, 0x400000, v27
	v_add3_u32 v26, v31, v27, 0x7fff
	s_delay_alu instid0(VALU_DEP_4)
	v_dual_add_f32 v13, v13, v22 :: v_dual_add_f32 v14, v14, v25
	s_wait_alu 0xfffd
	v_cndmask_b32_e32 v15, v29, v30, vcc_lo
	v_bfe_u32 v29, v16, 16, 1
	v_cmp_u_f32_e32 vcc_lo, v27, v27
	v_dual_add_f32 v13, v14, v13 :: v_dual_and_b32 v22, 0xffff0000, v23
	s_delay_alu instid0(VALU_DEP_4) | instskip(NEXT) | instid1(VALU_DEP_4)
	v_and_b32_e32 v15, 0xffff0000, v15
	v_add3_u32 v27, v29, v16, 0x7fff
	s_wait_alu 0xfffd
	v_cndmask_b32_e32 v26, v26, v28, vcc_lo
	v_or_b32_e32 v28, 0x400000, v16
	v_cmp_u_f32_e32 vcc_lo, v16, v16
	v_dual_add_f32 v15, v15, v22 :: v_dual_and_b32 v14, 0xffff0000, v9
	v_lshlrev_b32_e32 v9, 16, v9
	v_and_b32_e32 v22, 0xffff0000, v26
	s_wait_alu 0xfffd
	v_cndmask_b32_e32 v16, v27, v28, vcc_lo
	v_dual_mul_f32 v14, v33, v14 :: v_dual_add_f32 v21, v24, v21
	v_mul_f32_e32 v23, v41, v9
	s_delay_alu instid0(VALU_DEP_3) | instskip(NEXT) | instid1(VALU_DEP_3)
	v_dual_add_f32 v9, v15, v13 :: v_dual_and_b32 v16, 0xffff0000, v16
	v_bfe_u32 v15, v14, 16, 1
	s_delay_alu instid0(VALU_DEP_4) | instskip(SKIP_1) | instid1(VALU_DEP_4)
	v_dual_add_f32 v72, v72, v21 :: v_dual_and_b32 v21, 0xffff0000, v10
	v_cmp_u_f32_e32 vcc_lo, v14, v14
	v_add_f32_e32 v13, v16, v22
	v_bfe_u32 v16, v23, 16, 1
	v_or_b32_e32 v22, 0x400000, v23
	v_dual_mul_f32 v21, v35, v21 :: v_dual_lshlrev_b32 v10, 16, v10
	s_delay_alu instid0(VALU_DEP_4)
	v_add_f32_e32 v9, v13, v9
	v_add3_u32 v13, v15, v14, 0x7fff
	v_or_b32_e32 v15, 0x400000, v14
	v_add3_u32 v16, v16, v23, 0x7fff
	v_bfe_u32 v14, v21, 16, 1
	v_mul_f32_e32 v10, v42, v10
	s_wait_alu 0xfffd
	v_dual_cndmask_b32 v13, v13, v15 :: v_dual_and_b32 v24, 0xffff0000, v12
	v_cmp_u_f32_e32 vcc_lo, v23, v23
	v_add3_u32 v14, v14, v21, 0x7fff
	v_bfe_u32 v23, v10, 16, 1
	v_lshlrev_b32_e32 v12, 16, v12
	v_and_b32_e32 v13, 0xffff0000, v13
	s_wait_alu 0xfffd
	v_dual_cndmask_b32 v15, v16, v22 :: v_dual_and_b32 v16, 0xffff0000, v11
	v_or_b32_e32 v22, 0x400000, v21
	v_lshlrev_b32_e32 v11, 16, v11
	v_cmp_u_f32_e32 vcc_lo, v21, v21
	v_add3_u32 v21, v23, v10, 0x7fff
	v_mul_f32_e32 v16, v34, v16
	s_delay_alu instid0(VALU_DEP_4)
	v_dual_mul_f32 v12, v43, v12 :: v_dual_mul_f32 v11, v44, v11
	s_wait_alu 0xfffd
	v_cndmask_b32_e32 v14, v14, v22, vcc_lo
	v_or_b32_e32 v22, 0x400000, v10
	v_bfe_u32 v23, v16, 16, 1
	v_cmp_u_f32_e32 vcc_lo, v10, v10
	v_bfe_u32 v25, v11, 16, 1
	v_and_b32_e32 v15, 0xffff0000, v15
	v_and_b32_e32 v14, 0xffff0000, v14
	s_wait_alu 0xfffd
	v_cndmask_b32_e32 v10, v21, v22, vcc_lo
	v_add3_u32 v21, v23, v16, 0x7fff
	v_mul_f32_e32 v22, v36, v24
	v_or_b32_e32 v23, 0x400000, v16
	v_cmp_u_f32_e32 vcc_lo, v16, v16
	v_add3_u32 v24, v25, v11, 0x7fff
	v_or_b32_e32 v25, 0x400000, v11
	v_bfe_u32 v26, v22, 16, 1
	v_and_b32_e32 v10, 0xffff0000, v10
	s_wait_alu 0xfffd
	v_cndmask_b32_e32 v16, v21, v23, vcc_lo
	v_cmp_u_f32_e32 vcc_lo, v11, v11
	v_or_b32_e32 v23, 0x400000, v22
	v_add3_u32 v21, v26, v22, 0x7fff
	v_dual_add_f32 v13, v15, v13 :: v_dual_add_f32 v10, v10, v14
	s_wait_alu 0xfffd
	v_cndmask_b32_e32 v11, v24, v25, vcc_lo
	v_bfe_u32 v24, v12, 16, 1
	v_cmp_u_f32_e32 vcc_lo, v22, v22
	v_and_b32_e32 v15, 0xffff0000, v5
	v_and_b32_e32 v14, 0xffff0000, v16
	;; [unrolled: 1-line block ×3, first 2 shown]
	v_add3_u32 v22, v24, v12, 0x7fff
	s_wait_alu 0xfffd
	v_cndmask_b32_e32 v21, v21, v23, vcc_lo
	v_or_b32_e32 v23, 0x400000, v12
	v_cmp_u_f32_e32 vcc_lo, v12, v12
	v_lshlrev_b32_e32 v5, 16, v5
	v_dual_add_f32 v10, v10, v13 :: v_dual_mul_f32 v13, v33, v15
	s_wait_alu 0xfffd
	v_dual_add_f32 v11, v11, v14 :: v_dual_cndmask_b32 v12, v22, v23
	s_delay_alu instid0(VALU_DEP_3)
	v_mul_f32_e32 v5, v41, v5
	v_and_b32_e32 v14, 0xffff0000, v21
	v_and_b32_e32 v15, 0xffff0000, v6
	v_bfe_u32 v16, v13, 16, 1
	v_and_b32_e32 v12, 0xffff0000, v12
	v_add_f32_e32 v10, v11, v10
	v_bfe_u32 v11, v5, 16, 1
	v_lshlrev_b32_e32 v6, 16, v6
	v_cmp_u_f32_e32 vcc_lo, v13, v13
	v_add_f32_e32 v12, v12, v14
	v_mul_f32_e32 v14, v35, v15
	v_add3_u32 v15, v16, v13, 0x7fff
	v_or_b32_e32 v16, 0x400000, v13
	v_add3_u32 v11, v11, v5, 0x7fff
	v_or_b32_e32 v21, 0x400000, v5
	v_bfe_u32 v22, v14, 16, 1
	s_wait_alu 0xfffd
	v_dual_mul_f32 v6, v42, v6 :: v_dual_cndmask_b32 v13, v15, v16
	v_cmp_u_f32_e32 vcc_lo, v5, v5
	v_and_b32_e32 v16, 0xffff0000, v7
	v_or_b32_e32 v15, 0x400000, v14
	v_lshlrev_b32_e32 v7, 16, v7
	v_and_b32_e32 v13, 0xffff0000, v13
	s_wait_alu 0xfffd
	v_cndmask_b32_e32 v5, v11, v21, vcc_lo
	v_add3_u32 v11, v22, v14, 0x7fff
	v_bfe_u32 v21, v6, 16, 1
	v_cmp_u_f32_e32 vcc_lo, v14, v14
	v_dual_mul_f32 v14, v34, v16 :: v_dual_mul_f32 v7, v44, v7
	v_or_b32_e32 v16, 0x400000, v6
	v_and_b32_e32 v5, 0xffff0000, v5
	s_wait_alu 0xfffd
	v_cndmask_b32_e32 v11, v11, v15, vcc_lo
	v_add3_u32 v15, v21, v6, 0x7fff
	v_and_b32_e32 v21, 0xffff0000, v8
	v_bfe_u32 v22, v14, 16, 1
	v_cmp_u_f32_e32 vcc_lo, v6, v6
	v_bfe_u32 v23, v7, 16, 1
	v_lshlrev_b32_e32 v8, 16, v8
	v_and_b32_e32 v11, 0xffff0000, v11
	s_wait_alu 0xfffd
	v_dual_add_f32 v5, v5, v13 :: v_dual_cndmask_b32 v6, v15, v16
	v_mul_f32_e32 v15, v36, v21
	v_add3_u32 v16, v22, v14, 0x7fff
	v_or_b32_e32 v21, 0x400000, v14
	v_cmp_u_f32_e32 vcc_lo, v14, v14
	v_add3_u32 v22, v23, v7, 0x7fff
	v_or_b32_e32 v23, 0x400000, v7
	v_bfe_u32 v24, v15, 16, 1
	v_and_b32_e32 v6, 0xffff0000, v6
	s_wait_alu 0xfffd
	v_cndmask_b32_e32 v14, v16, v21, vcc_lo
	v_cmp_u_f32_e32 vcc_lo, v7, v7
	v_or_b32_e32 v21, 0x400000, v15
	v_add3_u32 v16, v24, v15, 0x7fff
	v_mul_f32_e32 v8, v43, v8
	v_add_f32_e32 v6, v6, v11
	s_wait_alu 0xfffd
	v_cndmask_b32_e32 v7, v22, v23, vcc_lo
	v_cmp_u_f32_e32 vcc_lo, v15, v15
	v_and_b32_e32 v11, 0xffff0000, v1
	v_and_b32_e32 v13, 0xffff0000, v14
	v_add_f32_e32 v5, v6, v5
	v_and_b32_e32 v7, 0xffff0000, v7
	s_wait_alu 0xfffd
	v_cndmask_b32_e32 v15, v16, v21, vcc_lo
	v_bfe_u32 v16, v8, 16, 1
	v_dual_mul_f32 v6, v33, v11 :: v_dual_lshlrev_b32 v1, 16, v1
	v_add_f32_e32 v7, v7, v13
	v_cmp_u_f32_e32 vcc_lo, v8, v8
	s_delay_alu instid0(VALU_DEP_4)
	v_add3_u32 v14, v16, v8, 0x7fff
	v_or_b32_e32 v16, 0x400000, v8
	v_bfe_u32 v11, v6, 16, 1
	v_add_f32_e32 v5, v7, v5
	v_and_b32_e32 v7, 0xffff0000, v2
	s_wait_alu 0xfffd
	v_dual_mul_f32 v1, v41, v1 :: v_dual_cndmask_b32 v8, v14, v16
	v_add3_u32 v11, v11, v6, 0x7fff
	v_or_b32_e32 v13, 0x400000, v6
	v_mul_f32_e32 v7, v35, v7
	v_and_b32_e32 v14, 0xffff0000, v15
	v_bfe_u32 v15, v1, 16, 1
	v_cmp_u_f32_e32 vcc_lo, v6, v6
	v_lshlrev_b32_e32 v2, 16, v2
	v_or_b32_e32 v16, 0x400000, v1
	v_or_b32_e32 v21, 0x400000, v7
	v_and_b32_e32 v8, 0xffff0000, v8
	s_wait_alu 0xfffd
	v_cndmask_b32_e32 v6, v11, v13, vcc_lo
	v_bfe_u32 v11, v7, 16, 1
	v_add3_u32 v13, v15, v1, 0x7fff
	v_dual_mul_f32 v2, v42, v2 :: v_dual_and_b32 v15, 0xffff0000, v3
	v_cmp_u_f32_e32 vcc_lo, v1, v1
	s_delay_alu instid0(VALU_DEP_4) | instskip(SKIP_1) | instid1(VALU_DEP_4)
	v_add3_u32 v11, v11, v7, 0x7fff
	v_lshlrev_b32_e32 v3, 16, v3
	v_dual_mul_f32 v15, v34, v15 :: v_dual_and_b32 v6, 0xffff0000, v6
	s_wait_alu 0xfffd
	v_cndmask_b32_e32 v1, v13, v16, vcc_lo
	v_bfe_u32 v13, v2, 16, 1
	v_cmp_u_f32_e32 vcc_lo, v7, v7
	v_dual_mul_f32 v3, v44, v3 :: v_dual_and_b32 v16, 0xffff0000, v4
	v_or_b32_e32 v22, 0x400000, v15
	s_delay_alu instid0(VALU_DEP_4)
	v_add3_u32 v13, v13, v2, 0x7fff
	s_wait_alu 0xfffd
	v_cndmask_b32_e32 v7, v11, v21, vcc_lo
	v_bfe_u32 v11, v15, 16, 1
	v_or_b32_e32 v21, 0x400000, v2
	v_cmp_u_f32_e32 vcc_lo, v2, v2
	v_mul_f32_e32 v16, v36, v16
	v_lshlrev_b32_e32 v4, 16, v4
	v_add3_u32 v11, v11, v15, 0x7fff
	v_and_b32_e32 v1, 0xffff0000, v1
	s_wait_alu 0xfffd
	v_cndmask_b32_e32 v2, v13, v21, vcc_lo
	v_bfe_u32 v13, v3, 16, 1
	v_cmp_u_f32_e32 vcc_lo, v15, v15
	v_bfe_u32 v21, v16, 16, 1
	v_or_b32_e32 v15, 0x400000, v3
	v_mul_f32_e32 v4, v43, v4
	v_add3_u32 v13, v13, v3, 0x7fff
	s_wait_alu 0xfffd
	v_cndmask_b32_e32 v11, v11, v22, vcc_lo
	v_cmp_u_f32_e32 vcc_lo, v3, v3
	v_add3_u32 v21, v21, v16, 0x7fff
	v_or_b32_e32 v22, 0x400000, v16
	v_and_b32_e32 v2, 0xffff0000, v2
	v_and_b32_e32 v7, 0xffff0000, v7
	s_wait_alu 0xfffd
	v_cndmask_b32_e32 v3, v13, v15, vcc_lo
	v_cmp_u_f32_e32 vcc_lo, v16, v16
	v_bfe_u32 v15, v4, 16, 1
	v_dual_add_f32 v1, v1, v6 :: v_dual_add_f32 v2, v2, v7
	s_delay_alu instid0(VALU_DEP_4)
	v_and_b32_e32 v3, 0xffff0000, v3
	s_wait_alu 0xfffd
	v_cndmask_b32_e32 v13, v21, v22, vcc_lo
	s_wait_loadcnt 0x0
	v_lshlrev_b32_e32 v21, 16, v17
	v_and_b32_e32 v6, 0xffff0000, v11
	v_and_b32_e32 v11, 0xffff0000, v17
	v_add3_u32 v15, v15, v4, 0x7fff
	v_or_b32_e32 v16, 0x400000, v4
	v_mul_f32_e32 v7, v41, v21
	v_cmp_u_f32_e32 vcc_lo, v4, v4
	v_add_f32_e32 v1, v2, v1
	v_dual_add_f32 v3, v3, v6 :: v_dual_mul_f32 v6, v33, v11
	s_delay_alu instid0(VALU_DEP_4)
	v_bfe_u32 v2, v7, 16, 1
	s_wait_alu 0xfffd
	v_dual_cndmask_b32 v4, v15, v16 :: v_dual_lshlrev_b32 v11, 16, v18
	v_or_b32_e32 v15, 0x400000, v7
	v_bfe_u32 v16, v6, 16, 1
	v_add3_u32 v2, v2, v7, 0x7fff
	s_delay_alu instid0(VALU_DEP_4)
	v_mul_f32_e32 v11, v42, v11
	v_and_b32_e32 v17, 0xffff0000, v18
	v_cmp_u_f32_e32 vcc_lo, v7, v7
	v_add3_u32 v7, v16, v6, 0x7fff
	v_lshlrev_b32_e32 v18, 16, v19
	v_bfe_u32 v16, v11, 16, 1
	s_wait_alu 0xfffd
	v_dual_mul_f32 v17, v35, v17 :: v_dual_cndmask_b32 v2, v2, v15
	v_or_b32_e32 v15, 0x400000, v6
	v_cmp_u_f32_e32 vcc_lo, v6, v6
	v_dual_mul_f32 v18, v44, v18 :: v_dual_and_b32 v19, 0xffff0000, v19
	v_lshlrev_b32_e32 v21, 16, v20
	v_and_b32_e32 v20, 0xffff0000, v20
	s_wait_alu 0xfffd
	v_cndmask_b32_e32 v6, v7, v15, vcc_lo
	v_add3_u32 v7, v16, v11, 0x7fff
	v_or_b32_e32 v15, 0x400000, v11
	v_bfe_u32 v16, v17, 16, 1
	v_cmp_u_f32_e32 vcc_lo, v11, v11
	v_dual_mul_f32 v19, v34, v19 :: v_dual_mul_f32 v20, v36, v20
	v_and_b32_e32 v6, 0xffff0000, v6
	s_delay_alu instid0(VALU_DEP_4)
	v_add3_u32 v11, v16, v17, 0x7fff
	s_wait_alu 0xfffd
	v_cndmask_b32_e32 v7, v7, v15, vcc_lo
	v_or_b32_e32 v15, 0x400000, v17
	v_bfe_u32 v16, v18, 16, 1
	v_cmp_u_f32_e32 vcc_lo, v17, v17
	v_mul_f32_e32 v17, v43, v21
	v_or_b32_e32 v21, 0x400000, v18
	v_or_b32_e32 v22, 0x400000, v19
	v_add3_u32 v16, v16, v18, 0x7fff
	s_wait_alu 0xfffd
	v_cndmask_b32_e32 v11, v11, v15, vcc_lo
	v_bfe_u32 v15, v19, 16, 1
	v_cmp_u_f32_e32 vcc_lo, v18, v18
	v_bfe_u32 v24, v20, 16, 1
	v_bfe_u32 v23, v17, 16, 1
	v_and_b32_e32 v2, 0xffff0000, v2
	v_add3_u32 v15, v15, v19, 0x7fff
	s_wait_alu 0xfffd
	v_cndmask_b32_e32 v16, v16, v21, vcc_lo
	v_cmp_u_f32_e32 vcc_lo, v19, v19
	v_add3_u32 v19, v24, v20, 0x7fff
	v_or_b32_e32 v21, 0x400000, v20
	v_add3_u32 v18, v23, v17, 0x7fff
	v_and_b32_e32 v11, 0xffff0000, v11
	s_wait_alu 0xfffd
	v_cndmask_b32_e32 v15, v15, v22, vcc_lo
	v_cmp_u_f32_e32 vcc_lo, v20, v20
	v_and_b32_e32 v7, 0xffff0000, v7
	v_or_b32_e32 v22, 0x400000, v17
	v_add_f32_e32 v2, v2, v6
	s_wait_alu 0xfffd
	v_dual_cndmask_b32 v19, v19, v21 :: v_dual_and_b32 v4, 0xffff0000, v4
	v_cmp_u_f32_e32 vcc_lo, v17, v17
	v_add_f32_e32 v6, v7, v11
	v_and_b32_e32 v7, 0xffff0000, v15
	v_and_b32_e32 v11, 0xffff0000, v16
	;; [unrolled: 1-line block ×3, first 2 shown]
	s_wait_alu 0xfffd
	v_cndmask_b32_e32 v15, v18, v22, vcc_lo
	v_add_f32_e32 v2, v6, v2
	v_add_f32_e32 v8, v8, v14
	;; [unrolled: 1-line block ×3, first 2 shown]
	v_and_b32_e32 v7, 0xffff0000, v19
	v_and_b32_e32 v11, 0xffff0000, v15
	v_add_f32_e32 v1, v3, v1
	s_delay_alu instid0(VALU_DEP_4) | instskip(SKIP_1) | instid1(VALU_DEP_4)
	v_dual_add_f32 v3, v4, v13 :: v_dual_add_f32 v2, v6, v2
	v_add_f32_e32 v6, v12, v10
	v_dual_add_f32 v4, v11, v7 :: v_dual_add_f32 v5, v8, v5
	s_delay_alu instid0(VALU_DEP_3) | instskip(SKIP_1) | instid1(VALU_DEP_3)
	v_add_f32_e32 v1, v3, v1
	v_cmp_le_i32_e32 vcc_lo, s13, v62
	v_dual_add_f32 v73, v73, v9 :: v_dual_add_f32 v2, v4, v2
	v_add_f32_e32 v74, v74, v6
	v_add_f32_e32 v76, v76, v5
	;; [unrolled: 1-line block ×3, first 2 shown]
	s_or_b32 s4, vcc_lo, s4
	v_add_f32_e32 v65, v65, v2
	s_wait_alu 0xfffe
	s_and_not1_b32 exec_lo, exec_lo, s4
	s_cbranch_execz .LBB169_57
.LBB169_33:                             ; =>This Inner Loop Header: Depth=1
	global_load_b32 v1, v[57:58], off
	v_add_nc_u32_e32 v86, 1, v79
	v_or_b32_e32 v85, 3, v79
	v_or_b32_e32 v87, 2, v79
	v_or_b32_e32 v82, 5, v79
	v_or_b32_e32 v84, 4, v79
	v_or_b32_e32 v81, 7, v79
	v_or_b32_e32 v83, 6, v79
	s_wait_loadcnt 0x0
	s_wait_alu 0xfffe
	v_mad_co_i64_i32 v[1:2], null, v1, s2, 0
	s_delay_alu instid0(VALU_DEP_1) | instskip(NEXT) | instid1(VALU_DEP_1)
	v_lshlrev_b64_e32 v[1:2], 1, v[1:2]
	v_add_co_u32 v17, vcc_lo, v77, v1
	s_wait_alu 0xfffd
	s_delay_alu instid0(VALU_DEP_2)
	v_add_co_ci_u32_e64 v18, null, v78, v2, vcc_lo
	v_cmp_eq_u32_e32 vcc_lo, s3, v62
	global_load_b128 v[1:4], v[17:18], off
	ds_load_2addr_b64 v[41:44], v80 offset1:1
	ds_load_2addr_b64 v[33:36], v80 offset0:2 offset1:3
	s_and_saveexec_b32 s6, vcc_lo
	s_cbranch_execnz .LBB169_45
; %bb.34:                               ;   in Loop: Header=BB169_33 Depth=1
	s_wait_alu 0xfffe
	s_or_b32 exec_lo, exec_lo, s6
	global_load_b128 v[5:8], v[17:18], off offset:512
	s_and_saveexec_b32 s6, vcc_lo
	s_cbranch_execnz .LBB169_46
.LBB169_35:                             ;   in Loop: Header=BB169_33 Depth=1
	s_wait_alu 0xfffe
	s_or_b32 exec_lo, exec_lo, s6
	global_load_b128 v[9:12], v[17:18], off offset:1024
	s_and_saveexec_b32 s6, vcc_lo
	s_cbranch_execnz .LBB169_47
.LBB169_36:                             ;   in Loop: Header=BB169_33 Depth=1
	s_wait_alu 0xfffe
	s_or_b32 exec_lo, exec_lo, s6
	global_load_b128 v[13:16], v[17:18], off offset:1536
	s_and_saveexec_b32 s6, vcc_lo
	s_cbranch_execnz .LBB169_48
.LBB169_37:                             ;   in Loop: Header=BB169_33 Depth=1
	s_wait_alu 0xfffe
	s_or_b32 exec_lo, exec_lo, s6
	global_load_b128 v[21:24], v[17:18], off offset:2048
	s_and_saveexec_b32 s6, vcc_lo
	s_cbranch_execnz .LBB169_49
.LBB169_38:                             ;   in Loop: Header=BB169_33 Depth=1
	s_wait_alu 0xfffe
	s_or_b32 exec_lo, exec_lo, s6
	global_load_b128 v[25:28], v[17:18], off offset:2560
	s_and_saveexec_b32 s6, vcc_lo
	s_cbranch_execnz .LBB169_50
.LBB169_39:                             ;   in Loop: Header=BB169_33 Depth=1
	s_wait_alu 0xfffe
	s_or_b32 exec_lo, exec_lo, s6
	global_load_b128 v[29:32], v[17:18], off offset:3072
	s_and_saveexec_b32 s6, vcc_lo
	s_cbranch_execnz .LBB169_51
.LBB169_40:                             ;   in Loop: Header=BB169_33 Depth=1
	s_wait_alu 0xfffe
	s_or_b32 exec_lo, exec_lo, s6
	global_load_b128 v[37:40], v[17:18], off offset:3584
	s_and_saveexec_b32 s6, vcc_lo
	s_cbranch_execnz .LBB169_52
.LBB169_41:                             ;   in Loop: Header=BB169_33 Depth=1
	s_wait_alu 0xfffe
	s_or_b32 exec_lo, exec_lo, s6
	global_load_b128 v[45:48], v[17:18], off offset:4096
	s_and_saveexec_b32 s6, vcc_lo
	s_cbranch_execnz .LBB169_53
.LBB169_42:                             ;   in Loop: Header=BB169_33 Depth=1
	s_wait_alu 0xfffe
	s_or_b32 exec_lo, exec_lo, s6
	global_load_b128 v[49:52], v[17:18], off offset:4608
	s_and_saveexec_b32 s6, vcc_lo
	s_cbranch_execnz .LBB169_54
.LBB169_43:                             ;   in Loop: Header=BB169_33 Depth=1
	s_wait_alu 0xfffe
	s_or_b32 exec_lo, exec_lo, s6
	global_load_b128 v[53:56], v[17:18], off offset:5120
	s_and_saveexec_b32 s6, vcc_lo
	s_cbranch_execnz .LBB169_55
.LBB169_44:                             ;   in Loop: Header=BB169_33 Depth=1
	s_wait_alu 0xfffe
	s_or_b32 exec_lo, exec_lo, s6
	global_load_b128 v[17:20], v[17:18], off offset:5632
	s_and_saveexec_b32 s0, vcc_lo
	s_cbranch_execz .LBB169_32
	s_branch .LBB169_56
.LBB169_45:                             ;   in Loop: Header=BB169_33 Depth=1
	v_cmp_gt_i32_e64 s0, s25, v79
	s_wait_loadcnt 0x0
	v_lshrrev_b32_e32 v5, 16, v1
	v_lshrrev_b32_e32 v6, 16, v2
	;; [unrolled: 1-line block ×4, first 2 shown]
	s_wait_alu 0xf1ff
	v_cndmask_b32_e64 v1, 0, v1, s0
	v_cmp_gt_i32_e64 s0, s5, v86
	s_wait_alu 0xf1ff
	s_delay_alu instid0(VALU_DEP_1) | instskip(SKIP_1) | instid1(VALU_DEP_2)
	v_cndmask_b32_e64 v5, 0, v5, s0
	v_cmp_gt_i32_e64 s0, s25, v87
	v_perm_b32 v1, v5, v1, 0x5040100
	s_wait_alu 0xf1ff
	s_delay_alu instid0(VALU_DEP_2) | instskip(SKIP_2) | instid1(VALU_DEP_1)
	v_cndmask_b32_e64 v2, 0, v2, s0
	v_cmp_gt_i32_e64 s0, s5, v85
	s_wait_alu 0xf1ff
	v_cndmask_b32_e64 v6, 0, v6, s0
	v_cmp_gt_i32_e64 s0, s25, v84
	s_delay_alu instid0(VALU_DEP_2) | instskip(SKIP_1) | instid1(VALU_DEP_2)
	v_perm_b32 v2, v6, v2, 0x5040100
	s_wait_alu 0xf1ff
	v_cndmask_b32_e64 v3, 0, v3, s0
	v_cmp_gt_i32_e64 s0, s5, v82
	s_wait_alu 0xf1ff
	s_delay_alu instid0(VALU_DEP_1) | instskip(SKIP_1) | instid1(VALU_DEP_2)
	v_cndmask_b32_e64 v7, 0, v7, s0
	v_cmp_gt_i32_e64 s0, s25, v83
	v_perm_b32 v3, v7, v3, 0x5040100
	s_wait_alu 0xf1ff
	s_delay_alu instid0(VALU_DEP_2) | instskip(SKIP_2) | instid1(VALU_DEP_1)
	v_cndmask_b32_e64 v4, 0, v4, s0
	v_cmp_gt_i32_e64 s0, s5, v81
	s_wait_alu 0xf1ff
	v_cndmask_b32_e64 v8, 0, v8, s0
	s_delay_alu instid0(VALU_DEP_1)
	v_perm_b32 v4, v8, v4, 0x5040100
	s_wait_alu 0xfffe
	s_or_b32 exec_lo, exec_lo, s6
	global_load_b128 v[5:8], v[17:18], off offset:512
	s_and_saveexec_b32 s6, vcc_lo
	s_cbranch_execz .LBB169_35
.LBB169_46:                             ;   in Loop: Header=BB169_33 Depth=1
	v_cmp_gt_i32_e64 s0, s25, v79
	s_wait_loadcnt 0x0
	v_lshrrev_b32_e32 v9, 16, v5
	v_lshrrev_b32_e32 v10, 16, v6
	;; [unrolled: 1-line block ×4, first 2 shown]
	s_wait_alu 0xf1ff
	v_cndmask_b32_e64 v5, 0, v5, s0
	v_cmp_gt_i32_e64 s0, s5, v86
	s_wait_alu 0xf1ff
	s_delay_alu instid0(VALU_DEP_1) | instskip(SKIP_1) | instid1(VALU_DEP_2)
	v_cndmask_b32_e64 v9, 0, v9, s0
	v_cmp_gt_i32_e64 s0, s25, v87
	v_perm_b32 v5, v9, v5, 0x5040100
	s_wait_alu 0xf1ff
	s_delay_alu instid0(VALU_DEP_2) | instskip(SKIP_2) | instid1(VALU_DEP_1)
	v_cndmask_b32_e64 v6, 0, v6, s0
	v_cmp_gt_i32_e64 s0, s5, v85
	s_wait_alu 0xf1ff
	v_cndmask_b32_e64 v10, 0, v10, s0
	v_cmp_gt_i32_e64 s0, s25, v84
	s_delay_alu instid0(VALU_DEP_2) | instskip(SKIP_1) | instid1(VALU_DEP_2)
	v_perm_b32 v6, v10, v6, 0x5040100
	s_wait_alu 0xf1ff
	v_cndmask_b32_e64 v7, 0, v7, s0
	v_cmp_gt_i32_e64 s0, s5, v82
	s_wait_alu 0xf1ff
	s_delay_alu instid0(VALU_DEP_1) | instskip(SKIP_1) | instid1(VALU_DEP_2)
	v_cndmask_b32_e64 v11, 0, v11, s0
	v_cmp_gt_i32_e64 s0, s25, v83
	v_perm_b32 v7, v11, v7, 0x5040100
	s_wait_alu 0xf1ff
	s_delay_alu instid0(VALU_DEP_2) | instskip(SKIP_2) | instid1(VALU_DEP_1)
	v_cndmask_b32_e64 v8, 0, v8, s0
	v_cmp_gt_i32_e64 s0, s5, v81
	s_wait_alu 0xf1ff
	v_cndmask_b32_e64 v12, 0, v12, s0
	s_delay_alu instid0(VALU_DEP_1)
	v_perm_b32 v8, v12, v8, 0x5040100
	s_wait_alu 0xfffe
	s_or_b32 exec_lo, exec_lo, s6
	global_load_b128 v[9:12], v[17:18], off offset:1024
	s_and_saveexec_b32 s6, vcc_lo
	s_cbranch_execz .LBB169_36
.LBB169_47:                             ;   in Loop: Header=BB169_33 Depth=1
	v_cmp_gt_i32_e64 s0, s25, v79
	s_wait_loadcnt 0x0
	v_lshrrev_b32_e32 v13, 16, v9
	v_lshrrev_b32_e32 v14, 16, v10
	;; [unrolled: 1-line block ×4, first 2 shown]
	s_wait_alu 0xf1ff
	v_cndmask_b32_e64 v9, 0, v9, s0
	v_cmp_gt_i32_e64 s0, s5, v86
	s_wait_alu 0xf1ff
	s_delay_alu instid0(VALU_DEP_1) | instskip(SKIP_1) | instid1(VALU_DEP_2)
	v_cndmask_b32_e64 v13, 0, v13, s0
	v_cmp_gt_i32_e64 s0, s25, v87
	v_perm_b32 v9, v13, v9, 0x5040100
	s_wait_alu 0xf1ff
	s_delay_alu instid0(VALU_DEP_2) | instskip(SKIP_2) | instid1(VALU_DEP_1)
	v_cndmask_b32_e64 v10, 0, v10, s0
	v_cmp_gt_i32_e64 s0, s5, v85
	s_wait_alu 0xf1ff
	v_cndmask_b32_e64 v14, 0, v14, s0
	v_cmp_gt_i32_e64 s0, s25, v84
	s_delay_alu instid0(VALU_DEP_2) | instskip(SKIP_1) | instid1(VALU_DEP_2)
	v_perm_b32 v10, v14, v10, 0x5040100
	s_wait_alu 0xf1ff
	v_cndmask_b32_e64 v11, 0, v11, s0
	v_cmp_gt_i32_e64 s0, s5, v82
	s_wait_alu 0xf1ff
	s_delay_alu instid0(VALU_DEP_1) | instskip(SKIP_1) | instid1(VALU_DEP_2)
	v_cndmask_b32_e64 v15, 0, v15, s0
	v_cmp_gt_i32_e64 s0, s25, v83
	v_perm_b32 v11, v15, v11, 0x5040100
	s_wait_alu 0xf1ff
	s_delay_alu instid0(VALU_DEP_2) | instskip(SKIP_2) | instid1(VALU_DEP_1)
	v_cndmask_b32_e64 v12, 0, v12, s0
	v_cmp_gt_i32_e64 s0, s5, v81
	s_wait_alu 0xf1ff
	v_cndmask_b32_e64 v16, 0, v16, s0
	s_delay_alu instid0(VALU_DEP_1)
	v_perm_b32 v12, v16, v12, 0x5040100
	s_wait_alu 0xfffe
	s_or_b32 exec_lo, exec_lo, s6
	global_load_b128 v[13:16], v[17:18], off offset:1536
	s_and_saveexec_b32 s6, vcc_lo
	s_cbranch_execz .LBB169_37
.LBB169_48:                             ;   in Loop: Header=BB169_33 Depth=1
	v_cmp_gt_i32_e64 s0, s25, v79
	s_wait_loadcnt 0x0
	v_lshrrev_b32_e32 v19, 16, v13
	v_lshrrev_b32_e32 v20, 16, v14
	;; [unrolled: 1-line block ×4, first 2 shown]
	s_wait_alu 0xf1ff
	v_cndmask_b32_e64 v13, 0, v13, s0
	v_cmp_gt_i32_e64 s0, s5, v86
	s_wait_alu 0xf1ff
	s_delay_alu instid0(VALU_DEP_1) | instskip(SKIP_1) | instid1(VALU_DEP_2)
	v_cndmask_b32_e64 v19, 0, v19, s0
	v_cmp_gt_i32_e64 s0, s25, v87
	v_perm_b32 v13, v19, v13, 0x5040100
	s_wait_alu 0xf1ff
	s_delay_alu instid0(VALU_DEP_2) | instskip(SKIP_2) | instid1(VALU_DEP_1)
	v_cndmask_b32_e64 v14, 0, v14, s0
	v_cmp_gt_i32_e64 s0, s5, v85
	s_wait_alu 0xf1ff
	v_cndmask_b32_e64 v20, 0, v20, s0
	v_cmp_gt_i32_e64 s0, s25, v84
	s_delay_alu instid0(VALU_DEP_2) | instskip(SKIP_1) | instid1(VALU_DEP_2)
	v_perm_b32 v14, v20, v14, 0x5040100
	s_wait_alu 0xf1ff
	v_cndmask_b32_e64 v15, 0, v15, s0
	v_cmp_gt_i32_e64 s0, s5, v82
	s_wait_alu 0xf1ff
	s_delay_alu instid0(VALU_DEP_1) | instskip(SKIP_1) | instid1(VALU_DEP_2)
	v_cndmask_b32_e64 v21, 0, v21, s0
	v_cmp_gt_i32_e64 s0, s25, v83
	v_perm_b32 v15, v21, v15, 0x5040100
	s_wait_alu 0xf1ff
	s_delay_alu instid0(VALU_DEP_2) | instskip(SKIP_2) | instid1(VALU_DEP_1)
	v_cndmask_b32_e64 v16, 0, v16, s0
	v_cmp_gt_i32_e64 s0, s5, v81
	s_wait_alu 0xf1ff
	v_cndmask_b32_e64 v22, 0, v22, s0
	s_delay_alu instid0(VALU_DEP_1)
	v_perm_b32 v16, v22, v16, 0x5040100
	s_wait_alu 0xfffe
	s_or_b32 exec_lo, exec_lo, s6
	global_load_b128 v[21:24], v[17:18], off offset:2048
	s_and_saveexec_b32 s6, vcc_lo
	s_cbranch_execz .LBB169_38
.LBB169_49:                             ;   in Loop: Header=BB169_33 Depth=1
	v_cmp_gt_i32_e64 s0, s25, v79
	s_wait_loadcnt 0x0
	v_lshrrev_b32_e32 v19, 16, v21
	v_lshrrev_b32_e32 v26, 16, v24
	s_wait_alu 0xf1ff
	v_cndmask_b32_e64 v20, 0, v21, s0
	v_cmp_gt_i32_e64 s0, s5, v86
	v_lshrrev_b32_e32 v21, 16, v22
	s_wait_alu 0xf1ff
	s_delay_alu instid0(VALU_DEP_2) | instskip(SKIP_2) | instid1(VALU_DEP_1)
	v_cndmask_b32_e64 v19, 0, v19, s0
	v_cmp_gt_i32_e64 s0, s25, v87
	s_wait_alu 0xf1ff
	v_cndmask_b32_e64 v22, 0, v22, s0
	v_cmp_gt_i32_e64 s0, s5, v85
	s_wait_alu 0xf1ff
	s_delay_alu instid0(VALU_DEP_1) | instskip(SKIP_2) | instid1(VALU_DEP_3)
	v_cndmask_b32_e64 v25, 0, v21, s0
	v_cmp_gt_i32_e64 s0, s25, v84
	v_lshrrev_b32_e32 v21, 16, v23
	v_perm_b32 v22, v25, v22, 0x5040100
	s_wait_alu 0xf1ff
	s_delay_alu instid0(VALU_DEP_3) | instskip(SKIP_2) | instid1(VALU_DEP_1)
	v_cndmask_b32_e64 v23, 0, v23, s0
	v_cmp_gt_i32_e64 s0, s5, v82
	s_wait_alu 0xf1ff
	v_cndmask_b32_e64 v27, 0, v21, s0
	v_cmp_gt_i32_e64 s0, s25, v83
	v_perm_b32 v21, v19, v20, 0x5040100
	s_delay_alu instid0(VALU_DEP_3) | instskip(SKIP_1) | instid1(VALU_DEP_3)
	v_perm_b32 v23, v27, v23, 0x5040100
	s_wait_alu 0xf1ff
	v_cndmask_b32_e64 v24, 0, v24, s0
	v_cmp_gt_i32_e64 s0, s5, v81
	s_wait_alu 0xf1ff
	s_delay_alu instid0(VALU_DEP_1) | instskip(NEXT) | instid1(VALU_DEP_1)
	v_cndmask_b32_e64 v26, 0, v26, s0
	v_perm_b32 v24, v26, v24, 0x5040100
	s_wait_alu 0xfffe
	s_or_b32 exec_lo, exec_lo, s6
	global_load_b128 v[25:28], v[17:18], off offset:2560
	s_and_saveexec_b32 s6, vcc_lo
	s_cbranch_execz .LBB169_39
.LBB169_50:                             ;   in Loop: Header=BB169_33 Depth=1
	v_cmp_gt_i32_e64 s0, s25, v79
	s_wait_loadcnt 0x0
	v_lshrrev_b32_e32 v19, 16, v25
	v_lshrrev_b32_e32 v30, 16, v28
	s_wait_alu 0xf1ff
	v_cndmask_b32_e64 v20, 0, v25, s0
	v_cmp_gt_i32_e64 s0, s5, v86
	v_lshrrev_b32_e32 v25, 16, v26
	s_wait_alu 0xf1ff
	s_delay_alu instid0(VALU_DEP_2) | instskip(SKIP_2) | instid1(VALU_DEP_1)
	v_cndmask_b32_e64 v19, 0, v19, s0
	v_cmp_gt_i32_e64 s0, s25, v87
	s_wait_alu 0xf1ff
	v_cndmask_b32_e64 v26, 0, v26, s0
	v_cmp_gt_i32_e64 s0, s5, v85
	s_wait_alu 0xf1ff
	s_delay_alu instid0(VALU_DEP_1) | instskip(SKIP_2) | instid1(VALU_DEP_3)
	v_cndmask_b32_e64 v29, 0, v25, s0
	v_cmp_gt_i32_e64 s0, s25, v84
	v_lshrrev_b32_e32 v25, 16, v27
	v_perm_b32 v26, v29, v26, 0x5040100
	s_wait_alu 0xf1ff
	s_delay_alu instid0(VALU_DEP_3) | instskip(SKIP_2) | instid1(VALU_DEP_1)
	v_cndmask_b32_e64 v27, 0, v27, s0
	v_cmp_gt_i32_e64 s0, s5, v82
	s_wait_alu 0xf1ff
	v_cndmask_b32_e64 v31, 0, v25, s0
	v_cmp_gt_i32_e64 s0, s25, v83
	v_perm_b32 v25, v19, v20, 0x5040100
	s_delay_alu instid0(VALU_DEP_3) | instskip(SKIP_1) | instid1(VALU_DEP_3)
	v_perm_b32 v27, v31, v27, 0x5040100
	s_wait_alu 0xf1ff
	v_cndmask_b32_e64 v28, 0, v28, s0
	v_cmp_gt_i32_e64 s0, s5, v81
	s_wait_alu 0xf1ff
	s_delay_alu instid0(VALU_DEP_1) | instskip(NEXT) | instid1(VALU_DEP_1)
	v_cndmask_b32_e64 v30, 0, v30, s0
	v_perm_b32 v28, v30, v28, 0x5040100
	s_wait_alu 0xfffe
	s_or_b32 exec_lo, exec_lo, s6
	global_load_b128 v[29:32], v[17:18], off offset:3072
	s_and_saveexec_b32 s6, vcc_lo
	s_cbranch_execz .LBB169_40
.LBB169_51:                             ;   in Loop: Header=BB169_33 Depth=1
	v_cmp_gt_i32_e64 s0, s25, v79
	s_wait_loadcnt 0x0
	v_lshrrev_b32_e32 v19, 16, v29
	v_lshrrev_b32_e32 v38, 16, v32
	s_wait_alu 0xf1ff
	v_cndmask_b32_e64 v20, 0, v29, s0
	v_cmp_gt_i32_e64 s0, s5, v86
	v_lshrrev_b32_e32 v29, 16, v30
	s_wait_alu 0xf1ff
	s_delay_alu instid0(VALU_DEP_2) | instskip(SKIP_2) | instid1(VALU_DEP_1)
	v_cndmask_b32_e64 v19, 0, v19, s0
	v_cmp_gt_i32_e64 s0, s25, v87
	s_wait_alu 0xf1ff
	v_cndmask_b32_e64 v30, 0, v30, s0
	v_cmp_gt_i32_e64 s0, s5, v85
	s_wait_alu 0xf1ff
	s_delay_alu instid0(VALU_DEP_1) | instskip(SKIP_2) | instid1(VALU_DEP_3)
	v_cndmask_b32_e64 v37, 0, v29, s0
	v_cmp_gt_i32_e64 s0, s25, v84
	v_lshrrev_b32_e32 v29, 16, v31
	v_perm_b32 v30, v37, v30, 0x5040100
	s_wait_alu 0xf1ff
	s_delay_alu instid0(VALU_DEP_3) | instskip(SKIP_2) | instid1(VALU_DEP_1)
	v_cndmask_b32_e64 v31, 0, v31, s0
	v_cmp_gt_i32_e64 s0, s5, v82
	s_wait_alu 0xf1ff
	v_cndmask_b32_e64 v39, 0, v29, s0
	v_cmp_gt_i32_e64 s0, s25, v83
	v_perm_b32 v29, v19, v20, 0x5040100
	s_delay_alu instid0(VALU_DEP_3) | instskip(SKIP_1) | instid1(VALU_DEP_3)
	v_perm_b32 v31, v39, v31, 0x5040100
	s_wait_alu 0xf1ff
	v_cndmask_b32_e64 v32, 0, v32, s0
	v_cmp_gt_i32_e64 s0, s5, v81
	s_wait_alu 0xf1ff
	s_delay_alu instid0(VALU_DEP_1) | instskip(NEXT) | instid1(VALU_DEP_1)
	v_cndmask_b32_e64 v38, 0, v38, s0
	v_perm_b32 v32, v38, v32, 0x5040100
	s_wait_alu 0xfffe
	s_or_b32 exec_lo, exec_lo, s6
	global_load_b128 v[37:40], v[17:18], off offset:3584
	s_and_saveexec_b32 s6, vcc_lo
	s_cbranch_execz .LBB169_41
.LBB169_52:                             ;   in Loop: Header=BB169_33 Depth=1
	v_cmp_gt_i32_e64 s0, s25, v79
	s_wait_loadcnt 0x0
	v_lshrrev_b32_e32 v19, 16, v37
	v_lshrrev_b32_e32 v46, 16, v40
	s_wait_alu 0xf1ff
	v_cndmask_b32_e64 v20, 0, v37, s0
	v_cmp_gt_i32_e64 s0, s5, v86
	v_lshrrev_b32_e32 v37, 16, v38
	s_wait_alu 0xf1ff
	s_delay_alu instid0(VALU_DEP_2) | instskip(SKIP_2) | instid1(VALU_DEP_1)
	v_cndmask_b32_e64 v19, 0, v19, s0
	v_cmp_gt_i32_e64 s0, s25, v87
	s_wait_alu 0xf1ff
	v_cndmask_b32_e64 v38, 0, v38, s0
	v_cmp_gt_i32_e64 s0, s5, v85
	s_wait_alu 0xf1ff
	s_delay_alu instid0(VALU_DEP_1) | instskip(SKIP_2) | instid1(VALU_DEP_3)
	v_cndmask_b32_e64 v45, 0, v37, s0
	v_cmp_gt_i32_e64 s0, s25, v84
	v_lshrrev_b32_e32 v37, 16, v39
	v_perm_b32 v38, v45, v38, 0x5040100
	s_wait_alu 0xf1ff
	s_delay_alu instid0(VALU_DEP_3) | instskip(SKIP_2) | instid1(VALU_DEP_1)
	v_cndmask_b32_e64 v39, 0, v39, s0
	v_cmp_gt_i32_e64 s0, s5, v82
	s_wait_alu 0xf1ff
	v_cndmask_b32_e64 v47, 0, v37, s0
	v_cmp_gt_i32_e64 s0, s25, v83
	v_perm_b32 v37, v19, v20, 0x5040100
	s_delay_alu instid0(VALU_DEP_3) | instskip(SKIP_1) | instid1(VALU_DEP_3)
	v_perm_b32 v39, v47, v39, 0x5040100
	s_wait_alu 0xf1ff
	v_cndmask_b32_e64 v40, 0, v40, s0
	v_cmp_gt_i32_e64 s0, s5, v81
	s_wait_alu 0xf1ff
	s_delay_alu instid0(VALU_DEP_1) | instskip(NEXT) | instid1(VALU_DEP_1)
	v_cndmask_b32_e64 v46, 0, v46, s0
	v_perm_b32 v40, v46, v40, 0x5040100
	s_wait_alu 0xfffe
	s_or_b32 exec_lo, exec_lo, s6
	global_load_b128 v[45:48], v[17:18], off offset:4096
	s_and_saveexec_b32 s6, vcc_lo
	s_cbranch_execz .LBB169_42
.LBB169_53:                             ;   in Loop: Header=BB169_33 Depth=1
	v_cmp_gt_i32_e64 s0, s25, v79
	s_wait_loadcnt 0x0
	v_lshrrev_b32_e32 v19, 16, v45
	v_lshrrev_b32_e32 v50, 16, v48
	s_wait_alu 0xf1ff
	v_cndmask_b32_e64 v20, 0, v45, s0
	v_cmp_gt_i32_e64 s0, s5, v86
	v_lshrrev_b32_e32 v45, 16, v46
	s_wait_alu 0xf1ff
	s_delay_alu instid0(VALU_DEP_2) | instskip(SKIP_2) | instid1(VALU_DEP_1)
	v_cndmask_b32_e64 v19, 0, v19, s0
	v_cmp_gt_i32_e64 s0, s25, v87
	s_wait_alu 0xf1ff
	v_cndmask_b32_e64 v46, 0, v46, s0
	v_cmp_gt_i32_e64 s0, s5, v85
	s_wait_alu 0xf1ff
	s_delay_alu instid0(VALU_DEP_1) | instskip(SKIP_2) | instid1(VALU_DEP_3)
	v_cndmask_b32_e64 v49, 0, v45, s0
	v_cmp_gt_i32_e64 s0, s25, v84
	v_lshrrev_b32_e32 v45, 16, v47
	v_perm_b32 v46, v49, v46, 0x5040100
	s_wait_alu 0xf1ff
	s_delay_alu instid0(VALU_DEP_3) | instskip(SKIP_2) | instid1(VALU_DEP_1)
	v_cndmask_b32_e64 v47, 0, v47, s0
	v_cmp_gt_i32_e64 s0, s5, v82
	s_wait_alu 0xf1ff
	v_cndmask_b32_e64 v51, 0, v45, s0
	v_cmp_gt_i32_e64 s0, s25, v83
	v_perm_b32 v45, v19, v20, 0x5040100
	s_delay_alu instid0(VALU_DEP_3) | instskip(SKIP_1) | instid1(VALU_DEP_3)
	v_perm_b32 v47, v51, v47, 0x5040100
	s_wait_alu 0xf1ff
	v_cndmask_b32_e64 v48, 0, v48, s0
	v_cmp_gt_i32_e64 s0, s5, v81
	s_wait_alu 0xf1ff
	s_delay_alu instid0(VALU_DEP_1) | instskip(NEXT) | instid1(VALU_DEP_1)
	v_cndmask_b32_e64 v50, 0, v50, s0
	v_perm_b32 v48, v50, v48, 0x5040100
	s_wait_alu 0xfffe
	s_or_b32 exec_lo, exec_lo, s6
	global_load_b128 v[49:52], v[17:18], off offset:4608
	s_and_saveexec_b32 s6, vcc_lo
	s_cbranch_execz .LBB169_43
.LBB169_54:                             ;   in Loop: Header=BB169_33 Depth=1
	v_cmp_gt_i32_e64 s0, s25, v79
	s_wait_loadcnt 0x0
	v_lshrrev_b32_e32 v19, 16, v49
	v_lshrrev_b32_e32 v54, 16, v52
	s_wait_alu 0xf1ff
	v_cndmask_b32_e64 v20, 0, v49, s0
	v_cmp_gt_i32_e64 s0, s5, v86
	v_lshrrev_b32_e32 v49, 16, v50
	s_wait_alu 0xf1ff
	s_delay_alu instid0(VALU_DEP_2) | instskip(SKIP_2) | instid1(VALU_DEP_1)
	v_cndmask_b32_e64 v19, 0, v19, s0
	v_cmp_gt_i32_e64 s0, s25, v87
	s_wait_alu 0xf1ff
	v_cndmask_b32_e64 v50, 0, v50, s0
	v_cmp_gt_i32_e64 s0, s5, v85
	s_wait_alu 0xf1ff
	s_delay_alu instid0(VALU_DEP_1) | instskip(SKIP_2) | instid1(VALU_DEP_3)
	v_cndmask_b32_e64 v53, 0, v49, s0
	v_cmp_gt_i32_e64 s0, s25, v84
	v_lshrrev_b32_e32 v49, 16, v51
	v_perm_b32 v50, v53, v50, 0x5040100
	s_wait_alu 0xf1ff
	s_delay_alu instid0(VALU_DEP_3) | instskip(SKIP_2) | instid1(VALU_DEP_1)
	v_cndmask_b32_e64 v51, 0, v51, s0
	v_cmp_gt_i32_e64 s0, s5, v82
	s_wait_alu 0xf1ff
	v_cndmask_b32_e64 v55, 0, v49, s0
	v_cmp_gt_i32_e64 s0, s25, v83
	v_perm_b32 v49, v19, v20, 0x5040100
	s_delay_alu instid0(VALU_DEP_3) | instskip(SKIP_1) | instid1(VALU_DEP_3)
	v_perm_b32 v51, v55, v51, 0x5040100
	s_wait_alu 0xf1ff
	v_cndmask_b32_e64 v52, 0, v52, s0
	v_cmp_gt_i32_e64 s0, s5, v81
	s_wait_alu 0xf1ff
	s_delay_alu instid0(VALU_DEP_1) | instskip(NEXT) | instid1(VALU_DEP_1)
	v_cndmask_b32_e64 v54, 0, v54, s0
	v_perm_b32 v52, v54, v52, 0x5040100
	s_wait_alu 0xfffe
	s_or_b32 exec_lo, exec_lo, s6
	global_load_b128 v[53:56], v[17:18], off offset:5120
	s_and_saveexec_b32 s6, vcc_lo
	s_cbranch_execz .LBB169_44
.LBB169_55:                             ;   in Loop: Header=BB169_33 Depth=1
	v_cmp_gt_i32_e64 s0, s25, v79
	s_wait_loadcnt 0x0
	v_lshrrev_b32_e32 v19, 16, v53
	v_lshrrev_b32_e32 v89, 16, v56
	s_wait_alu 0xf1ff
	v_cndmask_b32_e64 v20, 0, v53, s0
	v_cmp_gt_i32_e64 s0, s5, v86
	v_lshrrev_b32_e32 v53, 16, v54
	s_wait_alu 0xf1ff
	s_delay_alu instid0(VALU_DEP_2) | instskip(SKIP_2) | instid1(VALU_DEP_1)
	v_cndmask_b32_e64 v19, 0, v19, s0
	v_cmp_gt_i32_e64 s0, s25, v87
	s_wait_alu 0xf1ff
	v_cndmask_b32_e64 v54, 0, v54, s0
	v_cmp_gt_i32_e64 s0, s5, v85
	s_wait_alu 0xf1ff
	s_delay_alu instid0(VALU_DEP_1) | instskip(SKIP_2) | instid1(VALU_DEP_3)
	v_cndmask_b32_e64 v88, 0, v53, s0
	v_cmp_gt_i32_e64 s0, s25, v84
	v_lshrrev_b32_e32 v53, 16, v55
	v_perm_b32 v54, v88, v54, 0x5040100
	s_wait_alu 0xf1ff
	s_delay_alu instid0(VALU_DEP_3) | instskip(SKIP_2) | instid1(VALU_DEP_1)
	v_cndmask_b32_e64 v55, 0, v55, s0
	v_cmp_gt_i32_e64 s0, s5, v82
	s_wait_alu 0xf1ff
	v_cndmask_b32_e64 v90, 0, v53, s0
	v_cmp_gt_i32_e64 s0, s25, v83
	v_perm_b32 v53, v19, v20, 0x5040100
	s_delay_alu instid0(VALU_DEP_3) | instskip(SKIP_1) | instid1(VALU_DEP_3)
	v_perm_b32 v55, v90, v55, 0x5040100
	s_wait_alu 0xf1ff
	v_cndmask_b32_e64 v56, 0, v56, s0
	v_cmp_gt_i32_e64 s0, s5, v81
	s_wait_alu 0xf1ff
	s_delay_alu instid0(VALU_DEP_1) | instskip(NEXT) | instid1(VALU_DEP_1)
	v_cndmask_b32_e64 v89, 0, v89, s0
	v_perm_b32 v56, v89, v56, 0x5040100
	s_wait_alu 0xfffe
	s_or_b32 exec_lo, exec_lo, s6
	global_load_b128 v[17:20], v[17:18], off offset:5632
	s_and_saveexec_b32 s0, vcc_lo
	s_cbranch_execz .LBB169_32
.LBB169_56:                             ;   in Loop: Header=BB169_33 Depth=1
	v_cmp_gt_i32_e32 vcc_lo, s25, v79
	s_wait_loadcnt 0x0
	v_lshrrev_b32_e32 v88, 16, v17
	v_lshrrev_b32_e32 v89, 16, v18
	s_wait_alu 0xfffd
	v_cndmask_b32_e32 v17, 0, v17, vcc_lo
	v_cmp_gt_i32_e32 vcc_lo, s5, v86
	s_wait_alu 0xfffd
	v_cndmask_b32_e32 v86, 0, v88, vcc_lo
	v_cmp_gt_i32_e32 vcc_lo, s25, v87
	v_lshrrev_b32_e32 v87, 16, v19
	s_delay_alu instid0(VALU_DEP_3)
	v_perm_b32 v17, v86, v17, 0x5040100
	s_wait_alu 0xfffd
	v_cndmask_b32_e32 v18, 0, v18, vcc_lo
	v_cmp_gt_i32_e32 vcc_lo, s5, v85
	s_wait_alu 0xfffd
	v_cndmask_b32_e32 v85, 0, v89, vcc_lo
	v_cmp_gt_i32_e32 vcc_lo, s25, v84
	v_lshrrev_b32_e32 v84, 16, v20
	s_delay_alu instid0(VALU_DEP_3)
	v_perm_b32 v18, v85, v18, 0x5040100
	s_wait_alu 0xfffd
	v_cndmask_b32_e32 v19, 0, v19, vcc_lo
	v_cmp_gt_i32_e32 vcc_lo, s5, v82
	s_wait_alu 0xfffd
	v_cndmask_b32_e32 v82, 0, v87, vcc_lo
	v_cmp_gt_i32_e32 vcc_lo, s25, v83
	;; [unrolled: 3-line block ×3, first 2 shown]
	s_wait_alu 0xfffd
	v_cndmask_b32_e32 v81, 0, v84, vcc_lo
	v_perm_b32 v19, v82, v19, 0x5040100
	s_delay_alu instid0(VALU_DEP_2)
	v_perm_b32 v20, v81, v20, 0x5040100
	s_branch .LBB169_32
.LBB169_57:
	s_or_b32 exec_lo, exec_lo, s4
.LBB169_58:
	s_wait_alu 0xfffe
	s_or_b32 exec_lo, exec_lo, s1
	ds_bpermute_b32 v5, v64, v72
	ds_bpermute_b32 v6, v64, v71
	;; [unrolled: 1-line block ×12, first 2 shown]
	s_mov_b32 s0, exec_lo
	s_wait_storecnt 0x0
	s_wait_loadcnt_dscnt 0x0
	s_barrier_signal -1
	s_barrier_wait -1
	global_inv scope:SCOPE_SE
	v_dual_add_f32 v8, v72, v5 :: v_dual_add_f32 v7, v71, v6
	v_add_f32_e32 v6, v70, v13
	v_lshrrev_b32_e32 v13, 1, v63
	v_dual_add_f32 v12, v75, v1 :: v_dual_add_f32 v11, v76, v2
	v_dual_add_f32 v10, v74, v3 :: v_dual_add_f32 v9, v73, v4
	;; [unrolled: 1-line block ×3, first 2 shown]
	v_add_f32_e32 v1, v67, v16
	v_dual_add_f32 v3, v66, v17 :: v_dual_and_b32 v16, 0x3c1, v0
	v_add_f32_e32 v2, v65, v18
	v_lshl_add_u32 v14, v13, 2, 0x1a0
	v_mul_u32_u24_e32 v15, 0x300, v61
	s_delay_alu instid0(VALU_DEP_4)
	v_cmpx_eq_u32_e32 64, v16
	s_cbranch_execz .LBB169_60
; %bb.59:
	s_delay_alu instid0(VALU_DEP_2) | instskip(NEXT) | instid1(VALU_DEP_1)
	v_add_nc_u32_e32 v16, v14, v15
	v_add_nc_u32_e32 v17, 0xfffffa00, v16
	;; [unrolled: 1-line block ×13, first 2 shown]
	ds_store_b32 v17, v12
	ds_store_b32 v18, v11
	;; [unrolled: 1-line block ×12, first 2 shown]
.LBB169_60:
	s_wait_alu 0xfffe
	s_or_b32 exec_lo, exec_lo, s0
	v_lshlrev_b32_e32 v13, 2, v13
	s_mov_b32 s1, exec_lo
	v_cmp_eq_u32_e32 vcc_lo, 0, v60
	s_wait_loadcnt_dscnt 0x0
	s_barrier_signal -1
	v_add3_u32 v13, 0x1a0, v15, v13
	s_barrier_wait -1
	global_inv scope:SCOPE_SE
	v_cmpx_gt_u32_e32 64, v0
	s_cbranch_execz .LBB169_75
; %bb.61:
	s_and_saveexec_b32 s0, vcc_lo
	s_cbranch_execnz .LBB169_95
; %bb.62:
	s_wait_alu 0xfffe
	s_or_b32 exec_lo, exec_lo, s0
	s_and_saveexec_b32 s0, vcc_lo
	s_cbranch_execnz .LBB169_96
.LBB169_63:
	s_wait_alu 0xfffe
	s_or_b32 exec_lo, exec_lo, s0
	s_and_saveexec_b32 s0, vcc_lo
	s_cbranch_execnz .LBB169_97
.LBB169_64:
	s_wait_alu 0xfffe
	s_or_b32 exec_lo, exec_lo, s0
	s_and_saveexec_b32 s0, vcc_lo
	s_cbranch_execnz .LBB169_98
.LBB169_65:
	s_wait_alu 0xfffe
	s_or_b32 exec_lo, exec_lo, s0
	s_and_saveexec_b32 s0, vcc_lo
	s_cbranch_execnz .LBB169_99
.LBB169_66:
	s_wait_alu 0xfffe
	s_or_b32 exec_lo, exec_lo, s0
	s_and_saveexec_b32 s0, vcc_lo
	s_cbranch_execnz .LBB169_100
.LBB169_67:
	s_wait_alu 0xfffe
	s_or_b32 exec_lo, exec_lo, s0
	s_and_saveexec_b32 s0, vcc_lo
	s_cbranch_execnz .LBB169_101
.LBB169_68:
	s_wait_alu 0xfffe
	s_or_b32 exec_lo, exec_lo, s0
	s_and_saveexec_b32 s0, vcc_lo
	s_cbranch_execnz .LBB169_102
.LBB169_69:
	s_wait_alu 0xfffe
	s_or_b32 exec_lo, exec_lo, s0
	s_and_saveexec_b32 s0, vcc_lo
	s_cbranch_execnz .LBB169_103
.LBB169_70:
	s_wait_alu 0xfffe
	s_or_b32 exec_lo, exec_lo, s0
	s_and_saveexec_b32 s0, vcc_lo
	s_cbranch_execnz .LBB169_104
.LBB169_71:
	s_wait_alu 0xfffe
	s_or_b32 exec_lo, exec_lo, s0
	s_and_saveexec_b32 s0, vcc_lo
	s_cbranch_execnz .LBB169_105
.LBB169_72:
	s_wait_alu 0xfffe
	s_or_b32 exec_lo, exec_lo, s0
	s_and_saveexec_b32 s0, vcc_lo
	s_cbranch_execz .LBB169_74
.LBB169_73:
	ds_load_b32 v15, v13 offset:704
	s_wait_dscnt 0x0
	v_add_f32_e32 v2, v2, v15
.LBB169_74:
	s_wait_alu 0xfffe
	s_or_b32 exec_lo, exec_lo, s0
.LBB169_75:
	s_wait_alu 0xfffe
	s_or_b32 exec_lo, exec_lo, s1
	v_and_b32_e32 v15, 0x3e1, v0
	s_mov_b32 s1, exec_lo
	s_wait_loadcnt 0x0
	s_barrier_signal -1
	s_barrier_wait -1
	global_inv scope:SCOPE_SE
	v_cmpx_eq_u32_e32 32, v15
	s_cbranch_execz .LBB169_77
; %bb.76:
	ds_store_2addr_b32 v14, v12, v11 offset1:16
	ds_store_2addr_b32 v14, v10, v9 offset0:32 offset1:48
	ds_store_2addr_b32 v14, v8, v7 offset0:64 offset1:80
	;; [unrolled: 1-line block ×5, first 2 shown]
.LBB169_77:
	s_wait_alu 0xfffe
	s_or_b32 exec_lo, exec_lo, s1
	s_delay_alu instid0(SALU_CYCLE_1)
	s_mov_b32 s1, exec_lo
	s_wait_loadcnt_dscnt 0x0
	s_barrier_signal -1
	s_barrier_wait -1
	global_inv scope:SCOPE_SE
	v_cmpx_gt_u32_e32 32, v0
	s_cbranch_execz .LBB169_92
; %bb.78:
	s_and_saveexec_b32 s0, vcc_lo
	s_cbranch_execnz .LBB169_106
; %bb.79:
	s_wait_alu 0xfffe
	s_or_b32 exec_lo, exec_lo, s0
	s_and_saveexec_b32 s0, vcc_lo
	s_cbranch_execnz .LBB169_107
.LBB169_80:
	s_wait_alu 0xfffe
	s_or_b32 exec_lo, exec_lo, s0
	s_and_saveexec_b32 s0, vcc_lo
	s_cbranch_execnz .LBB169_108
.LBB169_81:
	s_wait_alu 0xfffe
	s_or_b32 exec_lo, exec_lo, s0
	s_and_saveexec_b32 s0, vcc_lo
	s_cbranch_execnz .LBB169_109
.LBB169_82:
	s_wait_alu 0xfffe
	s_or_b32 exec_lo, exec_lo, s0
	s_and_saveexec_b32 s0, vcc_lo
	s_cbranch_execnz .LBB169_110
.LBB169_83:
	s_wait_alu 0xfffe
	s_or_b32 exec_lo, exec_lo, s0
	s_and_saveexec_b32 s0, vcc_lo
	s_cbranch_execnz .LBB169_111
.LBB169_84:
	s_wait_alu 0xfffe
	s_or_b32 exec_lo, exec_lo, s0
	s_and_saveexec_b32 s0, vcc_lo
	s_cbranch_execnz .LBB169_112
.LBB169_85:
	s_wait_alu 0xfffe
	s_or_b32 exec_lo, exec_lo, s0
	s_and_saveexec_b32 s0, vcc_lo
	s_cbranch_execnz .LBB169_113
.LBB169_86:
	s_wait_alu 0xfffe
	s_or_b32 exec_lo, exec_lo, s0
	s_and_saveexec_b32 s0, vcc_lo
	s_cbranch_execnz .LBB169_114
.LBB169_87:
	s_wait_alu 0xfffe
	s_or_b32 exec_lo, exec_lo, s0
	s_and_saveexec_b32 s0, vcc_lo
	s_cbranch_execnz .LBB169_115
.LBB169_88:
	s_wait_alu 0xfffe
	s_or_b32 exec_lo, exec_lo, s0
	s_and_saveexec_b32 s0, vcc_lo
	s_cbranch_execnz .LBB169_116
.LBB169_89:
	s_wait_alu 0xfffe
	s_or_b32 exec_lo, exec_lo, s0
	s_and_saveexec_b32 s0, vcc_lo
	s_cbranch_execz .LBB169_91
.LBB169_90:
	ds_load_b32 v0, v13 offset:704
	s_wait_dscnt 0x0
	v_add_f32_e32 v2, v2, v0
.LBB169_91:
	s_wait_alu 0xfffe
	s_or_b32 exec_lo, exec_lo, s0
.LBB169_92:
	s_wait_alu 0xfffe
	s_or_b32 exec_lo, exec_lo, s1
	s_mov_b32 s1, 0
	s_wait_loadcnt 0x0
	s_barrier_signal -1
	s_barrier_wait -1
	global_inv scope:SCOPE_SE
	s_mov_b32 s0, exec_lo
	v_cmpx_eq_u32_e32 0, v15
	s_cbranch_execz .LBB169_94
; %bb.93:
	v_bfe_u32 v0, v12, 16, 1
	v_bfe_u32 v13, v11, 16, 1
	v_or_b32_e32 v15, 0x400000, v12
	v_cmp_u_f32_e32 vcc_lo, v12, v12
	v_or_b32_e32 v16, 0x400000, v11
	v_add3_u32 v0, v0, v12, 0x7fff
	v_add3_u32 v13, v13, v11, 0x7fff
	v_bfe_u32 v17, v10, 16, 1
	v_bfe_u32 v12, v9, 16, 1
	s_mul_i32 s2, s14, 0xc0
	s_wait_alu 0xfffd
	v_cndmask_b32_e32 v0, v0, v15, vcc_lo
	v_cmp_u_f32_e32 vcc_lo, v11, v11
	v_lshlrev_b32_e32 v14, 1, v59
	v_or_b32_e32 v15, 0x400000, v10
	v_add3_u32 v12, v12, v9, 0x7fff
	s_mul_i32 s4, s8, s12
	s_wait_alu 0xfffd
	v_cndmask_b32_e32 v11, v13, v16, vcc_lo
	v_add3_u32 v13, v17, v10, 0x7fff
	v_cmp_u_f32_e32 vcc_lo, v10, v10
	v_or_b32_e32 v16, 0x400000, v9
	v_bfe_u32 v17, v8, 16, 1
	s_wait_alu 0xfffe
	s_ashr_i32 s3, s2, 31
	v_or_b32_e32 v18, 0x400000, v2
	s_wait_alu 0xfffd
	v_cndmask_b32_e32 v10, v13, v15, vcc_lo
	v_cmp_u_f32_e32 vcc_lo, v9, v9
	v_bfe_u32 v13, v7, 16, 1
	v_or_b32_e32 v15, 0x400000, v8
	s_ashr_i32 s5, s4, 31
	s_wait_alu 0xfffe
	s_lshl_b64 s[2:3], s[2:3], 1
	s_wait_alu 0xfffd
	v_cndmask_b32_e32 v9, v12, v16, vcc_lo
	v_add3_u32 v12, v17, v8, 0x7fff
	v_cmp_u_f32_e32 vcc_lo, v8, v8
	v_add3_u32 v13, v13, v7, 0x7fff
	v_or_b32_e32 v16, 0x400000, v7
	v_bfe_u32 v17, v6, 16, 1
	s_lshl_b64 s[4:5], s[4:5], 1
	s_wait_alu 0xfffd
	v_cndmask_b32_e32 v8, v12, v15, vcc_lo
	v_cmp_u_f32_e32 vcc_lo, v7, v7
	v_bfe_u32 v12, v5, 16, 1
	v_or_b32_e32 v15, 0x400000, v6
	s_wait_alu 0xfffe
	s_add_nc_u64 s[2:3], s[10:11], s[2:3]
	s_mul_i32 s0, s24, 0x180
	s_wait_alu 0xfffd
	v_cndmask_b32_e32 v7, v13, v16, vcc_lo
	v_add3_u32 v13, v17, v6, 0x7fff
	v_cmp_u_f32_e32 vcc_lo, v6, v6
	v_bfe_u32 v16, v4, 16, 1
	v_add3_u32 v12, v12, v5, 0x7fff
	v_or_b32_e32 v17, 0x400000, v5
	s_wait_alu 0xfffe
	s_add_nc_u64 s[2:3], s[2:3], s[4:5]
	s_wait_alu 0xfffd
	v_cndmask_b32_e32 v6, v13, v15, vcc_lo
	v_cmp_u_f32_e32 vcc_lo, v5, v5
	v_add3_u32 v13, v16, v4, 0x7fff
	v_or_b32_e32 v15, 0x400000, v4
	v_bfe_u32 v16, v3, 16, 1
	s_wait_alu 0xfffe
	s_add_nc_u64 s[0:1], s[2:3], s[0:1]
	s_wait_alu 0xfffd
	v_cndmask_b32_e32 v5, v12, v17, vcc_lo
	v_bfe_u32 v12, v1, 16, 1
	v_cmp_u_f32_e32 vcc_lo, v4, v4
	v_add3_u32 v16, v16, v3, 0x7fff
	v_or_b32_e32 v17, 0x400000, v3
	s_delay_alu instid0(VALU_DEP_4)
	v_add3_u32 v12, v12, v1, 0x7fff
	s_wait_alu 0xfffd
	v_cndmask_b32_e32 v4, v13, v15, vcc_lo
	v_bfe_u32 v13, v2, 16, 1
	v_or_b32_e32 v15, 0x400000, v1
	v_cmp_u_f32_e32 vcc_lo, v1, v1
	s_delay_alu instid0(VALU_DEP_3) | instskip(SKIP_1) | instid1(VALU_DEP_3)
	v_add3_u32 v13, v13, v2, 0x7fff
	s_wait_alu 0xfffd
	v_cndmask_b32_e32 v1, v12, v15, vcc_lo
	v_cmp_u_f32_e32 vcc_lo, v3, v3
	s_wait_alu 0xfffd
	v_cndmask_b32_e32 v3, v16, v17, vcc_lo
	v_cmp_u_f32_e32 vcc_lo, v2, v2
	s_wait_alu 0xfffd
	v_cndmask_b32_e32 v2, v13, v18, vcc_lo
	s_clause 0xb
	global_store_d16_hi_b16 v14, v0, s[0:1]
	global_store_d16_hi_b16 v14, v11, s[0:1] offset:32
	global_store_d16_hi_b16 v14, v10, s[0:1] offset:64
	;; [unrolled: 1-line block ×11, first 2 shown]
.LBB169_94:
	s_nop 0
	s_sendmsg sendmsg(MSG_DEALLOC_VGPRS)
	s_endpgm
.LBB169_95:
	ds_load_b32 v15, v13
	s_wait_dscnt 0x0
	v_add_f32_e32 v12, v12, v15
	s_wait_alu 0xfffe
	s_or_b32 exec_lo, exec_lo, s0
	s_and_saveexec_b32 s0, vcc_lo
	s_cbranch_execz .LBB169_63
.LBB169_96:
	ds_load_b32 v15, v13 offset:64
	s_wait_dscnt 0x0
	v_add_f32_e32 v11, v11, v15
	s_wait_alu 0xfffe
	s_or_b32 exec_lo, exec_lo, s0
	s_and_saveexec_b32 s0, vcc_lo
	s_cbranch_execz .LBB169_64
.LBB169_97:
	ds_load_b32 v15, v13 offset:128
	s_wait_dscnt 0x0
	v_add_f32_e32 v10, v10, v15
	s_wait_alu 0xfffe
	s_or_b32 exec_lo, exec_lo, s0
	s_and_saveexec_b32 s0, vcc_lo
	s_cbranch_execz .LBB169_65
.LBB169_98:
	ds_load_b32 v15, v13 offset:192
	s_wait_dscnt 0x0
	v_add_f32_e32 v9, v9, v15
	s_wait_alu 0xfffe
	s_or_b32 exec_lo, exec_lo, s0
	s_and_saveexec_b32 s0, vcc_lo
	s_cbranch_execz .LBB169_66
.LBB169_99:
	ds_load_b32 v15, v13 offset:256
	s_wait_dscnt 0x0
	v_add_f32_e32 v8, v8, v15
	s_wait_alu 0xfffe
	s_or_b32 exec_lo, exec_lo, s0
	s_and_saveexec_b32 s0, vcc_lo
	s_cbranch_execz .LBB169_67
.LBB169_100:
	ds_load_b32 v15, v13 offset:320
	s_wait_dscnt 0x0
	v_add_f32_e32 v7, v7, v15
	s_wait_alu 0xfffe
	s_or_b32 exec_lo, exec_lo, s0
	s_and_saveexec_b32 s0, vcc_lo
	s_cbranch_execz .LBB169_68
.LBB169_101:
	ds_load_b32 v15, v13 offset:384
	s_wait_dscnt 0x0
	v_add_f32_e32 v6, v6, v15
	s_wait_alu 0xfffe
	s_or_b32 exec_lo, exec_lo, s0
	s_and_saveexec_b32 s0, vcc_lo
	s_cbranch_execz .LBB169_69
.LBB169_102:
	ds_load_b32 v15, v13 offset:448
	s_wait_dscnt 0x0
	v_add_f32_e32 v5, v5, v15
	s_wait_alu 0xfffe
	s_or_b32 exec_lo, exec_lo, s0
	s_and_saveexec_b32 s0, vcc_lo
	s_cbranch_execz .LBB169_70
.LBB169_103:
	ds_load_b32 v15, v13 offset:512
	s_wait_dscnt 0x0
	v_add_f32_e32 v4, v4, v15
	s_wait_alu 0xfffe
	s_or_b32 exec_lo, exec_lo, s0
	s_and_saveexec_b32 s0, vcc_lo
	s_cbranch_execz .LBB169_71
.LBB169_104:
	ds_load_b32 v15, v13 offset:576
	s_wait_dscnt 0x0
	v_add_f32_e32 v1, v1, v15
	s_wait_alu 0xfffe
	s_or_b32 exec_lo, exec_lo, s0
	s_and_saveexec_b32 s0, vcc_lo
	s_cbranch_execz .LBB169_72
.LBB169_105:
	ds_load_b32 v15, v13 offset:640
	s_wait_dscnt 0x0
	v_add_f32_e32 v3, v3, v15
	s_wait_alu 0xfffe
	s_or_b32 exec_lo, exec_lo, s0
	s_and_saveexec_b32 s0, vcc_lo
	s_cbranch_execnz .LBB169_73
	s_branch .LBB169_74
.LBB169_106:
	ds_load_b32 v0, v13
	s_wait_dscnt 0x0
	v_add_f32_e32 v12, v12, v0
	s_wait_alu 0xfffe
	s_or_b32 exec_lo, exec_lo, s0
	s_and_saveexec_b32 s0, vcc_lo
	s_cbranch_execz .LBB169_80
.LBB169_107:
	ds_load_b32 v0, v13 offset:64
	s_wait_dscnt 0x0
	v_add_f32_e32 v11, v11, v0
	s_wait_alu 0xfffe
	s_or_b32 exec_lo, exec_lo, s0
	s_and_saveexec_b32 s0, vcc_lo
	s_cbranch_execz .LBB169_81
.LBB169_108:
	ds_load_b32 v0, v13 offset:128
	s_wait_dscnt 0x0
	v_add_f32_e32 v10, v10, v0
	s_wait_alu 0xfffe
	s_or_b32 exec_lo, exec_lo, s0
	s_and_saveexec_b32 s0, vcc_lo
	s_cbranch_execz .LBB169_82
.LBB169_109:
	ds_load_b32 v0, v13 offset:192
	s_wait_dscnt 0x0
	v_add_f32_e32 v9, v9, v0
	s_wait_alu 0xfffe
	s_or_b32 exec_lo, exec_lo, s0
	s_and_saveexec_b32 s0, vcc_lo
	s_cbranch_execz .LBB169_83
.LBB169_110:
	ds_load_b32 v0, v13 offset:256
	s_wait_dscnt 0x0
	v_add_f32_e32 v8, v8, v0
	s_wait_alu 0xfffe
	s_or_b32 exec_lo, exec_lo, s0
	s_and_saveexec_b32 s0, vcc_lo
	s_cbranch_execz .LBB169_84
.LBB169_111:
	ds_load_b32 v0, v13 offset:320
	s_wait_dscnt 0x0
	v_add_f32_e32 v7, v7, v0
	s_wait_alu 0xfffe
	s_or_b32 exec_lo, exec_lo, s0
	s_and_saveexec_b32 s0, vcc_lo
	s_cbranch_execz .LBB169_85
.LBB169_112:
	ds_load_b32 v0, v13 offset:384
	s_wait_dscnt 0x0
	v_add_f32_e32 v6, v6, v0
	s_wait_alu 0xfffe
	s_or_b32 exec_lo, exec_lo, s0
	s_and_saveexec_b32 s0, vcc_lo
	s_cbranch_execz .LBB169_86
.LBB169_113:
	ds_load_b32 v0, v13 offset:448
	s_wait_dscnt 0x0
	v_add_f32_e32 v5, v5, v0
	s_wait_alu 0xfffe
	s_or_b32 exec_lo, exec_lo, s0
	s_and_saveexec_b32 s0, vcc_lo
	s_cbranch_execz .LBB169_87
.LBB169_114:
	ds_load_b32 v0, v13 offset:512
	s_wait_dscnt 0x0
	v_add_f32_e32 v4, v4, v0
	s_wait_alu 0xfffe
	s_or_b32 exec_lo, exec_lo, s0
	s_and_saveexec_b32 s0, vcc_lo
	s_cbranch_execz .LBB169_88
.LBB169_115:
	ds_load_b32 v0, v13 offset:576
	s_wait_dscnt 0x0
	v_add_f32_e32 v1, v1, v0
	s_wait_alu 0xfffe
	s_or_b32 exec_lo, exec_lo, s0
	s_and_saveexec_b32 s0, vcc_lo
	s_cbranch_execz .LBB169_89
.LBB169_116:
	ds_load_b32 v0, v13 offset:640
	s_wait_dscnt 0x0
	v_add_f32_e32 v3, v3, v0
	s_wait_alu 0xfffe
	s_or_b32 exec_lo, exec_lo, s0
	s_and_saveexec_b32 s0, vcc_lo
	s_cbranch_execnz .LBB169_90
	s_branch .LBB169_91
	.section	.rodata,"a",@progbits
	.p2align	6, 0x0
	.amdhsa_kernel _ZN4vllm25paged_attention_v2_kernelI14__hip_bfloat16S1_Li192ELi16ELi128ELNS_18Fp8KVCacheDataTypeE0ELb0ELi512EEEvPfS3_PT_PKS4_PKT0_SA_ifPKiSC_iPKfiiiSE_SE_iiiii
		.amdhsa_group_segment_fixed_size 416
		.amdhsa_private_segment_fixed_size 0
		.amdhsa_kernarg_size 400
		.amdhsa_user_sgpr_count 2
		.amdhsa_user_sgpr_dispatch_ptr 0
		.amdhsa_user_sgpr_queue_ptr 0
		.amdhsa_user_sgpr_kernarg_segment_ptr 1
		.amdhsa_user_sgpr_dispatch_id 0
		.amdhsa_user_sgpr_private_segment_size 0
		.amdhsa_wavefront_size32 1
		.amdhsa_uses_dynamic_stack 0
		.amdhsa_enable_private_segment 0
		.amdhsa_system_sgpr_workgroup_id_x 1
		.amdhsa_system_sgpr_workgroup_id_y 1
		.amdhsa_system_sgpr_workgroup_id_z 1
		.amdhsa_system_sgpr_workgroup_info 0
		.amdhsa_system_vgpr_workitem_id 0
		.amdhsa_next_free_vgpr 189
		.amdhsa_next_free_sgpr 32
		.amdhsa_reserve_vcc 1
		.amdhsa_float_round_mode_32 0
		.amdhsa_float_round_mode_16_64 0
		.amdhsa_float_denorm_mode_32 3
		.amdhsa_float_denorm_mode_16_64 3
		.amdhsa_fp16_overflow 0
		.amdhsa_workgroup_processor_mode 1
		.amdhsa_memory_ordered 1
		.amdhsa_forward_progress 1
		.amdhsa_inst_pref_size 139
		.amdhsa_round_robin_scheduling 0
		.amdhsa_exception_fp_ieee_invalid_op 0
		.amdhsa_exception_fp_denorm_src 0
		.amdhsa_exception_fp_ieee_div_zero 0
		.amdhsa_exception_fp_ieee_overflow 0
		.amdhsa_exception_fp_ieee_underflow 0
		.amdhsa_exception_fp_ieee_inexact 0
		.amdhsa_exception_int_div_zero 0
	.end_amdhsa_kernel
	.section	.text._ZN4vllm25paged_attention_v2_kernelI14__hip_bfloat16S1_Li192ELi16ELi128ELNS_18Fp8KVCacheDataTypeE0ELb0ELi512EEEvPfS3_PT_PKS4_PKT0_SA_ifPKiSC_iPKfiiiSE_SE_iiiii,"axG",@progbits,_ZN4vllm25paged_attention_v2_kernelI14__hip_bfloat16S1_Li192ELi16ELi128ELNS_18Fp8KVCacheDataTypeE0ELb0ELi512EEEvPfS3_PT_PKS4_PKT0_SA_ifPKiSC_iPKfiiiSE_SE_iiiii,comdat
.Lfunc_end169:
	.size	_ZN4vllm25paged_attention_v2_kernelI14__hip_bfloat16S1_Li192ELi16ELi128ELNS_18Fp8KVCacheDataTypeE0ELb0ELi512EEEvPfS3_PT_PKS4_PKT0_SA_ifPKiSC_iPKfiiiSE_SE_iiiii, .Lfunc_end169-_ZN4vllm25paged_attention_v2_kernelI14__hip_bfloat16S1_Li192ELi16ELi128ELNS_18Fp8KVCacheDataTypeE0ELb0ELi512EEEvPfS3_PT_PKS4_PKT0_SA_ifPKiSC_iPKfiiiSE_SE_iiiii
                                        ; -- End function
	.set _ZN4vllm25paged_attention_v2_kernelI14__hip_bfloat16S1_Li192ELi16ELi128ELNS_18Fp8KVCacheDataTypeE0ELb0ELi512EEEvPfS3_PT_PKS4_PKT0_SA_ifPKiSC_iPKfiiiSE_SE_iiiii.num_vgpr, 189
	.set _ZN4vllm25paged_attention_v2_kernelI14__hip_bfloat16S1_Li192ELi16ELi128ELNS_18Fp8KVCacheDataTypeE0ELb0ELi512EEEvPfS3_PT_PKS4_PKT0_SA_ifPKiSC_iPKfiiiSE_SE_iiiii.num_agpr, 0
	.set _ZN4vllm25paged_attention_v2_kernelI14__hip_bfloat16S1_Li192ELi16ELi128ELNS_18Fp8KVCacheDataTypeE0ELb0ELi512EEEvPfS3_PT_PKS4_PKT0_SA_ifPKiSC_iPKfiiiSE_SE_iiiii.numbered_sgpr, 32
	.set _ZN4vllm25paged_attention_v2_kernelI14__hip_bfloat16S1_Li192ELi16ELi128ELNS_18Fp8KVCacheDataTypeE0ELb0ELi512EEEvPfS3_PT_PKS4_PKT0_SA_ifPKiSC_iPKfiiiSE_SE_iiiii.num_named_barrier, 0
	.set _ZN4vllm25paged_attention_v2_kernelI14__hip_bfloat16S1_Li192ELi16ELi128ELNS_18Fp8KVCacheDataTypeE0ELb0ELi512EEEvPfS3_PT_PKS4_PKT0_SA_ifPKiSC_iPKfiiiSE_SE_iiiii.private_seg_size, 0
	.set _ZN4vllm25paged_attention_v2_kernelI14__hip_bfloat16S1_Li192ELi16ELi128ELNS_18Fp8KVCacheDataTypeE0ELb0ELi512EEEvPfS3_PT_PKS4_PKT0_SA_ifPKiSC_iPKfiiiSE_SE_iiiii.uses_vcc, 1
	.set _ZN4vllm25paged_attention_v2_kernelI14__hip_bfloat16S1_Li192ELi16ELi128ELNS_18Fp8KVCacheDataTypeE0ELb0ELi512EEEvPfS3_PT_PKS4_PKT0_SA_ifPKiSC_iPKfiiiSE_SE_iiiii.uses_flat_scratch, 0
	.set _ZN4vllm25paged_attention_v2_kernelI14__hip_bfloat16S1_Li192ELi16ELi128ELNS_18Fp8KVCacheDataTypeE0ELb0ELi512EEEvPfS3_PT_PKS4_PKT0_SA_ifPKiSC_iPKfiiiSE_SE_iiiii.has_dyn_sized_stack, 0
	.set _ZN4vllm25paged_attention_v2_kernelI14__hip_bfloat16S1_Li192ELi16ELi128ELNS_18Fp8KVCacheDataTypeE0ELb0ELi512EEEvPfS3_PT_PKS4_PKT0_SA_ifPKiSC_iPKfiiiSE_SE_iiiii.has_recursion, 0
	.set _ZN4vllm25paged_attention_v2_kernelI14__hip_bfloat16S1_Li192ELi16ELi128ELNS_18Fp8KVCacheDataTypeE0ELb0ELi512EEEvPfS3_PT_PKS4_PKT0_SA_ifPKiSC_iPKfiiiSE_SE_iiiii.has_indirect_call, 0
	.section	.AMDGPU.csdata,"",@progbits
; Kernel info:
; codeLenInByte = 17732
; TotalNumSgprs: 34
; NumVgprs: 189
; ScratchSize: 0
; MemoryBound: 0
; FloatMode: 240
; IeeeMode: 1
; LDSByteSize: 416 bytes/workgroup (compile time only)
; SGPRBlocks: 0
; VGPRBlocks: 23
; NumSGPRsForWavesPerEU: 34
; NumVGPRsForWavesPerEU: 189
; Occupancy: 8
; WaveLimiterHint : 1
; COMPUTE_PGM_RSRC2:SCRATCH_EN: 0
; COMPUTE_PGM_RSRC2:USER_SGPR: 2
; COMPUTE_PGM_RSRC2:TRAP_HANDLER: 0
; COMPUTE_PGM_RSRC2:TGID_X_EN: 1
; COMPUTE_PGM_RSRC2:TGID_Y_EN: 1
; COMPUTE_PGM_RSRC2:TGID_Z_EN: 1
; COMPUTE_PGM_RSRC2:TIDIG_COMP_CNT: 0
	.section	.text._ZN4vllm25paged_attention_v2_kernelI14__hip_bfloat16S1_Li256ELi16ELi128ELNS_18Fp8KVCacheDataTypeE0ELb0ELi512EEEvPfS3_PT_PKS4_PKT0_SA_ifPKiSC_iPKfiiiSE_SE_iiiii,"axG",@progbits,_ZN4vllm25paged_attention_v2_kernelI14__hip_bfloat16S1_Li256ELi16ELi128ELNS_18Fp8KVCacheDataTypeE0ELb0ELi512EEEvPfS3_PT_PKS4_PKT0_SA_ifPKiSC_iPKfiiiSE_SE_iiiii,comdat
	.protected	_ZN4vllm25paged_attention_v2_kernelI14__hip_bfloat16S1_Li256ELi16ELi128ELNS_18Fp8KVCacheDataTypeE0ELb0ELi512EEEvPfS3_PT_PKS4_PKT0_SA_ifPKiSC_iPKfiiiSE_SE_iiiii ; -- Begin function _ZN4vllm25paged_attention_v2_kernelI14__hip_bfloat16S1_Li256ELi16ELi128ELNS_18Fp8KVCacheDataTypeE0ELb0ELi512EEEvPfS3_PT_PKS4_PKT0_SA_ifPKiSC_iPKfiiiSE_SE_iiiii
	.globl	_ZN4vllm25paged_attention_v2_kernelI14__hip_bfloat16S1_Li256ELi16ELi128ELNS_18Fp8KVCacheDataTypeE0ELb0ELi512EEEvPfS3_PT_PKS4_PKT0_SA_ifPKiSC_iPKfiiiSE_SE_iiiii
	.p2align	8
	.type	_ZN4vllm25paged_attention_v2_kernelI14__hip_bfloat16S1_Li256ELi16ELi128ELNS_18Fp8KVCacheDataTypeE0ELb0ELi512EEEvPfS3_PT_PKS4_PKT0_SA_ifPKiSC_iPKfiiiSE_SE_iiiii,@function
_ZN4vllm25paged_attention_v2_kernelI14__hip_bfloat16S1_Li256ELi16ELi128ELNS_18Fp8KVCacheDataTypeE0ELb0ELi512EEEvPfS3_PT_PKS4_PKT0_SA_ifPKiSC_iPKfiiiSE_SE_iiiii: ; @_ZN4vllm25paged_attention_v2_kernelI14__hip_bfloat16S1_Li256ELi16ELi128ELNS_18Fp8KVCacheDataTypeE0ELb0ELi512EEEvPfS3_PT_PKS4_PKT0_SA_ifPKiSC_iPKfiiiSE_SE_iiiii
; %bb.0:
	s_load_b64 s[2:3], s[0:1], 0x40
	s_and_b32 s27, ttmp7, 0xffff
	s_lshr_b32 s26, ttmp7, 16
	s_lshl_b32 s4, s27, 2
	s_lshl_b32 s16, s26, 9
	s_wait_kmcnt 0x0
	s_load_b32 s17, s[2:3], s4 offset:0x0
	s_wait_kmcnt 0x0
	s_cmp_ge_i32 s16, s17
	s_cbranch_scc1 .LBB170_110
; %bb.1:
	s_clause 0x1
	s_load_b32 s28, s[0:1], 0x90
	s_load_b64 s[6:7], s[0:1], 0x30
	s_wait_kmcnt 0x0
	s_abs_i32 s5, s28
	s_abs_i32 s2, s6
	s_delay_alu instid0(SALU_CYCLE_1) | instskip(SKIP_1) | instid1(SALU_CYCLE_2)
	s_cvt_f32_u32 s3, s2
	s_sub_co_i32 s4, 0, s2
	v_rcp_iflag_f32_e32 v1, s3
	s_delay_alu instid0(TRANS32_DEP_1) | instskip(SKIP_2) | instid1(SALU_CYCLE_2)
	v_readfirstlane_b32 s3, v1
	s_mul_f32 s3, s3, 0x4f7ffffe
	s_wait_alu 0xfffe
	s_cvt_u32_f32 s3, s3
	s_wait_alu 0xfffe
	s_delay_alu instid0(SALU_CYCLE_2) | instskip(NEXT) | instid1(SALU_CYCLE_1)
	s_mul_i32 s4, s4, s3
	s_mul_hi_u32 s4, s3, s4
	s_delay_alu instid0(SALU_CYCLE_1)
	s_add_co_i32 s3, s3, s4
	s_xor_b32 s4, s28, s6
	s_wait_alu 0xfffe
	s_mul_hi_u32 s3, s5, s3
	s_ashr_i32 s4, s4, 31
	s_wait_alu 0xfffe
	s_mul_i32 s6, s3, s2
	s_delay_alu instid0(SALU_CYCLE_1)
	s_sub_co_i32 s5, s5, s6
	s_add_co_i32 s6, s3, 1
	s_sub_co_i32 s8, s5, s2
	s_cmp_ge_u32 s5, s2
	s_cselect_b32 s3, s6, s3
	s_cselect_b32 s5, s8, s5
	s_wait_alu 0xfffe
	s_add_co_i32 s6, s3, 1
	s_cmp_ge_u32 s5, s2
	s_load_b64 s[8:9], s[0:1], 0x50
	s_cselect_b32 s2, s6, s3
	s_mov_b32 s5, 0
	s_wait_alu 0xfffe
	s_xor_b32 s2, s2, s4
	s_mov_b32 s10, s5
	s_wait_alu 0xfffe
	s_sub_co_i32 s11, s2, s4
	s_abs_i32 s4, ttmp9
	s_abs_i32 s6, s11
	s_delay_alu instid0(SALU_CYCLE_1) | instskip(SKIP_2) | instid1(SALU_CYCLE_1)
	s_cvt_f32_u32 s2, s6
	s_sub_co_i32 s3, 0, s6
	s_wait_alu 0xfffe
	v_rcp_iflag_f32_e32 v1, s2
	s_delay_alu instid0(TRANS32_DEP_1) | instskip(SKIP_2) | instid1(SALU_CYCLE_2)
	v_readfirstlane_b32 s2, v1
	s_mul_f32 s2, s2, 0x4f7ffffe
	s_wait_alu 0xfffe
	s_cvt_u32_f32 s2, s2
	s_wait_alu 0xfffe
	s_delay_alu instid0(SALU_CYCLE_2)
	s_mul_i32 s3, s3, s2
	s_wait_alu 0xfffe
	s_mul_hi_u32 s3, s2, s3
	s_wait_alu 0xfffe
	s_add_co_i32 s2, s2, s3
	s_mov_b32 s3, s5
	s_wait_kmcnt 0x0
	s_cmp_eq_u64 s[8:9], 0
	s_cbranch_scc1 .LBB170_3
; %bb.2:
	s_mov_b32 s12, ttmp9
	s_ashr_i32 s13, ttmp9, 31
	s_delay_alu instid0(SALU_CYCLE_1) | instskip(NEXT) | instid1(SALU_CYCLE_1)
	s_lshl_b64 s[12:13], s[12:13], 2
	s_add_nc_u64 s[8:9], s[8:9], s[12:13]
	s_load_b32 s10, s[8:9], 0x0
.LBB170_3:
	s_load_b96 s[12:14], s[0:1], 0x58
	s_mul_u64 s[2:3], s[4:5], s[2:3]
	v_lshrrev_b32_e32 v75, 1, v0
	v_and_b32_e32 v76, 1, v0
	v_cmp_gt_u32_e64 s2, 64, v0
	v_lshlrev_b32_e32 v5, 3, v0
	s_ashr_i32 s5, ttmp9, 31
	s_ashr_i32 s8, s11, 31
	s_lshl_b32 s18, ttmp9, 8
	s_wait_alu 0xfffe
	s_and_saveexec_b32 s9, s2
	s_cbranch_execz .LBB170_5
; %bb.4:
	s_load_b64 s[20:21], s[0:1], 0x18
	s_wait_kmcnt 0x0
	s_mul_i32 s22, s12, s27
	s_ashr_i32 s19, s18, 31
	s_ashr_i32 s23, s22, 31
	v_lshlrev_b32_e32 v3, 3, v75
	s_lshl_b64 s[22:23], s[22:23], 1
	s_delay_alu instid0(VALU_DEP_1) | instskip(SKIP_2) | instid1(SALU_CYCLE_1)
	v_lshl_add_u32 v3, v76, 8, v3
	s_add_nc_u64 s[20:21], s[20:21], s[22:23]
	s_lshl_b64 s[22:23], s[18:19], 1
	s_add_nc_u64 s[20:21], s[20:21], s[22:23]
	global_load_b64 v[1:2], v5, s[20:21]
	s_wait_loadcnt 0x0
	ds_store_b64 v3, v[1:2]
.LBB170_5:
	s_or_b32 exec_lo, exec_lo, s9
	s_add_co_i32 s9, s17, 15
	s_xor_b32 s5, s5, s8
	s_ashr_i32 s11, s9, 31
	s_lshl_b32 s30, s26, 5
	s_lshr_b32 s8, s11, 28
	s_mul_i32 s11, s3, s6
	s_add_co_i32 s9, s9, s8
	s_add_co_i32 s8, s30, 32
	s_ashr_i32 s29, s9, 4
	s_load_b32 s9, s[0:1], 0x48
	s_sub_co_i32 s4, s4, s11
	s_min_i32 s19, s8, s29
	s_add_co_i32 s8, s3, 1
	s_sub_co_i32 s11, s4, s6
	s_cmp_ge_u32 s4, s6
	v_lshrrev_b32_e32 v77, 5, v0
	s_cselect_b32 s3, s8, s3
	s_cselect_b32 s4, s11, s4
	s_wait_alu 0xfffe
	s_add_co_i32 s8, s3, 1
	s_cmp_ge_u32 s4, s6
	v_or_b32_e32 v78, s30, v77
	s_cselect_b32 s3, s8, s3
	v_mbcnt_lo_u32_b32 v8, -1, 0
	s_wait_alu 0xfffe
	s_xor_b32 s3, s3, s5
	s_wait_dscnt 0x0
	s_wait_alu 0xfffe
	s_sub_co_i32 s4, s3, s5
	v_cmp_gt_i32_e64 s3, s19, v78
	s_mov_b32 s5, exec_lo
	s_barrier_signal -1
	s_wait_kmcnt 0x0
	s_mul_i32 s20, s9, s27
	s_barrier_wait -1
	s_ashr_i32 s21, s20, 31
	global_inv scope:SCOPE_SE
                                        ; implicit-def: $vgpr92
                                        ; implicit-def: $vgpr95
	v_cmpx_le_i32_e64 s19, v78
	s_xor_b32 s5, exec_lo, s5
; %bb.6:
	v_dual_mov_b32 v92, 0 :: v_dual_mov_b32 v95, 32
	v_mbcnt_lo_u32_b32 v8, -1, 0
; %bb.7:
	s_or_saveexec_b32 s8, s5
	s_clause 0x1
	s_load_b64 s[22:23], s[0:1], 0x38
	s_load_b32 s12, s[0:1], 0x98
	v_dual_mov_b32 v142, 0xff7fffff :: v_dual_lshlrev_b32 v7, 4, v77
	v_lshlrev_b32_e32 v6, 2, v78
	s_mul_i32 s14, s4, s14
	s_xor_b32 exec_lo, exec_lo, s8
	s_cbranch_execz .LBB170_13
; %bb.8:
	v_lshlrev_b32_e32 v92, 8, v76
	s_load_b64 s[4:5], s[0:1], 0x20
	s_ashr_i32 s15, s14, 31
	s_mov_b32 s11, s13
	s_lshl_b64 s[24:25], s[14:15], 1
	ds_load_b128 v[1:4], v92
	ds_load_b128 v[21:24], v92 offset:16
	ds_load_b128 v[29:32], v92 offset:32
	ds_load_b128 v[37:40], v92 offset:48
	ds_load_b128 v[45:48], v92 offset:64
	s_cmp_neq_f32 s10, 0
	s_mov_b32 s9, 0
	ds_load_b128 v[61:64], v92 offset:96
	v_mov_b32_e32 v149, v78
	ds_load_b128 v[99:102], v92 offset:160
	ds_load_b128 v[131:134], v92 offset:224
	s_wait_dscnt 0x7
	v_lshlrev_b32_e32 v9, 16, v1
	v_and_b32_e32 v10, 0xffff0000, v1
	v_lshlrev_b32_e32 v11, 16, v2
	v_and_b32_e32 v12, 0xffff0000, v2
	;; [unrolled: 2-line block ×4, first 2 shown]
	ds_load_b128 v[1:4], v92 offset:80
	s_wait_kmcnt 0x0
	s_add_nc_u64 s[4:5], s[4:5], s[24:25]
	s_wait_dscnt 0x7
	v_lshlrev_b32_e32 v17, 16, v21
	v_and_b32_e32 v18, 0xffff0000, v21
	v_lshlrev_b32_e32 v19, 16, v22
	v_and_b32_e32 v20, 0xffff0000, v22
	;; [unrolled: 2-line block ×4, first 2 shown]
	s_wait_dscnt 0x6
	v_lshlrev_b32_e32 v25, 16, v29
	v_and_b32_e32 v26, 0xffff0000, v29
	v_lshlrev_b32_e32 v27, 16, v30
	v_and_b32_e32 v28, 0xffff0000, v30
	;; [unrolled: 2-line block ×4, first 2 shown]
	s_wait_dscnt 0x5
	v_lshlrev_b32_e32 v33, 16, v37
	v_and_b32_e32 v34, 0xffff0000, v37
	s_wait_dscnt 0x0
	v_lshlrev_b32_e32 v49, 16, v1
	v_and_b32_e32 v50, 0xffff0000, v1
	v_lshlrev_b32_e32 v51, 16, v2
	v_and_b32_e32 v52, 0xffff0000, v2
	;; [unrolled: 2-line block ×4, first 2 shown]
	ds_load_b128 v[1:4], v92 offset:144
	v_lshlrev_b32_e32 v35, 16, v38
	v_and_b32_e32 v36, 0xffff0000, v38
	v_lshlrev_b32_e32 v37, 16, v39
	v_and_b32_e32 v38, 0xffff0000, v39
	;; [unrolled: 2-line block ×9, first 2 shown]
	v_lshlrev_b32_e32 v61, 16, v63
	s_wait_dscnt 0x0
	v_lshlrev_b32_e32 v85, 16, v1
	v_and_b32_e32 v86, 0xffff0000, v1
	v_lshlrev_b32_e32 v87, 16, v2
	v_and_b32_e32 v88, 0xffff0000, v2
	;; [unrolled: 2-line block ×4, first 2 shown]
	ds_load_b128 v[1:4], v92 offset:208
	v_and_b32_e32 v62, 0xffff0000, v63
	v_lshlrev_b32_e32 v63, 16, v64
	v_and_b32_e32 v64, 0xffff0000, v64
	v_lshlrev_b32_e32 v94, 16, v99
	;; [unrolled: 2-line block ×9, first 2 shown]
	v_and_b32_e32 v134, 0xffff0000, v134
	s_wait_dscnt 0x0
	v_lshlrev_b32_e32 v119, 16, v1
	v_and_b32_e32 v120, 0xffff0000, v1
	v_bfe_u32 v1, v0, 1, 4
	v_lshlrev_b32_e32 v121, 16, v2
	v_and_b32_e32 v122, 0xffff0000, v2
	v_lshlrev_b32_e32 v125, 16, v4
	v_and_b32_e32 v126, 0xffff0000, v4
	v_lshlrev_b32_e32 v2, 4, v1
	v_xor_b32_e32 v4, 1, v8
	v_lshlrev_b32_e32 v123, 16, v3
	v_and_b32_e32 v124, 0xffff0000, v3
	v_and_b32_e32 v3, 8, v5
	v_add_co_u32 v2, s4, s4, v2
	v_cmp_gt_i32_e32 vcc_lo, 32, v4
	v_lshlrev_b32_e32 v95, 2, v1
	v_add3_u32 v147, s16, v7, v1
	v_cndmask_b32_e32 v4, v8, v4, vcc_lo
	v_add_co_u32 v144, vcc_lo, v2, v3
	s_delay_alu instid0(VALU_DEP_4)
	v_lshl_or_b32 v2, v77, 6, v95
	v_mov_b32_e32 v95, 32
	ds_load_b128 v[69:72], v92 offset:112
	ds_load_b128 v[81:84], v92 offset:128
	ds_load_b128 v[107:110], v92 offset:176
	ds_load_b128 v[115:118], v92 offset:192
	ds_load_b128 v[139:142], v92 offset:240
	s_wait_alu 0xf1ff
	v_add_co_ci_u32_e64 v92, null, s5, 0, s4
	s_cselect_b32 s4, -1, 0
	s_lshl_b64 s[24:25], s[20:21], 2
	v_lshlrev_b32_e32 v146, 2, v4
	s_add_nc_u64 s[24:25], s[22:23], s[24:25]
	s_wait_alu 0xfffd
	v_add_co_ci_u32_e64 v145, null, 0, v92, vcc_lo
	v_add_co_u32 v1, s5, s24, v6
	v_add_nc_u32_e32 v148, 0x220, v2
	s_wait_alu 0xf1ff
	v_add_co_ci_u32_e64 v2, null, s25, 0, s5
	v_mov_b32_e32 v92, 0
	s_sub_co_i32 s15, 1, s17
	s_wait_dscnt 0x4
	v_lshlrev_b32_e32 v65, 16, v69
	v_and_b32_e32 v66, 0xffff0000, v69
	v_lshlrev_b32_e32 v67, 16, v70
	v_and_b32_e32 v68, 0xffff0000, v70
	v_lshlrev_b32_e32 v69, 16, v71
	v_and_b32_e32 v70, 0xffff0000, v71
	v_lshlrev_b32_e32 v71, 16, v72
	v_and_b32_e32 v72, 0xffff0000, v72
	s_wait_dscnt 0x3
	v_lshlrev_b32_e32 v73, 16, v81
	v_and_b32_e32 v74, 0xffff0000, v81
	v_lshlrev_b32_e32 v79, 16, v82
	v_and_b32_e32 v80, 0xffff0000, v82
	v_lshlrev_b32_e32 v81, 16, v83
	v_and_b32_e32 v82, 0xffff0000, v83
	v_lshlrev_b32_e32 v83, 16, v84
	v_and_b32_e32 v84, 0xffff0000, v84
	;; [unrolled: 9-line block ×5, first 2 shown]
	v_mov_b32_e32 v142, 0xff7fffff
	v_cmp_eq_u32_e32 vcc_lo, 0, v76
	s_branch .LBB170_10
.LBB170_9:                              ;   in Loop: Header=BB170_10 Depth=1
	s_wait_alu 0xfffe
	s_or_b32 exec_lo, exec_lo, s6
	v_add_nc_u32_e32 v149, 4, v149
	v_add_co_u32 v1, s6, v1, 16
	v_add_nc_u32_e32 v147, 64, v147
	v_add_nc_u32_e32 v148, 0x100, v148
	s_delay_alu instid0(VALU_DEP_4) | instskip(SKIP_3) | instid1(SALU_CYCLE_1)
	v_cmp_le_i32_e64 s5, s19, v149
	s_wait_alu 0xf1ff
	v_add_co_ci_u32_e64 v2, null, 0, v2, s6
	s_or_b32 s9, s5, s9
	s_and_not1_b32 exec_lo, exec_lo, s9
	s_cbranch_execz .LBB170_12
.LBB170_10:                             ; =>This Inner Loop Header: Depth=1
	global_load_b32 v3, v[1:2], off
	s_wait_loadcnt_dscnt 0x0
	v_mad_co_i64_i32 v[3:4], null, v3, s11, 0
	s_delay_alu instid0(VALU_DEP_1) | instskip(NEXT) | instid1(VALU_DEP_1)
	v_lshlrev_b64_e32 v[3:4], 1, v[3:4]
	v_add_co_u32 v3, s5, v144, v3
	s_wait_alu 0xf1ff
	s_delay_alu instid0(VALU_DEP_2)
	v_add_co_ci_u32_e64 v4, null, v145, v4, s5
	s_clause 0x4
	global_load_b64 v[150:151], v[3:4], off
	global_load_b64 v[152:153], v[3:4], off offset:256
	global_load_b64 v[154:155], v[3:4], off offset:512
	global_load_b64 v[156:157], v[3:4], off offset:768
	global_load_b64 v[158:159], v[3:4], off offset:1024
	s_wait_loadcnt 0x3
	v_lshlrev_b32_e32 v165, 16, v153
	s_wait_loadcnt 0x2
	v_and_b32_e32 v167, 0xffff0000, v154
	v_lshlrev_b32_e32 v166, 16, v154
	v_and_b32_e32 v153, 0xffff0000, v153
	v_lshlrev_b32_e32 v164, 16, v152
	;; [unrolled: 2-line block ×3, first 2 shown]
	global_load_b64 v[154:155], v[3:4], off offset:1536
	v_mul_f32_e32 v153, v16, v153
	v_and_b32_e32 v161, 0xffff0000, v150
	v_lshlrev_b32_e32 v162, 16, v151
	v_and_b32_e32 v152, 0xffff0000, v152
	v_lshlrev_b32_e32 v160, 16, v150
	v_and_b32_e32 v163, 0xffff0000, v151
	global_load_b64 v[150:151], v[3:4], off offset:1280
	s_wait_loadcnt 0x0
	v_and_b32_e32 v177, 0xffff0000, v151
	v_lshlrev_b32_e32 v176, 16, v151
	v_and_b32_e32 v175, 0xffff0000, v150
	v_lshlrev_b32_e32 v174, 16, v150
	v_mul_f32_e32 v150, v13, v164
	v_dual_mul_f32 v151, v14, v152 :: v_dual_mul_f32 v152, v15, v165
	s_delay_alu instid0(VALU_DEP_1) | instskip(NEXT) | instid1(VALU_DEP_2)
	v_dual_fmac_f32 v150, v9, v160 :: v_dual_fmac_f32 v151, v10, v161
	v_dual_fmac_f32 v152, v11, v162 :: v_dual_fmac_f32 v153, v12, v163
	s_delay_alu instid0(VALU_DEP_2) | instskip(SKIP_1) | instid1(VALU_DEP_3)
	v_dual_fmac_f32 v151, v18, v167 :: v_dual_fmac_f32 v150, v17, v166
	v_lshlrev_b32_e32 v171, 16, v157
	v_dual_fmac_f32 v153, v20, v169 :: v_dual_fmac_f32 v152, v19, v168
	v_and_b32_e32 v157, 0xffff0000, v157
	v_lshlrev_b32_e32 v170, 16, v156
	s_delay_alu instid0(VALU_DEP_2) | instskip(NEXT) | instid1(VALU_DEP_2)
	v_dual_fmac_f32 v153, v24, v157 :: v_dual_lshlrev_b32 v172, 16, v158
	v_dual_fmac_f32 v150, v21, v170 :: v_dual_lshlrev_b32 v173, 16, v159
	v_fmac_f32_e32 v152, v23, v171
	v_and_b32_e32 v159, 0xffff0000, v159
	s_delay_alu instid0(VALU_DEP_1) | instskip(NEXT) | instid1(VALU_DEP_1)
	v_dual_fmac_f32 v153, v28, v159 :: v_dual_and_b32 v158, 0xffff0000, v158
	v_dual_fmac_f32 v153, v32, v177 :: v_dual_and_b32 v156, 0xffff0000, v156
	s_delay_alu instid0(VALU_DEP_1) | instskip(SKIP_1) | instid1(VALU_DEP_2)
	v_fmac_f32_e32 v151, v22, v156
	v_fmac_f32_e32 v150, v25, v172
	v_dual_fmac_f32 v152, v27, v173 :: v_dual_fmac_f32 v151, v26, v158
	s_delay_alu instid0(VALU_DEP_1) | instskip(NEXT) | instid1(VALU_DEP_3)
	v_dual_fmac_f32 v152, v31, v176 :: v_dual_fmac_f32 v151, v30, v175
	v_fmac_f32_e32 v150, v29, v174
	v_and_b32_e32 v161, 0xffff0000, v154
	s_delay_alu instid0(VALU_DEP_1)
	v_dual_fmac_f32 v151, v34, v161 :: v_dual_lshlrev_b32 v160, 16, v154
	v_lshlrev_b32_e32 v162, 16, v155
	v_and_b32_e32 v163, 0xffff0000, v155
	global_load_b64 v[154:155], v[3:4], off offset:1792
	s_wait_loadcnt 0x0
	v_dual_fmac_f32 v150, v33, v160 :: v_dual_and_b32 v165, 0xffff0000, v154
	s_delay_alu instid0(VALU_DEP_1)
	v_dual_fmac_f32 v151, v38, v165 :: v_dual_lshlrev_b32 v166, 16, v155
	v_fmac_f32_e32 v152, v35, v162
	v_dual_fmac_f32 v153, v36, v163 :: v_dual_lshlrev_b32 v164, 16, v154
	v_and_b32_e32 v167, 0xffff0000, v155
	global_load_b64 v[154:155], v[3:4], off offset:2048
	s_wait_loadcnt 0x0
	v_dual_fmac_f32 v150, v37, v164 :: v_dual_and_b32 v157, 0xffff0000, v154
	s_delay_alu instid0(VALU_DEP_1)
	v_dual_fmac_f32 v151, v42, v157 :: v_dual_fmac_f32 v152, v39, v166
	v_dual_fmac_f32 v153, v40, v167 :: v_dual_lshlrev_b32 v156, 16, v154
	v_and_b32_e32 v169, 0xffff0000, v155
	v_lshlrev_b32_e32 v168, 16, v155
	global_load_b64 v[154:155], v[3:4], off offset:2304
	v_dual_fmac_f32 v150, v41, v156 :: v_dual_fmac_f32 v153, v44, v169
	s_wait_loadcnt 0x0
	v_dual_fmac_f32 v152, v43, v168 :: v_dual_and_b32 v159, 0xffff0000, v154
	s_delay_alu instid0(VALU_DEP_1) | instskip(SKIP_1) | instid1(VALU_DEP_2)
	v_dual_fmac_f32 v151, v46, v159 :: v_dual_lshlrev_b32 v158, 16, v154
	v_lshlrev_b32_e32 v170, 16, v155
	v_dual_fmac_f32 v150, v45, v158 :: v_dual_and_b32 v171, 0xffff0000, v155
	global_load_b64 v[154:155], v[3:4], off offset:2560
	s_wait_loadcnt 0x0
	v_dual_fmac_f32 v153, v48, v171 :: v_dual_lshlrev_b32 v172, 16, v154
	v_lshlrev_b32_e32 v174, 16, v155
	s_delay_alu instid0(VALU_DEP_2)
	v_dual_fmac_f32 v150, v49, v172 :: v_dual_and_b32 v175, 0xffff0000, v155
	v_and_b32_e32 v173, 0xffff0000, v154
	global_load_b64 v[154:155], v[3:4], off offset:2816
	s_wait_loadcnt 0x0
	v_lshlrev_b32_e32 v160, 16, v154
	v_lshlrev_b32_e32 v162, 16, v155
	s_delay_alu instid0(VALU_DEP_2)
	v_dual_fmac_f32 v150, v53, v160 :: v_dual_and_b32 v161, 0xffff0000, v154
	v_dual_fmac_f32 v151, v50, v173 :: v_dual_fmac_f32 v152, v47, v170
	v_and_b32_e32 v163, 0xffff0000, v155
	global_load_b64 v[154:155], v[3:4], off offset:3072
	s_wait_loadcnt 0x0
	v_dual_fmac_f32 v153, v52, v175 :: v_dual_lshlrev_b32 v164, 16, v154
	v_lshlrev_b32_e32 v166, 16, v155
	s_delay_alu instid0(VALU_DEP_2)
	v_dual_fmac_f32 v150, v57, v164 :: v_dual_and_b32 v165, 0xffff0000, v154
	v_dual_fmac_f32 v151, v54, v161 :: v_dual_fmac_f32 v152, v51, v174
	v_and_b32_e32 v167, 0xffff0000, v155
	global_load_b64 v[154:155], v[3:4], off offset:3328
	s_wait_loadcnt 0x0
	v_dual_fmac_f32 v153, v56, v163 :: v_dual_lshlrev_b32 v156, 16, v154
	s_delay_alu instid0(VALU_DEP_1) | instskip(SKIP_1) | instid1(VALU_DEP_3)
	v_dual_fmac_f32 v150, v61, v156 :: v_dual_fmac_f32 v151, v58, v165
	v_dual_fmac_f32 v152, v55, v162 :: v_dual_and_b32 v169, 0xffff0000, v155
	v_fmac_f32_e32 v153, v60, v167
	s_delay_alu instid0(VALU_DEP_1) | instskip(SKIP_4) | instid1(VALU_DEP_1)
	v_dual_fmac_f32 v153, v64, v169 :: v_dual_lshlrev_b32 v168, 16, v155
	v_and_b32_e32 v157, 0xffff0000, v154
	global_load_b64 v[154:155], v[3:4], off offset:3584
	v_dual_fmac_f32 v151, v62, v157 :: v_dual_fmac_f32 v152, v59, v166
	s_wait_loadcnt 0x0
	v_dual_fmac_f32 v152, v63, v168 :: v_dual_and_b32 v159, 0xffff0000, v154
	s_delay_alu instid0(VALU_DEP_1) | instskip(SKIP_1) | instid1(VALU_DEP_2)
	v_dual_fmac_f32 v151, v66, v159 :: v_dual_lshlrev_b32 v158, 16, v154
	v_lshlrev_b32_e32 v170, 16, v155
	v_dual_fmac_f32 v150, v65, v158 :: v_dual_and_b32 v171, 0xffff0000, v155
	global_load_b64 v[154:155], v[3:4], off offset:3840
	s_wait_loadcnt 0x0
	v_dual_fmac_f32 v153, v68, v171 :: v_dual_lshlrev_b32 v172, 16, v154
	v_lshlrev_b32_e32 v174, 16, v155
	s_delay_alu instid0(VALU_DEP_2)
	v_dual_fmac_f32 v150, v69, v172 :: v_dual_and_b32 v175, 0xffff0000, v155
	v_and_b32_e32 v173, 0xffff0000, v154
	global_load_b64 v[154:155], v[3:4], off offset:4096
	s_wait_loadcnt 0x0
	v_lshlrev_b32_e32 v160, 16, v154
	v_lshlrev_b32_e32 v162, 16, v155
	s_delay_alu instid0(VALU_DEP_2)
	v_dual_fmac_f32 v150, v73, v160 :: v_dual_and_b32 v161, 0xffff0000, v154
	v_dual_fmac_f32 v151, v70, v173 :: v_dual_fmac_f32 v152, v67, v170
	v_and_b32_e32 v163, 0xffff0000, v155
	global_load_b64 v[154:155], v[3:4], off offset:4352
	s_wait_loadcnt 0x0
	v_dual_fmac_f32 v153, v72, v175 :: v_dual_lshlrev_b32 v164, 16, v154
	v_lshlrev_b32_e32 v166, 16, v155
	s_delay_alu instid0(VALU_DEP_2)
	v_dual_fmac_f32 v150, v81, v164 :: v_dual_and_b32 v165, 0xffff0000, v154
	v_dual_fmac_f32 v151, v74, v161 :: v_dual_fmac_f32 v152, v71, v174
	v_and_b32_e32 v167, 0xffff0000, v155
	global_load_b64 v[154:155], v[3:4], off offset:4608
	s_wait_loadcnt 0x0
	v_dual_fmac_f32 v153, v80, v163 :: v_dual_lshlrev_b32 v156, 16, v154
	s_delay_alu instid0(VALU_DEP_1) | instskip(SKIP_1) | instid1(VALU_DEP_3)
	v_dual_fmac_f32 v150, v85, v156 :: v_dual_fmac_f32 v151, v82, v165
	v_dual_fmac_f32 v152, v79, v162 :: v_dual_and_b32 v169, 0xffff0000, v155
	v_fmac_f32_e32 v153, v84, v167
	s_delay_alu instid0(VALU_DEP_1) | instskip(SKIP_4) | instid1(VALU_DEP_1)
	v_dual_fmac_f32 v153, v88, v169 :: v_dual_lshlrev_b32 v168, 16, v155
	v_and_b32_e32 v157, 0xffff0000, v154
	global_load_b64 v[154:155], v[3:4], off offset:4864
	v_dual_fmac_f32 v151, v86, v157 :: v_dual_fmac_f32 v152, v83, v166
	s_wait_loadcnt 0x0
	v_dual_fmac_f32 v152, v87, v168 :: v_dual_and_b32 v159, 0xffff0000, v154
	s_delay_alu instid0(VALU_DEP_1) | instskip(SKIP_1) | instid1(VALU_DEP_2)
	v_dual_fmac_f32 v151, v90, v159 :: v_dual_lshlrev_b32 v158, 16, v154
	v_lshlrev_b32_e32 v170, 16, v155
	v_dual_fmac_f32 v150, v89, v158 :: v_dual_and_b32 v171, 0xffff0000, v155
	global_load_b64 v[154:155], v[3:4], off offset:5120
	s_wait_loadcnt 0x0
	v_dual_fmac_f32 v153, v93, v171 :: v_dual_lshlrev_b32 v172, 16, v154
	v_lshlrev_b32_e32 v174, 16, v155
	s_delay_alu instid0(VALU_DEP_2)
	v_dual_fmac_f32 v150, v94, v172 :: v_dual_and_b32 v175, 0xffff0000, v155
	v_and_b32_e32 v173, 0xffff0000, v154
	global_load_b64 v[154:155], v[3:4], off offset:5376
	s_wait_loadcnt 0x0
	v_lshlrev_b32_e32 v160, 16, v154
	v_lshlrev_b32_e32 v162, 16, v155
	s_delay_alu instid0(VALU_DEP_2)
	v_dual_fmac_f32 v150, v99, v160 :: v_dual_and_b32 v161, 0xffff0000, v154
	v_dual_fmac_f32 v151, v96, v173 :: v_dual_fmac_f32 v152, v91, v170
	v_and_b32_e32 v163, 0xffff0000, v155
	global_load_b64 v[154:155], v[3:4], off offset:5632
	s_wait_loadcnt 0x0
	v_dual_fmac_f32 v153, v98, v175 :: v_dual_lshlrev_b32 v164, 16, v154
	v_lshlrev_b32_e32 v166, 16, v155
	s_delay_alu instid0(VALU_DEP_2)
	v_dual_fmac_f32 v150, v103, v164 :: v_dual_and_b32 v165, 0xffff0000, v154
	v_dual_fmac_f32 v151, v100, v161 :: v_dual_fmac_f32 v152, v97, v174
	v_and_b32_e32 v167, 0xffff0000, v155
	global_load_b64 v[154:155], v[3:4], off offset:5888
	s_wait_loadcnt 0x0
	v_dual_fmac_f32 v153, v102, v163 :: v_dual_lshlrev_b32 v156, 16, v154
	s_delay_alu instid0(VALU_DEP_1) | instskip(SKIP_1) | instid1(VALU_DEP_3)
	v_dual_fmac_f32 v150, v107, v156 :: v_dual_fmac_f32 v151, v104, v165
	v_dual_fmac_f32 v152, v101, v162 :: v_dual_and_b32 v169, 0xffff0000, v155
	v_fmac_f32_e32 v153, v106, v167
	s_delay_alu instid0(VALU_DEP_1) | instskip(SKIP_4) | instid1(VALU_DEP_1)
	v_dual_fmac_f32 v153, v110, v169 :: v_dual_lshlrev_b32 v168, 16, v155
	v_and_b32_e32 v157, 0xffff0000, v154
	global_load_b64 v[154:155], v[3:4], off offset:6144
	v_dual_fmac_f32 v151, v108, v157 :: v_dual_fmac_f32 v152, v105, v166
	s_wait_loadcnt 0x0
	v_dual_fmac_f32 v152, v109, v168 :: v_dual_and_b32 v159, 0xffff0000, v154
	s_delay_alu instid0(VALU_DEP_1) | instskip(SKIP_1) | instid1(VALU_DEP_2)
	v_dual_fmac_f32 v151, v112, v159 :: v_dual_lshlrev_b32 v158, 16, v154
	v_lshlrev_b32_e32 v170, 16, v155
	v_dual_fmac_f32 v150, v111, v158 :: v_dual_and_b32 v171, 0xffff0000, v155
	global_load_b64 v[154:155], v[3:4], off offset:6400
	s_wait_loadcnt 0x0
	v_dual_fmac_f32 v153, v114, v171 :: v_dual_lshlrev_b32 v172, 16, v154
	v_lshlrev_b32_e32 v174, 16, v155
	s_delay_alu instid0(VALU_DEP_2)
	v_dual_fmac_f32 v150, v115, v172 :: v_dual_and_b32 v175, 0xffff0000, v155
	v_and_b32_e32 v173, 0xffff0000, v154
	global_load_b64 v[154:155], v[3:4], off offset:6656
	s_wait_loadcnt 0x0
	v_lshlrev_b32_e32 v160, 16, v154
	v_lshlrev_b32_e32 v162, 16, v155
	s_delay_alu instid0(VALU_DEP_2)
	v_dual_fmac_f32 v150, v119, v160 :: v_dual_and_b32 v161, 0xffff0000, v154
	v_dual_fmac_f32 v151, v116, v173 :: v_dual_fmac_f32 v152, v113, v170
	v_and_b32_e32 v163, 0xffff0000, v155
	global_load_b64 v[154:155], v[3:4], off offset:6912
	s_wait_loadcnt 0x0
	v_dual_fmac_f32 v153, v118, v175 :: v_dual_lshlrev_b32 v164, 16, v154
	v_lshlrev_b32_e32 v166, 16, v155
	s_delay_alu instid0(VALU_DEP_2)
	v_dual_fmac_f32 v150, v123, v164 :: v_dual_and_b32 v165, 0xffff0000, v154
	v_dual_fmac_f32 v151, v120, v161 :: v_dual_fmac_f32 v152, v117, v174
	v_and_b32_e32 v167, 0xffff0000, v155
	global_load_b64 v[154:155], v[3:4], off offset:7168
	s_wait_loadcnt 0x0
	v_dual_fmac_f32 v153, v122, v163 :: v_dual_lshlrev_b32 v156, 16, v154
	s_delay_alu instid0(VALU_DEP_1) | instskip(SKIP_1) | instid1(VALU_DEP_3)
	v_dual_fmac_f32 v150, v127, v156 :: v_dual_fmac_f32 v151, v124, v165
	v_dual_fmac_f32 v152, v121, v162 :: v_dual_and_b32 v169, 0xffff0000, v155
	v_fmac_f32_e32 v153, v126, v167
	s_delay_alu instid0(VALU_DEP_1) | instskip(SKIP_4) | instid1(VALU_DEP_1)
	v_dual_fmac_f32 v153, v130, v169 :: v_dual_lshlrev_b32 v168, 16, v155
	v_and_b32_e32 v157, 0xffff0000, v154
	global_load_b64 v[154:155], v[3:4], off offset:7424
	v_dual_fmac_f32 v151, v128, v157 :: v_dual_fmac_f32 v152, v125, v166
	s_wait_loadcnt 0x0
	v_dual_fmac_f32 v152, v129, v168 :: v_dual_and_b32 v159, 0xffff0000, v154
	s_delay_alu instid0(VALU_DEP_1) | instskip(SKIP_1) | instid1(VALU_DEP_2)
	v_dual_fmac_f32 v151, v132, v159 :: v_dual_lshlrev_b32 v158, 16, v154
	v_lshlrev_b32_e32 v170, 16, v155
	v_dual_fmac_f32 v150, v131, v158 :: v_dual_and_b32 v171, 0xffff0000, v155
	s_clause 0x1
	global_load_b64 v[154:155], v[3:4], off offset:7680
	global_load_b64 v[3:4], v[3:4], off offset:7936
	s_wait_loadcnt 0x1
	v_dual_fmac_f32 v153, v134, v171 :: v_dual_lshlrev_b32 v160, 16, v154
	s_wait_loadcnt 0x0
	v_lshlrev_b32_e32 v156, 16, v3
	s_delay_alu instid0(VALU_DEP_2) | instskip(NEXT) | instid1(VALU_DEP_1)
	v_dual_fmac_f32 v150, v135, v160 :: v_dual_and_b32 v3, 0xffff0000, v3
	v_fmac_f32_e32 v150, v139, v156
	v_and_b32_e32 v154, 0xffff0000, v154
	s_delay_alu instid0(VALU_DEP_1) | instskip(SKIP_2) | instid1(VALU_DEP_2)
	v_fmac_f32_e32 v151, v136, v154
	v_dual_fmac_f32 v152, v133, v170 :: v_dual_lshlrev_b32 v161, 16, v155
	v_and_b32_e32 v155, 0xffff0000, v155
	v_dual_fmac_f32 v151, v140, v3 :: v_dual_fmac_f32 v152, v137, v161
	s_delay_alu instid0(VALU_DEP_2) | instskip(NEXT) | instid1(VALU_DEP_2)
	v_dual_fmac_f32 v153, v138, v155 :: v_dual_lshlrev_b32 v154, 16, v4
	v_dual_add_f32 v4, v150, v151 :: v_dual_and_b32 v3, 0xffff0000, v4
	s_delay_alu instid0(VALU_DEP_1) | instskip(NEXT) | instid1(VALU_DEP_1)
	v_dual_fmac_f32 v152, v141, v154 :: v_dual_fmac_f32 v153, v143, v3
	v_add_f32_e32 v3, v4, v152
	s_delay_alu instid0(VALU_DEP_1)
	v_add_f32_e32 v3, v153, v3
	ds_bpermute_b32 v4, v146, v3
	s_and_saveexec_b32 s6, vcc_lo
	s_cbranch_execz .LBB170_9
; %bb.11:                               ;   in Loop: Header=BB170_10 Depth=1
	s_wait_dscnt 0x0
	v_dual_add_f32 v3, v3, v4 :: v_dual_add_nc_u32 v150, s15, v147
	v_cmp_gt_i32_e64 s5, s17, v147
	s_delay_alu instid0(VALU_DEP_2) | instskip(NEXT) | instid1(VALU_DEP_1)
	v_cvt_f32_i32_e32 v150, v150
	v_mul_f32_e32 v150, s10, v150
	s_wait_alu 0xfffe
	s_delay_alu instid0(VALU_DEP_1) | instskip(SKIP_1) | instid1(VALU_DEP_2)
	v_cndmask_b32_e64 v4, 0, v150, s4
	v_max_num_f32_e32 v150, v142, v142
	v_fmac_f32_e32 v4, s7, v3
	s_delay_alu instid0(VALU_DEP_1) | instskip(SKIP_2) | instid1(VALU_DEP_2)
	v_max_num_f32_e32 v3, v150, v4
	s_wait_alu 0xf1ff
	v_cndmask_b32_e64 v4, 0, v4, s5
	v_cndmask_b32_e64 v142, v142, v3, s5
	ds_store_b32 v148, v4
	s_branch .LBB170_9
.LBB170_12:
	s_or_b32 exec_lo, exec_lo, s9
.LBB170_13:
	s_delay_alu instid0(SALU_CYCLE_1)
	s_or_b32 exec_lo, exec_lo, s8
	v_xor_b32_e32 v1, 16, v8
	v_xor_b32_e32 v2, 8, v8
	s_clause 0x2
	s_load_b128 s[8:11], s[0:1], 0x0
	s_load_b64 s[6:7], s[0:1], 0x10
	s_load_b64 s[24:25], s[0:1], 0x28
	s_wait_dscnt 0x0
	v_dual_max_num_f32 v4, v142, v142 :: v_dual_lshlrev_b32 v11, 2, v77
	v_cmp_lt_i32_e32 vcc_lo, v1, v95
	v_and_b32_e32 v79, 31, v0
	s_wait_alu 0xfffd
	v_cndmask_b32_e32 v1, v8, v1, vcc_lo
	v_cmp_lt_i32_e32 vcc_lo, v2, v95
	s_wait_alu 0xfffd
	s_delay_alu instid0(VALU_DEP_2) | instskip(SKIP_3) | instid1(VALU_DEP_1)
	v_dual_cndmask_b32 v2, v8, v2 :: v_dual_lshlrev_b32 v3, 2, v1
	ds_bpermute_b32 v1, v3, v142
	s_wait_dscnt 0x0
	v_max_num_f32_e32 v1, v1, v1
	v_max_num_f32_e32 v1, v4, v1
	v_xor_b32_e32 v4, 4, v8
	s_delay_alu instid0(VALU_DEP_1) | instskip(SKIP_2) | instid1(VALU_DEP_1)
	v_cmp_lt_i32_e32 vcc_lo, v4, v95
	s_wait_alu 0xfffd
	v_cndmask_b32_e32 v4, v8, v4, vcc_lo
	v_lshlrev_b32_e32 v10, 2, v4
	v_xor_b32_e32 v4, 2, v8
	s_delay_alu instid0(VALU_DEP_1)
	v_cmp_lt_i32_e32 vcc_lo, v4, v95
	s_wait_alu 0xfffd
	v_dual_cndmask_b32 v4, v8, v4 :: v_dual_lshlrev_b32 v9, 2, v2
	ds_bpermute_b32 v2, v9, v1
	v_cmp_eq_u32_e32 vcc_lo, 0, v79
	s_wait_dscnt 0x0
	v_max_num_f32_e32 v2, v2, v2
	s_delay_alu instid0(VALU_DEP_1) | instskip(SKIP_3) | instid1(VALU_DEP_1)
	v_max_num_f32_e32 v1, v1, v2
	ds_bpermute_b32 v2, v10, v1
	s_wait_dscnt 0x0
	v_max_num_f32_e32 v2, v2, v2
	v_dual_max_num_f32 v1, v1, v2 :: v_dual_lshlrev_b32 v2, 2, v4
	ds_bpermute_b32 v4, v2, v1
	s_and_saveexec_b32 s0, vcc_lo
	s_cbranch_execz .LBB170_15
; %bb.14:
	s_wait_dscnt 0x0
	v_dual_max_num_f32 v4, v4, v4 :: v_dual_max_num_f32 v1, v1, v1
	s_delay_alu instid0(VALU_DEP_1)
	v_max_num_f32_e32 v1, v1, v4
	ds_store_b32 v11, v1 offset:512
.LBB170_15:
	s_or_b32 exec_lo, exec_lo, s0
	v_cmp_gt_u32_e64 s0, 4, v79
	v_dual_mov_b32 v1, 0xff7fffff :: v_dual_lshlrev_b32 v12, 2, v79
	s_wait_loadcnt_dscnt 0x0
	s_barrier_signal -1
	s_barrier_wait -1
	global_inv scope:SCOPE_SE
	s_and_saveexec_b32 s1, s0
; %bb.16:
	ds_load_b32 v1, v12 offset:512
; %bb.17:
	s_or_b32 exec_lo, exec_lo, s1
	s_wait_dscnt 0x0
	ds_bpermute_b32 v4, v2, v1
	v_xor_b32_e32 v13, 1, v8
	v_max_num_f32_e32 v1, v1, v1
	s_delay_alu instid0(VALU_DEP_2) | instskip(NEXT) | instid1(VALU_DEP_1)
	v_cmp_lt_i32_e64 s1, v13, v95
	v_cndmask_b32_e64 v13, v8, v13, s1
	s_sub_co_i32 s1, s19, s30
	s_wait_alu 0xfffe
	s_lshl_b32 s1, s1, 4
	s_wait_alu 0xfffe
	s_add_co_i32 s1, s1, s16
	s_wait_alu 0xfffe
	s_min_i32 s1, s1, s17
	s_wait_alu 0xfffe
	s_sub_co_i32 s5, s1, s16
	s_wait_dscnt 0x0
	v_max_num_f32_e32 v4, v4, v4
	v_lshlrev_b32_e32 v80, 2, v13
	s_wait_alu 0xfffe
	v_cmp_gt_i32_e64 s1, s5, v0
	v_mov_b32_e32 v13, 0
	v_max_num_f32_e32 v1, v1, v4
	ds_bpermute_b32 v4, v80, v1
	s_wait_dscnt 0x0
	v_max_num_f32_e32 v4, v4, v4
	s_delay_alu instid0(VALU_DEP_1)
	v_max_num_f32_e32 v1, v1, v4
	v_lshlrev_b32_e32 v4, 2, v92
	ds_bpermute_b32 v1, v4, v1
	v_lshl_add_u32 v4, v0, 2, 0x220
	s_and_saveexec_b32 s15, s1
	s_cbranch_execz .LBB170_21
; %bb.18:
	v_lshl_add_u32 v14, v0, 2, 0x220
	v_mov_b32_e32 v13, 0
	v_mov_b32_e32 v15, v0
	s_mov_b32 s30, 0
.LBB170_19:                             ; =>This Inner Loop Header: Depth=1
	ds_load_b32 v16, v14
	v_add_nc_u32_e32 v15, 0x80, v15
	s_delay_alu instid0(VALU_DEP_1) | instskip(SKIP_4) | instid1(VALU_DEP_1)
	v_cmp_le_i32_e64 s4, s5, v15
	s_wait_alu 0xfffe
	s_or_b32 s30, s4, s30
	s_wait_dscnt 0x0
	v_sub_f32_e32 v16, v16, v1
	v_mul_f32_e32 v16, 0x3fb8aa3b, v16
	s_delay_alu instid0(VALU_DEP_1)
	v_exp_f32_e32 v16, v16
	ds_store_b32 v14, v16
	v_dual_add_f32 v13, v13, v16 :: v_dual_add_nc_u32 v14, 0x200, v14
	s_wait_alu 0xfffe
	s_and_not1_b32 exec_lo, exec_lo, s30
	s_cbranch_execnz .LBB170_19
; %bb.20:
	s_or_b32 exec_lo, exec_lo, s30
.LBB170_21:
	s_wait_alu 0xfffe
	s_or_b32 exec_lo, exec_lo, s15
	ds_bpermute_b32 v3, v3, v13
	s_wait_dscnt 0x0
	v_add_f32_e32 v3, v13, v3
	ds_bpermute_b32 v9, v9, v3
	s_wait_dscnt 0x0
	v_add_f32_e32 v3, v3, v9
	;; [unrolled: 3-line block ×5, first 2 shown]
	s_and_saveexec_b32 s4, vcc_lo
; %bb.22:
	ds_store_b32 v11, v3 offset:528
; %bb.23:
	s_wait_alu 0xfffe
	s_or_b32 exec_lo, exec_lo, s4
	s_wait_loadcnt_dscnt 0x0
	s_barrier_signal -1
	s_barrier_wait -1
	global_inv scope:SCOPE_SE
	s_and_saveexec_b32 s4, s0
; %bb.24:
	ds_load_b32 v3, v12 offset:528
; %bb.25:
	s_wait_alu 0xfffe
	s_or_b32 exec_lo, exec_lo, s4
	s_wait_dscnt 0x0
	ds_bpermute_b32 v2, v2, v3
	v_lshlrev_b32_e32 v8, 2, v8
	s_wait_dscnt 0x0
	v_add_f32_e32 v2, v3, v2
	ds_bpermute_b32 v3, v80, v2
	s_wait_dscnt 0x0
	v_dual_add_f32 v2, v2, v3 :: v_dual_and_b32 v3, 0xffffff80, v8
	ds_bpermute_b32 v2, v3, v2
	s_and_saveexec_b32 s0, s1
	s_cbranch_execz .LBB170_28
; %bb.26:
	s_wait_dscnt 0x0
	v_add_f32_e32 v3, 0x358637bd, v2
	s_mov_b32 s1, 0
	s_delay_alu instid0(VALU_DEP_1) | instskip(SKIP_1) | instid1(VALU_DEP_2)
	v_div_scale_f32 v8, null, v3, v3, 1.0
	v_div_scale_f32 v11, vcc_lo, 1.0, v3, 1.0
	v_rcp_f32_e32 v9, v8
	s_delay_alu instid0(TRANS32_DEP_1) | instskip(NEXT) | instid1(VALU_DEP_1)
	v_fma_f32 v10, -v8, v9, 1.0
	v_fmac_f32_e32 v9, v10, v9
	s_delay_alu instid0(VALU_DEP_1) | instskip(NEXT) | instid1(VALU_DEP_1)
	v_mul_f32_e32 v10, v11, v9
	v_fma_f32 v12, -v8, v10, v11
	s_delay_alu instid0(VALU_DEP_1) | instskip(NEXT) | instid1(VALU_DEP_1)
	v_fmac_f32_e32 v10, v12, v9
	v_fma_f32 v8, -v8, v10, v11
	s_wait_alu 0xfffd
	s_delay_alu instid0(VALU_DEP_1) | instskip(NEXT) | instid1(VALU_DEP_1)
	v_div_fmas_f32 v8, v8, v9, v10
	v_div_fixup_f32 v3, v8, v3, 1.0
	v_mov_b32_e32 v8, v0
.LBB170_27:                             ; =>This Inner Loop Header: Depth=1
	ds_load_b32 v9, v4
	s_wait_dscnt 0x0
	v_dual_mul_f32 v9, v3, v9 :: v_dual_add_nc_u32 v8, 0x80, v8
	s_delay_alu instid0(VALU_DEP_1)
	v_cmp_le_i32_e32 vcc_lo, s5, v8
	ds_store_b32 v4, v9
	v_add_nc_u32_e32 v4, 0x200, v4
	s_wait_alu 0xfffe
	s_or_b32 s1, vcc_lo, s1
	s_wait_alu 0xfffe
	s_and_not1_b32 exec_lo, exec_lo, s1
	s_cbranch_execnz .LBB170_27
.LBB170_28:
	s_wait_alu 0xfffe
	s_or_b32 exec_lo, exec_lo, s0
	s_wait_kmcnt 0x0
	s_mul_i32 s0, s12, s27
	s_wait_loadcnt_dscnt 0x0
	s_wait_alu 0xfffe
	s_mul_i32 s4, s0, s28
	s_mov_b32 s0, exec_lo
	s_barrier_signal -1
	s_barrier_wait -1
	global_inv scope:SCOPE_SE
	v_cmpx_eq_u32_e32 0, v0
	s_cbranch_execz .LBB170_30
; %bb.29:
	s_wait_alu 0xfffe
	s_ashr_i32 s5, s4, 31
	s_mul_i32 s30, s12, ttmp9
	s_lshl_b32 s1, s26, 2
	s_wait_alu 0xfffe
	s_lshl_b64 s[34:35], s[4:5], 2
	s_ashr_i32 s31, s30, 31
	v_mov_b32_e32 v3, s1
	s_add_nc_u64 s[10:11], s[10:11], s[34:35]
	s_wait_alu 0xfffe
	s_lshl_b64 s[26:27], s[30:31], 2
	s_add_nc_u64 s[8:9], s[8:9], s[34:35]
	s_add_nc_u64 s[10:11], s[10:11], s[26:27]
	;; [unrolled: 1-line block ×3, first 2 shown]
	s_clause 0x1
	global_store_b32 v3, v1, s[10:11]
	global_store_b32 v3, v2, s[8:9]
.LBB170_30:
	s_wait_alu 0xfffe
	s_or_b32 exec_lo, exec_lo, s0
	v_dual_mov_b32 v95, 0 :: v_dual_mov_b32 v96, 0
	v_dual_mov_b32 v94, 0 :: v_dual_mov_b32 v93, 0
	;; [unrolled: 1-line block ×8, first 2 shown]
	s_and_saveexec_b32 s1, s3
	s_cbranch_execz .LBB170_66
; %bb.31:
	v_dual_mov_b32 v81, 0 :: v_dual_lshlrev_b32 v2, 4, v0
	s_ashr_i32 s15, s14, 31
	v_dual_mov_b32 v84, 0 :: v_dual_lshlrev_b32 v3, 5, v76
	s_delay_alu instid0(VALU_DEP_2)
	v_dual_mov_b32 v83, 0 :: v_dual_and_b32 v2, 0x1f0, v2
	s_wait_alu 0xfffe
	s_lshl_b64 s[8:9], s[14:15], 1
	v_dual_mov_b32 v82, 0 :: v_dual_and_b32 v1, 8, v5
	s_add_nc_u64 s[8:9], s[24:25], s[8:9]
	v_lshl_or_b32 v3, v77, 6, v3
	v_add_co_u32 v97, s0, s8, v2
	s_wait_alu 0xf1ff
	v_add_co_ci_u32_e64 v98, null, s9, 0, s0
	s_lshl_b64 s[8:9], s[20:21], 2
	v_add3_u32 v99, s16, v7, v1
	s_wait_alu 0xfffe
	s_add_nc_u64 s[8:9], s[22:23], s[8:9]
	v_dual_mov_b32 v85, 0 :: v_dual_add_nc_u32 v100, 0x220, v3
	s_wait_alu 0xfffe
	v_add_co_u32 v73, s0, s8, v6
	s_wait_alu 0xf1ff
	v_add_co_ci_u32_e64 v74, null, s9, 0, s0
	v_dual_mov_b32 v86, 0 :: v_dual_mov_b32 v87, 0
	v_dual_mov_b32 v88, 0 :: v_dual_mov_b32 v89, 0
	;; [unrolled: 1-line block ×5, first 2 shown]
	v_mov_b32_e32 v96, 0
	s_mov_b32 s3, s13
	s_add_co_i32 s5, s29, -1
	s_mov_b32 s9, s17
	s_mov_b32 s8, 0
	s_branch .LBB170_33
.LBB170_32:                             ;   in Loop: Header=BB170_33 Depth=1
	s_wait_alu 0xfffe
	s_or_b32 exec_lo, exec_lo, s0
	s_wait_dscnt 0x1
	v_bfe_u32 v101, v49, 16, 1
	v_bfe_u32 v102, v50, 16, 1
	v_or_b32_e32 v103, 0x400000, v49
	v_cmp_u_f32_e32 vcc_lo, v49, v49
	v_or_b32_e32 v104, 0x400000, v50
	v_add3_u32 v101, v101, v49, 0x7fff
	v_bfe_u32 v105, v51, 16, 1
	v_add3_u32 v102, v102, v50, 0x7fff
	v_bfe_u32 v106, v52, 16, 1
	v_add_co_u32 v73, s0, v73, 16
	s_wait_alu 0xfffd
	v_cndmask_b32_e32 v49, v101, v103, vcc_lo
	v_cmp_u_f32_e32 vcc_lo, v50, v50
	v_add3_u32 v101, v105, v51, 0x7fff
	s_wait_dscnt 0x0
	v_bfe_u32 v103, v45, 16, 1
	v_or_b32_e32 v105, 0x400000, v52
	s_wait_alu 0xfffd
	v_dual_cndmask_b32 v50, v102, v104 :: v_dual_add_nc_u32 v99, 64, v99
	v_or_b32_e32 v102, 0x400000, v51
	v_cmp_u_f32_e32 vcc_lo, v51, v51
	v_add3_u32 v104, v106, v52, 0x7fff
	s_wait_alu 0xf1ff
	v_add_co_ci_u32_e64 v74, null, 0, v74, s0
	v_and_b32_e32 v49, 0xffff0000, v49
	s_wait_alu 0xfffd
	v_cndmask_b32_e32 v51, v101, v102, vcc_lo
	v_cmp_u_f32_e32 vcc_lo, v52, v52
	v_add3_u32 v101, v103, v45, 0x7fff
	v_or_b32_e32 v102, 0x400000, v45
	v_bfe_u32 v103, v46, 16, 1
	v_add_nc_u32_e32 v100, 0x100, v100
	s_wait_alu 0xfffd
	v_cndmask_b32_e32 v52, v104, v105, vcc_lo
	v_cmp_u_f32_e32 vcc_lo, v45, v45
	v_or_b32_e32 v104, 0x400000, v46
	v_add3_u32 v103, v103, v46, 0x7fff
	v_or_b32_e32 v105, 0x400000, v47
	v_add_nc_u32_e32 v78, 4, v78
	s_wait_alu 0xfffd
	v_cndmask_b32_e32 v101, v101, v102, vcc_lo
	v_bfe_u32 v102, v47, 16, 1
	v_cmp_u_f32_e32 vcc_lo, v46, v46
	v_and_b32_e32 v45, 0xffff0000, v50
	s_wait_loadcnt 0x1
	v_and_b32_e32 v50, 0xffff0000, v69
	v_add3_u32 v102, v102, v47, 0x7fff
	s_wait_alu 0xfffd
	v_cndmask_b32_e32 v46, v103, v104, vcc_lo
	v_bfe_u32 v103, v48, 16, 1
	v_mul_f32_e32 v50, v45, v50
	v_cmp_u_f32_e32 vcc_lo, v47, v47
	v_or_b32_e32 v104, 0x400000, v48
	v_and_b32_e32 v46, 0xffff0000, v46
	v_add3_u32 v103, v103, v48, 0x7fff
	v_bfe_u32 v47, v50, 16, 1
	s_wait_alu 0xfffd
	v_cndmask_b32_e32 v102, v102, v105, vcc_lo
	v_cmp_u_f32_e32 vcc_lo, v48, v48
	v_lshlrev_b32_e32 v69, 16, v69
	v_or_b32_e32 v106, 0x400000, v50
	v_add3_u32 v105, v47, v50, 0x7fff
	v_and_b32_e32 v47, 0xffff0000, v52
	v_and_b32_e32 v52, 0xffff0000, v70
	s_wait_alu 0xfffd
	v_dual_cndmask_b32 v48, v103, v104 :: v_dual_mul_f32 v69, v49, v69
	v_cmp_u_f32_e32 vcc_lo, v50, v50
	v_and_b32_e32 v50, 0xffff0000, v51
	v_lshlrev_b32_e32 v51, 16, v70
	s_delay_alu instid0(VALU_DEP_4)
	v_and_b32_e32 v48, 0xffff0000, v48
	v_bfe_u32 v104, v69, 16, 1
	s_wait_alu 0xfffd
	v_cndmask_b32_e32 v103, v105, v106, vcc_lo
	v_mul_f32_e32 v105, v47, v52
	v_cmp_u_f32_e32 vcc_lo, v69, v69
	v_add3_u32 v70, v104, v69, 0x7fff
	v_or_b32_e32 v104, 0x400000, v69
	s_delay_alu instid0(VALU_DEP_4)
	v_bfe_u32 v106, v105, 16, 1
	v_and_b32_e32 v52, 0xffff0000, v71
	v_and_b32_e32 v103, 0xffff0000, v103
	s_wait_alu 0xfffd
	v_cndmask_b32_e32 v69, v70, v104, vcc_lo
	v_add3_u32 v70, v106, v105, 0x7fff
	v_or_b32_e32 v104, 0x400000, v105
	v_cmp_u_f32_e32 vcc_lo, v105, v105
	v_dual_mul_f32 v107, v46, v52 :: v_dual_and_b32 v52, 0xffff0000, v101
	s_wait_alu 0xfffd
	s_delay_alu instid0(VALU_DEP_3) | instskip(SKIP_1) | instid1(VALU_DEP_2)
	v_dual_cndmask_b32 v70, v70, v104 :: v_dual_and_b32 v69, 0xffff0000, v69
	v_mul_f32_e32 v51, v50, v51
	v_dual_add_f32 v69, v69, v103 :: v_dual_and_b32 v70, 0xffff0000, v70
	s_delay_alu instid0(VALU_DEP_2) | instskip(SKIP_2) | instid1(VALU_DEP_3)
	v_bfe_u32 v106, v51, 16, 1
	v_or_b32_e32 v104, 0x400000, v51
	v_cmp_u_f32_e32 vcc_lo, v51, v51
	v_add3_u32 v101, v106, v51, 0x7fff
	v_and_b32_e32 v106, 0xffff0000, v72
	v_and_b32_e32 v51, 0xffff0000, v102
	v_lshlrev_b32_e32 v72, 16, v72
	v_lshlrev_b32_e32 v71, 16, v71
	s_wait_alu 0xfffd
	v_dual_cndmask_b32 v101, v101, v104 :: v_dual_mul_f32 v104, v48, v106
	v_bfe_u32 v108, v107, 16, 1
	s_delay_alu instid0(VALU_DEP_3) | instskip(SKIP_1) | instid1(VALU_DEP_3)
	v_dual_mul_f32 v72, v51, v72 :: v_dual_mul_f32 v71, v52, v71
	v_cmp_u_f32_e32 vcc_lo, v107, v107
	v_add3_u32 v105, v108, v107, 0x7fff
	v_or_b32_e32 v108, 0x400000, v107
	s_delay_alu instid0(VALU_DEP_4) | instskip(SKIP_2) | instid1(VALU_DEP_3)
	v_bfe_u32 v109, v71, 16, 1
	v_or_b32_e32 v107, 0x400000, v71
	s_wait_alu 0xfffd
	v_cndmask_b32_e32 v105, v105, v108, vcc_lo
	s_delay_alu instid0(VALU_DEP_3) | instskip(SKIP_2) | instid1(VALU_DEP_4)
	v_add3_u32 v106, v109, v71, 0x7fff
	v_bfe_u32 v108, v104, 16, 1
	v_cmp_u_f32_e32 vcc_lo, v71, v71
	v_and_b32_e32 v103, 0xffff0000, v105
	v_or_b32_e32 v105, 0x400000, v72
	s_delay_alu instid0(VALU_DEP_4)
	v_add3_u32 v102, v108, v104, 0x7fff
	s_wait_alu 0xfffd
	v_cndmask_b32_e32 v71, v106, v107, vcc_lo
	v_or_b32_e32 v106, 0x400000, v104
	v_cmp_u_f32_e32 vcc_lo, v104, v104
	v_bfe_u32 v104, v72, 16, 1
	s_wait_alu 0xfffd
	s_delay_alu instid0(VALU_DEP_3) | instskip(NEXT) | instid1(VALU_DEP_2)
	v_cndmask_b32_e32 v102, v102, v106, vcc_lo
	v_add3_u32 v104, v104, v72, 0x7fff
	v_cmp_u_f32_e32 vcc_lo, v72, v72
	v_and_b32_e32 v101, 0xffff0000, v101
	v_and_b32_e32 v106, 0xffff0000, v68
	;; [unrolled: 1-line block ×3, first 2 shown]
	v_lshlrev_b32_e32 v68, 16, v68
	s_wait_alu 0xfffd
	v_dual_cndmask_b32 v72, v104, v105 :: v_dual_and_b32 v105, 0xffff0000, v67
	s_delay_alu instid0(VALU_DEP_3) | instskip(SKIP_1) | instid1(VALU_DEP_3)
	v_dual_add_f32 v70, v101, v70 :: v_dual_add_f32 v71, v71, v103
	v_and_b32_e32 v101, 0xffff0000, v65
	v_dual_mul_f32 v105, v46, v105 :: v_dual_and_b32 v72, 0xffff0000, v72
	s_delay_alu instid0(VALU_DEP_3) | instskip(NEXT) | instid1(VALU_DEP_3)
	v_add_f32_e32 v69, v70, v69
	v_mul_f32_e32 v70, v45, v101
	v_mul_f32_e32 v68, v51, v68
	s_delay_alu instid0(VALU_DEP_3) | instskip(SKIP_1) | instid1(VALU_DEP_4)
	v_add_f32_e32 v69, v71, v69
	v_and_b32_e32 v71, 0xffff0000, v66
	v_bfe_u32 v101, v70, 16, 1
	v_or_b32_e32 v103, 0x400000, v70
	v_cmp_u_f32_e32 vcc_lo, v70, v70
	s_delay_alu instid0(VALU_DEP_4) | instskip(NEXT) | instid1(VALU_DEP_4)
	v_dual_mul_f32 v71, v47, v71 :: v_dual_lshlrev_b32 v66, 16, v66
	v_add3_u32 v101, v101, v70, 0x7fff
	v_lshlrev_b32_e32 v65, 16, v65
	s_delay_alu instid0(VALU_DEP_3) | instskip(SKIP_4) | instid1(VALU_DEP_2)
	v_dual_mul_f32 v66, v50, v66 :: v_dual_lshlrev_b32 v67, 16, v67
	v_bfe_u32 v109, v68, 16, 1
	s_wait_alu 0xfffd
	v_cndmask_b32_e32 v70, v101, v103, vcc_lo
	v_mul_f32_e32 v65, v49, v65
	v_dual_mul_f32 v67, v52, v67 :: v_dual_and_b32 v70, 0xffff0000, v70
	s_delay_alu instid0(VALU_DEP_2) | instskip(SKIP_2) | instid1(VALU_DEP_4)
	v_bfe_u32 v104, v65, 16, 1
	v_or_b32_e32 v103, 0x400000, v65
	v_cmp_u_f32_e32 vcc_lo, v65, v65
	v_or_b32_e32 v107, 0x400000, v67
	s_delay_alu instid0(VALU_DEP_4) | instskip(SKIP_2) | instid1(VALU_DEP_2)
	v_add3_u32 v101, v104, v65, 0x7fff
	v_bfe_u32 v104, v71, 16, 1
	s_wait_alu 0xfffd
	v_cndmask_b32_e32 v65, v101, v103, vcc_lo
	s_delay_alu instid0(VALU_DEP_2)
	v_add3_u32 v101, v104, v71, 0x7fff
	v_or_b32_e32 v103, 0x400000, v71
	v_bfe_u32 v104, v66, 16, 1
	v_cmp_u_f32_e32 vcc_lo, v71, v71
	v_and_b32_e32 v65, 0xffff0000, v65
	s_wait_alu 0xfffd
	v_cndmask_b32_e32 v71, v101, v103, vcc_lo
	v_add3_u32 v101, v104, v66, 0x7fff
	v_or_b32_e32 v103, 0x400000, v66
	v_bfe_u32 v104, v105, 16, 1
	v_cmp_u_f32_e32 vcc_lo, v66, v66
	v_and_b32_e32 v71, 0xffff0000, v71
	s_wait_alu 0xfffd
	v_cndmask_b32_e32 v66, v101, v103, vcc_lo
	v_bfe_u32 v101, v67, 16, 1
	v_add3_u32 v103, v104, v105, 0x7fff
	v_mul_f32_e32 v104, v48, v106
	v_or_b32_e32 v106, 0x400000, v105
	v_cmp_u_f32_e32 vcc_lo, v105, v105
	v_add3_u32 v101, v101, v67, 0x7fff
	v_and_b32_e32 v66, 0xffff0000, v66
	v_bfe_u32 v108, v104, 16, 1
	v_add3_u32 v105, v109, v68, 0x7fff
	s_wait_alu 0xfffd
	v_cndmask_b32_e32 v103, v103, v106, vcc_lo
	v_cmp_u_f32_e32 vcc_lo, v67, v67
	v_or_b32_e32 v106, 0x400000, v68
	v_dual_add_f32 v66, v66, v71 :: v_dual_add_f32 v65, v65, v70
	s_delay_alu instid0(VALU_DEP_4)
	v_and_b32_e32 v70, 0xffff0000, v103
	s_wait_alu 0xfffd
	v_cndmask_b32_e32 v67, v101, v107, vcc_lo
	v_cmp_u_f32_e32 vcc_lo, v68, v68
	v_add3_u32 v101, v108, v104, 0x7fff
	v_or_b32_e32 v107, 0x400000, v104
	s_wait_alu 0xfffd
	v_dual_cndmask_b32 v68, v105, v106 :: v_dual_and_b32 v67, 0xffff0000, v67
	v_cmp_u_f32_e32 vcc_lo, v104, v104
	s_wait_alu 0xfffd
	v_cndmask_b32_e32 v71, v101, v107, vcc_lo
	v_and_b32_e32 v101, 0xffff0000, v102
	v_dual_add_f32 v65, v66, v65 :: v_dual_add_f32 v66, v67, v70
	v_and_b32_e32 v67, 0xffff0000, v68
	s_delay_alu instid0(VALU_DEP_4) | instskip(SKIP_3) | instid1(VALU_DEP_4)
	v_and_b32_e32 v68, 0xffff0000, v71
	v_and_b32_e32 v70, 0xffff0000, v61
	v_add_f32_e32 v71, v72, v101
	v_lshlrev_b32_e32 v61, 16, v61
	v_dual_add_f32 v65, v66, v65 :: v_dual_add_f32 v66, v67, v68
	s_delay_alu instid0(VALU_DEP_3) | instskip(NEXT) | instid1(VALU_DEP_3)
	v_dual_mul_f32 v67, v45, v70 :: v_dual_add_f32 v68, v71, v69
	v_mul_f32_e32 v61, v49, v61
	v_and_b32_e32 v71, 0xffff0000, v64
	s_delay_alu instid0(VALU_DEP_4) | instskip(NEXT) | instid1(VALU_DEP_4)
	v_add_f32_e32 v65, v66, v65
	v_bfe_u32 v66, v67, 16, 1
	v_add_f32_e32 v82, v82, v68
	v_bfe_u32 v68, v61, 16, 1
	v_cmp_u_f32_e32 vcc_lo, v67, v67
	v_add_f32_e32 v83, v83, v65
	v_add3_u32 v65, v66, v67, 0x7fff
	v_or_b32_e32 v66, 0x400000, v67
	v_add3_u32 v68, v68, v61, 0x7fff
	v_or_b32_e32 v70, 0x400000, v61
	v_and_b32_e32 v67, 0xffff0000, v63
	v_lshlrev_b32_e32 v63, 16, v63
	s_wait_alu 0xfffd
	v_cndmask_b32_e32 v65, v65, v66, vcc_lo
	v_cmp_u_f32_e32 vcc_lo, v61, v61
	v_dual_mul_f32 v67, v46, v67 :: v_dual_lshlrev_b32 v64, 16, v64
	v_mul_f32_e32 v63, v52, v63
	s_delay_alu instid0(VALU_DEP_4) | instskip(SKIP_1) | instid1(VALU_DEP_3)
	v_and_b32_e32 v65, 0xffff0000, v65
	s_wait_alu 0xfffd
	v_dual_cndmask_b32 v61, v68, v70 :: v_dual_mul_f32 v64, v51, v64
	s_delay_alu instid0(VALU_DEP_3) | instskip(NEXT) | instid1(VALU_DEP_2)
	v_bfe_u32 v72, v63, 16, 1
	v_and_b32_e32 v61, 0xffff0000, v61
	s_delay_alu instid0(VALU_DEP_1) | instskip(SKIP_4) | instid1(VALU_DEP_2)
	v_add_f32_e32 v61, v61, v65
	v_and_b32_e32 v65, 0xffff0000, v57
	v_and_b32_e32 v69, 0xffff0000, v62
	v_lshlrev_b32_e32 v62, 16, v62
	v_lshlrev_b32_e32 v57, 16, v57
	v_dual_mul_f32 v69, v47, v69 :: v_dual_mul_f32 v62, v50, v62
	s_delay_alu instid0(VALU_DEP_2) | instskip(NEXT) | instid1(VALU_DEP_2)
	v_mul_f32_e32 v57, v49, v57
	v_bfe_u32 v66, v69, 16, 1
	v_or_b32_e32 v68, 0x400000, v69
	s_delay_alu instid0(VALU_DEP_4) | instskip(SKIP_1) | instid1(VALU_DEP_4)
	v_bfe_u32 v70, v62, 16, 1
	v_cmp_u_f32_e32 vcc_lo, v69, v69
	v_add3_u32 v66, v66, v69, 0x7fff
	v_or_b32_e32 v69, 0x400000, v62
	s_wait_alu 0xfffd
	s_delay_alu instid0(VALU_DEP_2) | instskip(SKIP_3) | instid1(VALU_DEP_4)
	v_cndmask_b32_e32 v66, v66, v68, vcc_lo
	v_add3_u32 v68, v70, v62, 0x7fff
	v_bfe_u32 v70, v67, 16, 1
	v_cmp_u_f32_e32 vcc_lo, v62, v62
	v_and_b32_e32 v66, 0xffff0000, v66
	s_wait_alu 0xfffd
	v_cndmask_b32_e32 v62, v68, v69, vcc_lo
	v_add3_u32 v68, v70, v67, 0x7fff
	v_mul_f32_e32 v69, v48, v71
	v_or_b32_e32 v70, 0x400000, v67
	v_cmp_u_f32_e32 vcc_lo, v67, v67
	v_add3_u32 v71, v72, v63, 0x7fff
	v_or_b32_e32 v72, 0x400000, v63
	v_bfe_u32 v101, v69, 16, 1
	v_and_b32_e32 v62, 0xffff0000, v62
	s_wait_alu 0xfffd
	v_cndmask_b32_e32 v67, v68, v70, vcc_lo
	v_cmp_u_f32_e32 vcc_lo, v63, v63
	v_or_b32_e32 v70, 0x400000, v69
	v_add3_u32 v68, v101, v69, 0x7fff
	v_add_f32_e32 v62, v62, v66
	s_wait_alu 0xfffd
	v_dual_cndmask_b32 v63, v71, v72 :: v_dual_and_b32 v66, 0xffff0000, v67
	v_bfe_u32 v71, v64, 16, 1
	v_cmp_u_f32_e32 vcc_lo, v69, v69
	v_add_f32_e32 v61, v62, v61
	s_delay_alu instid0(VALU_DEP_4) | instskip(NEXT) | instid1(VALU_DEP_4)
	v_dual_mul_f32 v62, v45, v65 :: v_dual_and_b32 v63, 0xffff0000, v63
	v_add3_u32 v69, v71, v64, 0x7fff
	s_wait_alu 0xfffd
	v_cndmask_b32_e32 v68, v68, v70, vcc_lo
	v_or_b32_e32 v70, 0x400000, v64
	v_cmp_u_f32_e32 vcc_lo, v64, v64
	v_add_f32_e32 v63, v63, v66
	v_bfe_u32 v66, v62, 16, 1
	v_and_b32_e32 v65, 0xffff0000, v68
	v_bfe_u32 v67, v57, 16, 1
	s_wait_alu 0xfffd
	v_dual_cndmask_b32 v64, v69, v70 :: v_dual_add_f32 v61, v63, v61
	v_and_b32_e32 v63, 0xffff0000, v58
	v_lshlrev_b32_e32 v58, 16, v58
	v_cmp_u_f32_e32 vcc_lo, v62, v62
	s_delay_alu instid0(VALU_DEP_4) | instskip(SKIP_1) | instid1(VALU_DEP_4)
	v_and_b32_e32 v64, 0xffff0000, v64
	v_and_b32_e32 v68, 0xffff0000, v59
	v_dual_mul_f32 v63, v47, v63 :: v_dual_mul_f32 v58, v50, v58
	s_delay_alu instid0(VALU_DEP_3) | instskip(SKIP_2) | instid1(VALU_DEP_3)
	v_dual_add_f32 v64, v64, v65 :: v_dual_lshlrev_b32 v59, 16, v59
	v_add3_u32 v65, v66, v62, 0x7fff
	v_or_b32_e32 v66, 0x400000, v62
	v_dual_mul_f32 v68, v46, v68 :: v_dual_mul_f32 v59, v52, v59
	v_and_b32_e32 v69, 0xffff0000, v60
	v_lshlrev_b32_e32 v60, 16, v60
	s_wait_alu 0xfffd
	v_cndmask_b32_e32 v62, v65, v66, vcc_lo
	v_add3_u32 v65, v67, v57, 0x7fff
	v_or_b32_e32 v66, 0x400000, v57
	v_bfe_u32 v67, v63, 16, 1
	v_cmp_u_f32_e32 vcc_lo, v57, v57
	v_mul_f32_e32 v60, v51, v60
	v_or_b32_e32 v70, 0x400000, v59
	v_and_b32_e32 v62, 0xffff0000, v62
	s_wait_alu 0xfffd
	v_cndmask_b32_e32 v57, v65, v66, vcc_lo
	v_add3_u32 v65, v67, v63, 0x7fff
	v_or_b32_e32 v66, 0x400000, v63
	v_bfe_u32 v67, v58, 16, 1
	v_cmp_u_f32_e32 vcc_lo, v63, v63
	v_and_b32_e32 v57, 0xffff0000, v57
	s_wait_alu 0xfffd
	v_cndmask_b32_e32 v63, v65, v66, vcc_lo
	v_add3_u32 v65, v67, v58, 0x7fff
	v_or_b32_e32 v66, 0x400000, v58
	v_bfe_u32 v67, v68, 16, 1
	v_cmp_u_f32_e32 vcc_lo, v58, v58
	v_and_b32_e32 v63, 0xffff0000, v63
	v_add_f32_e32 v57, v57, v62
	s_wait_alu 0xfffd
	v_cndmask_b32_e32 v58, v65, v66, vcc_lo
	v_bfe_u32 v65, v59, 16, 1
	v_add3_u32 v66, v67, v68, 0x7fff
	v_mul_f32_e32 v67, v48, v69
	v_or_b32_e32 v69, 0x400000, v68
	v_cmp_u_f32_e32 vcc_lo, v68, v68
	v_add3_u32 v65, v65, v59, 0x7fff
	v_bfe_u32 v68, v60, 16, 1
	v_bfe_u32 v71, v67, 16, 1
	v_and_b32_e32 v58, 0xffff0000, v58
	s_wait_alu 0xfffd
	v_cndmask_b32_e32 v66, v66, v69, vcc_lo
	v_cmp_u_f32_e32 vcc_lo, v59, v59
	v_add3_u32 v68, v68, v60, 0x7fff
	v_or_b32_e32 v69, 0x400000, v67
	v_add_f32_e32 v58, v58, v63
	v_and_b32_e32 v62, 0xffff0000, v66
	s_wait_alu 0xfffd
	v_cndmask_b32_e32 v59, v65, v70, vcc_lo
	v_or_b32_e32 v70, 0x400000, v60
	v_cmp_u_f32_e32 vcc_lo, v60, v60
	v_add3_u32 v65, v71, v67, 0x7fff
	v_add_f32_e32 v57, v58, v57
	s_wait_alu 0xfffd
	v_dual_cndmask_b32 v60, v68, v70 :: v_dual_and_b32 v59, 0xffff0000, v59
	v_cmp_u_f32_e32 vcc_lo, v67, v67
	s_delay_alu instid0(VALU_DEP_2) | instskip(SKIP_1) | instid1(VALU_DEP_3)
	v_dual_add_f32 v58, v59, v62 :: v_dual_and_b32 v59, 0xffff0000, v53
	s_wait_alu 0xfffd
	v_dual_cndmask_b32 v63, v65, v69 :: v_dual_and_b32 v60, 0xffff0000, v60
	v_lshlrev_b32_e32 v53, 16, v53
	s_delay_alu instid0(VALU_DEP_3) | instskip(SKIP_1) | instid1(VALU_DEP_4)
	v_add_f32_e32 v57, v58, v57
	v_mul_f32_e32 v59, v45, v59
	v_dual_add_f32 v61, v64, v61 :: v_dual_and_b32 v62, 0xffff0000, v63
	s_delay_alu instid0(VALU_DEP_4) | instskip(NEXT) | instid1(VALU_DEP_3)
	v_mul_f32_e32 v53, v49, v53
	v_cmp_u_f32_e32 vcc_lo, v59, v59
	s_delay_alu instid0(VALU_DEP_3) | instskip(SKIP_4) | instid1(VALU_DEP_4)
	v_add_f32_e32 v58, v60, v62
	v_and_b32_e32 v60, 0xffff0000, v54
	v_bfe_u32 v62, v59, 16, 1
	v_add_f32_e32 v84, v84, v61
	v_bfe_u32 v61, v53, 16, 1
	v_dual_add_f32 v57, v58, v57 :: v_dual_mul_f32 v58, v47, v60
	s_delay_alu instid0(VALU_DEP_4) | instskip(SKIP_1) | instid1(VALU_DEP_4)
	v_add3_u32 v60, v62, v59, 0x7fff
	v_or_b32_e32 v62, 0x400000, v59
	v_add3_u32 v61, v61, v53, 0x7fff
	v_or_b32_e32 v63, 0x400000, v53
	v_bfe_u32 v64, v58, 16, 1
	v_lshlrev_b32_e32 v54, 16, v54
	s_wait_alu 0xfffd
	v_cndmask_b32_e32 v59, v60, v62, vcc_lo
	v_cmp_u_f32_e32 vcc_lo, v53, v53
	v_and_b32_e32 v62, 0xffff0000, v55
	v_add3_u32 v60, v64, v58, 0x7fff
	v_dual_mul_f32 v54, v50, v54 :: v_dual_lshlrev_b32 v55, 16, v55
	s_wait_alu 0xfffd
	v_cndmask_b32_e32 v53, v61, v63, vcc_lo
	v_or_b32_e32 v61, 0x400000, v58
	v_cmp_u_f32_e32 vcc_lo, v58, v58
	v_bfe_u32 v63, v54, 16, 1
	v_mul_f32_e32 v55, v52, v55
	v_and_b32_e32 v53, 0xffff0000, v53
	s_wait_alu 0xfffd
	v_cndmask_b32_e32 v58, v60, v61, vcc_lo
	v_mul_f32_e32 v60, v46, v62
	v_add3_u32 v61, v63, v54, 0x7fff
	v_or_b32_e32 v62, 0x400000, v54
	v_and_b32_e32 v63, 0xffff0000, v56
	v_cmp_u_f32_e32 vcc_lo, v54, v54
	v_bfe_u32 v64, v60, 16, 1
	v_bfe_u32 v65, v55, 16, 1
	v_lshlrev_b32_e32 v56, 16, v56
	v_and_b32_e32 v58, 0xffff0000, v58
	s_wait_alu 0xfffd
	v_dual_cndmask_b32 v54, v61, v62 :: v_dual_mul_f32 v61, v48, v63
	v_add3_u32 v62, v64, v60, 0x7fff
	v_or_b32_e32 v63, 0x400000, v60
	v_cmp_u_f32_e32 vcc_lo, v60, v60
	v_add3_u32 v64, v65, v55, 0x7fff
	v_or_b32_e32 v65, 0x400000, v55
	v_bfe_u32 v66, v61, 16, 1
	v_and_b32_e32 v54, 0xffff0000, v54
	s_wait_alu 0xfffd
	v_cndmask_b32_e32 v60, v62, v63, vcc_lo
	v_cmp_u_f32_e32 vcc_lo, v55, v55
	v_or_b32_e32 v63, 0x400000, v61
	v_add3_u32 v62, v66, v61, 0x7fff
	v_mul_f32_e32 v56, v51, v56
	s_wait_alu 0xfffd
	v_dual_add_f32 v54, v54, v58 :: v_dual_cndmask_b32 v55, v64, v65
	v_cmp_u_f32_e32 vcc_lo, v61, v61
	v_and_b32_e32 v58, 0xffff0000, v41
	v_lshlrev_b32_e32 v41, 16, v41
	s_delay_alu instid0(VALU_DEP_4)
	v_and_b32_e32 v55, 0xffff0000, v55
	s_wait_alu 0xfffd
	v_cndmask_b32_e32 v61, v62, v63, vcc_lo
	v_and_b32_e32 v63, 0xffff0000, v44
	v_lshlrev_b32_e32 v44, 16, v44
	v_bfe_u32 v62, v56, 16, 1
	v_cmp_u_f32_e32 vcc_lo, v56, v56
	s_delay_alu instid0(VALU_DEP_3) | instskip(SKIP_1) | instid1(VALU_DEP_2)
	v_dual_mul_f32 v41, v49, v41 :: v_dual_mul_f32 v44, v51, v44
	v_and_b32_e32 v59, 0xffff0000, v59
	v_bfe_u32 v66, v44, 16, 1
	s_delay_alu instid0(VALU_DEP_2) | instskip(SKIP_3) | instid1(VALU_DEP_4)
	v_add_f32_e32 v53, v53, v59
	v_and_b32_e32 v59, 0xffff0000, v60
	v_add3_u32 v60, v62, v56, 0x7fff
	v_or_b32_e32 v62, 0x400000, v56
	v_dual_add_f32 v53, v54, v53 :: v_dual_mul_f32 v54, v45, v58
	s_wait_alu 0xfffd
	s_delay_alu instid0(VALU_DEP_2) | instskip(SKIP_3) | instid1(VALU_DEP_4)
	v_dual_add_f32 v55, v55, v59 :: v_dual_cndmask_b32 v56, v60, v62
	v_bfe_u32 v60, v41, 16, 1
	v_and_b32_e32 v62, 0xffff0000, v43
	v_bfe_u32 v58, v54, 16, 1
	v_add_f32_e32 v53, v55, v53
	v_and_b32_e32 v55, 0xffff0000, v42
	v_or_b32_e32 v59, 0x400000, v54
	v_lshlrev_b32_e32 v42, 16, v42
	v_add3_u32 v58, v58, v54, 0x7fff
	v_cmp_u_f32_e32 vcc_lo, v54, v54
	v_dual_mul_f32 v55, v47, v55 :: v_dual_mul_f32 v62, v46, v62
	s_delay_alu instid0(VALU_DEP_4)
	v_dual_mul_f32 v42, v50, v42 :: v_dual_lshlrev_b32 v43, 16, v43
	s_wait_alu 0xfffd
	v_cndmask_b32_e32 v54, v58, v59, vcc_lo
	v_add3_u32 v58, v60, v41, 0x7fff
	v_or_b32_e32 v59, 0x400000, v41
	v_bfe_u32 v60, v55, 16, 1
	v_cmp_u_f32_e32 vcc_lo, v41, v41
	v_dual_mul_f32 v43, v52, v43 :: v_dual_and_b32 v54, 0xffff0000, v54
	s_wait_alu 0xfffd
	v_dual_cndmask_b32 v41, v58, v59 :: v_dual_and_b32 v56, 0xffff0000, v56
	v_add3_u32 v58, v60, v55, 0x7fff
	v_or_b32_e32 v59, 0x400000, v55
	v_bfe_u32 v60, v42, 16, 1
	v_cmp_u_f32_e32 vcc_lo, v55, v55
	v_or_b32_e32 v64, 0x400000, v43
	v_and_b32_e32 v41, 0xffff0000, v41
	s_wait_alu 0xfffd
	v_cndmask_b32_e32 v55, v58, v59, vcc_lo
	v_add3_u32 v58, v60, v42, 0x7fff
	v_or_b32_e32 v59, 0x400000, v42
	v_bfe_u32 v60, v62, 16, 1
	v_cmp_u_f32_e32 vcc_lo, v42, v42
	v_and_b32_e32 v55, 0xffff0000, v55
	s_wait_alu 0xfffd
	v_dual_add_f32 v41, v41, v54 :: v_dual_cndmask_b32 v42, v58, v59
	v_bfe_u32 v58, v43, 16, 1
	v_add3_u32 v59, v60, v62, 0x7fff
	v_mul_f32_e32 v60, v48, v63
	v_or_b32_e32 v63, 0x400000, v62
	v_cmp_u_f32_e32 vcc_lo, v62, v62
	v_add3_u32 v58, v58, v43, 0x7fff
	v_add3_u32 v62, v66, v44, 0x7fff
	v_bfe_u32 v65, v60, 16, 1
	s_wait_alu 0xfffd
	v_dual_cndmask_b32 v59, v59, v63 :: v_dual_and_b32 v42, 0xffff0000, v42
	v_cmp_u_f32_e32 vcc_lo, v43, v43
	v_or_b32_e32 v63, 0x400000, v44
	s_delay_alu instid0(VALU_DEP_3)
	v_dual_add_f32 v85, v85, v57 :: v_dual_add_f32 v42, v42, v55
	s_wait_alu 0xfffd
	v_dual_cndmask_b32 v43, v58, v64 :: v_dual_and_b32 v54, 0xffff0000, v59
	v_cmp_u_f32_e32 vcc_lo, v44, v44
	v_add3_u32 v58, v65, v60, 0x7fff
	v_or_b32_e32 v64, 0x400000, v60
	v_add_f32_e32 v41, v42, v41
	v_and_b32_e32 v43, 0xffff0000, v43
	s_wait_alu 0xfffd
	v_cndmask_b32_e32 v44, v62, v63, vcc_lo
	v_cmp_u_f32_e32 vcc_lo, v60, v60
	s_delay_alu instid0(VALU_DEP_2) | instskip(SKIP_4) | instid1(VALU_DEP_3)
	v_dual_add_f32 v42, v43, v54 :: v_dual_and_b32 v43, 0xffff0000, v44
	s_wait_alu 0xfffd
	v_dual_cndmask_b32 v55, v58, v64 :: v_dual_and_b32 v58, 0xffff0000, v61
	v_and_b32_e32 v54, 0xffff0000, v37
	v_lshlrev_b32_e32 v37, 16, v37
	v_dual_add_f32 v41, v42, v41 :: v_dual_and_b32 v44, 0xffff0000, v55
	s_delay_alu instid0(VALU_DEP_4) | instskip(NEXT) | instid1(VALU_DEP_2)
	v_add_f32_e32 v55, v56, v58
	v_dual_mul_f32 v37, v49, v37 :: v_dual_add_f32 v42, v43, v44
	s_delay_alu instid0(VALU_DEP_2) | instskip(SKIP_1) | instid1(VALU_DEP_3)
	v_dual_mul_f32 v43, v45, v54 :: v_dual_add_f32 v44, v55, v53
	v_and_b32_e32 v53, 0xffff0000, v38
	v_dual_add_f32 v41, v42, v41 :: v_dual_lshlrev_b32 v38, 16, v38
	s_delay_alu instid0(VALU_DEP_3) | instskip(NEXT) | instid1(VALU_DEP_4)
	v_bfe_u32 v42, v43, 16, 1
	v_add_f32_e32 v86, v86, v44
	v_bfe_u32 v44, v37, 16, 1
	v_mul_f32_e32 v53, v47, v53
	v_add_f32_e32 v87, v87, v41
	v_add3_u32 v41, v42, v43, 0x7fff
	v_or_b32_e32 v42, 0x400000, v43
	v_cmp_u_f32_e32 vcc_lo, v43, v43
	v_add3_u32 v44, v44, v37, 0x7fff
	v_or_b32_e32 v54, 0x400000, v37
	v_dual_mul_f32 v38, v50, v38 :: v_dual_and_b32 v43, 0xffff0000, v39
	s_wait_alu 0xfffd
	v_cndmask_b32_e32 v41, v41, v42, vcc_lo
	v_bfe_u32 v42, v53, 16, 1
	v_cmp_u_f32_e32 vcc_lo, v37, v37
	v_lshlrev_b32_e32 v39, 16, v39
	v_mul_f32_e32 v43, v46, v43
	v_and_b32_e32 v55, 0xffff0000, v40
	v_add3_u32 v42, v42, v53, 0x7fff
	s_wait_alu 0xfffd
	v_cndmask_b32_e32 v37, v44, v54, vcc_lo
	v_or_b32_e32 v44, 0x400000, v53
	v_bfe_u32 v54, v38, 16, 1
	v_cmp_u_f32_e32 vcc_lo, v53, v53
	v_mul_f32_e32 v39, v52, v39
	v_or_b32_e32 v53, 0x400000, v38
	v_lshlrev_b32_e32 v40, 16, v40
	s_wait_alu 0xfffd
	v_dual_cndmask_b32 v42, v42, v44 :: v_dual_and_b32 v37, 0xffff0000, v37
	v_add3_u32 v44, v54, v38, 0x7fff
	v_bfe_u32 v54, v43, 16, 1
	v_cmp_u_f32_e32 vcc_lo, v38, v38
	v_bfe_u32 v56, v39, 16, 1
	v_dual_mul_f32 v40, v51, v40 :: v_dual_and_b32 v41, 0xffff0000, v41
	v_and_b32_e32 v42, 0xffff0000, v42
	s_wait_alu 0xfffd
	v_cndmask_b32_e32 v38, v44, v53, vcc_lo
	v_add3_u32 v44, v54, v43, 0x7fff
	v_mul_f32_e32 v53, v48, v55
	v_or_b32_e32 v54, 0x400000, v43
	v_cmp_u_f32_e32 vcc_lo, v43, v43
	v_add3_u32 v55, v56, v39, 0x7fff
	v_or_b32_e32 v56, 0x400000, v39
	v_bfe_u32 v57, v53, 16, 1
	v_and_b32_e32 v38, 0xffff0000, v38
	s_wait_alu 0xfffd
	v_cndmask_b32_e32 v43, v44, v54, vcc_lo
	v_cmp_u_f32_e32 vcc_lo, v39, v39
	v_or_b32_e32 v54, 0x400000, v53
	v_add3_u32 v44, v57, v53, 0x7fff
	v_dual_add_f32 v37, v37, v41 :: v_dual_add_f32 v38, v38, v42
	s_wait_alu 0xfffd
	v_cndmask_b32_e32 v39, v55, v56, vcc_lo
	v_bfe_u32 v55, v40, 16, 1
	v_cmp_u_f32_e32 vcc_lo, v53, v53
	v_and_b32_e32 v41, 0xffff0000, v33
	v_and_b32_e32 v42, 0xffff0000, v43
	;; [unrolled: 1-line block ×3, first 2 shown]
	v_add3_u32 v53, v55, v40, 0x7fff
	s_wait_alu 0xfffd
	v_cndmask_b32_e32 v44, v44, v54, vcc_lo
	v_or_b32_e32 v54, 0x400000, v40
	v_cmp_u_f32_e32 vcc_lo, v40, v40
	v_add_f32_e32 v37, v38, v37
	v_dual_mul_f32 v38, v45, v41 :: v_dual_add_f32 v39, v39, v42
	s_wait_alu 0xfffd
	v_dual_cndmask_b32 v40, v53, v54 :: v_dual_lshlrev_b32 v33, 16, v33
	v_and_b32_e32 v41, 0xffff0000, v44
	s_delay_alu instid0(VALU_DEP_3) | instskip(SKIP_1) | instid1(VALU_DEP_4)
	v_bfe_u32 v42, v38, 16, 1
	v_add_f32_e32 v37, v39, v37
	v_dual_mul_f32 v33, v49, v33 :: v_dual_and_b32 v40, 0xffff0000, v40
	v_and_b32_e32 v39, 0xffff0000, v34
	v_lshlrev_b32_e32 v34, 16, v34
	v_cmp_u_f32_e32 vcc_lo, v38, v38
	s_delay_alu instid0(VALU_DEP_4)
	v_bfe_u32 v43, v33, 16, 1
	v_add_f32_e32 v40, v40, v41
	v_add3_u32 v41, v42, v38, 0x7fff
	v_or_b32_e32 v42, 0x400000, v38
	v_dual_mul_f32 v39, v47, v39 :: v_dual_mul_f32 v34, v50, v34
	v_and_b32_e32 v44, 0xffff0000, v35
	s_wait_alu 0xfffd
	s_delay_alu instid0(VALU_DEP_3)
	v_dual_cndmask_b32 v38, v41, v42 :: v_dual_lshlrev_b32 v35, 16, v35
	v_add3_u32 v41, v43, v33, 0x7fff
	v_or_b32_e32 v42, 0x400000, v33
	v_bfe_u32 v43, v39, 16, 1
	v_cmp_u_f32_e32 vcc_lo, v33, v33
	v_dual_mul_f32 v44, v46, v44 :: v_dual_mul_f32 v35, v52, v35
	v_and_b32_e32 v53, 0xffff0000, v36
	s_wait_alu 0xfffd
	v_dual_cndmask_b32 v33, v41, v42 :: v_dual_lshlrev_b32 v36, 16, v36
	v_add3_u32 v41, v43, v39, 0x7fff
	v_or_b32_e32 v42, 0x400000, v39
	v_bfe_u32 v43, v34, 16, 1
	v_cmp_u_f32_e32 vcc_lo, v39, v39
	v_mul_f32_e32 v36, v51, v36
	v_or_b32_e32 v54, 0x400000, v35
	v_and_b32_e32 v33, 0xffff0000, v33
	v_and_b32_e32 v38, 0xffff0000, v38
	s_wait_alu 0xfffd
	v_cndmask_b32_e32 v39, v41, v42, vcc_lo
	v_add3_u32 v41, v43, v34, 0x7fff
	v_or_b32_e32 v42, 0x400000, v34
	v_bfe_u32 v43, v44, 16, 1
	v_cmp_u_f32_e32 vcc_lo, v34, v34
	v_and_b32_e32 v39, 0xffff0000, v39
	v_add_f32_e32 v33, v33, v38
	s_wait_alu 0xfffd
	v_dual_add_f32 v37, v40, v37 :: v_dual_cndmask_b32 v34, v41, v42
	v_bfe_u32 v41, v35, 16, 1
	v_add3_u32 v42, v43, v44, 0x7fff
	v_mul_f32_e32 v43, v48, v53
	v_or_b32_e32 v53, 0x400000, v44
	v_cmp_u_f32_e32 vcc_lo, v44, v44
	v_add3_u32 v41, v41, v35, 0x7fff
	v_bfe_u32 v44, v36, 16, 1
	v_bfe_u32 v55, v43, 16, 1
	v_and_b32_e32 v34, 0xffff0000, v34
	s_wait_alu 0xfffd
	v_cndmask_b32_e32 v42, v42, v53, vcc_lo
	v_cmp_u_f32_e32 vcc_lo, v35, v35
	v_add3_u32 v44, v44, v36, 0x7fff
	v_or_b32_e32 v53, 0x400000, v43
	v_add_f32_e32 v34, v34, v39
	v_and_b32_e32 v38, 0xffff0000, v42
	s_wait_alu 0xfffd
	v_cndmask_b32_e32 v35, v41, v54, vcc_lo
	v_or_b32_e32 v54, 0x400000, v36
	v_cmp_u_f32_e32 vcc_lo, v36, v36
	v_add3_u32 v41, v55, v43, 0x7fff
	v_add_f32_e32 v33, v34, v33
	v_dual_add_f32 v88, v88, v37 :: v_dual_and_b32 v35, 0xffff0000, v35
	s_wait_alu 0xfffd
	v_cndmask_b32_e32 v36, v44, v54, vcc_lo
	v_cmp_u_f32_e32 vcc_lo, v43, v43
	s_delay_alu instid0(VALU_DEP_3) | instskip(SKIP_1) | instid1(VALU_DEP_3)
	v_dual_add_f32 v34, v35, v38 :: v_dual_and_b32 v35, 0xffff0000, v29
	s_wait_alu 0xfffd
	v_dual_cndmask_b32 v39, v41, v53 :: v_dual_and_b32 v36, 0xffff0000, v36
	v_lshlrev_b32_e32 v29, 16, v29
	s_delay_alu instid0(VALU_DEP_3) | instskip(SKIP_1) | instid1(VALU_DEP_3)
	v_add_f32_e32 v33, v34, v33
	v_mul_f32_e32 v35, v45, v35
	v_dual_mul_f32 v29, v49, v29 :: v_dual_and_b32 v38, 0xffff0000, v39
	s_delay_alu instid0(VALU_DEP_2) | instskip(NEXT) | instid1(VALU_DEP_2)
	v_cmp_u_f32_e32 vcc_lo, v35, v35
	v_add_f32_e32 v34, v36, v38
	v_and_b32_e32 v36, 0xffff0000, v30
	v_bfe_u32 v38, v35, 16, 1
	v_bfe_u32 v37, v29, 16, 1
	v_or_b32_e32 v39, 0x400000, v29
	s_delay_alu instid0(VALU_DEP_4) | instskip(NEXT) | instid1(VALU_DEP_4)
	v_dual_add_f32 v33, v34, v33 :: v_dual_mul_f32 v34, v47, v36
	v_add3_u32 v36, v38, v35, 0x7fff
	v_or_b32_e32 v38, 0x400000, v35
	v_add3_u32 v37, v37, v29, 0x7fff
	v_lshlrev_b32_e32 v30, 16, v30
	v_bfe_u32 v40, v34, 16, 1
	s_wait_alu 0xfffd
	v_cndmask_b32_e32 v35, v36, v38, vcc_lo
	v_cmp_u_f32_e32 vcc_lo, v29, v29
	v_mul_f32_e32 v30, v50, v30
	v_add3_u32 v36, v40, v34, 0x7fff
	v_and_b32_e32 v38, 0xffff0000, v31
	v_lshlrev_b32_e32 v31, 16, v31
	s_wait_alu 0xfffd
	v_cndmask_b32_e32 v29, v37, v39, vcc_lo
	v_or_b32_e32 v37, 0x400000, v34
	v_cmp_u_f32_e32 vcc_lo, v34, v34
	v_bfe_u32 v39, v30, 16, 1
	v_mul_f32_e32 v31, v52, v31
	v_and_b32_e32 v29, 0xffff0000, v29
	s_wait_alu 0xfffd
	v_dual_cndmask_b32 v34, v36, v37 :: v_dual_and_b32 v35, 0xffff0000, v35
	v_mul_f32_e32 v36, v46, v38
	v_add3_u32 v37, v39, v30, 0x7fff
	v_or_b32_e32 v38, 0x400000, v30
	v_and_b32_e32 v39, 0xffff0000, v32
	v_cmp_u_f32_e32 vcc_lo, v30, v30
	v_bfe_u32 v40, v36, 16, 1
	v_bfe_u32 v41, v31, 16, 1
	v_lshlrev_b32_e32 v32, 16, v32
	v_and_b32_e32 v34, 0xffff0000, v34
	s_wait_alu 0xfffd
	v_dual_cndmask_b32 v30, v37, v38 :: v_dual_mul_f32 v37, v48, v39
	v_add3_u32 v38, v40, v36, 0x7fff
	v_or_b32_e32 v39, 0x400000, v36
	v_cmp_u_f32_e32 vcc_lo, v36, v36
	v_add3_u32 v40, v41, v31, 0x7fff
	v_or_b32_e32 v41, 0x400000, v31
	v_bfe_u32 v42, v37, 16, 1
	v_and_b32_e32 v30, 0xffff0000, v30
	s_wait_alu 0xfffd
	v_cndmask_b32_e32 v36, v38, v39, vcc_lo
	v_cmp_u_f32_e32 vcc_lo, v31, v31
	v_or_b32_e32 v39, 0x400000, v37
	v_add3_u32 v38, v42, v37, 0x7fff
	v_dual_mul_f32 v32, v51, v32 :: v_dual_add_f32 v29, v29, v35
	s_wait_alu 0xfffd
	v_cndmask_b32_e32 v31, v40, v41, vcc_lo
	v_cmp_u_f32_e32 vcc_lo, v37, v37
	v_add_f32_e32 v30, v30, v34
	v_and_b32_e32 v34, 0xffff0000, v25
	v_and_b32_e32 v35, 0xffff0000, v36
	v_and_b32_e32 v31, 0xffff0000, v31
	s_wait_alu 0xfffd
	v_cndmask_b32_e32 v37, v38, v39, vcc_lo
	v_bfe_u32 v38, v32, 16, 1
	v_dual_add_f32 v29, v30, v29 :: v_dual_mul_f32 v30, v45, v34
	v_add_f32_e32 v31, v31, v35
	v_lshlrev_b32_e32 v25, 16, v25
	s_delay_alu instid0(VALU_DEP_4)
	v_add3_u32 v36, v38, v32, 0x7fff
	v_or_b32_e32 v38, 0x400000, v32
	v_cmp_u_f32_e32 vcc_lo, v32, v32
	v_bfe_u32 v34, v30, 16, 1
	v_add_f32_e32 v29, v31, v29
	v_mul_f32_e32 v25, v49, v25
	v_and_b32_e32 v31, 0xffff0000, v26
	s_wait_alu 0xfffd
	v_cndmask_b32_e32 v32, v36, v38, vcc_lo
	v_add3_u32 v34, v34, v30, 0x7fff
	v_or_b32_e32 v35, 0x400000, v30
	v_bfe_u32 v36, v25, 16, 1
	v_dual_mul_f32 v31, v47, v31 :: v_dual_lshlrev_b32 v26, 16, v26
	v_cmp_u_f32_e32 vcc_lo, v30, v30
	v_and_b32_e32 v38, 0xffff0000, v27
	v_lshlrev_b32_e32 v27, 16, v27
	s_delay_alu instid0(VALU_DEP_4)
	v_dual_mul_f32 v26, v50, v26 :: v_dual_and_b32 v39, 0xffff0000, v28
	s_wait_alu 0xfffd
	v_cndmask_b32_e32 v30, v34, v35, vcc_lo
	v_add3_u32 v34, v36, v25, 0x7fff
	v_or_b32_e32 v35, 0x400000, v25
	v_bfe_u32 v36, v31, 16, 1
	v_cmp_u_f32_e32 vcc_lo, v25, v25
	v_dual_mul_f32 v38, v46, v38 :: v_dual_mul_f32 v27, v52, v27
	v_lshlrev_b32_e32 v28, 16, v28
	s_wait_alu 0xfffd
	v_dual_cndmask_b32 v25, v34, v35 :: v_dual_and_b32 v30, 0xffff0000, v30
	v_add3_u32 v34, v36, v31, 0x7fff
	v_or_b32_e32 v35, 0x400000, v31
	v_bfe_u32 v36, v26, 16, 1
	v_cmp_u_f32_e32 vcc_lo, v31, v31
	v_mul_f32_e32 v28, v51, v28
	v_or_b32_e32 v40, 0x400000, v27
	v_and_b32_e32 v25, 0xffff0000, v25
	s_wait_alu 0xfffd
	v_dual_cndmask_b32 v31, v34, v35 :: v_dual_and_b32 v32, 0xffff0000, v32
	v_add3_u32 v34, v36, v26, 0x7fff
	v_or_b32_e32 v35, 0x400000, v26
	v_bfe_u32 v36, v38, 16, 1
	v_cmp_u_f32_e32 vcc_lo, v26, v26
	v_bfe_u32 v42, v28, 16, 1
	v_and_b32_e32 v31, 0xffff0000, v31
	s_wait_alu 0xfffd
	v_dual_add_f32 v25, v25, v30 :: v_dual_cndmask_b32 v26, v34, v35
	v_bfe_u32 v34, v27, 16, 1
	v_add3_u32 v35, v36, v38, 0x7fff
	v_mul_f32_e32 v36, v48, v39
	v_or_b32_e32 v39, 0x400000, v38
	v_cmp_u_f32_e32 vcc_lo, v38, v38
	v_add3_u32 v34, v34, v27, 0x7fff
	v_add3_u32 v38, v42, v28, 0x7fff
	v_bfe_u32 v41, v36, 16, 1
	s_wait_alu 0xfffd
	v_dual_cndmask_b32 v35, v35, v39 :: v_dual_and_b32 v26, 0xffff0000, v26
	v_cmp_u_f32_e32 vcc_lo, v27, v27
	v_or_b32_e32 v39, 0x400000, v28
	s_delay_alu instid0(VALU_DEP_3)
	v_add_f32_e32 v26, v26, v31
	s_wait_alu 0xfffd
	v_dual_cndmask_b32 v27, v34, v40 :: v_dual_and_b32 v30, 0xffff0000, v35
	v_cmp_u_f32_e32 vcc_lo, v28, v28
	v_add3_u32 v34, v41, v36, 0x7fff
	v_or_b32_e32 v40, 0x400000, v36
	v_add_f32_e32 v25, v26, v25
	v_and_b32_e32 v27, 0xffff0000, v27
	s_wait_alu 0xfffd
	v_cndmask_b32_e32 v28, v38, v39, vcc_lo
	v_cmp_u_f32_e32 vcc_lo, v36, v36
	s_delay_alu instid0(VALU_DEP_2) | instskip(SKIP_4) | instid1(VALU_DEP_3)
	v_dual_add_f32 v26, v27, v30 :: v_dual_and_b32 v27, 0xffff0000, v28
	s_wait_alu 0xfffd
	v_dual_cndmask_b32 v31, v34, v40 :: v_dual_and_b32 v34, 0xffff0000, v37
	v_and_b32_e32 v30, 0xffff0000, v17
	v_lshlrev_b32_e32 v17, 16, v17
	v_dual_add_f32 v25, v26, v25 :: v_dual_and_b32 v28, 0xffff0000, v31
	s_delay_alu instid0(VALU_DEP_4) | instskip(NEXT) | instid1(VALU_DEP_2)
	v_add_f32_e32 v31, v32, v34
	v_dual_mul_f32 v17, v49, v17 :: v_dual_add_f32 v26, v27, v28
	s_delay_alu instid0(VALU_DEP_2) | instskip(SKIP_1) | instid1(VALU_DEP_3)
	v_dual_mul_f32 v27, v45, v30 :: v_dual_add_f32 v28, v31, v29
	v_and_b32_e32 v29, 0xffff0000, v18
	v_dual_add_f32 v25, v26, v25 :: v_dual_lshlrev_b32 v18, 16, v18
	s_delay_alu instid0(VALU_DEP_3) | instskip(NEXT) | instid1(VALU_DEP_4)
	v_bfe_u32 v26, v27, 16, 1
	v_add_f32_e32 v90, v90, v28
	v_bfe_u32 v28, v17, 16, 1
	v_mul_f32_e32 v29, v47, v29
	v_add_f32_e32 v91, v91, v25
	v_add3_u32 v25, v26, v27, 0x7fff
	v_or_b32_e32 v26, 0x400000, v27
	v_cmp_u_f32_e32 vcc_lo, v27, v27
	v_add3_u32 v28, v28, v17, 0x7fff
	v_or_b32_e32 v30, 0x400000, v17
	v_dual_mul_f32 v18, v50, v18 :: v_dual_and_b32 v27, 0xffff0000, v19
	s_wait_alu 0xfffd
	v_cndmask_b32_e32 v25, v25, v26, vcc_lo
	v_bfe_u32 v26, v29, 16, 1
	v_cmp_u_f32_e32 vcc_lo, v17, v17
	v_lshlrev_b32_e32 v19, 16, v19
	v_mul_f32_e32 v27, v46, v27
	v_and_b32_e32 v31, 0xffff0000, v20
	v_add3_u32 v26, v26, v29, 0x7fff
	s_wait_alu 0xfffd
	v_cndmask_b32_e32 v17, v28, v30, vcc_lo
	v_or_b32_e32 v28, 0x400000, v29
	v_bfe_u32 v30, v18, 16, 1
	v_cmp_u_f32_e32 vcc_lo, v29, v29
	v_mul_f32_e32 v19, v52, v19
	v_or_b32_e32 v29, 0x400000, v18
	v_dual_add_f32 v89, v89, v33 :: v_dual_lshlrev_b32 v20, 16, v20
	s_wait_alu 0xfffd
	v_cndmask_b32_e32 v26, v26, v28, vcc_lo
	v_add3_u32 v28, v30, v18, 0x7fff
	v_bfe_u32 v30, v27, 16, 1
	v_cmp_u_f32_e32 vcc_lo, v18, v18
	v_bfe_u32 v32, v19, 16, 1
	v_dual_mul_f32 v20, v51, v20 :: v_dual_and_b32 v17, 0xffff0000, v17
	v_and_b32_e32 v25, 0xffff0000, v25
	s_wait_alu 0xfffd
	v_cndmask_b32_e32 v18, v28, v29, vcc_lo
	v_add3_u32 v28, v30, v27, 0x7fff
	v_mul_f32_e32 v29, v48, v31
	v_or_b32_e32 v30, 0x400000, v27
	v_cmp_u_f32_e32 vcc_lo, v27, v27
	v_add3_u32 v31, v32, v19, 0x7fff
	v_or_b32_e32 v32, 0x400000, v19
	v_bfe_u32 v33, v29, 16, 1
	v_and_b32_e32 v18, 0xffff0000, v18
	s_wait_alu 0xfffd
	v_cndmask_b32_e32 v27, v28, v30, vcc_lo
	v_cmp_u_f32_e32 vcc_lo, v19, v19
	v_or_b32_e32 v30, 0x400000, v29
	v_add3_u32 v28, v33, v29, 0x7fff
	v_dual_add_f32 v17, v17, v25 :: v_dual_and_b32 v26, 0xffff0000, v26
	s_wait_alu 0xfffd
	v_cndmask_b32_e32 v19, v31, v32, vcc_lo
	v_bfe_u32 v31, v20, 16, 1
	v_cmp_u_f32_e32 vcc_lo, v29, v29
	v_add_f32_e32 v18, v18, v26
	v_and_b32_e32 v26, 0xffff0000, v13
	v_and_b32_e32 v19, 0xffff0000, v19
	v_add3_u32 v29, v31, v20, 0x7fff
	s_wait_alu 0xfffd
	v_cndmask_b32_e32 v28, v28, v30, vcc_lo
	v_or_b32_e32 v30, 0x400000, v20
	v_cmp_u_f32_e32 vcc_lo, v20, v20
	v_and_b32_e32 v25, 0xffff0000, v27
	v_lshlrev_b32_e32 v13, 16, v13
	v_dual_add_f32 v17, v18, v17 :: v_dual_mul_f32 v18, v45, v26
	s_wait_alu 0xfffd
	s_delay_alu instid0(VALU_DEP_3) | instskip(NEXT) | instid1(VALU_DEP_3)
	v_dual_cndmask_b32 v20, v29, v30 :: v_dual_add_f32 v19, v19, v25
	v_mul_f32_e32 v13, v49, v13
	v_and_b32_e32 v25, 0xffff0000, v28
	v_bfe_u32 v26, v18, 16, 1
	s_delay_alu instid0(VALU_DEP_4) | instskip(NEXT) | instid1(VALU_DEP_4)
	v_dual_add_f32 v17, v19, v17 :: v_dual_and_b32 v20, 0xffff0000, v20
	v_bfe_u32 v19, v13, 16, 1
	v_and_b32_e32 v27, 0xffff0000, v14
	v_cmp_u_f32_e32 vcc_lo, v18, v18
	s_delay_alu instid0(VALU_DEP_4)
	v_add_f32_e32 v20, v20, v25
	v_add3_u32 v25, v26, v18, 0x7fff
	v_or_b32_e32 v26, 0x400000, v18
	v_add3_u32 v19, v19, v13, 0x7fff
	v_mul_f32_e32 v27, v47, v27
	v_or_b32_e32 v28, 0x400000, v13
	v_lshlrev_b32_e32 v14, 16, v14
	s_wait_alu 0xfffd
	v_cndmask_b32_e32 v18, v25, v26, vcc_lo
	v_cmp_u_f32_e32 vcc_lo, v13, v13
	v_bfe_u32 v25, v27, 16, 1
	v_or_b32_e32 v26, 0x400000, v27
	v_dual_mul_f32 v14, v50, v14 :: v_dual_and_b32 v29, 0xffff0000, v16
	s_wait_alu 0xfffd
	v_cndmask_b32_e32 v13, v19, v28, vcc_lo
	v_and_b32_e32 v19, 0xffff0000, v15
	v_add3_u32 v25, v25, v27, 0x7fff
	v_lshlrev_b32_e32 v15, 16, v15
	v_bfe_u32 v28, v14, 16, 1
	v_cmp_u_f32_e32 vcc_lo, v27, v27
	v_mul_f32_e32 v19, v46, v19
	v_or_b32_e32 v27, 0x400000, v14
	v_dual_mul_f32 v15, v52, v15 :: v_dual_lshlrev_b32 v16, 16, v16
	s_wait_alu 0xfffd
	v_cndmask_b32_e32 v25, v25, v26, vcc_lo
	v_add3_u32 v26, v28, v14, 0x7fff
	v_bfe_u32 v28, v19, 16, 1
	v_cmp_u_f32_e32 vcc_lo, v14, v14
	v_bfe_u32 v30, v15, 16, 1
	v_dual_mul_f32 v16, v51, v16 :: v_dual_and_b32 v13, 0xffff0000, v13
	v_and_b32_e32 v18, 0xffff0000, v18
	s_wait_alu 0xfffd
	v_cndmask_b32_e32 v14, v26, v27, vcc_lo
	v_add3_u32 v26, v28, v19, 0x7fff
	v_mul_f32_e32 v27, v48, v29
	v_or_b32_e32 v28, 0x400000, v19
	v_cmp_u_f32_e32 vcc_lo, v19, v19
	v_add3_u32 v29, v30, v15, 0x7fff
	v_or_b32_e32 v30, 0x400000, v15
	v_bfe_u32 v31, v27, 16, 1
	s_wait_alu 0xfffd
	v_dual_cndmask_b32 v19, v26, v28 :: v_dual_and_b32 v14, 0xffff0000, v14
	v_cmp_u_f32_e32 vcc_lo, v15, v15
	v_or_b32_e32 v28, 0x400000, v27
	v_add3_u32 v26, v31, v27, 0x7fff
	v_and_b32_e32 v25, 0xffff0000, v25
	v_add_f32_e32 v13, v13, v18
	s_wait_alu 0xfffd
	v_cndmask_b32_e32 v15, v29, v30, vcc_lo
	v_bfe_u32 v29, v16, 16, 1
	v_cmp_u_f32_e32 vcc_lo, v27, v27
	v_add_f32_e32 v14, v14, v25
	v_and_b32_e32 v18, 0xffff0000, v19
	v_and_b32_e32 v15, 0xffff0000, v15
	v_add3_u32 v27, v29, v16, 0x7fff
	s_wait_alu 0xfffd
	v_cndmask_b32_e32 v26, v26, v28, vcc_lo
	v_or_b32_e32 v28, 0x400000, v16
	v_cmp_u_f32_e32 vcc_lo, v16, v16
	v_add_f32_e32 v13, v14, v13
	v_dual_add_f32 v15, v15, v18 :: v_dual_and_b32 v14, 0xffff0000, v9
	s_wait_alu 0xfffd
	v_dual_cndmask_b32 v16, v27, v28 :: v_dual_lshlrev_b32 v9, 16, v9
	v_and_b32_e32 v18, 0xffff0000, v26
	s_delay_alu instid0(VALU_DEP_3) | instskip(NEXT) | instid1(VALU_DEP_3)
	v_dual_mul_f32 v14, v45, v14 :: v_dual_add_f32 v17, v20, v17
	v_dual_mul_f32 v19, v49, v9 :: v_dual_and_b32 v16, 0xffff0000, v16
	v_add_f32_e32 v9, v15, v13
	s_delay_alu instid0(VALU_DEP_3) | instskip(NEXT) | instid1(VALU_DEP_4)
	v_bfe_u32 v15, v14, 16, 1
	v_dual_add_f32 v92, v92, v17 :: v_dual_and_b32 v17, 0xffff0000, v10
	s_delay_alu instid0(VALU_DEP_4)
	v_add_f32_e32 v13, v16, v18
	v_bfe_u32 v16, v19, 16, 1
	v_cmp_u_f32_e32 vcc_lo, v14, v14
	v_or_b32_e32 v18, 0x400000, v19
	v_mul_f32_e32 v17, v47, v17
	v_add_f32_e32 v9, v13, v9
	v_add3_u32 v13, v15, v14, 0x7fff
	v_or_b32_e32 v15, 0x400000, v14
	v_add3_u32 v16, v16, v19, 0x7fff
	v_lshlrev_b32_e32 v10, 16, v10
	v_bfe_u32 v14, v17, 16, 1
	s_wait_alu 0xfffd
	v_dual_cndmask_b32 v13, v13, v15 :: v_dual_and_b32 v20, 0xffff0000, v12
	v_cmp_u_f32_e32 vcc_lo, v19, v19
	v_mul_f32_e32 v10, v50, v10
	v_add3_u32 v14, v14, v17, 0x7fff
	v_lshlrev_b32_e32 v12, 16, v12
	v_and_b32_e32 v13, 0xffff0000, v13
	s_wait_alu 0xfffd
	v_dual_cndmask_b32 v15, v16, v18 :: v_dual_and_b32 v16, 0xffff0000, v11
	v_or_b32_e32 v18, 0x400000, v17
	v_lshlrev_b32_e32 v11, 16, v11
	v_bfe_u32 v19, v10, 16, 1
	v_cmp_u_f32_e32 vcc_lo, v17, v17
	v_dual_mul_f32 v16, v46, v16 :: v_dual_and_b32 v15, 0xffff0000, v15
	s_delay_alu instid0(VALU_DEP_4) | instskip(NEXT) | instid1(VALU_DEP_4)
	v_mul_f32_e32 v11, v52, v11
	v_add3_u32 v17, v19, v10, 0x7fff
	s_wait_alu 0xfffd
	v_cndmask_b32_e32 v14, v14, v18, vcc_lo
	v_or_b32_e32 v18, 0x400000, v10
	v_bfe_u32 v19, v16, 16, 1
	v_cmp_u_f32_e32 vcc_lo, v10, v10
	v_bfe_u32 v25, v11, 16, 1
	v_and_b32_e32 v14, 0xffff0000, v14
	v_mul_f32_e32 v12, v51, v12
	s_wait_alu 0xfffd
	v_dual_add_f32 v13, v15, v13 :: v_dual_cndmask_b32 v10, v17, v18
	v_add3_u32 v17, v19, v16, 0x7fff
	v_or_b32_e32 v19, 0x400000, v16
	v_cmp_u_f32_e32 vcc_lo, v16, v16
	v_mul_f32_e32 v18, v48, v20
	v_add3_u32 v20, v25, v11, 0x7fff
	v_or_b32_e32 v25, 0x400000, v11
	v_and_b32_e32 v10, 0xffff0000, v10
	s_wait_alu 0xfffd
	v_cndmask_b32_e32 v16, v17, v19, vcc_lo
	v_cmp_u_f32_e32 vcc_lo, v11, v11
	v_bfe_u32 v26, v18, 16, 1
	v_or_b32_e32 v19, 0x400000, v18
	v_add_f32_e32 v10, v10, v14
	s_wait_alu 0xfffd
	v_dual_cndmask_b32 v11, v20, v25 :: v_dual_and_b32 v14, 0xffff0000, v16
	v_add3_u32 v17, v26, v18, 0x7fff
	v_bfe_u32 v20, v12, 16, 1
	v_cmp_u_f32_e32 vcc_lo, v18, v18
	s_delay_alu instid0(VALU_DEP_4) | instskip(SKIP_1) | instid1(VALU_DEP_4)
	v_dual_add_f32 v10, v10, v13 :: v_dual_and_b32 v11, 0xffff0000, v11
	v_and_b32_e32 v15, 0xffff0000, v5
	v_add3_u32 v18, v20, v12, 0x7fff
	v_lshlrev_b32_e32 v5, 16, v5
	s_delay_alu instid0(VALU_DEP_4) | instskip(NEXT) | instid1(VALU_DEP_4)
	v_add_f32_e32 v11, v11, v14
	v_mul_f32_e32 v13, v45, v15
	v_and_b32_e32 v15, 0xffff0000, v6
	s_delay_alu instid0(VALU_DEP_4)
	v_dual_mul_f32 v5, v49, v5 :: v_dual_lshlrev_b32 v6, 16, v6
	s_wait_alu 0xfffd
	v_dual_add_f32 v10, v11, v10 :: v_dual_cndmask_b32 v17, v17, v19
	v_or_b32_e32 v19, 0x400000, v12
	v_cmp_u_f32_e32 vcc_lo, v12, v12
	v_bfe_u32 v16, v13, 16, 1
	v_bfe_u32 v11, v5, 16, 1
	v_and_b32_e32 v14, 0xffff0000, v17
	v_or_b32_e32 v17, 0x400000, v5
	s_wait_alu 0xfffd
	v_cndmask_b32_e32 v12, v18, v19, vcc_lo
	v_cmp_u_f32_e32 vcc_lo, v13, v13
	v_add3_u32 v11, v11, v5, 0x7fff
	v_mul_f32_e32 v6, v50, v6
	s_delay_alu instid0(VALU_DEP_4) | instskip(NEXT) | instid1(VALU_DEP_1)
	v_and_b32_e32 v12, 0xffff0000, v12
	v_add_f32_e32 v12, v12, v14
	v_mul_f32_e32 v14, v47, v15
	v_add3_u32 v15, v16, v13, 0x7fff
	v_or_b32_e32 v16, 0x400000, v13
	s_delay_alu instid0(VALU_DEP_3) | instskip(SKIP_1) | instid1(VALU_DEP_2)
	v_bfe_u32 v18, v14, 16, 1
	s_wait_alu 0xfffd
	v_cndmask_b32_e32 v13, v15, v16, vcc_lo
	v_cmp_u_f32_e32 vcc_lo, v5, v5
	v_and_b32_e32 v16, 0xffff0000, v7
	v_or_b32_e32 v15, 0x400000, v14
	v_lshlrev_b32_e32 v7, 16, v7
	v_and_b32_e32 v13, 0xffff0000, v13
	s_wait_alu 0xfffd
	v_cndmask_b32_e32 v5, v11, v17, vcc_lo
	v_add3_u32 v11, v18, v14, 0x7fff
	v_bfe_u32 v17, v6, 16, 1
	v_cmp_u_f32_e32 vcc_lo, v14, v14
	v_dual_mul_f32 v14, v46, v16 :: v_dual_mul_f32 v7, v52, v7
	v_or_b32_e32 v16, 0x400000, v6
	v_and_b32_e32 v5, 0xffff0000, v5
	s_wait_alu 0xfffd
	v_cndmask_b32_e32 v11, v11, v15, vcc_lo
	v_add3_u32 v15, v17, v6, 0x7fff
	v_and_b32_e32 v17, 0xffff0000, v8
	v_bfe_u32 v18, v14, 16, 1
	v_cmp_u_f32_e32 vcc_lo, v6, v6
	v_bfe_u32 v19, v7, 16, 1
	v_lshlrev_b32_e32 v8, 16, v8
	v_and_b32_e32 v11, 0xffff0000, v11
	s_wait_alu 0xfffd
	v_dual_add_f32 v5, v5, v13 :: v_dual_cndmask_b32 v6, v15, v16
	v_mul_f32_e32 v15, v48, v17
	v_add3_u32 v16, v18, v14, 0x7fff
	v_or_b32_e32 v17, 0x400000, v14
	v_cmp_u_f32_e32 vcc_lo, v14, v14
	v_add3_u32 v18, v19, v7, 0x7fff
	v_or_b32_e32 v19, 0x400000, v7
	v_bfe_u32 v20, v15, 16, 1
	v_and_b32_e32 v6, 0xffff0000, v6
	s_wait_alu 0xfffd
	v_cndmask_b32_e32 v14, v16, v17, vcc_lo
	v_cmp_u_f32_e32 vcc_lo, v7, v7
	v_or_b32_e32 v17, 0x400000, v15
	v_add3_u32 v16, v20, v15, 0x7fff
	v_mul_f32_e32 v8, v51, v8
	v_add_f32_e32 v6, v6, v11
	s_wait_alu 0xfffd
	v_cndmask_b32_e32 v7, v18, v19, vcc_lo
	v_cmp_u_f32_e32 vcc_lo, v15, v15
	v_and_b32_e32 v11, 0xffff0000, v1
	v_and_b32_e32 v13, 0xffff0000, v14
	v_add_f32_e32 v5, v6, v5
	v_and_b32_e32 v7, 0xffff0000, v7
	s_wait_alu 0xfffd
	v_cndmask_b32_e32 v15, v16, v17, vcc_lo
	v_bfe_u32 v16, v8, 16, 1
	v_dual_mul_f32 v6, v45, v11 :: v_dual_lshlrev_b32 v1, 16, v1
	v_add_f32_e32 v7, v7, v13
	v_cmp_u_f32_e32 vcc_lo, v8, v8
	s_delay_alu instid0(VALU_DEP_4)
	v_add3_u32 v14, v16, v8, 0x7fff
	v_or_b32_e32 v16, 0x400000, v8
	v_bfe_u32 v11, v6, 16, 1
	v_add_f32_e32 v5, v7, v5
	v_and_b32_e32 v7, 0xffff0000, v2
	s_wait_alu 0xfffd
	v_dual_mul_f32 v1, v49, v1 :: v_dual_cndmask_b32 v8, v14, v16
	v_add3_u32 v11, v11, v6, 0x7fff
	v_or_b32_e32 v13, 0x400000, v6
	v_mul_f32_e32 v7, v47, v7
	v_and_b32_e32 v14, 0xffff0000, v15
	v_bfe_u32 v15, v1, 16, 1
	v_cmp_u_f32_e32 vcc_lo, v6, v6
	v_lshlrev_b32_e32 v2, 16, v2
	v_or_b32_e32 v16, 0x400000, v1
	v_or_b32_e32 v17, 0x400000, v7
	s_wait_loadcnt 0x0
	s_wait_alu 0xfffd
	v_dual_cndmask_b32 v6, v11, v13 :: v_dual_and_b32 v19, 0xffff0000, v23
	v_bfe_u32 v11, v7, 16, 1
	v_add3_u32 v13, v15, v1, 0x7fff
	v_dual_mul_f32 v2, v50, v2 :: v_dual_and_b32 v15, 0xffff0000, v3
	v_cmp_u_f32_e32 vcc_lo, v1, v1
	s_delay_alu instid0(VALU_DEP_4) | instskip(SKIP_1) | instid1(VALU_DEP_4)
	v_add3_u32 v11, v11, v7, 0x7fff
	v_lshlrev_b32_e32 v3, 16, v3
	v_dual_mul_f32 v15, v46, v15 :: v_dual_and_b32 v6, 0xffff0000, v6
	s_wait_alu 0xfffd
	v_cndmask_b32_e32 v1, v13, v16, vcc_lo
	v_bfe_u32 v13, v2, 16, 1
	v_cmp_u_f32_e32 vcc_lo, v7, v7
	v_dual_mul_f32 v3, v52, v3 :: v_dual_and_b32 v16, 0xffff0000, v4
	v_or_b32_e32 v18, 0x400000, v15
	s_delay_alu instid0(VALU_DEP_4)
	v_add3_u32 v13, v13, v2, 0x7fff
	s_wait_alu 0xfffd
	v_cndmask_b32_e32 v7, v11, v17, vcc_lo
	v_bfe_u32 v11, v15, 16, 1
	v_or_b32_e32 v17, 0x400000, v2
	v_cmp_u_f32_e32 vcc_lo, v2, v2
	v_mul_f32_e32 v16, v48, v16
	v_lshlrev_b32_e32 v4, 16, v4
	v_add3_u32 v11, v11, v15, 0x7fff
	v_and_b32_e32 v1, 0xffff0000, v1
	s_wait_alu 0xfffd
	v_cndmask_b32_e32 v2, v13, v17, vcc_lo
	v_bfe_u32 v13, v3, 16, 1
	v_cmp_u_f32_e32 vcc_lo, v15, v15
	v_bfe_u32 v17, v16, 16, 1
	v_or_b32_e32 v15, 0x400000, v3
	v_mul_f32_e32 v4, v51, v4
	v_add3_u32 v13, v13, v3, 0x7fff
	s_wait_alu 0xfffd
	v_cndmask_b32_e32 v11, v11, v18, vcc_lo
	v_cmp_u_f32_e32 vcc_lo, v3, v3
	v_add3_u32 v17, v17, v16, 0x7fff
	v_or_b32_e32 v18, 0x400000, v16
	v_and_b32_e32 v2, 0xffff0000, v2
	v_and_b32_e32 v7, 0xffff0000, v7
	s_wait_alu 0xfffd
	v_cndmask_b32_e32 v3, v13, v15, vcc_lo
	v_cmp_u_f32_e32 vcc_lo, v16, v16
	v_bfe_u32 v15, v4, 16, 1
	v_dual_add_f32 v1, v1, v6 :: v_dual_add_f32 v2, v2, v7
	s_delay_alu instid0(VALU_DEP_4)
	v_and_b32_e32 v3, 0xffff0000, v3
	s_wait_alu 0xfffd
	v_cndmask_b32_e32 v13, v17, v18, vcc_lo
	v_lshlrev_b32_e32 v17, 16, v21
	v_and_b32_e32 v6, 0xffff0000, v11
	v_and_b32_e32 v11, 0xffff0000, v21
	v_add3_u32 v15, v15, v4, 0x7fff
	v_or_b32_e32 v16, 0x400000, v4
	v_mul_f32_e32 v7, v49, v17
	v_cmp_u_f32_e32 vcc_lo, v4, v4
	v_add_f32_e32 v1, v2, v1
	v_dual_add_f32 v3, v3, v6 :: v_dual_mul_f32 v6, v45, v11
	s_delay_alu instid0(VALU_DEP_4)
	v_bfe_u32 v2, v7, 16, 1
	s_wait_alu 0xfffd
	v_dual_cndmask_b32 v4, v15, v16 :: v_dual_lshlrev_b32 v11, 16, v22
	v_or_b32_e32 v15, 0x400000, v7
	v_bfe_u32 v16, v6, 16, 1
	v_add3_u32 v2, v2, v7, 0x7fff
	s_delay_alu instid0(VALU_DEP_4)
	v_mul_f32_e32 v11, v50, v11
	v_and_b32_e32 v17, 0xffff0000, v22
	v_cmp_u_f32_e32 vcc_lo, v7, v7
	v_add3_u32 v7, v16, v6, 0x7fff
	v_lshlrev_b32_e32 v18, 16, v23
	v_bfe_u32 v16, v11, 16, 1
	s_wait_alu 0xfffd
	v_dual_mul_f32 v17, v47, v17 :: v_dual_cndmask_b32 v2, v2, v15
	v_or_b32_e32 v15, 0x400000, v6
	v_cmp_u_f32_e32 vcc_lo, v6, v6
	v_dual_mul_f32 v18, v52, v18 :: v_dual_mul_f32 v19, v46, v19
	v_lshlrev_b32_e32 v20, 16, v24
	s_wait_alu 0xfffd
	v_dual_cndmask_b32 v6, v7, v15 :: v_dual_and_b32 v21, 0xffff0000, v24
	v_add3_u32 v7, v16, v11, 0x7fff
	v_or_b32_e32 v15, 0x400000, v11
	v_bfe_u32 v16, v17, 16, 1
	v_cmp_u_f32_e32 vcc_lo, v11, v11
	v_or_b32_e32 v22, 0x400000, v19
	v_and_b32_e32 v6, 0xffff0000, v6
	v_and_b32_e32 v2, 0xffff0000, v2
	v_add3_u32 v11, v16, v17, 0x7fff
	s_wait_alu 0xfffd
	v_cndmask_b32_e32 v7, v7, v15, vcc_lo
	v_or_b32_e32 v15, 0x400000, v17
	v_bfe_u32 v16, v18, 16, 1
	v_cmp_u_f32_e32 vcc_lo, v17, v17
	v_dual_mul_f32 v17, v51, v20 :: v_dual_mul_f32 v20, v48, v21
	v_or_b32_e32 v21, 0x400000, v18
	s_delay_alu instid0(VALU_DEP_4)
	v_add3_u32 v16, v16, v18, 0x7fff
	s_wait_alu 0xfffd
	v_cndmask_b32_e32 v11, v11, v15, vcc_lo
	v_bfe_u32 v15, v19, 16, 1
	v_cmp_u_f32_e32 vcc_lo, v18, v18
	v_bfe_u32 v24, v20, 16, 1
	v_bfe_u32 v23, v17, 16, 1
	v_and_b32_e32 v11, 0xffff0000, v11
	v_add3_u32 v15, v15, v19, 0x7fff
	s_wait_alu 0xfffd
	v_cndmask_b32_e32 v16, v16, v21, vcc_lo
	v_cmp_u_f32_e32 vcc_lo, v19, v19
	v_add3_u32 v19, v24, v20, 0x7fff
	v_or_b32_e32 v21, 0x400000, v20
	v_add3_u32 v18, v23, v17, 0x7fff
	v_and_b32_e32 v7, 0xffff0000, v7
	s_wait_alu 0xfffd
	v_cndmask_b32_e32 v15, v15, v22, vcc_lo
	v_cmp_u_f32_e32 vcc_lo, v20, v20
	v_or_b32_e32 v22, 0x400000, v17
	v_add_f32_e32 v2, v2, v6
	v_add_f32_e32 v6, v7, v11
	v_and_b32_e32 v7, 0xffff0000, v15
	s_wait_alu 0xfffd
	v_cndmask_b32_e32 v19, v19, v21, vcc_lo
	v_cmp_u_f32_e32 vcc_lo, v17, v17
	v_and_b32_e32 v11, 0xffff0000, v16
	v_and_b32_e32 v8, 0xffff0000, v8
	;; [unrolled: 1-line block ×4, first 2 shown]
	s_wait_alu 0xfffd
	v_cndmask_b32_e32 v15, v18, v22, vcc_lo
	v_add_f32_e32 v2, v6, v2
	v_add_f32_e32 v6, v11, v7
	v_dual_add_f32 v8, v8, v14 :: v_dual_and_b32 v7, 0xffff0000, v19
	s_delay_alu instid0(VALU_DEP_4) | instskip(SKIP_1) | instid1(VALU_DEP_4)
	v_and_b32_e32 v11, 0xffff0000, v15
	v_add_f32_e32 v1, v3, v1
	v_dual_add_f32 v3, v4, v13 :: v_dual_add_f32 v2, v6, v2
	v_add_f32_e32 v6, v12, v10
	s_delay_alu instid0(VALU_DEP_4) | instskip(NEXT) | instid1(VALU_DEP_3)
	v_dual_add_f32 v4, v11, v7 :: v_dual_add_f32 v5, v8, v5
	v_add_f32_e32 v1, v3, v1
	v_cmp_le_i32_e32 vcc_lo, s19, v78
	s_delay_alu instid0(VALU_DEP_3)
	v_dual_add_f32 v93, v93, v9 :: v_dual_add_f32 v2, v4, v2
	v_add_f32_e32 v94, v94, v6
	v_add_f32_e32 v96, v96, v5
	;; [unrolled: 1-line block ×3, first 2 shown]
	s_or_b32 s8, vcc_lo, s8
	v_add_f32_e32 v81, v81, v2
	s_wait_alu 0xfffe
	s_and_not1_b32 exec_lo, exec_lo, s8
	s_cbranch_execz .LBB170_65
.LBB170_33:                             ; =>This Inner Loop Header: Depth=1
	global_load_b32 v1, v[73:74], off
	v_add_nc_u32_e32 v106, 1, v99
	v_or_b32_e32 v105, 3, v99
	v_or_b32_e32 v107, 2, v99
	;; [unrolled: 1-line block ×6, first 2 shown]
	s_wait_loadcnt 0x0
	s_wait_alu 0xfffe
	v_mad_co_i64_i32 v[1:2], null, v1, s3, 0
	s_delay_alu instid0(VALU_DEP_1) | instskip(NEXT) | instid1(VALU_DEP_1)
	v_lshlrev_b64_e32 v[1:2], 1, v[1:2]
	v_add_co_u32 v21, vcc_lo, v97, v1
	s_wait_alu 0xfffd
	s_delay_alu instid0(VALU_DEP_2)
	v_add_co_ci_u32_e64 v22, null, v98, v2, vcc_lo
	v_cmp_eq_u32_e32 vcc_lo, s5, v78
	global_load_b128 v[1:4], v[21:22], off
	ds_load_2addr_b64 v[49:52], v100 offset1:1
	ds_load_2addr_b64 v[45:48], v100 offset0:2 offset1:3
	s_and_saveexec_b32 s10, vcc_lo
	s_cbranch_execnz .LBB170_49
; %bb.34:                               ;   in Loop: Header=BB170_33 Depth=1
	s_wait_alu 0xfffe
	s_or_b32 exec_lo, exec_lo, s10
	global_load_b128 v[5:8], v[21:22], off offset:512
	s_and_saveexec_b32 s10, vcc_lo
	s_cbranch_execnz .LBB170_50
.LBB170_35:                             ;   in Loop: Header=BB170_33 Depth=1
	s_wait_alu 0xfffe
	s_or_b32 exec_lo, exec_lo, s10
	global_load_b128 v[9:12], v[21:22], off offset:1024
	s_and_saveexec_b32 s10, vcc_lo
	s_cbranch_execnz .LBB170_51
.LBB170_36:                             ;   in Loop: Header=BB170_33 Depth=1
	s_wait_alu 0xfffe
	s_or_b32 exec_lo, exec_lo, s10
	global_load_b128 v[13:16], v[21:22], off offset:1536
	s_and_saveexec_b32 s10, vcc_lo
	s_cbranch_execnz .LBB170_52
.LBB170_37:                             ;   in Loop: Header=BB170_33 Depth=1
	s_wait_alu 0xfffe
	s_or_b32 exec_lo, exec_lo, s10
	global_load_b128 v[17:20], v[21:22], off offset:2048
	s_and_saveexec_b32 s10, vcc_lo
	s_cbranch_execnz .LBB170_53
.LBB170_38:                             ;   in Loop: Header=BB170_33 Depth=1
	s_wait_alu 0xfffe
	s_or_b32 exec_lo, exec_lo, s10
	global_load_b128 v[25:28], v[21:22], off offset:2560
	s_and_saveexec_b32 s10, vcc_lo
	s_cbranch_execnz .LBB170_54
.LBB170_39:                             ;   in Loop: Header=BB170_33 Depth=1
	s_wait_alu 0xfffe
	s_or_b32 exec_lo, exec_lo, s10
	global_load_b128 v[29:32], v[21:22], off offset:3072
	s_and_saveexec_b32 s10, vcc_lo
	s_cbranch_execnz .LBB170_55
.LBB170_40:                             ;   in Loop: Header=BB170_33 Depth=1
	s_wait_alu 0xfffe
	s_or_b32 exec_lo, exec_lo, s10
	global_load_b128 v[33:36], v[21:22], off offset:3584
	s_and_saveexec_b32 s10, vcc_lo
	s_cbranch_execnz .LBB170_56
.LBB170_41:                             ;   in Loop: Header=BB170_33 Depth=1
	s_wait_alu 0xfffe
	s_or_b32 exec_lo, exec_lo, s10
	global_load_b128 v[37:40], v[21:22], off offset:4096
	s_and_saveexec_b32 s10, vcc_lo
	s_cbranch_execnz .LBB170_57
.LBB170_42:                             ;   in Loop: Header=BB170_33 Depth=1
	s_wait_alu 0xfffe
	s_or_b32 exec_lo, exec_lo, s10
	global_load_b128 v[41:44], v[21:22], off offset:4608
	s_and_saveexec_b32 s10, vcc_lo
	s_cbranch_execnz .LBB170_58
.LBB170_43:                             ;   in Loop: Header=BB170_33 Depth=1
	s_wait_alu 0xfffe
	s_or_b32 exec_lo, exec_lo, s10
	global_load_b128 v[53:56], v[21:22], off offset:5120
	s_and_saveexec_b32 s10, vcc_lo
	s_cbranch_execnz .LBB170_59
.LBB170_44:                             ;   in Loop: Header=BB170_33 Depth=1
	s_wait_alu 0xfffe
	s_or_b32 exec_lo, exec_lo, s10
	global_load_b128 v[57:60], v[21:22], off offset:5632
	s_and_saveexec_b32 s10, vcc_lo
	s_cbranch_execnz .LBB170_60
.LBB170_45:                             ;   in Loop: Header=BB170_33 Depth=1
	s_wait_alu 0xfffe
	s_or_b32 exec_lo, exec_lo, s10
	global_load_b128 v[61:64], v[21:22], off offset:6144
	s_and_saveexec_b32 s10, vcc_lo
	s_cbranch_execnz .LBB170_61
.LBB170_46:                             ;   in Loop: Header=BB170_33 Depth=1
	s_wait_alu 0xfffe
	s_or_b32 exec_lo, exec_lo, s10
	global_load_b128 v[65:68], v[21:22], off offset:6656
	s_and_saveexec_b32 s10, vcc_lo
	s_cbranch_execnz .LBB170_62
.LBB170_47:                             ;   in Loop: Header=BB170_33 Depth=1
	s_wait_alu 0xfffe
	s_or_b32 exec_lo, exec_lo, s10
	global_load_b128 v[69:72], v[21:22], off offset:7168
	s_and_saveexec_b32 s10, vcc_lo
	s_cbranch_execnz .LBB170_63
.LBB170_48:                             ;   in Loop: Header=BB170_33 Depth=1
	s_wait_alu 0xfffe
	s_or_b32 exec_lo, exec_lo, s10
	global_load_b128 v[21:24], v[21:22], off offset:7680
	s_and_saveexec_b32 s0, vcc_lo
	s_cbranch_execz .LBB170_32
	s_branch .LBB170_64
.LBB170_49:                             ;   in Loop: Header=BB170_33 Depth=1
	v_cmp_gt_i32_e64 s0, s17, v99
	s_wait_loadcnt 0x0
	v_lshrrev_b32_e32 v5, 16, v1
	v_lshrrev_b32_e32 v6, 16, v2
	v_lshrrev_b32_e32 v7, 16, v3
	v_lshrrev_b32_e32 v8, 16, v4
	s_wait_alu 0xf1ff
	v_cndmask_b32_e64 v1, 0, v1, s0
	v_cmp_gt_i32_e64 s0, s9, v106
	s_wait_alu 0xf1ff
	s_delay_alu instid0(VALU_DEP_1) | instskip(SKIP_1) | instid1(VALU_DEP_2)
	v_cndmask_b32_e64 v5, 0, v5, s0
	v_cmp_gt_i32_e64 s0, s17, v107
	v_perm_b32 v1, v5, v1, 0x5040100
	s_wait_alu 0xf1ff
	s_delay_alu instid0(VALU_DEP_2) | instskip(SKIP_2) | instid1(VALU_DEP_1)
	v_cndmask_b32_e64 v2, 0, v2, s0
	v_cmp_gt_i32_e64 s0, s9, v105
	s_wait_alu 0xf1ff
	v_cndmask_b32_e64 v6, 0, v6, s0
	v_cmp_gt_i32_e64 s0, s17, v104
	s_delay_alu instid0(VALU_DEP_2) | instskip(SKIP_1) | instid1(VALU_DEP_2)
	v_perm_b32 v2, v6, v2, 0x5040100
	s_wait_alu 0xf1ff
	v_cndmask_b32_e64 v3, 0, v3, s0
	v_cmp_gt_i32_e64 s0, s9, v102
	s_wait_alu 0xf1ff
	s_delay_alu instid0(VALU_DEP_1) | instskip(SKIP_1) | instid1(VALU_DEP_2)
	v_cndmask_b32_e64 v7, 0, v7, s0
	v_cmp_gt_i32_e64 s0, s17, v103
	v_perm_b32 v3, v7, v3, 0x5040100
	s_wait_alu 0xf1ff
	s_delay_alu instid0(VALU_DEP_2) | instskip(SKIP_2) | instid1(VALU_DEP_1)
	v_cndmask_b32_e64 v4, 0, v4, s0
	v_cmp_gt_i32_e64 s0, s9, v101
	s_wait_alu 0xf1ff
	v_cndmask_b32_e64 v8, 0, v8, s0
	s_delay_alu instid0(VALU_DEP_1)
	v_perm_b32 v4, v8, v4, 0x5040100
	s_wait_alu 0xfffe
	s_or_b32 exec_lo, exec_lo, s10
	global_load_b128 v[5:8], v[21:22], off offset:512
	s_and_saveexec_b32 s10, vcc_lo
	s_cbranch_execz .LBB170_35
.LBB170_50:                             ;   in Loop: Header=BB170_33 Depth=1
	v_cmp_gt_i32_e64 s0, s17, v99
	s_wait_loadcnt 0x0
	v_lshrrev_b32_e32 v9, 16, v5
	v_lshrrev_b32_e32 v10, 16, v6
	v_lshrrev_b32_e32 v11, 16, v7
	v_lshrrev_b32_e32 v12, 16, v8
	s_wait_alu 0xf1ff
	v_cndmask_b32_e64 v5, 0, v5, s0
	v_cmp_gt_i32_e64 s0, s9, v106
	s_wait_alu 0xf1ff
	s_delay_alu instid0(VALU_DEP_1) | instskip(SKIP_1) | instid1(VALU_DEP_2)
	v_cndmask_b32_e64 v9, 0, v9, s0
	v_cmp_gt_i32_e64 s0, s17, v107
	v_perm_b32 v5, v9, v5, 0x5040100
	s_wait_alu 0xf1ff
	s_delay_alu instid0(VALU_DEP_2) | instskip(SKIP_2) | instid1(VALU_DEP_1)
	v_cndmask_b32_e64 v6, 0, v6, s0
	v_cmp_gt_i32_e64 s0, s9, v105
	s_wait_alu 0xf1ff
	v_cndmask_b32_e64 v10, 0, v10, s0
	v_cmp_gt_i32_e64 s0, s17, v104
	s_delay_alu instid0(VALU_DEP_2) | instskip(SKIP_1) | instid1(VALU_DEP_2)
	v_perm_b32 v6, v10, v6, 0x5040100
	s_wait_alu 0xf1ff
	v_cndmask_b32_e64 v7, 0, v7, s0
	v_cmp_gt_i32_e64 s0, s9, v102
	s_wait_alu 0xf1ff
	s_delay_alu instid0(VALU_DEP_1) | instskip(SKIP_1) | instid1(VALU_DEP_2)
	v_cndmask_b32_e64 v11, 0, v11, s0
	v_cmp_gt_i32_e64 s0, s17, v103
	v_perm_b32 v7, v11, v7, 0x5040100
	s_wait_alu 0xf1ff
	s_delay_alu instid0(VALU_DEP_2) | instskip(SKIP_2) | instid1(VALU_DEP_1)
	v_cndmask_b32_e64 v8, 0, v8, s0
	v_cmp_gt_i32_e64 s0, s9, v101
	s_wait_alu 0xf1ff
	v_cndmask_b32_e64 v12, 0, v12, s0
	s_delay_alu instid0(VALU_DEP_1)
	v_perm_b32 v8, v12, v8, 0x5040100
	s_wait_alu 0xfffe
	s_or_b32 exec_lo, exec_lo, s10
	global_load_b128 v[9:12], v[21:22], off offset:1024
	s_and_saveexec_b32 s10, vcc_lo
	s_cbranch_execz .LBB170_36
.LBB170_51:                             ;   in Loop: Header=BB170_33 Depth=1
	v_cmp_gt_i32_e64 s0, s17, v99
	s_wait_loadcnt 0x0
	v_lshrrev_b32_e32 v13, 16, v9
	v_lshrrev_b32_e32 v14, 16, v10
	;; [unrolled: 1-line block ×4, first 2 shown]
	s_wait_alu 0xf1ff
	v_cndmask_b32_e64 v9, 0, v9, s0
	v_cmp_gt_i32_e64 s0, s9, v106
	s_wait_alu 0xf1ff
	s_delay_alu instid0(VALU_DEP_1) | instskip(SKIP_1) | instid1(VALU_DEP_2)
	v_cndmask_b32_e64 v13, 0, v13, s0
	v_cmp_gt_i32_e64 s0, s17, v107
	v_perm_b32 v9, v13, v9, 0x5040100
	s_wait_alu 0xf1ff
	s_delay_alu instid0(VALU_DEP_2) | instskip(SKIP_2) | instid1(VALU_DEP_1)
	v_cndmask_b32_e64 v10, 0, v10, s0
	v_cmp_gt_i32_e64 s0, s9, v105
	s_wait_alu 0xf1ff
	v_cndmask_b32_e64 v14, 0, v14, s0
	v_cmp_gt_i32_e64 s0, s17, v104
	s_delay_alu instid0(VALU_DEP_2) | instskip(SKIP_1) | instid1(VALU_DEP_2)
	v_perm_b32 v10, v14, v10, 0x5040100
	s_wait_alu 0xf1ff
	v_cndmask_b32_e64 v11, 0, v11, s0
	v_cmp_gt_i32_e64 s0, s9, v102
	s_wait_alu 0xf1ff
	s_delay_alu instid0(VALU_DEP_1) | instskip(SKIP_1) | instid1(VALU_DEP_2)
	v_cndmask_b32_e64 v15, 0, v15, s0
	v_cmp_gt_i32_e64 s0, s17, v103
	v_perm_b32 v11, v15, v11, 0x5040100
	s_wait_alu 0xf1ff
	s_delay_alu instid0(VALU_DEP_2) | instskip(SKIP_2) | instid1(VALU_DEP_1)
	v_cndmask_b32_e64 v12, 0, v12, s0
	v_cmp_gt_i32_e64 s0, s9, v101
	s_wait_alu 0xf1ff
	v_cndmask_b32_e64 v16, 0, v16, s0
	s_delay_alu instid0(VALU_DEP_1)
	v_perm_b32 v12, v16, v12, 0x5040100
	s_wait_alu 0xfffe
	s_or_b32 exec_lo, exec_lo, s10
	global_load_b128 v[13:16], v[21:22], off offset:1536
	s_and_saveexec_b32 s10, vcc_lo
	s_cbranch_execz .LBB170_37
.LBB170_52:                             ;   in Loop: Header=BB170_33 Depth=1
	v_cmp_gt_i32_e64 s0, s17, v99
	s_wait_loadcnt 0x0
	v_lshrrev_b32_e32 v17, 16, v13
	v_lshrrev_b32_e32 v18, 16, v14
	v_lshrrev_b32_e32 v19, 16, v15
	v_lshrrev_b32_e32 v20, 16, v16
	s_wait_alu 0xf1ff
	v_cndmask_b32_e64 v13, 0, v13, s0
	v_cmp_gt_i32_e64 s0, s9, v106
	s_wait_alu 0xf1ff
	s_delay_alu instid0(VALU_DEP_1) | instskip(SKIP_1) | instid1(VALU_DEP_2)
	v_cndmask_b32_e64 v17, 0, v17, s0
	v_cmp_gt_i32_e64 s0, s17, v107
	v_perm_b32 v13, v17, v13, 0x5040100
	s_wait_alu 0xf1ff
	s_delay_alu instid0(VALU_DEP_2) | instskip(SKIP_2) | instid1(VALU_DEP_1)
	v_cndmask_b32_e64 v14, 0, v14, s0
	v_cmp_gt_i32_e64 s0, s9, v105
	s_wait_alu 0xf1ff
	v_cndmask_b32_e64 v18, 0, v18, s0
	v_cmp_gt_i32_e64 s0, s17, v104
	s_delay_alu instid0(VALU_DEP_2) | instskip(SKIP_1) | instid1(VALU_DEP_2)
	v_perm_b32 v14, v18, v14, 0x5040100
	s_wait_alu 0xf1ff
	v_cndmask_b32_e64 v15, 0, v15, s0
	v_cmp_gt_i32_e64 s0, s9, v102
	s_wait_alu 0xf1ff
	s_delay_alu instid0(VALU_DEP_1) | instskip(SKIP_1) | instid1(VALU_DEP_2)
	v_cndmask_b32_e64 v19, 0, v19, s0
	v_cmp_gt_i32_e64 s0, s17, v103
	v_perm_b32 v15, v19, v15, 0x5040100
	s_wait_alu 0xf1ff
	s_delay_alu instid0(VALU_DEP_2) | instskip(SKIP_2) | instid1(VALU_DEP_1)
	v_cndmask_b32_e64 v16, 0, v16, s0
	v_cmp_gt_i32_e64 s0, s9, v101
	s_wait_alu 0xf1ff
	v_cndmask_b32_e64 v20, 0, v20, s0
	s_delay_alu instid0(VALU_DEP_1)
	v_perm_b32 v16, v20, v16, 0x5040100
	s_wait_alu 0xfffe
	s_or_b32 exec_lo, exec_lo, s10
	global_load_b128 v[17:20], v[21:22], off offset:2048
	s_and_saveexec_b32 s10, vcc_lo
	s_cbranch_execz .LBB170_38
.LBB170_53:                             ;   in Loop: Header=BB170_33 Depth=1
	v_cmp_gt_i32_e64 s0, s17, v99
	s_wait_loadcnt 0x0
	v_lshrrev_b32_e32 v23, 16, v17
	v_lshrrev_b32_e32 v24, 16, v18
	;; [unrolled: 1-line block ×4, first 2 shown]
	s_wait_alu 0xf1ff
	v_cndmask_b32_e64 v17, 0, v17, s0
	v_cmp_gt_i32_e64 s0, s9, v106
	s_wait_alu 0xf1ff
	s_delay_alu instid0(VALU_DEP_1) | instskip(SKIP_1) | instid1(VALU_DEP_2)
	v_cndmask_b32_e64 v23, 0, v23, s0
	v_cmp_gt_i32_e64 s0, s17, v107
	v_perm_b32 v17, v23, v17, 0x5040100
	s_wait_alu 0xf1ff
	s_delay_alu instid0(VALU_DEP_2) | instskip(SKIP_2) | instid1(VALU_DEP_1)
	v_cndmask_b32_e64 v18, 0, v18, s0
	v_cmp_gt_i32_e64 s0, s9, v105
	s_wait_alu 0xf1ff
	v_cndmask_b32_e64 v24, 0, v24, s0
	v_cmp_gt_i32_e64 s0, s17, v104
	s_delay_alu instid0(VALU_DEP_2) | instskip(SKIP_1) | instid1(VALU_DEP_2)
	v_perm_b32 v18, v24, v18, 0x5040100
	s_wait_alu 0xf1ff
	v_cndmask_b32_e64 v19, 0, v19, s0
	v_cmp_gt_i32_e64 s0, s9, v102
	s_wait_alu 0xf1ff
	s_delay_alu instid0(VALU_DEP_1) | instskip(SKIP_1) | instid1(VALU_DEP_2)
	v_cndmask_b32_e64 v25, 0, v25, s0
	v_cmp_gt_i32_e64 s0, s17, v103
	v_perm_b32 v19, v25, v19, 0x5040100
	s_wait_alu 0xf1ff
	s_delay_alu instid0(VALU_DEP_2) | instskip(SKIP_2) | instid1(VALU_DEP_1)
	v_cndmask_b32_e64 v20, 0, v20, s0
	v_cmp_gt_i32_e64 s0, s9, v101
	s_wait_alu 0xf1ff
	v_cndmask_b32_e64 v26, 0, v26, s0
	s_delay_alu instid0(VALU_DEP_1)
	v_perm_b32 v20, v26, v20, 0x5040100
	s_wait_alu 0xfffe
	s_or_b32 exec_lo, exec_lo, s10
	global_load_b128 v[25:28], v[21:22], off offset:2560
	s_and_saveexec_b32 s10, vcc_lo
	s_cbranch_execz .LBB170_39
.LBB170_54:                             ;   in Loop: Header=BB170_33 Depth=1
	v_cmp_gt_i32_e64 s0, s17, v99
	s_wait_loadcnt 0x0
	v_lshrrev_b32_e32 v23, 16, v25
	v_lshrrev_b32_e32 v30, 16, v28
	s_wait_alu 0xf1ff
	v_cndmask_b32_e64 v24, 0, v25, s0
	v_cmp_gt_i32_e64 s0, s9, v106
	v_lshrrev_b32_e32 v25, 16, v26
	s_wait_alu 0xf1ff
	s_delay_alu instid0(VALU_DEP_2) | instskip(SKIP_2) | instid1(VALU_DEP_1)
	v_cndmask_b32_e64 v23, 0, v23, s0
	v_cmp_gt_i32_e64 s0, s17, v107
	s_wait_alu 0xf1ff
	v_cndmask_b32_e64 v26, 0, v26, s0
	v_cmp_gt_i32_e64 s0, s9, v105
	s_wait_alu 0xf1ff
	s_delay_alu instid0(VALU_DEP_1) | instskip(SKIP_2) | instid1(VALU_DEP_3)
	v_cndmask_b32_e64 v29, 0, v25, s0
	v_cmp_gt_i32_e64 s0, s17, v104
	v_lshrrev_b32_e32 v25, 16, v27
	v_perm_b32 v26, v29, v26, 0x5040100
	s_wait_alu 0xf1ff
	s_delay_alu instid0(VALU_DEP_3) | instskip(SKIP_2) | instid1(VALU_DEP_1)
	v_cndmask_b32_e64 v27, 0, v27, s0
	v_cmp_gt_i32_e64 s0, s9, v102
	s_wait_alu 0xf1ff
	v_cndmask_b32_e64 v31, 0, v25, s0
	v_cmp_gt_i32_e64 s0, s17, v103
	v_perm_b32 v25, v23, v24, 0x5040100
	s_delay_alu instid0(VALU_DEP_3) | instskip(SKIP_1) | instid1(VALU_DEP_3)
	v_perm_b32 v27, v31, v27, 0x5040100
	s_wait_alu 0xf1ff
	v_cndmask_b32_e64 v28, 0, v28, s0
	v_cmp_gt_i32_e64 s0, s9, v101
	s_wait_alu 0xf1ff
	s_delay_alu instid0(VALU_DEP_1) | instskip(NEXT) | instid1(VALU_DEP_1)
	v_cndmask_b32_e64 v30, 0, v30, s0
	v_perm_b32 v28, v30, v28, 0x5040100
	s_wait_alu 0xfffe
	s_or_b32 exec_lo, exec_lo, s10
	global_load_b128 v[29:32], v[21:22], off offset:3072
	s_and_saveexec_b32 s10, vcc_lo
	s_cbranch_execz .LBB170_40
.LBB170_55:                             ;   in Loop: Header=BB170_33 Depth=1
	v_cmp_gt_i32_e64 s0, s17, v99
	s_wait_loadcnt 0x0
	v_lshrrev_b32_e32 v23, 16, v29
	v_lshrrev_b32_e32 v34, 16, v32
	s_wait_alu 0xf1ff
	v_cndmask_b32_e64 v24, 0, v29, s0
	v_cmp_gt_i32_e64 s0, s9, v106
	v_lshrrev_b32_e32 v29, 16, v30
	s_wait_alu 0xf1ff
	s_delay_alu instid0(VALU_DEP_2) | instskip(SKIP_2) | instid1(VALU_DEP_1)
	v_cndmask_b32_e64 v23, 0, v23, s0
	v_cmp_gt_i32_e64 s0, s17, v107
	s_wait_alu 0xf1ff
	v_cndmask_b32_e64 v30, 0, v30, s0
	v_cmp_gt_i32_e64 s0, s9, v105
	s_wait_alu 0xf1ff
	s_delay_alu instid0(VALU_DEP_1) | instskip(SKIP_2) | instid1(VALU_DEP_3)
	v_cndmask_b32_e64 v33, 0, v29, s0
	v_cmp_gt_i32_e64 s0, s17, v104
	v_lshrrev_b32_e32 v29, 16, v31
	v_perm_b32 v30, v33, v30, 0x5040100
	s_wait_alu 0xf1ff
	s_delay_alu instid0(VALU_DEP_3) | instskip(SKIP_2) | instid1(VALU_DEP_1)
	v_cndmask_b32_e64 v31, 0, v31, s0
	v_cmp_gt_i32_e64 s0, s9, v102
	s_wait_alu 0xf1ff
	v_cndmask_b32_e64 v35, 0, v29, s0
	v_cmp_gt_i32_e64 s0, s17, v103
	v_perm_b32 v29, v23, v24, 0x5040100
	s_delay_alu instid0(VALU_DEP_3) | instskip(SKIP_1) | instid1(VALU_DEP_3)
	v_perm_b32 v31, v35, v31, 0x5040100
	s_wait_alu 0xf1ff
	v_cndmask_b32_e64 v32, 0, v32, s0
	v_cmp_gt_i32_e64 s0, s9, v101
	s_wait_alu 0xf1ff
	s_delay_alu instid0(VALU_DEP_1) | instskip(NEXT) | instid1(VALU_DEP_1)
	v_cndmask_b32_e64 v34, 0, v34, s0
	v_perm_b32 v32, v34, v32, 0x5040100
	s_wait_alu 0xfffe
	s_or_b32 exec_lo, exec_lo, s10
	global_load_b128 v[33:36], v[21:22], off offset:3584
	s_and_saveexec_b32 s10, vcc_lo
	s_cbranch_execz .LBB170_41
.LBB170_56:                             ;   in Loop: Header=BB170_33 Depth=1
	v_cmp_gt_i32_e64 s0, s17, v99
	s_wait_loadcnt 0x0
	v_lshrrev_b32_e32 v23, 16, v33
	v_lshrrev_b32_e32 v38, 16, v36
	s_wait_alu 0xf1ff
	v_cndmask_b32_e64 v24, 0, v33, s0
	v_cmp_gt_i32_e64 s0, s9, v106
	v_lshrrev_b32_e32 v33, 16, v34
	s_wait_alu 0xf1ff
	s_delay_alu instid0(VALU_DEP_2) | instskip(SKIP_2) | instid1(VALU_DEP_1)
	v_cndmask_b32_e64 v23, 0, v23, s0
	v_cmp_gt_i32_e64 s0, s17, v107
	s_wait_alu 0xf1ff
	v_cndmask_b32_e64 v34, 0, v34, s0
	v_cmp_gt_i32_e64 s0, s9, v105
	s_wait_alu 0xf1ff
	s_delay_alu instid0(VALU_DEP_1) | instskip(SKIP_2) | instid1(VALU_DEP_3)
	v_cndmask_b32_e64 v37, 0, v33, s0
	v_cmp_gt_i32_e64 s0, s17, v104
	v_lshrrev_b32_e32 v33, 16, v35
	v_perm_b32 v34, v37, v34, 0x5040100
	s_wait_alu 0xf1ff
	s_delay_alu instid0(VALU_DEP_3) | instskip(SKIP_2) | instid1(VALU_DEP_1)
	v_cndmask_b32_e64 v35, 0, v35, s0
	v_cmp_gt_i32_e64 s0, s9, v102
	s_wait_alu 0xf1ff
	v_cndmask_b32_e64 v39, 0, v33, s0
	v_cmp_gt_i32_e64 s0, s17, v103
	v_perm_b32 v33, v23, v24, 0x5040100
	s_delay_alu instid0(VALU_DEP_3) | instskip(SKIP_1) | instid1(VALU_DEP_3)
	v_perm_b32 v35, v39, v35, 0x5040100
	s_wait_alu 0xf1ff
	v_cndmask_b32_e64 v36, 0, v36, s0
	v_cmp_gt_i32_e64 s0, s9, v101
	s_wait_alu 0xf1ff
	s_delay_alu instid0(VALU_DEP_1) | instskip(NEXT) | instid1(VALU_DEP_1)
	v_cndmask_b32_e64 v38, 0, v38, s0
	v_perm_b32 v36, v38, v36, 0x5040100
	s_wait_alu 0xfffe
	s_or_b32 exec_lo, exec_lo, s10
	global_load_b128 v[37:40], v[21:22], off offset:4096
	s_and_saveexec_b32 s10, vcc_lo
	s_cbranch_execz .LBB170_42
.LBB170_57:                             ;   in Loop: Header=BB170_33 Depth=1
	v_cmp_gt_i32_e64 s0, s17, v99
	s_wait_loadcnt 0x0
	v_lshrrev_b32_e32 v23, 16, v37
	v_lshrrev_b32_e32 v42, 16, v40
	s_wait_alu 0xf1ff
	v_cndmask_b32_e64 v24, 0, v37, s0
	v_cmp_gt_i32_e64 s0, s9, v106
	v_lshrrev_b32_e32 v37, 16, v38
	s_wait_alu 0xf1ff
	s_delay_alu instid0(VALU_DEP_2) | instskip(SKIP_2) | instid1(VALU_DEP_1)
	v_cndmask_b32_e64 v23, 0, v23, s0
	v_cmp_gt_i32_e64 s0, s17, v107
	s_wait_alu 0xf1ff
	v_cndmask_b32_e64 v38, 0, v38, s0
	v_cmp_gt_i32_e64 s0, s9, v105
	s_wait_alu 0xf1ff
	s_delay_alu instid0(VALU_DEP_1) | instskip(SKIP_2) | instid1(VALU_DEP_3)
	v_cndmask_b32_e64 v41, 0, v37, s0
	v_cmp_gt_i32_e64 s0, s17, v104
	v_lshrrev_b32_e32 v37, 16, v39
	v_perm_b32 v38, v41, v38, 0x5040100
	s_wait_alu 0xf1ff
	s_delay_alu instid0(VALU_DEP_3) | instskip(SKIP_2) | instid1(VALU_DEP_1)
	v_cndmask_b32_e64 v39, 0, v39, s0
	v_cmp_gt_i32_e64 s0, s9, v102
	s_wait_alu 0xf1ff
	v_cndmask_b32_e64 v43, 0, v37, s0
	v_cmp_gt_i32_e64 s0, s17, v103
	v_perm_b32 v37, v23, v24, 0x5040100
	s_delay_alu instid0(VALU_DEP_3) | instskip(SKIP_1) | instid1(VALU_DEP_3)
	v_perm_b32 v39, v43, v39, 0x5040100
	s_wait_alu 0xf1ff
	v_cndmask_b32_e64 v40, 0, v40, s0
	v_cmp_gt_i32_e64 s0, s9, v101
	s_wait_alu 0xf1ff
	s_delay_alu instid0(VALU_DEP_1) | instskip(NEXT) | instid1(VALU_DEP_1)
	v_cndmask_b32_e64 v42, 0, v42, s0
	v_perm_b32 v40, v42, v40, 0x5040100
	s_wait_alu 0xfffe
	s_or_b32 exec_lo, exec_lo, s10
	global_load_b128 v[41:44], v[21:22], off offset:4608
	s_and_saveexec_b32 s10, vcc_lo
	s_cbranch_execz .LBB170_43
.LBB170_58:                             ;   in Loop: Header=BB170_33 Depth=1
	v_cmp_gt_i32_e64 s0, s17, v99
	s_wait_loadcnt 0x0
	v_lshrrev_b32_e32 v23, 16, v41
	v_lshrrev_b32_e32 v54, 16, v44
	s_wait_alu 0xf1ff
	v_cndmask_b32_e64 v24, 0, v41, s0
	v_cmp_gt_i32_e64 s0, s9, v106
	v_lshrrev_b32_e32 v41, 16, v42
	s_wait_alu 0xf1ff
	s_delay_alu instid0(VALU_DEP_2) | instskip(SKIP_2) | instid1(VALU_DEP_1)
	v_cndmask_b32_e64 v23, 0, v23, s0
	v_cmp_gt_i32_e64 s0, s17, v107
	s_wait_alu 0xf1ff
	v_cndmask_b32_e64 v42, 0, v42, s0
	v_cmp_gt_i32_e64 s0, s9, v105
	s_wait_alu 0xf1ff
	s_delay_alu instid0(VALU_DEP_1) | instskip(SKIP_2) | instid1(VALU_DEP_3)
	v_cndmask_b32_e64 v53, 0, v41, s0
	v_cmp_gt_i32_e64 s0, s17, v104
	v_lshrrev_b32_e32 v41, 16, v43
	v_perm_b32 v42, v53, v42, 0x5040100
	s_wait_alu 0xf1ff
	s_delay_alu instid0(VALU_DEP_3) | instskip(SKIP_2) | instid1(VALU_DEP_1)
	v_cndmask_b32_e64 v43, 0, v43, s0
	v_cmp_gt_i32_e64 s0, s9, v102
	s_wait_alu 0xf1ff
	v_cndmask_b32_e64 v55, 0, v41, s0
	v_cmp_gt_i32_e64 s0, s17, v103
	v_perm_b32 v41, v23, v24, 0x5040100
	s_delay_alu instid0(VALU_DEP_3) | instskip(SKIP_1) | instid1(VALU_DEP_3)
	v_perm_b32 v43, v55, v43, 0x5040100
	s_wait_alu 0xf1ff
	v_cndmask_b32_e64 v44, 0, v44, s0
	v_cmp_gt_i32_e64 s0, s9, v101
	s_wait_alu 0xf1ff
	s_delay_alu instid0(VALU_DEP_1) | instskip(NEXT) | instid1(VALU_DEP_1)
	v_cndmask_b32_e64 v54, 0, v54, s0
	v_perm_b32 v44, v54, v44, 0x5040100
	s_wait_alu 0xfffe
	s_or_b32 exec_lo, exec_lo, s10
	global_load_b128 v[53:56], v[21:22], off offset:5120
	s_and_saveexec_b32 s10, vcc_lo
	s_cbranch_execz .LBB170_44
.LBB170_59:                             ;   in Loop: Header=BB170_33 Depth=1
	v_cmp_gt_i32_e64 s0, s17, v99
	s_wait_loadcnt 0x0
	v_lshrrev_b32_e32 v23, 16, v53
	v_lshrrev_b32_e32 v58, 16, v56
	s_wait_alu 0xf1ff
	v_cndmask_b32_e64 v24, 0, v53, s0
	v_cmp_gt_i32_e64 s0, s9, v106
	v_lshrrev_b32_e32 v53, 16, v54
	s_wait_alu 0xf1ff
	s_delay_alu instid0(VALU_DEP_2) | instskip(SKIP_2) | instid1(VALU_DEP_1)
	v_cndmask_b32_e64 v23, 0, v23, s0
	v_cmp_gt_i32_e64 s0, s17, v107
	s_wait_alu 0xf1ff
	v_cndmask_b32_e64 v54, 0, v54, s0
	v_cmp_gt_i32_e64 s0, s9, v105
	s_wait_alu 0xf1ff
	s_delay_alu instid0(VALU_DEP_1) | instskip(SKIP_2) | instid1(VALU_DEP_3)
	v_cndmask_b32_e64 v57, 0, v53, s0
	v_cmp_gt_i32_e64 s0, s17, v104
	v_lshrrev_b32_e32 v53, 16, v55
	v_perm_b32 v54, v57, v54, 0x5040100
	s_wait_alu 0xf1ff
	s_delay_alu instid0(VALU_DEP_3) | instskip(SKIP_2) | instid1(VALU_DEP_1)
	v_cndmask_b32_e64 v55, 0, v55, s0
	v_cmp_gt_i32_e64 s0, s9, v102
	s_wait_alu 0xf1ff
	v_cndmask_b32_e64 v59, 0, v53, s0
	v_cmp_gt_i32_e64 s0, s17, v103
	v_perm_b32 v53, v23, v24, 0x5040100
	s_delay_alu instid0(VALU_DEP_3) | instskip(SKIP_1) | instid1(VALU_DEP_3)
	v_perm_b32 v55, v59, v55, 0x5040100
	s_wait_alu 0xf1ff
	v_cndmask_b32_e64 v56, 0, v56, s0
	v_cmp_gt_i32_e64 s0, s9, v101
	s_wait_alu 0xf1ff
	s_delay_alu instid0(VALU_DEP_1) | instskip(NEXT) | instid1(VALU_DEP_1)
	v_cndmask_b32_e64 v58, 0, v58, s0
	v_perm_b32 v56, v58, v56, 0x5040100
	s_wait_alu 0xfffe
	s_or_b32 exec_lo, exec_lo, s10
	global_load_b128 v[57:60], v[21:22], off offset:5632
	s_and_saveexec_b32 s10, vcc_lo
	s_cbranch_execz .LBB170_45
.LBB170_60:                             ;   in Loop: Header=BB170_33 Depth=1
	v_cmp_gt_i32_e64 s0, s17, v99
	s_wait_loadcnt 0x0
	v_lshrrev_b32_e32 v23, 16, v57
	v_lshrrev_b32_e32 v62, 16, v60
	s_wait_alu 0xf1ff
	v_cndmask_b32_e64 v24, 0, v57, s0
	v_cmp_gt_i32_e64 s0, s9, v106
	v_lshrrev_b32_e32 v57, 16, v58
	s_wait_alu 0xf1ff
	s_delay_alu instid0(VALU_DEP_2) | instskip(SKIP_2) | instid1(VALU_DEP_1)
	v_cndmask_b32_e64 v23, 0, v23, s0
	v_cmp_gt_i32_e64 s0, s17, v107
	s_wait_alu 0xf1ff
	v_cndmask_b32_e64 v58, 0, v58, s0
	v_cmp_gt_i32_e64 s0, s9, v105
	s_wait_alu 0xf1ff
	s_delay_alu instid0(VALU_DEP_1) | instskip(SKIP_2) | instid1(VALU_DEP_3)
	v_cndmask_b32_e64 v61, 0, v57, s0
	v_cmp_gt_i32_e64 s0, s17, v104
	v_lshrrev_b32_e32 v57, 16, v59
	v_perm_b32 v58, v61, v58, 0x5040100
	s_wait_alu 0xf1ff
	s_delay_alu instid0(VALU_DEP_3) | instskip(SKIP_2) | instid1(VALU_DEP_1)
	v_cndmask_b32_e64 v59, 0, v59, s0
	v_cmp_gt_i32_e64 s0, s9, v102
	s_wait_alu 0xf1ff
	v_cndmask_b32_e64 v63, 0, v57, s0
	v_cmp_gt_i32_e64 s0, s17, v103
	v_perm_b32 v57, v23, v24, 0x5040100
	s_delay_alu instid0(VALU_DEP_3) | instskip(SKIP_1) | instid1(VALU_DEP_3)
	v_perm_b32 v59, v63, v59, 0x5040100
	s_wait_alu 0xf1ff
	v_cndmask_b32_e64 v60, 0, v60, s0
	v_cmp_gt_i32_e64 s0, s9, v101
	s_wait_alu 0xf1ff
	s_delay_alu instid0(VALU_DEP_1) | instskip(NEXT) | instid1(VALU_DEP_1)
	v_cndmask_b32_e64 v62, 0, v62, s0
	v_perm_b32 v60, v62, v60, 0x5040100
	s_wait_alu 0xfffe
	s_or_b32 exec_lo, exec_lo, s10
	global_load_b128 v[61:64], v[21:22], off offset:6144
	s_and_saveexec_b32 s10, vcc_lo
	s_cbranch_execz .LBB170_46
.LBB170_61:                             ;   in Loop: Header=BB170_33 Depth=1
	v_cmp_gt_i32_e64 s0, s17, v99
	s_wait_loadcnt 0x0
	v_lshrrev_b32_e32 v23, 16, v61
	v_lshrrev_b32_e32 v66, 16, v64
	s_wait_alu 0xf1ff
	v_cndmask_b32_e64 v24, 0, v61, s0
	v_cmp_gt_i32_e64 s0, s9, v106
	v_lshrrev_b32_e32 v61, 16, v62
	s_wait_alu 0xf1ff
	s_delay_alu instid0(VALU_DEP_2) | instskip(SKIP_2) | instid1(VALU_DEP_1)
	v_cndmask_b32_e64 v23, 0, v23, s0
	v_cmp_gt_i32_e64 s0, s17, v107
	s_wait_alu 0xf1ff
	v_cndmask_b32_e64 v62, 0, v62, s0
	v_cmp_gt_i32_e64 s0, s9, v105
	s_wait_alu 0xf1ff
	s_delay_alu instid0(VALU_DEP_1) | instskip(SKIP_2) | instid1(VALU_DEP_3)
	v_cndmask_b32_e64 v65, 0, v61, s0
	v_cmp_gt_i32_e64 s0, s17, v104
	v_lshrrev_b32_e32 v61, 16, v63
	v_perm_b32 v62, v65, v62, 0x5040100
	s_wait_alu 0xf1ff
	s_delay_alu instid0(VALU_DEP_3) | instskip(SKIP_2) | instid1(VALU_DEP_1)
	v_cndmask_b32_e64 v63, 0, v63, s0
	v_cmp_gt_i32_e64 s0, s9, v102
	s_wait_alu 0xf1ff
	v_cndmask_b32_e64 v67, 0, v61, s0
	v_cmp_gt_i32_e64 s0, s17, v103
	v_perm_b32 v61, v23, v24, 0x5040100
	s_delay_alu instid0(VALU_DEP_3) | instskip(SKIP_1) | instid1(VALU_DEP_3)
	v_perm_b32 v63, v67, v63, 0x5040100
	s_wait_alu 0xf1ff
	v_cndmask_b32_e64 v64, 0, v64, s0
	v_cmp_gt_i32_e64 s0, s9, v101
	s_wait_alu 0xf1ff
	s_delay_alu instid0(VALU_DEP_1) | instskip(NEXT) | instid1(VALU_DEP_1)
	v_cndmask_b32_e64 v66, 0, v66, s0
	v_perm_b32 v64, v66, v64, 0x5040100
	s_wait_alu 0xfffe
	s_or_b32 exec_lo, exec_lo, s10
	global_load_b128 v[65:68], v[21:22], off offset:6656
	s_and_saveexec_b32 s10, vcc_lo
	s_cbranch_execz .LBB170_47
.LBB170_62:                             ;   in Loop: Header=BB170_33 Depth=1
	v_cmp_gt_i32_e64 s0, s17, v99
	s_wait_loadcnt 0x0
	v_lshrrev_b32_e32 v23, 16, v65
	v_lshrrev_b32_e32 v70, 16, v68
	s_wait_alu 0xf1ff
	v_cndmask_b32_e64 v24, 0, v65, s0
	v_cmp_gt_i32_e64 s0, s9, v106
	v_lshrrev_b32_e32 v65, 16, v66
	s_wait_alu 0xf1ff
	s_delay_alu instid0(VALU_DEP_2) | instskip(SKIP_2) | instid1(VALU_DEP_1)
	v_cndmask_b32_e64 v23, 0, v23, s0
	v_cmp_gt_i32_e64 s0, s17, v107
	s_wait_alu 0xf1ff
	v_cndmask_b32_e64 v66, 0, v66, s0
	v_cmp_gt_i32_e64 s0, s9, v105
	s_wait_alu 0xf1ff
	s_delay_alu instid0(VALU_DEP_1) | instskip(SKIP_2) | instid1(VALU_DEP_3)
	v_cndmask_b32_e64 v69, 0, v65, s0
	v_cmp_gt_i32_e64 s0, s17, v104
	v_lshrrev_b32_e32 v65, 16, v67
	v_perm_b32 v66, v69, v66, 0x5040100
	s_wait_alu 0xf1ff
	s_delay_alu instid0(VALU_DEP_3) | instskip(SKIP_2) | instid1(VALU_DEP_1)
	v_cndmask_b32_e64 v67, 0, v67, s0
	v_cmp_gt_i32_e64 s0, s9, v102
	s_wait_alu 0xf1ff
	v_cndmask_b32_e64 v71, 0, v65, s0
	v_cmp_gt_i32_e64 s0, s17, v103
	v_perm_b32 v65, v23, v24, 0x5040100
	s_delay_alu instid0(VALU_DEP_3) | instskip(SKIP_1) | instid1(VALU_DEP_3)
	v_perm_b32 v67, v71, v67, 0x5040100
	s_wait_alu 0xf1ff
	v_cndmask_b32_e64 v68, 0, v68, s0
	v_cmp_gt_i32_e64 s0, s9, v101
	s_wait_alu 0xf1ff
	s_delay_alu instid0(VALU_DEP_1) | instskip(NEXT) | instid1(VALU_DEP_1)
	v_cndmask_b32_e64 v70, 0, v70, s0
	v_perm_b32 v68, v70, v68, 0x5040100
	s_wait_alu 0xfffe
	s_or_b32 exec_lo, exec_lo, s10
	global_load_b128 v[69:72], v[21:22], off offset:7168
	s_and_saveexec_b32 s10, vcc_lo
	s_cbranch_execz .LBB170_48
.LBB170_63:                             ;   in Loop: Header=BB170_33 Depth=1
	v_cmp_gt_i32_e64 s0, s17, v99
	s_wait_loadcnt 0x0
	v_lshrrev_b32_e32 v23, 16, v69
	v_lshrrev_b32_e32 v109, 16, v72
	s_wait_alu 0xf1ff
	v_cndmask_b32_e64 v24, 0, v69, s0
	v_cmp_gt_i32_e64 s0, s9, v106
	v_lshrrev_b32_e32 v69, 16, v70
	s_wait_alu 0xf1ff
	s_delay_alu instid0(VALU_DEP_2) | instskip(SKIP_2) | instid1(VALU_DEP_1)
	v_cndmask_b32_e64 v23, 0, v23, s0
	v_cmp_gt_i32_e64 s0, s17, v107
	s_wait_alu 0xf1ff
	v_cndmask_b32_e64 v70, 0, v70, s0
	v_cmp_gt_i32_e64 s0, s9, v105
	s_wait_alu 0xf1ff
	s_delay_alu instid0(VALU_DEP_1) | instskip(SKIP_2) | instid1(VALU_DEP_3)
	v_cndmask_b32_e64 v108, 0, v69, s0
	v_cmp_gt_i32_e64 s0, s17, v104
	v_lshrrev_b32_e32 v69, 16, v71
	v_perm_b32 v70, v108, v70, 0x5040100
	s_wait_alu 0xf1ff
	s_delay_alu instid0(VALU_DEP_3) | instskip(SKIP_2) | instid1(VALU_DEP_1)
	v_cndmask_b32_e64 v71, 0, v71, s0
	v_cmp_gt_i32_e64 s0, s9, v102
	s_wait_alu 0xf1ff
	v_cndmask_b32_e64 v110, 0, v69, s0
	v_cmp_gt_i32_e64 s0, s17, v103
	v_perm_b32 v69, v23, v24, 0x5040100
	s_delay_alu instid0(VALU_DEP_3) | instskip(SKIP_1) | instid1(VALU_DEP_3)
	v_perm_b32 v71, v110, v71, 0x5040100
	s_wait_alu 0xf1ff
	v_cndmask_b32_e64 v72, 0, v72, s0
	v_cmp_gt_i32_e64 s0, s9, v101
	s_wait_alu 0xf1ff
	s_delay_alu instid0(VALU_DEP_1) | instskip(NEXT) | instid1(VALU_DEP_1)
	v_cndmask_b32_e64 v109, 0, v109, s0
	v_perm_b32 v72, v109, v72, 0x5040100
	s_wait_alu 0xfffe
	s_or_b32 exec_lo, exec_lo, s10
	global_load_b128 v[21:24], v[21:22], off offset:7680
	s_and_saveexec_b32 s0, vcc_lo
	s_cbranch_execz .LBB170_32
.LBB170_64:                             ;   in Loop: Header=BB170_33 Depth=1
	v_cmp_gt_i32_e32 vcc_lo, s17, v99
	s_wait_loadcnt 0x0
	v_lshrrev_b32_e32 v108, 16, v21
	v_lshrrev_b32_e32 v109, 16, v22
	s_wait_alu 0xfffd
	v_cndmask_b32_e32 v21, 0, v21, vcc_lo
	v_cmp_gt_i32_e32 vcc_lo, s9, v106
	s_wait_alu 0xfffd
	v_cndmask_b32_e32 v106, 0, v108, vcc_lo
	v_cmp_gt_i32_e32 vcc_lo, s17, v107
	v_lshrrev_b32_e32 v107, 16, v23
	s_delay_alu instid0(VALU_DEP_3)
	v_perm_b32 v21, v106, v21, 0x5040100
	s_wait_alu 0xfffd
	v_cndmask_b32_e32 v22, 0, v22, vcc_lo
	v_cmp_gt_i32_e32 vcc_lo, s9, v105
	s_wait_alu 0xfffd
	v_cndmask_b32_e32 v105, 0, v109, vcc_lo
	v_cmp_gt_i32_e32 vcc_lo, s17, v104
	v_lshrrev_b32_e32 v104, 16, v24
	s_delay_alu instid0(VALU_DEP_3)
	v_perm_b32 v22, v105, v22, 0x5040100
	s_wait_alu 0xfffd
	v_cndmask_b32_e32 v23, 0, v23, vcc_lo
	v_cmp_gt_i32_e32 vcc_lo, s9, v102
	s_wait_alu 0xfffd
	v_cndmask_b32_e32 v102, 0, v107, vcc_lo
	v_cmp_gt_i32_e32 vcc_lo, s17, v103
	;; [unrolled: 3-line block ×3, first 2 shown]
	s_wait_alu 0xfffd
	v_cndmask_b32_e32 v101, 0, v104, vcc_lo
	v_perm_b32 v23, v102, v23, 0x5040100
	s_delay_alu instid0(VALU_DEP_2)
	v_perm_b32 v24, v101, v24, 0x5040100
	s_branch .LBB170_32
.LBB170_65:
	s_or_b32 exec_lo, exec_lo, s8
.LBB170_66:
	s_wait_alu 0xfffe
	s_or_b32 exec_lo, exec_lo, s1
	ds_bpermute_b32 v7, v80, v90
	ds_bpermute_b32 v8, v80, v89
	;; [unrolled: 1-line block ×16, first 2 shown]
	s_mov_b32 s0, exec_lo
	s_wait_storecnt 0x0
	s_wait_loadcnt_dscnt 0x0
	s_barrier_signal -1
	s_barrier_wait -1
	v_dual_add_f32 v10, v90, v7 :: v_dual_add_f32 v9, v89, v8
	v_add_f32_e32 v8, v88, v17
	v_lshrrev_b32_e32 v17, 1, v79
	v_dual_add_f32 v16, v95, v1 :: v_dual_add_f32 v15, v96, v2
	v_dual_add_f32 v14, v94, v3 :: v_dual_add_f32 v13, v93, v4
	;; [unrolled: 1-line block ×5, first 2 shown]
	v_dual_add_f32 v1, v83, v22 :: v_dual_and_b32 v20, 0x3c1, v0
	v_dual_add_f32 v3, v82, v23 :: v_dual_add_f32 v2, v81, v24
	v_lshlrev_b32_e32 v19, 10, v77
	v_lshl_add_u32 v18, v17, 2, 0x220
	global_inv scope:SCOPE_SE
	v_cmpx_eq_u32_e32 64, v20
	s_cbranch_execz .LBB170_68
; %bb.67:
	v_add_nc_u32_e32 v20, v18, v19
	s_delay_alu instid0(VALU_DEP_1)
	v_add_nc_u32_e32 v21, 0xfffff800, v20
	v_add_nc_u32_e32 v22, 0xfffff840, v20
	;; [unrolled: 1-line block ×8, first 2 shown]
	ds_store_b32 v21, v16
	ds_store_b32 v22, v15
	;; [unrolled: 1-line block ×8, first 2 shown]
	v_add_nc_u32_e32 v21, 0xfffffa00, v20
	v_add_nc_u32_e32 v22, 0xfffffa40, v20
	v_add_nc_u32_e32 v23, 0xfffffa80, v20
	v_add_nc_u32_e32 v24, 0xfffffac0, v20
	v_add_nc_u32_e32 v25, 0xfffffb00, v20
	v_add_nc_u32_e32 v26, 0xfffffb40, v20
	v_add_nc_u32_e32 v27, 0xfffffb80, v20
	v_add_nc_u32_e32 v20, 0xfffffbc0, v20
	ds_store_b32 v21, v8
	ds_store_b32 v22, v7
	;; [unrolled: 1-line block ×8, first 2 shown]
.LBB170_68:
	s_wait_alu 0xfffe
	s_or_b32 exec_lo, exec_lo, s0
	v_lshlrev_b32_e32 v17, 2, v17
	v_cmp_eq_u32_e32 vcc_lo, 0, v76
	s_wait_loadcnt_dscnt 0x0
	s_barrier_signal -1
	s_barrier_wait -1
	v_add3_u32 v17, 0x220, v19, v17
	global_inv scope:SCOPE_SE
	s_and_saveexec_b32 s0, s2
	s_cbranch_execz .LBB170_87
; %bb.69:
	s_and_saveexec_b32 s1, vcc_lo
	s_cbranch_execnz .LBB170_111
; %bb.70:
	s_wait_alu 0xfffe
	s_or_b32 exec_lo, exec_lo, s1
	s_and_saveexec_b32 s1, vcc_lo
	s_cbranch_execnz .LBB170_112
.LBB170_71:
	s_wait_alu 0xfffe
	s_or_b32 exec_lo, exec_lo, s1
	s_and_saveexec_b32 s1, vcc_lo
	s_cbranch_execnz .LBB170_113
.LBB170_72:
	s_wait_alu 0xfffe
	s_or_b32 exec_lo, exec_lo, s1
	s_and_saveexec_b32 s1, vcc_lo
	s_cbranch_execnz .LBB170_114
.LBB170_73:
	s_wait_alu 0xfffe
	s_or_b32 exec_lo, exec_lo, s1
	s_and_saveexec_b32 s1, vcc_lo
	s_cbranch_execnz .LBB170_115
.LBB170_74:
	s_wait_alu 0xfffe
	s_or_b32 exec_lo, exec_lo, s1
	s_and_saveexec_b32 s1, vcc_lo
	s_cbranch_execnz .LBB170_116
.LBB170_75:
	s_wait_alu 0xfffe
	s_or_b32 exec_lo, exec_lo, s1
	s_and_saveexec_b32 s1, vcc_lo
	s_cbranch_execnz .LBB170_117
.LBB170_76:
	s_wait_alu 0xfffe
	s_or_b32 exec_lo, exec_lo, s1
	s_and_saveexec_b32 s1, vcc_lo
	s_cbranch_execnz .LBB170_118
.LBB170_77:
	s_wait_alu 0xfffe
	s_or_b32 exec_lo, exec_lo, s1
	s_and_saveexec_b32 s1, vcc_lo
	s_cbranch_execnz .LBB170_119
.LBB170_78:
	s_wait_alu 0xfffe
	s_or_b32 exec_lo, exec_lo, s1
	s_and_saveexec_b32 s1, vcc_lo
	s_cbranch_execnz .LBB170_120
.LBB170_79:
	s_wait_alu 0xfffe
	s_or_b32 exec_lo, exec_lo, s1
	s_and_saveexec_b32 s1, vcc_lo
	s_cbranch_execnz .LBB170_121
.LBB170_80:
	s_wait_alu 0xfffe
	s_or_b32 exec_lo, exec_lo, s1
	s_and_saveexec_b32 s1, vcc_lo
	s_cbranch_execnz .LBB170_122
.LBB170_81:
	s_wait_alu 0xfffe
	s_or_b32 exec_lo, exec_lo, s1
	s_and_saveexec_b32 s1, vcc_lo
	s_cbranch_execnz .LBB170_123
.LBB170_82:
	s_wait_alu 0xfffe
	s_or_b32 exec_lo, exec_lo, s1
	s_and_saveexec_b32 s1, vcc_lo
	s_cbranch_execnz .LBB170_124
.LBB170_83:
	s_wait_alu 0xfffe
	s_or_b32 exec_lo, exec_lo, s1
	s_and_saveexec_b32 s1, vcc_lo
	s_cbranch_execnz .LBB170_125
.LBB170_84:
	s_wait_alu 0xfffe
	s_or_b32 exec_lo, exec_lo, s1
	s_and_saveexec_b32 s1, vcc_lo
	s_cbranch_execz .LBB170_86
.LBB170_85:
	ds_load_b32 v19, v17 offset:960
	s_wait_dscnt 0x0
	v_add_f32_e32 v2, v2, v19
.LBB170_86:
	s_wait_alu 0xfffe
	s_or_b32 exec_lo, exec_lo, s1
.LBB170_87:
	s_wait_alu 0xfffe
	s_or_b32 exec_lo, exec_lo, s0
	v_and_b32_e32 v19, 0x3e1, v0
	s_mov_b32 s1, exec_lo
	s_wait_loadcnt 0x0
	s_barrier_signal -1
	s_barrier_wait -1
	global_inv scope:SCOPE_SE
	v_cmpx_eq_u32_e32 32, v19
	s_cbranch_execz .LBB170_89
; %bb.88:
	ds_store_2addr_b32 v18, v16, v15 offset1:16
	ds_store_2addr_b32 v18, v14, v13 offset0:32 offset1:48
	ds_store_2addr_b32 v18, v12, v11 offset0:64 offset1:80
	;; [unrolled: 1-line block ×7, first 2 shown]
.LBB170_89:
	s_wait_alu 0xfffe
	s_or_b32 exec_lo, exec_lo, s1
	s_delay_alu instid0(SALU_CYCLE_1)
	s_mov_b32 s1, exec_lo
	s_wait_loadcnt_dscnt 0x0
	s_barrier_signal -1
	s_barrier_wait -1
	global_inv scope:SCOPE_SE
	v_cmpx_gt_u32_e32 32, v0
	s_cbranch_execz .LBB170_108
; %bb.90:
	s_and_saveexec_b32 s0, vcc_lo
	s_cbranch_execnz .LBB170_126
; %bb.91:
	s_wait_alu 0xfffe
	s_or_b32 exec_lo, exec_lo, s0
	s_and_saveexec_b32 s0, vcc_lo
	s_cbranch_execnz .LBB170_127
.LBB170_92:
	s_wait_alu 0xfffe
	s_or_b32 exec_lo, exec_lo, s0
	s_and_saveexec_b32 s0, vcc_lo
	s_cbranch_execnz .LBB170_128
.LBB170_93:
	s_wait_alu 0xfffe
	s_or_b32 exec_lo, exec_lo, s0
	s_and_saveexec_b32 s0, vcc_lo
	s_cbranch_execnz .LBB170_129
.LBB170_94:
	s_wait_alu 0xfffe
	s_or_b32 exec_lo, exec_lo, s0
	s_and_saveexec_b32 s0, vcc_lo
	s_cbranch_execnz .LBB170_130
.LBB170_95:
	s_wait_alu 0xfffe
	s_or_b32 exec_lo, exec_lo, s0
	s_and_saveexec_b32 s0, vcc_lo
	s_cbranch_execnz .LBB170_131
.LBB170_96:
	s_wait_alu 0xfffe
	s_or_b32 exec_lo, exec_lo, s0
	s_and_saveexec_b32 s0, vcc_lo
	s_cbranch_execnz .LBB170_132
.LBB170_97:
	s_wait_alu 0xfffe
	s_or_b32 exec_lo, exec_lo, s0
	s_and_saveexec_b32 s0, vcc_lo
	s_cbranch_execnz .LBB170_133
.LBB170_98:
	s_wait_alu 0xfffe
	s_or_b32 exec_lo, exec_lo, s0
	s_and_saveexec_b32 s0, vcc_lo
	s_cbranch_execnz .LBB170_134
.LBB170_99:
	s_wait_alu 0xfffe
	s_or_b32 exec_lo, exec_lo, s0
	s_and_saveexec_b32 s0, vcc_lo
	s_cbranch_execnz .LBB170_135
.LBB170_100:
	s_wait_alu 0xfffe
	s_or_b32 exec_lo, exec_lo, s0
	s_and_saveexec_b32 s0, vcc_lo
	s_cbranch_execnz .LBB170_136
.LBB170_101:
	s_wait_alu 0xfffe
	s_or_b32 exec_lo, exec_lo, s0
	s_and_saveexec_b32 s0, vcc_lo
	s_cbranch_execnz .LBB170_137
.LBB170_102:
	s_wait_alu 0xfffe
	s_or_b32 exec_lo, exec_lo, s0
	s_and_saveexec_b32 s0, vcc_lo
	s_cbranch_execnz .LBB170_138
.LBB170_103:
	s_wait_alu 0xfffe
	s_or_b32 exec_lo, exec_lo, s0
	s_and_saveexec_b32 s0, vcc_lo
	s_cbranch_execnz .LBB170_139
.LBB170_104:
	s_wait_alu 0xfffe
	s_or_b32 exec_lo, exec_lo, s0
	s_and_saveexec_b32 s0, vcc_lo
	s_cbranch_execnz .LBB170_140
.LBB170_105:
	s_wait_alu 0xfffe
	s_or_b32 exec_lo, exec_lo, s0
	s_and_saveexec_b32 s0, vcc_lo
	s_cbranch_execz .LBB170_107
.LBB170_106:
	ds_load_b32 v0, v17 offset:960
	s_wait_dscnt 0x0
	v_add_f32_e32 v2, v2, v0
.LBB170_107:
	s_wait_alu 0xfffe
	s_or_b32 exec_lo, exec_lo, s0
.LBB170_108:
	s_wait_alu 0xfffe
	s_or_b32 exec_lo, exec_lo, s1
	s_mov_b32 s17, 0
	s_wait_loadcnt 0x0
	s_barrier_signal -1
	s_barrier_wait -1
	global_inv scope:SCOPE_SE
	s_mov_b32 s0, exec_lo
	v_cmpx_eq_u32_e32 0, v19
	s_cbranch_execz .LBB170_110
; %bb.109:
	v_bfe_u32 v0, v16, 16, 1
	v_bfe_u32 v17, v15, 16, 1
	v_or_b32_e32 v19, 0x400000, v16
	v_cmp_u_f32_e32 vcc_lo, v16, v16
	v_or_b32_e32 v20, 0x400000, v15
	v_add3_u32 v0, v0, v16, 0x7fff
	v_add3_u32 v17, v17, v15, 0x7fff
	v_bfe_u32 v21, v14, 16, 1
	v_or_b32_e32 v22, 0x400000, v9
	v_bfe_u32 v16, v13, 16, 1
	s_wait_alu 0xfffd
	v_cndmask_b32_e32 v0, v0, v19, vcc_lo
	v_cmp_u_f32_e32 vcc_lo, v15, v15
	v_lshlrev_b32_e32 v18, 1, v75
	v_or_b32_e32 v19, 0x400000, v14
	v_add3_u32 v16, v16, v13, 0x7fff
	s_lshl_b32 s0, s4, 8
	s_wait_alu 0xfffd
	v_cndmask_b32_e32 v15, v17, v20, vcc_lo
	v_add3_u32 v17, v21, v14, 0x7fff
	v_cmp_u_f32_e32 vcc_lo, v14, v14
	v_bfe_u32 v20, v12, 16, 1
	v_or_b32_e32 v21, 0x400000, v13
	s_mul_i32 s2, s12, s18
	s_wait_alu 0xfffe
	s_ashr_i32 s1, s0, 31
	s_wait_alu 0xfffd
	v_cndmask_b32_e32 v14, v17, v19, vcc_lo
	v_cmp_u_f32_e32 vcc_lo, v13, v13
	v_add3_u32 v17, v20, v12, 0x7fff
	v_or_b32_e32 v19, 0x400000, v12
	v_bfe_u32 v20, v10, 16, 1
	s_ashr_i32 s3, s2, 31
	s_wait_alu 0xfffd
	v_cndmask_b32_e32 v13, v16, v21, vcc_lo
	v_bfe_u32 v16, v11, 16, 1
	v_cmp_u_f32_e32 vcc_lo, v12, v12
	v_add3_u32 v20, v20, v10, 0x7fff
	v_or_b32_e32 v21, 0x400000, v10
	s_wait_alu 0xfffe
	s_lshl_b64 s[0:1], s[0:1], 1
	v_add3_u32 v16, v16, v11, 0x7fff
	s_wait_alu 0xfffd
	v_cndmask_b32_e32 v12, v17, v19, vcc_lo
	v_or_b32_e32 v19, 0x400000, v11
	v_cmp_u_f32_e32 vcc_lo, v11, v11
	v_bfe_u32 v17, v9, 16, 1
	s_lshl_b64 s[2:3], s[2:3], 1
	s_wait_alu 0xfffe
	s_add_nc_u64 s[0:1], s[6:7], s[0:1]
	s_wait_alu 0xfffd
	v_cndmask_b32_e32 v11, v16, v19, vcc_lo
	v_cmp_u_f32_e32 vcc_lo, v10, v10
	v_add3_u32 v17, v17, v9, 0x7fff
	v_bfe_u32 v16, v8, 16, 1
	s_wait_alu 0xfffe
	s_add_nc_u64 s[0:1], s[0:1], s[2:3]
	s_wait_alu 0xfffd
	v_cndmask_b32_e32 v10, v20, v21, vcc_lo
	v_cmp_u_f32_e32 vcc_lo, v9, v9
	s_wait_alu 0xfffe
	s_add_nc_u64 s[0:1], s[0:1], s[16:17]
	s_wait_alu 0xfffd
	v_cndmask_b32_e32 v9, v17, v22, vcc_lo
	v_bfe_u32 v17, v7, 16, 1
	s_clause 0x7
	global_store_d16_hi_b16 v18, v0, s[0:1]
	global_store_d16_hi_b16 v18, v15, s[0:1] offset:32
	global_store_d16_hi_b16 v18, v14, s[0:1] offset:64
	;; [unrolled: 1-line block ×7, first 2 shown]
	v_add3_u32 v0, v16, v8, 0x7fff
	v_or_b32_e32 v9, 0x400000, v8
	v_cmp_u_f32_e32 vcc_lo, v8, v8
	v_add3_u32 v10, v17, v7, 0x7fff
	v_or_b32_e32 v11, 0x400000, v7
	v_bfe_u32 v12, v6, 16, 1
	v_bfe_u32 v8, v5, 16, 1
	s_wait_alu 0xfffd
	v_cndmask_b32_e32 v0, v0, v9, vcc_lo
	v_cmp_u_f32_e32 vcc_lo, v7, v7
	v_or_b32_e32 v13, 0x400000, v2
	v_add3_u32 v9, v12, v6, 0x7fff
	v_add3_u32 v8, v8, v5, 0x7fff
	v_or_b32_e32 v12, 0x400000, v5
	s_wait_alu 0xfffd
	v_cndmask_b32_e32 v7, v10, v11, vcc_lo
	v_or_b32_e32 v10, 0x400000, v6
	v_cmp_u_f32_e32 vcc_lo, v6, v6
	v_bfe_u32 v11, v4, 16, 1
	s_wait_alu 0xfffd
	s_delay_alu instid0(VALU_DEP_3) | instskip(SKIP_1) | instid1(VALU_DEP_3)
	v_cndmask_b32_e32 v6, v9, v10, vcc_lo
	v_cmp_u_f32_e32 vcc_lo, v5, v5
	v_add3_u32 v9, v11, v4, 0x7fff
	v_or_b32_e32 v10, 0x400000, v4
	v_bfe_u32 v11, v3, 16, 1
	s_wait_alu 0xfffd
	v_cndmask_b32_e32 v5, v8, v12, vcc_lo
	v_bfe_u32 v8, v1, 16, 1
	v_cmp_u_f32_e32 vcc_lo, v4, v4
	v_add3_u32 v11, v11, v3, 0x7fff
	v_or_b32_e32 v12, 0x400000, v3
	s_delay_alu instid0(VALU_DEP_4)
	v_add3_u32 v8, v8, v1, 0x7fff
	s_wait_alu 0xfffd
	v_cndmask_b32_e32 v4, v9, v10, vcc_lo
	v_or_b32_e32 v10, 0x400000, v1
	v_cmp_u_f32_e32 vcc_lo, v1, v1
	v_bfe_u32 v9, v2, 16, 1
	s_wait_alu 0xfffd
	s_delay_alu instid0(VALU_DEP_3) | instskip(SKIP_1) | instid1(VALU_DEP_3)
	v_cndmask_b32_e32 v1, v8, v10, vcc_lo
	v_cmp_u_f32_e32 vcc_lo, v3, v3
	v_add3_u32 v9, v9, v2, 0x7fff
	s_wait_alu 0xfffd
	v_cndmask_b32_e32 v3, v11, v12, vcc_lo
	v_cmp_u_f32_e32 vcc_lo, v2, v2
	s_wait_alu 0xfffd
	v_cndmask_b32_e32 v2, v9, v13, vcc_lo
	s_clause 0x7
	global_store_d16_hi_b16 v18, v0, s[0:1] offset:256
	global_store_d16_hi_b16 v18, v7, s[0:1] offset:288
	global_store_d16_hi_b16 v18, v6, s[0:1] offset:320
	global_store_d16_hi_b16 v18, v5, s[0:1] offset:352
	global_store_d16_hi_b16 v18, v4, s[0:1] offset:384
	global_store_d16_hi_b16 v18, v1, s[0:1] offset:416
	global_store_d16_hi_b16 v18, v3, s[0:1] offset:448
	global_store_d16_hi_b16 v18, v2, s[0:1] offset:480
.LBB170_110:
	s_nop 0
	s_sendmsg sendmsg(MSG_DEALLOC_VGPRS)
	s_endpgm
.LBB170_111:
	ds_load_b32 v19, v17
	s_wait_dscnt 0x0
	v_add_f32_e32 v16, v16, v19
	s_wait_alu 0xfffe
	s_or_b32 exec_lo, exec_lo, s1
	s_and_saveexec_b32 s1, vcc_lo
	s_cbranch_execz .LBB170_71
.LBB170_112:
	ds_load_b32 v19, v17 offset:64
	s_wait_dscnt 0x0
	v_add_f32_e32 v15, v15, v19
	s_wait_alu 0xfffe
	s_or_b32 exec_lo, exec_lo, s1
	s_and_saveexec_b32 s1, vcc_lo
	s_cbranch_execz .LBB170_72
.LBB170_113:
	ds_load_b32 v19, v17 offset:128
	s_wait_dscnt 0x0
	v_add_f32_e32 v14, v14, v19
	s_wait_alu 0xfffe
	s_or_b32 exec_lo, exec_lo, s1
	s_and_saveexec_b32 s1, vcc_lo
	s_cbranch_execz .LBB170_73
.LBB170_114:
	ds_load_b32 v19, v17 offset:192
	s_wait_dscnt 0x0
	v_add_f32_e32 v13, v13, v19
	s_wait_alu 0xfffe
	s_or_b32 exec_lo, exec_lo, s1
	s_and_saveexec_b32 s1, vcc_lo
	s_cbranch_execz .LBB170_74
.LBB170_115:
	ds_load_b32 v19, v17 offset:256
	s_wait_dscnt 0x0
	v_add_f32_e32 v12, v12, v19
	s_wait_alu 0xfffe
	s_or_b32 exec_lo, exec_lo, s1
	s_and_saveexec_b32 s1, vcc_lo
	s_cbranch_execz .LBB170_75
.LBB170_116:
	ds_load_b32 v19, v17 offset:320
	s_wait_dscnt 0x0
	v_add_f32_e32 v11, v11, v19
	s_wait_alu 0xfffe
	s_or_b32 exec_lo, exec_lo, s1
	s_and_saveexec_b32 s1, vcc_lo
	s_cbranch_execz .LBB170_76
.LBB170_117:
	ds_load_b32 v19, v17 offset:384
	s_wait_dscnt 0x0
	v_add_f32_e32 v10, v10, v19
	s_wait_alu 0xfffe
	s_or_b32 exec_lo, exec_lo, s1
	s_and_saveexec_b32 s1, vcc_lo
	s_cbranch_execz .LBB170_77
.LBB170_118:
	ds_load_b32 v19, v17 offset:448
	s_wait_dscnt 0x0
	v_add_f32_e32 v9, v9, v19
	s_wait_alu 0xfffe
	s_or_b32 exec_lo, exec_lo, s1
	s_and_saveexec_b32 s1, vcc_lo
	s_cbranch_execz .LBB170_78
.LBB170_119:
	ds_load_b32 v19, v17 offset:512
	s_wait_dscnt 0x0
	v_add_f32_e32 v8, v8, v19
	s_wait_alu 0xfffe
	s_or_b32 exec_lo, exec_lo, s1
	s_and_saveexec_b32 s1, vcc_lo
	s_cbranch_execz .LBB170_79
.LBB170_120:
	ds_load_b32 v19, v17 offset:576
	s_wait_dscnt 0x0
	v_add_f32_e32 v7, v7, v19
	s_wait_alu 0xfffe
	s_or_b32 exec_lo, exec_lo, s1
	s_and_saveexec_b32 s1, vcc_lo
	s_cbranch_execz .LBB170_80
.LBB170_121:
	ds_load_b32 v19, v17 offset:640
	s_wait_dscnt 0x0
	v_add_f32_e32 v6, v6, v19
	s_wait_alu 0xfffe
	s_or_b32 exec_lo, exec_lo, s1
	s_and_saveexec_b32 s1, vcc_lo
	s_cbranch_execz .LBB170_81
.LBB170_122:
	ds_load_b32 v19, v17 offset:704
	s_wait_dscnt 0x0
	v_add_f32_e32 v5, v5, v19
	s_wait_alu 0xfffe
	s_or_b32 exec_lo, exec_lo, s1
	s_and_saveexec_b32 s1, vcc_lo
	s_cbranch_execz .LBB170_82
.LBB170_123:
	ds_load_b32 v19, v17 offset:768
	s_wait_dscnt 0x0
	v_add_f32_e32 v4, v4, v19
	s_wait_alu 0xfffe
	s_or_b32 exec_lo, exec_lo, s1
	s_and_saveexec_b32 s1, vcc_lo
	s_cbranch_execz .LBB170_83
.LBB170_124:
	ds_load_b32 v19, v17 offset:832
	s_wait_dscnt 0x0
	v_add_f32_e32 v1, v1, v19
	s_wait_alu 0xfffe
	s_or_b32 exec_lo, exec_lo, s1
	s_and_saveexec_b32 s1, vcc_lo
	s_cbranch_execz .LBB170_84
.LBB170_125:
	ds_load_b32 v19, v17 offset:896
	s_wait_dscnt 0x0
	v_add_f32_e32 v3, v3, v19
	s_wait_alu 0xfffe
	s_or_b32 exec_lo, exec_lo, s1
	s_and_saveexec_b32 s1, vcc_lo
	s_cbranch_execnz .LBB170_85
	s_branch .LBB170_86
.LBB170_126:
	ds_load_b32 v0, v17
	s_wait_dscnt 0x0
	v_add_f32_e32 v16, v16, v0
	s_wait_alu 0xfffe
	s_or_b32 exec_lo, exec_lo, s0
	s_and_saveexec_b32 s0, vcc_lo
	s_cbranch_execz .LBB170_92
.LBB170_127:
	ds_load_b32 v0, v17 offset:64
	s_wait_dscnt 0x0
	v_add_f32_e32 v15, v15, v0
	s_wait_alu 0xfffe
	s_or_b32 exec_lo, exec_lo, s0
	s_and_saveexec_b32 s0, vcc_lo
	s_cbranch_execz .LBB170_93
.LBB170_128:
	ds_load_b32 v0, v17 offset:128
	s_wait_dscnt 0x0
	v_add_f32_e32 v14, v14, v0
	s_wait_alu 0xfffe
	s_or_b32 exec_lo, exec_lo, s0
	s_and_saveexec_b32 s0, vcc_lo
	s_cbranch_execz .LBB170_94
.LBB170_129:
	ds_load_b32 v0, v17 offset:192
	s_wait_dscnt 0x0
	v_add_f32_e32 v13, v13, v0
	s_wait_alu 0xfffe
	s_or_b32 exec_lo, exec_lo, s0
	s_and_saveexec_b32 s0, vcc_lo
	s_cbranch_execz .LBB170_95
.LBB170_130:
	ds_load_b32 v0, v17 offset:256
	s_wait_dscnt 0x0
	v_add_f32_e32 v12, v12, v0
	s_wait_alu 0xfffe
	s_or_b32 exec_lo, exec_lo, s0
	s_and_saveexec_b32 s0, vcc_lo
	s_cbranch_execz .LBB170_96
.LBB170_131:
	ds_load_b32 v0, v17 offset:320
	s_wait_dscnt 0x0
	v_add_f32_e32 v11, v11, v0
	s_wait_alu 0xfffe
	s_or_b32 exec_lo, exec_lo, s0
	s_and_saveexec_b32 s0, vcc_lo
	s_cbranch_execz .LBB170_97
.LBB170_132:
	ds_load_b32 v0, v17 offset:384
	s_wait_dscnt 0x0
	v_add_f32_e32 v10, v10, v0
	s_wait_alu 0xfffe
	s_or_b32 exec_lo, exec_lo, s0
	s_and_saveexec_b32 s0, vcc_lo
	s_cbranch_execz .LBB170_98
.LBB170_133:
	ds_load_b32 v0, v17 offset:448
	s_wait_dscnt 0x0
	v_add_f32_e32 v9, v9, v0
	s_wait_alu 0xfffe
	s_or_b32 exec_lo, exec_lo, s0
	s_and_saveexec_b32 s0, vcc_lo
	s_cbranch_execz .LBB170_99
.LBB170_134:
	ds_load_b32 v0, v17 offset:512
	s_wait_dscnt 0x0
	v_add_f32_e32 v8, v8, v0
	s_wait_alu 0xfffe
	s_or_b32 exec_lo, exec_lo, s0
	s_and_saveexec_b32 s0, vcc_lo
	s_cbranch_execz .LBB170_100
.LBB170_135:
	ds_load_b32 v0, v17 offset:576
	s_wait_dscnt 0x0
	v_add_f32_e32 v7, v7, v0
	s_wait_alu 0xfffe
	s_or_b32 exec_lo, exec_lo, s0
	s_and_saveexec_b32 s0, vcc_lo
	s_cbranch_execz .LBB170_101
.LBB170_136:
	ds_load_b32 v0, v17 offset:640
	s_wait_dscnt 0x0
	v_add_f32_e32 v6, v6, v0
	s_wait_alu 0xfffe
	s_or_b32 exec_lo, exec_lo, s0
	s_and_saveexec_b32 s0, vcc_lo
	s_cbranch_execz .LBB170_102
.LBB170_137:
	ds_load_b32 v0, v17 offset:704
	s_wait_dscnt 0x0
	v_add_f32_e32 v5, v5, v0
	s_wait_alu 0xfffe
	s_or_b32 exec_lo, exec_lo, s0
	s_and_saveexec_b32 s0, vcc_lo
	s_cbranch_execz .LBB170_103
.LBB170_138:
	ds_load_b32 v0, v17 offset:768
	s_wait_dscnt 0x0
	v_add_f32_e32 v4, v4, v0
	s_wait_alu 0xfffe
	s_or_b32 exec_lo, exec_lo, s0
	s_and_saveexec_b32 s0, vcc_lo
	s_cbranch_execz .LBB170_104
.LBB170_139:
	ds_load_b32 v0, v17 offset:832
	s_wait_dscnt 0x0
	v_add_f32_e32 v1, v1, v0
	s_wait_alu 0xfffe
	s_or_b32 exec_lo, exec_lo, s0
	s_and_saveexec_b32 s0, vcc_lo
	s_cbranch_execz .LBB170_105
.LBB170_140:
	ds_load_b32 v0, v17 offset:896
	s_wait_dscnt 0x0
	v_add_f32_e32 v3, v3, v0
	s_wait_alu 0xfffe
	s_or_b32 exec_lo, exec_lo, s0
	s_and_saveexec_b32 s0, vcc_lo
	s_cbranch_execnz .LBB170_106
	s_branch .LBB170_107
	.section	.rodata,"a",@progbits
	.p2align	6, 0x0
	.amdhsa_kernel _ZN4vllm25paged_attention_v2_kernelI14__hip_bfloat16S1_Li256ELi16ELi128ELNS_18Fp8KVCacheDataTypeE0ELb0ELi512EEEvPfS3_PT_PKS4_PKT0_SA_ifPKiSC_iPKfiiiSE_SE_iiiii
		.amdhsa_group_segment_fixed_size 544
		.amdhsa_private_segment_fixed_size 0
		.amdhsa_kernarg_size 400
		.amdhsa_user_sgpr_count 2
		.amdhsa_user_sgpr_dispatch_ptr 0
		.amdhsa_user_sgpr_queue_ptr 0
		.amdhsa_user_sgpr_kernarg_segment_ptr 1
		.amdhsa_user_sgpr_dispatch_id 0
		.amdhsa_user_sgpr_private_segment_size 0
		.amdhsa_wavefront_size32 1
		.amdhsa_uses_dynamic_stack 0
		.amdhsa_enable_private_segment 0
		.amdhsa_system_sgpr_workgroup_id_x 1
		.amdhsa_system_sgpr_workgroup_id_y 1
		.amdhsa_system_sgpr_workgroup_id_z 1
		.amdhsa_system_sgpr_workgroup_info 0
		.amdhsa_system_vgpr_workitem_id 0
		.amdhsa_next_free_vgpr 178
		.amdhsa_next_free_sgpr 36
		.amdhsa_reserve_vcc 1
		.amdhsa_float_round_mode_32 0
		.amdhsa_float_round_mode_16_64 0
		.amdhsa_float_denorm_mode_32 3
		.amdhsa_float_denorm_mode_16_64 3
		.amdhsa_fp16_overflow 0
		.amdhsa_workgroup_processor_mode 1
		.amdhsa_memory_ordered 1
		.amdhsa_forward_progress 1
		.amdhsa_inst_pref_size 175
		.amdhsa_round_robin_scheduling 0
		.amdhsa_exception_fp_ieee_invalid_op 0
		.amdhsa_exception_fp_denorm_src 0
		.amdhsa_exception_fp_ieee_div_zero 0
		.amdhsa_exception_fp_ieee_overflow 0
		.amdhsa_exception_fp_ieee_underflow 0
		.amdhsa_exception_fp_ieee_inexact 0
		.amdhsa_exception_int_div_zero 0
	.end_amdhsa_kernel
	.section	.text._ZN4vllm25paged_attention_v2_kernelI14__hip_bfloat16S1_Li256ELi16ELi128ELNS_18Fp8KVCacheDataTypeE0ELb0ELi512EEEvPfS3_PT_PKS4_PKT0_SA_ifPKiSC_iPKfiiiSE_SE_iiiii,"axG",@progbits,_ZN4vllm25paged_attention_v2_kernelI14__hip_bfloat16S1_Li256ELi16ELi128ELNS_18Fp8KVCacheDataTypeE0ELb0ELi512EEEvPfS3_PT_PKS4_PKT0_SA_ifPKiSC_iPKfiiiSE_SE_iiiii,comdat
.Lfunc_end170:
	.size	_ZN4vllm25paged_attention_v2_kernelI14__hip_bfloat16S1_Li256ELi16ELi128ELNS_18Fp8KVCacheDataTypeE0ELb0ELi512EEEvPfS3_PT_PKS4_PKT0_SA_ifPKiSC_iPKfiiiSE_SE_iiiii, .Lfunc_end170-_ZN4vllm25paged_attention_v2_kernelI14__hip_bfloat16S1_Li256ELi16ELi128ELNS_18Fp8KVCacheDataTypeE0ELb0ELi512EEEvPfS3_PT_PKS4_PKT0_SA_ifPKiSC_iPKfiiiSE_SE_iiiii
                                        ; -- End function
	.set _ZN4vllm25paged_attention_v2_kernelI14__hip_bfloat16S1_Li256ELi16ELi128ELNS_18Fp8KVCacheDataTypeE0ELb0ELi512EEEvPfS3_PT_PKS4_PKT0_SA_ifPKiSC_iPKfiiiSE_SE_iiiii.num_vgpr, 178
	.set _ZN4vllm25paged_attention_v2_kernelI14__hip_bfloat16S1_Li256ELi16ELi128ELNS_18Fp8KVCacheDataTypeE0ELb0ELi512EEEvPfS3_PT_PKS4_PKT0_SA_ifPKiSC_iPKfiiiSE_SE_iiiii.num_agpr, 0
	.set _ZN4vllm25paged_attention_v2_kernelI14__hip_bfloat16S1_Li256ELi16ELi128ELNS_18Fp8KVCacheDataTypeE0ELb0ELi512EEEvPfS3_PT_PKS4_PKT0_SA_ifPKiSC_iPKfiiiSE_SE_iiiii.numbered_sgpr, 36
	.set _ZN4vllm25paged_attention_v2_kernelI14__hip_bfloat16S1_Li256ELi16ELi128ELNS_18Fp8KVCacheDataTypeE0ELb0ELi512EEEvPfS3_PT_PKS4_PKT0_SA_ifPKiSC_iPKfiiiSE_SE_iiiii.num_named_barrier, 0
	.set _ZN4vllm25paged_attention_v2_kernelI14__hip_bfloat16S1_Li256ELi16ELi128ELNS_18Fp8KVCacheDataTypeE0ELb0ELi512EEEvPfS3_PT_PKS4_PKT0_SA_ifPKiSC_iPKfiiiSE_SE_iiiii.private_seg_size, 0
	.set _ZN4vllm25paged_attention_v2_kernelI14__hip_bfloat16S1_Li256ELi16ELi128ELNS_18Fp8KVCacheDataTypeE0ELb0ELi512EEEvPfS3_PT_PKS4_PKT0_SA_ifPKiSC_iPKfiiiSE_SE_iiiii.uses_vcc, 1
	.set _ZN4vllm25paged_attention_v2_kernelI14__hip_bfloat16S1_Li256ELi16ELi128ELNS_18Fp8KVCacheDataTypeE0ELb0ELi512EEEvPfS3_PT_PKS4_PKT0_SA_ifPKiSC_iPKfiiiSE_SE_iiiii.uses_flat_scratch, 0
	.set _ZN4vllm25paged_attention_v2_kernelI14__hip_bfloat16S1_Li256ELi16ELi128ELNS_18Fp8KVCacheDataTypeE0ELb0ELi512EEEvPfS3_PT_PKS4_PKT0_SA_ifPKiSC_iPKfiiiSE_SE_iiiii.has_dyn_sized_stack, 0
	.set _ZN4vllm25paged_attention_v2_kernelI14__hip_bfloat16S1_Li256ELi16ELi128ELNS_18Fp8KVCacheDataTypeE0ELb0ELi512EEEvPfS3_PT_PKS4_PKT0_SA_ifPKiSC_iPKfiiiSE_SE_iiiii.has_recursion, 0
	.set _ZN4vllm25paged_attention_v2_kernelI14__hip_bfloat16S1_Li256ELi16ELi128ELNS_18Fp8KVCacheDataTypeE0ELb0ELi512EEEvPfS3_PT_PKS4_PKT0_SA_ifPKiSC_iPKfiiiSE_SE_iiiii.has_indirect_call, 0
	.section	.AMDGPU.csdata,"",@progbits
; Kernel info:
; codeLenInByte = 22396
; TotalNumSgprs: 38
; NumVgprs: 178
; ScratchSize: 0
; MemoryBound: 0
; FloatMode: 240
; IeeeMode: 1
; LDSByteSize: 544 bytes/workgroup (compile time only)
; SGPRBlocks: 0
; VGPRBlocks: 22
; NumSGPRsForWavesPerEU: 38
; NumVGPRsForWavesPerEU: 178
; Occupancy: 8
; WaveLimiterHint : 1
; COMPUTE_PGM_RSRC2:SCRATCH_EN: 0
; COMPUTE_PGM_RSRC2:USER_SGPR: 2
; COMPUTE_PGM_RSRC2:TRAP_HANDLER: 0
; COMPUTE_PGM_RSRC2:TGID_X_EN: 1
; COMPUTE_PGM_RSRC2:TGID_Y_EN: 1
; COMPUTE_PGM_RSRC2:TGID_Z_EN: 1
; COMPUTE_PGM_RSRC2:TIDIG_COMP_CNT: 0
	.section	.text._ZN4vllm25paged_attention_v2_kernelI14__hip_bfloat16S1_Li32ELi32ELi128ELNS_18Fp8KVCacheDataTypeE0ELb1ELi512EEEvPfS3_PT_PKS4_PKT0_SA_ifPKiSC_iPKfiiiSE_SE_iiiii,"axG",@progbits,_ZN4vllm25paged_attention_v2_kernelI14__hip_bfloat16S1_Li32ELi32ELi128ELNS_18Fp8KVCacheDataTypeE0ELb1ELi512EEEvPfS3_PT_PKS4_PKT0_SA_ifPKiSC_iPKfiiiSE_SE_iiiii,comdat
	.protected	_ZN4vllm25paged_attention_v2_kernelI14__hip_bfloat16S1_Li32ELi32ELi128ELNS_18Fp8KVCacheDataTypeE0ELb1ELi512EEEvPfS3_PT_PKS4_PKT0_SA_ifPKiSC_iPKfiiiSE_SE_iiiii ; -- Begin function _ZN4vllm25paged_attention_v2_kernelI14__hip_bfloat16S1_Li32ELi32ELi128ELNS_18Fp8KVCacheDataTypeE0ELb1ELi512EEEvPfS3_PT_PKS4_PKT0_SA_ifPKiSC_iPKfiiiSE_SE_iiiii
	.globl	_ZN4vllm25paged_attention_v2_kernelI14__hip_bfloat16S1_Li32ELi32ELi128ELNS_18Fp8KVCacheDataTypeE0ELb1ELi512EEEvPfS3_PT_PKS4_PKT0_SA_ifPKiSC_iPKfiiiSE_SE_iiiii
	.p2align	8
	.type	_ZN4vllm25paged_attention_v2_kernelI14__hip_bfloat16S1_Li32ELi32ELi128ELNS_18Fp8KVCacheDataTypeE0ELb1ELi512EEEvPfS3_PT_PKS4_PKT0_SA_ifPKiSC_iPKfiiiSE_SE_iiiii,@function
_ZN4vllm25paged_attention_v2_kernelI14__hip_bfloat16S1_Li32ELi32ELi128ELNS_18Fp8KVCacheDataTypeE0ELb1ELi512EEEvPfS3_PT_PKS4_PKT0_SA_ifPKiSC_iPKfiiiSE_SE_iiiii: ; @_ZN4vllm25paged_attention_v2_kernelI14__hip_bfloat16S1_Li32ELi32ELi128ELNS_18Fp8KVCacheDataTypeE0ELb1ELi512EEEvPfS3_PT_PKS4_PKT0_SA_ifPKiSC_iPKfiiiSE_SE_iiiii
; %bb.0:
	s_load_b64 s[2:3], s[0:1], 0x40
	s_and_b32 s20, ttmp7, 0xffff
	s_lshr_b32 s30, ttmp7, 16
	s_lshl_b32 s4, s20, 2
	s_lshl_b32 s34, s30, 9
	s_wait_kmcnt 0x0
	s_load_b32 s31, s[2:3], s4 offset:0x0
	s_wait_kmcnt 0x0
	s_cmp_ge_i32 s34, s31
	s_cbranch_scc1 .LBB171_68
; %bb.1:
	s_clause 0x1
	s_load_b32 s21, s[0:1], 0x90
	s_load_b64 s[8:9], s[0:1], 0x30
	s_wait_kmcnt 0x0
	s_abs_i32 s5, s21
	s_abs_i32 s2, s8
	s_delay_alu instid0(SALU_CYCLE_1) | instskip(SKIP_1) | instid1(SALU_CYCLE_2)
	s_cvt_f32_u32 s3, s2
	s_sub_co_i32 s4, 0, s2
	v_rcp_iflag_f32_e32 v1, s3
	s_delay_alu instid0(TRANS32_DEP_1) | instskip(SKIP_2) | instid1(SALU_CYCLE_2)
	v_readfirstlane_b32 s3, v1
	s_mul_f32 s3, s3, 0x4f7ffffe
	s_wait_alu 0xfffe
	s_cvt_u32_f32 s3, s3
	s_wait_alu 0xfffe
	s_delay_alu instid0(SALU_CYCLE_2) | instskip(NEXT) | instid1(SALU_CYCLE_1)
	s_mul_i32 s4, s4, s3
	s_mul_hi_u32 s4, s3, s4
	s_delay_alu instid0(SALU_CYCLE_1)
	s_add_co_i32 s3, s3, s4
	s_xor_b32 s4, s21, s8
	s_wait_alu 0xfffe
	s_mul_hi_u32 s3, s5, s3
	s_ashr_i32 s4, s4, 31
	s_wait_alu 0xfffe
	s_mul_i32 s6, s3, s2
	s_delay_alu instid0(SALU_CYCLE_1)
	s_sub_co_i32 s5, s5, s6
	s_add_co_i32 s6, s3, 1
	s_sub_co_i32 s7, s5, s2
	s_cmp_ge_u32 s5, s2
	s_cselect_b32 s3, s6, s3
	s_cselect_b32 s5, s7, s5
	s_wait_alu 0xfffe
	s_add_co_i32 s6, s3, 1
	s_cmp_ge_u32 s5, s2
	s_cselect_b32 s2, s6, s3
	s_load_b64 s[6:7], s[0:1], 0x50
	s_xor_b32 s2, s2, s4
	s_mov_b32 s3, 0
	s_wait_alu 0xfffe
	s_sub_co_i32 s16, s2, s4
	s_mov_b32 s15, s3
	s_abs_i32 s18, s16
	s_delay_alu instid0(SALU_CYCLE_1) | instskip(SKIP_1) | instid1(SALU_CYCLE_2)
	s_cvt_f32_u32 s2, s18
	s_wait_alu 0xfffe
	v_rcp_iflag_f32_e32 v1, s2
	s_delay_alu instid0(TRANS32_DEP_1) | instskip(SKIP_2) | instid1(SALU_CYCLE_2)
	v_readfirstlane_b32 s2, v1
	s_mul_f32 s2, s2, 0x4f7ffffe
	s_wait_alu 0xfffe
	s_cvt_u32_f32 s4, s2
	s_sub_co_i32 s2, 0, s18
	s_wait_alu 0xfffe
	s_delay_alu instid0(SALU_CYCLE_1)
	s_mul_i32 s2, s2, s4
	s_wait_alu 0xfffe
	s_mul_hi_u32 s5, s4, s2
	s_abs_i32 s2, ttmp9
	s_add_co_i32 s4, s4, s5
	s_mov_b32 s5, s3
	s_wait_kmcnt 0x0
	s_cmp_eq_u64 s[6:7], 0
	s_cbranch_scc1 .LBB171_3
; %bb.2:
	s_mov_b32 s10, ttmp9
	s_ashr_i32 s11, ttmp9, 31
	s_delay_alu instid0(SALU_CYCLE_1) | instskip(NEXT) | instid1(SALU_CYCLE_1)
	s_lshl_b64 s[10:11], s[10:11], 2
	s_add_nc_u64 s[6:7], s[6:7], s[10:11]
	s_load_b32 s15, s[6:7], 0x0
.LBB171_3:
	s_load_b96 s[12:14], s[0:1], 0x58
	v_lshlrev_b32_e32 v3, 4, v0
	s_mul_u64 s[10:11], s[2:3], s[4:5]
	s_ashr_i32 s3, ttmp9, 31
	s_ashr_i32 s10, s16, 31
	s_lshl_b32 s16, ttmp9, 5
	s_mov_b32 s4, exec_lo
	v_cmpx_gt_u32_e32 4, v0
	s_cbranch_execz .LBB171_5
; %bb.4:
	s_load_b64 s[6:7], s[0:1], 0x18
	s_wait_kmcnt 0x0
	s_mul_i32 s22, s12, s20
	s_ashr_i32 s17, s16, 31
	s_ashr_i32 s23, s22, 31
	s_delay_alu instid0(SALU_CYCLE_1) | instskip(NEXT) | instid1(SALU_CYCLE_1)
	s_lshl_b64 s[22:23], s[22:23], 1
	s_add_nc_u64 s[6:7], s[6:7], s[22:23]
	s_lshl_b64 s[22:23], s[16:17], 1
	s_delay_alu instid0(SALU_CYCLE_1)
	s_add_nc_u64 s[6:7], s[6:7], s[22:23]
	global_load_b128 v[4:7], v3, s[6:7]
	s_wait_loadcnt 0x0
	ds_store_b128 v3, v[4:7]
.LBB171_5:
	s_or_b32 exec_lo, exec_lo, s4
	s_clause 0x1
	s_load_b128 s[4:7], s[0:1], 0x78
	s_load_b32 s22, s[0:1], 0x88
	s_wait_kmcnt 0x0
	s_mul_i32 s12, s11, s18
	s_xor_b32 s3, s3, s10
	s_sub_co_i32 s2, s2, s12
	s_add_co_i32 s10, s11, 1
	s_wait_alu 0xfffe
	s_sub_co_i32 s12, s2, s18
	s_cmp_ge_u32 s2, s18
	s_mov_b32 s24, -1
	s_cselect_b32 s10, s10, s11
	s_cselect_b32 s2, s12, s2
	s_add_co_i32 s11, s10, 1
	s_wait_alu 0xfffe
	s_cmp_ge_u32 s2, s18
	s_wait_dscnt 0x0
	s_cselect_b32 s2, s11, s10
	s_add_co_i32 s23, s31, -1
	s_wait_alu 0xfffe
	s_xor_b32 s2, s2, s3
	s_barrier_signal -1
	s_wait_alu 0xfffe
	s_sub_co_i32 s26, s2, s3
	s_barrier_wait -1
	s_abs_i32 s12, s7
	global_inv scope:SCOPE_SE
	s_cvt_f32_u32 s10, s12
                                        ; implicit-def: $sgpr17
	s_delay_alu instid0(SALU_CYCLE_3) | instskip(NEXT) | instid1(TRANS32_DEP_1)
	v_rcp_iflag_f32_e32 v1, s10
	v_readfirstlane_b32 s10, v1
	s_mul_f32 s2, s10, 0x4f7ffffe
	s_wait_alu 0xfffe
	s_delay_alu instid0(SALU_CYCLE_2) | instskip(SKIP_2) | instid1(SALU_CYCLE_1)
	s_cvt_u32_f32 s10, s2
	s_sub_co_i32 s2, 0, s12
	s_wait_alu 0xfffe
	s_mul_i32 s3, s2, s10
	s_abs_i32 s2, s23
	s_wait_alu 0xfffe
	s_mul_hi_u32 s11, s10, s3
	s_mov_b32 s3, 0
	s_wait_alu 0xfffe
	s_add_co_i32 s18, s10, s11
	s_cmp_lt_i32 s22, 0
	s_mov_b32 s19, s3
	s_cbranch_scc0 .LBB171_7
; %bb.6:
	s_mul_i32 s8, s4, s8
	s_mov_b32 s24, s3
	s_add_co_i32 s8, s26, s8
	s_delay_alu instid0(SALU_CYCLE_1) | instskip(NEXT) | instid1(SALU_CYCLE_1)
	s_mul_i32 s8, s8, s22
	s_sub_co_i32 s17, 1, s8
.LBB171_7:
	s_mul_u64 s[10:11], s[2:3], s[18:19]
	s_ashr_i32 s3, s23, 31
	s_and_not1_b32 vcc_lo, exec_lo, s24
	s_ashr_i32 s19, s7, 31
	s_cbranch_vccnz .LBB171_9
; %bb.8:
	s_mul_i32 s4, s21, s4
	s_delay_alu instid0(SALU_CYCLE_1) | instskip(NEXT) | instid1(SALU_CYCLE_1)
	s_add_co_i32 s4, s4, ttmp9
	s_mul_i32 s4, s4, s22
	s_delay_alu instid0(SALU_CYCLE_1)
	s_add_co_i32 s17, s4, 1
.LBB171_9:
	s_clause 0x2
	s_load_b32 s4, s[0:1], 0x48
	s_load_b64 s[22:23], s[0:1], 0x38
	s_load_b32 s7, s[0:1], 0x98
	s_mul_i32 s8, s11, s12
	s_xor_b32 s3, s3, s19
	s_sub_co_i32 s2, s2, s8
	s_add_co_i32 s10, s11, 1
	v_lshrrev_b32_e32 v27, 5, v0
	v_and_b32_e32 v28, 31, v0
	v_mov_b32_e32 v22, 0xff7fffff
	s_mul_i32 s26, s26, s14
	s_delay_alu instid0(VALU_DEP_3) | instskip(NEXT) | instid1(VALU_DEP_3)
	v_lshl_add_u32 v29, v27, 5, s34
	v_lshlrev_b32_e32 v5, 2, v28
	s_wait_kmcnt 0x0
	s_mul_i32 s24, s4, s20
	s_wait_alu 0xfffe
	s_sub_co_i32 s4, s2, s12
	s_ashr_i32 s25, s24, 31
	s_cmp_ge_u32 s2, s12
	s_cselect_b32 s8, s10, s11
	s_cselect_b32 s2, s4, s2
	s_add_co_i32 s4, s8, 1
	s_wait_alu 0xfffe
	s_cmp_ge_u32 s2, s12
	s_cselect_b32 s2, s4, s8
	s_add_co_i32 s4, s31, 31
	s_lshl_b32 s37, s30, 4
	s_ashr_i32 s8, s4, 31
	v_add_nc_u32_e32 v30, s37, v27
	s_lshr_b32 s8, s8, 27
	s_delay_alu instid0(SALU_CYCLE_1)
	s_add_co_i32 s4, s4, s8
	s_add_co_i32 s8, s37, 16
	s_ashr_i32 s35, s4, 5
	s_wait_alu 0xfffe
	s_xor_b32 s4, s2, s3
	s_min_i32 s33, s8, s35
	v_lshlrev_b32_e32 v4, 2, v30
	v_cmp_gt_i32_e64 s2, s33, v30
	s_sub_co_i32 s36, s4, s3
	s_and_saveexec_b32 s8, s2
	s_cbranch_execz .LBB171_17
; %bb.10:
	s_load_b64 s[28:29], s[0:1], 0x20
	s_ashr_i32 s27, s26, 31
	v_dual_mov_b32 v1, 0 :: v_dual_lshlrev_b32 v2, 4, v28
	s_sub_co_i32 s10, s36, s5
	s_lshl_b64 s[38:39], s[26:27], 1
	s_cmp_neq_f32 s15, 0
	ds_load_b128 v[19:22], v1
	ds_load_b128 v[31:34], v1 offset:16
	ds_load_b128 v[35:38], v1 offset:32
	;; [unrolled: 1-line block ×3, first 2 shown]
	v_lshl_or_b32 v47, v27, 7, v5
	s_cselect_b32 vcc_lo, -1, 0
	s_abs_i32 s14, s6
	v_lshl_add_u32 v45, v27, 5, s34
	s_sub_co_i32 s4, 0, s14
	v_add_nc_u32_e32 v47, 0x60, v47
	s_mov_b32 s11, s13
	v_dual_mov_b32 v48, 0xff7fffff :: v_dual_mov_b32 v49, v30
	s_wait_kmcnt 0x0
	s_add_nc_u64 s[28:29], s[28:29], s[38:39]
	s_delay_alu instid0(SALU_CYCLE_1)
	v_add_co_u32 v6, s3, s28, v2
	s_wait_alu 0xf1ff
	v_add_co_ci_u32_e64 v7, null, s29, 0, s3
	s_cvt_f32_u32 s3, s14
	s_lshl_b64 s[28:29], s[24:25], 2
	s_wait_dscnt 0x2
	v_and_b32_e32 v10, 0xffff0000, v31
	v_lshlrev_b32_e32 v11, 16, v31
	s_wait_alu 0xfffe
	v_rcp_iflag_f32_e32 v1, s3
	v_and_b32_e32 v16, 0xffff0000, v32
	v_lshlrev_b32_e32 v17, 16, v32
	v_and_b32_e32 v31, 0xffff0000, v22
	v_lshlrev_b32_e32 v32, 16, v22
	v_subrev_nc_u32_e32 v22, s31, v28
	s_add_nc_u64 s[28:29], s[22:23], s[28:29]
	v_and_b32_e32 v8, 0xffff0000, v19
	v_lshlrev_b32_e32 v9, 16, v19
	s_wait_dscnt 0x1
	v_and_b32_e32 v12, 0xffff0000, v35
	v_readfirstlane_b32 s3, v1
	s_wait_alu 0xfffe
	v_add_co_u32 v1, s27, s28, v4
	v_lshlrev_b32_e32 v13, 16, v35
	v_and_b32_e32 v14, 0xffff0000, v20
	s_mul_f32 s3, s3, 0x4f7ffffe
	v_lshlrev_b32_e32 v15, 16, v20
	v_and_b32_e32 v18, 0xffff0000, v36
	v_lshlrev_b32_e32 v19, 16, v36
	s_wait_alu 0xfffe
	s_cvt_u32_f32 s3, s3
	v_and_b32_e32 v20, 0xffff0000, v21
	v_lshlrev_b32_e32 v21, 16, v21
	v_and_b32_e32 v23, 0xffff0000, v33
	s_wait_alu 0xfffe
	s_mul_i32 s4, s4, s3
	v_lshlrev_b32_e32 v24, 16, v33
	v_and_b32_e32 v25, 0xffff0000, v37
	v_lshlrev_b32_e32 v26, 16, v37
	v_and_b32_e32 v33, 0xffff0000, v34
	;; [unrolled: 2-line block ×3, first 2 shown]
	v_lshlrev_b32_e32 v36, 16, v38
	s_wait_dscnt 0x0
	v_and_b32_e32 v37, 0xffff0000, v41
	v_lshlrev_b32_e32 v38, 16, v41
	v_and_b32_e32 v39, 0xffff0000, v42
	v_lshlrev_b32_e32 v40, 16, v42
	;; [unrolled: 2-line block ×4, first 2 shown]
	v_add_co_ci_u32_e64 v2, null, s29, 0, s27
	v_add_nc_u32_e32 v46, 1, v22
	v_mov_b32_e32 v22, 0xff7fffff
	s_mul_hi_u32 s4, s3, s4
	s_mov_b32 s27, 0
	s_add_co_i32 s28, s3, s4
	s_branch .LBB171_12
.LBB171_11:                             ;   in Loop: Header=BB171_12 Depth=1
	s_wait_alu 0xfffe
	s_or_b32 exec_lo, exec_lo, s4
	v_add_nc_u32_e32 v49, 4, v49
	v_add_co_u32 v1, s4, v1, 16
	s_wait_alu 0xf1ff
	v_add_co_ci_u32_e64 v2, null, 0, v2, s4
	s_delay_alu instid0(VALU_DEP_3)
	v_cmp_le_i32_e64 s3, s33, v49
	v_add_nc_u32_e32 v45, 0x80, v45
	v_add_nc_u32_e32 v47, 0x200, v47
	s_or_b32 s27, s3, s27
	s_wait_alu 0xfffe
	s_and_not1_b32 exec_lo, exec_lo, s27
	s_cbranch_execz .LBB171_16
.LBB171_12:                             ; =>This Inner Loop Header: Depth=1
	v_sub_nc_u32_e32 v50, 0, v45
	s_delay_alu instid0(VALU_DEP_1) | instskip(NEXT) | instid1(VALU_DEP_1)
	v_max_i32_e32 v50, v45, v50
	v_mul_hi_u32 v51, v50, s18
	s_delay_alu instid0(VALU_DEP_1) | instskip(NEXT) | instid1(VALU_DEP_1)
	v_mul_lo_u32 v52, v51, s12
	v_sub_nc_u32_e32 v50, v50, v52
	v_add_nc_u32_e32 v52, 1, v51
	s_delay_alu instid0(VALU_DEP_2) | instskip(SKIP_2) | instid1(VALU_DEP_1)
	v_subrev_nc_u32_e32 v53, s12, v50
	v_cmp_le_u32_e64 s3, s12, v50
	s_wait_alu 0xf1ff
	v_cndmask_b32_e64 v51, v51, v52, s3
	s_delay_alu instid0(VALU_DEP_3) | instskip(SKIP_1) | instid1(VALU_DEP_3)
	v_cndmask_b32_e64 v50, v50, v53, s3
	v_ashrrev_i32_e32 v52, 31, v45
	v_add_nc_u32_e32 v53, 1, v51
	s_delay_alu instid0(VALU_DEP_3) | instskip(NEXT) | instid1(VALU_DEP_3)
	v_cmp_le_u32_e64 s3, s12, v50
	v_xor_b32_e32 v52, s19, v52
	s_wait_alu 0xf1ff
	s_delay_alu instid0(VALU_DEP_2) | instskip(NEXT) | instid1(VALU_DEP_1)
	v_cndmask_b32_e64 v50, v51, v53, s3
	v_xor_b32_e32 v50, v50, v52
	s_delay_alu instid0(VALU_DEP_1) | instskip(NEXT) | instid1(VALU_DEP_1)
	v_sub_nc_u32_e32 v50, v50, v52
	v_add_nc_u32_e32 v51, s17, v50
	v_cmp_ge_i32_e64 s4, s10, v50
	s_delay_alu instid0(VALU_DEP_2) | instskip(NEXT) | instid1(VALU_DEP_1)
	v_sub_nc_u32_e32 v52, 0, v51
	v_max_i32_e32 v52, v51, v52
	v_ashrrev_i32_e32 v51, 31, v51
	s_wait_alu 0xfffe
	s_delay_alu instid0(VALU_DEP_2) | instskip(NEXT) | instid1(VALU_DEP_1)
	v_mul_hi_u32 v53, v52, s28
	v_mul_lo_u32 v53, v53, s14
	s_delay_alu instid0(VALU_DEP_1) | instskip(NEXT) | instid1(VALU_DEP_1)
	v_sub_nc_u32_e32 v52, v52, v53
	v_subrev_nc_u32_e32 v53, s14, v52
	v_cmp_le_u32_e64 s3, s14, v52
	s_wait_alu 0xf1ff
	s_delay_alu instid0(VALU_DEP_1) | instskip(NEXT) | instid1(VALU_DEP_1)
	v_cndmask_b32_e64 v52, v52, v53, s3
	v_subrev_nc_u32_e32 v53, s14, v52
	v_cmp_le_u32_e64 s3, s14, v52
	s_wait_alu 0xf1ff
	s_delay_alu instid0(VALU_DEP_1) | instskip(NEXT) | instid1(VALU_DEP_1)
	v_cndmask_b32_e64 v52, v52, v53, s3
	v_xor_b32_e32 v52, v52, v51
	s_delay_alu instid0(VALU_DEP_1) | instskip(NEXT) | instid1(VALU_DEP_1)
	v_sub_nc_u32_e32 v51, v52, v51
	v_cmp_ne_u32_e64 s3, 0, v51
	s_and_b32 s3, s3, s4
	s_wait_alu 0xfffe
	s_and_saveexec_b32 s4, s3
	s_wait_alu 0xfffe
	s_xor_b32 s3, exec_lo, s4
; %bb.13:                               ;   in Loop: Header=BB171_12 Depth=1
	ds_store_b32 v47, v48
; %bb.14:                               ;   in Loop: Header=BB171_12 Depth=1
	s_wait_alu 0xfffe
	s_and_not1_saveexec_b32 s4, s3
	s_cbranch_execz .LBB171_11
; %bb.15:                               ;   in Loop: Header=BB171_12 Depth=1
	global_load_b32 v50, v[1:2], off
	s_wait_loadcnt 0x0
	v_mad_co_i64_i32 v[50:51], null, v50, s11, 0
	s_delay_alu instid0(VALU_DEP_1) | instskip(NEXT) | instid1(VALU_DEP_1)
	v_lshlrev_b64_e32 v[50:51], 1, v[50:51]
	v_add_co_u32 v62, s3, v6, v50
	s_wait_alu 0xf1ff
	s_delay_alu instid0(VALU_DEP_2)
	v_add_co_ci_u32_e64 v63, null, v7, v51, s3
	s_clause 0x3
	global_load_b128 v[50:53], v[62:63], off
	global_load_b128 v[54:57], v[62:63], off offset:512
	global_load_b128 v[58:61], v[62:63], off offset:1024
	;; [unrolled: 1-line block ×3, first 2 shown]
	s_wait_loadcnt 0x3
	v_lshlrev_b32_e32 v71, 16, v51
	s_wait_loadcnt 0x2
	v_and_b32_e32 v80, 0xffff0000, v57
	v_lshlrev_b32_e32 v57, 16, v57
	s_wait_loadcnt 0x0
	v_lshlrev_b32_e32 v74, 16, v63
	v_and_b32_e32 v81, 0xffff0000, v61
	v_and_b32_e32 v77, 0xffff0000, v60
	v_lshlrev_b32_e32 v79, 16, v53
	v_dual_mul_f32 v57, v34, v57 :: v_dual_and_b32 v72, 0xffff0000, v55
	v_lshlrev_b32_e32 v55, 16, v55
	v_add_nc_u32_e32 v66, v46, v45
	s_delay_alu instid0(VALU_DEP_3) | instskip(NEXT) | instid1(VALU_DEP_3)
	v_dual_fmac_f32 v57, v32, v79 :: v_dual_and_b32 v76, 0xffff0000, v56
	v_dual_mul_f32 v55, v17, v55 :: v_dual_lshlrev_b32 v56, 16, v56
	v_and_b32_e32 v68, 0xffff0000, v54
	v_lshlrev_b32_e32 v70, 16, v62
	s_delay_alu instid0(VALU_DEP_3) | instskip(NEXT) | instid1(VALU_DEP_3)
	v_dual_mul_f32 v56, v24, v56 :: v_dual_fmac_f32 v55, v15, v71
	v_dual_mul_f32 v68, v10, v68 :: v_dual_lshlrev_b32 v67, 16, v50
	v_and_b32_e32 v50, 0xffff0000, v50
	s_delay_alu instid0(VALU_DEP_1) | instskip(SKIP_2) | instid1(VALU_DEP_2)
	v_dual_fmac_f32 v68, v8, v50 :: v_dual_and_b32 v51, 0xffff0000, v51
	v_dual_mul_f32 v61, v16, v72 :: v_dual_lshlrev_b32 v50, 16, v61
	v_lshlrev_b32_e32 v54, 16, v54
	v_dual_fmac_f32 v57, v36, v50 :: v_dual_lshlrev_b32 v60, 16, v60
	s_delay_alu instid0(VALU_DEP_2) | instskip(SKIP_1) | instid1(VALU_DEP_2)
	v_dual_fmac_f32 v61, v14, v51 :: v_dual_mul_f32 v54, v11, v54
	v_and_b32_e32 v69, 0xffff0000, v58
	v_dual_mul_f32 v51, v23, v76 :: v_dual_fmac_f32 v54, v9, v67
	v_and_b32_e32 v73, 0xffff0000, v59
	v_lshlrev_b32_e32 v59, 16, v59
	v_lshlrev_b32_e32 v58, 16, v58
	s_delay_alu instid0(VALU_DEP_2) | instskip(NEXT) | instid1(VALU_DEP_2)
	v_dual_fmac_f32 v68, v12, v69 :: v_dual_fmac_f32 v55, v19, v59
	v_fmac_f32_e32 v54, v13, v58
	v_dual_fmac_f32 v61, v18, v73 :: v_dual_and_b32 v62, 0xffff0000, v62
	v_and_b32_e32 v63, 0xffff0000, v63
	s_delay_alu instid0(VALU_DEP_3) | instskip(NEXT) | instid1(VALU_DEP_3)
	v_dual_fmac_f32 v54, v38, v70 :: v_dual_lshlrev_b32 v75, 16, v52
	v_fmac_f32_e32 v68, v37, v62
	s_delay_alu instid0(VALU_DEP_3) | instskip(NEXT) | instid1(VALU_DEP_3)
	v_dual_fmac_f32 v61, v39, v63 :: v_dual_and_b32 v52, 0xffff0000, v52
	v_dual_fmac_f32 v55, v40, v74 :: v_dual_fmac_f32 v56, v21, v75
	s_delay_alu instid0(VALU_DEP_3) | instskip(NEXT) | instid1(VALU_DEP_3)
	v_add_f32_e32 v54, v54, v68
	v_fmac_f32_e32 v51, v20, v52
	s_delay_alu instid0(VALU_DEP_3) | instskip(NEXT) | instid1(VALU_DEP_3)
	v_dual_fmac_f32 v56, v26, v60 :: v_dual_and_b32 v53, 0xffff0000, v53
	v_dual_add_f32 v52, v54, v55 :: v_dual_lshlrev_b32 v55, 16, v65
	v_lshlrev_b32_e32 v78, 16, v64
	v_and_b32_e32 v64, 0xffff0000, v64
	v_mul_f32_e32 v54, v33, v80
	s_delay_alu instid0(VALU_DEP_4) | instskip(SKIP_2) | instid1(VALU_DEP_4)
	v_add_f32_e32 v52, v61, v52
	v_fmac_f32_e32 v51, v25, v77
	v_dual_fmac_f32 v57, v44, v55 :: v_dual_fmac_f32 v56, v42, v78
	v_fmac_f32_e32 v54, v31, v53
	v_and_b32_e32 v53, 0xffff0000, v65
	s_delay_alu instid0(VALU_DEP_4) | instskip(NEXT) | instid1(VALU_DEP_4)
	v_fmac_f32_e32 v51, v41, v64
	v_add_f32_e32 v50, v56, v52
	v_cvt_f32_i32_e32 v52, v66
	s_delay_alu instid0(VALU_DEP_1) | instskip(SKIP_1) | instid1(VALU_DEP_2)
	v_dual_add_f32 v50, v51, v50 :: v_dual_mul_f32 v51, s15, v52
	v_max_num_f32_e32 v52, v22, v22
	v_dual_add_f32 v50, v57, v50 :: v_dual_cndmask_b32 v51, 0, v51
	v_fmac_f32_e32 v54, v35, v81
	s_delay_alu instid0(VALU_DEP_1) | instskip(NEXT) | instid1(VALU_DEP_1)
	v_fmac_f32_e32 v54, v43, v53
	v_add_f32_e32 v50, v54, v50
	s_delay_alu instid0(VALU_DEP_1) | instskip(NEXT) | instid1(VALU_DEP_1)
	v_dual_fmac_f32 v51, s9, v50 :: v_dual_add_nc_u32 v50, v28, v45
	v_max_num_f32_e32 v52, v52, v51
	s_delay_alu instid0(VALU_DEP_2) | instskip(SKIP_1) | instid1(VALU_DEP_1)
	v_cmp_gt_i32_e64 s3, s31, v50
	s_wait_alu 0xf1ff
	v_cndmask_b32_e64 v50, 0, v51, s3
	s_delay_alu instid0(VALU_DEP_3)
	v_cndmask_b32_e64 v22, v22, v52, s3
	ds_store_b32 v47, v50
	s_branch .LBB171_11
.LBB171_16:
	s_or_b32 exec_lo, exec_lo, s27
.LBB171_17:
	s_delay_alu instid0(SALU_CYCLE_1)
	s_or_b32 exec_lo, exec_lo, s8
	v_mbcnt_lo_u32_b32 v1, -1, 0
	v_max_num_f32_e32 v8, v22, v22
	s_clause 0x2
	s_load_b128 s[8:11], s[0:1], 0x0
	s_load_b64 s[14:15], s[0:1], 0x10
	s_load_b64 s[28:29], s[0:1], 0x28
	v_xor_b32_e32 v2, 16, v1
	v_xor_b32_e32 v7, 8, v1
	s_delay_alu instid0(VALU_DEP_2) | instskip(SKIP_2) | instid1(VALU_DEP_3)
	v_cmp_gt_i32_e32 vcc_lo, 32, v2
	s_wait_alu 0xfffd
	v_cndmask_b32_e32 v2, v1, v2, vcc_lo
	v_cmp_gt_i32_e32 vcc_lo, 32, v7
	s_wait_alu 0xfffd
	s_delay_alu instid0(VALU_DEP_2) | instskip(SKIP_3) | instid1(VALU_DEP_1)
	v_dual_cndmask_b32 v7, v1, v7 :: v_dual_lshlrev_b32 v2, 2, v2
	ds_bpermute_b32 v6, v2, v22
	s_wait_dscnt 0x0
	v_dual_max_num_f32 v9, v6, v6 :: v_dual_lshlrev_b32 v6, 2, v7
	v_max_num_f32_e32 v7, v8, v9
	v_xor_b32_e32 v9, 4, v1
	ds_bpermute_b32 v8, v6, v7
	v_cmp_gt_i32_e32 vcc_lo, 32, v9
	s_wait_dscnt 0x0
	s_wait_alu 0xfffd
	v_dual_cndmask_b32 v9, v1, v9 :: v_dual_max_num_f32 v10, v8, v8
	s_delay_alu instid0(VALU_DEP_1)
	v_dual_max_num_f32 v7, v7, v10 :: v_dual_lshlrev_b32 v8, 2, v9
	v_xor_b32_e32 v10, 2, v1
	ds_bpermute_b32 v9, v8, v7
	v_cmp_gt_i32_e32 vcc_lo, 32, v10
	s_wait_dscnt 0x0
	v_max_num_f32_e32 v9, v9, v9
	s_wait_alu 0xfffd
	s_delay_alu instid0(VALU_DEP_1) | instskip(NEXT) | instid1(VALU_DEP_1)
	v_dual_cndmask_b32 v10, v1, v10 :: v_dual_max_num_f32 v7, v7, v9
	v_lshlrev_b32_e32 v31, 2, v10
	v_xor_b32_e32 v10, 1, v1
	ds_bpermute_b32 v9, v31, v7
	v_cmp_gt_i32_e32 vcc_lo, 32, v10
	s_wait_alu 0xfffd
	v_cndmask_b32_e32 v10, v1, v10, vcc_lo
	v_cmp_eq_u32_e32 vcc_lo, 0, v28
	s_wait_dscnt 0x0
	s_delay_alu instid0(VALU_DEP_2) | instskip(NEXT) | instid1(VALU_DEP_1)
	v_dual_max_num_f32 v9, v9, v9 :: v_dual_lshlrev_b32 v32, 2, v10
	v_max_num_f32_e32 v1, v7, v9
	v_lshlrev_b32_e32 v9, 2, v27
	ds_bpermute_b32 v7, v32, v1
	s_and_saveexec_b32 s0, vcc_lo
	s_cbranch_execz .LBB171_19
; %bb.18:
	s_wait_dscnt 0x0
	v_max_num_f32_e32 v7, v7, v7
	v_max_num_f32_e32 v1, v1, v1
	s_delay_alu instid0(VALU_DEP_1)
	v_max_num_f32_e32 v1, v1, v7
	ds_store_b32 v9, v1 offset:64
.LBB171_19:
	s_or_b32 exec_lo, exec_lo, s0
	v_cmp_gt_u32_e64 s0, 4, v28
	v_mov_b32_e32 v1, 0xff7fffff
	s_wait_loadcnt_dscnt 0x0
	s_barrier_signal -1
	s_barrier_wait -1
	global_inv scope:SCOPE_SE
	s_and_saveexec_b32 s1, s0
; %bb.20:
	ds_load_b32 v1, v5 offset:64
; %bb.21:
	s_or_b32 exec_lo, exec_lo, s1
	s_wait_dscnt 0x0
	ds_bpermute_b32 v7, v31, v1
	v_dual_max_num_f32 v1, v1, v1 :: v_dual_mov_b32 v10, 0
	s_sub_co_i32 s1, s33, s37
	s_delay_alu instid0(SALU_CYCLE_1) | instskip(NEXT) | instid1(SALU_CYCLE_1)
	s_lshl_b32 s1, s1, 5
	s_add_co_i32 s1, s1, s34
	s_delay_alu instid0(SALU_CYCLE_1) | instskip(NEXT) | instid1(SALU_CYCLE_1)
	s_min_i32 s1, s1, s31
	s_sub_co_i32 s4, s1, s34
	s_wait_alu 0xfffe
	v_cmp_gt_i32_e64 s1, s4, v0
	s_wait_dscnt 0x0
	v_max_num_f32_e32 v7, v7, v7
	s_delay_alu instid0(VALU_DEP_1) | instskip(SKIP_3) | instid1(VALU_DEP_1)
	v_max_num_f32_e32 v1, v1, v7
	ds_bpermute_b32 v7, v32, v1
	s_wait_dscnt 0x0
	v_max_num_f32_e32 v7, v7, v7
	v_max_num_f32_e32 v1, v1, v7
	v_lshl_add_u32 v7, v0, 2, 0x60
	ds_bpermute_b32 v1, v10, v1
	s_and_saveexec_b32 s27, s1
	s_cbranch_execz .LBB171_25
; %bb.22:
	v_lshl_add_u32 v11, v0, 2, 0x60
	v_mov_b32_e32 v10, 0
	v_mov_b32_e32 v12, v0
	s_mov_b32 s34, 0
.LBB171_23:                             ; =>This Inner Loop Header: Depth=1
	ds_load_b32 v13, v11
	v_add_nc_u32_e32 v12, 0x80, v12
	s_delay_alu instid0(VALU_DEP_1) | instskip(SKIP_4) | instid1(VALU_DEP_1)
	v_cmp_le_i32_e64 s3, s4, v12
	s_wait_alu 0xfffe
	s_or_b32 s34, s3, s34
	s_wait_dscnt 0x0
	v_sub_f32_e32 v13, v13, v1
	v_mul_f32_e32 v13, 0x3fb8aa3b, v13
	s_delay_alu instid0(VALU_DEP_1)
	v_exp_f32_e32 v13, v13
	ds_store_b32 v11, v13
	v_dual_add_f32 v10, v10, v13 :: v_dual_add_nc_u32 v11, 0x200, v11
	s_wait_alu 0xfffe
	s_and_not1_b32 exec_lo, exec_lo, s34
	s_cbranch_execnz .LBB171_23
; %bb.24:
	s_or_b32 exec_lo, exec_lo, s34
.LBB171_25:
	s_wait_alu 0xfffe
	s_or_b32 exec_lo, exec_lo, s27
	ds_bpermute_b32 v2, v2, v10
	s_wait_dscnt 0x0
	v_add_f32_e32 v2, v10, v2
	ds_bpermute_b32 v6, v6, v2
	s_wait_dscnt 0x0
	v_add_f32_e32 v2, v2, v6
	;; [unrolled: 3-line block ×5, first 2 shown]
	s_and_saveexec_b32 s3, vcc_lo
; %bb.26:
	ds_store_b32 v9, v2 offset:80
; %bb.27:
	s_wait_alu 0xfffe
	s_or_b32 exec_lo, exec_lo, s3
	s_wait_loadcnt_dscnt 0x0
	s_barrier_signal -1
	s_barrier_wait -1
	global_inv scope:SCOPE_SE
	s_and_saveexec_b32 s3, s0
; %bb.28:
	ds_load_b32 v2, v5 offset:80
; %bb.29:
	s_wait_alu 0xfffe
	s_or_b32 exec_lo, exec_lo, s3
	s_wait_dscnt 0x0
	ds_bpermute_b32 v5, v31, v2
	s_wait_dscnt 0x0
	v_add_f32_e32 v2, v2, v5
	ds_bpermute_b32 v5, v32, v2
	s_wait_dscnt 0x0
	v_dual_add_f32 v2, v2, v5 :: v_dual_mov_b32 v5, 0
	ds_bpermute_b32 v2, v5, v2
	s_and_saveexec_b32 s0, s1
	s_cbranch_execz .LBB171_32
; %bb.30:
	s_wait_dscnt 0x0
	v_add_f32_e32 v5, 0x358637bd, v2
	s_mov_b32 s1, 0
	s_delay_alu instid0(VALU_DEP_1) | instskip(NEXT) | instid1(VALU_DEP_1)
	v_div_scale_f32 v6, null, v5, v5, 1.0
	v_rcp_f32_e32 v8, v6
	s_delay_alu instid0(TRANS32_DEP_1) | instskip(NEXT) | instid1(VALU_DEP_1)
	v_fma_f32 v9, -v6, v8, 1.0
	v_fmac_f32_e32 v8, v9, v8
	v_div_scale_f32 v10, vcc_lo, 1.0, v5, 1.0
	s_delay_alu instid0(VALU_DEP_1) | instskip(NEXT) | instid1(VALU_DEP_1)
	v_mul_f32_e32 v9, v10, v8
	v_fma_f32 v11, -v6, v9, v10
	s_delay_alu instid0(VALU_DEP_1) | instskip(NEXT) | instid1(VALU_DEP_1)
	v_fmac_f32_e32 v9, v11, v8
	v_fma_f32 v6, -v6, v9, v10
	s_wait_alu 0xfffd
	s_delay_alu instid0(VALU_DEP_1) | instskip(NEXT) | instid1(VALU_DEP_1)
	v_div_fmas_f32 v6, v6, v8, v9
	v_div_fixup_f32 v5, v6, v5, 1.0
	v_mov_b32_e32 v6, v0
.LBB171_31:                             ; =>This Inner Loop Header: Depth=1
	ds_load_b32 v8, v7
	v_add_nc_u32_e32 v6, 0x80, v6
	s_delay_alu instid0(VALU_DEP_1)
	v_cmp_le_i32_e32 vcc_lo, s4, v6
	s_or_b32 s1, vcc_lo, s1
	s_wait_dscnt 0x0
	v_mul_f32_e32 v8, v5, v8
	ds_store_b32 v7, v8
	v_add_nc_u32_e32 v7, 0x200, v7
	s_and_not1_b32 exec_lo, exec_lo, s1
	s_cbranch_execnz .LBB171_31
.LBB171_32:
	s_or_b32 exec_lo, exec_lo, s0
	s_mul_i32 s0, s7, s20
	s_wait_loadcnt_dscnt 0x0
	s_mul_i32 s20, s0, s21
	s_mov_b32 s0, exec_lo
	s_barrier_signal -1
	s_barrier_wait -1
	global_inv scope:SCOPE_SE
	v_cmpx_eq_u32_e32 0, v0
	s_cbranch_execz .LBB171_34
; %bb.33:
	s_ashr_i32 s21, s20, 31
	s_mul_i32 s38, s7, ttmp9
	s_lshl_b32 s1, s30, 2
	s_lshl_b64 s[40:41], s[20:21], 2
	s_ashr_i32 s39, s38, 31
	v_mov_b32_e32 v5, s1
	s_wait_kmcnt 0x0
	s_add_nc_u64 s[10:11], s[10:11], s[40:41]
	s_lshl_b64 s[38:39], s[38:39], 2
	s_add_nc_u64 s[8:9], s[8:9], s[40:41]
	s_wait_alu 0xfffe
	s_add_nc_u64 s[10:11], s[10:11], s[38:39]
	s_add_nc_u64 s[8:9], s[8:9], s[38:39]
	s_clause 0x1
	global_store_b32 v5, v1, s[10:11]
	global_store_b32 v5, v2, s[8:9]
.LBB171_34:
	s_or_b32 exec_lo, exec_lo, s0
	v_dual_mov_b32 v36, 0 :: v_dual_and_b32 v33, 3, v0
	v_dual_mov_b32 v37, 0 :: v_dual_mov_b32 v34, 0
	v_mov_b32_e32 v35, 0
	s_and_saveexec_b32 s1, s2
	s_cbranch_execz .LBB171_48
; %bb.35:
	s_abs_i32 s2, s6
	s_ashr_i32 s27, s26, 31
	s_wait_alu 0xfffe
	s_cvt_f32_u32 s0, s2
	v_dual_mov_b32 v34, 0 :: v_dual_and_b32 v3, 0x1f0, v3
	s_wait_kmcnt 0x0
	s_lshl_b64 s[8:9], s[24:25], 2
	s_wait_alu 0xfffe
	v_rcp_iflag_f32_e32 v1, s0
	s_lshl_b64 s[10:11], s[26:27], 1
	v_dual_mov_b32 v35, 0 :: v_dual_lshlrev_b32 v2, 3, v0
	s_add_nc_u64 s[8:9], s[22:23], s[8:9]
	s_wait_alu 0xfffe
	s_add_nc_u64 s[10:11], s[28:29], s[10:11]
	s_mov_b32 s4, s13
	s_sub_co_i32 s13, 0, s2
	s_wait_alu 0xfffe
	v_add_co_u32 v39, s10, s10, v3
	v_readfirstlane_b32 s0, v1
	v_dual_mov_b32 v36, 0 :: v_dual_lshlrev_b32 v1, 5, v33
	v_add_co_u32 v25, s8, s8, v4
	s_mul_f32 s0, s0, 0x4f7ffffe
	v_lshl_or_b32 v1, v27, 7, v1
	v_dual_mov_b32 v37, 0 :: v_dual_and_b32 v38, 24, v2
	s_wait_alu 0xfffe
	s_cvt_u32_f32 s0, s0
	v_add_co_ci_u32_e64 v40, null, s11, 0, s10
	v_add_co_ci_u32_e64 v26, null, s9, 0, s8
	s_wait_alu 0xfffe
	s_mul_i32 s13, s13, s0
	v_add_nc_u32_e32 v41, 0x60, v1
	s_wait_alu 0xfffe
	s_mul_hi_u32 s9, s0, s13
	s_sub_co_i32 s3, s36, s5
	s_add_co_i32 s5, s35, -1
	s_mov_b32 s6, 0
	s_mov_b32 s8, s31
	s_wait_alu 0xfffe
	s_add_co_i32 s9, s0, s9
	s_branch .LBB171_38
.LBB171_36:                             ;   in Loop: Header=BB171_38 Depth=1
	s_wait_alu 0xfffe
	s_or_b32 exec_lo, exec_lo, s0
	s_wait_dscnt 0x1
	v_bfe_u32 v42, v17, 16, 1
	v_bfe_u32 v43, v18, 16, 1
	v_or_b32_e32 v44, 0x400000, v17
	v_cmp_u_f32_e32 vcc_lo, v17, v17
	v_or_b32_e32 v45, 0x400000, v18
	v_add3_u32 v42, v42, v17, 0x7fff
	v_bfe_u32 v46, v19, 16, 1
	v_add3_u32 v43, v43, v18, 0x7fff
	v_bfe_u32 v47, v20, 16, 1
	s_wait_alu 0xfffd
	v_cndmask_b32_e32 v17, v42, v44, vcc_lo
	v_cmp_u_f32_e32 vcc_lo, v18, v18
	v_add3_u32 v42, v46, v19, 0x7fff
	v_add3_u32 v44, v47, v20, 0x7fff
	s_wait_dscnt 0x0
	v_bfe_u32 v46, v13, 16, 1
	s_wait_alu 0xfffd
	v_cndmask_b32_e32 v18, v43, v45, vcc_lo
	v_or_b32_e32 v43, 0x400000, v19
	v_cmp_u_f32_e32 vcc_lo, v19, v19
	v_or_b32_e32 v45, 0x400000, v20
	s_wait_alu 0xfffd
	s_delay_alu instid0(VALU_DEP_3)
	v_cndmask_b32_e32 v19, v42, v43, vcc_lo
	v_cmp_u_f32_e32 vcc_lo, v20, v20
	v_bfe_u32 v42, v14, 16, 1
	v_add3_u32 v43, v46, v13, 0x7fff
	v_bfe_u32 v46, v15, 16, 1
	s_wait_alu 0xfffd
	v_cndmask_b32_e32 v20, v44, v45, vcc_lo
	v_or_b32_e32 v44, 0x400000, v13
	v_cmp_u_f32_e32 vcc_lo, v13, v13
	v_add3_u32 v42, v42, v14, 0x7fff
	v_or_b32_e32 v45, 0x400000, v14
	v_and_b32_e32 v20, 0xffff0000, v20
	s_wait_alu 0xfffd
	v_cndmask_b32_e32 v13, v43, v44, vcc_lo
	v_cmp_u_f32_e32 vcc_lo, v14, v14
	v_bfe_u32 v43, v16, 16, 1
	s_wait_loadcnt 0x1
	v_and_b32_e32 v44, 0xffff0000, v21
	v_and_b32_e32 v17, 0xffff0000, v17
	s_wait_alu 0xfffd
	v_cndmask_b32_e32 v14, v42, v45, vcc_lo
	v_add3_u32 v42, v46, v15, 0x7fff
	v_or_b32_e32 v45, 0x400000, v15
	v_cmp_u_f32_e32 vcc_lo, v15, v15
	v_add3_u32 v43, v43, v16, 0x7fff
	v_or_b32_e32 v46, 0x400000, v16
	v_and_b32_e32 v13, 0xffff0000, v13
	s_wait_alu 0xfffd
	v_cndmask_b32_e32 v15, v42, v45, vcc_lo
	v_cmp_u_f32_e32 vcc_lo, v16, v16
	s_wait_alu 0xfffd
	v_dual_cndmask_b32 v16, v43, v46 :: v_dual_lshlrev_b32 v21, 16, v21
	s_delay_alu instid0(VALU_DEP_1) | instskip(NEXT) | instid1(VALU_DEP_1)
	v_dual_mul_f32 v21, v17, v21 :: v_dual_and_b32 v18, 0xffff0000, v18
	v_mul_f32_e32 v44, v18, v44
	s_delay_alu instid0(VALU_DEP_2) | instskip(SKIP_1) | instid1(VALU_DEP_3)
	v_bfe_u32 v43, v21, 16, 1
	v_or_b32_e32 v47, 0x400000, v21
	v_bfe_u32 v42, v44, 16, 1
	v_or_b32_e32 v46, 0x400000, v44
	v_cmp_u_f32_e32 vcc_lo, v44, v44
	v_add3_u32 v43, v43, v21, 0x7fff
	s_delay_alu instid0(VALU_DEP_4)
	v_add3_u32 v42, v42, v44, 0x7fff
	v_and_b32_e32 v44, 0xffff0000, v23
	v_lshlrev_b32_e32 v23, 16, v23
	v_and_b32_e32 v14, 0xffff0000, v14
	v_and_b32_e32 v45, 0xffff0000, v22
	s_wait_alu 0xfffd
	v_dual_cndmask_b32 v42, v42, v46 :: v_dual_and_b32 v19, 0xffff0000, v19
	v_lshlrev_b32_e32 v22, 16, v22
	v_cmp_u_f32_e32 vcc_lo, v21, v21
	v_dual_mul_f32 v44, v14, v44 :: v_dual_mul_f32 v45, v20, v45
	s_delay_alu instid0(VALU_DEP_3) | instskip(SKIP_2) | instid1(VALU_DEP_3)
	v_mul_f32_e32 v22, v19, v22
	s_wait_alu 0xfffd
	v_cndmask_b32_e32 v21, v43, v47, vcc_lo
	v_bfe_u32 v43, v45, 16, 1
	v_or_b32_e32 v46, 0x400000, v45
	v_bfe_u32 v47, v22, 16, 1
	v_cmp_u_f32_e32 vcc_lo, v45, v45
	s_delay_alu instid0(VALU_DEP_4) | instskip(NEXT) | instid1(VALU_DEP_3)
	v_add3_u32 v43, v43, v45, 0x7fff
	v_add3_u32 v45, v47, v22, 0x7fff
	v_bfe_u32 v47, v44, 16, 1
	s_wait_alu 0xfffd
	s_delay_alu instid0(VALU_DEP_3) | instskip(SKIP_3) | instid1(VALU_DEP_2)
	v_cndmask_b32_e32 v43, v43, v46, vcc_lo
	v_or_b32_e32 v46, 0x400000, v22
	v_cmp_u_f32_e32 vcc_lo, v22, v22
	s_wait_alu 0xfffd
	v_dual_cndmask_b32 v22, v45, v46 :: v_dual_and_b32 v43, 0xffff0000, v43
	v_mul_f32_e32 v23, v13, v23
	v_add3_u32 v45, v47, v44, 0x7fff
	v_or_b32_e32 v46, 0x400000, v44
	v_cmp_u_f32_e32 vcc_lo, v44, v44
	v_and_b32_e32 v49, 0xffff0000, v24
	v_bfe_u32 v48, v23, 16, 1
	v_and_b32_e32 v22, 0xffff0000, v22
	s_wait_alu 0xfffd
	v_dual_cndmask_b32 v44, v45, v46 :: v_dual_and_b32 v21, 0xffff0000, v21
	v_cmp_u_f32_e32 vcc_lo, v23, v23
	v_add3_u32 v48, v48, v23, 0x7fff
	v_and_b32_e32 v16, 0xffff0000, v16
	v_add_f32_e32 v22, v22, v43
	v_and_b32_e32 v42, 0xffff0000, v42
	s_delay_alu instid0(VALU_DEP_3) | instskip(SKIP_1) | instid1(VALU_DEP_3)
	v_dual_mul_f32 v47, v16, v49 :: v_dual_lshlrev_b32 v24, 16, v24
	v_or_b32_e32 v49, 0x400000, v23
	v_dual_add_f32 v21, v21, v42 :: v_dual_and_b32 v42, 0xffff0000, v44
	s_delay_alu instid0(VALU_DEP_3) | instskip(SKIP_1) | instid1(VALU_DEP_3)
	v_bfe_u32 v50, v47, 16, 1
	s_wait_alu 0xfffd
	v_cndmask_b32_e32 v23, v48, v49, vcc_lo
	v_or_b32_e32 v46, 0x400000, v47
	v_cmp_u_f32_e32 vcc_lo, v47, v47
	v_add_f32_e32 v21, v22, v21
	v_add3_u32 v45, v50, v47, 0x7fff
	v_and_b32_e32 v23, 0xffff0000, v23
	v_and_b32_e32 v15, 0xffff0000, v15
	s_wait_alu 0xfffd
	s_delay_alu instid0(VALU_DEP_3) | instskip(NEXT) | instid1(VALU_DEP_3)
	v_cndmask_b32_e32 v45, v45, v46, vcc_lo
	v_add_f32_e32 v22, v23, v42
	s_delay_alu instid0(VALU_DEP_1) | instskip(NEXT) | instid1(VALU_DEP_1)
	v_dual_mul_f32 v24, v15, v24 :: v_dual_add_f32 v21, v22, v21
	v_bfe_u32 v48, v24, 16, 1
	v_or_b32_e32 v47, 0x400000, v24
	v_cmp_u_f32_e32 vcc_lo, v24, v24
	s_delay_alu instid0(VALU_DEP_3) | instskip(SKIP_1) | instid1(VALU_DEP_1)
	v_add3_u32 v46, v48, v24, 0x7fff
	s_wait_alu 0xfffd
	v_dual_cndmask_b32 v24, v46, v47 :: v_dual_and_b32 v43, 0xffff0000, v9
	s_delay_alu instid0(VALU_DEP_1)
	v_mul_f32_e32 v23, v18, v43
	v_and_b32_e32 v43, 0xffff0000, v10
	v_lshlrev_b32_e32 v9, 16, v9
	v_lshlrev_b32_e32 v10, 16, v10
	v_and_b32_e32 v24, 0xffff0000, v24
	v_cmp_u_f32_e32 vcc_lo, v23, v23
	v_and_b32_e32 v42, 0xffff0000, v45
	v_bfe_u32 v44, v23, 16, 1
	v_mul_f32_e32 v10, v19, v10
	s_delay_alu instid0(VALU_DEP_3) | instskip(SKIP_1) | instid1(VALU_DEP_4)
	v_add_f32_e32 v24, v24, v42
	v_dual_mul_f32 v42, v20, v43 :: v_dual_mul_f32 v9, v17, v9
	v_add3_u32 v43, v44, v23, 0x7fff
	v_or_b32_e32 v44, 0x400000, v23
	s_delay_alu instid0(VALU_DEP_3) | instskip(NEXT) | instid1(VALU_DEP_4)
	v_bfe_u32 v46, v42, 16, 1
	v_bfe_u32 v22, v9, 16, 1
	v_or_b32_e32 v45, 0x400000, v9
	s_wait_alu 0xfffd
	v_cndmask_b32_e32 v23, v43, v44, vcc_lo
	v_cmp_u_f32_e32 vcc_lo, v9, v9
	v_and_b32_e32 v44, 0xffff0000, v11
	v_add3_u32 v22, v22, v9, 0x7fff
	v_or_b32_e32 v43, 0x400000, v42
	s_wait_alu 0xfffd
	s_delay_alu instid0(VALU_DEP_2)
	v_cndmask_b32_e32 v9, v22, v45, vcc_lo
	v_add3_u32 v22, v46, v42, 0x7fff
	v_bfe_u32 v45, v10, 16, 1
	v_cmp_u_f32_e32 vcc_lo, v42, v42
	v_mul_f32_e32 v42, v14, v44
	v_or_b32_e32 v44, 0x400000, v10
	s_wait_alu 0xfffd
	v_cndmask_b32_e32 v22, v22, v43, vcc_lo
	v_add3_u32 v43, v45, v10, 0x7fff
	v_and_b32_e32 v45, 0xffff0000, v12
	v_bfe_u32 v46, v42, 16, 1
	v_cmp_u_f32_e32 vcc_lo, v10, v10
	v_lshlrev_b32_e32 v11, 16, v11
	v_lshlrev_b32_e32 v12, 16, v12
	v_and_b32_e32 v22, 0xffff0000, v22
	s_wait_alu 0xfffd
	v_dual_cndmask_b32 v10, v43, v44 :: v_dual_mul_f32 v43, v16, v45
	v_add3_u32 v44, v46, v42, 0x7fff
	v_or_b32_e32 v45, 0x400000, v42
	v_cmp_u_f32_e32 vcc_lo, v42, v42
	v_mul_f32_e32 v11, v13, v11
	v_bfe_u32 v48, v43, 16, 1
	v_mul_f32_e32 v12, v15, v12
	s_wait_alu 0xfffd
	v_cndmask_b32_e32 v42, v44, v45, vcc_lo
	v_bfe_u32 v47, v11, 16, 1
	v_cmp_u_f32_e32 vcc_lo, v11, v11
	v_add3_u32 v44, v48, v43, 0x7fff
	v_or_b32_e32 v45, 0x400000, v43
	s_delay_alu instid0(VALU_DEP_4) | instskip(SKIP_2) | instid1(VALU_DEP_1)
	v_add3_u32 v46, v47, v11, 0x7fff
	v_or_b32_e32 v47, 0x400000, v11
	s_wait_alu 0xfffd
	v_cndmask_b32_e32 v11, v46, v47, vcc_lo
	v_cmp_u_f32_e32 vcc_lo, v43, v43
	s_wait_alu 0xfffd
	v_dual_cndmask_b32 v43, v44, v45 :: v_dual_and_b32 v10, 0xffff0000, v10
	s_delay_alu instid0(VALU_DEP_1) | instskip(SKIP_4) | instid1(VALU_DEP_2)
	v_dual_add_f32 v10, v10, v22 :: v_dual_and_b32 v9, 0xffff0000, v9
	v_bfe_u32 v44, v12, 16, 1
	v_and_b32_e32 v22, 0xffff0000, v1
	v_and_b32_e32 v23, 0xffff0000, v23
	v_cmp_u_f32_e32 vcc_lo, v12, v12
	v_add_f32_e32 v9, v9, v23
	v_and_b32_e32 v23, 0xffff0000, v42
	v_add3_u32 v42, v44, v12, 0x7fff
	v_or_b32_e32 v44, 0x400000, v12
	s_wait_alu 0xfffd
	s_delay_alu instid0(VALU_DEP_1) | instskip(SKIP_1) | instid1(VALU_DEP_2)
	v_dual_cndmask_b32 v12, v42, v44 :: v_dual_and_b32 v11, 0xffff0000, v11
	v_add_f32_e32 v9, v10, v9
	v_dual_add_f32 v11, v11, v23 :: v_dual_mul_f32 v10, v18, v22
	v_and_b32_e32 v42, 0xffff0000, v43
	s_delay_alu instid0(VALU_DEP_2) | instskip(NEXT) | instid1(VALU_DEP_3)
	v_dual_add_f32 v9, v11, v9 :: v_dual_and_b32 v12, 0xffff0000, v12
	v_bfe_u32 v22, v10, 16, 1
	v_or_b32_e32 v23, 0x400000, v10
	v_cmp_u_f32_e32 vcc_lo, v10, v10
	v_and_b32_e32 v11, 0xffff0000, v2
	v_lshlrev_b32_e32 v2, 16, v2
	v_add3_u32 v22, v22, v10, 0x7fff
	v_lshlrev_b32_e32 v1, 16, v1
	s_delay_alu instid0(VALU_DEP_3) | instskip(SKIP_1) | instid1(VALU_DEP_2)
	v_dual_mul_f32 v11, v20, v11 :: v_dual_mul_f32 v2, v19, v2
	s_wait_alu 0xfffd
	v_dual_cndmask_b32 v10, v22, v23 :: v_dual_mul_f32 v1, v17, v1
	s_delay_alu instid0(VALU_DEP_2) | instskip(SKIP_1) | instid1(VALU_DEP_3)
	v_bfe_u32 v22, v11, 16, 1
	v_or_b32_e32 v45, 0x400000, v11
	v_and_b32_e32 v10, 0xffff0000, v10
	s_delay_alu instid0(VALU_DEP_4) | instskip(SKIP_3) | instid1(VALU_DEP_4)
	v_bfe_u32 v43, v1, 16, 1
	v_or_b32_e32 v44, 0x400000, v1
	v_cmp_u_f32_e32 vcc_lo, v1, v1
	v_add3_u32 v22, v22, v11, 0x7fff
	v_add3_u32 v23, v43, v1, 0x7fff
	v_and_b32_e32 v43, 0xffff0000, v3
	s_wait_alu 0xfffd
	s_delay_alu instid0(VALU_DEP_2)
	v_cndmask_b32_e32 v1, v23, v44, vcc_lo
	v_bfe_u32 v23, v2, 16, 1
	v_cmp_u_f32_e32 vcc_lo, v11, v11
	v_dual_mul_f32 v43, v14, v43 :: v_dual_and_b32 v44, 0xffff0000, v4
	v_lshlrev_b32_e32 v4, 16, v4
	v_lshlrev_b32_e32 v3, 16, v3
	s_wait_alu 0xfffd
	v_cndmask_b32_e32 v11, v22, v45, vcc_lo
	v_add3_u32 v23, v23, v2, 0x7fff
	v_or_b32_e32 v45, 0x400000, v2
	v_cmp_u_f32_e32 vcc_lo, v2, v2
	v_bfe_u32 v22, v43, 16, 1
	v_mul_f32_e32 v4, v15, v4
	v_mul_f32_e32 v44, v16, v44
	v_or_b32_e32 v46, 0x400000, v43
	s_wait_alu 0xfffd
	v_dual_cndmask_b32 v2, v23, v45 :: v_dual_mul_f32 v3, v13, v3
	v_add3_u32 v22, v22, v43, 0x7fff
	v_cmp_u_f32_e32 vcc_lo, v43, v43
	v_bfe_u32 v45, v44, 16, 1
	s_delay_alu instid0(VALU_DEP_4)
	v_and_b32_e32 v2, 0xffff0000, v2
	v_bfe_u32 v23, v3, 16, 1
	v_or_b32_e32 v43, 0x400000, v3
	s_wait_alu 0xfffd
	v_cndmask_b32_e32 v22, v22, v46, vcc_lo
	v_cmp_u_f32_e32 vcc_lo, v3, v3
	v_add3_u32 v45, v45, v44, 0x7fff
	v_add3_u32 v23, v23, v3, 0x7fff
	v_or_b32_e32 v46, 0x400000, v44
	v_and_b32_e32 v11, 0xffff0000, v11
	s_wait_alu 0xfffd
	s_delay_alu instid0(VALU_DEP_3)
	v_cndmask_b32_e32 v3, v23, v43, vcc_lo
	v_cmp_u_f32_e32 vcc_lo, v44, v44
	v_bfe_u32 v43, v4, 16, 1
	v_or_b32_e32 v44, 0x400000, v4
	s_wait_alu 0xfffd
	v_cndmask_b32_e32 v23, v45, v46, vcc_lo
	s_delay_alu instid0(VALU_DEP_3) | instskip(SKIP_2) | instid1(VALU_DEP_2)
	v_add3_u32 v43, v43, v4, 0x7fff
	v_cmp_u_f32_e32 vcc_lo, v4, v4
	s_wait_alu 0xfffd
	v_dual_cndmask_b32 v4, v43, v44 :: v_dual_and_b32 v1, 0xffff0000, v1
	s_delay_alu instid0(VALU_DEP_1) | instskip(SKIP_2) | instid1(VALU_DEP_1)
	v_add_f32_e32 v1, v1, v10
	v_and_b32_e32 v10, 0xffff0000, v22
	v_and_b32_e32 v3, 0xffff0000, v3
	v_dual_add_f32 v3, v3, v10 :: v_dual_and_b32 v4, 0xffff0000, v4
	s_wait_loadcnt 0x0
	v_lshlrev_b32_e32 v10, 16, v6
	v_and_b32_e32 v6, 0xffff0000, v6
	s_delay_alu instid0(VALU_DEP_2) | instskip(SKIP_2) | instid1(VALU_DEP_4)
	v_dual_mul_f32 v10, v19, v10 :: v_dual_lshlrev_b32 v45, 16, v5
	v_add_f32_e32 v2, v2, v11
	v_lshlrev_b32_e32 v19, 16, v7
	v_dual_mul_f32 v6, v20, v6 :: v_dual_and_b32 v7, 0xffff0000, v7
	s_delay_alu instid0(VALU_DEP_4) | instskip(NEXT) | instid1(VALU_DEP_4)
	v_mul_f32_e32 v11, v17, v45
	v_add_f32_e32 v1, v2, v1
	s_delay_alu instid0(VALU_DEP_3) | instskip(SKIP_1) | instid1(VALU_DEP_4)
	v_dual_mul_f32 v7, v14, v7 :: v_dual_lshlrev_b32 v14, 16, v8
	v_and_b32_e32 v5, 0xffff0000, v5
	v_bfe_u32 v2, v11, 16, 1
	v_and_b32_e32 v8, 0xffff0000, v8
	v_or_b32_e32 v17, 0x400000, v11
	s_delay_alu instid0(VALU_DEP_4) | instskip(NEXT) | instid1(VALU_DEP_4)
	v_dual_mul_f32 v14, v15, v14 :: v_dual_mul_f32 v5, v18, v5
	v_add3_u32 v2, v2, v11, 0x7fff
	v_cmp_u_f32_e32 vcc_lo, v11, v11
	v_mul_f32_e32 v8, v16, v8
	s_delay_alu instid0(VALU_DEP_4)
	v_bfe_u32 v18, v5, 16, 1
	s_wait_alu 0xfffd
	v_cndmask_b32_e32 v2, v2, v17, vcc_lo
	v_or_b32_e32 v17, 0x400000, v5
	v_cmp_u_f32_e32 vcc_lo, v5, v5
	v_add3_u32 v11, v18, v5, 0x7fff
	v_bfe_u32 v18, v10, 16, 1
	v_and_b32_e32 v2, 0xffff0000, v2
	v_or_b32_e32 v16, 0x400000, v7
	s_wait_alu 0xfffd
	v_cndmask_b32_e32 v5, v11, v17, vcc_lo
	v_add3_u32 v11, v18, v10, 0x7fff
	v_or_b32_e32 v17, 0x400000, v10
	v_bfe_u32 v18, v6, 16, 1
	v_cmp_u_f32_e32 vcc_lo, v10, v10
	v_and_b32_e32 v5, 0xffff0000, v5
	s_wait_alu 0xfffd
	v_cndmask_b32_e32 v10, v11, v17, vcc_lo
	v_add3_u32 v11, v18, v6, 0x7fff
	v_or_b32_e32 v17, 0x400000, v6
	v_cmp_u_f32_e32 vcc_lo, v6, v6
	v_mul_f32_e32 v13, v13, v19
	v_bfe_u32 v19, v8, 16, 1
	v_and_b32_e32 v10, 0xffff0000, v10
	v_add_f32_e32 v2, v2, v5
	s_wait_alu 0xfffd
	v_cndmask_b32_e32 v6, v11, v17, vcc_lo
	v_bfe_u32 v18, v13, 16, 1
	v_bfe_u32 v11, v7, 16, 1
	v_or_b32_e32 v15, 0x400000, v13
	v_cmp_u_f32_e32 vcc_lo, v13, v13
	v_and_b32_e32 v6, 0xffff0000, v6
	v_add3_u32 v17, v18, v13, 0x7fff
	v_add3_u32 v11, v11, v7, 0x7fff
	v_bfe_u32 v18, v14, 16, 1
	s_wait_alu 0xfffd
	s_delay_alu instid0(VALU_DEP_3)
	v_cndmask_b32_e32 v13, v17, v15, vcc_lo
	v_cmp_u_f32_e32 vcc_lo, v7, v7
	v_add3_u32 v15, v19, v8, 0x7fff
	v_or_b32_e32 v17, 0x400000, v14
	s_wait_alu 0xfffd
	v_cndmask_b32_e32 v7, v11, v16, vcc_lo
	v_or_b32_e32 v16, 0x400000, v8
	v_cmp_u_f32_e32 vcc_lo, v8, v8
	v_add3_u32 v11, v18, v14, 0x7fff
	s_delay_alu instid0(VALU_DEP_4)
	v_dual_add_f32 v5, v10, v6 :: v_dual_and_b32 v6, 0xffff0000, v7
	s_wait_alu 0xfffd
	v_cndmask_b32_e32 v8, v15, v16, vcc_lo
	v_cmp_u_f32_e32 vcc_lo, v14, v14
	s_wait_alu 0xfffd
	v_dual_cndmask_b32 v10, v11, v17 :: v_dual_and_b32 v11, 0xffff0000, v23
	v_dual_add_f32 v2, v5, v2 :: v_dual_and_b32 v7, 0xffff0000, v13
	s_delay_alu instid0(VALU_DEP_1) | instskip(SKIP_1) | instid1(VALU_DEP_4)
	v_dual_add_f32 v5, v7, v6 :: v_dual_and_b32 v6, 0xffff0000, v8
	v_dual_add_f32 v8, v12, v42 :: v_dual_add_f32 v1, v3, v1
	v_add_f32_e32 v3, v4, v11
	v_and_b32_e32 v7, 0xffff0000, v10
	s_delay_alu instid0(VALU_DEP_4) | instskip(NEXT) | instid1(VALU_DEP_2)
	v_dual_add_f32 v2, v5, v2 :: v_dual_add_f32 v5, v24, v21
	v_add_f32_e32 v4, v7, v6
	v_add_f32_e32 v6, v8, v9
	s_delay_alu instid0(VALU_DEP_2) | instskip(NEXT) | instid1(VALU_DEP_4)
	v_dual_add_f32 v1, v3, v1 :: v_dual_add_f32 v2, v4, v2
	v_add_f32_e32 v35, v35, v5
	s_delay_alu instid0(VALU_DEP_2) | instskip(NEXT) | instid1(VALU_DEP_3)
	v_dual_add_f32 v37, v37, v6 :: v_dual_add_f32 v36, v36, v1
	v_add_f32_e32 v34, v34, v2
.LBB171_37:                             ;   in Loop: Header=BB171_38 Depth=1
	s_wait_alu 0xfffe
	s_or_b32 exec_lo, exec_lo, s10
	v_add_nc_u32_e32 v30, 4, v30
	v_add_co_u32 v25, s0, v25, 16
	s_wait_alu 0xf1ff
	v_add_co_ci_u32_e64 v26, null, 0, v26, s0
	s_delay_alu instid0(VALU_DEP_3) | instskip(SKIP_3) | instid1(SALU_CYCLE_1)
	v_cmp_le_i32_e32 vcc_lo, s33, v30
	v_add_nc_u32_e32 v29, 0x80, v29
	v_add_nc_u32_e32 v41, 0x200, v41
	s_or_b32 s6, vcc_lo, s6
	s_and_not1_b32 exec_lo, exec_lo, s6
	s_cbranch_execz .LBB171_47
.LBB171_38:                             ; =>This Inner Loop Header: Depth=1
	v_sub_nc_u32_e32 v1, 0, v29
	s_delay_alu instid0(VALU_DEP_1) | instskip(NEXT) | instid1(VALU_DEP_1)
	v_max_i32_e32 v1, v29, v1
	v_mul_hi_u32 v2, v1, s18
	s_delay_alu instid0(VALU_DEP_1) | instskip(NEXT) | instid1(VALU_DEP_1)
	v_mul_lo_u32 v3, v2, s12
	v_sub_nc_u32_e32 v1, v1, v3
	v_add_nc_u32_e32 v3, 1, v2
	s_delay_alu instid0(VALU_DEP_2) | instskip(SKIP_2) | instid1(VALU_DEP_2)
	v_subrev_nc_u32_e32 v4, s12, v1
	v_cmp_le_u32_e32 vcc_lo, s12, v1
	s_wait_alu 0xfffd
	v_dual_cndmask_b32 v2, v2, v3 :: v_dual_cndmask_b32 v1, v1, v4
	v_ashrrev_i32_e32 v3, 31, v29
	s_delay_alu instid0(VALU_DEP_2) | instskip(NEXT) | instid1(VALU_DEP_3)
	v_add_nc_u32_e32 v4, 1, v2
	v_cmp_le_u32_e32 vcc_lo, s12, v1
	s_delay_alu instid0(VALU_DEP_3) | instskip(SKIP_1) | instid1(VALU_DEP_3)
	v_xor_b32_e32 v3, s19, v3
	s_wait_alu 0xfffd
	v_cndmask_b32_e32 v1, v2, v4, vcc_lo
	s_delay_alu instid0(VALU_DEP_1) | instskip(NEXT) | instid1(VALU_DEP_1)
	v_xor_b32_e32 v1, v1, v3
	v_sub_nc_u32_e32 v1, v1, v3
	s_delay_alu instid0(VALU_DEP_1) | instskip(SKIP_1) | instid1(VALU_DEP_2)
	v_add_nc_u32_e32 v2, s17, v1
	v_cmp_lt_i32_e64 s0, s3, v1
	v_sub_nc_u32_e32 v3, 0, v2
	s_delay_alu instid0(VALU_DEP_1) | instskip(SKIP_1) | instid1(VALU_DEP_1)
	v_max_i32_e32 v3, v2, v3
	s_wait_alu 0xfffe
	v_mul_hi_u32 v4, v3, s9
	s_delay_alu instid0(VALU_DEP_1) | instskip(NEXT) | instid1(VALU_DEP_1)
	v_mul_lo_u32 v4, v4, s2
	v_sub_nc_u32_e32 v3, v3, v4
	s_delay_alu instid0(VALU_DEP_1) | instskip(SKIP_2) | instid1(VALU_DEP_2)
	v_subrev_nc_u32_e32 v4, s2, v3
	v_cmp_le_u32_e32 vcc_lo, s2, v3
	s_wait_alu 0xfffd
	v_cndmask_b32_e32 v3, v3, v4, vcc_lo
	v_ashrrev_i32_e32 v2, 31, v2
	s_delay_alu instid0(VALU_DEP_2) | instskip(SKIP_2) | instid1(VALU_DEP_2)
	v_subrev_nc_u32_e32 v4, s2, v3
	v_cmp_le_u32_e32 vcc_lo, s2, v3
	s_wait_alu 0xfffd
	v_cndmask_b32_e32 v3, v3, v4, vcc_lo
	s_delay_alu instid0(VALU_DEP_1) | instskip(NEXT) | instid1(VALU_DEP_1)
	v_xor_b32_e32 v3, v3, v2
	v_sub_nc_u32_e32 v2, v3, v2
	s_delay_alu instid0(VALU_DEP_1)
	v_cmp_eq_u32_e32 vcc_lo, 0, v2
	s_or_b32 s0, vcc_lo, s0
	s_wait_alu 0xfffe
	s_and_saveexec_b32 s10, s0
	s_cbranch_execz .LBB171_37
; %bb.39:                               ;   in Loop: Header=BB171_38 Depth=1
	global_load_b32 v1, v[25:26], off
	v_add_nc_u32_e32 v49, v38, v29
	s_delay_alu instid0(VALU_DEP_1)
	v_add_nc_u32_e32 v47, 1, v49
	v_or_b32_e32 v46, 3, v49
	v_or_b32_e32 v48, 2, v49
	;; [unrolled: 1-line block ×6, first 2 shown]
	s_wait_loadcnt 0x0
	v_mad_co_i64_i32 v[1:2], null, v1, s4, 0
	s_delay_alu instid0(VALU_DEP_1) | instskip(NEXT) | instid1(VALU_DEP_1)
	v_lshlrev_b64_e32 v[1:2], 1, v[1:2]
	v_add_co_u32 v5, vcc_lo, v39, v1
	s_wait_alu 0xfffd
	s_delay_alu instid0(VALU_DEP_2)
	v_add_co_ci_u32_e64 v6, null, v40, v2, vcc_lo
	v_cmp_eq_u32_e32 vcc_lo, s5, v30
	global_load_b128 v[1:4], v[5:6], off
	ds_load_2addr_b64 v[17:20], v41 offset1:1
	ds_load_2addr_b64 v[13:16], v41 offset0:2 offset1:3
	s_and_saveexec_b32 s11, vcc_lo
	s_cbranch_execnz .LBB171_43
; %bb.40:                               ;   in Loop: Header=BB171_38 Depth=1
	s_wait_alu 0xfffe
	s_or_b32 exec_lo, exec_lo, s11
	global_load_b128 v[9:12], v[5:6], off offset:512
	s_and_saveexec_b32 s11, vcc_lo
	s_cbranch_execnz .LBB171_44
.LBB171_41:                             ;   in Loop: Header=BB171_38 Depth=1
	s_wait_alu 0xfffe
	s_or_b32 exec_lo, exec_lo, s11
	global_load_b128 v[21:24], v[5:6], off offset:1024
	s_and_saveexec_b32 s11, vcc_lo
	s_cbranch_execnz .LBB171_45
.LBB171_42:                             ;   in Loop: Header=BB171_38 Depth=1
	s_wait_alu 0xfffe
	s_or_b32 exec_lo, exec_lo, s11
	global_load_b128 v[5:8], v[5:6], off offset:1536
	s_and_saveexec_b32 s0, vcc_lo
	s_cbranch_execz .LBB171_36
	s_branch .LBB171_46
.LBB171_43:                             ;   in Loop: Header=BB171_38 Depth=1
	v_cmp_gt_i32_e64 s0, s31, v49
	s_wait_loadcnt 0x0
	v_lshrrev_b32_e32 v7, 16, v1
	v_lshrrev_b32_e32 v8, 16, v2
	;; [unrolled: 1-line block ×4, first 2 shown]
	s_wait_alu 0xf1ff
	v_cndmask_b32_e64 v1, 0, v1, s0
	v_cmp_gt_i32_e64 s0, s8, v47
	s_wait_alu 0xf1ff
	s_delay_alu instid0(VALU_DEP_1) | instskip(SKIP_1) | instid1(VALU_DEP_2)
	v_cndmask_b32_e64 v7, 0, v7, s0
	v_cmp_gt_i32_e64 s0, s31, v48
	v_perm_b32 v1, v7, v1, 0x5040100
	s_wait_alu 0xf1ff
	s_delay_alu instid0(VALU_DEP_2) | instskip(SKIP_2) | instid1(VALU_DEP_1)
	v_cndmask_b32_e64 v2, 0, v2, s0
	v_cmp_gt_i32_e64 s0, s8, v46
	s_wait_alu 0xf1ff
	v_cndmask_b32_e64 v8, 0, v8, s0
	v_cmp_gt_i32_e64 s0, s31, v45
	s_delay_alu instid0(VALU_DEP_2) | instskip(SKIP_1) | instid1(VALU_DEP_2)
	v_perm_b32 v2, v8, v2, 0x5040100
	s_wait_alu 0xf1ff
	v_cndmask_b32_e64 v3, 0, v3, s0
	v_cmp_gt_i32_e64 s0, s8, v43
	s_wait_alu 0xf1ff
	s_delay_alu instid0(VALU_DEP_1) | instskip(SKIP_1) | instid1(VALU_DEP_2)
	v_cndmask_b32_e64 v9, 0, v9, s0
	v_cmp_gt_i32_e64 s0, s31, v44
	v_perm_b32 v3, v9, v3, 0x5040100
	s_wait_alu 0xf1ff
	s_delay_alu instid0(VALU_DEP_2) | instskip(SKIP_2) | instid1(VALU_DEP_1)
	v_cndmask_b32_e64 v4, 0, v4, s0
	v_cmp_gt_i32_e64 s0, s8, v42
	s_wait_alu 0xf1ff
	v_cndmask_b32_e64 v10, 0, v10, s0
	s_delay_alu instid0(VALU_DEP_1)
	v_perm_b32 v4, v10, v4, 0x5040100
	s_wait_alu 0xfffe
	s_or_b32 exec_lo, exec_lo, s11
	global_load_b128 v[9:12], v[5:6], off offset:512
	s_and_saveexec_b32 s11, vcc_lo
	s_cbranch_execz .LBB171_41
.LBB171_44:                             ;   in Loop: Header=BB171_38 Depth=1
	v_cmp_gt_i32_e64 s0, s31, v49
	s_wait_loadcnt 0x0
	v_lshrrev_b32_e32 v7, 16, v9
	v_lshrrev_b32_e32 v22, 16, v12
	s_wait_alu 0xf1ff
	v_cndmask_b32_e64 v8, 0, v9, s0
	v_cmp_gt_i32_e64 s0, s8, v47
	v_lshrrev_b32_e32 v9, 16, v10
	s_wait_alu 0xf1ff
	s_delay_alu instid0(VALU_DEP_2) | instskip(SKIP_2) | instid1(VALU_DEP_1)
	v_cndmask_b32_e64 v7, 0, v7, s0
	v_cmp_gt_i32_e64 s0, s31, v48
	s_wait_alu 0xf1ff
	v_cndmask_b32_e64 v10, 0, v10, s0
	v_cmp_gt_i32_e64 s0, s8, v46
	s_wait_alu 0xf1ff
	s_delay_alu instid0(VALU_DEP_1) | instskip(SKIP_2) | instid1(VALU_DEP_3)
	v_cndmask_b32_e64 v21, 0, v9, s0
	v_cmp_gt_i32_e64 s0, s31, v45
	v_lshrrev_b32_e32 v9, 16, v11
	v_perm_b32 v10, v21, v10, 0x5040100
	s_wait_alu 0xf1ff
	s_delay_alu instid0(VALU_DEP_3) | instskip(SKIP_2) | instid1(VALU_DEP_1)
	v_cndmask_b32_e64 v11, 0, v11, s0
	v_cmp_gt_i32_e64 s0, s8, v43
	s_wait_alu 0xf1ff
	v_cndmask_b32_e64 v23, 0, v9, s0
	v_cmp_gt_i32_e64 s0, s31, v44
	v_perm_b32 v9, v7, v8, 0x5040100
	s_delay_alu instid0(VALU_DEP_3) | instskip(SKIP_1) | instid1(VALU_DEP_3)
	v_perm_b32 v11, v23, v11, 0x5040100
	s_wait_alu 0xf1ff
	v_cndmask_b32_e64 v12, 0, v12, s0
	v_cmp_gt_i32_e64 s0, s8, v42
	s_wait_alu 0xf1ff
	s_delay_alu instid0(VALU_DEP_1) | instskip(NEXT) | instid1(VALU_DEP_1)
	v_cndmask_b32_e64 v22, 0, v22, s0
	v_perm_b32 v12, v22, v12, 0x5040100
	s_wait_alu 0xfffe
	s_or_b32 exec_lo, exec_lo, s11
	global_load_b128 v[21:24], v[5:6], off offset:1024
	s_and_saveexec_b32 s11, vcc_lo
	s_cbranch_execz .LBB171_42
.LBB171_45:                             ;   in Loop: Header=BB171_38 Depth=1
	v_cmp_gt_i32_e64 s0, s31, v49
	s_wait_loadcnt 0x0
	v_lshrrev_b32_e32 v7, 16, v21
	v_lshrrev_b32_e32 v51, 16, v24
	s_wait_alu 0xf1ff
	v_cndmask_b32_e64 v8, 0, v21, s0
	v_cmp_gt_i32_e64 s0, s8, v47
	v_lshrrev_b32_e32 v21, 16, v22
	s_wait_alu 0xf1ff
	s_delay_alu instid0(VALU_DEP_2) | instskip(SKIP_2) | instid1(VALU_DEP_1)
	v_cndmask_b32_e64 v7, 0, v7, s0
	v_cmp_gt_i32_e64 s0, s31, v48
	s_wait_alu 0xf1ff
	v_cndmask_b32_e64 v22, 0, v22, s0
	v_cmp_gt_i32_e64 s0, s8, v46
	s_wait_alu 0xf1ff
	s_delay_alu instid0(VALU_DEP_1) | instskip(SKIP_2) | instid1(VALU_DEP_3)
	v_cndmask_b32_e64 v50, 0, v21, s0
	v_cmp_gt_i32_e64 s0, s31, v45
	v_lshrrev_b32_e32 v21, 16, v23
	v_perm_b32 v22, v50, v22, 0x5040100
	s_wait_alu 0xf1ff
	s_delay_alu instid0(VALU_DEP_3) | instskip(SKIP_2) | instid1(VALU_DEP_1)
	v_cndmask_b32_e64 v23, 0, v23, s0
	v_cmp_gt_i32_e64 s0, s8, v43
	s_wait_alu 0xf1ff
	v_cndmask_b32_e64 v52, 0, v21, s0
	v_cmp_gt_i32_e64 s0, s31, v44
	v_perm_b32 v21, v7, v8, 0x5040100
	s_delay_alu instid0(VALU_DEP_3) | instskip(SKIP_1) | instid1(VALU_DEP_3)
	v_perm_b32 v23, v52, v23, 0x5040100
	s_wait_alu 0xf1ff
	v_cndmask_b32_e64 v24, 0, v24, s0
	v_cmp_gt_i32_e64 s0, s8, v42
	s_wait_alu 0xf1ff
	s_delay_alu instid0(VALU_DEP_1) | instskip(NEXT) | instid1(VALU_DEP_1)
	v_cndmask_b32_e64 v51, 0, v51, s0
	v_perm_b32 v24, v51, v24, 0x5040100
	s_wait_alu 0xfffe
	s_or_b32 exec_lo, exec_lo, s11
	global_load_b128 v[5:8], v[5:6], off offset:1536
	s_and_saveexec_b32 s0, vcc_lo
	s_cbranch_execz .LBB171_36
.LBB171_46:                             ;   in Loop: Header=BB171_38 Depth=1
	v_cmp_gt_i32_e32 vcc_lo, s31, v49
	s_wait_loadcnt 0x0
	v_lshrrev_b32_e32 v50, 16, v5
	v_lshrrev_b32_e32 v49, 16, v6
	s_wait_alu 0xfffd
	v_cndmask_b32_e32 v5, 0, v5, vcc_lo
	v_cmp_gt_i32_e32 vcc_lo, s8, v47
	s_wait_alu 0xfffd
	v_cndmask_b32_e32 v47, 0, v50, vcc_lo
	v_cmp_gt_i32_e32 vcc_lo, s31, v48
	v_lshrrev_b32_e32 v48, 16, v7
	s_wait_alu 0xfffd
	v_cndmask_b32_e32 v6, 0, v6, vcc_lo
	v_cmp_gt_i32_e32 vcc_lo, s8, v46
	s_wait_alu 0xfffd
	v_cndmask_b32_e32 v46, 0, v49, vcc_lo
	v_cmp_gt_i32_e32 vcc_lo, s31, v45
	v_lshrrev_b32_e32 v45, 16, v8
	v_perm_b32 v5, v47, v5, 0x5040100
	s_delay_alu instid0(VALU_DEP_4)
	v_perm_b32 v6, v46, v6, 0x5040100
	s_wait_alu 0xfffd
	v_cndmask_b32_e32 v7, 0, v7, vcc_lo
	v_cmp_gt_i32_e32 vcc_lo, s8, v43
	s_wait_alu 0xfffd
	v_cndmask_b32_e32 v43, 0, v48, vcc_lo
	v_cmp_gt_i32_e32 vcc_lo, s31, v44
	;; [unrolled: 3-line block ×3, first 2 shown]
	s_wait_alu 0xfffd
	v_cndmask_b32_e32 v42, 0, v45, vcc_lo
	v_perm_b32 v7, v43, v7, 0x5040100
	s_delay_alu instid0(VALU_DEP_2)
	v_perm_b32 v8, v42, v8, 0x5040100
	s_branch .LBB171_36
.LBB171_47:
	s_or_b32 exec_lo, exec_lo, s6
.LBB171_48:
	s_wait_alu 0xfffe
	s_or_b32 exec_lo, exec_lo, s1
	ds_bpermute_b32 v1, v31, v36
	ds_bpermute_b32 v2, v31, v37
	;; [unrolled: 1-line block ×4, first 2 shown]
	v_lshrrev_b32_e32 v5, 2, v28
	s_mov_b32 s0, exec_lo
	s_wait_storecnt 0x0
	s_wait_loadcnt_dscnt 0x0
	s_barrier_signal -1
	s_barrier_wait -1
	global_inv scope:SCOPE_SE
	v_dual_add_f32 v1, v36, v1 :: v_dual_add_f32 v2, v37, v2
	v_dual_add_f32 v7, v35, v3 :: v_dual_add_f32 v8, v34, v4
	ds_bpermute_b32 v3, v32, v1
	ds_bpermute_b32 v9, v32, v2
	;; [unrolled: 1-line block ×4, first 2 shown]
	v_and_b32_e32 v4, 28, v28
	v_and_b32_e32 v12, 0x3c3, v0
	s_delay_alu instid0(VALU_DEP_2)
	v_add_nc_u32_e32 v6, 0x60, v4
	s_wait_dscnt 0x2
	v_dual_add_f32 v4, v1, v3 :: v_dual_add_f32 v3, v2, v9
	s_wait_dscnt 0x0
	v_dual_add_f32 v2, v7, v10 :: v_dual_add_f32 v1, v8, v11
	v_cmpx_eq_u32_e32 64, v12
	s_cbranch_execz .LBB171_50
; %bb.49:
	v_lshl_add_u32 v7, v27, 7, v6
	s_delay_alu instid0(VALU_DEP_1)
	v_add_nc_u32_e32 v8, 0xffffff00, v7
	v_add_nc_u32_e32 v9, 0xffffff20, v7
	;; [unrolled: 1-line block ×4, first 2 shown]
	ds_store_b32 v8, v4
	ds_store_b32 v9, v3
	;; [unrolled: 1-line block ×4, first 2 shown]
.LBB171_50:
	s_wait_alu 0xfffe
	s_or_b32 exec_lo, exec_lo, s0
	v_and_b32_e32 v7, 0x3e0, v0
	v_lshlrev_b32_e32 v5, 2, v5
	s_mov_b32 s1, exec_lo
	v_cmp_eq_u32_e32 vcc_lo, 0, v33
	s_wait_loadcnt_dscnt 0x0
	v_lshlrev_b32_e32 v7, 2, v7
	s_barrier_signal -1
	s_barrier_wait -1
	global_inv scope:SCOPE_SE
	v_add3_u32 v5, 0x60, v7, v5
	v_cmpx_gt_u32_e32 64, v0
	s_cbranch_execz .LBB171_57
; %bb.51:
	s_and_saveexec_b32 s0, vcc_lo
	s_cbranch_execnz .LBB171_69
; %bb.52:
	s_wait_alu 0xfffe
	s_or_b32 exec_lo, exec_lo, s0
	s_and_saveexec_b32 s0, vcc_lo
	s_cbranch_execnz .LBB171_70
.LBB171_53:
	s_wait_alu 0xfffe
	s_or_b32 exec_lo, exec_lo, s0
	s_and_saveexec_b32 s0, vcc_lo
	s_cbranch_execnz .LBB171_71
.LBB171_54:
	s_wait_alu 0xfffe
	s_or_b32 exec_lo, exec_lo, s0
	s_and_saveexec_b32 s0, vcc_lo
	s_cbranch_execz .LBB171_56
.LBB171_55:
	ds_load_b32 v7, v5 offset:96
	s_wait_dscnt 0x0
	v_add_f32_e32 v1, v1, v7
.LBB171_56:
	s_wait_alu 0xfffe
	s_or_b32 exec_lo, exec_lo, s0
.LBB171_57:
	s_wait_alu 0xfffe
	s_or_b32 exec_lo, exec_lo, s1
	v_and_b32_e32 v7, 0x3e3, v0
	s_mov_b32 s1, exec_lo
	s_wait_loadcnt 0x0
	s_barrier_signal -1
	s_barrier_wait -1
	global_inv scope:SCOPE_SE
	v_cmpx_eq_u32_e32 32, v7
	s_cbranch_execz .LBB171_59
; %bb.58:
	ds_store_2addr_b32 v6, v4, v3 offset1:8
	ds_store_2addr_b32 v6, v2, v1 offset0:16 offset1:24
.LBB171_59:
	s_wait_alu 0xfffe
	s_or_b32 exec_lo, exec_lo, s1
	s_delay_alu instid0(SALU_CYCLE_1)
	s_mov_b32 s1, exec_lo
	s_wait_loadcnt_dscnt 0x0
	s_barrier_signal -1
	s_barrier_wait -1
	global_inv scope:SCOPE_SE
	v_cmpx_gt_u32_e32 32, v0
	s_cbranch_execz .LBB171_66
; %bb.60:
	s_and_saveexec_b32 s0, vcc_lo
	s_cbranch_execnz .LBB171_72
; %bb.61:
	s_wait_alu 0xfffe
	s_or_b32 exec_lo, exec_lo, s0
	s_and_saveexec_b32 s0, vcc_lo
	s_cbranch_execnz .LBB171_73
.LBB171_62:
	s_wait_alu 0xfffe
	s_or_b32 exec_lo, exec_lo, s0
	s_and_saveexec_b32 s0, vcc_lo
	s_cbranch_execnz .LBB171_74
.LBB171_63:
	s_wait_alu 0xfffe
	s_or_b32 exec_lo, exec_lo, s0
	s_and_saveexec_b32 s0, vcc_lo
	s_cbranch_execz .LBB171_65
.LBB171_64:
	ds_load_b32 v5, v5 offset:96
	s_wait_dscnt 0x0
	v_add_f32_e32 v1, v1, v5
.LBB171_65:
	s_wait_alu 0xfffe
	s_or_b32 exec_lo, exec_lo, s0
.LBB171_66:
	s_wait_alu 0xfffe
	s_or_b32 exec_lo, exec_lo, s1
	s_mov_b32 s1, 0
	s_wait_loadcnt 0x0
	s_barrier_signal -1
	s_barrier_wait -1
	global_inv scope:SCOPE_SE
	s_mov_b32 s0, exec_lo
	v_cmpx_eq_u32_e32 0, v7
	s_cbranch_execz .LBB171_68
; %bb.67:
	v_bfe_u32 v5, v4, 16, 1
	v_or_b32_e32 v6, 0x400000, v4
	v_bfe_u32 v7, v3, 16, 1
	v_cmp_u_f32_e32 vcc_lo, v4, v4
	v_bfe_u32 v8, v2, 16, 1
	v_add3_u32 v5, v5, v4, 0x7fff
	s_lshl_b32 s2, s20, 5
	v_or_b32_e32 v9, 0x400000, v2
	s_mul_i32 s4, s7, s16
	v_add3_u32 v8, v8, v2, 0x7fff
	s_wait_alu 0xfffd
	v_cndmask_b32_e32 v4, v5, v6, vcc_lo
	v_add3_u32 v6, v7, v3, 0x7fff
	v_or_b32_e32 v7, 0x400000, v3
	v_cmp_u_f32_e32 vcc_lo, v3, v3
	v_bfe_u32 v5, v1, 16, 1
	s_wait_alu 0xfffe
	s_ashr_i32 s3, s2, 31
	s_ashr_i32 s5, s4, 31
	s_wait_alu 0xfffe
	s_lshl_b64 s[2:3], s[2:3], 1
	s_wait_alu 0xfffd
	v_cndmask_b32_e32 v3, v6, v7, vcc_lo
	v_cmp_u_f32_e32 vcc_lo, v2, v2
	v_add3_u32 v5, v5, v1, 0x7fff
	v_or_b32_e32 v10, 0x400000, v1
	s_lshl_b64 s[4:5], s[4:5], 1
	s_wait_kmcnt 0x0
	s_wait_alu 0xfffe
	s_add_nc_u64 s[2:3], s[14:15], s[2:3]
	s_wait_alu 0xfffd
	v_cndmask_b32_e32 v2, v8, v9, vcc_lo
	v_cmp_u_f32_e32 vcc_lo, v1, v1
	v_lshrrev_b32_e32 v0, 1, v0
	s_lshl_b32 s0, s30, 6
	s_wait_alu 0xfffe
	s_add_nc_u64 s[2:3], s[2:3], s[4:5]
	s_wait_alu 0xfffe
	s_add_nc_u64 s[0:1], s[2:3], s[0:1]
	s_wait_alu 0xfffd
	v_cndmask_b32_e32 v1, v5, v10, vcc_lo
	s_clause 0x3
	global_store_d16_hi_b16 v0, v4, s[0:1]
	global_store_d16_hi_b16 v0, v3, s[0:1] offset:16
	global_store_d16_hi_b16 v0, v2, s[0:1] offset:32
	global_store_d16_hi_b16 v0, v1, s[0:1] offset:48
.LBB171_68:
	s_endpgm
.LBB171_69:
	ds_load_b32 v7, v5
	s_wait_dscnt 0x0
	v_add_f32_e32 v4, v4, v7
	s_wait_alu 0xfffe
	s_or_b32 exec_lo, exec_lo, s0
	s_and_saveexec_b32 s0, vcc_lo
	s_cbranch_execz .LBB171_53
.LBB171_70:
	ds_load_b32 v7, v5 offset:32
	s_wait_dscnt 0x0
	v_add_f32_e32 v3, v3, v7
	s_wait_alu 0xfffe
	s_or_b32 exec_lo, exec_lo, s0
	s_and_saveexec_b32 s0, vcc_lo
	s_cbranch_execz .LBB171_54
.LBB171_71:
	ds_load_b32 v7, v5 offset:64
	s_wait_dscnt 0x0
	v_add_f32_e32 v2, v2, v7
	s_wait_alu 0xfffe
	s_or_b32 exec_lo, exec_lo, s0
	s_and_saveexec_b32 s0, vcc_lo
	s_cbranch_execnz .LBB171_55
	s_branch .LBB171_56
.LBB171_72:
	ds_load_b32 v6, v5
	s_wait_dscnt 0x0
	v_add_f32_e32 v4, v4, v6
	s_wait_alu 0xfffe
	s_or_b32 exec_lo, exec_lo, s0
	s_and_saveexec_b32 s0, vcc_lo
	s_cbranch_execz .LBB171_62
.LBB171_73:
	ds_load_b32 v6, v5 offset:32
	s_wait_dscnt 0x0
	v_add_f32_e32 v3, v3, v6
	s_wait_alu 0xfffe
	s_or_b32 exec_lo, exec_lo, s0
	s_and_saveexec_b32 s0, vcc_lo
	s_cbranch_execz .LBB171_63
.LBB171_74:
	ds_load_b32 v6, v5 offset:64
	s_wait_dscnt 0x0
	v_add_f32_e32 v2, v2, v6
	s_wait_alu 0xfffe
	s_or_b32 exec_lo, exec_lo, s0
	s_and_saveexec_b32 s0, vcc_lo
	s_cbranch_execnz .LBB171_64
	s_branch .LBB171_65
	.section	.rodata,"a",@progbits
	.p2align	6, 0x0
	.amdhsa_kernel _ZN4vllm25paged_attention_v2_kernelI14__hip_bfloat16S1_Li32ELi32ELi128ELNS_18Fp8KVCacheDataTypeE0ELb1ELi512EEEvPfS3_PT_PKS4_PKT0_SA_ifPKiSC_iPKfiiiSE_SE_iiiii
		.amdhsa_group_segment_fixed_size 96
		.amdhsa_private_segment_fixed_size 0
		.amdhsa_kernarg_size 400
		.amdhsa_user_sgpr_count 2
		.amdhsa_user_sgpr_dispatch_ptr 0
		.amdhsa_user_sgpr_queue_ptr 0
		.amdhsa_user_sgpr_kernarg_segment_ptr 1
		.amdhsa_user_sgpr_dispatch_id 0
		.amdhsa_user_sgpr_private_segment_size 0
		.amdhsa_wavefront_size32 1
		.amdhsa_uses_dynamic_stack 0
		.amdhsa_enable_private_segment 0
		.amdhsa_system_sgpr_workgroup_id_x 1
		.amdhsa_system_sgpr_workgroup_id_y 1
		.amdhsa_system_sgpr_workgroup_id_z 1
		.amdhsa_system_sgpr_workgroup_info 0
		.amdhsa_system_vgpr_workitem_id 0
		.amdhsa_next_free_vgpr 82
		.amdhsa_next_free_sgpr 42
		.amdhsa_reserve_vcc 1
		.amdhsa_float_round_mode_32 0
		.amdhsa_float_round_mode_16_64 0
		.amdhsa_float_denorm_mode_32 3
		.amdhsa_float_denorm_mode_16_64 3
		.amdhsa_fp16_overflow 0
		.amdhsa_workgroup_processor_mode 1
		.amdhsa_memory_ordered 1
		.amdhsa_forward_progress 1
		.amdhsa_inst_pref_size 71
		.amdhsa_round_robin_scheduling 0
		.amdhsa_exception_fp_ieee_invalid_op 0
		.amdhsa_exception_fp_denorm_src 0
		.amdhsa_exception_fp_ieee_div_zero 0
		.amdhsa_exception_fp_ieee_overflow 0
		.amdhsa_exception_fp_ieee_underflow 0
		.amdhsa_exception_fp_ieee_inexact 0
		.amdhsa_exception_int_div_zero 0
	.end_amdhsa_kernel
	.section	.text._ZN4vllm25paged_attention_v2_kernelI14__hip_bfloat16S1_Li32ELi32ELi128ELNS_18Fp8KVCacheDataTypeE0ELb1ELi512EEEvPfS3_PT_PKS4_PKT0_SA_ifPKiSC_iPKfiiiSE_SE_iiiii,"axG",@progbits,_ZN4vllm25paged_attention_v2_kernelI14__hip_bfloat16S1_Li32ELi32ELi128ELNS_18Fp8KVCacheDataTypeE0ELb1ELi512EEEvPfS3_PT_PKS4_PKT0_SA_ifPKiSC_iPKfiiiSE_SE_iiiii,comdat
.Lfunc_end171:
	.size	_ZN4vllm25paged_attention_v2_kernelI14__hip_bfloat16S1_Li32ELi32ELi128ELNS_18Fp8KVCacheDataTypeE0ELb1ELi512EEEvPfS3_PT_PKS4_PKT0_SA_ifPKiSC_iPKfiiiSE_SE_iiiii, .Lfunc_end171-_ZN4vllm25paged_attention_v2_kernelI14__hip_bfloat16S1_Li32ELi32ELi128ELNS_18Fp8KVCacheDataTypeE0ELb1ELi512EEEvPfS3_PT_PKS4_PKT0_SA_ifPKiSC_iPKfiiiSE_SE_iiiii
                                        ; -- End function
	.set _ZN4vllm25paged_attention_v2_kernelI14__hip_bfloat16S1_Li32ELi32ELi128ELNS_18Fp8KVCacheDataTypeE0ELb1ELi512EEEvPfS3_PT_PKS4_PKT0_SA_ifPKiSC_iPKfiiiSE_SE_iiiii.num_vgpr, 82
	.set _ZN4vllm25paged_attention_v2_kernelI14__hip_bfloat16S1_Li32ELi32ELi128ELNS_18Fp8KVCacheDataTypeE0ELb1ELi512EEEvPfS3_PT_PKS4_PKT0_SA_ifPKiSC_iPKfiiiSE_SE_iiiii.num_agpr, 0
	.set _ZN4vllm25paged_attention_v2_kernelI14__hip_bfloat16S1_Li32ELi32ELi128ELNS_18Fp8KVCacheDataTypeE0ELb1ELi512EEEvPfS3_PT_PKS4_PKT0_SA_ifPKiSC_iPKfiiiSE_SE_iiiii.numbered_sgpr, 42
	.set _ZN4vllm25paged_attention_v2_kernelI14__hip_bfloat16S1_Li32ELi32ELi128ELNS_18Fp8KVCacheDataTypeE0ELb1ELi512EEEvPfS3_PT_PKS4_PKT0_SA_ifPKiSC_iPKfiiiSE_SE_iiiii.num_named_barrier, 0
	.set _ZN4vllm25paged_attention_v2_kernelI14__hip_bfloat16S1_Li32ELi32ELi128ELNS_18Fp8KVCacheDataTypeE0ELb1ELi512EEEvPfS3_PT_PKS4_PKT0_SA_ifPKiSC_iPKfiiiSE_SE_iiiii.private_seg_size, 0
	.set _ZN4vllm25paged_attention_v2_kernelI14__hip_bfloat16S1_Li32ELi32ELi128ELNS_18Fp8KVCacheDataTypeE0ELb1ELi512EEEvPfS3_PT_PKS4_PKT0_SA_ifPKiSC_iPKfiiiSE_SE_iiiii.uses_vcc, 1
	.set _ZN4vllm25paged_attention_v2_kernelI14__hip_bfloat16S1_Li32ELi32ELi128ELNS_18Fp8KVCacheDataTypeE0ELb1ELi512EEEvPfS3_PT_PKS4_PKT0_SA_ifPKiSC_iPKfiiiSE_SE_iiiii.uses_flat_scratch, 0
	.set _ZN4vllm25paged_attention_v2_kernelI14__hip_bfloat16S1_Li32ELi32ELi128ELNS_18Fp8KVCacheDataTypeE0ELb1ELi512EEEvPfS3_PT_PKS4_PKT0_SA_ifPKiSC_iPKfiiiSE_SE_iiiii.has_dyn_sized_stack, 0
	.set _ZN4vllm25paged_attention_v2_kernelI14__hip_bfloat16S1_Li32ELi32ELi128ELNS_18Fp8KVCacheDataTypeE0ELb1ELi512EEEvPfS3_PT_PKS4_PKT0_SA_ifPKiSC_iPKfiiiSE_SE_iiiii.has_recursion, 0
	.set _ZN4vllm25paged_attention_v2_kernelI14__hip_bfloat16S1_Li32ELi32ELi128ELNS_18Fp8KVCacheDataTypeE0ELb1ELi512EEEvPfS3_PT_PKS4_PKT0_SA_ifPKiSC_iPKfiiiSE_SE_iiiii.has_indirect_call, 0
	.section	.AMDGPU.csdata,"",@progbits
; Kernel info:
; codeLenInByte = 8992
; TotalNumSgprs: 44
; NumVgprs: 82
; ScratchSize: 0
; MemoryBound: 0
; FloatMode: 240
; IeeeMode: 1
; LDSByteSize: 96 bytes/workgroup (compile time only)
; SGPRBlocks: 0
; VGPRBlocks: 10
; NumSGPRsForWavesPerEU: 44
; NumVGPRsForWavesPerEU: 82
; Occupancy: 16
; WaveLimiterHint : 1
; COMPUTE_PGM_RSRC2:SCRATCH_EN: 0
; COMPUTE_PGM_RSRC2:USER_SGPR: 2
; COMPUTE_PGM_RSRC2:TRAP_HANDLER: 0
; COMPUTE_PGM_RSRC2:TGID_X_EN: 1
; COMPUTE_PGM_RSRC2:TGID_Y_EN: 1
; COMPUTE_PGM_RSRC2:TGID_Z_EN: 1
; COMPUTE_PGM_RSRC2:TIDIG_COMP_CNT: 0
	.section	.text._ZN4vllm25paged_attention_v2_kernelI14__hip_bfloat16S1_Li64ELi32ELi128ELNS_18Fp8KVCacheDataTypeE0ELb1ELi512EEEvPfS3_PT_PKS4_PKT0_SA_ifPKiSC_iPKfiiiSE_SE_iiiii,"axG",@progbits,_ZN4vllm25paged_attention_v2_kernelI14__hip_bfloat16S1_Li64ELi32ELi128ELNS_18Fp8KVCacheDataTypeE0ELb1ELi512EEEvPfS3_PT_PKS4_PKT0_SA_ifPKiSC_iPKfiiiSE_SE_iiiii,comdat
	.protected	_ZN4vllm25paged_attention_v2_kernelI14__hip_bfloat16S1_Li64ELi32ELi128ELNS_18Fp8KVCacheDataTypeE0ELb1ELi512EEEvPfS3_PT_PKS4_PKT0_SA_ifPKiSC_iPKfiiiSE_SE_iiiii ; -- Begin function _ZN4vllm25paged_attention_v2_kernelI14__hip_bfloat16S1_Li64ELi32ELi128ELNS_18Fp8KVCacheDataTypeE0ELb1ELi512EEEvPfS3_PT_PKS4_PKT0_SA_ifPKiSC_iPKfiiiSE_SE_iiiii
	.globl	_ZN4vllm25paged_attention_v2_kernelI14__hip_bfloat16S1_Li64ELi32ELi128ELNS_18Fp8KVCacheDataTypeE0ELb1ELi512EEEvPfS3_PT_PKS4_PKT0_SA_ifPKiSC_iPKfiiiSE_SE_iiiii
	.p2align	8
	.type	_ZN4vllm25paged_attention_v2_kernelI14__hip_bfloat16S1_Li64ELi32ELi128ELNS_18Fp8KVCacheDataTypeE0ELb1ELi512EEEvPfS3_PT_PKS4_PKT0_SA_ifPKiSC_iPKfiiiSE_SE_iiiii,@function
_ZN4vllm25paged_attention_v2_kernelI14__hip_bfloat16S1_Li64ELi32ELi128ELNS_18Fp8KVCacheDataTypeE0ELb1ELi512EEEvPfS3_PT_PKS4_PKT0_SA_ifPKiSC_iPKfiiiSE_SE_iiiii: ; @_ZN4vllm25paged_attention_v2_kernelI14__hip_bfloat16S1_Li64ELi32ELi128ELNS_18Fp8KVCacheDataTypeE0ELb1ELi512EEEvPfS3_PT_PKS4_PKT0_SA_ifPKiSC_iPKfiiiSE_SE_iiiii
; %bb.0:
	s_load_b64 s[2:3], s[0:1], 0x40
	s_and_b32 s20, ttmp7, 0xffff
	s_lshr_b32 s30, ttmp7, 16
	s_lshl_b32 s4, s20, 2
	s_lshl_b32 s34, s30, 9
	s_wait_kmcnt 0x0
	s_load_b32 s31, s[2:3], s4 offset:0x0
	s_wait_kmcnt 0x0
	s_cmp_ge_i32 s34, s31
	s_cbranch_scc1 .LBB172_84
; %bb.1:
	s_clause 0x1
	s_load_b32 s21, s[0:1], 0x90
	s_load_b64 s[8:9], s[0:1], 0x30
	s_wait_kmcnt 0x0
	s_abs_i32 s5, s21
	s_abs_i32 s2, s8
	s_delay_alu instid0(SALU_CYCLE_1) | instskip(SKIP_1) | instid1(SALU_CYCLE_2)
	s_cvt_f32_u32 s3, s2
	s_sub_co_i32 s4, 0, s2
	v_rcp_iflag_f32_e32 v1, s3
	s_delay_alu instid0(TRANS32_DEP_1) | instskip(SKIP_2) | instid1(SALU_CYCLE_2)
	v_readfirstlane_b32 s3, v1
	s_mul_f32 s3, s3, 0x4f7ffffe
	s_wait_alu 0xfffe
	s_cvt_u32_f32 s3, s3
	s_wait_alu 0xfffe
	s_delay_alu instid0(SALU_CYCLE_2) | instskip(NEXT) | instid1(SALU_CYCLE_1)
	s_mul_i32 s4, s4, s3
	s_mul_hi_u32 s4, s3, s4
	s_delay_alu instid0(SALU_CYCLE_1)
	s_add_co_i32 s3, s3, s4
	s_xor_b32 s4, s21, s8
	s_wait_alu 0xfffe
	s_mul_hi_u32 s3, s5, s3
	s_ashr_i32 s4, s4, 31
	s_wait_alu 0xfffe
	s_mul_i32 s6, s3, s2
	s_delay_alu instid0(SALU_CYCLE_1)
	s_sub_co_i32 s5, s5, s6
	s_add_co_i32 s6, s3, 1
	s_sub_co_i32 s7, s5, s2
	s_cmp_ge_u32 s5, s2
	s_cselect_b32 s3, s6, s3
	s_cselect_b32 s5, s7, s5
	s_wait_alu 0xfffe
	s_add_co_i32 s6, s3, 1
	s_cmp_ge_u32 s5, s2
	s_cselect_b32 s2, s6, s3
	s_load_b64 s[6:7], s[0:1], 0x50
	s_xor_b32 s2, s2, s4
	s_mov_b32 s3, 0
	s_wait_alu 0xfffe
	s_sub_co_i32 s16, s2, s4
	s_mov_b32 s15, s3
	s_abs_i32 s18, s16
	s_delay_alu instid0(SALU_CYCLE_1) | instskip(SKIP_1) | instid1(SALU_CYCLE_2)
	s_cvt_f32_u32 s2, s18
	s_wait_alu 0xfffe
	v_rcp_iflag_f32_e32 v1, s2
	s_delay_alu instid0(TRANS32_DEP_1) | instskip(SKIP_2) | instid1(SALU_CYCLE_2)
	v_readfirstlane_b32 s2, v1
	s_mul_f32 s2, s2, 0x4f7ffffe
	s_wait_alu 0xfffe
	s_cvt_u32_f32 s4, s2
	s_sub_co_i32 s2, 0, s18
	s_wait_alu 0xfffe
	s_delay_alu instid0(SALU_CYCLE_1)
	s_mul_i32 s2, s2, s4
	s_wait_alu 0xfffe
	s_mul_hi_u32 s5, s4, s2
	s_abs_i32 s2, ttmp9
	s_add_co_i32 s4, s4, s5
	s_mov_b32 s5, s3
	s_wait_kmcnt 0x0
	s_cmp_eq_u64 s[6:7], 0
	s_cbranch_scc1 .LBB172_3
; %bb.2:
	s_mov_b32 s10, ttmp9
	s_ashr_i32 s11, ttmp9, 31
	s_delay_alu instid0(SALU_CYCLE_1) | instskip(NEXT) | instid1(SALU_CYCLE_1)
	s_lshl_b64 s[10:11], s[10:11], 2
	s_add_nc_u64 s[6:7], s[6:7], s[10:11]
	s_load_b32 s15, s[6:7], 0x0
.LBB172_3:
	s_load_b96 s[12:14], s[0:1], 0x58
	v_lshlrev_b32_e32 v3, 4, v0
	s_mul_u64 s[10:11], s[2:3], s[4:5]
	s_ashr_i32 s3, ttmp9, 31
	s_ashr_i32 s10, s16, 31
	s_lshl_b32 s16, ttmp9, 6
	s_mov_b32 s4, exec_lo
	v_cmpx_gt_u32_e32 8, v0
	s_cbranch_execz .LBB172_5
; %bb.4:
	s_load_b64 s[6:7], s[0:1], 0x18
	s_wait_kmcnt 0x0
	s_mul_i32 s22, s12, s20
	s_ashr_i32 s17, s16, 31
	s_ashr_i32 s23, s22, 31
	s_delay_alu instid0(SALU_CYCLE_1) | instskip(NEXT) | instid1(SALU_CYCLE_1)
	s_lshl_b64 s[22:23], s[22:23], 1
	s_add_nc_u64 s[6:7], s[6:7], s[22:23]
	s_lshl_b64 s[22:23], s[16:17], 1
	s_delay_alu instid0(SALU_CYCLE_1)
	s_add_nc_u64 s[6:7], s[6:7], s[22:23]
	global_load_b128 v[4:7], v3, s[6:7]
	s_wait_loadcnt 0x0
	ds_store_b128 v3, v[4:7]
.LBB172_5:
	s_or_b32 exec_lo, exec_lo, s4
	s_clause 0x1
	s_load_b128 s[4:7], s[0:1], 0x78
	s_load_b32 s22, s[0:1], 0x88
	s_wait_kmcnt 0x0
	s_mul_i32 s12, s11, s18
	s_xor_b32 s3, s3, s10
	s_sub_co_i32 s2, s2, s12
	s_add_co_i32 s10, s11, 1
	s_wait_alu 0xfffe
	s_sub_co_i32 s12, s2, s18
	s_cmp_ge_u32 s2, s18
	s_mov_b32 s24, -1
	s_cselect_b32 s10, s10, s11
	s_cselect_b32 s2, s12, s2
	s_add_co_i32 s11, s10, 1
	s_wait_alu 0xfffe
	s_cmp_ge_u32 s2, s18
	s_wait_dscnt 0x0
	s_cselect_b32 s2, s11, s10
	s_add_co_i32 s23, s31, -1
	s_wait_alu 0xfffe
	s_xor_b32 s2, s2, s3
	s_barrier_signal -1
	s_wait_alu 0xfffe
	s_sub_co_i32 s26, s2, s3
	s_barrier_wait -1
	s_abs_i32 s12, s7
	global_inv scope:SCOPE_SE
	s_cvt_f32_u32 s10, s12
                                        ; implicit-def: $sgpr17
	s_delay_alu instid0(SALU_CYCLE_3) | instskip(NEXT) | instid1(TRANS32_DEP_1)
	v_rcp_iflag_f32_e32 v1, s10
	v_readfirstlane_b32 s10, v1
	s_mul_f32 s2, s10, 0x4f7ffffe
	s_wait_alu 0xfffe
	s_delay_alu instid0(SALU_CYCLE_2) | instskip(SKIP_2) | instid1(SALU_CYCLE_1)
	s_cvt_u32_f32 s10, s2
	s_sub_co_i32 s2, 0, s12
	s_wait_alu 0xfffe
	s_mul_i32 s3, s2, s10
	s_abs_i32 s2, s23
	s_wait_alu 0xfffe
	s_mul_hi_u32 s11, s10, s3
	s_mov_b32 s3, 0
	s_wait_alu 0xfffe
	s_add_co_i32 s18, s10, s11
	s_cmp_lt_i32 s22, 0
	s_mov_b32 s19, s3
	s_cbranch_scc0 .LBB172_7
; %bb.6:
	s_mul_i32 s8, s4, s8
	s_mov_b32 s24, s3
	s_add_co_i32 s8, s26, s8
	s_delay_alu instid0(SALU_CYCLE_1) | instskip(NEXT) | instid1(SALU_CYCLE_1)
	s_mul_i32 s8, s8, s22
	s_sub_co_i32 s17, 1, s8
.LBB172_7:
	s_mul_u64 s[10:11], s[2:3], s[18:19]
	s_ashr_i32 s3, s23, 31
	s_and_not1_b32 vcc_lo, exec_lo, s24
	s_ashr_i32 s19, s7, 31
	s_cbranch_vccnz .LBB172_9
; %bb.8:
	s_mul_i32 s4, s21, s4
	s_delay_alu instid0(SALU_CYCLE_1) | instskip(NEXT) | instid1(SALU_CYCLE_1)
	s_add_co_i32 s4, s4, ttmp9
	s_mul_i32 s4, s4, s22
	s_delay_alu instid0(SALU_CYCLE_1)
	s_add_co_i32 s17, s4, 1
.LBB172_9:
	s_clause 0x2
	s_load_b32 s4, s[0:1], 0x48
	s_load_b64 s[22:23], s[0:1], 0x38
	s_load_b32 s7, s[0:1], 0x98
	s_mul_i32 s8, s11, s12
	s_xor_b32 s3, s3, s19
	s_sub_co_i32 s2, s2, s8
	s_add_co_i32 s10, s11, 1
	v_lshrrev_b32_e32 v43, 5, v0
	v_and_b32_e32 v44, 31, v0
	v_mov_b32_e32 v58, 0xff7fffff
	s_mul_i32 s26, s26, s14
	s_delay_alu instid0(VALU_DEP_3) | instskip(NEXT) | instid1(VALU_DEP_3)
	v_lshl_add_u32 v45, v43, 5, s34
	v_lshlrev_b32_e32 v5, 2, v44
	s_wait_kmcnt 0x0
	s_mul_i32 s24, s4, s20
	s_wait_alu 0xfffe
	s_sub_co_i32 s4, s2, s12
	s_ashr_i32 s25, s24, 31
	s_cmp_ge_u32 s2, s12
	s_cselect_b32 s8, s10, s11
	s_cselect_b32 s2, s4, s2
	s_add_co_i32 s4, s8, 1
	s_wait_alu 0xfffe
	s_cmp_ge_u32 s2, s12
	s_cselect_b32 s2, s4, s8
	s_add_co_i32 s4, s31, 31
	s_lshl_b32 s37, s30, 4
	s_ashr_i32 s8, s4, 31
	v_add_nc_u32_e32 v46, s37, v43
	s_lshr_b32 s8, s8, 27
	s_delay_alu instid0(SALU_CYCLE_1)
	s_add_co_i32 s4, s4, s8
	s_add_co_i32 s8, s37, 16
	s_ashr_i32 s35, s4, 5
	s_wait_alu 0xfffe
	s_xor_b32 s4, s2, s3
	s_min_i32 s33, s8, s35
	v_lshlrev_b32_e32 v4, 2, v46
	v_cmp_gt_i32_e64 s2, s33, v46
	s_sub_co_i32 s36, s4, s3
	s_and_saveexec_b32 s8, s2
	s_cbranch_execz .LBB172_17
; %bb.10:
	s_load_b64 s[28:29], s[0:1], 0x20
	s_ashr_i32 s27, s26, 31
	v_dual_mov_b32 v1, 0 :: v_dual_lshlrev_b32 v2, 4, v44
	s_sub_co_i32 s10, s36, s5
	s_lshl_b64 s[38:39], s[26:27], 1
	s_cmp_neq_f32 s15, 0
	ds_load_b128 v[52:55], v1
	ds_load_b128 v[56:59], v1 offset:16
	ds_load_b128 v[60:63], v1 offset:32
	;; [unrolled: 1-line block ×5, first 2 shown]
	s_cselect_b32 vcc_lo, -1, 0
	s_abs_i32 s14, s6
	ds_load_b128 v[76:79], v1 offset:96
	ds_load_b128 v[80:83], v1 offset:112
	s_sub_co_i32 s4, 0, s14
	s_mov_b32 s11, s13
	s_wait_kmcnt 0x0
	s_add_nc_u64 s[28:29], s[28:29], s[38:39]
	s_delay_alu instid0(SALU_CYCLE_1)
	v_add_co_u32 v6, s3, s28, v2
	s_wait_alu 0xf1ff
	v_add_co_ci_u32_e64 v7, null, s29, 0, s3
	s_cvt_f32_u32 s3, s14
	s_lshl_b64 s[28:29], s[24:25], 2
	s_wait_dscnt 0x3
	v_and_b32_e32 v16, 0xffff0000, v68
	v_lshlrev_b32_e32 v17, 16, v68
	s_wait_alu 0xfffe
	v_rcp_iflag_f32_e32 v1, s3
	v_and_b32_e32 v26, 0xffff0000, v61
	v_lshlrev_b32_e32 v27, 16, v61
	v_and_b32_e32 v38, 0xffff0000, v58
	v_lshlrev_b32_e32 v39, 16, v58
	;; [unrolled: 2-line block ×4, first 2 shown]
	s_wait_dscnt 0x1
	v_and_b32_e32 v67, 0xffff0000, v79
	v_readfirstlane_b32 s3, v1
	v_lshlrev_b32_e32 v68, 16, v79
	v_subrev_nc_u32_e32 v58, s31, v44
	v_lshl_or_b32 v79, v43, 7, v5
	s_add_nc_u64 s[28:29], s[22:23], s[28:29]
	s_mul_f32 s3, s3, 0x4f7ffffe
	s_wait_alu 0xfffe
	v_add_co_u32 v1, s27, s28, v4
	v_and_b32_e32 v8, 0xffff0000, v52
	s_cvt_u32_f32 s3, s3
	v_lshlrev_b32_e32 v9, 16, v52
	v_and_b32_e32 v10, 0xffff0000, v56
	v_lshlrev_b32_e32 v11, 16, v56
	s_wait_alu 0xfffe
	s_mul_i32 s4, s4, s3
	v_and_b32_e32 v12, 0xffff0000, v60
	v_lshlrev_b32_e32 v13, 16, v60
	v_and_b32_e32 v14, 0xffff0000, v64
	v_lshlrev_b32_e32 v15, 16, v64
	;; [unrolled: 2-line block ×20, first 2 shown]
	s_wait_dscnt 0x0
	v_and_b32_e32 v69, 0xffff0000, v80
	v_lshlrev_b32_e32 v70, 16, v80
	v_and_b32_e32 v71, 0xffff0000, v81
	v_lshlrev_b32_e32 v72, 16, v81
	;; [unrolled: 2-line block ×4, first 2 shown]
	v_add_co_ci_u32_e64 v2, null, s29, 0, s27
	v_lshl_add_u32 v77, v43, 5, s34
	v_add_nc_u32_e32 v78, 1, v58
	v_add_nc_u32_e32 v79, 0xa0, v79
	v_mov_b32_e32 v80, 0xff7fffff
	v_dual_mov_b32 v58, 0xff7fffff :: v_dual_mov_b32 v81, v46
	s_mul_hi_u32 s4, s3, s4
	s_mov_b32 s27, 0
	s_add_co_i32 s28, s3, s4
	s_branch .LBB172_12
.LBB172_11:                             ;   in Loop: Header=BB172_12 Depth=1
	s_wait_alu 0xfffe
	s_or_b32 exec_lo, exec_lo, s4
	v_add_nc_u32_e32 v81, 4, v81
	v_add_co_u32 v1, s4, v1, 16
	s_wait_alu 0xf1ff
	v_add_co_ci_u32_e64 v2, null, 0, v2, s4
	s_delay_alu instid0(VALU_DEP_3)
	v_cmp_le_i32_e64 s3, s33, v81
	v_add_nc_u32_e32 v77, 0x80, v77
	v_add_nc_u32_e32 v79, 0x200, v79
	s_or_b32 s27, s3, s27
	s_wait_alu 0xfffe
	s_and_not1_b32 exec_lo, exec_lo, s27
	s_cbranch_execz .LBB172_16
.LBB172_12:                             ; =>This Inner Loop Header: Depth=1
	v_sub_nc_u32_e32 v82, 0, v77
	s_delay_alu instid0(VALU_DEP_1) | instskip(NEXT) | instid1(VALU_DEP_1)
	v_max_i32_e32 v82, v77, v82
	v_mul_hi_u32 v83, v82, s18
	s_delay_alu instid0(VALU_DEP_1) | instskip(NEXT) | instid1(VALU_DEP_1)
	v_mul_lo_u32 v84, v83, s12
	v_sub_nc_u32_e32 v82, v82, v84
	v_add_nc_u32_e32 v84, 1, v83
	s_delay_alu instid0(VALU_DEP_2) | instskip(SKIP_2) | instid1(VALU_DEP_1)
	v_subrev_nc_u32_e32 v85, s12, v82
	v_cmp_le_u32_e64 s3, s12, v82
	s_wait_alu 0xf1ff
	v_cndmask_b32_e64 v83, v83, v84, s3
	s_delay_alu instid0(VALU_DEP_3) | instskip(SKIP_1) | instid1(VALU_DEP_3)
	v_cndmask_b32_e64 v82, v82, v85, s3
	v_ashrrev_i32_e32 v84, 31, v77
	v_add_nc_u32_e32 v85, 1, v83
	s_delay_alu instid0(VALU_DEP_3) | instskip(NEXT) | instid1(VALU_DEP_3)
	v_cmp_le_u32_e64 s3, s12, v82
	v_xor_b32_e32 v84, s19, v84
	s_wait_alu 0xf1ff
	s_delay_alu instid0(VALU_DEP_2) | instskip(NEXT) | instid1(VALU_DEP_1)
	v_cndmask_b32_e64 v82, v83, v85, s3
	v_xor_b32_e32 v82, v82, v84
	s_delay_alu instid0(VALU_DEP_1) | instskip(NEXT) | instid1(VALU_DEP_1)
	v_sub_nc_u32_e32 v82, v82, v84
	v_add_nc_u32_e32 v83, s17, v82
	v_cmp_ge_i32_e64 s4, s10, v82
	s_delay_alu instid0(VALU_DEP_2) | instskip(NEXT) | instid1(VALU_DEP_1)
	v_sub_nc_u32_e32 v84, 0, v83
	v_max_i32_e32 v84, v83, v84
	v_ashrrev_i32_e32 v83, 31, v83
	s_wait_alu 0xfffe
	s_delay_alu instid0(VALU_DEP_2) | instskip(NEXT) | instid1(VALU_DEP_1)
	v_mul_hi_u32 v85, v84, s28
	v_mul_lo_u32 v85, v85, s14
	s_delay_alu instid0(VALU_DEP_1) | instskip(NEXT) | instid1(VALU_DEP_1)
	v_sub_nc_u32_e32 v84, v84, v85
	v_subrev_nc_u32_e32 v85, s14, v84
	v_cmp_le_u32_e64 s3, s14, v84
	s_wait_alu 0xf1ff
	s_delay_alu instid0(VALU_DEP_1) | instskip(NEXT) | instid1(VALU_DEP_1)
	v_cndmask_b32_e64 v84, v84, v85, s3
	v_subrev_nc_u32_e32 v85, s14, v84
	v_cmp_le_u32_e64 s3, s14, v84
	s_wait_alu 0xf1ff
	s_delay_alu instid0(VALU_DEP_1) | instskip(NEXT) | instid1(VALU_DEP_1)
	v_cndmask_b32_e64 v84, v84, v85, s3
	v_xor_b32_e32 v84, v84, v83
	s_delay_alu instid0(VALU_DEP_1) | instskip(NEXT) | instid1(VALU_DEP_1)
	v_sub_nc_u32_e32 v83, v84, v83
	v_cmp_ne_u32_e64 s3, 0, v83
	s_and_b32 s3, s3, s4
	s_wait_alu 0xfffe
	s_and_saveexec_b32 s4, s3
	s_wait_alu 0xfffe
	s_xor_b32 s3, exec_lo, s4
; %bb.13:                               ;   in Loop: Header=BB172_12 Depth=1
	ds_store_b32 v79, v80
; %bb.14:                               ;   in Loop: Header=BB172_12 Depth=1
	s_wait_alu 0xfffe
	s_and_not1_saveexec_b32 s4, s3
	s_cbranch_execz .LBB172_11
; %bb.15:                               ;   in Loop: Header=BB172_12 Depth=1
	global_load_b32 v82, v[1:2], off
	s_wait_loadcnt 0x0
	v_mad_co_i64_i32 v[82:83], null, v82, s11, 0
	s_delay_alu instid0(VALU_DEP_1) | instskip(NEXT) | instid1(VALU_DEP_1)
	v_lshlrev_b64_e32 v[82:83], 1, v[82:83]
	v_add_co_u32 v110, s3, v6, v82
	s_wait_alu 0xf1ff
	s_delay_alu instid0(VALU_DEP_2)
	v_add_co_ci_u32_e64 v111, null, v7, v83, s3
	s_clause 0x7
	global_load_b128 v[82:85], v[110:111], off
	global_load_b128 v[86:89], v[110:111], off offset:512
	global_load_b128 v[90:93], v[110:111], off offset:1024
	;; [unrolled: 1-line block ×7, first 2 shown]
	s_wait_loadcnt 0x7
	v_lshlrev_b32_e32 v117, 16, v83
	s_wait_loadcnt 0x3
	v_and_b32_e32 v133, 0xffff0000, v100
	v_lshlrev_b32_e32 v128, 16, v95
	v_and_b32_e32 v122, 0xffff0000, v89
	v_lshlrev_b32_e32 v89, 16, v89
	v_and_b32_e32 v116, 0xffff0000, v86
	s_wait_loadcnt 0x1
	v_and_b32_e32 v140, 0xffff0000, v107
	v_lshlrev_b32_e32 v107, 16, v107
	s_wait_loadcnt 0x0
	v_dual_mul_f32 v89, v57, v89 :: v_dual_lshlrev_b32 v144, 16, v111
	v_dual_mul_f32 v116, v10, v116 :: v_dual_lshlrev_b32 v115, 16, v82
	v_and_b32_e32 v121, 0xffff0000, v88
	v_and_b32_e32 v82, 0xffff0000, v82
	v_lshlrev_b32_e32 v130, 16, v97
	v_and_b32_e32 v126, 0xffff0000, v93
	v_lshlrev_b32_e32 v129, 16, v96
	v_dual_mul_f32 v121, v38, v121 :: v_dual_and_b32 v120, 0xffff0000, v87
	v_dual_fmac_f32 v116, v8, v82 :: v_dual_lshlrev_b32 v87, 16, v87
	v_add_nc_u32_e32 v114, v78, v77
	v_and_b32_e32 v96, 0xffff0000, v96
	v_and_b32_e32 v124, 0xffff0000, v91
	s_delay_alu instid0(VALU_DEP_4) | instskip(SKIP_3) | instid1(VALU_DEP_4)
	v_dual_mul_f32 v87, v25, v87 :: v_dual_lshlrev_b32 v86, 16, v86
	v_lshlrev_b32_e32 v137, 16, v104
	v_and_b32_e32 v142, 0xffff0000, v109
	v_lshlrev_b32_e32 v109, 16, v109
	v_fmac_f32_e32 v87, v23, v117
	v_mul_f32_e32 v86, v11, v86
	v_lshlrev_b32_e32 v136, 16, v103
	s_delay_alu instid0(VALU_DEP_2) | instskip(SKIP_1) | instid1(VALU_DEP_1)
	v_dual_fmac_f32 v86, v9, v115 :: v_dual_and_b32 v125, 0xffff0000, v92
	v_lshlrev_b32_e32 v88, 16, v88
	v_dual_mul_f32 v88, v39, v88 :: v_dual_lshlrev_b32 v119, 16, v85
	s_delay_alu instid0(VALU_DEP_1) | instskip(NEXT) | instid1(VALU_DEP_1)
	v_dual_fmac_f32 v89, v55, v119 :: v_dual_lshlrev_b32 v118, 16, v84
	v_dual_fmac_f32 v88, v37, v118 :: v_dual_lshlrev_b32 v91, 16, v91
	s_delay_alu instid0(VALU_DEP_1) | instskip(NEXT) | instid1(VALU_DEP_1)
	v_dual_fmac_f32 v87, v27, v91 :: v_dual_and_b32 v84, 0xffff0000, v84
	v_fmac_f32_e32 v121, v36, v84
	s_delay_alu instid0(VALU_DEP_2) | instskip(SKIP_4) | instid1(VALU_DEP_4)
	v_fmac_f32_e32 v87, v29, v128
	v_dual_mul_f32 v122, v56, v122 :: v_dual_and_b32 v85, 0xffff0000, v85
	v_and_b32_e32 v123, 0xffff0000, v90
	v_dual_mul_f32 v120, v24, v120 :: v_dual_and_b32 v83, 0xffff0000, v83
	v_cvt_f32_i32_e32 v84, v114
	v_fmac_f32_e32 v122, v54, v85
	s_delay_alu instid0(VALU_DEP_4) | instskip(SKIP_2) | instid1(VALU_DEP_3)
	v_dual_fmac_f32 v116, v12, v123 :: v_dual_lshlrev_b32 v93, 16, v93
	v_lshlrev_b32_e32 v90, 16, v90
	v_dual_fmac_f32 v120, v22, v83 :: v_dual_lshlrev_b32 v83, 16, v113
	v_dual_fmac_f32 v89, v60, v93 :: v_dual_and_b32 v104, 0xffff0000, v104
	s_delay_alu instid0(VALU_DEP_3) | instskip(SKIP_2) | instid1(VALU_DEP_3)
	v_dual_fmac_f32 v86, v13, v90 :: v_dual_fmac_f32 v121, v40, v125
	v_lshlrev_b32_e32 v138, 16, v105
	v_and_b32_e32 v85, 0xffff0000, v113
	v_fmac_f32_e32 v121, v42, v96
	v_dual_fmac_f32 v120, v26, v124 :: v_dual_lshlrev_b32 v127, 16, v94
	v_and_b32_e32 v131, 0xffff0000, v98
	s_delay_alu instid0(VALU_DEP_3) | instskip(NEXT) | instid1(VALU_DEP_3)
	v_dual_fmac_f32 v121, v48, v133 :: v_dual_and_b32 v132, 0xffff0000, v99
	v_fmac_f32_e32 v86, v15, v127
	v_lshlrev_b32_e32 v99, 16, v99
	v_lshlrev_b32_e32 v92, 16, v92
	s_delay_alu instid0(VALU_DEP_4) | instskip(NEXT) | instid1(VALU_DEP_3)
	v_fmac_f32_e32 v121, v50, v104
	v_dual_fmac_f32 v87, v31, v99 :: v_dual_and_b32 v94, 0xffff0000, v94
	s_delay_alu instid0(VALU_DEP_3) | instskip(NEXT) | instid1(VALU_DEP_2)
	v_dual_fmac_f32 v88, v41, v92 :: v_dual_and_b32 v95, 0xffff0000, v95
	v_fmac_f32_e32 v87, v33, v136
	s_delay_alu instid0(VALU_DEP_3) | instskip(NEXT) | instid1(VALU_DEP_3)
	v_dual_fmac_f32 v116, v14, v94 :: v_dual_and_b32 v97, 0xffff0000, v97
	v_dual_fmac_f32 v120, v28, v95 :: v_dual_and_b32 v139, 0xffff0000, v106
	s_delay_alu instid0(VALU_DEP_3) | instskip(NEXT) | instid1(VALU_DEP_3)
	v_fmac_f32_e32 v87, v35, v107
	v_fmac_f32_e32 v116, v16, v131
	s_delay_alu instid0(VALU_DEP_3) | instskip(SKIP_1) | instid1(VALU_DEP_4)
	v_fmac_f32_e32 v120, v30, v132
	v_and_b32_e32 v141, 0xffff0000, v108
	v_fmac_f32_e32 v87, v72, v144
	v_fmac_f32_e32 v89, v62, v130
	v_dual_fmac_f32 v122, v59, v126 :: v_dual_and_b32 v103, 0xffff0000, v103
	v_dual_fmac_f32 v88, v47, v129 :: v_dual_lshlrev_b32 v135, 16, v102
	v_dual_fmac_f32 v121, v52, v141 :: v_dual_and_b32 v102, 0xffff0000, v102
	s_delay_alu instid0(VALU_DEP_3) | instskip(NEXT) | instid1(VALU_DEP_4)
	v_dual_fmac_f32 v122, v61, v97 :: v_dual_and_b32 v143, 0xffff0000, v110
	v_dual_fmac_f32 v120, v32, v103 :: v_dual_lshlrev_b32 v145, 16, v112
	v_and_b32_e32 v112, 0xffff0000, v112
	v_and_b32_e32 v134, 0xffff0000, v101
	v_lshlrev_b32_e32 v101, 16, v101
	v_lshlrev_b32_e32 v98, 16, v98
	v_fmac_f32_e32 v116, v18, v102
	v_lshlrev_b32_e32 v110, 16, v110
	s_delay_alu instid0(VALU_DEP_4) | instskip(SKIP_2) | instid1(VALU_DEP_3)
	v_dual_fmac_f32 v89, v64, v101 :: v_dual_lshlrev_b32 v108, 16, v108
	v_lshlrev_b32_e32 v100, 16, v100
	v_dual_fmac_f32 v86, v17, v98 :: v_dual_and_b32 v105, 0xffff0000, v105
	v_dual_fmac_f32 v116, v20, v139 :: v_dual_fmac_f32 v89, v66, v138
	s_delay_alu instid0(VALU_DEP_3) | instskip(NEXT) | instid1(VALU_DEP_3)
	v_fmac_f32_e32 v88, v49, v100
	v_fmac_f32_e32 v86, v19, v135
	;; [unrolled: 1-line block ×3, first 2 shown]
	s_delay_alu instid0(VALU_DEP_4) | instskip(NEXT) | instid1(VALU_DEP_4)
	v_dual_fmac_f32 v116, v69, v143 :: v_dual_fmac_f32 v89, v68, v109
	v_dual_fmac_f32 v88, v51, v137 :: v_dual_fmac_f32 v121, v73, v112
	s_delay_alu instid0(VALU_DEP_2) | instskip(SKIP_1) | instid1(VALU_DEP_3)
	v_dual_fmac_f32 v122, v63, v134 :: v_dual_fmac_f32 v89, v76, v83
	v_dual_mul_f32 v83, s15, v84 :: v_dual_lshlrev_b32 v106, 16, v106
	v_fmac_f32_e32 v88, v53, v108
	s_delay_alu instid0(VALU_DEP_3) | instskip(NEXT) | instid1(VALU_DEP_3)
	v_fmac_f32_e32 v122, v65, v105
	v_dual_max_num_f32 v84, v58, v58 :: v_dual_cndmask_b32 v83, 0, v83
	s_delay_alu instid0(VALU_DEP_4) | instskip(NEXT) | instid1(VALU_DEP_4)
	v_dual_fmac_f32 v86, v21, v106 :: v_dual_and_b32 v111, 0xffff0000, v111
	v_fmac_f32_e32 v88, v74, v145
	s_delay_alu instid0(VALU_DEP_4) | instskip(NEXT) | instid1(VALU_DEP_3)
	v_fmac_f32_e32 v122, v67, v142
	v_fmac_f32_e32 v86, v70, v110
	s_delay_alu instid0(VALU_DEP_4) | instskip(NEXT) | instid1(VALU_DEP_3)
	v_fmac_f32_e32 v120, v71, v111
	v_fmac_f32_e32 v122, v75, v85
	s_delay_alu instid0(VALU_DEP_3) | instskip(NEXT) | instid1(VALU_DEP_1)
	v_add_f32_e32 v82, v86, v116
	v_add_f32_e32 v82, v82, v87
	s_delay_alu instid0(VALU_DEP_1) | instskip(NEXT) | instid1(VALU_DEP_1)
	v_add_f32_e32 v82, v120, v82
	v_add_f32_e32 v82, v88, v82
	s_delay_alu instid0(VALU_DEP_1) | instskip(NEXT) | instid1(VALU_DEP_1)
	;; [unrolled: 3-line block ×3, first 2 shown]
	v_add_f32_e32 v82, v122, v82
	v_dual_fmac_f32 v83, s9, v82 :: v_dual_add_nc_u32 v82, v44, v77
	s_delay_alu instid0(VALU_DEP_1) | instskip(NEXT) | instid1(VALU_DEP_2)
	v_max_num_f32_e32 v84, v84, v83
	v_cmp_gt_i32_e64 s3, s31, v82
	s_wait_alu 0xf1ff
	s_delay_alu instid0(VALU_DEP_1) | instskip(NEXT) | instid1(VALU_DEP_3)
	v_cndmask_b32_e64 v82, 0, v83, s3
	v_cndmask_b32_e64 v58, v58, v84, s3
	ds_store_b32 v79, v82
	s_branch .LBB172_11
.LBB172_16:
	s_or_b32 exec_lo, exec_lo, s27
.LBB172_17:
	s_delay_alu instid0(SALU_CYCLE_1)
	s_or_b32 exec_lo, exec_lo, s8
	v_mbcnt_lo_u32_b32 v1, -1, 0
	v_max_num_f32_e32 v8, v58, v58
	s_clause 0x2
	s_load_b128 s[8:11], s[0:1], 0x0
	s_load_b64 s[14:15], s[0:1], 0x10
	s_load_b64 s[28:29], s[0:1], 0x28
	v_xor_b32_e32 v2, 16, v1
	v_xor_b32_e32 v7, 8, v1
	s_delay_alu instid0(VALU_DEP_2) | instskip(SKIP_2) | instid1(VALU_DEP_3)
	v_cmp_gt_i32_e32 vcc_lo, 32, v2
	s_wait_alu 0xfffd
	v_cndmask_b32_e32 v2, v1, v2, vcc_lo
	v_cmp_gt_i32_e32 vcc_lo, 32, v7
	s_wait_alu 0xfffd
	s_delay_alu instid0(VALU_DEP_2) | instskip(SKIP_3) | instid1(VALU_DEP_1)
	v_dual_cndmask_b32 v7, v1, v7 :: v_dual_lshlrev_b32 v2, 2, v2
	ds_bpermute_b32 v6, v2, v58
	s_wait_dscnt 0x0
	v_dual_max_num_f32 v9, v6, v6 :: v_dual_lshlrev_b32 v6, 2, v7
	v_max_num_f32_e32 v7, v8, v9
	v_xor_b32_e32 v9, 4, v1
	ds_bpermute_b32 v8, v6, v7
	v_cmp_gt_i32_e32 vcc_lo, 32, v9
	s_wait_dscnt 0x0
	s_wait_alu 0xfffd
	v_dual_cndmask_b32 v9, v1, v9 :: v_dual_max_num_f32 v10, v8, v8
	s_delay_alu instid0(VALU_DEP_1)
	v_dual_max_num_f32 v7, v7, v10 :: v_dual_lshlrev_b32 v8, 2, v9
	v_xor_b32_e32 v10, 2, v1
	ds_bpermute_b32 v9, v8, v7
	v_cmp_gt_i32_e32 vcc_lo, 32, v10
	s_wait_dscnt 0x0
	v_max_num_f32_e32 v9, v9, v9
	s_wait_alu 0xfffd
	s_delay_alu instid0(VALU_DEP_1) | instskip(NEXT) | instid1(VALU_DEP_1)
	v_dual_cndmask_b32 v10, v1, v10 :: v_dual_max_num_f32 v7, v7, v9
	v_lshlrev_b32_e32 v48, 2, v10
	v_xor_b32_e32 v10, 1, v1
	ds_bpermute_b32 v9, v48, v7
	v_cmp_gt_i32_e32 vcc_lo, 32, v10
	s_wait_dscnt 0x0
	v_max_num_f32_e32 v9, v9, v9
	s_wait_alu 0xfffd
	v_cndmask_b32_e32 v10, v1, v10, vcc_lo
	v_cmp_eq_u32_e32 vcc_lo, 0, v44
	s_delay_alu instid0(VALU_DEP_3) | instskip(NEXT) | instid1(VALU_DEP_3)
	v_max_num_f32_e32 v1, v7, v9
	v_lshlrev_b32_e32 v47, 2, v10
	v_lshlrev_b32_e32 v9, 2, v43
	ds_bpermute_b32 v7, v47, v1
	s_and_saveexec_b32 s0, vcc_lo
	s_cbranch_execz .LBB172_19
; %bb.18:
	s_wait_dscnt 0x0
	v_max_num_f32_e32 v7, v7, v7
	v_max_num_f32_e32 v1, v1, v1
	s_delay_alu instid0(VALU_DEP_1)
	v_max_num_f32_e32 v1, v1, v7
	ds_store_b32 v9, v1 offset:128
.LBB172_19:
	s_or_b32 exec_lo, exec_lo, s0
	v_cmp_gt_u32_e64 s0, 4, v44
	v_mov_b32_e32 v1, 0xff7fffff
	s_wait_loadcnt_dscnt 0x0
	s_barrier_signal -1
	s_barrier_wait -1
	global_inv scope:SCOPE_SE
	s_and_saveexec_b32 s1, s0
; %bb.20:
	ds_load_b32 v1, v5 offset:128
; %bb.21:
	s_or_b32 exec_lo, exec_lo, s1
	s_wait_dscnt 0x0
	ds_bpermute_b32 v7, v48, v1
	v_dual_max_num_f32 v1, v1, v1 :: v_dual_mov_b32 v10, 0
	s_sub_co_i32 s1, s33, s37
	s_delay_alu instid0(SALU_CYCLE_1) | instskip(NEXT) | instid1(SALU_CYCLE_1)
	s_lshl_b32 s1, s1, 5
	s_add_co_i32 s1, s1, s34
	s_delay_alu instid0(SALU_CYCLE_1) | instskip(NEXT) | instid1(SALU_CYCLE_1)
	s_min_i32 s1, s1, s31
	s_sub_co_i32 s4, s1, s34
	s_wait_alu 0xfffe
	v_cmp_gt_i32_e64 s1, s4, v0
	s_wait_dscnt 0x0
	v_max_num_f32_e32 v7, v7, v7
	s_delay_alu instid0(VALU_DEP_1) | instskip(SKIP_3) | instid1(VALU_DEP_1)
	v_max_num_f32_e32 v1, v1, v7
	ds_bpermute_b32 v7, v47, v1
	s_wait_dscnt 0x0
	v_max_num_f32_e32 v7, v7, v7
	v_max_num_f32_e32 v1, v1, v7
	v_lshl_add_u32 v7, v0, 2, 0xa0
	ds_bpermute_b32 v1, v10, v1
	s_and_saveexec_b32 s27, s1
	s_cbranch_execz .LBB172_25
; %bb.22:
	v_lshl_add_u32 v11, v0, 2, 0xa0
	v_mov_b32_e32 v10, 0
	v_mov_b32_e32 v12, v0
	s_mov_b32 s34, 0
.LBB172_23:                             ; =>This Inner Loop Header: Depth=1
	ds_load_b32 v13, v11
	v_add_nc_u32_e32 v12, 0x80, v12
	s_delay_alu instid0(VALU_DEP_1) | instskip(SKIP_4) | instid1(VALU_DEP_1)
	v_cmp_le_i32_e64 s3, s4, v12
	s_wait_alu 0xfffe
	s_or_b32 s34, s3, s34
	s_wait_dscnt 0x0
	v_sub_f32_e32 v13, v13, v1
	v_mul_f32_e32 v13, 0x3fb8aa3b, v13
	s_delay_alu instid0(VALU_DEP_1)
	v_exp_f32_e32 v13, v13
	ds_store_b32 v11, v13
	v_dual_add_f32 v10, v10, v13 :: v_dual_add_nc_u32 v11, 0x200, v11
	s_wait_alu 0xfffe
	s_and_not1_b32 exec_lo, exec_lo, s34
	s_cbranch_execnz .LBB172_23
; %bb.24:
	s_or_b32 exec_lo, exec_lo, s34
.LBB172_25:
	s_wait_alu 0xfffe
	s_or_b32 exec_lo, exec_lo, s27
	ds_bpermute_b32 v2, v2, v10
	s_wait_dscnt 0x0
	v_add_f32_e32 v2, v10, v2
	ds_bpermute_b32 v6, v6, v2
	s_wait_dscnt 0x0
	v_add_f32_e32 v2, v2, v6
	;; [unrolled: 3-line block ×5, first 2 shown]
	s_and_saveexec_b32 s3, vcc_lo
; %bb.26:
	ds_store_b32 v9, v2 offset:144
; %bb.27:
	s_wait_alu 0xfffe
	s_or_b32 exec_lo, exec_lo, s3
	s_wait_loadcnt_dscnt 0x0
	s_barrier_signal -1
	s_barrier_wait -1
	global_inv scope:SCOPE_SE
	s_and_saveexec_b32 s3, s0
; %bb.28:
	ds_load_b32 v2, v5 offset:144
; %bb.29:
	s_wait_alu 0xfffe
	s_or_b32 exec_lo, exec_lo, s3
	s_wait_dscnt 0x0
	ds_bpermute_b32 v5, v48, v2
	s_wait_dscnt 0x0
	v_add_f32_e32 v2, v2, v5
	ds_bpermute_b32 v5, v47, v2
	s_wait_dscnt 0x0
	v_dual_add_f32 v2, v2, v5 :: v_dual_mov_b32 v5, 0
	ds_bpermute_b32 v2, v5, v2
	s_and_saveexec_b32 s0, s1
	s_cbranch_execz .LBB172_32
; %bb.30:
	s_wait_dscnt 0x0
	v_add_f32_e32 v5, 0x358637bd, v2
	s_mov_b32 s1, 0
	s_delay_alu instid0(VALU_DEP_1) | instskip(NEXT) | instid1(VALU_DEP_1)
	v_div_scale_f32 v6, null, v5, v5, 1.0
	v_rcp_f32_e32 v8, v6
	s_delay_alu instid0(TRANS32_DEP_1) | instskip(NEXT) | instid1(VALU_DEP_1)
	v_fma_f32 v9, -v6, v8, 1.0
	v_fmac_f32_e32 v8, v9, v8
	v_div_scale_f32 v10, vcc_lo, 1.0, v5, 1.0
	s_delay_alu instid0(VALU_DEP_1) | instskip(NEXT) | instid1(VALU_DEP_1)
	v_mul_f32_e32 v9, v10, v8
	v_fma_f32 v11, -v6, v9, v10
	s_delay_alu instid0(VALU_DEP_1) | instskip(NEXT) | instid1(VALU_DEP_1)
	v_fmac_f32_e32 v9, v11, v8
	v_fma_f32 v6, -v6, v9, v10
	s_wait_alu 0xfffd
	s_delay_alu instid0(VALU_DEP_1) | instskip(NEXT) | instid1(VALU_DEP_1)
	v_div_fmas_f32 v6, v6, v8, v9
	v_div_fixup_f32 v5, v6, v5, 1.0
	v_mov_b32_e32 v6, v0
.LBB172_31:                             ; =>This Inner Loop Header: Depth=1
	ds_load_b32 v8, v7
	v_add_nc_u32_e32 v6, 0x80, v6
	s_delay_alu instid0(VALU_DEP_1)
	v_cmp_le_i32_e32 vcc_lo, s4, v6
	s_or_b32 s1, vcc_lo, s1
	s_wait_dscnt 0x0
	v_mul_f32_e32 v8, v5, v8
	ds_store_b32 v7, v8
	v_add_nc_u32_e32 v7, 0x200, v7
	s_and_not1_b32 exec_lo, exec_lo, s1
	s_cbranch_execnz .LBB172_31
.LBB172_32:
	s_or_b32 exec_lo, exec_lo, s0
	s_mul_i32 s0, s7, s20
	s_wait_loadcnt_dscnt 0x0
	s_mul_i32 s20, s0, s21
	s_mov_b32 s0, exec_lo
	s_barrier_signal -1
	s_barrier_wait -1
	global_inv scope:SCOPE_SE
	v_cmpx_eq_u32_e32 0, v0
	s_cbranch_execz .LBB172_34
; %bb.33:
	s_ashr_i32 s21, s20, 31
	s_mul_i32 s38, s7, ttmp9
	s_lshl_b32 s1, s30, 2
	s_lshl_b64 s[40:41], s[20:21], 2
	s_ashr_i32 s39, s38, 31
	v_mov_b32_e32 v5, s1
	s_wait_kmcnt 0x0
	s_add_nc_u64 s[10:11], s[10:11], s[40:41]
	s_lshl_b64 s[38:39], s[38:39], 2
	s_add_nc_u64 s[8:9], s[8:9], s[40:41]
	s_wait_alu 0xfffe
	s_add_nc_u64 s[10:11], s[10:11], s[38:39]
	s_add_nc_u64 s[8:9], s[8:9], s[38:39]
	s_clause 0x1
	global_store_b32 v5, v1, s[10:11]
	global_store_b32 v5, v2, s[8:9]
.LBB172_34:
	s_or_b32 exec_lo, exec_lo, s0
	v_dual_mov_b32 v56, 0 :: v_dual_and_b32 v49, 3, v0
	v_dual_mov_b32 v57, 0 :: v_dual_mov_b32 v54, 0
	v_dual_mov_b32 v55, 0 :: v_dual_mov_b32 v52, 0
	;; [unrolled: 1-line block ×3, first 2 shown]
	v_mov_b32_e32 v51, 0
	s_and_saveexec_b32 s1, s2
	s_cbranch_execz .LBB172_56
; %bb.35:
	s_abs_i32 s2, s6
	s_ashr_i32 s27, s26, 31
	s_wait_alu 0xfffe
	s_cvt_f32_u32 s0, s2
	v_dual_mov_b32 v50, 0 :: v_dual_and_b32 v3, 0x1f0, v3
	s_wait_kmcnt 0x0
	s_lshl_b64 s[8:9], s[24:25], 2
	s_wait_alu 0xfffe
	v_rcp_iflag_f32_e32 v1, s0
	s_lshl_b64 s[10:11], s[26:27], 1
	v_dual_mov_b32 v51, 0 :: v_dual_lshlrev_b32 v2, 3, v0
	s_add_nc_u64 s[8:9], s[22:23], s[8:9]
	s_wait_alu 0xfffe
	s_add_nc_u64 s[10:11], s[28:29], s[10:11]
	s_mov_b32 s4, s13
	s_sub_co_i32 s13, 0, s2
	s_wait_alu 0xfffe
	v_add_co_u32 v59, s10, s10, v3
	v_readfirstlane_b32 s0, v1
	v_dual_mov_b32 v52, 0 :: v_dual_lshlrev_b32 v1, 5, v49
	v_add_co_u32 v41, s8, s8, v4
	s_mul_f32 s0, s0, 0x4f7ffffe
	v_lshl_or_b32 v1, v43, 7, v1
	v_dual_mov_b32 v53, 0 :: v_dual_and_b32 v58, 24, v2
	s_wait_alu 0xfffe
	s_cvt_u32_f32 s0, s0
	v_add_co_ci_u32_e64 v60, null, s11, 0, s10
	v_add_co_ci_u32_e64 v42, null, s9, 0, s8
	s_wait_alu 0xfffe
	s_mul_i32 s13, s13, s0
	v_dual_mov_b32 v54, 0 :: v_dual_add_nc_u32 v61, 0xa0, v1
	v_dual_mov_b32 v55, 0 :: v_dual_mov_b32 v56, 0
	v_mov_b32_e32 v57, 0
	s_wait_alu 0xfffe
	s_mul_hi_u32 s9, s0, s13
	s_sub_co_i32 s3, s36, s5
	s_add_co_i32 s5, s35, -1
	s_mov_b32 s6, 0
	s_mov_b32 s8, s31
	s_wait_alu 0xfffe
	s_add_co_i32 s9, s0, s9
	s_branch .LBB172_38
.LBB172_36:                             ;   in Loop: Header=BB172_38 Depth=1
	s_wait_alu 0xfffe
	s_or_b32 exec_lo, exec_lo, s0
	s_wait_dscnt 0x1
	v_bfe_u32 v62, v29, 16, 1
	v_or_b32_e32 v63, 0x400000, v29
	v_bfe_u32 v64, v30, 16, 1
	v_cmp_u_f32_e32 vcc_lo, v29, v29
	v_bfe_u32 v65, v31, 16, 1
	v_add3_u32 v62, v62, v29, 0x7fff
	v_or_b32_e32 v66, 0x400000, v30
	v_add3_u32 v64, v64, v30, 0x7fff
	v_or_b32_e32 v67, 0x400000, v31
	v_add3_u32 v65, v65, v31, 0x7fff
	s_wait_alu 0xfffd
	v_cndmask_b32_e32 v29, v62, v63, vcc_lo
	v_cmp_u_f32_e32 vcc_lo, v30, v30
	v_bfe_u32 v62, v32, 16, 1
	s_wait_dscnt 0x0
	v_bfe_u32 v63, v25, 16, 1
	s_wait_alu 0xfffd
	v_cndmask_b32_e32 v30, v64, v66, vcc_lo
	v_cmp_u_f32_e32 vcc_lo, v31, v31
	v_add3_u32 v62, v62, v32, 0x7fff
	v_or_b32_e32 v64, 0x400000, v32
	v_add3_u32 v63, v63, v25, 0x7fff
	v_bfe_u32 v66, v26, 16, 1
	s_wait_alu 0xfffd
	v_cndmask_b32_e32 v31, v65, v67, vcc_lo
	v_cmp_u_f32_e32 vcc_lo, v32, v32
	v_or_b32_e32 v65, 0x400000, v25
	s_wait_alu 0xfffd
	v_dual_cndmask_b32 v32, v62, v64 :: v_dual_and_b32 v29, 0xffff0000, v29
	v_cmp_u_f32_e32 vcc_lo, v25, v25
	v_or_b32_e32 v64, 0x400000, v26
	s_wait_alu 0xfffd
	v_dual_cndmask_b32 v62, v63, v65 :: v_dual_and_b32 v25, 0xffff0000, v30
	v_add3_u32 v63, v66, v26, 0x7fff
	v_bfe_u32 v65, v27, 16, 1
	v_cmp_u_f32_e32 vcc_lo, v26, v26
	s_wait_loadcnt 0x1
	v_and_b32_e32 v30, 0xffff0000, v37
	s_delay_alu instid0(VALU_DEP_3)
	v_add3_u32 v26, v65, v27, 0x7fff
	s_wait_alu 0xfffd
	v_cndmask_b32_e32 v63, v63, v64, vcc_lo
	v_or_b32_e32 v64, 0x400000, v27
	v_bfe_u32 v65, v28, 16, 1
	v_mul_f32_e32 v30, v25, v30
	v_cmp_u_f32_e32 vcc_lo, v27, v27
	v_lshlrev_b32_e32 v37, 16, v37
	s_delay_alu instid0(VALU_DEP_4)
	v_add3_u32 v27, v65, v28, 0x7fff
	v_or_b32_e32 v65, 0x400000, v28
	s_wait_alu 0xfffd
	v_cndmask_b32_e32 v64, v26, v64, vcc_lo
	v_bfe_u32 v66, v30, 16, 1
	v_dual_mul_f32 v37, v29, v37 :: v_dual_and_b32 v26, 0xffff0000, v32
	v_cmp_u_f32_e32 vcc_lo, v28, v28
	s_wait_alu 0xfffd
	v_cndmask_b32_e32 v28, v27, v65, vcc_lo
	v_add3_u32 v27, v66, v30, 0x7fff
	v_bfe_u32 v66, v37, 16, 1
	v_or_b32_e32 v65, 0x400000, v30
	v_cmp_u_f32_e32 vcc_lo, v30, v30
	v_and_b32_e32 v31, 0xffff0000, v31
	s_delay_alu instid0(VALU_DEP_4) | instskip(SKIP_1) | instid1(VALU_DEP_1)
	v_add3_u32 v30, v66, v37, 0x7fff
	v_and_b32_e32 v32, 0xffff0000, v38
	v_dual_mul_f32 v67, v26, v32 :: v_dual_lshlrev_b32 v32, 16, v38
	s_wait_alu 0xfffd
	v_cndmask_b32_e32 v38, v27, v65, vcc_lo
	v_or_b32_e32 v65, 0x400000, v37
	v_cmp_u_f32_e32 vcc_lo, v37, v37
	v_bfe_u32 v66, v67, 16, 1
	v_dual_mul_f32 v68, v31, v32 :: v_dual_and_b32 v27, 0xffff0000, v63
	s_wait_alu 0xfffd
	v_dual_cndmask_b32 v37, v30, v65 :: v_dual_and_b32 v32, 0xffff0000, v39
	s_delay_alu instid0(VALU_DEP_3)
	v_add3_u32 v30, v66, v67, 0x7fff
	v_or_b32_e32 v63, 0x400000, v67
	v_bfe_u32 v65, v68, 16, 1
	v_cmp_u_f32_e32 vcc_lo, v67, v67
	v_dual_mul_f32 v66, v27, v32 :: v_dual_lshlrev_b32 v39, 16, v39
	v_and_b32_e32 v67, 0xffff0000, v40
	v_and_b32_e32 v38, 0xffff0000, v38
	;; [unrolled: 1-line block ×4, first 2 shown]
	s_wait_alu 0xfffd
	v_dual_cndmask_b32 v62, v30, v63 :: v_dual_and_b32 v37, 0xffff0000, v37
	v_add3_u32 v30, v65, v68, 0x7fff
	v_or_b32_e32 v63, 0x400000, v68
	v_cmp_u_f32_e32 vcc_lo, v68, v68
	s_delay_alu instid0(VALU_DEP_4) | instskip(SKIP_4) | instid1(VALU_DEP_3)
	v_and_b32_e32 v62, 0xffff0000, v62
	v_bfe_u32 v65, v66, 16, 1
	v_add_f32_e32 v37, v37, v38
	s_wait_alu 0xfffd
	v_dual_cndmask_b32 v63, v30, v63 :: v_dual_and_b32 v30, 0xffff0000, v64
	v_add3_u32 v65, v65, v66, 0x7fff
	v_or_b32_e32 v64, 0x400000, v66
	v_cmp_u_f32_e32 vcc_lo, v66, v66
	s_wait_alu 0xfffd
	s_delay_alu instid0(VALU_DEP_2) | instskip(NEXT) | instid1(VALU_DEP_1)
	v_dual_cndmask_b32 v64, v65, v64 :: v_dual_and_b32 v63, 0xffff0000, v63
	v_dual_add_f32 v38, v63, v62 :: v_dual_mul_f32 v67, v28, v67
	v_dual_mul_f32 v39, v32, v39 :: v_dual_lshlrev_b32 v40, 16, v40
	s_delay_alu instid0(VALU_DEP_2) | instskip(NEXT) | instid1(VALU_DEP_3)
	v_add_f32_e32 v37, v38, v37
	v_bfe_u32 v70, v67, 16, 1
	s_delay_alu instid0(VALU_DEP_3)
	v_bfe_u32 v68, v39, 16, 1
	v_or_b32_e32 v69, 0x400000, v39
	v_cmp_u_f32_e32 vcc_lo, v39, v39
	v_and_b32_e32 v62, 0xffff0000, v64
	v_add3_u32 v65, v70, v67, 0x7fff
	v_add3_u32 v68, v68, v39, 0x7fff
	s_wait_alu 0xfffd
	s_delay_alu instid0(VALU_DEP_1) | instskip(SKIP_1) | instid1(VALU_DEP_2)
	v_dual_cndmask_b32 v39, v68, v69 :: v_dual_mul_f32 v40, v30, v40
	v_or_b32_e32 v68, 0x400000, v67
	v_and_b32_e32 v39, 0xffff0000, v39
	s_delay_alu instid0(VALU_DEP_3) | instskip(SKIP_2) | instid1(VALU_DEP_4)
	v_bfe_u32 v66, v40, 16, 1
	v_or_b32_e32 v69, 0x400000, v40
	v_cmp_u_f32_e32 vcc_lo, v40, v40
	v_add_f32_e32 v38, v39, v62
	s_delay_alu instid0(VALU_DEP_4) | instskip(SKIP_2) | instid1(VALU_DEP_4)
	v_add3_u32 v66, v66, v40, 0x7fff
	v_and_b32_e32 v39, 0xffff0000, v33
	v_lshlrev_b32_e32 v33, 16, v33
	v_add_f32_e32 v37, v38, v37
	s_wait_alu 0xfffd
	v_cndmask_b32_e32 v40, v66, v69, vcc_lo
	v_cmp_u_f32_e32 vcc_lo, v67, v67
	v_mul_f32_e32 v33, v29, v33
	s_delay_alu instid0(VALU_DEP_3) | instskip(SKIP_2) | instid1(VALU_DEP_3)
	v_dual_mul_f32 v39, v25, v39 :: v_dual_and_b32 v40, 0xffff0000, v40
	s_wait_alu 0xfffd
	v_cndmask_b32_e32 v63, v65, v68, vcc_lo
	v_or_b32_e32 v64, 0x400000, v33
	s_delay_alu instid0(VALU_DEP_3) | instskip(NEXT) | instid1(VALU_DEP_3)
	v_cmp_u_f32_e32 vcc_lo, v39, v39
	v_and_b32_e32 v62, 0xffff0000, v63
	v_bfe_u32 v63, v33, 16, 1
	s_delay_alu instid0(VALU_DEP_1) | instskip(NEXT) | instid1(VALU_DEP_3)
	v_add3_u32 v63, v63, v33, 0x7fff
	v_add_f32_e32 v38, v40, v62
	v_and_b32_e32 v40, 0xffff0000, v34
	v_bfe_u32 v62, v39, 16, 1
	s_delay_alu instid0(VALU_DEP_3) | instskip(NEXT) | instid1(VALU_DEP_3)
	v_add_f32_e32 v37, v38, v37
	v_mul_f32_e32 v38, v26, v40
	s_delay_alu instid0(VALU_DEP_3) | instskip(SKIP_2) | instid1(VALU_DEP_1)
	v_add3_u32 v40, v62, v39, 0x7fff
	v_or_b32_e32 v62, 0x400000, v39
	s_wait_alu 0xfffd
	v_cndmask_b32_e32 v39, v40, v62, vcc_lo
	v_cmp_u_f32_e32 vcc_lo, v33, v33
	v_bfe_u32 v65, v38, 16, 1
	v_or_b32_e32 v62, 0x400000, v38
	s_delay_alu instid0(VALU_DEP_4)
	v_and_b32_e32 v39, 0xffff0000, v39
	s_wait_alu 0xfffd
	v_cndmask_b32_e32 v33, v63, v64, vcc_lo
	v_add3_u32 v40, v65, v38, 0x7fff
	v_and_b32_e32 v63, 0xffff0000, v35
	v_cmp_u_f32_e32 vcc_lo, v38, v38
	v_lshlrev_b32_e32 v35, 16, v35
	v_and_b32_e32 v33, 0xffff0000, v33
	v_lshlrev_b32_e32 v34, 16, v34
	s_wait_alu 0xfffd
	v_cndmask_b32_e32 v38, v40, v62, vcc_lo
	v_mul_f32_e32 v40, v27, v63
	s_delay_alu instid0(VALU_DEP_3) | instskip(NEXT) | instid1(VALU_DEP_3)
	v_dual_add_f32 v33, v33, v39 :: v_dual_mul_f32 v34, v31, v34
	v_dual_mul_f32 v35, v32, v35 :: v_dual_and_b32 v38, 0xffff0000, v38
	s_delay_alu instid0(VALU_DEP_3) | instskip(NEXT) | instid1(VALU_DEP_3)
	v_bfe_u32 v65, v40, 16, 1
	v_bfe_u32 v64, v34, 16, 1
	v_or_b32_e32 v63, 0x400000, v34
	v_cmp_u_f32_e32 vcc_lo, v34, v34
	v_bfe_u32 v66, v35, 16, 1
	s_delay_alu instid0(VALU_DEP_4) | instskip(SKIP_1) | instid1(VALU_DEP_1)
	v_add3_u32 v62, v64, v34, 0x7fff
	s_wait_alu 0xfffd
	v_cndmask_b32_e32 v34, v62, v63, vcc_lo
	v_add3_u32 v63, v65, v40, 0x7fff
	v_cmp_u_f32_e32 vcc_lo, v40, v40
	v_add3_u32 v65, v66, v35, 0x7fff
	v_or_b32_e32 v66, 0x400000, v35
	v_and_b32_e32 v34, 0xffff0000, v34
	s_delay_alu instid0(VALU_DEP_1) | instskip(SKIP_3) | instid1(VALU_DEP_3)
	v_add_f32_e32 v34, v34, v38
	v_and_b32_e32 v64, 0xffff0000, v36
	v_and_b32_e32 v38, 0xffff0000, v21
	v_lshlrev_b32_e32 v21, 16, v21
	v_dual_add_f32 v33, v34, v33 :: v_dual_mul_f32 v62, v28, v64
	v_or_b32_e32 v64, 0x400000, v40
	s_wait_alu 0xfffd
	s_delay_alu instid0(VALU_DEP_1) | instskip(SKIP_1) | instid1(VALU_DEP_2)
	v_dual_mul_f32 v21, v29, v21 :: v_dual_cndmask_b32 v40, v63, v64
	v_cmp_u_f32_e32 vcc_lo, v35, v35
	v_and_b32_e32 v39, 0xffff0000, v40
	s_wait_alu 0xfffd
	v_cndmask_b32_e32 v35, v65, v66, vcc_lo
	s_delay_alu instid0(VALU_DEP_1)
	v_and_b32_e32 v35, 0xffff0000, v35
	v_bfe_u32 v67, v62, 16, 1
	v_lshlrev_b32_e32 v36, 16, v36
	v_or_b32_e32 v64, 0x400000, v62
	v_cmp_u_f32_e32 vcc_lo, v62, v62
	v_add_f32_e32 v35, v35, v39
	v_add3_u32 v63, v67, v62, 0x7fff
	s_delay_alu instid0(VALU_DEP_2) | instskip(SKIP_1) | instid1(VALU_DEP_2)
	v_dual_mul_f32 v36, v30, v36 :: v_dual_add_f32 v33, v35, v33
	s_wait_alu 0xfffd
	v_cndmask_b32_e32 v62, v63, v64, vcc_lo
	s_delay_alu instid0(VALU_DEP_2)
	v_bfe_u32 v63, v36, 16, 1
	v_cmp_u_f32_e32 vcc_lo, v36, v36
	v_and_b32_e32 v64, 0xffff0000, v24
	v_and_b32_e32 v35, 0xffff0000, v22
	v_lshlrev_b32_e32 v24, 16, v24
	v_add3_u32 v40, v63, v36, 0x7fff
	v_or_b32_e32 v63, 0x400000, v36
	s_delay_alu instid0(VALU_DEP_4) | instskip(NEXT) | instid1(VALU_DEP_4)
	v_mul_f32_e32 v35, v26, v35
	v_mul_f32_e32 v24, v30, v24
	s_wait_alu 0xfffd
	s_delay_alu instid0(VALU_DEP_3)
	v_cndmask_b32_e32 v36, v40, v63, vcc_lo
	v_and_b32_e32 v63, 0xffff0000, v23
	v_lshlrev_b32_e32 v23, 16, v23
	v_bfe_u32 v40, v21, 16, 1
	v_lshlrev_b32_e32 v22, 16, v22
	v_bfe_u32 v67, v24, 16, 1
	v_dual_mul_f32 v63, v27, v63 :: v_dual_mul_f32 v34, v25, v38
	v_mul_f32_e32 v23, v32, v23
	s_delay_alu instid0(VALU_DEP_2) | instskip(SKIP_2) | instid1(VALU_DEP_4)
	v_bfe_u32 v38, v34, 16, 1
	v_or_b32_e32 v39, 0x400000, v34
	v_cmp_u_f32_e32 vcc_lo, v34, v34
	v_or_b32_e32 v65, 0x400000, v23
	v_mul_f32_e32 v22, v31, v22
	v_add3_u32 v38, v38, v34, 0x7fff
	s_wait_alu 0xfffd
	s_delay_alu instid0(VALU_DEP_1)
	v_cndmask_b32_e32 v34, v38, v39, vcc_lo
	v_add3_u32 v38, v40, v21, 0x7fff
	v_or_b32_e32 v39, 0x400000, v21
	v_bfe_u32 v40, v35, 16, 1
	v_cmp_u_f32_e32 vcc_lo, v21, v21
	s_wait_alu 0xfffd
	s_delay_alu instid0(VALU_DEP_3) | instskip(NEXT) | instid1(VALU_DEP_3)
	v_cndmask_b32_e32 v21, v38, v39, vcc_lo
	v_add3_u32 v38, v40, v35, 0x7fff
	v_or_b32_e32 v39, 0x400000, v35
	v_bfe_u32 v40, v22, 16, 1
	v_cmp_u_f32_e32 vcc_lo, v35, v35
	v_and_b32_e32 v36, 0xffff0000, v36
	v_and_b32_e32 v21, 0xffff0000, v21
	s_wait_alu 0xfffd
	v_cndmask_b32_e32 v35, v38, v39, vcc_lo
	v_add3_u32 v38, v40, v22, 0x7fff
	v_or_b32_e32 v39, 0x400000, v22
	v_bfe_u32 v40, v63, 16, 1
	v_cmp_u_f32_e32 vcc_lo, v22, v22
	s_wait_alu 0xfffd
	s_delay_alu instid0(VALU_DEP_3)
	v_cndmask_b32_e32 v22, v38, v39, vcc_lo
	v_bfe_u32 v38, v23, 16, 1
	v_add3_u32 v39, v40, v63, 0x7fff
	v_mul_f32_e32 v40, v28, v64
	v_or_b32_e32 v64, 0x400000, v63
	v_cmp_u_f32_e32 vcc_lo, v63, v63
	v_add3_u32 v38, v38, v23, 0x7fff
	v_add3_u32 v63, v67, v24, 0x7fff
	v_and_b32_e32 v22, 0xffff0000, v22
	v_bfe_u32 v66, v40, 16, 1
	s_wait_alu 0xfffd
	v_cndmask_b32_e32 v39, v39, v64, vcc_lo
	v_cmp_u_f32_e32 vcc_lo, v23, v23
	v_or_b32_e32 v64, 0x400000, v24
	s_wait_alu 0xfffd
	v_cndmask_b32_e32 v23, v38, v65, vcc_lo
	v_cmp_u_f32_e32 vcc_lo, v24, v24
	v_and_b32_e32 v35, 0xffff0000, v35
	v_add3_u32 v38, v66, v40, 0x7fff
	v_or_b32_e32 v65, 0x400000, v40
	s_wait_alu 0xfffd
	v_dual_cndmask_b32 v24, v63, v64 :: v_dual_and_b32 v23, 0xffff0000, v23
	v_add_f32_e32 v22, v22, v35
	v_and_b32_e32 v34, 0xffff0000, v34
	v_cmp_u_f32_e32 vcc_lo, v40, v40
	s_delay_alu instid0(VALU_DEP_2) | instskip(SKIP_2) | instid1(VALU_DEP_2)
	v_add_f32_e32 v21, v21, v34
	s_wait_alu 0xfffd
	v_cndmask_b32_e32 v35, v38, v65, vcc_lo
	v_dual_add_f32 v21, v22, v21 :: v_dual_and_b32 v38, 0xffff0000, v62
	v_and_b32_e32 v34, 0xffff0000, v39
	s_delay_alu instid0(VALU_DEP_1) | instskip(SKIP_3) | instid1(VALU_DEP_4)
	v_dual_add_f32 v22, v23, v34 :: v_dual_and_b32 v23, 0xffff0000, v24
	v_and_b32_e32 v34, 0xffff0000, v17
	v_and_b32_e32 v24, 0xffff0000, v35
	v_lshlrev_b32_e32 v17, 16, v17
	v_add_f32_e32 v21, v22, v21
	s_delay_alu instid0(VALU_DEP_3) | instskip(SKIP_1) | instid1(VALU_DEP_4)
	v_dual_add_f32 v35, v36, v38 :: v_dual_add_f32 v22, v23, v24
	v_mul_f32_e32 v23, v25, v34
	v_mul_f32_e32 v17, v29, v17
	s_delay_alu instid0(VALU_DEP_3) | instskip(NEXT) | instid1(VALU_DEP_4)
	v_dual_add_f32 v24, v35, v33 :: v_dual_and_b32 v33, 0xffff0000, v18
	v_dual_add_f32 v21, v22, v21 :: v_dual_lshlrev_b32 v18, 16, v18
	s_delay_alu instid0(VALU_DEP_4) | instskip(NEXT) | instid1(VALU_DEP_3)
	v_bfe_u32 v22, v23, 16, 1
	v_dual_add_f32 v51, v51, v37 :: v_dual_add_f32 v52, v52, v24
	v_bfe_u32 v24, v17, 16, 1
	s_delay_alu instid0(VALU_DEP_4) | instskip(NEXT) | instid1(VALU_DEP_4)
	v_dual_add_f32 v53, v53, v21 :: v_dual_mul_f32 v18, v31, v18
	v_add3_u32 v21, v22, v23, 0x7fff
	v_or_b32_e32 v22, 0x400000, v23
	v_mul_f32_e32 v33, v26, v33
	v_cmp_u_f32_e32 vcc_lo, v23, v23
	v_add3_u32 v24, v24, v17, 0x7fff
	v_or_b32_e32 v34, 0x400000, v17
	v_and_b32_e32 v35, 0xffff0000, v20
	s_wait_alu 0xfffd
	v_dual_cndmask_b32 v21, v21, v22 :: v_dual_lshlrev_b32 v20, 16, v20
	v_bfe_u32 v22, v33, 16, 1
	v_cmp_u_f32_e32 vcc_lo, v17, v17
	s_delay_alu instid0(VALU_DEP_3) | instskip(NEXT) | instid1(VALU_DEP_3)
	v_dual_mul_f32 v20, v30, v20 :: v_dual_and_b32 v21, 0xffff0000, v21
	v_add3_u32 v22, v22, v33, 0x7fff
	s_wait_alu 0xfffd
	v_cndmask_b32_e32 v17, v24, v34, vcc_lo
	v_or_b32_e32 v24, 0x400000, v33
	v_bfe_u32 v34, v18, 16, 1
	v_cmp_u_f32_e32 vcc_lo, v33, v33
	v_or_b32_e32 v33, 0x400000, v18
	s_wait_alu 0xfffd
	v_cndmask_b32_e32 v22, v22, v24, vcc_lo
	v_add3_u32 v24, v34, v18, 0x7fff
	v_cmp_u_f32_e32 vcc_lo, v18, v18
	v_and_b32_e32 v23, 0xffff0000, v19
	v_lshlrev_b32_e32 v19, 16, v19
	v_and_b32_e32 v22, 0xffff0000, v22
	s_wait_alu 0xfffd
	s_delay_alu instid0(VALU_DEP_3) | instskip(NEXT) | instid1(VALU_DEP_1)
	v_dual_cndmask_b32 v18, v24, v33 :: v_dual_mul_f32 v23, v27, v23
	v_dual_mul_f32 v19, v32, v19 :: v_dual_and_b32 v18, 0xffff0000, v18
	s_delay_alu instid0(VALU_DEP_2) | instskip(NEXT) | instid1(VALU_DEP_2)
	v_bfe_u32 v34, v23, 16, 1
	v_bfe_u32 v36, v19, 16, 1
	v_mul_f32_e32 v33, v28, v35
	v_cmp_u_f32_e32 vcc_lo, v23, v23
	v_add_f32_e32 v18, v18, v22
	v_add3_u32 v24, v34, v23, 0x7fff
	v_or_b32_e32 v34, 0x400000, v23
	v_add3_u32 v35, v36, v19, 0x7fff
	v_or_b32_e32 v36, 0x400000, v19
	v_bfe_u32 v37, v33, 16, 1
	s_wait_alu 0xfffd
	v_dual_cndmask_b32 v23, v24, v34 :: v_dual_and_b32 v22, 0xffff0000, v13
	v_cmp_u_f32_e32 vcc_lo, v19, v19
	v_or_b32_e32 v34, 0x400000, v33
	v_add3_u32 v24, v37, v33, 0x7fff
	v_and_b32_e32 v17, 0xffff0000, v17
	v_lshlrev_b32_e32 v13, 16, v13
	s_wait_alu 0xfffd
	v_cndmask_b32_e32 v19, v35, v36, vcc_lo
	v_bfe_u32 v35, v20, 16, 1
	v_cmp_u_f32_e32 vcc_lo, v33, v33
	s_delay_alu instid0(VALU_DEP_2)
	v_add3_u32 v33, v35, v20, 0x7fff
	s_wait_alu 0xfffd
	v_cndmask_b32_e32 v24, v24, v34, vcc_lo
	v_or_b32_e32 v34, 0x400000, v20
	v_cmp_u_f32_e32 vcc_lo, v20, v20
	s_wait_alu 0xfffd
	s_delay_alu instid0(VALU_DEP_2) | instskip(SKIP_4) | instid1(VALU_DEP_4)
	v_cndmask_b32_e32 v20, v33, v34, vcc_lo
	v_add_f32_e32 v17, v17, v21
	v_and_b32_e32 v21, 0xffff0000, v23
	v_and_b32_e32 v33, 0xffff0000, v16
	v_lshlrev_b32_e32 v16, 16, v16
	v_dual_add_f32 v17, v18, v17 :: v_dual_and_b32 v20, 0xffff0000, v20
	v_mul_f32_e32 v18, v25, v22
	v_and_b32_e32 v22, 0xffff0000, v24
	v_and_b32_e32 v24, 0xffff0000, v14
	v_lshlrev_b32_e32 v14, 16, v14
	v_and_b32_e32 v19, 0xffff0000, v19
	v_bfe_u32 v23, v18, 16, 1
	v_cmp_u_f32_e32 vcc_lo, v18, v18
	v_mul_f32_e32 v16, v30, v16
	v_mul_f32_e32 v14, v31, v14
	v_add_f32_e32 v19, v19, v21
	v_mul_f32_e32 v21, v29, v13
	s_delay_alu instid0(VALU_DEP_2) | instskip(NEXT) | instid1(VALU_DEP_2)
	v_add_f32_e32 v13, v19, v17
	v_bfe_u32 v19, v21, 16, 1
	v_add_f32_e32 v17, v20, v22
	v_add3_u32 v20, v23, v18, 0x7fff
	v_or_b32_e32 v22, 0x400000, v18
	v_mul_f32_e32 v23, v26, v24
	v_add3_u32 v19, v19, v21, 0x7fff
	v_or_b32_e32 v24, 0x400000, v21
	s_wait_alu 0xfffd
	v_cndmask_b32_e32 v18, v20, v22, vcc_lo
	v_bfe_u32 v20, v23, 16, 1
	v_cmp_u_f32_e32 vcc_lo, v21, v21
	v_or_b32_e32 v22, 0x400000, v23
	v_and_b32_e32 v21, 0xffff0000, v15
	v_and_b32_e32 v18, 0xffff0000, v18
	v_add3_u32 v20, v20, v23, 0x7fff
	s_wait_alu 0xfffd
	v_cndmask_b32_e32 v19, v19, v24, vcc_lo
	v_bfe_u32 v24, v14, 16, 1
	v_cmp_u_f32_e32 vcc_lo, v23, v23
	v_or_b32_e32 v23, 0x400000, v14
	v_mul_f32_e32 v21, v27, v21
	v_and_b32_e32 v19, 0xffff0000, v19
	s_wait_alu 0xfffd
	v_dual_cndmask_b32 v20, v20, v22 :: v_dual_lshlrev_b32 v15, 16, v15
	v_add3_u32 v22, v24, v14, 0x7fff
	v_cmp_u_f32_e32 vcc_lo, v14, v14
	v_bfe_u32 v24, v21, 16, 1
	v_add_f32_e32 v18, v19, v18
	v_and_b32_e32 v20, 0xffff0000, v20
	s_wait_alu 0xfffd
	v_cndmask_b32_e32 v14, v22, v23, vcc_lo
	v_add3_u32 v22, v24, v21, 0x7fff
	v_or_b32_e32 v24, 0x400000, v21
	v_cmp_u_f32_e32 vcc_lo, v21, v21
	s_delay_alu instid0(VALU_DEP_4) | instskip(SKIP_1) | instid1(VALU_DEP_3)
	v_dual_mul_f32 v15, v32, v15 :: v_dual_and_b32 v14, 0xffff0000, v14
	s_wait_alu 0xfffd
	v_cndmask_b32_e32 v21, v22, v24, vcc_lo
	s_delay_alu instid0(VALU_DEP_2) | instskip(NEXT) | instid1(VALU_DEP_3)
	v_add_f32_e32 v14, v14, v20
	v_bfe_u32 v34, v15, 16, 1
	v_and_b32_e32 v20, 0xffff0000, v5
	v_cmp_u_f32_e32 vcc_lo, v15, v15
	s_delay_alu instid0(VALU_DEP_4) | instskip(NEXT) | instid1(VALU_DEP_3)
	v_dual_add_f32 v14, v14, v18 :: v_dual_mul_f32 v23, v28, v33
	v_mul_f32_e32 v18, v25, v20
	v_add3_u32 v33, v34, v15, 0x7fff
	v_or_b32_e32 v34, 0x400000, v15
	v_and_b32_e32 v20, 0xffff0000, v6
	v_bfe_u32 v35, v23, 16, 1
	v_or_b32_e32 v24, 0x400000, v23
	v_lshlrev_b32_e32 v6, 16, v6
	s_wait_alu 0xfffd
	v_cndmask_b32_e32 v15, v33, v34, vcc_lo
	v_bfe_u32 v33, v16, 16, 1
	v_add3_u32 v22, v35, v23, 0x7fff
	v_cmp_u_f32_e32 vcc_lo, v23, v23
	v_dual_mul_f32 v6, v31, v6 :: v_dual_and_b32 v19, 0xffff0000, v21
	s_delay_alu instid0(VALU_DEP_4)
	v_add3_u32 v23, v33, v16, 0x7fff
	v_bfe_u32 v21, v18, 16, 1
	s_wait_alu 0xfffd
	v_cndmask_b32_e32 v22, v22, v24, vcc_lo
	v_or_b32_e32 v24, 0x400000, v16
	v_cmp_u_f32_e32 vcc_lo, v16, v16
	s_wait_alu 0xfffd
	s_delay_alu instid0(VALU_DEP_2) | instskip(SKIP_2) | instid1(VALU_DEP_1)
	v_cndmask_b32_e32 v16, v23, v24, vcc_lo
	v_cmp_u_f32_e32 vcc_lo, v18, v18
	v_and_b32_e32 v15, 0xffff0000, v15
	v_dual_add_f32 v15, v15, v19 :: v_dual_and_b32 v16, 0xffff0000, v16
	v_and_b32_e32 v19, 0xffff0000, v22
	s_delay_alu instid0(VALU_DEP_2) | instskip(NEXT) | instid1(VALU_DEP_1)
	v_dual_add_f32 v14, v15, v14 :: v_dual_lshlrev_b32 v5, 16, v5
	v_dual_add_f32 v16, v16, v19 :: v_dual_mul_f32 v5, v29, v5
	v_mul_f32_e32 v19, v26, v20
	v_add3_u32 v20, v21, v18, 0x7fff
	v_or_b32_e32 v21, 0x400000, v18
	s_delay_alu instid0(VALU_DEP_4)
	v_bfe_u32 v15, v5, 16, 1
	v_or_b32_e32 v22, 0x400000, v5
	v_bfe_u32 v23, v19, 16, 1
	s_wait_alu 0xfffd
	v_cndmask_b32_e32 v18, v20, v21, vcc_lo
	v_cmp_u_f32_e32 vcc_lo, v5, v5
	v_add3_u32 v15, v15, v5, 0x7fff
	v_or_b32_e32 v20, 0x400000, v19
	s_delay_alu instid0(VALU_DEP_4) | instskip(SKIP_1) | instid1(VALU_DEP_3)
	v_and_b32_e32 v18, 0xffff0000, v18
	s_wait_alu 0xfffd
	v_cndmask_b32_e32 v5, v15, v22, vcc_lo
	v_add3_u32 v15, v23, v19, 0x7fff
	v_bfe_u32 v22, v6, 16, 1
	v_cmp_u_f32_e32 vcc_lo, v19, v19
	s_wait_alu 0xfffd
	s_delay_alu instid0(VALU_DEP_3) | instskip(NEXT) | instid1(VALU_DEP_3)
	v_cndmask_b32_e32 v15, v15, v20, vcc_lo
	v_add3_u32 v20, v22, v6, 0x7fff
	v_and_b32_e32 v22, 0xffff0000, v8
	v_lshlrev_b32_e32 v8, 16, v8
	v_and_b32_e32 v21, 0xffff0000, v7
	v_cmp_u_f32_e32 vcc_lo, v6, v6
	s_delay_alu instid0(VALU_DEP_3) | instskip(NEXT) | instid1(VALU_DEP_3)
	v_dual_mul_f32 v8, v30, v8 :: v_dual_and_b32 v15, 0xffff0000, v15
	v_mul_f32_e32 v19, v27, v21
	v_or_b32_e32 v21, 0x400000, v6
	s_delay_alu instid0(VALU_DEP_2) | instskip(SKIP_1) | instid1(VALU_DEP_2)
	v_bfe_u32 v23, v19, 16, 1
	s_wait_alu 0xfffd
	v_cndmask_b32_e32 v6, v20, v21, vcc_lo
	v_mul_f32_e32 v20, v28, v22
	v_or_b32_e32 v22, 0x400000, v19
	v_cmp_u_f32_e32 vcc_lo, v19, v19
	v_add3_u32 v21, v23, v19, 0x7fff
	v_and_b32_e32 v6, 0xffff0000, v6
	v_bfe_u32 v33, v20, 16, 1
	s_wait_alu 0xfffd
	s_delay_alu instid0(VALU_DEP_2) | instskip(NEXT) | instid1(VALU_DEP_2)
	v_dual_cndmask_b32 v19, v21, v22 :: v_dual_add_f32 v6, v6, v15
	v_add3_u32 v21, v33, v20, 0x7fff
	v_or_b32_e32 v22, 0x400000, v20
	v_lshlrev_b32_e32 v7, 16, v7
	v_and_b32_e32 v15, 0xffff0000, v1
	v_and_b32_e32 v5, 0xffff0000, v5
	v_lshlrev_b32_e32 v1, 16, v1
	s_delay_alu instid0(VALU_DEP_4) | instskip(NEXT) | instid1(VALU_DEP_3)
	v_mul_f32_e32 v7, v32, v7
	v_dual_add_f32 v5, v5, v18 :: v_dual_and_b32 v18, 0xffff0000, v19
	s_delay_alu instid0(VALU_DEP_3) | instskip(NEXT) | instid1(VALU_DEP_3)
	v_mul_f32_e32 v1, v29, v1
	v_bfe_u32 v24, v7, 16, 1
	v_cmp_u_f32_e32 vcc_lo, v7, v7
	s_delay_alu instid0(VALU_DEP_2) | instskip(SKIP_2) | instid1(VALU_DEP_1)
	v_add3_u32 v23, v24, v7, 0x7fff
	v_or_b32_e32 v24, 0x400000, v7
	s_wait_alu 0xfffd
	v_cndmask_b32_e32 v7, v23, v24, vcc_lo
	v_cmp_u_f32_e32 vcc_lo, v20, v20
	s_wait_alu 0xfffd
	v_cndmask_b32_e32 v20, v21, v22, vcc_lo
	v_bfe_u32 v21, v8, 16, 1
	v_cmp_u_f32_e32 vcc_lo, v8, v8
	s_delay_alu instid0(VALU_DEP_2) | instskip(SKIP_2) | instid1(VALU_DEP_1)
	v_add3_u32 v19, v21, v8, 0x7fff
	v_or_b32_e32 v21, 0x400000, v8
	s_wait_alu 0xfffd
	v_dual_cndmask_b32 v8, v19, v21 :: v_dual_and_b32 v19, 0xffff0000, v20
	v_bfe_u32 v20, v1, 16, 1
	v_or_b32_e32 v21, 0x400000, v1
	s_delay_alu instid0(VALU_DEP_3) | instskip(SKIP_1) | instid1(VALU_DEP_1)
	v_dual_add_f32 v5, v6, v5 :: v_dual_and_b32 v8, 0xffff0000, v8
	v_mul_f32_e32 v6, v25, v15
	v_bfe_u32 v15, v6, 16, 1
	v_cmp_u_f32_e32 vcc_lo, v6, v6
	s_delay_alu instid0(VALU_DEP_2) | instskip(SKIP_1) | instid1(VALU_DEP_1)
	v_add3_u32 v15, v15, v6, 0x7fff
	v_and_b32_e32 v7, 0xffff0000, v7
	v_add_f32_e32 v7, v7, v18
	v_or_b32_e32 v18, 0x400000, v6
	s_wait_alu 0xfffd
	s_delay_alu instid0(VALU_DEP_1) | instskip(SKIP_3) | instid1(VALU_DEP_4)
	v_cndmask_b32_e32 v6, v15, v18, vcc_lo
	v_add3_u32 v18, v20, v1, 0x7fff
	v_cmp_u_f32_e32 vcc_lo, v1, v1
	v_dual_add_f32 v5, v7, v5 :: v_dual_and_b32 v20, 0xffff0000, v3
	v_and_b32_e32 v6, 0xffff0000, v6
	v_lshlrev_b32_e32 v3, 16, v3
	s_wait_alu 0xfffd
	v_cndmask_b32_e32 v1, v18, v21, vcc_lo
	v_and_b32_e32 v21, 0xffff0000, v4
	v_lshlrev_b32_e32 v4, 16, v4
	v_and_b32_e32 v7, 0xffff0000, v2
	v_lshlrev_b32_e32 v2, 16, v2
	v_dual_mul_f32 v20, v27, v20 :: v_dual_and_b32 v1, 0xffff0000, v1
	s_delay_alu instid0(VALU_DEP_4) | instskip(NEXT) | instid1(VALU_DEP_3)
	v_mul_f32_e32 v4, v30, v4
	v_dual_mul_f32 v7, v26, v7 :: v_dual_mul_f32 v2, v31, v2
	s_delay_alu instid0(VALU_DEP_3) | instskip(NEXT) | instid1(VALU_DEP_4)
	v_or_b32_e32 v23, 0x400000, v20
	v_add_f32_e32 v1, v1, v6
	s_delay_alu instid0(VALU_DEP_3) | instskip(SKIP_3) | instid1(VALU_DEP_4)
	v_bfe_u32 v15, v7, 16, 1
	v_or_b32_e32 v22, 0x400000, v7
	v_bfe_u32 v18, v2, 16, 1
	v_cmp_u_f32_e32 vcc_lo, v7, v7
	v_add3_u32 v15, v15, v7, 0x7fff
	s_delay_alu instid0(VALU_DEP_3) | instskip(SKIP_1) | instid1(VALU_DEP_2)
	v_add3_u32 v18, v18, v2, 0x7fff
	s_wait_alu 0xfffd
	v_cndmask_b32_e32 v7, v15, v22, vcc_lo
	v_bfe_u32 v15, v20, 16, 1
	v_or_b32_e32 v22, 0x400000, v2
	v_cmp_u_f32_e32 vcc_lo, v2, v2
	s_delay_alu instid0(VALU_DEP_3) | instskip(SKIP_1) | instid1(VALU_DEP_3)
	v_add3_u32 v15, v15, v20, 0x7fff
	s_wait_alu 0xfffd
	v_dual_cndmask_b32 v2, v18, v22 :: v_dual_mul_f32 v3, v32, v3
	v_cmp_u_f32_e32 vcc_lo, v20, v20
	s_delay_alu instid0(VALU_DEP_2) | instskip(NEXT) | instid1(VALU_DEP_3)
	v_and_b32_e32 v2, 0xffff0000, v2
	v_bfe_u32 v18, v3, 16, 1
	s_wait_alu 0xfffd
	v_cndmask_b32_e32 v15, v15, v23, vcc_lo
	v_mul_f32_e32 v21, v28, v21
	v_or_b32_e32 v20, 0x400000, v3
	v_cmp_u_f32_e32 vcc_lo, v3, v3
	v_add3_u32 v18, v18, v3, 0x7fff
	v_and_b32_e32 v6, 0xffff0000, v15
	v_bfe_u32 v22, v21, 16, 1
	v_or_b32_e32 v23, 0x400000, v21
	s_wait_alu 0xfffd
	v_cndmask_b32_e32 v3, v18, v20, vcc_lo
	v_cmp_u_f32_e32 vcc_lo, v21, v21
	v_add3_u32 v22, v22, v21, 0x7fff
	v_bfe_u32 v20, v4, 16, 1
	v_or_b32_e32 v21, 0x400000, v4
	v_and_b32_e32 v3, 0xffff0000, v3
	s_wait_alu 0xfffd
	v_cndmask_b32_e32 v18, v22, v23, vcc_lo
	v_add3_u32 v20, v20, v4, 0x7fff
	v_cmp_u_f32_e32 vcc_lo, v4, v4
	s_wait_loadcnt 0x0
	v_lshlrev_b32_e32 v22, 16, v9
	v_and_b32_e32 v9, 0xffff0000, v9
	v_dual_add_f32 v3, v3, v6 :: v_dual_add_f32 v8, v8, v19
	s_wait_alu 0xfffd
	v_dual_cndmask_b32 v4, v20, v21 :: v_dual_lshlrev_b32 v21, 16, v11
	s_delay_alu instid0(VALU_DEP_3) | instskip(NEXT) | instid1(VALU_DEP_2)
	v_dual_mul_f32 v6, v25, v9 :: v_dual_and_b32 v11, 0xffff0000, v11
	v_dual_add_f32 v5, v8, v5 :: v_dual_and_b32 v4, 0xffff0000, v4
	s_delay_alu instid0(VALU_DEP_2) | instskip(NEXT) | instid1(VALU_DEP_3)
	v_mul_f32_e32 v11, v27, v11
	v_bfe_u32 v20, v6, 16, 1
	s_delay_alu instid0(VALU_DEP_3) | instskip(NEXT) | instid1(VALU_DEP_3)
	v_add_f32_e32 v57, v57, v5
	v_or_b32_e32 v23, 0x400000, v11
	v_lshlrev_b32_e32 v9, 16, v10
	v_and_b32_e32 v10, 0xffff0000, v10
	s_delay_alu instid0(VALU_DEP_1) | instskip(NEXT) | instid1(VALU_DEP_1)
	v_dual_mul_f32 v10, v26, v10 :: v_dual_and_b32 v7, 0xffff0000, v7
	v_dual_add_f32 v2, v2, v7 :: v_dual_mul_f32 v7, v29, v22
	v_lshlrev_b32_e32 v22, 16, v12
	s_delay_alu instid0(VALU_DEP_2) | instskip(NEXT) | instid1(VALU_DEP_3)
	v_dual_add_f32 v1, v2, v1 :: v_dual_and_b32 v12, 0xffff0000, v12
	v_bfe_u32 v2, v7, 16, 1
	v_or_b32_e32 v15, 0x400000, v7
	v_cmp_u_f32_e32 vcc_lo, v7, v7
	s_delay_alu instid0(VALU_DEP_4) | instskip(NEXT) | instid1(VALU_DEP_4)
	v_dual_mul_f32 v12, v28, v12 :: v_dual_add_f32 v1, v3, v1
	v_add3_u32 v2, v2, v7, 0x7fff
	v_add3_u32 v7, v20, v6, 0x7fff
	s_delay_alu instid0(VALU_DEP_3) | instskip(SKIP_1) | instid1(VALU_DEP_3)
	v_bfe_u32 v25, v12, 16, 1
	s_wait_alu 0xfffd
	v_cndmask_b32_e32 v2, v2, v15, vcc_lo
	v_or_b32_e32 v15, 0x400000, v6
	v_cmp_u_f32_e32 vcc_lo, v6, v6
	s_delay_alu instid0(VALU_DEP_3) | instskip(SKIP_1) | instid1(VALU_DEP_3)
	v_and_b32_e32 v2, 0xffff0000, v2
	s_wait_alu 0xfffd
	v_cndmask_b32_e32 v6, v7, v15, vcc_lo
	s_delay_alu instid0(VALU_DEP_1) | instskip(NEXT) | instid1(VALU_DEP_1)
	v_dual_mul_f32 v9, v31, v9 :: v_dual_and_b32 v6, 0xffff0000, v6
	v_bfe_u32 v20, v9, 16, 1
	v_or_b32_e32 v15, 0x400000, v9
	v_cmp_u_f32_e32 vcc_lo, v9, v9
	s_delay_alu instid0(VALU_DEP_4) | instskip(NEXT) | instid1(VALU_DEP_4)
	v_add_f32_e32 v2, v2, v6
	v_add3_u32 v7, v20, v9, 0x7fff
	v_bfe_u32 v20, v10, 16, 1
	v_mul_f32_e32 v21, v32, v21
	s_wait_alu 0xfffd
	s_delay_alu instid0(VALU_DEP_3) | instskip(NEXT) | instid1(VALU_DEP_3)
	v_cndmask_b32_e32 v7, v7, v15, vcc_lo
	v_add3_u32 v9, v20, v10, 0x7fff
	v_or_b32_e32 v15, 0x400000, v10
	v_cmp_u_f32_e32 vcc_lo, v10, v10
	v_bfe_u32 v20, v21, 16, 1
	v_and_b32_e32 v7, 0xffff0000, v7
	s_wait_alu 0xfffd
	v_cndmask_b32_e32 v9, v9, v15, vcc_lo
	s_delay_alu instid0(VALU_DEP_3)
	v_add3_u32 v15, v20, v21, 0x7fff
	v_mul_f32_e32 v20, v30, v22
	v_or_b32_e32 v22, 0x400000, v21
	v_cmp_u_f32_e32 vcc_lo, v21, v21
	v_and_b32_e32 v9, 0xffff0000, v9
	v_add3_u32 v21, v25, v12, 0x7fff
	v_bfe_u32 v24, v20, 16, 1
	s_wait_alu 0xfffd
	v_cndmask_b32_e32 v15, v15, v22, vcc_lo
	v_add_f32_e32 v6, v7, v9
	v_or_b32_e32 v22, 0x400000, v12
	s_delay_alu instid0(VALU_DEP_2) | instskip(SKIP_2) | instid1(VALU_DEP_2)
	v_dual_add_f32 v2, v6, v2 :: v_dual_and_b32 v9, 0xffff0000, v15
	v_bfe_u32 v10, v11, 16, 1
	v_cmp_u_f32_e32 vcc_lo, v11, v11
	v_add3_u32 v10, v10, v11, 0x7fff
	v_add3_u32 v11, v24, v20, 0x7fff
	s_wait_alu 0xfffd
	s_delay_alu instid0(VALU_DEP_2) | instskip(SKIP_2) | instid1(VALU_DEP_3)
	v_cndmask_b32_e32 v10, v10, v23, vcc_lo
	v_cmp_u_f32_e32 vcc_lo, v12, v12
	v_or_b32_e32 v23, 0x400000, v20
	v_and_b32_e32 v7, 0xffff0000, v10
	s_wait_alu 0xfffd
	v_cndmask_b32_e32 v12, v21, v22, vcc_lo
	v_cmp_u_f32_e32 vcc_lo, v20, v20
	s_delay_alu instid0(VALU_DEP_3) | instskip(SKIP_2) | instid1(VALU_DEP_2)
	v_add_f32_e32 v6, v9, v7
	s_wait_alu 0xfffd
	v_cndmask_b32_e32 v10, v11, v23, vcc_lo
	v_add_f32_e32 v2, v6, v2
	v_dual_add_f32 v6, v17, v13 :: v_dual_and_b32 v7, 0xffff0000, v12
	s_delay_alu instid0(VALU_DEP_3) | instskip(NEXT) | instid1(VALU_DEP_2)
	v_and_b32_e32 v9, 0xffff0000, v10
	v_add_f32_e32 v54, v54, v6
	v_and_b32_e32 v11, 0xffff0000, v18
	s_delay_alu instid0(VALU_DEP_1) | instskip(NEXT) | instid1(VALU_DEP_1)
	v_add_f32_e32 v3, v4, v11
	v_add_f32_e32 v1, v3, v1
	s_delay_alu instid0(VALU_DEP_1) | instskip(SKIP_1) | instid1(VALU_DEP_1)
	v_add_f32_e32 v56, v56, v1
	v_dual_add_f32 v4, v9, v7 :: v_dual_add_f32 v7, v16, v14
	v_dual_add_f32 v2, v4, v2 :: v_dual_add_f32 v55, v55, v7
	s_delay_alu instid0(VALU_DEP_1)
	v_add_f32_e32 v50, v50, v2
.LBB172_37:                             ;   in Loop: Header=BB172_38 Depth=1
	s_wait_alu 0xfffe
	s_or_b32 exec_lo, exec_lo, s10
	v_add_nc_u32_e32 v46, 4, v46
	v_add_co_u32 v41, s0, v41, 16
	s_wait_alu 0xf1ff
	v_add_co_ci_u32_e64 v42, null, 0, v42, s0
	s_delay_alu instid0(VALU_DEP_3) | instskip(SKIP_3) | instid1(SALU_CYCLE_1)
	v_cmp_le_i32_e32 vcc_lo, s33, v46
	v_add_nc_u32_e32 v45, 0x80, v45
	v_add_nc_u32_e32 v61, 0x200, v61
	s_or_b32 s6, vcc_lo, s6
	s_and_not1_b32 exec_lo, exec_lo, s6
	s_cbranch_execz .LBB172_55
.LBB172_38:                             ; =>This Inner Loop Header: Depth=1
	v_sub_nc_u32_e32 v1, 0, v45
	s_delay_alu instid0(VALU_DEP_1) | instskip(NEXT) | instid1(VALU_DEP_1)
	v_max_i32_e32 v1, v45, v1
	v_mul_hi_u32 v2, v1, s18
	s_delay_alu instid0(VALU_DEP_1) | instskip(NEXT) | instid1(VALU_DEP_1)
	v_mul_lo_u32 v3, v2, s12
	v_sub_nc_u32_e32 v1, v1, v3
	v_add_nc_u32_e32 v3, 1, v2
	s_delay_alu instid0(VALU_DEP_2) | instskip(SKIP_2) | instid1(VALU_DEP_2)
	v_subrev_nc_u32_e32 v4, s12, v1
	v_cmp_le_u32_e32 vcc_lo, s12, v1
	s_wait_alu 0xfffd
	v_dual_cndmask_b32 v2, v2, v3 :: v_dual_cndmask_b32 v1, v1, v4
	v_ashrrev_i32_e32 v3, 31, v45
	s_delay_alu instid0(VALU_DEP_2) | instskip(NEXT) | instid1(VALU_DEP_3)
	v_add_nc_u32_e32 v4, 1, v2
	v_cmp_le_u32_e32 vcc_lo, s12, v1
	s_delay_alu instid0(VALU_DEP_3) | instskip(SKIP_1) | instid1(VALU_DEP_3)
	v_xor_b32_e32 v3, s19, v3
	s_wait_alu 0xfffd
	v_cndmask_b32_e32 v1, v2, v4, vcc_lo
	s_delay_alu instid0(VALU_DEP_1) | instskip(NEXT) | instid1(VALU_DEP_1)
	v_xor_b32_e32 v1, v1, v3
	v_sub_nc_u32_e32 v1, v1, v3
	s_delay_alu instid0(VALU_DEP_1) | instskip(SKIP_1) | instid1(VALU_DEP_2)
	v_add_nc_u32_e32 v2, s17, v1
	v_cmp_lt_i32_e64 s0, s3, v1
	v_sub_nc_u32_e32 v3, 0, v2
	s_delay_alu instid0(VALU_DEP_1) | instskip(SKIP_1) | instid1(VALU_DEP_1)
	v_max_i32_e32 v3, v2, v3
	s_wait_alu 0xfffe
	v_mul_hi_u32 v4, v3, s9
	s_delay_alu instid0(VALU_DEP_1) | instskip(NEXT) | instid1(VALU_DEP_1)
	v_mul_lo_u32 v4, v4, s2
	v_sub_nc_u32_e32 v3, v3, v4
	s_delay_alu instid0(VALU_DEP_1) | instskip(SKIP_2) | instid1(VALU_DEP_2)
	v_subrev_nc_u32_e32 v4, s2, v3
	v_cmp_le_u32_e32 vcc_lo, s2, v3
	s_wait_alu 0xfffd
	v_cndmask_b32_e32 v3, v3, v4, vcc_lo
	v_ashrrev_i32_e32 v2, 31, v2
	s_delay_alu instid0(VALU_DEP_2) | instskip(SKIP_2) | instid1(VALU_DEP_2)
	v_subrev_nc_u32_e32 v4, s2, v3
	v_cmp_le_u32_e32 vcc_lo, s2, v3
	s_wait_alu 0xfffd
	v_cndmask_b32_e32 v3, v3, v4, vcc_lo
	s_delay_alu instid0(VALU_DEP_1) | instskip(NEXT) | instid1(VALU_DEP_1)
	v_xor_b32_e32 v3, v3, v2
	v_sub_nc_u32_e32 v2, v3, v2
	s_delay_alu instid0(VALU_DEP_1)
	v_cmp_eq_u32_e32 vcc_lo, 0, v2
	s_or_b32 s0, vcc_lo, s0
	s_wait_alu 0xfffe
	s_and_saveexec_b32 s10, s0
	s_cbranch_execz .LBB172_37
; %bb.39:                               ;   in Loop: Header=BB172_38 Depth=1
	global_load_b32 v1, v[41:42], off
	v_add_nc_u32_e32 v69, v58, v45
	s_delay_alu instid0(VALU_DEP_1)
	v_add_nc_u32_e32 v67, 1, v69
	v_or_b32_e32 v66, 3, v69
	v_or_b32_e32 v68, 2, v69
	;; [unrolled: 1-line block ×6, first 2 shown]
	s_wait_loadcnt 0x0
	v_mad_co_i64_i32 v[1:2], null, v1, s4, 0
	s_delay_alu instid0(VALU_DEP_1) | instskip(NEXT) | instid1(VALU_DEP_1)
	v_lshlrev_b64_e32 v[1:2], 1, v[1:2]
	v_add_co_u32 v9, vcc_lo, v59, v1
	s_wait_alu 0xfffd
	s_delay_alu instid0(VALU_DEP_2)
	v_add_co_ci_u32_e64 v10, null, v60, v2, vcc_lo
	v_cmp_eq_u32_e32 vcc_lo, s5, v46
	global_load_b128 v[1:4], v[9:10], off
	ds_load_2addr_b64 v[29:32], v61 offset1:1
	ds_load_2addr_b64 v[25:28], v61 offset0:2 offset1:3
	s_and_saveexec_b32 s11, vcc_lo
	s_cbranch_execnz .LBB172_47
; %bb.40:                               ;   in Loop: Header=BB172_38 Depth=1
	s_wait_alu 0xfffe
	s_or_b32 exec_lo, exec_lo, s11
	global_load_b128 v[5:8], v[9:10], off offset:512
	s_and_saveexec_b32 s11, vcc_lo
	s_cbranch_execnz .LBB172_48
.LBB172_41:                             ;   in Loop: Header=BB172_38 Depth=1
	s_wait_alu 0xfffe
	s_or_b32 exec_lo, exec_lo, s11
	global_load_b128 v[13:16], v[9:10], off offset:1024
	s_and_saveexec_b32 s11, vcc_lo
	s_cbranch_execnz .LBB172_49
.LBB172_42:                             ;   in Loop: Header=BB172_38 Depth=1
	s_wait_alu 0xfffe
	s_or_b32 exec_lo, exec_lo, s11
	global_load_b128 v[17:20], v[9:10], off offset:1536
	s_and_saveexec_b32 s11, vcc_lo
	s_cbranch_execnz .LBB172_50
.LBB172_43:                             ;   in Loop: Header=BB172_38 Depth=1
	s_wait_alu 0xfffe
	s_or_b32 exec_lo, exec_lo, s11
	global_load_b128 v[21:24], v[9:10], off offset:2048
	s_and_saveexec_b32 s11, vcc_lo
	s_cbranch_execnz .LBB172_51
.LBB172_44:                             ;   in Loop: Header=BB172_38 Depth=1
	s_wait_alu 0xfffe
	s_or_b32 exec_lo, exec_lo, s11
	global_load_b128 v[33:36], v[9:10], off offset:2560
	s_and_saveexec_b32 s11, vcc_lo
	s_cbranch_execnz .LBB172_52
.LBB172_45:                             ;   in Loop: Header=BB172_38 Depth=1
	s_wait_alu 0xfffe
	s_or_b32 exec_lo, exec_lo, s11
	global_load_b128 v[37:40], v[9:10], off offset:3072
	s_and_saveexec_b32 s11, vcc_lo
	s_cbranch_execnz .LBB172_53
.LBB172_46:                             ;   in Loop: Header=BB172_38 Depth=1
	s_wait_alu 0xfffe
	s_or_b32 exec_lo, exec_lo, s11
	global_load_b128 v[9:12], v[9:10], off offset:3584
	s_and_saveexec_b32 s0, vcc_lo
	s_cbranch_execz .LBB172_36
	s_branch .LBB172_54
.LBB172_47:                             ;   in Loop: Header=BB172_38 Depth=1
	v_cmp_gt_i32_e64 s0, s31, v69
	s_wait_loadcnt 0x0
	v_lshrrev_b32_e32 v5, 16, v1
	v_lshrrev_b32_e32 v6, 16, v2
	;; [unrolled: 1-line block ×4, first 2 shown]
	s_wait_alu 0xf1ff
	v_cndmask_b32_e64 v1, 0, v1, s0
	v_cmp_gt_i32_e64 s0, s8, v67
	s_wait_alu 0xf1ff
	s_delay_alu instid0(VALU_DEP_1) | instskip(SKIP_1) | instid1(VALU_DEP_2)
	v_cndmask_b32_e64 v5, 0, v5, s0
	v_cmp_gt_i32_e64 s0, s31, v68
	v_perm_b32 v1, v5, v1, 0x5040100
	s_wait_alu 0xf1ff
	s_delay_alu instid0(VALU_DEP_2) | instskip(SKIP_2) | instid1(VALU_DEP_1)
	v_cndmask_b32_e64 v2, 0, v2, s0
	v_cmp_gt_i32_e64 s0, s8, v66
	s_wait_alu 0xf1ff
	v_cndmask_b32_e64 v6, 0, v6, s0
	v_cmp_gt_i32_e64 s0, s31, v65
	s_delay_alu instid0(VALU_DEP_2) | instskip(SKIP_1) | instid1(VALU_DEP_2)
	v_perm_b32 v2, v6, v2, 0x5040100
	s_wait_alu 0xf1ff
	v_cndmask_b32_e64 v3, 0, v3, s0
	v_cmp_gt_i32_e64 s0, s8, v63
	s_wait_alu 0xf1ff
	s_delay_alu instid0(VALU_DEP_1) | instskip(SKIP_1) | instid1(VALU_DEP_2)
	v_cndmask_b32_e64 v7, 0, v7, s0
	v_cmp_gt_i32_e64 s0, s31, v64
	v_perm_b32 v3, v7, v3, 0x5040100
	s_wait_alu 0xf1ff
	s_delay_alu instid0(VALU_DEP_2) | instskip(SKIP_2) | instid1(VALU_DEP_1)
	v_cndmask_b32_e64 v4, 0, v4, s0
	v_cmp_gt_i32_e64 s0, s8, v62
	s_wait_alu 0xf1ff
	v_cndmask_b32_e64 v8, 0, v8, s0
	s_delay_alu instid0(VALU_DEP_1)
	v_perm_b32 v4, v8, v4, 0x5040100
	s_wait_alu 0xfffe
	s_or_b32 exec_lo, exec_lo, s11
	global_load_b128 v[5:8], v[9:10], off offset:512
	s_and_saveexec_b32 s11, vcc_lo
	s_cbranch_execz .LBB172_41
.LBB172_48:                             ;   in Loop: Header=BB172_38 Depth=1
	v_cmp_gt_i32_e64 s0, s31, v69
	s_wait_loadcnt 0x0
	v_lshrrev_b32_e32 v11, 16, v5
	v_lshrrev_b32_e32 v12, 16, v6
	;; [unrolled: 1-line block ×4, first 2 shown]
	s_wait_alu 0xf1ff
	v_cndmask_b32_e64 v5, 0, v5, s0
	v_cmp_gt_i32_e64 s0, s8, v67
	s_wait_alu 0xf1ff
	s_delay_alu instid0(VALU_DEP_1) | instskip(SKIP_1) | instid1(VALU_DEP_2)
	v_cndmask_b32_e64 v11, 0, v11, s0
	v_cmp_gt_i32_e64 s0, s31, v68
	v_perm_b32 v5, v11, v5, 0x5040100
	s_wait_alu 0xf1ff
	s_delay_alu instid0(VALU_DEP_2) | instskip(SKIP_2) | instid1(VALU_DEP_1)
	v_cndmask_b32_e64 v6, 0, v6, s0
	v_cmp_gt_i32_e64 s0, s8, v66
	s_wait_alu 0xf1ff
	v_cndmask_b32_e64 v12, 0, v12, s0
	v_cmp_gt_i32_e64 s0, s31, v65
	s_delay_alu instid0(VALU_DEP_2) | instskip(SKIP_1) | instid1(VALU_DEP_2)
	v_perm_b32 v6, v12, v6, 0x5040100
	s_wait_alu 0xf1ff
	v_cndmask_b32_e64 v7, 0, v7, s0
	v_cmp_gt_i32_e64 s0, s8, v63
	s_wait_alu 0xf1ff
	s_delay_alu instid0(VALU_DEP_1) | instskip(SKIP_1) | instid1(VALU_DEP_2)
	v_cndmask_b32_e64 v13, 0, v13, s0
	v_cmp_gt_i32_e64 s0, s31, v64
	v_perm_b32 v7, v13, v7, 0x5040100
	s_wait_alu 0xf1ff
	s_delay_alu instid0(VALU_DEP_2) | instskip(SKIP_2) | instid1(VALU_DEP_1)
	v_cndmask_b32_e64 v8, 0, v8, s0
	v_cmp_gt_i32_e64 s0, s8, v62
	s_wait_alu 0xf1ff
	v_cndmask_b32_e64 v14, 0, v14, s0
	s_delay_alu instid0(VALU_DEP_1)
	v_perm_b32 v8, v14, v8, 0x5040100
	s_wait_alu 0xfffe
	s_or_b32 exec_lo, exec_lo, s11
	global_load_b128 v[13:16], v[9:10], off offset:1024
	s_and_saveexec_b32 s11, vcc_lo
	s_cbranch_execz .LBB172_42
.LBB172_49:                             ;   in Loop: Header=BB172_38 Depth=1
	v_cmp_gt_i32_e64 s0, s31, v69
	s_wait_loadcnt 0x0
	v_lshrrev_b32_e32 v11, 16, v13
	v_lshrrev_b32_e32 v18, 16, v16
	s_wait_alu 0xf1ff
	v_cndmask_b32_e64 v12, 0, v13, s0
	v_cmp_gt_i32_e64 s0, s8, v67
	v_lshrrev_b32_e32 v13, 16, v14
	s_wait_alu 0xf1ff
	s_delay_alu instid0(VALU_DEP_2) | instskip(SKIP_2) | instid1(VALU_DEP_1)
	v_cndmask_b32_e64 v11, 0, v11, s0
	v_cmp_gt_i32_e64 s0, s31, v68
	s_wait_alu 0xf1ff
	v_cndmask_b32_e64 v14, 0, v14, s0
	v_cmp_gt_i32_e64 s0, s8, v66
	s_wait_alu 0xf1ff
	s_delay_alu instid0(VALU_DEP_1) | instskip(SKIP_2) | instid1(VALU_DEP_3)
	v_cndmask_b32_e64 v17, 0, v13, s0
	v_cmp_gt_i32_e64 s0, s31, v65
	v_lshrrev_b32_e32 v13, 16, v15
	v_perm_b32 v14, v17, v14, 0x5040100
	s_wait_alu 0xf1ff
	s_delay_alu instid0(VALU_DEP_3) | instskip(SKIP_2) | instid1(VALU_DEP_1)
	v_cndmask_b32_e64 v15, 0, v15, s0
	v_cmp_gt_i32_e64 s0, s8, v63
	s_wait_alu 0xf1ff
	v_cndmask_b32_e64 v19, 0, v13, s0
	v_cmp_gt_i32_e64 s0, s31, v64
	v_perm_b32 v13, v11, v12, 0x5040100
	s_delay_alu instid0(VALU_DEP_3) | instskip(SKIP_1) | instid1(VALU_DEP_3)
	v_perm_b32 v15, v19, v15, 0x5040100
	s_wait_alu 0xf1ff
	v_cndmask_b32_e64 v16, 0, v16, s0
	v_cmp_gt_i32_e64 s0, s8, v62
	s_wait_alu 0xf1ff
	s_delay_alu instid0(VALU_DEP_1) | instskip(NEXT) | instid1(VALU_DEP_1)
	v_cndmask_b32_e64 v18, 0, v18, s0
	v_perm_b32 v16, v18, v16, 0x5040100
	s_wait_alu 0xfffe
	s_or_b32 exec_lo, exec_lo, s11
	global_load_b128 v[17:20], v[9:10], off offset:1536
	s_and_saveexec_b32 s11, vcc_lo
	s_cbranch_execz .LBB172_43
.LBB172_50:                             ;   in Loop: Header=BB172_38 Depth=1
	v_cmp_gt_i32_e64 s0, s31, v69
	s_wait_loadcnt 0x0
	v_lshrrev_b32_e32 v11, 16, v17
	v_lshrrev_b32_e32 v22, 16, v20
	s_wait_alu 0xf1ff
	v_cndmask_b32_e64 v12, 0, v17, s0
	v_cmp_gt_i32_e64 s0, s8, v67
	v_lshrrev_b32_e32 v17, 16, v18
	s_wait_alu 0xf1ff
	s_delay_alu instid0(VALU_DEP_2) | instskip(SKIP_2) | instid1(VALU_DEP_1)
	v_cndmask_b32_e64 v11, 0, v11, s0
	v_cmp_gt_i32_e64 s0, s31, v68
	s_wait_alu 0xf1ff
	v_cndmask_b32_e64 v18, 0, v18, s0
	v_cmp_gt_i32_e64 s0, s8, v66
	s_wait_alu 0xf1ff
	s_delay_alu instid0(VALU_DEP_1) | instskip(SKIP_2) | instid1(VALU_DEP_3)
	v_cndmask_b32_e64 v21, 0, v17, s0
	v_cmp_gt_i32_e64 s0, s31, v65
	v_lshrrev_b32_e32 v17, 16, v19
	v_perm_b32 v18, v21, v18, 0x5040100
	s_wait_alu 0xf1ff
	s_delay_alu instid0(VALU_DEP_3) | instskip(SKIP_2) | instid1(VALU_DEP_1)
	v_cndmask_b32_e64 v19, 0, v19, s0
	v_cmp_gt_i32_e64 s0, s8, v63
	s_wait_alu 0xf1ff
	v_cndmask_b32_e64 v23, 0, v17, s0
	v_cmp_gt_i32_e64 s0, s31, v64
	v_perm_b32 v17, v11, v12, 0x5040100
	s_delay_alu instid0(VALU_DEP_3) | instskip(SKIP_1) | instid1(VALU_DEP_3)
	v_perm_b32 v19, v23, v19, 0x5040100
	s_wait_alu 0xf1ff
	v_cndmask_b32_e64 v20, 0, v20, s0
	v_cmp_gt_i32_e64 s0, s8, v62
	s_wait_alu 0xf1ff
	s_delay_alu instid0(VALU_DEP_1) | instskip(NEXT) | instid1(VALU_DEP_1)
	v_cndmask_b32_e64 v22, 0, v22, s0
	v_perm_b32 v20, v22, v20, 0x5040100
	s_wait_alu 0xfffe
	s_or_b32 exec_lo, exec_lo, s11
	global_load_b128 v[21:24], v[9:10], off offset:2048
	s_and_saveexec_b32 s11, vcc_lo
	s_cbranch_execz .LBB172_44
.LBB172_51:                             ;   in Loop: Header=BB172_38 Depth=1
	v_cmp_gt_i32_e64 s0, s31, v69
	s_wait_loadcnt 0x0
	v_lshrrev_b32_e32 v11, 16, v21
	v_lshrrev_b32_e32 v34, 16, v24
	s_wait_alu 0xf1ff
	v_cndmask_b32_e64 v12, 0, v21, s0
	v_cmp_gt_i32_e64 s0, s8, v67
	v_lshrrev_b32_e32 v21, 16, v22
	s_wait_alu 0xf1ff
	s_delay_alu instid0(VALU_DEP_2) | instskip(SKIP_2) | instid1(VALU_DEP_1)
	v_cndmask_b32_e64 v11, 0, v11, s0
	v_cmp_gt_i32_e64 s0, s31, v68
	s_wait_alu 0xf1ff
	v_cndmask_b32_e64 v22, 0, v22, s0
	v_cmp_gt_i32_e64 s0, s8, v66
	s_wait_alu 0xf1ff
	s_delay_alu instid0(VALU_DEP_1) | instskip(SKIP_2) | instid1(VALU_DEP_3)
	v_cndmask_b32_e64 v33, 0, v21, s0
	v_cmp_gt_i32_e64 s0, s31, v65
	v_lshrrev_b32_e32 v21, 16, v23
	v_perm_b32 v22, v33, v22, 0x5040100
	s_wait_alu 0xf1ff
	s_delay_alu instid0(VALU_DEP_3) | instskip(SKIP_2) | instid1(VALU_DEP_1)
	v_cndmask_b32_e64 v23, 0, v23, s0
	v_cmp_gt_i32_e64 s0, s8, v63
	s_wait_alu 0xf1ff
	v_cndmask_b32_e64 v35, 0, v21, s0
	v_cmp_gt_i32_e64 s0, s31, v64
	v_perm_b32 v21, v11, v12, 0x5040100
	s_delay_alu instid0(VALU_DEP_3) | instskip(SKIP_1) | instid1(VALU_DEP_3)
	v_perm_b32 v23, v35, v23, 0x5040100
	s_wait_alu 0xf1ff
	v_cndmask_b32_e64 v24, 0, v24, s0
	v_cmp_gt_i32_e64 s0, s8, v62
	s_wait_alu 0xf1ff
	s_delay_alu instid0(VALU_DEP_1) | instskip(NEXT) | instid1(VALU_DEP_1)
	v_cndmask_b32_e64 v34, 0, v34, s0
	v_perm_b32 v24, v34, v24, 0x5040100
	s_wait_alu 0xfffe
	s_or_b32 exec_lo, exec_lo, s11
	global_load_b128 v[33:36], v[9:10], off offset:2560
	s_and_saveexec_b32 s11, vcc_lo
	s_cbranch_execz .LBB172_45
.LBB172_52:                             ;   in Loop: Header=BB172_38 Depth=1
	v_cmp_gt_i32_e64 s0, s31, v69
	s_wait_loadcnt 0x0
	v_lshrrev_b32_e32 v11, 16, v33
	v_lshrrev_b32_e32 v38, 16, v36
	s_wait_alu 0xf1ff
	v_cndmask_b32_e64 v12, 0, v33, s0
	v_cmp_gt_i32_e64 s0, s8, v67
	v_lshrrev_b32_e32 v33, 16, v34
	s_wait_alu 0xf1ff
	s_delay_alu instid0(VALU_DEP_2) | instskip(SKIP_2) | instid1(VALU_DEP_1)
	v_cndmask_b32_e64 v11, 0, v11, s0
	v_cmp_gt_i32_e64 s0, s31, v68
	s_wait_alu 0xf1ff
	v_cndmask_b32_e64 v34, 0, v34, s0
	v_cmp_gt_i32_e64 s0, s8, v66
	s_wait_alu 0xf1ff
	s_delay_alu instid0(VALU_DEP_1) | instskip(SKIP_2) | instid1(VALU_DEP_3)
	v_cndmask_b32_e64 v37, 0, v33, s0
	v_cmp_gt_i32_e64 s0, s31, v65
	v_lshrrev_b32_e32 v33, 16, v35
	v_perm_b32 v34, v37, v34, 0x5040100
	s_wait_alu 0xf1ff
	s_delay_alu instid0(VALU_DEP_3) | instskip(SKIP_2) | instid1(VALU_DEP_1)
	v_cndmask_b32_e64 v35, 0, v35, s0
	v_cmp_gt_i32_e64 s0, s8, v63
	s_wait_alu 0xf1ff
	v_cndmask_b32_e64 v39, 0, v33, s0
	v_cmp_gt_i32_e64 s0, s31, v64
	v_perm_b32 v33, v11, v12, 0x5040100
	s_delay_alu instid0(VALU_DEP_3) | instskip(SKIP_1) | instid1(VALU_DEP_3)
	v_perm_b32 v35, v39, v35, 0x5040100
	s_wait_alu 0xf1ff
	v_cndmask_b32_e64 v36, 0, v36, s0
	v_cmp_gt_i32_e64 s0, s8, v62
	s_wait_alu 0xf1ff
	s_delay_alu instid0(VALU_DEP_1) | instskip(NEXT) | instid1(VALU_DEP_1)
	v_cndmask_b32_e64 v38, 0, v38, s0
	v_perm_b32 v36, v38, v36, 0x5040100
	s_wait_alu 0xfffe
	s_or_b32 exec_lo, exec_lo, s11
	global_load_b128 v[37:40], v[9:10], off offset:3072
	s_and_saveexec_b32 s11, vcc_lo
	s_cbranch_execz .LBB172_46
.LBB172_53:                             ;   in Loop: Header=BB172_38 Depth=1
	v_cmp_gt_i32_e64 s0, s31, v69
	s_wait_loadcnt 0x0
	v_lshrrev_b32_e32 v11, 16, v37
	v_lshrrev_b32_e32 v71, 16, v40
	s_wait_alu 0xf1ff
	v_cndmask_b32_e64 v12, 0, v37, s0
	v_cmp_gt_i32_e64 s0, s8, v67
	v_lshrrev_b32_e32 v37, 16, v38
	s_wait_alu 0xf1ff
	s_delay_alu instid0(VALU_DEP_2) | instskip(SKIP_2) | instid1(VALU_DEP_1)
	v_cndmask_b32_e64 v11, 0, v11, s0
	v_cmp_gt_i32_e64 s0, s31, v68
	s_wait_alu 0xf1ff
	v_cndmask_b32_e64 v38, 0, v38, s0
	v_cmp_gt_i32_e64 s0, s8, v66
	s_wait_alu 0xf1ff
	s_delay_alu instid0(VALU_DEP_1) | instskip(SKIP_2) | instid1(VALU_DEP_3)
	v_cndmask_b32_e64 v70, 0, v37, s0
	v_cmp_gt_i32_e64 s0, s31, v65
	v_lshrrev_b32_e32 v37, 16, v39
	v_perm_b32 v38, v70, v38, 0x5040100
	s_wait_alu 0xf1ff
	s_delay_alu instid0(VALU_DEP_3) | instskip(SKIP_2) | instid1(VALU_DEP_1)
	v_cndmask_b32_e64 v39, 0, v39, s0
	v_cmp_gt_i32_e64 s0, s8, v63
	s_wait_alu 0xf1ff
	v_cndmask_b32_e64 v72, 0, v37, s0
	v_cmp_gt_i32_e64 s0, s31, v64
	v_perm_b32 v37, v11, v12, 0x5040100
	s_delay_alu instid0(VALU_DEP_3) | instskip(SKIP_1) | instid1(VALU_DEP_3)
	v_perm_b32 v39, v72, v39, 0x5040100
	s_wait_alu 0xf1ff
	v_cndmask_b32_e64 v40, 0, v40, s0
	v_cmp_gt_i32_e64 s0, s8, v62
	s_wait_alu 0xf1ff
	s_delay_alu instid0(VALU_DEP_1) | instskip(NEXT) | instid1(VALU_DEP_1)
	v_cndmask_b32_e64 v71, 0, v71, s0
	v_perm_b32 v40, v71, v40, 0x5040100
	s_wait_alu 0xfffe
	s_or_b32 exec_lo, exec_lo, s11
	global_load_b128 v[9:12], v[9:10], off offset:3584
	s_and_saveexec_b32 s0, vcc_lo
	s_cbranch_execz .LBB172_36
.LBB172_54:                             ;   in Loop: Header=BB172_38 Depth=1
	v_cmp_gt_i32_e32 vcc_lo, s31, v69
	s_wait_loadcnt 0x0
	v_lshrrev_b32_e32 v70, 16, v9
	v_lshrrev_b32_e32 v69, 16, v10
	s_wait_alu 0xfffd
	v_cndmask_b32_e32 v9, 0, v9, vcc_lo
	v_cmp_gt_i32_e32 vcc_lo, s8, v67
	s_wait_alu 0xfffd
	v_cndmask_b32_e32 v67, 0, v70, vcc_lo
	v_cmp_gt_i32_e32 vcc_lo, s31, v68
	v_lshrrev_b32_e32 v68, 16, v11
	s_wait_alu 0xfffd
	v_cndmask_b32_e32 v10, 0, v10, vcc_lo
	v_cmp_gt_i32_e32 vcc_lo, s8, v66
	s_wait_alu 0xfffd
	v_cndmask_b32_e32 v66, 0, v69, vcc_lo
	v_cmp_gt_i32_e32 vcc_lo, s31, v65
	v_lshrrev_b32_e32 v65, 16, v12
	v_perm_b32 v9, v67, v9, 0x5040100
	s_delay_alu instid0(VALU_DEP_4)
	v_perm_b32 v10, v66, v10, 0x5040100
	s_wait_alu 0xfffd
	v_cndmask_b32_e32 v11, 0, v11, vcc_lo
	v_cmp_gt_i32_e32 vcc_lo, s8, v63
	s_wait_alu 0xfffd
	v_cndmask_b32_e32 v63, 0, v68, vcc_lo
	v_cmp_gt_i32_e32 vcc_lo, s31, v64
	;; [unrolled: 3-line block ×3, first 2 shown]
	s_wait_alu 0xfffd
	v_cndmask_b32_e32 v62, 0, v65, vcc_lo
	v_perm_b32 v11, v63, v11, 0x5040100
	s_delay_alu instid0(VALU_DEP_2)
	v_perm_b32 v12, v62, v12, 0x5040100
	s_branch .LBB172_36
.LBB172_55:
	s_or_b32 exec_lo, exec_lo, s6
.LBB172_56:
	s_wait_alu 0xfffe
	s_or_b32 exec_lo, exec_lo, s1
	ds_bpermute_b32 v1, v48, v56
	ds_bpermute_b32 v2, v48, v57
	;; [unrolled: 1-line block ×8, first 2 shown]
	v_lshrrev_b32_e32 v9, 2, v44
	s_mov_b32 s0, exec_lo
	s_wait_storecnt 0x0
	s_wait_loadcnt_dscnt 0x0
	s_barrier_signal -1
	s_barrier_wait -1
	global_inv scope:SCOPE_SE
	v_dual_add_f32 v1, v56, v1 :: v_dual_add_f32 v2, v57, v2
	v_dual_add_f32 v3, v55, v3 :: v_dual_add_f32 v4, v54, v4
	;; [unrolled: 1-line block ×4, first 2 shown]
	ds_bpermute_b32 v5, v47, v1
	ds_bpermute_b32 v6, v47, v2
	;; [unrolled: 1-line block ×8, first 2 shown]
	v_and_b32_e32 v7, 28, v44
	v_lshlrev_b32_e32 v11, 8, v43
	v_and_b32_e32 v22, 0x3c3, v0
	s_wait_dscnt 0x7
	v_add_f32_e32 v8, v1, v5
	s_wait_dscnt 0x6
	v_dual_add_f32 v7, v2, v6 :: v_dual_add_nc_u32 v10, 0xa0, v7
	s_wait_dscnt 0x4
	v_dual_add_f32 v6, v3, v16 :: v_dual_add_f32 v5, v4, v17
	s_wait_dscnt 0x2
	v_dual_add_f32 v4, v12, v18 :: v_dual_add_f32 v3, v13, v19
	;; [unrolled: 2-line block ×3, first 2 shown]
	v_cmpx_eq_u32_e32 64, v22
	s_cbranch_execz .LBB172_58
; %bb.57:
	v_add_nc_u32_e32 v12, v10, v11
	s_delay_alu instid0(VALU_DEP_1)
	v_add_nc_u32_e32 v13, 0xfffffe00, v12
	v_add_nc_u32_e32 v14, 0xfffffe20, v12
	;; [unrolled: 1-line block ×8, first 2 shown]
	ds_store_b32 v13, v8
	ds_store_b32 v14, v7
	;; [unrolled: 1-line block ×8, first 2 shown]
.LBB172_58:
	s_wait_alu 0xfffe
	s_or_b32 exec_lo, exec_lo, s0
	v_lshlrev_b32_e32 v9, 2, v9
	s_mov_b32 s1, exec_lo
	v_cmp_eq_u32_e32 vcc_lo, 0, v49
	s_wait_loadcnt_dscnt 0x0
	s_barrier_signal -1
	v_add3_u32 v9, 0xa0, v11, v9
	s_barrier_wait -1
	global_inv scope:SCOPE_SE
	v_cmpx_gt_u32_e32 64, v0
	s_cbranch_execz .LBB172_69
; %bb.59:
	s_and_saveexec_b32 s0, vcc_lo
	s_cbranch_execnz .LBB172_85
; %bb.60:
	s_wait_alu 0xfffe
	s_or_b32 exec_lo, exec_lo, s0
	s_and_saveexec_b32 s0, vcc_lo
	s_cbranch_execnz .LBB172_86
.LBB172_61:
	s_wait_alu 0xfffe
	s_or_b32 exec_lo, exec_lo, s0
	s_and_saveexec_b32 s0, vcc_lo
	s_cbranch_execnz .LBB172_87
.LBB172_62:
	s_wait_alu 0xfffe
	s_or_b32 exec_lo, exec_lo, s0
	s_and_saveexec_b32 s0, vcc_lo
	s_cbranch_execnz .LBB172_88
.LBB172_63:
	s_wait_alu 0xfffe
	s_or_b32 exec_lo, exec_lo, s0
	s_and_saveexec_b32 s0, vcc_lo
	s_cbranch_execnz .LBB172_89
.LBB172_64:
	s_wait_alu 0xfffe
	s_or_b32 exec_lo, exec_lo, s0
	s_and_saveexec_b32 s0, vcc_lo
	s_cbranch_execnz .LBB172_90
.LBB172_65:
	s_wait_alu 0xfffe
	s_or_b32 exec_lo, exec_lo, s0
	s_and_saveexec_b32 s0, vcc_lo
	s_cbranch_execnz .LBB172_91
.LBB172_66:
	s_wait_alu 0xfffe
	s_or_b32 exec_lo, exec_lo, s0
	s_and_saveexec_b32 s0, vcc_lo
	s_cbranch_execz .LBB172_68
.LBB172_67:
	ds_load_b32 v11, v9 offset:224
	s_wait_dscnt 0x0
	v_add_f32_e32 v1, v1, v11
.LBB172_68:
	s_wait_alu 0xfffe
	s_or_b32 exec_lo, exec_lo, s0
.LBB172_69:
	s_wait_alu 0xfffe
	s_or_b32 exec_lo, exec_lo, s1
	v_and_b32_e32 v11, 0x3e3, v0
	s_mov_b32 s1, exec_lo
	s_wait_loadcnt 0x0
	s_barrier_signal -1
	s_barrier_wait -1
	global_inv scope:SCOPE_SE
	v_cmpx_eq_u32_e32 32, v11
	s_cbranch_execz .LBB172_71
; %bb.70:
	ds_store_2addr_b32 v10, v8, v7 offset1:8
	ds_store_2addr_b32 v10, v6, v5 offset0:16 offset1:24
	ds_store_2addr_b32 v10, v4, v3 offset0:32 offset1:40
	;; [unrolled: 1-line block ×3, first 2 shown]
.LBB172_71:
	s_wait_alu 0xfffe
	s_or_b32 exec_lo, exec_lo, s1
	s_delay_alu instid0(SALU_CYCLE_1)
	s_mov_b32 s1, exec_lo
	s_wait_loadcnt_dscnt 0x0
	s_barrier_signal -1
	s_barrier_wait -1
	global_inv scope:SCOPE_SE
	v_cmpx_gt_u32_e32 32, v0
	s_cbranch_execz .LBB172_82
; %bb.72:
	s_and_saveexec_b32 s0, vcc_lo
	s_cbranch_execnz .LBB172_92
; %bb.73:
	s_wait_alu 0xfffe
	s_or_b32 exec_lo, exec_lo, s0
	s_and_saveexec_b32 s0, vcc_lo
	s_cbranch_execnz .LBB172_93
.LBB172_74:
	s_wait_alu 0xfffe
	s_or_b32 exec_lo, exec_lo, s0
	s_and_saveexec_b32 s0, vcc_lo
	s_cbranch_execnz .LBB172_94
.LBB172_75:
	s_wait_alu 0xfffe
	s_or_b32 exec_lo, exec_lo, s0
	s_and_saveexec_b32 s0, vcc_lo
	s_cbranch_execnz .LBB172_95
.LBB172_76:
	s_wait_alu 0xfffe
	s_or_b32 exec_lo, exec_lo, s0
	s_and_saveexec_b32 s0, vcc_lo
	s_cbranch_execnz .LBB172_96
.LBB172_77:
	s_wait_alu 0xfffe
	s_or_b32 exec_lo, exec_lo, s0
	s_and_saveexec_b32 s0, vcc_lo
	s_cbranch_execnz .LBB172_97
.LBB172_78:
	s_wait_alu 0xfffe
	s_or_b32 exec_lo, exec_lo, s0
	s_and_saveexec_b32 s0, vcc_lo
	s_cbranch_execnz .LBB172_98
.LBB172_79:
	s_wait_alu 0xfffe
	s_or_b32 exec_lo, exec_lo, s0
	s_and_saveexec_b32 s0, vcc_lo
	s_cbranch_execz .LBB172_81
.LBB172_80:
	ds_load_b32 v9, v9 offset:224
	s_wait_dscnt 0x0
	v_add_f32_e32 v1, v1, v9
.LBB172_81:
	s_wait_alu 0xfffe
	s_or_b32 exec_lo, exec_lo, s0
.LBB172_82:
	s_wait_alu 0xfffe
	s_or_b32 exec_lo, exec_lo, s1
	s_mov_b32 s1, 0
	s_wait_loadcnt 0x0
	s_barrier_signal -1
	s_barrier_wait -1
	global_inv scope:SCOPE_SE
	s_mov_b32 s0, exec_lo
	v_cmpx_eq_u32_e32 0, v11
	s_cbranch_execz .LBB172_84
; %bb.83:
	v_bfe_u32 v9, v8, 16, 1
	v_bfe_u32 v10, v7, 16, 1
	v_or_b32_e32 v11, 0x400000, v8
	v_cmp_u_f32_e32 vcc_lo, v8, v8
	v_or_b32_e32 v12, 0x400000, v7
	v_add3_u32 v9, v9, v8, 0x7fff
	v_add3_u32 v10, v10, v7, 0x7fff
	v_bfe_u32 v13, v6, 16, 1
	s_lshl_b32 s2, s20, 6
	s_mul_i32 s4, s7, s16
	s_wait_alu 0xfffd
	v_cndmask_b32_e32 v8, v9, v11, vcc_lo
	v_cmp_u_f32_e32 vcc_lo, v7, v7
	v_bfe_u32 v9, v5, 16, 1
	v_or_b32_e32 v11, 0x400000, v6
	s_wait_alu 0xfffe
	s_ashr_i32 s3, s2, 31
	s_ashr_i32 s5, s4, 31
	s_wait_alu 0xfffd
	v_cndmask_b32_e32 v7, v10, v12, vcc_lo
	v_add3_u32 v10, v13, v6, 0x7fff
	v_cmp_u_f32_e32 vcc_lo, v6, v6
	v_bfe_u32 v12, v4, 16, 1
	v_add3_u32 v9, v9, v5, 0x7fff
	v_or_b32_e32 v13, 0x400000, v5
	s_wait_alu 0xfffe
	s_lshl_b64 s[2:3], s[2:3], 1
	s_wait_alu 0xfffd
	v_cndmask_b32_e32 v6, v10, v11, vcc_lo
	v_cmp_u_f32_e32 vcc_lo, v5, v5
	v_add3_u32 v10, v12, v4, 0x7fff
	v_or_b32_e32 v11, 0x400000, v4
	v_bfe_u32 v12, v2, 16, 1
	s_lshl_b64 s[4:5], s[4:5], 1
	s_wait_alu 0xfffd
	v_cndmask_b32_e32 v5, v9, v13, vcc_lo
	v_bfe_u32 v9, v3, 16, 1
	v_cmp_u_f32_e32 vcc_lo, v4, v4
	v_add3_u32 v12, v12, v2, 0x7fff
	v_or_b32_e32 v13, 0x400000, v2
	s_wait_kmcnt 0x0
	s_wait_alu 0xfffe
	s_add_nc_u64 s[2:3], s[14:15], s[2:3]
	v_add3_u32 v9, v9, v3, 0x7fff
	s_wait_alu 0xfffd
	v_cndmask_b32_e32 v4, v10, v11, vcc_lo
	v_or_b32_e32 v11, 0x400000, v3
	v_cmp_u_f32_e32 vcc_lo, v3, v3
	v_bfe_u32 v10, v1, 16, 1
	v_lshrrev_b32_e32 v0, 1, v0
	v_or_b32_e32 v14, 0x400000, v1
	s_wait_alu 0xfffe
	s_add_nc_u64 s[2:3], s[2:3], s[4:5]
	s_wait_alu 0xfffd
	v_cndmask_b32_e32 v3, v9, v11, vcc_lo
	v_cmp_u_f32_e32 vcc_lo, v2, v2
	v_add3_u32 v10, v10, v1, 0x7fff
	s_lshl_b32 s0, s30, 7
	s_wait_alu 0xfffe
	s_add_nc_u64 s[0:1], s[2:3], s[0:1]
	s_wait_alu 0xfffd
	v_cndmask_b32_e32 v2, v12, v13, vcc_lo
	v_cmp_u_f32_e32 vcc_lo, v1, v1
	s_wait_alu 0xfffd
	v_cndmask_b32_e32 v1, v10, v14, vcc_lo
	s_clause 0x7
	global_store_d16_hi_b16 v0, v8, s[0:1]
	global_store_d16_hi_b16 v0, v7, s[0:1] offset:16
	global_store_d16_hi_b16 v0, v6, s[0:1] offset:32
	;; [unrolled: 1-line block ×7, first 2 shown]
.LBB172_84:
	s_nop 0
	s_sendmsg sendmsg(MSG_DEALLOC_VGPRS)
	s_endpgm
.LBB172_85:
	ds_load_b32 v11, v9
	s_wait_dscnt 0x0
	v_add_f32_e32 v8, v8, v11
	s_wait_alu 0xfffe
	s_or_b32 exec_lo, exec_lo, s0
	s_and_saveexec_b32 s0, vcc_lo
	s_cbranch_execz .LBB172_61
.LBB172_86:
	ds_load_b32 v11, v9 offset:32
	s_wait_dscnt 0x0
	v_add_f32_e32 v7, v7, v11
	s_wait_alu 0xfffe
	s_or_b32 exec_lo, exec_lo, s0
	s_and_saveexec_b32 s0, vcc_lo
	s_cbranch_execz .LBB172_62
.LBB172_87:
	ds_load_b32 v11, v9 offset:64
	s_wait_dscnt 0x0
	v_add_f32_e32 v6, v6, v11
	s_wait_alu 0xfffe
	s_or_b32 exec_lo, exec_lo, s0
	s_and_saveexec_b32 s0, vcc_lo
	s_cbranch_execz .LBB172_63
.LBB172_88:
	ds_load_b32 v11, v9 offset:96
	s_wait_dscnt 0x0
	v_add_f32_e32 v5, v5, v11
	s_wait_alu 0xfffe
	s_or_b32 exec_lo, exec_lo, s0
	s_and_saveexec_b32 s0, vcc_lo
	s_cbranch_execz .LBB172_64
.LBB172_89:
	ds_load_b32 v11, v9 offset:128
	s_wait_dscnt 0x0
	v_add_f32_e32 v4, v4, v11
	s_wait_alu 0xfffe
	s_or_b32 exec_lo, exec_lo, s0
	s_and_saveexec_b32 s0, vcc_lo
	s_cbranch_execz .LBB172_65
.LBB172_90:
	ds_load_b32 v11, v9 offset:160
	s_wait_dscnt 0x0
	v_add_f32_e32 v3, v3, v11
	s_wait_alu 0xfffe
	s_or_b32 exec_lo, exec_lo, s0
	s_and_saveexec_b32 s0, vcc_lo
	s_cbranch_execz .LBB172_66
.LBB172_91:
	ds_load_b32 v11, v9 offset:192
	s_wait_dscnt 0x0
	v_add_f32_e32 v2, v2, v11
	s_wait_alu 0xfffe
	s_or_b32 exec_lo, exec_lo, s0
	s_and_saveexec_b32 s0, vcc_lo
	s_cbranch_execnz .LBB172_67
	s_branch .LBB172_68
.LBB172_92:
	ds_load_b32 v10, v9
	s_wait_dscnt 0x0
	v_add_f32_e32 v8, v8, v10
	s_wait_alu 0xfffe
	s_or_b32 exec_lo, exec_lo, s0
	s_and_saveexec_b32 s0, vcc_lo
	s_cbranch_execz .LBB172_74
.LBB172_93:
	ds_load_b32 v10, v9 offset:32
	s_wait_dscnt 0x0
	v_add_f32_e32 v7, v7, v10
	s_wait_alu 0xfffe
	s_or_b32 exec_lo, exec_lo, s0
	s_and_saveexec_b32 s0, vcc_lo
	s_cbranch_execz .LBB172_75
.LBB172_94:
	ds_load_b32 v10, v9 offset:64
	s_wait_dscnt 0x0
	v_add_f32_e32 v6, v6, v10
	s_wait_alu 0xfffe
	s_or_b32 exec_lo, exec_lo, s0
	s_and_saveexec_b32 s0, vcc_lo
	s_cbranch_execz .LBB172_76
.LBB172_95:
	ds_load_b32 v10, v9 offset:96
	s_wait_dscnt 0x0
	v_add_f32_e32 v5, v5, v10
	s_wait_alu 0xfffe
	s_or_b32 exec_lo, exec_lo, s0
	s_and_saveexec_b32 s0, vcc_lo
	s_cbranch_execz .LBB172_77
.LBB172_96:
	ds_load_b32 v10, v9 offset:128
	s_wait_dscnt 0x0
	v_add_f32_e32 v4, v4, v10
	s_wait_alu 0xfffe
	s_or_b32 exec_lo, exec_lo, s0
	s_and_saveexec_b32 s0, vcc_lo
	s_cbranch_execz .LBB172_78
.LBB172_97:
	ds_load_b32 v10, v9 offset:160
	s_wait_dscnt 0x0
	v_add_f32_e32 v3, v3, v10
	s_wait_alu 0xfffe
	s_or_b32 exec_lo, exec_lo, s0
	s_and_saveexec_b32 s0, vcc_lo
	s_cbranch_execz .LBB172_79
.LBB172_98:
	ds_load_b32 v10, v9 offset:192
	s_wait_dscnt 0x0
	v_add_f32_e32 v2, v2, v10
	s_wait_alu 0xfffe
	s_or_b32 exec_lo, exec_lo, s0
	s_and_saveexec_b32 s0, vcc_lo
	s_cbranch_execnz .LBB172_80
	s_branch .LBB172_81
	.section	.rodata,"a",@progbits
	.p2align	6, 0x0
	.amdhsa_kernel _ZN4vllm25paged_attention_v2_kernelI14__hip_bfloat16S1_Li64ELi32ELi128ELNS_18Fp8KVCacheDataTypeE0ELb1ELi512EEEvPfS3_PT_PKS4_PKT0_SA_ifPKiSC_iPKfiiiSE_SE_iiiii
		.amdhsa_group_segment_fixed_size 160
		.amdhsa_private_segment_fixed_size 0
		.amdhsa_kernarg_size 400
		.amdhsa_user_sgpr_count 2
		.amdhsa_user_sgpr_dispatch_ptr 0
		.amdhsa_user_sgpr_queue_ptr 0
		.amdhsa_user_sgpr_kernarg_segment_ptr 1
		.amdhsa_user_sgpr_dispatch_id 0
		.amdhsa_user_sgpr_private_segment_size 0
		.amdhsa_wavefront_size32 1
		.amdhsa_uses_dynamic_stack 0
		.amdhsa_enable_private_segment 0
		.amdhsa_system_sgpr_workgroup_id_x 1
		.amdhsa_system_sgpr_workgroup_id_y 1
		.amdhsa_system_sgpr_workgroup_id_z 1
		.amdhsa_system_sgpr_workgroup_info 0
		.amdhsa_system_vgpr_workitem_id 0
		.amdhsa_next_free_vgpr 146
		.amdhsa_next_free_sgpr 42
		.amdhsa_reserve_vcc 1
		.amdhsa_float_round_mode_32 0
		.amdhsa_float_round_mode_16_64 0
		.amdhsa_float_denorm_mode_32 3
		.amdhsa_float_denorm_mode_16_64 3
		.amdhsa_fp16_overflow 0
		.amdhsa_workgroup_processor_mode 1
		.amdhsa_memory_ordered 1
		.amdhsa_forward_progress 1
		.amdhsa_inst_pref_size 109
		.amdhsa_round_robin_scheduling 0
		.amdhsa_exception_fp_ieee_invalid_op 0
		.amdhsa_exception_fp_denorm_src 0
		.amdhsa_exception_fp_ieee_div_zero 0
		.amdhsa_exception_fp_ieee_overflow 0
		.amdhsa_exception_fp_ieee_underflow 0
		.amdhsa_exception_fp_ieee_inexact 0
		.amdhsa_exception_int_div_zero 0
	.end_amdhsa_kernel
	.section	.text._ZN4vllm25paged_attention_v2_kernelI14__hip_bfloat16S1_Li64ELi32ELi128ELNS_18Fp8KVCacheDataTypeE0ELb1ELi512EEEvPfS3_PT_PKS4_PKT0_SA_ifPKiSC_iPKfiiiSE_SE_iiiii,"axG",@progbits,_ZN4vllm25paged_attention_v2_kernelI14__hip_bfloat16S1_Li64ELi32ELi128ELNS_18Fp8KVCacheDataTypeE0ELb1ELi512EEEvPfS3_PT_PKS4_PKT0_SA_ifPKiSC_iPKfiiiSE_SE_iiiii,comdat
.Lfunc_end172:
	.size	_ZN4vllm25paged_attention_v2_kernelI14__hip_bfloat16S1_Li64ELi32ELi128ELNS_18Fp8KVCacheDataTypeE0ELb1ELi512EEEvPfS3_PT_PKS4_PKT0_SA_ifPKiSC_iPKfiiiSE_SE_iiiii, .Lfunc_end172-_ZN4vllm25paged_attention_v2_kernelI14__hip_bfloat16S1_Li64ELi32ELi128ELNS_18Fp8KVCacheDataTypeE0ELb1ELi512EEEvPfS3_PT_PKS4_PKT0_SA_ifPKiSC_iPKfiiiSE_SE_iiiii
                                        ; -- End function
	.set _ZN4vllm25paged_attention_v2_kernelI14__hip_bfloat16S1_Li64ELi32ELi128ELNS_18Fp8KVCacheDataTypeE0ELb1ELi512EEEvPfS3_PT_PKS4_PKT0_SA_ifPKiSC_iPKfiiiSE_SE_iiiii.num_vgpr, 146
	.set _ZN4vllm25paged_attention_v2_kernelI14__hip_bfloat16S1_Li64ELi32ELi128ELNS_18Fp8KVCacheDataTypeE0ELb1ELi512EEEvPfS3_PT_PKS4_PKT0_SA_ifPKiSC_iPKfiiiSE_SE_iiiii.num_agpr, 0
	.set _ZN4vllm25paged_attention_v2_kernelI14__hip_bfloat16S1_Li64ELi32ELi128ELNS_18Fp8KVCacheDataTypeE0ELb1ELi512EEEvPfS3_PT_PKS4_PKT0_SA_ifPKiSC_iPKfiiiSE_SE_iiiii.numbered_sgpr, 42
	.set _ZN4vllm25paged_attention_v2_kernelI14__hip_bfloat16S1_Li64ELi32ELi128ELNS_18Fp8KVCacheDataTypeE0ELb1ELi512EEEvPfS3_PT_PKS4_PKT0_SA_ifPKiSC_iPKfiiiSE_SE_iiiii.num_named_barrier, 0
	.set _ZN4vllm25paged_attention_v2_kernelI14__hip_bfloat16S1_Li64ELi32ELi128ELNS_18Fp8KVCacheDataTypeE0ELb1ELi512EEEvPfS3_PT_PKS4_PKT0_SA_ifPKiSC_iPKfiiiSE_SE_iiiii.private_seg_size, 0
	.set _ZN4vllm25paged_attention_v2_kernelI14__hip_bfloat16S1_Li64ELi32ELi128ELNS_18Fp8KVCacheDataTypeE0ELb1ELi512EEEvPfS3_PT_PKS4_PKT0_SA_ifPKiSC_iPKfiiiSE_SE_iiiii.uses_vcc, 1
	.set _ZN4vllm25paged_attention_v2_kernelI14__hip_bfloat16S1_Li64ELi32ELi128ELNS_18Fp8KVCacheDataTypeE0ELb1ELi512EEEvPfS3_PT_PKS4_PKT0_SA_ifPKiSC_iPKfiiiSE_SE_iiiii.uses_flat_scratch, 0
	.set _ZN4vllm25paged_attention_v2_kernelI14__hip_bfloat16S1_Li64ELi32ELi128ELNS_18Fp8KVCacheDataTypeE0ELb1ELi512EEEvPfS3_PT_PKS4_PKT0_SA_ifPKiSC_iPKfiiiSE_SE_iiiii.has_dyn_sized_stack, 0
	.set _ZN4vllm25paged_attention_v2_kernelI14__hip_bfloat16S1_Li64ELi32ELi128ELNS_18Fp8KVCacheDataTypeE0ELb1ELi512EEEvPfS3_PT_PKS4_PKT0_SA_ifPKiSC_iPKfiiiSE_SE_iiiii.has_recursion, 0
	.set _ZN4vllm25paged_attention_v2_kernelI14__hip_bfloat16S1_Li64ELi32ELi128ELNS_18Fp8KVCacheDataTypeE0ELb1ELi512EEEvPfS3_PT_PKS4_PKT0_SA_ifPKiSC_iPKfiiiSE_SE_iiiii.has_indirect_call, 0
	.section	.AMDGPU.csdata,"",@progbits
; Kernel info:
; codeLenInByte = 13832
; TotalNumSgprs: 44
; NumVgprs: 146
; ScratchSize: 0
; MemoryBound: 0
; FloatMode: 240
; IeeeMode: 1
; LDSByteSize: 160 bytes/workgroup (compile time only)
; SGPRBlocks: 0
; VGPRBlocks: 18
; NumSGPRsForWavesPerEU: 44
; NumVGPRsForWavesPerEU: 146
; Occupancy: 9
; WaveLimiterHint : 1
; COMPUTE_PGM_RSRC2:SCRATCH_EN: 0
; COMPUTE_PGM_RSRC2:USER_SGPR: 2
; COMPUTE_PGM_RSRC2:TRAP_HANDLER: 0
; COMPUTE_PGM_RSRC2:TGID_X_EN: 1
; COMPUTE_PGM_RSRC2:TGID_Y_EN: 1
; COMPUTE_PGM_RSRC2:TGID_Z_EN: 1
; COMPUTE_PGM_RSRC2:TIDIG_COMP_CNT: 0
	.section	.text._ZN4vllm25paged_attention_v2_kernelI14__hip_bfloat16S1_Li80ELi32ELi128ELNS_18Fp8KVCacheDataTypeE0ELb1ELi512EEEvPfS3_PT_PKS4_PKT0_SA_ifPKiSC_iPKfiiiSE_SE_iiiii,"axG",@progbits,_ZN4vllm25paged_attention_v2_kernelI14__hip_bfloat16S1_Li80ELi32ELi128ELNS_18Fp8KVCacheDataTypeE0ELb1ELi512EEEvPfS3_PT_PKS4_PKT0_SA_ifPKiSC_iPKfiiiSE_SE_iiiii,comdat
	.protected	_ZN4vllm25paged_attention_v2_kernelI14__hip_bfloat16S1_Li80ELi32ELi128ELNS_18Fp8KVCacheDataTypeE0ELb1ELi512EEEvPfS3_PT_PKS4_PKT0_SA_ifPKiSC_iPKfiiiSE_SE_iiiii ; -- Begin function _ZN4vllm25paged_attention_v2_kernelI14__hip_bfloat16S1_Li80ELi32ELi128ELNS_18Fp8KVCacheDataTypeE0ELb1ELi512EEEvPfS3_PT_PKS4_PKT0_SA_ifPKiSC_iPKfiiiSE_SE_iiiii
	.globl	_ZN4vllm25paged_attention_v2_kernelI14__hip_bfloat16S1_Li80ELi32ELi128ELNS_18Fp8KVCacheDataTypeE0ELb1ELi512EEEvPfS3_PT_PKS4_PKT0_SA_ifPKiSC_iPKfiiiSE_SE_iiiii
	.p2align	8
	.type	_ZN4vllm25paged_attention_v2_kernelI14__hip_bfloat16S1_Li80ELi32ELi128ELNS_18Fp8KVCacheDataTypeE0ELb1ELi512EEEvPfS3_PT_PKS4_PKT0_SA_ifPKiSC_iPKfiiiSE_SE_iiiii,@function
_ZN4vllm25paged_attention_v2_kernelI14__hip_bfloat16S1_Li80ELi32ELi128ELNS_18Fp8KVCacheDataTypeE0ELb1ELi512EEEvPfS3_PT_PKS4_PKT0_SA_ifPKiSC_iPKfiiiSE_SE_iiiii: ; @_ZN4vllm25paged_attention_v2_kernelI14__hip_bfloat16S1_Li80ELi32ELi128ELNS_18Fp8KVCacheDataTypeE0ELb1ELi512EEEvPfS3_PT_PKS4_PKT0_SA_ifPKiSC_iPKfiiiSE_SE_iiiii
; %bb.0:
	s_load_b64 s[2:3], s[0:1], 0x40
	s_and_b32 s20, ttmp7, 0xffff
	s_lshr_b32 s30, ttmp7, 16
	s_lshl_b32 s4, s20, 2
	s_lshl_b32 s34, s30, 9
	s_wait_kmcnt 0x0
	s_load_b32 s31, s[2:3], s4 offset:0x0
	s_wait_kmcnt 0x0
	s_cmp_ge_i32 s34, s31
	s_cbranch_scc1 .LBB173_92
; %bb.1:
	s_clause 0x1
	s_load_b32 s21, s[0:1], 0x90
	s_load_b64 s[8:9], s[0:1], 0x30
	s_wait_kmcnt 0x0
	s_abs_i32 s5, s21
	s_abs_i32 s2, s8
	s_delay_alu instid0(SALU_CYCLE_1) | instskip(SKIP_1) | instid1(SALU_CYCLE_2)
	s_cvt_f32_u32 s3, s2
	s_sub_co_i32 s4, 0, s2
	v_rcp_iflag_f32_e32 v1, s3
	s_delay_alu instid0(TRANS32_DEP_1) | instskip(SKIP_2) | instid1(SALU_CYCLE_2)
	v_readfirstlane_b32 s3, v1
	s_mul_f32 s3, s3, 0x4f7ffffe
	s_wait_alu 0xfffe
	s_cvt_u32_f32 s3, s3
	s_wait_alu 0xfffe
	s_delay_alu instid0(SALU_CYCLE_2) | instskip(NEXT) | instid1(SALU_CYCLE_1)
	s_mul_i32 s4, s4, s3
	s_mul_hi_u32 s4, s3, s4
	s_delay_alu instid0(SALU_CYCLE_1)
	s_add_co_i32 s3, s3, s4
	s_xor_b32 s4, s21, s8
	s_wait_alu 0xfffe
	s_mul_hi_u32 s3, s5, s3
	s_ashr_i32 s4, s4, 31
	s_wait_alu 0xfffe
	s_mul_i32 s6, s3, s2
	s_delay_alu instid0(SALU_CYCLE_1)
	s_sub_co_i32 s5, s5, s6
	s_add_co_i32 s6, s3, 1
	s_sub_co_i32 s7, s5, s2
	s_cmp_ge_u32 s5, s2
	s_cselect_b32 s3, s6, s3
	s_cselect_b32 s5, s7, s5
	s_wait_alu 0xfffe
	s_add_co_i32 s6, s3, 1
	s_cmp_ge_u32 s5, s2
	s_cselect_b32 s2, s6, s3
	s_load_b64 s[6:7], s[0:1], 0x50
	s_xor_b32 s2, s2, s4
	s_mov_b32 s3, 0
	s_wait_alu 0xfffe
	s_sub_co_i32 s16, s2, s4
	s_mov_b32 s15, s3
	s_abs_i32 s18, s16
	s_delay_alu instid0(SALU_CYCLE_1) | instskip(SKIP_1) | instid1(SALU_CYCLE_2)
	s_cvt_f32_u32 s2, s18
	s_wait_alu 0xfffe
	v_rcp_iflag_f32_e32 v1, s2
	s_delay_alu instid0(TRANS32_DEP_1) | instskip(SKIP_2) | instid1(SALU_CYCLE_2)
	v_readfirstlane_b32 s2, v1
	s_mul_f32 s2, s2, 0x4f7ffffe
	s_wait_alu 0xfffe
	s_cvt_u32_f32 s4, s2
	s_sub_co_i32 s2, 0, s18
	s_wait_alu 0xfffe
	s_delay_alu instid0(SALU_CYCLE_1)
	s_mul_i32 s2, s2, s4
	s_wait_alu 0xfffe
	s_mul_hi_u32 s5, s4, s2
	s_abs_i32 s2, ttmp9
	s_add_co_i32 s4, s4, s5
	s_mov_b32 s5, s3
	s_wait_kmcnt 0x0
	s_cmp_eq_u64 s[6:7], 0
	s_cbranch_scc1 .LBB173_3
; %bb.2:
	s_mov_b32 s10, ttmp9
	s_ashr_i32 s11, ttmp9, 31
	s_delay_alu instid0(SALU_CYCLE_1) | instskip(NEXT) | instid1(SALU_CYCLE_1)
	s_lshl_b64 s[10:11], s[10:11], 2
	s_add_nc_u64 s[6:7], s[6:7], s[10:11]
	s_load_b32 s15, s[6:7], 0x0
.LBB173_3:
	s_load_b96 s[12:14], s[0:1], 0x58
	v_lshlrev_b32_e32 v15, 4, v0
	s_mul_u64 s[10:11], s[2:3], s[4:5]
	s_ashr_i32 s3, ttmp9, 31
	s_ashr_i32 s10, s16, 31
	s_mul_i32 s16, ttmp9, 0x50
	s_mov_b32 s4, exec_lo
	v_cmpx_gt_u32_e32 10, v0
	s_cbranch_execz .LBB173_5
; %bb.4:
	s_load_b64 s[6:7], s[0:1], 0x18
	s_wait_kmcnt 0x0
	s_mul_i32 s22, s12, s20
	s_ashr_i32 s17, s16, 31
	s_ashr_i32 s23, s22, 31
	s_delay_alu instid0(SALU_CYCLE_1) | instskip(NEXT) | instid1(SALU_CYCLE_1)
	s_lshl_b64 s[22:23], s[22:23], 1
	s_add_nc_u64 s[6:7], s[6:7], s[22:23]
	s_lshl_b64 s[22:23], s[16:17], 1
	s_delay_alu instid0(SALU_CYCLE_1)
	s_add_nc_u64 s[6:7], s[6:7], s[22:23]
	global_load_b128 v[1:4], v15, s[6:7]
	s_wait_loadcnt 0x0
	ds_store_b128 v15, v[1:4]
.LBB173_5:
	s_or_b32 exec_lo, exec_lo, s4
	s_clause 0x1
	s_load_b128 s[4:7], s[0:1], 0x78
	s_load_b32 s22, s[0:1], 0x88
	s_wait_kmcnt 0x0
	s_mul_i32 s12, s11, s18
	s_xor_b32 s3, s3, s10
	s_sub_co_i32 s2, s2, s12
	s_add_co_i32 s10, s11, 1
	s_wait_alu 0xfffe
	s_sub_co_i32 s12, s2, s18
	s_cmp_ge_u32 s2, s18
	s_mov_b32 s24, -1
	s_cselect_b32 s10, s10, s11
	s_cselect_b32 s2, s12, s2
	s_add_co_i32 s11, s10, 1
	s_wait_alu 0xfffe
	s_cmp_ge_u32 s2, s18
	s_wait_dscnt 0x0
	s_cselect_b32 s2, s11, s10
	s_add_co_i32 s23, s31, -1
	s_wait_alu 0xfffe
	s_xor_b32 s2, s2, s3
	s_barrier_signal -1
	s_wait_alu 0xfffe
	s_sub_co_i32 s26, s2, s3
	s_barrier_wait -1
	s_abs_i32 s12, s7
	global_inv scope:SCOPE_SE
	s_cvt_f32_u32 s10, s12
                                        ; implicit-def: $sgpr17
	s_delay_alu instid0(SALU_CYCLE_3) | instskip(NEXT) | instid1(TRANS32_DEP_1)
	v_rcp_iflag_f32_e32 v1, s10
	v_readfirstlane_b32 s10, v1
	s_mul_f32 s2, s10, 0x4f7ffffe
	s_wait_alu 0xfffe
	s_delay_alu instid0(SALU_CYCLE_2) | instskip(SKIP_2) | instid1(SALU_CYCLE_1)
	s_cvt_u32_f32 s10, s2
	s_sub_co_i32 s2, 0, s12
	s_wait_alu 0xfffe
	s_mul_i32 s3, s2, s10
	s_abs_i32 s2, s23
	s_wait_alu 0xfffe
	s_mul_hi_u32 s11, s10, s3
	s_mov_b32 s3, 0
	s_wait_alu 0xfffe
	s_add_co_i32 s18, s10, s11
	s_cmp_lt_i32 s22, 0
	s_mov_b32 s19, s3
	s_cbranch_scc0 .LBB173_7
; %bb.6:
	s_mul_i32 s8, s4, s8
	s_mov_b32 s24, s3
	s_add_co_i32 s8, s26, s8
	s_delay_alu instid0(SALU_CYCLE_1) | instskip(NEXT) | instid1(SALU_CYCLE_1)
	s_mul_i32 s8, s8, s22
	s_sub_co_i32 s17, 1, s8
.LBB173_7:
	s_mul_u64 s[10:11], s[2:3], s[18:19]
	s_ashr_i32 s3, s23, 31
	s_and_not1_b32 vcc_lo, exec_lo, s24
	s_ashr_i32 s19, s7, 31
	s_cbranch_vccnz .LBB173_9
; %bb.8:
	s_mul_i32 s4, s21, s4
	s_delay_alu instid0(SALU_CYCLE_1) | instskip(NEXT) | instid1(SALU_CYCLE_1)
	s_add_co_i32 s4, s4, ttmp9
	s_mul_i32 s4, s4, s22
	s_delay_alu instid0(SALU_CYCLE_1)
	s_add_co_i32 s17, s4, 1
.LBB173_9:
	s_clause 0x2
	s_load_b32 s4, s[0:1], 0x48
	s_load_b64 s[22:23], s[0:1], 0x38
	s_load_b32 s7, s[0:1], 0x98
	s_mul_i32 s8, s11, s12
	s_xor_b32 s3, s3, s19
	s_sub_co_i32 s2, s2, s8
	s_add_co_i32 s10, s11, 1
	v_lshrrev_b32_e32 v51, 5, v0
	v_and_b32_e32 v52, 31, v0
	v_mov_b32_e32 v86, 0xff7fffff
	s_mul_i32 s26, s26, s14
	s_delay_alu instid0(VALU_DEP_3) | instskip(NEXT) | instid1(VALU_DEP_3)
	v_lshl_add_u32 v53, v51, 5, s34
	v_lshlrev_b32_e32 v17, 2, v52
	s_wait_kmcnt 0x0
	s_mul_i32 s24, s4, s20
	s_wait_alu 0xfffe
	s_sub_co_i32 s4, s2, s12
	s_ashr_i32 s25, s24, 31
	s_cmp_ge_u32 s2, s12
	s_cselect_b32 s8, s10, s11
	s_cselect_b32 s2, s4, s2
	s_add_co_i32 s4, s8, 1
	s_wait_alu 0xfffe
	s_cmp_ge_u32 s2, s12
	s_cselect_b32 s2, s4, s8
	s_add_co_i32 s4, s31, 31
	s_lshl_b32 s37, s30, 4
	s_ashr_i32 s8, s4, 31
	v_add_nc_u32_e32 v54, s37, v51
	s_lshr_b32 s8, s8, 27
	s_delay_alu instid0(SALU_CYCLE_1)
	s_add_co_i32 s4, s4, s8
	s_add_co_i32 s8, s37, 16
	s_ashr_i32 s35, s4, 5
	s_wait_alu 0xfffe
	s_xor_b32 s4, s2, s3
	s_min_i32 s33, s8, s35
	v_lshlrev_b32_e32 v16, 2, v54
	v_cmp_gt_i32_e64 s2, s33, v54
	s_sub_co_i32 s36, s4, s3
	s_and_saveexec_b32 s8, s2
	s_cbranch_execz .LBB173_17
; %bb.10:
	s_load_b64 s[28:29], s[0:1], 0x20
	v_dual_mov_b32 v13, 0 :: v_dual_lshlrev_b32 v14, 4, v52
	s_ashr_i32 s27, s26, 31
	s_sub_co_i32 s10, s36, s5
	ds_load_b128 v[1:4], v13
	ds_load_b128 v[5:8], v13 offset:16
	s_lshl_b64 s[38:39], s[26:27], 1
	s_cmp_neq_f32 s15, 0
	ds_load_b128 v[9:12], v13 offset:32
	ds_load_b128 v[78:81], v13 offset:48
	;; [unrolled: 1-line block ×4, first 2 shown]
	s_cselect_b32 vcc_lo, -1, 0
	s_abs_i32 s14, s6
	ds_load_b128 v[90:93], v13 offset:96
	ds_load_b128 v[94:97], v13 offset:112
	;; [unrolled: 1-line block ×4, first 2 shown]
	s_sub_co_i32 s4, 0, s14
	s_mov_b32 s11, s13
	v_mov_b32_e32 v108, 0xff7fffff
	s_wait_kmcnt 0x0
	s_add_nc_u64 s[28:29], s[28:29], s[38:39]
	v_mov_b32_e32 v109, v54
	v_add_co_u32 v18, s3, s28, v14
	s_wait_alu 0xf1ff
	v_add_co_ci_u32_e64 v19, null, s29, 0, s3
	s_cvt_f32_u32 s3, s14
	s_wait_dscnt 0x9
	v_and_b32_e32 v20, 0xffff0000, v1
	v_lshlrev_b32_e32 v21, 16, v1
	s_lshl_b64 s[28:29], s[24:25], 2
	s_wait_alu 0xfffe
	v_rcp_iflag_f32_e32 v1, s3
	v_and_b32_e32 v38, 0xffff0000, v2
	v_lshlrev_b32_e32 v39, 16, v2
	v_lshl_or_b32 v2, v51, 7, v17
	s_add_nc_u64 s[28:29], s[22:23], s[28:29]
	s_wait_dscnt 0x8
	v_and_b32_e32 v22, 0xffff0000, v5
	s_wait_alu 0xfffe
	v_add_co_u32 v13, s27, s28, v16
	v_lshlrev_b32_e32 v23, 16, v5
	s_wait_dscnt 0x7
	v_and_b32_e32 v24, 0xffff0000, v9
	v_readfirstlane_b32 s3, v1
	v_subrev_nc_u32_e32 v1, s31, v52
	v_lshlrev_b32_e32 v25, 16, v9
	s_wait_dscnt 0x6
	v_and_b32_e32 v26, 0xffff0000, v78
	v_lshlrev_b32_e32 v27, 16, v78
	s_mul_f32 s3, s3, 0x4f7ffffe
	s_wait_dscnt 0x5
	v_and_b32_e32 v28, 0xffff0000, v82
	v_lshlrev_b32_e32 v29, 16, v82
	s_wait_dscnt 0x4
	v_and_b32_e32 v30, 0xffff0000, v86
	s_wait_alu 0xfffe
	s_cvt_u32_f32 s3, s3
	v_lshlrev_b32_e32 v31, 16, v86
	s_wait_dscnt 0x3
	v_and_b32_e32 v32, 0xffff0000, v90
	v_lshlrev_b32_e32 v33, 16, v90
	s_wait_alu 0xfffe
	s_mul_i32 s4, s4, s3
	s_wait_dscnt 0x2
	v_and_b32_e32 v34, 0xffff0000, v94
	v_lshlrev_b32_e32 v35, 16, v94
	s_wait_dscnt 0x1
	v_and_b32_e32 v36, 0xffff0000, v98
	v_lshlrev_b32_e32 v37, 16, v98
	v_and_b32_e32 v40, 0xffff0000, v6
	v_lshlrev_b32_e32 v41, 16, v6
	;; [unrolled: 2-line block ×20, first 2 shown]
	v_and_b32_e32 v82, 0xffff0000, v96
	v_and_b32_e32 v83, 0xffff0000, v85
	v_lshlrev_b32_e32 v84, 16, v85
	v_lshlrev_b32_e32 v85, 16, v96
	v_and_b32_e32 v87, 0xffff0000, v100
	v_and_b32_e32 v88, 0xffff0000, v89
	v_lshlrev_b32_e32 v89, 16, v89
	v_lshlrev_b32_e32 v90, 16, v100
	v_and_b32_e32 v91, 0xffff0000, v93
	v_lshlrev_b32_e32 v92, 16, v93
	v_and_b32_e32 v93, 0xffff0000, v97
	;; [unrolled: 2-line block ×3, first 2 shown]
	v_lshlrev_b32_e32 v96, 16, v101
	s_wait_dscnt 0x0
	v_and_b32_e32 v97, 0xffff0000, v102
	v_lshlrev_b32_e32 v98, 16, v102
	v_and_b32_e32 v99, 0xffff0000, v103
	v_lshlrev_b32_e32 v100, 16, v103
	;; [unrolled: 2-line block ×4, first 2 shown]
	v_add_co_ci_u32_e64 v14, null, s29, 0, s27
	v_lshl_add_u32 v105, v51, 5, s34
	v_add_nc_u32_e32 v106, 1, v1
	v_add_nc_u32_e32 v107, 0xc0, v2
	v_mov_b32_e32 v86, 0xff7fffff
	s_mul_hi_u32 s4, s3, s4
	s_mov_b32 s27, 0
	s_add_co_i32 s28, s3, s4
	s_branch .LBB173_12
.LBB173_11:                             ;   in Loop: Header=BB173_12 Depth=1
	s_wait_alu 0xfffe
	s_or_b32 exec_lo, exec_lo, s4
	v_add_nc_u32_e32 v109, 4, v109
	v_add_co_u32 v13, s4, v13, 16
	s_wait_alu 0xf1ff
	v_add_co_ci_u32_e64 v14, null, 0, v14, s4
	s_delay_alu instid0(VALU_DEP_3)
	v_cmp_le_i32_e64 s3, s33, v109
	v_add_nc_u32_e32 v105, 0x80, v105
	v_add_nc_u32_e32 v107, 0x200, v107
	s_or_b32 s27, s3, s27
	s_wait_alu 0xfffe
	s_and_not1_b32 exec_lo, exec_lo, s27
	s_cbranch_execz .LBB173_16
.LBB173_12:                             ; =>This Inner Loop Header: Depth=1
	v_sub_nc_u32_e32 v1, 0, v105
	s_delay_alu instid0(VALU_DEP_1) | instskip(NEXT) | instid1(VALU_DEP_1)
	v_max_i32_e32 v1, v105, v1
	v_mul_hi_u32 v2, v1, s18
	s_delay_alu instid0(VALU_DEP_1) | instskip(NEXT) | instid1(VALU_DEP_1)
	v_mul_lo_u32 v3, v2, s12
	v_sub_nc_u32_e32 v1, v1, v3
	v_add_nc_u32_e32 v3, 1, v2
	s_delay_alu instid0(VALU_DEP_2) | instskip(SKIP_2) | instid1(VALU_DEP_1)
	v_subrev_nc_u32_e32 v4, s12, v1
	v_cmp_le_u32_e64 s3, s12, v1
	s_wait_alu 0xf1ff
	v_cndmask_b32_e64 v2, v2, v3, s3
	s_delay_alu instid0(VALU_DEP_3) | instskip(SKIP_1) | instid1(VALU_DEP_3)
	v_cndmask_b32_e64 v1, v1, v4, s3
	v_ashrrev_i32_e32 v3, 31, v105
	v_add_nc_u32_e32 v4, 1, v2
	s_delay_alu instid0(VALU_DEP_3) | instskip(NEXT) | instid1(VALU_DEP_3)
	v_cmp_le_u32_e64 s3, s12, v1
	v_xor_b32_e32 v3, s19, v3
	s_wait_alu 0xf1ff
	s_delay_alu instid0(VALU_DEP_2) | instskip(NEXT) | instid1(VALU_DEP_1)
	v_cndmask_b32_e64 v1, v2, v4, s3
	v_xor_b32_e32 v1, v1, v3
	s_delay_alu instid0(VALU_DEP_1) | instskip(NEXT) | instid1(VALU_DEP_1)
	v_sub_nc_u32_e32 v1, v1, v3
	v_add_nc_u32_e32 v2, s17, v1
	v_cmp_ge_i32_e64 s4, s10, v1
	s_delay_alu instid0(VALU_DEP_2) | instskip(NEXT) | instid1(VALU_DEP_1)
	v_sub_nc_u32_e32 v3, 0, v2
	v_max_i32_e32 v3, v2, v3
	v_ashrrev_i32_e32 v2, 31, v2
	s_wait_alu 0xfffe
	s_delay_alu instid0(VALU_DEP_2) | instskip(NEXT) | instid1(VALU_DEP_1)
	v_mul_hi_u32 v4, v3, s28
	v_mul_lo_u32 v4, v4, s14
	s_delay_alu instid0(VALU_DEP_1) | instskip(NEXT) | instid1(VALU_DEP_1)
	v_sub_nc_u32_e32 v3, v3, v4
	v_subrev_nc_u32_e32 v4, s14, v3
	v_cmp_le_u32_e64 s3, s14, v3
	s_wait_alu 0xf1ff
	s_delay_alu instid0(VALU_DEP_1) | instskip(NEXT) | instid1(VALU_DEP_1)
	v_cndmask_b32_e64 v3, v3, v4, s3
	v_subrev_nc_u32_e32 v4, s14, v3
	v_cmp_le_u32_e64 s3, s14, v3
	s_wait_alu 0xf1ff
	s_delay_alu instid0(VALU_DEP_1) | instskip(NEXT) | instid1(VALU_DEP_1)
	v_cndmask_b32_e64 v3, v3, v4, s3
	v_xor_b32_e32 v3, v3, v2
	s_delay_alu instid0(VALU_DEP_1) | instskip(NEXT) | instid1(VALU_DEP_1)
	v_sub_nc_u32_e32 v2, v3, v2
	v_cmp_ne_u32_e64 s3, 0, v2
	s_and_b32 s3, s3, s4
	s_wait_alu 0xfffe
	s_and_saveexec_b32 s4, s3
	s_wait_alu 0xfffe
	s_xor_b32 s3, exec_lo, s4
; %bb.13:                               ;   in Loop: Header=BB173_12 Depth=1
	ds_store_b32 v107, v108
; %bb.14:                               ;   in Loop: Header=BB173_12 Depth=1
	s_wait_alu 0xfffe
	s_and_not1_saveexec_b32 s4, s3
	s_cbranch_execz .LBB173_11
; %bb.15:                               ;   in Loop: Header=BB173_12 Depth=1
	global_load_b32 v1, v[13:14], off
	s_wait_loadcnt 0x0
	v_mad_co_i64_i32 v[1:2], null, v1, s11, 0
	s_delay_alu instid0(VALU_DEP_1) | instskip(NEXT) | instid1(VALU_DEP_1)
	v_lshlrev_b64_e32 v[1:2], 1, v[1:2]
	v_add_co_u32 v134, s3, v18, v1
	s_wait_alu 0xf1ff
	s_delay_alu instid0(VALU_DEP_2)
	v_add_co_ci_u32_e64 v135, null, v19, v2, s3
	s_clause 0x9
	global_load_b128 v[9:12], v[134:135], off
	global_load_b128 v[5:8], v[134:135], off offset:512
	global_load_b128 v[1:4], v[134:135], off offset:1024
	;; [unrolled: 1-line block ×9, first 2 shown]
	s_wait_loadcnt 0x8
	v_and_b32_e32 v140, 0xffff0000, v5
	v_lshlrev_b32_e32 v139, 16, v9
	s_wait_loadcnt 0x7
	v_and_b32_e32 v149, 0xffff0000, v3
	s_wait_loadcnt 0x6
	v_lshlrev_b32_e32 v153, 16, v112
	v_and_b32_e32 v144, 0xffff0000, v7
	v_dual_mul_f32 v140, v22, v140 :: v_dual_lshlrev_b32 v7, 16, v7
	v_add_nc_u32_e32 v138, v106, v105
	v_lshlrev_b32_e32 v3, 16, v3
	v_and_b32_e32 v146, 0xffff0000, v8
	v_lshlrev_b32_e32 v143, 16, v11
	v_mul_f32_e32 v7, v63, v7
	s_wait_loadcnt 0x5
	v_and_b32_e32 v155, 0xffff0000, v114
	s_wait_loadcnt 0x2
	v_dual_mul_f32 v146, v72, v146 :: v_dual_lshlrev_b32 v169, 16, v128
	v_dual_fmac_f32 v7, v61, v143 :: v_dual_and_b32 v142, 0xffff0000, v6
	v_and_b32_e32 v9, 0xffff0000, v9
	v_lshlrev_b32_e32 v114, 16, v114
	v_lshlrev_b32_e32 v159, 16, v118
	s_delay_alu instid0(VALU_DEP_4) | instskip(NEXT) | instid1(VALU_DEP_4)
	v_dual_mul_f32 v142, v40, v142 :: v_dual_fmac_f32 v7, v65, v3
	v_dual_fmac_f32 v140, v20, v9 :: v_dual_and_b32 v163, 0xffff0000, v122
	v_lshlrev_b32_e32 v122, 16, v122
	s_delay_alu instid0(VALU_DEP_3)
	v_dual_fmac_f32 v7, v67, v153 :: v_dual_lshlrev_b32 v160, 16, v119
	v_dual_mul_f32 v144, v62, v144 :: v_dual_lshlrev_b32 v141, 16, v10
	v_and_b32_e32 v147, 0xffff0000, v1
	v_lshlrev_b32_e32 v1, 16, v1
	v_lshlrev_b32_e32 v6, 16, v6
	;; [unrolled: 1-line block ×5, first 2 shown]
	s_wait_loadcnt 0x1
	v_and_b32_e32 v171, 0xffff0000, v130
	v_mul_f32_e32 v6, v41, v6
	v_dual_mul_f32 v5, v23, v5 :: v_dual_and_b32 v10, 0xffff0000, v10
	v_lshlrev_b32_e32 v145, 16, v12
	v_lshlrev_b32_e32 v130, 16, v130
	s_delay_alu instid0(VALU_DEP_4) | instskip(NEXT) | instid1(VALU_DEP_4)
	v_fmac_f32_e32 v6, v39, v141
	v_dual_fmac_f32 v142, v38, v10 :: v_dual_fmac_f32 v5, v21, v139
	v_lshlrev_b32_e32 v162, 16, v121
	v_lshlrev_b32_e32 v168, 16, v127
	s_wait_loadcnt 0x0
	v_lshlrev_b32_e32 v176, 16, v135
	v_and_b32_e32 v166, 0xffff0000, v125
	v_dual_fmac_f32 v5, v25, v1 :: v_dual_and_b32 v12, 0xffff0000, v12
	v_lshlrev_b32_e32 v170, 16, v129
	v_and_b32_e32 v174, 0xffff0000, v133
	v_and_b32_e32 v172, 0xffff0000, v131
	s_delay_alu instid0(VALU_DEP_4) | instskip(SKIP_3) | instid1(VALU_DEP_4)
	v_dual_fmac_f32 v5, v27, v151 :: v_dual_lshlrev_b32 v8, 16, v8
	v_fmac_f32_e32 v146, v68, v12
	v_and_b32_e32 v128, 0xffff0000, v128
	v_cvt_f32_i32_e32 v3, v138
	v_fmac_f32_e32 v5, v29, v114
	v_dual_mul_f32 v8, v73, v8 :: v_dual_and_b32 v11, 0xffff0000, v11
	s_delay_alu instid0(VALU_DEP_2) | instskip(NEXT) | instid1(VALU_DEP_2)
	v_fmac_f32_e32 v5, v31, v159
	v_fmac_f32_e32 v144, v60, v11
	v_dual_fmac_f32 v140, v24, v147 :: v_dual_and_b32 v157, 0xffff0000, v116
	v_lshlrev_b32_e32 v116, 16, v116
	v_and_b32_e32 v148, 0xffff0000, v2
	v_lshlrev_b32_e32 v2, 16, v2
	v_dual_fmac_f32 v5, v33, v122 :: v_dual_and_b32 v150, 0xffff0000, v4
	v_lshlrev_b32_e32 v167, 16, v126
	v_and_b32_e32 v110, 0xffff0000, v110
	s_delay_alu instid0(VALU_DEP_4) | instskip(SKIP_1) | instid1(VALU_DEP_4)
	v_fmac_f32_e32 v6, v43, v2
	v_fmac_f32_e32 v7, v71, v116
	v_dual_fmac_f32 v5, v35, v167 :: v_dual_lshlrev_b32 v4, 16, v4
	v_lshlrev_b32_e32 v152, 16, v111
	v_dual_fmac_f32 v8, v69, v145 :: v_dual_and_b32 v111, 0xffff0000, v111
	s_delay_alu instid0(VALU_DEP_4) | instskip(NEXT) | instid1(VALU_DEP_4)
	v_fmac_f32_e32 v7, v75, v161
	v_fmac_f32_e32 v5, v37, v130
	s_delay_alu instid0(VALU_DEP_4)
	v_fmac_f32_e32 v6, v45, v152
	v_and_b32_e32 v165, 0xffff0000, v124
	v_lshlrev_b32_e32 v124, 16, v124
	v_lshlrev_b32_e32 v154, 16, v113
	v_fmac_f32_e32 v8, v77, v4
	v_dual_fmac_f32 v140, v26, v110 :: v_dual_and_b32 v113, 0xffff0000, v113
	v_fmac_f32_e32 v142, v42, v148
	v_fmac_f32_e32 v7, v79, v124
	s_delay_alu instid0(VALU_DEP_4) | instskip(NEXT) | instid1(VALU_DEP_4)
	v_dual_fmac_f32 v8, v81, v154 :: v_dual_and_b32 v121, 0xffff0000, v121
	v_dual_fmac_f32 v140, v28, v155 :: v_dual_and_b32 v173, 0xffff0000, v132
	s_delay_alu instid0(VALU_DEP_3) | instskip(SKIP_3) | instid1(VALU_DEP_4)
	v_dual_fmac_f32 v7, v85, v169 :: v_dual_lshlrev_b32 v132, 16, v132
	v_and_b32_e32 v158, 0xffff0000, v117
	v_dual_fmac_f32 v142, v44, v111 :: v_dual_lshlrev_b32 v117, 16, v117
	v_and_b32_e32 v127, 0xffff0000, v127
	v_dual_fmac_f32 v7, v90, v132 :: v_dual_and_b32 v126, 0xffff0000, v126
	s_delay_alu instid0(VALU_DEP_3) | instskip(SKIP_3) | instid1(VALU_DEP_4)
	v_dual_fmac_f32 v8, v84, v117 :: v_dual_lshlrev_b32 v177, 16, v136
	v_and_b32_e32 v175, 0xffff0000, v134
	v_lshlrev_b32_e32 v134, 16, v134
	v_and_b32_e32 v112, 0xffff0000, v112
	v_fmac_f32_e32 v8, v89, v162
	v_dual_fmac_f32 v7, v102, v177 :: v_dual_and_b32 v118, 0xffff0000, v118
	s_delay_alu instid0(VALU_DEP_4) | instskip(SKIP_1) | instid1(VALU_DEP_3)
	v_dual_fmac_f32 v5, v98, v134 :: v_dual_lshlrev_b32 v2, 16, v137
	v_fmac_f32_e32 v144, v64, v149
	v_fmac_f32_e32 v140, v30, v118
	v_dual_fmac_f32 v146, v76, v150 :: v_dual_and_b32 v119, 0xffff0000, v119
	v_and_b32_e32 v136, 0xffff0000, v136
	s_delay_alu instid0(VALU_DEP_4) | instskip(NEXT) | instid1(VALU_DEP_4)
	v_fmac_f32_e32 v144, v66, v112
	v_fmac_f32_e32 v140, v32, v163
	s_delay_alu instid0(VALU_DEP_4) | instskip(SKIP_1) | instid1(VALU_DEP_4)
	v_dual_fmac_f32 v146, v80, v113 :: v_dual_and_b32 v135, 0xffff0000, v135
	v_lshlrev_b32_e32 v125, 16, v125
	v_fmac_f32_e32 v144, v70, v157
	s_delay_alu instid0(VALU_DEP_4) | instskip(NEXT) | instid1(VALU_DEP_4)
	v_dual_fmac_f32 v140, v34, v126 :: v_dual_lshlrev_b32 v131, 16, v131
	v_fmac_f32_e32 v146, v83, v158
	s_delay_alu instid0(VALU_DEP_4) | instskip(SKIP_1) | instid1(VALU_DEP_4)
	v_fmac_f32_e32 v8, v92, v125
	v_and_b32_e32 v4, 0xffff0000, v137
	v_fmac_f32_e32 v140, v36, v171
	s_delay_alu instid0(VALU_DEP_4) | instskip(NEXT) | instid1(VALU_DEP_4)
	v_fmac_f32_e32 v146, v88, v121
	v_fmac_f32_e32 v8, v94, v170
	s_delay_alu instid0(VALU_DEP_3) | instskip(SKIP_1) | instid1(VALU_DEP_4)
	v_fmac_f32_e32 v140, v97, v175
	v_and_b32_e32 v156, 0xffff0000, v115
	v_dual_fmac_f32 v146, v91, v166 :: v_dual_lshlrev_b32 v115, 16, v115
	s_delay_alu instid0(VALU_DEP_3) | instskip(NEXT) | instid1(VALU_DEP_3)
	v_add_f32_e32 v1, v5, v140
	v_fmac_f32_e32 v142, v46, v156
	s_delay_alu instid0(VALU_DEP_3) | instskip(NEXT) | instid1(VALU_DEP_2)
	v_dual_fmac_f32 v6, v47, v115 :: v_dual_and_b32 v129, 0xffff0000, v129
	v_fmac_f32_e32 v142, v48, v119
	s_delay_alu instid0(VALU_DEP_2) | instskip(NEXT) | instid1(VALU_DEP_3)
	v_dual_fmac_f32 v6, v49, v160 :: v_dual_lshlrev_b32 v133, 16, v133
	v_fmac_f32_e32 v146, v93, v129
	s_delay_alu instid0(VALU_DEP_2) | instskip(NEXT) | instid1(VALU_DEP_2)
	v_fmac_f32_e32 v8, v96, v133
	v_fmac_f32_e32 v146, v95, v174
	s_delay_alu instid0(VALU_DEP_2) | instskip(SKIP_4) | instid1(VALU_DEP_4)
	v_fmac_f32_e32 v8, v104, v2
	v_and_b32_e32 v164, 0xffff0000, v123
	v_lshlrev_b32_e32 v123, 16, v123
	v_mul_f32_e32 v2, s15, v3
	v_dual_fmac_f32 v146, v103, v4 :: v_dual_max_num_f32 v3, v86, v86
	v_fmac_f32_e32 v142, v50, v164
	s_delay_alu instid0(VALU_DEP_4) | instskip(NEXT) | instid1(VALU_DEP_4)
	v_fmac_f32_e32 v6, v55, v123
	v_cndmask_b32_e32 v2, 0, v2, vcc_lo
	s_delay_alu instid0(VALU_DEP_3) | instskip(NEXT) | instid1(VALU_DEP_3)
	v_fmac_f32_e32 v142, v56, v127
	v_fmac_f32_e32 v6, v57, v168
	s_delay_alu instid0(VALU_DEP_2) | instskip(NEXT) | instid1(VALU_DEP_2)
	v_fmac_f32_e32 v142, v58, v172
	v_fmac_f32_e32 v6, v59, v131
	s_delay_alu instid0(VALU_DEP_2) | instskip(NEXT) | instid1(VALU_DEP_2)
	v_fmac_f32_e32 v142, v99, v135
	v_fmac_f32_e32 v6, v100, v176
	s_delay_alu instid0(VALU_DEP_1) | instskip(NEXT) | instid1(VALU_DEP_1)
	v_add_f32_e32 v1, v1, v6
	v_dual_add_f32 v1, v142, v1 :: v_dual_and_b32 v120, 0xffff0000, v120
	s_delay_alu instid0(VALU_DEP_1) | instskip(NEXT) | instid1(VALU_DEP_1)
	v_dual_add_f32 v1, v7, v1 :: v_dual_fmac_f32 v144, v74, v120
	v_fmac_f32_e32 v144, v78, v165
	s_delay_alu instid0(VALU_DEP_1) | instskip(NEXT) | instid1(VALU_DEP_1)
	v_fmac_f32_e32 v144, v82, v128
	v_fmac_f32_e32 v144, v87, v173
	s_delay_alu instid0(VALU_DEP_1) | instskip(NEXT) | instid1(VALU_DEP_1)
	v_fmac_f32_e32 v144, v101, v136
	v_add_f32_e32 v1, v144, v1
	s_delay_alu instid0(VALU_DEP_1) | instskip(NEXT) | instid1(VALU_DEP_1)
	v_add_f32_e32 v1, v8, v1
	v_add_f32_e32 v1, v146, v1
	s_delay_alu instid0(VALU_DEP_1) | instskip(SKIP_1) | instid1(VALU_DEP_2)
	v_fmac_f32_e32 v2, s9, v1
	v_add_nc_u32_e32 v1, v52, v105
	v_max_num_f32_e32 v3, v3, v2
	s_delay_alu instid0(VALU_DEP_2) | instskip(SKIP_1) | instid1(VALU_DEP_1)
	v_cmp_gt_i32_e64 s3, s31, v1
	s_wait_alu 0xf1ff
	v_cndmask_b32_e64 v1, 0, v2, s3
	s_delay_alu instid0(VALU_DEP_3)
	v_cndmask_b32_e64 v86, v86, v3, s3
	ds_store_b32 v107, v1
	s_branch .LBB173_11
.LBB173_16:
	s_or_b32 exec_lo, exec_lo, s27
.LBB173_17:
	s_delay_alu instid0(SALU_CYCLE_1)
	s_or_b32 exec_lo, exec_lo, s8
	v_mbcnt_lo_u32_b32 v1, -1, 0
	s_clause 0x2
	s_load_b128 s[8:11], s[0:1], 0x0
	s_load_b64 s[14:15], s[0:1], 0x10
	s_load_b64 s[28:29], s[0:1], 0x28
	v_xor_b32_e32 v2, 16, v1
	v_xor_b32_e32 v4, 8, v1
	s_delay_alu instid0(VALU_DEP_2) | instskip(SKIP_2) | instid1(VALU_DEP_3)
	v_cmp_gt_i32_e32 vcc_lo, 32, v2
	s_wait_alu 0xfffd
	v_cndmask_b32_e32 v2, v1, v2, vcc_lo
	v_cmp_gt_i32_e32 vcc_lo, 32, v4
	v_max_num_f32_e32 v5, v86, v86
	s_delay_alu instid0(VALU_DEP_3)
	v_lshlrev_b32_e32 v2, 2, v2
	s_wait_alu 0xfffd
	v_cndmask_b32_e32 v4, v1, v4, vcc_lo
	ds_bpermute_b32 v3, v2, v86
	s_wait_dscnt 0x0
	v_dual_max_num_f32 v6, v3, v3 :: v_dual_lshlrev_b32 v3, 2, v4
	s_delay_alu instid0(VALU_DEP_1)
	v_max_num_f32_e32 v4, v5, v6
	v_xor_b32_e32 v6, 4, v1
	ds_bpermute_b32 v5, v3, v4
	v_cmp_gt_i32_e32 vcc_lo, 32, v6
	s_wait_alu 0xfffd
	v_cndmask_b32_e32 v6, v1, v6, vcc_lo
	s_wait_dscnt 0x0
	v_max_num_f32_e32 v7, v5, v5
	s_delay_alu instid0(VALU_DEP_1)
	v_dual_max_num_f32 v4, v4, v7 :: v_dual_lshlrev_b32 v5, 2, v6
	v_xor_b32_e32 v7, 2, v1
	ds_bpermute_b32 v6, v5, v4
	v_cmp_gt_i32_e32 vcc_lo, 32, v7
	s_wait_dscnt 0x0
	s_wait_alu 0xfffd
	v_dual_cndmask_b32 v7, v1, v7 :: v_dual_max_num_f32 v6, v6, v6
	s_delay_alu instid0(VALU_DEP_1) | instskip(NEXT) | instid1(VALU_DEP_2)
	v_max_num_f32_e32 v4, v4, v6
	v_lshlrev_b32_e32 v56, 2, v7
	v_xor_b32_e32 v7, 1, v1
	s_delay_alu instid0(VALU_DEP_1)
	v_cmp_gt_i32_e32 vcc_lo, 32, v7
	s_wait_alu 0xfffd
	v_cndmask_b32_e32 v7, v1, v7, vcc_lo
	ds_bpermute_b32 v6, v56, v4
	v_cmp_eq_u32_e32 vcc_lo, 0, v52
	s_wait_dscnt 0x0
	v_dual_max_num_f32 v6, v6, v6 :: v_dual_lshlrev_b32 v55, 2, v7
	s_delay_alu instid0(VALU_DEP_1)
	v_dual_max_num_f32 v1, v4, v6 :: v_dual_lshlrev_b32 v6, 2, v51
	ds_bpermute_b32 v4, v55, v1
	s_and_saveexec_b32 s0, vcc_lo
	s_cbranch_execz .LBB173_19
; %bb.18:
	s_wait_dscnt 0x0
	v_dual_max_num_f32 v4, v4, v4 :: v_dual_max_num_f32 v1, v1, v1
	s_delay_alu instid0(VALU_DEP_1)
	v_max_num_f32_e32 v1, v1, v4
	ds_store_b32 v6, v1 offset:160
.LBB173_19:
	s_or_b32 exec_lo, exec_lo, s0
	v_cmp_gt_u32_e64 s0, 4, v52
	v_mov_b32_e32 v1, 0xff7fffff
	s_wait_loadcnt_dscnt 0x0
	s_barrier_signal -1
	s_barrier_wait -1
	global_inv scope:SCOPE_SE
	s_and_saveexec_b32 s1, s0
; %bb.20:
	ds_load_b32 v1, v17 offset:160
; %bb.21:
	s_or_b32 exec_lo, exec_lo, s1
	s_wait_dscnt 0x0
	ds_bpermute_b32 v4, v56, v1
	v_max_num_f32_e32 v1, v1, v1
	s_sub_co_i32 s1, s33, s37
	v_mov_b32_e32 v7, 0
	s_lshl_b32 s1, s1, 5
	s_delay_alu instid0(SALU_CYCLE_1) | instskip(NEXT) | instid1(SALU_CYCLE_1)
	s_add_co_i32 s1, s1, s34
	s_min_i32 s1, s1, s31
	s_delay_alu instid0(SALU_CYCLE_1) | instskip(SKIP_4) | instid1(VALU_DEP_1)
	s_sub_co_i32 s4, s1, s34
	s_wait_alu 0xfffe
	v_cmp_gt_i32_e64 s1, s4, v0
	s_wait_dscnt 0x0
	v_max_num_f32_e32 v4, v4, v4
	v_max_num_f32_e32 v1, v1, v4
	ds_bpermute_b32 v4, v55, v1
	s_wait_dscnt 0x0
	v_max_num_f32_e32 v4, v4, v4
	s_delay_alu instid0(VALU_DEP_1)
	v_max_num_f32_e32 v1, v1, v4
	v_lshl_add_u32 v4, v0, 2, 0xc0
	ds_bpermute_b32 v1, v7, v1
	s_and_saveexec_b32 s27, s1
	s_cbranch_execz .LBB173_25
; %bb.22:
	v_lshl_add_u32 v8, v0, 2, 0xc0
	v_mov_b32_e32 v7, 0
	v_mov_b32_e32 v9, v0
	s_mov_b32 s34, 0
.LBB173_23:                             ; =>This Inner Loop Header: Depth=1
	ds_load_b32 v10, v8
	v_add_nc_u32_e32 v9, 0x80, v9
	s_delay_alu instid0(VALU_DEP_1) | instskip(SKIP_4) | instid1(VALU_DEP_1)
	v_cmp_le_i32_e64 s3, s4, v9
	s_wait_alu 0xfffe
	s_or_b32 s34, s3, s34
	s_wait_dscnt 0x0
	v_sub_f32_e32 v10, v10, v1
	v_mul_f32_e32 v10, 0x3fb8aa3b, v10
	s_delay_alu instid0(VALU_DEP_1)
	v_exp_f32_e32 v10, v10
	ds_store_b32 v8, v10
	v_dual_add_f32 v7, v7, v10 :: v_dual_add_nc_u32 v8, 0x200, v8
	s_wait_alu 0xfffe
	s_and_not1_b32 exec_lo, exec_lo, s34
	s_cbranch_execnz .LBB173_23
; %bb.24:
	s_or_b32 exec_lo, exec_lo, s34
.LBB173_25:
	s_wait_alu 0xfffe
	s_or_b32 exec_lo, exec_lo, s27
	ds_bpermute_b32 v2, v2, v7
	s_wait_dscnt 0x0
	v_add_f32_e32 v2, v7, v2
	ds_bpermute_b32 v3, v3, v2
	s_wait_dscnt 0x0
	v_add_f32_e32 v2, v2, v3
	;; [unrolled: 3-line block ×5, first 2 shown]
	s_and_saveexec_b32 s3, vcc_lo
; %bb.26:
	ds_store_b32 v6, v2 offset:176
; %bb.27:
	s_wait_alu 0xfffe
	s_or_b32 exec_lo, exec_lo, s3
	s_wait_loadcnt_dscnt 0x0
	s_barrier_signal -1
	s_barrier_wait -1
	global_inv scope:SCOPE_SE
	s_and_saveexec_b32 s3, s0
; %bb.28:
	ds_load_b32 v2, v17 offset:176
; %bb.29:
	s_wait_alu 0xfffe
	s_or_b32 exec_lo, exec_lo, s3
	s_wait_dscnt 0x0
	ds_bpermute_b32 v3, v56, v2
	s_wait_dscnt 0x0
	v_add_f32_e32 v2, v2, v3
	ds_bpermute_b32 v3, v55, v2
	s_wait_dscnt 0x0
	v_dual_add_f32 v2, v2, v3 :: v_dual_mov_b32 v3, 0
	ds_bpermute_b32 v2, v3, v2
	s_and_saveexec_b32 s0, s1
	s_cbranch_execz .LBB173_32
; %bb.30:
	s_wait_dscnt 0x0
	v_add_f32_e32 v3, 0x358637bd, v2
	s_mov_b32 s1, 0
	s_delay_alu instid0(VALU_DEP_1) | instskip(SKIP_1) | instid1(VALU_DEP_2)
	v_div_scale_f32 v5, null, v3, v3, 1.0
	v_div_scale_f32 v8, vcc_lo, 1.0, v3, 1.0
	v_rcp_f32_e32 v6, v5
	s_delay_alu instid0(TRANS32_DEP_1) | instskip(NEXT) | instid1(VALU_DEP_1)
	v_fma_f32 v7, -v5, v6, 1.0
	v_fmac_f32_e32 v6, v7, v6
	s_delay_alu instid0(VALU_DEP_1) | instskip(NEXT) | instid1(VALU_DEP_1)
	v_mul_f32_e32 v7, v8, v6
	v_fma_f32 v9, -v5, v7, v8
	s_delay_alu instid0(VALU_DEP_1) | instskip(NEXT) | instid1(VALU_DEP_1)
	v_fmac_f32_e32 v7, v9, v6
	v_fma_f32 v5, -v5, v7, v8
	s_wait_alu 0xfffd
	s_delay_alu instid0(VALU_DEP_1) | instskip(NEXT) | instid1(VALU_DEP_1)
	v_div_fmas_f32 v5, v5, v6, v7
	v_div_fixup_f32 v3, v5, v3, 1.0
	v_mov_b32_e32 v5, v0
.LBB173_31:                             ; =>This Inner Loop Header: Depth=1
	ds_load_b32 v6, v4
	s_wait_dscnt 0x0
	v_dual_mul_f32 v6, v3, v6 :: v_dual_add_nc_u32 v5, 0x80, v5
	s_delay_alu instid0(VALU_DEP_1) | instskip(SKIP_3) | instid1(SALU_CYCLE_1)
	v_cmp_le_i32_e32 vcc_lo, s4, v5
	ds_store_b32 v4, v6
	v_add_nc_u32_e32 v4, 0x200, v4
	s_or_b32 s1, vcc_lo, s1
	s_and_not1_b32 exec_lo, exec_lo, s1
	s_cbranch_execnz .LBB173_31
.LBB173_32:
	s_or_b32 exec_lo, exec_lo, s0
	s_mul_i32 s0, s7, s20
	s_wait_loadcnt_dscnt 0x0
	s_mul_i32 s20, s0, s21
	s_mov_b32 s0, exec_lo
	s_barrier_signal -1
	s_barrier_wait -1
	global_inv scope:SCOPE_SE
	v_cmpx_eq_u32_e32 0, v0
	s_cbranch_execz .LBB173_34
; %bb.33:
	s_ashr_i32 s21, s20, 31
	s_mul_i32 s38, s7, ttmp9
	s_lshl_b32 s1, s30, 2
	s_lshl_b64 s[40:41], s[20:21], 2
	s_ashr_i32 s39, s38, 31
	v_mov_b32_e32 v3, s1
	s_wait_kmcnt 0x0
	s_add_nc_u64 s[10:11], s[10:11], s[40:41]
	s_lshl_b64 s[38:39], s[38:39], 2
	s_add_nc_u64 s[8:9], s[8:9], s[40:41]
	s_wait_alu 0xfffe
	s_add_nc_u64 s[10:11], s[10:11], s[38:39]
	s_add_nc_u64 s[8:9], s[8:9], s[38:39]
	s_clause 0x1
	global_store_b32 v3, v1, s[10:11]
	global_store_b32 v3, v2, s[8:9]
.LBB173_34:
	s_or_b32 exec_lo, exec_lo, s0
	v_dual_mov_b32 v66, 0 :: v_dual_and_b32 v57, 3, v0
	v_dual_mov_b32 v67, 0 :: v_dual_mov_b32 v64, 0
	v_dual_mov_b32 v65, 0 :: v_dual_mov_b32 v62, 0
	;; [unrolled: 1-line block ×4, first 2 shown]
	v_mov_b32_e32 v59, 0
	s_and_saveexec_b32 s1, s2
	s_cbranch_execz .LBB173_60
; %bb.35:
	s_abs_i32 s2, s6
	s_ashr_i32 s27, s26, 31
	s_wait_alu 0xfffe
	s_cvt_f32_u32 s0, s2
	v_dual_mov_b32 v58, 0 :: v_dual_and_b32 v3, 0x1f0, v15
	s_wait_kmcnt 0x0
	s_lshl_b64 s[8:9], s[24:25], 2
	s_wait_alu 0xfffe
	v_rcp_iflag_f32_e32 v1, s0
	s_lshl_b64 s[10:11], s[26:27], 1
	v_dual_mov_b32 v59, 0 :: v_dual_lshlrev_b32 v2, 3, v0
	s_add_nc_u64 s[8:9], s[22:23], s[8:9]
	s_wait_alu 0xfffe
	s_add_nc_u64 s[10:11], s[28:29], s[10:11]
	s_mov_b32 s4, s13
	s_sub_co_i32 s13, 0, s2
	s_wait_alu 0xfffe
	v_add_co_u32 v69, s10, s10, v3
	v_readfirstlane_b32 s0, v1
	v_dual_mov_b32 v60, 0 :: v_dual_lshlrev_b32 v1, 5, v57
	v_add_co_u32 v49, s8, s8, v16
	s_mul_f32 s0, s0, 0x4f7ffffe
	v_lshl_or_b32 v1, v51, 7, v1
	v_dual_mov_b32 v61, 0 :: v_dual_and_b32 v68, 24, v2
	s_wait_alu 0xfffe
	s_cvt_u32_f32 s0, s0
	v_add_co_ci_u32_e64 v70, null, s11, 0, s10
	v_add_co_ci_u32_e64 v50, null, s9, 0, s8
	s_wait_alu 0xfffe
	s_mul_i32 s13, s13, s0
	v_dual_mov_b32 v62, 0 :: v_dual_add_nc_u32 v71, 0xc0, v1
	v_dual_mov_b32 v63, 0 :: v_dual_mov_b32 v64, 0
	v_dual_mov_b32 v65, 0 :: v_dual_mov_b32 v66, 0
	v_mov_b32_e32 v67, 0
	s_wait_alu 0xfffe
	s_mul_hi_u32 s9, s0, s13
	s_sub_co_i32 s3, s36, s5
	s_add_co_i32 s5, s35, -1
	s_mov_b32 s6, 0
	s_mov_b32 s8, s31
	s_wait_alu 0xfffe
	s_add_co_i32 s9, s0, s9
	s_branch .LBB173_38
.LBB173_36:                             ;   in Loop: Header=BB173_38 Depth=1
	s_wait_alu 0xfffe
	s_or_b32 exec_lo, exec_lo, s0
	s_wait_dscnt 0x1
	v_bfe_u32 v72, v33, 16, 1
	v_or_b32_e32 v73, 0x400000, v33
	v_bfe_u32 v74, v34, 16, 1
	v_cmp_u_f32_e32 vcc_lo, v33, v33
	v_bfe_u32 v75, v35, 16, 1
	v_add3_u32 v72, v72, v33, 0x7fff
	v_or_b32_e32 v76, 0x400000, v34
	v_add3_u32 v74, v74, v34, 0x7fff
	v_or_b32_e32 v77, 0x400000, v35
	v_add3_u32 v75, v75, v35, 0x7fff
	s_wait_alu 0xfffd
	v_cndmask_b32_e32 v33, v72, v73, vcc_lo
	v_cmp_u_f32_e32 vcc_lo, v34, v34
	v_bfe_u32 v72, v36, 16, 1
	s_wait_dscnt 0x0
	v_bfe_u32 v73, v29, 16, 1
	s_wait_loadcnt 0x1
	v_and_b32_e32 v79, 0xffff0000, v48
	s_wait_alu 0xfffd
	v_cndmask_b32_e32 v34, v74, v76, vcc_lo
	v_cmp_u_f32_e32 vcc_lo, v35, v35
	v_add3_u32 v72, v72, v36, 0x7fff
	v_or_b32_e32 v74, 0x400000, v36
	v_add3_u32 v73, v73, v29, 0x7fff
	v_bfe_u32 v76, v30, 16, 1
	s_wait_alu 0xfffd
	v_cndmask_b32_e32 v35, v75, v77, vcc_lo
	v_cmp_u_f32_e32 vcc_lo, v36, v36
	v_or_b32_e32 v75, 0x400000, v29
	s_wait_alu 0xfffd
	v_cndmask_b32_e32 v36, v72, v74, vcc_lo
	v_cmp_u_f32_e32 vcc_lo, v29, v29
	v_or_b32_e32 v74, 0x400000, v30
	s_wait_alu 0xfffd
	v_dual_cndmask_b32 v72, v73, v75 :: v_dual_and_b32 v29, 0xffff0000, v34
	v_add3_u32 v73, v76, v30, 0x7fff
	v_bfe_u32 v75, v31, 16, 1
	v_cmp_u_f32_e32 vcc_lo, v30, v30
	v_and_b32_e32 v34, 0xffff0000, v45
	s_delay_alu instid0(VALU_DEP_3)
	v_add3_u32 v30, v75, v31, 0x7fff
	s_wait_alu 0xfffd
	v_cndmask_b32_e32 v73, v73, v74, vcc_lo
	v_or_b32_e32 v74, 0x400000, v31
	v_bfe_u32 v75, v32, 16, 1
	v_cmp_u_f32_e32 vcc_lo, v31, v31
	v_mul_f32_e32 v76, v29, v34
	v_and_b32_e32 v34, 0xffff0000, v33
	v_lshlrev_b32_e32 v33, 16, v45
	v_add3_u32 v31, v75, v32, 0x7fff
	s_wait_alu 0xfffd
	v_cndmask_b32_e32 v45, v30, v74, vcc_lo
	v_or_b32_e32 v74, 0x400000, v32
	v_cmp_u_f32_e32 vcc_lo, v32, v32
	v_bfe_u32 v75, v76, 16, 1
	v_dual_mul_f32 v33, v34, v33 :: v_dual_and_b32 v30, 0xffff0000, v36
	v_and_b32_e32 v36, 0xffff0000, v46
	s_wait_alu 0xfffd
	v_cndmask_b32_e32 v32, v31, v74, vcc_lo
	v_add3_u32 v31, v75, v76, 0x7fff
	v_or_b32_e32 v74, 0x400000, v76
	v_bfe_u32 v75, v33, 16, 1
	v_mul_f32_e32 v77, v30, v36
	v_cmp_u_f32_e32 vcc_lo, v76, v76
	v_and_b32_e32 v35, 0xffff0000, v35
	v_and_b32_e32 v32, 0xffff0000, v32
	v_lshlrev_b32_e32 v36, 16, v46
	v_bfe_u32 v76, v77, 16, 1
	s_wait_alu 0xfffd
	v_cndmask_b32_e32 v46, v31, v74, vcc_lo
	v_add3_u32 v74, v75, v33, 0x7fff
	v_or_b32_e32 v75, 0x400000, v33
	v_dual_mul_f32 v78, v35, v36 :: v_dual_and_b32 v31, 0xffff0000, v73
	v_and_b32_e32 v36, 0xffff0000, v47
	v_cmp_u_f32_e32 vcc_lo, v33, v33
	v_add3_u32 v33, v76, v77, 0x7fff
	v_lshlrev_b32_e32 v47, 16, v47
	v_and_b32_e32 v46, 0xffff0000, v46
	s_wait_alu 0xfffd
	v_dual_mul_f32 v76, v31, v36 :: v_dual_cndmask_b32 v73, v74, v75
	v_or_b32_e32 v74, 0x400000, v77
	v_bfe_u32 v75, v78, 16, 1
	v_cmp_u_f32_e32 vcc_lo, v77, v77
	v_and_b32_e32 v36, 0xffff0000, v72
	v_bfe_u32 v77, v76, 16, 1
	s_wait_alu 0xfffd
	v_dual_cndmask_b32 v72, v33, v74 :: v_dual_and_b32 v73, 0xffff0000, v73
	v_add3_u32 v74, v75, v78, 0x7fff
	v_or_b32_e32 v75, 0x400000, v78
	v_cmp_u_f32_e32 vcc_lo, v78, v78
	s_delay_alu instid0(VALU_DEP_4)
	v_dual_add_f32 v46, v73, v46 :: v_dual_and_b32 v33, 0xffff0000, v45
	v_lshlrev_b32_e32 v45, 16, v48
	v_or_b32_e32 v78, 0x400000, v76
	s_wait_alu 0xfffd
	v_cndmask_b32_e32 v48, v74, v75, vcc_lo
	v_add3_u32 v75, v77, v76, 0x7fff
	v_cmp_u_f32_e32 vcc_lo, v76, v76
	s_delay_alu instid0(VALU_DEP_3) | instskip(SKIP_1) | instid1(VALU_DEP_3)
	v_dual_mul_f32 v77, v32, v79 :: v_dual_and_b32 v48, 0xffff0000, v48
	s_wait_alu 0xfffd
	v_cndmask_b32_e32 v75, v75, v78, vcc_lo
	v_dual_mul_f32 v47, v36, v47 :: v_dual_and_b32 v72, 0xffff0000, v72
	s_delay_alu instid0(VALU_DEP_3) | instskip(NEXT) | instid1(VALU_DEP_2)
	v_bfe_u32 v80, v77, 16, 1
	v_bfe_u32 v74, v47, 16, 1
	s_delay_alu instid0(VALU_DEP_3) | instskip(SKIP_2) | instid1(VALU_DEP_4)
	v_add_f32_e32 v48, v48, v72
	v_or_b32_e32 v79, 0x400000, v47
	v_cmp_u_f32_e32 vcc_lo, v47, v47
	v_add3_u32 v74, v74, v47, 0x7fff
	s_delay_alu instid0(VALU_DEP_4) | instskip(SKIP_1) | instid1(VALU_DEP_2)
	v_dual_add_f32 v46, v48, v46 :: v_dual_mul_f32 v45, v33, v45
	s_wait_alu 0xfffd
	v_cndmask_b32_e32 v47, v74, v79, vcc_lo
	v_add3_u32 v74, v80, v77, 0x7fff
	s_delay_alu instid0(VALU_DEP_3)
	v_bfe_u32 v81, v45, 16, 1
	v_or_b32_e32 v78, 0x400000, v45
	v_cmp_u_f32_e32 vcc_lo, v45, v45
	v_or_b32_e32 v79, 0x400000, v77
	v_and_b32_e32 v47, 0xffff0000, v47
	v_add3_u32 v76, v81, v45, 0x7fff
	s_wait_alu 0xfffd
	s_delay_alu instid0(VALU_DEP_1) | instskip(SKIP_1) | instid1(VALU_DEP_2)
	v_cndmask_b32_e32 v45, v76, v78, vcc_lo
	v_cmp_u_f32_e32 vcc_lo, v77, v77
	v_and_b32_e32 v45, 0xffff0000, v45
	s_wait_alu 0xfffd
	v_dual_cndmask_b32 v73, v74, v79 :: v_dual_and_b32 v74, 0xffff0000, v44
	v_lshlrev_b32_e32 v44, 16, v44
	s_delay_alu instid0(VALU_DEP_2) | instskip(SKIP_1) | instid1(VALU_DEP_3)
	v_and_b32_e32 v48, 0xffff0000, v73
	v_and_b32_e32 v72, 0xffff0000, v75
	v_mul_f32_e32 v44, v33, v44
	s_delay_alu instid0(VALU_DEP_3) | instskip(NEXT) | instid1(VALU_DEP_3)
	v_add_f32_e32 v45, v45, v48
	v_dual_add_f32 v47, v47, v72 :: v_dual_and_b32 v72, 0xffff0000, v41
	s_delay_alu instid0(VALU_DEP_1) | instskip(NEXT) | instid1(VALU_DEP_1)
	v_dual_add_f32 v46, v47, v46 :: v_dual_mul_f32 v47, v29, v72
	v_add_f32_e32 v45, v45, v46
	v_and_b32_e32 v72, 0xffff0000, v42
	v_lshlrev_b32_e32 v42, 16, v42
	v_lshlrev_b32_e32 v41, 16, v41
	v_bfe_u32 v46, v47, 16, 1
	s_delay_alu instid0(VALU_DEP_4) | instskip(NEXT) | instid1(VALU_DEP_3)
	v_dual_add_f32 v59, v59, v45 :: v_dual_mul_f32 v72, v30, v72
	v_dual_mul_f32 v42, v35, v42 :: v_dual_mul_f32 v41, v34, v41
	s_delay_alu instid0(VALU_DEP_3) | instskip(SKIP_2) | instid1(VALU_DEP_4)
	v_add3_u32 v45, v46, v47, 0x7fff
	v_or_b32_e32 v46, 0x400000, v47
	v_cmp_u_f32_e32 vcc_lo, v47, v47
	v_bfe_u32 v48, v41, 16, 1
	v_or_b32_e32 v73, 0x400000, v41
	s_wait_alu 0xfffd
	v_cndmask_b32_e32 v45, v45, v46, vcc_lo
	v_bfe_u32 v46, v72, 16, 1
	v_add3_u32 v48, v48, v41, 0x7fff
	v_cmp_u_f32_e32 vcc_lo, v41, v41
	s_delay_alu instid0(VALU_DEP_4) | instskip(NEXT) | instid1(VALU_DEP_4)
	v_and_b32_e32 v45, 0xffff0000, v45
	v_add3_u32 v46, v46, v72, 0x7fff
	s_wait_alu 0xfffd
	v_cndmask_b32_e32 v41, v48, v73, vcc_lo
	v_or_b32_e32 v48, 0x400000, v72
	v_bfe_u32 v73, v42, 16, 1
	v_cmp_u_f32_e32 vcc_lo, v72, v72
	v_or_b32_e32 v72, 0x400000, v42
	s_wait_alu 0xfffd
	v_cndmask_b32_e32 v46, v46, v48, vcc_lo
	v_add3_u32 v48, v73, v42, 0x7fff
	v_cmp_u_f32_e32 vcc_lo, v42, v42
	v_and_b32_e32 v47, 0xffff0000, v43
	v_lshlrev_b32_e32 v43, 16, v43
	v_and_b32_e32 v46, 0xffff0000, v46
	s_wait_alu 0xfffd
	s_delay_alu instid0(VALU_DEP_3) | instskip(SKIP_1) | instid1(VALU_DEP_2)
	v_dual_cndmask_b32 v42, v48, v72 :: v_dual_mul_f32 v47, v31, v47
	v_mul_f32_e32 v72, v32, v74
	v_dual_mul_f32 v43, v36, v43 :: v_dual_and_b32 v42, 0xffff0000, v42
	s_delay_alu instid0(VALU_DEP_3) | instskip(SKIP_1) | instid1(VALU_DEP_3)
	v_bfe_u32 v73, v47, 16, 1
	v_cmp_u_f32_e32 vcc_lo, v47, v47
	v_bfe_u32 v75, v43, 16, 1
	v_bfe_u32 v76, v72, 16, 1
	v_dual_add_f32 v42, v42, v46 :: v_dual_and_b32 v41, 0xffff0000, v41
	v_add3_u32 v48, v73, v47, 0x7fff
	v_or_b32_e32 v73, 0x400000, v47
	v_add3_u32 v74, v75, v43, 0x7fff
	v_or_b32_e32 v75, 0x400000, v43
	s_wait_alu 0xfffd
	s_delay_alu instid0(VALU_DEP_3) | instskip(SKIP_3) | instid1(VALU_DEP_4)
	v_cndmask_b32_e32 v47, v48, v73, vcc_lo
	v_cmp_u_f32_e32 vcc_lo, v43, v43
	v_add3_u32 v48, v76, v72, 0x7fff
	v_or_b32_e32 v73, 0x400000, v72
	v_dual_add_f32 v41, v41, v45 :: v_dual_and_b32 v46, 0xffff0000, v47
	s_wait_alu 0xfffd
	v_cndmask_b32_e32 v43, v74, v75, vcc_lo
	v_bfe_u32 v74, v44, 16, 1
	v_cmp_u_f32_e32 vcc_lo, v72, v72
	v_and_b32_e32 v45, 0xffff0000, v37
	s_delay_alu instid0(VALU_DEP_4) | instskip(NEXT) | instid1(VALU_DEP_4)
	v_and_b32_e32 v43, 0xffff0000, v43
	v_add3_u32 v72, v74, v44, 0x7fff
	s_wait_alu 0xfffd
	v_cndmask_b32_e32 v48, v48, v73, vcc_lo
	v_or_b32_e32 v73, 0x400000, v44
	v_cmp_u_f32_e32 vcc_lo, v44, v44
	s_wait_alu 0xfffd
	s_delay_alu instid0(VALU_DEP_2) | instskip(SKIP_3) | instid1(VALU_DEP_3)
	v_dual_add_f32 v43, v43, v46 :: v_dual_cndmask_b32 v44, v72, v73
	v_add_f32_e32 v41, v42, v41
	v_dual_mul_f32 v42, v29, v45 :: v_dual_and_b32 v45, 0xffff0000, v48
	v_and_b32_e32 v48, 0xffff0000, v39
	v_dual_add_f32 v41, v43, v41 :: v_dual_and_b32 v44, 0xffff0000, v44
	s_delay_alu instid0(VALU_DEP_3) | instskip(SKIP_2) | instid1(VALU_DEP_4)
	v_bfe_u32 v46, v42, 16, 1
	v_and_b32_e32 v43, 0xffff0000, v38
	v_cmp_u_f32_e32 vcc_lo, v42, v42
	v_add_f32_e32 v44, v44, v45
	v_lshlrev_b32_e32 v38, 16, v38
	v_add3_u32 v45, v46, v42, 0x7fff
	v_or_b32_e32 v46, 0x400000, v42
	v_lshlrev_b32_e32 v37, 16, v37
	v_dual_mul_f32 v43, v30, v43 :: v_dual_and_b32 v72, 0xffff0000, v40
	v_mul_f32_e32 v38, v35, v38
	s_wait_alu 0xfffd
	s_delay_alu instid0(VALU_DEP_3) | instskip(SKIP_2) | instid1(VALU_DEP_3)
	v_dual_cndmask_b32 v42, v45, v46 :: v_dual_mul_f32 v37, v34, v37
	v_mul_f32_e32 v48, v31, v48
	v_dual_add_f32 v41, v44, v41 :: v_dual_lshlrev_b32 v40, 16, v40
	v_and_b32_e32 v42, 0xffff0000, v42
	s_delay_alu instid0(VALU_DEP_4)
	v_bfe_u32 v47, v37, 16, 1
	v_or_b32_e32 v46, 0x400000, v37
	v_cmp_u_f32_e32 vcc_lo, v37, v37
	v_mul_f32_e32 v40, v33, v40
	v_add_f32_e32 v60, v60, v41
	v_add3_u32 v45, v47, v37, 0x7fff
	v_bfe_u32 v47, v43, 16, 1
	s_wait_alu 0xfffd
	s_delay_alu instid0(VALU_DEP_2) | instskip(NEXT) | instid1(VALU_DEP_2)
	v_cndmask_b32_e32 v37, v45, v46, vcc_lo
	v_add3_u32 v45, v47, v43, 0x7fff
	v_or_b32_e32 v46, 0x400000, v43
	v_bfe_u32 v47, v38, 16, 1
	v_cmp_u_f32_e32 vcc_lo, v43, v43
	s_wait_alu 0xfffd
	s_delay_alu instid0(VALU_DEP_3) | instskip(NEXT) | instid1(VALU_DEP_3)
	v_cndmask_b32_e32 v43, v45, v46, vcc_lo
	v_add3_u32 v45, v47, v38, 0x7fff
	v_or_b32_e32 v46, 0x400000, v38
	v_cmp_u_f32_e32 vcc_lo, v38, v38
	v_lshlrev_b32_e32 v39, 16, v39
	v_bfe_u32 v47, v48, 16, 1
	s_wait_alu 0xfffd
	s_delay_alu instid0(VALU_DEP_2) | instskip(NEXT) | instid1(VALU_DEP_2)
	v_dual_cndmask_b32 v38, v45, v46 :: v_dual_mul_f32 v39, v36, v39
	v_add3_u32 v46, v47, v48, 0x7fff
	v_mul_f32_e32 v47, v32, v72
	v_or_b32_e32 v72, 0x400000, v48
	v_cmp_u_f32_e32 vcc_lo, v48, v48
	v_bfe_u32 v45, v39, 16, 1
	v_or_b32_e32 v73, 0x400000, v39
	v_bfe_u32 v48, v40, 16, 1
	v_bfe_u32 v74, v47, 16, 1
	s_wait_alu 0xfffd
	v_cndmask_b32_e32 v46, v46, v72, vcc_lo
	v_add3_u32 v45, v45, v39, 0x7fff
	v_cmp_u_f32_e32 vcc_lo, v39, v39
	v_add3_u32 v48, v48, v40, 0x7fff
	v_and_b32_e32 v38, 0xffff0000, v38
	v_or_b32_e32 v72, 0x400000, v47
	s_wait_alu 0xfffd
	v_cndmask_b32_e32 v39, v45, v73, vcc_lo
	v_or_b32_e32 v73, 0x400000, v40
	v_cmp_u_f32_e32 vcc_lo, v40, v40
	v_add3_u32 v45, v74, v47, 0x7fff
	s_wait_alu 0xfffd
	s_delay_alu instid0(VALU_DEP_3) | instskip(NEXT) | instid1(VALU_DEP_1)
	v_dual_cndmask_b32 v40, v48, v73 :: v_dual_and_b32 v43, 0xffff0000, v43
	v_dual_add_f32 v38, v38, v43 :: v_dual_and_b32 v37, 0xffff0000, v37
	v_cmp_u_f32_e32 vcc_lo, v47, v47
	s_delay_alu instid0(VALU_DEP_2) | instskip(SKIP_3) | instid1(VALU_DEP_1)
	v_dual_add_f32 v37, v37, v42 :: v_dual_and_b32 v40, 0xffff0000, v40
	v_and_b32_e32 v39, 0xffff0000, v39
	s_wait_alu 0xfffd
	v_dual_cndmask_b32 v43, v45, v72 :: v_dual_and_b32 v42, 0xffff0000, v46
	v_dual_add_f32 v37, v38, v37 :: v_dual_add_f32 v38, v39, v42
	s_delay_alu instid0(VALU_DEP_1) | instskip(NEXT) | instid1(VALU_DEP_1)
	v_dual_add_f32 v37, v38, v37 :: v_dual_and_b32 v42, 0xffff0000, v43
	v_add_f32_e32 v38, v40, v42
	v_and_b32_e32 v40, 0xffff0000, v26
	v_and_b32_e32 v39, 0xffff0000, v25
	v_lshlrev_b32_e32 v26, 16, v26
	v_lshlrev_b32_e32 v25, 16, v25
	v_add_f32_e32 v37, v38, v37
	s_delay_alu instid0(VALU_DEP_4) | instskip(NEXT) | instid1(VALU_DEP_3)
	v_dual_mul_f32 v38, v30, v40 :: v_dual_mul_f32 v39, v29, v39
	v_dual_mul_f32 v26, v35, v26 :: v_dual_mul_f32 v25, v34, v25
	s_delay_alu instid0(VALU_DEP_2) | instskip(NEXT) | instid1(VALU_DEP_3)
	v_bfe_u32 v44, v38, 16, 1
	v_bfe_u32 v42, v39, 16, 1
	v_cmp_u_f32_e32 vcc_lo, v39, v39
	s_delay_alu instid0(VALU_DEP_2) | instskip(SKIP_2) | instid1(VALU_DEP_1)
	v_add3_u32 v40, v42, v39, 0x7fff
	v_or_b32_e32 v42, 0x400000, v39
	s_wait_alu 0xfffd
	v_dual_cndmask_b32 v39, v40, v42 :: v_dual_and_b32 v42, 0xffff0000, v27
	v_bfe_u32 v41, v25, 16, 1
	v_or_b32_e32 v43, 0x400000, v25
	v_cmp_u_f32_e32 vcc_lo, v25, v25
	v_add3_u32 v40, v44, v38, 0x7fff
	v_lshlrev_b32_e32 v27, 16, v27
	v_add3_u32 v41, v41, v25, 0x7fff
	s_wait_alu 0xfffd
	s_delay_alu instid0(VALU_DEP_1) | instskip(SKIP_4) | instid1(VALU_DEP_3)
	v_cndmask_b32_e32 v25, v41, v43, vcc_lo
	v_or_b32_e32 v41, 0x400000, v38
	v_bfe_u32 v43, v26, 16, 1
	v_cmp_u_f32_e32 vcc_lo, v38, v38
	s_wait_alu 0xfffd
	v_cndmask_b32_e32 v38, v40, v41, vcc_lo
	v_mul_f32_e32 v40, v31, v42
	v_add3_u32 v41, v43, v26, 0x7fff
	v_or_b32_e32 v42, 0x400000, v26
	v_cmp_u_f32_e32 vcc_lo, v26, v26
	v_mul_f32_e32 v27, v36, v27
	v_bfe_u32 v44, v40, 16, 1
	v_and_b32_e32 v38, 0xffff0000, v38
	s_wait_alu 0xfffd
	v_cndmask_b32_e32 v26, v41, v42, vcc_lo
	v_bfe_u32 v45, v27, 16, 1
	v_add3_u32 v42, v44, v40, 0x7fff
	v_cmp_u_f32_e32 vcc_lo, v40, v40
	s_delay_alu instid0(VALU_DEP_4) | instskip(SKIP_4) | instid1(VALU_DEP_4)
	v_and_b32_e32 v26, 0xffff0000, v26
	v_and_b32_e32 v43, 0xffff0000, v28
	v_add3_u32 v44, v45, v27, 0x7fff
	v_or_b32_e32 v45, 0x400000, v27
	v_lshlrev_b32_e32 v28, 16, v28
	v_dual_add_f32 v26, v26, v38 :: v_dual_mul_f32 v41, v32, v43
	v_or_b32_e32 v43, 0x400000, v40
	s_delay_alu instid0(VALU_DEP_3) | instskip(NEXT) | instid1(VALU_DEP_3)
	v_mul_f32_e32 v28, v33, v28
	v_bfe_u32 v46, v41, 16, 1
	s_wait_alu 0xfffd
	s_delay_alu instid0(VALU_DEP_3)
	v_cndmask_b32_e32 v40, v42, v43, vcc_lo
	v_cmp_u_f32_e32 vcc_lo, v27, v27
	v_or_b32_e32 v43, 0x400000, v41
	v_add3_u32 v42, v46, v41, 0x7fff
	s_wait_alu 0xfffd
	v_cndmask_b32_e32 v27, v44, v45, vcc_lo
	v_cmp_u_f32_e32 vcc_lo, v41, v41
	s_delay_alu instid0(VALU_DEP_2)
	v_and_b32_e32 v27, 0xffff0000, v27
	s_wait_alu 0xfffd
	v_cndmask_b32_e32 v41, v42, v43, vcc_lo
	v_bfe_u32 v42, v28, 16, 1
	v_and_b32_e32 v38, 0xffff0000, v21
	v_and_b32_e32 v25, 0xffff0000, v25
	v_cmp_u_f32_e32 vcc_lo, v28, v28
	v_and_b32_e32 v39, 0xffff0000, v39
	v_and_b32_e32 v43, 0xffff0000, v24
	s_delay_alu instid0(VALU_DEP_2) | instskip(SKIP_3) | instid1(VALU_DEP_4)
	v_dual_add_f32 v25, v25, v39 :: v_dual_lshlrev_b32 v24, 16, v24
	v_and_b32_e32 v39, 0xffff0000, v40
	v_add3_u32 v40, v42, v28, 0x7fff
	v_or_b32_e32 v42, 0x400000, v28
	v_mul_f32_e32 v24, v33, v24
	s_wait_alu 0xfffd
	s_delay_alu instid0(VALU_DEP_2) | instskip(SKIP_1) | instid1(VALU_DEP_3)
	v_cndmask_b32_e32 v28, v40, v42, vcc_lo
	v_dual_add_f32 v25, v26, v25 :: v_dual_and_b32 v42, 0xffff0000, v23
	v_bfe_u32 v46, v24, 16, 1
	s_delay_alu instid0(VALU_DEP_3) | instskip(NEXT) | instid1(VALU_DEP_3)
	v_and_b32_e32 v28, 0xffff0000, v28
	v_mul_f32_e32 v42, v31, v42
	v_dual_add_f32 v27, v27, v39 :: v_dual_mul_f32 v26, v29, v38
	s_delay_alu instid0(VALU_DEP_1) | instskip(NEXT) | instid1(VALU_DEP_2)
	v_add_f32_e32 v25, v27, v25
	v_bfe_u32 v38, v26, 16, 1
	v_or_b32_e32 v39, 0x400000, v26
	v_cmp_u_f32_e32 vcc_lo, v26, v26
	v_and_b32_e32 v27, 0xffff0000, v22
	v_lshlrev_b32_e32 v22, 16, v22
	v_add3_u32 v38, v38, v26, 0x7fff
	v_lshlrev_b32_e32 v21, 16, v21
	v_lshlrev_b32_e32 v23, 16, v23
	s_delay_alu instid0(VALU_DEP_4) | instskip(SKIP_3) | instid1(VALU_DEP_2)
	v_dual_mul_f32 v27, v30, v27 :: v_dual_mul_f32 v22, v35, v22
	s_wait_alu 0xfffd
	v_cndmask_b32_e32 v26, v38, v39, vcc_lo
	v_mul_f32_e32 v21, v34, v21
	v_dual_mul_f32 v23, v36, v23 :: v_dual_and_b32 v26, 0xffff0000, v26
	s_delay_alu instid0(VALU_DEP_2) | instskip(SKIP_2) | instid1(VALU_DEP_4)
	v_bfe_u32 v40, v21, 16, 1
	v_or_b32_e32 v39, 0x400000, v21
	v_cmp_u_f32_e32 vcc_lo, v21, v21
	v_or_b32_e32 v44, 0x400000, v23
	s_delay_alu instid0(VALU_DEP_4) | instskip(SKIP_2) | instid1(VALU_DEP_2)
	v_add3_u32 v38, v40, v21, 0x7fff
	v_bfe_u32 v40, v27, 16, 1
	s_wait_alu 0xfffd
	v_cndmask_b32_e32 v21, v38, v39, vcc_lo
	s_delay_alu instid0(VALU_DEP_2)
	v_add3_u32 v38, v40, v27, 0x7fff
	v_or_b32_e32 v39, 0x400000, v27
	v_bfe_u32 v40, v22, 16, 1
	v_cmp_u_f32_e32 vcc_lo, v27, v27
	v_and_b32_e32 v21, 0xffff0000, v21
	s_wait_alu 0xfffd
	v_cndmask_b32_e32 v27, v38, v39, vcc_lo
	v_add3_u32 v38, v40, v22, 0x7fff
	v_or_b32_e32 v39, 0x400000, v22
	v_cmp_u_f32_e32 vcc_lo, v22, v22
	v_bfe_u32 v40, v42, 16, 1
	s_wait_alu 0xfffd
	s_delay_alu instid0(VALU_DEP_3) | instskip(SKIP_1) | instid1(VALU_DEP_3)
	v_dual_add_f32 v21, v21, v26 :: v_dual_cndmask_b32 v22, v38, v39
	v_bfe_u32 v38, v23, 16, 1
	v_add3_u32 v39, v40, v42, 0x7fff
	v_cmp_u_f32_e32 vcc_lo, v42, v42
	s_delay_alu instid0(VALU_DEP_4) | instskip(SKIP_2) | instid1(VALU_DEP_2)
	v_and_b32_e32 v22, 0xffff0000, v22
	v_and_b32_e32 v27, 0xffff0000, v27
	v_add3_u32 v38, v38, v23, 0x7fff
	v_add_f32_e32 v22, v22, v27
	v_mul_f32_e32 v40, v32, v43
	v_or_b32_e32 v43, 0x400000, v42
	v_add3_u32 v42, v46, v24, 0x7fff
	s_delay_alu instid0(VALU_DEP_3) | instskip(SKIP_1) | instid1(VALU_DEP_3)
	v_bfe_u32 v45, v40, 16, 1
	s_wait_alu 0xfffd
	v_cndmask_b32_e32 v39, v39, v43, vcc_lo
	v_cmp_u_f32_e32 vcc_lo, v23, v23
	v_or_b32_e32 v43, 0x400000, v24
	s_wait_alu 0xfffd
	v_cndmask_b32_e32 v23, v38, v44, vcc_lo
	v_cmp_u_f32_e32 vcc_lo, v24, v24
	v_add3_u32 v38, v45, v40, 0x7fff
	v_or_b32_e32 v44, 0x400000, v40
	s_delay_alu instid0(VALU_DEP_4)
	v_and_b32_e32 v23, 0xffff0000, v23
	s_wait_alu 0xfffd
	v_cndmask_b32_e32 v24, v42, v43, vcc_lo
	v_cmp_u_f32_e32 vcc_lo, v40, v40
	s_wait_alu 0xfffd
	v_dual_cndmask_b32 v27, v38, v44 :: v_dual_and_b32 v26, 0xffff0000, v39
	v_and_b32_e32 v38, 0xffff0000, v41
	s_delay_alu instid0(VALU_DEP_2) | instskip(SKIP_1) | instid1(VALU_DEP_4)
	v_dual_add_f32 v21, v22, v21 :: v_dual_add_f32 v22, v23, v26
	v_and_b32_e32 v23, 0xffff0000, v24
	v_and_b32_e32 v24, 0xffff0000, v27
	s_delay_alu instid0(VALU_DEP_4) | instskip(NEXT) | instid1(VALU_DEP_2)
	v_dual_add_f32 v27, v28, v38 :: v_dual_and_b32 v26, 0xffff0000, v17
	v_dual_add_f32 v21, v22, v21 :: v_dual_add_f32 v22, v23, v24
	s_delay_alu instid0(VALU_DEP_2) | instskip(SKIP_1) | instid1(VALU_DEP_3)
	v_dual_mul_f32 v23, v29, v26 :: v_dual_add_f32 v24, v27, v25
	v_and_b32_e32 v25, 0xffff0000, v18
	v_dual_add_f32 v21, v22, v21 :: v_dual_lshlrev_b32 v18, 16, v18
	s_delay_alu instid0(VALU_DEP_3) | instskip(SKIP_1) | instid1(VALU_DEP_4)
	v_bfe_u32 v22, v23, 16, 1
	v_cmp_u_f32_e32 vcc_lo, v23, v23
	v_mul_f32_e32 v25, v30, v25
	s_delay_alu instid0(VALU_DEP_4) | instskip(NEXT) | instid1(VALU_DEP_4)
	v_dual_add_f32 v62, v62, v24 :: v_dual_add_f32 v63, v63, v21
	v_add3_u32 v21, v22, v23, 0x7fff
	v_or_b32_e32 v22, 0x400000, v23
	v_and_b32_e32 v27, 0xffff0000, v20
	v_lshlrev_b32_e32 v20, 16, v20
	v_mul_f32_e32 v18, v35, v18
	s_wait_alu 0xfffd
	v_cndmask_b32_e32 v21, v21, v22, vcc_lo
	v_bfe_u32 v22, v25, 16, 1
	v_mul_f32_e32 v20, v33, v20
	s_delay_alu instid0(VALU_DEP_2) | instskip(SKIP_1) | instid1(VALU_DEP_1)
	v_add3_u32 v22, v22, v25, 0x7fff
	v_lshlrev_b32_e32 v17, 16, v17
	v_mul_f32_e32 v17, v34, v17
	s_delay_alu instid0(VALU_DEP_1) | instskip(SKIP_2) | instid1(VALU_DEP_3)
	v_bfe_u32 v24, v17, 16, 1
	v_or_b32_e32 v26, 0x400000, v17
	v_cmp_u_f32_e32 vcc_lo, v17, v17
	v_add3_u32 v24, v24, v17, 0x7fff
	s_wait_alu 0xfffd
	s_delay_alu instid0(VALU_DEP_1)
	v_cndmask_b32_e32 v17, v24, v26, vcc_lo
	v_or_b32_e32 v24, 0x400000, v25
	v_bfe_u32 v26, v18, 16, 1
	v_cmp_u_f32_e32 vcc_lo, v25, v25
	v_or_b32_e32 v25, 0x400000, v18
	s_wait_alu 0xfffd
	v_cndmask_b32_e32 v22, v22, v24, vcc_lo
	v_add3_u32 v24, v26, v18, 0x7fff
	v_cmp_u_f32_e32 vcc_lo, v18, v18
	s_delay_alu instid0(VALU_DEP_3) | instskip(SKIP_1) | instid1(VALU_DEP_3)
	v_and_b32_e32 v22, 0xffff0000, v22
	s_wait_alu 0xfffd
	v_cndmask_b32_e32 v18, v24, v25, vcc_lo
	v_add_f32_e32 v61, v61, v37
	s_delay_alu instid0(VALU_DEP_2) | instskip(SKIP_2) | instid1(VALU_DEP_3)
	v_dual_mul_f32 v25, v32, v27 :: v_dual_and_b32 v18, 0xffff0000, v18
	v_and_b32_e32 v23, 0xffff0000, v19
	v_lshlrev_b32_e32 v19, 16, v19
	v_bfe_u32 v37, v25, 16, 1
	s_delay_alu instid0(VALU_DEP_4) | instskip(NEXT) | instid1(VALU_DEP_4)
	v_add_f32_e32 v18, v18, v22
	v_dual_mul_f32 v23, v31, v23 :: v_dual_and_b32 v22, 0xffff0000, v9
	s_delay_alu instid0(VALU_DEP_4) | instskip(SKIP_2) | instid1(VALU_DEP_4)
	v_mul_f32_e32 v19, v36, v19
	v_and_b32_e32 v21, 0xffff0000, v21
	v_lshlrev_b32_e32 v9, 16, v9
	v_bfe_u32 v26, v23, 16, 1
	s_delay_alu instid0(VALU_DEP_4) | instskip(SKIP_1) | instid1(VALU_DEP_3)
	v_bfe_u32 v28, v19, 16, 1
	v_cmp_u_f32_e32 vcc_lo, v23, v23
	v_add3_u32 v24, v26, v23, 0x7fff
	v_or_b32_e32 v26, 0x400000, v23
	s_delay_alu instid0(VALU_DEP_4) | instskip(SKIP_2) | instid1(VALU_DEP_3)
	v_add3_u32 v27, v28, v19, 0x7fff
	v_or_b32_e32 v28, 0x400000, v19
	s_wait_alu 0xfffd
	v_cndmask_b32_e32 v23, v24, v26, vcc_lo
	v_cmp_u_f32_e32 vcc_lo, v19, v19
	v_add3_u32 v24, v37, v25, 0x7fff
	v_or_b32_e32 v26, 0x400000, v25
	s_wait_alu 0xfffd
	v_cndmask_b32_e32 v19, v27, v28, vcc_lo
	v_bfe_u32 v27, v20, 16, 1
	v_cmp_u_f32_e32 vcc_lo, v25, v25
	s_delay_alu instid0(VALU_DEP_2)
	v_add3_u32 v25, v27, v20, 0x7fff
	s_wait_alu 0xfffd
	v_cndmask_b32_e32 v24, v24, v26, vcc_lo
	v_or_b32_e32 v26, 0x400000, v20
	v_cmp_u_f32_e32 vcc_lo, v20, v20
	s_wait_alu 0xfffd
	s_delay_alu instid0(VALU_DEP_2) | instskip(SKIP_1) | instid1(VALU_DEP_2)
	v_dual_cndmask_b32 v20, v25, v26 :: v_dual_and_b32 v25, 0xffff0000, v12
	v_lshlrev_b32_e32 v12, 16, v12
	v_and_b32_e32 v20, 0xffff0000, v20
	s_delay_alu instid0(VALU_DEP_2) | instskip(NEXT) | instid1(VALU_DEP_1)
	v_dual_mul_f32 v12, v33, v12 :: v_dual_and_b32 v17, 0xffff0000, v17
	v_add_f32_e32 v17, v17, v21
	v_and_b32_e32 v21, 0xffff0000, v23
	s_delay_alu instid0(VALU_DEP_2)
	v_dual_add_f32 v17, v18, v17 :: v_dual_mul_f32 v18, v29, v22
	v_and_b32_e32 v22, 0xffff0000, v24
	v_and_b32_e32 v24, 0xffff0000, v10
	v_lshlrev_b32_e32 v10, 16, v10
	v_and_b32_e32 v19, 0xffff0000, v19
	v_bfe_u32 v23, v18, 16, 1
	v_cmp_u_f32_e32 vcc_lo, v18, v18
	s_delay_alu instid0(VALU_DEP_4) | instskip(NEXT) | instid1(VALU_DEP_4)
	v_mul_f32_e32 v10, v35, v10
	v_add_f32_e32 v19, v19, v21
	v_mul_f32_e32 v21, v34, v9
	s_delay_alu instid0(VALU_DEP_2) | instskip(NEXT) | instid1(VALU_DEP_2)
	v_add_f32_e32 v9, v19, v17
	v_bfe_u32 v19, v21, 16, 1
	v_add_f32_e32 v17, v20, v22
	v_add3_u32 v20, v23, v18, 0x7fff
	v_or_b32_e32 v22, 0x400000, v18
	v_mul_f32_e32 v23, v30, v24
	v_add3_u32 v19, v19, v21, 0x7fff
	v_or_b32_e32 v24, 0x400000, v21
	s_wait_alu 0xfffd
	v_cndmask_b32_e32 v18, v20, v22, vcc_lo
	v_bfe_u32 v20, v23, 16, 1
	v_cmp_u_f32_e32 vcc_lo, v21, v21
	v_or_b32_e32 v22, 0x400000, v23
	s_delay_alu instid0(VALU_DEP_4) | instskip(NEXT) | instid1(VALU_DEP_4)
	v_and_b32_e32 v18, 0xffff0000, v18
	v_add3_u32 v20, v20, v23, 0x7fff
	s_wait_alu 0xfffd
	v_cndmask_b32_e32 v19, v19, v24, vcc_lo
	v_bfe_u32 v24, v10, 16, 1
	v_cmp_u_f32_e32 vcc_lo, v23, v23
	v_or_b32_e32 v23, 0x400000, v10
	s_wait_alu 0xfffd
	v_dual_cndmask_b32 v20, v20, v22 :: v_dual_and_b32 v19, 0xffff0000, v19
	v_add3_u32 v22, v24, v10, 0x7fff
	v_cmp_u_f32_e32 vcc_lo, v10, v10
	s_delay_alu instid0(VALU_DEP_3) | instskip(NEXT) | instid1(VALU_DEP_4)
	v_add_f32_e32 v18, v19, v18
	v_and_b32_e32 v20, 0xffff0000, v20
	s_wait_alu 0xfffd
	v_cndmask_b32_e32 v10, v22, v23, vcc_lo
	s_delay_alu instid0(VALU_DEP_1) | instskip(NEXT) | instid1(VALU_DEP_1)
	v_and_b32_e32 v10, 0xffff0000, v10
	v_add_f32_e32 v10, v10, v20
	v_and_b32_e32 v20, 0xffff0000, v5
	v_and_b32_e32 v21, 0xffff0000, v11
	v_lshlrev_b32_e32 v11, 16, v11
	s_delay_alu instid0(VALU_DEP_4) | instskip(NEXT) | instid1(VALU_DEP_3)
	v_dual_add_f32 v10, v10, v18 :: v_dual_lshlrev_b32 v5, 16, v5
	v_dual_mul_f32 v18, v29, v20 :: v_dual_mul_f32 v21, v31, v21
	s_delay_alu instid0(VALU_DEP_3) | instskip(SKIP_1) | instid1(VALU_DEP_3)
	v_dual_mul_f32 v11, v36, v11 :: v_dual_and_b32 v20, 0xffff0000, v6
	v_dual_mul_f32 v23, v32, v25 :: v_dual_lshlrev_b32 v6, 16, v6
	v_bfe_u32 v24, v21, 16, 1
	s_delay_alu instid0(VALU_DEP_3) | instskip(SKIP_1) | instid1(VALU_DEP_4)
	v_bfe_u32 v26, v11, 16, 1
	v_cmp_u_f32_e32 vcc_lo, v21, v21
	v_mul_f32_e32 v6, v35, v6
	v_bfe_u32 v27, v23, 16, 1
	v_add3_u32 v22, v24, v21, 0x7fff
	v_or_b32_e32 v24, 0x400000, v21
	v_add3_u32 v25, v26, v11, 0x7fff
	v_or_b32_e32 v26, 0x400000, v11
	s_wait_alu 0xfffd
	s_delay_alu instid0(VALU_DEP_3) | instskip(SKIP_3) | instid1(VALU_DEP_4)
	v_cndmask_b32_e32 v21, v22, v24, vcc_lo
	v_cmp_u_f32_e32 vcc_lo, v11, v11
	v_add3_u32 v22, v27, v23, 0x7fff
	v_or_b32_e32 v24, 0x400000, v23
	v_and_b32_e32 v19, 0xffff0000, v21
	s_wait_alu 0xfffd
	v_cndmask_b32_e32 v11, v25, v26, vcc_lo
	v_bfe_u32 v25, v12, 16, 1
	v_cmp_u_f32_e32 vcc_lo, v23, v23
	v_bfe_u32 v21, v18, 16, 1
	s_delay_alu instid0(VALU_DEP_4) | instskip(NEXT) | instid1(VALU_DEP_4)
	v_and_b32_e32 v11, 0xffff0000, v11
	v_add3_u32 v23, v25, v12, 0x7fff
	s_wait_alu 0xfffd
	v_cndmask_b32_e32 v22, v22, v24, vcc_lo
	v_or_b32_e32 v24, 0x400000, v12
	v_cmp_u_f32_e32 vcc_lo, v12, v12
	v_add_f32_e32 v11, v11, v19
	s_wait_alu 0xfffd
	s_delay_alu instid0(VALU_DEP_3) | instskip(SKIP_1) | instid1(VALU_DEP_3)
	v_dual_cndmask_b32 v12, v23, v24 :: v_dual_and_b32 v19, 0xffff0000, v22
	v_cmp_u_f32_e32 vcc_lo, v18, v18
	v_add_f32_e32 v10, v11, v10
	s_delay_alu instid0(VALU_DEP_3) | instskip(NEXT) | instid1(VALU_DEP_1)
	v_and_b32_e32 v12, 0xffff0000, v12
	v_dual_add_f32 v12, v12, v19 :: v_dual_mul_f32 v19, v30, v20
	v_add3_u32 v20, v21, v18, 0x7fff
	v_or_b32_e32 v21, 0x400000, v18
	s_delay_alu instid0(VALU_DEP_3) | instskip(SKIP_1) | instid1(VALU_DEP_2)
	v_bfe_u32 v23, v19, 16, 1
	s_wait_alu 0xfffd
	v_cndmask_b32_e32 v18, v20, v21, vcc_lo
	v_mul_f32_e32 v5, v34, v5
	v_or_b32_e32 v20, 0x400000, v19
	v_and_b32_e32 v21, 0xffff0000, v7
	v_lshlrev_b32_e32 v7, 16, v7
	v_and_b32_e32 v18, 0xffff0000, v18
	v_bfe_u32 v11, v5, 16, 1
	v_or_b32_e32 v22, 0x400000, v5
	v_cmp_u_f32_e32 vcc_lo, v5, v5
	v_mul_f32_e32 v7, v36, v7
	s_delay_alu instid0(VALU_DEP_4) | instskip(NEXT) | instid1(VALU_DEP_2)
	v_add3_u32 v11, v11, v5, 0x7fff
	v_bfe_u32 v24, v7, 16, 1
	s_wait_alu 0xfffd
	s_delay_alu instid0(VALU_DEP_2)
	v_cndmask_b32_e32 v5, v11, v22, vcc_lo
	v_add3_u32 v11, v23, v19, 0x7fff
	v_bfe_u32 v22, v6, 16, 1
	v_cmp_u_f32_e32 vcc_lo, v19, v19
	v_mul_f32_e32 v19, v31, v21
	v_or_b32_e32 v21, 0x400000, v6
	v_and_b32_e32 v5, 0xffff0000, v5
	s_wait_alu 0xfffd
	v_cndmask_b32_e32 v11, v11, v20, vcc_lo
	v_add3_u32 v20, v22, v6, 0x7fff
	v_cmp_u_f32_e32 vcc_lo, v6, v6
	v_dual_add_f32 v5, v5, v18 :: v_dual_and_b32 v22, 0xffff0000, v8
	s_delay_alu instid0(VALU_DEP_4) | instskip(SKIP_4) | instid1(VALU_DEP_3)
	v_and_b32_e32 v11, 0xffff0000, v11
	v_lshlrev_b32_e32 v8, 16, v8
	s_wait_alu 0xfffd
	v_cndmask_b32_e32 v6, v20, v21, vcc_lo
	v_mul_f32_e32 v20, v32, v22
	v_mul_f32_e32 v8, v33, v8
	s_delay_alu instid0(VALU_DEP_3) | instskip(NEXT) | instid1(VALU_DEP_3)
	v_and_b32_e32 v6, 0xffff0000, v6
	v_bfe_u32 v25, v20, 16, 1
	s_delay_alu instid0(VALU_DEP_2) | instskip(SKIP_1) | instid1(VALU_DEP_2)
	v_dual_add_f32 v6, v6, v11 :: v_dual_and_b32 v11, 0xffff0000, v1
	v_lshlrev_b32_e32 v1, 16, v1
	v_dual_add_f32 v5, v6, v5 :: v_dual_mul_f32 v6, v29, v11
	v_bfe_u32 v23, v19, 16, 1
	v_or_b32_e32 v22, 0x400000, v19
	v_cmp_u_f32_e32 vcc_lo, v19, v19
	v_mul_f32_e32 v1, v34, v1
	v_bfe_u32 v11, v6, 16, 1
	v_add3_u32 v21, v23, v19, 0x7fff
	v_add3_u32 v23, v24, v7, 0x7fff
	v_or_b32_e32 v24, 0x400000, v7
	s_delay_alu instid0(VALU_DEP_4)
	v_add3_u32 v11, v11, v6, 0x7fff
	s_wait_alu 0xfffd
	v_cndmask_b32_e32 v19, v21, v22, vcc_lo
	v_cmp_u_f32_e32 vcc_lo, v7, v7
	v_add3_u32 v21, v25, v20, 0x7fff
	v_or_b32_e32 v22, 0x400000, v20
	s_wait_alu 0xfffd
	v_dual_cndmask_b32 v7, v23, v24 :: v_dual_and_b32 v18, 0xffff0000, v19
	v_cmp_u_f32_e32 vcc_lo, v20, v20
	s_wait_alu 0xfffd
	s_delay_alu instid0(VALU_DEP_2) | instskip(SKIP_2) | instid1(VALU_DEP_3)
	v_dual_cndmask_b32 v20, v21, v22 :: v_dual_and_b32 v7, 0xffff0000, v7
	v_bfe_u32 v21, v8, 16, 1
	v_cmp_u_f32_e32 vcc_lo, v8, v8
	v_add_f32_e32 v7, v7, v18
	v_or_b32_e32 v18, 0x400000, v6
	s_delay_alu instid0(VALU_DEP_4) | instskip(SKIP_2) | instid1(VALU_DEP_1)
	v_add3_u32 v19, v21, v8, 0x7fff
	v_or_b32_e32 v21, 0x400000, v8
	s_wait_alu 0xfffd
	v_cndmask_b32_e32 v8, v19, v21, vcc_lo
	v_cmp_u_f32_e32 vcc_lo, v6, v6
	v_and_b32_e32 v19, 0xffff0000, v20
	v_bfe_u32 v20, v1, 16, 1
	v_or_b32_e32 v21, 0x400000, v1
	v_and_b32_e32 v8, 0xffff0000, v8
	s_wait_alu 0xfffd
	v_cndmask_b32_e32 v6, v11, v18, vcc_lo
	v_cmp_u_f32_e32 vcc_lo, v1, v1
	v_add3_u32 v18, v20, v1, 0x7fff
	v_and_b32_e32 v20, 0xffff0000, v3
	v_lshlrev_b32_e32 v3, 16, v3
	v_dual_add_f32 v5, v7, v5 :: v_dual_and_b32 v6, 0xffff0000, v6
	v_and_b32_e32 v7, 0xffff0000, v2
	v_lshlrev_b32_e32 v2, 16, v2
	s_wait_alu 0xfffd
	v_dual_mul_f32 v20, v31, v20 :: v_dual_cndmask_b32 v1, v18, v21
	v_and_b32_e32 v21, 0xffff0000, v4
	s_delay_alu instid0(VALU_DEP_3) | instskip(SKIP_1) | instid1(VALU_DEP_4)
	v_dual_mul_f32 v7, v30, v7 :: v_dual_mul_f32 v2, v35, v2
	v_mul_f32_e32 v3, v36, v3
	v_or_b32_e32 v23, 0x400000, v20
	s_delay_alu instid0(VALU_DEP_4) | instskip(NEXT) | instid1(VALU_DEP_4)
	v_mul_f32_e32 v21, v32, v21
	v_bfe_u32 v11, v7, 16, 1
	v_or_b32_e32 v22, 0x400000, v7
	v_bfe_u32 v18, v2, 16, 1
	v_cmp_u_f32_e32 vcc_lo, v7, v7
	v_lshlrev_b32_e32 v4, 16, v4
	v_add3_u32 v11, v11, v7, 0x7fff
	s_delay_alu instid0(VALU_DEP_4) | instskip(SKIP_1) | instid1(VALU_DEP_2)
	v_add3_u32 v18, v18, v2, 0x7fff
	s_wait_alu 0xfffd
	v_dual_mul_f32 v4, v33, v4 :: v_dual_cndmask_b32 v7, v11, v22
	v_bfe_u32 v11, v20, 16, 1
	v_or_b32_e32 v22, 0x400000, v2
	v_cmp_u_f32_e32 vcc_lo, v2, v2
	s_delay_alu instid0(VALU_DEP_4) | instskip(NEXT) | instid1(VALU_DEP_4)
	v_and_b32_e32 v7, 0xffff0000, v7
	v_add3_u32 v11, v11, v20, 0x7fff
	s_wait_alu 0xfffd
	v_cndmask_b32_e32 v2, v18, v22, vcc_lo
	v_bfe_u32 v18, v3, 16, 1
	v_cmp_u_f32_e32 vcc_lo, v20, v20
	v_bfe_u32 v22, v21, 16, 1
	v_or_b32_e32 v20, 0x400000, v3
	v_and_b32_e32 v2, 0xffff0000, v2
	v_add3_u32 v18, v18, v3, 0x7fff
	s_wait_alu 0xfffd
	v_cndmask_b32_e32 v11, v11, v23, vcc_lo
	v_cmp_u_f32_e32 vcc_lo, v3, v3
	v_add3_u32 v22, v22, v21, 0x7fff
	v_or_b32_e32 v23, 0x400000, v21
	v_add_f32_e32 v2, v2, v7
	s_wait_alu 0xfffd
	v_cndmask_b32_e32 v3, v18, v20, vcc_lo
	v_cmp_u_f32_e32 vcc_lo, v21, v21
	v_bfe_u32 v20, v4, 16, 1
	v_or_b32_e32 v21, 0x400000, v4
	s_delay_alu instid0(VALU_DEP_4)
	v_and_b32_e32 v3, 0xffff0000, v3
	s_wait_alu 0xfffd
	v_cndmask_b32_e32 v18, v22, v23, vcc_lo
	s_wait_loadcnt 0x0
	v_lshlrev_b32_e32 v22, 16, v13
	v_add3_u32 v20, v20, v4, 0x7fff
	v_cmp_u_f32_e32 vcc_lo, v4, v4
	s_delay_alu instid0(VALU_DEP_3) | instskip(SKIP_4) | instid1(VALU_DEP_2)
	v_dual_mul_f32 v7, v34, v22 :: v_dual_lshlrev_b32 v22, 16, v16
	v_and_b32_e32 v16, 0xffff0000, v16
	v_and_b32_e32 v1, 0xffff0000, v1
	s_wait_alu 0xfffd
	v_cndmask_b32_e32 v4, v20, v21, vcc_lo
	v_dual_mul_f32 v16, v32, v16 :: v_dual_add_f32 v1, v1, v6
	v_and_b32_e32 v6, 0xffff0000, v11
	v_and_b32_e32 v11, 0xffff0000, v13
	s_delay_alu instid0(VALU_DEP_4) | instskip(NEXT) | instid1(VALU_DEP_4)
	v_and_b32_e32 v4, 0xffff0000, v4
	v_bfe_u32 v25, v16, 16, 1
	v_add_f32_e32 v1, v2, v1
	s_delay_alu instid0(VALU_DEP_4) | instskip(SKIP_3) | instid1(VALU_DEP_4)
	v_dual_add_f32 v3, v3, v6 :: v_dual_mul_f32 v6, v29, v11
	v_dual_add_f32 v8, v8, v19 :: v_dual_lshlrev_b32 v11, 16, v14
	v_bfe_u32 v2, v7, 16, 1
	v_or_b32_e32 v13, 0x400000, v7
	v_bfe_u32 v20, v6, 16, 1
	s_delay_alu instid0(VALU_DEP_4) | instskip(NEXT) | instid1(VALU_DEP_4)
	v_dual_mul_f32 v11, v35, v11 :: v_dual_and_b32 v14, 0xffff0000, v14
	v_add3_u32 v2, v2, v7, 0x7fff
	v_cmp_u_f32_e32 vcc_lo, v7, v7
	s_delay_alu instid0(VALU_DEP_4) | instskip(NEXT) | instid1(VALU_DEP_4)
	v_add3_u32 v7, v20, v6, 0x7fff
	v_bfe_u32 v20, v11, 16, 1
	v_dual_mul_f32 v14, v30, v14 :: v_dual_add_f32 v5, v8, v5
	s_wait_alu 0xfffd
	v_cndmask_b32_e32 v2, v2, v13, vcc_lo
	v_or_b32_e32 v13, 0x400000, v6
	v_cmp_u_f32_e32 vcc_lo, v6, v6
	s_delay_alu instid0(VALU_DEP_3) | instskip(SKIP_1) | instid1(VALU_DEP_3)
	v_dual_add_f32 v67, v67, v5 :: v_dual_and_b32 v2, 0xffff0000, v2
	s_wait_alu 0xfffd
	v_cndmask_b32_e32 v6, v7, v13, vcc_lo
	v_add3_u32 v7, v20, v11, 0x7fff
	v_or_b32_e32 v13, 0x400000, v11
	v_bfe_u32 v20, v14, 16, 1
	v_cmp_u_f32_e32 vcc_lo, v11, v11
	v_and_b32_e32 v6, 0xffff0000, v6
	s_delay_alu instid0(VALU_DEP_3) | instskip(SKIP_4) | instid1(VALU_DEP_3)
	v_add3_u32 v11, v20, v14, 0x7fff
	s_wait_alu 0xfffd
	v_cndmask_b32_e32 v7, v7, v13, vcc_lo
	v_or_b32_e32 v13, 0x400000, v14
	v_cmp_u_f32_e32 vcc_lo, v14, v14
	v_dual_add_f32 v2, v2, v6 :: v_dual_and_b32 v7, 0xffff0000, v7
	s_wait_alu 0xfffd
	s_delay_alu instid0(VALU_DEP_3) | instskip(NEXT) | instid1(VALU_DEP_1)
	v_cndmask_b32_e32 v11, v11, v13, vcc_lo
	v_and_b32_e32 v11, 0xffff0000, v11
	s_delay_alu instid0(VALU_DEP_1) | instskip(NEXT) | instid1(VALU_DEP_1)
	v_add_f32_e32 v6, v7, v11
	v_dual_add_f32 v2, v6, v2 :: v_dual_lshlrev_b32 v21, 16, v15
	s_delay_alu instid0(VALU_DEP_1) | instskip(SKIP_1) | instid1(VALU_DEP_2)
	v_mul_f32_e32 v21, v36, v21
	v_and_b32_e32 v15, 0xffff0000, v15
	v_bfe_u32 v20, v21, 16, 1
	s_delay_alu instid0(VALU_DEP_2) | instskip(SKIP_1) | instid1(VALU_DEP_3)
	v_mul_f32_e32 v15, v31, v15
	v_cmp_u_f32_e32 vcc_lo, v21, v21
	v_add3_u32 v14, v20, v21, 0x7fff
	s_delay_alu instid0(VALU_DEP_3)
	v_bfe_u32 v13, v15, 16, 1
	v_mul_f32_e32 v20, v33, v22
	v_or_b32_e32 v22, 0x400000, v21
	v_or_b32_e32 v23, 0x400000, v15
	v_add3_u32 v21, v25, v16, 0x7fff
	v_add3_u32 v13, v13, v15, 0x7fff
	v_bfe_u32 v24, v20, 16, 1
	s_wait_alu 0xfffd
	v_cndmask_b32_e32 v14, v14, v22, vcc_lo
	v_cmp_u_f32_e32 vcc_lo, v15, v15
	v_or_b32_e32 v22, 0x400000, v16
	v_add3_u32 v15, v24, v20, 0x7fff
	s_delay_alu instid0(VALU_DEP_4)
	v_and_b32_e32 v11, 0xffff0000, v14
	s_wait_alu 0xfffd
	v_cndmask_b32_e32 v13, v13, v23, vcc_lo
	v_cmp_u_f32_e32 vcc_lo, v16, v16
	v_or_b32_e32 v23, 0x400000, v20
	v_and_b32_e32 v14, 0xffff0000, v18
	s_wait_alu 0xfffd
	v_dual_cndmask_b32 v16, v21, v22 :: v_dual_and_b32 v7, 0xffff0000, v13
	v_cmp_u_f32_e32 vcc_lo, v20, v20
	s_delay_alu instid0(VALU_DEP_2) | instskip(SKIP_1) | instid1(VALU_DEP_1)
	v_dual_add_f32 v6, v11, v7 :: v_dual_and_b32 v7, 0xffff0000, v16
	s_wait_alu 0xfffd
	v_dual_cndmask_b32 v13, v15, v23 :: v_dual_add_f32 v2, v6, v2
	v_add_f32_e32 v6, v17, v9
	s_delay_alu instid0(VALU_DEP_2) | instskip(SKIP_2) | instid1(VALU_DEP_4)
	v_and_b32_e32 v11, 0xffff0000, v13
	v_add_f32_e32 v1, v3, v1
	v_add_f32_e32 v3, v4, v14
	;; [unrolled: 1-line block ×3, first 2 shown]
	s_delay_alu instid0(VALU_DEP_4) | instskip(NEXT) | instid1(VALU_DEP_1)
	v_dual_add_f32 v4, v11, v7 :: v_dual_add_f32 v7, v12, v10
	v_dual_add_f32 v1, v3, v1 :: v_dual_add_f32 v2, v4, v2
	s_delay_alu instid0(VALU_DEP_1) | instskip(NEXT) | instid1(VALU_DEP_2)
	v_dual_add_f32 v65, v65, v7 :: v_dual_add_f32 v66, v66, v1
	v_add_f32_e32 v58, v58, v2
.LBB173_37:                             ;   in Loop: Header=BB173_38 Depth=1
	s_wait_alu 0xfffe
	s_or_b32 exec_lo, exec_lo, s10
	v_add_nc_u32_e32 v54, 4, v54
	v_add_co_u32 v49, s0, v49, 16
	s_wait_alu 0xf1ff
	v_add_co_ci_u32_e64 v50, null, 0, v50, s0
	s_delay_alu instid0(VALU_DEP_3) | instskip(SKIP_3) | instid1(SALU_CYCLE_1)
	v_cmp_le_i32_e32 vcc_lo, s33, v54
	v_add_nc_u32_e32 v53, 0x80, v53
	v_add_nc_u32_e32 v71, 0x200, v71
	s_or_b32 s6, vcc_lo, s6
	s_and_not1_b32 exec_lo, exec_lo, s6
	s_cbranch_execz .LBB173_59
.LBB173_38:                             ; =>This Inner Loop Header: Depth=1
	v_sub_nc_u32_e32 v1, 0, v53
	s_delay_alu instid0(VALU_DEP_1) | instskip(NEXT) | instid1(VALU_DEP_1)
	v_max_i32_e32 v1, v53, v1
	v_mul_hi_u32 v2, v1, s18
	s_delay_alu instid0(VALU_DEP_1) | instskip(NEXT) | instid1(VALU_DEP_1)
	v_mul_lo_u32 v3, v2, s12
	v_sub_nc_u32_e32 v1, v1, v3
	v_add_nc_u32_e32 v3, 1, v2
	s_delay_alu instid0(VALU_DEP_2) | instskip(SKIP_2) | instid1(VALU_DEP_2)
	v_subrev_nc_u32_e32 v4, s12, v1
	v_cmp_le_u32_e32 vcc_lo, s12, v1
	s_wait_alu 0xfffd
	v_dual_cndmask_b32 v2, v2, v3 :: v_dual_cndmask_b32 v1, v1, v4
	v_ashrrev_i32_e32 v3, 31, v53
	s_delay_alu instid0(VALU_DEP_2) | instskip(NEXT) | instid1(VALU_DEP_3)
	v_add_nc_u32_e32 v4, 1, v2
	v_cmp_le_u32_e32 vcc_lo, s12, v1
	s_delay_alu instid0(VALU_DEP_3) | instskip(SKIP_1) | instid1(VALU_DEP_3)
	v_xor_b32_e32 v3, s19, v3
	s_wait_alu 0xfffd
	v_cndmask_b32_e32 v1, v2, v4, vcc_lo
	s_delay_alu instid0(VALU_DEP_1) | instskip(NEXT) | instid1(VALU_DEP_1)
	v_xor_b32_e32 v1, v1, v3
	v_sub_nc_u32_e32 v1, v1, v3
	s_delay_alu instid0(VALU_DEP_1) | instskip(SKIP_1) | instid1(VALU_DEP_2)
	v_add_nc_u32_e32 v2, s17, v1
	v_cmp_lt_i32_e64 s0, s3, v1
	v_sub_nc_u32_e32 v3, 0, v2
	s_delay_alu instid0(VALU_DEP_1) | instskip(SKIP_1) | instid1(VALU_DEP_1)
	v_max_i32_e32 v3, v2, v3
	s_wait_alu 0xfffe
	v_mul_hi_u32 v4, v3, s9
	s_delay_alu instid0(VALU_DEP_1) | instskip(NEXT) | instid1(VALU_DEP_1)
	v_mul_lo_u32 v4, v4, s2
	v_sub_nc_u32_e32 v3, v3, v4
	s_delay_alu instid0(VALU_DEP_1) | instskip(SKIP_2) | instid1(VALU_DEP_2)
	v_subrev_nc_u32_e32 v4, s2, v3
	v_cmp_le_u32_e32 vcc_lo, s2, v3
	s_wait_alu 0xfffd
	v_cndmask_b32_e32 v3, v3, v4, vcc_lo
	v_ashrrev_i32_e32 v2, 31, v2
	s_delay_alu instid0(VALU_DEP_2) | instskip(SKIP_2) | instid1(VALU_DEP_2)
	v_subrev_nc_u32_e32 v4, s2, v3
	v_cmp_le_u32_e32 vcc_lo, s2, v3
	s_wait_alu 0xfffd
	v_cndmask_b32_e32 v3, v3, v4, vcc_lo
	s_delay_alu instid0(VALU_DEP_1) | instskip(NEXT) | instid1(VALU_DEP_1)
	v_xor_b32_e32 v3, v3, v2
	v_sub_nc_u32_e32 v2, v3, v2
	s_delay_alu instid0(VALU_DEP_1)
	v_cmp_eq_u32_e32 vcc_lo, 0, v2
	s_or_b32 s0, vcc_lo, s0
	s_wait_alu 0xfffe
	s_and_saveexec_b32 s10, s0
	s_cbranch_execz .LBB173_37
; %bb.39:                               ;   in Loop: Header=BB173_38 Depth=1
	global_load_b32 v1, v[49:50], off
	v_add_nc_u32_e32 v79, v68, v53
	s_delay_alu instid0(VALU_DEP_1)
	v_add_nc_u32_e32 v77, 1, v79
	v_or_b32_e32 v76, 3, v79
	v_or_b32_e32 v78, 2, v79
	;; [unrolled: 1-line block ×6, first 2 shown]
	s_wait_loadcnt 0x0
	v_mad_co_i64_i32 v[1:2], null, v1, s4, 0
	s_delay_alu instid0(VALU_DEP_1) | instskip(NEXT) | instid1(VALU_DEP_1)
	v_lshlrev_b64_e32 v[1:2], 1, v[1:2]
	v_add_co_u32 v13, vcc_lo, v69, v1
	s_wait_alu 0xfffd
	s_delay_alu instid0(VALU_DEP_2)
	v_add_co_ci_u32_e64 v14, null, v70, v2, vcc_lo
	v_cmp_eq_u32_e32 vcc_lo, s5, v54
	global_load_b128 v[1:4], v[13:14], off
	ds_load_2addr_b64 v[33:36], v71 offset1:1
	ds_load_2addr_b64 v[29:32], v71 offset0:2 offset1:3
	s_and_saveexec_b32 s11, vcc_lo
	s_cbranch_execnz .LBB173_49
; %bb.40:                               ;   in Loop: Header=BB173_38 Depth=1
	s_wait_alu 0xfffe
	s_or_b32 exec_lo, exec_lo, s11
	global_load_b128 v[5:8], v[13:14], off offset:512
	s_and_saveexec_b32 s11, vcc_lo
	s_cbranch_execnz .LBB173_50
.LBB173_41:                             ;   in Loop: Header=BB173_38 Depth=1
	s_wait_alu 0xfffe
	s_or_b32 exec_lo, exec_lo, s11
	global_load_b128 v[9:12], v[13:14], off offset:1024
	s_and_saveexec_b32 s11, vcc_lo
	s_cbranch_execnz .LBB173_51
.LBB173_42:                             ;   in Loop: Header=BB173_38 Depth=1
	s_wait_alu 0xfffe
	s_or_b32 exec_lo, exec_lo, s11
	global_load_b128 v[17:20], v[13:14], off offset:1536
	s_and_saveexec_b32 s11, vcc_lo
	s_cbranch_execnz .LBB173_52
.LBB173_43:                             ;   in Loop: Header=BB173_38 Depth=1
	s_wait_alu 0xfffe
	s_or_b32 exec_lo, exec_lo, s11
	global_load_b128 v[21:24], v[13:14], off offset:2048
	s_and_saveexec_b32 s11, vcc_lo
	s_cbranch_execnz .LBB173_53
.LBB173_44:                             ;   in Loop: Header=BB173_38 Depth=1
	s_wait_alu 0xfffe
	s_or_b32 exec_lo, exec_lo, s11
	global_load_b128 v[25:28], v[13:14], off offset:2560
	s_and_saveexec_b32 s11, vcc_lo
	s_cbranch_execnz .LBB173_54
.LBB173_45:                             ;   in Loop: Header=BB173_38 Depth=1
	s_wait_alu 0xfffe
	s_or_b32 exec_lo, exec_lo, s11
	global_load_b128 v[37:40], v[13:14], off offset:3072
	s_and_saveexec_b32 s11, vcc_lo
	s_cbranch_execnz .LBB173_55
.LBB173_46:                             ;   in Loop: Header=BB173_38 Depth=1
	s_wait_alu 0xfffe
	s_or_b32 exec_lo, exec_lo, s11
	global_load_b128 v[41:44], v[13:14], off offset:3584
	s_and_saveexec_b32 s11, vcc_lo
	s_cbranch_execnz .LBB173_56
.LBB173_47:                             ;   in Loop: Header=BB173_38 Depth=1
	s_wait_alu 0xfffe
	s_or_b32 exec_lo, exec_lo, s11
	global_load_b128 v[45:48], v[13:14], off offset:4096
	s_and_saveexec_b32 s11, vcc_lo
	s_cbranch_execnz .LBB173_57
.LBB173_48:                             ;   in Loop: Header=BB173_38 Depth=1
	s_wait_alu 0xfffe
	s_or_b32 exec_lo, exec_lo, s11
	global_load_b128 v[13:16], v[13:14], off offset:4608
	s_and_saveexec_b32 s0, vcc_lo
	s_cbranch_execz .LBB173_36
	s_branch .LBB173_58
.LBB173_49:                             ;   in Loop: Header=BB173_38 Depth=1
	v_cmp_gt_i32_e64 s0, s31, v79
	s_wait_loadcnt 0x0
	v_lshrrev_b32_e32 v5, 16, v1
	v_lshrrev_b32_e32 v6, 16, v2
	;; [unrolled: 1-line block ×4, first 2 shown]
	s_wait_alu 0xf1ff
	v_cndmask_b32_e64 v1, 0, v1, s0
	v_cmp_gt_i32_e64 s0, s8, v77
	s_wait_alu 0xf1ff
	s_delay_alu instid0(VALU_DEP_1) | instskip(SKIP_1) | instid1(VALU_DEP_2)
	v_cndmask_b32_e64 v5, 0, v5, s0
	v_cmp_gt_i32_e64 s0, s31, v78
	v_perm_b32 v1, v5, v1, 0x5040100
	s_wait_alu 0xf1ff
	s_delay_alu instid0(VALU_DEP_2) | instskip(SKIP_2) | instid1(VALU_DEP_1)
	v_cndmask_b32_e64 v2, 0, v2, s0
	v_cmp_gt_i32_e64 s0, s8, v76
	s_wait_alu 0xf1ff
	v_cndmask_b32_e64 v6, 0, v6, s0
	v_cmp_gt_i32_e64 s0, s31, v75
	s_delay_alu instid0(VALU_DEP_2) | instskip(SKIP_1) | instid1(VALU_DEP_2)
	v_perm_b32 v2, v6, v2, 0x5040100
	s_wait_alu 0xf1ff
	v_cndmask_b32_e64 v3, 0, v3, s0
	v_cmp_gt_i32_e64 s0, s8, v73
	s_wait_alu 0xf1ff
	s_delay_alu instid0(VALU_DEP_1) | instskip(SKIP_1) | instid1(VALU_DEP_2)
	v_cndmask_b32_e64 v7, 0, v7, s0
	v_cmp_gt_i32_e64 s0, s31, v74
	v_perm_b32 v3, v7, v3, 0x5040100
	s_wait_alu 0xf1ff
	s_delay_alu instid0(VALU_DEP_2) | instskip(SKIP_2) | instid1(VALU_DEP_1)
	v_cndmask_b32_e64 v4, 0, v4, s0
	v_cmp_gt_i32_e64 s0, s8, v72
	s_wait_alu 0xf1ff
	v_cndmask_b32_e64 v8, 0, v8, s0
	s_delay_alu instid0(VALU_DEP_1)
	v_perm_b32 v4, v8, v4, 0x5040100
	s_wait_alu 0xfffe
	s_or_b32 exec_lo, exec_lo, s11
	global_load_b128 v[5:8], v[13:14], off offset:512
	s_and_saveexec_b32 s11, vcc_lo
	s_cbranch_execz .LBB173_41
.LBB173_50:                             ;   in Loop: Header=BB173_38 Depth=1
	v_cmp_gt_i32_e64 s0, s31, v79
	s_wait_loadcnt 0x0
	v_lshrrev_b32_e32 v9, 16, v5
	v_lshrrev_b32_e32 v10, 16, v6
	;; [unrolled: 1-line block ×4, first 2 shown]
	s_wait_alu 0xf1ff
	v_cndmask_b32_e64 v5, 0, v5, s0
	v_cmp_gt_i32_e64 s0, s8, v77
	s_wait_alu 0xf1ff
	s_delay_alu instid0(VALU_DEP_1) | instskip(SKIP_1) | instid1(VALU_DEP_2)
	v_cndmask_b32_e64 v9, 0, v9, s0
	v_cmp_gt_i32_e64 s0, s31, v78
	v_perm_b32 v5, v9, v5, 0x5040100
	s_wait_alu 0xf1ff
	s_delay_alu instid0(VALU_DEP_2) | instskip(SKIP_2) | instid1(VALU_DEP_1)
	v_cndmask_b32_e64 v6, 0, v6, s0
	v_cmp_gt_i32_e64 s0, s8, v76
	s_wait_alu 0xf1ff
	v_cndmask_b32_e64 v10, 0, v10, s0
	v_cmp_gt_i32_e64 s0, s31, v75
	s_delay_alu instid0(VALU_DEP_2) | instskip(SKIP_1) | instid1(VALU_DEP_2)
	v_perm_b32 v6, v10, v6, 0x5040100
	s_wait_alu 0xf1ff
	v_cndmask_b32_e64 v7, 0, v7, s0
	v_cmp_gt_i32_e64 s0, s8, v73
	s_wait_alu 0xf1ff
	s_delay_alu instid0(VALU_DEP_1) | instskip(SKIP_1) | instid1(VALU_DEP_2)
	v_cndmask_b32_e64 v11, 0, v11, s0
	v_cmp_gt_i32_e64 s0, s31, v74
	v_perm_b32 v7, v11, v7, 0x5040100
	s_wait_alu 0xf1ff
	s_delay_alu instid0(VALU_DEP_2) | instskip(SKIP_2) | instid1(VALU_DEP_1)
	v_cndmask_b32_e64 v8, 0, v8, s0
	v_cmp_gt_i32_e64 s0, s8, v72
	s_wait_alu 0xf1ff
	v_cndmask_b32_e64 v12, 0, v12, s0
	s_delay_alu instid0(VALU_DEP_1)
	v_perm_b32 v8, v12, v8, 0x5040100
	s_wait_alu 0xfffe
	s_or_b32 exec_lo, exec_lo, s11
	global_load_b128 v[9:12], v[13:14], off offset:1024
	s_and_saveexec_b32 s11, vcc_lo
	s_cbranch_execz .LBB173_42
.LBB173_51:                             ;   in Loop: Header=BB173_38 Depth=1
	v_cmp_gt_i32_e64 s0, s31, v79
	s_wait_loadcnt 0x0
	v_lshrrev_b32_e32 v15, 16, v9
	v_lshrrev_b32_e32 v16, 16, v10
	;; [unrolled: 1-line block ×4, first 2 shown]
	s_wait_alu 0xf1ff
	v_cndmask_b32_e64 v9, 0, v9, s0
	v_cmp_gt_i32_e64 s0, s8, v77
	s_wait_alu 0xf1ff
	s_delay_alu instid0(VALU_DEP_1) | instskip(SKIP_1) | instid1(VALU_DEP_2)
	v_cndmask_b32_e64 v15, 0, v15, s0
	v_cmp_gt_i32_e64 s0, s31, v78
	v_perm_b32 v9, v15, v9, 0x5040100
	s_wait_alu 0xf1ff
	s_delay_alu instid0(VALU_DEP_2) | instskip(SKIP_2) | instid1(VALU_DEP_1)
	v_cndmask_b32_e64 v10, 0, v10, s0
	v_cmp_gt_i32_e64 s0, s8, v76
	s_wait_alu 0xf1ff
	v_cndmask_b32_e64 v16, 0, v16, s0
	v_cmp_gt_i32_e64 s0, s31, v75
	s_delay_alu instid0(VALU_DEP_2) | instskip(SKIP_1) | instid1(VALU_DEP_2)
	v_perm_b32 v10, v16, v10, 0x5040100
	s_wait_alu 0xf1ff
	v_cndmask_b32_e64 v11, 0, v11, s0
	v_cmp_gt_i32_e64 s0, s8, v73
	s_wait_alu 0xf1ff
	s_delay_alu instid0(VALU_DEP_1) | instskip(SKIP_1) | instid1(VALU_DEP_2)
	v_cndmask_b32_e64 v17, 0, v17, s0
	v_cmp_gt_i32_e64 s0, s31, v74
	v_perm_b32 v11, v17, v11, 0x5040100
	s_wait_alu 0xf1ff
	s_delay_alu instid0(VALU_DEP_2) | instskip(SKIP_2) | instid1(VALU_DEP_1)
	v_cndmask_b32_e64 v12, 0, v12, s0
	v_cmp_gt_i32_e64 s0, s8, v72
	s_wait_alu 0xf1ff
	v_cndmask_b32_e64 v18, 0, v18, s0
	s_delay_alu instid0(VALU_DEP_1)
	v_perm_b32 v12, v18, v12, 0x5040100
	s_wait_alu 0xfffe
	s_or_b32 exec_lo, exec_lo, s11
	global_load_b128 v[17:20], v[13:14], off offset:1536
	s_and_saveexec_b32 s11, vcc_lo
	s_cbranch_execz .LBB173_43
.LBB173_52:                             ;   in Loop: Header=BB173_38 Depth=1
	v_cmp_gt_i32_e64 s0, s31, v79
	s_wait_loadcnt 0x0
	v_lshrrev_b32_e32 v15, 16, v17
	v_lshrrev_b32_e32 v22, 16, v20
	s_wait_alu 0xf1ff
	v_cndmask_b32_e64 v16, 0, v17, s0
	v_cmp_gt_i32_e64 s0, s8, v77
	v_lshrrev_b32_e32 v17, 16, v18
	s_wait_alu 0xf1ff
	s_delay_alu instid0(VALU_DEP_2) | instskip(SKIP_2) | instid1(VALU_DEP_1)
	v_cndmask_b32_e64 v15, 0, v15, s0
	v_cmp_gt_i32_e64 s0, s31, v78
	s_wait_alu 0xf1ff
	v_cndmask_b32_e64 v18, 0, v18, s0
	v_cmp_gt_i32_e64 s0, s8, v76
	s_wait_alu 0xf1ff
	s_delay_alu instid0(VALU_DEP_1) | instskip(SKIP_2) | instid1(VALU_DEP_3)
	v_cndmask_b32_e64 v21, 0, v17, s0
	v_cmp_gt_i32_e64 s0, s31, v75
	v_lshrrev_b32_e32 v17, 16, v19
	v_perm_b32 v18, v21, v18, 0x5040100
	s_wait_alu 0xf1ff
	s_delay_alu instid0(VALU_DEP_3) | instskip(SKIP_2) | instid1(VALU_DEP_1)
	v_cndmask_b32_e64 v19, 0, v19, s0
	v_cmp_gt_i32_e64 s0, s8, v73
	s_wait_alu 0xf1ff
	v_cndmask_b32_e64 v23, 0, v17, s0
	v_cmp_gt_i32_e64 s0, s31, v74
	v_perm_b32 v17, v15, v16, 0x5040100
	s_delay_alu instid0(VALU_DEP_3) | instskip(SKIP_1) | instid1(VALU_DEP_3)
	v_perm_b32 v19, v23, v19, 0x5040100
	s_wait_alu 0xf1ff
	v_cndmask_b32_e64 v20, 0, v20, s0
	v_cmp_gt_i32_e64 s0, s8, v72
	s_wait_alu 0xf1ff
	s_delay_alu instid0(VALU_DEP_1) | instskip(NEXT) | instid1(VALU_DEP_1)
	v_cndmask_b32_e64 v22, 0, v22, s0
	v_perm_b32 v20, v22, v20, 0x5040100
	s_wait_alu 0xfffe
	s_or_b32 exec_lo, exec_lo, s11
	global_load_b128 v[21:24], v[13:14], off offset:2048
	s_and_saveexec_b32 s11, vcc_lo
	s_cbranch_execz .LBB173_44
.LBB173_53:                             ;   in Loop: Header=BB173_38 Depth=1
	v_cmp_gt_i32_e64 s0, s31, v79
	s_wait_loadcnt 0x0
	v_lshrrev_b32_e32 v15, 16, v21
	v_lshrrev_b32_e32 v26, 16, v24
	s_wait_alu 0xf1ff
	v_cndmask_b32_e64 v16, 0, v21, s0
	v_cmp_gt_i32_e64 s0, s8, v77
	v_lshrrev_b32_e32 v21, 16, v22
	s_wait_alu 0xf1ff
	s_delay_alu instid0(VALU_DEP_2) | instskip(SKIP_2) | instid1(VALU_DEP_1)
	v_cndmask_b32_e64 v15, 0, v15, s0
	v_cmp_gt_i32_e64 s0, s31, v78
	s_wait_alu 0xf1ff
	v_cndmask_b32_e64 v22, 0, v22, s0
	v_cmp_gt_i32_e64 s0, s8, v76
	s_wait_alu 0xf1ff
	s_delay_alu instid0(VALU_DEP_1) | instskip(SKIP_2) | instid1(VALU_DEP_3)
	v_cndmask_b32_e64 v25, 0, v21, s0
	v_cmp_gt_i32_e64 s0, s31, v75
	v_lshrrev_b32_e32 v21, 16, v23
	v_perm_b32 v22, v25, v22, 0x5040100
	s_wait_alu 0xf1ff
	s_delay_alu instid0(VALU_DEP_3) | instskip(SKIP_2) | instid1(VALU_DEP_1)
	v_cndmask_b32_e64 v23, 0, v23, s0
	v_cmp_gt_i32_e64 s0, s8, v73
	s_wait_alu 0xf1ff
	v_cndmask_b32_e64 v27, 0, v21, s0
	v_cmp_gt_i32_e64 s0, s31, v74
	v_perm_b32 v21, v15, v16, 0x5040100
	s_delay_alu instid0(VALU_DEP_3) | instskip(SKIP_1) | instid1(VALU_DEP_3)
	v_perm_b32 v23, v27, v23, 0x5040100
	s_wait_alu 0xf1ff
	v_cndmask_b32_e64 v24, 0, v24, s0
	v_cmp_gt_i32_e64 s0, s8, v72
	s_wait_alu 0xf1ff
	s_delay_alu instid0(VALU_DEP_1) | instskip(NEXT) | instid1(VALU_DEP_1)
	v_cndmask_b32_e64 v26, 0, v26, s0
	v_perm_b32 v24, v26, v24, 0x5040100
	s_wait_alu 0xfffe
	s_or_b32 exec_lo, exec_lo, s11
	global_load_b128 v[25:28], v[13:14], off offset:2560
	s_and_saveexec_b32 s11, vcc_lo
	s_cbranch_execz .LBB173_45
.LBB173_54:                             ;   in Loop: Header=BB173_38 Depth=1
	v_cmp_gt_i32_e64 s0, s31, v79
	s_wait_loadcnt 0x0
	v_lshrrev_b32_e32 v15, 16, v25
	v_lshrrev_b32_e32 v38, 16, v28
	s_wait_alu 0xf1ff
	v_cndmask_b32_e64 v16, 0, v25, s0
	v_cmp_gt_i32_e64 s0, s8, v77
	v_lshrrev_b32_e32 v25, 16, v26
	s_wait_alu 0xf1ff
	s_delay_alu instid0(VALU_DEP_2) | instskip(SKIP_2) | instid1(VALU_DEP_1)
	v_cndmask_b32_e64 v15, 0, v15, s0
	v_cmp_gt_i32_e64 s0, s31, v78
	s_wait_alu 0xf1ff
	v_cndmask_b32_e64 v26, 0, v26, s0
	v_cmp_gt_i32_e64 s0, s8, v76
	s_wait_alu 0xf1ff
	s_delay_alu instid0(VALU_DEP_1) | instskip(SKIP_2) | instid1(VALU_DEP_3)
	v_cndmask_b32_e64 v37, 0, v25, s0
	v_cmp_gt_i32_e64 s0, s31, v75
	v_lshrrev_b32_e32 v25, 16, v27
	v_perm_b32 v26, v37, v26, 0x5040100
	s_wait_alu 0xf1ff
	s_delay_alu instid0(VALU_DEP_3) | instskip(SKIP_2) | instid1(VALU_DEP_1)
	v_cndmask_b32_e64 v27, 0, v27, s0
	v_cmp_gt_i32_e64 s0, s8, v73
	s_wait_alu 0xf1ff
	v_cndmask_b32_e64 v39, 0, v25, s0
	v_cmp_gt_i32_e64 s0, s31, v74
	v_perm_b32 v25, v15, v16, 0x5040100
	s_delay_alu instid0(VALU_DEP_3) | instskip(SKIP_1) | instid1(VALU_DEP_3)
	v_perm_b32 v27, v39, v27, 0x5040100
	s_wait_alu 0xf1ff
	v_cndmask_b32_e64 v28, 0, v28, s0
	v_cmp_gt_i32_e64 s0, s8, v72
	s_wait_alu 0xf1ff
	s_delay_alu instid0(VALU_DEP_1) | instskip(NEXT) | instid1(VALU_DEP_1)
	v_cndmask_b32_e64 v38, 0, v38, s0
	v_perm_b32 v28, v38, v28, 0x5040100
	s_wait_alu 0xfffe
	s_or_b32 exec_lo, exec_lo, s11
	global_load_b128 v[37:40], v[13:14], off offset:3072
	s_and_saveexec_b32 s11, vcc_lo
	s_cbranch_execz .LBB173_46
.LBB173_55:                             ;   in Loop: Header=BB173_38 Depth=1
	v_cmp_gt_i32_e64 s0, s31, v79
	s_wait_loadcnt 0x0
	v_lshrrev_b32_e32 v15, 16, v37
	v_lshrrev_b32_e32 v42, 16, v40
	s_wait_alu 0xf1ff
	v_cndmask_b32_e64 v16, 0, v37, s0
	v_cmp_gt_i32_e64 s0, s8, v77
	v_lshrrev_b32_e32 v37, 16, v38
	s_wait_alu 0xf1ff
	s_delay_alu instid0(VALU_DEP_2) | instskip(SKIP_2) | instid1(VALU_DEP_1)
	v_cndmask_b32_e64 v15, 0, v15, s0
	v_cmp_gt_i32_e64 s0, s31, v78
	s_wait_alu 0xf1ff
	v_cndmask_b32_e64 v38, 0, v38, s0
	v_cmp_gt_i32_e64 s0, s8, v76
	s_wait_alu 0xf1ff
	s_delay_alu instid0(VALU_DEP_1) | instskip(SKIP_2) | instid1(VALU_DEP_3)
	v_cndmask_b32_e64 v41, 0, v37, s0
	v_cmp_gt_i32_e64 s0, s31, v75
	v_lshrrev_b32_e32 v37, 16, v39
	v_perm_b32 v38, v41, v38, 0x5040100
	s_wait_alu 0xf1ff
	s_delay_alu instid0(VALU_DEP_3) | instskip(SKIP_2) | instid1(VALU_DEP_1)
	v_cndmask_b32_e64 v39, 0, v39, s0
	v_cmp_gt_i32_e64 s0, s8, v73
	s_wait_alu 0xf1ff
	v_cndmask_b32_e64 v43, 0, v37, s0
	v_cmp_gt_i32_e64 s0, s31, v74
	v_perm_b32 v37, v15, v16, 0x5040100
	s_delay_alu instid0(VALU_DEP_3) | instskip(SKIP_1) | instid1(VALU_DEP_3)
	v_perm_b32 v39, v43, v39, 0x5040100
	s_wait_alu 0xf1ff
	v_cndmask_b32_e64 v40, 0, v40, s0
	v_cmp_gt_i32_e64 s0, s8, v72
	s_wait_alu 0xf1ff
	s_delay_alu instid0(VALU_DEP_1) | instskip(NEXT) | instid1(VALU_DEP_1)
	v_cndmask_b32_e64 v42, 0, v42, s0
	v_perm_b32 v40, v42, v40, 0x5040100
	s_wait_alu 0xfffe
	s_or_b32 exec_lo, exec_lo, s11
	global_load_b128 v[41:44], v[13:14], off offset:3584
	s_and_saveexec_b32 s11, vcc_lo
	s_cbranch_execz .LBB173_47
.LBB173_56:                             ;   in Loop: Header=BB173_38 Depth=1
	v_cmp_gt_i32_e64 s0, s31, v79
	s_wait_loadcnt 0x0
	v_lshrrev_b32_e32 v15, 16, v41
	v_lshrrev_b32_e32 v46, 16, v44
	s_wait_alu 0xf1ff
	v_cndmask_b32_e64 v16, 0, v41, s0
	v_cmp_gt_i32_e64 s0, s8, v77
	v_lshrrev_b32_e32 v41, 16, v42
	s_wait_alu 0xf1ff
	s_delay_alu instid0(VALU_DEP_2) | instskip(SKIP_2) | instid1(VALU_DEP_1)
	v_cndmask_b32_e64 v15, 0, v15, s0
	v_cmp_gt_i32_e64 s0, s31, v78
	s_wait_alu 0xf1ff
	v_cndmask_b32_e64 v42, 0, v42, s0
	v_cmp_gt_i32_e64 s0, s8, v76
	s_wait_alu 0xf1ff
	s_delay_alu instid0(VALU_DEP_1) | instskip(SKIP_2) | instid1(VALU_DEP_3)
	v_cndmask_b32_e64 v45, 0, v41, s0
	v_cmp_gt_i32_e64 s0, s31, v75
	v_lshrrev_b32_e32 v41, 16, v43
	v_perm_b32 v42, v45, v42, 0x5040100
	s_wait_alu 0xf1ff
	s_delay_alu instid0(VALU_DEP_3) | instskip(SKIP_2) | instid1(VALU_DEP_1)
	v_cndmask_b32_e64 v43, 0, v43, s0
	v_cmp_gt_i32_e64 s0, s8, v73
	s_wait_alu 0xf1ff
	v_cndmask_b32_e64 v47, 0, v41, s0
	v_cmp_gt_i32_e64 s0, s31, v74
	v_perm_b32 v41, v15, v16, 0x5040100
	s_delay_alu instid0(VALU_DEP_3) | instskip(SKIP_1) | instid1(VALU_DEP_3)
	v_perm_b32 v43, v47, v43, 0x5040100
	s_wait_alu 0xf1ff
	v_cndmask_b32_e64 v44, 0, v44, s0
	v_cmp_gt_i32_e64 s0, s8, v72
	s_wait_alu 0xf1ff
	s_delay_alu instid0(VALU_DEP_1) | instskip(NEXT) | instid1(VALU_DEP_1)
	v_cndmask_b32_e64 v46, 0, v46, s0
	v_perm_b32 v44, v46, v44, 0x5040100
	s_wait_alu 0xfffe
	s_or_b32 exec_lo, exec_lo, s11
	global_load_b128 v[45:48], v[13:14], off offset:4096
	s_and_saveexec_b32 s11, vcc_lo
	s_cbranch_execz .LBB173_48
.LBB173_57:                             ;   in Loop: Header=BB173_38 Depth=1
	v_cmp_gt_i32_e64 s0, s31, v79
	s_wait_loadcnt 0x0
	v_lshrrev_b32_e32 v15, 16, v45
	v_lshrrev_b32_e32 v81, 16, v48
	s_wait_alu 0xf1ff
	v_cndmask_b32_e64 v16, 0, v45, s0
	v_cmp_gt_i32_e64 s0, s8, v77
	v_lshrrev_b32_e32 v45, 16, v46
	s_wait_alu 0xf1ff
	s_delay_alu instid0(VALU_DEP_2) | instskip(SKIP_2) | instid1(VALU_DEP_1)
	v_cndmask_b32_e64 v15, 0, v15, s0
	v_cmp_gt_i32_e64 s0, s31, v78
	s_wait_alu 0xf1ff
	v_cndmask_b32_e64 v46, 0, v46, s0
	v_cmp_gt_i32_e64 s0, s8, v76
	s_wait_alu 0xf1ff
	s_delay_alu instid0(VALU_DEP_1) | instskip(SKIP_2) | instid1(VALU_DEP_3)
	v_cndmask_b32_e64 v80, 0, v45, s0
	v_cmp_gt_i32_e64 s0, s31, v75
	v_lshrrev_b32_e32 v45, 16, v47
	v_perm_b32 v46, v80, v46, 0x5040100
	s_wait_alu 0xf1ff
	s_delay_alu instid0(VALU_DEP_3) | instskip(SKIP_2) | instid1(VALU_DEP_1)
	v_cndmask_b32_e64 v47, 0, v47, s0
	v_cmp_gt_i32_e64 s0, s8, v73
	s_wait_alu 0xf1ff
	v_cndmask_b32_e64 v82, 0, v45, s0
	v_cmp_gt_i32_e64 s0, s31, v74
	v_perm_b32 v45, v15, v16, 0x5040100
	s_delay_alu instid0(VALU_DEP_3) | instskip(SKIP_1) | instid1(VALU_DEP_3)
	v_perm_b32 v47, v82, v47, 0x5040100
	s_wait_alu 0xf1ff
	v_cndmask_b32_e64 v48, 0, v48, s0
	v_cmp_gt_i32_e64 s0, s8, v72
	s_wait_alu 0xf1ff
	s_delay_alu instid0(VALU_DEP_1) | instskip(NEXT) | instid1(VALU_DEP_1)
	v_cndmask_b32_e64 v81, 0, v81, s0
	v_perm_b32 v48, v81, v48, 0x5040100
	s_wait_alu 0xfffe
	s_or_b32 exec_lo, exec_lo, s11
	global_load_b128 v[13:16], v[13:14], off offset:4608
	s_and_saveexec_b32 s0, vcc_lo
	s_cbranch_execz .LBB173_36
.LBB173_58:                             ;   in Loop: Header=BB173_38 Depth=1
	v_cmp_gt_i32_e32 vcc_lo, s31, v79
	s_wait_loadcnt 0x0
	v_lshrrev_b32_e32 v80, 16, v13
	v_lshrrev_b32_e32 v79, 16, v14
	s_wait_alu 0xfffd
	v_cndmask_b32_e32 v13, 0, v13, vcc_lo
	v_cmp_gt_i32_e32 vcc_lo, s8, v77
	s_wait_alu 0xfffd
	v_cndmask_b32_e32 v77, 0, v80, vcc_lo
	v_cmp_gt_i32_e32 vcc_lo, s31, v78
	v_lshrrev_b32_e32 v78, 16, v15
	s_wait_alu 0xfffd
	v_cndmask_b32_e32 v14, 0, v14, vcc_lo
	v_cmp_gt_i32_e32 vcc_lo, s8, v76
	s_wait_alu 0xfffd
	v_cndmask_b32_e32 v76, 0, v79, vcc_lo
	v_cmp_gt_i32_e32 vcc_lo, s31, v75
	v_lshrrev_b32_e32 v75, 16, v16
	v_perm_b32 v13, v77, v13, 0x5040100
	s_delay_alu instid0(VALU_DEP_4)
	v_perm_b32 v14, v76, v14, 0x5040100
	s_wait_alu 0xfffd
	v_cndmask_b32_e32 v15, 0, v15, vcc_lo
	v_cmp_gt_i32_e32 vcc_lo, s8, v73
	s_wait_alu 0xfffd
	v_cndmask_b32_e32 v73, 0, v78, vcc_lo
	v_cmp_gt_i32_e32 vcc_lo, s31, v74
	;; [unrolled: 3-line block ×3, first 2 shown]
	s_wait_alu 0xfffd
	v_cndmask_b32_e32 v72, 0, v75, vcc_lo
	v_perm_b32 v15, v73, v15, 0x5040100
	s_delay_alu instid0(VALU_DEP_2)
	v_perm_b32 v16, v72, v16, 0x5040100
	s_branch .LBB173_36
.LBB173_59:
	s_or_b32 exec_lo, exec_lo, s6
.LBB173_60:
	s_wait_alu 0xfffe
	s_or_b32 exec_lo, exec_lo, s1
	ds_bpermute_b32 v1, v56, v66
	ds_bpermute_b32 v2, v56, v67
	ds_bpermute_b32 v3, v56, v65
	ds_bpermute_b32 v4, v56, v64
	ds_bpermute_b32 v5, v56, v63
	ds_bpermute_b32 v6, v56, v62
	ds_bpermute_b32 v7, v56, v61
	ds_bpermute_b32 v8, v56, v60
	ds_bpermute_b32 v9, v56, v59
	ds_bpermute_b32 v10, v56, v58
	v_lshrrev_b32_e32 v11, 2, v52
	v_mul_u32_u24_e32 v13, 0x140, v51
	s_mov_b32 s0, exec_lo
	s_wait_storecnt 0x0
	s_wait_loadcnt_dscnt 0x0
	s_barrier_signal -1
	s_barrier_wait -1
	global_inv scope:SCOPE_SE
	v_dual_add_f32 v1, v66, v1 :: v_dual_add_f32 v2, v67, v2
	v_dual_add_f32 v3, v65, v3 :: v_dual_add_f32 v4, v64, v4
	;; [unrolled: 1-line block ×5, first 2 shown]
	ds_bpermute_b32 v6, v55, v1
	ds_bpermute_b32 v7, v55, v2
	;; [unrolled: 1-line block ×10, first 2 shown]
	v_and_b32_e32 v9, 28, v52
	v_and_b32_e32 v26, 0x3c3, v0
	s_wait_dscnt 0x9
	v_add_f32_e32 v10, v1, v6
	s_wait_dscnt 0x8
	v_dual_add_f32 v9, v2, v7 :: v_dual_add_nc_u32 v12, 0xc0, v9
	s_wait_dscnt 0x6
	v_dual_add_f32 v8, v3, v8 :: v_dual_add_f32 v7, v4, v19
	s_wait_dscnt 0x4
	v_dual_add_f32 v6, v5, v20 :: v_dual_add_f32 v5, v14, v21
	;; [unrolled: 2-line block ×4, first 2 shown]
	v_cmpx_eq_u32_e32 64, v26
	s_cbranch_execz .LBB173_62
; %bb.61:
	v_add_nc_u32_e32 v14, v12, v13
	s_delay_alu instid0(VALU_DEP_1)
	v_add_nc_u32_e32 v15, 0xfffffd80, v14
	v_add_nc_u32_e32 v16, 0xfffffda0, v14
	v_add_nc_u32_e32 v17, 0xfffffdc0, v14
	v_add_nc_u32_e32 v18, 0xfffffde0, v14
	v_add_nc_u32_e32 v19, 0xfffffe00, v14
	v_add_nc_u32_e32 v20, 0xfffffe20, v14
	v_add_nc_u32_e32 v21, 0xfffffe40, v14
	v_add_nc_u32_e32 v22, 0xfffffe60, v14
	v_add_nc_u32_e32 v23, 0xfffffe80, v14
	v_add_nc_u32_e32 v14, 0xfffffea0, v14
	ds_store_b32 v15, v10
	ds_store_b32 v16, v9
	ds_store_b32 v17, v8
	ds_store_b32 v18, v7
	ds_store_b32 v19, v6
	ds_store_b32 v20, v5
	ds_store_b32 v21, v4
	ds_store_b32 v22, v3
	ds_store_b32 v23, v2
	ds_store_b32 v14, v1
.LBB173_62:
	s_wait_alu 0xfffe
	s_or_b32 exec_lo, exec_lo, s0
	v_lshlrev_b32_e32 v11, 2, v11
	s_mov_b32 s1, exec_lo
	v_cmp_eq_u32_e32 vcc_lo, 0, v57
	s_wait_loadcnt_dscnt 0x0
	s_barrier_signal -1
	v_add3_u32 v11, 0xc0, v13, v11
	s_barrier_wait -1
	global_inv scope:SCOPE_SE
	v_cmpx_gt_u32_e32 64, v0
	s_cbranch_execz .LBB173_75
; %bb.63:
	s_and_saveexec_b32 s0, vcc_lo
	s_cbranch_execnz .LBB173_93
; %bb.64:
	s_wait_alu 0xfffe
	s_or_b32 exec_lo, exec_lo, s0
	s_and_saveexec_b32 s0, vcc_lo
	s_cbranch_execnz .LBB173_94
.LBB173_65:
	s_wait_alu 0xfffe
	s_or_b32 exec_lo, exec_lo, s0
	s_and_saveexec_b32 s0, vcc_lo
	s_cbranch_execnz .LBB173_95
.LBB173_66:
	s_wait_alu 0xfffe
	s_or_b32 exec_lo, exec_lo, s0
	s_and_saveexec_b32 s0, vcc_lo
	s_cbranch_execnz .LBB173_96
.LBB173_67:
	s_wait_alu 0xfffe
	s_or_b32 exec_lo, exec_lo, s0
	s_and_saveexec_b32 s0, vcc_lo
	s_cbranch_execnz .LBB173_97
.LBB173_68:
	s_wait_alu 0xfffe
	s_or_b32 exec_lo, exec_lo, s0
	s_and_saveexec_b32 s0, vcc_lo
	s_cbranch_execnz .LBB173_98
.LBB173_69:
	s_wait_alu 0xfffe
	s_or_b32 exec_lo, exec_lo, s0
	s_and_saveexec_b32 s0, vcc_lo
	s_cbranch_execnz .LBB173_99
.LBB173_70:
	s_wait_alu 0xfffe
	s_or_b32 exec_lo, exec_lo, s0
	s_and_saveexec_b32 s0, vcc_lo
	s_cbranch_execnz .LBB173_100
.LBB173_71:
	s_wait_alu 0xfffe
	s_or_b32 exec_lo, exec_lo, s0
	s_and_saveexec_b32 s0, vcc_lo
	s_cbranch_execnz .LBB173_101
.LBB173_72:
	s_wait_alu 0xfffe
	s_or_b32 exec_lo, exec_lo, s0
	s_and_saveexec_b32 s0, vcc_lo
	s_cbranch_execz .LBB173_74
.LBB173_73:
	ds_load_b32 v13, v11 offset:288
	s_wait_dscnt 0x0
	v_add_f32_e32 v1, v1, v13
.LBB173_74:
	s_wait_alu 0xfffe
	s_or_b32 exec_lo, exec_lo, s0
.LBB173_75:
	s_wait_alu 0xfffe
	s_or_b32 exec_lo, exec_lo, s1
	v_and_b32_e32 v13, 0x3e3, v0
	s_mov_b32 s1, exec_lo
	s_wait_loadcnt 0x0
	s_barrier_signal -1
	s_barrier_wait -1
	global_inv scope:SCOPE_SE
	v_cmpx_eq_u32_e32 32, v13
	s_cbranch_execz .LBB173_77
; %bb.76:
	ds_store_2addr_b32 v12, v10, v9 offset1:8
	ds_store_2addr_b32 v12, v8, v7 offset0:16 offset1:24
	ds_store_2addr_b32 v12, v6, v5 offset0:32 offset1:40
	;; [unrolled: 1-line block ×4, first 2 shown]
.LBB173_77:
	s_wait_alu 0xfffe
	s_or_b32 exec_lo, exec_lo, s1
	s_delay_alu instid0(SALU_CYCLE_1)
	s_mov_b32 s1, exec_lo
	s_wait_loadcnt_dscnt 0x0
	s_barrier_signal -1
	s_barrier_wait -1
	global_inv scope:SCOPE_SE
	v_cmpx_gt_u32_e32 32, v0
	s_cbranch_execz .LBB173_90
; %bb.78:
	s_and_saveexec_b32 s0, vcc_lo
	s_cbranch_execnz .LBB173_102
; %bb.79:
	s_wait_alu 0xfffe
	s_or_b32 exec_lo, exec_lo, s0
	s_and_saveexec_b32 s0, vcc_lo
	s_cbranch_execnz .LBB173_103
.LBB173_80:
	s_wait_alu 0xfffe
	s_or_b32 exec_lo, exec_lo, s0
	s_and_saveexec_b32 s0, vcc_lo
	s_cbranch_execnz .LBB173_104
.LBB173_81:
	s_wait_alu 0xfffe
	s_or_b32 exec_lo, exec_lo, s0
	s_and_saveexec_b32 s0, vcc_lo
	s_cbranch_execnz .LBB173_105
.LBB173_82:
	s_wait_alu 0xfffe
	s_or_b32 exec_lo, exec_lo, s0
	s_and_saveexec_b32 s0, vcc_lo
	s_cbranch_execnz .LBB173_106
.LBB173_83:
	s_wait_alu 0xfffe
	s_or_b32 exec_lo, exec_lo, s0
	s_and_saveexec_b32 s0, vcc_lo
	s_cbranch_execnz .LBB173_107
.LBB173_84:
	s_wait_alu 0xfffe
	s_or_b32 exec_lo, exec_lo, s0
	s_and_saveexec_b32 s0, vcc_lo
	s_cbranch_execnz .LBB173_108
.LBB173_85:
	s_wait_alu 0xfffe
	s_or_b32 exec_lo, exec_lo, s0
	s_and_saveexec_b32 s0, vcc_lo
	s_cbranch_execnz .LBB173_109
.LBB173_86:
	s_wait_alu 0xfffe
	s_or_b32 exec_lo, exec_lo, s0
	s_and_saveexec_b32 s0, vcc_lo
	s_cbranch_execnz .LBB173_110
.LBB173_87:
	s_wait_alu 0xfffe
	s_or_b32 exec_lo, exec_lo, s0
	s_and_saveexec_b32 s0, vcc_lo
	s_cbranch_execz .LBB173_89
.LBB173_88:
	ds_load_b32 v11, v11 offset:288
	s_wait_dscnt 0x0
	v_add_f32_e32 v1, v1, v11
.LBB173_89:
	s_wait_alu 0xfffe
	s_or_b32 exec_lo, exec_lo, s0
.LBB173_90:
	s_wait_alu 0xfffe
	s_or_b32 exec_lo, exec_lo, s1
	s_mov_b32 s1, 0
	s_wait_loadcnt 0x0
	s_barrier_signal -1
	s_barrier_wait -1
	global_inv scope:SCOPE_SE
	s_mov_b32 s0, exec_lo
	v_cmpx_eq_u32_e32 0, v13
	s_cbranch_execz .LBB173_92
; %bb.91:
	v_bfe_u32 v11, v10, 16, 1
	v_bfe_u32 v12, v9, 16, 1
	v_or_b32_e32 v13, 0x400000, v10
	v_cmp_u_f32_e32 vcc_lo, v10, v10
	v_or_b32_e32 v14, 0x400000, v9
	v_add3_u32 v11, v11, v10, 0x7fff
	v_add3_u32 v12, v12, v9, 0x7fff
	v_bfe_u32 v15, v8, 16, 1
	s_mul_i32 s2, s20, 0x50
	s_mul_i32 s4, s7, s16
	s_wait_alu 0xfffd
	v_cndmask_b32_e32 v10, v11, v13, vcc_lo
	v_cmp_u_f32_e32 vcc_lo, v9, v9
	v_bfe_u32 v11, v7, 16, 1
	v_or_b32_e32 v13, 0x400000, v8
	s_wait_alu 0xfffe
	s_ashr_i32 s3, s2, 31
	s_ashr_i32 s5, s4, 31
	s_wait_alu 0xfffd
	v_cndmask_b32_e32 v9, v12, v14, vcc_lo
	v_add3_u32 v12, v15, v8, 0x7fff
	v_cmp_u_f32_e32 vcc_lo, v8, v8
	v_add3_u32 v11, v11, v7, 0x7fff
	v_or_b32_e32 v14, 0x400000, v7
	v_bfe_u32 v15, v6, 16, 1
	s_wait_alu 0xfffe
	s_lshl_b64 s[2:3], s[2:3], 1
	s_wait_alu 0xfffd
	v_cndmask_b32_e32 v8, v12, v13, vcc_lo
	v_cmp_u_f32_e32 vcc_lo, v7, v7
	v_bfe_u32 v12, v5, 16, 1
	v_or_b32_e32 v13, 0x400000, v6
	s_lshl_b64 s[4:5], s[4:5], 1
	s_wait_kmcnt 0x0
	s_wait_alu 0xfffe
	s_add_nc_u64 s[2:3], s[14:15], s[2:3]
	s_wait_alu 0xfffd
	v_cndmask_b32_e32 v7, v11, v14, vcc_lo
	v_add3_u32 v11, v15, v6, 0x7fff
	v_cmp_u_f32_e32 vcc_lo, v6, v6
	v_bfe_u32 v14, v4, 16, 1
	v_add3_u32 v12, v12, v5, 0x7fff
	v_or_b32_e32 v15, 0x400000, v5
	v_lshrrev_b32_e32 v0, 1, v0
	s_wait_alu 0xfffd
	v_cndmask_b32_e32 v6, v11, v13, vcc_lo
	v_cmp_u_f32_e32 vcc_lo, v5, v5
	v_add3_u32 v11, v14, v4, 0x7fff
	v_or_b32_e32 v13, 0x400000, v4
	v_bfe_u32 v14, v2, 16, 1
	v_or_b32_e32 v16, 0x400000, v1
	s_wait_alu 0xfffd
	v_cndmask_b32_e32 v5, v12, v15, vcc_lo
	v_bfe_u32 v12, v3, 16, 1
	v_cmp_u_f32_e32 vcc_lo, v4, v4
	v_add3_u32 v14, v14, v2, 0x7fff
	v_or_b32_e32 v15, 0x400000, v2
	s_wait_alu 0xfffe
	s_add_nc_u64 s[2:3], s[2:3], s[4:5]
	v_add3_u32 v12, v12, v3, 0x7fff
	s_wait_alu 0xfffd
	v_cndmask_b32_e32 v4, v11, v13, vcc_lo
	v_or_b32_e32 v13, 0x400000, v3
	v_cmp_u_f32_e32 vcc_lo, v3, v3
	v_bfe_u32 v11, v1, 16, 1
	s_mul_i32 s0, s30, 0xa0
	s_wait_alu 0xfffe
	s_add_nc_u64 s[0:1], s[2:3], s[0:1]
	s_wait_alu 0xfffd
	v_cndmask_b32_e32 v3, v12, v13, vcc_lo
	v_cmp_u_f32_e32 vcc_lo, v2, v2
	v_add3_u32 v11, v11, v1, 0x7fff
	s_wait_alu 0xfffd
	v_cndmask_b32_e32 v2, v14, v15, vcc_lo
	v_cmp_u_f32_e32 vcc_lo, v1, v1
	s_wait_alu 0xfffd
	v_cndmask_b32_e32 v1, v11, v16, vcc_lo
	s_clause 0x9
	global_store_d16_hi_b16 v0, v10, s[0:1]
	global_store_d16_hi_b16 v0, v9, s[0:1] offset:16
	global_store_d16_hi_b16 v0, v8, s[0:1] offset:32
	;; [unrolled: 1-line block ×9, first 2 shown]
.LBB173_92:
	s_nop 0
	s_sendmsg sendmsg(MSG_DEALLOC_VGPRS)
	s_endpgm
.LBB173_93:
	ds_load_b32 v13, v11
	s_wait_dscnt 0x0
	v_add_f32_e32 v10, v10, v13
	s_wait_alu 0xfffe
	s_or_b32 exec_lo, exec_lo, s0
	s_and_saveexec_b32 s0, vcc_lo
	s_cbranch_execz .LBB173_65
.LBB173_94:
	ds_load_b32 v13, v11 offset:32
	s_wait_dscnt 0x0
	v_add_f32_e32 v9, v9, v13
	s_wait_alu 0xfffe
	s_or_b32 exec_lo, exec_lo, s0
	s_and_saveexec_b32 s0, vcc_lo
	s_cbranch_execz .LBB173_66
.LBB173_95:
	ds_load_b32 v13, v11 offset:64
	s_wait_dscnt 0x0
	v_add_f32_e32 v8, v8, v13
	s_wait_alu 0xfffe
	s_or_b32 exec_lo, exec_lo, s0
	s_and_saveexec_b32 s0, vcc_lo
	s_cbranch_execz .LBB173_67
.LBB173_96:
	ds_load_b32 v13, v11 offset:96
	s_wait_dscnt 0x0
	v_add_f32_e32 v7, v7, v13
	s_wait_alu 0xfffe
	s_or_b32 exec_lo, exec_lo, s0
	s_and_saveexec_b32 s0, vcc_lo
	s_cbranch_execz .LBB173_68
.LBB173_97:
	ds_load_b32 v13, v11 offset:128
	s_wait_dscnt 0x0
	v_add_f32_e32 v6, v6, v13
	s_wait_alu 0xfffe
	s_or_b32 exec_lo, exec_lo, s0
	s_and_saveexec_b32 s0, vcc_lo
	s_cbranch_execz .LBB173_69
.LBB173_98:
	ds_load_b32 v13, v11 offset:160
	s_wait_dscnt 0x0
	v_add_f32_e32 v5, v5, v13
	s_wait_alu 0xfffe
	s_or_b32 exec_lo, exec_lo, s0
	s_and_saveexec_b32 s0, vcc_lo
	s_cbranch_execz .LBB173_70
.LBB173_99:
	ds_load_b32 v13, v11 offset:192
	s_wait_dscnt 0x0
	v_add_f32_e32 v4, v4, v13
	s_wait_alu 0xfffe
	s_or_b32 exec_lo, exec_lo, s0
	s_and_saveexec_b32 s0, vcc_lo
	s_cbranch_execz .LBB173_71
.LBB173_100:
	ds_load_b32 v13, v11 offset:224
	s_wait_dscnt 0x0
	v_add_f32_e32 v3, v3, v13
	s_wait_alu 0xfffe
	s_or_b32 exec_lo, exec_lo, s0
	s_and_saveexec_b32 s0, vcc_lo
	s_cbranch_execz .LBB173_72
.LBB173_101:
	ds_load_b32 v13, v11 offset:256
	s_wait_dscnt 0x0
	v_add_f32_e32 v2, v2, v13
	s_wait_alu 0xfffe
	s_or_b32 exec_lo, exec_lo, s0
	s_and_saveexec_b32 s0, vcc_lo
	s_cbranch_execnz .LBB173_73
	s_branch .LBB173_74
.LBB173_102:
	ds_load_b32 v12, v11
	s_wait_dscnt 0x0
	v_add_f32_e32 v10, v10, v12
	s_wait_alu 0xfffe
	s_or_b32 exec_lo, exec_lo, s0
	s_and_saveexec_b32 s0, vcc_lo
	s_cbranch_execz .LBB173_80
.LBB173_103:
	ds_load_b32 v12, v11 offset:32
	s_wait_dscnt 0x0
	v_add_f32_e32 v9, v9, v12
	s_wait_alu 0xfffe
	s_or_b32 exec_lo, exec_lo, s0
	s_and_saveexec_b32 s0, vcc_lo
	s_cbranch_execz .LBB173_81
.LBB173_104:
	ds_load_b32 v12, v11 offset:64
	s_wait_dscnt 0x0
	v_add_f32_e32 v8, v8, v12
	s_wait_alu 0xfffe
	s_or_b32 exec_lo, exec_lo, s0
	s_and_saveexec_b32 s0, vcc_lo
	s_cbranch_execz .LBB173_82
.LBB173_105:
	ds_load_b32 v12, v11 offset:96
	s_wait_dscnt 0x0
	v_add_f32_e32 v7, v7, v12
	s_wait_alu 0xfffe
	s_or_b32 exec_lo, exec_lo, s0
	s_and_saveexec_b32 s0, vcc_lo
	s_cbranch_execz .LBB173_83
.LBB173_106:
	ds_load_b32 v12, v11 offset:128
	s_wait_dscnt 0x0
	v_add_f32_e32 v6, v6, v12
	s_wait_alu 0xfffe
	s_or_b32 exec_lo, exec_lo, s0
	s_and_saveexec_b32 s0, vcc_lo
	s_cbranch_execz .LBB173_84
.LBB173_107:
	ds_load_b32 v12, v11 offset:160
	s_wait_dscnt 0x0
	v_add_f32_e32 v5, v5, v12
	s_wait_alu 0xfffe
	s_or_b32 exec_lo, exec_lo, s0
	s_and_saveexec_b32 s0, vcc_lo
	s_cbranch_execz .LBB173_85
.LBB173_108:
	ds_load_b32 v12, v11 offset:192
	s_wait_dscnt 0x0
	v_add_f32_e32 v4, v4, v12
	s_wait_alu 0xfffe
	s_or_b32 exec_lo, exec_lo, s0
	s_and_saveexec_b32 s0, vcc_lo
	s_cbranch_execz .LBB173_86
.LBB173_109:
	ds_load_b32 v12, v11 offset:224
	s_wait_dscnt 0x0
	v_add_f32_e32 v3, v3, v12
	s_wait_alu 0xfffe
	s_or_b32 exec_lo, exec_lo, s0
	s_and_saveexec_b32 s0, vcc_lo
	s_cbranch_execz .LBB173_87
.LBB173_110:
	ds_load_b32 v12, v11 offset:256
	s_wait_dscnt 0x0
	v_add_f32_e32 v2, v2, v12
	s_wait_alu 0xfffe
	s_or_b32 exec_lo, exec_lo, s0
	s_and_saveexec_b32 s0, vcc_lo
	s_cbranch_execnz .LBB173_88
	s_branch .LBB173_89
	.section	.rodata,"a",@progbits
	.p2align	6, 0x0
	.amdhsa_kernel _ZN4vllm25paged_attention_v2_kernelI14__hip_bfloat16S1_Li80ELi32ELi128ELNS_18Fp8KVCacheDataTypeE0ELb1ELi512EEEvPfS3_PT_PKS4_PKT0_SA_ifPKiSC_iPKfiiiSE_SE_iiiii
		.amdhsa_group_segment_fixed_size 192
		.amdhsa_private_segment_fixed_size 0
		.amdhsa_kernarg_size 400
		.amdhsa_user_sgpr_count 2
		.amdhsa_user_sgpr_dispatch_ptr 0
		.amdhsa_user_sgpr_queue_ptr 0
		.amdhsa_user_sgpr_kernarg_segment_ptr 1
		.amdhsa_user_sgpr_dispatch_id 0
		.amdhsa_user_sgpr_private_segment_size 0
		.amdhsa_wavefront_size32 1
		.amdhsa_uses_dynamic_stack 0
		.amdhsa_enable_private_segment 0
		.amdhsa_system_sgpr_workgroup_id_x 1
		.amdhsa_system_sgpr_workgroup_id_y 1
		.amdhsa_system_sgpr_workgroup_id_z 1
		.amdhsa_system_sgpr_workgroup_info 0
		.amdhsa_system_vgpr_workitem_id 0
		.amdhsa_next_free_vgpr 178
		.amdhsa_next_free_sgpr 42
		.amdhsa_reserve_vcc 1
		.amdhsa_float_round_mode_32 0
		.amdhsa_float_round_mode_16_64 0
		.amdhsa_float_denorm_mode_32 3
		.amdhsa_float_denorm_mode_16_64 3
		.amdhsa_fp16_overflow 0
		.amdhsa_workgroup_processor_mode 1
		.amdhsa_memory_ordered 1
		.amdhsa_forward_progress 1
		.amdhsa_inst_pref_size 128
		.amdhsa_round_robin_scheduling 0
		.amdhsa_exception_fp_ieee_invalid_op 0
		.amdhsa_exception_fp_denorm_src 0
		.amdhsa_exception_fp_ieee_div_zero 0
		.amdhsa_exception_fp_ieee_overflow 0
		.amdhsa_exception_fp_ieee_underflow 0
		.amdhsa_exception_fp_ieee_inexact 0
		.amdhsa_exception_int_div_zero 0
	.end_amdhsa_kernel
	.section	.text._ZN4vllm25paged_attention_v2_kernelI14__hip_bfloat16S1_Li80ELi32ELi128ELNS_18Fp8KVCacheDataTypeE0ELb1ELi512EEEvPfS3_PT_PKS4_PKT0_SA_ifPKiSC_iPKfiiiSE_SE_iiiii,"axG",@progbits,_ZN4vllm25paged_attention_v2_kernelI14__hip_bfloat16S1_Li80ELi32ELi128ELNS_18Fp8KVCacheDataTypeE0ELb1ELi512EEEvPfS3_PT_PKS4_PKT0_SA_ifPKiSC_iPKfiiiSE_SE_iiiii,comdat
.Lfunc_end173:
	.size	_ZN4vllm25paged_attention_v2_kernelI14__hip_bfloat16S1_Li80ELi32ELi128ELNS_18Fp8KVCacheDataTypeE0ELb1ELi512EEEvPfS3_PT_PKS4_PKT0_SA_ifPKiSC_iPKfiiiSE_SE_iiiii, .Lfunc_end173-_ZN4vllm25paged_attention_v2_kernelI14__hip_bfloat16S1_Li80ELi32ELi128ELNS_18Fp8KVCacheDataTypeE0ELb1ELi512EEEvPfS3_PT_PKS4_PKT0_SA_ifPKiSC_iPKfiiiSE_SE_iiiii
                                        ; -- End function
	.set _ZN4vllm25paged_attention_v2_kernelI14__hip_bfloat16S1_Li80ELi32ELi128ELNS_18Fp8KVCacheDataTypeE0ELb1ELi512EEEvPfS3_PT_PKS4_PKT0_SA_ifPKiSC_iPKfiiiSE_SE_iiiii.num_vgpr, 178
	.set _ZN4vllm25paged_attention_v2_kernelI14__hip_bfloat16S1_Li80ELi32ELi128ELNS_18Fp8KVCacheDataTypeE0ELb1ELi512EEEvPfS3_PT_PKS4_PKT0_SA_ifPKiSC_iPKfiiiSE_SE_iiiii.num_agpr, 0
	.set _ZN4vllm25paged_attention_v2_kernelI14__hip_bfloat16S1_Li80ELi32ELi128ELNS_18Fp8KVCacheDataTypeE0ELb1ELi512EEEvPfS3_PT_PKS4_PKT0_SA_ifPKiSC_iPKfiiiSE_SE_iiiii.numbered_sgpr, 42
	.set _ZN4vllm25paged_attention_v2_kernelI14__hip_bfloat16S1_Li80ELi32ELi128ELNS_18Fp8KVCacheDataTypeE0ELb1ELi512EEEvPfS3_PT_PKS4_PKT0_SA_ifPKiSC_iPKfiiiSE_SE_iiiii.num_named_barrier, 0
	.set _ZN4vllm25paged_attention_v2_kernelI14__hip_bfloat16S1_Li80ELi32ELi128ELNS_18Fp8KVCacheDataTypeE0ELb1ELi512EEEvPfS3_PT_PKS4_PKT0_SA_ifPKiSC_iPKfiiiSE_SE_iiiii.private_seg_size, 0
	.set _ZN4vllm25paged_attention_v2_kernelI14__hip_bfloat16S1_Li80ELi32ELi128ELNS_18Fp8KVCacheDataTypeE0ELb1ELi512EEEvPfS3_PT_PKS4_PKT0_SA_ifPKiSC_iPKfiiiSE_SE_iiiii.uses_vcc, 1
	.set _ZN4vllm25paged_attention_v2_kernelI14__hip_bfloat16S1_Li80ELi32ELi128ELNS_18Fp8KVCacheDataTypeE0ELb1ELi512EEEvPfS3_PT_PKS4_PKT0_SA_ifPKiSC_iPKfiiiSE_SE_iiiii.uses_flat_scratch, 0
	.set _ZN4vllm25paged_attention_v2_kernelI14__hip_bfloat16S1_Li80ELi32ELi128ELNS_18Fp8KVCacheDataTypeE0ELb1ELi512EEEvPfS3_PT_PKS4_PKT0_SA_ifPKiSC_iPKfiiiSE_SE_iiiii.has_dyn_sized_stack, 0
	.set _ZN4vllm25paged_attention_v2_kernelI14__hip_bfloat16S1_Li80ELi32ELi128ELNS_18Fp8KVCacheDataTypeE0ELb1ELi512EEEvPfS3_PT_PKS4_PKT0_SA_ifPKiSC_iPKfiiiSE_SE_iiiii.has_recursion, 0
	.set _ZN4vllm25paged_attention_v2_kernelI14__hip_bfloat16S1_Li80ELi32ELi128ELNS_18Fp8KVCacheDataTypeE0ELb1ELi512EEEvPfS3_PT_PKS4_PKT0_SA_ifPKiSC_iPKfiiiSE_SE_iiiii.has_indirect_call, 0
	.section	.AMDGPU.csdata,"",@progbits
; Kernel info:
; codeLenInByte = 16316
; TotalNumSgprs: 44
; NumVgprs: 178
; ScratchSize: 0
; MemoryBound: 0
; FloatMode: 240
; IeeeMode: 1
; LDSByteSize: 192 bytes/workgroup (compile time only)
; SGPRBlocks: 0
; VGPRBlocks: 22
; NumSGPRsForWavesPerEU: 44
; NumVGPRsForWavesPerEU: 178
; Occupancy: 8
; WaveLimiterHint : 1
; COMPUTE_PGM_RSRC2:SCRATCH_EN: 0
; COMPUTE_PGM_RSRC2:USER_SGPR: 2
; COMPUTE_PGM_RSRC2:TRAP_HANDLER: 0
; COMPUTE_PGM_RSRC2:TGID_X_EN: 1
; COMPUTE_PGM_RSRC2:TGID_Y_EN: 1
; COMPUTE_PGM_RSRC2:TGID_Z_EN: 1
; COMPUTE_PGM_RSRC2:TIDIG_COMP_CNT: 0
	.section	.text._ZN4vllm25paged_attention_v2_kernelI14__hip_bfloat16S1_Li96ELi32ELi128ELNS_18Fp8KVCacheDataTypeE0ELb1ELi512EEEvPfS3_PT_PKS4_PKT0_SA_ifPKiSC_iPKfiiiSE_SE_iiiii,"axG",@progbits,_ZN4vllm25paged_attention_v2_kernelI14__hip_bfloat16S1_Li96ELi32ELi128ELNS_18Fp8KVCacheDataTypeE0ELb1ELi512EEEvPfS3_PT_PKS4_PKT0_SA_ifPKiSC_iPKfiiiSE_SE_iiiii,comdat
	.protected	_ZN4vllm25paged_attention_v2_kernelI14__hip_bfloat16S1_Li96ELi32ELi128ELNS_18Fp8KVCacheDataTypeE0ELb1ELi512EEEvPfS3_PT_PKS4_PKT0_SA_ifPKiSC_iPKfiiiSE_SE_iiiii ; -- Begin function _ZN4vllm25paged_attention_v2_kernelI14__hip_bfloat16S1_Li96ELi32ELi128ELNS_18Fp8KVCacheDataTypeE0ELb1ELi512EEEvPfS3_PT_PKS4_PKT0_SA_ifPKiSC_iPKfiiiSE_SE_iiiii
	.globl	_ZN4vllm25paged_attention_v2_kernelI14__hip_bfloat16S1_Li96ELi32ELi128ELNS_18Fp8KVCacheDataTypeE0ELb1ELi512EEEvPfS3_PT_PKS4_PKT0_SA_ifPKiSC_iPKfiiiSE_SE_iiiii
	.p2align	8
	.type	_ZN4vllm25paged_attention_v2_kernelI14__hip_bfloat16S1_Li96ELi32ELi128ELNS_18Fp8KVCacheDataTypeE0ELb1ELi512EEEvPfS3_PT_PKS4_PKT0_SA_ifPKiSC_iPKfiiiSE_SE_iiiii,@function
_ZN4vllm25paged_attention_v2_kernelI14__hip_bfloat16S1_Li96ELi32ELi128ELNS_18Fp8KVCacheDataTypeE0ELb1ELi512EEEvPfS3_PT_PKS4_PKT0_SA_ifPKiSC_iPKfiiiSE_SE_iiiii: ; @_ZN4vllm25paged_attention_v2_kernelI14__hip_bfloat16S1_Li96ELi32ELi128ELNS_18Fp8KVCacheDataTypeE0ELb1ELi512EEEvPfS3_PT_PKS4_PKT0_SA_ifPKiSC_iPKfiiiSE_SE_iiiii
; %bb.0:
	s_load_b64 s[2:3], s[0:1], 0x40
	s_and_b32 s20, ttmp7, 0xffff
	s_lshr_b32 s30, ttmp7, 16
	s_lshl_b32 s4, s20, 2
	s_lshl_b32 s34, s30, 9
	s_wait_kmcnt 0x0
	s_load_b32 s31, s[2:3], s4 offset:0x0
	s_wait_kmcnt 0x0
	s_cmp_ge_i32 s34, s31
	s_cbranch_scc1 .LBB174_100
; %bb.1:
	s_clause 0x1
	s_load_b32 s21, s[0:1], 0x90
	s_load_b64 s[8:9], s[0:1], 0x30
	s_wait_kmcnt 0x0
	s_abs_i32 s5, s21
	s_abs_i32 s2, s8
	s_delay_alu instid0(SALU_CYCLE_1) | instskip(SKIP_1) | instid1(SALU_CYCLE_2)
	s_cvt_f32_u32 s3, s2
	s_sub_co_i32 s4, 0, s2
	v_rcp_iflag_f32_e32 v1, s3
	s_delay_alu instid0(TRANS32_DEP_1) | instskip(SKIP_2) | instid1(SALU_CYCLE_2)
	v_readfirstlane_b32 s3, v1
	s_mul_f32 s3, s3, 0x4f7ffffe
	s_wait_alu 0xfffe
	s_cvt_u32_f32 s3, s3
	s_wait_alu 0xfffe
	s_delay_alu instid0(SALU_CYCLE_2) | instskip(NEXT) | instid1(SALU_CYCLE_1)
	s_mul_i32 s4, s4, s3
	s_mul_hi_u32 s4, s3, s4
	s_delay_alu instid0(SALU_CYCLE_1)
	s_add_co_i32 s3, s3, s4
	s_xor_b32 s4, s21, s8
	s_wait_alu 0xfffe
	s_mul_hi_u32 s3, s5, s3
	s_ashr_i32 s4, s4, 31
	s_wait_alu 0xfffe
	s_mul_i32 s6, s3, s2
	s_delay_alu instid0(SALU_CYCLE_1)
	s_sub_co_i32 s5, s5, s6
	s_add_co_i32 s6, s3, 1
	s_sub_co_i32 s7, s5, s2
	s_cmp_ge_u32 s5, s2
	s_cselect_b32 s3, s6, s3
	s_cselect_b32 s5, s7, s5
	s_wait_alu 0xfffe
	s_add_co_i32 s6, s3, 1
	s_cmp_ge_u32 s5, s2
	s_cselect_b32 s2, s6, s3
	s_load_b64 s[6:7], s[0:1], 0x50
	s_xor_b32 s2, s2, s4
	s_mov_b32 s3, 0
	s_wait_alu 0xfffe
	s_sub_co_i32 s16, s2, s4
	s_mov_b32 s15, s3
	s_abs_i32 s18, s16
	s_delay_alu instid0(SALU_CYCLE_1) | instskip(SKIP_1) | instid1(SALU_CYCLE_2)
	s_cvt_f32_u32 s2, s18
	s_wait_alu 0xfffe
	v_rcp_iflag_f32_e32 v1, s2
	s_delay_alu instid0(TRANS32_DEP_1) | instskip(SKIP_2) | instid1(SALU_CYCLE_2)
	v_readfirstlane_b32 s2, v1
	s_mul_f32 s2, s2, 0x4f7ffffe
	s_wait_alu 0xfffe
	s_cvt_u32_f32 s4, s2
	s_sub_co_i32 s2, 0, s18
	s_wait_alu 0xfffe
	s_delay_alu instid0(SALU_CYCLE_1)
	s_mul_i32 s2, s2, s4
	s_wait_alu 0xfffe
	s_mul_hi_u32 s5, s4, s2
	s_abs_i32 s2, ttmp9
	s_add_co_i32 s4, s4, s5
	s_mov_b32 s5, s3
	s_wait_kmcnt 0x0
	s_cmp_eq_u64 s[6:7], 0
	s_cbranch_scc1 .LBB174_3
; %bb.2:
	s_mov_b32 s10, ttmp9
	s_ashr_i32 s11, ttmp9, 31
	s_delay_alu instid0(SALU_CYCLE_1) | instskip(NEXT) | instid1(SALU_CYCLE_1)
	s_lshl_b64 s[10:11], s[10:11], 2
	s_add_nc_u64 s[6:7], s[6:7], s[10:11]
	s_load_b32 s15, s[6:7], 0x0
.LBB174_3:
	s_load_b96 s[12:14], s[0:1], 0x58
	v_lshlrev_b32_e32 v43, 4, v0
	s_mul_u64 s[10:11], s[2:3], s[4:5]
	s_ashr_i32 s3, ttmp9, 31
	s_ashr_i32 s10, s16, 31
	s_mul_i32 s16, ttmp9, 0x60
	s_mov_b32 s4, exec_lo
	v_cmpx_gt_u32_e32 12, v0
	s_cbranch_execz .LBB174_5
; %bb.4:
	s_load_b64 s[6:7], s[0:1], 0x18
	s_wait_kmcnt 0x0
	s_mul_i32 s22, s12, s20
	s_ashr_i32 s17, s16, 31
	s_ashr_i32 s23, s22, 31
	s_delay_alu instid0(SALU_CYCLE_1) | instskip(NEXT) | instid1(SALU_CYCLE_1)
	s_lshl_b64 s[22:23], s[22:23], 1
	s_add_nc_u64 s[6:7], s[6:7], s[22:23]
	s_lshl_b64 s[22:23], s[16:17], 1
	s_delay_alu instid0(SALU_CYCLE_1)
	s_add_nc_u64 s[6:7], s[6:7], s[22:23]
	global_load_b128 v[1:4], v43, s[6:7]
	s_wait_loadcnt 0x0
	ds_store_b128 v43, v[1:4]
.LBB174_5:
	s_or_b32 exec_lo, exec_lo, s4
	s_clause 0x1
	s_load_b128 s[4:7], s[0:1], 0x78
	s_load_b32 s22, s[0:1], 0x88
	s_wait_kmcnt 0x0
	s_mul_i32 s12, s11, s18
	s_xor_b32 s3, s3, s10
	s_sub_co_i32 s2, s2, s12
	s_add_co_i32 s10, s11, 1
	s_wait_alu 0xfffe
	s_sub_co_i32 s12, s2, s18
	s_cmp_ge_u32 s2, s18
	s_mov_b32 s24, -1
	s_cselect_b32 s10, s10, s11
	s_cselect_b32 s2, s12, s2
	s_add_co_i32 s11, s10, 1
	s_wait_alu 0xfffe
	s_cmp_ge_u32 s2, s18
	s_wait_dscnt 0x0
	s_cselect_b32 s2, s11, s10
	s_add_co_i32 s23, s31, -1
	s_wait_alu 0xfffe
	s_xor_b32 s2, s2, s3
	s_barrier_signal -1
	s_wait_alu 0xfffe
	s_sub_co_i32 s26, s2, s3
	s_barrier_wait -1
	s_abs_i32 s12, s7
	global_inv scope:SCOPE_SE
	s_cvt_f32_u32 s10, s12
                                        ; implicit-def: $sgpr17
	s_delay_alu instid0(SALU_CYCLE_3) | instskip(NEXT) | instid1(TRANS32_DEP_1)
	v_rcp_iflag_f32_e32 v1, s10
	v_readfirstlane_b32 s10, v1
	s_mul_f32 s2, s10, 0x4f7ffffe
	s_wait_alu 0xfffe
	s_delay_alu instid0(SALU_CYCLE_2) | instskip(SKIP_2) | instid1(SALU_CYCLE_1)
	s_cvt_u32_f32 s10, s2
	s_sub_co_i32 s2, 0, s12
	s_wait_alu 0xfffe
	s_mul_i32 s3, s2, s10
	s_abs_i32 s2, s23
	s_wait_alu 0xfffe
	s_mul_hi_u32 s11, s10, s3
	s_mov_b32 s3, 0
	s_wait_alu 0xfffe
	s_add_co_i32 s18, s10, s11
	s_cmp_lt_i32 s22, 0
	s_mov_b32 s19, s3
	s_cbranch_scc0 .LBB174_7
; %bb.6:
	s_mul_i32 s8, s4, s8
	s_mov_b32 s24, s3
	s_add_co_i32 s8, s26, s8
	s_delay_alu instid0(SALU_CYCLE_1) | instskip(NEXT) | instid1(SALU_CYCLE_1)
	s_mul_i32 s8, s8, s22
	s_sub_co_i32 s17, 1, s8
.LBB174_7:
	s_mul_u64 s[10:11], s[2:3], s[18:19]
	s_ashr_i32 s3, s23, 31
	s_and_not1_b32 vcc_lo, exec_lo, s24
	s_ashr_i32 s19, s7, 31
	s_cbranch_vccnz .LBB174_9
; %bb.8:
	s_mul_i32 s4, s21, s4
	s_delay_alu instid0(SALU_CYCLE_1) | instskip(NEXT) | instid1(SALU_CYCLE_1)
	s_add_co_i32 s4, s4, ttmp9
	s_mul_i32 s4, s4, s22
	s_delay_alu instid0(SALU_CYCLE_1)
	s_add_co_i32 s17, s4, 1
.LBB174_9:
	s_clause 0x2
	s_load_b32 s4, s[0:1], 0x48
	s_load_b64 s[22:23], s[0:1], 0x38
	s_load_b32 s7, s[0:1], 0x98
	s_mul_i32 s8, s11, s12
	s_xor_b32 s3, s3, s19
	s_sub_co_i32 s2, s2, s8
	s_add_co_i32 s10, s11, 1
	v_lshrrev_b32_e32 v59, 5, v0
	v_dual_mov_b32 v135, 0xff7fffff :: v_dual_and_b32 v60, 31, v0
	s_mul_i32 s26, s26, s14
	s_delay_alu instid0(VALU_DEP_2) | instskip(NEXT) | instid1(VALU_DEP_2)
	v_lshl_add_u32 v61, v59, 5, s34
	v_lshlrev_b32_e32 v45, 2, v60
	s_wait_kmcnt 0x0
	s_mul_i32 s24, s4, s20
	s_wait_alu 0xfffe
	s_sub_co_i32 s4, s2, s12
	s_ashr_i32 s25, s24, 31
	s_cmp_ge_u32 s2, s12
	s_cselect_b32 s8, s10, s11
	s_cselect_b32 s2, s4, s2
	s_add_co_i32 s4, s8, 1
	s_wait_alu 0xfffe
	s_cmp_ge_u32 s2, s12
	s_cselect_b32 s2, s4, s8
	s_add_co_i32 s4, s31, 31
	s_lshl_b32 s37, s30, 4
	s_ashr_i32 s8, s4, 31
	v_add_nc_u32_e32 v62, s37, v59
	s_lshr_b32 s8, s8, 27
	s_delay_alu instid0(SALU_CYCLE_1)
	s_add_co_i32 s4, s4, s8
	s_add_co_i32 s8, s37, 16
	s_ashr_i32 s35, s4, 5
	s_wait_alu 0xfffe
	s_xor_b32 s4, s2, s3
	s_min_i32 s33, s8, s35
	v_lshlrev_b32_e32 v44, 2, v62
	v_cmp_gt_i32_e64 s2, s33, v62
	s_sub_co_i32 s36, s4, s3
	s_and_saveexec_b32 s8, s2
	s_cbranch_execz .LBB174_17
; %bb.10:
	v_mov_b32_e32 v41, 0
	s_ashr_i32 s27, s26, 31
	s_wait_alu 0xfffe
	s_sub_co_i32 s10, s36, s5
	s_lshl_b64 s[28:29], s[26:27], 1
	s_cmp_neq_f32 s15, 0
	ds_load_b128 v[1:4], v41
	ds_load_b128 v[5:8], v41 offset:16
	ds_load_b128 v[9:12], v41 offset:32
	;; [unrolled: 1-line block ×9, first 2 shown]
	s_load_b64 s[38:39], s[0:1], 0x20
	v_lshl_add_u32 v151, v59, 5, s34
	s_cselect_b32 vcc_lo, -1, 0
	s_abs_i32 s11, s6
	s_mov_b32 s14, s13
	s_wait_alu 0xfffe
	s_cvt_f32_u32 s3, s11
	s_sub_co_i32 s4, 0, s11
	v_dual_mov_b32 v152, 0xff7fffff :: v_dual_mov_b32 v153, v62
	v_mov_b32_e32 v135, 0xff7fffff
	s_wait_dscnt 0x9
	v_and_b32_e32 v46, 0xffff0000, v1
	v_lshlrev_b32_e32 v47, 16, v1
	v_and_b32_e32 v48, 0xffff0000, v2
	v_lshlrev_b32_e32 v49, 16, v2
	;; [unrolled: 2-line block ×4, first 2 shown]
	ds_load_b128 v[1:4], v41 offset:160
	s_wait_dscnt 0x8
	v_and_b32_e32 v66, 0xffff0000, v9
	v_lshlrev_b32_e32 v67, 16, v9
	s_wait_alu 0xfffe
	v_rcp_iflag_f32_e32 v9, s3
	v_and_b32_e32 v54, 0xffff0000, v5
	v_lshlrev_b32_e32 v55, 16, v5
	v_and_b32_e32 v56, 0xffff0000, v6
	v_lshlrev_b32_e32 v57, 16, v6
	;; [unrolled: 2-line block ×4, first 2 shown]
	ds_load_b128 v[5:8], v41 offset:176
	v_readfirstlane_b32 s3, v9
	s_wait_kmcnt 0x0
	s_add_nc_u64 s[28:29], s[38:39], s[28:29]
	s_lshl_b64 s[38:39], s[24:25], 2
	s_wait_dscnt 0x8
	v_and_b32_e32 v68, 0xffff0000, v13
	s_add_nc_u64 s[38:39], s[22:23], s[38:39]
	s_mul_f32 s3, s3, 0x4f7ffffe
	v_add_co_u32 v41, s27, s38, v44
	s_wait_dscnt 0x1
	v_and_b32_e32 v134, 0xffff0000, v3
	v_lshlrev_b32_e32 v136, 16, v3
	v_lshlrev_b32_e32 v3, 4, v60
	v_and_b32_e32 v130, 0xffff0000, v1
	v_lshlrev_b32_e32 v131, 16, v1
	v_and_b32_e32 v132, 0xffff0000, v2
	v_lshlrev_b32_e32 v133, 16, v2
	s_wait_alu 0xfffe
	s_cvt_u32_f32 s3, s3
	v_subrev_nc_u32_e32 v1, s31, v60
	v_lshl_or_b32 v2, v59, 7, v45
	v_add_co_ci_u32_e64 v42, null, s39, 0, s27
	v_add_co_u32 v149, s27, s28, v3
	s_wait_alu 0xfffe
	s_mul_i32 s4, s4, s3
	v_lshlrev_b32_e32 v69, 16, v13
	v_and_b32_e32 v70, 0xffff0000, v17
	v_lshlrev_b32_e32 v71, 16, v17
	v_and_b32_e32 v72, 0xffff0000, v21
	;; [unrolled: 2-line block ×17, first 2 shown]
	v_and_b32_e32 v103, 0xffff0000, v12
	v_lshlrev_b32_e32 v104, 16, v12
	v_lshlrev_b32_e32 v105, 16, v19
	v_and_b32_e32 v106, 0xffff0000, v23
	v_and_b32_e32 v107, 0xffff0000, v16
	v_lshlrev_b32_e32 v108, 16, v16
	v_lshlrev_b32_e32 v109, 16, v23
	v_and_b32_e32 v110, 0xffff0000, v27
	;; [unrolled: 4-line block ×6, first 2 shown]
	v_lshlrev_b32_e32 v127, 16, v36
	v_and_b32_e32 v128, 0xffff0000, v40
	v_lshlrev_b32_e32 v129, 16, v40
	v_and_b32_e32 v137, 0xffff0000, v4
	v_lshlrev_b32_e32 v138, 16, v4
	s_wait_dscnt 0x0
	v_and_b32_e32 v139, 0xffff0000, v5
	v_lshlrev_b32_e32 v140, 16, v5
	v_and_b32_e32 v141, 0xffff0000, v6
	v_lshlrev_b32_e32 v142, 16, v6
	;; [unrolled: 2-line block ×4, first 2 shown]
	v_add_nc_u32_e32 v147, 1, v1
	v_add_nc_u32_e32 v148, 0xe0, v2
	v_add_co_ci_u32_e64 v150, null, s29, 0, s27
	s_mul_hi_u32 s4, s3, s4
	s_mov_b32 s27, 0
	s_add_co_i32 s28, s3, s4
	s_branch .LBB174_12
.LBB174_11:                             ;   in Loop: Header=BB174_12 Depth=1
	s_wait_alu 0xfffe
	s_or_b32 exec_lo, exec_lo, s4
	v_add_nc_u32_e32 v153, 4, v153
	v_add_co_u32 v41, s4, v41, 16
	s_wait_alu 0xf1ff
	v_add_co_ci_u32_e64 v42, null, 0, v42, s4
	s_delay_alu instid0(VALU_DEP_3)
	v_cmp_le_i32_e64 s3, s33, v153
	v_add_nc_u32_e32 v151, 0x80, v151
	v_add_nc_u32_e32 v148, 0x200, v148
	s_or_b32 s27, s3, s27
	s_wait_alu 0xfffe
	s_and_not1_b32 exec_lo, exec_lo, s27
	s_cbranch_execz .LBB174_16
.LBB174_12:                             ; =>This Inner Loop Header: Depth=1
	v_sub_nc_u32_e32 v1, 0, v151
	s_delay_alu instid0(VALU_DEP_1) | instskip(NEXT) | instid1(VALU_DEP_1)
	v_max_i32_e32 v1, v151, v1
	v_mul_hi_u32 v2, v1, s18
	s_delay_alu instid0(VALU_DEP_1) | instskip(NEXT) | instid1(VALU_DEP_1)
	v_mul_lo_u32 v3, v2, s12
	v_sub_nc_u32_e32 v1, v1, v3
	v_add_nc_u32_e32 v3, 1, v2
	s_delay_alu instid0(VALU_DEP_2) | instskip(SKIP_2) | instid1(VALU_DEP_1)
	v_subrev_nc_u32_e32 v4, s12, v1
	v_cmp_le_u32_e64 s3, s12, v1
	s_wait_alu 0xf1ff
	v_cndmask_b32_e64 v2, v2, v3, s3
	s_delay_alu instid0(VALU_DEP_3) | instskip(SKIP_1) | instid1(VALU_DEP_3)
	v_cndmask_b32_e64 v1, v1, v4, s3
	v_ashrrev_i32_e32 v3, 31, v151
	v_add_nc_u32_e32 v4, 1, v2
	s_delay_alu instid0(VALU_DEP_3) | instskip(NEXT) | instid1(VALU_DEP_3)
	v_cmp_le_u32_e64 s3, s12, v1
	v_xor_b32_e32 v3, s19, v3
	s_wait_alu 0xf1ff
	s_delay_alu instid0(VALU_DEP_2) | instskip(NEXT) | instid1(VALU_DEP_1)
	v_cndmask_b32_e64 v1, v2, v4, s3
	v_xor_b32_e32 v1, v1, v3
	s_delay_alu instid0(VALU_DEP_1) | instskip(NEXT) | instid1(VALU_DEP_1)
	v_sub_nc_u32_e32 v1, v1, v3
	v_add_nc_u32_e32 v2, s17, v1
	v_cmp_ge_i32_e64 s4, s10, v1
	s_delay_alu instid0(VALU_DEP_2) | instskip(NEXT) | instid1(VALU_DEP_1)
	v_sub_nc_u32_e32 v3, 0, v2
	v_max_i32_e32 v3, v2, v3
	v_ashrrev_i32_e32 v2, 31, v2
	s_wait_alu 0xfffe
	s_delay_alu instid0(VALU_DEP_2) | instskip(NEXT) | instid1(VALU_DEP_1)
	v_mul_hi_u32 v4, v3, s28
	v_mul_lo_u32 v4, v4, s11
	s_delay_alu instid0(VALU_DEP_1) | instskip(NEXT) | instid1(VALU_DEP_1)
	v_sub_nc_u32_e32 v3, v3, v4
	v_subrev_nc_u32_e32 v4, s11, v3
	v_cmp_le_u32_e64 s3, s11, v3
	s_wait_alu 0xf1ff
	s_delay_alu instid0(VALU_DEP_1) | instskip(NEXT) | instid1(VALU_DEP_1)
	v_cndmask_b32_e64 v3, v3, v4, s3
	v_subrev_nc_u32_e32 v4, s11, v3
	v_cmp_le_u32_e64 s3, s11, v3
	s_wait_alu 0xf1ff
	s_delay_alu instid0(VALU_DEP_1) | instskip(NEXT) | instid1(VALU_DEP_1)
	v_cndmask_b32_e64 v3, v3, v4, s3
	v_xor_b32_e32 v3, v3, v2
	s_delay_alu instid0(VALU_DEP_1) | instskip(NEXT) | instid1(VALU_DEP_1)
	v_sub_nc_u32_e32 v2, v3, v2
	v_cmp_ne_u32_e64 s3, 0, v2
	s_and_b32 s3, s3, s4
	s_wait_alu 0xfffe
	s_and_saveexec_b32 s4, s3
	s_wait_alu 0xfffe
	s_xor_b32 s3, exec_lo, s4
; %bb.13:                               ;   in Loop: Header=BB174_12 Depth=1
	ds_store_b32 v148, v152
; %bb.14:                               ;   in Loop: Header=BB174_12 Depth=1
	s_wait_alu 0xfffe
	s_and_not1_saveexec_b32 s4, s3
	s_cbranch_execz .LBB174_11
; %bb.15:                               ;   in Loop: Header=BB174_12 Depth=1
	global_load_b32 v1, v[41:42], off
	s_wait_loadcnt 0x0
	v_mad_co_i64_i32 v[1:2], null, v1, s14, 0
	s_delay_alu instid0(VALU_DEP_1) | instskip(NEXT) | instid1(VALU_DEP_1)
	v_lshlrev_b64_e32 v[1:2], 1, v[1:2]
	v_add_co_u32 v155, s3, v149, v1
	v_add_nc_u32_e32 v1, v147, v151
	s_wait_alu 0xf1ff
	s_delay_alu instid0(VALU_DEP_3) | instskip(NEXT) | instid1(VALU_DEP_2)
	v_add_co_ci_u32_e64 v156, null, v150, v2, s3
	v_cvt_f32_i32_e32 v1, v1
	s_delay_alu instid0(VALU_DEP_1) | instskip(NEXT) | instid1(VALU_DEP_1)
	v_mul_f32_e32 v1, s15, v1
	v_dual_cndmask_b32 v154, 0, v1 :: v_dual_add_nc_u32 v3, v60, v151
	s_delay_alu instid0(VALU_DEP_1)
	v_cmp_gt_i32_e64 s3, s31, v3
	global_load_b128 v[1:4], v[155:156], off
	s_wait_loadcnt 0x0
	v_lshlrev_b32_e32 v161, 16, v1
	v_and_b32_e32 v162, 0xffff0000, v1
	v_lshlrev_b32_e32 v163, 16, v2
	v_and_b32_e32 v164, 0xffff0000, v2
	;; [unrolled: 2-line block ×4, first 2 shown]
	global_load_b128 v[1:4], v[155:156], off offset:512
	s_wait_loadcnt 0x0
	v_and_b32_e32 v169, 0xffff0000, v2
	v_lshlrev_b32_e32 v170, 16, v2
	v_lshlrev_b32_e32 v168, 16, v1
	v_and_b32_e32 v171, 0xffff0000, v3
	v_lshlrev_b32_e32 v172, 16, v3
	v_and_b32_e32 v167, 0xffff0000, v1
	v_and_b32_e32 v159, 0xffff0000, v4
	v_lshlrev_b32_e32 v160, 16, v4
	s_clause 0x9
	global_load_b128 v[37:40], v[155:156], off offset:1024
	global_load_b128 v[33:36], v[155:156], off offset:1536
	;; [unrolled: 1-line block ×10, first 2 shown]
	v_dual_mul_f32 v155, v55, v168 :: v_dual_mul_f32 v156, v54, v167
	s_delay_alu instid0(VALU_DEP_1) | instskip(SKIP_3) | instid1(VALU_DEP_2)
	v_dual_fmac_f32 v155, v47, v161 :: v_dual_fmac_f32 v156, v46, v162
	s_wait_loadcnt 0x9
	v_and_b32_e32 v161, 0xffff0000, v37
	v_lshlrev_b32_e32 v37, 16, v37
	v_fmac_f32_e32 v156, v66, v161
	s_delay_alu instid0(VALU_DEP_2) | instskip(SKIP_3) | instid1(VALU_DEP_2)
	v_fmac_f32_e32 v155, v67, v37
	s_wait_loadcnt 0x8
	v_lshlrev_b32_e32 v37, 16, v33
	v_and_b32_e32 v33, 0xffff0000, v33
	v_fmac_f32_e32 v155, v69, v37
	s_delay_alu instid0(VALU_DEP_2) | instskip(SKIP_3) | instid1(VALU_DEP_2)
	v_fmac_f32_e32 v156, v68, v33
	s_wait_loadcnt 0x7
	v_and_b32_e32 v33, 0xffff0000, v29
	v_lshlrev_b32_e32 v29, 16, v29
	v_fmac_f32_e32 v156, v70, v33
	s_delay_alu instid0(VALU_DEP_2) | instskip(SKIP_3) | instid1(VALU_DEP_2)
	v_fmac_f32_e32 v155, v71, v29
	s_wait_loadcnt 0x6
	v_lshlrev_b32_e32 v29, 16, v25
	v_and_b32_e32 v25, 0xffff0000, v25
	v_fmac_f32_e32 v155, v73, v29
	s_delay_alu instid0(VALU_DEP_2) | instskip(SKIP_3) | instid1(VALU_DEP_2)
	v_fmac_f32_e32 v156, v72, v25
	;; [unrolled: 12-line block ×3, first 2 shown]
	s_wait_loadcnt 0x3
	v_and_b32_e32 v17, 0xffff0000, v13
	v_lshlrev_b32_e32 v13, 16, v13
	v_fmac_f32_e32 v156, v78, v17
	s_delay_alu instid0(VALU_DEP_2) | instskip(SKIP_3) | instid1(VALU_DEP_2)
	v_fmac_f32_e32 v155, v79, v13
	s_wait_loadcnt 0x2
	v_lshlrev_b32_e32 v13, 16, v9
	v_and_b32_e32 v9, 0xffff0000, v9
	v_fmac_f32_e32 v155, v81, v13
	s_delay_alu instid0(VALU_DEP_2) | instskip(SKIP_4) | instid1(VALU_DEP_2)
	v_fmac_f32_e32 v156, v80, v9
	s_wait_loadcnt 0x1
	v_and_b32_e32 v9, 0xffff0000, v5
	v_lshlrev_b32_e32 v5, 16, v5
	v_lshlrev_b32_e32 v13, 16, v38
	v_fmac_f32_e32 v155, v131, v5
	s_wait_loadcnt 0x0
	v_lshlrev_b32_e32 v5, 16, v1
	v_and_b32_e32 v1, 0xffff0000, v1
	s_delay_alu instid0(VALU_DEP_2) | instskip(SKIP_1) | instid1(VALU_DEP_1)
	v_fmac_f32_e32 v155, v140, v5
	v_mul_f32_e32 v5, v57, v170
	v_dual_fmac_f32 v5, v49, v163 :: v_dual_fmac_f32 v156, v130, v9
	v_and_b32_e32 v9, 0xffff0000, v38
	s_delay_alu instid0(VALU_DEP_2) | instskip(NEXT) | instid1(VALU_DEP_3)
	v_fmac_f32_e32 v5, v83, v13
	v_fmac_f32_e32 v156, v139, v1
	v_mul_f32_e32 v1, v56, v169
	v_and_b32_e32 v13, 0xffff0000, v34
	s_delay_alu instid0(VALU_DEP_2) | instskip(NEXT) | instid1(VALU_DEP_1)
	v_fmac_f32_e32 v1, v48, v164
	v_fmac_f32_e32 v1, v82, v9
	v_lshlrev_b32_e32 v9, 16, v34
	s_delay_alu instid0(VALU_DEP_2) | instskip(NEXT) | instid1(VALU_DEP_2)
	v_fmac_f32_e32 v1, v84, v13
	v_fmac_f32_e32 v5, v85, v9
	v_and_b32_e32 v9, 0xffff0000, v30
	v_lshlrev_b32_e32 v13, 16, v30
	s_delay_alu instid0(VALU_DEP_2) | instskip(NEXT) | instid1(VALU_DEP_2)
	v_fmac_f32_e32 v1, v86, v9
	v_fmac_f32_e32 v5, v87, v13
	v_lshlrev_b32_e32 v9, 16, v26
	v_and_b32_e32 v13, 0xffff0000, v26
	s_delay_alu instid0(VALU_DEP_2) | instskip(NEXT) | instid1(VALU_DEP_2)
	v_fmac_f32_e32 v5, v89, v9
	v_fmac_f32_e32 v1, v88, v13
	v_and_b32_e32 v9, 0xffff0000, v22
	v_lshlrev_b32_e32 v13, 16, v22
	s_delay_alu instid0(VALU_DEP_2) | instskip(NEXT) | instid1(VALU_DEP_2)
	v_fmac_f32_e32 v1, v90, v9
	v_fmac_f32_e32 v5, v91, v13
	v_lshlrev_b32_e32 v9, 16, v18
	v_and_b32_e32 v13, 0xffff0000, v18
	s_delay_alu instid0(VALU_DEP_2) | instskip(NEXT) | instid1(VALU_DEP_2)
	v_fmac_f32_e32 v5, v93, v9
	v_fmac_f32_e32 v1, v92, v13
	v_and_b32_e32 v9, 0xffff0000, v14
	v_lshlrev_b32_e32 v13, 16, v14
	s_delay_alu instid0(VALU_DEP_2) | instskip(NEXT) | instid1(VALU_DEP_2)
	v_fmac_f32_e32 v1, v94, v9
	v_fmac_f32_e32 v5, v95, v13
	v_lshlrev_b32_e32 v9, 16, v10
	s_delay_alu instid0(VALU_DEP_1) | instskip(NEXT) | instid1(VALU_DEP_1)
	v_dual_fmac_f32 v5, v97, v9 :: v_dual_and_b32 v10, 0xffff0000, v10
	v_fmac_f32_e32 v1, v96, v10
	v_and_b32_e32 v9, 0xffff0000, v6
	v_lshlrev_b32_e32 v6, 16, v6
	s_delay_alu instid0(VALU_DEP_2) | instskip(NEXT) | instid1(VALU_DEP_2)
	v_dual_fmac_f32 v1, v132, v9 :: v_dual_lshlrev_b32 v10, 16, v39
	v_fmac_f32_e32 v5, v133, v6
	v_lshlrev_b32_e32 v6, 16, v2
	v_and_b32_e32 v2, 0xffff0000, v2
	v_and_b32_e32 v9, 0xffff0000, v39
	s_delay_alu instid0(VALU_DEP_3) | instskip(NEXT) | instid1(VALU_DEP_3)
	v_fmac_f32_e32 v5, v142, v6
	v_dual_fmac_f32 v1, v141, v2 :: v_dual_mul_f32 v6, v63, v172
	v_mul_f32_e32 v2, v58, v171
	s_delay_alu instid0(VALU_DEP_2) | instskip(NEXT) | instid1(VALU_DEP_2)
	v_fmac_f32_e32 v6, v51, v165
	v_fmac_f32_e32 v2, v50, v166
	s_delay_alu instid0(VALU_DEP_2) | instskip(NEXT) | instid1(VALU_DEP_2)
	v_fmac_f32_e32 v6, v99, v10
	v_dual_fmac_f32 v2, v98, v9 :: v_dual_lshlrev_b32 v9, 16, v35
	v_and_b32_e32 v10, 0xffff0000, v35
	s_delay_alu instid0(VALU_DEP_2) | instskip(NEXT) | instid1(VALU_DEP_2)
	v_fmac_f32_e32 v6, v101, v9
	v_dual_fmac_f32 v2, v100, v10 :: v_dual_and_b32 v9, 0xffff0000, v31
	v_lshlrev_b32_e32 v10, 16, v31
	s_delay_alu instid0(VALU_DEP_2) | instskip(NEXT) | instid1(VALU_DEP_2)
	v_fmac_f32_e32 v2, v102, v9
	v_dual_fmac_f32 v6, v105, v10 :: v_dual_lshlrev_b32 v9, 16, v27
	v_and_b32_e32 v10, 0xffff0000, v27
	s_delay_alu instid0(VALU_DEP_2) | instskip(NEXT) | instid1(VALU_DEP_2)
	v_fmac_f32_e32 v6, v109, v9
	v_dual_fmac_f32 v2, v106, v10 :: v_dual_and_b32 v9, 0xffff0000, v23
	v_lshlrev_b32_e32 v10, 16, v23
	;; [unrolled: 8-line block ×4, first 2 shown]
	v_lshlrev_b32_e32 v10, 16, v40
	s_delay_alu instid0(VALU_DEP_3) | instskip(NEXT) | instid1(VALU_DEP_3)
	v_fmac_f32_e32 v2, v134, v9
	v_fmac_f32_e32 v6, v136, v7
	v_lshlrev_b32_e32 v7, 16, v3
	v_and_b32_e32 v3, 0xffff0000, v3
	s_delay_alu instid0(VALU_DEP_2) | instskip(NEXT) | instid1(VALU_DEP_2)
	v_dual_fmac_f32 v6, v144, v7 :: v_dual_and_b32 v9, 0xffff0000, v40
	v_dual_fmac_f32 v2, v143, v3 :: v_dual_mul_f32 v7, v65, v160
	v_mul_f32_e32 v3, v64, v159
	s_delay_alu instid0(VALU_DEP_2) | instskip(NEXT) | instid1(VALU_DEP_2)
	v_fmac_f32_e32 v7, v53, v157
	v_fmac_f32_e32 v3, v52, v158
	s_delay_alu instid0(VALU_DEP_2) | instskip(NEXT) | instid1(VALU_DEP_2)
	v_fmac_f32_e32 v7, v104, v10
	v_fmac_f32_e32 v3, v103, v9
	v_lshlrev_b32_e32 v9, 16, v36
	s_delay_alu instid0(VALU_DEP_1) | instskip(NEXT) | instid1(VALU_DEP_1)
	v_dual_fmac_f32 v7, v108, v9 :: v_dual_and_b32 v10, 0xffff0000, v36
	v_fmac_f32_e32 v3, v107, v10
	v_and_b32_e32 v9, 0xffff0000, v32
	s_delay_alu instid0(VALU_DEP_1) | instskip(NEXT) | instid1(VALU_DEP_1)
	v_dual_fmac_f32 v3, v111, v9 :: v_dual_lshlrev_b32 v10, 16, v32
	v_fmac_f32_e32 v7, v112, v10
	v_lshlrev_b32_e32 v9, 16, v28
	s_delay_alu instid0(VALU_DEP_1) | instskip(NEXT) | instid1(VALU_DEP_1)
	v_dual_fmac_f32 v7, v116, v9 :: v_dual_and_b32 v10, 0xffff0000, v28
	v_fmac_f32_e32 v3, v115, v10
	v_and_b32_e32 v9, 0xffff0000, v24
	s_delay_alu instid0(VALU_DEP_1) | instskip(NEXT) | instid1(VALU_DEP_1)
	v_dual_fmac_f32 v3, v119, v9 :: v_dual_lshlrev_b32 v10, 16, v24
	;; [unrolled: 8-line block ×4, first 2 shown]
	v_fmac_f32_e32 v7, v138, v8
	v_lshlrev_b32_e32 v8, 16, v4
	v_and_b32_e32 v4, 0xffff0000, v4
	s_delay_alu instid0(VALU_DEP_2) | instskip(NEXT) | instid1(VALU_DEP_2)
	v_fmac_f32_e32 v7, v146, v8
	v_fmac_f32_e32 v3, v145, v4
	v_add_f32_e32 v4, v155, v156
	s_delay_alu instid0(VALU_DEP_1) | instskip(NEXT) | instid1(VALU_DEP_1)
	v_add_f32_e32 v4, v4, v5
	v_add_f32_e32 v1, v1, v4
	s_delay_alu instid0(VALU_DEP_1) | instskip(NEXT) | instid1(VALU_DEP_1)
	v_add_f32_e32 v1, v6, v1
	v_dual_add_f32 v1, v2, v1 :: v_dual_max_num_f32 v2, v135, v135
	s_delay_alu instid0(VALU_DEP_1) | instskip(NEXT) | instid1(VALU_DEP_1)
	v_add_f32_e32 v1, v7, v1
	v_add_f32_e32 v1, v3, v1
	s_delay_alu instid0(VALU_DEP_1) | instskip(NEXT) | instid1(VALU_DEP_1)
	v_fmac_f32_e32 v154, s9, v1
	v_max_num_f32_e32 v2, v2, v154
	s_wait_alu 0xf1ff
	v_cndmask_b32_e64 v1, 0, v154, s3
	s_delay_alu instid0(VALU_DEP_2)
	v_cndmask_b32_e64 v135, v135, v2, s3
	ds_store_b32 v148, v1
	s_branch .LBB174_11
.LBB174_16:
	s_or_b32 exec_lo, exec_lo, s27
.LBB174_17:
	s_delay_alu instid0(SALU_CYCLE_1)
	s_or_b32 exec_lo, exec_lo, s8
	v_mbcnt_lo_u32_b32 v1, -1, 0
	s_clause 0x2
	s_load_b128 s[8:11], s[0:1], 0x0
	s_load_b64 s[14:15], s[0:1], 0x10
	s_load_b64 s[28:29], s[0:1], 0x28
	v_max_num_f32_e32 v5, v135, v135
	v_xor_b32_e32 v2, 16, v1
	v_xor_b32_e32 v4, 8, v1
	s_delay_alu instid0(VALU_DEP_2) | instskip(SKIP_2) | instid1(VALU_DEP_3)
	v_cmp_gt_i32_e32 vcc_lo, 32, v2
	s_wait_alu 0xfffd
	v_cndmask_b32_e32 v2, v1, v2, vcc_lo
	v_cmp_gt_i32_e32 vcc_lo, 32, v4
	s_delay_alu instid0(VALU_DEP_2)
	v_lshlrev_b32_e32 v2, 2, v2
	s_wait_alu 0xfffd
	v_cndmask_b32_e32 v4, v1, v4, vcc_lo
	ds_bpermute_b32 v3, v2, v135
	s_wait_dscnt 0x0
	v_dual_max_num_f32 v6, v3, v3 :: v_dual_lshlrev_b32 v3, 2, v4
	s_delay_alu instid0(VALU_DEP_1)
	v_max_num_f32_e32 v4, v5, v6
	v_xor_b32_e32 v6, 4, v1
	ds_bpermute_b32 v5, v3, v4
	v_cmp_gt_i32_e32 vcc_lo, 32, v6
	s_wait_alu 0xfffd
	v_cndmask_b32_e32 v6, v1, v6, vcc_lo
	s_wait_dscnt 0x0
	v_max_num_f32_e32 v7, v5, v5
	s_delay_alu instid0(VALU_DEP_1)
	v_dual_max_num_f32 v4, v4, v7 :: v_dual_lshlrev_b32 v5, 2, v6
	v_xor_b32_e32 v7, 2, v1
	ds_bpermute_b32 v6, v5, v4
	v_cmp_gt_i32_e32 vcc_lo, 32, v7
	s_wait_dscnt 0x0
	s_wait_alu 0xfffd
	v_dual_cndmask_b32 v7, v1, v7 :: v_dual_max_num_f32 v6, v6, v6
	s_delay_alu instid0(VALU_DEP_1) | instskip(NEXT) | instid1(VALU_DEP_2)
	v_max_num_f32_e32 v4, v4, v6
	v_lshlrev_b32_e32 v64, 2, v7
	v_xor_b32_e32 v7, 1, v1
	s_delay_alu instid0(VALU_DEP_1)
	v_cmp_gt_i32_e32 vcc_lo, 32, v7
	s_wait_alu 0xfffd
	v_cndmask_b32_e32 v7, v1, v7, vcc_lo
	ds_bpermute_b32 v6, v64, v4
	v_cmp_eq_u32_e32 vcc_lo, 0, v60
	s_wait_dscnt 0x0
	v_dual_max_num_f32 v6, v6, v6 :: v_dual_lshlrev_b32 v63, 2, v7
	s_delay_alu instid0(VALU_DEP_1)
	v_dual_max_num_f32 v1, v4, v6 :: v_dual_lshlrev_b32 v6, 2, v59
	ds_bpermute_b32 v4, v63, v1
	s_and_saveexec_b32 s0, vcc_lo
	s_cbranch_execz .LBB174_19
; %bb.18:
	s_wait_dscnt 0x0
	v_dual_max_num_f32 v4, v4, v4 :: v_dual_max_num_f32 v1, v1, v1
	s_delay_alu instid0(VALU_DEP_1)
	v_max_num_f32_e32 v1, v1, v4
	ds_store_b32 v6, v1 offset:192
.LBB174_19:
	s_or_b32 exec_lo, exec_lo, s0
	v_cmp_gt_u32_e64 s0, 4, v60
	v_mov_b32_e32 v1, 0xff7fffff
	s_wait_loadcnt_dscnt 0x0
	s_barrier_signal -1
	s_barrier_wait -1
	global_inv scope:SCOPE_SE
	s_and_saveexec_b32 s1, s0
; %bb.20:
	ds_load_b32 v1, v45 offset:192
; %bb.21:
	s_or_b32 exec_lo, exec_lo, s1
	s_wait_dscnt 0x0
	ds_bpermute_b32 v4, v64, v1
	v_max_num_f32_e32 v1, v1, v1
	s_sub_co_i32 s1, s33, s37
	v_mov_b32_e32 v7, 0
	s_lshl_b32 s1, s1, 5
	s_delay_alu instid0(SALU_CYCLE_1) | instskip(NEXT) | instid1(SALU_CYCLE_1)
	s_add_co_i32 s1, s1, s34
	s_min_i32 s1, s1, s31
	s_delay_alu instid0(SALU_CYCLE_1) | instskip(SKIP_4) | instid1(VALU_DEP_1)
	s_sub_co_i32 s4, s1, s34
	s_wait_alu 0xfffe
	v_cmp_gt_i32_e64 s1, s4, v0
	s_wait_dscnt 0x0
	v_max_num_f32_e32 v4, v4, v4
	v_max_num_f32_e32 v1, v1, v4
	ds_bpermute_b32 v4, v63, v1
	s_wait_dscnt 0x0
	v_max_num_f32_e32 v4, v4, v4
	s_delay_alu instid0(VALU_DEP_1)
	v_max_num_f32_e32 v1, v1, v4
	v_lshl_add_u32 v4, v0, 2, 0xe0
	ds_bpermute_b32 v1, v7, v1
	s_and_saveexec_b32 s27, s1
	s_cbranch_execz .LBB174_25
; %bb.22:
	v_lshl_add_u32 v8, v0, 2, 0xe0
	v_mov_b32_e32 v7, 0
	v_mov_b32_e32 v9, v0
	s_mov_b32 s34, 0
.LBB174_23:                             ; =>This Inner Loop Header: Depth=1
	ds_load_b32 v10, v8
	v_add_nc_u32_e32 v9, 0x80, v9
	s_delay_alu instid0(VALU_DEP_1) | instskip(SKIP_4) | instid1(VALU_DEP_1)
	v_cmp_le_i32_e64 s3, s4, v9
	s_wait_alu 0xfffe
	s_or_b32 s34, s3, s34
	s_wait_dscnt 0x0
	v_sub_f32_e32 v10, v10, v1
	v_mul_f32_e32 v10, 0x3fb8aa3b, v10
	s_delay_alu instid0(VALU_DEP_1)
	v_exp_f32_e32 v10, v10
	ds_store_b32 v8, v10
	v_dual_add_f32 v7, v7, v10 :: v_dual_add_nc_u32 v8, 0x200, v8
	s_wait_alu 0xfffe
	s_and_not1_b32 exec_lo, exec_lo, s34
	s_cbranch_execnz .LBB174_23
; %bb.24:
	s_or_b32 exec_lo, exec_lo, s34
.LBB174_25:
	s_wait_alu 0xfffe
	s_or_b32 exec_lo, exec_lo, s27
	ds_bpermute_b32 v2, v2, v7
	s_wait_dscnt 0x0
	v_add_f32_e32 v2, v7, v2
	ds_bpermute_b32 v3, v3, v2
	s_wait_dscnt 0x0
	v_add_f32_e32 v2, v2, v3
	;; [unrolled: 3-line block ×5, first 2 shown]
	s_and_saveexec_b32 s3, vcc_lo
; %bb.26:
	ds_store_b32 v6, v2 offset:208
; %bb.27:
	s_wait_alu 0xfffe
	s_or_b32 exec_lo, exec_lo, s3
	s_wait_loadcnt_dscnt 0x0
	s_barrier_signal -1
	s_barrier_wait -1
	global_inv scope:SCOPE_SE
	s_and_saveexec_b32 s3, s0
; %bb.28:
	ds_load_b32 v2, v45 offset:208
; %bb.29:
	s_wait_alu 0xfffe
	s_or_b32 exec_lo, exec_lo, s3
	s_wait_dscnt 0x0
	ds_bpermute_b32 v3, v64, v2
	s_wait_dscnt 0x0
	v_add_f32_e32 v2, v2, v3
	ds_bpermute_b32 v3, v63, v2
	s_wait_dscnt 0x0
	v_dual_add_f32 v2, v2, v3 :: v_dual_mov_b32 v3, 0
	ds_bpermute_b32 v2, v3, v2
	s_and_saveexec_b32 s0, s1
	s_cbranch_execz .LBB174_32
; %bb.30:
	s_wait_dscnt 0x0
	v_add_f32_e32 v3, 0x358637bd, v2
	s_mov_b32 s1, 0
	s_delay_alu instid0(VALU_DEP_1) | instskip(SKIP_1) | instid1(VALU_DEP_2)
	v_div_scale_f32 v5, null, v3, v3, 1.0
	v_div_scale_f32 v8, vcc_lo, 1.0, v3, 1.0
	v_rcp_f32_e32 v6, v5
	s_delay_alu instid0(TRANS32_DEP_1) | instskip(NEXT) | instid1(VALU_DEP_1)
	v_fma_f32 v7, -v5, v6, 1.0
	v_fmac_f32_e32 v6, v7, v6
	s_delay_alu instid0(VALU_DEP_1) | instskip(NEXT) | instid1(VALU_DEP_1)
	v_mul_f32_e32 v7, v8, v6
	v_fma_f32 v9, -v5, v7, v8
	s_delay_alu instid0(VALU_DEP_1) | instskip(NEXT) | instid1(VALU_DEP_1)
	v_fmac_f32_e32 v7, v9, v6
	v_fma_f32 v5, -v5, v7, v8
	s_wait_alu 0xfffd
	s_delay_alu instid0(VALU_DEP_1) | instskip(NEXT) | instid1(VALU_DEP_1)
	v_div_fmas_f32 v5, v5, v6, v7
	v_div_fixup_f32 v3, v5, v3, 1.0
	v_mov_b32_e32 v5, v0
.LBB174_31:                             ; =>This Inner Loop Header: Depth=1
	ds_load_b32 v6, v4
	s_wait_dscnt 0x0
	v_dual_mul_f32 v6, v3, v6 :: v_dual_add_nc_u32 v5, 0x80, v5
	s_delay_alu instid0(VALU_DEP_1) | instskip(SKIP_3) | instid1(SALU_CYCLE_1)
	v_cmp_le_i32_e32 vcc_lo, s4, v5
	ds_store_b32 v4, v6
	v_add_nc_u32_e32 v4, 0x200, v4
	s_or_b32 s1, vcc_lo, s1
	s_and_not1_b32 exec_lo, exec_lo, s1
	s_cbranch_execnz .LBB174_31
.LBB174_32:
	s_or_b32 exec_lo, exec_lo, s0
	s_mul_i32 s0, s7, s20
	s_wait_loadcnt_dscnt 0x0
	s_mul_i32 s20, s0, s21
	s_mov_b32 s0, exec_lo
	s_barrier_signal -1
	s_barrier_wait -1
	global_inv scope:SCOPE_SE
	v_cmpx_eq_u32_e32 0, v0
	s_cbranch_execz .LBB174_34
; %bb.33:
	s_ashr_i32 s21, s20, 31
	s_mul_i32 s38, s7, ttmp9
	s_lshl_b32 s1, s30, 2
	s_lshl_b64 s[40:41], s[20:21], 2
	s_wait_alu 0xfffe
	s_ashr_i32 s39, s38, 31
	v_mov_b32_e32 v3, s1
	s_wait_kmcnt 0x0
	s_add_nc_u64 s[10:11], s[10:11], s[40:41]
	s_wait_alu 0xfffe
	s_lshl_b64 s[38:39], s[38:39], 2
	s_add_nc_u64 s[8:9], s[8:9], s[40:41]
	s_wait_alu 0xfffe
	s_add_nc_u64 s[10:11], s[10:11], s[38:39]
	s_add_nc_u64 s[8:9], s[8:9], s[38:39]
	s_clause 0x1
	global_store_b32 v3, v1, s[10:11]
	global_store_b32 v3, v2, s[8:9]
.LBB174_34:
	s_or_b32 exec_lo, exec_lo, s0
	v_dual_mov_b32 v76, 0 :: v_dual_and_b32 v65, 3, v0
	v_dual_mov_b32 v77, 0 :: v_dual_mov_b32 v74, 0
	v_dual_mov_b32 v75, 0 :: v_dual_mov_b32 v72, 0
	v_dual_mov_b32 v73, 0 :: v_dual_mov_b32 v70, 0
	v_dual_mov_b32 v71, 0 :: v_dual_mov_b32 v68, 0
	v_dual_mov_b32 v69, 0 :: v_dual_mov_b32 v66, 0
	v_mov_b32_e32 v67, 0
	s_and_saveexec_b32 s1, s2
	s_cbranch_execz .LBB174_64
; %bb.35:
	s_abs_i32 s2, s6
	s_ashr_i32 s27, s26, 31
	s_wait_alu 0xfffe
	s_cvt_f32_u32 s0, s2
	v_dual_mov_b32 v66, 0 :: v_dual_and_b32 v3, 0x1f0, v43
	s_wait_kmcnt 0x0
	s_lshl_b64 s[8:9], s[24:25], 2
	s_wait_alu 0xfffe
	v_rcp_iflag_f32_e32 v1, s0
	s_lshl_b64 s[10:11], s[26:27], 1
	v_dual_mov_b32 v67, 0 :: v_dual_lshlrev_b32 v2, 3, v0
	s_add_nc_u64 s[8:9], s[22:23], s[8:9]
	s_wait_alu 0xfffe
	s_add_nc_u64 s[10:11], s[28:29], s[10:11]
	s_mov_b32 s4, s13
	s_sub_co_i32 s13, 0, s2
	s_wait_alu 0xfffe
	v_add_co_u32 v79, s10, s10, v3
	v_readfirstlane_b32 s0, v1
	v_dual_mov_b32 v68, 0 :: v_dual_lshlrev_b32 v1, 5, v65
	v_add_co_u32 v57, s8, s8, v44
	s_mul_f32 s0, s0, 0x4f7ffffe
	v_lshl_or_b32 v1, v59, 7, v1
	v_dual_mov_b32 v69, 0 :: v_dual_and_b32 v78, 24, v2
	s_wait_alu 0xfffe
	s_cvt_u32_f32 s0, s0
	v_add_co_ci_u32_e64 v80, null, s11, 0, s10
	v_add_co_ci_u32_e64 v58, null, s9, 0, s8
	s_wait_alu 0xfffe
	s_mul_i32 s13, s13, s0
	v_dual_mov_b32 v70, 0 :: v_dual_add_nc_u32 v81, 0xe0, v1
	v_dual_mov_b32 v71, 0 :: v_dual_mov_b32 v72, 0
	v_dual_mov_b32 v73, 0 :: v_dual_mov_b32 v74, 0
	;; [unrolled: 1-line block ×3, first 2 shown]
	v_mov_b32_e32 v77, 0
	s_wait_alu 0xfffe
	s_mul_hi_u32 s9, s0, s13
	s_sub_co_i32 s3, s36, s5
	s_add_co_i32 s5, s35, -1
	s_mov_b32 s6, 0
	s_mov_b32 s8, s31
	s_wait_alu 0xfffe
	s_add_co_i32 s9, s0, s9
	s_branch .LBB174_38
.LBB174_36:                             ;   in Loop: Header=BB174_38 Depth=1
	s_wait_alu 0xfffe
	s_or_b32 exec_lo, exec_lo, s0
	s_wait_dscnt 0x1
	v_bfe_u32 v82, v41, 16, 1
	v_or_b32_e32 v83, 0x400000, v41
	v_bfe_u32 v84, v42, 16, 1
	v_cmp_u_f32_e32 vcc_lo, v41, v41
	v_bfe_u32 v85, v43, 16, 1
	v_add3_u32 v82, v82, v41, 0x7fff
	v_or_b32_e32 v86, 0x400000, v42
	v_add3_u32 v84, v84, v42, 0x7fff
	v_or_b32_e32 v87, 0x400000, v43
	v_add3_u32 v85, v85, v43, 0x7fff
	s_wait_alu 0xfffd
	v_cndmask_b32_e32 v41, v82, v83, vcc_lo
	v_cmp_u_f32_e32 vcc_lo, v42, v42
	v_bfe_u32 v82, v44, 16, 1
	s_wait_dscnt 0x0
	v_bfe_u32 v83, v33, 16, 1
	s_wait_alu 0xfffd
	v_cndmask_b32_e32 v42, v84, v86, vcc_lo
	v_cmp_u_f32_e32 vcc_lo, v43, v43
	v_add3_u32 v82, v82, v44, 0x7fff
	v_or_b32_e32 v84, 0x400000, v44
	v_add3_u32 v83, v83, v33, 0x7fff
	v_bfe_u32 v86, v34, 16, 1
	s_wait_alu 0xfffd
	v_cndmask_b32_e32 v43, v85, v87, vcc_lo
	v_cmp_u_f32_e32 vcc_lo, v44, v44
	v_or_b32_e32 v85, 0x400000, v33
	s_wait_alu 0xfffd
	v_dual_cndmask_b32 v44, v82, v84 :: v_dual_and_b32 v41, 0xffff0000, v41
	v_cmp_u_f32_e32 vcc_lo, v33, v33
	v_or_b32_e32 v84, 0x400000, v34
	s_wait_alu 0xfffd
	v_dual_cndmask_b32 v82, v83, v85 :: v_dual_and_b32 v33, 0xffff0000, v42
	v_add3_u32 v83, v86, v34, 0x7fff
	v_bfe_u32 v85, v35, 16, 1
	v_cmp_u_f32_e32 vcc_lo, v34, v34
	s_wait_loadcnt 0x1
	v_and_b32_e32 v42, 0xffff0000, v53
	s_delay_alu instid0(VALU_DEP_3)
	v_add3_u32 v34, v85, v35, 0x7fff
	s_wait_alu 0xfffd
	v_cndmask_b32_e32 v83, v83, v84, vcc_lo
	v_or_b32_e32 v84, 0x400000, v35
	v_bfe_u32 v85, v36, 16, 1
	v_mul_f32_e32 v42, v33, v42
	v_cmp_u_f32_e32 vcc_lo, v35, v35
	v_lshlrev_b32_e32 v53, 16, v53
	s_delay_alu instid0(VALU_DEP_4)
	v_add3_u32 v35, v85, v36, 0x7fff
	v_or_b32_e32 v85, 0x400000, v36
	s_wait_alu 0xfffd
	v_cndmask_b32_e32 v84, v34, v84, vcc_lo
	v_bfe_u32 v86, v42, 16, 1
	v_dual_mul_f32 v53, v41, v53 :: v_dual_and_b32 v34, 0xffff0000, v44
	v_cmp_u_f32_e32 vcc_lo, v36, v36
	s_wait_alu 0xfffd
	v_cndmask_b32_e32 v36, v35, v85, vcc_lo
	v_add3_u32 v35, v86, v42, 0x7fff
	v_bfe_u32 v86, v53, 16, 1
	v_or_b32_e32 v85, 0x400000, v42
	v_cmp_u_f32_e32 vcc_lo, v42, v42
	v_and_b32_e32 v43, 0xffff0000, v43
	s_delay_alu instid0(VALU_DEP_4) | instskip(SKIP_1) | instid1(VALU_DEP_1)
	v_add3_u32 v42, v86, v53, 0x7fff
	v_and_b32_e32 v44, 0xffff0000, v54
	v_dual_mul_f32 v87, v34, v44 :: v_dual_lshlrev_b32 v44, 16, v54
	s_wait_alu 0xfffd
	v_cndmask_b32_e32 v54, v35, v85, vcc_lo
	v_or_b32_e32 v85, 0x400000, v53
	v_cmp_u_f32_e32 vcc_lo, v53, v53
	v_bfe_u32 v86, v87, 16, 1
	v_dual_mul_f32 v88, v43, v44 :: v_dual_and_b32 v35, 0xffff0000, v83
	s_wait_alu 0xfffd
	v_dual_cndmask_b32 v53, v42, v85 :: v_dual_and_b32 v44, 0xffff0000, v55
	s_delay_alu instid0(VALU_DEP_3)
	v_add3_u32 v42, v86, v87, 0x7fff
	v_or_b32_e32 v83, 0x400000, v87
	v_bfe_u32 v85, v88, 16, 1
	v_cmp_u_f32_e32 vcc_lo, v87, v87
	v_dual_mul_f32 v86, v35, v44 :: v_dual_lshlrev_b32 v55, 16, v55
	v_and_b32_e32 v87, 0xffff0000, v56
	v_and_b32_e32 v54, 0xffff0000, v54
	;; [unrolled: 1-line block ×4, first 2 shown]
	s_wait_alu 0xfffd
	v_dual_cndmask_b32 v82, v42, v83 :: v_dual_and_b32 v53, 0xffff0000, v53
	v_add3_u32 v42, v85, v88, 0x7fff
	v_or_b32_e32 v83, 0x400000, v88
	v_cmp_u_f32_e32 vcc_lo, v88, v88
	s_delay_alu instid0(VALU_DEP_4) | instskip(SKIP_4) | instid1(VALU_DEP_3)
	v_and_b32_e32 v82, 0xffff0000, v82
	v_bfe_u32 v85, v86, 16, 1
	v_add_f32_e32 v53, v53, v54
	s_wait_alu 0xfffd
	v_dual_cndmask_b32 v83, v42, v83 :: v_dual_and_b32 v42, 0xffff0000, v84
	v_add3_u32 v85, v85, v86, 0x7fff
	v_or_b32_e32 v84, 0x400000, v86
	v_cmp_u_f32_e32 vcc_lo, v86, v86
	s_wait_alu 0xfffd
	s_delay_alu instid0(VALU_DEP_2) | instskip(NEXT) | instid1(VALU_DEP_1)
	v_dual_cndmask_b32 v84, v85, v84 :: v_dual_and_b32 v83, 0xffff0000, v83
	v_dual_add_f32 v54, v83, v82 :: v_dual_mul_f32 v87, v36, v87
	v_dual_mul_f32 v55, v44, v55 :: v_dual_lshlrev_b32 v56, 16, v56
	s_delay_alu instid0(VALU_DEP_2) | instskip(NEXT) | instid1(VALU_DEP_3)
	v_add_f32_e32 v53, v54, v53
	v_bfe_u32 v90, v87, 16, 1
	s_delay_alu instid0(VALU_DEP_3)
	v_bfe_u32 v88, v55, 16, 1
	v_or_b32_e32 v89, 0x400000, v55
	v_cmp_u_f32_e32 vcc_lo, v55, v55
	v_and_b32_e32 v82, 0xffff0000, v84
	v_add3_u32 v85, v90, v87, 0x7fff
	v_add3_u32 v88, v88, v55, 0x7fff
	s_wait_alu 0xfffd
	s_delay_alu instid0(VALU_DEP_1) | instskip(SKIP_1) | instid1(VALU_DEP_2)
	v_dual_cndmask_b32 v55, v88, v89 :: v_dual_mul_f32 v56, v42, v56
	v_or_b32_e32 v88, 0x400000, v87
	v_and_b32_e32 v55, 0xffff0000, v55
	s_delay_alu instid0(VALU_DEP_3) | instskip(SKIP_2) | instid1(VALU_DEP_4)
	v_bfe_u32 v86, v56, 16, 1
	v_or_b32_e32 v89, 0x400000, v56
	v_cmp_u_f32_e32 vcc_lo, v56, v56
	v_add_f32_e32 v54, v55, v82
	s_delay_alu instid0(VALU_DEP_4) | instskip(SKIP_2) | instid1(VALU_DEP_4)
	v_add3_u32 v86, v86, v56, 0x7fff
	v_and_b32_e32 v55, 0xffff0000, v49
	v_lshlrev_b32_e32 v49, 16, v49
	v_add_f32_e32 v53, v54, v53
	s_wait_alu 0xfffd
	v_cndmask_b32_e32 v56, v86, v89, vcc_lo
	v_cmp_u_f32_e32 vcc_lo, v87, v87
	v_mul_f32_e32 v49, v41, v49
	s_delay_alu instid0(VALU_DEP_3) | instskip(SKIP_2) | instid1(VALU_DEP_3)
	v_dual_mul_f32 v55, v33, v55 :: v_dual_and_b32 v56, 0xffff0000, v56
	s_wait_alu 0xfffd
	v_cndmask_b32_e32 v83, v85, v88, vcc_lo
	v_or_b32_e32 v84, 0x400000, v49
	s_delay_alu instid0(VALU_DEP_3) | instskip(NEXT) | instid1(VALU_DEP_3)
	v_cmp_u_f32_e32 vcc_lo, v55, v55
	v_and_b32_e32 v82, 0xffff0000, v83
	v_bfe_u32 v83, v49, 16, 1
	s_delay_alu instid0(VALU_DEP_1) | instskip(NEXT) | instid1(VALU_DEP_3)
	v_add3_u32 v83, v83, v49, 0x7fff
	v_add_f32_e32 v54, v56, v82
	v_and_b32_e32 v56, 0xffff0000, v50
	v_bfe_u32 v82, v55, 16, 1
	s_delay_alu instid0(VALU_DEP_3) | instskip(NEXT) | instid1(VALU_DEP_3)
	v_add_f32_e32 v53, v54, v53
	v_mul_f32_e32 v54, v34, v56
	s_delay_alu instid0(VALU_DEP_3) | instskip(SKIP_2) | instid1(VALU_DEP_1)
	v_add3_u32 v56, v82, v55, 0x7fff
	v_or_b32_e32 v82, 0x400000, v55
	s_wait_alu 0xfffd
	v_cndmask_b32_e32 v55, v56, v82, vcc_lo
	v_cmp_u_f32_e32 vcc_lo, v49, v49
	v_bfe_u32 v85, v54, 16, 1
	v_or_b32_e32 v82, 0x400000, v54
	s_delay_alu instid0(VALU_DEP_4)
	v_and_b32_e32 v55, 0xffff0000, v55
	s_wait_alu 0xfffd
	v_cndmask_b32_e32 v49, v83, v84, vcc_lo
	v_add3_u32 v56, v85, v54, 0x7fff
	v_and_b32_e32 v83, 0xffff0000, v51
	v_cmp_u_f32_e32 vcc_lo, v54, v54
	v_lshlrev_b32_e32 v51, 16, v51
	v_and_b32_e32 v49, 0xffff0000, v49
	v_lshlrev_b32_e32 v50, 16, v50
	s_wait_alu 0xfffd
	v_cndmask_b32_e32 v54, v56, v82, vcc_lo
	v_mul_f32_e32 v56, v35, v83
	s_delay_alu instid0(VALU_DEP_3) | instskip(NEXT) | instid1(VALU_DEP_3)
	v_dual_add_f32 v49, v49, v55 :: v_dual_mul_f32 v50, v43, v50
	v_dual_mul_f32 v51, v44, v51 :: v_dual_and_b32 v54, 0xffff0000, v54
	s_delay_alu instid0(VALU_DEP_3) | instskip(NEXT) | instid1(VALU_DEP_3)
	v_bfe_u32 v85, v56, 16, 1
	v_bfe_u32 v84, v50, 16, 1
	v_or_b32_e32 v83, 0x400000, v50
	v_cmp_u_f32_e32 vcc_lo, v50, v50
	v_bfe_u32 v86, v51, 16, 1
	s_delay_alu instid0(VALU_DEP_4) | instskip(SKIP_1) | instid1(VALU_DEP_1)
	v_add3_u32 v82, v84, v50, 0x7fff
	s_wait_alu 0xfffd
	v_cndmask_b32_e32 v50, v82, v83, vcc_lo
	v_add3_u32 v83, v85, v56, 0x7fff
	v_cmp_u_f32_e32 vcc_lo, v56, v56
	v_add3_u32 v85, v86, v51, 0x7fff
	v_or_b32_e32 v86, 0x400000, v51
	v_and_b32_e32 v50, 0xffff0000, v50
	s_delay_alu instid0(VALU_DEP_1) | instskip(SKIP_3) | instid1(VALU_DEP_3)
	v_add_f32_e32 v50, v50, v54
	v_and_b32_e32 v84, 0xffff0000, v52
	v_and_b32_e32 v54, 0xffff0000, v45
	v_lshlrev_b32_e32 v45, 16, v45
	v_dual_add_f32 v49, v50, v49 :: v_dual_mul_f32 v82, v36, v84
	v_or_b32_e32 v84, 0x400000, v56
	s_wait_alu 0xfffd
	s_delay_alu instid0(VALU_DEP_1) | instskip(SKIP_1) | instid1(VALU_DEP_2)
	v_dual_mul_f32 v45, v41, v45 :: v_dual_cndmask_b32 v56, v83, v84
	v_cmp_u_f32_e32 vcc_lo, v51, v51
	v_and_b32_e32 v55, 0xffff0000, v56
	s_wait_alu 0xfffd
	v_cndmask_b32_e32 v51, v85, v86, vcc_lo
	s_delay_alu instid0(VALU_DEP_1)
	v_and_b32_e32 v51, 0xffff0000, v51
	v_bfe_u32 v87, v82, 16, 1
	v_lshlrev_b32_e32 v52, 16, v52
	v_or_b32_e32 v84, 0x400000, v82
	v_cmp_u_f32_e32 vcc_lo, v82, v82
	v_add_f32_e32 v51, v51, v55
	v_add3_u32 v83, v87, v82, 0x7fff
	s_delay_alu instid0(VALU_DEP_2) | instskip(SKIP_1) | instid1(VALU_DEP_2)
	v_dual_mul_f32 v52, v42, v52 :: v_dual_add_f32 v49, v51, v49
	s_wait_alu 0xfffd
	v_cndmask_b32_e32 v82, v83, v84, vcc_lo
	s_delay_alu instid0(VALU_DEP_2)
	v_bfe_u32 v83, v52, 16, 1
	v_cmp_u_f32_e32 vcc_lo, v52, v52
	v_and_b32_e32 v84, 0xffff0000, v48
	v_and_b32_e32 v51, 0xffff0000, v46
	v_lshlrev_b32_e32 v48, 16, v48
	v_add3_u32 v56, v83, v52, 0x7fff
	v_or_b32_e32 v83, 0x400000, v52
	s_delay_alu instid0(VALU_DEP_4) | instskip(NEXT) | instid1(VALU_DEP_4)
	v_mul_f32_e32 v51, v34, v51
	v_mul_f32_e32 v48, v42, v48
	s_wait_alu 0xfffd
	s_delay_alu instid0(VALU_DEP_3)
	v_cndmask_b32_e32 v52, v56, v83, vcc_lo
	v_and_b32_e32 v83, 0xffff0000, v47
	v_lshlrev_b32_e32 v47, 16, v47
	v_bfe_u32 v56, v45, 16, 1
	v_lshlrev_b32_e32 v46, 16, v46
	v_bfe_u32 v87, v48, 16, 1
	v_dual_mul_f32 v83, v35, v83 :: v_dual_mul_f32 v50, v33, v54
	v_mul_f32_e32 v47, v44, v47
	s_delay_alu instid0(VALU_DEP_2) | instskip(SKIP_2) | instid1(VALU_DEP_4)
	v_bfe_u32 v54, v50, 16, 1
	v_or_b32_e32 v55, 0x400000, v50
	v_cmp_u_f32_e32 vcc_lo, v50, v50
	v_or_b32_e32 v85, 0x400000, v47
	v_mul_f32_e32 v46, v43, v46
	v_add3_u32 v54, v54, v50, 0x7fff
	s_wait_alu 0xfffd
	s_delay_alu instid0(VALU_DEP_1)
	v_cndmask_b32_e32 v50, v54, v55, vcc_lo
	v_add3_u32 v54, v56, v45, 0x7fff
	v_or_b32_e32 v55, 0x400000, v45
	v_bfe_u32 v56, v51, 16, 1
	v_cmp_u_f32_e32 vcc_lo, v45, v45
	s_wait_alu 0xfffd
	s_delay_alu instid0(VALU_DEP_3) | instskip(NEXT) | instid1(VALU_DEP_3)
	v_cndmask_b32_e32 v45, v54, v55, vcc_lo
	v_add3_u32 v54, v56, v51, 0x7fff
	v_or_b32_e32 v55, 0x400000, v51
	v_bfe_u32 v56, v46, 16, 1
	v_cmp_u_f32_e32 vcc_lo, v51, v51
	v_and_b32_e32 v52, 0xffff0000, v52
	v_and_b32_e32 v45, 0xffff0000, v45
	s_wait_alu 0xfffd
	v_cndmask_b32_e32 v51, v54, v55, vcc_lo
	v_add3_u32 v54, v56, v46, 0x7fff
	v_or_b32_e32 v55, 0x400000, v46
	v_bfe_u32 v56, v83, 16, 1
	v_cmp_u_f32_e32 vcc_lo, v46, v46
	s_wait_alu 0xfffd
	s_delay_alu instid0(VALU_DEP_3)
	v_cndmask_b32_e32 v46, v54, v55, vcc_lo
	v_bfe_u32 v54, v47, 16, 1
	v_add3_u32 v55, v56, v83, 0x7fff
	v_mul_f32_e32 v56, v36, v84
	v_or_b32_e32 v84, 0x400000, v83
	v_cmp_u_f32_e32 vcc_lo, v83, v83
	v_add3_u32 v54, v54, v47, 0x7fff
	v_add3_u32 v83, v87, v48, 0x7fff
	v_and_b32_e32 v46, 0xffff0000, v46
	v_bfe_u32 v86, v56, 16, 1
	s_wait_alu 0xfffd
	v_cndmask_b32_e32 v55, v55, v84, vcc_lo
	v_cmp_u_f32_e32 vcc_lo, v47, v47
	v_or_b32_e32 v84, 0x400000, v48
	s_wait_alu 0xfffd
	v_cndmask_b32_e32 v47, v54, v85, vcc_lo
	v_cmp_u_f32_e32 vcc_lo, v48, v48
	v_and_b32_e32 v51, 0xffff0000, v51
	v_add3_u32 v54, v86, v56, 0x7fff
	v_or_b32_e32 v85, 0x400000, v56
	s_wait_alu 0xfffd
	v_dual_cndmask_b32 v48, v83, v84 :: v_dual_and_b32 v47, 0xffff0000, v47
	v_add_f32_e32 v46, v46, v51
	v_and_b32_e32 v50, 0xffff0000, v50
	v_cmp_u_f32_e32 vcc_lo, v56, v56
	s_delay_alu instid0(VALU_DEP_2) | instskip(SKIP_2) | instid1(VALU_DEP_2)
	v_add_f32_e32 v45, v45, v50
	s_wait_alu 0xfffd
	v_cndmask_b32_e32 v51, v54, v85, vcc_lo
	v_dual_add_f32 v45, v46, v45 :: v_dual_and_b32 v54, 0xffff0000, v82
	v_and_b32_e32 v50, 0xffff0000, v55
	s_delay_alu instid0(VALU_DEP_1) | instskip(SKIP_3) | instid1(VALU_DEP_4)
	v_dual_add_f32 v46, v47, v50 :: v_dual_and_b32 v47, 0xffff0000, v48
	v_and_b32_e32 v50, 0xffff0000, v37
	v_and_b32_e32 v48, 0xffff0000, v51
	v_lshlrev_b32_e32 v37, 16, v37
	v_add_f32_e32 v45, v46, v45
	s_delay_alu instid0(VALU_DEP_3) | instskip(SKIP_1) | instid1(VALU_DEP_4)
	v_dual_add_f32 v51, v52, v54 :: v_dual_add_f32 v46, v47, v48
	v_mul_f32_e32 v47, v33, v50
	v_mul_f32_e32 v37, v41, v37
	s_delay_alu instid0(VALU_DEP_3) | instskip(NEXT) | instid1(VALU_DEP_4)
	v_dual_add_f32 v48, v51, v49 :: v_dual_and_b32 v49, 0xffff0000, v38
	v_dual_add_f32 v45, v46, v45 :: v_dual_lshlrev_b32 v38, 16, v38
	s_delay_alu instid0(VALU_DEP_4) | instskip(NEXT) | instid1(VALU_DEP_3)
	v_bfe_u32 v46, v47, 16, 1
	v_dual_add_f32 v67, v67, v53 :: v_dual_add_f32 v68, v68, v48
	v_bfe_u32 v48, v37, 16, 1
	s_delay_alu instid0(VALU_DEP_4) | instskip(NEXT) | instid1(VALU_DEP_4)
	v_dual_add_f32 v69, v69, v45 :: v_dual_mul_f32 v38, v43, v38
	v_add3_u32 v45, v46, v47, 0x7fff
	v_or_b32_e32 v46, 0x400000, v47
	v_mul_f32_e32 v49, v34, v49
	v_cmp_u_f32_e32 vcc_lo, v47, v47
	v_add3_u32 v48, v48, v37, 0x7fff
	v_or_b32_e32 v50, 0x400000, v37
	v_and_b32_e32 v51, 0xffff0000, v40
	s_wait_alu 0xfffd
	v_dual_cndmask_b32 v45, v45, v46 :: v_dual_lshlrev_b32 v40, 16, v40
	v_bfe_u32 v46, v49, 16, 1
	v_cmp_u_f32_e32 vcc_lo, v37, v37
	s_delay_alu instid0(VALU_DEP_3) | instskip(NEXT) | instid1(VALU_DEP_3)
	v_dual_mul_f32 v40, v42, v40 :: v_dual_and_b32 v45, 0xffff0000, v45
	v_add3_u32 v46, v46, v49, 0x7fff
	s_wait_alu 0xfffd
	v_cndmask_b32_e32 v37, v48, v50, vcc_lo
	v_or_b32_e32 v48, 0x400000, v49
	v_bfe_u32 v50, v38, 16, 1
	v_cmp_u_f32_e32 vcc_lo, v49, v49
	v_or_b32_e32 v49, 0x400000, v38
	s_wait_alu 0xfffd
	v_cndmask_b32_e32 v46, v46, v48, vcc_lo
	v_add3_u32 v48, v50, v38, 0x7fff
	v_cmp_u_f32_e32 vcc_lo, v38, v38
	v_and_b32_e32 v47, 0xffff0000, v39
	v_lshlrev_b32_e32 v39, 16, v39
	v_and_b32_e32 v37, 0xffff0000, v37
	v_and_b32_e32 v46, 0xffff0000, v46
	s_wait_alu 0xfffd
	v_dual_cndmask_b32 v38, v48, v49 :: v_dual_mul_f32 v47, v35, v47
	v_mul_f32_e32 v39, v44, v39
	v_add_f32_e32 v37, v37, v45
	v_and_b32_e32 v45, 0xffff0000, v29
	s_delay_alu instid0(VALU_DEP_4)
	v_and_b32_e32 v38, 0xffff0000, v38
	v_bfe_u32 v50, v47, 16, 1
	v_bfe_u32 v52, v39, 16, 1
	v_mul_f32_e32 v49, v36, v51
	v_cmp_u_f32_e32 vcc_lo, v47, v47
	v_add_f32_e32 v38, v38, v46
	v_add3_u32 v48, v50, v47, 0x7fff
	v_or_b32_e32 v50, 0x400000, v47
	v_add3_u32 v51, v52, v39, 0x7fff
	v_or_b32_e32 v52, 0x400000, v39
	v_bfe_u32 v53, v49, 16, 1
	v_add_f32_e32 v37, v38, v37
	s_wait_alu 0xfffd
	v_dual_cndmask_b32 v47, v48, v50 :: v_dual_mul_f32 v38, v33, v45
	v_cmp_u_f32_e32 vcc_lo, v39, v39
	v_add3_u32 v48, v53, v49, 0x7fff
	v_or_b32_e32 v50, 0x400000, v49
	s_wait_alu 0xfffd
	v_dual_cndmask_b32 v39, v51, v52 :: v_dual_and_b32 v46, 0xffff0000, v47
	v_bfe_u32 v51, v40, 16, 1
	v_cmp_u_f32_e32 vcc_lo, v49, v49
	s_delay_alu instid0(VALU_DEP_2) | instskip(SKIP_4) | instid1(VALU_DEP_3)
	v_add3_u32 v49, v51, v40, 0x7fff
	s_wait_alu 0xfffd
	v_cndmask_b32_e32 v48, v48, v50, vcc_lo
	v_or_b32_e32 v50, 0x400000, v40
	v_cmp_u_f32_e32 vcc_lo, v40, v40
	v_and_b32_e32 v45, 0xffff0000, v48
	v_and_b32_e32 v48, 0xffff0000, v31
	s_wait_alu 0xfffd
	v_cndmask_b32_e32 v40, v49, v50, vcc_lo
	v_cmp_u_f32_e32 vcc_lo, v38, v38
	v_and_b32_e32 v49, 0xffff0000, v32
	v_lshlrev_b32_e32 v32, 16, v32
	v_mul_f32_e32 v48, v35, v48
	v_and_b32_e32 v40, 0xffff0000, v40
	s_delay_alu instid0(VALU_DEP_3) | instskip(NEXT) | instid1(VALU_DEP_1)
	v_dual_mul_f32 v32, v42, v32 :: v_dual_and_b32 v39, 0xffff0000, v39
	v_dual_add_f32 v40, v40, v45 :: v_dual_add_f32 v39, v39, v46
	v_bfe_u32 v46, v38, 16, 1
	s_delay_alu instid0(VALU_DEP_2) | instskip(NEXT) | instid1(VALU_DEP_2)
	v_add_f32_e32 v37, v39, v37
	v_add3_u32 v45, v46, v38, 0x7fff
	v_or_b32_e32 v46, 0x400000, v38
	v_lshlrev_b32_e32 v29, 16, v29
	v_and_b32_e32 v39, 0xffff0000, v30
	v_lshlrev_b32_e32 v30, 16, v30
	s_wait_alu 0xfffd
	v_cndmask_b32_e32 v38, v45, v46, vcc_lo
	v_mul_f32_e32 v29, v41, v29
	s_delay_alu instid0(VALU_DEP_3) | instskip(NEXT) | instid1(VALU_DEP_3)
	v_dual_mul_f32 v39, v34, v39 :: v_dual_mul_f32 v30, v43, v30
	v_and_b32_e32 v38, 0xffff0000, v38
	s_delay_alu instid0(VALU_DEP_3) | instskip(SKIP_2) | instid1(VALU_DEP_3)
	v_bfe_u32 v47, v29, 16, 1
	v_or_b32_e32 v46, 0x400000, v29
	v_cmp_u_f32_e32 vcc_lo, v29, v29
	v_add3_u32 v45, v47, v29, 0x7fff
	v_bfe_u32 v47, v39, 16, 1
	s_wait_alu 0xfffd
	s_delay_alu instid0(VALU_DEP_2) | instskip(NEXT) | instid1(VALU_DEP_2)
	v_cndmask_b32_e32 v29, v45, v46, vcc_lo
	v_add3_u32 v45, v47, v39, 0x7fff
	v_or_b32_e32 v46, 0x400000, v39
	v_bfe_u32 v47, v30, 16, 1
	v_cmp_u_f32_e32 vcc_lo, v39, v39
	s_wait_alu 0xfffd
	s_delay_alu instid0(VALU_DEP_3) | instskip(NEXT) | instid1(VALU_DEP_3)
	v_cndmask_b32_e32 v39, v45, v46, vcc_lo
	v_add3_u32 v45, v47, v30, 0x7fff
	v_or_b32_e32 v46, 0x400000, v30
	v_bfe_u32 v47, v48, 16, 1
	v_cmp_u_f32_e32 vcc_lo, v30, v30
	s_wait_alu 0xfffd
	s_delay_alu instid0(VALU_DEP_3) | instskip(NEXT) | instid1(VALU_DEP_3)
	v_cndmask_b32_e32 v30, v45, v46, vcc_lo
	v_add3_u32 v46, v47, v48, 0x7fff
	v_mul_f32_e32 v47, v36, v49
	v_or_b32_e32 v49, 0x400000, v48
	v_cmp_u_f32_e32 vcc_lo, v48, v48
	v_bfe_u32 v48, v32, 16, 1
	v_dual_add_f32 v37, v40, v37 :: v_dual_and_b32 v30, 0xffff0000, v30
	s_wait_alu 0xfffd
	v_cndmask_b32_e32 v46, v46, v49, vcc_lo
	s_delay_alu instid0(VALU_DEP_3) | instskip(NEXT) | instid1(VALU_DEP_3)
	v_add3_u32 v48, v48, v32, 0x7fff
	v_dual_add_f32 v70, v70, v37 :: v_dual_lshlrev_b32 v31, 16, v31
	s_delay_alu instid0(VALU_DEP_1) | instskip(NEXT) | instid1(VALU_DEP_1)
	v_mul_f32_e32 v31, v44, v31
	v_bfe_u32 v45, v31, 16, 1
	v_or_b32_e32 v50, 0x400000, v31
	v_cmp_u_f32_e32 vcc_lo, v31, v31
	s_delay_alu instid0(VALU_DEP_3) | instskip(SKIP_1) | instid1(VALU_DEP_1)
	v_add3_u32 v45, v45, v31, 0x7fff
	s_wait_alu 0xfffd
	v_cndmask_b32_e32 v31, v45, v50, vcc_lo
	v_or_b32_e32 v50, 0x400000, v32
	v_cmp_u_f32_e32 vcc_lo, v32, v32
	s_wait_alu 0xfffd
	s_delay_alu instid0(VALU_DEP_2) | instskip(NEXT) | instid1(VALU_DEP_1)
	v_dual_cndmask_b32 v32, v48, v50 :: v_dual_and_b32 v31, 0xffff0000, v31
	v_and_b32_e32 v32, 0xffff0000, v32
	v_and_b32_e32 v39, 0xffff0000, v39
	s_delay_alu instid0(VALU_DEP_1) | instskip(NEXT) | instid1(VALU_DEP_1)
	v_dual_add_f32 v30, v30, v39 :: v_dual_and_b32 v29, 0xffff0000, v29
	v_add_f32_e32 v29, v29, v38
	v_and_b32_e32 v38, 0xffff0000, v46
	v_bfe_u32 v51, v47, 16, 1
	v_or_b32_e32 v49, 0x400000, v47
	v_cmp_u_f32_e32 vcc_lo, v47, v47
	s_delay_alu instid0(VALU_DEP_4) | instskip(NEXT) | instid1(VALU_DEP_4)
	v_dual_add_f32 v29, v30, v29 :: v_dual_add_f32 v30, v31, v38
	v_add3_u32 v45, v51, v47, 0x7fff
	v_and_b32_e32 v31, 0xffff0000, v25
	v_lshlrev_b32_e32 v25, 16, v25
	s_delay_alu instid0(VALU_DEP_4) | instskip(SKIP_3) | instid1(VALU_DEP_2)
	v_add_f32_e32 v29, v30, v29
	s_wait_alu 0xfffd
	v_cndmask_b32_e32 v39, v45, v49, vcc_lo
	v_mul_f32_e32 v31, v33, v31
	v_dual_mul_f32 v25, v41, v25 :: v_dual_and_b32 v38, 0xffff0000, v39
	s_delay_alu instid0(VALU_DEP_2) | instskip(NEXT) | instid1(VALU_DEP_2)
	v_cmp_u_f32_e32 vcc_lo, v31, v31
	v_bfe_u32 v37, v25, 16, 1
	v_or_b32_e32 v39, 0x400000, v25
	s_delay_alu instid0(VALU_DEP_4)
	v_add_f32_e32 v30, v32, v38
	v_and_b32_e32 v32, 0xffff0000, v26
	v_bfe_u32 v38, v31, 16, 1
	v_lshlrev_b32_e32 v26, 16, v26
	v_add3_u32 v37, v37, v25, 0x7fff
	v_add_f32_e32 v29, v30, v29
	v_mul_f32_e32 v30, v34, v32
	v_add3_u32 v32, v38, v31, 0x7fff
	v_or_b32_e32 v38, 0x400000, v31
	v_mul_f32_e32 v26, v43, v26
	s_delay_alu instid0(VALU_DEP_4) | instskip(SKIP_1) | instid1(VALU_DEP_3)
	v_bfe_u32 v40, v30, 16, 1
	s_wait_alu 0xfffd
	v_cndmask_b32_e32 v31, v32, v38, vcc_lo
	v_cmp_u_f32_e32 vcc_lo, v25, v25
	v_and_b32_e32 v38, 0xffff0000, v27
	v_add3_u32 v32, v40, v30, 0x7fff
	s_wait_alu 0xfffd
	v_cndmask_b32_e32 v25, v37, v39, vcc_lo
	v_or_b32_e32 v37, 0x400000, v30
	v_bfe_u32 v39, v26, 16, 1
	v_cmp_u_f32_e32 vcc_lo, v30, v30
	s_wait_alu 0xfffd
	s_delay_alu instid0(VALU_DEP_3)
	v_cndmask_b32_e32 v30, v32, v37, vcc_lo
	v_mul_f32_e32 v32, v35, v38
	v_add3_u32 v37, v39, v26, 0x7fff
	v_or_b32_e32 v38, 0x400000, v26
	v_cmp_u_f32_e32 vcc_lo, v26, v26
	v_and_b32_e32 v30, 0xffff0000, v30
	v_and_b32_e32 v25, 0xffff0000, v25
	v_bfe_u32 v40, v32, 16, 1
	s_wait_alu 0xfffd
	v_cndmask_b32_e32 v26, v37, v38, vcc_lo
	v_cmp_u_f32_e32 vcc_lo, v32, v32
	s_delay_alu instid0(VALU_DEP_3) | instskip(NEXT) | instid1(VALU_DEP_3)
	v_add3_u32 v38, v40, v32, 0x7fff
	v_and_b32_e32 v26, 0xffff0000, v26
	v_lshlrev_b32_e32 v27, 16, v27
	s_delay_alu instid0(VALU_DEP_2) | instskip(NEXT) | instid1(VALU_DEP_2)
	v_dual_add_f32 v71, v71, v29 :: v_dual_add_f32 v26, v26, v30
	v_dual_mul_f32 v27, v44, v27 :: v_dual_and_b32 v30, 0xffff0000, v21
	v_and_b32_e32 v39, 0xffff0000, v28
	v_lshlrev_b32_e32 v28, 16, v28
	s_delay_alu instid0(VALU_DEP_3) | instskip(NEXT) | instid1(VALU_DEP_2)
	v_bfe_u32 v45, v27, 16, 1
	v_dual_mul_f32 v28, v42, v28 :: v_dual_and_b32 v31, 0xffff0000, v31
	s_delay_alu instid0(VALU_DEP_2) | instskip(SKIP_1) | instid1(VALU_DEP_3)
	v_add3_u32 v40, v45, v27, 0x7fff
	v_or_b32_e32 v45, 0x400000, v27
	v_add_f32_e32 v25, v25, v31
	s_delay_alu instid0(VALU_DEP_1) | instskip(SKIP_2) | instid1(VALU_DEP_3)
	v_dual_add_f32 v25, v26, v25 :: v_dual_mul_f32 v26, v33, v30
	v_mul_f32_e32 v37, v36, v39
	v_or_b32_e32 v39, 0x400000, v32
	v_bfe_u32 v30, v26, 16, 1
	s_delay_alu instid0(VALU_DEP_3) | instskip(SKIP_1) | instid1(VALU_DEP_3)
	v_bfe_u32 v46, v37, 16, 1
	s_wait_alu 0xfffd
	v_cndmask_b32_e32 v32, v38, v39, vcc_lo
	v_cmp_u_f32_e32 vcc_lo, v27, v27
	v_or_b32_e32 v39, 0x400000, v37
	v_add3_u32 v30, v30, v26, 0x7fff
	v_add3_u32 v38, v46, v37, 0x7fff
	s_wait_alu 0xfffd
	v_cndmask_b32_e32 v27, v40, v45, vcc_lo
	v_cmp_u_f32_e32 vcc_lo, v37, v37
	s_wait_alu 0xfffd
	v_cndmask_b32_e32 v37, v38, v39, vcc_lo
	v_bfe_u32 v38, v28, 16, 1
	v_cmp_u_f32_e32 vcc_lo, v28, v28
	v_and_b32_e32 v39, 0xffff0000, v24
	v_and_b32_e32 v31, 0xffff0000, v32
	v_lshlrev_b32_e32 v24, 16, v24
	v_and_b32_e32 v27, 0xffff0000, v27
	v_add3_u32 v32, v38, v28, 0x7fff
	v_or_b32_e32 v38, 0x400000, v28
	s_delay_alu instid0(VALU_DEP_3) | instskip(SKIP_2) | instid1(VALU_DEP_3)
	v_dual_mul_f32 v24, v42, v24 :: v_dual_add_f32 v27, v27, v31
	v_or_b32_e32 v31, 0x400000, v26
	s_wait_alu 0xfffd
	v_cndmask_b32_e32 v28, v32, v38, vcc_lo
	v_cmp_u_f32_e32 vcc_lo, v26, v26
	v_lshlrev_b32_e32 v21, 16, v21
	v_and_b32_e32 v38, 0xffff0000, v23
	v_bfe_u32 v46, v24, 16, 1
	v_and_b32_e32 v28, 0xffff0000, v28
	s_wait_alu 0xfffd
	v_dual_cndmask_b32 v26, v30, v31 :: v_dual_mul_f32 v21, v41, v21
	v_mul_f32_e32 v38, v35, v38
	s_delay_alu instid0(VALU_DEP_2) | instskip(SKIP_1) | instid1(VALU_DEP_4)
	v_dual_add_f32 v25, v27, v25 :: v_dual_and_b32 v26, 0xffff0000, v26
	v_and_b32_e32 v27, 0xffff0000, v22
	v_bfe_u32 v32, v21, 16, 1
	v_lshlrev_b32_e32 v22, 16, v22
	v_or_b32_e32 v31, 0x400000, v21
	v_cmp_u_f32_e32 vcc_lo, v21, v21
	v_mul_f32_e32 v27, v34, v27
	v_add3_u32 v30, v32, v21, 0x7fff
	v_mul_f32_e32 v22, v43, v22
	s_delay_alu instid0(VALU_DEP_3) | instskip(SKIP_1) | instid1(VALU_DEP_3)
	v_bfe_u32 v32, v27, 16, 1
	s_wait_alu 0xfffd
	v_cndmask_b32_e32 v21, v30, v31, vcc_lo
	v_or_b32_e32 v31, 0x400000, v27
	v_cmp_u_f32_e32 vcc_lo, v27, v27
	v_add3_u32 v30, v32, v27, 0x7fff
	v_bfe_u32 v32, v22, 16, 1
	v_and_b32_e32 v21, 0xffff0000, v21
	s_wait_alu 0xfffd
	s_delay_alu instid0(VALU_DEP_3) | instskip(NEXT) | instid1(VALU_DEP_3)
	v_cndmask_b32_e32 v27, v30, v31, vcc_lo
	v_add3_u32 v30, v32, v22, 0x7fff
	v_or_b32_e32 v31, 0x400000, v22
	v_cmp_u_f32_e32 vcc_lo, v22, v22
	v_bfe_u32 v32, v38, 16, 1
	v_and_b32_e32 v27, 0xffff0000, v27
	s_wait_alu 0xfffd
	v_cndmask_b32_e32 v22, v30, v31, vcc_lo
	v_lshlrev_b32_e32 v23, 16, v23
	v_add3_u32 v31, v32, v38, 0x7fff
	v_cmp_u_f32_e32 vcc_lo, v38, v38
	s_delay_alu instid0(VALU_DEP_3) | instskip(NEXT) | instid1(VALU_DEP_1)
	v_dual_mul_f32 v23, v44, v23 :: v_dual_and_b32 v22, 0xffff0000, v22
	v_add_f32_e32 v22, v22, v27
	s_delay_alu instid0(VALU_DEP_2)
	v_bfe_u32 v30, v23, 16, 1
	v_mul_f32_e32 v32, v36, v39
	v_or_b32_e32 v39, 0x400000, v38
	v_or_b32_e32 v40, 0x400000, v23
	v_add3_u32 v38, v46, v24, 0x7fff
	v_add3_u32 v30, v30, v23, 0x7fff
	v_bfe_u32 v45, v32, 16, 1
	s_wait_alu 0xfffd
	v_cndmask_b32_e32 v31, v31, v39, vcc_lo
	v_cmp_u_f32_e32 vcc_lo, v23, v23
	v_or_b32_e32 v39, 0x400000, v24
	s_wait_alu 0xfffd
	v_cndmask_b32_e32 v23, v30, v40, vcc_lo
	v_cmp_u_f32_e32 vcc_lo, v24, v24
	v_add3_u32 v30, v45, v32, 0x7fff
	v_or_b32_e32 v40, 0x400000, v32
	s_wait_alu 0xfffd
	v_cndmask_b32_e32 v24, v38, v39, vcc_lo
	v_cmp_u_f32_e32 vcc_lo, v32, v32
	s_wait_alu 0xfffd
	v_cndmask_b32_e32 v27, v30, v40, vcc_lo
	v_dual_add_f32 v21, v21, v26 :: v_dual_and_b32 v26, 0xffff0000, v31
	v_and_b32_e32 v23, 0xffff0000, v23
	v_and_b32_e32 v30, 0xffff0000, v37
	s_delay_alu instid0(VALU_DEP_2) | instskip(SKIP_2) | instid1(VALU_DEP_4)
	v_dual_add_f32 v21, v22, v21 :: v_dual_add_f32 v22, v23, v26
	v_and_b32_e32 v23, 0xffff0000, v24
	v_and_b32_e32 v24, 0xffff0000, v27
	v_dual_add_f32 v27, v28, v30 :: v_dual_and_b32 v26, 0xffff0000, v13
	v_lshlrev_b32_e32 v13, 16, v13
	s_delay_alu instid0(VALU_DEP_3) | instskip(NEXT) | instid1(VALU_DEP_3)
	v_dual_add_f32 v21, v22, v21 :: v_dual_add_f32 v22, v23, v24
	v_dual_mul_f32 v23, v33, v26 :: v_dual_add_f32 v24, v27, v25
	s_delay_alu instid0(VALU_DEP_3) | instskip(SKIP_1) | instid1(VALU_DEP_4)
	v_mul_f32_e32 v13, v41, v13
	v_and_b32_e32 v25, 0xffff0000, v14
	v_add_f32_e32 v21, v22, v21
	s_delay_alu instid0(VALU_DEP_4)
	v_bfe_u32 v22, v23, 16, 1
	v_add_f32_e32 v72, v72, v24
	v_bfe_u32 v24, v13, 16, 1
	v_mul_f32_e32 v25, v34, v25
	v_add_f32_e32 v73, v73, v21
	v_add3_u32 v21, v22, v23, 0x7fff
	v_or_b32_e32 v22, 0x400000, v23
	v_lshlrev_b32_e32 v14, 16, v14
	v_cmp_u_f32_e32 vcc_lo, v23, v23
	v_add3_u32 v24, v24, v13, 0x7fff
	v_or_b32_e32 v26, 0x400000, v13
	s_delay_alu instid0(VALU_DEP_4)
	v_dual_mul_f32 v14, v43, v14 :: v_dual_and_b32 v23, 0xffff0000, v15
	s_wait_alu 0xfffd
	v_cndmask_b32_e32 v21, v21, v22, vcc_lo
	v_bfe_u32 v22, v25, 16, 1
	v_cmp_u_f32_e32 vcc_lo, v13, v13
	v_lshlrev_b32_e32 v15, 16, v15
	v_mul_f32_e32 v23, v35, v23
	v_and_b32_e32 v27, 0xffff0000, v16
	v_add3_u32 v22, v22, v25, 0x7fff
	s_wait_alu 0xfffd
	v_cndmask_b32_e32 v13, v24, v26, vcc_lo
	v_or_b32_e32 v24, 0x400000, v25
	v_bfe_u32 v26, v14, 16, 1
	v_cmp_u_f32_e32 vcc_lo, v25, v25
	v_mul_f32_e32 v15, v44, v15
	v_or_b32_e32 v25, 0x400000, v14
	v_lshlrev_b32_e32 v16, 16, v16
	s_wait_alu 0xfffd
	v_cndmask_b32_e32 v22, v22, v24, vcc_lo
	v_add3_u32 v24, v26, v14, 0x7fff
	v_bfe_u32 v26, v23, 16, 1
	v_cmp_u_f32_e32 vcc_lo, v14, v14
	v_bfe_u32 v28, v15, 16, 1
	v_mul_f32_e32 v16, v42, v16
	v_and_b32_e32 v22, 0xffff0000, v22
	s_wait_alu 0xfffd
	v_cndmask_b32_e32 v14, v24, v25, vcc_lo
	v_add3_u32 v24, v26, v23, 0x7fff
	v_mul_f32_e32 v25, v36, v27
	v_or_b32_e32 v26, 0x400000, v23
	v_cmp_u_f32_e32 vcc_lo, v23, v23
	v_add3_u32 v27, v28, v15, 0x7fff
	v_or_b32_e32 v28, 0x400000, v15
	v_bfe_u32 v29, v25, 16, 1
	v_and_b32_e32 v14, 0xffff0000, v14
	s_wait_alu 0xfffd
	v_cndmask_b32_e32 v23, v24, v26, vcc_lo
	v_cmp_u_f32_e32 vcc_lo, v15, v15
	v_or_b32_e32 v26, 0x400000, v25
	v_add3_u32 v24, v29, v25, 0x7fff
	v_add_f32_e32 v14, v14, v22
	s_wait_alu 0xfffd
	v_dual_cndmask_b32 v15, v27, v28 :: v_dual_and_b32 v22, 0xffff0000, v9
	v_bfe_u32 v27, v16, 16, 1
	v_cmp_u_f32_e32 vcc_lo, v25, v25
	v_lshlrev_b32_e32 v9, 16, v9
	s_delay_alu instid0(VALU_DEP_4) | instskip(NEXT) | instid1(VALU_DEP_4)
	v_and_b32_e32 v15, 0xffff0000, v15
	v_add3_u32 v25, v27, v16, 0x7fff
	s_wait_alu 0xfffd
	v_cndmask_b32_e32 v24, v24, v26, vcc_lo
	v_or_b32_e32 v26, 0x400000, v16
	v_cmp_u_f32_e32 vcc_lo, v16, v16
	s_wait_alu 0xfffd
	s_delay_alu instid0(VALU_DEP_2) | instskip(SKIP_2) | instid1(VALU_DEP_3)
	v_dual_cndmask_b32 v16, v25, v26 :: v_dual_and_b32 v25, 0xffff0000, v12
	v_lshlrev_b32_e32 v12, 16, v12
	v_and_b32_e32 v21, 0xffff0000, v21
	v_and_b32_e32 v16, 0xffff0000, v16
	s_delay_alu instid0(VALU_DEP_3) | instskip(NEXT) | instid1(VALU_DEP_1)
	v_dual_mul_f32 v12, v42, v12 :: v_dual_and_b32 v13, 0xffff0000, v13
	v_add_f32_e32 v13, v13, v21
	v_and_b32_e32 v21, 0xffff0000, v23
	s_delay_alu instid0(VALU_DEP_2) | instskip(NEXT) | instid1(VALU_DEP_2)
	v_dual_add_f32 v13, v14, v13 :: v_dual_mul_f32 v14, v33, v22
	v_add_f32_e32 v15, v15, v21
	v_dual_mul_f32 v21, v41, v9 :: v_dual_and_b32 v22, 0xffff0000, v24
	v_and_b32_e32 v24, 0xffff0000, v10
	s_delay_alu instid0(VALU_DEP_4) | instskip(NEXT) | instid1(VALU_DEP_4)
	v_bfe_u32 v23, v14, 16, 1
	v_add_f32_e32 v9, v15, v13
	s_delay_alu instid0(VALU_DEP_4)
	v_bfe_u32 v15, v21, 16, 1
	v_add_f32_e32 v13, v16, v22
	v_or_b32_e32 v22, 0x400000, v14
	v_add3_u32 v16, v23, v14, 0x7fff
	v_dual_mul_f32 v23, v34, v24 :: v_dual_lshlrev_b32 v10, 16, v10
	v_cmp_u_f32_e32 vcc_lo, v14, v14
	v_add3_u32 v15, v15, v21, 0x7fff
	v_or_b32_e32 v24, 0x400000, v21
	s_delay_alu instid0(VALU_DEP_4)
	v_mul_f32_e32 v10, v43, v10
	s_wait_alu 0xfffd
	v_cndmask_b32_e32 v14, v16, v22, vcc_lo
	v_bfe_u32 v16, v23, 16, 1
	v_cmp_u_f32_e32 vcc_lo, v21, v21
	v_or_b32_e32 v22, 0x400000, v23
	s_delay_alu instid0(VALU_DEP_4) | instskip(NEXT) | instid1(VALU_DEP_4)
	v_and_b32_e32 v14, 0xffff0000, v14
	v_add3_u32 v16, v16, v23, 0x7fff
	s_wait_alu 0xfffd
	v_cndmask_b32_e32 v15, v15, v24, vcc_lo
	v_bfe_u32 v24, v10, 16, 1
	v_cmp_u_f32_e32 vcc_lo, v23, v23
	v_or_b32_e32 v23, 0x400000, v10
	s_wait_alu 0xfffd
	v_dual_cndmask_b32 v16, v16, v22 :: v_dual_and_b32 v15, 0xffff0000, v15
	v_add3_u32 v22, v24, v10, 0x7fff
	v_cmp_u_f32_e32 vcc_lo, v10, v10
	s_delay_alu instid0(VALU_DEP_3) | instskip(NEXT) | instid1(VALU_DEP_4)
	v_add_f32_e32 v14, v15, v14
	v_and_b32_e32 v16, 0xffff0000, v16
	s_wait_alu 0xfffd
	v_dual_cndmask_b32 v10, v22, v23 :: v_dual_mul_f32 v23, v36, v25
	s_delay_alu instid0(VALU_DEP_1) | instskip(NEXT) | instid1(VALU_DEP_2)
	v_and_b32_e32 v10, 0xffff0000, v10
	v_bfe_u32 v27, v23, 16, 1
	s_delay_alu instid0(VALU_DEP_2) | instskip(SKIP_1) | instid1(VALU_DEP_2)
	v_add_f32_e32 v10, v10, v16
	v_and_b32_e32 v16, 0xffff0000, v5
	v_dual_add_f32 v10, v10, v14 :: v_dual_lshlrev_b32 v5, 16, v5
	s_delay_alu instid0(VALU_DEP_2) | instskip(SKIP_4) | instid1(VALU_DEP_3)
	v_mul_f32_e32 v14, v33, v16
	v_and_b32_e32 v16, 0xffff0000, v6
	v_lshlrev_b32_e32 v6, 16, v6
	v_and_b32_e32 v21, 0xffff0000, v11
	v_lshlrev_b32_e32 v11, 16, v11
	v_dual_mul_f32 v5, v41, v5 :: v_dual_mul_f32 v6, v43, v6
	s_delay_alu instid0(VALU_DEP_3) | instskip(NEXT) | instid1(VALU_DEP_3)
	v_mul_f32_e32 v21, v35, v21
	v_mul_f32_e32 v11, v44, v11
	s_delay_alu instid0(VALU_DEP_2) | instskip(NEXT) | instid1(VALU_DEP_2)
	v_bfe_u32 v24, v21, 16, 1
	v_bfe_u32 v26, v11, 16, 1
	v_cmp_u_f32_e32 vcc_lo, v21, v21
	s_delay_alu instid0(VALU_DEP_3) | instskip(SKIP_1) | instid1(VALU_DEP_4)
	v_add3_u32 v22, v24, v21, 0x7fff
	v_or_b32_e32 v24, 0x400000, v21
	v_add3_u32 v25, v26, v11, 0x7fff
	v_or_b32_e32 v26, 0x400000, v11
	s_wait_alu 0xfffd
	s_delay_alu instid0(VALU_DEP_3) | instskip(SKIP_3) | instid1(VALU_DEP_4)
	v_cndmask_b32_e32 v21, v22, v24, vcc_lo
	v_cmp_u_f32_e32 vcc_lo, v11, v11
	v_add3_u32 v22, v27, v23, 0x7fff
	v_or_b32_e32 v24, 0x400000, v23
	v_and_b32_e32 v15, 0xffff0000, v21
	s_wait_alu 0xfffd
	v_cndmask_b32_e32 v11, v25, v26, vcc_lo
	v_bfe_u32 v25, v12, 16, 1
	v_cmp_u_f32_e32 vcc_lo, v23, v23
	v_bfe_u32 v21, v14, 16, 1
	s_delay_alu instid0(VALU_DEP_4) | instskip(NEXT) | instid1(VALU_DEP_4)
	v_and_b32_e32 v11, 0xffff0000, v11
	v_add3_u32 v23, v25, v12, 0x7fff
	s_wait_alu 0xfffd
	v_cndmask_b32_e32 v22, v22, v24, vcc_lo
	v_or_b32_e32 v24, 0x400000, v12
	v_cmp_u_f32_e32 vcc_lo, v12, v12
	v_add_f32_e32 v11, v11, v15
	s_delay_alu instid0(VALU_DEP_4)
	v_and_b32_e32 v15, 0xffff0000, v22
	v_or_b32_e32 v22, 0x400000, v5
	s_wait_alu 0xfffd
	v_cndmask_b32_e32 v12, v23, v24, vcc_lo
	v_add_f32_e32 v10, v11, v10
	v_bfe_u32 v11, v5, 16, 1
	v_cmp_u_f32_e32 vcc_lo, v14, v14
	s_delay_alu instid0(VALU_DEP_4) | instskip(NEXT) | instid1(VALU_DEP_3)
	v_and_b32_e32 v12, 0xffff0000, v12
	v_add3_u32 v11, v11, v5, 0x7fff
	s_delay_alu instid0(VALU_DEP_2) | instskip(SKIP_2) | instid1(VALU_DEP_3)
	v_dual_add_f32 v12, v12, v15 :: v_dual_mul_f32 v15, v34, v16
	v_add3_u32 v16, v21, v14, 0x7fff
	v_or_b32_e32 v21, 0x400000, v14
	v_bfe_u32 v23, v15, 16, 1
	s_wait_alu 0xfffd
	s_delay_alu instid0(VALU_DEP_2)
	v_cndmask_b32_e32 v14, v16, v21, vcc_lo
	v_cmp_u_f32_e32 vcc_lo, v5, v5
	v_and_b32_e32 v21, 0xffff0000, v7
	v_or_b32_e32 v16, 0x400000, v15
	v_lshlrev_b32_e32 v7, 16, v7
	v_and_b32_e32 v14, 0xffff0000, v14
	s_wait_alu 0xfffd
	v_cndmask_b32_e32 v5, v11, v22, vcc_lo
	v_add3_u32 v11, v23, v15, 0x7fff
	v_bfe_u32 v22, v6, 16, 1
	v_cmp_u_f32_e32 vcc_lo, v15, v15
	v_mul_f32_e32 v15, v35, v21
	v_mul_f32_e32 v7, v44, v7
	v_or_b32_e32 v21, 0x400000, v6
	v_and_b32_e32 v5, 0xffff0000, v5
	s_wait_alu 0xfffd
	v_cndmask_b32_e32 v11, v11, v16, vcc_lo
	v_add3_u32 v16, v22, v6, 0x7fff
	v_and_b32_e32 v22, 0xffff0000, v8
	v_bfe_u32 v23, v15, 16, 1
	v_cmp_u_f32_e32 vcc_lo, v6, v6
	v_bfe_u32 v24, v7, 16, 1
	v_lshlrev_b32_e32 v8, 16, v8
	v_and_b32_e32 v11, 0xffff0000, v11
	s_wait_alu 0xfffd
	v_dual_add_f32 v5, v5, v14 :: v_dual_cndmask_b32 v6, v16, v21
	v_mul_f32_e32 v16, v36, v22
	v_add3_u32 v21, v23, v15, 0x7fff
	v_or_b32_e32 v22, 0x400000, v15
	v_cmp_u_f32_e32 vcc_lo, v15, v15
	v_add3_u32 v23, v24, v7, 0x7fff
	v_or_b32_e32 v24, 0x400000, v7
	v_bfe_u32 v25, v16, 16, 1
	v_and_b32_e32 v6, 0xffff0000, v6
	s_wait_alu 0xfffd
	v_cndmask_b32_e32 v15, v21, v22, vcc_lo
	v_cmp_u_f32_e32 vcc_lo, v7, v7
	v_or_b32_e32 v22, 0x400000, v16
	v_add3_u32 v21, v25, v16, 0x7fff
	v_mul_f32_e32 v8, v42, v8
	s_wait_alu 0xfffd
	v_dual_add_f32 v6, v6, v11 :: v_dual_cndmask_b32 v7, v23, v24
	v_cmp_u_f32_e32 vcc_lo, v16, v16
	v_and_b32_e32 v11, 0xffff0000, v1
	s_delay_alu instid0(VALU_DEP_3) | instskip(SKIP_4) | instid1(VALU_DEP_3)
	v_dual_add_f32 v5, v6, v5 :: v_dual_and_b32 v14, 0xffff0000, v15
	s_wait_alu 0xfffd
	v_dual_cndmask_b32 v16, v21, v22 :: v_dual_and_b32 v7, 0xffff0000, v7
	v_bfe_u32 v21, v8, 16, 1
	v_dual_mul_f32 v6, v33, v11 :: v_dual_lshlrev_b32 v1, 16, v1
	v_add_f32_e32 v7, v7, v14
	v_cmp_u_f32_e32 vcc_lo, v8, v8
	s_delay_alu instid0(VALU_DEP_4)
	v_add3_u32 v15, v21, v8, 0x7fff
	v_or_b32_e32 v21, 0x400000, v8
	v_bfe_u32 v11, v6, 16, 1
	v_add_f32_e32 v5, v7, v5
	v_and_b32_e32 v7, 0xffff0000, v2
	v_mul_f32_e32 v1, v41, v1
	s_wait_alu 0xfffd
	v_cndmask_b32_e32 v8, v15, v21, vcc_lo
	v_add3_u32 v11, v11, v6, 0x7fff
	v_or_b32_e32 v14, 0x400000, v6
	v_mul_f32_e32 v7, v34, v7
	v_and_b32_e32 v15, 0xffff0000, v16
	v_bfe_u32 v16, v1, 16, 1
	v_cmp_u_f32_e32 vcc_lo, v6, v6
	v_lshlrev_b32_e32 v2, 16, v2
	v_or_b32_e32 v21, 0x400000, v1
	v_or_b32_e32 v22, 0x400000, v7
	v_and_b32_e32 v8, 0xffff0000, v8
	s_wait_alu 0xfffd
	v_cndmask_b32_e32 v6, v11, v14, vcc_lo
	v_bfe_u32 v11, v7, 16, 1
	v_add3_u32 v14, v16, v1, 0x7fff
	v_and_b32_e32 v16, 0xffff0000, v3
	v_mul_f32_e32 v2, v43, v2
	v_cmp_u_f32_e32 vcc_lo, v1, v1
	v_add3_u32 v11, v11, v7, 0x7fff
	s_delay_alu instid0(VALU_DEP_4)
	v_dual_mul_f32 v16, v35, v16 :: v_dual_lshlrev_b32 v3, 16, v3
	s_wait_alu 0xfffd
	v_dual_cndmask_b32 v1, v14, v21 :: v_dual_and_b32 v6, 0xffff0000, v6
	v_bfe_u32 v14, v2, 16, 1
	v_cmp_u_f32_e32 vcc_lo, v7, v7
	v_and_b32_e32 v21, 0xffff0000, v4
	v_mul_f32_e32 v3, v44, v3
	v_or_b32_e32 v23, 0x400000, v16
	v_add3_u32 v14, v14, v2, 0x7fff
	s_wait_alu 0xfffd
	v_cndmask_b32_e32 v7, v11, v22, vcc_lo
	v_bfe_u32 v11, v16, 16, 1
	v_or_b32_e32 v22, 0x400000, v2
	v_cmp_u_f32_e32 vcc_lo, v2, v2
	v_dual_mul_f32 v21, v36, v21 :: v_dual_lshlrev_b32 v4, 16, v4
	s_delay_alu instid0(VALU_DEP_4)
	v_add3_u32 v11, v11, v16, 0x7fff
	s_wait_alu 0xfffd
	v_dual_cndmask_b32 v2, v14, v22 :: v_dual_and_b32 v1, 0xffff0000, v1
	v_bfe_u32 v14, v3, 16, 1
	v_cmp_u_f32_e32 vcc_lo, v16, v16
	v_bfe_u32 v22, v21, 16, 1
	v_or_b32_e32 v16, 0x400000, v3
	v_mul_f32_e32 v4, v42, v4
	v_add3_u32 v14, v14, v3, 0x7fff
	s_wait_alu 0xfffd
	v_cndmask_b32_e32 v11, v11, v23, vcc_lo
	v_cmp_u_f32_e32 vcc_lo, v3, v3
	v_add3_u32 v22, v22, v21, 0x7fff
	v_or_b32_e32 v23, 0x400000, v21
	v_and_b32_e32 v2, 0xffff0000, v2
	v_and_b32_e32 v7, 0xffff0000, v7
	s_wait_alu 0xfffd
	v_cndmask_b32_e32 v3, v14, v16, vcc_lo
	v_cmp_u_f32_e32 vcc_lo, v21, v21
	v_bfe_u32 v16, v4, 16, 1
	v_dual_add_f32 v1, v1, v6 :: v_dual_add_f32 v2, v2, v7
	s_delay_alu instid0(VALU_DEP_4)
	v_and_b32_e32 v3, 0xffff0000, v3
	s_wait_alu 0xfffd
	v_cndmask_b32_e32 v14, v22, v23, vcc_lo
	s_wait_loadcnt 0x0
	v_lshlrev_b32_e32 v22, 16, v17
	v_and_b32_e32 v6, 0xffff0000, v11
	v_and_b32_e32 v11, 0xffff0000, v17
	v_add3_u32 v16, v16, v4, 0x7fff
	v_or_b32_e32 v21, 0x400000, v4
	v_mul_f32_e32 v7, v41, v22
	v_cmp_u_f32_e32 vcc_lo, v4, v4
	v_dual_add_f32 v1, v2, v1 :: v_dual_and_b32 v14, 0xffff0000, v14
	v_add_f32_e32 v3, v3, v6
	s_delay_alu instid0(VALU_DEP_4)
	v_bfe_u32 v2, v7, 16, 1
	v_dual_mul_f32 v6, v33, v11 :: v_dual_lshlrev_b32 v11, 16, v18
	s_wait_alu 0xfffd
	v_cndmask_b32_e32 v4, v16, v21, vcc_lo
	v_or_b32_e32 v16, 0x400000, v7
	v_add3_u32 v2, v2, v7, 0x7fff
	v_bfe_u32 v17, v6, 16, 1
	v_dual_mul_f32 v11, v43, v11 :: v_dual_and_b32 v18, 0xffff0000, v18
	v_cmp_u_f32_e32 vcc_lo, v7, v7
	v_lshlrev_b32_e32 v21, 16, v19
	s_delay_alu instid0(VALU_DEP_4) | instskip(NEXT) | instid1(VALU_DEP_4)
	v_add3_u32 v7, v17, v6, 0x7fff
	v_bfe_u32 v17, v11, 16, 1
	v_mul_f32_e32 v18, v34, v18
	s_wait_alu 0xfffd
	v_cndmask_b32_e32 v2, v2, v16, vcc_lo
	v_or_b32_e32 v16, 0x400000, v6
	v_cmp_u_f32_e32 vcc_lo, v6, v6
	v_mul_f32_e32 v21, v44, v21
	v_and_b32_e32 v19, 0xffff0000, v19
	v_lshlrev_b32_e32 v22, 16, v20
	v_and_b32_e32 v20, 0xffff0000, v20
	s_wait_alu 0xfffd
	v_cndmask_b32_e32 v6, v7, v16, vcc_lo
	v_add3_u32 v7, v17, v11, 0x7fff
	v_or_b32_e32 v16, 0x400000, v11
	v_bfe_u32 v17, v18, 16, 1
	v_cmp_u_f32_e32 vcc_lo, v11, v11
	v_dual_mul_f32 v19, v35, v19 :: v_dual_mul_f32 v20, v36, v20
	v_and_b32_e32 v6, 0xffff0000, v6
	s_delay_alu instid0(VALU_DEP_4)
	v_add3_u32 v11, v17, v18, 0x7fff
	s_wait_alu 0xfffd
	v_cndmask_b32_e32 v7, v7, v16, vcc_lo
	v_or_b32_e32 v16, 0x400000, v18
	v_bfe_u32 v17, v21, 16, 1
	v_cmp_u_f32_e32 vcc_lo, v18, v18
	v_mul_f32_e32 v18, v42, v22
	v_or_b32_e32 v22, 0x400000, v21
	v_or_b32_e32 v23, 0x400000, v19
	v_add3_u32 v17, v17, v21, 0x7fff
	s_wait_alu 0xfffd
	v_cndmask_b32_e32 v11, v11, v16, vcc_lo
	v_bfe_u32 v16, v19, 16, 1
	v_cmp_u_f32_e32 vcc_lo, v21, v21
	v_bfe_u32 v25, v20, 16, 1
	v_bfe_u32 v24, v18, 16, 1
	v_and_b32_e32 v2, 0xffff0000, v2
	v_add3_u32 v16, v16, v19, 0x7fff
	s_wait_alu 0xfffd
	v_cndmask_b32_e32 v17, v17, v22, vcc_lo
	v_cmp_u_f32_e32 vcc_lo, v19, v19
	v_add3_u32 v21, v25, v20, 0x7fff
	v_or_b32_e32 v22, 0x400000, v20
	v_add3_u32 v19, v24, v18, 0x7fff
	v_and_b32_e32 v11, 0xffff0000, v11
	s_wait_alu 0xfffd
	v_cndmask_b32_e32 v16, v16, v23, vcc_lo
	v_cmp_u_f32_e32 vcc_lo, v20, v20
	v_and_b32_e32 v7, 0xffff0000, v7
	v_or_b32_e32 v23, 0x400000, v18
	v_add_f32_e32 v2, v2, v6
	v_and_b32_e32 v4, 0xffff0000, v4
	s_wait_alu 0xfffd
	v_cndmask_b32_e32 v20, v21, v22, vcc_lo
	v_cmp_u_f32_e32 vcc_lo, v18, v18
	v_dual_add_f32 v6, v7, v11 :: v_dual_and_b32 v7, 0xffff0000, v16
	v_dual_add_f32 v8, v8, v15 :: v_dual_and_b32 v11, 0xffff0000, v17
	s_wait_alu 0xfffd
	v_cndmask_b32_e32 v16, v19, v23, vcc_lo
	s_delay_alu instid0(VALU_DEP_3) | instskip(NEXT) | instid1(VALU_DEP_3)
	v_add_f32_e32 v2, v6, v2
	v_dual_add_f32 v6, v11, v7 :: v_dual_and_b32 v7, 0xffff0000, v20
	s_delay_alu instid0(VALU_DEP_3) | instskip(NEXT) | instid1(VALU_DEP_2)
	v_and_b32_e32 v11, 0xffff0000, v16
	v_dual_add_f32 v5, v8, v5 :: v_dual_add_f32 v2, v6, v2
	v_add_f32_e32 v6, v13, v9
	v_add_f32_e32 v1, v3, v1
	s_delay_alu instid0(VALU_DEP_4) | instskip(SKIP_1) | instid1(VALU_DEP_4)
	v_dual_add_f32 v3, v4, v14 :: v_dual_add_f32 v4, v11, v7
	v_add_f32_e32 v7, v12, v10
	v_dual_add_f32 v74, v74, v6 :: v_dual_add_f32 v77, v77, v5
	s_delay_alu instid0(VALU_DEP_3) | instskip(NEXT) | instid1(VALU_DEP_1)
	v_dual_add_f32 v1, v3, v1 :: v_dual_add_f32 v2, v4, v2
	v_dual_add_f32 v75, v75, v7 :: v_dual_add_f32 v76, v76, v1
	s_delay_alu instid0(VALU_DEP_2)
	v_add_f32_e32 v66, v66, v2
.LBB174_37:                             ;   in Loop: Header=BB174_38 Depth=1
	s_wait_alu 0xfffe
	s_or_b32 exec_lo, exec_lo, s10
	v_add_nc_u32_e32 v62, 4, v62
	v_add_co_u32 v57, s0, v57, 16
	s_wait_alu 0xf1ff
	v_add_co_ci_u32_e64 v58, null, 0, v58, s0
	s_delay_alu instid0(VALU_DEP_3) | instskip(SKIP_3) | instid1(SALU_CYCLE_1)
	v_cmp_le_i32_e32 vcc_lo, s33, v62
	v_add_nc_u32_e32 v61, 0x80, v61
	v_add_nc_u32_e32 v81, 0x200, v81
	s_or_b32 s6, vcc_lo, s6
	s_and_not1_b32 exec_lo, exec_lo, s6
	s_cbranch_execz .LBB174_63
.LBB174_38:                             ; =>This Inner Loop Header: Depth=1
	v_sub_nc_u32_e32 v1, 0, v61
	s_delay_alu instid0(VALU_DEP_1) | instskip(NEXT) | instid1(VALU_DEP_1)
	v_max_i32_e32 v1, v61, v1
	v_mul_hi_u32 v2, v1, s18
	s_delay_alu instid0(VALU_DEP_1) | instskip(NEXT) | instid1(VALU_DEP_1)
	v_mul_lo_u32 v3, v2, s12
	v_sub_nc_u32_e32 v1, v1, v3
	v_add_nc_u32_e32 v3, 1, v2
	s_delay_alu instid0(VALU_DEP_2) | instskip(SKIP_2) | instid1(VALU_DEP_2)
	v_subrev_nc_u32_e32 v4, s12, v1
	v_cmp_le_u32_e32 vcc_lo, s12, v1
	s_wait_alu 0xfffd
	v_dual_cndmask_b32 v2, v2, v3 :: v_dual_cndmask_b32 v1, v1, v4
	v_ashrrev_i32_e32 v3, 31, v61
	s_delay_alu instid0(VALU_DEP_2) | instskip(NEXT) | instid1(VALU_DEP_3)
	v_add_nc_u32_e32 v4, 1, v2
	v_cmp_le_u32_e32 vcc_lo, s12, v1
	s_delay_alu instid0(VALU_DEP_3) | instskip(SKIP_1) | instid1(VALU_DEP_3)
	v_xor_b32_e32 v3, s19, v3
	s_wait_alu 0xfffd
	v_cndmask_b32_e32 v1, v2, v4, vcc_lo
	s_delay_alu instid0(VALU_DEP_1) | instskip(NEXT) | instid1(VALU_DEP_1)
	v_xor_b32_e32 v1, v1, v3
	v_sub_nc_u32_e32 v1, v1, v3
	s_delay_alu instid0(VALU_DEP_1) | instskip(SKIP_1) | instid1(VALU_DEP_2)
	v_add_nc_u32_e32 v2, s17, v1
	v_cmp_lt_i32_e64 s0, s3, v1
	v_sub_nc_u32_e32 v3, 0, v2
	s_delay_alu instid0(VALU_DEP_1) | instskip(SKIP_1) | instid1(VALU_DEP_1)
	v_max_i32_e32 v3, v2, v3
	s_wait_alu 0xfffe
	v_mul_hi_u32 v4, v3, s9
	s_delay_alu instid0(VALU_DEP_1) | instskip(NEXT) | instid1(VALU_DEP_1)
	v_mul_lo_u32 v4, v4, s2
	v_sub_nc_u32_e32 v3, v3, v4
	s_delay_alu instid0(VALU_DEP_1) | instskip(SKIP_2) | instid1(VALU_DEP_2)
	v_subrev_nc_u32_e32 v4, s2, v3
	v_cmp_le_u32_e32 vcc_lo, s2, v3
	s_wait_alu 0xfffd
	v_cndmask_b32_e32 v3, v3, v4, vcc_lo
	v_ashrrev_i32_e32 v2, 31, v2
	s_delay_alu instid0(VALU_DEP_2) | instskip(SKIP_2) | instid1(VALU_DEP_2)
	v_subrev_nc_u32_e32 v4, s2, v3
	v_cmp_le_u32_e32 vcc_lo, s2, v3
	s_wait_alu 0xfffd
	v_cndmask_b32_e32 v3, v3, v4, vcc_lo
	s_delay_alu instid0(VALU_DEP_1) | instskip(NEXT) | instid1(VALU_DEP_1)
	v_xor_b32_e32 v3, v3, v2
	v_sub_nc_u32_e32 v2, v3, v2
	s_delay_alu instid0(VALU_DEP_1)
	v_cmp_eq_u32_e32 vcc_lo, 0, v2
	s_or_b32 s0, vcc_lo, s0
	s_wait_alu 0xfffe
	s_and_saveexec_b32 s10, s0
	s_cbranch_execz .LBB174_37
; %bb.39:                               ;   in Loop: Header=BB174_38 Depth=1
	global_load_b32 v1, v[57:58], off
	v_add_nc_u32_e32 v89, v78, v61
	s_delay_alu instid0(VALU_DEP_1)
	v_add_nc_u32_e32 v87, 1, v89
	v_or_b32_e32 v86, 3, v89
	v_or_b32_e32 v88, 2, v89
	;; [unrolled: 1-line block ×6, first 2 shown]
	s_wait_loadcnt 0x0
	v_mad_co_i64_i32 v[1:2], null, v1, s4, 0
	s_delay_alu instid0(VALU_DEP_1) | instskip(NEXT) | instid1(VALU_DEP_1)
	v_lshlrev_b64_e32 v[1:2], 1, v[1:2]
	v_add_co_u32 v17, vcc_lo, v79, v1
	s_wait_alu 0xfffd
	s_delay_alu instid0(VALU_DEP_2)
	v_add_co_ci_u32_e64 v18, null, v80, v2, vcc_lo
	v_cmp_eq_u32_e32 vcc_lo, s5, v62
	global_load_b128 v[1:4], v[17:18], off
	ds_load_2addr_b64 v[41:44], v81 offset1:1
	ds_load_2addr_b64 v[33:36], v81 offset0:2 offset1:3
	s_and_saveexec_b32 s11, vcc_lo
	s_cbranch_execnz .LBB174_51
; %bb.40:                               ;   in Loop: Header=BB174_38 Depth=1
	s_wait_alu 0xfffe
	s_or_b32 exec_lo, exec_lo, s11
	global_load_b128 v[5:8], v[17:18], off offset:512
	s_and_saveexec_b32 s11, vcc_lo
	s_cbranch_execnz .LBB174_52
.LBB174_41:                             ;   in Loop: Header=BB174_38 Depth=1
	s_wait_alu 0xfffe
	s_or_b32 exec_lo, exec_lo, s11
	global_load_b128 v[9:12], v[17:18], off offset:1024
	s_and_saveexec_b32 s11, vcc_lo
	s_cbranch_execnz .LBB174_53
.LBB174_42:                             ;   in Loop: Header=BB174_38 Depth=1
	s_wait_alu 0xfffe
	s_or_b32 exec_lo, exec_lo, s11
	global_load_b128 v[13:16], v[17:18], off offset:1536
	s_and_saveexec_b32 s11, vcc_lo
	s_cbranch_execnz .LBB174_54
.LBB174_43:                             ;   in Loop: Header=BB174_38 Depth=1
	s_wait_alu 0xfffe
	s_or_b32 exec_lo, exec_lo, s11
	global_load_b128 v[21:24], v[17:18], off offset:2048
	s_and_saveexec_b32 s11, vcc_lo
	s_cbranch_execnz .LBB174_55
.LBB174_44:                             ;   in Loop: Header=BB174_38 Depth=1
	s_wait_alu 0xfffe
	s_or_b32 exec_lo, exec_lo, s11
	global_load_b128 v[25:28], v[17:18], off offset:2560
	s_and_saveexec_b32 s11, vcc_lo
	s_cbranch_execnz .LBB174_56
.LBB174_45:                             ;   in Loop: Header=BB174_38 Depth=1
	s_wait_alu 0xfffe
	s_or_b32 exec_lo, exec_lo, s11
	global_load_b128 v[29:32], v[17:18], off offset:3072
	s_and_saveexec_b32 s11, vcc_lo
	s_cbranch_execnz .LBB174_57
.LBB174_46:                             ;   in Loop: Header=BB174_38 Depth=1
	s_wait_alu 0xfffe
	s_or_b32 exec_lo, exec_lo, s11
	global_load_b128 v[37:40], v[17:18], off offset:3584
	s_and_saveexec_b32 s11, vcc_lo
	s_cbranch_execnz .LBB174_58
.LBB174_47:                             ;   in Loop: Header=BB174_38 Depth=1
	s_wait_alu 0xfffe
	s_or_b32 exec_lo, exec_lo, s11
	global_load_b128 v[45:48], v[17:18], off offset:4096
	s_and_saveexec_b32 s11, vcc_lo
	s_cbranch_execnz .LBB174_59
.LBB174_48:                             ;   in Loop: Header=BB174_38 Depth=1
	s_wait_alu 0xfffe
	s_or_b32 exec_lo, exec_lo, s11
	global_load_b128 v[49:52], v[17:18], off offset:4608
	s_and_saveexec_b32 s11, vcc_lo
	s_cbranch_execnz .LBB174_60
.LBB174_49:                             ;   in Loop: Header=BB174_38 Depth=1
	s_wait_alu 0xfffe
	s_or_b32 exec_lo, exec_lo, s11
	global_load_b128 v[53:56], v[17:18], off offset:5120
	s_and_saveexec_b32 s11, vcc_lo
	s_cbranch_execnz .LBB174_61
.LBB174_50:                             ;   in Loop: Header=BB174_38 Depth=1
	s_wait_alu 0xfffe
	s_or_b32 exec_lo, exec_lo, s11
	global_load_b128 v[17:20], v[17:18], off offset:5632
	s_and_saveexec_b32 s0, vcc_lo
	s_cbranch_execz .LBB174_36
	s_branch .LBB174_62
.LBB174_51:                             ;   in Loop: Header=BB174_38 Depth=1
	v_cmp_gt_i32_e64 s0, s31, v89
	s_wait_loadcnt 0x0
	v_lshrrev_b32_e32 v5, 16, v1
	v_lshrrev_b32_e32 v6, 16, v2
	;; [unrolled: 1-line block ×4, first 2 shown]
	s_wait_alu 0xf1ff
	v_cndmask_b32_e64 v1, 0, v1, s0
	v_cmp_gt_i32_e64 s0, s8, v87
	s_wait_alu 0xf1ff
	s_delay_alu instid0(VALU_DEP_1) | instskip(SKIP_1) | instid1(VALU_DEP_2)
	v_cndmask_b32_e64 v5, 0, v5, s0
	v_cmp_gt_i32_e64 s0, s31, v88
	v_perm_b32 v1, v5, v1, 0x5040100
	s_wait_alu 0xf1ff
	s_delay_alu instid0(VALU_DEP_2) | instskip(SKIP_2) | instid1(VALU_DEP_1)
	v_cndmask_b32_e64 v2, 0, v2, s0
	v_cmp_gt_i32_e64 s0, s8, v86
	s_wait_alu 0xf1ff
	v_cndmask_b32_e64 v6, 0, v6, s0
	v_cmp_gt_i32_e64 s0, s31, v85
	s_delay_alu instid0(VALU_DEP_2) | instskip(SKIP_1) | instid1(VALU_DEP_2)
	v_perm_b32 v2, v6, v2, 0x5040100
	s_wait_alu 0xf1ff
	v_cndmask_b32_e64 v3, 0, v3, s0
	v_cmp_gt_i32_e64 s0, s8, v83
	s_wait_alu 0xf1ff
	s_delay_alu instid0(VALU_DEP_1) | instskip(SKIP_1) | instid1(VALU_DEP_2)
	v_cndmask_b32_e64 v7, 0, v7, s0
	v_cmp_gt_i32_e64 s0, s31, v84
	v_perm_b32 v3, v7, v3, 0x5040100
	s_wait_alu 0xf1ff
	s_delay_alu instid0(VALU_DEP_2) | instskip(SKIP_2) | instid1(VALU_DEP_1)
	v_cndmask_b32_e64 v4, 0, v4, s0
	v_cmp_gt_i32_e64 s0, s8, v82
	s_wait_alu 0xf1ff
	v_cndmask_b32_e64 v8, 0, v8, s0
	s_delay_alu instid0(VALU_DEP_1)
	v_perm_b32 v4, v8, v4, 0x5040100
	s_wait_alu 0xfffe
	s_or_b32 exec_lo, exec_lo, s11
	global_load_b128 v[5:8], v[17:18], off offset:512
	s_and_saveexec_b32 s11, vcc_lo
	s_cbranch_execz .LBB174_41
.LBB174_52:                             ;   in Loop: Header=BB174_38 Depth=1
	v_cmp_gt_i32_e64 s0, s31, v89
	s_wait_loadcnt 0x0
	v_lshrrev_b32_e32 v9, 16, v5
	v_lshrrev_b32_e32 v10, 16, v6
	;; [unrolled: 1-line block ×4, first 2 shown]
	s_wait_alu 0xf1ff
	v_cndmask_b32_e64 v5, 0, v5, s0
	v_cmp_gt_i32_e64 s0, s8, v87
	s_wait_alu 0xf1ff
	s_delay_alu instid0(VALU_DEP_1) | instskip(SKIP_1) | instid1(VALU_DEP_2)
	v_cndmask_b32_e64 v9, 0, v9, s0
	v_cmp_gt_i32_e64 s0, s31, v88
	v_perm_b32 v5, v9, v5, 0x5040100
	s_wait_alu 0xf1ff
	s_delay_alu instid0(VALU_DEP_2) | instskip(SKIP_2) | instid1(VALU_DEP_1)
	v_cndmask_b32_e64 v6, 0, v6, s0
	v_cmp_gt_i32_e64 s0, s8, v86
	s_wait_alu 0xf1ff
	v_cndmask_b32_e64 v10, 0, v10, s0
	v_cmp_gt_i32_e64 s0, s31, v85
	s_delay_alu instid0(VALU_DEP_2) | instskip(SKIP_1) | instid1(VALU_DEP_2)
	v_perm_b32 v6, v10, v6, 0x5040100
	s_wait_alu 0xf1ff
	v_cndmask_b32_e64 v7, 0, v7, s0
	v_cmp_gt_i32_e64 s0, s8, v83
	s_wait_alu 0xf1ff
	s_delay_alu instid0(VALU_DEP_1) | instskip(SKIP_1) | instid1(VALU_DEP_2)
	v_cndmask_b32_e64 v11, 0, v11, s0
	v_cmp_gt_i32_e64 s0, s31, v84
	v_perm_b32 v7, v11, v7, 0x5040100
	s_wait_alu 0xf1ff
	s_delay_alu instid0(VALU_DEP_2) | instskip(SKIP_2) | instid1(VALU_DEP_1)
	v_cndmask_b32_e64 v8, 0, v8, s0
	v_cmp_gt_i32_e64 s0, s8, v82
	s_wait_alu 0xf1ff
	v_cndmask_b32_e64 v12, 0, v12, s0
	s_delay_alu instid0(VALU_DEP_1)
	v_perm_b32 v8, v12, v8, 0x5040100
	s_wait_alu 0xfffe
	s_or_b32 exec_lo, exec_lo, s11
	global_load_b128 v[9:12], v[17:18], off offset:1024
	s_and_saveexec_b32 s11, vcc_lo
	s_cbranch_execz .LBB174_42
.LBB174_53:                             ;   in Loop: Header=BB174_38 Depth=1
	v_cmp_gt_i32_e64 s0, s31, v89
	s_wait_loadcnt 0x0
	v_lshrrev_b32_e32 v13, 16, v9
	v_lshrrev_b32_e32 v14, 16, v10
	;; [unrolled: 1-line block ×4, first 2 shown]
	s_wait_alu 0xf1ff
	v_cndmask_b32_e64 v9, 0, v9, s0
	v_cmp_gt_i32_e64 s0, s8, v87
	s_wait_alu 0xf1ff
	s_delay_alu instid0(VALU_DEP_1) | instskip(SKIP_1) | instid1(VALU_DEP_2)
	v_cndmask_b32_e64 v13, 0, v13, s0
	v_cmp_gt_i32_e64 s0, s31, v88
	v_perm_b32 v9, v13, v9, 0x5040100
	s_wait_alu 0xf1ff
	s_delay_alu instid0(VALU_DEP_2) | instskip(SKIP_2) | instid1(VALU_DEP_1)
	v_cndmask_b32_e64 v10, 0, v10, s0
	v_cmp_gt_i32_e64 s0, s8, v86
	s_wait_alu 0xf1ff
	v_cndmask_b32_e64 v14, 0, v14, s0
	v_cmp_gt_i32_e64 s0, s31, v85
	s_delay_alu instid0(VALU_DEP_2) | instskip(SKIP_1) | instid1(VALU_DEP_2)
	v_perm_b32 v10, v14, v10, 0x5040100
	s_wait_alu 0xf1ff
	v_cndmask_b32_e64 v11, 0, v11, s0
	v_cmp_gt_i32_e64 s0, s8, v83
	s_wait_alu 0xf1ff
	s_delay_alu instid0(VALU_DEP_1) | instskip(SKIP_1) | instid1(VALU_DEP_2)
	v_cndmask_b32_e64 v15, 0, v15, s0
	v_cmp_gt_i32_e64 s0, s31, v84
	v_perm_b32 v11, v15, v11, 0x5040100
	s_wait_alu 0xf1ff
	s_delay_alu instid0(VALU_DEP_2) | instskip(SKIP_2) | instid1(VALU_DEP_1)
	v_cndmask_b32_e64 v12, 0, v12, s0
	v_cmp_gt_i32_e64 s0, s8, v82
	s_wait_alu 0xf1ff
	v_cndmask_b32_e64 v16, 0, v16, s0
	s_delay_alu instid0(VALU_DEP_1)
	v_perm_b32 v12, v16, v12, 0x5040100
	s_wait_alu 0xfffe
	s_or_b32 exec_lo, exec_lo, s11
	global_load_b128 v[13:16], v[17:18], off offset:1536
	s_and_saveexec_b32 s11, vcc_lo
	s_cbranch_execz .LBB174_43
.LBB174_54:                             ;   in Loop: Header=BB174_38 Depth=1
	v_cmp_gt_i32_e64 s0, s31, v89
	s_wait_loadcnt 0x0
	v_lshrrev_b32_e32 v19, 16, v13
	v_lshrrev_b32_e32 v20, 16, v14
	;; [unrolled: 1-line block ×4, first 2 shown]
	s_wait_alu 0xf1ff
	v_cndmask_b32_e64 v13, 0, v13, s0
	v_cmp_gt_i32_e64 s0, s8, v87
	s_wait_alu 0xf1ff
	s_delay_alu instid0(VALU_DEP_1) | instskip(SKIP_1) | instid1(VALU_DEP_2)
	v_cndmask_b32_e64 v19, 0, v19, s0
	v_cmp_gt_i32_e64 s0, s31, v88
	v_perm_b32 v13, v19, v13, 0x5040100
	s_wait_alu 0xf1ff
	s_delay_alu instid0(VALU_DEP_2) | instskip(SKIP_2) | instid1(VALU_DEP_1)
	v_cndmask_b32_e64 v14, 0, v14, s0
	v_cmp_gt_i32_e64 s0, s8, v86
	s_wait_alu 0xf1ff
	v_cndmask_b32_e64 v20, 0, v20, s0
	v_cmp_gt_i32_e64 s0, s31, v85
	s_delay_alu instid0(VALU_DEP_2) | instskip(SKIP_1) | instid1(VALU_DEP_2)
	v_perm_b32 v14, v20, v14, 0x5040100
	s_wait_alu 0xf1ff
	v_cndmask_b32_e64 v15, 0, v15, s0
	v_cmp_gt_i32_e64 s0, s8, v83
	s_wait_alu 0xf1ff
	s_delay_alu instid0(VALU_DEP_1) | instskip(SKIP_1) | instid1(VALU_DEP_2)
	v_cndmask_b32_e64 v21, 0, v21, s0
	v_cmp_gt_i32_e64 s0, s31, v84
	v_perm_b32 v15, v21, v15, 0x5040100
	s_wait_alu 0xf1ff
	s_delay_alu instid0(VALU_DEP_2) | instskip(SKIP_2) | instid1(VALU_DEP_1)
	v_cndmask_b32_e64 v16, 0, v16, s0
	v_cmp_gt_i32_e64 s0, s8, v82
	s_wait_alu 0xf1ff
	v_cndmask_b32_e64 v22, 0, v22, s0
	s_delay_alu instid0(VALU_DEP_1)
	v_perm_b32 v16, v22, v16, 0x5040100
	s_wait_alu 0xfffe
	s_or_b32 exec_lo, exec_lo, s11
	global_load_b128 v[21:24], v[17:18], off offset:2048
	s_and_saveexec_b32 s11, vcc_lo
	s_cbranch_execz .LBB174_44
.LBB174_55:                             ;   in Loop: Header=BB174_38 Depth=1
	v_cmp_gt_i32_e64 s0, s31, v89
	s_wait_loadcnt 0x0
	v_lshrrev_b32_e32 v19, 16, v21
	v_lshrrev_b32_e32 v26, 16, v24
	s_wait_alu 0xf1ff
	v_cndmask_b32_e64 v20, 0, v21, s0
	v_cmp_gt_i32_e64 s0, s8, v87
	v_lshrrev_b32_e32 v21, 16, v22
	s_wait_alu 0xf1ff
	s_delay_alu instid0(VALU_DEP_2) | instskip(SKIP_2) | instid1(VALU_DEP_1)
	v_cndmask_b32_e64 v19, 0, v19, s0
	v_cmp_gt_i32_e64 s0, s31, v88
	s_wait_alu 0xf1ff
	v_cndmask_b32_e64 v22, 0, v22, s0
	v_cmp_gt_i32_e64 s0, s8, v86
	s_wait_alu 0xf1ff
	s_delay_alu instid0(VALU_DEP_1) | instskip(SKIP_2) | instid1(VALU_DEP_3)
	v_cndmask_b32_e64 v25, 0, v21, s0
	v_cmp_gt_i32_e64 s0, s31, v85
	v_lshrrev_b32_e32 v21, 16, v23
	v_perm_b32 v22, v25, v22, 0x5040100
	s_wait_alu 0xf1ff
	s_delay_alu instid0(VALU_DEP_3) | instskip(SKIP_2) | instid1(VALU_DEP_1)
	v_cndmask_b32_e64 v23, 0, v23, s0
	v_cmp_gt_i32_e64 s0, s8, v83
	s_wait_alu 0xf1ff
	v_cndmask_b32_e64 v27, 0, v21, s0
	v_cmp_gt_i32_e64 s0, s31, v84
	v_perm_b32 v21, v19, v20, 0x5040100
	s_delay_alu instid0(VALU_DEP_3) | instskip(SKIP_1) | instid1(VALU_DEP_3)
	v_perm_b32 v23, v27, v23, 0x5040100
	s_wait_alu 0xf1ff
	v_cndmask_b32_e64 v24, 0, v24, s0
	v_cmp_gt_i32_e64 s0, s8, v82
	s_wait_alu 0xf1ff
	s_delay_alu instid0(VALU_DEP_1) | instskip(NEXT) | instid1(VALU_DEP_1)
	v_cndmask_b32_e64 v26, 0, v26, s0
	v_perm_b32 v24, v26, v24, 0x5040100
	s_wait_alu 0xfffe
	s_or_b32 exec_lo, exec_lo, s11
	global_load_b128 v[25:28], v[17:18], off offset:2560
	s_and_saveexec_b32 s11, vcc_lo
	s_cbranch_execz .LBB174_45
.LBB174_56:                             ;   in Loop: Header=BB174_38 Depth=1
	v_cmp_gt_i32_e64 s0, s31, v89
	s_wait_loadcnt 0x0
	v_lshrrev_b32_e32 v19, 16, v25
	v_lshrrev_b32_e32 v30, 16, v28
	s_wait_alu 0xf1ff
	v_cndmask_b32_e64 v20, 0, v25, s0
	v_cmp_gt_i32_e64 s0, s8, v87
	v_lshrrev_b32_e32 v25, 16, v26
	s_wait_alu 0xf1ff
	s_delay_alu instid0(VALU_DEP_2) | instskip(SKIP_2) | instid1(VALU_DEP_1)
	v_cndmask_b32_e64 v19, 0, v19, s0
	v_cmp_gt_i32_e64 s0, s31, v88
	s_wait_alu 0xf1ff
	v_cndmask_b32_e64 v26, 0, v26, s0
	v_cmp_gt_i32_e64 s0, s8, v86
	s_wait_alu 0xf1ff
	s_delay_alu instid0(VALU_DEP_1) | instskip(SKIP_2) | instid1(VALU_DEP_3)
	v_cndmask_b32_e64 v29, 0, v25, s0
	v_cmp_gt_i32_e64 s0, s31, v85
	v_lshrrev_b32_e32 v25, 16, v27
	v_perm_b32 v26, v29, v26, 0x5040100
	s_wait_alu 0xf1ff
	s_delay_alu instid0(VALU_DEP_3) | instskip(SKIP_2) | instid1(VALU_DEP_1)
	v_cndmask_b32_e64 v27, 0, v27, s0
	v_cmp_gt_i32_e64 s0, s8, v83
	s_wait_alu 0xf1ff
	v_cndmask_b32_e64 v31, 0, v25, s0
	v_cmp_gt_i32_e64 s0, s31, v84
	v_perm_b32 v25, v19, v20, 0x5040100
	s_delay_alu instid0(VALU_DEP_3) | instskip(SKIP_1) | instid1(VALU_DEP_3)
	v_perm_b32 v27, v31, v27, 0x5040100
	s_wait_alu 0xf1ff
	v_cndmask_b32_e64 v28, 0, v28, s0
	v_cmp_gt_i32_e64 s0, s8, v82
	s_wait_alu 0xf1ff
	s_delay_alu instid0(VALU_DEP_1) | instskip(NEXT) | instid1(VALU_DEP_1)
	v_cndmask_b32_e64 v30, 0, v30, s0
	v_perm_b32 v28, v30, v28, 0x5040100
	s_wait_alu 0xfffe
	s_or_b32 exec_lo, exec_lo, s11
	global_load_b128 v[29:32], v[17:18], off offset:3072
	s_and_saveexec_b32 s11, vcc_lo
	s_cbranch_execz .LBB174_46
.LBB174_57:                             ;   in Loop: Header=BB174_38 Depth=1
	v_cmp_gt_i32_e64 s0, s31, v89
	s_wait_loadcnt 0x0
	v_lshrrev_b32_e32 v19, 16, v29
	v_lshrrev_b32_e32 v38, 16, v32
	s_wait_alu 0xf1ff
	v_cndmask_b32_e64 v20, 0, v29, s0
	v_cmp_gt_i32_e64 s0, s8, v87
	v_lshrrev_b32_e32 v29, 16, v30
	s_wait_alu 0xf1ff
	s_delay_alu instid0(VALU_DEP_2) | instskip(SKIP_2) | instid1(VALU_DEP_1)
	v_cndmask_b32_e64 v19, 0, v19, s0
	v_cmp_gt_i32_e64 s0, s31, v88
	s_wait_alu 0xf1ff
	v_cndmask_b32_e64 v30, 0, v30, s0
	v_cmp_gt_i32_e64 s0, s8, v86
	s_wait_alu 0xf1ff
	s_delay_alu instid0(VALU_DEP_1) | instskip(SKIP_2) | instid1(VALU_DEP_3)
	v_cndmask_b32_e64 v37, 0, v29, s0
	v_cmp_gt_i32_e64 s0, s31, v85
	v_lshrrev_b32_e32 v29, 16, v31
	v_perm_b32 v30, v37, v30, 0x5040100
	s_wait_alu 0xf1ff
	s_delay_alu instid0(VALU_DEP_3) | instskip(SKIP_2) | instid1(VALU_DEP_1)
	v_cndmask_b32_e64 v31, 0, v31, s0
	v_cmp_gt_i32_e64 s0, s8, v83
	s_wait_alu 0xf1ff
	v_cndmask_b32_e64 v39, 0, v29, s0
	v_cmp_gt_i32_e64 s0, s31, v84
	v_perm_b32 v29, v19, v20, 0x5040100
	s_delay_alu instid0(VALU_DEP_3) | instskip(SKIP_1) | instid1(VALU_DEP_3)
	v_perm_b32 v31, v39, v31, 0x5040100
	s_wait_alu 0xf1ff
	v_cndmask_b32_e64 v32, 0, v32, s0
	v_cmp_gt_i32_e64 s0, s8, v82
	s_wait_alu 0xf1ff
	s_delay_alu instid0(VALU_DEP_1) | instskip(NEXT) | instid1(VALU_DEP_1)
	v_cndmask_b32_e64 v38, 0, v38, s0
	v_perm_b32 v32, v38, v32, 0x5040100
	s_wait_alu 0xfffe
	s_or_b32 exec_lo, exec_lo, s11
	global_load_b128 v[37:40], v[17:18], off offset:3584
	s_and_saveexec_b32 s11, vcc_lo
	s_cbranch_execz .LBB174_47
.LBB174_58:                             ;   in Loop: Header=BB174_38 Depth=1
	v_cmp_gt_i32_e64 s0, s31, v89
	s_wait_loadcnt 0x0
	v_lshrrev_b32_e32 v19, 16, v37
	v_lshrrev_b32_e32 v46, 16, v40
	s_wait_alu 0xf1ff
	v_cndmask_b32_e64 v20, 0, v37, s0
	v_cmp_gt_i32_e64 s0, s8, v87
	v_lshrrev_b32_e32 v37, 16, v38
	s_wait_alu 0xf1ff
	s_delay_alu instid0(VALU_DEP_2) | instskip(SKIP_2) | instid1(VALU_DEP_1)
	v_cndmask_b32_e64 v19, 0, v19, s0
	v_cmp_gt_i32_e64 s0, s31, v88
	s_wait_alu 0xf1ff
	v_cndmask_b32_e64 v38, 0, v38, s0
	v_cmp_gt_i32_e64 s0, s8, v86
	s_wait_alu 0xf1ff
	s_delay_alu instid0(VALU_DEP_1) | instskip(SKIP_2) | instid1(VALU_DEP_3)
	v_cndmask_b32_e64 v45, 0, v37, s0
	v_cmp_gt_i32_e64 s0, s31, v85
	v_lshrrev_b32_e32 v37, 16, v39
	v_perm_b32 v38, v45, v38, 0x5040100
	s_wait_alu 0xf1ff
	s_delay_alu instid0(VALU_DEP_3) | instskip(SKIP_2) | instid1(VALU_DEP_1)
	v_cndmask_b32_e64 v39, 0, v39, s0
	v_cmp_gt_i32_e64 s0, s8, v83
	s_wait_alu 0xf1ff
	v_cndmask_b32_e64 v47, 0, v37, s0
	v_cmp_gt_i32_e64 s0, s31, v84
	v_perm_b32 v37, v19, v20, 0x5040100
	s_delay_alu instid0(VALU_DEP_3) | instskip(SKIP_1) | instid1(VALU_DEP_3)
	v_perm_b32 v39, v47, v39, 0x5040100
	s_wait_alu 0xf1ff
	v_cndmask_b32_e64 v40, 0, v40, s0
	v_cmp_gt_i32_e64 s0, s8, v82
	s_wait_alu 0xf1ff
	s_delay_alu instid0(VALU_DEP_1) | instskip(NEXT) | instid1(VALU_DEP_1)
	v_cndmask_b32_e64 v46, 0, v46, s0
	v_perm_b32 v40, v46, v40, 0x5040100
	s_wait_alu 0xfffe
	s_or_b32 exec_lo, exec_lo, s11
	global_load_b128 v[45:48], v[17:18], off offset:4096
	s_and_saveexec_b32 s11, vcc_lo
	s_cbranch_execz .LBB174_48
.LBB174_59:                             ;   in Loop: Header=BB174_38 Depth=1
	v_cmp_gt_i32_e64 s0, s31, v89
	s_wait_loadcnt 0x0
	v_lshrrev_b32_e32 v19, 16, v45
	v_lshrrev_b32_e32 v50, 16, v48
	s_wait_alu 0xf1ff
	v_cndmask_b32_e64 v20, 0, v45, s0
	v_cmp_gt_i32_e64 s0, s8, v87
	v_lshrrev_b32_e32 v45, 16, v46
	s_wait_alu 0xf1ff
	s_delay_alu instid0(VALU_DEP_2) | instskip(SKIP_2) | instid1(VALU_DEP_1)
	v_cndmask_b32_e64 v19, 0, v19, s0
	v_cmp_gt_i32_e64 s0, s31, v88
	s_wait_alu 0xf1ff
	v_cndmask_b32_e64 v46, 0, v46, s0
	v_cmp_gt_i32_e64 s0, s8, v86
	s_wait_alu 0xf1ff
	s_delay_alu instid0(VALU_DEP_1) | instskip(SKIP_2) | instid1(VALU_DEP_3)
	v_cndmask_b32_e64 v49, 0, v45, s0
	v_cmp_gt_i32_e64 s0, s31, v85
	v_lshrrev_b32_e32 v45, 16, v47
	v_perm_b32 v46, v49, v46, 0x5040100
	s_wait_alu 0xf1ff
	s_delay_alu instid0(VALU_DEP_3) | instskip(SKIP_2) | instid1(VALU_DEP_1)
	v_cndmask_b32_e64 v47, 0, v47, s0
	v_cmp_gt_i32_e64 s0, s8, v83
	s_wait_alu 0xf1ff
	v_cndmask_b32_e64 v51, 0, v45, s0
	v_cmp_gt_i32_e64 s0, s31, v84
	v_perm_b32 v45, v19, v20, 0x5040100
	s_delay_alu instid0(VALU_DEP_3) | instskip(SKIP_1) | instid1(VALU_DEP_3)
	v_perm_b32 v47, v51, v47, 0x5040100
	s_wait_alu 0xf1ff
	v_cndmask_b32_e64 v48, 0, v48, s0
	v_cmp_gt_i32_e64 s0, s8, v82
	s_wait_alu 0xf1ff
	s_delay_alu instid0(VALU_DEP_1) | instskip(NEXT) | instid1(VALU_DEP_1)
	v_cndmask_b32_e64 v50, 0, v50, s0
	v_perm_b32 v48, v50, v48, 0x5040100
	s_wait_alu 0xfffe
	s_or_b32 exec_lo, exec_lo, s11
	global_load_b128 v[49:52], v[17:18], off offset:4608
	s_and_saveexec_b32 s11, vcc_lo
	s_cbranch_execz .LBB174_49
.LBB174_60:                             ;   in Loop: Header=BB174_38 Depth=1
	v_cmp_gt_i32_e64 s0, s31, v89
	s_wait_loadcnt 0x0
	v_lshrrev_b32_e32 v19, 16, v49
	v_lshrrev_b32_e32 v54, 16, v52
	s_wait_alu 0xf1ff
	v_cndmask_b32_e64 v20, 0, v49, s0
	v_cmp_gt_i32_e64 s0, s8, v87
	v_lshrrev_b32_e32 v49, 16, v50
	s_wait_alu 0xf1ff
	s_delay_alu instid0(VALU_DEP_2) | instskip(SKIP_2) | instid1(VALU_DEP_1)
	v_cndmask_b32_e64 v19, 0, v19, s0
	v_cmp_gt_i32_e64 s0, s31, v88
	s_wait_alu 0xf1ff
	v_cndmask_b32_e64 v50, 0, v50, s0
	v_cmp_gt_i32_e64 s0, s8, v86
	s_wait_alu 0xf1ff
	s_delay_alu instid0(VALU_DEP_1) | instskip(SKIP_2) | instid1(VALU_DEP_3)
	v_cndmask_b32_e64 v53, 0, v49, s0
	v_cmp_gt_i32_e64 s0, s31, v85
	v_lshrrev_b32_e32 v49, 16, v51
	v_perm_b32 v50, v53, v50, 0x5040100
	s_wait_alu 0xf1ff
	s_delay_alu instid0(VALU_DEP_3) | instskip(SKIP_2) | instid1(VALU_DEP_1)
	v_cndmask_b32_e64 v51, 0, v51, s0
	v_cmp_gt_i32_e64 s0, s8, v83
	s_wait_alu 0xf1ff
	v_cndmask_b32_e64 v55, 0, v49, s0
	v_cmp_gt_i32_e64 s0, s31, v84
	v_perm_b32 v49, v19, v20, 0x5040100
	s_delay_alu instid0(VALU_DEP_3) | instskip(SKIP_1) | instid1(VALU_DEP_3)
	v_perm_b32 v51, v55, v51, 0x5040100
	s_wait_alu 0xf1ff
	v_cndmask_b32_e64 v52, 0, v52, s0
	v_cmp_gt_i32_e64 s0, s8, v82
	s_wait_alu 0xf1ff
	s_delay_alu instid0(VALU_DEP_1) | instskip(NEXT) | instid1(VALU_DEP_1)
	v_cndmask_b32_e64 v54, 0, v54, s0
	v_perm_b32 v52, v54, v52, 0x5040100
	s_wait_alu 0xfffe
	s_or_b32 exec_lo, exec_lo, s11
	global_load_b128 v[53:56], v[17:18], off offset:5120
	s_and_saveexec_b32 s11, vcc_lo
	s_cbranch_execz .LBB174_50
.LBB174_61:                             ;   in Loop: Header=BB174_38 Depth=1
	v_cmp_gt_i32_e64 s0, s31, v89
	s_wait_loadcnt 0x0
	v_lshrrev_b32_e32 v19, 16, v53
	v_lshrrev_b32_e32 v91, 16, v56
	s_wait_alu 0xf1ff
	v_cndmask_b32_e64 v20, 0, v53, s0
	v_cmp_gt_i32_e64 s0, s8, v87
	v_lshrrev_b32_e32 v53, 16, v54
	s_wait_alu 0xf1ff
	s_delay_alu instid0(VALU_DEP_2) | instskip(SKIP_2) | instid1(VALU_DEP_1)
	v_cndmask_b32_e64 v19, 0, v19, s0
	v_cmp_gt_i32_e64 s0, s31, v88
	s_wait_alu 0xf1ff
	v_cndmask_b32_e64 v54, 0, v54, s0
	v_cmp_gt_i32_e64 s0, s8, v86
	s_wait_alu 0xf1ff
	s_delay_alu instid0(VALU_DEP_1) | instskip(SKIP_2) | instid1(VALU_DEP_3)
	v_cndmask_b32_e64 v90, 0, v53, s0
	v_cmp_gt_i32_e64 s0, s31, v85
	v_lshrrev_b32_e32 v53, 16, v55
	v_perm_b32 v54, v90, v54, 0x5040100
	s_wait_alu 0xf1ff
	s_delay_alu instid0(VALU_DEP_3) | instskip(SKIP_2) | instid1(VALU_DEP_1)
	v_cndmask_b32_e64 v55, 0, v55, s0
	v_cmp_gt_i32_e64 s0, s8, v83
	s_wait_alu 0xf1ff
	v_cndmask_b32_e64 v92, 0, v53, s0
	v_cmp_gt_i32_e64 s0, s31, v84
	v_perm_b32 v53, v19, v20, 0x5040100
	s_delay_alu instid0(VALU_DEP_3) | instskip(SKIP_1) | instid1(VALU_DEP_3)
	v_perm_b32 v55, v92, v55, 0x5040100
	s_wait_alu 0xf1ff
	v_cndmask_b32_e64 v56, 0, v56, s0
	v_cmp_gt_i32_e64 s0, s8, v82
	s_wait_alu 0xf1ff
	s_delay_alu instid0(VALU_DEP_1) | instskip(NEXT) | instid1(VALU_DEP_1)
	v_cndmask_b32_e64 v91, 0, v91, s0
	v_perm_b32 v56, v91, v56, 0x5040100
	s_wait_alu 0xfffe
	s_or_b32 exec_lo, exec_lo, s11
	global_load_b128 v[17:20], v[17:18], off offset:5632
	s_and_saveexec_b32 s0, vcc_lo
	s_cbranch_execz .LBB174_36
.LBB174_62:                             ;   in Loop: Header=BB174_38 Depth=1
	v_cmp_gt_i32_e32 vcc_lo, s31, v89
	s_wait_loadcnt 0x0
	v_lshrrev_b32_e32 v90, 16, v17
	v_lshrrev_b32_e32 v89, 16, v18
	s_wait_alu 0xfffd
	v_cndmask_b32_e32 v17, 0, v17, vcc_lo
	v_cmp_gt_i32_e32 vcc_lo, s8, v87
	s_wait_alu 0xfffd
	v_cndmask_b32_e32 v87, 0, v90, vcc_lo
	v_cmp_gt_i32_e32 vcc_lo, s31, v88
	v_lshrrev_b32_e32 v88, 16, v19
	s_wait_alu 0xfffd
	v_cndmask_b32_e32 v18, 0, v18, vcc_lo
	v_cmp_gt_i32_e32 vcc_lo, s8, v86
	s_wait_alu 0xfffd
	v_cndmask_b32_e32 v86, 0, v89, vcc_lo
	v_cmp_gt_i32_e32 vcc_lo, s31, v85
	v_lshrrev_b32_e32 v85, 16, v20
	v_perm_b32 v17, v87, v17, 0x5040100
	s_delay_alu instid0(VALU_DEP_4)
	v_perm_b32 v18, v86, v18, 0x5040100
	s_wait_alu 0xfffd
	v_cndmask_b32_e32 v19, 0, v19, vcc_lo
	v_cmp_gt_i32_e32 vcc_lo, s8, v83
	s_wait_alu 0xfffd
	v_cndmask_b32_e32 v83, 0, v88, vcc_lo
	v_cmp_gt_i32_e32 vcc_lo, s31, v84
	;; [unrolled: 3-line block ×3, first 2 shown]
	s_wait_alu 0xfffd
	v_cndmask_b32_e32 v82, 0, v85, vcc_lo
	v_perm_b32 v19, v83, v19, 0x5040100
	s_delay_alu instid0(VALU_DEP_2)
	v_perm_b32 v20, v82, v20, 0x5040100
	s_branch .LBB174_36
.LBB174_63:
	s_or_b32 exec_lo, exec_lo, s6
.LBB174_64:
	s_wait_alu 0xfffe
	s_or_b32 exec_lo, exec_lo, s1
	ds_bpermute_b32 v1, v64, v76
	ds_bpermute_b32 v2, v64, v77
	;; [unrolled: 1-line block ×12, first 2 shown]
	s_mov_b32 s0, exec_lo
	s_wait_storecnt 0x0
	s_wait_loadcnt_dscnt 0x0
	s_barrier_signal -1
	s_barrier_wait -1
	global_inv scope:SCOPE_SE
	v_dual_add_f32 v1, v76, v1 :: v_dual_add_f32 v2, v77, v2
	v_dual_add_f32 v5, v73, v5 :: v_dual_add_f32 v6, v72, v6
	v_dual_add_f32 v13, v71, v7 :: v_dual_add_f32 v14, v70, v8
	v_dual_add_f32 v3, v75, v3 :: v_dual_add_f32 v4, v74, v4
	v_dual_add_f32 v15, v69, v9 :: v_dual_add_f32 v16, v68, v10
	v_dual_add_f32 v17, v67, v11 :: v_dual_add_f32 v18, v66, v12
	ds_bpermute_b32 v7, v63, v1
	ds_bpermute_b32 v8, v63, v2
	;; [unrolled: 1-line block ×12, first 2 shown]
	s_wait_dscnt 0xa
	v_dual_add_f32 v12, v1, v7 :: v_dual_add_f32 v11, v2, v8
	s_wait_dscnt 0x8
	v_dual_add_f32 v8, v5, v20 :: v_dual_add_f32 v7, v6, v21
	;; [unrolled: 2-line block ×3, first 2 shown]
	v_and_b32_e32 v14, 28, v60
	s_wait_dscnt 0x4
	v_dual_add_f32 v10, v3, v9 :: v_dual_add_f32 v9, v4, v19
	s_wait_dscnt 0x2
	v_dual_add_f32 v4, v15, v24 :: v_dual_add_f32 v1, v16, v25
	s_wait_dscnt 0x1
	v_add_f32_e32 v2, v17, v26
	s_wait_dscnt 0x0
	v_dual_add_f32 v3, v18, v27 :: v_dual_and_b32 v16, 0x3c3, v0
	v_lshrrev_b32_e32 v13, 2, v60
	v_add_nc_u32_e32 v14, 0xe0, v14
	v_mul_u32_u24_e32 v15, 0x180, v59
	s_delay_alu instid0(VALU_DEP_4)
	v_cmpx_eq_u32_e32 64, v16
	s_cbranch_execz .LBB174_66
; %bb.65:
	s_delay_alu instid0(VALU_DEP_2) | instskip(NEXT) | instid1(VALU_DEP_1)
	v_add_nc_u32_e32 v16, v14, v15
	v_add_nc_u32_e32 v17, 0xfffffd00, v16
	;; [unrolled: 1-line block ×13, first 2 shown]
	ds_store_b32 v17, v12
	ds_store_b32 v18, v11
	;; [unrolled: 1-line block ×12, first 2 shown]
.LBB174_66:
	s_wait_alu 0xfffe
	s_or_b32 exec_lo, exec_lo, s0
	v_lshlrev_b32_e32 v13, 2, v13
	s_mov_b32 s1, exec_lo
	v_cmp_eq_u32_e32 vcc_lo, 0, v65
	s_wait_loadcnt_dscnt 0x0
	s_barrier_signal -1
	v_add3_u32 v13, 0xe0, v15, v13
	s_barrier_wait -1
	global_inv scope:SCOPE_SE
	v_cmpx_gt_u32_e32 64, v0
	s_cbranch_execz .LBB174_81
; %bb.67:
	s_and_saveexec_b32 s0, vcc_lo
	s_cbranch_execnz .LBB174_101
; %bb.68:
	s_wait_alu 0xfffe
	s_or_b32 exec_lo, exec_lo, s0
	s_and_saveexec_b32 s0, vcc_lo
	s_cbranch_execnz .LBB174_102
.LBB174_69:
	s_wait_alu 0xfffe
	s_or_b32 exec_lo, exec_lo, s0
	s_and_saveexec_b32 s0, vcc_lo
	s_cbranch_execnz .LBB174_103
.LBB174_70:
	s_wait_alu 0xfffe
	s_or_b32 exec_lo, exec_lo, s0
	s_and_saveexec_b32 s0, vcc_lo
	s_cbranch_execnz .LBB174_104
.LBB174_71:
	s_wait_alu 0xfffe
	s_or_b32 exec_lo, exec_lo, s0
	s_and_saveexec_b32 s0, vcc_lo
	s_cbranch_execnz .LBB174_105
.LBB174_72:
	s_wait_alu 0xfffe
	s_or_b32 exec_lo, exec_lo, s0
	s_and_saveexec_b32 s0, vcc_lo
	s_cbranch_execnz .LBB174_106
.LBB174_73:
	s_wait_alu 0xfffe
	s_or_b32 exec_lo, exec_lo, s0
	s_and_saveexec_b32 s0, vcc_lo
	s_cbranch_execnz .LBB174_107
.LBB174_74:
	s_wait_alu 0xfffe
	s_or_b32 exec_lo, exec_lo, s0
	s_and_saveexec_b32 s0, vcc_lo
	s_cbranch_execnz .LBB174_108
.LBB174_75:
	s_wait_alu 0xfffe
	s_or_b32 exec_lo, exec_lo, s0
	s_and_saveexec_b32 s0, vcc_lo
	s_cbranch_execnz .LBB174_109
.LBB174_76:
	s_wait_alu 0xfffe
	s_or_b32 exec_lo, exec_lo, s0
	s_and_saveexec_b32 s0, vcc_lo
	s_cbranch_execnz .LBB174_110
.LBB174_77:
	s_wait_alu 0xfffe
	s_or_b32 exec_lo, exec_lo, s0
	s_and_saveexec_b32 s0, vcc_lo
	s_cbranch_execnz .LBB174_111
.LBB174_78:
	s_wait_alu 0xfffe
	s_or_b32 exec_lo, exec_lo, s0
	s_and_saveexec_b32 s0, vcc_lo
	s_cbranch_execz .LBB174_80
.LBB174_79:
	ds_load_b32 v15, v13 offset:352
	s_wait_dscnt 0x0
	v_add_f32_e32 v3, v3, v15
.LBB174_80:
	s_wait_alu 0xfffe
	s_or_b32 exec_lo, exec_lo, s0
.LBB174_81:
	s_wait_alu 0xfffe
	s_or_b32 exec_lo, exec_lo, s1
	v_and_b32_e32 v15, 0x3e3, v0
	s_mov_b32 s1, exec_lo
	s_wait_loadcnt 0x0
	s_barrier_signal -1
	s_barrier_wait -1
	global_inv scope:SCOPE_SE
	v_cmpx_eq_u32_e32 32, v15
	s_cbranch_execz .LBB174_83
; %bb.82:
	ds_store_2addr_b32 v14, v12, v11 offset1:8
	ds_store_2addr_b32 v14, v10, v9 offset0:16 offset1:24
	ds_store_2addr_b32 v14, v8, v7 offset0:32 offset1:40
	;; [unrolled: 1-line block ×5, first 2 shown]
.LBB174_83:
	s_wait_alu 0xfffe
	s_or_b32 exec_lo, exec_lo, s1
	s_delay_alu instid0(SALU_CYCLE_1)
	s_mov_b32 s1, exec_lo
	s_wait_loadcnt_dscnt 0x0
	s_barrier_signal -1
	s_barrier_wait -1
	global_inv scope:SCOPE_SE
	v_cmpx_gt_u32_e32 32, v0
	s_cbranch_execz .LBB174_98
; %bb.84:
	s_and_saveexec_b32 s0, vcc_lo
	s_cbranch_execnz .LBB174_112
; %bb.85:
	s_wait_alu 0xfffe
	s_or_b32 exec_lo, exec_lo, s0
	s_and_saveexec_b32 s0, vcc_lo
	s_cbranch_execnz .LBB174_113
.LBB174_86:
	s_wait_alu 0xfffe
	s_or_b32 exec_lo, exec_lo, s0
	s_and_saveexec_b32 s0, vcc_lo
	s_cbranch_execnz .LBB174_114
.LBB174_87:
	s_wait_alu 0xfffe
	s_or_b32 exec_lo, exec_lo, s0
	s_and_saveexec_b32 s0, vcc_lo
	s_cbranch_execnz .LBB174_115
.LBB174_88:
	s_wait_alu 0xfffe
	s_or_b32 exec_lo, exec_lo, s0
	s_and_saveexec_b32 s0, vcc_lo
	s_cbranch_execnz .LBB174_116
.LBB174_89:
	s_wait_alu 0xfffe
	s_or_b32 exec_lo, exec_lo, s0
	s_and_saveexec_b32 s0, vcc_lo
	s_cbranch_execnz .LBB174_117
.LBB174_90:
	s_wait_alu 0xfffe
	s_or_b32 exec_lo, exec_lo, s0
	s_and_saveexec_b32 s0, vcc_lo
	s_cbranch_execnz .LBB174_118
.LBB174_91:
	s_wait_alu 0xfffe
	s_or_b32 exec_lo, exec_lo, s0
	s_and_saveexec_b32 s0, vcc_lo
	s_cbranch_execnz .LBB174_119
.LBB174_92:
	s_wait_alu 0xfffe
	s_or_b32 exec_lo, exec_lo, s0
	s_and_saveexec_b32 s0, vcc_lo
	s_cbranch_execnz .LBB174_120
.LBB174_93:
	s_wait_alu 0xfffe
	s_or_b32 exec_lo, exec_lo, s0
	s_and_saveexec_b32 s0, vcc_lo
	s_cbranch_execnz .LBB174_121
.LBB174_94:
	s_wait_alu 0xfffe
	s_or_b32 exec_lo, exec_lo, s0
	s_and_saveexec_b32 s0, vcc_lo
	s_cbranch_execnz .LBB174_122
.LBB174_95:
	s_wait_alu 0xfffe
	s_or_b32 exec_lo, exec_lo, s0
	s_and_saveexec_b32 s0, vcc_lo
	s_cbranch_execz .LBB174_97
.LBB174_96:
	ds_load_b32 v13, v13 offset:352
	s_wait_dscnt 0x0
	v_add_f32_e32 v3, v3, v13
.LBB174_97:
	s_wait_alu 0xfffe
	s_or_b32 exec_lo, exec_lo, s0
.LBB174_98:
	s_wait_alu 0xfffe
	s_or_b32 exec_lo, exec_lo, s1
	s_mov_b32 s1, 0
	s_wait_loadcnt 0x0
	s_barrier_signal -1
	s_barrier_wait -1
	global_inv scope:SCOPE_SE
	s_mov_b32 s0, exec_lo
	v_cmpx_eq_u32_e32 0, v15
	s_cbranch_execz .LBB174_100
; %bb.99:
	v_bfe_u32 v13, v12, 16, 1
	v_bfe_u32 v14, v11, 16, 1
	v_or_b32_e32 v15, 0x400000, v12
	v_cmp_u_f32_e32 vcc_lo, v12, v12
	v_or_b32_e32 v16, 0x400000, v11
	v_add3_u32 v13, v13, v12, 0x7fff
	v_add3_u32 v14, v14, v11, 0x7fff
	v_bfe_u32 v17, v10, 16, 1
	s_mul_i32 s2, s20, 0x60
	s_mul_i32 s4, s7, s16
	s_wait_alu 0xfffd
	v_cndmask_b32_e32 v12, v13, v15, vcc_lo
	v_cmp_u_f32_e32 vcc_lo, v11, v11
	v_bfe_u32 v13, v9, 16, 1
	v_or_b32_e32 v15, 0x400000, v10
	s_wait_alu 0xfffe
	s_ashr_i32 s3, s2, 31
	s_ashr_i32 s5, s4, 31
	s_wait_alu 0xfffd
	v_cndmask_b32_e32 v11, v14, v16, vcc_lo
	v_add3_u32 v14, v17, v10, 0x7fff
	v_cmp_u_f32_e32 vcc_lo, v10, v10
	v_add3_u32 v13, v13, v9, 0x7fff
	v_or_b32_e32 v16, 0x400000, v9
	v_bfe_u32 v17, v8, 16, 1
	s_wait_alu 0xfffe
	s_lshl_b64 s[2:3], s[2:3], 1
	s_wait_alu 0xfffd
	v_cndmask_b32_e32 v10, v14, v15, vcc_lo
	v_cmp_u_f32_e32 vcc_lo, v9, v9
	v_bfe_u32 v14, v7, 16, 1
	v_or_b32_e32 v15, 0x400000, v8
	s_lshl_b64 s[4:5], s[4:5], 1
	s_wait_kmcnt 0x0
	s_wait_alu 0xfffe
	s_add_nc_u64 s[2:3], s[14:15], s[2:3]
	s_wait_alu 0xfffd
	v_cndmask_b32_e32 v9, v13, v16, vcc_lo
	v_add3_u32 v13, v17, v8, 0x7fff
	v_cmp_u_f32_e32 vcc_lo, v8, v8
	v_add3_u32 v14, v14, v7, 0x7fff
	v_or_b32_e32 v16, 0x400000, v7
	v_bfe_u32 v17, v6, 16, 1
	v_lshrrev_b32_e32 v0, 1, v0
	s_wait_alu 0xfffd
	v_cndmask_b32_e32 v8, v13, v15, vcc_lo
	v_cmp_u_f32_e32 vcc_lo, v7, v7
	v_bfe_u32 v13, v5, 16, 1
	v_or_b32_e32 v15, 0x400000, v6
	v_or_b32_e32 v18, 0x400000, v3
	s_wait_alu 0xfffe
	s_add_nc_u64 s[2:3], s[2:3], s[4:5]
	s_wait_alu 0xfffd
	v_cndmask_b32_e32 v7, v14, v16, vcc_lo
	v_add3_u32 v14, v17, v6, 0x7fff
	v_cmp_u_f32_e32 vcc_lo, v6, v6
	v_bfe_u32 v16, v4, 16, 1
	v_add3_u32 v13, v13, v5, 0x7fff
	v_or_b32_e32 v17, 0x400000, v5
	s_mul_i32 s0, s30, 0xc0
	s_wait_alu 0xfffd
	v_cndmask_b32_e32 v6, v14, v15, vcc_lo
	v_cmp_u_f32_e32 vcc_lo, v5, v5
	v_add3_u32 v14, v16, v4, 0x7fff
	v_or_b32_e32 v15, 0x400000, v4
	v_bfe_u32 v16, v2, 16, 1
	s_wait_alu 0xfffe
	s_add_nc_u64 s[0:1], s[2:3], s[0:1]
	s_wait_alu 0xfffd
	v_cndmask_b32_e32 v5, v13, v17, vcc_lo
	v_bfe_u32 v13, v1, 16, 1
	v_cmp_u_f32_e32 vcc_lo, v4, v4
	v_add3_u32 v16, v16, v2, 0x7fff
	v_or_b32_e32 v17, 0x400000, v2
	s_delay_alu instid0(VALU_DEP_4)
	v_add3_u32 v13, v13, v1, 0x7fff
	s_wait_alu 0xfffd
	v_cndmask_b32_e32 v4, v14, v15, vcc_lo
	v_or_b32_e32 v15, 0x400000, v1
	v_cmp_u_f32_e32 vcc_lo, v1, v1
	v_bfe_u32 v14, v3, 16, 1
	s_wait_alu 0xfffd
	s_delay_alu instid0(VALU_DEP_3) | instskip(SKIP_1) | instid1(VALU_DEP_3)
	v_cndmask_b32_e32 v1, v13, v15, vcc_lo
	v_cmp_u_f32_e32 vcc_lo, v2, v2
	v_add3_u32 v14, v14, v3, 0x7fff
	s_wait_alu 0xfffd
	v_cndmask_b32_e32 v2, v16, v17, vcc_lo
	v_cmp_u_f32_e32 vcc_lo, v3, v3
	s_wait_alu 0xfffd
	v_cndmask_b32_e32 v3, v14, v18, vcc_lo
	s_clause 0xb
	global_store_d16_hi_b16 v0, v12, s[0:1]
	global_store_d16_hi_b16 v0, v11, s[0:1] offset:16
	global_store_d16_hi_b16 v0, v10, s[0:1] offset:32
	;; [unrolled: 1-line block ×11, first 2 shown]
.LBB174_100:
	s_nop 0
	s_sendmsg sendmsg(MSG_DEALLOC_VGPRS)
	s_endpgm
.LBB174_101:
	ds_load_b32 v15, v13
	s_wait_dscnt 0x0
	v_add_f32_e32 v12, v12, v15
	s_wait_alu 0xfffe
	s_or_b32 exec_lo, exec_lo, s0
	s_and_saveexec_b32 s0, vcc_lo
	s_cbranch_execz .LBB174_69
.LBB174_102:
	ds_load_b32 v15, v13 offset:32
	s_wait_dscnt 0x0
	v_add_f32_e32 v11, v11, v15
	s_wait_alu 0xfffe
	s_or_b32 exec_lo, exec_lo, s0
	s_and_saveexec_b32 s0, vcc_lo
	s_cbranch_execz .LBB174_70
.LBB174_103:
	ds_load_b32 v15, v13 offset:64
	s_wait_dscnt 0x0
	v_add_f32_e32 v10, v10, v15
	s_wait_alu 0xfffe
	s_or_b32 exec_lo, exec_lo, s0
	s_and_saveexec_b32 s0, vcc_lo
	s_cbranch_execz .LBB174_71
.LBB174_104:
	ds_load_b32 v15, v13 offset:96
	s_wait_dscnt 0x0
	v_add_f32_e32 v9, v9, v15
	s_wait_alu 0xfffe
	s_or_b32 exec_lo, exec_lo, s0
	s_and_saveexec_b32 s0, vcc_lo
	s_cbranch_execz .LBB174_72
.LBB174_105:
	ds_load_b32 v15, v13 offset:128
	s_wait_dscnt 0x0
	v_add_f32_e32 v8, v8, v15
	s_wait_alu 0xfffe
	s_or_b32 exec_lo, exec_lo, s0
	s_and_saveexec_b32 s0, vcc_lo
	s_cbranch_execz .LBB174_73
.LBB174_106:
	ds_load_b32 v15, v13 offset:160
	s_wait_dscnt 0x0
	v_add_f32_e32 v7, v7, v15
	s_wait_alu 0xfffe
	s_or_b32 exec_lo, exec_lo, s0
	s_and_saveexec_b32 s0, vcc_lo
	s_cbranch_execz .LBB174_74
.LBB174_107:
	ds_load_b32 v15, v13 offset:192
	s_wait_dscnt 0x0
	v_add_f32_e32 v6, v6, v15
	s_wait_alu 0xfffe
	s_or_b32 exec_lo, exec_lo, s0
	s_and_saveexec_b32 s0, vcc_lo
	s_cbranch_execz .LBB174_75
.LBB174_108:
	ds_load_b32 v15, v13 offset:224
	s_wait_dscnt 0x0
	v_add_f32_e32 v5, v5, v15
	s_wait_alu 0xfffe
	s_or_b32 exec_lo, exec_lo, s0
	s_and_saveexec_b32 s0, vcc_lo
	s_cbranch_execz .LBB174_76
.LBB174_109:
	ds_load_b32 v15, v13 offset:256
	s_wait_dscnt 0x0
	v_add_f32_e32 v4, v4, v15
	s_wait_alu 0xfffe
	s_or_b32 exec_lo, exec_lo, s0
	s_and_saveexec_b32 s0, vcc_lo
	s_cbranch_execz .LBB174_77
.LBB174_110:
	ds_load_b32 v15, v13 offset:288
	s_wait_dscnt 0x0
	v_add_f32_e32 v1, v1, v15
	s_wait_alu 0xfffe
	s_or_b32 exec_lo, exec_lo, s0
	s_and_saveexec_b32 s0, vcc_lo
	s_cbranch_execz .LBB174_78
.LBB174_111:
	ds_load_b32 v15, v13 offset:320
	s_wait_dscnt 0x0
	v_add_f32_e32 v2, v2, v15
	s_wait_alu 0xfffe
	s_or_b32 exec_lo, exec_lo, s0
	s_and_saveexec_b32 s0, vcc_lo
	s_cbranch_execnz .LBB174_79
	s_branch .LBB174_80
.LBB174_112:
	ds_load_b32 v14, v13
	s_wait_dscnt 0x0
	v_add_f32_e32 v12, v12, v14
	s_wait_alu 0xfffe
	s_or_b32 exec_lo, exec_lo, s0
	s_and_saveexec_b32 s0, vcc_lo
	s_cbranch_execz .LBB174_86
.LBB174_113:
	ds_load_b32 v14, v13 offset:32
	s_wait_dscnt 0x0
	v_add_f32_e32 v11, v11, v14
	s_wait_alu 0xfffe
	s_or_b32 exec_lo, exec_lo, s0
	s_and_saveexec_b32 s0, vcc_lo
	s_cbranch_execz .LBB174_87
.LBB174_114:
	ds_load_b32 v14, v13 offset:64
	s_wait_dscnt 0x0
	v_add_f32_e32 v10, v10, v14
	s_wait_alu 0xfffe
	s_or_b32 exec_lo, exec_lo, s0
	s_and_saveexec_b32 s0, vcc_lo
	s_cbranch_execz .LBB174_88
.LBB174_115:
	ds_load_b32 v14, v13 offset:96
	s_wait_dscnt 0x0
	v_add_f32_e32 v9, v9, v14
	s_wait_alu 0xfffe
	s_or_b32 exec_lo, exec_lo, s0
	s_and_saveexec_b32 s0, vcc_lo
	s_cbranch_execz .LBB174_89
.LBB174_116:
	ds_load_b32 v14, v13 offset:128
	s_wait_dscnt 0x0
	v_add_f32_e32 v8, v8, v14
	s_wait_alu 0xfffe
	s_or_b32 exec_lo, exec_lo, s0
	s_and_saveexec_b32 s0, vcc_lo
	s_cbranch_execz .LBB174_90
.LBB174_117:
	ds_load_b32 v14, v13 offset:160
	s_wait_dscnt 0x0
	v_add_f32_e32 v7, v7, v14
	s_wait_alu 0xfffe
	s_or_b32 exec_lo, exec_lo, s0
	s_and_saveexec_b32 s0, vcc_lo
	s_cbranch_execz .LBB174_91
.LBB174_118:
	ds_load_b32 v14, v13 offset:192
	s_wait_dscnt 0x0
	v_add_f32_e32 v6, v6, v14
	s_wait_alu 0xfffe
	s_or_b32 exec_lo, exec_lo, s0
	s_and_saveexec_b32 s0, vcc_lo
	s_cbranch_execz .LBB174_92
.LBB174_119:
	ds_load_b32 v14, v13 offset:224
	s_wait_dscnt 0x0
	v_add_f32_e32 v5, v5, v14
	s_wait_alu 0xfffe
	s_or_b32 exec_lo, exec_lo, s0
	s_and_saveexec_b32 s0, vcc_lo
	s_cbranch_execz .LBB174_93
.LBB174_120:
	ds_load_b32 v14, v13 offset:256
	s_wait_dscnt 0x0
	v_add_f32_e32 v4, v4, v14
	s_wait_alu 0xfffe
	s_or_b32 exec_lo, exec_lo, s0
	s_and_saveexec_b32 s0, vcc_lo
	s_cbranch_execz .LBB174_94
.LBB174_121:
	ds_load_b32 v14, v13 offset:288
	s_wait_dscnt 0x0
	v_add_f32_e32 v1, v1, v14
	s_wait_alu 0xfffe
	s_or_b32 exec_lo, exec_lo, s0
	s_and_saveexec_b32 s0, vcc_lo
	s_cbranch_execz .LBB174_95
.LBB174_122:
	ds_load_b32 v14, v13 offset:320
	s_wait_dscnt 0x0
	v_add_f32_e32 v2, v2, v14
	s_wait_alu 0xfffe
	s_or_b32 exec_lo, exec_lo, s0
	s_and_saveexec_b32 s0, vcc_lo
	s_cbranch_execnz .LBB174_96
	s_branch .LBB174_97
	.section	.rodata,"a",@progbits
	.p2align	6, 0x0
	.amdhsa_kernel _ZN4vllm25paged_attention_v2_kernelI14__hip_bfloat16S1_Li96ELi32ELi128ELNS_18Fp8KVCacheDataTypeE0ELb1ELi512EEEvPfS3_PT_PKS4_PKT0_SA_ifPKiSC_iPKfiiiSE_SE_iiiii
		.amdhsa_group_segment_fixed_size 224
		.amdhsa_private_segment_fixed_size 0
		.amdhsa_kernarg_size 400
		.amdhsa_user_sgpr_count 2
		.amdhsa_user_sgpr_dispatch_ptr 0
		.amdhsa_user_sgpr_queue_ptr 0
		.amdhsa_user_sgpr_kernarg_segment_ptr 1
		.amdhsa_user_sgpr_dispatch_id 0
		.amdhsa_user_sgpr_private_segment_size 0
		.amdhsa_wavefront_size32 1
		.amdhsa_uses_dynamic_stack 0
		.amdhsa_enable_private_segment 0
		.amdhsa_system_sgpr_workgroup_id_x 1
		.amdhsa_system_sgpr_workgroup_id_y 1
		.amdhsa_system_sgpr_workgroup_id_z 1
		.amdhsa_system_sgpr_workgroup_info 0
		.amdhsa_system_vgpr_workitem_id 0
		.amdhsa_next_free_vgpr 173
		.amdhsa_next_free_sgpr 42
		.amdhsa_reserve_vcc 1
		.amdhsa_float_round_mode_32 0
		.amdhsa_float_round_mode_16_64 0
		.amdhsa_float_denorm_mode_32 3
		.amdhsa_float_denorm_mode_16_64 3
		.amdhsa_fp16_overflow 0
		.amdhsa_workgroup_processor_mode 1
		.amdhsa_memory_ordered 1
		.amdhsa_forward_progress 1
		.amdhsa_inst_pref_size 147
		.amdhsa_round_robin_scheduling 0
		.amdhsa_exception_fp_ieee_invalid_op 0
		.amdhsa_exception_fp_denorm_src 0
		.amdhsa_exception_fp_ieee_div_zero 0
		.amdhsa_exception_fp_ieee_overflow 0
		.amdhsa_exception_fp_ieee_underflow 0
		.amdhsa_exception_fp_ieee_inexact 0
		.amdhsa_exception_int_div_zero 0
	.end_amdhsa_kernel
	.section	.text._ZN4vllm25paged_attention_v2_kernelI14__hip_bfloat16S1_Li96ELi32ELi128ELNS_18Fp8KVCacheDataTypeE0ELb1ELi512EEEvPfS3_PT_PKS4_PKT0_SA_ifPKiSC_iPKfiiiSE_SE_iiiii,"axG",@progbits,_ZN4vllm25paged_attention_v2_kernelI14__hip_bfloat16S1_Li96ELi32ELi128ELNS_18Fp8KVCacheDataTypeE0ELb1ELi512EEEvPfS3_PT_PKS4_PKT0_SA_ifPKiSC_iPKfiiiSE_SE_iiiii,comdat
.Lfunc_end174:
	.size	_ZN4vllm25paged_attention_v2_kernelI14__hip_bfloat16S1_Li96ELi32ELi128ELNS_18Fp8KVCacheDataTypeE0ELb1ELi512EEEvPfS3_PT_PKS4_PKT0_SA_ifPKiSC_iPKfiiiSE_SE_iiiii, .Lfunc_end174-_ZN4vllm25paged_attention_v2_kernelI14__hip_bfloat16S1_Li96ELi32ELi128ELNS_18Fp8KVCacheDataTypeE0ELb1ELi512EEEvPfS3_PT_PKS4_PKT0_SA_ifPKiSC_iPKfiiiSE_SE_iiiii
                                        ; -- End function
	.set _ZN4vllm25paged_attention_v2_kernelI14__hip_bfloat16S1_Li96ELi32ELi128ELNS_18Fp8KVCacheDataTypeE0ELb1ELi512EEEvPfS3_PT_PKS4_PKT0_SA_ifPKiSC_iPKfiiiSE_SE_iiiii.num_vgpr, 173
	.set _ZN4vllm25paged_attention_v2_kernelI14__hip_bfloat16S1_Li96ELi32ELi128ELNS_18Fp8KVCacheDataTypeE0ELb1ELi512EEEvPfS3_PT_PKS4_PKT0_SA_ifPKiSC_iPKfiiiSE_SE_iiiii.num_agpr, 0
	.set _ZN4vllm25paged_attention_v2_kernelI14__hip_bfloat16S1_Li96ELi32ELi128ELNS_18Fp8KVCacheDataTypeE0ELb1ELi512EEEvPfS3_PT_PKS4_PKT0_SA_ifPKiSC_iPKfiiiSE_SE_iiiii.numbered_sgpr, 42
	.set _ZN4vllm25paged_attention_v2_kernelI14__hip_bfloat16S1_Li96ELi32ELi128ELNS_18Fp8KVCacheDataTypeE0ELb1ELi512EEEvPfS3_PT_PKS4_PKT0_SA_ifPKiSC_iPKfiiiSE_SE_iiiii.num_named_barrier, 0
	.set _ZN4vllm25paged_attention_v2_kernelI14__hip_bfloat16S1_Li96ELi32ELi128ELNS_18Fp8KVCacheDataTypeE0ELb1ELi512EEEvPfS3_PT_PKS4_PKT0_SA_ifPKiSC_iPKfiiiSE_SE_iiiii.private_seg_size, 0
	.set _ZN4vllm25paged_attention_v2_kernelI14__hip_bfloat16S1_Li96ELi32ELi128ELNS_18Fp8KVCacheDataTypeE0ELb1ELi512EEEvPfS3_PT_PKS4_PKT0_SA_ifPKiSC_iPKfiiiSE_SE_iiiii.uses_vcc, 1
	.set _ZN4vllm25paged_attention_v2_kernelI14__hip_bfloat16S1_Li96ELi32ELi128ELNS_18Fp8KVCacheDataTypeE0ELb1ELi512EEEvPfS3_PT_PKS4_PKT0_SA_ifPKiSC_iPKfiiiSE_SE_iiiii.uses_flat_scratch, 0
	.set _ZN4vllm25paged_attention_v2_kernelI14__hip_bfloat16S1_Li96ELi32ELi128ELNS_18Fp8KVCacheDataTypeE0ELb1ELi512EEEvPfS3_PT_PKS4_PKT0_SA_ifPKiSC_iPKfiiiSE_SE_iiiii.has_dyn_sized_stack, 0
	.set _ZN4vllm25paged_attention_v2_kernelI14__hip_bfloat16S1_Li96ELi32ELi128ELNS_18Fp8KVCacheDataTypeE0ELb1ELi512EEEvPfS3_PT_PKS4_PKT0_SA_ifPKiSC_iPKfiiiSE_SE_iiiii.has_recursion, 0
	.set _ZN4vllm25paged_attention_v2_kernelI14__hip_bfloat16S1_Li96ELi32ELi128ELNS_18Fp8KVCacheDataTypeE0ELb1ELi512EEEvPfS3_PT_PKS4_PKT0_SA_ifPKiSC_iPKfiiiSE_SE_iiiii.has_indirect_call, 0
	.section	.AMDGPU.csdata,"",@progbits
; Kernel info:
; codeLenInByte = 18700
; TotalNumSgprs: 44
; NumVgprs: 173
; ScratchSize: 0
; MemoryBound: 0
; FloatMode: 240
; IeeeMode: 1
; LDSByteSize: 224 bytes/workgroup (compile time only)
; SGPRBlocks: 0
; VGPRBlocks: 21
; NumSGPRsForWavesPerEU: 44
; NumVGPRsForWavesPerEU: 173
; Occupancy: 8
; WaveLimiterHint : 1
; COMPUTE_PGM_RSRC2:SCRATCH_EN: 0
; COMPUTE_PGM_RSRC2:USER_SGPR: 2
; COMPUTE_PGM_RSRC2:TRAP_HANDLER: 0
; COMPUTE_PGM_RSRC2:TGID_X_EN: 1
; COMPUTE_PGM_RSRC2:TGID_Y_EN: 1
; COMPUTE_PGM_RSRC2:TGID_Z_EN: 1
; COMPUTE_PGM_RSRC2:TIDIG_COMP_CNT: 0
	.section	.text._ZN4vllm25paged_attention_v2_kernelI14__hip_bfloat16S1_Li112ELi32ELi128ELNS_18Fp8KVCacheDataTypeE0ELb1ELi512EEEvPfS3_PT_PKS4_PKT0_SA_ifPKiSC_iPKfiiiSE_SE_iiiii,"axG",@progbits,_ZN4vllm25paged_attention_v2_kernelI14__hip_bfloat16S1_Li112ELi32ELi128ELNS_18Fp8KVCacheDataTypeE0ELb1ELi512EEEvPfS3_PT_PKS4_PKT0_SA_ifPKiSC_iPKfiiiSE_SE_iiiii,comdat
	.protected	_ZN4vllm25paged_attention_v2_kernelI14__hip_bfloat16S1_Li112ELi32ELi128ELNS_18Fp8KVCacheDataTypeE0ELb1ELi512EEEvPfS3_PT_PKS4_PKT0_SA_ifPKiSC_iPKfiiiSE_SE_iiiii ; -- Begin function _ZN4vllm25paged_attention_v2_kernelI14__hip_bfloat16S1_Li112ELi32ELi128ELNS_18Fp8KVCacheDataTypeE0ELb1ELi512EEEvPfS3_PT_PKS4_PKT0_SA_ifPKiSC_iPKfiiiSE_SE_iiiii
	.globl	_ZN4vllm25paged_attention_v2_kernelI14__hip_bfloat16S1_Li112ELi32ELi128ELNS_18Fp8KVCacheDataTypeE0ELb1ELi512EEEvPfS3_PT_PKS4_PKT0_SA_ifPKiSC_iPKfiiiSE_SE_iiiii
	.p2align	8
	.type	_ZN4vllm25paged_attention_v2_kernelI14__hip_bfloat16S1_Li112ELi32ELi128ELNS_18Fp8KVCacheDataTypeE0ELb1ELi512EEEvPfS3_PT_PKS4_PKT0_SA_ifPKiSC_iPKfiiiSE_SE_iiiii,@function
_ZN4vllm25paged_attention_v2_kernelI14__hip_bfloat16S1_Li112ELi32ELi128ELNS_18Fp8KVCacheDataTypeE0ELb1ELi512EEEvPfS3_PT_PKS4_PKT0_SA_ifPKiSC_iPKfiiiSE_SE_iiiii: ; @_ZN4vllm25paged_attention_v2_kernelI14__hip_bfloat16S1_Li112ELi32ELi128ELNS_18Fp8KVCacheDataTypeE0ELb1ELi512EEEvPfS3_PT_PKS4_PKT0_SA_ifPKiSC_iPKfiiiSE_SE_iiiii
; %bb.0:
	s_load_b64 s[2:3], s[0:1], 0x40
	s_and_b32 s20, ttmp7, 0xffff
	s_lshr_b32 s30, ttmp7, 16
	s_lshl_b32 s4, s20, 2
	s_lshl_b32 s34, s30, 9
	s_wait_kmcnt 0x0
	s_load_b32 s31, s[2:3], s4 offset:0x0
	s_wait_kmcnt 0x0
	s_cmp_ge_i32 s34, s31
	s_cbranch_scc1 .LBB175_108
; %bb.1:
	s_clause 0x1
	s_load_b32 s21, s[0:1], 0x90
	s_load_b64 s[8:9], s[0:1], 0x30
	s_wait_kmcnt 0x0
	s_abs_i32 s5, s21
	s_abs_i32 s2, s8
	s_delay_alu instid0(SALU_CYCLE_1) | instskip(SKIP_1) | instid1(SALU_CYCLE_2)
	s_cvt_f32_u32 s3, s2
	s_sub_co_i32 s4, 0, s2
	v_rcp_iflag_f32_e32 v1, s3
	s_delay_alu instid0(TRANS32_DEP_1) | instskip(SKIP_2) | instid1(SALU_CYCLE_2)
	v_readfirstlane_b32 s3, v1
	s_mul_f32 s3, s3, 0x4f7ffffe
	s_wait_alu 0xfffe
	s_cvt_u32_f32 s3, s3
	s_wait_alu 0xfffe
	s_delay_alu instid0(SALU_CYCLE_2) | instskip(NEXT) | instid1(SALU_CYCLE_1)
	s_mul_i32 s4, s4, s3
	s_mul_hi_u32 s4, s3, s4
	s_delay_alu instid0(SALU_CYCLE_1)
	s_add_co_i32 s3, s3, s4
	s_xor_b32 s4, s21, s8
	s_wait_alu 0xfffe
	s_mul_hi_u32 s3, s5, s3
	s_ashr_i32 s4, s4, 31
	s_wait_alu 0xfffe
	s_mul_i32 s6, s3, s2
	s_delay_alu instid0(SALU_CYCLE_1)
	s_sub_co_i32 s5, s5, s6
	s_add_co_i32 s6, s3, 1
	s_sub_co_i32 s7, s5, s2
	s_cmp_ge_u32 s5, s2
	s_cselect_b32 s3, s6, s3
	s_cselect_b32 s5, s7, s5
	s_wait_alu 0xfffe
	s_add_co_i32 s6, s3, 1
	s_cmp_ge_u32 s5, s2
	s_cselect_b32 s2, s6, s3
	s_load_b64 s[6:7], s[0:1], 0x50
	s_xor_b32 s2, s2, s4
	s_mov_b32 s3, 0
	s_wait_alu 0xfffe
	s_sub_co_i32 s16, s2, s4
	s_mov_b32 s15, s3
	s_abs_i32 s18, s16
	s_delay_alu instid0(SALU_CYCLE_1) | instskip(SKIP_1) | instid1(SALU_CYCLE_2)
	s_cvt_f32_u32 s2, s18
	s_wait_alu 0xfffe
	v_rcp_iflag_f32_e32 v1, s2
	s_delay_alu instid0(TRANS32_DEP_1) | instskip(SKIP_2) | instid1(SALU_CYCLE_2)
	v_readfirstlane_b32 s2, v1
	s_mul_f32 s2, s2, 0x4f7ffffe
	s_wait_alu 0xfffe
	s_cvt_u32_f32 s4, s2
	s_sub_co_i32 s2, 0, s18
	s_wait_alu 0xfffe
	s_delay_alu instid0(SALU_CYCLE_1)
	s_mul_i32 s2, s2, s4
	s_wait_alu 0xfffe
	s_mul_hi_u32 s5, s4, s2
	s_abs_i32 s2, ttmp9
	s_add_co_i32 s4, s4, s5
	s_mov_b32 s5, s3
	s_wait_kmcnt 0x0
	s_cmp_eq_u64 s[6:7], 0
	s_cbranch_scc1 .LBB175_3
; %bb.2:
	s_mov_b32 s10, ttmp9
	s_ashr_i32 s11, ttmp9, 31
	s_delay_alu instid0(SALU_CYCLE_1) | instskip(NEXT) | instid1(SALU_CYCLE_1)
	s_lshl_b64 s[10:11], s[10:11], 2
	s_add_nc_u64 s[6:7], s[6:7], s[10:11]
	s_load_b32 s15, s[6:7], 0x0
.LBB175_3:
	s_load_b96 s[12:14], s[0:1], 0x58
	v_lshlrev_b32_e32 v11, 4, v0
	s_mul_u64 s[10:11], s[2:3], s[4:5]
	s_ashr_i32 s3, ttmp9, 31
	s_ashr_i32 s10, s16, 31
	s_mul_i32 s16, ttmp9, 0x70
	s_mov_b32 s4, exec_lo
	v_cmpx_gt_u32_e32 14, v0
	s_cbranch_execz .LBB175_5
; %bb.4:
	s_load_b64 s[6:7], s[0:1], 0x18
	s_wait_kmcnt 0x0
	s_mul_i32 s22, s12, s20
	s_ashr_i32 s17, s16, 31
	s_ashr_i32 s23, s22, 31
	s_delay_alu instid0(SALU_CYCLE_1) | instskip(NEXT) | instid1(SALU_CYCLE_1)
	s_lshl_b64 s[22:23], s[22:23], 1
	s_add_nc_u64 s[6:7], s[6:7], s[22:23]
	s_lshl_b64 s[22:23], s[16:17], 1
	s_delay_alu instid0(SALU_CYCLE_1)
	s_add_nc_u64 s[6:7], s[6:7], s[22:23]
	global_load_b128 v[1:4], v11, s[6:7]
	s_wait_loadcnt 0x0
	ds_store_b128 v11, v[1:4]
.LBB175_5:
	s_or_b32 exec_lo, exec_lo, s4
	s_clause 0x1
	s_load_b128 s[4:7], s[0:1], 0x78
	s_load_b32 s22, s[0:1], 0x88
	s_wait_kmcnt 0x0
	s_mul_i32 s12, s11, s18
	s_xor_b32 s3, s3, s10
	s_sub_co_i32 s2, s2, s12
	s_add_co_i32 s10, s11, 1
	s_wait_alu 0xfffe
	s_sub_co_i32 s12, s2, s18
	s_cmp_ge_u32 s2, s18
	s_mov_b32 s24, -1
	s_cselect_b32 s10, s10, s11
	s_cselect_b32 s2, s12, s2
	s_add_co_i32 s11, s10, 1
	s_wait_alu 0xfffe
	s_cmp_ge_u32 s2, s18
	s_wait_dscnt 0x0
	s_cselect_b32 s2, s11, s10
	s_add_co_i32 s23, s31, -1
	s_wait_alu 0xfffe
	s_xor_b32 s2, s2, s3
	s_barrier_signal -1
	s_wait_alu 0xfffe
	s_sub_co_i32 s26, s2, s3
	s_barrier_wait -1
	s_abs_i32 s12, s7
	global_inv scope:SCOPE_SE
	s_cvt_f32_u32 s10, s12
                                        ; implicit-def: $sgpr17
	s_delay_alu instid0(SALU_CYCLE_3) | instskip(NEXT) | instid1(TRANS32_DEP_1)
	v_rcp_iflag_f32_e32 v1, s10
	v_readfirstlane_b32 s10, v1
	s_mul_f32 s2, s10, 0x4f7ffffe
	s_wait_alu 0xfffe
	s_delay_alu instid0(SALU_CYCLE_2) | instskip(SKIP_2) | instid1(SALU_CYCLE_1)
	s_cvt_u32_f32 s10, s2
	s_sub_co_i32 s2, 0, s12
	s_wait_alu 0xfffe
	s_mul_i32 s3, s2, s10
	s_abs_i32 s2, s23
	s_wait_alu 0xfffe
	s_mul_hi_u32 s11, s10, s3
	s_mov_b32 s3, 0
	s_wait_alu 0xfffe
	s_add_co_i32 s18, s10, s11
	s_cmp_lt_i32 s22, 0
	s_mov_b32 s19, s3
	s_cbranch_scc0 .LBB175_7
; %bb.6:
	s_mul_i32 s8, s4, s8
	s_mov_b32 s24, s3
	s_add_co_i32 s8, s26, s8
	s_delay_alu instid0(SALU_CYCLE_1) | instskip(NEXT) | instid1(SALU_CYCLE_1)
	s_mul_i32 s8, s8, s22
	s_sub_co_i32 s17, 1, s8
.LBB175_7:
	s_mul_u64 s[10:11], s[2:3], s[18:19]
	s_ashr_i32 s3, s23, 31
	s_and_not1_b32 vcc_lo, exec_lo, s24
	s_ashr_i32 s19, s7, 31
	s_cbranch_vccnz .LBB175_9
; %bb.8:
	s_mul_i32 s4, s21, s4
	s_delay_alu instid0(SALU_CYCLE_1) | instskip(NEXT) | instid1(SALU_CYCLE_1)
	s_add_co_i32 s4, s4, ttmp9
	s_mul_i32 s4, s4, s22
	s_delay_alu instid0(SALU_CYCLE_1)
	s_add_co_i32 s17, s4, 1
.LBB175_9:
	s_clause 0x2
	s_load_b32 s4, s[0:1], 0x48
	s_load_b64 s[22:23], s[0:1], 0x38
	s_load_b32 s7, s[0:1], 0x98
	s_mul_i32 s8, s11, s12
	s_xor_b32 s3, s3, s19
	s_sub_co_i32 s2, s2, s8
	s_add_co_i32 s10, s11, 1
	v_lshrrev_b32_e32 v167, 5, v0
	v_dual_mov_b32 v151, 0xff7fffff :: v_dual_and_b32 v68, 31, v0
	s_mul_i32 s26, s26, s14
	s_delay_alu instid0(VALU_DEP_2) | instskip(NEXT) | instid1(VALU_DEP_2)
	v_lshl_add_u32 v69, v167, 5, s34
	v_lshlrev_b32_e32 v35, 2, v68
	s_wait_kmcnt 0x0
	s_mul_i32 s24, s4, s20
	s_wait_alu 0xfffe
	s_sub_co_i32 s4, s2, s12
	s_ashr_i32 s25, s24, 31
	s_cmp_ge_u32 s2, s12
	s_cselect_b32 s8, s10, s11
	s_cselect_b32 s2, s4, s2
	s_add_co_i32 s4, s8, 1
	s_wait_alu 0xfffe
	s_cmp_ge_u32 s2, s12
	s_cselect_b32 s2, s4, s8
	s_add_co_i32 s4, s31, 31
	s_lshl_b32 s37, s30, 4
	s_ashr_i32 s8, s4, 31
	v_add_nc_u32_e32 v70, s37, v167
	s_lshr_b32 s8, s8, 27
	s_delay_alu instid0(SALU_CYCLE_1)
	s_add_co_i32 s4, s4, s8
	s_add_co_i32 s8, s37, 16
	s_ashr_i32 s35, s4, 5
	s_wait_alu 0xfffe
	s_xor_b32 s4, s2, s3
	s_min_i32 s33, s8, s35
	v_lshlrev_b32_e32 v34, 2, v70
	v_cmp_gt_i32_e64 s2, s33, v70
	s_sub_co_i32 s36, s4, s3
	s_and_saveexec_b32 s8, s2
	s_cbranch_execz .LBB175_17
; %bb.10:
	v_mov_b32_e32 v33, 0
	s_ashr_i32 s27, s26, 31
	s_wait_alu 0xfffe
	s_sub_co_i32 s10, s36, s5
	s_lshl_b64 s[28:29], s[26:27], 1
	s_cmp_neq_f32 s15, 0
	ds_load_b128 v[1:4], v33
	ds_load_b128 v[5:8], v33 offset:16
	ds_load_b128 v[9:12], v33 offset:32
	;; [unrolled: 1-line block ×5, first 2 shown]
	s_load_b64 s[38:39], s[0:1], 0x20
	s_mov_b32 s14, s13
	s_cselect_b32 vcc_lo, -1, 0
	s_abs_i32 s11, s6
	v_mov_b32_e32 v168, v70
	s_wait_alu 0xfffe
	s_cvt_f32_u32 s3, s11
	s_sub_co_i32 s4, 0, s11
	v_mov_b32_e32 v151, 0xff7fffff
	s_wait_dscnt 0x5
	v_and_b32_e32 v46, 0xffff0000, v1
	v_lshlrev_b32_e32 v47, 16, v1
	v_and_b32_e32 v48, 0xffff0000, v2
	v_lshlrev_b32_e32 v49, 16, v2
	;; [unrolled: 2-line block ×4, first 2 shown]
	ds_load_b128 v[1:4], v33 offset:96
	s_wait_dscnt 0x4
	v_and_b32_e32 v62, 0xffff0000, v9
	v_lshlrev_b32_e32 v63, 16, v9
	v_and_b32_e32 v64, 0xffff0000, v10
	v_lshlrev_b32_e32 v65, 16, v10
	;; [unrolled: 2-line block ×4, first 2 shown]
	ds_load_b128 v[9:12], v33 offset:160
	v_and_b32_e32 v54, 0xffff0000, v5
	v_lshlrev_b32_e32 v55, 16, v5
	v_and_b32_e32 v56, 0xffff0000, v6
	v_lshlrev_b32_e32 v57, 16, v6
	;; [unrolled: 2-line block ×4, first 2 shown]
	ds_load_b128 v[5:8], v33 offset:112
	s_wait_dscnt 0x5
	v_and_b32_e32 v74, 0xffff0000, v13
	s_wait_dscnt 0x2
	v_and_b32_e32 v86, 0xffff0000, v1
	v_lshlrev_b32_e32 v87, 16, v1
	v_and_b32_e32 v98, 0xffff0000, v2
	v_lshlrev_b32_e32 v99, 16, v2
	;; [unrolled: 2-line block ×4, first 2 shown]
	ds_load_b128 v[1:4], v33 offset:192
	v_lshlrev_b32_e32 v75, 16, v13
	v_and_b32_e32 v76, 0xffff0000, v14
	v_lshlrev_b32_e32 v77, 16, v14
	v_and_b32_e32 v78, 0xffff0000, v15
	v_lshlrev_b32_e32 v79, 16, v15
	v_and_b32_e32 v80, 0xffff0000, v16
	v_lshlrev_b32_e32 v81, 16, v16
	ds_load_b128 v[13:16], v33 offset:176
	s_wait_dscnt 0x3
	v_and_b32_e32 v130, 0xffff0000, v9
	v_lshlrev_b32_e32 v131, 16, v9
	s_wait_alu 0xfffe
	v_rcp_iflag_f32_e32 v9, s3
	ds_load_b128 v[25:28], v33 offset:128
	ds_load_b128 v[29:32], v33 offset:144
	s_wait_dscnt 0x4
	v_and_b32_e32 v88, 0xffff0000, v5
	v_lshlrev_b32_e32 v89, 16, v5
	v_and_b32_e32 v100, 0xffff0000, v6
	v_lshlrev_b32_e32 v101, 16, v6
	;; [unrolled: 2-line block ×4, first 2 shown]
	ds_load_b128 v[5:8], v33 offset:208
	v_readfirstlane_b32 s3, v9
	s_wait_kmcnt 0x0
	s_add_nc_u64 s[28:29], s[38:39], s[28:29]
	s_lshl_b64 s[38:39], s[24:25], 2
	s_wait_dscnt 0x4
	v_and_b32_e32 v150, 0xffff0000, v3
	v_lshlrev_b32_e32 v152, 16, v3
	s_mul_f32 s3, s3, 0x4f7ffffe
	v_lshlrev_b32_e32 v3, 4, v68
	s_add_nc_u64 s[38:39], s[22:23], s[38:39]
	v_and_b32_e32 v146, 0xffff0000, v1
	v_lshlrev_b32_e32 v147, 16, v1
	v_and_b32_e32 v148, 0xffff0000, v2
	v_lshlrev_b32_e32 v149, 16, v2
	s_wait_alu 0xfffe
	s_cvt_u32_f32 s3, s3
	v_subrev_nc_u32_e32 v1, s31, v68
	v_lshl_or_b32 v2, v167, 7, v35
	v_add_co_u32 v41, s27, s38, v34
	s_delay_alu instid0(VALU_DEP_1)
	v_add_co_ci_u32_e64 v42, null, s39, 0, s27
	v_add_co_u32 v165, s27, s28, v3
	s_wait_alu 0xfffe
	s_mul_i32 s4, s4, s3
	v_and_b32_e32 v82, 0xffff0000, v17
	v_lshlrev_b32_e32 v83, 16, v17
	v_and_b32_e32 v84, 0xffff0000, v21
	v_lshlrev_b32_e32 v85, 16, v21
	s_wait_dscnt 0x2
	v_and_b32_e32 v90, 0xffff0000, v25
	v_lshlrev_b32_e32 v91, 16, v25
	s_wait_dscnt 0x1
	v_and_b32_e32 v92, 0xffff0000, v29
	v_lshlrev_b32_e32 v93, 16, v29
	v_and_b32_e32 v94, 0xffff0000, v18
	v_lshlrev_b32_e32 v95, 16, v18
	;; [unrolled: 2-line block ×21, first 2 shown]
	s_wait_dscnt 0x0
	v_and_b32_e32 v155, 0xffff0000, v5
	v_lshlrev_b32_e32 v156, 16, v5
	v_and_b32_e32 v157, 0xffff0000, v6
	v_lshlrev_b32_e32 v158, 16, v6
	;; [unrolled: 2-line block ×4, first 2 shown]
	v_add_nc_u32_e32 v163, 1, v1
	v_add_nc_u32_e32 v164, 0x100, v2
	v_add_co_ci_u32_e64 v166, null, s29, 0, s27
	v_lshl_add_u32 v167, v167, 5, s34
	s_mul_hi_u32 s4, s3, s4
	s_mov_b32 s27, 0
	s_add_co_i32 s28, s3, s4
	s_branch .LBB175_12
.LBB175_11:                             ;   in Loop: Header=BB175_12 Depth=1
	s_wait_alu 0xfffe
	s_or_b32 exec_lo, exec_lo, s4
	v_add_nc_u32_e32 v168, 4, v168
	v_add_co_u32 v41, s4, v41, 16
	s_wait_alu 0xf1ff
	v_add_co_ci_u32_e64 v42, null, 0, v42, s4
	s_delay_alu instid0(VALU_DEP_3)
	v_cmp_le_i32_e64 s3, s33, v168
	v_add_nc_u32_e32 v167, 0x80, v167
	v_add_nc_u32_e32 v164, 0x200, v164
	s_or_b32 s27, s3, s27
	s_wait_alu 0xfffe
	s_and_not1_b32 exec_lo, exec_lo, s27
	s_cbranch_execz .LBB175_16
.LBB175_12:                             ; =>This Inner Loop Header: Depth=1
	v_sub_nc_u32_e32 v1, 0, v167
	s_delay_alu instid0(VALU_DEP_1) | instskip(NEXT) | instid1(VALU_DEP_1)
	v_max_i32_e32 v1, v167, v1
	v_mul_hi_u32 v2, v1, s18
	s_delay_alu instid0(VALU_DEP_1) | instskip(NEXT) | instid1(VALU_DEP_1)
	v_mul_lo_u32 v3, v2, s12
	v_sub_nc_u32_e32 v1, v1, v3
	v_add_nc_u32_e32 v3, 1, v2
	s_delay_alu instid0(VALU_DEP_2) | instskip(SKIP_2) | instid1(VALU_DEP_1)
	v_subrev_nc_u32_e32 v4, s12, v1
	v_cmp_le_u32_e64 s3, s12, v1
	s_wait_alu 0xf1ff
	v_cndmask_b32_e64 v2, v2, v3, s3
	s_delay_alu instid0(VALU_DEP_3) | instskip(SKIP_1) | instid1(VALU_DEP_3)
	v_cndmask_b32_e64 v1, v1, v4, s3
	v_ashrrev_i32_e32 v3, 31, v167
	v_add_nc_u32_e32 v4, 1, v2
	s_delay_alu instid0(VALU_DEP_3) | instskip(NEXT) | instid1(VALU_DEP_3)
	v_cmp_le_u32_e64 s3, s12, v1
	v_xor_b32_e32 v3, s19, v3
	s_wait_alu 0xf1ff
	s_delay_alu instid0(VALU_DEP_2) | instskip(NEXT) | instid1(VALU_DEP_1)
	v_cndmask_b32_e64 v1, v2, v4, s3
	v_xor_b32_e32 v1, v1, v3
	s_delay_alu instid0(VALU_DEP_1) | instskip(NEXT) | instid1(VALU_DEP_1)
	v_sub_nc_u32_e32 v1, v1, v3
	v_add_nc_u32_e32 v2, s17, v1
	v_cmp_ge_i32_e64 s4, s10, v1
	s_delay_alu instid0(VALU_DEP_2) | instskip(NEXT) | instid1(VALU_DEP_1)
	v_sub_nc_u32_e32 v3, 0, v2
	v_max_i32_e32 v3, v2, v3
	v_ashrrev_i32_e32 v2, 31, v2
	s_wait_alu 0xfffe
	s_delay_alu instid0(VALU_DEP_2) | instskip(NEXT) | instid1(VALU_DEP_1)
	v_mul_hi_u32 v4, v3, s28
	v_mul_lo_u32 v4, v4, s11
	s_delay_alu instid0(VALU_DEP_1) | instskip(NEXT) | instid1(VALU_DEP_1)
	v_sub_nc_u32_e32 v3, v3, v4
	v_subrev_nc_u32_e32 v4, s11, v3
	v_cmp_le_u32_e64 s3, s11, v3
	s_wait_alu 0xf1ff
	s_delay_alu instid0(VALU_DEP_1) | instskip(NEXT) | instid1(VALU_DEP_1)
	v_cndmask_b32_e64 v3, v3, v4, s3
	v_subrev_nc_u32_e32 v4, s11, v3
	v_cmp_le_u32_e64 s3, s11, v3
	s_wait_alu 0xf1ff
	s_delay_alu instid0(VALU_DEP_1) | instskip(NEXT) | instid1(VALU_DEP_1)
	v_cndmask_b32_e64 v3, v3, v4, s3
	v_xor_b32_e32 v3, v3, v2
	s_delay_alu instid0(VALU_DEP_1) | instskip(NEXT) | instid1(VALU_DEP_1)
	v_sub_nc_u32_e32 v2, v3, v2
	v_cmp_ne_u32_e64 s3, 0, v2
	s_and_b32 s3, s3, s4
	s_wait_alu 0xfffe
	s_and_saveexec_b32 s4, s3
	s_wait_alu 0xfffe
	s_xor_b32 s3, exec_lo, s4
; %bb.13:                               ;   in Loop: Header=BB175_12 Depth=1
	v_mov_b32_e32 v1, 0xff7fffff
	ds_store_b32 v164, v1
; %bb.14:                               ;   in Loop: Header=BB175_12 Depth=1
	s_wait_alu 0xfffe
	s_and_not1_saveexec_b32 s4, s3
	s_cbranch_execz .LBB175_11
; %bb.15:                               ;   in Loop: Header=BB175_12 Depth=1
	global_load_b32 v1, v[41:42], off
	v_add_nc_u32_e32 v3, v68, v167
	s_wait_loadcnt 0x0
	v_mad_co_i64_i32 v[1:2], null, v1, s14, 0
	s_delay_alu instid0(VALU_DEP_1) | instskip(NEXT) | instid1(VALU_DEP_1)
	v_lshlrev_b64_e32 v[1:2], 1, v[1:2]
	v_add_co_u32 v184, s3, v165, v1
	v_add_nc_u32_e32 v1, v163, v167
	s_wait_alu 0xf1ff
	s_delay_alu instid0(VALU_DEP_3) | instskip(SKIP_1) | instid1(VALU_DEP_3)
	v_add_co_ci_u32_e64 v185, null, v166, v2, s3
	v_cmp_gt_i32_e64 s3, s31, v3
	v_cvt_f32_i32_e32 v1, v1
	s_delay_alu instid0(VALU_DEP_1) | instskip(NEXT) | instid1(VALU_DEP_1)
	v_mul_f32_e32 v1, s15, v1
	v_cndmask_b32_e32 v169, 0, v1, vcc_lo
	s_clause 0x1
	global_load_b128 v[1:4], v[184:185], off
	global_load_b128 v[5:8], v[184:185], off offset:512
	s_wait_loadcnt 0x0
	v_and_b32_e32 v10, 0xffff0000, v5
	s_delay_alu instid0(VALU_DEP_1) | instskip(NEXT) | instid1(VALU_DEP_1)
	v_dual_mul_f32 v172, v54, v10 :: v_dual_lshlrev_b32 v5, 16, v5
	v_mul_f32_e32 v171, v55, v5
	v_and_b32_e32 v5, 0xffff0000, v6
	v_lshlrev_b32_e32 v6, 16, v6
	s_delay_alu instid0(VALU_DEP_2) | instskip(SKIP_1) | instid1(VALU_DEP_3)
	v_mul_f32_e32 v170, v56, v5
	v_lshlrev_b32_e32 v9, 16, v1
	v_dual_mul_f32 v174, v57, v6 :: v_dual_and_b32 v1, 0xffff0000, v1
	s_delay_alu instid0(VALU_DEP_1) | instskip(SKIP_1) | instid1(VALU_DEP_2)
	v_dual_fmac_f32 v172, v46, v1 :: v_dual_lshlrev_b32 v5, 16, v7
	v_lshlrev_b32_e32 v1, 16, v2
	v_dual_mul_f32 v175, v59, v5 :: v_dual_and_b32 v2, 0xffff0000, v2
	s_delay_alu instid0(VALU_DEP_2) | instskip(NEXT) | instid1(VALU_DEP_2)
	v_dual_fmac_f32 v174, v49, v1 :: v_dual_lshlrev_b32 v1, 16, v3
	v_fmac_f32_e32 v170, v48, v2
	v_and_b32_e32 v2, 0xffff0000, v3
	v_and_b32_e32 v3, 0xffff0000, v7
	v_fmac_f32_e32 v171, v47, v9
	v_fmac_f32_e32 v175, v51, v1
	v_lshlrev_b32_e32 v1, 16, v4
	s_delay_alu instid0(VALU_DEP_4) | instskip(SKIP_1) | instid1(VALU_DEP_2)
	v_mul_f32_e32 v173, v58, v3
	v_and_b32_e32 v3, 0xffff0000, v8
	v_dual_fmac_f32 v173, v50, v2 :: v_dual_and_b32 v2, 0xffff0000, v4
	v_lshlrev_b32_e32 v4, 16, v8
	s_delay_alu instid0(VALU_DEP_1) | instskip(NEXT) | instid1(VALU_DEP_1)
	v_dual_mul_f32 v176, v60, v3 :: v_dual_mul_f32 v177, v61, v4
	v_dual_fmac_f32 v176, v52, v2 :: v_dual_fmac_f32 v177, v53, v1
	global_load_b128 v[1:4], v[184:185], off offset:1024
	s_wait_loadcnt 0x0
	v_and_b32_e32 v186, 0xffff0000, v1
	v_and_b32_e32 v188, 0xffff0000, v2
	v_lshlrev_b32_e32 v187, 16, v1
	v_lshlrev_b32_e32 v189, 16, v2
	v_and_b32_e32 v182, 0xffff0000, v3
	v_lshlrev_b32_e32 v183, 16, v3
	v_and_b32_e32 v178, 0xffff0000, v4
	v_lshlrev_b32_e32 v179, 16, v4
	global_load_b128 v[1:4], v[184:185], off offset:1536
	v_fmac_f32_e32 v170, v64, v188
	v_dual_fmac_f32 v172, v62, v186 :: v_dual_fmac_f32 v171, v63, v187
	v_fmac_f32_e32 v176, v72, v178
	s_wait_loadcnt 0x0
	v_dual_fmac_f32 v173, v66, v182 :: v_dual_lshlrev_b32 v190, 16, v1
	v_and_b32_e32 v43, 0xffff0000, v2
	v_and_b32_e32 v191, 0xffff0000, v1
	v_lshlrev_b32_e32 v45, 16, v3
	v_and_b32_e32 v67, 0xffff0000, v3
	v_dual_fmac_f32 v171, v75, v190 :: v_dual_lshlrev_b32 v180, 16, v4
	v_lshlrev_b32_e32 v44, 16, v2
	v_and_b32_e32 v181, 0xffff0000, v4
	s_clause 0x9
	global_load_b128 v[37:40], v[184:185], off offset:2048
	global_load_b128 v[33:36], v[184:185], off offset:2560
	;; [unrolled: 1-line block ×10, first 2 shown]
	v_fmac_f32_e32 v170, v76, v43
	v_fmac_f32_e32 v172, v74, v191
	s_wait_loadcnt 0x9
	v_and_b32_e32 v184, 0xffff0000, v37
	s_delay_alu instid0(VALU_DEP_1) | instskip(NEXT) | instid1(VALU_DEP_1)
	v_dual_fmac_f32 v172, v82, v184 :: v_dual_lshlrev_b32 v37, 16, v37
	v_fmac_f32_e32 v171, v83, v37
	s_wait_loadcnt 0x8
	v_lshlrev_b32_e32 v37, 16, v33
	v_and_b32_e32 v33, 0xffff0000, v33
	s_delay_alu instid0(VALU_DEP_2) | instskip(NEXT) | instid1(VALU_DEP_2)
	v_fmac_f32_e32 v171, v85, v37
	v_fmac_f32_e32 v172, v84, v33
	s_wait_loadcnt 0x7
	v_and_b32_e32 v33, 0xffff0000, v29
	v_lshlrev_b32_e32 v29, 16, v29
	s_delay_alu instid0(VALU_DEP_2) | instskip(NEXT) | instid1(VALU_DEP_2)
	v_fmac_f32_e32 v172, v86, v33
	v_fmac_f32_e32 v171, v87, v29
	s_wait_loadcnt 0x6
	v_lshlrev_b32_e32 v29, 16, v25
	v_and_b32_e32 v25, 0xffff0000, v25
	v_fmac_f32_e32 v174, v65, v189
	s_delay_alu instid0(VALU_DEP_3) | instskip(NEXT) | instid1(VALU_DEP_3)
	v_fmac_f32_e32 v171, v89, v29
	v_fmac_f32_e32 v172, v88, v25
	s_wait_loadcnt 0x5
	v_and_b32_e32 v25, 0xffff0000, v21
	v_lshlrev_b32_e32 v21, 16, v21
	s_delay_alu instid0(VALU_DEP_2) | instskip(NEXT) | instid1(VALU_DEP_2)
	v_dual_fmac_f32 v175, v71, v183 :: v_dual_fmac_f32 v172, v90, v25
	v_fmac_f32_e32 v171, v91, v21
	s_wait_loadcnt 0x4
	v_lshlrev_b32_e32 v21, 16, v17
	v_and_b32_e32 v17, 0xffff0000, v17
	v_fmac_f32_e32 v177, v73, v179
	s_delay_alu instid0(VALU_DEP_3) | instskip(NEXT) | instid1(VALU_DEP_3)
	v_fmac_f32_e32 v171, v93, v21
	v_fmac_f32_e32 v172, v92, v17
	s_wait_loadcnt 0x3
	v_and_b32_e32 v17, 0xffff0000, v13
	v_lshlrev_b32_e32 v13, 16, v13
	s_delay_alu instid0(VALU_DEP_2) | instskip(NEXT) | instid1(VALU_DEP_2)
	v_dual_fmac_f32 v177, v81, v180 :: v_dual_fmac_f32 v172, v130, v17
	v_fmac_f32_e32 v171, v131, v13
	s_wait_loadcnt 0x2
	v_lshlrev_b32_e32 v13, 16, v9
	v_and_b32_e32 v9, 0xffff0000, v9
	v_fmac_f32_e32 v175, v79, v45
	s_delay_alu instid0(VALU_DEP_3) | instskip(NEXT) | instid1(VALU_DEP_3)
	v_fmac_f32_e32 v171, v139, v13
	v_fmac_f32_e32 v172, v138, v9
	s_wait_loadcnt 0x1
	v_and_b32_e32 v9, 0xffff0000, v5
	v_lshlrev_b32_e32 v5, 16, v5
	s_delay_alu instid0(VALU_DEP_2) | instskip(NEXT) | instid1(VALU_DEP_2)
	v_fmac_f32_e32 v172, v146, v9
	v_fmac_f32_e32 v171, v147, v5
	s_wait_loadcnt 0x0
	v_lshlrev_b32_e32 v5, 16, v1
	v_and_b32_e32 v1, 0xffff0000, v1
	v_dual_fmac_f32 v173, v78, v67 :: v_dual_fmac_f32 v176, v80, v181
	s_delay_alu instid0(VALU_DEP_3) | instskip(NEXT) | instid1(VALU_DEP_3)
	v_fmac_f32_e32 v171, v156, v5
	v_dual_fmac_f32 v172, v155, v1 :: v_dual_and_b32 v1, 0xffff0000, v38
	v_dual_fmac_f32 v174, v77, v44 :: v_dual_lshlrev_b32 v5, 16, v38
	s_delay_alu instid0(VALU_DEP_2) | instskip(NEXT) | instid1(VALU_DEP_2)
	v_dual_fmac_f32 v170, v94, v1 :: v_dual_lshlrev_b32 v1, 16, v34
	v_dual_fmac_f32 v174, v95, v5 :: v_dual_and_b32 v5, 0xffff0000, v34
	s_delay_alu instid0(VALU_DEP_1) | instskip(NEXT) | instid1(VALU_DEP_2)
	v_fmac_f32_e32 v174, v97, v1
	v_dual_fmac_f32 v170, v96, v5 :: v_dual_and_b32 v1, 0xffff0000, v30
	s_delay_alu instid0(VALU_DEP_1) | instskip(NEXT) | instid1(VALU_DEP_1)
	v_dual_fmac_f32 v170, v98, v1 :: v_dual_lshlrev_b32 v5, 16, v30
	v_dual_fmac_f32 v174, v99, v5 :: v_dual_lshlrev_b32 v1, 16, v26
	s_delay_alu instid0(VALU_DEP_1) | instskip(NEXT) | instid1(VALU_DEP_1)
	v_dual_fmac_f32 v174, v101, v1 :: v_dual_and_b32 v5, 0xffff0000, v26
	v_dual_fmac_f32 v170, v100, v5 :: v_dual_and_b32 v1, 0xffff0000, v22
	s_delay_alu instid0(VALU_DEP_1) | instskip(NEXT) | instid1(VALU_DEP_1)
	v_dual_fmac_f32 v170, v102, v1 :: v_dual_lshlrev_b32 v5, 16, v22
	v_dual_fmac_f32 v174, v103, v5 :: v_dual_lshlrev_b32 v1, 16, v18
	s_delay_alu instid0(VALU_DEP_1) | instskip(NEXT) | instid1(VALU_DEP_1)
	v_dual_fmac_f32 v174, v105, v1 :: v_dual_and_b32 v5, 0xffff0000, v18
	;; [unrolled: 6-line block ×3, first 2 shown]
	v_dual_fmac_f32 v170, v140, v5 :: v_dual_and_b32 v1, 0xffff0000, v6
	s_delay_alu instid0(VALU_DEP_1) | instskip(NEXT) | instid1(VALU_DEP_1)
	v_dual_fmac_f32 v170, v148, v1 :: v_dual_lshlrev_b32 v5, 16, v6
	v_dual_fmac_f32 v174, v149, v5 :: v_dual_lshlrev_b32 v1, 16, v2
	v_and_b32_e32 v2, 0xffff0000, v2
	s_delay_alu instid0(VALU_DEP_2) | instskip(NEXT) | instid1(VALU_DEP_2)
	v_dual_fmac_f32 v174, v158, v1 :: v_dual_and_b32 v1, 0xffff0000, v39
	v_fmac_f32_e32 v170, v157, v2
	s_delay_alu instid0(VALU_DEP_2) | instskip(SKIP_1) | instid1(VALU_DEP_2)
	v_dual_fmac_f32 v173, v106, v1 :: v_dual_lshlrev_b32 v2, 16, v39
	v_lshlrev_b32_e32 v1, 16, v35
	v_dual_fmac_f32 v175, v107, v2 :: v_dual_and_b32 v2, 0xffff0000, v35
	s_delay_alu instid0(VALU_DEP_1) | instskip(NEXT) | instid1(VALU_DEP_2)
	v_fmac_f32_e32 v175, v109, v1
	v_fmac_f32_e32 v173, v108, v2
	v_and_b32_e32 v1, 0xffff0000, v31
	s_delay_alu instid0(VALU_DEP_1) | instskip(NEXT) | instid1(VALU_DEP_1)
	v_dual_fmac_f32 v173, v110, v1 :: v_dual_lshlrev_b32 v2, 16, v31
	v_fmac_f32_e32 v175, v113, v2
	v_lshlrev_b32_e32 v1, 16, v27
	s_delay_alu instid0(VALU_DEP_1) | instskip(NEXT) | instid1(VALU_DEP_1)
	v_dual_fmac_f32 v175, v117, v1 :: v_dual_and_b32 v2, 0xffff0000, v27
	v_fmac_f32_e32 v173, v114, v2
	v_and_b32_e32 v1, 0xffff0000, v23
	s_delay_alu instid0(VALU_DEP_1) | instskip(NEXT) | instid1(VALU_DEP_1)
	v_dual_fmac_f32 v173, v118, v1 :: v_dual_lshlrev_b32 v2, 16, v23
	v_fmac_f32_e32 v175, v121, v2
	v_lshlrev_b32_e32 v1, 16, v19
	s_delay_alu instid0(VALU_DEP_1) | instskip(NEXT) | instid1(VALU_DEP_1)
	v_dual_fmac_f32 v175, v125, v1 :: v_dual_and_b32 v2, 0xffff0000, v19
	;; [unrolled: 8-line block ×4, first 2 shown]
	v_fmac_f32_e32 v173, v159, v2
	v_and_b32_e32 v1, 0xffff0000, v40
	v_lshlrev_b32_e32 v2, 16, v40
	s_delay_alu instid0(VALU_DEP_1) | instskip(SKIP_1) | instid1(VALU_DEP_1)
	v_dual_fmac_f32 v176, v111, v1 :: v_dual_fmac_f32 v177, v112, v2
	v_lshlrev_b32_e32 v1, 16, v36
	v_dual_fmac_f32 v177, v116, v1 :: v_dual_and_b32 v2, 0xffff0000, v36
	s_delay_alu instid0(VALU_DEP_1) | instskip(SKIP_1) | instid1(VALU_DEP_1)
	v_dual_fmac_f32 v176, v115, v2 :: v_dual_and_b32 v1, 0xffff0000, v32
	v_lshlrev_b32_e32 v2, 16, v32
	v_dual_fmac_f32 v176, v119, v1 :: v_dual_fmac_f32 v177, v120, v2
	v_lshlrev_b32_e32 v1, 16, v28
	s_delay_alu instid0(VALU_DEP_1) | instskip(NEXT) | instid1(VALU_DEP_1)
	v_dual_fmac_f32 v177, v124, v1 :: v_dual_and_b32 v2, 0xffff0000, v28
	v_dual_fmac_f32 v176, v123, v2 :: v_dual_and_b32 v1, 0xffff0000, v24
	v_lshlrev_b32_e32 v2, 16, v24
	s_delay_alu instid0(VALU_DEP_1) | instskip(SKIP_1) | instid1(VALU_DEP_1)
	v_dual_fmac_f32 v176, v126, v1 :: v_dual_fmac_f32 v177, v127, v2
	v_lshlrev_b32_e32 v1, 16, v20
	v_dual_fmac_f32 v177, v129, v1 :: v_dual_and_b32 v2, 0xffff0000, v20
	s_delay_alu instid0(VALU_DEP_1) | instskip(SKIP_1) | instid1(VALU_DEP_1)
	v_dual_fmac_f32 v176, v128, v2 :: v_dual_and_b32 v1, 0xffff0000, v16
	v_lshlrev_b32_e32 v2, 16, v16
	v_dual_fmac_f32 v176, v136, v1 :: v_dual_fmac_f32 v177, v137, v2
	v_lshlrev_b32_e32 v1, 16, v12
	s_delay_alu instid0(VALU_DEP_1) | instskip(NEXT) | instid1(VALU_DEP_1)
	v_dual_fmac_f32 v177, v145, v1 :: v_dual_and_b32 v2, 0xffff0000, v12
	v_dual_fmac_f32 v176, v144, v2 :: v_dual_and_b32 v1, 0xffff0000, v8
	v_lshlrev_b32_e32 v2, 16, v8
	s_delay_alu instid0(VALU_DEP_1) | instskip(SKIP_1) | instid1(VALU_DEP_1)
	v_dual_fmac_f32 v176, v153, v1 :: v_dual_fmac_f32 v177, v154, v2
	v_lshlrev_b32_e32 v1, 16, v4
	v_dual_fmac_f32 v177, v162, v1 :: v_dual_and_b32 v2, 0xffff0000, v4
	s_delay_alu instid0(VALU_DEP_1) | instskip(NEXT) | instid1(VALU_DEP_1)
	v_dual_add_f32 v1, v171, v172 :: v_dual_fmac_f32 v176, v161, v2
	v_dual_max_num_f32 v2, v151, v151 :: v_dual_add_f32 v1, v1, v174
	s_delay_alu instid0(VALU_DEP_1) | instskip(NEXT) | instid1(VALU_DEP_1)
	v_add_f32_e32 v1, v170, v1
	v_add_f32_e32 v1, v175, v1
	s_delay_alu instid0(VALU_DEP_1) | instskip(NEXT) | instid1(VALU_DEP_1)
	v_add_f32_e32 v1, v173, v1
	v_add_f32_e32 v1, v177, v1
	s_delay_alu instid0(VALU_DEP_1) | instskip(NEXT) | instid1(VALU_DEP_1)
	v_add_f32_e32 v1, v176, v1
	v_fmac_f32_e32 v169, s9, v1
	s_delay_alu instid0(VALU_DEP_1) | instskip(SKIP_2) | instid1(VALU_DEP_2)
	v_max_num_f32_e32 v2, v2, v169
	s_wait_alu 0xf1ff
	v_cndmask_b32_e64 v1, 0, v169, s3
	v_cndmask_b32_e64 v151, v151, v2, s3
	ds_store_b32 v164, v1
	s_branch .LBB175_11
.LBB175_16:
	s_or_b32 exec_lo, exec_lo, s27
	v_lshrrev_b32_e32 v167, 5, v0
	v_lshlrev_b32_e32 v11, 4, v0
	v_lshlrev_b32_e32 v34, 2, v70
	v_lshlrev_b32_e32 v35, 2, v68
.LBB175_17:
	s_or_b32 exec_lo, exec_lo, s8
	v_mbcnt_lo_u32_b32 v1, -1, 0
	s_clause 0x2
	s_load_b128 s[8:11], s[0:1], 0x0
	s_load_b64 s[14:15], s[0:1], 0x10
	s_load_b64 s[28:29], s[0:1], 0x28
	v_max_num_f32_e32 v5, v151, v151
	v_xor_b32_e32 v2, 16, v1
	v_xor_b32_e32 v4, 8, v1
	s_delay_alu instid0(VALU_DEP_2) | instskip(SKIP_2) | instid1(VALU_DEP_3)
	v_cmp_gt_i32_e32 vcc_lo, 32, v2
	s_wait_alu 0xfffd
	v_cndmask_b32_e32 v2, v1, v2, vcc_lo
	v_cmp_gt_i32_e32 vcc_lo, 32, v4
	s_delay_alu instid0(VALU_DEP_2)
	v_lshlrev_b32_e32 v2, 2, v2
	s_wait_alu 0xfffd
	v_cndmask_b32_e32 v4, v1, v4, vcc_lo
	ds_bpermute_b32 v3, v2, v151
	s_wait_dscnt 0x0
	v_dual_max_num_f32 v6, v3, v3 :: v_dual_lshlrev_b32 v3, 2, v4
	s_delay_alu instid0(VALU_DEP_1)
	v_max_num_f32_e32 v4, v5, v6
	v_xor_b32_e32 v6, 4, v1
	ds_bpermute_b32 v5, v3, v4
	v_cmp_gt_i32_e32 vcc_lo, 32, v6
	s_wait_alu 0xfffd
	v_cndmask_b32_e32 v6, v1, v6, vcc_lo
	s_wait_dscnt 0x0
	v_max_num_f32_e32 v7, v5, v5
	s_delay_alu instid0(VALU_DEP_1)
	v_dual_max_num_f32 v4, v4, v7 :: v_dual_lshlrev_b32 v5, 2, v6
	v_xor_b32_e32 v7, 2, v1
	ds_bpermute_b32 v6, v5, v4
	v_cmp_gt_i32_e32 vcc_lo, 32, v7
	s_wait_dscnt 0x0
	s_wait_alu 0xfffd
	v_dual_cndmask_b32 v7, v1, v7 :: v_dual_max_num_f32 v6, v6, v6
	s_delay_alu instid0(VALU_DEP_1) | instskip(NEXT) | instid1(VALU_DEP_2)
	v_max_num_f32_e32 v4, v4, v6
	v_lshlrev_b32_e32 v72, 2, v7
	v_xor_b32_e32 v7, 1, v1
	s_delay_alu instid0(VALU_DEP_1)
	v_cmp_gt_i32_e32 vcc_lo, 32, v7
	s_wait_alu 0xfffd
	v_cndmask_b32_e32 v7, v1, v7, vcc_lo
	ds_bpermute_b32 v6, v72, v4
	v_cmp_eq_u32_e32 vcc_lo, 0, v68
	s_wait_dscnt 0x0
	v_dual_max_num_f32 v6, v6, v6 :: v_dual_lshlrev_b32 v71, 2, v7
	s_delay_alu instid0(VALU_DEP_1)
	v_dual_max_num_f32 v1, v4, v6 :: v_dual_lshlrev_b32 v6, 2, v167
	ds_bpermute_b32 v4, v71, v1
	s_and_saveexec_b32 s0, vcc_lo
	s_cbranch_execz .LBB175_19
; %bb.18:
	s_wait_dscnt 0x0
	v_dual_max_num_f32 v4, v4, v4 :: v_dual_max_num_f32 v1, v1, v1
	s_delay_alu instid0(VALU_DEP_1)
	v_max_num_f32_e32 v1, v1, v4
	ds_store_b32 v6, v1 offset:224
.LBB175_19:
	s_or_b32 exec_lo, exec_lo, s0
	v_cmp_gt_u32_e64 s0, 4, v68
	v_mov_b32_e32 v1, 0xff7fffff
	s_wait_loadcnt_dscnt 0x0
	s_barrier_signal -1
	s_barrier_wait -1
	global_inv scope:SCOPE_SE
	s_and_saveexec_b32 s1, s0
; %bb.20:
	ds_load_b32 v1, v35 offset:224
; %bb.21:
	s_or_b32 exec_lo, exec_lo, s1
	s_wait_dscnt 0x0
	ds_bpermute_b32 v4, v72, v1
	v_max_num_f32_e32 v1, v1, v1
	s_sub_co_i32 s1, s33, s37
	v_mov_b32_e32 v7, 0
	s_lshl_b32 s1, s1, 5
	s_delay_alu instid0(SALU_CYCLE_1) | instskip(NEXT) | instid1(SALU_CYCLE_1)
	s_add_co_i32 s1, s1, s34
	s_min_i32 s1, s1, s31
	s_delay_alu instid0(SALU_CYCLE_1) | instskip(SKIP_4) | instid1(VALU_DEP_1)
	s_sub_co_i32 s4, s1, s34
	s_wait_alu 0xfffe
	v_cmp_gt_i32_e64 s1, s4, v0
	s_wait_dscnt 0x0
	v_max_num_f32_e32 v4, v4, v4
	v_max_num_f32_e32 v1, v1, v4
	ds_bpermute_b32 v4, v71, v1
	s_wait_dscnt 0x0
	v_max_num_f32_e32 v4, v4, v4
	s_delay_alu instid0(VALU_DEP_1)
	v_max_num_f32_e32 v1, v1, v4
	v_lshl_add_u32 v4, v0, 2, 0x100
	ds_bpermute_b32 v1, v7, v1
	s_and_saveexec_b32 s27, s1
	s_cbranch_execz .LBB175_25
; %bb.22:
	v_lshl_add_u32 v8, v0, 2, 0x100
	v_mov_b32_e32 v7, 0
	v_mov_b32_e32 v9, v0
	s_mov_b32 s34, 0
.LBB175_23:                             ; =>This Inner Loop Header: Depth=1
	ds_load_b32 v10, v8
	v_add_nc_u32_e32 v9, 0x80, v9
	s_delay_alu instid0(VALU_DEP_1) | instskip(SKIP_4) | instid1(VALU_DEP_1)
	v_cmp_le_i32_e64 s3, s4, v9
	s_wait_alu 0xfffe
	s_or_b32 s34, s3, s34
	s_wait_dscnt 0x0
	v_sub_f32_e32 v10, v10, v1
	v_mul_f32_e32 v10, 0x3fb8aa3b, v10
	s_delay_alu instid0(VALU_DEP_1)
	v_exp_f32_e32 v10, v10
	ds_store_b32 v8, v10
	v_dual_add_f32 v7, v7, v10 :: v_dual_add_nc_u32 v8, 0x200, v8
	s_wait_alu 0xfffe
	s_and_not1_b32 exec_lo, exec_lo, s34
	s_cbranch_execnz .LBB175_23
; %bb.24:
	s_or_b32 exec_lo, exec_lo, s34
.LBB175_25:
	s_wait_alu 0xfffe
	s_or_b32 exec_lo, exec_lo, s27
	ds_bpermute_b32 v2, v2, v7
	s_wait_dscnt 0x0
	v_add_f32_e32 v2, v7, v2
	ds_bpermute_b32 v3, v3, v2
	s_wait_dscnt 0x0
	v_add_f32_e32 v2, v2, v3
	;; [unrolled: 3-line block ×5, first 2 shown]
	s_and_saveexec_b32 s3, vcc_lo
; %bb.26:
	ds_store_b32 v6, v2 offset:240
; %bb.27:
	s_wait_alu 0xfffe
	s_or_b32 exec_lo, exec_lo, s3
	s_wait_loadcnt_dscnt 0x0
	s_barrier_signal -1
	s_barrier_wait -1
	global_inv scope:SCOPE_SE
	s_and_saveexec_b32 s3, s0
; %bb.28:
	ds_load_b32 v2, v35 offset:240
; %bb.29:
	s_wait_alu 0xfffe
	s_or_b32 exec_lo, exec_lo, s3
	s_wait_dscnt 0x0
	ds_bpermute_b32 v3, v72, v2
	s_wait_dscnt 0x0
	v_add_f32_e32 v2, v2, v3
	ds_bpermute_b32 v3, v71, v2
	s_wait_dscnt 0x0
	v_dual_add_f32 v2, v2, v3 :: v_dual_mov_b32 v3, 0
	ds_bpermute_b32 v2, v3, v2
	s_and_saveexec_b32 s0, s1
	s_cbranch_execz .LBB175_32
; %bb.30:
	s_wait_dscnt 0x0
	v_add_f32_e32 v3, 0x358637bd, v2
	s_mov_b32 s1, 0
	s_delay_alu instid0(VALU_DEP_1) | instskip(SKIP_1) | instid1(VALU_DEP_2)
	v_div_scale_f32 v5, null, v3, v3, 1.0
	v_div_scale_f32 v8, vcc_lo, 1.0, v3, 1.0
	v_rcp_f32_e32 v6, v5
	s_delay_alu instid0(TRANS32_DEP_1) | instskip(NEXT) | instid1(VALU_DEP_1)
	v_fma_f32 v7, -v5, v6, 1.0
	v_fmac_f32_e32 v6, v7, v6
	s_delay_alu instid0(VALU_DEP_1) | instskip(NEXT) | instid1(VALU_DEP_1)
	v_mul_f32_e32 v7, v8, v6
	v_fma_f32 v9, -v5, v7, v8
	s_delay_alu instid0(VALU_DEP_1) | instskip(NEXT) | instid1(VALU_DEP_1)
	v_fmac_f32_e32 v7, v9, v6
	v_fma_f32 v5, -v5, v7, v8
	s_wait_alu 0xfffd
	s_delay_alu instid0(VALU_DEP_1) | instskip(NEXT) | instid1(VALU_DEP_1)
	v_div_fmas_f32 v5, v5, v6, v7
	v_div_fixup_f32 v3, v5, v3, 1.0
	v_mov_b32_e32 v5, v0
.LBB175_31:                             ; =>This Inner Loop Header: Depth=1
	ds_load_b32 v6, v4
	s_wait_dscnt 0x0
	v_dual_mul_f32 v6, v3, v6 :: v_dual_add_nc_u32 v5, 0x80, v5
	s_delay_alu instid0(VALU_DEP_1) | instskip(SKIP_3) | instid1(SALU_CYCLE_1)
	v_cmp_le_i32_e32 vcc_lo, s4, v5
	ds_store_b32 v4, v6
	v_add_nc_u32_e32 v4, 0x200, v4
	s_or_b32 s1, vcc_lo, s1
	s_and_not1_b32 exec_lo, exec_lo, s1
	s_cbranch_execnz .LBB175_31
.LBB175_32:
	s_or_b32 exec_lo, exec_lo, s0
	s_mul_i32 s0, s7, s20
	s_wait_loadcnt_dscnt 0x0
	s_mul_i32 s20, s0, s21
	s_mov_b32 s0, exec_lo
	s_barrier_signal -1
	s_barrier_wait -1
	global_inv scope:SCOPE_SE
	v_cmpx_eq_u32_e32 0, v0
	s_cbranch_execz .LBB175_34
; %bb.33:
	s_ashr_i32 s21, s20, 31
	s_mul_i32 s38, s7, ttmp9
	s_lshl_b32 s1, s30, 2
	s_lshl_b64 s[40:41], s[20:21], 2
	s_wait_alu 0xfffe
	s_ashr_i32 s39, s38, 31
	v_mov_b32_e32 v3, s1
	s_wait_kmcnt 0x0
	s_add_nc_u64 s[10:11], s[10:11], s[40:41]
	s_wait_alu 0xfffe
	s_lshl_b64 s[38:39], s[38:39], 2
	s_add_nc_u64 s[8:9], s[8:9], s[40:41]
	s_wait_alu 0xfffe
	s_add_nc_u64 s[10:11], s[10:11], s[38:39]
	s_add_nc_u64 s[8:9], s[8:9], s[38:39]
	s_clause 0x1
	global_store_b32 v3, v1, s[10:11]
	global_store_b32 v3, v2, s[8:9]
.LBB175_34:
	s_or_b32 exec_lo, exec_lo, s0
	v_dual_mov_b32 v86, 0 :: v_dual_and_b32 v73, 3, v0
	v_dual_mov_b32 v87, 0 :: v_dual_mov_b32 v84, 0
	v_dual_mov_b32 v85, 0 :: v_dual_mov_b32 v82, 0
	;; [unrolled: 1-line block ×6, first 2 shown]
	v_mov_b32_e32 v75, 0
	s_and_saveexec_b32 s1, s2
	s_cbranch_execz .LBB175_68
; %bb.35:
	s_abs_i32 s2, s6
	s_ashr_i32 s27, s26, 31
	s_wait_alu 0xfffe
	s_cvt_f32_u32 s0, s2
	v_dual_mov_b32 v74, 0 :: v_dual_and_b32 v3, 0x1f0, v11
	s_wait_kmcnt 0x0
	s_lshl_b64 s[8:9], s[24:25], 2
	s_wait_alu 0xfffe
	v_rcp_iflag_f32_e32 v1, s0
	s_lshl_b64 s[10:11], s[26:27], 1
	v_dual_mov_b32 v75, 0 :: v_dual_lshlrev_b32 v2, 3, v0
	s_add_nc_u64 s[8:9], s[22:23], s[8:9]
	s_wait_alu 0xfffe
	s_add_nc_u64 s[10:11], s[28:29], s[10:11]
	s_mov_b32 s4, s13
	s_sub_co_i32 s13, 0, s2
	s_wait_alu 0xfffe
	v_add_co_u32 v89, s10, s10, v3
	v_readfirstlane_b32 s0, v1
	v_dual_mov_b32 v76, 0 :: v_dual_lshlrev_b32 v1, 5, v73
	v_add_co_u32 v65, s8, s8, v34
	s_mul_f32 s0, s0, 0x4f7ffffe
	v_lshl_or_b32 v1, v167, 7, v1
	v_dual_mov_b32 v77, 0 :: v_dual_and_b32 v88, 24, v2
	s_wait_alu 0xfffe
	s_cvt_u32_f32 s0, s0
	v_add_co_ci_u32_e64 v90, null, s11, 0, s10
	v_add_co_ci_u32_e64 v66, null, s9, 0, s8
	s_wait_alu 0xfffe
	s_mul_i32 s13, s13, s0
	v_dual_mov_b32 v78, 0 :: v_dual_add_nc_u32 v91, 0x100, v1
	v_dual_mov_b32 v79, 0 :: v_dual_mov_b32 v80, 0
	v_dual_mov_b32 v81, 0 :: v_dual_mov_b32 v82, 0
	;; [unrolled: 1-line block ×4, first 2 shown]
	v_mov_b32_e32 v87, 0
	s_wait_alu 0xfffe
	s_mul_hi_u32 s9, s0, s13
	s_sub_co_i32 s3, s36, s5
	s_add_co_i32 s5, s35, -1
	s_mov_b32 s6, 0
	s_mov_b32 s8, s31
	s_wait_alu 0xfffe
	s_add_co_i32 s9, s0, s9
	s_branch .LBB175_38
.LBB175_36:                             ;   in Loop: Header=BB175_38 Depth=1
	s_wait_alu 0xfffe
	s_or_b32 exec_lo, exec_lo, s0
	s_wait_dscnt 0x1
	v_bfe_u32 v67, v45, 16, 1
	v_or_b32_e32 v92, 0x400000, v45
	v_bfe_u32 v93, v46, 16, 1
	v_cmp_u_f32_e32 vcc_lo, v45, v45
	v_bfe_u32 v94, v47, 16, 1
	v_add3_u32 v67, v67, v45, 0x7fff
	v_or_b32_e32 v95, 0x400000, v46
	v_add3_u32 v93, v93, v46, 0x7fff
	v_or_b32_e32 v96, 0x400000, v47
	v_add3_u32 v94, v94, v47, 0x7fff
	s_wait_alu 0xfffd
	v_cndmask_b32_e32 v45, v67, v92, vcc_lo
	v_cmp_u_f32_e32 vcc_lo, v46, v46
	v_bfe_u32 v67, v48, 16, 1
	s_wait_dscnt 0x0
	v_bfe_u32 v92, v41, 16, 1
	s_wait_loadcnt 0x1
	v_and_b32_e32 v98, 0xffff0000, v64
	s_wait_alu 0xfffd
	v_cndmask_b32_e32 v46, v93, v95, vcc_lo
	v_cmp_u_f32_e32 vcc_lo, v47, v47
	v_add3_u32 v67, v67, v48, 0x7fff
	v_or_b32_e32 v93, 0x400000, v48
	v_add3_u32 v92, v92, v41, 0x7fff
	v_bfe_u32 v95, v42, 16, 1
	s_wait_alu 0xfffd
	v_cndmask_b32_e32 v47, v94, v96, vcc_lo
	v_cmp_u_f32_e32 vcc_lo, v48, v48
	v_or_b32_e32 v94, 0x400000, v41
	s_wait_alu 0xfffd
	v_cndmask_b32_e32 v48, v67, v93, vcc_lo
	v_cmp_u_f32_e32 vcc_lo, v41, v41
	v_or_b32_e32 v93, 0x400000, v42
	v_and_b32_e32 v47, 0xffff0000, v47
	s_wait_alu 0xfffd
	v_cndmask_b32_e32 v67, v92, v94, vcc_lo
	v_add3_u32 v92, v95, v42, 0x7fff
	v_bfe_u32 v94, v43, 16, 1
	v_cmp_u_f32_e32 vcc_lo, v42, v42
	v_and_b32_e32 v41, 0xffff0000, v46
	v_and_b32_e32 v46, 0xffff0000, v61
	s_delay_alu instid0(VALU_DEP_4)
	v_add3_u32 v42, v94, v43, 0x7fff
	s_wait_alu 0xfffd
	v_cndmask_b32_e32 v92, v92, v93, vcc_lo
	v_or_b32_e32 v93, 0x400000, v43
	v_cmp_u_f32_e32 vcc_lo, v43, v43
	v_bfe_u32 v94, v44, 16, 1
	v_dual_mul_f32 v95, v41, v46 :: v_dual_and_b32 v46, 0xffff0000, v45
	v_lshlrev_b32_e32 v45, 16, v61
	s_wait_alu 0xfffd
	v_dual_cndmask_b32 v61, v42, v93 :: v_dual_and_b32 v42, 0xffff0000, v48
	v_and_b32_e32 v48, 0xffff0000, v62
	v_add3_u32 v43, v94, v44, 0x7fff
	v_or_b32_e32 v93, 0x400000, v44
	v_bfe_u32 v94, v95, 16, 1
	v_cmp_u_f32_e32 vcc_lo, v44, v44
	v_mul_f32_e32 v96, v42, v48
	v_dual_mul_f32 v45, v46, v45 :: v_dual_lshlrev_b32 v48, 16, v62
	s_wait_alu 0xfffd
	v_cndmask_b32_e32 v44, v43, v93, vcc_lo
	v_add3_u32 v43, v94, v95, 0x7fff
	v_or_b32_e32 v93, 0x400000, v95
	v_bfe_u32 v94, v45, 16, 1
	v_cmp_u_f32_e32 vcc_lo, v95, v95
	v_bfe_u32 v95, v96, 16, 1
	v_dual_mul_f32 v97, v47, v48 :: v_dual_and_b32 v48, 0xffff0000, v63
	v_and_b32_e32 v44, 0xffff0000, v44
	s_wait_alu 0xfffd
	v_dual_cndmask_b32 v62, v43, v93 :: v_dual_and_b32 v43, 0xffff0000, v92
	v_add3_u32 v93, v94, v45, 0x7fff
	v_or_b32_e32 v94, 0x400000, v45
	v_cmp_u_f32_e32 vcc_lo, v45, v45
	v_add3_u32 v45, v95, v96, 0x7fff
	v_dual_mul_f32 v95, v43, v48 :: v_dual_and_b32 v48, 0xffff0000, v67
	s_wait_alu 0xfffd
	v_cndmask_b32_e32 v92, v93, v94, vcc_lo
	v_or_b32_e32 v93, 0x400000, v96
	v_bfe_u32 v94, v97, 16, 1
	v_cmp_u_f32_e32 vcc_lo, v96, v96
	v_bfe_u32 v96, v95, 16, 1
	s_wait_alu 0xfffd
	v_dual_cndmask_b32 v67, v45, v93 :: v_dual_and_b32 v92, 0xffff0000, v92
	v_add3_u32 v93, v94, v97, 0x7fff
	v_or_b32_e32 v94, 0x400000, v97
	v_cmp_u_f32_e32 vcc_lo, v97, v97
	v_lshlrev_b32_e32 v63, 16, v63
	v_and_b32_e32 v45, 0xffff0000, v61
	v_or_b32_e32 v97, 0x400000, v95
	s_wait_alu 0xfffd
	v_dual_cndmask_b32 v64, v93, v94 :: v_dual_lshlrev_b32 v61, 16, v64
	v_add3_u32 v94, v96, v95, 0x7fff
	v_cmp_u_f32_e32 vcc_lo, v95, v95
	v_dual_mul_f32 v96, v44, v98 :: v_dual_and_b32 v67, 0xffff0000, v67
	s_delay_alu instid0(VALU_DEP_4)
	v_and_b32_e32 v64, 0xffff0000, v64
	s_wait_alu 0xfffd
	v_cndmask_b32_e32 v94, v94, v97, vcc_lo
	v_mul_f32_e32 v61, v45, v61
	v_mul_f32_e32 v63, v48, v63
	v_bfe_u32 v99, v96, 16, 1
	s_delay_alu instid0(VALU_DEP_4) | instskip(NEXT) | instid1(VALU_DEP_4)
	v_dual_add_f32 v64, v64, v67 :: v_dual_and_b32 v67, 0xffff0000, v94
	v_bfe_u32 v100, v61, 16, 1
	s_delay_alu instid0(VALU_DEP_4)
	v_bfe_u32 v93, v63, 16, 1
	v_or_b32_e32 v98, 0x400000, v63
	v_cmp_u_f32_e32 vcc_lo, v63, v63
	v_or_b32_e32 v97, 0x400000, v61
	v_add3_u32 v95, v100, v61, 0x7fff
	v_add3_u32 v93, v93, v63, 0x7fff
	s_wait_alu 0xfffd
	s_delay_alu instid0(VALU_DEP_1)
	v_cndmask_b32_e32 v63, v93, v98, vcc_lo
	v_cmp_u_f32_e32 vcc_lo, v61, v61
	v_add3_u32 v93, v99, v96, 0x7fff
	v_or_b32_e32 v98, 0x400000, v96
	s_wait_alu 0xfffd
	v_cndmask_b32_e32 v61, v95, v97, vcc_lo
	v_cmp_u_f32_e32 vcc_lo, v96, v96
	v_and_b32_e32 v63, 0xffff0000, v63
	v_and_b32_e32 v62, 0xffff0000, v62
	s_delay_alu instid0(VALU_DEP_4) | instskip(NEXT) | instid1(VALU_DEP_2)
	v_and_b32_e32 v61, 0xffff0000, v61
	v_dual_add_f32 v63, v63, v67 :: v_dual_add_f32 v62, v92, v62
	s_wait_alu 0xfffd
	v_dual_cndmask_b32 v92, v93, v98 :: v_dual_and_b32 v93, 0xffff0000, v60
	v_lshlrev_b32_e32 v60, 16, v60
	s_delay_alu instid0(VALU_DEP_3) | instskip(NEXT) | instid1(VALU_DEP_2)
	v_dual_add_f32 v62, v64, v62 :: v_dual_and_b32 v67, 0xffff0000, v57
	v_mul_f32_e32 v60, v45, v60
	s_delay_alu instid0(VALU_DEP_2) | instskip(SKIP_3) | instid1(VALU_DEP_4)
	v_dual_add_f32 v62, v63, v62 :: v_dual_mul_f32 v63, v41, v67
	v_and_b32_e32 v67, 0xffff0000, v58
	v_lshlrev_b32_e32 v58, 16, v58
	v_lshlrev_b32_e32 v57, 16, v57
	v_cmp_u_f32_e32 vcc_lo, v63, v63
	s_delay_alu instid0(VALU_DEP_3) | instskip(NEXT) | instid1(VALU_DEP_3)
	v_dual_mul_f32 v67, v42, v67 :: v_dual_mul_f32 v58, v47, v58
	v_dual_mul_f32 v57, v46, v57 :: v_dual_and_b32 v64, 0xffff0000, v92
	s_delay_alu instid0(VALU_DEP_1) | instskip(NEXT) | instid1(VALU_DEP_2)
	v_add_f32_e32 v61, v61, v64
	v_bfe_u32 v64, v57, 16, 1
	v_or_b32_e32 v92, 0x400000, v57
	s_delay_alu instid0(VALU_DEP_3) | instskip(SKIP_1) | instid1(VALU_DEP_4)
	v_add_f32_e32 v61, v61, v62
	v_bfe_u32 v62, v63, 16, 1
	v_add3_u32 v64, v64, v57, 0x7fff
	s_delay_alu instid0(VALU_DEP_3) | instskip(NEXT) | instid1(VALU_DEP_3)
	v_add_f32_e32 v75, v75, v61
	v_add3_u32 v61, v62, v63, 0x7fff
	v_or_b32_e32 v62, 0x400000, v63
	s_wait_alu 0xfffd
	s_delay_alu instid0(VALU_DEP_1) | instskip(SKIP_2) | instid1(VALU_DEP_2)
	v_cndmask_b32_e32 v61, v61, v62, vcc_lo
	v_bfe_u32 v62, v67, 16, 1
	v_cmp_u_f32_e32 vcc_lo, v57, v57
	v_add3_u32 v62, v62, v67, 0x7fff
	s_wait_alu 0xfffd
	v_cndmask_b32_e32 v57, v64, v92, vcc_lo
	v_or_b32_e32 v64, 0x400000, v67
	v_bfe_u32 v92, v58, 16, 1
	v_cmp_u_f32_e32 vcc_lo, v67, v67
	v_or_b32_e32 v67, 0x400000, v58
	s_wait_alu 0xfffd
	v_cndmask_b32_e32 v62, v62, v64, vcc_lo
	v_add3_u32 v64, v92, v58, 0x7fff
	v_cmp_u_f32_e32 vcc_lo, v58, v58
	s_delay_alu instid0(VALU_DEP_3) | instskip(SKIP_1) | instid1(VALU_DEP_3)
	v_and_b32_e32 v62, 0xffff0000, v62
	s_wait_alu 0xfffd
	v_dual_cndmask_b32 v58, v64, v67 :: v_dual_and_b32 v57, 0xffff0000, v57
	s_delay_alu instid0(VALU_DEP_1) | instskip(SKIP_1) | instid1(VALU_DEP_2)
	v_and_b32_e32 v58, 0xffff0000, v58
	v_and_b32_e32 v63, 0xffff0000, v59
	v_dual_add_f32 v58, v58, v62 :: v_dual_lshlrev_b32 v59, 16, v59
	s_delay_alu instid0(VALU_DEP_2) | instskip(NEXT) | instid1(VALU_DEP_2)
	v_mul_f32_e32 v63, v43, v63
	v_mul_f32_e32 v59, v48, v59
	s_delay_alu instid0(VALU_DEP_2) | instskip(SKIP_1) | instid1(VALU_DEP_3)
	v_bfe_u32 v92, v63, 16, 1
	v_cmp_u_f32_e32 vcc_lo, v63, v63
	v_bfe_u32 v94, v59, 16, 1
	s_delay_alu instid0(VALU_DEP_3) | instskip(SKIP_2) | instid1(VALU_DEP_1)
	v_add3_u32 v64, v92, v63, 0x7fff
	v_or_b32_e32 v92, 0x400000, v63
	s_wait_alu 0xfffd
	v_cndmask_b32_e32 v63, v64, v92, vcc_lo
	v_mul_f32_e32 v67, v44, v93
	v_add3_u32 v93, v94, v59, 0x7fff
	v_or_b32_e32 v94, 0x400000, v59
	v_cmp_u_f32_e32 vcc_lo, v59, v59
	v_and_b32_e32 v62, 0xffff0000, v63
	v_bfe_u32 v95, v67, 16, 1
	v_or_b32_e32 v92, 0x400000, v67
	s_wait_alu 0xfffd
	v_cndmask_b32_e32 v59, v93, v94, vcc_lo
	v_bfe_u32 v93, v60, 16, 1
	v_add3_u32 v64, v95, v67, 0x7fff
	v_cmp_u_f32_e32 vcc_lo, v67, v67
	s_delay_alu instid0(VALU_DEP_3) | instskip(SKIP_1) | instid1(VALU_DEP_3)
	v_add3_u32 v67, v93, v60, 0x7fff
	s_wait_alu 0xfffd
	v_dual_cndmask_b32 v64, v64, v92 :: v_dual_and_b32 v61, 0xffff0000, v61
	v_or_b32_e32 v92, 0x400000, v60
	v_cmp_u_f32_e32 vcc_lo, v60, v60
	s_wait_alu 0xfffd
	s_delay_alu instid0(VALU_DEP_2) | instskip(SKIP_3) | instid1(VALU_DEP_4)
	v_dual_add_f32 v57, v57, v61 :: v_dual_cndmask_b32 v60, v67, v92
	v_and_b32_e32 v67, 0xffff0000, v56
	v_lshlrev_b32_e32 v56, 16, v56
	v_and_b32_e32 v61, 0xffff0000, v53
	v_dual_add_f32 v57, v58, v57 :: v_dual_and_b32 v60, 0xffff0000, v60
	s_delay_alu instid0(VALU_DEP_3) | instskip(NEXT) | instid1(VALU_DEP_3)
	v_dual_mul_f32 v56, v45, v56 :: v_dual_lshlrev_b32 v53, 16, v53
	v_dual_mul_f32 v58, v41, v61 :: v_dual_and_b32 v61, 0xffff0000, v64
	v_and_b32_e32 v64, 0xffff0000, v55
	v_and_b32_e32 v59, 0xffff0000, v59
	s_delay_alu instid0(VALU_DEP_4) | instskip(NEXT) | instid1(VALU_DEP_4)
	v_mul_f32_e32 v53, v46, v53
	v_cmp_u_f32_e32 vcc_lo, v58, v58
	v_add_f32_e32 v60, v60, v61
	v_mul_f32_e32 v64, v43, v64
	v_add_f32_e32 v59, v59, v62
	v_bfe_u32 v62, v58, 16, 1
	v_bfe_u32 v63, v53, 16, 1
	v_lshlrev_b32_e32 v55, 16, v55
	s_delay_alu instid0(VALU_DEP_3) | instskip(SKIP_2) | instid1(VALU_DEP_1)
	v_add3_u32 v61, v62, v58, 0x7fff
	v_or_b32_e32 v62, 0x400000, v58
	s_wait_alu 0xfffd
	v_dual_mul_f32 v55, v48, v55 :: v_dual_cndmask_b32 v58, v61, v62
	v_add_f32_e32 v57, v59, v57
	v_and_b32_e32 v59, 0xffff0000, v54
	v_lshlrev_b32_e32 v54, 16, v54
	v_add3_u32 v61, v63, v53, 0x7fff
	v_or_b32_e32 v62, 0x400000, v53
	v_cmp_u_f32_e32 vcc_lo, v53, v53
	s_delay_alu instid0(VALU_DEP_4) | instskip(SKIP_3) | instid1(VALU_DEP_3)
	v_dual_mul_f32 v59, v42, v59 :: v_dual_mul_f32 v54, v47, v54
	v_dual_add_f32 v57, v60, v57 :: v_dual_and_b32 v58, 0xffff0000, v58
	s_wait_alu 0xfffd
	v_cndmask_b32_e32 v53, v61, v62, vcc_lo
	v_bfe_u32 v63, v59, 16, 1
	v_or_b32_e32 v62, 0x400000, v59
	v_cmp_u_f32_e32 vcc_lo, v59, v59
	v_or_b32_e32 v92, 0x400000, v55
	v_add_f32_e32 v76, v76, v57
	v_add3_u32 v61, v63, v59, 0x7fff
	v_bfe_u32 v63, v54, 16, 1
	s_wait_alu 0xfffd
	s_delay_alu instid0(VALU_DEP_2) | instskip(NEXT) | instid1(VALU_DEP_2)
	v_cndmask_b32_e32 v59, v61, v62, vcc_lo
	v_add3_u32 v61, v63, v54, 0x7fff
	v_or_b32_e32 v62, 0x400000, v54
	v_bfe_u32 v63, v64, 16, 1
	v_cmp_u_f32_e32 vcc_lo, v54, v54
	s_wait_alu 0xfffd
	s_delay_alu instid0(VALU_DEP_3)
	v_dual_cndmask_b32 v54, v61, v62 :: v_dual_and_b32 v59, 0xffff0000, v59
	v_bfe_u32 v61, v55, 16, 1
	v_add3_u32 v62, v63, v64, 0x7fff
	v_mul_f32_e32 v63, v44, v67
	v_or_b32_e32 v67, 0x400000, v64
	v_cmp_u_f32_e32 vcc_lo, v64, v64
	v_add3_u32 v61, v61, v55, 0x7fff
	v_bfe_u32 v64, v56, 16, 1
	v_bfe_u32 v93, v63, 16, 1
	v_and_b32_e32 v54, 0xffff0000, v54
	s_wait_alu 0xfffd
	v_cndmask_b32_e32 v62, v62, v67, vcc_lo
	v_cmp_u_f32_e32 vcc_lo, v55, v55
	v_add3_u32 v64, v64, v56, 0x7fff
	v_or_b32_e32 v67, 0x400000, v63
	s_wait_alu 0xfffd
	v_dual_add_f32 v54, v54, v59 :: v_dual_cndmask_b32 v55, v61, v92
	v_or_b32_e32 v92, 0x400000, v56
	v_cmp_u_f32_e32 vcc_lo, v56, v56
	v_add3_u32 v61, v93, v63, 0x7fff
	s_wait_alu 0xfffd
	s_delay_alu instid0(VALU_DEP_3) | instskip(SKIP_1) | instid1(VALU_DEP_2)
	v_dual_cndmask_b32 v56, v64, v92 :: v_dual_and_b32 v55, 0xffff0000, v55
	v_cmp_u_f32_e32 vcc_lo, v63, v63
	v_and_b32_e32 v56, 0xffff0000, v56
	v_and_b32_e32 v53, 0xffff0000, v53
	s_wait_alu 0xfffd
	v_cndmask_b32_e32 v59, v61, v67, vcc_lo
	s_delay_alu instid0(VALU_DEP_2) | instskip(NEXT) | instid1(VALU_DEP_1)
	v_add_f32_e32 v53, v53, v58
	v_dual_add_f32 v53, v54, v53 :: v_dual_and_b32 v58, 0xffff0000, v62
	s_delay_alu instid0(VALU_DEP_1) | instskip(SKIP_1) | instid1(VALU_DEP_2)
	v_dual_add_f32 v54, v55, v58 :: v_dual_and_b32 v55, 0xffff0000, v49
	v_lshlrev_b32_e32 v49, 16, v49
	v_dual_add_f32 v53, v54, v53 :: v_dual_and_b32 v58, 0xffff0000, v59
	s_delay_alu instid0(VALU_DEP_3) | instskip(NEXT) | instid1(VALU_DEP_2)
	v_mul_f32_e32 v55, v41, v55
	v_dual_mul_f32 v49, v46, v49 :: v_dual_add_f32 v54, v56, v58
	v_and_b32_e32 v56, 0xffff0000, v50
	v_lshlrev_b32_e32 v50, 16, v50
	s_delay_alu instid0(VALU_DEP_4) | instskip(NEXT) | instid1(VALU_DEP_4)
	v_bfe_u32 v58, v55, 16, 1
	v_bfe_u32 v57, v49, 16, 1
	v_add_f32_e32 v53, v54, v53
	v_mul_f32_e32 v54, v42, v56
	v_cmp_u_f32_e32 vcc_lo, v55, v55
	v_add3_u32 v56, v58, v55, 0x7fff
	v_or_b32_e32 v58, 0x400000, v55
	v_add3_u32 v57, v57, v49, 0x7fff
	v_or_b32_e32 v59, 0x400000, v49
	v_bfe_u32 v60, v54, 16, 1
	v_mul_f32_e32 v50, v47, v50
	s_wait_alu 0xfffd
	v_cndmask_b32_e32 v55, v56, v58, vcc_lo
	v_cmp_u_f32_e32 vcc_lo, v49, v49
	v_and_b32_e32 v58, 0xffff0000, v51
	v_add3_u32 v56, v60, v54, 0x7fff
	v_lshlrev_b32_e32 v51, 16, v51
	s_wait_alu 0xfffd
	v_cndmask_b32_e32 v49, v57, v59, vcc_lo
	v_or_b32_e32 v57, 0x400000, v54
	v_bfe_u32 v59, v50, 16, 1
	v_cmp_u_f32_e32 vcc_lo, v54, v54
	v_mul_f32_e32 v51, v48, v51
	s_wait_alu 0xfffd
	v_cndmask_b32_e32 v54, v56, v57, vcc_lo
	v_mul_f32_e32 v56, v43, v58
	v_add3_u32 v57, v59, v50, 0x7fff
	v_or_b32_e32 v58, 0x400000, v50
	v_cmp_u_f32_e32 vcc_lo, v50, v50
	v_and_b32_e32 v54, 0xffff0000, v54
	v_bfe_u32 v60, v56, 16, 1
	v_bfe_u32 v61, v51, 16, 1
	s_wait_alu 0xfffd
	v_cndmask_b32_e32 v50, v57, v58, vcc_lo
	v_cmp_u_f32_e32 vcc_lo, v56, v56
	v_add3_u32 v58, v60, v56, 0x7fff
	v_add3_u32 v60, v61, v51, 0x7fff
	v_or_b32_e32 v61, 0x400000, v51
	v_and_b32_e32 v50, 0xffff0000, v50
	s_delay_alu instid0(VALU_DEP_1) | instskip(SKIP_3) | instid1(VALU_DEP_2)
	v_dual_add_f32 v50, v50, v54 :: v_dual_and_b32 v49, 0xffff0000, v49
	v_and_b32_e32 v54, 0xffff0000, v37
	v_and_b32_e32 v55, 0xffff0000, v55
	v_lshlrev_b32_e32 v37, 16, v37
	v_add_f32_e32 v49, v49, v55
	s_delay_alu instid0(VALU_DEP_2) | instskip(NEXT) | instid1(VALU_DEP_2)
	v_mul_f32_e32 v37, v46, v37
	v_dual_add_f32 v49, v50, v49 :: v_dual_mul_f32 v50, v41, v54
	s_delay_alu instid0(VALU_DEP_1) | instskip(NEXT) | instid1(VALU_DEP_1)
	v_bfe_u32 v54, v50, 16, 1
	v_add3_u32 v54, v54, v50, 0x7fff
	v_and_b32_e32 v59, 0xffff0000, v52
	s_delay_alu instid0(VALU_DEP_1) | instskip(SKIP_1) | instid1(VALU_DEP_2)
	v_dual_mul_f32 v57, v44, v59 :: v_dual_lshlrev_b32 v52, 16, v52
	v_or_b32_e32 v59, 0x400000, v56
	v_mul_f32_e32 v52, v45, v52
	s_wait_alu 0xfffd
	s_delay_alu instid0(VALU_DEP_2) | instskip(SKIP_1) | instid1(VALU_DEP_2)
	v_cndmask_b32_e32 v56, v58, v59, vcc_lo
	v_cmp_u_f32_e32 vcc_lo, v51, v51
	v_and_b32_e32 v55, 0xffff0000, v56
	s_wait_alu 0xfffd
	v_cndmask_b32_e32 v51, v60, v61, vcc_lo
	s_delay_alu instid0(VALU_DEP_1) | instskip(NEXT) | instid1(VALU_DEP_1)
	v_and_b32_e32 v51, 0xffff0000, v51
	v_add_f32_e32 v51, v51, v55
	v_or_b32_e32 v55, 0x400000, v50
	s_delay_alu instid0(VALU_DEP_2)
	v_add_f32_e32 v49, v51, v49
	v_and_b32_e32 v51, 0xffff0000, v38
	v_lshlrev_b32_e32 v38, 16, v38
	v_bfe_u32 v62, v57, 16, 1
	v_or_b32_e32 v59, 0x400000, v57
	v_cmp_u_f32_e32 vcc_lo, v57, v57
	s_delay_alu instid0(VALU_DEP_4) | instskip(NEXT) | instid1(VALU_DEP_4)
	v_dual_mul_f32 v51, v42, v51 :: v_dual_mul_f32 v38, v47, v38
	v_add3_u32 v58, v62, v57, 0x7fff
	s_wait_alu 0xfffd
	s_delay_alu instid0(VALU_DEP_1) | instskip(SKIP_2) | instid1(VALU_DEP_2)
	v_cndmask_b32_e32 v57, v58, v59, vcc_lo
	v_bfe_u32 v58, v52, 16, 1
	v_cmp_u_f32_e32 vcc_lo, v52, v52
	v_add3_u32 v56, v58, v52, 0x7fff
	v_or_b32_e32 v58, 0x400000, v52
	s_wait_alu 0xfffd
	s_delay_alu instid0(VALU_DEP_1)
	v_cndmask_b32_e32 v52, v56, v58, vcc_lo
	v_bfe_u32 v56, v37, 16, 1
	v_cmp_u_f32_e32 vcc_lo, v50, v50
	v_and_b32_e32 v58, 0xffff0000, v39
	v_lshlrev_b32_e32 v39, 16, v39
	v_and_b32_e32 v52, 0xffff0000, v52
	s_wait_alu 0xfffd
	v_cndmask_b32_e32 v50, v54, v55, vcc_lo
	v_add3_u32 v54, v56, v37, 0x7fff
	v_or_b32_e32 v55, 0x400000, v37
	v_bfe_u32 v56, v51, 16, 1
	v_cmp_u_f32_e32 vcc_lo, v37, v37
	v_dual_mul_f32 v58, v43, v58 :: v_dual_mul_f32 v39, v48, v39
	s_wait_alu 0xfffd
	v_dual_cndmask_b32 v37, v54, v55 :: v_dual_and_b32 v50, 0xffff0000, v50
	v_add3_u32 v54, v56, v51, 0x7fff
	v_or_b32_e32 v55, 0x400000, v51
	v_bfe_u32 v56, v38, 16, 1
	v_cmp_u_f32_e32 vcc_lo, v51, v51
	v_or_b32_e32 v60, 0x400000, v39
	v_and_b32_e32 v37, 0xffff0000, v37
	s_wait_alu 0xfffd
	v_cndmask_b32_e32 v51, v54, v55, vcc_lo
	v_add3_u32 v54, v56, v38, 0x7fff
	v_or_b32_e32 v55, 0x400000, v38
	v_cmp_u_f32_e32 vcc_lo, v38, v38
	v_bfe_u32 v56, v58, 16, 1
	v_and_b32_e32 v51, 0xffff0000, v51
	s_wait_alu 0xfffd
	v_dual_add_f32 v37, v37, v50 :: v_dual_cndmask_b32 v38, v54, v55
	v_bfe_u32 v54, v39, 16, 1
	v_add3_u32 v55, v56, v58, 0x7fff
	v_cmp_u_f32_e32 vcc_lo, v58, v58
	s_delay_alu instid0(VALU_DEP_4) | instskip(SKIP_3) | instid1(VALU_DEP_4)
	v_and_b32_e32 v38, 0xffff0000, v38
	v_and_b32_e32 v59, 0xffff0000, v40
	v_lshlrev_b32_e32 v40, 16, v40
	v_add3_u32 v54, v54, v39, 0x7fff
	v_add_f32_e32 v38, v38, v51
	s_delay_alu instid0(VALU_DEP_4) | instskip(NEXT) | instid1(VALU_DEP_4)
	v_mul_f32_e32 v56, v44, v59
	v_mul_f32_e32 v40, v45, v40
	v_or_b32_e32 v59, 0x400000, v58
	s_delay_alu instid0(VALU_DEP_4) | instskip(NEXT) | instid1(VALU_DEP_4)
	v_add_f32_e32 v37, v38, v37
	v_bfe_u32 v61, v56, 16, 1
	s_delay_alu instid0(VALU_DEP_4)
	v_bfe_u32 v62, v40, 16, 1
	s_wait_alu 0xfffd
	v_cndmask_b32_e32 v55, v55, v59, vcc_lo
	v_cmp_u_f32_e32 vcc_lo, v39, v39
	v_or_b32_e32 v59, 0x400000, v40
	v_add3_u32 v58, v62, v40, 0x7fff
	s_wait_alu 0xfffd
	v_dual_cndmask_b32 v39, v54, v60 :: v_dual_and_b32 v50, 0xffff0000, v55
	v_cmp_u_f32_e32 vcc_lo, v40, v40
	v_add3_u32 v54, v61, v56, 0x7fff
	v_or_b32_e32 v60, 0x400000, v56
	s_delay_alu instid0(VALU_DEP_4) | instskip(SKIP_3) | instid1(VALU_DEP_2)
	v_and_b32_e32 v39, 0xffff0000, v39
	s_wait_alu 0xfffd
	v_cndmask_b32_e32 v40, v58, v59, vcc_lo
	v_cmp_u_f32_e32 vcc_lo, v56, v56
	v_dual_add_f32 v38, v39, v50 :: v_dual_and_b32 v39, 0xffff0000, v40
	s_wait_alu 0xfffd
	v_dual_cndmask_b32 v51, v54, v60 :: v_dual_and_b32 v54, 0xffff0000, v57
	v_and_b32_e32 v50, 0xffff0000, v33
	v_lshlrev_b32_e32 v33, 16, v33
	s_delay_alu instid0(VALU_DEP_3) | instskip(NEXT) | instid1(VALU_DEP_4)
	v_dual_add_f32 v37, v38, v37 :: v_dual_and_b32 v40, 0xffff0000, v51
	v_add_f32_e32 v51, v52, v54
	s_delay_alu instid0(VALU_DEP_2) | instskip(NEXT) | instid1(VALU_DEP_2)
	v_dual_mul_f32 v33, v46, v33 :: v_dual_add_f32 v38, v39, v40
	v_dual_mul_f32 v39, v41, v50 :: v_dual_add_f32 v40, v51, v49
	s_delay_alu instid0(VALU_DEP_2) | instskip(SKIP_1) | instid1(VALU_DEP_4)
	v_or_b32_e32 v50, 0x400000, v33
	v_and_b32_e32 v51, 0xffff0000, v36
	v_add_f32_e32 v37, v38, v37
	s_delay_alu instid0(VALU_DEP_4)
	v_bfe_u32 v38, v39, 16, 1
	v_add_f32_e32 v78, v78, v40
	v_bfe_u32 v40, v33, 16, 1
	v_cmp_u_f32_e32 vcc_lo, v39, v39
	v_add_f32_e32 v79, v79, v37
	v_add3_u32 v37, v38, v39, 0x7fff
	v_or_b32_e32 v38, 0x400000, v39
	v_add3_u32 v40, v40, v33, 0x7fff
	v_and_b32_e32 v39, 0xffff0000, v35
	v_lshlrev_b32_e32 v35, 16, v35
	s_wait_alu 0xfffd
	v_dual_cndmask_b32 v37, v37, v38 :: v_dual_lshlrev_b32 v36, 16, v36
	v_cmp_u_f32_e32 vcc_lo, v33, v33
	v_mul_f32_e32 v39, v43, v39
	s_delay_alu instid0(VALU_DEP_3) | instskip(NEXT) | instid1(VALU_DEP_4)
	v_dual_mul_f32 v35, v48, v35 :: v_dual_mul_f32 v36, v45, v36
	v_and_b32_e32 v37, 0xffff0000, v37
	s_wait_alu 0xfffd
	v_cndmask_b32_e32 v33, v40, v50, vcc_lo
	s_delay_alu instid0(VALU_DEP_3) | instskip(NEXT) | instid1(VALU_DEP_2)
	v_bfe_u32 v52, v35, 16, 1
	v_and_b32_e32 v33, 0xffff0000, v33
	s_delay_alu instid0(VALU_DEP_1) | instskip(SKIP_4) | instid1(VALU_DEP_2)
	v_add_f32_e32 v33, v33, v37
	v_and_b32_e32 v37, 0xffff0000, v29
	v_and_b32_e32 v49, 0xffff0000, v34
	v_lshlrev_b32_e32 v34, 16, v34
	v_lshlrev_b32_e32 v29, 16, v29
	v_dual_mul_f32 v49, v42, v49 :: v_dual_mul_f32 v34, v47, v34
	s_delay_alu instid0(VALU_DEP_2) | instskip(NEXT) | instid1(VALU_DEP_2)
	v_mul_f32_e32 v29, v46, v29
	v_bfe_u32 v38, v49, 16, 1
	v_or_b32_e32 v40, 0x400000, v49
	s_delay_alu instid0(VALU_DEP_4) | instskip(SKIP_1) | instid1(VALU_DEP_4)
	v_bfe_u32 v50, v34, 16, 1
	v_cmp_u_f32_e32 vcc_lo, v49, v49
	v_add3_u32 v38, v38, v49, 0x7fff
	v_or_b32_e32 v49, 0x400000, v34
	s_wait_alu 0xfffd
	s_delay_alu instid0(VALU_DEP_2) | instskip(SKIP_3) | instid1(VALU_DEP_4)
	v_cndmask_b32_e32 v38, v38, v40, vcc_lo
	v_add3_u32 v40, v50, v34, 0x7fff
	v_bfe_u32 v50, v39, 16, 1
	v_cmp_u_f32_e32 vcc_lo, v34, v34
	v_and_b32_e32 v38, 0xffff0000, v38
	s_wait_alu 0xfffd
	v_cndmask_b32_e32 v34, v40, v49, vcc_lo
	v_add3_u32 v40, v50, v39, 0x7fff
	v_or_b32_e32 v50, 0x400000, v39
	v_cmp_u_f32_e32 vcc_lo, v39, v39
	v_mul_f32_e32 v49, v44, v51
	v_add3_u32 v51, v52, v35, 0x7fff
	v_or_b32_e32 v52, 0x400000, v35
	v_and_b32_e32 v34, 0xffff0000, v34
	s_wait_alu 0xfffd
	v_cndmask_b32_e32 v39, v40, v50, vcc_lo
	v_cmp_u_f32_e32 vcc_lo, v35, v35
	v_or_b32_e32 v50, 0x400000, v49
	v_add_f32_e32 v34, v34, v38
	s_wait_alu 0xfffd
	v_dual_cndmask_b32 v35, v51, v52 :: v_dual_and_b32 v38, 0xffff0000, v39
	v_bfe_u32 v51, v36, 16, 1
	v_cmp_u_f32_e32 vcc_lo, v49, v49
	v_add_f32_e32 v33, v34, v33
	s_delay_alu instid0(VALU_DEP_4) | instskip(SKIP_1) | instid1(VALU_DEP_2)
	v_dual_mul_f32 v34, v41, v37 :: v_dual_and_b32 v35, 0xffff0000, v35
	v_bfe_u32 v39, v29, 16, 1
	v_add_f32_e32 v35, v35, v38
	s_delay_alu instid0(VALU_DEP_3) | instskip(NEXT) | instid1(VALU_DEP_2)
	v_bfe_u32 v38, v34, 16, 1
	v_add_f32_e32 v33, v35, v33
	v_and_b32_e32 v35, 0xffff0000, v30
	v_dual_add_f32 v77, v77, v53 :: v_dual_lshlrev_b32 v30, 16, v30
	v_bfe_u32 v53, v49, 16, 1
	s_delay_alu instid0(VALU_DEP_2) | instskip(NEXT) | instid1(VALU_DEP_2)
	v_dual_mul_f32 v35, v42, v35 :: v_dual_mul_f32 v30, v47, v30
	v_add3_u32 v40, v53, v49, 0x7fff
	v_add3_u32 v49, v51, v36, 0x7fff
	s_wait_alu 0xfffd
	s_delay_alu instid0(VALU_DEP_2) | instskip(SKIP_2) | instid1(VALU_DEP_3)
	v_cndmask_b32_e32 v40, v40, v50, vcc_lo
	v_or_b32_e32 v50, 0x400000, v36
	v_cmp_u_f32_e32 vcc_lo, v36, v36
	v_and_b32_e32 v37, 0xffff0000, v40
	v_and_b32_e32 v40, 0xffff0000, v31
	s_wait_alu 0xfffd
	v_cndmask_b32_e32 v36, v49, v50, vcc_lo
	v_cmp_u_f32_e32 vcc_lo, v34, v34
	v_lshlrev_b32_e32 v31, 16, v31
	v_and_b32_e32 v49, 0xffff0000, v32
	v_mul_f32_e32 v40, v43, v40
	v_and_b32_e32 v36, 0xffff0000, v36
	s_delay_alu instid0(VALU_DEP_4) | instskip(NEXT) | instid1(VALU_DEP_2)
	v_dual_mul_f32 v31, v48, v31 :: v_dual_lshlrev_b32 v32, 16, v32
	v_add_f32_e32 v36, v36, v37
	v_add3_u32 v37, v38, v34, 0x7fff
	v_or_b32_e32 v38, 0x400000, v34
	s_delay_alu instid0(VALU_DEP_4) | instskip(SKIP_2) | instid1(VALU_DEP_3)
	v_mul_f32_e32 v32, v45, v32
	v_or_b32_e32 v50, 0x400000, v31
	s_wait_alu 0xfffd
	v_cndmask_b32_e32 v34, v37, v38, vcc_lo
	v_add3_u32 v37, v39, v29, 0x7fff
	v_or_b32_e32 v38, 0x400000, v29
	v_bfe_u32 v39, v35, 16, 1
	v_cmp_u_f32_e32 vcc_lo, v29, v29
	v_and_b32_e32 v34, 0xffff0000, v34
	s_wait_alu 0xfffd
	v_cndmask_b32_e32 v29, v37, v38, vcc_lo
	v_add3_u32 v37, v39, v35, 0x7fff
	v_or_b32_e32 v38, 0x400000, v35
	v_bfe_u32 v39, v30, 16, 1
	v_cmp_u_f32_e32 vcc_lo, v35, v35
	v_and_b32_e32 v29, 0xffff0000, v29
	;; [unrolled: 7-line block ×3, first 2 shown]
	v_add_f32_e32 v29, v29, v34
	s_wait_alu 0xfffd
	v_cndmask_b32_e32 v30, v37, v38, vcc_lo
	v_bfe_u32 v37, v31, 16, 1
	v_add3_u32 v38, v39, v40, 0x7fff
	v_mul_f32_e32 v39, v44, v49
	v_or_b32_e32 v49, 0x400000, v40
	v_cmp_u_f32_e32 vcc_lo, v40, v40
	v_add3_u32 v37, v37, v31, 0x7fff
	v_bfe_u32 v40, v32, 16, 1
	v_bfe_u32 v51, v39, 16, 1
	v_and_b32_e32 v30, 0xffff0000, v30
	s_wait_alu 0xfffd
	v_cndmask_b32_e32 v38, v38, v49, vcc_lo
	v_cmp_u_f32_e32 vcc_lo, v31, v31
	v_add3_u32 v40, v40, v32, 0x7fff
	v_or_b32_e32 v49, 0x400000, v39
	v_add_f32_e32 v30, v30, v35
	v_and_b32_e32 v34, 0xffff0000, v38
	s_wait_alu 0xfffd
	v_cndmask_b32_e32 v31, v37, v50, vcc_lo
	v_or_b32_e32 v50, 0x400000, v32
	v_cmp_u_f32_e32 vcc_lo, v32, v32
	v_add3_u32 v37, v51, v39, 0x7fff
	v_add_f32_e32 v29, v30, v29
	s_wait_alu 0xfffd
	v_dual_cndmask_b32 v32, v40, v50 :: v_dual_and_b32 v31, 0xffff0000, v31
	v_cmp_u_f32_e32 vcc_lo, v39, v39
	s_delay_alu instid0(VALU_DEP_2) | instskip(SKIP_1) | instid1(VALU_DEP_3)
	v_dual_add_f32 v30, v31, v34 :: v_dual_and_b32 v31, 0xffff0000, v25
	s_wait_alu 0xfffd
	v_dual_cndmask_b32 v35, v37, v49 :: v_dual_and_b32 v32, 0xffff0000, v32
	v_lshlrev_b32_e32 v25, 16, v25
	s_delay_alu instid0(VALU_DEP_3) | instskip(SKIP_1) | instid1(VALU_DEP_3)
	v_add_f32_e32 v29, v30, v29
	v_mul_f32_e32 v31, v41, v31
	v_dual_mul_f32 v25, v46, v25 :: v_dual_and_b32 v34, 0xffff0000, v35
	s_delay_alu instid0(VALU_DEP_2) | instskip(NEXT) | instid1(VALU_DEP_2)
	v_cmp_u_f32_e32 vcc_lo, v31, v31
	v_add_f32_e32 v30, v32, v34
	v_and_b32_e32 v32, 0xffff0000, v26
	v_bfe_u32 v34, v31, 16, 1
	v_dual_add_f32 v33, v36, v33 :: v_dual_lshlrev_b32 v26, 16, v26
	s_delay_alu instid0(VALU_DEP_4) | instskip(NEXT) | instid1(VALU_DEP_4)
	v_add_f32_e32 v29, v30, v29
	v_mul_f32_e32 v30, v42, v32
	s_delay_alu instid0(VALU_DEP_4)
	v_add3_u32 v32, v34, v31, 0x7fff
	v_or_b32_e32 v34, 0x400000, v31
	v_add_f32_e32 v80, v80, v33
	v_bfe_u32 v33, v25, 16, 1
	v_or_b32_e32 v35, 0x400000, v25
	v_bfe_u32 v36, v30, 16, 1
	s_wait_alu 0xfffd
	v_cndmask_b32_e32 v31, v32, v34, vcc_lo
	v_cmp_u_f32_e32 vcc_lo, v25, v25
	v_add3_u32 v33, v33, v25, 0x7fff
	v_mul_f32_e32 v26, v47, v26
	v_add3_u32 v32, v36, v30, 0x7fff
	v_and_b32_e32 v34, 0xffff0000, v27
	v_lshlrev_b32_e32 v27, 16, v27
	s_wait_alu 0xfffd
	v_cndmask_b32_e32 v25, v33, v35, vcc_lo
	v_or_b32_e32 v33, 0x400000, v30
	v_cmp_u_f32_e32 vcc_lo, v30, v30
	v_bfe_u32 v35, v26, 16, 1
	v_mul_f32_e32 v27, v48, v27
	v_and_b32_e32 v25, 0xffff0000, v25
	s_wait_alu 0xfffd
	v_dual_cndmask_b32 v30, v32, v33 :: v_dual_and_b32 v31, 0xffff0000, v31
	v_mul_f32_e32 v32, v43, v34
	v_add3_u32 v33, v35, v26, 0x7fff
	v_or_b32_e32 v34, 0x400000, v26
	v_and_b32_e32 v35, 0xffff0000, v28
	v_cmp_u_f32_e32 vcc_lo, v26, v26
	v_bfe_u32 v36, v32, 16, 1
	v_bfe_u32 v37, v27, 16, 1
	v_lshlrev_b32_e32 v28, 16, v28
	v_and_b32_e32 v30, 0xffff0000, v30
	s_wait_alu 0xfffd
	v_dual_cndmask_b32 v26, v33, v34 :: v_dual_mul_f32 v33, v44, v35
	v_add3_u32 v34, v36, v32, 0x7fff
	v_or_b32_e32 v35, 0x400000, v32
	v_cmp_u_f32_e32 vcc_lo, v32, v32
	v_add3_u32 v36, v37, v27, 0x7fff
	v_or_b32_e32 v37, 0x400000, v27
	v_bfe_u32 v38, v33, 16, 1
	v_and_b32_e32 v26, 0xffff0000, v26
	s_wait_alu 0xfffd
	v_cndmask_b32_e32 v32, v34, v35, vcc_lo
	v_cmp_u_f32_e32 vcc_lo, v27, v27
	v_or_b32_e32 v35, 0x400000, v33
	v_add3_u32 v34, v38, v33, 0x7fff
	v_mul_f32_e32 v28, v45, v28
	v_add_f32_e32 v25, v25, v31
	s_wait_alu 0xfffd
	v_cndmask_b32_e32 v27, v36, v37, vcc_lo
	v_cmp_u_f32_e32 vcc_lo, v33, v33
	v_add_f32_e32 v26, v26, v30
	v_and_b32_e32 v30, 0xffff0000, v21
	v_and_b32_e32 v31, 0xffff0000, v32
	;; [unrolled: 1-line block ×3, first 2 shown]
	s_wait_alu 0xfffd
	v_cndmask_b32_e32 v33, v34, v35, vcc_lo
	v_bfe_u32 v34, v28, 16, 1
	v_dual_add_f32 v25, v26, v25 :: v_dual_mul_f32 v26, v41, v30
	v_add_f32_e32 v27, v27, v31
	v_lshlrev_b32_e32 v21, 16, v21
	s_delay_alu instid0(VALU_DEP_4)
	v_add3_u32 v32, v34, v28, 0x7fff
	v_or_b32_e32 v34, 0x400000, v28
	v_cmp_u_f32_e32 vcc_lo, v28, v28
	v_bfe_u32 v30, v26, 16, 1
	v_add_f32_e32 v25, v27, v25
	v_mul_f32_e32 v21, v46, v21
	v_and_b32_e32 v27, 0xffff0000, v22
	s_wait_alu 0xfffd
	v_cndmask_b32_e32 v28, v32, v34, vcc_lo
	v_add3_u32 v30, v30, v26, 0x7fff
	v_or_b32_e32 v31, 0x400000, v26
	v_bfe_u32 v32, v21, 16, 1
	v_dual_mul_f32 v27, v42, v27 :: v_dual_lshlrev_b32 v22, 16, v22
	v_cmp_u_f32_e32 vcc_lo, v26, v26
	v_and_b32_e32 v34, 0xffff0000, v23
	v_lshlrev_b32_e32 v23, 16, v23
	s_delay_alu instid0(VALU_DEP_4)
	v_dual_mul_f32 v22, v47, v22 :: v_dual_and_b32 v35, 0xffff0000, v24
	s_wait_alu 0xfffd
	v_cndmask_b32_e32 v26, v30, v31, vcc_lo
	v_add3_u32 v30, v32, v21, 0x7fff
	v_or_b32_e32 v31, 0x400000, v21
	v_bfe_u32 v32, v27, 16, 1
	v_cmp_u_f32_e32 vcc_lo, v21, v21
	v_dual_mul_f32 v34, v43, v34 :: v_dual_mul_f32 v23, v48, v23
	v_lshlrev_b32_e32 v24, 16, v24
	s_wait_alu 0xfffd
	v_dual_cndmask_b32 v21, v30, v31 :: v_dual_and_b32 v26, 0xffff0000, v26
	v_add3_u32 v30, v32, v27, 0x7fff
	v_or_b32_e32 v31, 0x400000, v27
	v_bfe_u32 v32, v22, 16, 1
	v_cmp_u_f32_e32 vcc_lo, v27, v27
	v_mul_f32_e32 v24, v45, v24
	v_or_b32_e32 v36, 0x400000, v23
	v_and_b32_e32 v21, 0xffff0000, v21
	s_wait_alu 0xfffd
	v_dual_cndmask_b32 v27, v30, v31 :: v_dual_and_b32 v28, 0xffff0000, v28
	v_add3_u32 v30, v32, v22, 0x7fff
	v_or_b32_e32 v31, 0x400000, v22
	v_bfe_u32 v32, v34, 16, 1
	v_cmp_u_f32_e32 vcc_lo, v22, v22
	v_bfe_u32 v38, v24, 16, 1
	v_and_b32_e32 v27, 0xffff0000, v27
	s_wait_alu 0xfffd
	v_dual_add_f32 v21, v21, v26 :: v_dual_cndmask_b32 v22, v30, v31
	v_bfe_u32 v30, v23, 16, 1
	v_add3_u32 v31, v32, v34, 0x7fff
	v_mul_f32_e32 v32, v44, v35
	v_or_b32_e32 v35, 0x400000, v34
	v_cmp_u_f32_e32 vcc_lo, v34, v34
	v_add3_u32 v30, v30, v23, 0x7fff
	v_add3_u32 v34, v38, v24, 0x7fff
	v_bfe_u32 v37, v32, 16, 1
	s_wait_alu 0xfffd
	v_dual_cndmask_b32 v31, v31, v35 :: v_dual_and_b32 v22, 0xffff0000, v22
	v_cmp_u_f32_e32 vcc_lo, v23, v23
	v_or_b32_e32 v35, 0x400000, v24
	s_delay_alu instid0(VALU_DEP_3)
	v_add_f32_e32 v22, v22, v27
	s_wait_alu 0xfffd
	v_dual_cndmask_b32 v23, v30, v36 :: v_dual_and_b32 v26, 0xffff0000, v31
	v_cmp_u_f32_e32 vcc_lo, v24, v24
	v_add3_u32 v30, v37, v32, 0x7fff
	v_or_b32_e32 v36, 0x400000, v32
	v_add_f32_e32 v21, v22, v21
	v_and_b32_e32 v23, 0xffff0000, v23
	s_wait_alu 0xfffd
	v_cndmask_b32_e32 v24, v34, v35, vcc_lo
	v_cmp_u_f32_e32 vcc_lo, v32, v32
	s_delay_alu instid0(VALU_DEP_3) | instskip(NEXT) | instid1(VALU_DEP_3)
	v_dual_add_f32 v81, v81, v29 :: v_dual_add_f32 v22, v23, v26
	v_and_b32_e32 v23, 0xffff0000, v24
	s_wait_alu 0xfffd
	v_dual_cndmask_b32 v27, v30, v36 :: v_dual_and_b32 v30, 0xffff0000, v33
	v_and_b32_e32 v26, 0xffff0000, v13
	v_lshlrev_b32_e32 v13, 16, v13
	s_delay_alu instid0(VALU_DEP_3) | instskip(NEXT) | instid1(VALU_DEP_4)
	v_dual_add_f32 v21, v22, v21 :: v_dual_and_b32 v24, 0xffff0000, v27
	v_add_f32_e32 v27, v28, v30
	s_delay_alu instid0(VALU_DEP_2) | instskip(NEXT) | instid1(VALU_DEP_2)
	v_dual_mul_f32 v13, v46, v13 :: v_dual_add_f32 v22, v23, v24
	v_dual_mul_f32 v23, v41, v26 :: v_dual_add_f32 v24, v27, v25
	v_and_b32_e32 v25, 0xffff0000, v14
	s_delay_alu instid0(VALU_DEP_3) | instskip(NEXT) | instid1(VALU_DEP_3)
	v_dual_add_f32 v21, v22, v21 :: v_dual_lshlrev_b32 v14, 16, v14
	v_bfe_u32 v22, v23, 16, 1
	s_delay_alu instid0(VALU_DEP_4)
	v_add_f32_e32 v82, v82, v24
	v_bfe_u32 v24, v13, 16, 1
	v_mul_f32_e32 v25, v42, v25
	v_add_f32_e32 v83, v83, v21
	v_add3_u32 v21, v22, v23, 0x7fff
	v_or_b32_e32 v22, 0x400000, v23
	v_cmp_u_f32_e32 vcc_lo, v23, v23
	v_add3_u32 v24, v24, v13, 0x7fff
	v_or_b32_e32 v26, 0x400000, v13
	v_dual_mul_f32 v14, v47, v14 :: v_dual_and_b32 v23, 0xffff0000, v15
	s_wait_alu 0xfffd
	v_cndmask_b32_e32 v21, v21, v22, vcc_lo
	v_bfe_u32 v22, v25, 16, 1
	v_cmp_u_f32_e32 vcc_lo, v13, v13
	v_lshlrev_b32_e32 v15, 16, v15
	v_mul_f32_e32 v23, v43, v23
	v_and_b32_e32 v27, 0xffff0000, v16
	v_add3_u32 v22, v22, v25, 0x7fff
	s_wait_alu 0xfffd
	v_cndmask_b32_e32 v13, v24, v26, vcc_lo
	v_or_b32_e32 v24, 0x400000, v25
	v_bfe_u32 v26, v14, 16, 1
	v_cmp_u_f32_e32 vcc_lo, v25, v25
	v_mul_f32_e32 v15, v48, v15
	v_or_b32_e32 v25, 0x400000, v14
	v_lshlrev_b32_e32 v16, 16, v16
	s_wait_alu 0xfffd
	v_dual_cndmask_b32 v22, v22, v24 :: v_dual_and_b32 v13, 0xffff0000, v13
	v_add3_u32 v24, v26, v14, 0x7fff
	v_bfe_u32 v26, v23, 16, 1
	v_cmp_u_f32_e32 vcc_lo, v14, v14
	v_bfe_u32 v28, v15, 16, 1
	v_dual_mul_f32 v16, v45, v16 :: v_dual_and_b32 v21, 0xffff0000, v21
	v_and_b32_e32 v22, 0xffff0000, v22
	s_wait_alu 0xfffd
	v_cndmask_b32_e32 v14, v24, v25, vcc_lo
	v_add3_u32 v24, v26, v23, 0x7fff
	v_mul_f32_e32 v25, v44, v27
	v_or_b32_e32 v26, 0x400000, v23
	v_cmp_u_f32_e32 vcc_lo, v23, v23
	v_add3_u32 v27, v28, v15, 0x7fff
	v_or_b32_e32 v28, 0x400000, v15
	v_bfe_u32 v29, v25, 16, 1
	v_and_b32_e32 v14, 0xffff0000, v14
	s_wait_alu 0xfffd
	v_cndmask_b32_e32 v23, v24, v26, vcc_lo
	v_cmp_u_f32_e32 vcc_lo, v15, v15
	v_or_b32_e32 v26, 0x400000, v25
	v_add3_u32 v24, v29, v25, 0x7fff
	v_dual_add_f32 v13, v13, v21 :: v_dual_add_f32 v14, v14, v22
	s_wait_alu 0xfffd
	v_cndmask_b32_e32 v15, v27, v28, vcc_lo
	v_bfe_u32 v27, v16, 16, 1
	v_cmp_u_f32_e32 vcc_lo, v25, v25
	v_and_b32_e32 v22, 0xffff0000, v9
	v_and_b32_e32 v21, 0xffff0000, v23
	v_and_b32_e32 v15, 0xffff0000, v15
	v_add3_u32 v25, v27, v16, 0x7fff
	s_wait_alu 0xfffd
	v_cndmask_b32_e32 v24, v24, v26, vcc_lo
	v_or_b32_e32 v26, 0x400000, v16
	v_cmp_u_f32_e32 vcc_lo, v16, v16
	v_lshlrev_b32_e32 v9, 16, v9
	v_dual_add_f32 v13, v14, v13 :: v_dual_mul_f32 v14, v41, v22
	s_wait_alu 0xfffd
	v_dual_add_f32 v15, v15, v21 :: v_dual_cndmask_b32 v16, v25, v26
	s_delay_alu instid0(VALU_DEP_3) | instskip(NEXT) | instid1(VALU_DEP_3)
	v_dual_mul_f32 v21, v46, v9 :: v_dual_and_b32 v22, 0xffff0000, v24
	v_bfe_u32 v23, v14, 16, 1
	v_and_b32_e32 v24, 0xffff0000, v10
	s_delay_alu instid0(VALU_DEP_4) | instskip(NEXT) | instid1(VALU_DEP_4)
	v_dual_add_f32 v9, v15, v13 :: v_dual_and_b32 v16, 0xffff0000, v16
	v_bfe_u32 v15, v21, 16, 1
	v_lshlrev_b32_e32 v10, 16, v10
	v_cmp_u_f32_e32 vcc_lo, v14, v14
	s_delay_alu instid0(VALU_DEP_4)
	v_add_f32_e32 v13, v16, v22
	v_add3_u32 v16, v23, v14, 0x7fff
	v_or_b32_e32 v22, 0x400000, v14
	v_mul_f32_e32 v23, v42, v24
	v_add3_u32 v15, v15, v21, 0x7fff
	v_or_b32_e32 v24, 0x400000, v21
	v_mul_f32_e32 v10, v47, v10
	s_wait_alu 0xfffd
	v_cndmask_b32_e32 v14, v16, v22, vcc_lo
	v_bfe_u32 v16, v23, 16, 1
	v_cmp_u_f32_e32 vcc_lo, v21, v21
	v_and_b32_e32 v21, 0xffff0000, v11
	v_or_b32_e32 v22, 0x400000, v23
	v_lshlrev_b32_e32 v11, 16, v11
	v_add3_u32 v16, v16, v23, 0x7fff
	s_wait_alu 0xfffd
	v_cndmask_b32_e32 v15, v15, v24, vcc_lo
	v_bfe_u32 v24, v10, 16, 1
	v_mul_f32_e32 v21, v43, v21
	v_cmp_u_f32_e32 vcc_lo, v23, v23
	v_mul_f32_e32 v11, v48, v11
	v_or_b32_e32 v23, 0x400000, v10
	v_and_b32_e32 v25, 0xffff0000, v12
	v_lshlrev_b32_e32 v12, 16, v12
	s_wait_alu 0xfffd
	v_cndmask_b32_e32 v16, v16, v22, vcc_lo
	v_add3_u32 v22, v24, v10, 0x7fff
	v_bfe_u32 v24, v21, 16, 1
	v_cmp_u_f32_e32 vcc_lo, v10, v10
	v_bfe_u32 v26, v11, 16, 1
	v_dual_mul_f32 v12, v45, v12 :: v_dual_and_b32 v15, 0xffff0000, v15
	v_and_b32_e32 v14, 0xffff0000, v14
	s_wait_alu 0xfffd
	v_cndmask_b32_e32 v10, v22, v23, vcc_lo
	v_add3_u32 v22, v24, v21, 0x7fff
	v_mul_f32_e32 v23, v44, v25
	v_or_b32_e32 v24, 0x400000, v21
	v_cmp_u_f32_e32 vcc_lo, v21, v21
	v_add3_u32 v25, v26, v11, 0x7fff
	v_or_b32_e32 v26, 0x400000, v11
	v_bfe_u32 v27, v23, 16, 1
	s_wait_alu 0xfffd
	v_dual_cndmask_b32 v21, v22, v24 :: v_dual_and_b32 v10, 0xffff0000, v10
	v_cmp_u_f32_e32 vcc_lo, v11, v11
	v_or_b32_e32 v24, 0x400000, v23
	v_add3_u32 v22, v27, v23, 0x7fff
	v_and_b32_e32 v16, 0xffff0000, v16
	v_add_f32_e32 v14, v15, v14
	s_wait_alu 0xfffd
	v_cndmask_b32_e32 v11, v25, v26, vcc_lo
	v_bfe_u32 v25, v12, 16, 1
	v_cmp_u_f32_e32 vcc_lo, v23, v23
	v_add_f32_e32 v10, v10, v16
	v_and_b32_e32 v16, 0xffff0000, v5
	v_and_b32_e32 v11, 0xffff0000, v11
	v_add3_u32 v23, v25, v12, 0x7fff
	s_wait_alu 0xfffd
	v_cndmask_b32_e32 v22, v22, v24, vcc_lo
	v_or_b32_e32 v24, 0x400000, v12
	v_cmp_u_f32_e32 vcc_lo, v12, v12
	v_and_b32_e32 v15, 0xffff0000, v21
	v_dual_add_f32 v10, v10, v14 :: v_dual_lshlrev_b32 v5, 16, v5
	v_mul_f32_e32 v14, v41, v16
	s_wait_alu 0xfffd
	v_cndmask_b32_e32 v12, v23, v24, vcc_lo
	v_add_f32_e32 v11, v11, v15
	v_mul_f32_e32 v5, v46, v5
	v_and_b32_e32 v15, 0xffff0000, v22
	v_and_b32_e32 v16, 0xffff0000, v6
	;; [unrolled: 1-line block ×3, first 2 shown]
	v_bfe_u32 v21, v14, 16, 1
	v_add_f32_e32 v10, v11, v10
	v_bfe_u32 v11, v5, 16, 1
	v_lshlrev_b32_e32 v6, 16, v6
	v_dual_add_f32 v12, v12, v15 :: v_dual_mul_f32 v15, v42, v16
	v_add3_u32 v16, v21, v14, 0x7fff
	v_or_b32_e32 v21, 0x400000, v14
	v_cmp_u_f32_e32 vcc_lo, v14, v14
	v_add3_u32 v11, v11, v5, 0x7fff
	v_or_b32_e32 v22, 0x400000, v5
	v_bfe_u32 v23, v15, 16, 1
	v_mul_f32_e32 v6, v47, v6
	s_wait_alu 0xfffd
	v_cndmask_b32_e32 v14, v16, v21, vcc_lo
	v_cmp_u_f32_e32 vcc_lo, v5, v5
	v_and_b32_e32 v21, 0xffff0000, v7
	v_or_b32_e32 v16, 0x400000, v15
	v_lshlrev_b32_e32 v7, 16, v7
	v_and_b32_e32 v14, 0xffff0000, v14
	s_wait_alu 0xfffd
	v_cndmask_b32_e32 v5, v11, v22, vcc_lo
	v_add3_u32 v11, v23, v15, 0x7fff
	v_bfe_u32 v22, v6, 16, 1
	v_cmp_u_f32_e32 vcc_lo, v15, v15
	v_mul_f32_e32 v15, v43, v21
	v_mul_f32_e32 v7, v48, v7
	v_or_b32_e32 v21, 0x400000, v6
	v_and_b32_e32 v5, 0xffff0000, v5
	s_wait_alu 0xfffd
	v_cndmask_b32_e32 v11, v11, v16, vcc_lo
	v_add3_u32 v16, v22, v6, 0x7fff
	v_and_b32_e32 v22, 0xffff0000, v8
	v_bfe_u32 v23, v15, 16, 1
	v_cmp_u_f32_e32 vcc_lo, v6, v6
	v_bfe_u32 v24, v7, 16, 1
	v_lshlrev_b32_e32 v8, 16, v8
	v_and_b32_e32 v11, 0xffff0000, v11
	s_wait_alu 0xfffd
	v_dual_add_f32 v5, v5, v14 :: v_dual_cndmask_b32 v6, v16, v21
	v_mul_f32_e32 v16, v44, v22
	v_add3_u32 v21, v23, v15, 0x7fff
	v_or_b32_e32 v22, 0x400000, v15
	v_cmp_u_f32_e32 vcc_lo, v15, v15
	v_add3_u32 v23, v24, v7, 0x7fff
	v_or_b32_e32 v24, 0x400000, v7
	v_bfe_u32 v25, v16, 16, 1
	v_mul_f32_e32 v8, v45, v8
	s_wait_alu 0xfffd
	v_cndmask_b32_e32 v15, v21, v22, vcc_lo
	v_cmp_u_f32_e32 vcc_lo, v7, v7
	v_or_b32_e32 v22, 0x400000, v16
	v_add3_u32 v21, v25, v16, 0x7fff
	v_and_b32_e32 v6, 0xffff0000, v6
	s_wait_alu 0xfffd
	v_dual_cndmask_b32 v7, v23, v24 :: v_dual_and_b32 v14, 0xffff0000, v15
	v_cmp_u_f32_e32 vcc_lo, v16, v16
	s_delay_alu instid0(VALU_DEP_3) | instskip(SKIP_1) | instid1(VALU_DEP_3)
	v_dual_add_f32 v6, v6, v11 :: v_dual_and_b32 v11, 0xffff0000, v1
	s_wait_alu 0xfffd
	v_dual_cndmask_b32 v16, v21, v22 :: v_dual_and_b32 v7, 0xffff0000, v7
	v_bfe_u32 v21, v8, 16, 1
	v_cmp_u_f32_e32 vcc_lo, v8, v8
	v_dual_add_f32 v5, v6, v5 :: v_dual_mul_f32 v6, v41, v11
	v_lshlrev_b32_e32 v1, 16, v1
	s_delay_alu instid0(VALU_DEP_4) | instskip(SKIP_1) | instid1(VALU_DEP_4)
	v_add3_u32 v15, v21, v8, 0x7fff
	v_or_b32_e32 v21, 0x400000, v8
	v_bfe_u32 v11, v6, 16, 1
	s_delay_alu instid0(VALU_DEP_4) | instskip(SKIP_1) | instid1(VALU_DEP_3)
	v_mul_f32_e32 v1, v46, v1
	s_wait_alu 0xfffd
	v_dual_cndmask_b32 v8, v15, v21 :: v_dual_and_b32 v15, 0xffff0000, v16
	s_delay_alu instid0(VALU_DEP_3) | instskip(NEXT) | instid1(VALU_DEP_3)
	v_add3_u32 v11, v11, v6, 0x7fff
	v_bfe_u32 v16, v1, 16, 1
	v_cmp_u_f32_e32 vcc_lo, v6, v6
	s_delay_alu instid0(VALU_DEP_4) | instskip(SKIP_2) | instid1(VALU_DEP_3)
	v_dual_add_f32 v7, v7, v14 :: v_dual_and_b32 v8, 0xffff0000, v8
	v_or_b32_e32 v14, 0x400000, v6
	v_or_b32_e32 v21, 0x400000, v1
	v_dual_add_f32 v8, v8, v15 :: v_dual_add_f32 v5, v7, v5
	v_and_b32_e32 v7, 0xffff0000, v2
	v_lshlrev_b32_e32 v2, 16, v2
	s_wait_alu 0xfffd
	v_cndmask_b32_e32 v6, v11, v14, vcc_lo
	v_add3_u32 v14, v16, v1, 0x7fff
	v_and_b32_e32 v16, 0xffff0000, v3
	v_dual_mul_f32 v7, v42, v7 :: v_dual_mul_f32 v2, v47, v2
	v_cmp_u_f32_e32 vcc_lo, v1, v1
	s_delay_alu instid0(VALU_DEP_3) | instskip(NEXT) | instid1(VALU_DEP_3)
	v_dual_mul_f32 v16, v43, v16 :: v_dual_lshlrev_b32 v3, 16, v3
	v_bfe_u32 v11, v7, 16, 1
	v_or_b32_e32 v22, 0x400000, v7
	s_wait_alu 0xfffd
	v_cndmask_b32_e32 v1, v14, v21, vcc_lo
	v_bfe_u32 v14, v2, 16, 1
	v_cmp_u_f32_e32 vcc_lo, v7, v7
	v_add3_u32 v11, v11, v7, 0x7fff
	v_and_b32_e32 v21, 0xffff0000, v4
	v_mul_f32_e32 v3, v48, v3
	v_add3_u32 v14, v14, v2, 0x7fff
	v_or_b32_e32 v23, 0x400000, v16
	s_wait_alu 0xfffd
	v_cndmask_b32_e32 v7, v11, v22, vcc_lo
	v_bfe_u32 v11, v16, 16, 1
	v_or_b32_e32 v22, 0x400000, v2
	v_cmp_u_f32_e32 vcc_lo, v2, v2
	v_dual_mul_f32 v21, v44, v21 :: v_dual_lshlrev_b32 v4, 16, v4
	s_delay_alu instid0(VALU_DEP_4)
	v_add3_u32 v11, v11, v16, 0x7fff
	s_wait_alu 0xfffd
	v_dual_cndmask_b32 v2, v14, v22 :: v_dual_and_b32 v1, 0xffff0000, v1
	v_bfe_u32 v14, v3, 16, 1
	v_cmp_u_f32_e32 vcc_lo, v16, v16
	v_bfe_u32 v22, v21, 16, 1
	v_or_b32_e32 v16, 0x400000, v3
	v_mul_f32_e32 v4, v45, v4
	v_add3_u32 v14, v14, v3, 0x7fff
	s_wait_alu 0xfffd
	v_cndmask_b32_e32 v11, v11, v23, vcc_lo
	v_cmp_u_f32_e32 vcc_lo, v3, v3
	v_add3_u32 v22, v22, v21, 0x7fff
	v_or_b32_e32 v23, 0x400000, v21
	v_and_b32_e32 v6, 0xffff0000, v6
	s_wait_alu 0xfffd
	v_dual_cndmask_b32 v3, v14, v16 :: v_dual_and_b32 v2, 0xffff0000, v2
	v_cmp_u_f32_e32 vcc_lo, v21, v21
	v_and_b32_e32 v7, 0xffff0000, v7
	v_bfe_u32 v16, v4, 16, 1
	v_add_f32_e32 v1, v1, v6
	v_and_b32_e32 v3, 0xffff0000, v3
	s_wait_alu 0xfffd
	v_cndmask_b32_e32 v14, v22, v23, vcc_lo
	s_wait_loadcnt 0x0
	v_lshlrev_b32_e32 v22, 16, v17
	v_add_f32_e32 v2, v2, v7
	v_and_b32_e32 v6, 0xffff0000, v11
	v_and_b32_e32 v11, 0xffff0000, v17
	v_add3_u32 v16, v16, v4, 0x7fff
	v_mul_f32_e32 v7, v46, v22
	v_or_b32_e32 v21, 0x400000, v4
	v_cmp_u_f32_e32 vcc_lo, v4, v4
	v_add_f32_e32 v1, v2, v1
	v_add_f32_e32 v3, v3, v6
	v_bfe_u32 v2, v7, 16, 1
	v_dual_mul_f32 v6, v41, v11 :: v_dual_lshlrev_b32 v11, 16, v18
	s_wait_alu 0xfffd
	v_cndmask_b32_e32 v4, v16, v21, vcc_lo
	v_or_b32_e32 v16, 0x400000, v7
	v_add3_u32 v2, v2, v7, 0x7fff
	v_bfe_u32 v17, v6, 16, 1
	v_dual_mul_f32 v11, v47, v11 :: v_dual_and_b32 v18, 0xffff0000, v18
	v_cmp_u_f32_e32 vcc_lo, v7, v7
	v_lshlrev_b32_e32 v21, 16, v19
	s_delay_alu instid0(VALU_DEP_4) | instskip(NEXT) | instid1(VALU_DEP_4)
	v_add3_u32 v7, v17, v6, 0x7fff
	v_bfe_u32 v17, v11, 16, 1
	v_mul_f32_e32 v18, v42, v18
	s_wait_alu 0xfffd
	v_cndmask_b32_e32 v2, v2, v16, vcc_lo
	v_or_b32_e32 v16, 0x400000, v6
	v_cmp_u_f32_e32 vcc_lo, v6, v6
	v_mul_f32_e32 v21, v48, v21
	v_and_b32_e32 v19, 0xffff0000, v19
	v_lshlrev_b32_e32 v22, 16, v20
	v_and_b32_e32 v20, 0xffff0000, v20
	s_wait_alu 0xfffd
	v_cndmask_b32_e32 v6, v7, v16, vcc_lo
	v_add3_u32 v7, v17, v11, 0x7fff
	v_or_b32_e32 v16, 0x400000, v11
	v_bfe_u32 v17, v18, 16, 1
	v_cmp_u_f32_e32 vcc_lo, v11, v11
	v_dual_mul_f32 v19, v43, v19 :: v_dual_mul_f32 v20, v44, v20
	v_and_b32_e32 v6, 0xffff0000, v6
	s_delay_alu instid0(VALU_DEP_4)
	v_add3_u32 v11, v17, v18, 0x7fff
	s_wait_alu 0xfffd
	v_cndmask_b32_e32 v7, v7, v16, vcc_lo
	v_or_b32_e32 v16, 0x400000, v18
	v_bfe_u32 v17, v21, 16, 1
	v_cmp_u_f32_e32 vcc_lo, v18, v18
	v_mul_f32_e32 v18, v45, v22
	v_or_b32_e32 v22, 0x400000, v21
	v_or_b32_e32 v23, 0x400000, v19
	v_add3_u32 v17, v17, v21, 0x7fff
	s_wait_alu 0xfffd
	v_cndmask_b32_e32 v11, v11, v16, vcc_lo
	v_bfe_u32 v16, v19, 16, 1
	v_cmp_u_f32_e32 vcc_lo, v21, v21
	v_bfe_u32 v25, v20, 16, 1
	v_bfe_u32 v24, v18, 16, 1
	v_and_b32_e32 v2, 0xffff0000, v2
	v_add3_u32 v16, v16, v19, 0x7fff
	s_wait_alu 0xfffd
	v_cndmask_b32_e32 v17, v17, v22, vcc_lo
	v_cmp_u_f32_e32 vcc_lo, v19, v19
	v_add3_u32 v21, v25, v20, 0x7fff
	v_or_b32_e32 v22, 0x400000, v20
	v_add3_u32 v19, v24, v18, 0x7fff
	v_and_b32_e32 v11, 0xffff0000, v11
	s_wait_alu 0xfffd
	v_cndmask_b32_e32 v16, v16, v23, vcc_lo
	v_cmp_u_f32_e32 vcc_lo, v20, v20
	v_and_b32_e32 v7, 0xffff0000, v7
	v_or_b32_e32 v23, 0x400000, v18
	v_add_f32_e32 v2, v2, v6
	v_and_b32_e32 v4, 0xffff0000, v4
	s_wait_alu 0xfffd
	v_cndmask_b32_e32 v20, v21, v22, vcc_lo
	v_cmp_u_f32_e32 vcc_lo, v18, v18
	v_dual_add_f32 v6, v7, v11 :: v_dual_and_b32 v7, 0xffff0000, v16
	v_and_b32_e32 v11, 0xffff0000, v17
	v_and_b32_e32 v14, 0xffff0000, v14
	s_wait_alu 0xfffd
	v_cndmask_b32_e32 v16, v19, v23, vcc_lo
	v_dual_add_f32 v2, v6, v2 :: v_dual_add_f32 v1, v3, v1
	v_dual_add_f32 v6, v11, v7 :: v_dual_and_b32 v7, 0xffff0000, v20
	s_delay_alu instid0(VALU_DEP_3) | instskip(SKIP_1) | instid1(VALU_DEP_3)
	v_and_b32_e32 v11, 0xffff0000, v16
	v_add_f32_e32 v3, v4, v14
	v_add_f32_e32 v2, v6, v2
	;; [unrolled: 1-line block ×3, first 2 shown]
	s_delay_alu instid0(VALU_DEP_4) | instskip(SKIP_1) | instid1(VALU_DEP_3)
	v_dual_add_f32 v4, v11, v7 :: v_dual_add_f32 v7, v12, v10
	v_add_f32_e32 v5, v8, v5
	v_dual_add_f32 v1, v3, v1 :: v_dual_add_f32 v84, v84, v6
	s_delay_alu instid0(VALU_DEP_3) | instskip(NEXT) | instid1(VALU_DEP_3)
	v_dual_add_f32 v2, v4, v2 :: v_dual_add_f32 v85, v85, v7
	v_add_f32_e32 v87, v87, v5
	s_delay_alu instid0(VALU_DEP_3) | instskip(NEXT) | instid1(VALU_DEP_3)
	v_add_f32_e32 v86, v86, v1
	v_add_f32_e32 v74, v74, v2
.LBB175_37:                             ;   in Loop: Header=BB175_38 Depth=1
	s_wait_alu 0xfffe
	s_or_b32 exec_lo, exec_lo, s10
	v_add_nc_u32_e32 v70, 4, v70
	v_add_co_u32 v65, s0, v65, 16
	s_wait_alu 0xf1ff
	v_add_co_ci_u32_e64 v66, null, 0, v66, s0
	s_delay_alu instid0(VALU_DEP_3) | instskip(SKIP_3) | instid1(SALU_CYCLE_1)
	v_cmp_le_i32_e32 vcc_lo, s33, v70
	v_add_nc_u32_e32 v69, 0x80, v69
	v_add_nc_u32_e32 v91, 0x200, v91
	s_or_b32 s6, vcc_lo, s6
	s_and_not1_b32 exec_lo, exec_lo, s6
	s_cbranch_execz .LBB175_67
.LBB175_38:                             ; =>This Inner Loop Header: Depth=1
	v_sub_nc_u32_e32 v1, 0, v69
	s_delay_alu instid0(VALU_DEP_1) | instskip(NEXT) | instid1(VALU_DEP_1)
	v_max_i32_e32 v1, v69, v1
	v_mul_hi_u32 v2, v1, s18
	s_delay_alu instid0(VALU_DEP_1) | instskip(NEXT) | instid1(VALU_DEP_1)
	v_mul_lo_u32 v3, v2, s12
	v_sub_nc_u32_e32 v1, v1, v3
	v_add_nc_u32_e32 v3, 1, v2
	s_delay_alu instid0(VALU_DEP_2) | instskip(SKIP_2) | instid1(VALU_DEP_2)
	v_subrev_nc_u32_e32 v4, s12, v1
	v_cmp_le_u32_e32 vcc_lo, s12, v1
	s_wait_alu 0xfffd
	v_dual_cndmask_b32 v2, v2, v3 :: v_dual_cndmask_b32 v1, v1, v4
	v_ashrrev_i32_e32 v3, 31, v69
	s_delay_alu instid0(VALU_DEP_2) | instskip(NEXT) | instid1(VALU_DEP_3)
	v_add_nc_u32_e32 v4, 1, v2
	v_cmp_le_u32_e32 vcc_lo, s12, v1
	s_delay_alu instid0(VALU_DEP_3) | instskip(SKIP_1) | instid1(VALU_DEP_3)
	v_xor_b32_e32 v3, s19, v3
	s_wait_alu 0xfffd
	v_cndmask_b32_e32 v1, v2, v4, vcc_lo
	s_delay_alu instid0(VALU_DEP_1) | instskip(NEXT) | instid1(VALU_DEP_1)
	v_xor_b32_e32 v1, v1, v3
	v_sub_nc_u32_e32 v1, v1, v3
	s_delay_alu instid0(VALU_DEP_1) | instskip(SKIP_1) | instid1(VALU_DEP_2)
	v_add_nc_u32_e32 v2, s17, v1
	v_cmp_lt_i32_e64 s0, s3, v1
	v_sub_nc_u32_e32 v3, 0, v2
	s_delay_alu instid0(VALU_DEP_1) | instskip(SKIP_1) | instid1(VALU_DEP_1)
	v_max_i32_e32 v3, v2, v3
	s_wait_alu 0xfffe
	v_mul_hi_u32 v4, v3, s9
	s_delay_alu instid0(VALU_DEP_1) | instskip(NEXT) | instid1(VALU_DEP_1)
	v_mul_lo_u32 v4, v4, s2
	v_sub_nc_u32_e32 v3, v3, v4
	s_delay_alu instid0(VALU_DEP_1) | instskip(SKIP_2) | instid1(VALU_DEP_2)
	v_subrev_nc_u32_e32 v4, s2, v3
	v_cmp_le_u32_e32 vcc_lo, s2, v3
	s_wait_alu 0xfffd
	v_cndmask_b32_e32 v3, v3, v4, vcc_lo
	v_ashrrev_i32_e32 v2, 31, v2
	s_delay_alu instid0(VALU_DEP_2) | instskip(SKIP_2) | instid1(VALU_DEP_2)
	v_subrev_nc_u32_e32 v4, s2, v3
	v_cmp_le_u32_e32 vcc_lo, s2, v3
	s_wait_alu 0xfffd
	v_cndmask_b32_e32 v3, v3, v4, vcc_lo
	s_delay_alu instid0(VALU_DEP_1) | instskip(NEXT) | instid1(VALU_DEP_1)
	v_xor_b32_e32 v3, v3, v2
	v_sub_nc_u32_e32 v2, v3, v2
	s_delay_alu instid0(VALU_DEP_1)
	v_cmp_eq_u32_e32 vcc_lo, 0, v2
	s_or_b32 s0, vcc_lo, s0
	s_wait_alu 0xfffe
	s_and_saveexec_b32 s10, s0
	s_cbranch_execz .LBB175_37
; %bb.39:                               ;   in Loop: Header=BB175_38 Depth=1
	global_load_b32 v1, v[65:66], off
	v_add_nc_u32_e32 v99, v88, v69
	s_delay_alu instid0(VALU_DEP_1)
	v_add_nc_u32_e32 v97, 1, v99
	v_or_b32_e32 v96, 3, v99
	v_or_b32_e32 v98, 2, v99
	;; [unrolled: 1-line block ×6, first 2 shown]
	s_wait_loadcnt 0x0
	v_mad_co_i64_i32 v[1:2], null, v1, s4, 0
	s_delay_alu instid0(VALU_DEP_1) | instskip(NEXT) | instid1(VALU_DEP_1)
	v_lshlrev_b64_e32 v[1:2], 1, v[1:2]
	v_add_co_u32 v17, vcc_lo, v89, v1
	s_wait_alu 0xfffd
	s_delay_alu instid0(VALU_DEP_2)
	v_add_co_ci_u32_e64 v18, null, v90, v2, vcc_lo
	v_cmp_eq_u32_e32 vcc_lo, s5, v70
	global_load_b128 v[1:4], v[17:18], off
	ds_load_2addr_b64 v[45:48], v91 offset1:1
	ds_load_2addr_b64 v[41:44], v91 offset0:2 offset1:3
	s_and_saveexec_b32 s11, vcc_lo
	s_cbranch_execnz .LBB175_53
; %bb.40:                               ;   in Loop: Header=BB175_38 Depth=1
	s_wait_alu 0xfffe
	s_or_b32 exec_lo, exec_lo, s11
	global_load_b128 v[5:8], v[17:18], off offset:512
	s_and_saveexec_b32 s11, vcc_lo
	s_cbranch_execnz .LBB175_54
.LBB175_41:                             ;   in Loop: Header=BB175_38 Depth=1
	s_wait_alu 0xfffe
	s_or_b32 exec_lo, exec_lo, s11
	global_load_b128 v[9:12], v[17:18], off offset:1024
	s_and_saveexec_b32 s11, vcc_lo
	s_cbranch_execnz .LBB175_55
.LBB175_42:                             ;   in Loop: Header=BB175_38 Depth=1
	s_wait_alu 0xfffe
	s_or_b32 exec_lo, exec_lo, s11
	global_load_b128 v[13:16], v[17:18], off offset:1536
	s_and_saveexec_b32 s11, vcc_lo
	s_cbranch_execnz .LBB175_56
.LBB175_43:                             ;   in Loop: Header=BB175_38 Depth=1
	s_wait_alu 0xfffe
	s_or_b32 exec_lo, exec_lo, s11
	global_load_b128 v[21:24], v[17:18], off offset:2048
	s_and_saveexec_b32 s11, vcc_lo
	s_cbranch_execnz .LBB175_57
.LBB175_44:                             ;   in Loop: Header=BB175_38 Depth=1
	s_wait_alu 0xfffe
	s_or_b32 exec_lo, exec_lo, s11
	global_load_b128 v[25:28], v[17:18], off offset:2560
	s_and_saveexec_b32 s11, vcc_lo
	s_cbranch_execnz .LBB175_58
.LBB175_45:                             ;   in Loop: Header=BB175_38 Depth=1
	s_wait_alu 0xfffe
	s_or_b32 exec_lo, exec_lo, s11
	global_load_b128 v[29:32], v[17:18], off offset:3072
	s_and_saveexec_b32 s11, vcc_lo
	s_cbranch_execnz .LBB175_59
.LBB175_46:                             ;   in Loop: Header=BB175_38 Depth=1
	s_wait_alu 0xfffe
	s_or_b32 exec_lo, exec_lo, s11
	global_load_b128 v[33:36], v[17:18], off offset:3584
	s_and_saveexec_b32 s11, vcc_lo
	s_cbranch_execnz .LBB175_60
.LBB175_47:                             ;   in Loop: Header=BB175_38 Depth=1
	s_wait_alu 0xfffe
	s_or_b32 exec_lo, exec_lo, s11
	global_load_b128 v[37:40], v[17:18], off offset:4096
	s_and_saveexec_b32 s11, vcc_lo
	s_cbranch_execnz .LBB175_61
.LBB175_48:                             ;   in Loop: Header=BB175_38 Depth=1
	s_wait_alu 0xfffe
	s_or_b32 exec_lo, exec_lo, s11
	global_load_b128 v[49:52], v[17:18], off offset:4608
	s_and_saveexec_b32 s11, vcc_lo
	s_cbranch_execnz .LBB175_62
.LBB175_49:                             ;   in Loop: Header=BB175_38 Depth=1
	s_wait_alu 0xfffe
	s_or_b32 exec_lo, exec_lo, s11
	global_load_b128 v[53:56], v[17:18], off offset:5120
	s_and_saveexec_b32 s11, vcc_lo
	s_cbranch_execnz .LBB175_63
.LBB175_50:                             ;   in Loop: Header=BB175_38 Depth=1
	s_wait_alu 0xfffe
	s_or_b32 exec_lo, exec_lo, s11
	global_load_b128 v[57:60], v[17:18], off offset:5632
	s_and_saveexec_b32 s11, vcc_lo
	s_cbranch_execnz .LBB175_64
.LBB175_51:                             ;   in Loop: Header=BB175_38 Depth=1
	s_wait_alu 0xfffe
	s_or_b32 exec_lo, exec_lo, s11
	global_load_b128 v[61:64], v[17:18], off offset:6144
	s_and_saveexec_b32 s11, vcc_lo
	s_cbranch_execnz .LBB175_65
.LBB175_52:                             ;   in Loop: Header=BB175_38 Depth=1
	s_wait_alu 0xfffe
	s_or_b32 exec_lo, exec_lo, s11
	global_load_b128 v[17:20], v[17:18], off offset:6656
	s_and_saveexec_b32 s0, vcc_lo
	s_cbranch_execz .LBB175_36
	s_branch .LBB175_66
.LBB175_53:                             ;   in Loop: Header=BB175_38 Depth=1
	v_cmp_gt_i32_e64 s0, s31, v99
	s_wait_loadcnt 0x0
	v_lshrrev_b32_e32 v5, 16, v1
	v_lshrrev_b32_e32 v6, 16, v2
	;; [unrolled: 1-line block ×4, first 2 shown]
	s_wait_alu 0xf1ff
	v_cndmask_b32_e64 v1, 0, v1, s0
	v_cmp_gt_i32_e64 s0, s8, v97
	s_wait_alu 0xf1ff
	s_delay_alu instid0(VALU_DEP_1) | instskip(SKIP_1) | instid1(VALU_DEP_2)
	v_cndmask_b32_e64 v5, 0, v5, s0
	v_cmp_gt_i32_e64 s0, s31, v98
	v_perm_b32 v1, v5, v1, 0x5040100
	s_wait_alu 0xf1ff
	s_delay_alu instid0(VALU_DEP_2) | instskip(SKIP_2) | instid1(VALU_DEP_1)
	v_cndmask_b32_e64 v2, 0, v2, s0
	v_cmp_gt_i32_e64 s0, s8, v96
	s_wait_alu 0xf1ff
	v_cndmask_b32_e64 v6, 0, v6, s0
	v_cmp_gt_i32_e64 s0, s31, v95
	s_delay_alu instid0(VALU_DEP_2) | instskip(SKIP_1) | instid1(VALU_DEP_2)
	v_perm_b32 v2, v6, v2, 0x5040100
	s_wait_alu 0xf1ff
	v_cndmask_b32_e64 v3, 0, v3, s0
	v_cmp_gt_i32_e64 s0, s8, v93
	s_wait_alu 0xf1ff
	s_delay_alu instid0(VALU_DEP_1) | instskip(SKIP_1) | instid1(VALU_DEP_2)
	v_cndmask_b32_e64 v7, 0, v7, s0
	v_cmp_gt_i32_e64 s0, s31, v94
	v_perm_b32 v3, v7, v3, 0x5040100
	s_wait_alu 0xf1ff
	s_delay_alu instid0(VALU_DEP_2) | instskip(SKIP_2) | instid1(VALU_DEP_1)
	v_cndmask_b32_e64 v4, 0, v4, s0
	v_cmp_gt_i32_e64 s0, s8, v92
	s_wait_alu 0xf1ff
	v_cndmask_b32_e64 v8, 0, v8, s0
	s_delay_alu instid0(VALU_DEP_1)
	v_perm_b32 v4, v8, v4, 0x5040100
	s_wait_alu 0xfffe
	s_or_b32 exec_lo, exec_lo, s11
	global_load_b128 v[5:8], v[17:18], off offset:512
	s_and_saveexec_b32 s11, vcc_lo
	s_cbranch_execz .LBB175_41
.LBB175_54:                             ;   in Loop: Header=BB175_38 Depth=1
	v_cmp_gt_i32_e64 s0, s31, v99
	s_wait_loadcnt 0x0
	v_lshrrev_b32_e32 v9, 16, v5
	v_lshrrev_b32_e32 v10, 16, v6
	;; [unrolled: 1-line block ×4, first 2 shown]
	s_wait_alu 0xf1ff
	v_cndmask_b32_e64 v5, 0, v5, s0
	v_cmp_gt_i32_e64 s0, s8, v97
	s_wait_alu 0xf1ff
	s_delay_alu instid0(VALU_DEP_1) | instskip(SKIP_1) | instid1(VALU_DEP_2)
	v_cndmask_b32_e64 v9, 0, v9, s0
	v_cmp_gt_i32_e64 s0, s31, v98
	v_perm_b32 v5, v9, v5, 0x5040100
	s_wait_alu 0xf1ff
	s_delay_alu instid0(VALU_DEP_2) | instskip(SKIP_2) | instid1(VALU_DEP_1)
	v_cndmask_b32_e64 v6, 0, v6, s0
	v_cmp_gt_i32_e64 s0, s8, v96
	s_wait_alu 0xf1ff
	v_cndmask_b32_e64 v10, 0, v10, s0
	v_cmp_gt_i32_e64 s0, s31, v95
	s_delay_alu instid0(VALU_DEP_2) | instskip(SKIP_1) | instid1(VALU_DEP_2)
	v_perm_b32 v6, v10, v6, 0x5040100
	s_wait_alu 0xf1ff
	v_cndmask_b32_e64 v7, 0, v7, s0
	v_cmp_gt_i32_e64 s0, s8, v93
	s_wait_alu 0xf1ff
	s_delay_alu instid0(VALU_DEP_1) | instskip(SKIP_1) | instid1(VALU_DEP_2)
	v_cndmask_b32_e64 v11, 0, v11, s0
	v_cmp_gt_i32_e64 s0, s31, v94
	v_perm_b32 v7, v11, v7, 0x5040100
	s_wait_alu 0xf1ff
	s_delay_alu instid0(VALU_DEP_2) | instskip(SKIP_2) | instid1(VALU_DEP_1)
	v_cndmask_b32_e64 v8, 0, v8, s0
	v_cmp_gt_i32_e64 s0, s8, v92
	s_wait_alu 0xf1ff
	v_cndmask_b32_e64 v12, 0, v12, s0
	s_delay_alu instid0(VALU_DEP_1)
	v_perm_b32 v8, v12, v8, 0x5040100
	s_wait_alu 0xfffe
	s_or_b32 exec_lo, exec_lo, s11
	global_load_b128 v[9:12], v[17:18], off offset:1024
	s_and_saveexec_b32 s11, vcc_lo
	s_cbranch_execz .LBB175_42
.LBB175_55:                             ;   in Loop: Header=BB175_38 Depth=1
	v_cmp_gt_i32_e64 s0, s31, v99
	s_wait_loadcnt 0x0
	v_lshrrev_b32_e32 v13, 16, v9
	v_lshrrev_b32_e32 v14, 16, v10
	;; [unrolled: 1-line block ×4, first 2 shown]
	s_wait_alu 0xf1ff
	v_cndmask_b32_e64 v9, 0, v9, s0
	v_cmp_gt_i32_e64 s0, s8, v97
	s_wait_alu 0xf1ff
	s_delay_alu instid0(VALU_DEP_1) | instskip(SKIP_1) | instid1(VALU_DEP_2)
	v_cndmask_b32_e64 v13, 0, v13, s0
	v_cmp_gt_i32_e64 s0, s31, v98
	v_perm_b32 v9, v13, v9, 0x5040100
	s_wait_alu 0xf1ff
	s_delay_alu instid0(VALU_DEP_2) | instskip(SKIP_2) | instid1(VALU_DEP_1)
	v_cndmask_b32_e64 v10, 0, v10, s0
	v_cmp_gt_i32_e64 s0, s8, v96
	s_wait_alu 0xf1ff
	v_cndmask_b32_e64 v14, 0, v14, s0
	v_cmp_gt_i32_e64 s0, s31, v95
	s_delay_alu instid0(VALU_DEP_2) | instskip(SKIP_1) | instid1(VALU_DEP_2)
	v_perm_b32 v10, v14, v10, 0x5040100
	s_wait_alu 0xf1ff
	v_cndmask_b32_e64 v11, 0, v11, s0
	v_cmp_gt_i32_e64 s0, s8, v93
	s_wait_alu 0xf1ff
	s_delay_alu instid0(VALU_DEP_1) | instskip(SKIP_1) | instid1(VALU_DEP_2)
	v_cndmask_b32_e64 v15, 0, v15, s0
	v_cmp_gt_i32_e64 s0, s31, v94
	v_perm_b32 v11, v15, v11, 0x5040100
	s_wait_alu 0xf1ff
	s_delay_alu instid0(VALU_DEP_2) | instskip(SKIP_2) | instid1(VALU_DEP_1)
	v_cndmask_b32_e64 v12, 0, v12, s0
	v_cmp_gt_i32_e64 s0, s8, v92
	s_wait_alu 0xf1ff
	v_cndmask_b32_e64 v16, 0, v16, s0
	s_delay_alu instid0(VALU_DEP_1)
	v_perm_b32 v12, v16, v12, 0x5040100
	s_wait_alu 0xfffe
	s_or_b32 exec_lo, exec_lo, s11
	global_load_b128 v[13:16], v[17:18], off offset:1536
	s_and_saveexec_b32 s11, vcc_lo
	s_cbranch_execz .LBB175_43
.LBB175_56:                             ;   in Loop: Header=BB175_38 Depth=1
	v_cmp_gt_i32_e64 s0, s31, v99
	s_wait_loadcnt 0x0
	v_lshrrev_b32_e32 v19, 16, v13
	v_lshrrev_b32_e32 v20, 16, v14
	;; [unrolled: 1-line block ×4, first 2 shown]
	s_wait_alu 0xf1ff
	v_cndmask_b32_e64 v13, 0, v13, s0
	v_cmp_gt_i32_e64 s0, s8, v97
	s_wait_alu 0xf1ff
	s_delay_alu instid0(VALU_DEP_1) | instskip(SKIP_1) | instid1(VALU_DEP_2)
	v_cndmask_b32_e64 v19, 0, v19, s0
	v_cmp_gt_i32_e64 s0, s31, v98
	v_perm_b32 v13, v19, v13, 0x5040100
	s_wait_alu 0xf1ff
	s_delay_alu instid0(VALU_DEP_2) | instskip(SKIP_2) | instid1(VALU_DEP_1)
	v_cndmask_b32_e64 v14, 0, v14, s0
	v_cmp_gt_i32_e64 s0, s8, v96
	s_wait_alu 0xf1ff
	v_cndmask_b32_e64 v20, 0, v20, s0
	v_cmp_gt_i32_e64 s0, s31, v95
	s_delay_alu instid0(VALU_DEP_2) | instskip(SKIP_1) | instid1(VALU_DEP_2)
	v_perm_b32 v14, v20, v14, 0x5040100
	s_wait_alu 0xf1ff
	v_cndmask_b32_e64 v15, 0, v15, s0
	v_cmp_gt_i32_e64 s0, s8, v93
	s_wait_alu 0xf1ff
	s_delay_alu instid0(VALU_DEP_1) | instskip(SKIP_1) | instid1(VALU_DEP_2)
	v_cndmask_b32_e64 v21, 0, v21, s0
	v_cmp_gt_i32_e64 s0, s31, v94
	v_perm_b32 v15, v21, v15, 0x5040100
	s_wait_alu 0xf1ff
	s_delay_alu instid0(VALU_DEP_2) | instskip(SKIP_2) | instid1(VALU_DEP_1)
	v_cndmask_b32_e64 v16, 0, v16, s0
	v_cmp_gt_i32_e64 s0, s8, v92
	s_wait_alu 0xf1ff
	v_cndmask_b32_e64 v22, 0, v22, s0
	s_delay_alu instid0(VALU_DEP_1)
	v_perm_b32 v16, v22, v16, 0x5040100
	s_wait_alu 0xfffe
	s_or_b32 exec_lo, exec_lo, s11
	global_load_b128 v[21:24], v[17:18], off offset:2048
	s_and_saveexec_b32 s11, vcc_lo
	s_cbranch_execz .LBB175_44
.LBB175_57:                             ;   in Loop: Header=BB175_38 Depth=1
	v_cmp_gt_i32_e64 s0, s31, v99
	s_wait_loadcnt 0x0
	v_lshrrev_b32_e32 v19, 16, v21
	v_lshrrev_b32_e32 v26, 16, v24
	s_wait_alu 0xf1ff
	v_cndmask_b32_e64 v20, 0, v21, s0
	v_cmp_gt_i32_e64 s0, s8, v97
	v_lshrrev_b32_e32 v21, 16, v22
	s_wait_alu 0xf1ff
	s_delay_alu instid0(VALU_DEP_2) | instskip(SKIP_2) | instid1(VALU_DEP_1)
	v_cndmask_b32_e64 v19, 0, v19, s0
	v_cmp_gt_i32_e64 s0, s31, v98
	s_wait_alu 0xf1ff
	v_cndmask_b32_e64 v22, 0, v22, s0
	v_cmp_gt_i32_e64 s0, s8, v96
	s_wait_alu 0xf1ff
	s_delay_alu instid0(VALU_DEP_1) | instskip(SKIP_2) | instid1(VALU_DEP_3)
	v_cndmask_b32_e64 v25, 0, v21, s0
	v_cmp_gt_i32_e64 s0, s31, v95
	v_lshrrev_b32_e32 v21, 16, v23
	v_perm_b32 v22, v25, v22, 0x5040100
	s_wait_alu 0xf1ff
	s_delay_alu instid0(VALU_DEP_3) | instskip(SKIP_2) | instid1(VALU_DEP_1)
	v_cndmask_b32_e64 v23, 0, v23, s0
	v_cmp_gt_i32_e64 s0, s8, v93
	s_wait_alu 0xf1ff
	v_cndmask_b32_e64 v27, 0, v21, s0
	v_cmp_gt_i32_e64 s0, s31, v94
	v_perm_b32 v21, v19, v20, 0x5040100
	s_delay_alu instid0(VALU_DEP_3) | instskip(SKIP_1) | instid1(VALU_DEP_3)
	v_perm_b32 v23, v27, v23, 0x5040100
	s_wait_alu 0xf1ff
	v_cndmask_b32_e64 v24, 0, v24, s0
	v_cmp_gt_i32_e64 s0, s8, v92
	s_wait_alu 0xf1ff
	s_delay_alu instid0(VALU_DEP_1) | instskip(NEXT) | instid1(VALU_DEP_1)
	v_cndmask_b32_e64 v26, 0, v26, s0
	v_perm_b32 v24, v26, v24, 0x5040100
	s_wait_alu 0xfffe
	s_or_b32 exec_lo, exec_lo, s11
	global_load_b128 v[25:28], v[17:18], off offset:2560
	s_and_saveexec_b32 s11, vcc_lo
	s_cbranch_execz .LBB175_45
.LBB175_58:                             ;   in Loop: Header=BB175_38 Depth=1
	v_cmp_gt_i32_e64 s0, s31, v99
	s_wait_loadcnt 0x0
	v_lshrrev_b32_e32 v19, 16, v25
	v_lshrrev_b32_e32 v30, 16, v28
	s_wait_alu 0xf1ff
	v_cndmask_b32_e64 v20, 0, v25, s0
	v_cmp_gt_i32_e64 s0, s8, v97
	v_lshrrev_b32_e32 v25, 16, v26
	s_wait_alu 0xf1ff
	s_delay_alu instid0(VALU_DEP_2) | instskip(SKIP_2) | instid1(VALU_DEP_1)
	v_cndmask_b32_e64 v19, 0, v19, s0
	v_cmp_gt_i32_e64 s0, s31, v98
	s_wait_alu 0xf1ff
	v_cndmask_b32_e64 v26, 0, v26, s0
	v_cmp_gt_i32_e64 s0, s8, v96
	s_wait_alu 0xf1ff
	s_delay_alu instid0(VALU_DEP_1) | instskip(SKIP_2) | instid1(VALU_DEP_3)
	v_cndmask_b32_e64 v29, 0, v25, s0
	v_cmp_gt_i32_e64 s0, s31, v95
	v_lshrrev_b32_e32 v25, 16, v27
	v_perm_b32 v26, v29, v26, 0x5040100
	s_wait_alu 0xf1ff
	s_delay_alu instid0(VALU_DEP_3) | instskip(SKIP_2) | instid1(VALU_DEP_1)
	v_cndmask_b32_e64 v27, 0, v27, s0
	v_cmp_gt_i32_e64 s0, s8, v93
	s_wait_alu 0xf1ff
	v_cndmask_b32_e64 v31, 0, v25, s0
	v_cmp_gt_i32_e64 s0, s31, v94
	v_perm_b32 v25, v19, v20, 0x5040100
	s_delay_alu instid0(VALU_DEP_3) | instskip(SKIP_1) | instid1(VALU_DEP_3)
	v_perm_b32 v27, v31, v27, 0x5040100
	s_wait_alu 0xf1ff
	v_cndmask_b32_e64 v28, 0, v28, s0
	v_cmp_gt_i32_e64 s0, s8, v92
	s_wait_alu 0xf1ff
	s_delay_alu instid0(VALU_DEP_1) | instskip(NEXT) | instid1(VALU_DEP_1)
	v_cndmask_b32_e64 v30, 0, v30, s0
	v_perm_b32 v28, v30, v28, 0x5040100
	s_wait_alu 0xfffe
	s_or_b32 exec_lo, exec_lo, s11
	global_load_b128 v[29:32], v[17:18], off offset:3072
	s_and_saveexec_b32 s11, vcc_lo
	s_cbranch_execz .LBB175_46
.LBB175_59:                             ;   in Loop: Header=BB175_38 Depth=1
	v_cmp_gt_i32_e64 s0, s31, v99
	s_wait_loadcnt 0x0
	v_lshrrev_b32_e32 v19, 16, v29
	v_lshrrev_b32_e32 v34, 16, v32
	s_wait_alu 0xf1ff
	v_cndmask_b32_e64 v20, 0, v29, s0
	v_cmp_gt_i32_e64 s0, s8, v97
	v_lshrrev_b32_e32 v29, 16, v30
	s_wait_alu 0xf1ff
	s_delay_alu instid0(VALU_DEP_2) | instskip(SKIP_2) | instid1(VALU_DEP_1)
	v_cndmask_b32_e64 v19, 0, v19, s0
	v_cmp_gt_i32_e64 s0, s31, v98
	s_wait_alu 0xf1ff
	v_cndmask_b32_e64 v30, 0, v30, s0
	v_cmp_gt_i32_e64 s0, s8, v96
	s_wait_alu 0xf1ff
	s_delay_alu instid0(VALU_DEP_1) | instskip(SKIP_2) | instid1(VALU_DEP_3)
	v_cndmask_b32_e64 v33, 0, v29, s0
	v_cmp_gt_i32_e64 s0, s31, v95
	v_lshrrev_b32_e32 v29, 16, v31
	v_perm_b32 v30, v33, v30, 0x5040100
	s_wait_alu 0xf1ff
	s_delay_alu instid0(VALU_DEP_3) | instskip(SKIP_2) | instid1(VALU_DEP_1)
	v_cndmask_b32_e64 v31, 0, v31, s0
	v_cmp_gt_i32_e64 s0, s8, v93
	s_wait_alu 0xf1ff
	v_cndmask_b32_e64 v35, 0, v29, s0
	v_cmp_gt_i32_e64 s0, s31, v94
	v_perm_b32 v29, v19, v20, 0x5040100
	s_delay_alu instid0(VALU_DEP_3) | instskip(SKIP_1) | instid1(VALU_DEP_3)
	v_perm_b32 v31, v35, v31, 0x5040100
	s_wait_alu 0xf1ff
	v_cndmask_b32_e64 v32, 0, v32, s0
	v_cmp_gt_i32_e64 s0, s8, v92
	s_wait_alu 0xf1ff
	s_delay_alu instid0(VALU_DEP_1) | instskip(NEXT) | instid1(VALU_DEP_1)
	v_cndmask_b32_e64 v34, 0, v34, s0
	v_perm_b32 v32, v34, v32, 0x5040100
	s_wait_alu 0xfffe
	s_or_b32 exec_lo, exec_lo, s11
	global_load_b128 v[33:36], v[17:18], off offset:3584
	s_and_saveexec_b32 s11, vcc_lo
	s_cbranch_execz .LBB175_47
.LBB175_60:                             ;   in Loop: Header=BB175_38 Depth=1
	v_cmp_gt_i32_e64 s0, s31, v99
	s_wait_loadcnt 0x0
	v_lshrrev_b32_e32 v19, 16, v33
	v_lshrrev_b32_e32 v38, 16, v36
	s_wait_alu 0xf1ff
	v_cndmask_b32_e64 v20, 0, v33, s0
	v_cmp_gt_i32_e64 s0, s8, v97
	v_lshrrev_b32_e32 v33, 16, v34
	s_wait_alu 0xf1ff
	s_delay_alu instid0(VALU_DEP_2) | instskip(SKIP_2) | instid1(VALU_DEP_1)
	v_cndmask_b32_e64 v19, 0, v19, s0
	v_cmp_gt_i32_e64 s0, s31, v98
	s_wait_alu 0xf1ff
	v_cndmask_b32_e64 v34, 0, v34, s0
	v_cmp_gt_i32_e64 s0, s8, v96
	s_wait_alu 0xf1ff
	s_delay_alu instid0(VALU_DEP_1) | instskip(SKIP_2) | instid1(VALU_DEP_3)
	v_cndmask_b32_e64 v37, 0, v33, s0
	v_cmp_gt_i32_e64 s0, s31, v95
	v_lshrrev_b32_e32 v33, 16, v35
	v_perm_b32 v34, v37, v34, 0x5040100
	s_wait_alu 0xf1ff
	s_delay_alu instid0(VALU_DEP_3) | instskip(SKIP_2) | instid1(VALU_DEP_1)
	v_cndmask_b32_e64 v35, 0, v35, s0
	v_cmp_gt_i32_e64 s0, s8, v93
	s_wait_alu 0xf1ff
	v_cndmask_b32_e64 v39, 0, v33, s0
	v_cmp_gt_i32_e64 s0, s31, v94
	v_perm_b32 v33, v19, v20, 0x5040100
	s_delay_alu instid0(VALU_DEP_3) | instskip(SKIP_1) | instid1(VALU_DEP_3)
	v_perm_b32 v35, v39, v35, 0x5040100
	s_wait_alu 0xf1ff
	v_cndmask_b32_e64 v36, 0, v36, s0
	v_cmp_gt_i32_e64 s0, s8, v92
	s_wait_alu 0xf1ff
	s_delay_alu instid0(VALU_DEP_1) | instskip(NEXT) | instid1(VALU_DEP_1)
	v_cndmask_b32_e64 v38, 0, v38, s0
	v_perm_b32 v36, v38, v36, 0x5040100
	s_wait_alu 0xfffe
	s_or_b32 exec_lo, exec_lo, s11
	global_load_b128 v[37:40], v[17:18], off offset:4096
	s_and_saveexec_b32 s11, vcc_lo
	s_cbranch_execz .LBB175_48
.LBB175_61:                             ;   in Loop: Header=BB175_38 Depth=1
	v_cmp_gt_i32_e64 s0, s31, v99
	s_wait_loadcnt 0x0
	v_lshrrev_b32_e32 v19, 16, v37
	v_lshrrev_b32_e32 v50, 16, v40
	s_wait_alu 0xf1ff
	v_cndmask_b32_e64 v20, 0, v37, s0
	v_cmp_gt_i32_e64 s0, s8, v97
	v_lshrrev_b32_e32 v37, 16, v38
	s_wait_alu 0xf1ff
	s_delay_alu instid0(VALU_DEP_2) | instskip(SKIP_2) | instid1(VALU_DEP_1)
	v_cndmask_b32_e64 v19, 0, v19, s0
	v_cmp_gt_i32_e64 s0, s31, v98
	s_wait_alu 0xf1ff
	v_cndmask_b32_e64 v38, 0, v38, s0
	v_cmp_gt_i32_e64 s0, s8, v96
	s_wait_alu 0xf1ff
	s_delay_alu instid0(VALU_DEP_1) | instskip(SKIP_2) | instid1(VALU_DEP_3)
	v_cndmask_b32_e64 v49, 0, v37, s0
	v_cmp_gt_i32_e64 s0, s31, v95
	v_lshrrev_b32_e32 v37, 16, v39
	v_perm_b32 v38, v49, v38, 0x5040100
	s_wait_alu 0xf1ff
	s_delay_alu instid0(VALU_DEP_3) | instskip(SKIP_2) | instid1(VALU_DEP_1)
	v_cndmask_b32_e64 v39, 0, v39, s0
	v_cmp_gt_i32_e64 s0, s8, v93
	s_wait_alu 0xf1ff
	v_cndmask_b32_e64 v51, 0, v37, s0
	v_cmp_gt_i32_e64 s0, s31, v94
	v_perm_b32 v37, v19, v20, 0x5040100
	s_delay_alu instid0(VALU_DEP_3) | instskip(SKIP_1) | instid1(VALU_DEP_3)
	v_perm_b32 v39, v51, v39, 0x5040100
	s_wait_alu 0xf1ff
	v_cndmask_b32_e64 v40, 0, v40, s0
	v_cmp_gt_i32_e64 s0, s8, v92
	s_wait_alu 0xf1ff
	s_delay_alu instid0(VALU_DEP_1) | instskip(NEXT) | instid1(VALU_DEP_1)
	v_cndmask_b32_e64 v50, 0, v50, s0
	v_perm_b32 v40, v50, v40, 0x5040100
	s_wait_alu 0xfffe
	s_or_b32 exec_lo, exec_lo, s11
	global_load_b128 v[49:52], v[17:18], off offset:4608
	s_and_saveexec_b32 s11, vcc_lo
	s_cbranch_execz .LBB175_49
.LBB175_62:                             ;   in Loop: Header=BB175_38 Depth=1
	v_cmp_gt_i32_e64 s0, s31, v99
	s_wait_loadcnt 0x0
	v_lshrrev_b32_e32 v19, 16, v49
	v_lshrrev_b32_e32 v54, 16, v52
	s_wait_alu 0xf1ff
	v_cndmask_b32_e64 v20, 0, v49, s0
	v_cmp_gt_i32_e64 s0, s8, v97
	v_lshrrev_b32_e32 v49, 16, v50
	s_wait_alu 0xf1ff
	s_delay_alu instid0(VALU_DEP_2) | instskip(SKIP_2) | instid1(VALU_DEP_1)
	v_cndmask_b32_e64 v19, 0, v19, s0
	v_cmp_gt_i32_e64 s0, s31, v98
	s_wait_alu 0xf1ff
	v_cndmask_b32_e64 v50, 0, v50, s0
	v_cmp_gt_i32_e64 s0, s8, v96
	s_wait_alu 0xf1ff
	s_delay_alu instid0(VALU_DEP_1) | instskip(SKIP_2) | instid1(VALU_DEP_3)
	v_cndmask_b32_e64 v53, 0, v49, s0
	v_cmp_gt_i32_e64 s0, s31, v95
	v_lshrrev_b32_e32 v49, 16, v51
	v_perm_b32 v50, v53, v50, 0x5040100
	s_wait_alu 0xf1ff
	s_delay_alu instid0(VALU_DEP_3) | instskip(SKIP_2) | instid1(VALU_DEP_1)
	v_cndmask_b32_e64 v51, 0, v51, s0
	v_cmp_gt_i32_e64 s0, s8, v93
	s_wait_alu 0xf1ff
	v_cndmask_b32_e64 v55, 0, v49, s0
	v_cmp_gt_i32_e64 s0, s31, v94
	v_perm_b32 v49, v19, v20, 0x5040100
	s_delay_alu instid0(VALU_DEP_3) | instskip(SKIP_1) | instid1(VALU_DEP_3)
	v_perm_b32 v51, v55, v51, 0x5040100
	s_wait_alu 0xf1ff
	v_cndmask_b32_e64 v52, 0, v52, s0
	v_cmp_gt_i32_e64 s0, s8, v92
	s_wait_alu 0xf1ff
	s_delay_alu instid0(VALU_DEP_1) | instskip(NEXT) | instid1(VALU_DEP_1)
	v_cndmask_b32_e64 v54, 0, v54, s0
	v_perm_b32 v52, v54, v52, 0x5040100
	s_wait_alu 0xfffe
	s_or_b32 exec_lo, exec_lo, s11
	global_load_b128 v[53:56], v[17:18], off offset:5120
	s_and_saveexec_b32 s11, vcc_lo
	s_cbranch_execz .LBB175_50
.LBB175_63:                             ;   in Loop: Header=BB175_38 Depth=1
	v_cmp_gt_i32_e64 s0, s31, v99
	s_wait_loadcnt 0x0
	v_lshrrev_b32_e32 v19, 16, v53
	v_lshrrev_b32_e32 v58, 16, v56
	s_wait_alu 0xf1ff
	v_cndmask_b32_e64 v20, 0, v53, s0
	v_cmp_gt_i32_e64 s0, s8, v97
	v_lshrrev_b32_e32 v53, 16, v54
	s_wait_alu 0xf1ff
	s_delay_alu instid0(VALU_DEP_2) | instskip(SKIP_2) | instid1(VALU_DEP_1)
	v_cndmask_b32_e64 v19, 0, v19, s0
	v_cmp_gt_i32_e64 s0, s31, v98
	s_wait_alu 0xf1ff
	v_cndmask_b32_e64 v54, 0, v54, s0
	v_cmp_gt_i32_e64 s0, s8, v96
	s_wait_alu 0xf1ff
	s_delay_alu instid0(VALU_DEP_1) | instskip(SKIP_2) | instid1(VALU_DEP_3)
	v_cndmask_b32_e64 v57, 0, v53, s0
	v_cmp_gt_i32_e64 s0, s31, v95
	v_lshrrev_b32_e32 v53, 16, v55
	v_perm_b32 v54, v57, v54, 0x5040100
	s_wait_alu 0xf1ff
	s_delay_alu instid0(VALU_DEP_3) | instskip(SKIP_2) | instid1(VALU_DEP_1)
	v_cndmask_b32_e64 v55, 0, v55, s0
	v_cmp_gt_i32_e64 s0, s8, v93
	s_wait_alu 0xf1ff
	v_cndmask_b32_e64 v59, 0, v53, s0
	v_cmp_gt_i32_e64 s0, s31, v94
	v_perm_b32 v53, v19, v20, 0x5040100
	s_delay_alu instid0(VALU_DEP_3) | instskip(SKIP_1) | instid1(VALU_DEP_3)
	v_perm_b32 v55, v59, v55, 0x5040100
	s_wait_alu 0xf1ff
	v_cndmask_b32_e64 v56, 0, v56, s0
	v_cmp_gt_i32_e64 s0, s8, v92
	s_wait_alu 0xf1ff
	s_delay_alu instid0(VALU_DEP_1) | instskip(NEXT) | instid1(VALU_DEP_1)
	v_cndmask_b32_e64 v58, 0, v58, s0
	v_perm_b32 v56, v58, v56, 0x5040100
	s_wait_alu 0xfffe
	s_or_b32 exec_lo, exec_lo, s11
	global_load_b128 v[57:60], v[17:18], off offset:5632
	s_and_saveexec_b32 s11, vcc_lo
	s_cbranch_execz .LBB175_51
.LBB175_64:                             ;   in Loop: Header=BB175_38 Depth=1
	v_cmp_gt_i32_e64 s0, s31, v99
	s_wait_loadcnt 0x0
	v_lshrrev_b32_e32 v19, 16, v57
	v_lshrrev_b32_e32 v62, 16, v60
	s_wait_alu 0xf1ff
	v_cndmask_b32_e64 v20, 0, v57, s0
	v_cmp_gt_i32_e64 s0, s8, v97
	v_lshrrev_b32_e32 v57, 16, v58
	s_wait_alu 0xf1ff
	s_delay_alu instid0(VALU_DEP_2) | instskip(SKIP_2) | instid1(VALU_DEP_1)
	v_cndmask_b32_e64 v19, 0, v19, s0
	v_cmp_gt_i32_e64 s0, s31, v98
	s_wait_alu 0xf1ff
	v_cndmask_b32_e64 v58, 0, v58, s0
	v_cmp_gt_i32_e64 s0, s8, v96
	s_wait_alu 0xf1ff
	s_delay_alu instid0(VALU_DEP_1) | instskip(SKIP_2) | instid1(VALU_DEP_3)
	v_cndmask_b32_e64 v61, 0, v57, s0
	v_cmp_gt_i32_e64 s0, s31, v95
	v_lshrrev_b32_e32 v57, 16, v59
	v_perm_b32 v58, v61, v58, 0x5040100
	s_wait_alu 0xf1ff
	s_delay_alu instid0(VALU_DEP_3) | instskip(SKIP_2) | instid1(VALU_DEP_1)
	v_cndmask_b32_e64 v59, 0, v59, s0
	v_cmp_gt_i32_e64 s0, s8, v93
	s_wait_alu 0xf1ff
	v_cndmask_b32_e64 v63, 0, v57, s0
	v_cmp_gt_i32_e64 s0, s31, v94
	v_perm_b32 v57, v19, v20, 0x5040100
	s_delay_alu instid0(VALU_DEP_3) | instskip(SKIP_1) | instid1(VALU_DEP_3)
	v_perm_b32 v59, v63, v59, 0x5040100
	s_wait_alu 0xf1ff
	v_cndmask_b32_e64 v60, 0, v60, s0
	v_cmp_gt_i32_e64 s0, s8, v92
	s_wait_alu 0xf1ff
	s_delay_alu instid0(VALU_DEP_1) | instskip(NEXT) | instid1(VALU_DEP_1)
	v_cndmask_b32_e64 v62, 0, v62, s0
	v_perm_b32 v60, v62, v60, 0x5040100
	s_wait_alu 0xfffe
	s_or_b32 exec_lo, exec_lo, s11
	global_load_b128 v[61:64], v[17:18], off offset:6144
	s_and_saveexec_b32 s11, vcc_lo
	s_cbranch_execz .LBB175_52
.LBB175_65:                             ;   in Loop: Header=BB175_38 Depth=1
	v_cmp_gt_i32_e64 s0, s31, v99
	s_wait_loadcnt 0x0
	v_lshrrev_b32_e32 v19, 16, v61
	v_lshrrev_b32_e32 v100, 16, v64
	s_wait_alu 0xf1ff
	v_cndmask_b32_e64 v20, 0, v61, s0
	v_cmp_gt_i32_e64 s0, s8, v97
	v_lshrrev_b32_e32 v61, 16, v62
	s_wait_alu 0xf1ff
	s_delay_alu instid0(VALU_DEP_2) | instskip(SKIP_2) | instid1(VALU_DEP_1)
	v_cndmask_b32_e64 v19, 0, v19, s0
	v_cmp_gt_i32_e64 s0, s31, v98
	s_wait_alu 0xf1ff
	v_cndmask_b32_e64 v62, 0, v62, s0
	v_cmp_gt_i32_e64 s0, s8, v96
	s_wait_alu 0xf1ff
	s_delay_alu instid0(VALU_DEP_1) | instskip(SKIP_2) | instid1(VALU_DEP_3)
	v_cndmask_b32_e64 v67, 0, v61, s0
	v_cmp_gt_i32_e64 s0, s31, v95
	v_lshrrev_b32_e32 v61, 16, v63
	v_perm_b32 v62, v67, v62, 0x5040100
	s_wait_alu 0xf1ff
	s_delay_alu instid0(VALU_DEP_3) | instskip(SKIP_2) | instid1(VALU_DEP_1)
	v_cndmask_b32_e64 v63, 0, v63, s0
	v_cmp_gt_i32_e64 s0, s8, v93
	s_wait_alu 0xf1ff
	v_cndmask_b32_e64 v101, 0, v61, s0
	v_cmp_gt_i32_e64 s0, s31, v94
	v_perm_b32 v61, v19, v20, 0x5040100
	s_delay_alu instid0(VALU_DEP_3) | instskip(SKIP_1) | instid1(VALU_DEP_3)
	v_perm_b32 v63, v101, v63, 0x5040100
	s_wait_alu 0xf1ff
	v_cndmask_b32_e64 v64, 0, v64, s0
	v_cmp_gt_i32_e64 s0, s8, v92
	s_wait_alu 0xf1ff
	s_delay_alu instid0(VALU_DEP_1) | instskip(NEXT) | instid1(VALU_DEP_1)
	v_cndmask_b32_e64 v100, 0, v100, s0
	v_perm_b32 v64, v100, v64, 0x5040100
	s_wait_alu 0xfffe
	s_or_b32 exec_lo, exec_lo, s11
	global_load_b128 v[17:20], v[17:18], off offset:6656
	s_and_saveexec_b32 s0, vcc_lo
	s_cbranch_execz .LBB175_36
.LBB175_66:                             ;   in Loop: Header=BB175_38 Depth=1
	v_cmp_gt_i32_e32 vcc_lo, s31, v99
	s_wait_loadcnt 0x0
	v_lshrrev_b32_e32 v67, 16, v17
	v_lshrrev_b32_e32 v99, 16, v18
	s_wait_alu 0xfffd
	v_cndmask_b32_e32 v17, 0, v17, vcc_lo
	v_cmp_gt_i32_e32 vcc_lo, s8, v97
	v_lshrrev_b32_e32 v97, 16, v19
	s_wait_alu 0xfffd
	v_cndmask_b32_e32 v67, 0, v67, vcc_lo
	v_cmp_gt_i32_e32 vcc_lo, s31, v98
	s_wait_alu 0xfffd
	v_cndmask_b32_e32 v18, 0, v18, vcc_lo
	v_cmp_gt_i32_e32 vcc_lo, s8, v96
	;; [unrolled: 3-line block ×3, first 2 shown]
	v_lshrrev_b32_e32 v95, 16, v20
	s_wait_alu 0xfffd
	v_cndmask_b32_e32 v19, 0, v19, vcc_lo
	v_cmp_gt_i32_e32 vcc_lo, s8, v93
	s_wait_alu 0xfffd
	v_cndmask_b32_e32 v93, 0, v97, vcc_lo
	v_cmp_gt_i32_e32 vcc_lo, s31, v94
	v_perm_b32 v18, v96, v18, 0x5040100
	s_delay_alu instid0(VALU_DEP_3)
	v_perm_b32 v19, v93, v19, 0x5040100
	s_wait_alu 0xfffd
	v_cndmask_b32_e32 v20, 0, v20, vcc_lo
	v_cmp_gt_i32_e32 vcc_lo, s8, v92
	v_perm_b32 v17, v67, v17, 0x5040100
	s_wait_alu 0xfffd
	v_cndmask_b32_e32 v92, 0, v95, vcc_lo
	s_delay_alu instid0(VALU_DEP_1)
	v_perm_b32 v20, v92, v20, 0x5040100
	s_branch .LBB175_36
.LBB175_67:
	s_or_b32 exec_lo, exec_lo, s6
.LBB175_68:
	s_wait_alu 0xfffe
	s_or_b32 exec_lo, exec_lo, s1
	ds_bpermute_b32 v1, v72, v86
	ds_bpermute_b32 v2, v72, v87
	;; [unrolled: 1-line block ×14, first 2 shown]
	s_mov_b32 s0, exec_lo
	s_wait_storecnt 0x0
	s_wait_loadcnt_dscnt 0x0
	s_barrier_signal -1
	s_barrier_wait -1
	global_inv scope:SCOPE_SE
	v_dual_add_f32 v1, v86, v1 :: v_dual_add_f32 v2, v87, v2
	v_add_f32_e32 v3, v85, v3
	v_dual_add_f32 v5, v83, v5 :: v_dual_add_f32 v6, v82, v6
	ds_bpermute_b32 v15, v71, v1
	v_add_f32_e32 v7, v81, v7
	v_dual_add_f32 v21, v79, v9 :: v_dual_add_f32 v4, v84, v4
	ds_bpermute_b32 v16, v71, v2
	ds_bpermute_b32 v17, v71, v3
	;; [unrolled: 1-line block ×3, first 2 shown]
	v_add_f32_e32 v20, v80, v8
	ds_bpermute_b32 v8, v71, v6
	ds_bpermute_b32 v22, v71, v7
	v_add_f32_e32 v31, v74, v14
	v_add_f32_e32 v23, v78, v10
	v_add_f32_e32 v25, v77, v11
	v_add_f32_e32 v27, v76, v12
	ds_bpermute_b32 v18, v71, v4
	ds_bpermute_b32 v24, v71, v20
	s_wait_dscnt 0x7
	v_add_f32_e32 v14, v1, v15
	ds_bpermute_b32 v26, v71, v21
	v_add_f32_e32 v29, v75, v13
	v_lshrrev_b32_e32 v15, 2, v68
	s_wait_dscnt 0x6
	v_add_f32_e32 v12, v3, v17
	ds_bpermute_b32 v28, v71, v23
	s_wait_dscnt 0x6
	v_add_f32_e32 v10, v5, v19
	ds_bpermute_b32 v32, v71, v27
	s_wait_dscnt 0x5
	v_dual_add_f32 v9, v6, v8 :: v_dual_add_f32 v8, v7, v22
	ds_bpermute_b32 v30, v71, v25
	v_add_f32_e32 v13, v2, v16
	v_and_b32_e32 v16, 28, v68
	ds_bpermute_b32 v34, v71, v31
	s_wait_dscnt 0x5
	v_add_f32_e32 v7, v20, v24
	v_mul_u32_u24_e32 v17, 0x1c0, v167
	v_add_nc_u32_e32 v16, 0x100, v16
	s_wait_dscnt 0x4
	v_add_f32_e32 v6, v21, v26
	ds_bpermute_b32 v33, v71, v29
	v_dual_add_f32 v11, v4, v18 :: v_dual_and_b32 v18, 0x3c3, v0
	s_wait_dscnt 0x4
	v_add_f32_e32 v5, v23, v28
	s_wait_dscnt 0x2
	v_dual_add_f32 v1, v27, v32 :: v_dual_add_f32 v4, v25, v30
	s_wait_dscnt 0x0
	v_dual_add_f32 v3, v31, v34 :: v_dual_add_f32 v2, v29, v33
	v_cmpx_eq_u32_e32 64, v18
	s_cbranch_execz .LBB175_70
; %bb.69:
	v_add_nc_u32_e32 v18, v16, v17
	s_delay_alu instid0(VALU_DEP_1)
	v_add_nc_u32_e32 v19, 0xfffffc80, v18
	v_add_nc_u32_e32 v20, 0xfffffca0, v18
	;; [unrolled: 1-line block ×8, first 2 shown]
	ds_store_b32 v19, v14
	ds_store_b32 v20, v13
	;; [unrolled: 1-line block ×8, first 2 shown]
	v_add_nc_u32_e32 v19, 0xfffffd80, v18
	v_add_nc_u32_e32 v20, 0xfffffda0, v18
	v_add_nc_u32_e32 v21, 0xfffffdc0, v18
	v_add_nc_u32_e32 v22, 0xfffffde0, v18
	v_add_nc_u32_e32 v23, 0xfffffe00, v18
	v_add_nc_u32_e32 v18, 0xfffffe20, v18
	ds_store_b32 v19, v6
	ds_store_b32 v20, v5
	;; [unrolled: 1-line block ×6, first 2 shown]
.LBB175_70:
	s_wait_alu 0xfffe
	s_or_b32 exec_lo, exec_lo, s0
	v_lshlrev_b32_e32 v15, 2, v15
	s_mov_b32 s1, exec_lo
	v_cmp_eq_u32_e32 vcc_lo, 0, v73
	s_wait_loadcnt_dscnt 0x0
	s_barrier_signal -1
	v_add3_u32 v15, 0x100, v17, v15
	s_barrier_wait -1
	global_inv scope:SCOPE_SE
	v_cmpx_gt_u32_e32 64, v0
	s_cbranch_execz .LBB175_87
; %bb.71:
	s_and_saveexec_b32 s0, vcc_lo
	s_cbranch_execnz .LBB175_109
; %bb.72:
	s_wait_alu 0xfffe
	s_or_b32 exec_lo, exec_lo, s0
	s_and_saveexec_b32 s0, vcc_lo
	s_cbranch_execnz .LBB175_110
.LBB175_73:
	s_wait_alu 0xfffe
	s_or_b32 exec_lo, exec_lo, s0
	s_and_saveexec_b32 s0, vcc_lo
	s_cbranch_execnz .LBB175_111
.LBB175_74:
	s_wait_alu 0xfffe
	s_or_b32 exec_lo, exec_lo, s0
	s_and_saveexec_b32 s0, vcc_lo
	s_cbranch_execnz .LBB175_112
.LBB175_75:
	s_wait_alu 0xfffe
	s_or_b32 exec_lo, exec_lo, s0
	s_and_saveexec_b32 s0, vcc_lo
	s_cbranch_execnz .LBB175_113
.LBB175_76:
	s_wait_alu 0xfffe
	s_or_b32 exec_lo, exec_lo, s0
	s_and_saveexec_b32 s0, vcc_lo
	s_cbranch_execnz .LBB175_114
.LBB175_77:
	s_wait_alu 0xfffe
	s_or_b32 exec_lo, exec_lo, s0
	s_and_saveexec_b32 s0, vcc_lo
	s_cbranch_execnz .LBB175_115
.LBB175_78:
	s_wait_alu 0xfffe
	s_or_b32 exec_lo, exec_lo, s0
	s_and_saveexec_b32 s0, vcc_lo
	s_cbranch_execnz .LBB175_116
.LBB175_79:
	s_wait_alu 0xfffe
	s_or_b32 exec_lo, exec_lo, s0
	s_and_saveexec_b32 s0, vcc_lo
	s_cbranch_execnz .LBB175_117
.LBB175_80:
	s_wait_alu 0xfffe
	s_or_b32 exec_lo, exec_lo, s0
	s_and_saveexec_b32 s0, vcc_lo
	s_cbranch_execnz .LBB175_118
.LBB175_81:
	s_wait_alu 0xfffe
	s_or_b32 exec_lo, exec_lo, s0
	s_and_saveexec_b32 s0, vcc_lo
	s_cbranch_execnz .LBB175_119
.LBB175_82:
	s_wait_alu 0xfffe
	s_or_b32 exec_lo, exec_lo, s0
	s_and_saveexec_b32 s0, vcc_lo
	s_cbranch_execnz .LBB175_120
.LBB175_83:
	s_wait_alu 0xfffe
	s_or_b32 exec_lo, exec_lo, s0
	s_and_saveexec_b32 s0, vcc_lo
	s_cbranch_execnz .LBB175_121
.LBB175_84:
	s_wait_alu 0xfffe
	s_or_b32 exec_lo, exec_lo, s0
	s_and_saveexec_b32 s0, vcc_lo
	s_cbranch_execz .LBB175_86
.LBB175_85:
	ds_load_b32 v17, v15 offset:416
	s_wait_dscnt 0x0
	v_add_f32_e32 v3, v3, v17
.LBB175_86:
	s_wait_alu 0xfffe
	s_or_b32 exec_lo, exec_lo, s0
.LBB175_87:
	s_wait_alu 0xfffe
	s_or_b32 exec_lo, exec_lo, s1
	v_and_b32_e32 v17, 0x3e3, v0
	s_mov_b32 s1, exec_lo
	s_wait_loadcnt 0x0
	s_barrier_signal -1
	s_barrier_wait -1
	global_inv scope:SCOPE_SE
	v_cmpx_eq_u32_e32 32, v17
	s_cbranch_execz .LBB175_89
; %bb.88:
	ds_store_2addr_b32 v16, v14, v13 offset1:8
	ds_store_2addr_b32 v16, v12, v11 offset0:16 offset1:24
	ds_store_2addr_b32 v16, v10, v9 offset0:32 offset1:40
	ds_store_2addr_b32 v16, v8, v7 offset0:48 offset1:56
	ds_store_2addr_b32 v16, v6, v5 offset0:64 offset1:72
	ds_store_2addr_b32 v16, v4, v1 offset0:80 offset1:88
	ds_store_2addr_b32 v16, v2, v3 offset0:96 offset1:104
.LBB175_89:
	s_wait_alu 0xfffe
	s_or_b32 exec_lo, exec_lo, s1
	s_delay_alu instid0(SALU_CYCLE_1)
	s_mov_b32 s1, exec_lo
	s_wait_loadcnt_dscnt 0x0
	s_barrier_signal -1
	s_barrier_wait -1
	global_inv scope:SCOPE_SE
	v_cmpx_gt_u32_e32 32, v0
	s_cbranch_execz .LBB175_106
; %bb.90:
	s_and_saveexec_b32 s0, vcc_lo
	s_cbranch_execnz .LBB175_122
; %bb.91:
	s_wait_alu 0xfffe
	s_or_b32 exec_lo, exec_lo, s0
	s_and_saveexec_b32 s0, vcc_lo
	s_cbranch_execnz .LBB175_123
.LBB175_92:
	s_wait_alu 0xfffe
	s_or_b32 exec_lo, exec_lo, s0
	s_and_saveexec_b32 s0, vcc_lo
	s_cbranch_execnz .LBB175_124
.LBB175_93:
	s_wait_alu 0xfffe
	s_or_b32 exec_lo, exec_lo, s0
	s_and_saveexec_b32 s0, vcc_lo
	s_cbranch_execnz .LBB175_125
.LBB175_94:
	s_wait_alu 0xfffe
	s_or_b32 exec_lo, exec_lo, s0
	s_and_saveexec_b32 s0, vcc_lo
	s_cbranch_execnz .LBB175_126
.LBB175_95:
	s_wait_alu 0xfffe
	s_or_b32 exec_lo, exec_lo, s0
	s_and_saveexec_b32 s0, vcc_lo
	s_cbranch_execnz .LBB175_127
.LBB175_96:
	s_wait_alu 0xfffe
	s_or_b32 exec_lo, exec_lo, s0
	s_and_saveexec_b32 s0, vcc_lo
	s_cbranch_execnz .LBB175_128
.LBB175_97:
	s_wait_alu 0xfffe
	s_or_b32 exec_lo, exec_lo, s0
	s_and_saveexec_b32 s0, vcc_lo
	s_cbranch_execnz .LBB175_129
.LBB175_98:
	s_wait_alu 0xfffe
	s_or_b32 exec_lo, exec_lo, s0
	s_and_saveexec_b32 s0, vcc_lo
	s_cbranch_execnz .LBB175_130
.LBB175_99:
	s_wait_alu 0xfffe
	s_or_b32 exec_lo, exec_lo, s0
	s_and_saveexec_b32 s0, vcc_lo
	s_cbranch_execnz .LBB175_131
.LBB175_100:
	s_wait_alu 0xfffe
	s_or_b32 exec_lo, exec_lo, s0
	s_and_saveexec_b32 s0, vcc_lo
	s_cbranch_execnz .LBB175_132
.LBB175_101:
	s_wait_alu 0xfffe
	s_or_b32 exec_lo, exec_lo, s0
	s_and_saveexec_b32 s0, vcc_lo
	s_cbranch_execnz .LBB175_133
.LBB175_102:
	s_wait_alu 0xfffe
	s_or_b32 exec_lo, exec_lo, s0
	s_and_saveexec_b32 s0, vcc_lo
	s_cbranch_execnz .LBB175_134
.LBB175_103:
	s_wait_alu 0xfffe
	s_or_b32 exec_lo, exec_lo, s0
	s_and_saveexec_b32 s0, vcc_lo
	s_cbranch_execz .LBB175_105
.LBB175_104:
	ds_load_b32 v15, v15 offset:416
	s_wait_dscnt 0x0
	v_add_f32_e32 v3, v3, v15
.LBB175_105:
	s_wait_alu 0xfffe
	s_or_b32 exec_lo, exec_lo, s0
.LBB175_106:
	s_wait_alu 0xfffe
	s_or_b32 exec_lo, exec_lo, s1
	s_mov_b32 s1, 0
	s_wait_loadcnt 0x0
	s_barrier_signal -1
	s_barrier_wait -1
	global_inv scope:SCOPE_SE
	s_mov_b32 s0, exec_lo
	v_cmpx_eq_u32_e32 0, v17
	s_cbranch_execz .LBB175_108
; %bb.107:
	v_bfe_u32 v15, v14, 16, 1
	v_bfe_u32 v16, v13, 16, 1
	v_or_b32_e32 v17, 0x400000, v14
	v_cmp_u_f32_e32 vcc_lo, v14, v14
	v_or_b32_e32 v18, 0x400000, v13
	v_add3_u32 v15, v15, v14, 0x7fff
	v_add3_u32 v16, v16, v13, 0x7fff
	v_bfe_u32 v19, v12, 16, 1
	s_mul_i32 s2, s20, 0x70
	s_mul_i32 s4, s7, s16
	s_wait_alu 0xfffd
	v_cndmask_b32_e32 v14, v15, v17, vcc_lo
	v_cmp_u_f32_e32 vcc_lo, v13, v13
	v_bfe_u32 v15, v11, 16, 1
	v_or_b32_e32 v17, 0x400000, v12
	s_wait_alu 0xfffe
	s_ashr_i32 s3, s2, 31
	s_ashr_i32 s5, s4, 31
	s_wait_alu 0xfffd
	v_cndmask_b32_e32 v13, v16, v18, vcc_lo
	v_add3_u32 v16, v19, v12, 0x7fff
	v_cmp_u_f32_e32 vcc_lo, v12, v12
	v_bfe_u32 v18, v10, 16, 1
	v_add3_u32 v15, v15, v11, 0x7fff
	v_or_b32_e32 v19, 0x400000, v11
	s_wait_alu 0xfffe
	s_lshl_b64 s[2:3], s[2:3], 1
	s_wait_alu 0xfffd
	v_cndmask_b32_e32 v12, v16, v17, vcc_lo
	v_cmp_u_f32_e32 vcc_lo, v11, v11
	v_add3_u32 v16, v18, v10, 0x7fff
	v_or_b32_e32 v17, 0x400000, v10
	v_bfe_u32 v18, v8, 16, 1
	s_lshl_b64 s[4:5], s[4:5], 1
	s_wait_alu 0xfffd
	v_cndmask_b32_e32 v11, v15, v19, vcc_lo
	v_bfe_u32 v15, v9, 16, 1
	v_cmp_u_f32_e32 vcc_lo, v10, v10
	v_add3_u32 v18, v18, v8, 0x7fff
	v_or_b32_e32 v19, 0x400000, v8
	s_wait_kmcnt 0x0
	s_wait_alu 0xfffe
	s_add_nc_u64 s[2:3], s[14:15], s[2:3]
	v_add3_u32 v15, v15, v9, 0x7fff
	s_wait_alu 0xfffd
	v_cndmask_b32_e32 v10, v16, v17, vcc_lo
	v_or_b32_e32 v17, 0x400000, v9
	v_cmp_u_f32_e32 vcc_lo, v9, v9
	v_bfe_u32 v16, v7, 16, 1
	v_or_b32_e32 v20, 0x400000, v7
	v_lshrrev_b32_e32 v0, 1, v0
	s_wait_alu 0xfffe
	s_add_nc_u64 s[2:3], s[2:3], s[4:5]
	s_wait_alu 0xfffd
	v_cndmask_b32_e32 v9, v15, v17, vcc_lo
	v_cmp_u_f32_e32 vcc_lo, v8, v8
	v_add3_u32 v16, v16, v7, 0x7fff
	v_bfe_u32 v15, v6, 16, 1
	s_mul_i32 s0, s30, 0xe0
	s_wait_alu 0xfffd
	v_cndmask_b32_e32 v8, v18, v19, vcc_lo
	v_cmp_u_f32_e32 vcc_lo, v7, v7
	s_wait_alu 0xfffe
	s_add_nc_u64 s[0:1], s[2:3], s[0:1]
	s_wait_alu 0xfffd
	v_cndmask_b32_e32 v7, v16, v20, vcc_lo
	v_bfe_u32 v16, v5, 16, 1
	s_clause 0x7
	global_store_d16_hi_b16 v0, v14, s[0:1]
	global_store_d16_hi_b16 v0, v13, s[0:1] offset:16
	global_store_d16_hi_b16 v0, v12, s[0:1] offset:32
	global_store_d16_hi_b16 v0, v11, s[0:1] offset:48
	global_store_d16_hi_b16 v0, v10, s[0:1] offset:64
	global_store_d16_hi_b16 v0, v9, s[0:1] offset:80
	global_store_d16_hi_b16 v0, v8, s[0:1] offset:96
	global_store_d16_hi_b16 v0, v7, s[0:1] offset:112
	v_add3_u32 v7, v15, v6, 0x7fff
	v_or_b32_e32 v8, 0x400000, v6
	v_cmp_u_f32_e32 vcc_lo, v6, v6
	v_bfe_u32 v9, v4, 16, 1
	v_add3_u32 v10, v16, v5, 0x7fff
	v_or_b32_e32 v11, 0x400000, v5
	v_or_b32_e32 v12, 0x400000, v3
	s_wait_alu 0xfffd
	v_cndmask_b32_e32 v6, v7, v8, vcc_lo
	v_cmp_u_f32_e32 vcc_lo, v5, v5
	v_add3_u32 v7, v9, v4, 0x7fff
	v_or_b32_e32 v8, 0x400000, v4
	v_bfe_u32 v9, v1, 16, 1
	s_wait_alu 0xfffd
	v_cndmask_b32_e32 v5, v10, v11, vcc_lo
	v_cmp_u_f32_e32 vcc_lo, v4, v4
	v_bfe_u32 v10, v2, 16, 1
	v_or_b32_e32 v11, 0x400000, v2
	s_wait_alu 0xfffd
	v_cndmask_b32_e32 v4, v7, v8, vcc_lo
	v_add3_u32 v8, v9, v1, 0x7fff
	v_or_b32_e32 v9, 0x400000, v1
	v_cmp_u_f32_e32 vcc_lo, v1, v1
	v_bfe_u32 v7, v3, 16, 1
	v_add3_u32 v10, v10, v2, 0x7fff
	s_wait_alu 0xfffd
	v_cndmask_b32_e32 v1, v8, v9, vcc_lo
	v_cmp_u_f32_e32 vcc_lo, v2, v2
	v_add3_u32 v7, v7, v3, 0x7fff
	s_wait_alu 0xfffd
	v_cndmask_b32_e32 v2, v10, v11, vcc_lo
	v_cmp_u_f32_e32 vcc_lo, v3, v3
	s_wait_alu 0xfffd
	v_cndmask_b32_e32 v3, v7, v12, vcc_lo
	s_clause 0x5
	global_store_d16_hi_b16 v0, v6, s[0:1] offset:128
	global_store_d16_hi_b16 v0, v5, s[0:1] offset:144
	;; [unrolled: 1-line block ×6, first 2 shown]
.LBB175_108:
	s_nop 0
	s_sendmsg sendmsg(MSG_DEALLOC_VGPRS)
	s_endpgm
.LBB175_109:
	ds_load_b32 v17, v15
	s_wait_dscnt 0x0
	v_add_f32_e32 v14, v14, v17
	s_wait_alu 0xfffe
	s_or_b32 exec_lo, exec_lo, s0
	s_and_saveexec_b32 s0, vcc_lo
	s_cbranch_execz .LBB175_73
.LBB175_110:
	ds_load_b32 v17, v15 offset:32
	s_wait_dscnt 0x0
	v_add_f32_e32 v13, v13, v17
	s_wait_alu 0xfffe
	s_or_b32 exec_lo, exec_lo, s0
	s_and_saveexec_b32 s0, vcc_lo
	s_cbranch_execz .LBB175_74
.LBB175_111:
	ds_load_b32 v17, v15 offset:64
	s_wait_dscnt 0x0
	v_add_f32_e32 v12, v12, v17
	s_wait_alu 0xfffe
	s_or_b32 exec_lo, exec_lo, s0
	s_and_saveexec_b32 s0, vcc_lo
	s_cbranch_execz .LBB175_75
.LBB175_112:
	ds_load_b32 v17, v15 offset:96
	s_wait_dscnt 0x0
	v_add_f32_e32 v11, v11, v17
	s_wait_alu 0xfffe
	s_or_b32 exec_lo, exec_lo, s0
	s_and_saveexec_b32 s0, vcc_lo
	s_cbranch_execz .LBB175_76
.LBB175_113:
	ds_load_b32 v17, v15 offset:128
	s_wait_dscnt 0x0
	v_add_f32_e32 v10, v10, v17
	s_wait_alu 0xfffe
	s_or_b32 exec_lo, exec_lo, s0
	s_and_saveexec_b32 s0, vcc_lo
	s_cbranch_execz .LBB175_77
.LBB175_114:
	ds_load_b32 v17, v15 offset:160
	s_wait_dscnt 0x0
	v_add_f32_e32 v9, v9, v17
	s_wait_alu 0xfffe
	s_or_b32 exec_lo, exec_lo, s0
	s_and_saveexec_b32 s0, vcc_lo
	s_cbranch_execz .LBB175_78
.LBB175_115:
	ds_load_b32 v17, v15 offset:192
	s_wait_dscnt 0x0
	v_add_f32_e32 v8, v8, v17
	s_wait_alu 0xfffe
	s_or_b32 exec_lo, exec_lo, s0
	s_and_saveexec_b32 s0, vcc_lo
	s_cbranch_execz .LBB175_79
.LBB175_116:
	ds_load_b32 v17, v15 offset:224
	s_wait_dscnt 0x0
	v_add_f32_e32 v7, v7, v17
	s_wait_alu 0xfffe
	s_or_b32 exec_lo, exec_lo, s0
	s_and_saveexec_b32 s0, vcc_lo
	s_cbranch_execz .LBB175_80
.LBB175_117:
	ds_load_b32 v17, v15 offset:256
	s_wait_dscnt 0x0
	v_add_f32_e32 v6, v6, v17
	s_wait_alu 0xfffe
	s_or_b32 exec_lo, exec_lo, s0
	s_and_saveexec_b32 s0, vcc_lo
	s_cbranch_execz .LBB175_81
.LBB175_118:
	ds_load_b32 v17, v15 offset:288
	s_wait_dscnt 0x0
	v_add_f32_e32 v5, v5, v17
	s_wait_alu 0xfffe
	s_or_b32 exec_lo, exec_lo, s0
	s_and_saveexec_b32 s0, vcc_lo
	s_cbranch_execz .LBB175_82
.LBB175_119:
	ds_load_b32 v17, v15 offset:320
	s_wait_dscnt 0x0
	v_add_f32_e32 v4, v4, v17
	s_wait_alu 0xfffe
	s_or_b32 exec_lo, exec_lo, s0
	s_and_saveexec_b32 s0, vcc_lo
	s_cbranch_execz .LBB175_83
.LBB175_120:
	ds_load_b32 v17, v15 offset:352
	s_wait_dscnt 0x0
	v_add_f32_e32 v1, v1, v17
	s_wait_alu 0xfffe
	s_or_b32 exec_lo, exec_lo, s0
	s_and_saveexec_b32 s0, vcc_lo
	s_cbranch_execz .LBB175_84
.LBB175_121:
	ds_load_b32 v17, v15 offset:384
	s_wait_dscnt 0x0
	v_add_f32_e32 v2, v2, v17
	s_wait_alu 0xfffe
	s_or_b32 exec_lo, exec_lo, s0
	s_and_saveexec_b32 s0, vcc_lo
	s_cbranch_execnz .LBB175_85
	s_branch .LBB175_86
.LBB175_122:
	ds_load_b32 v16, v15
	s_wait_dscnt 0x0
	v_add_f32_e32 v14, v14, v16
	s_wait_alu 0xfffe
	s_or_b32 exec_lo, exec_lo, s0
	s_and_saveexec_b32 s0, vcc_lo
	s_cbranch_execz .LBB175_92
.LBB175_123:
	ds_load_b32 v16, v15 offset:32
	s_wait_dscnt 0x0
	v_add_f32_e32 v13, v13, v16
	s_wait_alu 0xfffe
	s_or_b32 exec_lo, exec_lo, s0
	s_and_saveexec_b32 s0, vcc_lo
	s_cbranch_execz .LBB175_93
.LBB175_124:
	ds_load_b32 v16, v15 offset:64
	s_wait_dscnt 0x0
	v_add_f32_e32 v12, v12, v16
	s_wait_alu 0xfffe
	s_or_b32 exec_lo, exec_lo, s0
	s_and_saveexec_b32 s0, vcc_lo
	s_cbranch_execz .LBB175_94
.LBB175_125:
	ds_load_b32 v16, v15 offset:96
	s_wait_dscnt 0x0
	v_add_f32_e32 v11, v11, v16
	s_wait_alu 0xfffe
	s_or_b32 exec_lo, exec_lo, s0
	s_and_saveexec_b32 s0, vcc_lo
	s_cbranch_execz .LBB175_95
.LBB175_126:
	ds_load_b32 v16, v15 offset:128
	s_wait_dscnt 0x0
	v_add_f32_e32 v10, v10, v16
	s_wait_alu 0xfffe
	s_or_b32 exec_lo, exec_lo, s0
	s_and_saveexec_b32 s0, vcc_lo
	s_cbranch_execz .LBB175_96
.LBB175_127:
	ds_load_b32 v16, v15 offset:160
	s_wait_dscnt 0x0
	v_add_f32_e32 v9, v9, v16
	s_wait_alu 0xfffe
	s_or_b32 exec_lo, exec_lo, s0
	s_and_saveexec_b32 s0, vcc_lo
	s_cbranch_execz .LBB175_97
.LBB175_128:
	ds_load_b32 v16, v15 offset:192
	s_wait_dscnt 0x0
	v_add_f32_e32 v8, v8, v16
	s_wait_alu 0xfffe
	s_or_b32 exec_lo, exec_lo, s0
	s_and_saveexec_b32 s0, vcc_lo
	s_cbranch_execz .LBB175_98
.LBB175_129:
	ds_load_b32 v16, v15 offset:224
	s_wait_dscnt 0x0
	v_add_f32_e32 v7, v7, v16
	s_wait_alu 0xfffe
	s_or_b32 exec_lo, exec_lo, s0
	s_and_saveexec_b32 s0, vcc_lo
	s_cbranch_execz .LBB175_99
.LBB175_130:
	ds_load_b32 v16, v15 offset:256
	s_wait_dscnt 0x0
	v_add_f32_e32 v6, v6, v16
	s_wait_alu 0xfffe
	s_or_b32 exec_lo, exec_lo, s0
	s_and_saveexec_b32 s0, vcc_lo
	s_cbranch_execz .LBB175_100
.LBB175_131:
	ds_load_b32 v16, v15 offset:288
	s_wait_dscnt 0x0
	v_add_f32_e32 v5, v5, v16
	s_wait_alu 0xfffe
	s_or_b32 exec_lo, exec_lo, s0
	s_and_saveexec_b32 s0, vcc_lo
	s_cbranch_execz .LBB175_101
.LBB175_132:
	ds_load_b32 v16, v15 offset:320
	s_wait_dscnt 0x0
	v_add_f32_e32 v4, v4, v16
	s_wait_alu 0xfffe
	s_or_b32 exec_lo, exec_lo, s0
	s_and_saveexec_b32 s0, vcc_lo
	s_cbranch_execz .LBB175_102
.LBB175_133:
	ds_load_b32 v16, v15 offset:352
	s_wait_dscnt 0x0
	v_add_f32_e32 v1, v1, v16
	s_wait_alu 0xfffe
	s_or_b32 exec_lo, exec_lo, s0
	s_and_saveexec_b32 s0, vcc_lo
	s_cbranch_execz .LBB175_103
.LBB175_134:
	ds_load_b32 v16, v15 offset:384
	s_wait_dscnt 0x0
	v_add_f32_e32 v2, v2, v16
	s_wait_alu 0xfffe
	s_or_b32 exec_lo, exec_lo, s0
	s_and_saveexec_b32 s0, vcc_lo
	s_cbranch_execnz .LBB175_104
	s_branch .LBB175_105
	.section	.rodata,"a",@progbits
	.p2align	6, 0x0
	.amdhsa_kernel _ZN4vllm25paged_attention_v2_kernelI14__hip_bfloat16S1_Li112ELi32ELi128ELNS_18Fp8KVCacheDataTypeE0ELb1ELi512EEEvPfS3_PT_PKS4_PKT0_SA_ifPKiSC_iPKfiiiSE_SE_iiiii
		.amdhsa_group_segment_fixed_size 256
		.amdhsa_private_segment_fixed_size 0
		.amdhsa_kernarg_size 400
		.amdhsa_user_sgpr_count 2
		.amdhsa_user_sgpr_dispatch_ptr 0
		.amdhsa_user_sgpr_queue_ptr 0
		.amdhsa_user_sgpr_kernarg_segment_ptr 1
		.amdhsa_user_sgpr_dispatch_id 0
		.amdhsa_user_sgpr_private_segment_size 0
		.amdhsa_wavefront_size32 1
		.amdhsa_uses_dynamic_stack 0
		.amdhsa_enable_private_segment 0
		.amdhsa_system_sgpr_workgroup_id_x 1
		.amdhsa_system_sgpr_workgroup_id_y 1
		.amdhsa_system_sgpr_workgroup_id_z 1
		.amdhsa_system_sgpr_workgroup_info 0
		.amdhsa_system_vgpr_workitem_id 0
		.amdhsa_next_free_vgpr 192
		.amdhsa_next_free_sgpr 42
		.amdhsa_reserve_vcc 1
		.amdhsa_float_round_mode_32 0
		.amdhsa_float_round_mode_16_64 0
		.amdhsa_float_denorm_mode_32 3
		.amdhsa_float_denorm_mode_16_64 3
		.amdhsa_fp16_overflow 0
		.amdhsa_workgroup_processor_mode 1
		.amdhsa_memory_ordered 1
		.amdhsa_forward_progress 1
		.amdhsa_inst_pref_size 164
		.amdhsa_round_robin_scheduling 0
		.amdhsa_exception_fp_ieee_invalid_op 0
		.amdhsa_exception_fp_denorm_src 0
		.amdhsa_exception_fp_ieee_div_zero 0
		.amdhsa_exception_fp_ieee_overflow 0
		.amdhsa_exception_fp_ieee_underflow 0
		.amdhsa_exception_fp_ieee_inexact 0
		.amdhsa_exception_int_div_zero 0
	.end_amdhsa_kernel
	.section	.text._ZN4vllm25paged_attention_v2_kernelI14__hip_bfloat16S1_Li112ELi32ELi128ELNS_18Fp8KVCacheDataTypeE0ELb1ELi512EEEvPfS3_PT_PKS4_PKT0_SA_ifPKiSC_iPKfiiiSE_SE_iiiii,"axG",@progbits,_ZN4vllm25paged_attention_v2_kernelI14__hip_bfloat16S1_Li112ELi32ELi128ELNS_18Fp8KVCacheDataTypeE0ELb1ELi512EEEvPfS3_PT_PKS4_PKT0_SA_ifPKiSC_iPKfiiiSE_SE_iiiii,comdat
.Lfunc_end175:
	.size	_ZN4vllm25paged_attention_v2_kernelI14__hip_bfloat16S1_Li112ELi32ELi128ELNS_18Fp8KVCacheDataTypeE0ELb1ELi512EEEvPfS3_PT_PKS4_PKT0_SA_ifPKiSC_iPKfiiiSE_SE_iiiii, .Lfunc_end175-_ZN4vllm25paged_attention_v2_kernelI14__hip_bfloat16S1_Li112ELi32ELi128ELNS_18Fp8KVCacheDataTypeE0ELb1ELi512EEEvPfS3_PT_PKS4_PKT0_SA_ifPKiSC_iPKfiiiSE_SE_iiiii
                                        ; -- End function
	.set _ZN4vllm25paged_attention_v2_kernelI14__hip_bfloat16S1_Li112ELi32ELi128ELNS_18Fp8KVCacheDataTypeE0ELb1ELi512EEEvPfS3_PT_PKS4_PKT0_SA_ifPKiSC_iPKfiiiSE_SE_iiiii.num_vgpr, 192
	.set _ZN4vllm25paged_attention_v2_kernelI14__hip_bfloat16S1_Li112ELi32ELi128ELNS_18Fp8KVCacheDataTypeE0ELb1ELi512EEEvPfS3_PT_PKS4_PKT0_SA_ifPKiSC_iPKfiiiSE_SE_iiiii.num_agpr, 0
	.set _ZN4vllm25paged_attention_v2_kernelI14__hip_bfloat16S1_Li112ELi32ELi128ELNS_18Fp8KVCacheDataTypeE0ELb1ELi512EEEvPfS3_PT_PKS4_PKT0_SA_ifPKiSC_iPKfiiiSE_SE_iiiii.numbered_sgpr, 42
	.set _ZN4vllm25paged_attention_v2_kernelI14__hip_bfloat16S1_Li112ELi32ELi128ELNS_18Fp8KVCacheDataTypeE0ELb1ELi512EEEvPfS3_PT_PKS4_PKT0_SA_ifPKiSC_iPKfiiiSE_SE_iiiii.num_named_barrier, 0
	.set _ZN4vllm25paged_attention_v2_kernelI14__hip_bfloat16S1_Li112ELi32ELi128ELNS_18Fp8KVCacheDataTypeE0ELb1ELi512EEEvPfS3_PT_PKS4_PKT0_SA_ifPKiSC_iPKfiiiSE_SE_iiiii.private_seg_size, 0
	.set _ZN4vllm25paged_attention_v2_kernelI14__hip_bfloat16S1_Li112ELi32ELi128ELNS_18Fp8KVCacheDataTypeE0ELb1ELi512EEEvPfS3_PT_PKS4_PKT0_SA_ifPKiSC_iPKfiiiSE_SE_iiiii.uses_vcc, 1
	.set _ZN4vllm25paged_attention_v2_kernelI14__hip_bfloat16S1_Li112ELi32ELi128ELNS_18Fp8KVCacheDataTypeE0ELb1ELi512EEEvPfS3_PT_PKS4_PKT0_SA_ifPKiSC_iPKfiiiSE_SE_iiiii.uses_flat_scratch, 0
	.set _ZN4vllm25paged_attention_v2_kernelI14__hip_bfloat16S1_Li112ELi32ELi128ELNS_18Fp8KVCacheDataTypeE0ELb1ELi512EEEvPfS3_PT_PKS4_PKT0_SA_ifPKiSC_iPKfiiiSE_SE_iiiii.has_dyn_sized_stack, 0
	.set _ZN4vllm25paged_attention_v2_kernelI14__hip_bfloat16S1_Li112ELi32ELi128ELNS_18Fp8KVCacheDataTypeE0ELb1ELi512EEEvPfS3_PT_PKS4_PKT0_SA_ifPKiSC_iPKfiiiSE_SE_iiiii.has_recursion, 0
	.set _ZN4vllm25paged_attention_v2_kernelI14__hip_bfloat16S1_Li112ELi32ELi128ELNS_18Fp8KVCacheDataTypeE0ELb1ELi512EEEvPfS3_PT_PKS4_PKT0_SA_ifPKiSC_iPKfiiiSE_SE_iiiii.has_indirect_call, 0
	.section	.AMDGPU.csdata,"",@progbits
; Kernel info:
; codeLenInByte = 20964
; TotalNumSgprs: 44
; NumVgprs: 192
; ScratchSize: 0
; MemoryBound: 0
; FloatMode: 240
; IeeeMode: 1
; LDSByteSize: 256 bytes/workgroup (compile time only)
; SGPRBlocks: 0
; VGPRBlocks: 23
; NumSGPRsForWavesPerEU: 44
; NumVGPRsForWavesPerEU: 192
; Occupancy: 8
; WaveLimiterHint : 1
; COMPUTE_PGM_RSRC2:SCRATCH_EN: 0
; COMPUTE_PGM_RSRC2:USER_SGPR: 2
; COMPUTE_PGM_RSRC2:TRAP_HANDLER: 0
; COMPUTE_PGM_RSRC2:TGID_X_EN: 1
; COMPUTE_PGM_RSRC2:TGID_Y_EN: 1
; COMPUTE_PGM_RSRC2:TGID_Z_EN: 1
; COMPUTE_PGM_RSRC2:TIDIG_COMP_CNT: 0
	.section	.text._ZN4vllm25paged_attention_v2_kernelI14__hip_bfloat16S1_Li120ELi32ELi128ELNS_18Fp8KVCacheDataTypeE0ELb1ELi512EEEvPfS3_PT_PKS4_PKT0_SA_ifPKiSC_iPKfiiiSE_SE_iiiii,"axG",@progbits,_ZN4vllm25paged_attention_v2_kernelI14__hip_bfloat16S1_Li120ELi32ELi128ELNS_18Fp8KVCacheDataTypeE0ELb1ELi512EEEvPfS3_PT_PKS4_PKT0_SA_ifPKiSC_iPKfiiiSE_SE_iiiii,comdat
	.protected	_ZN4vllm25paged_attention_v2_kernelI14__hip_bfloat16S1_Li120ELi32ELi128ELNS_18Fp8KVCacheDataTypeE0ELb1ELi512EEEvPfS3_PT_PKS4_PKT0_SA_ifPKiSC_iPKfiiiSE_SE_iiiii ; -- Begin function _ZN4vllm25paged_attention_v2_kernelI14__hip_bfloat16S1_Li120ELi32ELi128ELNS_18Fp8KVCacheDataTypeE0ELb1ELi512EEEvPfS3_PT_PKS4_PKT0_SA_ifPKiSC_iPKfiiiSE_SE_iiiii
	.globl	_ZN4vllm25paged_attention_v2_kernelI14__hip_bfloat16S1_Li120ELi32ELi128ELNS_18Fp8KVCacheDataTypeE0ELb1ELi512EEEvPfS3_PT_PKS4_PKT0_SA_ifPKiSC_iPKfiiiSE_SE_iiiii
	.p2align	8
	.type	_ZN4vllm25paged_attention_v2_kernelI14__hip_bfloat16S1_Li120ELi32ELi128ELNS_18Fp8KVCacheDataTypeE0ELb1ELi512EEEvPfS3_PT_PKS4_PKT0_SA_ifPKiSC_iPKfiiiSE_SE_iiiii,@function
_ZN4vllm25paged_attention_v2_kernelI14__hip_bfloat16S1_Li120ELi32ELi128ELNS_18Fp8KVCacheDataTypeE0ELb1ELi512EEEvPfS3_PT_PKS4_PKT0_SA_ifPKiSC_iPKfiiiSE_SE_iiiii: ; @_ZN4vllm25paged_attention_v2_kernelI14__hip_bfloat16S1_Li120ELi32ELi128ELNS_18Fp8KVCacheDataTypeE0ELb1ELi512EEEvPfS3_PT_PKS4_PKT0_SA_ifPKiSC_iPKfiiiSE_SE_iiiii
; %bb.0:
	s_load_b64 s[2:3], s[0:1], 0x40
	s_and_b32 s20, ttmp7, 0xffff
	s_lshr_b32 s30, ttmp7, 16
	s_lshl_b32 s4, s20, 2
	s_lshl_b32 s34, s30, 9
	s_wait_kmcnt 0x0
	s_load_b32 s31, s[2:3], s4 offset:0x0
	s_wait_kmcnt 0x0
	s_cmp_ge_i32 s34, s31
	s_cbranch_scc1 .LBB176_112
; %bb.1:
	s_clause 0x1
	s_load_b32 s21, s[0:1], 0x90
	s_load_b64 s[8:9], s[0:1], 0x30
	v_mov_b32_e32 v105, v0
	s_wait_kmcnt 0x0
	s_abs_i32 s5, s21
	s_abs_i32 s2, s8
	s_delay_alu instid0(SALU_CYCLE_1) | instskip(SKIP_1) | instid1(SALU_CYCLE_2)
	s_cvt_f32_u32 s3, s2
	s_sub_co_i32 s4, 0, s2
	v_rcp_iflag_f32_e32 v1, s3
	s_delay_alu instid0(TRANS32_DEP_1) | instskip(SKIP_2) | instid1(SALU_CYCLE_2)
	v_readfirstlane_b32 s3, v1
	s_mul_f32 s3, s3, 0x4f7ffffe
	s_wait_alu 0xfffe
	s_cvt_u32_f32 s3, s3
	s_wait_alu 0xfffe
	s_delay_alu instid0(SALU_CYCLE_2) | instskip(NEXT) | instid1(SALU_CYCLE_1)
	s_mul_i32 s4, s4, s3
	s_mul_hi_u32 s4, s3, s4
	s_delay_alu instid0(SALU_CYCLE_1)
	s_add_co_i32 s3, s3, s4
	s_xor_b32 s4, s21, s8
	s_wait_alu 0xfffe
	s_mul_hi_u32 s3, s5, s3
	s_ashr_i32 s4, s4, 31
	s_wait_alu 0xfffe
	s_mul_i32 s6, s3, s2
	s_delay_alu instid0(SALU_CYCLE_1)
	s_sub_co_i32 s5, s5, s6
	s_add_co_i32 s6, s3, 1
	s_sub_co_i32 s7, s5, s2
	s_cmp_ge_u32 s5, s2
	s_cselect_b32 s3, s6, s3
	s_cselect_b32 s5, s7, s5
	s_wait_alu 0xfffe
	s_add_co_i32 s6, s3, 1
	s_cmp_ge_u32 s5, s2
	s_cselect_b32 s2, s6, s3
	s_load_b64 s[6:7], s[0:1], 0x50
	s_xor_b32 s2, s2, s4
	s_mov_b32 s3, 0
	s_wait_alu 0xfffe
	s_sub_co_i32 s16, s2, s4
	s_mov_b32 s15, s3
	s_abs_i32 s18, s16
	s_delay_alu instid0(SALU_CYCLE_1) | instskip(SKIP_1) | instid1(SALU_CYCLE_2)
	s_cvt_f32_u32 s2, s18
	s_wait_alu 0xfffe
	v_rcp_iflag_f32_e32 v1, s2
	s_delay_alu instid0(TRANS32_DEP_1) | instskip(SKIP_2) | instid1(SALU_CYCLE_2)
	v_readfirstlane_b32 s2, v1
	s_mul_f32 s2, s2, 0x4f7ffffe
	s_wait_alu 0xfffe
	s_cvt_u32_f32 s4, s2
	s_sub_co_i32 s2, 0, s18
	s_wait_alu 0xfffe
	s_delay_alu instid0(SALU_CYCLE_1)
	s_mul_i32 s2, s2, s4
	s_wait_alu 0xfffe
	s_mul_hi_u32 s5, s4, s2
	s_abs_i32 s2, ttmp9
	s_add_co_i32 s4, s4, s5
	s_mov_b32 s5, s3
	s_wait_kmcnt 0x0
	s_cmp_eq_u64 s[6:7], 0
	s_cbranch_scc1 .LBB176_3
; %bb.2:
	s_mov_b32 s10, ttmp9
	s_ashr_i32 s11, ttmp9, 31
	s_delay_alu instid0(SALU_CYCLE_1) | instskip(NEXT) | instid1(SALU_CYCLE_1)
	s_lshl_b64 s[10:11], s[10:11], 2
	s_add_nc_u64 s[6:7], s[6:7], s[10:11]
	s_load_b32 s15, s[6:7], 0x0
.LBB176_3:
	s_load_b96 s[12:14], s[0:1], 0x58
	v_lshlrev_b32_e32 v10, 4, v105
	s_mul_u64 s[10:11], s[2:3], s[4:5]
	s_ashr_i32 s3, ttmp9, 31
	s_ashr_i32 s10, s16, 31
	s_mul_i32 s16, ttmp9, 0x78
	s_mov_b32 s4, exec_lo
	v_cmpx_gt_u32_e32 15, v105
	s_cbranch_execz .LBB176_5
; %bb.4:
	s_load_b64 s[6:7], s[0:1], 0x18
	s_wait_kmcnt 0x0
	s_mul_i32 s22, s12, s20
	s_ashr_i32 s17, s16, 31
	s_ashr_i32 s23, s22, 31
	s_delay_alu instid0(SALU_CYCLE_1) | instskip(NEXT) | instid1(SALU_CYCLE_1)
	s_lshl_b64 s[22:23], s[22:23], 1
	s_add_nc_u64 s[6:7], s[6:7], s[22:23]
	s_lshl_b64 s[22:23], s[16:17], 1
	s_delay_alu instid0(SALU_CYCLE_1)
	s_add_nc_u64 s[6:7], s[6:7], s[22:23]
	global_load_b128 v[1:4], v10, s[6:7]
	s_wait_loadcnt 0x0
	ds_store_b128 v10, v[1:4]
.LBB176_5:
	s_or_b32 exec_lo, exec_lo, s4
	s_clause 0x1
	s_load_b128 s[4:7], s[0:1], 0x78
	s_load_b32 s22, s[0:1], 0x88
	s_wait_kmcnt 0x0
	s_mul_i32 s12, s11, s18
	s_xor_b32 s3, s3, s10
	s_sub_co_i32 s2, s2, s12
	s_add_co_i32 s10, s11, 1
	s_wait_alu 0xfffe
	s_sub_co_i32 s12, s2, s18
	s_cmp_ge_u32 s2, s18
	s_mov_b32 s24, -1
	s_cselect_b32 s10, s10, s11
	s_cselect_b32 s2, s12, s2
	s_add_co_i32 s11, s10, 1
	s_wait_alu 0xfffe
	s_cmp_ge_u32 s2, s18
	s_wait_dscnt 0x0
	s_cselect_b32 s2, s11, s10
	s_add_co_i32 s23, s31, -1
	s_wait_alu 0xfffe
	s_xor_b32 s2, s2, s3
	s_barrier_signal -1
	s_wait_alu 0xfffe
	s_sub_co_i32 s26, s2, s3
	s_barrier_wait -1
	s_abs_i32 s12, s7
	global_inv scope:SCOPE_SE
	s_cvt_f32_u32 s10, s12
                                        ; implicit-def: $sgpr17
	s_delay_alu instid0(SALU_CYCLE_3) | instskip(NEXT) | instid1(TRANS32_DEP_1)
	v_rcp_iflag_f32_e32 v1, s10
	v_readfirstlane_b32 s10, v1
	s_mul_f32 s2, s10, 0x4f7ffffe
	s_wait_alu 0xfffe
	s_delay_alu instid0(SALU_CYCLE_2) | instskip(SKIP_2) | instid1(SALU_CYCLE_1)
	s_cvt_u32_f32 s10, s2
	s_sub_co_i32 s2, 0, s12
	s_wait_alu 0xfffe
	s_mul_i32 s3, s2, s10
	s_abs_i32 s2, s23
	s_wait_alu 0xfffe
	s_mul_hi_u32 s11, s10, s3
	s_mov_b32 s3, 0
	s_wait_alu 0xfffe
	s_add_co_i32 s18, s10, s11
	s_cmp_lt_i32 s22, 0
	s_mov_b32 s19, s3
	s_cbranch_scc0 .LBB176_7
; %bb.6:
	s_mul_i32 s8, s4, s8
	s_mov_b32 s24, s3
	s_add_co_i32 s8, s26, s8
	s_delay_alu instid0(SALU_CYCLE_1) | instskip(NEXT) | instid1(SALU_CYCLE_1)
	s_mul_i32 s8, s8, s22
	s_sub_co_i32 s17, 1, s8
.LBB176_7:
	s_mul_u64 s[10:11], s[2:3], s[18:19]
	s_ashr_i32 s3, s23, 31
	s_and_not1_b32 vcc_lo, exec_lo, s24
	s_ashr_i32 s19, s7, 31
	s_cbranch_vccnz .LBB176_9
; %bb.8:
	s_mul_i32 s4, s21, s4
	s_delay_alu instid0(SALU_CYCLE_1) | instskip(NEXT) | instid1(SALU_CYCLE_1)
	s_add_co_i32 s4, s4, ttmp9
	s_mul_i32 s4, s4, s22
	s_delay_alu instid0(SALU_CYCLE_1)
	s_add_co_i32 s17, s4, 1
.LBB176_9:
	s_clause 0x2
	s_load_b32 s4, s[0:1], 0x48
	s_load_b64 s[22:23], s[0:1], 0x38
	s_load_b32 s7, s[0:1], 0x98
	s_mul_i32 s8, s11, s12
	s_xor_b32 s3, s3, s19
	s_sub_co_i32 s2, s2, s8
	s_add_co_i32 s10, s11, 1
	v_lshrrev_b32_e32 v175, 5, v105
	v_dual_mov_b32 v159, 0xff7fffff :: v_dual_and_b32 v0, 31, v105
	s_mul_i32 s26, s26, s14
	s_delay_alu instid0(VALU_DEP_2) | instskip(NEXT) | instid1(VALU_DEP_2)
	v_lshl_add_u32 v73, v175, 5, s34
	v_lshlrev_b32_e32 v31, 2, v0
	scratch_store_b32 off, v0, off          ; 4-byte Folded Spill
	s_wait_kmcnt 0x0
	s_mul_i32 s24, s4, s20
	s_wait_alu 0xfffe
	s_sub_co_i32 s4, s2, s12
	s_ashr_i32 s25, s24, 31
	s_cmp_ge_u32 s2, s12
	s_cselect_b32 s8, s10, s11
	s_cselect_b32 s2, s4, s2
	s_add_co_i32 s4, s8, 1
	s_wait_alu 0xfffe
	s_cmp_ge_u32 s2, s12
	s_cselect_b32 s2, s4, s8
	s_add_co_i32 s4, s31, 31
	s_lshl_b32 s37, s30, 4
	s_ashr_i32 s8, s4, 31
	v_add_nc_u32_e32 v74, s37, v175
	s_lshr_b32 s8, s8, 27
	s_delay_alu instid0(SALU_CYCLE_1)
	s_add_co_i32 s4, s4, s8
	s_add_co_i32 s8, s37, 16
	s_ashr_i32 s35, s4, 5
	s_wait_alu 0xfffe
	s_xor_b32 s4, s2, s3
	s_min_i32 s33, s8, s35
	v_lshlrev_b32_e32 v30, 2, v74
	v_cmp_gt_i32_e64 s2, s33, v74
	s_sub_co_i32 s36, s4, s3
	s_and_saveexec_b32 s8, s2
	s_cbranch_execz .LBB176_17
; %bb.10:
	v_mov_b32_e32 v29, 0
	s_clause 0x1
	scratch_store_b32 off, v10, off offset:36
	scratch_store_b32 off, v105, off offset:28
	s_ashr_i32 s27, s26, 31
	s_wait_alu 0xfffe
	s_sub_co_i32 s10, s36, s5
	s_lshl_b64 s[28:29], s[26:27], 1
	ds_load_b128 v[1:4], v29
	ds_load_b128 v[5:8], v29 offset:16
	ds_load_b128 v[9:12], v29 offset:32
	;; [unrolled: 1-line block ×4, first 2 shown]
	s_cmp_neq_f32 s15, 0
	s_load_b64 s[38:39], s[0:1], 0x20
	s_mov_b32 s14, s13
	v_mov_b32_e32 v176, v74
	s_cselect_b32 vcc_lo, -1, 0
	s_abs_i32 s11, s6
	v_mov_b32_e32 v159, 0xff7fffff
	s_wait_alu 0xfffe
	s_cvt_f32_u32 s3, s11
	s_sub_co_i32 s4, 0, s11
	s_clause 0x1
	scratch_store_b32 off, v175, off offset:32
	scratch_store_b32 off, v31, off offset:40
	s_wait_dscnt 0x4
	v_and_b32_e32 v0, 0xffff0000, v1
	v_and_b32_e32 v54, 0xffff0000, v3
	v_lshlrev_b32_e32 v55, 16, v3
	v_and_b32_e32 v58, 0xffff0000, v4
	v_lshlrev_b32_e32 v59, 16, v4
	scratch_store_b32 off, v0, off offset:4 ; 4-byte Folded Spill
	v_lshlrev_b32_e32 v0, 16, v1
	s_wait_dscnt 0x3
	v_and_b32_e32 v52, 0xffff0000, v6
	v_lshlrev_b32_e32 v53, 16, v6
	v_and_b32_e32 v56, 0xffff0000, v7
	v_lshlrev_b32_e32 v57, 16, v7
	scratch_store_b32 off, v0, off offset:8 ; 4-byte Folded Spill
	v_and_b32_e32 v0, 0xffff0000, v5
	v_and_b32_e32 v60, 0xffff0000, v8
	v_lshlrev_b32_e32 v61, 16, v8
	s_wait_dscnt 0x2
	v_and_b32_e32 v62, 0xffff0000, v9
	v_lshlrev_b32_e32 v63, 16, v9
	scratch_store_b32 off, v0, off offset:12 ; 4-byte Folded Spill
	v_lshlrev_b32_e32 v0, 16, v5
	v_and_b32_e32 v64, 0xffff0000, v10
	v_lshlrev_b32_e32 v65, 16, v10
	v_and_b32_e32 v66, 0xffff0000, v11
	v_lshlrev_b32_e32 v67, 16, v11
	scratch_store_b32 off, v0, off offset:16 ; 4-byte Folded Spill
	v_and_b32_e32 v0, 0xffff0000, v2
	ds_load_b128 v[5:8], v29 offset:96
	v_and_b32_e32 v68, 0xffff0000, v12
	v_lshlrev_b32_e32 v69, 16, v12
	ds_load_b128 v[9:12], v29 offset:112
	ds_load_b128 v[21:24], v29 offset:128
	scratch_store_b32 off, v0, off offset:20 ; 4-byte Folded Spill
	v_lshlrev_b32_e32 v0, 16, v2
	ds_load_b128 v[1:4], v29 offset:80
	s_wait_dscnt 0x5
	v_and_b32_e32 v70, 0xffff0000, v13
	v_lshlrev_b32_e32 v75, 16, v13
	v_and_b32_e32 v76, 0xffff0000, v14
	scratch_store_b32 off, v0, off offset:24 ; 4-byte Folded Spill
	scratch_load_b32 v0, off, off           ; 4-byte Folded Reload
	v_lshlrev_b32_e32 v77, 16, v14
	v_and_b32_e32 v78, 0xffff0000, v15
	ds_load_b128 v[25:28], v29 offset:144
	v_lshlrev_b32_e32 v79, 16, v15
	v_and_b32_e32 v80, 0xffff0000, v16
	v_lshlrev_b32_e32 v81, 16, v16
	ds_load_b128 v[13:16], v29 offset:160
	s_wait_dscnt 0x5
	v_and_b32_e32 v92, 0xffff0000, v5
	v_lshlrev_b32_e32 v93, 16, v5
	v_and_b32_e32 v102, 0xffff0000, v6
	v_lshlrev_b32_e32 v103, 16, v6
	;; [unrolled: 2-line block ×3, first 2 shown]
	v_and_b32_e32 v119, 0xffff0000, v8
	s_wait_dscnt 0x2
	v_and_b32_e32 v90, 0xffff0000, v1
	v_lshlrev_b32_e32 v91, 16, v1
	v_and_b32_e32 v100, 0xffff0000, v2
	v_lshlrev_b32_e32 v101, 16, v2
	;; [unrolled: 2-line block ×4, first 2 shown]
	ds_load_b128 v[1:4], v29 offset:176
	v_lshlrev_b32_e32 v120, 16, v8
	ds_load_b128 v[5:8], v29 offset:192
	v_and_b32_e32 v94, 0xffff0000, v9
	v_lshlrev_b32_e32 v95, 16, v9
	v_and_b32_e32 v104, 0xffff0000, v10
	v_lshlrev_b32_e32 v105, 16, v10
	;; [unrolled: 2-line block ×4, first 2 shown]
	ds_load_b128 v[9:12], v29 offset:208
	s_wait_kmcnt 0x0
	s_add_nc_u64 s[28:29], s[38:39], s[28:29]
	s_lshl_b64 s[38:39], s[24:25], 2
	v_and_b32_e32 v82, 0xffff0000, v17
	s_add_nc_u64 s[38:39], s[22:23], s[38:39]
	v_lshlrev_b32_e32 v83, 16, v17
	v_add_co_u32 v41, s27, s38, v30
	s_delay_alu instid0(VALU_DEP_1)
	v_add_co_ci_u32_e64 v42, null, s39, 0, s27
	s_wait_dscnt 0x2
	v_and_b32_e32 v138, 0xffff0000, v1
	v_lshlrev_b32_e32 v139, 16, v1
	v_and_b32_e32 v140, 0xffff0000, v2
	v_lshlrev_b32_e32 v141, 16, v2
	;; [unrolled: 2-line block ×4, first 2 shown]
	ds_load_b128 v[1:4], v29 offset:224
	s_wait_dscnt 0x2
	v_and_b32_e32 v146, 0xffff0000, v5
	v_lshlrev_b32_e32 v147, 16, v5
	s_wait_alu 0xfffe
	v_rcp_iflag_f32_e32 v5, s3
	v_and_b32_e32 v84, 0xffff0000, v18
	v_lshlrev_b32_e32 v85, 16, v18
	v_and_b32_e32 v86, 0xffff0000, v19
	v_lshlrev_b32_e32 v87, 16, v19
	;; [unrolled: 2-line block ×4, first 2 shown]
	v_and_b32_e32 v98, 0xffff0000, v25
	v_readfirstlane_b32 s3, v5
	v_lshlrev_b32_e32 v99, 16, v25
	v_and_b32_e32 v106, 0xffff0000, v22
	v_lshlrev_b32_e32 v107, 16, v22
	v_and_b32_e32 v108, 0xffff0000, v26
	s_mul_f32 s3, s3, 0x4f7ffffe
	v_lshlrev_b32_e32 v109, 16, v26
	s_wait_dscnt 0x0
	v_and_b32_e32 v167, 0xffff0000, v3
	v_lshlrev_b32_e32 v168, 16, v3
	v_and_b32_e32 v163, 0xffff0000, v1
	v_lshlrev_b32_e32 v164, 16, v1
	;; [unrolled: 2-line block ×3, first 2 shown]
	s_wait_alu 0xfffe
	s_cvt_u32_f32 s3, s3
	v_lshl_or_b32 v2, v175, 7, v31
	v_and_b32_e32 v118, 0xffff0000, v23
	v_lshlrev_b32_e32 v121, 16, v23
	s_wait_alu 0xfffe
	s_mul_i32 s4, s4, s3
	v_and_b32_e32 v122, 0xffff0000, v27
	v_lshlrev_b32_e32 v125, 16, v27
	v_and_b32_e32 v126, 0xffff0000, v24
	v_lshlrev_b32_e32 v127, 16, v24
	;; [unrolled: 2-line block ×15, first 2 shown]
	v_add_nc_u32_e32 v172, 0x110, v2
	v_lshl_add_u32 v175, v175, 5, s34
	s_mul_hi_u32 s4, s3, s4
	s_wait_loadcnt 0x0
	v_lshlrev_b32_e32 v3, 4, v0
	v_subrev_nc_u32_e32 v1, s31, v0
	s_delay_alu instid0(VALU_DEP_2) | instskip(NEXT) | instid1(VALU_DEP_2)
	v_add_co_u32 v173, s27, s28, v3
	v_add_nc_u32_e32 v171, 1, v1
	s_wait_alu 0xf1ff
	v_add_co_ci_u32_e64 v174, null, s29, 0, s27
	s_mov_b32 s27, 0
	s_add_co_i32 s28, s3, s4
	s_branch .LBB176_12
.LBB176_11:                             ;   in Loop: Header=BB176_12 Depth=1
	s_wait_alu 0xfffe
	s_or_b32 exec_lo, exec_lo, s4
	v_add_nc_u32_e32 v176, 4, v176
	v_add_co_u32 v41, s4, v41, 16
	s_wait_alu 0xf1ff
	v_add_co_ci_u32_e64 v42, null, 0, v42, s4
	s_delay_alu instid0(VALU_DEP_3)
	v_cmp_le_i32_e64 s3, s33, v176
	v_add_nc_u32_e32 v175, 0x80, v175
	v_add_nc_u32_e32 v172, 0x200, v172
	s_or_b32 s27, s3, s27
	s_wait_alu 0xfffe
	s_and_not1_b32 exec_lo, exec_lo, s27
	s_cbranch_execz .LBB176_16
.LBB176_12:                             ; =>This Inner Loop Header: Depth=1
	v_sub_nc_u32_e32 v1, 0, v175
	s_delay_alu instid0(VALU_DEP_1) | instskip(NEXT) | instid1(VALU_DEP_1)
	v_max_i32_e32 v1, v175, v1
	v_mul_hi_u32 v2, v1, s18
	s_delay_alu instid0(VALU_DEP_1) | instskip(NEXT) | instid1(VALU_DEP_1)
	v_mul_lo_u32 v3, v2, s12
	v_sub_nc_u32_e32 v1, v1, v3
	v_add_nc_u32_e32 v3, 1, v2
	s_delay_alu instid0(VALU_DEP_2) | instskip(SKIP_2) | instid1(VALU_DEP_1)
	v_subrev_nc_u32_e32 v4, s12, v1
	v_cmp_le_u32_e64 s3, s12, v1
	s_wait_alu 0xf1ff
	v_cndmask_b32_e64 v2, v2, v3, s3
	s_delay_alu instid0(VALU_DEP_3) | instskip(SKIP_1) | instid1(VALU_DEP_3)
	v_cndmask_b32_e64 v1, v1, v4, s3
	v_ashrrev_i32_e32 v3, 31, v175
	v_add_nc_u32_e32 v4, 1, v2
	s_delay_alu instid0(VALU_DEP_3) | instskip(NEXT) | instid1(VALU_DEP_3)
	v_cmp_le_u32_e64 s3, s12, v1
	v_xor_b32_e32 v3, s19, v3
	s_wait_alu 0xf1ff
	s_delay_alu instid0(VALU_DEP_2) | instskip(NEXT) | instid1(VALU_DEP_1)
	v_cndmask_b32_e64 v1, v2, v4, s3
	v_xor_b32_e32 v1, v1, v3
	s_delay_alu instid0(VALU_DEP_1) | instskip(NEXT) | instid1(VALU_DEP_1)
	v_sub_nc_u32_e32 v1, v1, v3
	v_add_nc_u32_e32 v2, s17, v1
	v_cmp_ge_i32_e64 s4, s10, v1
	s_delay_alu instid0(VALU_DEP_2) | instskip(NEXT) | instid1(VALU_DEP_1)
	v_sub_nc_u32_e32 v3, 0, v2
	v_max_i32_e32 v3, v2, v3
	v_ashrrev_i32_e32 v2, 31, v2
	s_wait_alu 0xfffe
	s_delay_alu instid0(VALU_DEP_2) | instskip(NEXT) | instid1(VALU_DEP_1)
	v_mul_hi_u32 v4, v3, s28
	v_mul_lo_u32 v4, v4, s11
	s_delay_alu instid0(VALU_DEP_1) | instskip(NEXT) | instid1(VALU_DEP_1)
	v_sub_nc_u32_e32 v3, v3, v4
	v_subrev_nc_u32_e32 v4, s11, v3
	v_cmp_le_u32_e64 s3, s11, v3
	s_wait_alu 0xf1ff
	s_delay_alu instid0(VALU_DEP_1) | instskip(NEXT) | instid1(VALU_DEP_1)
	v_cndmask_b32_e64 v3, v3, v4, s3
	v_subrev_nc_u32_e32 v4, s11, v3
	v_cmp_le_u32_e64 s3, s11, v3
	s_wait_alu 0xf1ff
	s_delay_alu instid0(VALU_DEP_1) | instskip(NEXT) | instid1(VALU_DEP_1)
	v_cndmask_b32_e64 v3, v3, v4, s3
	v_xor_b32_e32 v3, v3, v2
	s_delay_alu instid0(VALU_DEP_1) | instskip(NEXT) | instid1(VALU_DEP_1)
	v_sub_nc_u32_e32 v2, v3, v2
	v_cmp_ne_u32_e64 s3, 0, v2
	s_and_b32 s3, s3, s4
	s_wait_alu 0xfffe
	s_and_saveexec_b32 s4, s3
	s_wait_alu 0xfffe
	s_xor_b32 s3, exec_lo, s4
; %bb.13:                               ;   in Loop: Header=BB176_12 Depth=1
	v_mov_b32_e32 v1, 0xff7fffff
	ds_store_b32 v172, v1
; %bb.14:                               ;   in Loop: Header=BB176_12 Depth=1
	s_wait_alu 0xfffe
	s_and_not1_saveexec_b32 s4, s3
	s_cbranch_execz .LBB176_11
; %bb.15:                               ;   in Loop: Header=BB176_12 Depth=1
	global_load_b32 v1, v[41:42], off
	scratch_load_b32 v0, off, off           ; 4-byte Folded Reload
	s_wait_loadcnt 0x1
	v_mad_co_i64_i32 v[1:2], null, v1, s14, 0
	s_wait_loadcnt 0x0
	v_add_nc_u32_e32 v3, v0, v175
	s_delay_alu instid0(VALU_DEP_2) | instskip(NEXT) | instid1(VALU_DEP_1)
	v_lshlrev_b64_e32 v[1:2], 1, v[1:2]
	v_add_co_u32 v71, s3, v173, v1
	v_add_nc_u32_e32 v1, v171, v175
	s_wait_alu 0xf1ff
	s_delay_alu instid0(VALU_DEP_3) | instskip(SKIP_1) | instid1(VALU_DEP_3)
	v_add_co_ci_u32_e64 v72, null, v174, v2, s3
	v_cmp_gt_i32_e64 s3, s31, v3
	v_cvt_f32_i32_e32 v1, v1
	s_delay_alu instid0(VALU_DEP_1) | instskip(NEXT) | instid1(VALU_DEP_1)
	v_mul_f32_e32 v1, s15, v1
	v_cndmask_b32_e32 v177, 0, v1, vcc_lo
	s_clause 0x2
	global_load_b128 v[1:4], v[71:72], off
	global_load_b128 v[5:8], v[71:72], off offset:512
	global_load_b128 v[9:12], v[71:72], off offset:1024
	scratch_load_b32 v0, off, off offset:12 ; 4-byte Folded Reload
	s_wait_loadcnt 0x3
	v_and_b32_e32 v13, 0xffff0000, v1
	s_wait_loadcnt 0x2
	v_lshlrev_b32_e32 v14, 16, v5
	v_and_b32_e32 v5, 0xffff0000, v5
	v_lshlrev_b32_e32 v1, 16, v1
	s_wait_loadcnt 0x0
	s_delay_alu instid0(VALU_DEP_2)
	v_mul_f32_e32 v178, v0, v5
	scratch_load_b32 v0, off, off offset:16 ; 4-byte Folded Reload
	v_and_b32_e32 v5, 0xffff0000, v9
	s_wait_loadcnt 0x0
	v_mul_f32_e32 v179, v0, v14
	scratch_load_b32 v0, off, off offset:8  ; 4-byte Folded Reload
	s_wait_loadcnt 0x0
	v_fmac_f32_e32 v179, v0, v1
	scratch_load_b32 v0, off, off offset:4  ; 4-byte Folded Reload
	v_lshlrev_b32_e32 v1, 16, v9
	s_delay_alu instid0(VALU_DEP_1)
	v_fmac_f32_e32 v179, v63, v1
	v_and_b32_e32 v1, 0xffff0000, v2
	v_lshlrev_b32_e32 v2, 16, v2
	s_wait_loadcnt 0x0
	v_fmac_f32_e32 v178, v0, v13
	scratch_load_b32 v0, off, off offset:24 ; 4-byte Folded Reload
	v_dual_fmac_f32 v178, v62, v5 :: v_dual_lshlrev_b32 v5, 16, v6
	s_delay_alu instid0(VALU_DEP_1) | instskip(NEXT) | instid1(VALU_DEP_1)
	v_dual_mul_f32 v181, v53, v5 :: v_dual_and_b32 v6, 0xffff0000, v6
	v_dual_mul_f32 v180, v52, v6 :: v_dual_and_b32 v5, 0xffff0000, v7
	s_delay_alu instid0(VALU_DEP_1) | instskip(SKIP_1) | instid1(VALU_DEP_3)
	v_mul_f32_e32 v182, v56, v5
	s_wait_loadcnt 0x0
	v_fmac_f32_e32 v181, v0, v2
	scratch_load_b32 v0, off, off offset:20 ; 4-byte Folded Reload
	v_and_b32_e32 v2, 0xffff0000, v10
	s_wait_loadcnt 0x0
	v_dual_fmac_f32 v180, v0, v1 :: v_dual_lshlrev_b32 v1, 16, v10
	s_delay_alu instid0(VALU_DEP_1) | instskip(SKIP_2) | instid1(VALU_DEP_2)
	v_dual_fmac_f32 v180, v64, v2 :: v_dual_fmac_f32 v181, v65, v1
	v_and_b32_e32 v1, 0xffff0000, v3
	v_lshlrev_b32_e32 v2, 16, v3
	v_dual_fmac_f32 v182, v54, v1 :: v_dual_lshlrev_b32 v3, 16, v7
	v_lshlrev_b32_e32 v1, 16, v11
	s_delay_alu instid0(VALU_DEP_2) | instskip(SKIP_1) | instid1(VALU_DEP_2)
	v_mul_f32_e32 v183, v57, v3
	v_lshlrev_b32_e32 v3, 16, v8
	v_dual_fmac_f32 v183, v55, v2 :: v_dual_and_b32 v2, 0xffff0000, v11
	s_delay_alu instid0(VALU_DEP_2) | instskip(NEXT) | instid1(VALU_DEP_2)
	v_mul_f32_e32 v185, v61, v3
	v_dual_fmac_f32 v183, v67, v1 :: v_dual_fmac_f32 v182, v66, v2
	v_and_b32_e32 v1, 0xffff0000, v4
	v_lshlrev_b32_e32 v2, 16, v4
	s_delay_alu instid0(VALU_DEP_1) | instskip(NEXT) | instid1(VALU_DEP_1)
	v_dual_fmac_f32 v185, v59, v2 :: v_dual_and_b32 v4, 0xffff0000, v8
	v_mul_f32_e32 v184, v60, v4
	v_and_b32_e32 v2, 0xffff0000, v12
	s_delay_alu instid0(VALU_DEP_2) | instskip(NEXT) | instid1(VALU_DEP_1)
	v_dual_fmac_f32 v184, v58, v1 :: v_dual_lshlrev_b32 v1, 16, v12
	v_dual_fmac_f32 v184, v68, v2 :: v_dual_fmac_f32 v185, v69, v1
	global_load_b128 v[1:4], v[71:72], off offset:1536
	s_wait_loadcnt 0x0
	v_lshlrev_b32_e32 v46, 16, v1
	v_and_b32_e32 v0, 0xffff0000, v2
	v_and_b32_e32 v45, 0xffff0000, v1
	v_lshlrev_b32_e32 v47, 16, v2
	v_and_b32_e32 v190, 0xffff0000, v3
	v_lshlrev_b32_e32 v191, 16, v3
	;; [unrolled: 2-line block ×3, first 2 shown]
	global_load_b128 v[1:4], v[71:72], off offset:2048
	v_fmac_f32_e32 v180, v76, v0
	v_dual_fmac_f32 v178, v70, v45 :: v_dual_fmac_f32 v179, v75, v46
	v_fmac_f32_e32 v182, v78, v190
	v_fmac_f32_e32 v184, v80, v186
	s_wait_loadcnt 0x0
	v_lshlrev_b32_e32 v48, 16, v1
	v_lshlrev_b32_e32 v50, 16, v2
	v_and_b32_e32 v51, 0xffff0000, v2
	v_and_b32_e32 v49, 0xffff0000, v1
	s_delay_alu instid0(VALU_DEP_4)
	v_dual_fmac_f32 v179, v83, v48 :: v_dual_lshlrev_b32 v44, 16, v3
	v_and_b32_e32 v43, 0xffff0000, v3
	v_lshlrev_b32_e32 v188, 16, v4
	v_and_b32_e32 v189, 0xffff0000, v4
	s_clause 0x9
	global_load_b128 v[37:40], v[71:72], off offset:2560
	global_load_b128 v[33:36], v[71:72], off offset:3072
	global_load_b128 v[29:32], v[71:72], off offset:3584
	global_load_b128 v[25:28], v[71:72], off offset:4096
	global_load_b128 v[21:24], v[71:72], off offset:4608
	global_load_b128 v[17:20], v[71:72], off offset:5120
	global_load_b128 v[13:16], v[71:72], off offset:5632
	global_load_b128 v[9:12], v[71:72], off offset:6144
	global_load_b128 v[5:8], v[71:72], off offset:6656
	global_load_b128 v[1:4], v[71:72], off offset:7168
	v_fmac_f32_e32 v180, v84, v51
	v_fmac_f32_e32 v178, v82, v49
	s_wait_loadcnt 0x9
	v_and_b32_e32 v0, 0xffff0000, v38
	v_and_b32_e32 v45, 0xffff0000, v37
	s_delay_alu instid0(VALU_DEP_2) | instskip(NEXT) | instid1(VALU_DEP_2)
	v_dual_fmac_f32 v180, v100, v0 :: v_dual_lshlrev_b32 v37, 16, v37
	v_fmac_f32_e32 v178, v90, v45
	s_delay_alu instid0(VALU_DEP_2) | instskip(SKIP_3) | instid1(VALU_DEP_2)
	v_fmac_f32_e32 v179, v91, v37
	s_wait_loadcnt 0x8
	v_lshlrev_b32_e32 v37, 16, v33
	v_and_b32_e32 v33, 0xffff0000, v33
	v_dual_fmac_f32 v179, v93, v37 :: v_dual_lshlrev_b32 v0, 16, v34
	s_delay_alu instid0(VALU_DEP_2) | instskip(SKIP_3) | instid1(VALU_DEP_2)
	v_fmac_f32_e32 v178, v92, v33
	s_wait_loadcnt 0x7
	v_and_b32_e32 v33, 0xffff0000, v29
	v_lshlrev_b32_e32 v29, 16, v29
	v_fmac_f32_e32 v178, v94, v33
	s_delay_alu instid0(VALU_DEP_2) | instskip(SKIP_3) | instid1(VALU_DEP_2)
	v_fmac_f32_e32 v179, v95, v29
	s_wait_loadcnt 0x6
	v_lshlrev_b32_e32 v29, 16, v25
	v_and_b32_e32 v25, 0xffff0000, v25
	v_fmac_f32_e32 v179, v97, v29
	s_delay_alu instid0(VALU_DEP_2) | instskip(SKIP_3) | instid1(VALU_DEP_2)
	v_fmac_f32_e32 v178, v96, v25
	s_wait_loadcnt 0x5
	v_and_b32_e32 v25, 0xffff0000, v21
	v_lshlrev_b32_e32 v21, 16, v21
	v_dual_fmac_f32 v181, v77, v47 :: v_dual_fmac_f32 v178, v98, v25
	s_delay_alu instid0(VALU_DEP_2)
	v_fmac_f32_e32 v179, v99, v21
	s_wait_loadcnt 0x4
	v_lshlrev_b32_e32 v21, 16, v17
	v_and_b32_e32 v17, 0xffff0000, v17
	v_fmac_f32_e32 v181, v85, v50
	v_fmac_f32_e32 v183, v79, v191
	s_delay_alu instid0(VALU_DEP_4) | instskip(NEXT) | instid1(VALU_DEP_4)
	v_fmac_f32_e32 v179, v131, v21
	v_fmac_f32_e32 v178, v130, v17
	s_wait_loadcnt 0x3
	v_and_b32_e32 v17, 0xffff0000, v13
	v_lshlrev_b32_e32 v13, 16, v13
	v_fmac_f32_e32 v183, v87, v44
	s_delay_alu instid0(VALU_DEP_3) | instskip(NEXT) | instid1(VALU_DEP_3)
	v_dual_fmac_f32 v185, v81, v187 :: v_dual_fmac_f32 v178, v138, v17
	v_fmac_f32_e32 v179, v139, v13
	s_wait_loadcnt 0x2
	v_lshlrev_b32_e32 v13, 16, v9
	v_and_b32_e32 v9, 0xffff0000, v9
	s_delay_alu instid0(VALU_DEP_2) | instskip(NEXT) | instid1(VALU_DEP_2)
	v_fmac_f32_e32 v179, v147, v13
	v_fmac_f32_e32 v178, v146, v9
	s_wait_loadcnt 0x1
	v_and_b32_e32 v9, 0xffff0000, v5
	v_dual_fmac_f32 v182, v86, v43 :: v_dual_lshlrev_b32 v5, 16, v5
	s_delay_alu instid0(VALU_DEP_2) | instskip(NEXT) | instid1(VALU_DEP_2)
	v_fmac_f32_e32 v178, v154, v9
	v_fmac_f32_e32 v179, v155, v5
	s_wait_loadcnt 0x0
	v_lshlrev_b32_e32 v5, 16, v1
	v_and_b32_e32 v1, 0xffff0000, v1
	v_fmac_f32_e32 v184, v88, v189
	s_delay_alu instid0(VALU_DEP_2) | instskip(NEXT) | instid1(VALU_DEP_1)
	v_dual_fmac_f32 v178, v163, v1 :: v_dual_lshlrev_b32 v1, 16, v38
	v_fmac_f32_e32 v181, v101, v1
	v_and_b32_e32 v1, 0xffff0000, v34
	s_delay_alu instid0(VALU_DEP_1) | instskip(SKIP_1) | instid1(VALU_DEP_1)
	v_dual_fmac_f32 v181, v103, v0 :: v_dual_fmac_f32 v180, v102, v1
	v_and_b32_e32 v0, 0xffff0000, v30
	v_dual_fmac_f32 v180, v104, v0 :: v_dual_lshlrev_b32 v1, 16, v30
	s_delay_alu instid0(VALU_DEP_1) | instskip(SKIP_1) | instid1(VALU_DEP_1)
	v_dual_fmac_f32 v181, v105, v1 :: v_dual_lshlrev_b32 v0, 16, v26
	v_and_b32_e32 v1, 0xffff0000, v26
	v_dual_fmac_f32 v181, v107, v0 :: v_dual_fmac_f32 v180, v106, v1
	v_and_b32_e32 v0, 0xffff0000, v22
	s_delay_alu instid0(VALU_DEP_1) | instskip(NEXT) | instid1(VALU_DEP_1)
	v_dual_fmac_f32 v180, v108, v0 :: v_dual_lshlrev_b32 v1, 16, v22
	v_dual_fmac_f32 v181, v109, v1 :: v_dual_lshlrev_b32 v0, 16, v18
	v_and_b32_e32 v1, 0xffff0000, v18
	s_delay_alu instid0(VALU_DEP_1) | instskip(SKIP_1) | instid1(VALU_DEP_1)
	v_dual_fmac_f32 v181, v133, v0 :: v_dual_fmac_f32 v180, v132, v1
	v_and_b32_e32 v0, 0xffff0000, v14
	v_dual_fmac_f32 v180, v140, v0 :: v_dual_lshlrev_b32 v1, 16, v14
	s_delay_alu instid0(VALU_DEP_1) | instskip(SKIP_1) | instid1(VALU_DEP_1)
	v_dual_fmac_f32 v181, v141, v1 :: v_dual_lshlrev_b32 v0, 16, v10
	v_and_b32_e32 v1, 0xffff0000, v10
	v_dual_fmac_f32 v181, v149, v0 :: v_dual_fmac_f32 v180, v148, v1
	v_and_b32_e32 v0, 0xffff0000, v6
	v_lshlrev_b32_e32 v1, 16, v6
	v_fmac_f32_e32 v179, v164, v5
	s_delay_alu instid0(VALU_DEP_2) | instskip(SKIP_2) | instid1(VALU_DEP_1)
	v_dual_fmac_f32 v180, v156, v0 :: v_dual_fmac_f32 v181, v157, v1
	v_lshlrev_b32_e32 v0, 16, v2
	v_and_b32_e32 v1, 0xffff0000, v2
	v_dual_fmac_f32 v181, v166, v0 :: v_dual_fmac_f32 v180, v165, v1
	v_and_b32_e32 v0, 0xffff0000, v39
	s_delay_alu instid0(VALU_DEP_1) | instskip(NEXT) | instid1(VALU_DEP_1)
	v_dual_fmac_f32 v182, v110, v0 :: v_dual_lshlrev_b32 v1, 16, v39
	v_dual_fmac_f32 v183, v111, v1 :: v_dual_lshlrev_b32 v0, 16, v35
	v_and_b32_e32 v1, 0xffff0000, v35
	s_delay_alu instid0(VALU_DEP_1) | instskip(SKIP_1) | instid1(VALU_DEP_1)
	v_dual_fmac_f32 v183, v113, v0 :: v_dual_fmac_f32 v182, v112, v1
	v_and_b32_e32 v0, 0xffff0000, v31
	v_dual_fmac_f32 v182, v114, v0 :: v_dual_lshlrev_b32 v1, 16, v31
	s_delay_alu instid0(VALU_DEP_1) | instskip(SKIP_1) | instid1(VALU_DEP_1)
	v_dual_fmac_f32 v183, v117, v1 :: v_dual_lshlrev_b32 v0, 16, v27
	v_and_b32_e32 v1, 0xffff0000, v27
	v_dual_fmac_f32 v183, v121, v0 :: v_dual_fmac_f32 v182, v118, v1
	v_and_b32_e32 v0, 0xffff0000, v23
	s_delay_alu instid0(VALU_DEP_1) | instskip(NEXT) | instid1(VALU_DEP_1)
	v_dual_fmac_f32 v182, v122, v0 :: v_dual_lshlrev_b32 v1, 16, v23
	v_dual_fmac_f32 v183, v125, v1 :: v_dual_lshlrev_b32 v0, 16, v19
	v_and_b32_e32 v1, 0xffff0000, v19
	s_delay_alu instid0(VALU_DEP_1) | instskip(SKIP_1) | instid1(VALU_DEP_1)
	v_dual_fmac_f32 v183, v135, v0 :: v_dual_fmac_f32 v182, v134, v1
	v_and_b32_e32 v0, 0xffff0000, v15
	v_dual_fmac_f32 v182, v142, v0 :: v_dual_lshlrev_b32 v1, 16, v15
	s_delay_alu instid0(VALU_DEP_1) | instskip(SKIP_1) | instid1(VALU_DEP_1)
	v_dual_fmac_f32 v183, v143, v1 :: v_dual_lshlrev_b32 v0, 16, v11
	v_and_b32_e32 v1, 0xffff0000, v11
	v_dual_fmac_f32 v183, v151, v0 :: v_dual_fmac_f32 v182, v150, v1
	v_and_b32_e32 v0, 0xffff0000, v7
	s_delay_alu instid0(VALU_DEP_1) | instskip(NEXT) | instid1(VALU_DEP_1)
	v_dual_fmac_f32 v182, v158, v0 :: v_dual_lshlrev_b32 v1, 16, v7
	v_dual_fmac_f32 v183, v160, v1 :: v_dual_lshlrev_b32 v0, 16, v3
	v_and_b32_e32 v1, 0xffff0000, v3
	s_delay_alu instid0(VALU_DEP_1) | instskip(SKIP_2) | instid1(VALU_DEP_2)
	v_dual_fmac_f32 v183, v168, v0 :: v_dual_fmac_f32 v182, v167, v1
	v_and_b32_e32 v0, 0xffff0000, v40
	v_lshlrev_b32_e32 v1, 16, v40
	v_fmac_f32_e32 v184, v115, v0
	v_lshlrev_b32_e32 v0, 16, v36
	v_fmac_f32_e32 v185, v89, v188
	s_delay_alu instid0(VALU_DEP_1) | instskip(SKIP_1) | instid1(VALU_DEP_1)
	v_fmac_f32_e32 v185, v116, v1
	v_and_b32_e32 v1, 0xffff0000, v36
	v_dual_fmac_f32 v185, v120, v0 :: v_dual_fmac_f32 v184, v119, v1
	v_and_b32_e32 v0, 0xffff0000, v32
	v_lshlrev_b32_e32 v1, 16, v32
	s_delay_alu instid0(VALU_DEP_1) | instskip(SKIP_2) | instid1(VALU_DEP_1)
	v_dual_fmac_f32 v184, v123, v0 :: v_dual_fmac_f32 v185, v124, v1
	v_lshlrev_b32_e32 v0, 16, v28
	v_and_b32_e32 v1, 0xffff0000, v28
	v_dual_fmac_f32 v185, v127, v0 :: v_dual_fmac_f32 v184, v126, v1
	v_lshlrev_b32_e32 v1, 16, v24
	s_delay_alu instid0(VALU_DEP_1) | instskip(NEXT) | instid1(VALU_DEP_1)
	v_dual_fmac_f32 v185, v129, v1 :: v_dual_and_b32 v0, 0xffff0000, v24
	v_fmac_f32_e32 v184, v128, v0
	v_and_b32_e32 v1, 0xffff0000, v20
	s_delay_alu instid0(VALU_DEP_1) | instskip(SKIP_1) | instid1(VALU_DEP_1)
	v_dual_fmac_f32 v184, v136, v1 :: v_dual_lshlrev_b32 v1, 16, v16
	v_lshlrev_b32_e32 v0, 16, v20
	v_fmac_f32_e32 v185, v137, v0
	s_delay_alu instid0(VALU_DEP_1) | instskip(NEXT) | instid1(VALU_DEP_1)
	v_dual_fmac_f32 v185, v145, v1 :: v_dual_and_b32 v0, 0xffff0000, v16
	v_fmac_f32_e32 v184, v144, v0
	v_lshlrev_b32_e32 v0, 16, v12
	v_and_b32_e32 v1, 0xffff0000, v12
	s_delay_alu instid0(VALU_DEP_1) | instskip(SKIP_2) | instid1(VALU_DEP_1)
	v_dual_fmac_f32 v185, v153, v0 :: v_dual_fmac_f32 v184, v152, v1
	v_and_b32_e32 v0, 0xffff0000, v8
	v_lshlrev_b32_e32 v1, 16, v8
	v_dual_fmac_f32 v184, v161, v0 :: v_dual_fmac_f32 v185, v162, v1
	v_lshlrev_b32_e32 v0, 16, v4
	v_and_b32_e32 v1, 0xffff0000, v4
	s_delay_alu instid0(VALU_DEP_2) | instskip(NEXT) | instid1(VALU_DEP_2)
	v_dual_fmac_f32 v185, v170, v0 :: v_dual_add_f32 v0, v179, v178
	v_fmac_f32_e32 v184, v169, v1
	s_delay_alu instid0(VALU_DEP_2) | instskip(NEXT) | instid1(VALU_DEP_1)
	v_add_f32_e32 v0, v0, v181
	v_add_f32_e32 v0, v180, v0
	s_delay_alu instid0(VALU_DEP_1) | instskip(NEXT) | instid1(VALU_DEP_1)
	v_add_f32_e32 v0, v183, v0
	v_add_f32_e32 v0, v182, v0
	s_delay_alu instid0(VALU_DEP_1) | instskip(NEXT) | instid1(VALU_DEP_1)
	v_add_f32_e32 v0, v185, v0
	v_add_f32_e32 v0, v184, v0
	s_delay_alu instid0(VALU_DEP_1) | instskip(SKIP_1) | instid1(VALU_DEP_1)
	v_fmac_f32_e32 v177, s9, v0
	s_wait_alu 0xf1ff
	v_cndmask_b32_e64 v0, 0, v177, s3
	ds_store_b32 v172, v0
	v_max_num_f32_e32 v0, v159, v159
	s_delay_alu instid0(VALU_DEP_1) | instskip(NEXT) | instid1(VALU_DEP_1)
	v_max_num_f32_e32 v0, v0, v177
	v_cndmask_b32_e64 v159, v159, v0, s3
	s_branch .LBB176_11
.LBB176_16:
	s_or_b32 exec_lo, exec_lo, s27
	s_clause 0x3
	scratch_load_b32 v105, off, off offset:28
	scratch_load_b32 v175, off, off offset:32
	;; [unrolled: 1-line block ×4, first 2 shown]
	v_lshlrev_b32_e32 v30, 2, v74
.LBB176_17:
	s_or_b32 exec_lo, exec_lo, s8
	s_clause 0x2
	s_load_b128 s[8:11], s[0:1], 0x0
	s_load_b64 s[14:15], s[0:1], 0x10
	s_load_b64 s[28:29], s[0:1], 0x28
	scratch_load_b32 v0, off, off           ; 4-byte Folded Reload
	v_mbcnt_lo_u32_b32 v1, -1, 0
	v_max_num_f32_e32 v5, v159, v159
	s_delay_alu instid0(VALU_DEP_2) | instskip(SKIP_1) | instid1(VALU_DEP_2)
	v_xor_b32_e32 v2, 16, v1
	v_xor_b32_e32 v4, 8, v1
	v_cmp_gt_i32_e32 vcc_lo, 32, v2
	s_wait_alu 0xfffd
	v_cndmask_b32_e32 v2, v1, v2, vcc_lo
	s_delay_alu instid0(VALU_DEP_3) | instskip(NEXT) | instid1(VALU_DEP_2)
	v_cmp_gt_i32_e32 vcc_lo, 32, v4
	v_lshlrev_b32_e32 v2, 2, v2
	s_wait_alu 0xfffd
	v_cndmask_b32_e32 v4, v1, v4, vcc_lo
	ds_bpermute_b32 v3, v2, v159
	s_wait_dscnt 0x0
	v_dual_max_num_f32 v6, v3, v3 :: v_dual_lshlrev_b32 v3, 2, v4
	s_delay_alu instid0(VALU_DEP_1)
	v_max_num_f32_e32 v4, v5, v6
	v_xor_b32_e32 v6, 4, v1
	ds_bpermute_b32 v5, v3, v4
	v_cmp_gt_i32_e32 vcc_lo, 32, v6
	s_wait_alu 0xfffd
	v_cndmask_b32_e32 v6, v1, v6, vcc_lo
	s_wait_dscnt 0x0
	v_max_num_f32_e32 v7, v5, v5
	s_delay_alu instid0(VALU_DEP_1)
	v_dual_max_num_f32 v4, v4, v7 :: v_dual_lshlrev_b32 v5, 2, v6
	v_xor_b32_e32 v7, 2, v1
	ds_bpermute_b32 v6, v5, v4
	v_cmp_gt_i32_e32 vcc_lo, 32, v7
	s_wait_dscnt 0x0
	s_wait_alu 0xfffd
	v_dual_cndmask_b32 v7, v1, v7 :: v_dual_max_num_f32 v6, v6, v6
	s_delay_alu instid0(VALU_DEP_1) | instskip(NEXT) | instid1(VALU_DEP_2)
	v_max_num_f32_e32 v4, v4, v6
	v_lshlrev_b32_e32 v76, 2, v7
	v_xor_b32_e32 v7, 1, v1
	s_delay_alu instid0(VALU_DEP_1)
	v_cmp_gt_i32_e32 vcc_lo, 32, v7
	s_wait_alu 0xfffd
	v_cndmask_b32_e32 v7, v1, v7, vcc_lo
	ds_bpermute_b32 v6, v76, v4
	s_wait_dscnt 0x0
	v_dual_max_num_f32 v6, v6, v6 :: v_dual_lshlrev_b32 v75, 2, v7
	s_wait_loadcnt 0x3
	s_delay_alu instid0(VALU_DEP_1)
	v_dual_max_num_f32 v1, v4, v6 :: v_dual_lshlrev_b32 v6, 2, v175
	ds_bpermute_b32 v4, v75, v1
	s_wait_loadcnt 0x0
	v_cmp_eq_u32_e32 vcc_lo, 0, v0
	s_and_saveexec_b32 s0, vcc_lo
	s_cbranch_execz .LBB176_19
; %bb.18:
	s_wait_dscnt 0x0
	v_dual_max_num_f32 v0, v4, v4 :: v_dual_max_num_f32 v1, v1, v1
	s_delay_alu instid0(VALU_DEP_1)
	v_max_num_f32_e32 v0, v1, v0
	ds_store_b32 v6, v0 offset:240
.LBB176_19:
	s_or_b32 exec_lo, exec_lo, s0
	scratch_load_b32 v0, off, off           ; 4-byte Folded Reload
	v_mov_b32_e32 v1, 0xff7fffff
	s_wait_storecnt 0x0
	s_wait_loadcnt_dscnt 0x0
	s_barrier_signal -1
	s_barrier_wait -1
	global_inv scope:SCOPE_SE
	v_cmp_gt_u32_e64 s0, 4, v0
	s_and_saveexec_b32 s1, s0
; %bb.20:
	ds_load_b32 v1, v31 offset:240
; %bb.21:
	s_or_b32 exec_lo, exec_lo, s1
	s_wait_dscnt 0x0
	ds_bpermute_b32 v0, v76, v1
	v_max_num_f32_e32 v1, v1, v1
	s_sub_co_i32 s1, s33, s37
	v_lshl_add_u32 v4, v105, 2, 0x110
	s_lshl_b32 s1, s1, 5
	v_mov_b32_e32 v7, 0
	s_add_co_i32 s1, s1, s34
	s_delay_alu instid0(SALU_CYCLE_1) | instskip(NEXT) | instid1(SALU_CYCLE_1)
	s_min_i32 s1, s1, s31
	s_sub_co_i32 s4, s1, s34
	s_wait_alu 0xfffe
	v_cmp_gt_i32_e64 s1, s4, v105
	s_wait_dscnt 0x0
	v_max_num_f32_e32 v0, v0, v0
	s_delay_alu instid0(VALU_DEP_1) | instskip(SKIP_3) | instid1(VALU_DEP_1)
	v_max_num_f32_e32 v0, v1, v0
	ds_bpermute_b32 v1, v75, v0
	s_wait_dscnt 0x0
	v_max_num_f32_e32 v1, v1, v1
	v_max_num_f32_e32 v0, v0, v1
	ds_bpermute_b32 v1, v7, v0
	s_and_saveexec_b32 s27, s1
	s_cbranch_execz .LBB176_25
; %bb.22:
	v_lshl_add_u32 v8, v105, 2, 0x110
	v_mov_b32_e32 v7, 0
	v_mov_b32_e32 v9, v105
	s_mov_b32 s34, 0
.LBB176_23:                             ; =>This Inner Loop Header: Depth=1
	ds_load_b32 v0, v8
	v_add_nc_u32_e32 v9, 0x80, v9
	s_delay_alu instid0(VALU_DEP_1) | instskip(SKIP_4) | instid1(VALU_DEP_1)
	v_cmp_le_i32_e64 s3, s4, v9
	s_wait_alu 0xfffe
	s_or_b32 s34, s3, s34
	s_wait_dscnt 0x0
	v_sub_f32_e32 v0, v0, v1
	v_mul_f32_e32 v0, 0x3fb8aa3b, v0
	s_delay_alu instid0(VALU_DEP_1)
	v_exp_f32_e32 v0, v0
	ds_store_b32 v8, v0
	v_add_f32_e32 v7, v7, v0
	v_add_nc_u32_e32 v8, 0x200, v8
	s_wait_alu 0xfffe
	s_and_not1_b32 exec_lo, exec_lo, s34
	s_cbranch_execnz .LBB176_23
; %bb.24:
	s_or_b32 exec_lo, exec_lo, s34
.LBB176_25:
	s_wait_alu 0xfffe
	s_or_b32 exec_lo, exec_lo, s27
	ds_bpermute_b32 v0, v2, v7
	s_wait_dscnt 0x0
	v_add_f32_e32 v0, v7, v0
	ds_bpermute_b32 v2, v3, v0
	s_wait_dscnt 0x0
	v_add_f32_e32 v0, v0, v2
	;; [unrolled: 3-line block ×5, first 2 shown]
	s_and_saveexec_b32 s3, vcc_lo
; %bb.26:
	ds_store_b32 v6, v2 offset:256
; %bb.27:
	s_wait_alu 0xfffe
	s_or_b32 exec_lo, exec_lo, s3
	s_wait_loadcnt_dscnt 0x0
	s_barrier_signal -1
	s_barrier_wait -1
	global_inv scope:SCOPE_SE
	s_and_saveexec_b32 s3, s0
; %bb.28:
	ds_load_b32 v2, v31 offset:256
; %bb.29:
	s_wait_alu 0xfffe
	s_or_b32 exec_lo, exec_lo, s3
	s_wait_dscnt 0x0
	ds_bpermute_b32 v0, v76, v2
	s_wait_dscnt 0x0
	v_add_f32_e32 v0, v2, v0
	ds_bpermute_b32 v2, v75, v0
	s_wait_dscnt 0x0
	v_add_f32_e32 v0, v0, v2
	v_mov_b32_e32 v2, 0
	ds_bpermute_b32 v2, v2, v0
	s_and_saveexec_b32 s0, s1
	s_cbranch_execz .LBB176_32
; %bb.30:
	s_wait_dscnt 0x0
	v_add_f32_e32 v0, 0x358637bd, v2
	s_mov_b32 s1, 0
	s_delay_alu instid0(VALU_DEP_1) | instskip(NEXT) | instid1(VALU_DEP_1)
	v_div_scale_f32 v3, null, v0, v0, 1.0
	v_rcp_f32_e32 v5, v3
	s_delay_alu instid0(TRANS32_DEP_1) | instskip(NEXT) | instid1(VALU_DEP_1)
	v_fma_f32 v6, -v3, v5, 1.0
	v_fmac_f32_e32 v5, v6, v5
	v_div_scale_f32 v7, vcc_lo, 1.0, v0, 1.0
	s_delay_alu instid0(VALU_DEP_1) | instskip(NEXT) | instid1(VALU_DEP_1)
	v_mul_f32_e32 v6, v7, v5
	v_fma_f32 v8, -v3, v6, v7
	s_delay_alu instid0(VALU_DEP_1) | instskip(NEXT) | instid1(VALU_DEP_1)
	v_fmac_f32_e32 v6, v8, v5
	v_fma_f32 v3, -v3, v6, v7
	s_wait_alu 0xfffd
	s_delay_alu instid0(VALU_DEP_1) | instskip(SKIP_1) | instid1(VALU_DEP_2)
	v_div_fmas_f32 v3, v3, v5, v6
	v_mov_b32_e32 v5, v105
	v_div_fixup_f32 v3, v3, v0, 1.0
.LBB176_31:                             ; =>This Inner Loop Header: Depth=1
	ds_load_b32 v0, v4
	s_wait_dscnt 0x0
	v_dual_mul_f32 v0, v3, v0 :: v_dual_add_nc_u32 v5, 0x80, v5
	s_delay_alu instid0(VALU_DEP_1) | instskip(SKIP_3) | instid1(SALU_CYCLE_1)
	v_cmp_le_i32_e32 vcc_lo, s4, v5
	ds_store_b32 v4, v0
	v_add_nc_u32_e32 v4, 0x200, v4
	s_or_b32 s1, vcc_lo, s1
	s_and_not1_b32 exec_lo, exec_lo, s1
	s_cbranch_execnz .LBB176_31
.LBB176_32:
	s_or_b32 exec_lo, exec_lo, s0
	s_mul_i32 s0, s7, s20
	s_wait_loadcnt_dscnt 0x0
	s_mul_i32 s20, s0, s21
	s_mov_b32 s0, exec_lo
	s_barrier_signal -1
	s_barrier_wait -1
	global_inv scope:SCOPE_SE
	v_cmpx_eq_u32_e32 0, v105
	s_cbranch_execz .LBB176_34
; %bb.33:
	s_ashr_i32 s21, s20, 31
	s_mul_i32 s38, s7, ttmp9
	s_lshl_b32 s1, s30, 2
	s_lshl_b64 s[40:41], s[20:21], 2
	s_wait_alu 0xfffe
	s_ashr_i32 s39, s38, 31
	v_mov_b32_e32 v0, s1
	s_wait_kmcnt 0x0
	s_add_nc_u64 s[10:11], s[10:11], s[40:41]
	s_wait_alu 0xfffe
	s_lshl_b64 s[38:39], s[38:39], 2
	s_add_nc_u64 s[8:9], s[8:9], s[40:41]
	s_wait_alu 0xfffe
	s_add_nc_u64 s[10:11], s[10:11], s[38:39]
	s_add_nc_u64 s[8:9], s[8:9], s[38:39]
	s_clause 0x1
	global_store_b32 v0, v1, s[10:11]
	global_store_b32 v0, v2, s[8:9]
.LBB176_34:
	s_or_b32 exec_lo, exec_lo, s0
	v_dual_mov_b32 v91, 0 :: v_dual_mov_b32 v92, 0
	v_dual_mov_b32 v90, 0 :: v_dual_and_b32 v77, 3, v105
	v_dual_mov_b32 v89, 0 :: v_dual_mov_b32 v88, 0
	v_dual_mov_b32 v87, 0 :: v_dual_mov_b32 v86, 0
	;; [unrolled: 1-line block ×6, first 2 shown]
	s_and_saveexec_b32 s1, s2
	s_cbranch_execz .LBB176_70
; %bb.35:
	s_abs_i32 s2, s6
	s_ashr_i32 s27, s26, 31
	s_wait_alu 0xfffe
	s_cvt_f32_u32 s0, s2
	v_dual_mov_b32 v79, 0 :: v_dual_and_b32 v2, 0x1f0, v10
	s_wait_kmcnt 0x0
	s_lshl_b64 s[8:9], s[24:25], 2
	s_wait_alu 0xfffe
	v_rcp_iflag_f32_e32 v0, s0
	s_lshl_b64 s[10:11], s[26:27], 1
	v_dual_mov_b32 v78, 0 :: v_dual_lshlrev_b32 v1, 3, v105
	s_add_nc_u64 s[8:9], s[22:23], s[8:9]
	s_wait_alu 0xfffe
	s_add_nc_u64 s[10:11], s[28:29], s[10:11]
	s_mov_b32 s4, s13
	s_sub_co_i32 s13, 0, s2
	s_wait_alu 0xfffe
	v_add_co_u32 v94, s10, s10, v2
	v_readfirstlane_b32 s0, v0
	v_dual_mov_b32 v81, 0 :: v_dual_lshlrev_b32 v0, 5, v77
	v_add_co_u32 v69, s8, s8, v30
	s_mul_f32 s0, s0, 0x4f7ffffe
	v_lshl_or_b32 v0, v175, 7, v0
	v_dual_mov_b32 v80, 0 :: v_dual_and_b32 v93, 24, v1
	s_wait_alu 0xfffe
	s_cvt_u32_f32 s0, s0
	v_add_co_ci_u32_e64 v95, null, s11, 0, s10
	v_add_co_ci_u32_e64 v70, null, s9, 0, s8
	s_wait_alu 0xfffe
	s_mul_i32 s13, s13, s0
	v_dual_mov_b32 v83, 0 :: v_dual_add_nc_u32 v96, 0x110, v0
	v_dual_mov_b32 v82, 0 :: v_dual_mov_b32 v85, 0
	v_dual_mov_b32 v84, 0 :: v_dual_mov_b32 v87, 0
	;; [unrolled: 1-line block ×4, first 2 shown]
	v_mov_b32_e32 v90, 0
	v_mov_b32_e32 v92, 0
	s_wait_alu 0xfffe
	s_mul_hi_u32 s9, s0, s13
	s_sub_co_i32 s3, s36, s5
	s_add_co_i32 s5, s35, -1
	s_mov_b32 s6, 0
	s_mov_b32 s8, s31
	s_wait_alu 0xfffe
	s_add_co_i32 s9, s0, s9
	s_branch .LBB176_38
.LBB176_36:                             ;   in Loop: Header=BB176_38 Depth=1
	s_wait_alu 0xfffe
	s_or_b32 exec_lo, exec_lo, s0
	s_wait_dscnt 0x1
	v_bfe_u32 v0, v45, 16, 1
	v_bfe_u32 v71, v46, 16, 1
	v_or_b32_e32 v72, 0x400000, v45
	v_cmp_u_f32_e32 vcc_lo, v45, v45
	v_or_b32_e32 v97, 0x400000, v46
	v_add3_u32 v0, v0, v45, 0x7fff
	v_bfe_u32 v98, v47, 16, 1
	v_add3_u32 v71, v71, v46, 0x7fff
	v_bfe_u32 v99, v48, 16, 1
	s_wait_alu 0xfffd
	v_cndmask_b32_e32 v0, v0, v72, vcc_lo
	v_cmp_u_f32_e32 vcc_lo, v46, v46
	v_add3_u32 v46, v98, v47, 0x7fff
	s_wait_dscnt 0x0
	v_bfe_u32 v72, v41, 16, 1
	v_or_b32_e32 v98, 0x400000, v48
	s_wait_alu 0xfffd
	v_cndmask_b32_e32 v45, v71, v97, vcc_lo
	v_or_b32_e32 v71, 0x400000, v47
	v_cmp_u_f32_e32 vcc_lo, v47, v47
	v_add3_u32 v97, v99, v48, 0x7fff
	v_add3_u32 v47, v72, v41, 0x7fff
	v_bfe_u32 v72, v42, 16, 1
	s_wait_alu 0xfffd
	v_cndmask_b32_e32 v46, v46, v71, vcc_lo
	v_cmp_u_f32_e32 vcc_lo, v48, v48
	v_or_b32_e32 v71, 0x400000, v41
	v_add3_u32 v72, v72, v42, 0x7fff
	s_wait_alu 0xfffd
	v_cndmask_b32_e32 v48, v97, v98, vcc_lo
	v_cmp_u_f32_e32 vcc_lo, v41, v41
	v_or_b32_e32 v97, 0x400000, v42
	v_or_b32_e32 v98, 0x400000, v43
	v_and_b32_e32 v41, 0xffff0000, v45
	s_wait_alu 0xfffd
	v_dual_cndmask_b32 v47, v47, v71 :: v_dual_and_b32 v46, 0xffff0000, v46
	v_bfe_u32 v71, v43, 16, 1
	v_cmp_u_f32_e32 vcc_lo, v42, v42
	s_delay_alu instid0(VALU_DEP_2)
	v_add3_u32 v71, v71, v43, 0x7fff
	s_wait_alu 0xfffd
	v_cndmask_b32_e32 v42, v72, v97, vcc_lo
	v_cmp_u_f32_e32 vcc_lo, v43, v43
	v_bfe_u32 v72, v44, 16, 1
	s_wait_alu 0xfffd
	v_cndmask_b32_e32 v71, v71, v98, vcc_lo
	v_cmp_u_f32_e32 vcc_lo, v44, v44
	s_wait_loadcnt 0x1
	v_and_b32_e32 v45, 0xffff0000, v65
	s_delay_alu instid0(VALU_DEP_1) | instskip(SKIP_1) | instid1(VALU_DEP_2)
	v_dual_mul_f32 v99, v41, v45 :: v_dual_and_b32 v42, 0xffff0000, v42
	v_and_b32_e32 v45, 0xffff0000, v0
	v_bfe_u32 v43, v99, 16, 1
	s_delay_alu instid0(VALU_DEP_1)
	v_add3_u32 v97, v43, v99, 0x7fff
	v_and_b32_e32 v43, 0xffff0000, v48
	v_and_b32_e32 v48, 0xffff0000, v66
	v_or_b32_e32 v98, 0x400000, v99
	v_lshlrev_b32_e32 v0, 16, v65
	v_add3_u32 v65, v72, v44, 0x7fff
	v_or_b32_e32 v72, 0x400000, v44
	s_wait_alu 0xfffd
	s_delay_alu instid0(VALU_DEP_1) | instskip(SKIP_2) | instid1(VALU_DEP_2)
	v_cndmask_b32_e32 v44, v65, v72, vcc_lo
	v_cmp_u_f32_e32 vcc_lo, v99, v99
	s_wait_alu 0xfffd
	v_dual_cndmask_b32 v65, v97, v98 :: v_dual_and_b32 v44, 0xffff0000, v44
	v_dual_mul_f32 v97, v43, v48 :: v_dual_lshlrev_b32 v48, 16, v66
	v_and_b32_e32 v66, 0xffff0000, v67
	s_delay_alu instid0(VALU_DEP_3) | instskip(NEXT) | instid1(VALU_DEP_3)
	v_and_b32_e32 v65, 0xffff0000, v65
	v_bfe_u32 v99, v97, 16, 1
	s_delay_alu instid0(VALU_DEP_4) | instskip(NEXT) | instid1(VALU_DEP_4)
	v_mul_f32_e32 v100, v46, v48
	v_mul_f32_e32 v66, v42, v66
	;; [unrolled: 1-line block ×3, first 2 shown]
	v_and_b32_e32 v48, 0xffff0000, v47
	v_lshlrev_b32_e32 v47, 16, v67
	s_delay_alu instid0(VALU_DEP_4) | instskip(NEXT) | instid1(VALU_DEP_4)
	v_bfe_u32 v101, v66, 16, 1
	v_bfe_u32 v72, v0, 16, 1
	v_or_b32_e32 v98, 0x400000, v0
	v_cmp_u_f32_e32 vcc_lo, v0, v0
	s_delay_alu instid0(VALU_DEP_3) | instskip(SKIP_1) | instid1(VALU_DEP_1)
	v_add3_u32 v72, v72, v0, 0x7fff
	s_wait_alu 0xfffd
	v_cndmask_b32_e32 v0, v72, v98, vcc_lo
	v_add3_u32 v72, v99, v97, 0x7fff
	v_or_b32_e32 v98, 0x400000, v97
	v_bfe_u32 v99, v100, 16, 1
	v_cmp_u_f32_e32 vcc_lo, v97, v97
	v_or_b32_e32 v97, 0x400000, v100
	s_wait_alu 0xfffd
	v_dual_cndmask_b32 v67, v72, v98 :: v_dual_and_b32 v0, 0xffff0000, v0
	v_add3_u32 v72, v99, v100, 0x7fff
	v_dual_mul_f32 v98, v48, v47 :: v_dual_and_b32 v99, 0xffff0000, v68
	v_cmp_u_f32_e32 vcc_lo, v100, v100
	v_add3_u32 v47, v101, v66, 0x7fff
	v_or_b32_e32 v101, 0x400000, v66
	s_delay_alu instid0(VALU_DEP_4)
	v_bfe_u32 v102, v98, 16, 1
	v_or_b32_e32 v100, 0x400000, v98
	s_wait_alu 0xfffd
	v_dual_cndmask_b32 v72, v72, v97 :: v_dual_and_b32 v67, 0xffff0000, v67
	v_cmp_u_f32_e32 vcc_lo, v66, v66
	v_mul_f32_e32 v97, v44, v99
	v_add3_u32 v99, v102, v98, 0x7fff
	s_delay_alu instid0(VALU_DEP_4)
	v_and_b32_e32 v72, 0xffff0000, v72
	s_wait_alu 0xfffd
	v_cndmask_b32_e32 v66, v47, v101, vcc_lo
	v_cmp_u_f32_e32 vcc_lo, v98, v98
	v_and_b32_e32 v47, 0xffff0000, v71
	v_bfe_u32 v101, v97, 16, 1
	s_wait_alu 0xfffd
	v_dual_cndmask_b32 v71, v99, v100 :: v_dual_add_f32 v0, v0, v65
	v_add_f32_e32 v65, v72, v67
	s_delay_alu instid0(VALU_DEP_3) | instskip(SKIP_1) | instid1(VALU_DEP_4)
	v_add3_u32 v98, v101, v97, 0x7fff
	v_or_b32_e32 v99, 0x400000, v97
	v_and_b32_e32 v67, 0xffff0000, v71
	s_delay_alu instid0(VALU_DEP_4) | instskip(SKIP_3) | instid1(VALU_DEP_4)
	v_dual_add_f32 v0, v65, v0 :: v_dual_and_b32 v71, 0xffff0000, v61
	v_lshlrev_b32_e32 v68, 16, v68
	v_cmp_u_f32_e32 vcc_lo, v97, v97
	v_lshlrev_b32_e32 v61, 16, v61
	v_dual_mul_f32 v65, v41, v71 :: v_dual_and_b32 v66, 0xffff0000, v66
	s_wait_alu 0xfffd
	v_dual_mul_f32 v68, v47, v68 :: v_dual_cndmask_b32 v97, v98, v99
	s_delay_alu instid0(VALU_DEP_3) | instskip(NEXT) | instid1(VALU_DEP_3)
	v_mul_f32_e32 v61, v45, v61
	v_or_b32_e32 v71, 0x400000, v65
	v_add_f32_e32 v66, v67, v66
	s_delay_alu instid0(VALU_DEP_4) | instskip(SKIP_2) | instid1(VALU_DEP_3)
	v_bfe_u32 v98, v68, 16, 1
	v_cmp_u_f32_e32 vcc_lo, v68, v68
	v_and_b32_e32 v99, 0xffff0000, v64
	v_add3_u32 v72, v98, v68, 0x7fff
	v_or_b32_e32 v98, 0x400000, v68
	v_bfe_u32 v68, v65, 16, 1
	s_wait_alu 0xfffd
	s_delay_alu instid0(VALU_DEP_2) | instskip(NEXT) | instid1(VALU_DEP_2)
	v_cndmask_b32_e32 v67, v72, v98, vcc_lo
	v_add3_u32 v68, v68, v65, 0x7fff
	v_bfe_u32 v72, v61, 16, 1
	v_cmp_u_f32_e32 vcc_lo, v65, v65
	s_delay_alu instid0(VALU_DEP_4)
	v_dual_add_f32 v0, v66, v0 :: v_dual_and_b32 v67, 0xffff0000, v67
	s_wait_alu 0xfffd
	v_cndmask_b32_e32 v65, v68, v71, vcc_lo
	v_add3_u32 v68, v72, v61, 0x7fff
	v_or_b32_e32 v71, 0x400000, v61
	v_cmp_u_f32_e32 vcc_lo, v61, v61
	s_delay_alu instid0(VALU_DEP_4) | instskip(SKIP_1) | instid1(VALU_DEP_3)
	v_and_b32_e32 v65, 0xffff0000, v65
	s_wait_alu 0xfffd
	v_cndmask_b32_e32 v61, v68, v71, vcc_lo
	s_delay_alu instid0(VALU_DEP_1) | instskip(SKIP_3) | instid1(VALU_DEP_4)
	v_and_b32_e32 v61, 0xffff0000, v61
	v_and_b32_e32 v98, 0xffff0000, v63
	v_lshlrev_b32_e32 v63, 16, v63
	v_and_b32_e32 v66, 0xffff0000, v62
	v_dual_add_f32 v61, v61, v65 :: v_dual_lshlrev_b32 v62, 16, v62
	s_delay_alu instid0(VALU_DEP_3) | instskip(NEXT) | instid1(VALU_DEP_3)
	v_dual_mul_f32 v98, v42, v98 :: v_dual_mul_f32 v63, v48, v63
	v_mul_f32_e32 v66, v43, v66
	s_delay_alu instid0(VALU_DEP_2) | instskip(NEXT) | instid1(VALU_DEP_2)
	v_or_b32_e32 v100, 0x400000, v63
	v_bfe_u32 v72, v66, 16, 1
	v_mul_f32_e32 v62, v46, v62
	v_or_b32_e32 v71, 0x400000, v66
	v_cmp_u_f32_e32 vcc_lo, v66, v66
	s_delay_alu instid0(VALU_DEP_4) | instskip(NEXT) | instid1(VALU_DEP_4)
	v_add3_u32 v68, v72, v66, 0x7fff
	v_bfe_u32 v72, v62, 16, 1
	s_wait_alu 0xfffd
	s_delay_alu instid0(VALU_DEP_2) | instskip(NEXT) | instid1(VALU_DEP_2)
	v_cndmask_b32_e32 v66, v68, v71, vcc_lo
	v_add3_u32 v68, v72, v62, 0x7fff
	v_or_b32_e32 v71, 0x400000, v62
	v_bfe_u32 v72, v98, 16, 1
	v_cmp_u_f32_e32 vcc_lo, v62, v62
	v_and_b32_e32 v66, 0xffff0000, v66
	s_wait_alu 0xfffd
	v_cndmask_b32_e32 v62, v68, v71, vcc_lo
	v_bfe_u32 v68, v63, 16, 1
	v_add3_u32 v71, v72, v98, 0x7fff
	v_mul_f32_e32 v72, v44, v99
	v_or_b32_e32 v99, 0x400000, v98
	v_cmp_u_f32_e32 vcc_lo, v98, v98
	v_add3_u32 v68, v68, v63, 0x7fff
	s_wait_alu 0xfffd
	s_delay_alu instid0(VALU_DEP_3) | instskip(SKIP_1) | instid1(VALU_DEP_2)
	v_dual_cndmask_b32 v71, v71, v99 :: v_dual_and_b32 v62, 0xffff0000, v62
	v_cmp_u_f32_e32 vcc_lo, v63, v63
	v_dual_add_f32 v62, v62, v66 :: v_dual_and_b32 v65, 0xffff0000, v71
	s_wait_alu 0xfffd
	v_cndmask_b32_e32 v63, v68, v100, vcc_lo
	s_delay_alu instid0(VALU_DEP_2) | instskip(NEXT) | instid1(VALU_DEP_2)
	v_add_f32_e32 v61, v62, v61
	v_and_b32_e32 v63, 0xffff0000, v63
	s_delay_alu instid0(VALU_DEP_1) | instskip(SKIP_4) | instid1(VALU_DEP_4)
	v_add_f32_e32 v62, v63, v65
	v_lshlrev_b32_e32 v64, 16, v64
	v_and_b32_e32 v65, 0xffff0000, v57
	v_lshlrev_b32_e32 v57, 16, v57
	v_bfe_u32 v101, v72, 16, 1
	v_dual_add_f32 v61, v62, v61 :: v_dual_mul_f32 v64, v47, v64
	v_or_b32_e32 v100, 0x400000, v72
	s_delay_alu instid0(VALU_DEP_4) | instskip(NEXT) | instid1(VALU_DEP_4)
	v_mul_f32_e32 v57, v45, v57
	v_add3_u32 v68, v101, v72, 0x7fff
	s_delay_alu instid0(VALU_DEP_4) | instskip(SKIP_2) | instid1(VALU_DEP_3)
	v_bfe_u32 v102, v64, 16, 1
	v_or_b32_e32 v99, 0x400000, v64
	v_cmp_u_f32_e32 vcc_lo, v64, v64
	v_add3_u32 v98, v102, v64, 0x7fff
	s_wait_alu 0xfffd
	s_delay_alu instid0(VALU_DEP_1) | instskip(SKIP_1) | instid1(VALU_DEP_2)
	v_cndmask_b32_e32 v64, v98, v99, vcc_lo
	v_cmp_u_f32_e32 vcc_lo, v72, v72
	v_and_b32_e32 v63, 0xffff0000, v64
	s_wait_alu 0xfffd
	v_cndmask_b32_e32 v66, v68, v100, vcc_lo
	v_and_b32_e32 v68, 0xffff0000, v97
	s_delay_alu instid0(VALU_DEP_2) | instskip(NEXT) | instid1(VALU_DEP_2)
	v_and_b32_e32 v64, 0xffff0000, v66
	v_add_f32_e32 v66, v67, v68
	s_delay_alu instid0(VALU_DEP_2) | instskip(SKIP_3) | instid1(VALU_DEP_4)
	v_dual_add_f32 v62, v63, v64 :: v_dual_mul_f32 v63, v41, v65
	v_and_b32_e32 v64, 0xffff0000, v58
	v_lshlrev_b32_e32 v58, 16, v58
	v_or_b32_e32 v65, 0x400000, v57
	v_add_f32_e32 v61, v62, v61
	v_bfe_u32 v62, v63, 16, 1
	v_cmp_u_f32_e32 vcc_lo, v63, v63
	s_delay_alu instid0(VALU_DEP_3) | instskip(NEXT) | instid1(VALU_DEP_3)
	v_add_f32_e32 v80, v80, v61
	v_add3_u32 v61, v62, v63, 0x7fff
	v_or_b32_e32 v62, 0x400000, v63
	s_wait_alu 0xfffd
	s_delay_alu instid0(VALU_DEP_1) | instskip(NEXT) | instid1(VALU_DEP_1)
	v_dual_add_f32 v0, v66, v0 :: v_dual_cndmask_b32 v61, v61, v62
	v_add_f32_e32 v79, v79, v0
	v_bfe_u32 v0, v57, 16, 1
	v_cmp_u_f32_e32 vcc_lo, v57, v57
	s_delay_alu instid0(VALU_DEP_4) | instskip(NEXT) | instid1(VALU_DEP_3)
	v_and_b32_e32 v61, 0xffff0000, v61
	v_add3_u32 v0, v0, v57, 0x7fff
	v_dual_mul_f32 v57, v46, v58 :: v_dual_and_b32 v58, 0xffff0000, v59
	s_wait_alu 0xfffd
	s_delay_alu instid0(VALU_DEP_2) | instskip(NEXT) | instid1(VALU_DEP_2)
	v_dual_cndmask_b32 v0, v0, v65 :: v_dual_lshlrev_b32 v59, 16, v59
	v_bfe_u32 v65, v57, 16, 1
	s_delay_alu instid0(VALU_DEP_2) | instskip(NEXT) | instid1(VALU_DEP_1)
	v_dual_mul_f32 v59, v48, v59 :: v_dual_mul_f32 v64, v43, v64
	v_bfe_u32 v67, v59, 16, 1
	s_delay_alu instid0(VALU_DEP_2) | instskip(SKIP_2) | instid1(VALU_DEP_3)
	v_bfe_u32 v62, v64, 16, 1
	v_or_b32_e32 v63, 0x400000, v64
	v_cmp_u_f32_e32 vcc_lo, v64, v64
	v_add3_u32 v62, v62, v64, 0x7fff
	v_or_b32_e32 v64, 0x400000, v57
	s_wait_alu 0xfffd
	s_delay_alu instid0(VALU_DEP_2) | instskip(SKIP_3) | instid1(VALU_DEP_2)
	v_cndmask_b32_e32 v62, v62, v63, vcc_lo
	v_add3_u32 v63, v65, v57, 0x7fff
	v_cmp_u_f32_e32 vcc_lo, v57, v57
	s_wait_alu 0xfffd
	v_dual_cndmask_b32 v57, v63, v64 :: v_dual_and_b32 v62, 0xffff0000, v62
	s_delay_alu instid0(VALU_DEP_1) | instskip(NEXT) | instid1(VALU_DEP_1)
	v_and_b32_e32 v57, 0xffff0000, v57
	v_dual_add_f32 v57, v57, v62 :: v_dual_and_b32 v0, 0xffff0000, v0
	s_delay_alu instid0(VALU_DEP_1) | instskip(NEXT) | instid1(VALU_DEP_1)
	v_add_f32_e32 v0, v0, v61
	v_dual_add_f32 v0, v57, v0 :: v_dual_and_b32 v61, 0xffff0000, v53
	s_delay_alu instid0(VALU_DEP_1) | instskip(SKIP_3) | instid1(VALU_DEP_4)
	v_dual_mul_f32 v57, v41, v61 :: v_dual_mul_f32 v58, v42, v58
	v_lshlrev_b32_e32 v53, 16, v53
	v_and_b32_e32 v66, 0xffff0000, v60
	v_lshlrev_b32_e32 v60, 16, v60
	v_bfe_u32 v61, v57, 16, 1
	v_bfe_u32 v65, v58, 16, 1
	v_cmp_u_f32_e32 vcc_lo, v58, v58
	v_dual_mul_f32 v53, v45, v53 :: v_dual_mul_f32 v64, v44, v66
	v_add3_u32 v66, v67, v59, 0x7fff
	s_delay_alu instid0(VALU_DEP_4)
	v_add3_u32 v63, v65, v58, 0x7fff
	v_or_b32_e32 v65, 0x400000, v58
	v_or_b32_e32 v67, 0x400000, v59
	v_bfe_u32 v68, v64, 16, 1
	v_mul_f32_e32 v60, v47, v60
	v_bfe_u32 v62, v53, 16, 1
	s_wait_alu 0xfffd
	v_cndmask_b32_e32 v58, v63, v65, vcc_lo
	v_cmp_u_f32_e32 vcc_lo, v59, v59
	v_add3_u32 v63, v68, v64, 0x7fff
	v_or_b32_e32 v65, 0x400000, v64
	s_wait_alu 0xfffd
	v_dual_cndmask_b32 v59, v66, v67 :: v_dual_and_b32 v58, 0xffff0000, v58
	v_bfe_u32 v66, v60, 16, 1
	v_cmp_u_f32_e32 vcc_lo, v64, v64
	s_delay_alu instid0(VALU_DEP_3) | instskip(NEXT) | instid1(VALU_DEP_3)
	v_and_b32_e32 v59, 0xffff0000, v59
	v_add3_u32 v64, v66, v60, 0x7fff
	s_wait_alu 0xfffd
	v_cndmask_b32_e32 v63, v63, v65, vcc_lo
	v_or_b32_e32 v65, 0x400000, v60
	v_cmp_u_f32_e32 vcc_lo, v60, v60
	v_add_f32_e32 v58, v59, v58
	s_wait_alu 0xfffd
	s_delay_alu instid0(VALU_DEP_3) | instskip(NEXT) | instid1(VALU_DEP_2)
	v_cndmask_b32_e32 v60, v64, v65, vcc_lo
	v_add_f32_e32 v0, v58, v0
	v_cmp_u_f32_e32 vcc_lo, v57, v57
	s_delay_alu instid0(VALU_DEP_3) | instskip(SKIP_4) | instid1(VALU_DEP_4)
	v_and_b32_e32 v59, 0xffff0000, v60
	v_and_b32_e32 v60, 0xffff0000, v63
	;; [unrolled: 1-line block ×3, first 2 shown]
	v_lshlrev_b32_e32 v55, 16, v55
	v_and_b32_e32 v58, 0xffff0000, v54
	v_dual_add_f32 v59, v59, v60 :: v_dual_lshlrev_b32 v54, 16, v54
	v_add3_u32 v60, v61, v57, 0x7fff
	v_or_b32_e32 v61, 0x400000, v57
	v_mul_f32_e32 v55, v48, v55
	s_delay_alu instid0(VALU_DEP_4) | instskip(SKIP_1) | instid1(VALU_DEP_3)
	v_dual_mul_f32 v63, v42, v63 :: v_dual_add_f32 v0, v59, v0
	s_wait_alu 0xfffd
	v_cndmask_b32_e32 v57, v60, v61, vcc_lo
	v_add3_u32 v60, v62, v53, 0x7fff
	v_or_b32_e32 v61, 0x400000, v53
	v_cmp_u_f32_e32 vcc_lo, v53, v53
	v_or_b32_e32 v65, 0x400000, v55
	v_dual_mul_f32 v58, v43, v58 :: v_dual_add_f32 v81, v81, v0
	s_wait_alu 0xfffd
	v_dual_cndmask_b32 v53, v60, v61 :: v_dual_mul_f32 v54, v46, v54
	s_delay_alu instid0(VALU_DEP_2) | instskip(SKIP_2) | instid1(VALU_DEP_4)
	v_bfe_u32 v62, v58, 16, 1
	v_or_b32_e32 v61, 0x400000, v58
	v_cmp_u_f32_e32 vcc_lo, v58, v58
	v_and_b32_e32 v53, 0xffff0000, v53
	s_delay_alu instid0(VALU_DEP_4) | instskip(SKIP_2) | instid1(VALU_DEP_2)
	v_add3_u32 v60, v62, v58, 0x7fff
	v_bfe_u32 v62, v54, 16, 1
	s_wait_alu 0xfffd
	v_cndmask_b32_e32 v58, v60, v61, vcc_lo
	s_delay_alu instid0(VALU_DEP_2)
	v_add3_u32 v60, v62, v54, 0x7fff
	v_or_b32_e32 v61, 0x400000, v54
	v_cmp_u_f32_e32 vcc_lo, v54, v54
	v_bfe_u32 v62, v63, 16, 1
	v_and_b32_e32 v58, 0xffff0000, v58
	s_wait_alu 0xfffd
	v_cndmask_b32_e32 v54, v60, v61, vcc_lo
	v_bfe_u32 v60, v55, 16, 1
	v_add3_u32 v61, v62, v63, 0x7fff
	v_cmp_u_f32_e32 vcc_lo, v63, v63
	s_delay_alu instid0(VALU_DEP_4) | instskip(SKIP_2) | instid1(VALU_DEP_2)
	v_and_b32_e32 v54, 0xffff0000, v54
	v_and_b32_e32 v57, 0xffff0000, v57
	v_add3_u32 v60, v60, v55, 0x7fff
	v_dual_add_f32 v54, v54, v58 :: v_dual_add_f32 v53, v53, v57
	s_delay_alu instid0(VALU_DEP_1) | instskip(NEXT) | instid1(VALU_DEP_1)
	v_dual_add_f32 v53, v54, v53 :: v_dual_and_b32 v64, 0xffff0000, v56
	v_mul_f32_e32 v62, v44, v64
	v_or_b32_e32 v64, 0x400000, v63
	s_wait_alu 0xfffd
	s_delay_alu instid0(VALU_DEP_1) | instskip(SKIP_1) | instid1(VALU_DEP_2)
	v_cndmask_b32_e32 v61, v61, v64, vcc_lo
	v_cmp_u_f32_e32 vcc_lo, v55, v55
	v_and_b32_e32 v57, 0xffff0000, v61
	s_wait_alu 0xfffd
	v_cndmask_b32_e32 v55, v60, v65, vcc_lo
	v_bfe_u32 v66, v62, 16, 1
	v_or_b32_e32 v64, 0x400000, v62
	s_delay_alu instid0(VALU_DEP_3) | instskip(NEXT) | instid1(VALU_DEP_3)
	v_and_b32_e32 v55, 0xffff0000, v55
	v_add3_u32 v60, v66, v62, 0x7fff
	s_delay_alu instid0(VALU_DEP_2) | instskip(SKIP_3) | instid1(VALU_DEP_3)
	v_add_f32_e32 v54, v55, v57
	v_lshlrev_b32_e32 v56, 16, v56
	v_and_b32_e32 v55, 0xffff0000, v49
	v_lshlrev_b32_e32 v49, 16, v49
	v_dual_add_f32 v53, v54, v53 :: v_dual_mul_f32 v56, v47, v56
	s_delay_alu instid0(VALU_DEP_3) | instskip(NEXT) | instid1(VALU_DEP_3)
	v_mul_f32_e32 v55, v41, v55
	v_mul_f32_e32 v49, v45, v49
	s_delay_alu instid0(VALU_DEP_3) | instskip(SKIP_2) | instid1(VALU_DEP_4)
	v_bfe_u32 v63, v56, 16, 1
	v_or_b32_e32 v65, 0x400000, v56
	v_cmp_u_f32_e32 vcc_lo, v56, v56
	v_bfe_u32 v0, v49, 16, 1
	s_delay_alu instid0(VALU_DEP_4) | instskip(NEXT) | instid1(VALU_DEP_2)
	v_add3_u32 v63, v63, v56, 0x7fff
	v_add3_u32 v0, v0, v49, 0x7fff
	s_wait_alu 0xfffd
	s_delay_alu instid0(VALU_DEP_2) | instskip(SKIP_1) | instid1(VALU_DEP_2)
	v_cndmask_b32_e32 v56, v63, v65, vcc_lo
	v_cmp_u_f32_e32 vcc_lo, v62, v62
	v_and_b32_e32 v56, 0xffff0000, v56
	s_wait_alu 0xfffd
	v_cndmask_b32_e32 v58, v60, v64, vcc_lo
	v_cmp_u_f32_e32 vcc_lo, v55, v55
	s_delay_alu instid0(VALU_DEP_2) | instskip(SKIP_1) | instid1(VALU_DEP_2)
	v_and_b32_e32 v57, 0xffff0000, v58
	v_or_b32_e32 v58, 0x400000, v49
	v_add_f32_e32 v54, v56, v57
	v_and_b32_e32 v56, 0xffff0000, v50
	v_bfe_u32 v57, v55, 16, 1
	s_delay_alu instid0(VALU_DEP_3) | instskip(NEXT) | instid1(VALU_DEP_3)
	v_dual_add_f32 v53, v54, v53 :: v_dual_lshlrev_b32 v50, 16, v50
	v_mul_f32_e32 v54, v43, v56
	s_delay_alu instid0(VALU_DEP_3) | instskip(SKIP_1) | instid1(VALU_DEP_3)
	v_add3_u32 v56, v57, v55, 0x7fff
	v_or_b32_e32 v57, 0x400000, v55
	v_bfe_u32 v59, v54, 16, 1
	s_wait_alu 0xfffd
	s_delay_alu instid0(VALU_DEP_2)
	v_cndmask_b32_e32 v55, v56, v57, vcc_lo
	v_cmp_u_f32_e32 vcc_lo, v49, v49
	v_mul_f32_e32 v49, v46, v50
	v_add3_u32 v50, v59, v54, 0x7fff
	v_or_b32_e32 v56, 0x400000, v54
	s_wait_alu 0xfffd
	v_dual_cndmask_b32 v0, v0, v58 :: v_dual_and_b32 v57, 0xffff0000, v51
	v_and_b32_e32 v55, 0xffff0000, v55
	v_bfe_u32 v58, v49, 16, 1
	v_cmp_u_f32_e32 vcc_lo, v54, v54
	s_delay_alu instid0(VALU_DEP_4)
	v_mul_f32_e32 v54, v42, v57
	v_or_b32_e32 v57, 0x400000, v49
	v_lshlrev_b32_e32 v51, 16, v51
	v_and_b32_e32 v0, 0xffff0000, v0
	s_wait_alu 0xfffd
	v_cndmask_b32_e32 v50, v50, v56, vcc_lo
	v_add3_u32 v56, v58, v49, 0x7fff
	v_cmp_u_f32_e32 vcc_lo, v49, v49
	v_dual_mul_f32 v51, v48, v51 :: v_dual_and_b32 v58, 0xffff0000, v52
	v_add_f32_e32 v0, v0, v55
	s_wait_alu 0xfffd
	v_cndmask_b32_e32 v49, v56, v57, vcc_lo
	s_delay_alu instid0(VALU_DEP_3) | instskip(NEXT) | instid1(VALU_DEP_2)
	v_bfe_u32 v60, v51, 16, 1
	v_dual_mul_f32 v56, v44, v58 :: v_dual_and_b32 v49, 0xffff0000, v49
	v_and_b32_e32 v50, 0xffff0000, v50
	s_delay_alu instid0(VALU_DEP_1) | instskip(SKIP_3) | instid1(VALU_DEP_4)
	v_add_f32_e32 v49, v49, v50
	v_bfe_u32 v59, v54, 16, 1
	v_or_b32_e32 v58, 0x400000, v54
	v_cmp_u_f32_e32 vcc_lo, v54, v54
	v_add_f32_e32 v0, v49, v0
	s_delay_alu instid0(VALU_DEP_4) | instskip(SKIP_3) | instid1(VALU_DEP_3)
	v_add3_u32 v57, v59, v54, 0x7fff
	v_add3_u32 v59, v60, v51, 0x7fff
	v_or_b32_e32 v60, 0x400000, v51
	s_wait_alu 0xfffd
	v_cndmask_b32_e32 v54, v57, v58, vcc_lo
	v_cmp_u_f32_e32 vcc_lo, v51, v51
	s_wait_alu 0xfffd
	v_cndmask_b32_e32 v51, v59, v60, vcc_lo
	s_delay_alu instid0(VALU_DEP_1)
	v_and_b32_e32 v50, 0xffff0000, v51
	v_and_b32_e32 v51, 0xffff0000, v37
	v_bfe_u32 v61, v56, 16, 1
	v_lshlrev_b32_e32 v37, 16, v37
	v_lshlrev_b32_e32 v52, 16, v52
	v_or_b32_e32 v58, 0x400000, v56
	v_cmp_u_f32_e32 vcc_lo, v56, v56
	v_add3_u32 v57, v61, v56, 0x7fff
	s_delay_alu instid0(VALU_DEP_4) | instskip(SKIP_2) | instid1(VALU_DEP_3)
	v_dual_mul_f32 v37, v45, v37 :: v_dual_mul_f32 v52, v47, v52
	v_mul_f32_e32 v49, v41, v51
	s_wait_alu 0xfffd
	v_cndmask_b32_e32 v56, v57, v58, vcc_lo
	v_and_b32_e32 v58, 0xffff0000, v40
	v_bfe_u32 v57, v52, 16, 1
	v_cmp_u_f32_e32 vcc_lo, v52, v52
	s_delay_alu instid0(VALU_DEP_2) | instskip(SKIP_3) | instid1(VALU_DEP_2)
	v_add3_u32 v55, v57, v52, 0x7fff
	v_or_b32_e32 v57, 0x400000, v52
	v_bfe_u32 v52, v49, 16, 1
	s_wait_alu 0xfffd
	v_cndmask_b32_e32 v51, v55, v57, vcc_lo
	v_and_b32_e32 v57, 0xffff0000, v39
	v_lshlrev_b32_e32 v39, 16, v39
	v_and_b32_e32 v54, 0xffff0000, v54
	v_add3_u32 v52, v52, v49, 0x7fff
	v_bfe_u32 v55, v37, 16, 1
	v_cmp_u_f32_e32 vcc_lo, v49, v49
	v_mul_f32_e32 v39, v48, v39
	v_mul_f32_e32 v57, v42, v57
	v_and_b32_e32 v51, 0xffff0000, v51
	s_delay_alu instid0(VALU_DEP_3) | instskip(SKIP_3) | instid1(VALU_DEP_1)
	v_or_b32_e32 v59, 0x400000, v39
	v_add_f32_e32 v50, v50, v54
	v_or_b32_e32 v54, 0x400000, v49
	s_wait_alu 0xfffd
	v_dual_add_f32 v0, v50, v0 :: v_dual_cndmask_b32 v49, v52, v54
	v_add3_u32 v52, v55, v37, 0x7fff
	v_or_b32_e32 v54, 0x400000, v37
	v_cmp_u_f32_e32 vcc_lo, v37, v37
	s_delay_alu instid0(VALU_DEP_4) | instskip(SKIP_1) | instid1(VALU_DEP_3)
	v_and_b32_e32 v49, 0xffff0000, v49
	s_wait_alu 0xfffd
	v_cndmask_b32_e32 v37, v52, v54, vcc_lo
	s_delay_alu instid0(VALU_DEP_1) | instskip(SKIP_1) | instid1(VALU_DEP_2)
	v_and_b32_e32 v37, 0xffff0000, v37
	v_and_b32_e32 v50, 0xffff0000, v38
	v_dual_add_f32 v37, v37, v49 :: v_dual_lshlrev_b32 v38, 16, v38
	s_delay_alu instid0(VALU_DEP_2) | instskip(NEXT) | instid1(VALU_DEP_2)
	v_mul_f32_e32 v50, v43, v50
	v_mul_f32_e32 v38, v46, v38
	s_delay_alu instid0(VALU_DEP_2) | instskip(SKIP_2) | instid1(VALU_DEP_3)
	v_bfe_u32 v55, v50, 16, 1
	v_or_b32_e32 v54, 0x400000, v50
	v_cmp_u_f32_e32 vcc_lo, v50, v50
	v_add3_u32 v52, v55, v50, 0x7fff
	v_bfe_u32 v55, v38, 16, 1
	s_wait_alu 0xfffd
	s_delay_alu instid0(VALU_DEP_2) | instskip(NEXT) | instid1(VALU_DEP_2)
	v_cndmask_b32_e32 v50, v52, v54, vcc_lo
	v_add3_u32 v52, v55, v38, 0x7fff
	v_or_b32_e32 v54, 0x400000, v38
	v_bfe_u32 v55, v57, 16, 1
	v_cmp_u_f32_e32 vcc_lo, v38, v38
	v_and_b32_e32 v50, 0xffff0000, v50
	s_wait_alu 0xfffd
	v_cndmask_b32_e32 v38, v52, v54, vcc_lo
	v_bfe_u32 v52, v39, 16, 1
	v_add3_u32 v54, v55, v57, 0x7fff
	v_mul_f32_e32 v55, v44, v58
	v_or_b32_e32 v58, 0x400000, v57
	v_cmp_u_f32_e32 vcc_lo, v57, v57
	v_add3_u32 v52, v52, v39, 0x7fff
	v_and_b32_e32 v38, 0xffff0000, v38
	v_bfe_u32 v60, v55, 16, 1
	s_wait_alu 0xfffd
	v_cndmask_b32_e32 v54, v54, v58, vcc_lo
	v_cmp_u_f32_e32 vcc_lo, v39, v39
	s_wait_alu 0xfffd
	v_dual_add_f32 v38, v38, v50 :: v_dual_cndmask_b32 v39, v52, v59
	v_add3_u32 v52, v60, v55, 0x7fff
	v_or_b32_e32 v59, 0x400000, v55
	v_and_b32_e32 v49, 0xffff0000, v54
	s_delay_alu instid0(VALU_DEP_4) | instskip(SKIP_1) | instid1(VALU_DEP_1)
	v_add_f32_e32 v37, v38, v37
	v_and_b32_e32 v39, 0xffff0000, v39
	v_add_f32_e32 v38, v39, v49
	v_and_b32_e32 v49, 0xffff0000, v33
	v_lshlrev_b32_e32 v33, 16, v33
	s_delay_alu instid0(VALU_DEP_3) | instskip(NEXT) | instid1(VALU_DEP_1)
	v_dual_add_f32 v37, v38, v37 :: v_dual_lshlrev_b32 v40, 16, v40
	v_dual_mul_f32 v33, v45, v33 :: v_dual_mul_f32 v40, v47, v40
	s_delay_alu instid0(VALU_DEP_1) | instskip(SKIP_2) | instid1(VALU_DEP_3)
	v_bfe_u32 v61, v40, 16, 1
	v_or_b32_e32 v58, 0x400000, v40
	v_cmp_u_f32_e32 vcc_lo, v40, v40
	v_add3_u32 v57, v61, v40, 0x7fff
	s_wait_alu 0xfffd
	s_delay_alu instid0(VALU_DEP_1) | instskip(SKIP_2) | instid1(VALU_DEP_2)
	v_cndmask_b32_e32 v40, v57, v58, vcc_lo
	v_cmp_u_f32_e32 vcc_lo, v55, v55
	s_wait_alu 0xfffd
	v_dual_cndmask_b32 v50, v52, v59 :: v_dual_and_b32 v39, 0xffff0000, v40
	s_delay_alu instid0(VALU_DEP_1) | instskip(NEXT) | instid1(VALU_DEP_1)
	v_and_b32_e32 v40, 0xffff0000, v50
	v_dual_add_f32 v38, v39, v40 :: v_dual_mul_f32 v39, v41, v49
	v_or_b32_e32 v49, 0x400000, v33
	s_delay_alu instid0(VALU_DEP_2) | instskip(NEXT) | instid1(VALU_DEP_3)
	v_add_f32_e32 v37, v38, v37
	v_bfe_u32 v38, v39, 16, 1
	v_cmp_u_f32_e32 vcc_lo, v39, v39
	s_delay_alu instid0(VALU_DEP_3) | instskip(NEXT) | instid1(VALU_DEP_3)
	v_add_f32_e32 v84, v84, v37
	v_add3_u32 v37, v38, v39, 0x7fff
	v_or_b32_e32 v38, 0x400000, v39
	s_wait_alu 0xfffd
	s_delay_alu instid0(VALU_DEP_1) | instskip(NEXT) | instid1(VALU_DEP_1)
	v_dual_cndmask_b32 v37, v37, v38 :: v_dual_and_b32 v52, 0xffff0000, v56
	v_add_f32_e32 v50, v51, v52
	v_cmp_u_f32_e32 vcc_lo, v33, v33
	s_delay_alu instid0(VALU_DEP_2) | instskip(SKIP_2) | instid1(VALU_DEP_3)
	v_dual_add_f32 v0, v50, v0 :: v_dual_and_b32 v37, 0xffff0000, v37
	v_and_b32_e32 v50, 0xffff0000, v36
	v_lshlrev_b32_e32 v36, 16, v36
	v_add_f32_e32 v83, v83, v0
	v_bfe_u32 v0, v33, 16, 1
	s_delay_alu instid0(VALU_DEP_3) | instskip(NEXT) | instid1(VALU_DEP_2)
	v_mul_f32_e32 v36, v47, v36
	v_add3_u32 v0, v0, v33, 0x7fff
	s_wait_alu 0xfffd
	s_delay_alu instid0(VALU_DEP_1) | instskip(NEXT) | instid1(VALU_DEP_1)
	v_cndmask_b32_e32 v0, v0, v49, vcc_lo
	v_and_b32_e32 v0, 0xffff0000, v0
	s_delay_alu instid0(VALU_DEP_1) | instskip(SKIP_4) | instid1(VALU_DEP_2)
	v_add_f32_e32 v0, v0, v37
	v_and_b32_e32 v37, 0xffff0000, v29
	v_and_b32_e32 v40, 0xffff0000, v34
	v_lshlrev_b32_e32 v29, 16, v29
	v_lshlrev_b32_e32 v34, 16, v34
	v_dual_mul_f32 v40, v43, v40 :: v_dual_mul_f32 v29, v45, v29
	s_delay_alu instid0(VALU_DEP_2) | instskip(SKIP_1) | instid1(VALU_DEP_3)
	v_dual_mul_f32 v33, v46, v34 :: v_dual_and_b32 v34, 0xffff0000, v35
	v_lshlrev_b32_e32 v35, 16, v35
	v_bfe_u32 v38, v40, 16, 1
	v_or_b32_e32 v39, 0x400000, v40
	v_cmp_u_f32_e32 vcc_lo, v40, v40
	v_bfe_u32 v49, v33, 16, 1
	v_mul_f32_e32 v34, v42, v34
	v_add3_u32 v38, v38, v40, 0x7fff
	v_mul_f32_e32 v35, v48, v35
	v_or_b32_e32 v40, 0x400000, v33
	s_wait_alu 0xfffd
	s_delay_alu instid0(VALU_DEP_3)
	v_cndmask_b32_e32 v38, v38, v39, vcc_lo
	v_add3_u32 v39, v49, v33, 0x7fff
	v_bfe_u32 v49, v34, 16, 1
	v_cmp_u_f32_e32 vcc_lo, v33, v33
	v_add_f32_e32 v82, v82, v53
	v_bfe_u32 v51, v35, 16, 1
	s_wait_alu 0xfffd
	v_dual_cndmask_b32 v33, v39, v40 :: v_dual_and_b32 v38, 0xffff0000, v38
	v_add3_u32 v39, v49, v34, 0x7fff
	v_mul_f32_e32 v40, v44, v50
	v_or_b32_e32 v49, 0x400000, v34
	v_cmp_u_f32_e32 vcc_lo, v34, v34
	v_add3_u32 v50, v51, v35, 0x7fff
	v_or_b32_e32 v51, 0x400000, v35
	v_bfe_u32 v52, v40, 16, 1
	v_and_b32_e32 v33, 0xffff0000, v33
	s_wait_alu 0xfffd
	v_cndmask_b32_e32 v34, v39, v49, vcc_lo
	v_cmp_u_f32_e32 vcc_lo, v35, v35
	v_or_b32_e32 v49, 0x400000, v40
	v_add3_u32 v39, v52, v40, 0x7fff
	v_add_f32_e32 v33, v33, v38
	s_wait_alu 0xfffd
	v_dual_cndmask_b32 v35, v50, v51 :: v_dual_and_b32 v34, 0xffff0000, v34
	v_bfe_u32 v50, v36, 16, 1
	v_cmp_u_f32_e32 vcc_lo, v40, v40
	v_add_f32_e32 v0, v33, v0
	v_mul_f32_e32 v33, v41, v37
	v_and_b32_e32 v35, 0xffff0000, v35
	v_add3_u32 v40, v50, v36, 0x7fff
	s_wait_alu 0xfffd
	v_cndmask_b32_e32 v39, v39, v49, vcc_lo
	v_or_b32_e32 v49, 0x400000, v36
	v_cmp_u_f32_e32 vcc_lo, v36, v36
	v_add_f32_e32 v34, v35, v34
	v_bfe_u32 v37, v33, 16, 1
	v_bfe_u32 v38, v29, 16, 1
	s_wait_alu 0xfffd
	v_cndmask_b32_e32 v36, v40, v49, vcc_lo
	v_cmp_u_f32_e32 vcc_lo, v33, v33
	v_and_b32_e32 v40, 0xffff0000, v32
	s_delay_alu instid0(VALU_DEP_3) | instskip(SKIP_3) | instid1(VALU_DEP_3)
	v_and_b32_e32 v35, 0xffff0000, v36
	v_and_b32_e32 v36, 0xffff0000, v39
	;; [unrolled: 1-line block ×3, first 2 shown]
	v_lshlrev_b32_e32 v31, 16, v31
	v_add_f32_e32 v35, v35, v36
	v_add3_u32 v36, v37, v33, 0x7fff
	v_or_b32_e32 v37, 0x400000, v33
	v_mul_f32_e32 v39, v42, v39
	v_mul_f32_e32 v31, v48, v31
	s_wait_alu 0xfffd
	s_delay_alu instid0(VALU_DEP_3)
	v_cndmask_b32_e32 v33, v36, v37, vcc_lo
	v_add3_u32 v36, v38, v29, 0x7fff
	v_or_b32_e32 v37, 0x400000, v29
	v_cmp_u_f32_e32 vcc_lo, v29, v29
	v_or_b32_e32 v49, 0x400000, v31
	v_and_b32_e32 v33, 0xffff0000, v33
	s_wait_alu 0xfffd
	v_cndmask_b32_e32 v29, v36, v37, vcc_lo
	s_delay_alu instid0(VALU_DEP_1) | instskip(NEXT) | instid1(VALU_DEP_1)
	v_dual_add_f32 v0, v34, v0 :: v_dual_and_b32 v29, 0xffff0000, v29
	v_dual_add_f32 v29, v29, v33 :: v_dual_and_b32 v34, 0xffff0000, v30
	v_lshlrev_b32_e32 v30, 16, v30
	s_delay_alu instid0(VALU_DEP_2) | instskip(NEXT) | instid1(VALU_DEP_2)
	v_mul_f32_e32 v34, v43, v34
	v_mul_f32_e32 v30, v46, v30
	s_delay_alu instid0(VALU_DEP_2) | instskip(SKIP_2) | instid1(VALU_DEP_3)
	v_bfe_u32 v38, v34, 16, 1
	v_or_b32_e32 v37, 0x400000, v34
	v_cmp_u_f32_e32 vcc_lo, v34, v34
	v_add3_u32 v36, v38, v34, 0x7fff
	v_bfe_u32 v38, v30, 16, 1
	s_wait_alu 0xfffd
	s_delay_alu instid0(VALU_DEP_2) | instskip(NEXT) | instid1(VALU_DEP_2)
	v_cndmask_b32_e32 v34, v36, v37, vcc_lo
	v_add3_u32 v36, v38, v30, 0x7fff
	v_or_b32_e32 v37, 0x400000, v30
	v_bfe_u32 v38, v39, 16, 1
	v_cmp_u_f32_e32 vcc_lo, v30, v30
	s_wait_alu 0xfffd
	s_delay_alu instid0(VALU_DEP_3) | instskip(NEXT) | instid1(VALU_DEP_3)
	v_cndmask_b32_e32 v30, v36, v37, vcc_lo
	v_add3_u32 v37, v38, v39, 0x7fff
	v_mul_f32_e32 v38, v44, v40
	v_or_b32_e32 v40, 0x400000, v39
	v_cmp_u_f32_e32 vcc_lo, v39, v39
	v_bfe_u32 v36, v31, 16, 1
	s_wait_alu 0xfffd
	s_delay_alu instid0(VALU_DEP_3) | instskip(NEXT) | instid1(VALU_DEP_2)
	v_dual_cndmask_b32 v37, v37, v40 :: v_dual_and_b32 v30, 0xffff0000, v30
	v_add3_u32 v36, v36, v31, 0x7fff
	v_cmp_u_f32_e32 vcc_lo, v31, v31
	s_delay_alu instid0(VALU_DEP_3) | instskip(SKIP_1) | instid1(VALU_DEP_3)
	v_dual_add_f32 v0, v35, v0 :: v_dual_and_b32 v33, 0xffff0000, v37
	s_wait_alu 0xfffd
	v_cndmask_b32_e32 v31, v36, v49, vcc_lo
	s_delay_alu instid0(VALU_DEP_2) | instskip(NEXT) | instid1(VALU_DEP_1)
	v_dual_add_f32 v85, v85, v0 :: v_dual_and_b32 v34, 0xffff0000, v34
	v_dual_add_f32 v30, v30, v34 :: v_dual_and_b32 v31, 0xffff0000, v31
	s_delay_alu instid0(VALU_DEP_1) | instskip(NEXT) | instid1(VALU_DEP_2)
	v_add_f32_e32 v29, v30, v29
	v_add_f32_e32 v30, v31, v33
	v_and_b32_e32 v31, 0xffff0000, v25
	v_lshlrev_b32_e32 v25, 16, v25
	s_delay_alu instid0(VALU_DEP_3) | instskip(NEXT) | instid1(VALU_DEP_2)
	v_dual_add_f32 v29, v30, v29 :: v_dual_lshlrev_b32 v32, 16, v32
	v_mul_f32_e32 v25, v45, v25
	v_bfe_u32 v50, v38, 16, 1
	v_or_b32_e32 v40, 0x400000, v38
	s_delay_alu instid0(VALU_DEP_4) | instskip(NEXT) | instid1(VALU_DEP_4)
	v_dual_mul_f32 v31, v41, v31 :: v_dual_mul_f32 v32, v47, v32
	v_bfe_u32 v0, v25, 16, 1
	s_delay_alu instid0(VALU_DEP_4) | instskip(NEXT) | instid1(VALU_DEP_3)
	v_add3_u32 v36, v50, v38, 0x7fff
	v_bfe_u32 v39, v32, 16, 1
	v_or_b32_e32 v49, 0x400000, v32
	v_cmp_u_f32_e32 vcc_lo, v32, v32
	v_add3_u32 v0, v0, v25, 0x7fff
	s_delay_alu instid0(VALU_DEP_4) | instskip(SKIP_1) | instid1(VALU_DEP_1)
	v_add3_u32 v39, v39, v32, 0x7fff
	s_wait_alu 0xfffd
	v_cndmask_b32_e32 v32, v39, v49, vcc_lo
	v_cmp_u_f32_e32 vcc_lo, v38, v38
	s_delay_alu instid0(VALU_DEP_2) | instskip(SKIP_3) | instid1(VALU_DEP_2)
	v_and_b32_e32 v32, 0xffff0000, v32
	s_wait_alu 0xfffd
	v_cndmask_b32_e32 v34, v36, v40, vcc_lo
	v_cmp_u_f32_e32 vcc_lo, v31, v31
	v_and_b32_e32 v33, 0xffff0000, v34
	v_or_b32_e32 v34, 0x400000, v25
	s_delay_alu instid0(VALU_DEP_2) | instskip(SKIP_2) | instid1(VALU_DEP_3)
	v_add_f32_e32 v30, v32, v33
	v_and_b32_e32 v32, 0xffff0000, v26
	v_bfe_u32 v33, v31, 16, 1
	v_dual_add_f32 v29, v30, v29 :: v_dual_lshlrev_b32 v26, 16, v26
	s_delay_alu instid0(VALU_DEP_3) | instskip(NEXT) | instid1(VALU_DEP_3)
	v_mul_f32_e32 v30, v43, v32
	v_add3_u32 v32, v33, v31, 0x7fff
	v_or_b32_e32 v33, 0x400000, v31
	s_delay_alu instid0(VALU_DEP_3) | instskip(SKIP_1) | instid1(VALU_DEP_2)
	v_bfe_u32 v35, v30, 16, 1
	s_wait_alu 0xfffd
	v_cndmask_b32_e32 v31, v32, v33, vcc_lo
	v_cmp_u_f32_e32 vcc_lo, v25, v25
	v_mul_f32_e32 v25, v46, v26
	v_and_b32_e32 v33, 0xffff0000, v27
	v_add3_u32 v26, v35, v30, 0x7fff
	v_or_b32_e32 v32, 0x400000, v30
	s_wait_alu 0xfffd
	v_dual_cndmask_b32 v0, v0, v34 :: v_dual_lshlrev_b32 v27, 16, v27
	v_bfe_u32 v34, v25, 16, 1
	v_cmp_u_f32_e32 vcc_lo, v30, v30
	v_mul_f32_e32 v30, v42, v33
	v_or_b32_e32 v33, 0x400000, v25
	v_mul_f32_e32 v27, v48, v27
	s_wait_alu 0xfffd
	v_dual_cndmask_b32 v26, v26, v32 :: v_dual_and_b32 v31, 0xffff0000, v31
	v_add3_u32 v32, v34, v25, 0x7fff
	v_and_b32_e32 v34, 0xffff0000, v28
	v_bfe_u32 v35, v30, 16, 1
	v_cmp_u_f32_e32 vcc_lo, v25, v25
	v_bfe_u32 v36, v27, 16, 1
	v_lshlrev_b32_e32 v28, 16, v28
	s_wait_alu 0xfffd
	v_dual_cndmask_b32 v25, v32, v33 :: v_dual_and_b32 v26, 0xffff0000, v26
	v_mul_f32_e32 v32, v44, v34
	v_add3_u32 v33, v35, v30, 0x7fff
	v_or_b32_e32 v34, 0x400000, v30
	v_cmp_u_f32_e32 vcc_lo, v30, v30
	v_add3_u32 v35, v36, v27, 0x7fff
	v_or_b32_e32 v36, 0x400000, v27
	v_bfe_u32 v37, v32, 16, 1
	s_wait_alu 0xfffd
	v_dual_cndmask_b32 v30, v33, v34 :: v_dual_and_b32 v25, 0xffff0000, v25
	v_cmp_u_f32_e32 vcc_lo, v27, v27
	v_or_b32_e32 v34, 0x400000, v32
	v_add3_u32 v33, v37, v32, 0x7fff
	s_delay_alu instid0(VALU_DEP_4) | instskip(SKIP_3) | instid1(VALU_DEP_2)
	v_add_f32_e32 v25, v25, v26
	s_wait_alu 0xfffd
	v_cndmask_b32_e32 v27, v35, v36, vcc_lo
	v_cmp_u_f32_e32 vcc_lo, v32, v32
	v_and_b32_e32 v26, 0xffff0000, v27
	s_wait_alu 0xfffd
	v_cndmask_b32_e32 v32, v33, v34, vcc_lo
	v_and_b32_e32 v34, 0xffff0000, v20
	v_dual_mul_f32 v28, v47, v28 :: v_dual_and_b32 v27, 0xffff0000, v17
	v_lshlrev_b32_e32 v17, 16, v17
	v_and_b32_e32 v0, 0xffff0000, v0
	v_lshlrev_b32_e32 v20, 16, v20
	s_delay_alu instid0(VALU_DEP_4) | instskip(SKIP_1) | instid1(VALU_DEP_4)
	v_bfe_u32 v33, v28, 16, 1
	v_cmp_u_f32_e32 vcc_lo, v28, v28
	v_dual_mul_f32 v17, v45, v17 :: v_dual_add_f32 v0, v0, v31
	s_delay_alu instid0(VALU_DEP_4) | instskip(NEXT) | instid1(VALU_DEP_4)
	v_mul_f32_e32 v20, v47, v20
	v_add3_u32 v31, v33, v28, 0x7fff
	v_or_b32_e32 v33, 0x400000, v28
	s_delay_alu instid0(VALU_DEP_4)
	v_add_f32_e32 v0, v25, v0
	v_mul_f32_e32 v25, v41, v27
	v_bfe_u32 v37, v20, 16, 1
	s_wait_alu 0xfffd
	v_cndmask_b32_e32 v27, v31, v33, vcc_lo
	v_and_b32_e32 v33, 0xffff0000, v19
	v_lshlrev_b32_e32 v19, 16, v19
	v_and_b32_e32 v30, 0xffff0000, v30
	v_bfe_u32 v28, v25, 16, 1
	v_bfe_u32 v31, v17, 16, 1
	v_cmp_u_f32_e32 vcc_lo, v25, v25
	v_mul_f32_e32 v33, v42, v33
	v_add_f32_e32 v26, v26, v30
	v_add3_u32 v28, v28, v25, 0x7fff
	v_or_b32_e32 v30, 0x400000, v25
	v_mul_f32_e32 v19, v48, v19
	s_delay_alu instid0(VALU_DEP_4)
	v_dual_add_f32 v0, v26, v0 :: v_dual_and_b32 v27, 0xffff0000, v27
	v_and_b32_e32 v26, 0xffff0000, v18
	v_lshlrev_b32_e32 v18, 16, v18
	s_wait_alu 0xfffd
	v_cndmask_b32_e32 v25, v28, v30, vcc_lo
	v_add3_u32 v28, v31, v17, 0x7fff
	v_or_b32_e32 v30, 0x400000, v17
	v_mul_f32_e32 v26, v43, v26
	v_mul_f32_e32 v18, v46, v18
	v_cmp_u_f32_e32 vcc_lo, v17, v17
	v_or_b32_e32 v35, 0x400000, v19
	v_and_b32_e32 v25, 0xffff0000, v25
	v_bfe_u32 v31, v26, 16, 1
	s_wait_alu 0xfffd
	v_cndmask_b32_e32 v17, v28, v30, vcc_lo
	v_or_b32_e32 v30, 0x400000, v26
	v_cmp_u_f32_e32 vcc_lo, v26, v26
	v_add3_u32 v28, v31, v26, 0x7fff
	v_bfe_u32 v31, v18, 16, 1
	s_wait_alu 0xfffd
	s_delay_alu instid0(VALU_DEP_2) | instskip(NEXT) | instid1(VALU_DEP_2)
	v_dual_cndmask_b32 v26, v28, v30 :: v_dual_and_b32 v17, 0xffff0000, v17
	v_add3_u32 v28, v31, v18, 0x7fff
	v_or_b32_e32 v30, 0x400000, v18
	v_bfe_u32 v31, v33, 16, 1
	v_cmp_u_f32_e32 vcc_lo, v18, v18
	v_dual_add_f32 v17, v17, v25 :: v_dual_and_b32 v26, 0xffff0000, v26
	s_wait_alu 0xfffd
	v_cndmask_b32_e32 v18, v28, v30, vcc_lo
	v_bfe_u32 v28, v19, 16, 1
	v_add3_u32 v30, v31, v33, 0x7fff
	v_mul_f32_e32 v31, v44, v34
	v_or_b32_e32 v34, 0x400000, v33
	v_cmp_u_f32_e32 vcc_lo, v33, v33
	v_add3_u32 v28, v28, v19, 0x7fff
	v_add3_u32 v33, v37, v20, 0x7fff
	v_bfe_u32 v36, v31, 16, 1
	v_and_b32_e32 v18, 0xffff0000, v18
	s_wait_alu 0xfffd
	v_cndmask_b32_e32 v30, v30, v34, vcc_lo
	v_cmp_u_f32_e32 vcc_lo, v19, v19
	v_or_b32_e32 v34, 0x400000, v20
	v_add_f32_e32 v18, v18, v26
	s_delay_alu instid0(VALU_DEP_4)
	v_and_b32_e32 v25, 0xffff0000, v30
	s_wait_alu 0xfffd
	v_cndmask_b32_e32 v19, v28, v35, vcc_lo
	v_cmp_u_f32_e32 vcc_lo, v20, v20
	v_add3_u32 v28, v36, v31, 0x7fff
	v_or_b32_e32 v35, 0x400000, v31
	v_add_f32_e32 v17, v18, v17
	s_wait_alu 0xfffd
	v_dual_cndmask_b32 v20, v33, v34 :: v_dual_and_b32 v19, 0xffff0000, v19
	v_cmp_u_f32_e32 vcc_lo, v31, v31
	s_delay_alu instid0(VALU_DEP_2)
	v_dual_add_f32 v18, v19, v25 :: v_dual_and_b32 v19, 0xffff0000, v20
	s_wait_alu 0xfffd
	v_cndmask_b32_e32 v26, v28, v35, vcc_lo
	v_and_b32_e32 v28, 0xffff0000, v32
	v_and_b32_e32 v25, 0xffff0000, v13
	v_lshlrev_b32_e32 v13, 16, v13
	s_delay_alu instid0(VALU_DEP_4) | instskip(NEXT) | instid1(VALU_DEP_2)
	v_dual_add_f32 v17, v18, v17 :: v_dual_and_b32 v20, 0xffff0000, v26
	v_dual_add_f32 v26, v27, v28 :: v_dual_mul_f32 v13, v45, v13
	s_delay_alu instid0(VALU_DEP_2) | instskip(NEXT) | instid1(VALU_DEP_2)
	v_dual_add_f32 v18, v19, v20 :: v_dual_mul_f32 v19, v41, v25
	v_add_f32_e32 v0, v26, v0
	v_and_b32_e32 v20, 0xffff0000, v14
	s_delay_alu instid0(VALU_DEP_3) | instskip(NEXT) | instid1(VALU_DEP_4)
	v_dual_add_f32 v17, v18, v17 :: v_dual_lshlrev_b32 v14, 16, v14
	v_bfe_u32 v18, v19, 16, 1
	s_delay_alu instid0(VALU_DEP_4)
	v_add_f32_e32 v87, v87, v0
	v_bfe_u32 v0, v13, 16, 1
	v_mul_f32_e32 v20, v43, v20
	v_add_f32_e32 v88, v88, v17
	v_add3_u32 v17, v18, v19, 0x7fff
	v_or_b32_e32 v18, 0x400000, v19
	v_cmp_u_f32_e32 vcc_lo, v19, v19
	v_add3_u32 v0, v0, v13, 0x7fff
	v_or_b32_e32 v25, 0x400000, v13
	v_or_b32_e32 v19, 0x400000, v20
	s_wait_alu 0xfffd
	v_dual_cndmask_b32 v17, v17, v18 :: v_dual_and_b32 v26, 0xffff0000, v16
	v_bfe_u32 v18, v20, 16, 1
	v_cmp_u_f32_e32 vcc_lo, v13, v13
	v_dual_mul_f32 v13, v46, v14 :: v_dual_and_b32 v14, 0xffff0000, v15
	v_lshlrev_b32_e32 v15, 16, v15
	s_delay_alu instid0(VALU_DEP_4)
	v_add3_u32 v18, v18, v20, 0x7fff
	s_wait_alu 0xfffd
	v_cndmask_b32_e32 v0, v0, v25, vcc_lo
	v_bfe_u32 v25, v13, 16, 1
	v_mul_f32_e32 v14, v42, v14
	v_cmp_u_f32_e32 vcc_lo, v20, v20
	v_mul_f32_e32 v15, v48, v15
	v_or_b32_e32 v20, 0x400000, v13
	v_lshlrev_b32_e32 v16, 16, v16
	v_and_b32_e32 v0, 0xffff0000, v0
	s_wait_alu 0xfffd
	v_cndmask_b32_e32 v18, v18, v19, vcc_lo
	v_add3_u32 v19, v25, v13, 0x7fff
	v_bfe_u32 v25, v14, 16, 1
	v_cmp_u_f32_e32 vcc_lo, v13, v13
	v_bfe_u32 v27, v15, 16, 1
	v_dual_mul_f32 v16, v47, v16 :: v_dual_and_b32 v17, 0xffff0000, v17
	s_wait_alu 0xfffd
	v_dual_cndmask_b32 v13, v19, v20 :: v_dual_and_b32 v18, 0xffff0000, v18
	v_add3_u32 v19, v25, v14, 0x7fff
	v_mul_f32_e32 v20, v44, v26
	v_or_b32_e32 v25, 0x400000, v14
	v_cmp_u_f32_e32 vcc_lo, v14, v14
	v_add3_u32 v26, v27, v15, 0x7fff
	v_or_b32_e32 v27, 0x400000, v15
	v_bfe_u32 v28, v20, 16, 1
	v_and_b32_e32 v13, 0xffff0000, v13
	s_wait_alu 0xfffd
	v_cndmask_b32_e32 v14, v19, v25, vcc_lo
	v_cmp_u_f32_e32 vcc_lo, v15, v15
	v_or_b32_e32 v25, 0x400000, v20
	v_add3_u32 v19, v28, v20, 0x7fff
	v_add_f32_e32 v0, v0, v17
	v_and_b32_e32 v17, 0xffff0000, v9
	s_wait_alu 0xfffd
	v_cndmask_b32_e32 v15, v26, v27, vcc_lo
	v_bfe_u32 v26, v16, 16, 1
	v_cmp_u_f32_e32 vcc_lo, v20, v20
	v_add_f32_e32 v13, v13, v18
	v_and_b32_e32 v14, 0xffff0000, v14
	v_and_b32_e32 v15, 0xffff0000, v15
	v_add3_u32 v20, v26, v16, 0x7fff
	s_wait_alu 0xfffd
	v_cndmask_b32_e32 v19, v19, v25, vcc_lo
	v_or_b32_e32 v25, 0x400000, v16
	v_cmp_u_f32_e32 vcc_lo, v16, v16
	v_lshlrev_b32_e32 v9, 16, v9
	v_mul_f32_e32 v17, v41, v17
	v_add_f32_e32 v86, v86, v29
	v_add_f32_e32 v0, v13, v0
	s_wait_alu 0xfffd
	v_dual_cndmask_b32 v16, v20, v25 :: v_dual_add_f32 v13, v15, v14
	v_mul_f32_e32 v14, v45, v9
	v_bfe_u32 v18, v17, 16, 1
	v_cmp_u_f32_e32 vcc_lo, v17, v17
	s_delay_alu instid0(VALU_DEP_4) | instskip(SKIP_4) | instid1(VALU_DEP_4)
	v_and_b32_e32 v15, 0xffff0000, v16
	v_and_b32_e32 v16, 0xffff0000, v19
	;; [unrolled: 1-line block ×3, first 2 shown]
	v_add_f32_e32 v9, v13, v0
	v_bfe_u32 v0, v14, 16, 1
	v_dual_add_f32 v13, v15, v16 :: v_dual_lshlrev_b32 v10, 16, v10
	v_add3_u32 v15, v18, v17, 0x7fff
	v_or_b32_e32 v16, 0x400000, v17
	v_mul_f32_e32 v18, v43, v19
	v_add3_u32 v0, v0, v14, 0x7fff
	v_or_b32_e32 v19, 0x400000, v14
	s_wait_alu 0xfffd
	v_dual_mul_f32 v10, v46, v10 :: v_dual_cndmask_b32 v15, v15, v16
	v_bfe_u32 v16, v18, 16, 1
	v_cmp_u_f32_e32 vcc_lo, v14, v14
	v_and_b32_e32 v14, 0xffff0000, v11
	v_or_b32_e32 v17, 0x400000, v18
	v_lshlrev_b32_e32 v11, 16, v11
	v_add3_u32 v16, v16, v18, 0x7fff
	s_wait_alu 0xfffd
	v_cndmask_b32_e32 v0, v0, v19, vcc_lo
	v_bfe_u32 v19, v10, 16, 1
	v_mul_f32_e32 v14, v42, v14
	v_cmp_u_f32_e32 vcc_lo, v18, v18
	v_mul_f32_e32 v11, v48, v11
	v_or_b32_e32 v18, 0x400000, v10
	v_and_b32_e32 v20, 0xffff0000, v12
	v_lshlrev_b32_e32 v12, 16, v12
	s_wait_alu 0xfffd
	v_cndmask_b32_e32 v16, v16, v17, vcc_lo
	v_add3_u32 v17, v19, v10, 0x7fff
	v_bfe_u32 v19, v14, 16, 1
	v_cmp_u_f32_e32 vcc_lo, v10, v10
	v_bfe_u32 v25, v11, 16, 1
	v_mul_f32_e32 v12, v47, v12
	v_and_b32_e32 v0, 0xffff0000, v0
	s_wait_alu 0xfffd
	v_dual_cndmask_b32 v10, v17, v18 :: v_dual_and_b32 v15, 0xffff0000, v15
	v_add3_u32 v17, v19, v14, 0x7fff
	v_mul_f32_e32 v18, v44, v20
	v_or_b32_e32 v19, 0x400000, v14
	v_cmp_u_f32_e32 vcc_lo, v14, v14
	v_add3_u32 v20, v25, v11, 0x7fff
	v_or_b32_e32 v25, 0x400000, v11
	v_bfe_u32 v26, v18, 16, 1
	v_and_b32_e32 v10, 0xffff0000, v10
	s_wait_alu 0xfffd
	v_cndmask_b32_e32 v14, v17, v19, vcc_lo
	v_cmp_u_f32_e32 vcc_lo, v11, v11
	v_or_b32_e32 v19, 0x400000, v18
	v_add3_u32 v17, v26, v18, 0x7fff
	v_and_b32_e32 v16, 0xffff0000, v16
	v_add_f32_e32 v0, v0, v15
	s_wait_alu 0xfffd
	v_cndmask_b32_e32 v11, v20, v25, vcc_lo
	v_bfe_u32 v20, v12, 16, 1
	v_cmp_u_f32_e32 vcc_lo, v18, v18
	v_add_f32_e32 v10, v10, v16
	v_and_b32_e32 v14, 0xffff0000, v14
	v_and_b32_e32 v11, 0xffff0000, v11
	v_add3_u32 v18, v20, v12, 0x7fff
	s_wait_alu 0xfffd
	v_cndmask_b32_e32 v17, v17, v19, vcc_lo
	v_or_b32_e32 v19, 0x400000, v12
	v_and_b32_e32 v15, 0xffff0000, v5
	v_cmp_u_f32_e32 vcc_lo, v12, v12
	v_dual_add_f32 v0, v10, v0 :: v_dual_lshlrev_b32 v5, 16, v5
	s_delay_alu instid0(VALU_DEP_3) | instskip(SKIP_1) | instid1(VALU_DEP_2)
	v_dual_add_f32 v10, v11, v14 :: v_dual_mul_f32 v11, v41, v15
	s_wait_alu 0xfffd
	v_dual_cndmask_b32 v12, v18, v19 :: v_dual_mul_f32 v5, v45, v5
	v_and_b32_e32 v14, 0xffff0000, v17
	v_and_b32_e32 v15, 0xffff0000, v6
	v_bfe_u32 v16, v11, 16, 1
	s_delay_alu instid0(VALU_DEP_4)
	v_and_b32_e32 v12, 0xffff0000, v12
	v_add_f32_e32 v0, v10, v0
	v_bfe_u32 v10, v5, 16, 1
	v_lshlrev_b32_e32 v6, 16, v6
	v_cmp_u_f32_e32 vcc_lo, v11, v11
	v_add_f32_e32 v12, v12, v14
	v_mul_f32_e32 v14, v43, v15
	v_add3_u32 v15, v16, v11, 0x7fff
	v_or_b32_e32 v16, 0x400000, v11
	v_add3_u32 v10, v10, v5, 0x7fff
	v_or_b32_e32 v17, 0x400000, v5
	v_bfe_u32 v18, v14, 16, 1
	s_wait_alu 0xfffd
	v_dual_mul_f32 v6, v46, v6 :: v_dual_cndmask_b32 v11, v15, v16
	v_cmp_u_f32_e32 vcc_lo, v5, v5
	v_and_b32_e32 v16, 0xffff0000, v7
	v_or_b32_e32 v15, 0x400000, v14
	v_lshlrev_b32_e32 v7, 16, v7
	v_and_b32_e32 v11, 0xffff0000, v11
	s_wait_alu 0xfffd
	v_cndmask_b32_e32 v5, v10, v17, vcc_lo
	v_add3_u32 v10, v18, v14, 0x7fff
	v_bfe_u32 v17, v6, 16, 1
	v_cmp_u_f32_e32 vcc_lo, v14, v14
	v_dual_mul_f32 v14, v42, v16 :: v_dual_mul_f32 v7, v48, v7
	v_or_b32_e32 v16, 0x400000, v6
	s_wait_alu 0xfffd
	v_dual_cndmask_b32 v10, v10, v15 :: v_dual_and_b32 v5, 0xffff0000, v5
	v_add3_u32 v15, v17, v6, 0x7fff
	v_and_b32_e32 v17, 0xffff0000, v8
	v_bfe_u32 v18, v14, 16, 1
	v_cmp_u_f32_e32 vcc_lo, v6, v6
	v_bfe_u32 v19, v7, 16, 1
	v_lshlrev_b32_e32 v8, 16, v8
	v_dual_add_f32 v5, v5, v11 :: v_dual_and_b32 v10, 0xffff0000, v10
	s_wait_alu 0xfffd
	v_dual_cndmask_b32 v6, v15, v16 :: v_dual_mul_f32 v15, v44, v17
	v_add3_u32 v16, v18, v14, 0x7fff
	v_or_b32_e32 v17, 0x400000, v14
	v_cmp_u_f32_e32 vcc_lo, v14, v14
	v_add3_u32 v18, v19, v7, 0x7fff
	v_or_b32_e32 v19, 0x400000, v7
	v_bfe_u32 v20, v15, 16, 1
	s_wait_alu 0xfffd
	v_cndmask_b32_e32 v14, v16, v17, vcc_lo
	v_cmp_u_f32_e32 vcc_lo, v7, v7
	v_or_b32_e32 v17, 0x400000, v15
	v_add3_u32 v16, v20, v15, 0x7fff
	s_wait_loadcnt 0x0
	v_lshlrev_b32_e32 v20, 16, v24
	v_and_b32_e32 v11, 0xffff0000, v14
	s_wait_alu 0xfffd
	v_cndmask_b32_e32 v7, v18, v19, vcc_lo
	v_and_b32_e32 v19, 0xffff0000, v23
	v_and_b32_e32 v6, 0xffff0000, v6
	v_mul_f32_e32 v8, v47, v8
	v_cmp_u_f32_e32 vcc_lo, v15, v15
	v_and_b32_e32 v7, 0xffff0000, v7
	v_mul_f32_e32 v19, v42, v19
	v_add_f32_e32 v6, v6, v10
	v_and_b32_e32 v10, 0xffff0000, v1
	s_wait_alu 0xfffd
	v_cndmask_b32_e32 v15, v16, v17, vcc_lo
	v_bfe_u32 v16, v8, 16, 1
	v_add_f32_e32 v7, v7, v11
	v_dual_add_f32 v5, v6, v5 :: v_dual_mul_f32 v6, v41, v10
	v_lshlrev_b32_e32 v1, 16, v1
	s_delay_alu instid0(VALU_DEP_4)
	v_add3_u32 v14, v16, v8, 0x7fff
	v_or_b32_e32 v16, 0x400000, v8
	v_cmp_u_f32_e32 vcc_lo, v8, v8
	v_bfe_u32 v10, v6, 16, 1
	v_add_f32_e32 v5, v7, v5
	v_and_b32_e32 v7, 0xffff0000, v2
	s_wait_alu 0xfffd
	v_dual_mul_f32 v1, v45, v1 :: v_dual_cndmask_b32 v8, v14, v16
	v_add3_u32 v10, v10, v6, 0x7fff
	v_or_b32_e32 v11, 0x400000, v6
	v_mul_f32_e32 v7, v43, v7
	v_and_b32_e32 v14, 0xffff0000, v15
	v_bfe_u32 v15, v1, 16, 1
	v_cmp_u_f32_e32 vcc_lo, v6, v6
	v_lshlrev_b32_e32 v2, 16, v2
	v_or_b32_e32 v16, 0x400000, v1
	v_or_b32_e32 v17, 0x400000, v7
	s_wait_alu 0xfffd
	v_cndmask_b32_e32 v6, v10, v11, vcc_lo
	v_bfe_u32 v10, v7, 16, 1
	v_add3_u32 v11, v15, v1, 0x7fff
	v_dual_mul_f32 v2, v46, v2 :: v_dual_and_b32 v15, 0xffff0000, v3
	v_cmp_u_f32_e32 vcc_lo, v1, v1
	s_delay_alu instid0(VALU_DEP_4) | instskip(SKIP_1) | instid1(VALU_DEP_4)
	v_add3_u32 v10, v10, v7, 0x7fff
	v_lshlrev_b32_e32 v3, 16, v3
	v_dual_mul_f32 v15, v42, v15 :: v_dual_and_b32 v6, 0xffff0000, v6
	s_wait_alu 0xfffd
	v_cndmask_b32_e32 v1, v11, v16, vcc_lo
	v_bfe_u32 v11, v2, 16, 1
	v_cmp_u_f32_e32 vcc_lo, v7, v7
	v_mul_f32_e32 v3, v48, v3
	v_or_b32_e32 v18, 0x400000, v15
	v_and_b32_e32 v1, 0xffff0000, v1
	v_add3_u32 v11, v11, v2, 0x7fff
	s_wait_alu 0xfffd
	v_cndmask_b32_e32 v7, v10, v17, vcc_lo
	v_bfe_u32 v10, v15, 16, 1
	v_or_b32_e32 v17, 0x400000, v2
	v_cmp_u_f32_e32 vcc_lo, v2, v2
	v_add_f32_e32 v1, v1, v6
	v_and_b32_e32 v7, 0xffff0000, v7
	v_add3_u32 v10, v10, v15, 0x7fff
	v_add_f32_e32 v0, v12, v0
	s_wait_alu 0xfffd
	v_cndmask_b32_e32 v2, v11, v17, vcc_lo
	v_bfe_u32 v11, v3, 16, 1
	v_cmp_u_f32_e32 vcc_lo, v15, v15
	v_or_b32_e32 v15, 0x400000, v3
	v_add_f32_e32 v90, v90, v0
	v_and_b32_e32 v2, 0xffff0000, v2
	v_add3_u32 v11, v11, v3, 0x7fff
	s_wait_alu 0xfffd
	v_cndmask_b32_e32 v10, v10, v18, vcc_lo
	v_cmp_u_f32_e32 vcc_lo, v3, v3
	v_add_f32_e32 v2, v2, v7
	s_wait_alu 0xfffd
	s_delay_alu instid0(VALU_DEP_3) | instskip(SKIP_1) | instid1(VALU_DEP_3)
	v_dual_cndmask_b32 v3, v11, v15 :: v_dual_and_b32 v6, 0xffff0000, v10
	v_and_b32_e32 v10, 0xffff0000, v21
	v_add_f32_e32 v1, v2, v1
	s_delay_alu instid0(VALU_DEP_3) | instskip(NEXT) | instid1(VALU_DEP_1)
	v_and_b32_e32 v3, 0xffff0000, v3
	v_add_f32_e32 v3, v3, v6
	s_delay_alu instid0(VALU_DEP_4) | instskip(NEXT) | instid1(VALU_DEP_2)
	v_mul_f32_e32 v6, v41, v10
	v_dual_add_f32 v1, v3, v1 :: v_dual_lshlrev_b32 v10, 16, v22
	v_and_b32_e32 v16, 0xffff0000, v4
	v_lshlrev_b32_e32 v4, 16, v4
	s_delay_alu instid0(VALU_DEP_3) | instskip(NEXT) | instid1(VALU_DEP_3)
	v_mul_f32_e32 v10, v46, v10
	v_mul_f32_e32 v16, v44, v16
	s_delay_alu instid0(VALU_DEP_3) | instskip(NEXT) | instid1(VALU_DEP_2)
	v_mul_f32_e32 v4, v47, v4
	v_bfe_u32 v17, v16, 16, 1
	v_or_b32_e32 v18, 0x400000, v16
	v_cmp_u_f32_e32 vcc_lo, v16, v16
	s_delay_alu instid0(VALU_DEP_4) | instskip(NEXT) | instid1(VALU_DEP_4)
	v_bfe_u32 v15, v4, 16, 1
	v_add3_u32 v17, v17, v16, 0x7fff
	v_or_b32_e32 v16, 0x400000, v4
	s_delay_alu instid0(VALU_DEP_3) | instskip(SKIP_1) | instid1(VALU_DEP_3)
	v_add3_u32 v15, v15, v4, 0x7fff
	s_wait_alu 0xfffd
	v_cndmask_b32_e32 v11, v17, v18, vcc_lo
	v_lshlrev_b32_e32 v17, 16, v21
	v_cmp_u_f32_e32 vcc_lo, v4, v4
	v_lshlrev_b32_e32 v18, 16, v23
	v_and_b32_e32 v21, 0xffff0000, v24
	v_and_b32_e32 v11, 0xffff0000, v11
	s_wait_alu 0xfffd
	v_dual_mul_f32 v7, v45, v17 :: v_dual_cndmask_b32 v4, v15, v16
	v_bfe_u32 v16, v6, 16, 1
	v_and_b32_e32 v17, 0xffff0000, v22
	v_mul_f32_e32 v18, v48, v18
	s_delay_alu instid0(VALU_DEP_4)
	v_bfe_u32 v2, v7, 16, 1
	v_or_b32_e32 v15, 0x400000, v7
	v_cmp_u_f32_e32 vcc_lo, v7, v7
	v_mul_f32_e32 v17, v43, v17
	v_or_b32_e32 v22, 0x400000, v19
	v_add3_u32 v2, v2, v7, 0x7fff
	v_add3_u32 v7, v16, v6, 0x7fff
	v_bfe_u32 v16, v10, 16, 1
	v_and_b32_e32 v4, 0xffff0000, v4
	s_wait_alu 0xfffd
	v_cndmask_b32_e32 v2, v2, v15, vcc_lo
	v_or_b32_e32 v15, 0x400000, v6
	v_cmp_u_f32_e32 vcc_lo, v6, v6
	s_delay_alu instid0(VALU_DEP_3) | instskip(SKIP_1) | instid1(VALU_DEP_3)
	v_dual_add_f32 v3, v4, v11 :: v_dual_and_b32 v2, 0xffff0000, v2
	s_wait_alu 0xfffd
	v_cndmask_b32_e32 v6, v7, v15, vcc_lo
	v_add3_u32 v7, v16, v10, 0x7fff
	v_or_b32_e32 v15, 0x400000, v10
	v_bfe_u32 v16, v17, 16, 1
	v_cmp_u_f32_e32 vcc_lo, v10, v10
	v_dual_add_f32 v1, v3, v1 :: v_dual_and_b32 v6, 0xffff0000, v6
	s_delay_alu instid0(VALU_DEP_3)
	v_add3_u32 v10, v16, v17, 0x7fff
	s_wait_alu 0xfffd
	v_cndmask_b32_e32 v7, v7, v15, vcc_lo
	v_or_b32_e32 v15, 0x400000, v17
	v_bfe_u32 v16, v18, 16, 1
	v_cmp_u_f32_e32 vcc_lo, v17, v17
	v_dual_mul_f32 v17, v47, v20 :: v_dual_mul_f32 v20, v44, v21
	v_or_b32_e32 v21, 0x400000, v18
	s_delay_alu instid0(VALU_DEP_4)
	v_add3_u32 v16, v16, v18, 0x7fff
	s_wait_alu 0xfffd
	v_cndmask_b32_e32 v10, v10, v15, vcc_lo
	v_bfe_u32 v15, v19, 16, 1
	v_cmp_u_f32_e32 vcc_lo, v18, v18
	v_bfe_u32 v24, v20, 16, 1
	v_bfe_u32 v23, v17, 16, 1
	v_and_b32_e32 v10, 0xffff0000, v10
	v_add3_u32 v15, v15, v19, 0x7fff
	s_wait_alu 0xfffd
	v_cndmask_b32_e32 v16, v16, v21, vcc_lo
	v_cmp_u_f32_e32 vcc_lo, v19, v19
	v_add3_u32 v19, v24, v20, 0x7fff
	v_or_b32_e32 v21, 0x400000, v20
	v_add3_u32 v18, v23, v17, 0x7fff
	v_and_b32_e32 v7, 0xffff0000, v7
	s_wait_alu 0xfffd
	v_cndmask_b32_e32 v15, v15, v22, vcc_lo
	v_cmp_u_f32_e32 vcc_lo, v20, v20
	v_or_b32_e32 v22, 0x400000, v17
	v_add_f32_e32 v2, v2, v6
	s_delay_alu instid0(VALU_DEP_4)
	v_dual_add_f32 v6, v7, v10 :: v_dual_and_b32 v7, 0xffff0000, v15
	s_wait_alu 0xfffd
	v_cndmask_b32_e32 v19, v19, v21, vcc_lo
	v_cmp_u_f32_e32 vcc_lo, v17, v17
	v_and_b32_e32 v8, 0xffff0000, v8
	v_and_b32_e32 v10, 0xffff0000, v16
	v_dual_add_f32 v2, v6, v2 :: v_dual_add_f32 v91, v91, v1
	s_wait_alu 0xfffd
	v_cndmask_b32_e32 v15, v18, v22, vcc_lo
	v_add_f32_e32 v8, v8, v14
	v_add_f32_e32 v6, v10, v7
	v_and_b32_e32 v7, 0xffff0000, v19
	s_delay_alu instid0(VALU_DEP_3) | instskip(NEXT) | instid1(VALU_DEP_3)
	v_dual_add_f32 v5, v8, v5 :: v_dual_and_b32 v10, 0xffff0000, v15
	v_add_f32_e32 v2, v6, v2
	v_add_f32_e32 v6, v13, v9
	s_delay_alu instid0(VALU_DEP_3) | instskip(NEXT) | instid1(VALU_DEP_2)
	v_add_f32_e32 v4, v10, v7
	v_dual_add_f32 v92, v92, v5 :: v_dual_add_f32 v89, v89, v6
	s_delay_alu instid0(VALU_DEP_2) | instskip(NEXT) | instid1(VALU_DEP_1)
	v_add_f32_e32 v2, v4, v2
	v_add_f32_e32 v78, v78, v2
.LBB176_37:                             ;   in Loop: Header=BB176_38 Depth=1
	s_wait_alu 0xfffe
	s_or_b32 exec_lo, exec_lo, s10
	v_add_nc_u32_e32 v74, 4, v74
	v_add_co_u32 v69, s0, v69, 16
	s_wait_alu 0xf1ff
	v_add_co_ci_u32_e64 v70, null, 0, v70, s0
	s_delay_alu instid0(VALU_DEP_3) | instskip(SKIP_3) | instid1(SALU_CYCLE_1)
	v_cmp_le_i32_e32 vcc_lo, s33, v74
	v_add_nc_u32_e32 v73, 0x80, v73
	v_add_nc_u32_e32 v96, 0x200, v96
	s_or_b32 s6, vcc_lo, s6
	s_and_not1_b32 exec_lo, exec_lo, s6
	s_cbranch_execz .LBB176_69
.LBB176_38:                             ; =>This Inner Loop Header: Depth=1
	v_sub_nc_u32_e32 v0, 0, v73
	s_delay_alu instid0(VALU_DEP_1) | instskip(NEXT) | instid1(VALU_DEP_1)
	v_max_i32_e32 v0, v73, v0
	v_mul_hi_u32 v1, v0, s18
	s_delay_alu instid0(VALU_DEP_1) | instskip(NEXT) | instid1(VALU_DEP_1)
	v_mul_lo_u32 v2, v1, s12
	v_sub_nc_u32_e32 v0, v0, v2
	v_add_nc_u32_e32 v2, 1, v1
	s_delay_alu instid0(VALU_DEP_2) | instskip(SKIP_2) | instid1(VALU_DEP_2)
	v_subrev_nc_u32_e32 v3, s12, v0
	v_cmp_le_u32_e32 vcc_lo, s12, v0
	s_wait_alu 0xfffd
	v_dual_cndmask_b32 v1, v1, v2 :: v_dual_cndmask_b32 v0, v0, v3
	v_ashrrev_i32_e32 v2, 31, v73
	s_delay_alu instid0(VALU_DEP_2) | instskip(NEXT) | instid1(VALU_DEP_3)
	v_add_nc_u32_e32 v3, 1, v1
	v_cmp_le_u32_e32 vcc_lo, s12, v0
	s_delay_alu instid0(VALU_DEP_3) | instskip(SKIP_1) | instid1(VALU_DEP_3)
	v_xor_b32_e32 v2, s19, v2
	s_wait_alu 0xfffd
	v_cndmask_b32_e32 v0, v1, v3, vcc_lo
	s_delay_alu instid0(VALU_DEP_1) | instskip(NEXT) | instid1(VALU_DEP_1)
	v_xor_b32_e32 v0, v0, v2
	v_sub_nc_u32_e32 v0, v0, v2
	s_delay_alu instid0(VALU_DEP_1) | instskip(SKIP_1) | instid1(VALU_DEP_2)
	v_add_nc_u32_e32 v1, s17, v0
	v_cmp_lt_i32_e64 s0, s3, v0
	v_sub_nc_u32_e32 v2, 0, v1
	s_delay_alu instid0(VALU_DEP_1) | instskip(SKIP_1) | instid1(VALU_DEP_1)
	v_max_i32_e32 v2, v1, v2
	s_wait_alu 0xfffe
	v_mul_hi_u32 v3, v2, s9
	s_delay_alu instid0(VALU_DEP_1) | instskip(NEXT) | instid1(VALU_DEP_1)
	v_mul_lo_u32 v3, v3, s2
	v_sub_nc_u32_e32 v2, v2, v3
	s_delay_alu instid0(VALU_DEP_1) | instskip(SKIP_2) | instid1(VALU_DEP_2)
	v_subrev_nc_u32_e32 v3, s2, v2
	v_cmp_le_u32_e32 vcc_lo, s2, v2
	s_wait_alu 0xfffd
	v_cndmask_b32_e32 v2, v2, v3, vcc_lo
	v_ashrrev_i32_e32 v1, 31, v1
	s_delay_alu instid0(VALU_DEP_2) | instskip(SKIP_2) | instid1(VALU_DEP_2)
	v_subrev_nc_u32_e32 v3, s2, v2
	v_cmp_le_u32_e32 vcc_lo, s2, v2
	s_wait_alu 0xfffd
	v_cndmask_b32_e32 v2, v2, v3, vcc_lo
	s_delay_alu instid0(VALU_DEP_1) | instskip(NEXT) | instid1(VALU_DEP_1)
	v_xor_b32_e32 v2, v2, v1
	v_sub_nc_u32_e32 v1, v2, v1
	s_delay_alu instid0(VALU_DEP_1)
	v_cmp_eq_u32_e32 vcc_lo, 0, v1
	s_or_b32 s0, vcc_lo, s0
	s_wait_alu 0xfffe
	s_and_saveexec_b32 s10, s0
	s_cbranch_execz .LBB176_37
; %bb.39:                               ;   in Loop: Header=BB176_38 Depth=1
	global_load_b32 v0, v[69:70], off
	v_add_nc_u32_e32 v104, v93, v73
	s_delay_alu instid0(VALU_DEP_1)
	v_add_nc_u32_e32 v102, 1, v104
	v_or_b32_e32 v101, 3, v104
	v_or_b32_e32 v103, 2, v104
	;; [unrolled: 1-line block ×6, first 2 shown]
	s_wait_loadcnt 0x0
	v_mad_co_i64_i32 v[1:2], null, v0, s4, 0
	s_delay_alu instid0(VALU_DEP_1) | instskip(NEXT) | instid1(VALU_DEP_1)
	v_lshlrev_b64_e32 v[1:2], 1, v[1:2]
	v_add_co_u32 v21, vcc_lo, v94, v1
	s_wait_alu 0xfffd
	s_delay_alu instid0(VALU_DEP_2)
	v_add_co_ci_u32_e64 v22, null, v95, v2, vcc_lo
	v_cmp_eq_u32_e32 vcc_lo, s5, v74
	global_load_b128 v[1:4], v[21:22], off
	ds_load_2addr_b64 v[45:48], v96 offset1:1
	ds_load_2addr_b64 v[41:44], v96 offset0:2 offset1:3
	s_and_saveexec_b32 s11, vcc_lo
	s_cbranch_execnz .LBB176_54
; %bb.40:                               ;   in Loop: Header=BB176_38 Depth=1
	s_wait_alu 0xfffe
	s_or_b32 exec_lo, exec_lo, s11
	global_load_b128 v[5:8], v[21:22], off offset:512
	s_and_saveexec_b32 s11, vcc_lo
	s_cbranch_execnz .LBB176_55
.LBB176_41:                             ;   in Loop: Header=BB176_38 Depth=1
	s_wait_alu 0xfffe
	s_or_b32 exec_lo, exec_lo, s11
	global_load_b128 v[9:12], v[21:22], off offset:1024
	s_and_saveexec_b32 s11, vcc_lo
	s_cbranch_execnz .LBB176_56
.LBB176_42:                             ;   in Loop: Header=BB176_38 Depth=1
	s_wait_alu 0xfffe
	s_or_b32 exec_lo, exec_lo, s11
	global_load_b128 v[13:16], v[21:22], off offset:1536
	s_and_saveexec_b32 s11, vcc_lo
	s_cbranch_execnz .LBB176_57
.LBB176_43:                             ;   in Loop: Header=BB176_38 Depth=1
	s_wait_alu 0xfffe
	s_or_b32 exec_lo, exec_lo, s11
	global_load_b128 v[17:20], v[21:22], off offset:2048
	s_and_saveexec_b32 s11, vcc_lo
	s_cbranch_execnz .LBB176_58
.LBB176_44:                             ;   in Loop: Header=BB176_38 Depth=1
	s_wait_alu 0xfffe
	s_or_b32 exec_lo, exec_lo, s11
	global_load_b128 v[25:28], v[21:22], off offset:2560
	s_and_saveexec_b32 s11, vcc_lo
	s_cbranch_execnz .LBB176_59
.LBB176_45:                             ;   in Loop: Header=BB176_38 Depth=1
	s_wait_alu 0xfffe
	s_or_b32 exec_lo, exec_lo, s11
	global_load_b128 v[29:32], v[21:22], off offset:3072
	s_and_saveexec_b32 s11, vcc_lo
	s_cbranch_execnz .LBB176_60
.LBB176_46:                             ;   in Loop: Header=BB176_38 Depth=1
	s_wait_alu 0xfffe
	s_or_b32 exec_lo, exec_lo, s11
	global_load_b128 v[33:36], v[21:22], off offset:3584
	s_and_saveexec_b32 s11, vcc_lo
	s_cbranch_execnz .LBB176_61
.LBB176_47:                             ;   in Loop: Header=BB176_38 Depth=1
	s_wait_alu 0xfffe
	s_or_b32 exec_lo, exec_lo, s11
	global_load_b128 v[37:40], v[21:22], off offset:4096
	s_and_saveexec_b32 s11, vcc_lo
	s_cbranch_execnz .LBB176_62
.LBB176_48:                             ;   in Loop: Header=BB176_38 Depth=1
	s_wait_alu 0xfffe
	s_or_b32 exec_lo, exec_lo, s11
	global_load_b128 v[49:52], v[21:22], off offset:4608
	s_and_saveexec_b32 s11, vcc_lo
	s_cbranch_execnz .LBB176_63
.LBB176_49:                             ;   in Loop: Header=BB176_38 Depth=1
	s_wait_alu 0xfffe
	s_or_b32 exec_lo, exec_lo, s11
	global_load_b128 v[53:56], v[21:22], off offset:5120
	s_and_saveexec_b32 s11, vcc_lo
	s_cbranch_execnz .LBB176_64
.LBB176_50:                             ;   in Loop: Header=BB176_38 Depth=1
	s_wait_alu 0xfffe
	s_or_b32 exec_lo, exec_lo, s11
	global_load_b128 v[57:60], v[21:22], off offset:5632
	s_and_saveexec_b32 s11, vcc_lo
	s_cbranch_execnz .LBB176_65
.LBB176_51:                             ;   in Loop: Header=BB176_38 Depth=1
	s_wait_alu 0xfffe
	s_or_b32 exec_lo, exec_lo, s11
	global_load_b128 v[61:64], v[21:22], off offset:6144
	s_and_saveexec_b32 s11, vcc_lo
	s_cbranch_execnz .LBB176_66
.LBB176_52:                             ;   in Loop: Header=BB176_38 Depth=1
	s_wait_alu 0xfffe
	s_or_b32 exec_lo, exec_lo, s11
	global_load_b128 v[65:68], v[21:22], off offset:6656
	s_and_saveexec_b32 s11, vcc_lo
	s_cbranch_execnz .LBB176_67
.LBB176_53:                             ;   in Loop: Header=BB176_38 Depth=1
	s_wait_alu 0xfffe
	s_or_b32 exec_lo, exec_lo, s11
	global_load_b128 v[21:24], v[21:22], off offset:7168
	s_and_saveexec_b32 s0, vcc_lo
	s_cbranch_execz .LBB176_36
	s_branch .LBB176_68
.LBB176_54:                             ;   in Loop: Header=BB176_38 Depth=1
	v_cmp_gt_i32_e64 s0, s31, v104
	s_wait_loadcnt 0x0
	v_lshrrev_b32_e32 v0, 16, v1
	v_lshrrev_b32_e32 v5, 16, v2
	;; [unrolled: 1-line block ×4, first 2 shown]
	s_wait_alu 0xf1ff
	v_cndmask_b32_e64 v1, 0, v1, s0
	v_cmp_gt_i32_e64 s0, s8, v102
	s_wait_alu 0xf1ff
	s_delay_alu instid0(VALU_DEP_1) | instskip(SKIP_1) | instid1(VALU_DEP_2)
	v_cndmask_b32_e64 v0, 0, v0, s0
	v_cmp_gt_i32_e64 s0, s31, v103
	v_perm_b32 v1, v0, v1, 0x5040100
	s_wait_alu 0xf1ff
	s_delay_alu instid0(VALU_DEP_2) | instskip(SKIP_2) | instid1(VALU_DEP_1)
	v_cndmask_b32_e64 v2, 0, v2, s0
	v_cmp_gt_i32_e64 s0, s8, v101
	s_wait_alu 0xf1ff
	v_cndmask_b32_e64 v5, 0, v5, s0
	v_cmp_gt_i32_e64 s0, s31, v100
	s_delay_alu instid0(VALU_DEP_2) | instskip(SKIP_1) | instid1(VALU_DEP_2)
	v_perm_b32 v2, v5, v2, 0x5040100
	s_wait_alu 0xf1ff
	v_cndmask_b32_e64 v3, 0, v3, s0
	v_cmp_gt_i32_e64 s0, s8, v98
	s_wait_alu 0xf1ff
	s_delay_alu instid0(VALU_DEP_1) | instskip(SKIP_1) | instid1(VALU_DEP_2)
	v_cndmask_b32_e64 v6, 0, v6, s0
	v_cmp_gt_i32_e64 s0, s31, v99
	v_perm_b32 v3, v6, v3, 0x5040100
	s_wait_alu 0xf1ff
	s_delay_alu instid0(VALU_DEP_2) | instskip(SKIP_2) | instid1(VALU_DEP_1)
	v_cndmask_b32_e64 v4, 0, v4, s0
	v_cmp_gt_i32_e64 s0, s8, v97
	s_wait_alu 0xf1ff
	v_cndmask_b32_e64 v7, 0, v7, s0
	s_delay_alu instid0(VALU_DEP_1)
	v_perm_b32 v4, v7, v4, 0x5040100
	s_wait_alu 0xfffe
	s_or_b32 exec_lo, exec_lo, s11
	global_load_b128 v[5:8], v[21:22], off offset:512
	s_and_saveexec_b32 s11, vcc_lo
	s_cbranch_execz .LBB176_41
.LBB176_55:                             ;   in Loop: Header=BB176_38 Depth=1
	v_cmp_gt_i32_e64 s0, s31, v104
	s_wait_loadcnt 0x0
	v_lshrrev_b32_e32 v0, 16, v5
	v_lshrrev_b32_e32 v9, 16, v6
	;; [unrolled: 1-line block ×4, first 2 shown]
	s_wait_alu 0xf1ff
	v_cndmask_b32_e64 v5, 0, v5, s0
	v_cmp_gt_i32_e64 s0, s8, v102
	s_wait_alu 0xf1ff
	s_delay_alu instid0(VALU_DEP_1) | instskip(SKIP_1) | instid1(VALU_DEP_2)
	v_cndmask_b32_e64 v0, 0, v0, s0
	v_cmp_gt_i32_e64 s0, s31, v103
	v_perm_b32 v5, v0, v5, 0x5040100
	s_wait_alu 0xf1ff
	s_delay_alu instid0(VALU_DEP_2) | instskip(SKIP_2) | instid1(VALU_DEP_1)
	v_cndmask_b32_e64 v6, 0, v6, s0
	v_cmp_gt_i32_e64 s0, s8, v101
	s_wait_alu 0xf1ff
	v_cndmask_b32_e64 v9, 0, v9, s0
	v_cmp_gt_i32_e64 s0, s31, v100
	s_delay_alu instid0(VALU_DEP_2) | instskip(SKIP_1) | instid1(VALU_DEP_2)
	v_perm_b32 v6, v9, v6, 0x5040100
	s_wait_alu 0xf1ff
	v_cndmask_b32_e64 v7, 0, v7, s0
	v_cmp_gt_i32_e64 s0, s8, v98
	s_wait_alu 0xf1ff
	s_delay_alu instid0(VALU_DEP_1) | instskip(SKIP_1) | instid1(VALU_DEP_2)
	v_cndmask_b32_e64 v10, 0, v10, s0
	v_cmp_gt_i32_e64 s0, s31, v99
	v_perm_b32 v7, v10, v7, 0x5040100
	s_wait_alu 0xf1ff
	s_delay_alu instid0(VALU_DEP_2) | instskip(SKIP_2) | instid1(VALU_DEP_1)
	v_cndmask_b32_e64 v8, 0, v8, s0
	v_cmp_gt_i32_e64 s0, s8, v97
	s_wait_alu 0xf1ff
	v_cndmask_b32_e64 v11, 0, v11, s0
	s_delay_alu instid0(VALU_DEP_1)
	v_perm_b32 v8, v11, v8, 0x5040100
	s_wait_alu 0xfffe
	s_or_b32 exec_lo, exec_lo, s11
	global_load_b128 v[9:12], v[21:22], off offset:1024
	s_and_saveexec_b32 s11, vcc_lo
	s_cbranch_execz .LBB176_42
.LBB176_56:                             ;   in Loop: Header=BB176_38 Depth=1
	v_cmp_gt_i32_e64 s0, s31, v104
	s_wait_loadcnt 0x0
	v_lshrrev_b32_e32 v0, 16, v9
	v_lshrrev_b32_e32 v13, 16, v10
	;; [unrolled: 1-line block ×4, first 2 shown]
	s_wait_alu 0xf1ff
	v_cndmask_b32_e64 v9, 0, v9, s0
	v_cmp_gt_i32_e64 s0, s8, v102
	s_wait_alu 0xf1ff
	s_delay_alu instid0(VALU_DEP_1) | instskip(SKIP_1) | instid1(VALU_DEP_2)
	v_cndmask_b32_e64 v0, 0, v0, s0
	v_cmp_gt_i32_e64 s0, s31, v103
	v_perm_b32 v9, v0, v9, 0x5040100
	s_wait_alu 0xf1ff
	s_delay_alu instid0(VALU_DEP_2) | instskip(SKIP_2) | instid1(VALU_DEP_1)
	v_cndmask_b32_e64 v10, 0, v10, s0
	v_cmp_gt_i32_e64 s0, s8, v101
	s_wait_alu 0xf1ff
	v_cndmask_b32_e64 v13, 0, v13, s0
	v_cmp_gt_i32_e64 s0, s31, v100
	s_delay_alu instid0(VALU_DEP_2) | instskip(SKIP_1) | instid1(VALU_DEP_2)
	v_perm_b32 v10, v13, v10, 0x5040100
	s_wait_alu 0xf1ff
	v_cndmask_b32_e64 v11, 0, v11, s0
	v_cmp_gt_i32_e64 s0, s8, v98
	s_wait_alu 0xf1ff
	s_delay_alu instid0(VALU_DEP_1) | instskip(SKIP_1) | instid1(VALU_DEP_2)
	v_cndmask_b32_e64 v14, 0, v14, s0
	v_cmp_gt_i32_e64 s0, s31, v99
	v_perm_b32 v11, v14, v11, 0x5040100
	s_wait_alu 0xf1ff
	s_delay_alu instid0(VALU_DEP_2) | instskip(SKIP_2) | instid1(VALU_DEP_1)
	v_cndmask_b32_e64 v12, 0, v12, s0
	v_cmp_gt_i32_e64 s0, s8, v97
	s_wait_alu 0xf1ff
	v_cndmask_b32_e64 v15, 0, v15, s0
	s_delay_alu instid0(VALU_DEP_1)
	v_perm_b32 v12, v15, v12, 0x5040100
	s_wait_alu 0xfffe
	s_or_b32 exec_lo, exec_lo, s11
	global_load_b128 v[13:16], v[21:22], off offset:1536
	s_and_saveexec_b32 s11, vcc_lo
	s_cbranch_execz .LBB176_43
.LBB176_57:                             ;   in Loop: Header=BB176_38 Depth=1
	v_cmp_gt_i32_e64 s0, s31, v104
	s_wait_loadcnt 0x0
	v_lshrrev_b32_e32 v0, 16, v13
	v_lshrrev_b32_e32 v17, 16, v14
	v_lshrrev_b32_e32 v18, 16, v15
	v_lshrrev_b32_e32 v19, 16, v16
	s_wait_alu 0xf1ff
	v_cndmask_b32_e64 v13, 0, v13, s0
	v_cmp_gt_i32_e64 s0, s8, v102
	s_wait_alu 0xf1ff
	s_delay_alu instid0(VALU_DEP_1) | instskip(SKIP_1) | instid1(VALU_DEP_2)
	v_cndmask_b32_e64 v0, 0, v0, s0
	v_cmp_gt_i32_e64 s0, s31, v103
	v_perm_b32 v13, v0, v13, 0x5040100
	s_wait_alu 0xf1ff
	s_delay_alu instid0(VALU_DEP_2) | instskip(SKIP_2) | instid1(VALU_DEP_1)
	v_cndmask_b32_e64 v14, 0, v14, s0
	v_cmp_gt_i32_e64 s0, s8, v101
	s_wait_alu 0xf1ff
	v_cndmask_b32_e64 v17, 0, v17, s0
	v_cmp_gt_i32_e64 s0, s31, v100
	s_delay_alu instid0(VALU_DEP_2) | instskip(SKIP_1) | instid1(VALU_DEP_2)
	v_perm_b32 v14, v17, v14, 0x5040100
	s_wait_alu 0xf1ff
	v_cndmask_b32_e64 v15, 0, v15, s0
	v_cmp_gt_i32_e64 s0, s8, v98
	s_wait_alu 0xf1ff
	s_delay_alu instid0(VALU_DEP_1) | instskip(SKIP_1) | instid1(VALU_DEP_2)
	v_cndmask_b32_e64 v18, 0, v18, s0
	v_cmp_gt_i32_e64 s0, s31, v99
	v_perm_b32 v15, v18, v15, 0x5040100
	s_wait_alu 0xf1ff
	s_delay_alu instid0(VALU_DEP_2) | instskip(SKIP_2) | instid1(VALU_DEP_1)
	v_cndmask_b32_e64 v16, 0, v16, s0
	v_cmp_gt_i32_e64 s0, s8, v97
	s_wait_alu 0xf1ff
	v_cndmask_b32_e64 v19, 0, v19, s0
	s_delay_alu instid0(VALU_DEP_1)
	v_perm_b32 v16, v19, v16, 0x5040100
	s_wait_alu 0xfffe
	s_or_b32 exec_lo, exec_lo, s11
	global_load_b128 v[17:20], v[21:22], off offset:2048
	s_and_saveexec_b32 s11, vcc_lo
	s_cbranch_execz .LBB176_44
.LBB176_58:                             ;   in Loop: Header=BB176_38 Depth=1
	v_cmp_gt_i32_e64 s0, s31, v104
	s_wait_loadcnt 0x0
	v_lshrrev_b32_e32 v0, 16, v17
	v_lshrrev_b32_e32 v23, 16, v18
	;; [unrolled: 1-line block ×4, first 2 shown]
	s_wait_alu 0xf1ff
	v_cndmask_b32_e64 v17, 0, v17, s0
	v_cmp_gt_i32_e64 s0, s8, v102
	s_wait_alu 0xf1ff
	s_delay_alu instid0(VALU_DEP_1) | instskip(SKIP_1) | instid1(VALU_DEP_2)
	v_cndmask_b32_e64 v0, 0, v0, s0
	v_cmp_gt_i32_e64 s0, s31, v103
	v_perm_b32 v17, v0, v17, 0x5040100
	s_wait_alu 0xf1ff
	s_delay_alu instid0(VALU_DEP_2) | instskip(SKIP_2) | instid1(VALU_DEP_1)
	v_cndmask_b32_e64 v18, 0, v18, s0
	v_cmp_gt_i32_e64 s0, s8, v101
	s_wait_alu 0xf1ff
	v_cndmask_b32_e64 v23, 0, v23, s0
	v_cmp_gt_i32_e64 s0, s31, v100
	s_delay_alu instid0(VALU_DEP_2) | instskip(SKIP_1) | instid1(VALU_DEP_2)
	v_perm_b32 v18, v23, v18, 0x5040100
	s_wait_alu 0xf1ff
	v_cndmask_b32_e64 v19, 0, v19, s0
	v_cmp_gt_i32_e64 s0, s8, v98
	s_wait_alu 0xf1ff
	s_delay_alu instid0(VALU_DEP_1) | instskip(SKIP_1) | instid1(VALU_DEP_2)
	v_cndmask_b32_e64 v24, 0, v24, s0
	v_cmp_gt_i32_e64 s0, s31, v99
	v_perm_b32 v19, v24, v19, 0x5040100
	s_wait_alu 0xf1ff
	s_delay_alu instid0(VALU_DEP_2) | instskip(SKIP_2) | instid1(VALU_DEP_1)
	v_cndmask_b32_e64 v20, 0, v20, s0
	v_cmp_gt_i32_e64 s0, s8, v97
	s_wait_alu 0xf1ff
	v_cndmask_b32_e64 v25, 0, v25, s0
	s_delay_alu instid0(VALU_DEP_1)
	v_perm_b32 v20, v25, v20, 0x5040100
	s_wait_alu 0xfffe
	s_or_b32 exec_lo, exec_lo, s11
	global_load_b128 v[25:28], v[21:22], off offset:2560
	s_and_saveexec_b32 s11, vcc_lo
	s_cbranch_execz .LBB176_45
.LBB176_59:                             ;   in Loop: Header=BB176_38 Depth=1
	v_cmp_gt_i32_e64 s0, s31, v104
	s_wait_loadcnt 0x0
	v_lshrrev_b32_e32 v0, 16, v25
	v_lshrrev_b32_e32 v24, 16, v26
	;; [unrolled: 1-line block ×3, first 2 shown]
	s_wait_alu 0xf1ff
	v_cndmask_b32_e64 v23, 0, v25, s0
	v_cmp_gt_i32_e64 s0, s8, v102
	v_lshrrev_b32_e32 v25, 16, v27
	s_wait_alu 0xf1ff
	s_delay_alu instid0(VALU_DEP_2) | instskip(SKIP_2) | instid1(VALU_DEP_1)
	v_cndmask_b32_e64 v0, 0, v0, s0
	v_cmp_gt_i32_e64 s0, s31, v103
	s_wait_alu 0xf1ff
	v_cndmask_b32_e64 v26, 0, v26, s0
	v_cmp_gt_i32_e64 s0, s8, v101
	s_wait_alu 0xf1ff
	s_delay_alu instid0(VALU_DEP_1) | instskip(SKIP_1) | instid1(VALU_DEP_2)
	v_cndmask_b32_e64 v24, 0, v24, s0
	v_cmp_gt_i32_e64 s0, s31, v100
	v_perm_b32 v26, v24, v26, 0x5040100
	s_wait_alu 0xf1ff
	s_delay_alu instid0(VALU_DEP_2) | instskip(SKIP_2) | instid1(VALU_DEP_1)
	v_cndmask_b32_e64 v27, 0, v27, s0
	v_cmp_gt_i32_e64 s0, s8, v98
	s_wait_alu 0xf1ff
	v_cndmask_b32_e64 v30, 0, v25, s0
	v_cmp_gt_i32_e64 s0, s31, v99
	v_perm_b32 v25, v0, v23, 0x5040100
	s_delay_alu instid0(VALU_DEP_3) | instskip(SKIP_1) | instid1(VALU_DEP_3)
	v_perm_b32 v27, v30, v27, 0x5040100
	s_wait_alu 0xf1ff
	v_cndmask_b32_e64 v28, 0, v28, s0
	v_cmp_gt_i32_e64 s0, s8, v97
	s_wait_alu 0xf1ff
	s_delay_alu instid0(VALU_DEP_1) | instskip(NEXT) | instid1(VALU_DEP_1)
	v_cndmask_b32_e64 v29, 0, v29, s0
	v_perm_b32 v28, v29, v28, 0x5040100
	s_wait_alu 0xfffe
	s_or_b32 exec_lo, exec_lo, s11
	global_load_b128 v[29:32], v[21:22], off offset:3072
	s_and_saveexec_b32 s11, vcc_lo
	s_cbranch_execz .LBB176_46
.LBB176_60:                             ;   in Loop: Header=BB176_38 Depth=1
	v_cmp_gt_i32_e64 s0, s31, v104
	s_wait_loadcnt 0x0
	v_lshrrev_b32_e32 v0, 16, v29
	v_lshrrev_b32_e32 v24, 16, v30
	;; [unrolled: 1-line block ×3, first 2 shown]
	s_wait_alu 0xf1ff
	v_cndmask_b32_e64 v23, 0, v29, s0
	v_cmp_gt_i32_e64 s0, s8, v102
	v_lshrrev_b32_e32 v29, 16, v31
	s_wait_alu 0xf1ff
	s_delay_alu instid0(VALU_DEP_2) | instskip(SKIP_2) | instid1(VALU_DEP_1)
	v_cndmask_b32_e64 v0, 0, v0, s0
	v_cmp_gt_i32_e64 s0, s31, v103
	s_wait_alu 0xf1ff
	v_cndmask_b32_e64 v30, 0, v30, s0
	v_cmp_gt_i32_e64 s0, s8, v101
	s_wait_alu 0xf1ff
	s_delay_alu instid0(VALU_DEP_1) | instskip(SKIP_1) | instid1(VALU_DEP_2)
	v_cndmask_b32_e64 v24, 0, v24, s0
	v_cmp_gt_i32_e64 s0, s31, v100
	v_perm_b32 v30, v24, v30, 0x5040100
	s_wait_alu 0xf1ff
	s_delay_alu instid0(VALU_DEP_2) | instskip(SKIP_2) | instid1(VALU_DEP_1)
	v_cndmask_b32_e64 v31, 0, v31, s0
	v_cmp_gt_i32_e64 s0, s8, v98
	s_wait_alu 0xf1ff
	v_cndmask_b32_e64 v34, 0, v29, s0
	v_cmp_gt_i32_e64 s0, s31, v99
	v_perm_b32 v29, v0, v23, 0x5040100
	s_delay_alu instid0(VALU_DEP_3) | instskip(SKIP_1) | instid1(VALU_DEP_3)
	v_perm_b32 v31, v34, v31, 0x5040100
	s_wait_alu 0xf1ff
	v_cndmask_b32_e64 v32, 0, v32, s0
	v_cmp_gt_i32_e64 s0, s8, v97
	s_wait_alu 0xf1ff
	s_delay_alu instid0(VALU_DEP_1) | instskip(NEXT) | instid1(VALU_DEP_1)
	v_cndmask_b32_e64 v33, 0, v33, s0
	v_perm_b32 v32, v33, v32, 0x5040100
	s_wait_alu 0xfffe
	s_or_b32 exec_lo, exec_lo, s11
	global_load_b128 v[33:36], v[21:22], off offset:3584
	s_and_saveexec_b32 s11, vcc_lo
	s_cbranch_execz .LBB176_47
.LBB176_61:                             ;   in Loop: Header=BB176_38 Depth=1
	v_cmp_gt_i32_e64 s0, s31, v104
	s_wait_loadcnt 0x0
	v_lshrrev_b32_e32 v0, 16, v33
	v_lshrrev_b32_e32 v24, 16, v34
	;; [unrolled: 1-line block ×3, first 2 shown]
	s_wait_alu 0xf1ff
	v_cndmask_b32_e64 v23, 0, v33, s0
	v_cmp_gt_i32_e64 s0, s8, v102
	v_lshrrev_b32_e32 v33, 16, v35
	s_wait_alu 0xf1ff
	s_delay_alu instid0(VALU_DEP_2) | instskip(SKIP_2) | instid1(VALU_DEP_1)
	v_cndmask_b32_e64 v0, 0, v0, s0
	v_cmp_gt_i32_e64 s0, s31, v103
	s_wait_alu 0xf1ff
	v_cndmask_b32_e64 v34, 0, v34, s0
	v_cmp_gt_i32_e64 s0, s8, v101
	s_wait_alu 0xf1ff
	s_delay_alu instid0(VALU_DEP_1) | instskip(SKIP_1) | instid1(VALU_DEP_2)
	v_cndmask_b32_e64 v24, 0, v24, s0
	v_cmp_gt_i32_e64 s0, s31, v100
	v_perm_b32 v34, v24, v34, 0x5040100
	s_wait_alu 0xf1ff
	s_delay_alu instid0(VALU_DEP_2) | instskip(SKIP_2) | instid1(VALU_DEP_1)
	v_cndmask_b32_e64 v35, 0, v35, s0
	v_cmp_gt_i32_e64 s0, s8, v98
	s_wait_alu 0xf1ff
	v_cndmask_b32_e64 v38, 0, v33, s0
	v_cmp_gt_i32_e64 s0, s31, v99
	v_perm_b32 v33, v0, v23, 0x5040100
	s_delay_alu instid0(VALU_DEP_3) | instskip(SKIP_1) | instid1(VALU_DEP_3)
	v_perm_b32 v35, v38, v35, 0x5040100
	s_wait_alu 0xf1ff
	v_cndmask_b32_e64 v36, 0, v36, s0
	v_cmp_gt_i32_e64 s0, s8, v97
	s_wait_alu 0xf1ff
	s_delay_alu instid0(VALU_DEP_1) | instskip(NEXT) | instid1(VALU_DEP_1)
	v_cndmask_b32_e64 v37, 0, v37, s0
	v_perm_b32 v36, v37, v36, 0x5040100
	s_wait_alu 0xfffe
	s_or_b32 exec_lo, exec_lo, s11
	global_load_b128 v[37:40], v[21:22], off offset:4096
	s_and_saveexec_b32 s11, vcc_lo
	s_cbranch_execz .LBB176_48
.LBB176_62:                             ;   in Loop: Header=BB176_38 Depth=1
	v_cmp_gt_i32_e64 s0, s31, v104
	s_wait_loadcnt 0x0
	v_lshrrev_b32_e32 v0, 16, v37
	v_lshrrev_b32_e32 v24, 16, v38
	;; [unrolled: 1-line block ×3, first 2 shown]
	s_wait_alu 0xf1ff
	v_cndmask_b32_e64 v23, 0, v37, s0
	v_cmp_gt_i32_e64 s0, s8, v102
	v_lshrrev_b32_e32 v37, 16, v39
	s_wait_alu 0xf1ff
	s_delay_alu instid0(VALU_DEP_2) | instskip(SKIP_2) | instid1(VALU_DEP_1)
	v_cndmask_b32_e64 v0, 0, v0, s0
	v_cmp_gt_i32_e64 s0, s31, v103
	s_wait_alu 0xf1ff
	v_cndmask_b32_e64 v38, 0, v38, s0
	v_cmp_gt_i32_e64 s0, s8, v101
	s_wait_alu 0xf1ff
	s_delay_alu instid0(VALU_DEP_1) | instskip(SKIP_1) | instid1(VALU_DEP_2)
	v_cndmask_b32_e64 v24, 0, v24, s0
	v_cmp_gt_i32_e64 s0, s31, v100
	v_perm_b32 v38, v24, v38, 0x5040100
	s_wait_alu 0xf1ff
	s_delay_alu instid0(VALU_DEP_2) | instskip(SKIP_2) | instid1(VALU_DEP_1)
	v_cndmask_b32_e64 v39, 0, v39, s0
	v_cmp_gt_i32_e64 s0, s8, v98
	s_wait_alu 0xf1ff
	v_cndmask_b32_e64 v50, 0, v37, s0
	v_cmp_gt_i32_e64 s0, s31, v99
	v_perm_b32 v37, v0, v23, 0x5040100
	s_delay_alu instid0(VALU_DEP_3) | instskip(SKIP_1) | instid1(VALU_DEP_3)
	v_perm_b32 v39, v50, v39, 0x5040100
	s_wait_alu 0xf1ff
	v_cndmask_b32_e64 v40, 0, v40, s0
	v_cmp_gt_i32_e64 s0, s8, v97
	s_wait_alu 0xf1ff
	s_delay_alu instid0(VALU_DEP_1) | instskip(NEXT) | instid1(VALU_DEP_1)
	v_cndmask_b32_e64 v49, 0, v49, s0
	v_perm_b32 v40, v49, v40, 0x5040100
	s_wait_alu 0xfffe
	s_or_b32 exec_lo, exec_lo, s11
	global_load_b128 v[49:52], v[21:22], off offset:4608
	s_and_saveexec_b32 s11, vcc_lo
	s_cbranch_execz .LBB176_49
.LBB176_63:                             ;   in Loop: Header=BB176_38 Depth=1
	v_cmp_gt_i32_e64 s0, s31, v104
	s_wait_loadcnt 0x0
	v_lshrrev_b32_e32 v0, 16, v49
	v_lshrrev_b32_e32 v24, 16, v50
	;; [unrolled: 1-line block ×3, first 2 shown]
	s_wait_alu 0xf1ff
	v_cndmask_b32_e64 v23, 0, v49, s0
	v_cmp_gt_i32_e64 s0, s8, v102
	v_lshrrev_b32_e32 v49, 16, v51
	s_wait_alu 0xf1ff
	s_delay_alu instid0(VALU_DEP_2) | instskip(SKIP_2) | instid1(VALU_DEP_1)
	v_cndmask_b32_e64 v0, 0, v0, s0
	v_cmp_gt_i32_e64 s0, s31, v103
	s_wait_alu 0xf1ff
	v_cndmask_b32_e64 v50, 0, v50, s0
	v_cmp_gt_i32_e64 s0, s8, v101
	s_wait_alu 0xf1ff
	s_delay_alu instid0(VALU_DEP_1) | instskip(SKIP_1) | instid1(VALU_DEP_2)
	v_cndmask_b32_e64 v24, 0, v24, s0
	v_cmp_gt_i32_e64 s0, s31, v100
	v_perm_b32 v50, v24, v50, 0x5040100
	s_wait_alu 0xf1ff
	s_delay_alu instid0(VALU_DEP_2) | instskip(SKIP_2) | instid1(VALU_DEP_1)
	v_cndmask_b32_e64 v51, 0, v51, s0
	v_cmp_gt_i32_e64 s0, s8, v98
	s_wait_alu 0xf1ff
	v_cndmask_b32_e64 v54, 0, v49, s0
	v_cmp_gt_i32_e64 s0, s31, v99
	v_perm_b32 v49, v0, v23, 0x5040100
	s_delay_alu instid0(VALU_DEP_3) | instskip(SKIP_1) | instid1(VALU_DEP_3)
	v_perm_b32 v51, v54, v51, 0x5040100
	s_wait_alu 0xf1ff
	v_cndmask_b32_e64 v52, 0, v52, s0
	v_cmp_gt_i32_e64 s0, s8, v97
	s_wait_alu 0xf1ff
	s_delay_alu instid0(VALU_DEP_1) | instskip(NEXT) | instid1(VALU_DEP_1)
	v_cndmask_b32_e64 v53, 0, v53, s0
	v_perm_b32 v52, v53, v52, 0x5040100
	s_wait_alu 0xfffe
	s_or_b32 exec_lo, exec_lo, s11
	global_load_b128 v[53:56], v[21:22], off offset:5120
	s_and_saveexec_b32 s11, vcc_lo
	s_cbranch_execz .LBB176_50
.LBB176_64:                             ;   in Loop: Header=BB176_38 Depth=1
	v_cmp_gt_i32_e64 s0, s31, v104
	s_wait_loadcnt 0x0
	v_lshrrev_b32_e32 v0, 16, v53
	v_lshrrev_b32_e32 v24, 16, v54
	v_lshrrev_b32_e32 v57, 16, v56
	s_wait_alu 0xf1ff
	v_cndmask_b32_e64 v23, 0, v53, s0
	v_cmp_gt_i32_e64 s0, s8, v102
	v_lshrrev_b32_e32 v53, 16, v55
	s_wait_alu 0xf1ff
	s_delay_alu instid0(VALU_DEP_2) | instskip(SKIP_2) | instid1(VALU_DEP_1)
	v_cndmask_b32_e64 v0, 0, v0, s0
	v_cmp_gt_i32_e64 s0, s31, v103
	s_wait_alu 0xf1ff
	v_cndmask_b32_e64 v54, 0, v54, s0
	v_cmp_gt_i32_e64 s0, s8, v101
	s_wait_alu 0xf1ff
	s_delay_alu instid0(VALU_DEP_1) | instskip(SKIP_1) | instid1(VALU_DEP_2)
	v_cndmask_b32_e64 v24, 0, v24, s0
	v_cmp_gt_i32_e64 s0, s31, v100
	v_perm_b32 v54, v24, v54, 0x5040100
	s_wait_alu 0xf1ff
	s_delay_alu instid0(VALU_DEP_2) | instskip(SKIP_2) | instid1(VALU_DEP_1)
	v_cndmask_b32_e64 v55, 0, v55, s0
	v_cmp_gt_i32_e64 s0, s8, v98
	s_wait_alu 0xf1ff
	v_cndmask_b32_e64 v58, 0, v53, s0
	v_cmp_gt_i32_e64 s0, s31, v99
	v_perm_b32 v53, v0, v23, 0x5040100
	s_delay_alu instid0(VALU_DEP_3) | instskip(SKIP_1) | instid1(VALU_DEP_3)
	v_perm_b32 v55, v58, v55, 0x5040100
	s_wait_alu 0xf1ff
	v_cndmask_b32_e64 v56, 0, v56, s0
	v_cmp_gt_i32_e64 s0, s8, v97
	s_wait_alu 0xf1ff
	s_delay_alu instid0(VALU_DEP_1) | instskip(NEXT) | instid1(VALU_DEP_1)
	v_cndmask_b32_e64 v57, 0, v57, s0
	v_perm_b32 v56, v57, v56, 0x5040100
	s_wait_alu 0xfffe
	s_or_b32 exec_lo, exec_lo, s11
	global_load_b128 v[57:60], v[21:22], off offset:5632
	s_and_saveexec_b32 s11, vcc_lo
	s_cbranch_execz .LBB176_51
.LBB176_65:                             ;   in Loop: Header=BB176_38 Depth=1
	v_cmp_gt_i32_e64 s0, s31, v104
	s_wait_loadcnt 0x0
	v_lshrrev_b32_e32 v0, 16, v57
	v_lshrrev_b32_e32 v24, 16, v58
	;; [unrolled: 1-line block ×3, first 2 shown]
	s_wait_alu 0xf1ff
	v_cndmask_b32_e64 v23, 0, v57, s0
	v_cmp_gt_i32_e64 s0, s8, v102
	v_lshrrev_b32_e32 v57, 16, v59
	s_wait_alu 0xf1ff
	s_delay_alu instid0(VALU_DEP_2) | instskip(SKIP_2) | instid1(VALU_DEP_1)
	v_cndmask_b32_e64 v0, 0, v0, s0
	v_cmp_gt_i32_e64 s0, s31, v103
	s_wait_alu 0xf1ff
	v_cndmask_b32_e64 v58, 0, v58, s0
	v_cmp_gt_i32_e64 s0, s8, v101
	s_wait_alu 0xf1ff
	s_delay_alu instid0(VALU_DEP_1) | instskip(SKIP_1) | instid1(VALU_DEP_2)
	v_cndmask_b32_e64 v24, 0, v24, s0
	v_cmp_gt_i32_e64 s0, s31, v100
	v_perm_b32 v58, v24, v58, 0x5040100
	s_wait_alu 0xf1ff
	s_delay_alu instid0(VALU_DEP_2) | instskip(SKIP_2) | instid1(VALU_DEP_1)
	v_cndmask_b32_e64 v59, 0, v59, s0
	v_cmp_gt_i32_e64 s0, s8, v98
	s_wait_alu 0xf1ff
	v_cndmask_b32_e64 v62, 0, v57, s0
	v_cmp_gt_i32_e64 s0, s31, v99
	v_perm_b32 v57, v0, v23, 0x5040100
	s_delay_alu instid0(VALU_DEP_3) | instskip(SKIP_1) | instid1(VALU_DEP_3)
	v_perm_b32 v59, v62, v59, 0x5040100
	s_wait_alu 0xf1ff
	v_cndmask_b32_e64 v60, 0, v60, s0
	v_cmp_gt_i32_e64 s0, s8, v97
	s_wait_alu 0xf1ff
	s_delay_alu instid0(VALU_DEP_1) | instskip(NEXT) | instid1(VALU_DEP_1)
	v_cndmask_b32_e64 v61, 0, v61, s0
	v_perm_b32 v60, v61, v60, 0x5040100
	s_wait_alu 0xfffe
	s_or_b32 exec_lo, exec_lo, s11
	global_load_b128 v[61:64], v[21:22], off offset:6144
	s_and_saveexec_b32 s11, vcc_lo
	s_cbranch_execz .LBB176_52
.LBB176_66:                             ;   in Loop: Header=BB176_38 Depth=1
	v_cmp_gt_i32_e64 s0, s31, v104
	s_wait_loadcnt 0x0
	v_lshrrev_b32_e32 v0, 16, v61
	v_lshrrev_b32_e32 v24, 16, v62
	v_lshrrev_b32_e32 v65, 16, v64
	s_wait_alu 0xf1ff
	v_cndmask_b32_e64 v23, 0, v61, s0
	v_cmp_gt_i32_e64 s0, s8, v102
	v_lshrrev_b32_e32 v61, 16, v63
	s_wait_alu 0xf1ff
	s_delay_alu instid0(VALU_DEP_2) | instskip(SKIP_2) | instid1(VALU_DEP_1)
	v_cndmask_b32_e64 v0, 0, v0, s0
	v_cmp_gt_i32_e64 s0, s31, v103
	s_wait_alu 0xf1ff
	v_cndmask_b32_e64 v62, 0, v62, s0
	v_cmp_gt_i32_e64 s0, s8, v101
	s_wait_alu 0xf1ff
	s_delay_alu instid0(VALU_DEP_1) | instskip(SKIP_1) | instid1(VALU_DEP_2)
	v_cndmask_b32_e64 v24, 0, v24, s0
	v_cmp_gt_i32_e64 s0, s31, v100
	v_perm_b32 v62, v24, v62, 0x5040100
	s_wait_alu 0xf1ff
	s_delay_alu instid0(VALU_DEP_2) | instskip(SKIP_2) | instid1(VALU_DEP_1)
	v_cndmask_b32_e64 v63, 0, v63, s0
	v_cmp_gt_i32_e64 s0, s8, v98
	s_wait_alu 0xf1ff
	v_cndmask_b32_e64 v66, 0, v61, s0
	v_cmp_gt_i32_e64 s0, s31, v99
	v_perm_b32 v61, v0, v23, 0x5040100
	s_delay_alu instid0(VALU_DEP_3) | instskip(SKIP_1) | instid1(VALU_DEP_3)
	v_perm_b32 v63, v66, v63, 0x5040100
	s_wait_alu 0xf1ff
	v_cndmask_b32_e64 v64, 0, v64, s0
	v_cmp_gt_i32_e64 s0, s8, v97
	s_wait_alu 0xf1ff
	s_delay_alu instid0(VALU_DEP_1) | instskip(NEXT) | instid1(VALU_DEP_1)
	v_cndmask_b32_e64 v65, 0, v65, s0
	v_perm_b32 v64, v65, v64, 0x5040100
	s_wait_alu 0xfffe
	s_or_b32 exec_lo, exec_lo, s11
	global_load_b128 v[65:68], v[21:22], off offset:6656
	s_and_saveexec_b32 s11, vcc_lo
	s_cbranch_execz .LBB176_53
.LBB176_67:                             ;   in Loop: Header=BB176_38 Depth=1
	v_cmp_gt_i32_e64 s0, s31, v104
	s_wait_loadcnt 0x0
	v_lshrrev_b32_e32 v0, 16, v65
	v_lshrrev_b32_e32 v24, 16, v66
	;; [unrolled: 1-line block ×3, first 2 shown]
	s_wait_alu 0xf1ff
	v_cndmask_b32_e64 v23, 0, v65, s0
	v_cmp_gt_i32_e64 s0, s8, v102
	v_lshrrev_b32_e32 v65, 16, v67
	s_wait_alu 0xf1ff
	s_delay_alu instid0(VALU_DEP_2) | instskip(SKIP_2) | instid1(VALU_DEP_1)
	v_cndmask_b32_e64 v0, 0, v0, s0
	v_cmp_gt_i32_e64 s0, s31, v103
	s_wait_alu 0xf1ff
	v_cndmask_b32_e64 v66, 0, v66, s0
	v_cmp_gt_i32_e64 s0, s8, v101
	s_wait_alu 0xf1ff
	s_delay_alu instid0(VALU_DEP_1) | instskip(SKIP_1) | instid1(VALU_DEP_2)
	v_cndmask_b32_e64 v24, 0, v24, s0
	v_cmp_gt_i32_e64 s0, s31, v100
	v_perm_b32 v66, v24, v66, 0x5040100
	s_wait_alu 0xf1ff
	s_delay_alu instid0(VALU_DEP_2) | instskip(SKIP_2) | instid1(VALU_DEP_1)
	v_cndmask_b32_e64 v67, 0, v67, s0
	v_cmp_gt_i32_e64 s0, s8, v98
	s_wait_alu 0xf1ff
	v_cndmask_b32_e64 v72, 0, v65, s0
	v_cmp_gt_i32_e64 s0, s31, v99
	v_perm_b32 v65, v0, v23, 0x5040100
	s_delay_alu instid0(VALU_DEP_3) | instskip(SKIP_1) | instid1(VALU_DEP_3)
	v_perm_b32 v67, v72, v67, 0x5040100
	s_wait_alu 0xf1ff
	v_cndmask_b32_e64 v68, 0, v68, s0
	v_cmp_gt_i32_e64 s0, s8, v97
	s_wait_alu 0xf1ff
	s_delay_alu instid0(VALU_DEP_1) | instskip(NEXT) | instid1(VALU_DEP_1)
	v_cndmask_b32_e64 v71, 0, v71, s0
	v_perm_b32 v68, v71, v68, 0x5040100
	s_wait_alu 0xfffe
	s_or_b32 exec_lo, exec_lo, s11
	global_load_b128 v[21:24], v[21:22], off offset:7168
	s_and_saveexec_b32 s0, vcc_lo
	s_cbranch_execz .LBB176_36
.LBB176_68:                             ;   in Loop: Header=BB176_38 Depth=1
	v_cmp_gt_i32_e32 vcc_lo, s31, v104
	s_wait_loadcnt 0x0
	v_lshrrev_b32_e32 v0, 16, v21
	v_lshrrev_b32_e32 v71, 16, v22
	;; [unrolled: 1-line block ×3, first 2 shown]
	s_wait_alu 0xfffd
	v_cndmask_b32_e32 v21, 0, v21, vcc_lo
	v_cmp_gt_i32_e32 vcc_lo, s8, v102
	s_wait_alu 0xfffd
	v_cndmask_b32_e32 v0, 0, v0, vcc_lo
	v_cmp_gt_i32_e32 vcc_lo, s31, v103
	s_delay_alu instid0(VALU_DEP_2)
	v_perm_b32 v21, v0, v21, 0x5040100
	s_wait_alu 0xfffd
	v_cndmask_b32_e32 v22, 0, v22, vcc_lo
	v_cmp_gt_i32_e32 vcc_lo, s8, v101
	s_wait_alu 0xfffd
	v_cndmask_b32_e32 v71, 0, v71, vcc_lo
	v_cmp_gt_i32_e32 vcc_lo, s31, v100
	v_lshrrev_b32_e32 v100, 16, v24
	s_delay_alu instid0(VALU_DEP_3)
	v_perm_b32 v22, v71, v22, 0x5040100
	s_wait_alu 0xfffd
	v_cndmask_b32_e32 v23, 0, v23, vcc_lo
	v_cmp_gt_i32_e32 vcc_lo, s8, v98
	s_wait_alu 0xfffd
	v_cndmask_b32_e32 v72, 0, v72, vcc_lo
	v_cmp_gt_i32_e32 vcc_lo, s31, v99
	s_delay_alu instid0(VALU_DEP_2)
	v_perm_b32 v23, v72, v23, 0x5040100
	s_wait_alu 0xfffd
	v_cndmask_b32_e32 v24, 0, v24, vcc_lo
	v_cmp_gt_i32_e32 vcc_lo, s8, v97
	s_wait_alu 0xfffd
	v_cndmask_b32_e32 v97, 0, v100, vcc_lo
	s_delay_alu instid0(VALU_DEP_1)
	v_perm_b32 v24, v97, v24, 0x5040100
	s_branch .LBB176_36
.LBB176_69:
	s_or_b32 exec_lo, exec_lo, s6
.LBB176_70:
	s_wait_alu 0xfffe
	s_or_b32 exec_lo, exec_lo, s1
	ds_bpermute_b32 v0, v76, v91
	ds_bpermute_b32 v1, v76, v92
	;; [unrolled: 1-line block ×15, first 2 shown]
	s_mov_b32 s0, exec_lo
	s_wait_dscnt 0xd
	v_dual_add_f32 v0, v91, v0 :: v_dual_add_f32 v1, v92, v1
	s_wait_dscnt 0xb
	v_dual_add_f32 v2, v90, v2 :: v_dual_add_f32 v3, v89, v3
	;; [unrolled: 2-line block ×4, first 2 shown]
	ds_bpermute_b32 v15, v75, v0
	ds_bpermute_b32 v16, v75, v1
	;; [unrolled: 1-line block ×6, first 2 shown]
	s_wait_dscnt 0xc
	v_add_f32_e32 v24, v82, v10
	s_wait_dscnt 0xb
	v_add_f32_e32 v28, v80, v12
	s_wait_dscnt 0x8
	v_dual_add_f32 v4, v88, v4 :: v_dual_add_f32 v5, v87, v5
	ds_bpermute_b32 v17, v75, v2
	s_wait_dscnt 0x8
	v_add_f32_e32 v26, v81, v11
	ds_bpermute_b32 v27, v75, v22
	ds_bpermute_b32 v19, v75, v4
	;; [unrolled: 1-line block ×3, first 2 shown]
	s_wait_dscnt 0x9
	v_dual_add_f32 v30, v79, v13 :: v_dual_add_f32 v15, v0, v15
	ds_bpermute_b32 v29, v75, v24
	v_add_f32_e32 v32, v78, v14
	s_wait_dscnt 0x7
	v_dual_add_f32 v12, v3, v18 :: v_dual_add_f32 v9, v6, v8
	s_wait_dscnt 0x5
	v_dual_add_f32 v8, v7, v23 :: v_dual_add_f32 v7, v21, v25
	ds_bpermute_b32 v33, v75, v28
	v_add_f32_e32 v14, v1, v16
	scratch_load_b32 v16, off, off th:TH_LOAD_LU ; 4-byte Folded Reload
	s_wait_dscnt 0x5
	v_add_f32_e32 v13, v2, v17
	ds_bpermute_b32 v31, v75, v26
	s_wait_dscnt 0x5
	v_add_f32_e32 v6, v22, v27
	s_wait_dscnt 0x4
	v_add_f32_e32 v11, v4, v19
	ds_bpermute_b32 v34, v75, v30
	s_wait_dscnt 0x4
	v_dual_add_f32 v10, v5, v20 :: v_dual_and_b32 v19, 0x3c3, v105
	v_mul_u32_u24_e32 v18, 0x1e0, v175
	s_wait_storecnt 0x0
	s_wait_loadcnt_dscnt 0x0
	s_barrier_signal -1
	s_barrier_wait -1
	v_add_f32_e32 v5, v24, v29
	ds_bpermute_b32 v35, v75, v32
	s_wait_dscnt 0x0
	global_inv scope:SCOPE_SE
	v_dual_add_f32 v1, v28, v33 :: v_dual_add_f32 v4, v26, v31
	v_dual_add_f32 v2, v30, v34 :: v_dual_add_f32 v3, v32, v35
	v_and_b32_e32 v0, 28, v16
	v_lshrrev_b32_e32 v16, 2, v16
	s_delay_alu instid0(VALU_DEP_2)
	v_add_nc_u32_e32 v17, 0x110, v0
	v_cmpx_eq_u32_e32 64, v19
	s_cbranch_execz .LBB176_72
; %bb.71:
	s_delay_alu instid0(VALU_DEP_2) | instskip(NEXT) | instid1(VALU_DEP_1)
	v_add_nc_u32_e32 v0, v17, v18
	v_add_nc_u32_e32 v19, 0xfffffc40, v0
	;; [unrolled: 1-line block ×9, first 2 shown]
	ds_store_b32 v19, v15
	ds_store_b32 v20, v14
	;; [unrolled: 1-line block ×8, first 2 shown]
	v_add_nc_u32_e32 v19, 0xfffffd40, v0
	v_add_nc_u32_e32 v20, 0xfffffd60, v0
	;; [unrolled: 1-line block ×7, first 2 shown]
	ds_store_b32 v19, v7
	ds_store_b32 v20, v6
	;; [unrolled: 1-line block ×7, first 2 shown]
.LBB176_72:
	s_wait_alu 0xfffe
	s_or_b32 exec_lo, exec_lo, s0
	v_lshlrev_b32_e32 v0, 2, v16
	s_mov_b32 s1, exec_lo
	v_cmp_eq_u32_e32 vcc_lo, 0, v77
	s_wait_loadcnt_dscnt 0x0
	s_barrier_signal -1
	v_add3_u32 v16, 0x110, v18, v0
	s_barrier_wait -1
	global_inv scope:SCOPE_SE
	v_cmpx_gt_u32_e32 64, v105
	s_cbranch_execz .LBB176_90
; %bb.73:
	s_and_saveexec_b32 s0, vcc_lo
	s_cbranch_execnz .LBB176_113
; %bb.74:
	s_wait_alu 0xfffe
	s_or_b32 exec_lo, exec_lo, s0
	s_and_saveexec_b32 s0, vcc_lo
	s_cbranch_execnz .LBB176_114
.LBB176_75:
	s_wait_alu 0xfffe
	s_or_b32 exec_lo, exec_lo, s0
	s_and_saveexec_b32 s0, vcc_lo
	s_cbranch_execnz .LBB176_115
.LBB176_76:
	s_wait_alu 0xfffe
	s_or_b32 exec_lo, exec_lo, s0
	s_and_saveexec_b32 s0, vcc_lo
	s_cbranch_execnz .LBB176_116
.LBB176_77:
	s_wait_alu 0xfffe
	s_or_b32 exec_lo, exec_lo, s0
	s_and_saveexec_b32 s0, vcc_lo
	s_cbranch_execnz .LBB176_117
.LBB176_78:
	s_wait_alu 0xfffe
	s_or_b32 exec_lo, exec_lo, s0
	s_and_saveexec_b32 s0, vcc_lo
	s_cbranch_execnz .LBB176_118
.LBB176_79:
	s_wait_alu 0xfffe
	s_or_b32 exec_lo, exec_lo, s0
	s_and_saveexec_b32 s0, vcc_lo
	s_cbranch_execnz .LBB176_119
.LBB176_80:
	s_wait_alu 0xfffe
	s_or_b32 exec_lo, exec_lo, s0
	s_and_saveexec_b32 s0, vcc_lo
	s_cbranch_execnz .LBB176_120
.LBB176_81:
	s_wait_alu 0xfffe
	s_or_b32 exec_lo, exec_lo, s0
	s_and_saveexec_b32 s0, vcc_lo
	s_cbranch_execnz .LBB176_121
.LBB176_82:
	s_wait_alu 0xfffe
	s_or_b32 exec_lo, exec_lo, s0
	s_and_saveexec_b32 s0, vcc_lo
	s_cbranch_execnz .LBB176_122
.LBB176_83:
	s_wait_alu 0xfffe
	s_or_b32 exec_lo, exec_lo, s0
	s_and_saveexec_b32 s0, vcc_lo
	s_cbranch_execnz .LBB176_123
.LBB176_84:
	s_wait_alu 0xfffe
	s_or_b32 exec_lo, exec_lo, s0
	s_and_saveexec_b32 s0, vcc_lo
	s_cbranch_execnz .LBB176_124
.LBB176_85:
	s_wait_alu 0xfffe
	s_or_b32 exec_lo, exec_lo, s0
	s_and_saveexec_b32 s0, vcc_lo
	s_cbranch_execnz .LBB176_125
.LBB176_86:
	s_wait_alu 0xfffe
	s_or_b32 exec_lo, exec_lo, s0
	s_and_saveexec_b32 s0, vcc_lo
	s_cbranch_execnz .LBB176_126
.LBB176_87:
	s_wait_alu 0xfffe
	s_or_b32 exec_lo, exec_lo, s0
	s_and_saveexec_b32 s0, vcc_lo
	s_cbranch_execz .LBB176_89
.LBB176_88:
	ds_load_b32 v0, v16 offset:448
	s_wait_dscnt 0x0
	v_add_f32_e32 v3, v3, v0
.LBB176_89:
	s_wait_alu 0xfffe
	s_or_b32 exec_lo, exec_lo, s0
.LBB176_90:
	s_wait_alu 0xfffe
	s_or_b32 exec_lo, exec_lo, s1
	v_and_b32_e32 v18, 0x3e3, v105
	s_mov_b32 s1, exec_lo
	s_wait_loadcnt 0x0
	s_barrier_signal -1
	s_barrier_wait -1
	global_inv scope:SCOPE_SE
	v_cmpx_eq_u32_e32 32, v18
	s_cbranch_execz .LBB176_92
; %bb.91:
	ds_store_2addr_b32 v17, v15, v14 offset1:8
	ds_store_2addr_b32 v17, v13, v12 offset0:16 offset1:24
	ds_store_2addr_b32 v17, v11, v10 offset0:32 offset1:40
	;; [unrolled: 1-line block ×6, first 2 shown]
	ds_store_b32 v17, v3 offset:448
.LBB176_92:
	s_wait_alu 0xfffe
	s_or_b32 exec_lo, exec_lo, s1
	s_delay_alu instid0(SALU_CYCLE_1)
	s_mov_b32 s1, exec_lo
	s_wait_loadcnt_dscnt 0x0
	s_barrier_signal -1
	s_barrier_wait -1
	global_inv scope:SCOPE_SE
	v_cmpx_gt_u32_e32 32, v105
	s_cbranch_execz .LBB176_110
; %bb.93:
	s_and_saveexec_b32 s0, vcc_lo
	s_cbranch_execnz .LBB176_127
; %bb.94:
	s_wait_alu 0xfffe
	s_or_b32 exec_lo, exec_lo, s0
	s_and_saveexec_b32 s0, vcc_lo
	s_cbranch_execnz .LBB176_128
.LBB176_95:
	s_wait_alu 0xfffe
	s_or_b32 exec_lo, exec_lo, s0
	s_and_saveexec_b32 s0, vcc_lo
	s_cbranch_execnz .LBB176_129
.LBB176_96:
	s_wait_alu 0xfffe
	s_or_b32 exec_lo, exec_lo, s0
	s_and_saveexec_b32 s0, vcc_lo
	s_cbranch_execnz .LBB176_130
.LBB176_97:
	s_wait_alu 0xfffe
	s_or_b32 exec_lo, exec_lo, s0
	s_and_saveexec_b32 s0, vcc_lo
	s_cbranch_execnz .LBB176_131
.LBB176_98:
	s_wait_alu 0xfffe
	s_or_b32 exec_lo, exec_lo, s0
	s_and_saveexec_b32 s0, vcc_lo
	s_cbranch_execnz .LBB176_132
.LBB176_99:
	s_wait_alu 0xfffe
	s_or_b32 exec_lo, exec_lo, s0
	s_and_saveexec_b32 s0, vcc_lo
	s_cbranch_execnz .LBB176_133
.LBB176_100:
	s_wait_alu 0xfffe
	s_or_b32 exec_lo, exec_lo, s0
	s_and_saveexec_b32 s0, vcc_lo
	s_cbranch_execnz .LBB176_134
.LBB176_101:
	s_wait_alu 0xfffe
	s_or_b32 exec_lo, exec_lo, s0
	s_and_saveexec_b32 s0, vcc_lo
	s_cbranch_execnz .LBB176_135
.LBB176_102:
	s_wait_alu 0xfffe
	s_or_b32 exec_lo, exec_lo, s0
	s_and_saveexec_b32 s0, vcc_lo
	s_cbranch_execnz .LBB176_136
.LBB176_103:
	s_wait_alu 0xfffe
	s_or_b32 exec_lo, exec_lo, s0
	s_and_saveexec_b32 s0, vcc_lo
	s_cbranch_execnz .LBB176_137
.LBB176_104:
	s_wait_alu 0xfffe
	s_or_b32 exec_lo, exec_lo, s0
	s_and_saveexec_b32 s0, vcc_lo
	s_cbranch_execnz .LBB176_138
.LBB176_105:
	s_wait_alu 0xfffe
	s_or_b32 exec_lo, exec_lo, s0
	s_and_saveexec_b32 s0, vcc_lo
	s_cbranch_execnz .LBB176_139
.LBB176_106:
	s_wait_alu 0xfffe
	s_or_b32 exec_lo, exec_lo, s0
	s_and_saveexec_b32 s0, vcc_lo
	s_cbranch_execnz .LBB176_140
.LBB176_107:
	s_wait_alu 0xfffe
	s_or_b32 exec_lo, exec_lo, s0
	s_and_saveexec_b32 s0, vcc_lo
	s_cbranch_execz .LBB176_109
.LBB176_108:
	ds_load_b32 v0, v16 offset:448
	s_wait_dscnt 0x0
	v_add_f32_e32 v3, v3, v0
.LBB176_109:
	s_wait_alu 0xfffe
	s_or_b32 exec_lo, exec_lo, s0
.LBB176_110:
	s_wait_alu 0xfffe
	s_or_b32 exec_lo, exec_lo, s1
	s_mov_b32 s1, 0
	s_wait_loadcnt 0x0
	s_barrier_signal -1
	s_barrier_wait -1
	global_inv scope:SCOPE_SE
	s_mov_b32 s0, exec_lo
	v_cmpx_eq_u32_e32 0, v18
	s_cbranch_execz .LBB176_112
; %bb.111:
	v_bfe_u32 v0, v15, 16, 1
	v_bfe_u32 v16, v14, 16, 1
	v_or_b32_e32 v18, 0x400000, v15
	v_cmp_u_f32_e32 vcc_lo, v15, v15
	v_or_b32_e32 v19, 0x400000, v14
	v_add3_u32 v0, v0, v15, 0x7fff
	v_add3_u32 v16, v16, v14, 0x7fff
	v_bfe_u32 v20, v13, 16, 1
	v_bfe_u32 v15, v12, 16, 1
	s_mul_i32 s2, s20, 0x78
	s_wait_alu 0xfffd
	v_cndmask_b32_e32 v0, v0, v18, vcc_lo
	v_cmp_u_f32_e32 vcc_lo, v14, v14
	v_or_b32_e32 v18, 0x400000, v13
	v_add3_u32 v15, v15, v12, 0x7fff
	s_mul_i32 s4, s7, s16
	s_wait_alu 0xfffe
	s_ashr_i32 s3, s2, 31
	s_wait_alu 0xfffd
	v_cndmask_b32_e32 v14, v16, v19, vcc_lo
	v_add3_u32 v16, v20, v13, 0x7fff
	v_cmp_u_f32_e32 vcc_lo, v13, v13
	v_or_b32_e32 v19, 0x400000, v12
	v_bfe_u32 v20, v11, 16, 1
	s_ashr_i32 s5, s4, 31
	s_wait_alu 0xfffe
	s_lshl_b64 s[2:3], s[2:3], 1
	s_wait_alu 0xfffd
	v_cndmask_b32_e32 v13, v16, v18, vcc_lo
	v_cmp_u_f32_e32 vcc_lo, v12, v12
	v_bfe_u32 v16, v10, 16, 1
	v_or_b32_e32 v18, 0x400000, v11
	s_lshl_b64 s[4:5], s[4:5], 1
	s_wait_kmcnt 0x0
	s_wait_alu 0xfffe
	s_add_nc_u64 s[2:3], s[14:15], s[2:3]
	s_wait_alu 0xfffd
	v_cndmask_b32_e32 v12, v15, v19, vcc_lo
	v_add3_u32 v15, v20, v11, 0x7fff
	v_cmp_u_f32_e32 vcc_lo, v11, v11
	v_add3_u32 v16, v16, v10, 0x7fff
	v_or_b32_e32 v19, 0x400000, v10
	v_bfe_u32 v20, v9, 16, 1
	v_lshrrev_b32_e32 v17, 1, v105
	s_wait_alu 0xfffd
	v_cndmask_b32_e32 v11, v15, v18, vcc_lo
	v_cmp_u_f32_e32 vcc_lo, v10, v10
	v_bfe_u32 v15, v8, 16, 1
	v_or_b32_e32 v18, 0x400000, v9
	s_wait_alu 0xfffe
	s_add_nc_u64 s[2:3], s[2:3], s[4:5]
	s_mul_i32 s0, s30, 0xf0
	s_wait_alu 0xfffd
	v_cndmask_b32_e32 v10, v16, v19, vcc_lo
	v_add3_u32 v16, v20, v9, 0x7fff
	v_cmp_u_f32_e32 vcc_lo, v9, v9
	v_add3_u32 v15, v15, v8, 0x7fff
	v_or_b32_e32 v19, 0x400000, v8
	v_bfe_u32 v20, v7, 16, 1
	s_wait_alu 0xfffe
	s_add_nc_u64 s[0:1], s[2:3], s[0:1]
	s_wait_alu 0xfffd
	v_cndmask_b32_e32 v9, v16, v18, vcc_lo
	v_cmp_u_f32_e32 vcc_lo, v8, v8
	v_or_b32_e32 v16, 0x400000, v7
	v_bfe_u32 v18, v6, 16, 1
	s_wait_alu 0xfffd
	v_cndmask_b32_e32 v8, v15, v19, vcc_lo
	v_add3_u32 v15, v20, v7, 0x7fff
	v_cmp_u_f32_e32 vcc_lo, v7, v7
	s_wait_alu 0xfffd
	s_delay_alu instid0(VALU_DEP_2)
	v_cndmask_b32_e32 v7, v15, v16, vcc_lo
	s_clause 0x7
	global_store_d16_hi_b16 v17, v0, s[0:1]
	global_store_d16_hi_b16 v17, v14, s[0:1] offset:16
	global_store_d16_hi_b16 v17, v13, s[0:1] offset:32
	;; [unrolled: 1-line block ×7, first 2 shown]
	v_bfe_u32 v0, v5, 16, 1
	v_add3_u32 v8, v18, v6, 0x7fff
	v_or_b32_e32 v9, 0x400000, v6
	v_cmp_u_f32_e32 vcc_lo, v6, v6
	v_bfe_u32 v10, v4, 16, 1
	v_add3_u32 v0, v0, v5, 0x7fff
	v_or_b32_e32 v11, 0x400000, v5
	v_or_b32_e32 v12, 0x400000, v3
	s_wait_alu 0xfffd
	v_cndmask_b32_e32 v6, v8, v9, vcc_lo
	v_cmp_u_f32_e32 vcc_lo, v5, v5
	v_add3_u32 v8, v10, v4, 0x7fff
	v_or_b32_e32 v9, 0x400000, v4
	v_bfe_u32 v5, v1, 16, 1
	v_bfe_u32 v10, v2, 16, 1
	s_wait_alu 0xfffd
	v_cndmask_b32_e32 v0, v0, v11, vcc_lo
	v_cmp_u_f32_e32 vcc_lo, v4, v4
	v_or_b32_e32 v11, 0x400000, v2
	v_add3_u32 v5, v5, v1, 0x7fff
	v_add3_u32 v10, v10, v2, 0x7fff
	s_wait_alu 0xfffd
	v_cndmask_b32_e32 v4, v8, v9, vcc_lo
	v_or_b32_e32 v9, 0x400000, v1
	v_cmp_u_f32_e32 vcc_lo, v1, v1
	v_bfe_u32 v8, v3, 16, 1
	s_wait_alu 0xfffd
	s_delay_alu instid0(VALU_DEP_3) | instskip(SKIP_1) | instid1(VALU_DEP_3)
	v_cndmask_b32_e32 v1, v5, v9, vcc_lo
	v_cmp_u_f32_e32 vcc_lo, v2, v2
	v_add3_u32 v8, v8, v3, 0x7fff
	s_wait_alu 0xfffd
	v_cndmask_b32_e32 v2, v10, v11, vcc_lo
	v_cmp_u_f32_e32 vcc_lo, v3, v3
	s_wait_alu 0xfffd
	v_cndmask_b32_e32 v3, v8, v12, vcc_lo
	s_clause 0x6
	global_store_d16_hi_b16 v17, v7, s[0:1] offset:128
	global_store_d16_hi_b16 v17, v6, s[0:1] offset:144
	;; [unrolled: 1-line block ×7, first 2 shown]
.LBB176_112:
	s_nop 0
	s_sendmsg sendmsg(MSG_DEALLOC_VGPRS)
	s_endpgm
.LBB176_113:
	ds_load_b32 v0, v16
	s_wait_dscnt 0x0
	v_add_f32_e32 v15, v15, v0
	s_wait_alu 0xfffe
	s_or_b32 exec_lo, exec_lo, s0
	s_and_saveexec_b32 s0, vcc_lo
	s_cbranch_execz .LBB176_75
.LBB176_114:
	ds_load_b32 v0, v16 offset:32
	s_wait_dscnt 0x0
	v_add_f32_e32 v14, v14, v0
	s_wait_alu 0xfffe
	s_or_b32 exec_lo, exec_lo, s0
	s_and_saveexec_b32 s0, vcc_lo
	s_cbranch_execz .LBB176_76
.LBB176_115:
	ds_load_b32 v0, v16 offset:64
	s_wait_dscnt 0x0
	v_add_f32_e32 v13, v13, v0
	s_wait_alu 0xfffe
	s_or_b32 exec_lo, exec_lo, s0
	s_and_saveexec_b32 s0, vcc_lo
	s_cbranch_execz .LBB176_77
.LBB176_116:
	ds_load_b32 v0, v16 offset:96
	s_wait_dscnt 0x0
	v_add_f32_e32 v12, v12, v0
	s_wait_alu 0xfffe
	s_or_b32 exec_lo, exec_lo, s0
	s_and_saveexec_b32 s0, vcc_lo
	s_cbranch_execz .LBB176_78
.LBB176_117:
	ds_load_b32 v0, v16 offset:128
	s_wait_dscnt 0x0
	v_add_f32_e32 v11, v11, v0
	s_wait_alu 0xfffe
	s_or_b32 exec_lo, exec_lo, s0
	s_and_saveexec_b32 s0, vcc_lo
	s_cbranch_execz .LBB176_79
.LBB176_118:
	ds_load_b32 v0, v16 offset:160
	s_wait_dscnt 0x0
	v_add_f32_e32 v10, v10, v0
	s_wait_alu 0xfffe
	s_or_b32 exec_lo, exec_lo, s0
	s_and_saveexec_b32 s0, vcc_lo
	s_cbranch_execz .LBB176_80
.LBB176_119:
	ds_load_b32 v0, v16 offset:192
	s_wait_dscnt 0x0
	v_add_f32_e32 v9, v9, v0
	s_wait_alu 0xfffe
	s_or_b32 exec_lo, exec_lo, s0
	s_and_saveexec_b32 s0, vcc_lo
	s_cbranch_execz .LBB176_81
.LBB176_120:
	ds_load_b32 v0, v16 offset:224
	s_wait_dscnt 0x0
	v_add_f32_e32 v8, v8, v0
	s_wait_alu 0xfffe
	s_or_b32 exec_lo, exec_lo, s0
	s_and_saveexec_b32 s0, vcc_lo
	s_cbranch_execz .LBB176_82
.LBB176_121:
	ds_load_b32 v0, v16 offset:256
	s_wait_dscnt 0x0
	v_add_f32_e32 v7, v7, v0
	s_wait_alu 0xfffe
	s_or_b32 exec_lo, exec_lo, s0
	s_and_saveexec_b32 s0, vcc_lo
	s_cbranch_execz .LBB176_83
.LBB176_122:
	ds_load_b32 v0, v16 offset:288
	s_wait_dscnt 0x0
	v_add_f32_e32 v6, v6, v0
	s_wait_alu 0xfffe
	s_or_b32 exec_lo, exec_lo, s0
	s_and_saveexec_b32 s0, vcc_lo
	s_cbranch_execz .LBB176_84
.LBB176_123:
	ds_load_b32 v0, v16 offset:320
	s_wait_dscnt 0x0
	v_add_f32_e32 v5, v5, v0
	s_wait_alu 0xfffe
	s_or_b32 exec_lo, exec_lo, s0
	s_and_saveexec_b32 s0, vcc_lo
	s_cbranch_execz .LBB176_85
.LBB176_124:
	ds_load_b32 v0, v16 offset:352
	s_wait_dscnt 0x0
	v_add_f32_e32 v4, v4, v0
	s_wait_alu 0xfffe
	s_or_b32 exec_lo, exec_lo, s0
	s_and_saveexec_b32 s0, vcc_lo
	s_cbranch_execz .LBB176_86
.LBB176_125:
	ds_load_b32 v0, v16 offset:384
	s_wait_dscnt 0x0
	v_add_f32_e32 v1, v1, v0
	s_wait_alu 0xfffe
	s_or_b32 exec_lo, exec_lo, s0
	s_and_saveexec_b32 s0, vcc_lo
	s_cbranch_execz .LBB176_87
.LBB176_126:
	ds_load_b32 v0, v16 offset:416
	s_wait_dscnt 0x0
	v_add_f32_e32 v2, v2, v0
	s_wait_alu 0xfffe
	s_or_b32 exec_lo, exec_lo, s0
	s_and_saveexec_b32 s0, vcc_lo
	s_cbranch_execnz .LBB176_88
	s_branch .LBB176_89
.LBB176_127:
	ds_load_b32 v0, v16
	s_wait_dscnt 0x0
	v_add_f32_e32 v15, v15, v0
	s_wait_alu 0xfffe
	s_or_b32 exec_lo, exec_lo, s0
	s_and_saveexec_b32 s0, vcc_lo
	s_cbranch_execz .LBB176_95
.LBB176_128:
	ds_load_b32 v0, v16 offset:32
	s_wait_dscnt 0x0
	v_add_f32_e32 v14, v14, v0
	s_wait_alu 0xfffe
	s_or_b32 exec_lo, exec_lo, s0
	s_and_saveexec_b32 s0, vcc_lo
	s_cbranch_execz .LBB176_96
.LBB176_129:
	ds_load_b32 v0, v16 offset:64
	s_wait_dscnt 0x0
	v_add_f32_e32 v13, v13, v0
	s_wait_alu 0xfffe
	s_or_b32 exec_lo, exec_lo, s0
	s_and_saveexec_b32 s0, vcc_lo
	s_cbranch_execz .LBB176_97
.LBB176_130:
	ds_load_b32 v0, v16 offset:96
	s_wait_dscnt 0x0
	v_add_f32_e32 v12, v12, v0
	s_wait_alu 0xfffe
	s_or_b32 exec_lo, exec_lo, s0
	s_and_saveexec_b32 s0, vcc_lo
	s_cbranch_execz .LBB176_98
.LBB176_131:
	ds_load_b32 v0, v16 offset:128
	s_wait_dscnt 0x0
	v_add_f32_e32 v11, v11, v0
	s_wait_alu 0xfffe
	s_or_b32 exec_lo, exec_lo, s0
	s_and_saveexec_b32 s0, vcc_lo
	s_cbranch_execz .LBB176_99
.LBB176_132:
	ds_load_b32 v0, v16 offset:160
	s_wait_dscnt 0x0
	v_add_f32_e32 v10, v10, v0
	s_wait_alu 0xfffe
	s_or_b32 exec_lo, exec_lo, s0
	s_and_saveexec_b32 s0, vcc_lo
	s_cbranch_execz .LBB176_100
.LBB176_133:
	ds_load_b32 v0, v16 offset:192
	s_wait_dscnt 0x0
	v_add_f32_e32 v9, v9, v0
	s_wait_alu 0xfffe
	s_or_b32 exec_lo, exec_lo, s0
	s_and_saveexec_b32 s0, vcc_lo
	s_cbranch_execz .LBB176_101
.LBB176_134:
	ds_load_b32 v0, v16 offset:224
	s_wait_dscnt 0x0
	v_add_f32_e32 v8, v8, v0
	s_wait_alu 0xfffe
	s_or_b32 exec_lo, exec_lo, s0
	s_and_saveexec_b32 s0, vcc_lo
	s_cbranch_execz .LBB176_102
.LBB176_135:
	ds_load_b32 v0, v16 offset:256
	s_wait_dscnt 0x0
	v_add_f32_e32 v7, v7, v0
	s_wait_alu 0xfffe
	s_or_b32 exec_lo, exec_lo, s0
	s_and_saveexec_b32 s0, vcc_lo
	s_cbranch_execz .LBB176_103
.LBB176_136:
	ds_load_b32 v0, v16 offset:288
	s_wait_dscnt 0x0
	v_add_f32_e32 v6, v6, v0
	s_wait_alu 0xfffe
	s_or_b32 exec_lo, exec_lo, s0
	s_and_saveexec_b32 s0, vcc_lo
	s_cbranch_execz .LBB176_104
.LBB176_137:
	ds_load_b32 v0, v16 offset:320
	s_wait_dscnt 0x0
	v_add_f32_e32 v5, v5, v0
	s_wait_alu 0xfffe
	s_or_b32 exec_lo, exec_lo, s0
	s_and_saveexec_b32 s0, vcc_lo
	s_cbranch_execz .LBB176_105
.LBB176_138:
	ds_load_b32 v0, v16 offset:352
	s_wait_dscnt 0x0
	v_add_f32_e32 v4, v4, v0
	s_wait_alu 0xfffe
	s_or_b32 exec_lo, exec_lo, s0
	s_and_saveexec_b32 s0, vcc_lo
	s_cbranch_execz .LBB176_106
.LBB176_139:
	ds_load_b32 v0, v16 offset:384
	s_wait_dscnt 0x0
	v_add_f32_e32 v1, v1, v0
	s_wait_alu 0xfffe
	s_or_b32 exec_lo, exec_lo, s0
	s_and_saveexec_b32 s0, vcc_lo
	s_cbranch_execz .LBB176_107
.LBB176_140:
	ds_load_b32 v0, v16 offset:416
	s_wait_dscnt 0x0
	v_add_f32_e32 v2, v2, v0
	s_wait_alu 0xfffe
	s_or_b32 exec_lo, exec_lo, s0
	s_and_saveexec_b32 s0, vcc_lo
	s_cbranch_execnz .LBB176_108
	s_branch .LBB176_109
	.section	.rodata,"a",@progbits
	.p2align	6, 0x0
	.amdhsa_kernel _ZN4vllm25paged_attention_v2_kernelI14__hip_bfloat16S1_Li120ELi32ELi128ELNS_18Fp8KVCacheDataTypeE0ELb1ELi512EEEvPfS3_PT_PKS4_PKT0_SA_ifPKiSC_iPKfiiiSE_SE_iiiii
		.amdhsa_group_segment_fixed_size 272
		.amdhsa_private_segment_fixed_size 48
		.amdhsa_kernarg_size 400
		.amdhsa_user_sgpr_count 2
		.amdhsa_user_sgpr_dispatch_ptr 0
		.amdhsa_user_sgpr_queue_ptr 0
		.amdhsa_user_sgpr_kernarg_segment_ptr 1
		.amdhsa_user_sgpr_dispatch_id 0
		.amdhsa_user_sgpr_private_segment_size 0
		.amdhsa_wavefront_size32 1
		.amdhsa_uses_dynamic_stack 0
		.amdhsa_enable_private_segment 1
		.amdhsa_system_sgpr_workgroup_id_x 1
		.amdhsa_system_sgpr_workgroup_id_y 1
		.amdhsa_system_sgpr_workgroup_id_z 1
		.amdhsa_system_sgpr_workgroup_info 0
		.amdhsa_system_vgpr_workitem_id 0
		.amdhsa_next_free_vgpr 192
		.amdhsa_next_free_sgpr 42
		.amdhsa_reserve_vcc 1
		.amdhsa_float_round_mode_32 0
		.amdhsa_float_round_mode_16_64 0
		.amdhsa_float_denorm_mode_32 3
		.amdhsa_float_denorm_mode_16_64 3
		.amdhsa_fp16_overflow 0
		.amdhsa_workgroup_processor_mode 1
		.amdhsa_memory_ordered 1
		.amdhsa_forward_progress 1
		.amdhsa_inst_pref_size 178
		.amdhsa_round_robin_scheduling 0
		.amdhsa_exception_fp_ieee_invalid_op 0
		.amdhsa_exception_fp_denorm_src 0
		.amdhsa_exception_fp_ieee_div_zero 0
		.amdhsa_exception_fp_ieee_overflow 0
		.amdhsa_exception_fp_ieee_underflow 0
		.amdhsa_exception_fp_ieee_inexact 0
		.amdhsa_exception_int_div_zero 0
	.end_amdhsa_kernel
	.section	.text._ZN4vllm25paged_attention_v2_kernelI14__hip_bfloat16S1_Li120ELi32ELi128ELNS_18Fp8KVCacheDataTypeE0ELb1ELi512EEEvPfS3_PT_PKS4_PKT0_SA_ifPKiSC_iPKfiiiSE_SE_iiiii,"axG",@progbits,_ZN4vllm25paged_attention_v2_kernelI14__hip_bfloat16S1_Li120ELi32ELi128ELNS_18Fp8KVCacheDataTypeE0ELb1ELi512EEEvPfS3_PT_PKS4_PKT0_SA_ifPKiSC_iPKfiiiSE_SE_iiiii,comdat
.Lfunc_end176:
	.size	_ZN4vllm25paged_attention_v2_kernelI14__hip_bfloat16S1_Li120ELi32ELi128ELNS_18Fp8KVCacheDataTypeE0ELb1ELi512EEEvPfS3_PT_PKS4_PKT0_SA_ifPKiSC_iPKfiiiSE_SE_iiiii, .Lfunc_end176-_ZN4vllm25paged_attention_v2_kernelI14__hip_bfloat16S1_Li120ELi32ELi128ELNS_18Fp8KVCacheDataTypeE0ELb1ELi512EEEvPfS3_PT_PKS4_PKT0_SA_ifPKiSC_iPKfiiiSE_SE_iiiii
                                        ; -- End function
	.set _ZN4vllm25paged_attention_v2_kernelI14__hip_bfloat16S1_Li120ELi32ELi128ELNS_18Fp8KVCacheDataTypeE0ELb1ELi512EEEvPfS3_PT_PKS4_PKT0_SA_ifPKiSC_iPKfiiiSE_SE_iiiii.num_vgpr, 192
	.set _ZN4vllm25paged_attention_v2_kernelI14__hip_bfloat16S1_Li120ELi32ELi128ELNS_18Fp8KVCacheDataTypeE0ELb1ELi512EEEvPfS3_PT_PKS4_PKT0_SA_ifPKiSC_iPKfiiiSE_SE_iiiii.num_agpr, 0
	.set _ZN4vllm25paged_attention_v2_kernelI14__hip_bfloat16S1_Li120ELi32ELi128ELNS_18Fp8KVCacheDataTypeE0ELb1ELi512EEEvPfS3_PT_PKS4_PKT0_SA_ifPKiSC_iPKfiiiSE_SE_iiiii.numbered_sgpr, 42
	.set _ZN4vllm25paged_attention_v2_kernelI14__hip_bfloat16S1_Li120ELi32ELi128ELNS_18Fp8KVCacheDataTypeE0ELb1ELi512EEEvPfS3_PT_PKS4_PKT0_SA_ifPKiSC_iPKfiiiSE_SE_iiiii.num_named_barrier, 0
	.set _ZN4vllm25paged_attention_v2_kernelI14__hip_bfloat16S1_Li120ELi32ELi128ELNS_18Fp8KVCacheDataTypeE0ELb1ELi512EEEvPfS3_PT_PKS4_PKT0_SA_ifPKiSC_iPKfiiiSE_SE_iiiii.private_seg_size, 48
	.set _ZN4vllm25paged_attention_v2_kernelI14__hip_bfloat16S1_Li120ELi32ELi128ELNS_18Fp8KVCacheDataTypeE0ELb1ELi512EEEvPfS3_PT_PKS4_PKT0_SA_ifPKiSC_iPKfiiiSE_SE_iiiii.uses_vcc, 1
	.set _ZN4vllm25paged_attention_v2_kernelI14__hip_bfloat16S1_Li120ELi32ELi128ELNS_18Fp8KVCacheDataTypeE0ELb1ELi512EEEvPfS3_PT_PKS4_PKT0_SA_ifPKiSC_iPKfiiiSE_SE_iiiii.uses_flat_scratch, 1
	.set _ZN4vllm25paged_attention_v2_kernelI14__hip_bfloat16S1_Li120ELi32ELi128ELNS_18Fp8KVCacheDataTypeE0ELb1ELi512EEEvPfS3_PT_PKS4_PKT0_SA_ifPKiSC_iPKfiiiSE_SE_iiiii.has_dyn_sized_stack, 0
	.set _ZN4vllm25paged_attention_v2_kernelI14__hip_bfloat16S1_Li120ELi32ELi128ELNS_18Fp8KVCacheDataTypeE0ELb1ELi512EEEvPfS3_PT_PKS4_PKT0_SA_ifPKiSC_iPKfiiiSE_SE_iiiii.has_recursion, 0
	.set _ZN4vllm25paged_attention_v2_kernelI14__hip_bfloat16S1_Li120ELi32ELi128ELNS_18Fp8KVCacheDataTypeE0ELb1ELi512EEEvPfS3_PT_PKS4_PKT0_SA_ifPKiSC_iPKfiiiSE_SE_iiiii.has_indirect_call, 0
	.section	.AMDGPU.csdata,"",@progbits
; Kernel info:
; codeLenInByte = 22724
; TotalNumSgprs: 44
; NumVgprs: 192
; ScratchSize: 48
; MemoryBound: 0
; FloatMode: 240
; IeeeMode: 1
; LDSByteSize: 272 bytes/workgroup (compile time only)
; SGPRBlocks: 0
; VGPRBlocks: 23
; NumSGPRsForWavesPerEU: 44
; NumVGPRsForWavesPerEU: 192
; Occupancy: 8
; WaveLimiterHint : 1
; COMPUTE_PGM_RSRC2:SCRATCH_EN: 1
; COMPUTE_PGM_RSRC2:USER_SGPR: 2
; COMPUTE_PGM_RSRC2:TRAP_HANDLER: 0
; COMPUTE_PGM_RSRC2:TGID_X_EN: 1
; COMPUTE_PGM_RSRC2:TGID_Y_EN: 1
; COMPUTE_PGM_RSRC2:TGID_Z_EN: 1
; COMPUTE_PGM_RSRC2:TIDIG_COMP_CNT: 0
	.section	.text._ZN4vllm25paged_attention_v2_kernelI14__hip_bfloat16S1_Li128ELi32ELi128ELNS_18Fp8KVCacheDataTypeE0ELb1ELi512EEEvPfS3_PT_PKS4_PKT0_SA_ifPKiSC_iPKfiiiSE_SE_iiiii,"axG",@progbits,_ZN4vllm25paged_attention_v2_kernelI14__hip_bfloat16S1_Li128ELi32ELi128ELNS_18Fp8KVCacheDataTypeE0ELb1ELi512EEEvPfS3_PT_PKS4_PKT0_SA_ifPKiSC_iPKfiiiSE_SE_iiiii,comdat
	.protected	_ZN4vllm25paged_attention_v2_kernelI14__hip_bfloat16S1_Li128ELi32ELi128ELNS_18Fp8KVCacheDataTypeE0ELb1ELi512EEEvPfS3_PT_PKS4_PKT0_SA_ifPKiSC_iPKfiiiSE_SE_iiiii ; -- Begin function _ZN4vllm25paged_attention_v2_kernelI14__hip_bfloat16S1_Li128ELi32ELi128ELNS_18Fp8KVCacheDataTypeE0ELb1ELi512EEEvPfS3_PT_PKS4_PKT0_SA_ifPKiSC_iPKfiiiSE_SE_iiiii
	.globl	_ZN4vllm25paged_attention_v2_kernelI14__hip_bfloat16S1_Li128ELi32ELi128ELNS_18Fp8KVCacheDataTypeE0ELb1ELi512EEEvPfS3_PT_PKS4_PKT0_SA_ifPKiSC_iPKfiiiSE_SE_iiiii
	.p2align	8
	.type	_ZN4vllm25paged_attention_v2_kernelI14__hip_bfloat16S1_Li128ELi32ELi128ELNS_18Fp8KVCacheDataTypeE0ELb1ELi512EEEvPfS3_PT_PKS4_PKT0_SA_ifPKiSC_iPKfiiiSE_SE_iiiii,@function
_ZN4vllm25paged_attention_v2_kernelI14__hip_bfloat16S1_Li128ELi32ELi128ELNS_18Fp8KVCacheDataTypeE0ELb1ELi512EEEvPfS3_PT_PKS4_PKT0_SA_ifPKiSC_iPKfiiiSE_SE_iiiii: ; @_ZN4vllm25paged_attention_v2_kernelI14__hip_bfloat16S1_Li128ELi32ELi128ELNS_18Fp8KVCacheDataTypeE0ELb1ELi512EEEvPfS3_PT_PKS4_PKT0_SA_ifPKiSC_iPKfiiiSE_SE_iiiii
; %bb.0:
	s_load_b64 s[2:3], s[0:1], 0x40
	s_and_b32 s20, ttmp7, 0xffff
	s_lshr_b32 s30, ttmp7, 16
	s_lshl_b32 s4, s20, 2
	s_lshl_b32 s34, s30, 9
	s_wait_kmcnt 0x0
	s_load_b32 s31, s[2:3], s4 offset:0x0
	s_wait_kmcnt 0x0
	s_cmp_ge_i32 s34, s31
	s_cbranch_scc1 .LBB177_116
; %bb.1:
	s_clause 0x1
	s_load_b32 s21, s[0:1], 0x90
	s_load_b64 s[8:9], s[0:1], 0x30
	v_mov_b32_e32 v110, v0
	s_wait_kmcnt 0x0
	s_abs_i32 s5, s21
	s_abs_i32 s2, s8
	s_delay_alu instid0(SALU_CYCLE_1) | instskip(SKIP_1) | instid1(SALU_CYCLE_2)
	s_cvt_f32_u32 s3, s2
	s_sub_co_i32 s4, 0, s2
	v_rcp_iflag_f32_e32 v0, s3
	s_delay_alu instid0(TRANS32_DEP_1) | instskip(SKIP_2) | instid1(SALU_CYCLE_2)
	v_readfirstlane_b32 s3, v0
	s_mul_f32 s3, s3, 0x4f7ffffe
	s_wait_alu 0xfffe
	s_cvt_u32_f32 s3, s3
	s_wait_alu 0xfffe
	s_delay_alu instid0(SALU_CYCLE_2) | instskip(NEXT) | instid1(SALU_CYCLE_1)
	s_mul_i32 s4, s4, s3
	s_mul_hi_u32 s4, s3, s4
	s_delay_alu instid0(SALU_CYCLE_1)
	s_add_co_i32 s3, s3, s4
	s_xor_b32 s4, s21, s8
	s_wait_alu 0xfffe
	s_mul_hi_u32 s3, s5, s3
	s_ashr_i32 s4, s4, 31
	s_wait_alu 0xfffe
	s_mul_i32 s6, s3, s2
	s_delay_alu instid0(SALU_CYCLE_1)
	s_sub_co_i32 s5, s5, s6
	s_add_co_i32 s6, s3, 1
	s_sub_co_i32 s7, s5, s2
	s_cmp_ge_u32 s5, s2
	s_cselect_b32 s3, s6, s3
	s_cselect_b32 s5, s7, s5
	s_wait_alu 0xfffe
	s_add_co_i32 s6, s3, 1
	s_cmp_ge_u32 s5, s2
	s_cselect_b32 s2, s6, s3
	s_load_b64 s[6:7], s[0:1], 0x50
	s_xor_b32 s2, s2, s4
	s_mov_b32 s3, 0
	s_wait_alu 0xfffe
	s_sub_co_i32 s16, s2, s4
	s_mov_b32 s15, s3
	s_abs_i32 s18, s16
	s_delay_alu instid0(SALU_CYCLE_1) | instskip(SKIP_1) | instid1(SALU_CYCLE_2)
	s_cvt_f32_u32 s2, s18
	s_wait_alu 0xfffe
	v_rcp_iflag_f32_e32 v0, s2
	s_delay_alu instid0(TRANS32_DEP_1) | instskip(SKIP_2) | instid1(SALU_CYCLE_2)
	v_readfirstlane_b32 s2, v0
	s_mul_f32 s2, s2, 0x4f7ffffe
	s_wait_alu 0xfffe
	s_cvt_u32_f32 s4, s2
	s_sub_co_i32 s2, 0, s18
	s_wait_alu 0xfffe
	s_delay_alu instid0(SALU_CYCLE_1)
	s_mul_i32 s2, s2, s4
	s_wait_alu 0xfffe
	s_mul_hi_u32 s5, s4, s2
	s_abs_i32 s2, ttmp9
	s_add_co_i32 s4, s4, s5
	s_mov_b32 s5, s3
	s_wait_kmcnt 0x0
	s_cmp_eq_u64 s[6:7], 0
	s_cbranch_scc1 .LBB177_3
; %bb.2:
	s_mov_b32 s10, ttmp9
	s_ashr_i32 s11, ttmp9, 31
	s_delay_alu instid0(SALU_CYCLE_1) | instskip(NEXT) | instid1(SALU_CYCLE_1)
	s_lshl_b64 s[10:11], s[10:11], 2
	s_add_nc_u64 s[6:7], s[6:7], s[10:11]
	s_load_b32 s15, s[6:7], 0x0
.LBB177_3:
	s_load_b96 s[12:14], s[0:1], 0x58
	v_lshlrev_b32_e32 v10, 4, v110
	s_mul_u64 s[10:11], s[2:3], s[4:5]
	s_ashr_i32 s3, ttmp9, 31
	s_ashr_i32 s10, s16, 31
	s_lshl_b32 s16, ttmp9, 7
	s_mov_b32 s4, exec_lo
	v_cmpx_gt_u32_e32 16, v110
	s_cbranch_execz .LBB177_5
; %bb.4:
	s_load_b64 s[6:7], s[0:1], 0x18
	s_wait_kmcnt 0x0
	s_mul_i32 s22, s12, s20
	s_ashr_i32 s17, s16, 31
	s_ashr_i32 s23, s22, 31
	s_delay_alu instid0(SALU_CYCLE_1) | instskip(NEXT) | instid1(SALU_CYCLE_1)
	s_lshl_b64 s[22:23], s[22:23], 1
	s_add_nc_u64 s[6:7], s[6:7], s[22:23]
	s_lshl_b64 s[22:23], s[16:17], 1
	s_delay_alu instid0(SALU_CYCLE_1)
	s_add_nc_u64 s[6:7], s[6:7], s[22:23]
	global_load_b128 v[0:3], v10, s[6:7]
	s_wait_loadcnt 0x0
	ds_store_b128 v10, v[0:3]
.LBB177_5:
	s_or_b32 exec_lo, exec_lo, s4
	s_clause 0x1
	s_load_b128 s[4:7], s[0:1], 0x78
	s_load_b32 s22, s[0:1], 0x88
	s_wait_kmcnt 0x0
	s_mul_i32 s12, s11, s18
	s_xor_b32 s3, s3, s10
	s_sub_co_i32 s2, s2, s12
	s_add_co_i32 s10, s11, 1
	s_wait_alu 0xfffe
	s_sub_co_i32 s12, s2, s18
	s_cmp_ge_u32 s2, s18
	s_mov_b32 s24, -1
	s_cselect_b32 s10, s10, s11
	s_cselect_b32 s2, s12, s2
	s_add_co_i32 s11, s10, 1
	s_wait_alu 0xfffe
	s_cmp_ge_u32 s2, s18
	s_wait_dscnt 0x0
	s_cselect_b32 s2, s11, s10
	s_add_co_i32 s23, s31, -1
	s_wait_alu 0xfffe
	s_xor_b32 s2, s2, s3
	s_barrier_signal -1
	s_wait_alu 0xfffe
	s_sub_co_i32 s26, s2, s3
	s_barrier_wait -1
	s_abs_i32 s12, s7
	global_inv scope:SCOPE_SE
	s_cvt_f32_u32 s10, s12
                                        ; implicit-def: $sgpr17
	s_delay_alu instid0(SALU_CYCLE_3) | instskip(NEXT) | instid1(TRANS32_DEP_1)
	v_rcp_iflag_f32_e32 v0, s10
	v_readfirstlane_b32 s10, v0
	s_mul_f32 s2, s10, 0x4f7ffffe
	s_wait_alu 0xfffe
	s_delay_alu instid0(SALU_CYCLE_2) | instskip(SKIP_2) | instid1(SALU_CYCLE_1)
	s_cvt_u32_f32 s10, s2
	s_sub_co_i32 s2, 0, s12
	s_wait_alu 0xfffe
	s_mul_i32 s3, s2, s10
	s_abs_i32 s2, s23
	s_wait_alu 0xfffe
	s_mul_hi_u32 s11, s10, s3
	s_mov_b32 s3, 0
	s_wait_alu 0xfffe
	s_add_co_i32 s18, s10, s11
	s_cmp_lt_i32 s22, 0
	s_mov_b32 s19, s3
	s_cbranch_scc0 .LBB177_7
; %bb.6:
	s_mul_i32 s8, s4, s8
	s_mov_b32 s24, s3
	s_add_co_i32 s8, s26, s8
	s_delay_alu instid0(SALU_CYCLE_1) | instskip(NEXT) | instid1(SALU_CYCLE_1)
	s_mul_i32 s8, s8, s22
	s_sub_co_i32 s17, 1, s8
.LBB177_7:
	s_mul_u64 s[10:11], s[2:3], s[18:19]
	s_ashr_i32 s3, s23, 31
	s_and_not1_b32 vcc_lo, exec_lo, s24
	s_ashr_i32 s19, s7, 31
	s_cbranch_vccnz .LBB177_9
; %bb.8:
	s_mul_i32 s4, s21, s4
	s_delay_alu instid0(SALU_CYCLE_1) | instskip(NEXT) | instid1(SALU_CYCLE_1)
	s_add_co_i32 s4, s4, ttmp9
	s_mul_i32 s4, s4, s22
	s_delay_alu instid0(SALU_CYCLE_1)
	s_add_co_i32 s17, s4, 1
.LBB177_9:
	s_clause 0x2
	s_load_b32 s4, s[0:1], 0x48
	s_load_b64 s[22:23], s[0:1], 0x38
	s_load_b32 s7, s[0:1], 0x98
	s_mul_i32 s8, s11, s12
	s_xor_b32 s3, s3, s19
	s_sub_co_i32 s2, s2, s8
	s_add_co_i32 s10, s11, 1
	v_lshrrev_b32_e32 v183, 5, v110
	v_dual_mov_b32 v167, 0xff7fffff :: v_dual_and_b32 v0, 31, v110
	s_mul_i32 s26, s26, s14
	s_delay_alu instid0(VALU_DEP_2) | instskip(NEXT) | instid1(VALU_DEP_2)
	v_lshl_add_u32 v77, v183, 5, s34
	v_lshlrev_b32_e32 v26, 2, v0
	scratch_store_b32 off, v0, off          ; 4-byte Folded Spill
	s_wait_kmcnt 0x0
	s_mul_i32 s24, s4, s20
	s_wait_alu 0xfffe
	s_sub_co_i32 s4, s2, s12
	s_ashr_i32 s25, s24, 31
	s_cmp_ge_u32 s2, s12
	s_cselect_b32 s8, s10, s11
	s_cselect_b32 s2, s4, s2
	s_add_co_i32 s4, s8, 1
	s_wait_alu 0xfffe
	s_cmp_ge_u32 s2, s12
	s_cselect_b32 s2, s4, s8
	s_add_co_i32 s4, s31, 31
	s_lshl_b32 s37, s30, 4
	s_ashr_i32 s8, s4, 31
	v_add_nc_u32_e32 v78, s37, v183
	s_lshr_b32 s8, s8, 27
	s_delay_alu instid0(SALU_CYCLE_1)
	s_add_co_i32 s4, s4, s8
	s_add_co_i32 s8, s37, 16
	s_ashr_i32 s35, s4, 5
	s_wait_alu 0xfffe
	s_xor_b32 s4, s2, s3
	s_min_i32 s33, s8, s35
	v_lshlrev_b32_e32 v25, 2, v78
	v_cmp_gt_i32_e64 s2, s33, v78
	s_sub_co_i32 s36, s4, s3
	s_and_saveexec_b32 s8, s2
	s_cbranch_execz .LBB177_17
; %bb.10:
	v_mov_b32_e32 v24, 0
	s_clause 0x1
	scratch_store_b32 off, v10, off offset:60
	scratch_store_b32 off, v110, off offset:52
	s_ashr_i32 s27, s26, 31
	s_wait_alu 0xfffe
	s_sub_co_i32 s10, s36, s5
	s_lshl_b64 s[28:29], s[26:27], 1
	ds_load_b128 v[0:3], v24
	ds_load_b128 v[4:7], v24 offset:16
	ds_load_b128 v[8:11], v24 offset:32
	;; [unrolled: 1-line block ×4, first 2 shown]
	s_cmp_neq_f32 s15, 0
	s_load_b64 s[38:39], s[0:1], 0x20
	s_mov_b32 s14, s13
	v_mov_b32_e32 v167, 0xff7fffff
	s_cselect_b32 vcc_lo, -1, 0
	s_abs_i32 s11, s6
	v_mov_b32_e32 v184, v78
	s_wait_alu 0xfffe
	s_cvt_f32_u32 s3, s11
	s_sub_co_i32 s4, 0, s11
	s_clause 0x1
	scratch_store_b32 off, v183, off offset:56
	scratch_store_b32 off, v26, off offset:64
	s_wait_dscnt 0x4
	v_and_b32_e32 v20, 0xffff0000, v0
	v_lshlrev_b32_e32 v0, 16, v0
	v_and_b32_e32 v58, 0xffff0000, v2
	v_lshlrev_b32_e32 v59, 16, v2
	v_and_b32_e32 v64, 0xffff0000, v3
	s_clause 0x1
	scratch_store_b32 off, v20, off offset:4
	scratch_store_b32 off, v0, off offset:8
	s_wait_dscnt 0x3
	v_and_b32_e32 v0, 0xffff0000, v4
	v_lshlrev_b32_e32 v65, 16, v3
	v_and_b32_e32 v60, 0xffff0000, v6
	v_lshlrev_b32_e32 v61, 16, v6
	s_wait_dscnt 0x2
	v_and_b32_e32 v62, 0xffff0000, v10
	scratch_store_b32 off, v0, off offset:12 ; 4-byte Folded Spill
	v_lshlrev_b32_e32 v0, 16, v4
	v_lshlrev_b32_e32 v63, 16, v10
	v_and_b32_e32 v66, 0xffff0000, v7
	v_lshlrev_b32_e32 v67, 16, v7
	v_and_b32_e32 v68, 0xffff0000, v11
	scratch_store_b32 off, v0, off offset:16 ; 4-byte Folded Spill
	v_and_b32_e32 v0, 0xffff0000, v8
	v_lshlrev_b32_e32 v69, 16, v11
	s_wait_dscnt 0x1
	v_and_b32_e32 v70, 0xffff0000, v12
	v_lshlrev_b32_e32 v71, 16, v12
	v_and_b32_e32 v72, 0xffff0000, v13
	scratch_store_b32 off, v0, off offset:20 ; 4-byte Folded Spill
	v_lshlrev_b32_e32 v0, 16, v8
	v_lshlrev_b32_e32 v73, 16, v13
	v_and_b32_e32 v74, 0xffff0000, v14
	v_lshlrev_b32_e32 v79, 16, v14
	v_and_b32_e32 v80, 0xffff0000, v15
	scratch_store_b32 off, v0, off offset:24 ; 4-byte Folded Spill
	v_and_b32_e32 v0, 0xffff0000, v1
	v_lshlrev_b32_e32 v81, 16, v15
	ds_load_b128 v[20:23], v24 offset:144
	s_wait_kmcnt 0x0
	s_add_nc_u64 s[28:29], s[38:39], s[28:29]
	s_lshl_b64 s[38:39], s[24:25], 2
	scratch_store_b32 off, v0, off offset:28 ; 4-byte Folded Spill
	v_lshlrev_b32_e32 v0, 16, v1
	s_add_nc_u64 s[38:39], s[22:23], s[38:39]
	s_wait_dscnt 0x1
	v_and_b32_e32 v82, 0xffff0000, v16
	v_add_co_u32 v41, s27, s38, v25
	scratch_store_b32 off, v0, off offset:32 ; 4-byte Folded Spill
	v_and_b32_e32 v0, 0xffff0000, v5
	v_add_co_ci_u32_e64 v42, null, s39, 0, s27
	v_lshlrev_b32_e32 v83, 16, v16
	v_and_b32_e32 v84, 0xffff0000, v17
	scratch_store_b32 off, v0, off offset:36 ; 4-byte Folded Spill
	v_lshlrev_b32_e32 v0, 16, v5
	ds_load_b128 v[12:15], v24 offset:128
	v_lshlrev_b32_e32 v85, 16, v17
	v_and_b32_e32 v86, 0xffff0000, v18
	v_lshlrev_b32_e32 v87, 16, v18
	scratch_store_b32 off, v0, off offset:40 ; 4-byte Folded Spill
	v_and_b32_e32 v0, 0xffff0000, v9
	ds_load_b128 v[4:7], v24 offset:96
	v_and_b32_e32 v88, 0xffff0000, v19
	v_lshlrev_b32_e32 v89, 16, v19
	scratch_store_b32 off, v0, off offset:44 ; 4-byte Folded Spill
	v_lshlrev_b32_e32 v0, 16, v9
	ds_load_b128 v[8:11], v24 offset:112
	scratch_store_b32 off, v0, off offset:48 ; 4-byte Folded Spill
	ds_load_b128 v[0:3], v24 offset:80
	s_wait_dscnt 0x3
	v_and_b32_e32 v102, 0xffff0000, v12
	v_lshlrev_b32_e32 v103, 16, v12
	v_and_b32_e32 v110, 0xffff0000, v13
	v_lshlrev_b32_e32 v111, 16, v13
	;; [unrolled: 2-line block ×4, first 2 shown]
	ds_load_b128 v[12:15], v24 offset:208
	s_wait_dscnt 0x3
	v_and_b32_e32 v98, 0xffff0000, v4
	v_lshlrev_b32_e32 v99, 16, v4
	v_and_b32_e32 v106, 0xffff0000, v5
	s_wait_dscnt 0x2
	v_and_b32_e32 v100, 0xffff0000, v8
	v_lshlrev_b32_e32 v101, 16, v8
	v_lshlrev_b32_e32 v107, 16, v5
	v_and_b32_e32 v108, 0xffff0000, v9
	v_lshlrev_b32_e32 v109, 16, v9
	s_wait_dscnt 0x1
	v_and_b32_e32 v90, 0xffff0000, v0
	v_lshlrev_b32_e32 v91, 16, v0
	v_and_b32_e32 v92, 0xffff0000, v1
	v_lshlrev_b32_e32 v93, 16, v1
	;; [unrolled: 2-line block ×4, first 2 shown]
	ds_load_b128 v[0:3], v24 offset:160
	v_and_b32_e32 v114, 0xffff0000, v6
	v_lshlrev_b32_e32 v115, 16, v6
	v_and_b32_e32 v116, 0xffff0000, v10
	v_lshlrev_b32_e32 v117, 16, v10
	;; [unrolled: 2-line block ×3, first 2 shown]
	ds_load_b128 v[4:7], v24 offset:176
	v_and_b32_e32 v123, 0xffff0000, v11
	v_lshlrev_b32_e32 v124, 16, v11
	ds_load_b128 v[8:11], v24 offset:192
	v_and_b32_e32 v104, 0xffff0000, v20
	v_lshlrev_b32_e32 v105, 16, v20
	v_and_b32_e32 v112, 0xffff0000, v21
	v_lshlrev_b32_e32 v113, 16, v21
	;; [unrolled: 2-line block ×4, first 2 shown]
	s_wait_dscnt 0x2
	v_and_b32_e32 v130, 0xffff0000, v0
	v_lshlrev_b32_e32 v131, 16, v0
	v_and_b32_e32 v132, 0xffff0000, v1
	v_lshlrev_b32_e32 v133, 16, v1
	;; [unrolled: 2-line block ×4, first 2 shown]
	ds_load_b128 v[0:3], v24 offset:224
	s_wait_dscnt 0x2
	v_and_b32_e32 v138, 0xffff0000, v4
	s_wait_dscnt 0x1
	v_and_b32_e32 v146, 0xffff0000, v8
	v_lshlrev_b32_e32 v147, 16, v8
	s_wait_alu 0xfffe
	v_rcp_iflag_f32_e32 v8, s3
	v_lshlrev_b32_e32 v139, 16, v4
	v_and_b32_e32 v140, 0xffff0000, v5
	v_lshlrev_b32_e32 v141, 16, v5
	v_and_b32_e32 v142, 0xffff0000, v6
	;; [unrolled: 2-line block ×3, first 2 shown]
	v_lshlrev_b32_e32 v145, 16, v7
	ds_load_b128 v[4:7], v24 offset:240
	v_and_b32_e32 v148, 0xffff0000, v9
	v_readfirstlane_b32 s3, v8
	v_lshlrev_b32_e32 v149, 16, v9
	v_and_b32_e32 v150, 0xffff0000, v10
	v_lshlrev_b32_e32 v151, 16, v10
	v_and_b32_e32 v152, 0xffff0000, v11
	s_mul_f32 s3, s3, 0x4f7ffffe
	s_wait_dscnt 0x1
	v_and_b32_e32 v166, 0xffff0000, v2
	v_lshlrev_b32_e32 v168, 16, v2
	scratch_load_b32 v2, off, off           ; 4-byte Folded Reload
	v_and_b32_e32 v162, 0xffff0000, v0
	v_lshlrev_b32_e32 v163, 16, v0
	v_and_b32_e32 v164, 0xffff0000, v1
	v_lshlrev_b32_e32 v165, 16, v1
	s_wait_alu 0xfffe
	s_cvt_u32_f32 s3, s3
	v_lshl_or_b32 v1, v183, 7, v26
	v_lshlrev_b32_e32 v153, 16, v11
	v_and_b32_e32 v154, 0xffff0000, v12
	s_wait_alu 0xfffe
	s_mul_i32 s4, s4, s3
	v_lshlrev_b32_e32 v155, 16, v12
	v_and_b32_e32 v156, 0xffff0000, v13
	v_lshlrev_b32_e32 v157, 16, v13
	v_and_b32_e32 v158, 0xffff0000, v14
	;; [unrolled: 2-line block ×4, first 2 shown]
	v_lshlrev_b32_e32 v170, 16, v3
	s_wait_dscnt 0x0
	v_and_b32_e32 v171, 0xffff0000, v4
	v_lshlrev_b32_e32 v172, 16, v4
	v_and_b32_e32 v173, 0xffff0000, v5
	v_lshlrev_b32_e32 v174, 16, v5
	;; [unrolled: 2-line block ×4, first 2 shown]
	v_add_nc_u32_e32 v180, 0x120, v1
	v_lshl_add_u32 v183, v183, 5, s34
	s_mul_hi_u32 s4, s3, s4
	s_wait_loadcnt 0x0
	v_subrev_nc_u32_e32 v0, s31, v2
	v_lshlrev_b32_e32 v2, 4, v2
	s_delay_alu instid0(VALU_DEP_2) | instskip(NEXT) | instid1(VALU_DEP_2)
	v_add_nc_u32_e32 v179, 1, v0
	v_add_co_u32 v181, s27, s28, v2
	s_wait_alu 0xf1ff
	v_add_co_ci_u32_e64 v182, null, s29, 0, s27
	s_mov_b32 s27, 0
	s_add_co_i32 s28, s3, s4
	s_branch .LBB177_12
.LBB177_11:                             ;   in Loop: Header=BB177_12 Depth=1
	s_wait_alu 0xfffe
	s_or_b32 exec_lo, exec_lo, s4
	v_add_nc_u32_e32 v184, 4, v184
	v_add_co_u32 v41, s4, v41, 16
	s_wait_alu 0xf1ff
	v_add_co_ci_u32_e64 v42, null, 0, v42, s4
	s_delay_alu instid0(VALU_DEP_3)
	v_cmp_le_i32_e64 s3, s33, v184
	v_add_nc_u32_e32 v183, 0x80, v183
	v_add_nc_u32_e32 v180, 0x200, v180
	s_or_b32 s27, s3, s27
	s_wait_alu 0xfffe
	s_and_not1_b32 exec_lo, exec_lo, s27
	s_cbranch_execz .LBB177_16
.LBB177_12:                             ; =>This Inner Loop Header: Depth=1
	v_sub_nc_u32_e32 v0, 0, v183
	s_delay_alu instid0(VALU_DEP_1) | instskip(NEXT) | instid1(VALU_DEP_1)
	v_max_i32_e32 v0, v183, v0
	v_mul_hi_u32 v1, v0, s18
	s_delay_alu instid0(VALU_DEP_1) | instskip(NEXT) | instid1(VALU_DEP_1)
	v_mul_lo_u32 v2, v1, s12
	v_sub_nc_u32_e32 v0, v0, v2
	v_add_nc_u32_e32 v2, 1, v1
	s_delay_alu instid0(VALU_DEP_2) | instskip(SKIP_2) | instid1(VALU_DEP_1)
	v_subrev_nc_u32_e32 v3, s12, v0
	v_cmp_le_u32_e64 s3, s12, v0
	s_wait_alu 0xf1ff
	v_cndmask_b32_e64 v1, v1, v2, s3
	s_delay_alu instid0(VALU_DEP_3) | instskip(SKIP_1) | instid1(VALU_DEP_3)
	v_cndmask_b32_e64 v0, v0, v3, s3
	v_ashrrev_i32_e32 v2, 31, v183
	v_add_nc_u32_e32 v3, 1, v1
	s_delay_alu instid0(VALU_DEP_3) | instskip(NEXT) | instid1(VALU_DEP_3)
	v_cmp_le_u32_e64 s3, s12, v0
	v_xor_b32_e32 v2, s19, v2
	s_wait_alu 0xf1ff
	s_delay_alu instid0(VALU_DEP_2) | instskip(NEXT) | instid1(VALU_DEP_1)
	v_cndmask_b32_e64 v0, v1, v3, s3
	v_xor_b32_e32 v0, v0, v2
	s_delay_alu instid0(VALU_DEP_1) | instskip(NEXT) | instid1(VALU_DEP_1)
	v_sub_nc_u32_e32 v0, v0, v2
	v_add_nc_u32_e32 v1, s17, v0
	v_cmp_ge_i32_e64 s4, s10, v0
	s_delay_alu instid0(VALU_DEP_2) | instskip(NEXT) | instid1(VALU_DEP_1)
	v_sub_nc_u32_e32 v2, 0, v1
	v_max_i32_e32 v2, v1, v2
	v_ashrrev_i32_e32 v1, 31, v1
	s_wait_alu 0xfffe
	s_delay_alu instid0(VALU_DEP_2) | instskip(NEXT) | instid1(VALU_DEP_1)
	v_mul_hi_u32 v3, v2, s28
	v_mul_lo_u32 v3, v3, s11
	s_delay_alu instid0(VALU_DEP_1) | instskip(NEXT) | instid1(VALU_DEP_1)
	v_sub_nc_u32_e32 v2, v2, v3
	v_subrev_nc_u32_e32 v3, s11, v2
	v_cmp_le_u32_e64 s3, s11, v2
	s_wait_alu 0xf1ff
	s_delay_alu instid0(VALU_DEP_1) | instskip(NEXT) | instid1(VALU_DEP_1)
	v_cndmask_b32_e64 v2, v2, v3, s3
	v_subrev_nc_u32_e32 v3, s11, v2
	v_cmp_le_u32_e64 s3, s11, v2
	s_wait_alu 0xf1ff
	s_delay_alu instid0(VALU_DEP_1) | instskip(NEXT) | instid1(VALU_DEP_1)
	v_cndmask_b32_e64 v2, v2, v3, s3
	v_xor_b32_e32 v2, v2, v1
	s_delay_alu instid0(VALU_DEP_1) | instskip(NEXT) | instid1(VALU_DEP_1)
	v_sub_nc_u32_e32 v1, v2, v1
	v_cmp_ne_u32_e64 s3, 0, v1
	s_and_b32 s3, s3, s4
	s_wait_alu 0xfffe
	s_and_saveexec_b32 s4, s3
	s_wait_alu 0xfffe
	s_xor_b32 s3, exec_lo, s4
; %bb.13:                               ;   in Loop: Header=BB177_12 Depth=1
	v_mov_b32_e32 v0, 0xff7fffff
	ds_store_b32 v180, v0
; %bb.14:                               ;   in Loop: Header=BB177_12 Depth=1
	s_wait_alu 0xfffe
	s_and_not1_saveexec_b32 s4, s3
	s_cbranch_execz .LBB177_11
; %bb.15:                               ;   in Loop: Header=BB177_12 Depth=1
	global_load_b32 v0, v[41:42], off
	scratch_load_b32 v1, off, off           ; 4-byte Folded Reload
	s_wait_loadcnt 0x0
	v_add_nc_u32_e32 v3, v1, v183
	v_mad_co_i64_i32 v[0:1], null, v0, s14, 0
	s_delay_alu instid0(VALU_DEP_1) | instskip(SKIP_1) | instid1(VALU_DEP_1)
	v_lshlrev_b64_e32 v[1:2], 1, v[0:1]
	v_add_nc_u32_e32 v0, v179, v183
	v_cvt_f32_i32_e32 v0, v0
	s_delay_alu instid0(VALU_DEP_3) | instskip(SKIP_1) | instid1(VALU_DEP_4)
	v_add_co_u32 v1, s3, v181, v1
	s_wait_alu 0xf1ff
	v_add_co_ci_u32_e64 v2, null, v182, v2, s3
	s_delay_alu instid0(VALU_DEP_3)
	v_mul_f32_e32 v0, s15, v0
	v_cmp_gt_i32_e64 s3, s31, v3
	s_clause 0x3
	global_load_b128 v[3:6], v[1:2], off
	global_load_b128 v[7:10], v[1:2], off offset:512
	global_load_b128 v[11:14], v[1:2], off offset:1024
	;; [unrolled: 1-line block ×3, first 2 shown]
	scratch_load_b32 v20, off, off offset:16 ; 4-byte Folded Reload
	s_wait_loadcnt 0x4
	v_dual_cndmask_b32 v185, 0, v0 :: v_dual_lshlrev_b32 v0, 16, v3
	s_wait_loadcnt 0x3
	v_and_b32_e32 v19, 0xffff0000, v7
	v_lshlrev_b32_e32 v7, 16, v7
	v_and_b32_e32 v3, 0xffff0000, v3
	s_wait_loadcnt 0x0
	s_delay_alu instid0(VALU_DEP_2)
	v_mul_f32_e32 v186, v20, v7
	scratch_load_b32 v7, off, off offset:12 ; 4-byte Folded Reload
	s_wait_loadcnt 0x0
	v_mul_f32_e32 v187, v7, v19
	scratch_load_b32 v7, off, off offset:4  ; 4-byte Folded Reload
	s_wait_loadcnt 0x0
	v_fmac_f32_e32 v187, v7, v3
	s_clause 0x1
	scratch_load_b32 v3, off, off offset:8
	scratch_load_b32 v7, off, off offset:24
	s_wait_loadcnt 0x1
	v_dual_fmac_f32 v186, v3, v0 :: v_dual_lshlrev_b32 v3, 16, v11
	v_and_b32_e32 v0, 0xffff0000, v11
	s_wait_loadcnt 0x0
	s_delay_alu instid0(VALU_DEP_2) | instskip(SKIP_4) | instid1(VALU_DEP_1)
	v_fmac_f32_e32 v186, v7, v3
	scratch_load_b32 v3, off, off offset:20 ; 4-byte Folded Reload
	s_wait_loadcnt 0x0
	v_fmac_f32_e32 v187, v3, v0
	v_and_b32_e32 v3, 0xffff0000, v15
	v_fmac_f32_e32 v187, v70, v3
	v_lshlrev_b32_e32 v0, 16, v15
	v_and_b32_e32 v3, 0xffff0000, v4
	v_lshlrev_b32_e32 v7, 16, v8
	s_delay_alu instid0(VALU_DEP_3)
	v_fmac_f32_e32 v186, v71, v0
	v_lshlrev_b32_e32 v0, 16, v4
	v_and_b32_e32 v4, 0xffff0000, v8
	scratch_load_b32 v8, off, off offset:40 ; 4-byte Folded Reload
	s_wait_loadcnt 0x0
	v_mul_f32_e32 v189, v8, v7
	scratch_load_b32 v7, off, off offset:36 ; 4-byte Folded Reload
	s_wait_loadcnt 0x0
	v_mul_f32_e32 v188, v7, v4
	scratch_load_b32 v4, off, off offset:28 ; 4-byte Folded Reload
	s_wait_loadcnt 0x0
	v_fmac_f32_e32 v188, v4, v3
	s_clause 0x1
	scratch_load_b32 v3, off, off offset:32
	scratch_load_b32 v4, off, off offset:48
	s_wait_loadcnt 0x1
	v_fmac_f32_e32 v189, v3, v0
	v_lshlrev_b32_e32 v3, 16, v12
	s_wait_loadcnt 0x0
	s_delay_alu instid0(VALU_DEP_1) | instskip(SKIP_2) | instid1(VALU_DEP_1)
	v_dual_fmac_f32 v189, v4, v3 :: v_dual_and_b32 v0, 0xffff0000, v12
	scratch_load_b32 v3, off, off offset:44 ; 4-byte Folded Reload
	v_and_b32_e32 v4, 0xffff0000, v9
	v_mul_f32_e32 v190, v60, v4
	s_wait_loadcnt 0x0
	v_fmac_f32_e32 v188, v3, v0
	v_lshlrev_b32_e32 v0, 16, v16
	v_and_b32_e32 v3, 0xffff0000, v16
	s_delay_alu instid0(VALU_DEP_1) | instskip(SKIP_2) | instid1(VALU_DEP_1)
	v_dual_fmac_f32 v189, v73, v0 :: v_dual_fmac_f32 v188, v72, v3
	v_lshlrev_b32_e32 v0, 16, v5
	v_and_b32_e32 v3, 0xffff0000, v5
	v_dual_fmac_f32 v190, v58, v3 :: v_dual_lshlrev_b32 v5, 16, v9
	s_delay_alu instid0(VALU_DEP_1) | instskip(SKIP_1) | instid1(VALU_DEP_2)
	v_mul_f32_e32 v191, v61, v5
	v_lshlrev_b32_e32 v5, 16, v10
	v_dual_fmac_f32 v191, v59, v0 :: v_dual_and_b32 v0, 0xffff0000, v13
	s_delay_alu instid0(VALU_DEP_2) | instskip(NEXT) | instid1(VALU_DEP_2)
	v_dual_mul_f32 v43, v67, v5 :: v_dual_and_b32 v4, 0xffff0000, v10
	v_dual_fmac_f32 v190, v62, v0 :: v_dual_lshlrev_b32 v3, 16, v13
	v_lshlrev_b32_e32 v0, 16, v17
	s_delay_alu instid0(VALU_DEP_2) | instskip(NEXT) | instid1(VALU_DEP_1)
	v_dual_mul_f32 v44, v66, v4 :: v_dual_fmac_f32 v191, v63, v3
	v_dual_fmac_f32 v191, v79, v0 :: v_dual_lshlrev_b32 v0, 16, v6
	s_delay_alu instid0(VALU_DEP_1) | instskip(SKIP_1) | instid1(VALU_DEP_1)
	v_dual_fmac_f32 v43, v65, v0 :: v_dual_and_b32 v0, 0xffff0000, v14
	v_and_b32_e32 v3, 0xffff0000, v17
	v_dual_fmac_f32 v190, v74, v3 :: v_dual_and_b32 v3, 0xffff0000, v6
	s_delay_alu instid0(VALU_DEP_1) | instskip(NEXT) | instid1(VALU_DEP_1)
	v_dual_fmac_f32 v44, v64, v3 :: v_dual_lshlrev_b32 v3, 16, v14
	v_dual_fmac_f32 v43, v69, v3 :: v_dual_fmac_f32 v44, v68, v0
	v_and_b32_e32 v3, 0xffff0000, v18
	s_delay_alu instid0(VALU_DEP_1)
	v_fmac_f32_e32 v44, v80, v3
	global_load_b128 v[3:6], v[1:2], off offset:2048
	s_wait_loadcnt 0x0
	v_and_b32_e32 v48, 0xffff0000, v3
	v_lshlrev_b32_e32 v49, 16, v3
	v_and_b32_e32 v50, 0xffff0000, v4
	v_lshlrev_b32_e32 v51, 16, v4
	v_lshlrev_b32_e32 v47, 16, v5
	v_dual_fmac_f32 v187, v82, v48 :: v_dual_lshlrev_b32 v0, 16, v18
	v_and_b32_e32 v45, 0xffff0000, v6
	v_dual_fmac_f32 v186, v83, v49 :: v_dual_lshlrev_b32 v75, 16, v6
	s_delay_alu instid0(VALU_DEP_3)
	v_dual_fmac_f32 v43, v81, v0 :: v_dual_and_b32 v0, 0xffff0000, v5
	global_load_b128 v[3:6], v[1:2], off offset:2560
	s_wait_loadcnt 0x0
	v_lshlrev_b32_e32 v52, 16, v3
	v_and_b32_e32 v53, 0xffff0000, v3
	v_lshlrev_b32_e32 v54, 16, v4
	v_and_b32_e32 v55, 0xffff0000, v4
	;; [unrolled: 2-line block ×4, first 2 shown]
	s_clause 0x9
	global_load_b128 v[37:40], v[1:2], off offset:3072
	global_load_b128 v[33:36], v[1:2], off offset:3584
	;; [unrolled: 1-line block ×10, first 2 shown]
	v_dual_fmac_f32 v187, v90, v53 :: v_dual_fmac_f32 v186, v91, v52
	s_wait_loadcnt 0x9
	v_and_b32_e32 v48, 0xffff0000, v37
	v_lshlrev_b32_e32 v37, 16, v37
	s_delay_alu instid0(VALU_DEP_1) | instskip(SKIP_4) | instid1(VALU_DEP_3)
	v_dual_fmac_f32 v187, v98, v48 :: v_dual_fmac_f32 v186, v99, v37
	s_wait_loadcnt 0x8
	v_dual_fmac_f32 v190, v86, v0 :: v_dual_lshlrev_b32 v37, 16, v33
	v_and_b32_e32 v0, 0xffff0000, v39
	v_and_b32_e32 v33, 0xffff0000, v33
	v_fmac_f32_e32 v186, v101, v37
	s_delay_alu instid0(VALU_DEP_2) | instskip(SKIP_3) | instid1(VALU_DEP_2)
	v_fmac_f32_e32 v187, v100, v33
	s_wait_loadcnt 0x7
	v_and_b32_e32 v33, 0xffff0000, v29
	v_lshlrev_b32_e32 v29, 16, v29
	v_fmac_f32_e32 v187, v102, v33
	s_delay_alu instid0(VALU_DEP_2) | instskip(SKIP_3) | instid1(VALU_DEP_2)
	v_fmac_f32_e32 v186, v103, v29
	s_wait_loadcnt 0x6
	v_lshlrev_b32_e32 v29, 16, v25
	v_dual_fmac_f32 v188, v84, v50 :: v_dual_and_b32 v25, 0xffff0000, v25
	v_fmac_f32_e32 v186, v105, v29
	s_delay_alu instid0(VALU_DEP_2) | instskip(SKIP_4) | instid1(VALU_DEP_3)
	v_fmac_f32_e32 v187, v104, v25
	s_wait_loadcnt 0x5
	v_and_b32_e32 v25, 0xffff0000, v21
	v_lshlrev_b32_e32 v21, 16, v21
	v_fmac_f32_e32 v189, v85, v51
	v_fmac_f32_e32 v187, v130, v25
	s_delay_alu instid0(VALU_DEP_3) | instskip(SKIP_4) | instid1(VALU_DEP_3)
	v_fmac_f32_e32 v186, v131, v21
	s_wait_loadcnt 0x4
	v_lshlrev_b32_e32 v21, 16, v17
	v_and_b32_e32 v17, 0xffff0000, v17
	v_dual_fmac_f32 v189, v93, v54 :: v_dual_fmac_f32 v44, v88, v45
	v_fmac_f32_e32 v186, v139, v21
	s_delay_alu instid0(VALU_DEP_3) | instskip(SKIP_4) | instid1(VALU_DEP_3)
	v_fmac_f32_e32 v187, v138, v17
	s_wait_loadcnt 0x3
	v_and_b32_e32 v17, 0xffff0000, v13
	v_lshlrev_b32_e32 v13, 16, v13
	v_fmac_f32_e32 v43, v89, v75
	v_fmac_f32_e32 v187, v146, v17
	s_delay_alu instid0(VALU_DEP_3) | instskip(SKIP_3) | instid1(VALU_DEP_2)
	v_fmac_f32_e32 v186, v147, v13
	s_wait_loadcnt 0x2
	v_lshlrev_b32_e32 v13, 16, v9
	v_dual_fmac_f32 v44, v96, v46 :: v_dual_and_b32 v9, 0xffff0000, v9
	v_dual_fmac_f32 v43, v97, v76 :: v_dual_fmac_f32 v186, v155, v13
	s_delay_alu instid0(VALU_DEP_2) | instskip(SKIP_4) | instid1(VALU_DEP_3)
	v_fmac_f32_e32 v187, v154, v9
	s_wait_loadcnt 0x1
	v_and_b32_e32 v9, 0xffff0000, v5
	v_dual_fmac_f32 v188, v92, v55 :: v_dual_lshlrev_b32 v5, 16, v5
	v_dual_fmac_f32 v191, v87, v47 :: v_dual_fmac_f32 v190, v94, v57
	v_fmac_f32_e32 v187, v162, v9
	s_delay_alu instid0(VALU_DEP_3) | instskip(SKIP_4) | instid1(VALU_DEP_2)
	v_fmac_f32_e32 v186, v163, v5
	s_wait_loadcnt 0x0
	v_lshlrev_b32_e32 v5, 16, v1
	v_dual_fmac_f32 v190, v114, v0 :: v_dual_and_b32 v1, 0xffff0000, v1
	v_dual_fmac_f32 v191, v95, v56 :: v_dual_lshlrev_b32 v0, 16, v35
	v_fmac_f32_e32 v187, v171, v1
	s_delay_alu instid0(VALU_DEP_4) | instskip(NEXT) | instid1(VALU_DEP_1)
	v_dual_fmac_f32 v186, v172, v5 :: v_dual_and_b32 v1, 0xffff0000, v38
	v_dual_fmac_f32 v188, v106, v1 :: v_dual_lshlrev_b32 v5, 16, v38
	v_lshlrev_b32_e32 v1, 16, v34
	s_delay_alu instid0(VALU_DEP_2) | instskip(NEXT) | instid1(VALU_DEP_1)
	v_fmac_f32_e32 v189, v107, v5
	v_fmac_f32_e32 v189, v109, v1
	v_and_b32_e32 v1, 0xffff0000, v30
	v_and_b32_e32 v5, 0xffff0000, v34
	s_delay_alu instid0(VALU_DEP_1) | instskip(NEXT) | instid1(VALU_DEP_1)
	v_dual_fmac_f32 v188, v108, v5 :: v_dual_lshlrev_b32 v5, 16, v30
	v_fmac_f32_e32 v188, v110, v1
	s_delay_alu instid0(VALU_DEP_2) | instskip(SKIP_1) | instid1(VALU_DEP_1)
	v_fmac_f32_e32 v189, v111, v5
	v_lshlrev_b32_e32 v1, 16, v26
	v_fmac_f32_e32 v189, v113, v1
	v_and_b32_e32 v1, 0xffff0000, v22
	v_and_b32_e32 v5, 0xffff0000, v26
	s_delay_alu instid0(VALU_DEP_1) | instskip(NEXT) | instid1(VALU_DEP_1)
	v_dual_fmac_f32 v188, v112, v5 :: v_dual_lshlrev_b32 v5, 16, v22
	v_fmac_f32_e32 v188, v132, v1
	s_delay_alu instid0(VALU_DEP_2) | instskip(SKIP_2) | instid1(VALU_DEP_2)
	v_fmac_f32_e32 v189, v133, v5
	v_lshlrev_b32_e32 v1, 16, v18
	v_and_b32_e32 v5, 0xffff0000, v18
	v_fmac_f32_e32 v189, v141, v1
	s_delay_alu instid0(VALU_DEP_2) | instskip(NEXT) | instid1(VALU_DEP_1)
	v_dual_fmac_f32 v188, v140, v5 :: v_dual_and_b32 v1, 0xffff0000, v14
	v_dual_fmac_f32 v188, v148, v1 :: v_dual_lshlrev_b32 v5, 16, v14
	s_delay_alu instid0(VALU_DEP_1) | instskip(SKIP_2) | instid1(VALU_DEP_2)
	v_fmac_f32_e32 v189, v149, v5
	v_lshlrev_b32_e32 v1, 16, v10
	v_and_b32_e32 v5, 0xffff0000, v10
	v_fmac_f32_e32 v189, v157, v1
	s_delay_alu instid0(VALU_DEP_2) | instskip(NEXT) | instid1(VALU_DEP_1)
	v_dual_fmac_f32 v188, v156, v5 :: v_dual_and_b32 v1, 0xffff0000, v6
	v_dual_fmac_f32 v188, v164, v1 :: v_dual_lshlrev_b32 v5, 16, v6
	s_delay_alu instid0(VALU_DEP_1) | instskip(SKIP_1) | instid1(VALU_DEP_1)
	v_fmac_f32_e32 v189, v165, v5
	v_lshlrev_b32_e32 v1, 16, v2
	v_dual_fmac_f32 v189, v174, v1 :: v_dual_and_b32 v2, 0xffff0000, v2
	s_delay_alu instid0(VALU_DEP_1) | instskip(NEXT) | instid1(VALU_DEP_1)
	v_dual_fmac_f32 v188, v173, v2 :: v_dual_lshlrev_b32 v1, 16, v39
	v_fmac_f32_e32 v191, v115, v1
	v_and_b32_e32 v1, 0xffff0000, v35
	s_delay_alu instid0(VALU_DEP_1) | instskip(SKIP_1) | instid1(VALU_DEP_1)
	v_dual_fmac_f32 v191, v117, v0 :: v_dual_fmac_f32 v190, v116, v1
	v_and_b32_e32 v0, 0xffff0000, v31
	v_dual_fmac_f32 v190, v118, v0 :: v_dual_lshlrev_b32 v1, 16, v31
	s_delay_alu instid0(VALU_DEP_1) | instskip(SKIP_1) | instid1(VALU_DEP_1)
	v_dual_fmac_f32 v191, v121, v1 :: v_dual_lshlrev_b32 v0, 16, v27
	v_and_b32_e32 v1, 0xffff0000, v27
	v_dual_fmac_f32 v191, v125, v0 :: v_dual_fmac_f32 v190, v122, v1
	v_and_b32_e32 v0, 0xffff0000, v23
	s_delay_alu instid0(VALU_DEP_1) | instskip(NEXT) | instid1(VALU_DEP_1)
	v_dual_fmac_f32 v190, v134, v0 :: v_dual_lshlrev_b32 v1, 16, v23
	v_dual_fmac_f32 v191, v135, v1 :: v_dual_lshlrev_b32 v0, 16, v19
	v_and_b32_e32 v1, 0xffff0000, v19
	s_delay_alu instid0(VALU_DEP_1) | instskip(SKIP_1) | instid1(VALU_DEP_1)
	v_dual_fmac_f32 v191, v143, v0 :: v_dual_fmac_f32 v190, v142, v1
	v_and_b32_e32 v0, 0xffff0000, v15
	v_dual_fmac_f32 v190, v150, v0 :: v_dual_lshlrev_b32 v1, 16, v15
	s_delay_alu instid0(VALU_DEP_1) | instskip(SKIP_1) | instid1(VALU_DEP_1)
	v_dual_fmac_f32 v191, v151, v1 :: v_dual_lshlrev_b32 v0, 16, v11
	v_and_b32_e32 v1, 0xffff0000, v11
	v_dual_fmac_f32 v191, v159, v0 :: v_dual_fmac_f32 v190, v158, v1
	v_and_b32_e32 v0, 0xffff0000, v7
	s_delay_alu instid0(VALU_DEP_1) | instskip(NEXT) | instid1(VALU_DEP_1)
	v_dual_fmac_f32 v190, v166, v0 :: v_dual_lshlrev_b32 v1, 16, v7
	v_dual_fmac_f32 v191, v168, v1 :: v_dual_lshlrev_b32 v0, 16, v3
	v_and_b32_e32 v1, 0xffff0000, v3
	s_delay_alu instid0(VALU_DEP_1) | instskip(SKIP_2) | instid1(VALU_DEP_1)
	v_dual_fmac_f32 v191, v176, v0 :: v_dual_fmac_f32 v190, v175, v1
	v_and_b32_e32 v0, 0xffff0000, v40
	v_lshlrev_b32_e32 v1, 16, v40
	v_dual_fmac_f32 v44, v119, v0 :: v_dual_fmac_f32 v43, v120, v1
	v_lshlrev_b32_e32 v0, 16, v36
	v_and_b32_e32 v1, 0xffff0000, v36
	s_delay_alu instid0(VALU_DEP_1) | instskip(SKIP_2) | instid1(VALU_DEP_1)
	v_dual_fmac_f32 v43, v124, v0 :: v_dual_fmac_f32 v44, v123, v1
	v_and_b32_e32 v0, 0xffff0000, v32
	v_lshlrev_b32_e32 v1, 16, v32
	v_dual_fmac_f32 v44, v126, v0 :: v_dual_fmac_f32 v43, v127, v1
	v_lshlrev_b32_e32 v0, 16, v28
	;; [unrolled: 7-line block ×5, first 2 shown]
	v_and_b32_e32 v1, 0xffff0000, v4
	s_delay_alu instid0(VALU_DEP_2) | instskip(SKIP_1) | instid1(VALU_DEP_3)
	v_fmac_f32_e32 v43, v178, v0
	v_add_f32_e32 v0, v186, v187
	v_fmac_f32_e32 v44, v177, v1
	s_delay_alu instid0(VALU_DEP_2) | instskip(NEXT) | instid1(VALU_DEP_1)
	v_add_f32_e32 v0, v0, v189
	v_add_f32_e32 v0, v188, v0
	s_delay_alu instid0(VALU_DEP_1) | instskip(NEXT) | instid1(VALU_DEP_1)
	v_add_f32_e32 v0, v191, v0
	v_add_f32_e32 v0, v190, v0
	s_delay_alu instid0(VALU_DEP_1) | instskip(NEXT) | instid1(VALU_DEP_1)
	v_add_f32_e32 v0, v43, v0
	v_add_f32_e32 v0, v44, v0
	s_delay_alu instid0(VALU_DEP_1) | instskip(SKIP_1) | instid1(VALU_DEP_1)
	v_fmac_f32_e32 v185, s9, v0
	s_wait_alu 0xf1ff
	v_cndmask_b32_e64 v0, 0, v185, s3
	ds_store_b32 v180, v0
	v_max_num_f32_e32 v0, v167, v167
	s_delay_alu instid0(VALU_DEP_1) | instskip(NEXT) | instid1(VALU_DEP_1)
	v_max_num_f32_e32 v0, v0, v185
	v_cndmask_b32_e64 v167, v167, v0, s3
	s_branch .LBB177_11
.LBB177_16:
	s_or_b32 exec_lo, exec_lo, s27
	s_clause 0x3
	scratch_load_b32 v110, off, off offset:52
	scratch_load_b32 v183, off, off offset:56
	;; [unrolled: 1-line block ×4, first 2 shown]
	v_lshlrev_b32_e32 v25, 2, v78
.LBB177_17:
	s_or_b32 exec_lo, exec_lo, s8
	v_mbcnt_lo_u32_b32 v0, -1, 0
	s_clause 0x2
	s_load_b128 s[8:11], s[0:1], 0x0
	s_load_b64 s[14:15], s[0:1], 0x10
	s_load_b64 s[28:29], s[0:1], 0x28
	v_max_num_f32_e32 v4, v167, v167
	v_xor_b32_e32 v1, 16, v0
	v_xor_b32_e32 v3, 8, v0
	s_delay_alu instid0(VALU_DEP_2) | instskip(SKIP_2) | instid1(VALU_DEP_3)
	v_cmp_gt_i32_e32 vcc_lo, 32, v1
	s_wait_alu 0xfffd
	v_cndmask_b32_e32 v1, v0, v1, vcc_lo
	v_cmp_gt_i32_e32 vcc_lo, 32, v3
	s_delay_alu instid0(VALU_DEP_2)
	v_lshlrev_b32_e32 v1, 2, v1
	s_wait_alu 0xfffd
	v_cndmask_b32_e32 v3, v0, v3, vcc_lo
	ds_bpermute_b32 v2, v1, v167
	s_wait_dscnt 0x0
	v_dual_max_num_f32 v5, v2, v2 :: v_dual_lshlrev_b32 v2, 2, v3
	s_delay_alu instid0(VALU_DEP_1)
	v_max_num_f32_e32 v3, v4, v5
	v_xor_b32_e32 v5, 4, v0
	ds_bpermute_b32 v4, v2, v3
	v_cmp_gt_i32_e32 vcc_lo, 32, v5
	s_wait_alu 0xfffd
	v_cndmask_b32_e32 v5, v0, v5, vcc_lo
	s_wait_dscnt 0x0
	v_max_num_f32_e32 v6, v4, v4
	s_delay_alu instid0(VALU_DEP_1)
	v_dual_max_num_f32 v3, v3, v6 :: v_dual_lshlrev_b32 v4, 2, v5
	v_xor_b32_e32 v6, 2, v0
	ds_bpermute_b32 v5, v4, v3
	v_cmp_gt_i32_e32 vcc_lo, 32, v6
	s_wait_dscnt 0x0
	s_wait_alu 0xfffd
	v_dual_cndmask_b32 v6, v0, v6 :: v_dual_max_num_f32 v5, v5, v5
	s_delay_alu instid0(VALU_DEP_1) | instskip(SKIP_1) | instid1(VALU_DEP_1)
	v_lshlrev_b32_e32 v80, 2, v6
	v_xor_b32_e32 v6, 1, v0
	v_cmp_gt_i32_e32 vcc_lo, 32, v6
	s_wait_alu 0xfffd
	v_dual_max_num_f32 v3, v3, v5 :: v_dual_cndmask_b32 v6, v0, v6
	ds_bpermute_b32 v5, v80, v3
	v_lshlrev_b32_e32 v79, 2, v6
	s_wait_dscnt 0x0
	v_max_num_f32_e32 v5, v5, v5
	s_delay_alu instid0(VALU_DEP_1)
	v_max_num_f32_e32 v0, v3, v5
	scratch_load_b32 v5, off, off           ; 4-byte Folded Reload
	ds_bpermute_b32 v3, v79, v0
	s_wait_loadcnt 0x0
	v_cmp_eq_u32_e32 vcc_lo, 0, v5
	v_lshlrev_b32_e32 v5, 2, v183
	s_and_saveexec_b32 s0, vcc_lo
	s_cbranch_execz .LBB177_19
; %bb.18:
	s_wait_dscnt 0x0
	v_dual_max_num_f32 v3, v3, v3 :: v_dual_max_num_f32 v0, v0, v0
	s_delay_alu instid0(VALU_DEP_1)
	v_max_num_f32_e32 v0, v0, v3
	ds_store_b32 v5, v0 offset:256
.LBB177_19:
	s_or_b32 exec_lo, exec_lo, s0
	scratch_load_b32 v0, off, off           ; 4-byte Folded Reload
	s_wait_storecnt 0x0
	s_wait_loadcnt_dscnt 0x0
	s_barrier_signal -1
	s_barrier_wait -1
	global_inv scope:SCOPE_SE
	v_cmp_gt_u32_e64 s0, 4, v0
	v_mov_b32_e32 v0, 0xff7fffff
	s_and_saveexec_b32 s1, s0
; %bb.20:
	ds_load_b32 v0, v26 offset:256
; %bb.21:
	s_or_b32 exec_lo, exec_lo, s1
	s_wait_dscnt 0x0
	ds_bpermute_b32 v3, v80, v0
	v_max_num_f32_e32 v0, v0, v0
	s_sub_co_i32 s1, s33, s37
	v_mov_b32_e32 v6, 0
	s_lshl_b32 s1, s1, 5
	s_delay_alu instid0(SALU_CYCLE_1) | instskip(NEXT) | instid1(SALU_CYCLE_1)
	s_add_co_i32 s1, s1, s34
	s_min_i32 s1, s1, s31
	s_delay_alu instid0(SALU_CYCLE_1) | instskip(SKIP_4) | instid1(VALU_DEP_1)
	s_sub_co_i32 s4, s1, s34
	s_wait_alu 0xfffe
	v_cmp_gt_i32_e64 s1, s4, v110
	s_wait_dscnt 0x0
	v_max_num_f32_e32 v3, v3, v3
	v_max_num_f32_e32 v0, v0, v3
	ds_bpermute_b32 v3, v79, v0
	s_wait_dscnt 0x0
	v_max_num_f32_e32 v3, v3, v3
	s_delay_alu instid0(VALU_DEP_1)
	v_max_num_f32_e32 v0, v0, v3
	v_lshl_add_u32 v3, v110, 2, 0x120
	ds_bpermute_b32 v0, v6, v0
	s_and_saveexec_b32 s27, s1
	s_cbranch_execz .LBB177_25
; %bb.22:
	v_lshl_add_u32 v7, v110, 2, 0x120
	v_mov_b32_e32 v6, 0
	v_mov_b32_e32 v8, v110
	s_mov_b32 s34, 0
.LBB177_23:                             ; =>This Inner Loop Header: Depth=1
	ds_load_b32 v9, v7
	v_add_nc_u32_e32 v8, 0x80, v8
	s_delay_alu instid0(VALU_DEP_1) | instskip(SKIP_4) | instid1(VALU_DEP_1)
	v_cmp_le_i32_e64 s3, s4, v8
	s_wait_alu 0xfffe
	s_or_b32 s34, s3, s34
	s_wait_dscnt 0x0
	v_sub_f32_e32 v9, v9, v0
	v_mul_f32_e32 v9, 0x3fb8aa3b, v9
	s_delay_alu instid0(VALU_DEP_1)
	v_exp_f32_e32 v9, v9
	ds_store_b32 v7, v9
	v_dual_add_f32 v6, v6, v9 :: v_dual_add_nc_u32 v7, 0x200, v7
	s_wait_alu 0xfffe
	s_and_not1_b32 exec_lo, exec_lo, s34
	s_cbranch_execnz .LBB177_23
; %bb.24:
	s_or_b32 exec_lo, exec_lo, s34
.LBB177_25:
	s_wait_alu 0xfffe
	s_or_b32 exec_lo, exec_lo, s27
	ds_bpermute_b32 v1, v1, v6
	s_wait_dscnt 0x0
	v_add_f32_e32 v1, v6, v1
	ds_bpermute_b32 v2, v2, v1
	s_wait_dscnt 0x0
	v_add_f32_e32 v1, v1, v2
	;; [unrolled: 3-line block ×5, first 2 shown]
	s_and_saveexec_b32 s3, vcc_lo
; %bb.26:
	ds_store_b32 v5, v1 offset:272
; %bb.27:
	s_wait_alu 0xfffe
	s_or_b32 exec_lo, exec_lo, s3
	s_wait_loadcnt_dscnt 0x0
	s_barrier_signal -1
	s_barrier_wait -1
	global_inv scope:SCOPE_SE
	s_and_saveexec_b32 s3, s0
; %bb.28:
	ds_load_b32 v1, v26 offset:272
; %bb.29:
	s_wait_alu 0xfffe
	s_or_b32 exec_lo, exec_lo, s3
	s_wait_dscnt 0x0
	ds_bpermute_b32 v2, v80, v1
	s_wait_dscnt 0x0
	v_add_f32_e32 v1, v1, v2
	ds_bpermute_b32 v2, v79, v1
	s_wait_dscnt 0x0
	v_dual_add_f32 v1, v1, v2 :: v_dual_mov_b32 v2, 0
	ds_bpermute_b32 v1, v2, v1
	s_and_saveexec_b32 s0, s1
	s_cbranch_execz .LBB177_32
; %bb.30:
	s_wait_dscnt 0x0
	v_add_f32_e32 v2, 0x358637bd, v1
	s_mov_b32 s1, 0
	s_delay_alu instid0(VALU_DEP_1) | instskip(SKIP_1) | instid1(VALU_DEP_2)
	v_div_scale_f32 v4, null, v2, v2, 1.0
	v_div_scale_f32 v7, vcc_lo, 1.0, v2, 1.0
	v_rcp_f32_e32 v5, v4
	s_delay_alu instid0(TRANS32_DEP_1) | instskip(NEXT) | instid1(VALU_DEP_1)
	v_fma_f32 v6, -v4, v5, 1.0
	v_fmac_f32_e32 v5, v6, v5
	s_delay_alu instid0(VALU_DEP_1) | instskip(NEXT) | instid1(VALU_DEP_1)
	v_mul_f32_e32 v6, v7, v5
	v_fma_f32 v8, -v4, v6, v7
	s_delay_alu instid0(VALU_DEP_1) | instskip(NEXT) | instid1(VALU_DEP_1)
	v_fmac_f32_e32 v6, v8, v5
	v_fma_f32 v4, -v4, v6, v7
	s_wait_alu 0xfffd
	s_delay_alu instid0(VALU_DEP_1) | instskip(NEXT) | instid1(VALU_DEP_1)
	v_div_fmas_f32 v4, v4, v5, v6
	v_div_fixup_f32 v2, v4, v2, 1.0
	v_mov_b32_e32 v4, v110
.LBB177_31:                             ; =>This Inner Loop Header: Depth=1
	ds_load_b32 v5, v3
	s_wait_dscnt 0x0
	v_dual_mul_f32 v5, v2, v5 :: v_dual_add_nc_u32 v4, 0x80, v4
	s_delay_alu instid0(VALU_DEP_1) | instskip(SKIP_3) | instid1(SALU_CYCLE_1)
	v_cmp_le_i32_e32 vcc_lo, s4, v4
	ds_store_b32 v3, v5
	v_add_nc_u32_e32 v3, 0x200, v3
	s_or_b32 s1, vcc_lo, s1
	s_and_not1_b32 exec_lo, exec_lo, s1
	s_cbranch_execnz .LBB177_31
.LBB177_32:
	s_or_b32 exec_lo, exec_lo, s0
	s_mul_i32 s0, s7, s20
	s_wait_loadcnt_dscnt 0x0
	s_mul_i32 s20, s0, s21
	s_mov_b32 s0, exec_lo
	s_barrier_signal -1
	s_barrier_wait -1
	global_inv scope:SCOPE_SE
	v_cmpx_eq_u32_e32 0, v110
	s_cbranch_execz .LBB177_34
; %bb.33:
	s_ashr_i32 s21, s20, 31
	s_mul_i32 s38, s7, ttmp9
	s_lshl_b32 s1, s30, 2
	s_lshl_b64 s[40:41], s[20:21], 2
	s_wait_alu 0xfffe
	s_ashr_i32 s39, s38, 31
	v_mov_b32_e32 v2, s1
	s_wait_kmcnt 0x0
	s_add_nc_u64 s[10:11], s[10:11], s[40:41]
	s_wait_alu 0xfffe
	s_lshl_b64 s[38:39], s[38:39], 2
	s_add_nc_u64 s[8:9], s[8:9], s[40:41]
	s_wait_alu 0xfffe
	s_add_nc_u64 s[10:11], s[10:11], s[38:39]
	s_add_nc_u64 s[8:9], s[8:9], s[38:39]
	s_clause 0x1
	global_store_b32 v2, v0, s[10:11]
	global_store_b32 v2, v1, s[8:9]
.LBB177_34:
	s_or_b32 exec_lo, exec_lo, s0
	v_dual_mov_b32 v96, 0 :: v_dual_and_b32 v81, 3, v110
	v_dual_mov_b32 v97, 0 :: v_dual_mov_b32 v94, 0
	v_dual_mov_b32 v95, 0 :: v_dual_mov_b32 v92, 0
	;; [unrolled: 1-line block ×7, first 2 shown]
	v_mov_b32_e32 v83, 0
	s_and_saveexec_b32 s1, s2
	s_cbranch_execz .LBB177_72
; %bb.35:
	s_abs_i32 s2, s6
	s_ashr_i32 s27, s26, 31
	s_wait_alu 0xfffe
	s_cvt_f32_u32 s0, s2
	v_dual_mov_b32 v83, 0 :: v_dual_and_b32 v2, 0x1f0, v10
	s_wait_kmcnt 0x0
	s_lshl_b64 s[8:9], s[24:25], 2
	s_wait_alu 0xfffe
	v_rcp_iflag_f32_e32 v0, s0
	s_lshl_b64 s[10:11], s[26:27], 1
	v_dual_mov_b32 v82, 0 :: v_dual_lshlrev_b32 v1, 3, v110
	s_add_nc_u64 s[8:9], s[22:23], s[8:9]
	s_wait_alu 0xfffe
	s_add_nc_u64 s[10:11], s[28:29], s[10:11]
	s_mov_b32 s4, s13
	s_sub_co_i32 s13, 0, s2
	s_wait_alu 0xfffe
	v_add_co_u32 v99, s10, s10, v2
	v_readfirstlane_b32 s0, v0
	v_dual_mov_b32 v85, 0 :: v_dual_lshlrev_b32 v0, 5, v81
	v_add_co_u32 v73, s8, s8, v25
	s_mul_f32 s0, s0, 0x4f7ffffe
	v_lshl_or_b32 v0, v183, 7, v0
	v_dual_mov_b32 v87, 0 :: v_dual_and_b32 v98, 24, v1
	s_wait_alu 0xfffe
	s_cvt_u32_f32 s0, s0
	v_add_co_ci_u32_e64 v100, null, s11, 0, s10
	v_add_co_ci_u32_e64 v74, null, s9, 0, s8
	s_wait_alu 0xfffe
	s_mul_i32 s13, s13, s0
	v_dual_mov_b32 v84, 0 :: v_dual_add_nc_u32 v101, 0x120, v0
	v_dual_mov_b32 v86, 0 :: v_dual_mov_b32 v89, 0
	v_dual_mov_b32 v88, 0 :: v_dual_mov_b32 v91, 0
	;; [unrolled: 1-line block ×5, first 2 shown]
	v_mov_b32_e32 v96, 0
	s_wait_alu 0xfffe
	s_mul_hi_u32 s9, s0, s13
	s_sub_co_i32 s3, s36, s5
	s_add_co_i32 s5, s35, -1
	s_mov_b32 s6, 0
	s_mov_b32 s8, s31
	s_wait_alu 0xfffe
	s_add_co_i32 s9, s0, s9
	s_branch .LBB177_38
.LBB177_36:                             ;   in Loop: Header=BB177_38 Depth=1
	s_wait_alu 0xfffe
	s_or_b32 exec_lo, exec_lo, s0
	s_wait_dscnt 0x1
	v_bfe_u32 v0, v49, 16, 1
	v_or_b32_e32 v75, 0x400000, v49
	v_bfe_u32 v76, v50, 16, 1
	v_bfe_u32 v102, v51, 16, 1
	v_cmp_u_f32_e32 vcc_lo, v49, v49
	v_add3_u32 v0, v0, v49, 0x7fff
	v_or_b32_e32 v103, 0x400000, v50
	v_or_b32_e32 v104, 0x400000, v51
	v_add3_u32 v76, v76, v50, 0x7fff
	v_add3_u32 v102, v102, v51, 0x7fff
	s_wait_alu 0xfffd
	v_cndmask_b32_e32 v0, v0, v75, vcc_lo
	v_cmp_u_f32_e32 vcc_lo, v50, v50
	s_wait_dscnt 0x0
	v_bfe_u32 v75, v45, 16, 1
	v_bfe_u32 v49, v52, 16, 1
	s_delay_alu instid0(VALU_DEP_2)
	v_add3_u32 v75, v75, v45, 0x7fff
	s_wait_alu 0xfffd
	v_cndmask_b32_e32 v50, v76, v103, vcc_lo
	v_cmp_u_f32_e32 vcc_lo, v51, v51
	v_add3_u32 v49, v49, v52, 0x7fff
	v_or_b32_e32 v76, 0x400000, v52
	v_bfe_u32 v103, v46, 16, 1
	s_wait_alu 0xfffd
	v_cndmask_b32_e32 v51, v102, v104, vcc_lo
	v_cmp_u_f32_e32 vcc_lo, v52, v52
	v_or_b32_e32 v102, 0x400000, v45
	s_wait_alu 0xfffd
	s_delay_alu instid0(VALU_DEP_3)
	v_dual_cndmask_b32 v52, v49, v76 :: v_dual_and_b32 v51, 0xffff0000, v51
	v_cmp_u_f32_e32 vcc_lo, v45, v45
	v_add3_u32 v49, v103, v46, 0x7fff
	v_or_b32_e32 v76, 0x400000, v46
	v_bfe_u32 v103, v48, 16, 1
	s_wait_alu 0xfffd
	v_cndmask_b32_e32 v75, v75, v102, vcc_lo
	v_bfe_u32 v102, v47, 16, 1
	v_cmp_u_f32_e32 vcc_lo, v46, v46
	v_and_b32_e32 v45, 0xffff0000, v50
	s_delay_alu instid0(VALU_DEP_3)
	v_add3_u32 v46, v102, v47, 0x7fff
	s_wait_alu 0xfffd
	v_cndmask_b32_e32 v76, v49, v76, vcc_lo
	v_or_b32_e32 v102, 0x400000, v47
	v_cmp_u_f32_e32 vcc_lo, v47, v47
	s_wait_loadcnt 0x1
	v_and_b32_e32 v50, 0xffff0000, v69
	v_add3_u32 v47, v103, v48, 0x7fff
	v_and_b32_e32 v49, 0xffff0000, v0
	s_wait_alu 0xfffd
	v_dual_cndmask_b32 v69, v46, v102 :: v_dual_lshlrev_b32 v0, 16, v69
	v_and_b32_e32 v46, 0xffff0000, v52
	v_and_b32_e32 v52, 0xffff0000, v70
	v_or_b32_e32 v102, 0x400000, v48
	v_cmp_u_f32_e32 vcc_lo, v48, v48
	s_delay_alu instid0(VALU_DEP_3)
	v_mul_f32_e32 v104, v46, v52
	v_lshlrev_b32_e32 v52, 16, v70
	v_mul_f32_e32 v50, v45, v50
	s_wait_alu 0xfffd
	v_cndmask_b32_e32 v48, v47, v102, vcc_lo
	v_mul_f32_e32 v0, v49, v0
	v_mul_f32_e32 v105, v51, v52
	v_bfe_u32 v103, v50, 16, 1
	v_or_b32_e32 v102, 0x400000, v50
	v_cmp_u_f32_e32 vcc_lo, v50, v50
	v_and_b32_e32 v52, 0xffff0000, v71
	v_lshlrev_b32_e32 v71, 16, v71
	v_add3_u32 v47, v103, v50, 0x7fff
	v_bfe_u32 v103, v0, 16, 1
	s_wait_alu 0xfffd
	s_delay_alu instid0(VALU_DEP_2) | instskip(NEXT) | instid1(VALU_DEP_2)
	v_dual_cndmask_b32 v70, v47, v102 :: v_dual_and_b32 v47, 0xffff0000, v76
	v_add3_u32 v50, v103, v0, 0x7fff
	v_or_b32_e32 v102, 0x400000, v0
	v_bfe_u32 v103, v104, 16, 1
	v_cmp_u_f32_e32 vcc_lo, v0, v0
	v_or_b32_e32 v76, 0x400000, v104
	v_and_b32_e32 v70, 0xffff0000, v70
	s_wait_alu 0xfffd
	v_cndmask_b32_e32 v0, v50, v102, vcc_lo
	v_add3_u32 v50, v103, v104, 0x7fff
	v_bfe_u32 v102, v105, 16, 1
	v_dual_mul_f32 v103, v47, v52 :: v_dual_and_b32 v52, 0xffff0000, v75
	v_cmp_u_f32_e32 vcc_lo, v104, v104
	s_delay_alu instid0(VALU_DEP_2)
	v_dual_mul_f32 v71, v52, v71 :: v_dual_and_b32 v104, 0xffff0000, v72
	s_wait_alu 0xfffd
	v_cndmask_b32_e32 v75, v50, v76, vcc_lo
	v_add3_u32 v50, v102, v105, 0x7fff
	v_or_b32_e32 v76, 0x400000, v105
	v_bfe_u32 v102, v103, 16, 1
	v_cmp_u_f32_e32 vcc_lo, v105, v105
	v_bfe_u32 v105, v71, 16, 1
	v_or_b32_e32 v106, 0x400000, v71
	v_and_b32_e32 v75, 0xffff0000, v75
	v_add3_u32 v102, v102, v103, 0x7fff
	s_wait_alu 0xfffd
	v_cndmask_b32_e32 v76, v50, v76, vcc_lo
	v_and_b32_e32 v50, 0xffff0000, v69
	v_lshlrev_b32_e32 v69, 16, v72
	v_or_b32_e32 v72, 0x400000, v103
	v_cmp_u_f32_e32 vcc_lo, v103, v103
	v_add3_u32 v105, v105, v71, 0x7fff
	s_delay_alu instid0(VALU_DEP_4)
	v_dual_mul_f32 v69, v50, v69 :: v_dual_and_b32 v0, 0xffff0000, v0
	v_and_b32_e32 v76, 0xffff0000, v76
	s_wait_alu 0xfffd
	v_cndmask_b32_e32 v72, v102, v72, vcc_lo
	v_cmp_u_f32_e32 vcc_lo, v71, v71
	v_add_f32_e32 v0, v0, v70
	v_bfe_u32 v103, v69, 16, 1
	s_wait_alu 0xfffd
	v_dual_add_f32 v70, v76, v75 :: v_dual_cndmask_b32 v71, v105, v106
	v_or_b32_e32 v106, 0x400000, v69
	s_delay_alu instid0(VALU_DEP_3) | instskip(SKIP_1) | instid1(VALU_DEP_4)
	v_add3_u32 v103, v103, v69, 0x7fff
	v_cmp_u_f32_e32 vcc_lo, v69, v69
	v_dual_add_f32 v0, v70, v0 :: v_dual_and_b32 v71, 0xffff0000, v71
	s_wait_alu 0xfffd
	s_delay_alu instid0(VALU_DEP_3) | instskip(NEXT) | instid1(VALU_DEP_1)
	v_dual_cndmask_b32 v69, v103, v106 :: v_dual_and_b32 v72, 0xffff0000, v72
	v_dual_add_f32 v70, v71, v72 :: v_dual_and_b32 v71, 0xffff0000, v65
	v_and_b32_e32 v48, 0xffff0000, v48
	v_lshlrev_b32_e32 v65, 16, v65
	s_delay_alu instid0(VALU_DEP_3) | instskip(NEXT) | instid1(VALU_DEP_4)
	v_dual_add_f32 v0, v70, v0 :: v_dual_and_b32 v69, 0xffff0000, v69
	v_dual_mul_f32 v71, v45, v71 :: v_dual_and_b32 v70, 0xffff0000, v66
	s_delay_alu instid0(VALU_DEP_3) | instskip(SKIP_1) | instid1(VALU_DEP_2)
	v_dual_mul_f32 v65, v49, v65 :: v_dual_mul_f32 v104, v48, v104
	v_lshlrev_b32_e32 v66, 16, v66
	v_or_b32_e32 v76, 0x400000, v65
	s_delay_alu instid0(VALU_DEP_3) | instskip(SKIP_3) | instid1(VALU_DEP_4)
	v_bfe_u32 v107, v104, 16, 1
	v_or_b32_e32 v105, 0x400000, v104
	v_cmp_u_f32_e32 vcc_lo, v104, v104
	v_mul_f32_e32 v66, v51, v66
	v_add3_u32 v102, v107, v104, 0x7fff
	s_wait_alu 0xfffd
	s_delay_alu instid0(VALU_DEP_1) | instskip(SKIP_1) | instid1(VALU_DEP_2)
	v_cndmask_b32_e32 v75, v102, v105, vcc_lo
	v_cmp_u_f32_e32 vcc_lo, v71, v71
	v_and_b32_e32 v72, 0xffff0000, v75
	v_bfe_u32 v75, v65, 16, 1
	s_delay_alu instid0(VALU_DEP_2) | instskip(SKIP_1) | instid1(VALU_DEP_3)
	v_add_f32_e32 v69, v69, v72
	v_bfe_u32 v72, v71, 16, 1
	v_add3_u32 v75, v75, v65, 0x7fff
	s_delay_alu instid0(VALU_DEP_3) | instskip(NEXT) | instid1(VALU_DEP_3)
	v_dual_add_f32 v0, v69, v0 :: v_dual_mul_f32 v69, v46, v70
	v_add3_u32 v70, v72, v71, 0x7fff
	v_or_b32_e32 v72, 0x400000, v71
	s_delay_alu instid0(VALU_DEP_3) | instskip(SKIP_1) | instid1(VALU_DEP_2)
	v_bfe_u32 v102, v69, 16, 1
	s_wait_alu 0xfffd
	v_cndmask_b32_e32 v70, v70, v72, vcc_lo
	v_cmp_u_f32_e32 vcc_lo, v65, v65
	v_or_b32_e32 v72, 0x400000, v69
	v_add3_u32 v71, v102, v69, 0x7fff
	s_wait_alu 0xfffd
	v_cndmask_b32_e32 v65, v75, v76, vcc_lo
	v_and_b32_e32 v75, 0xffff0000, v67
	v_bfe_u32 v76, v66, 16, 1
	v_cmp_u_f32_e32 vcc_lo, v69, v69
	v_lshlrev_b32_e32 v67, 16, v67
	v_and_b32_e32 v65, 0xffff0000, v65
	s_wait_alu 0xfffd
	v_cndmask_b32_e32 v69, v71, v72, vcc_lo
	v_mul_f32_e32 v71, v47, v75
	v_add3_u32 v72, v76, v66, 0x7fff
	v_or_b32_e32 v75, 0x400000, v66
	v_cmp_u_f32_e32 vcc_lo, v66, v66
	v_mul_f32_e32 v67, v52, v67
	v_bfe_u32 v102, v71, 16, 1
	v_and_b32_e32 v69, 0xffff0000, v69
	v_and_b32_e32 v70, 0xffff0000, v70
	s_wait_alu 0xfffd
	v_cndmask_b32_e32 v66, v72, v75, vcc_lo
	v_and_b32_e32 v76, 0xffff0000, v68
	v_bfe_u32 v103, v67, 16, 1
	v_add3_u32 v75, v102, v71, 0x7fff
	v_cmp_u_f32_e32 vcc_lo, v71, v71
	v_and_b32_e32 v66, 0xffff0000, v66
	v_add_f32_e32 v65, v65, v70
	v_add3_u32 v102, v103, v67, 0x7fff
	v_or_b32_e32 v103, 0x400000, v67
	s_delay_alu instid0(VALU_DEP_4)
	v_add_f32_e32 v66, v66, v69
	v_mul_f32_e32 v72, v48, v76
	v_or_b32_e32 v76, 0x400000, v71
	v_and_b32_e32 v69, 0xffff0000, v61
	v_lshlrev_b32_e32 v61, 16, v61
	v_add_f32_e32 v65, v66, v65
	v_bfe_u32 v104, v72, 16, 1
	s_wait_alu 0xfffd
	v_cndmask_b32_e32 v71, v75, v76, vcc_lo
	v_cmp_u_f32_e32 vcc_lo, v67, v67
	v_or_b32_e32 v76, 0x400000, v72
	v_mul_f32_e32 v61, v49, v61
	v_add3_u32 v75, v104, v72, 0x7fff
	s_wait_alu 0xfffd
	v_cndmask_b32_e32 v67, v102, v103, vcc_lo
	v_cmp_u_f32_e32 vcc_lo, v72, v72
	v_add_f32_e32 v83, v83, v0
	s_wait_alu 0xfffd
	s_delay_alu instid0(VALU_DEP_3) | instskip(SKIP_2) | instid1(VALU_DEP_1)
	v_dual_cndmask_b32 v72, v75, v76 :: v_dual_and_b32 v67, 0xffff0000, v67
	v_and_b32_e32 v76, 0xffff0000, v64
	v_and_b32_e32 v70, 0xffff0000, v71
	v_dual_add_f32 v67, v67, v70 :: v_dual_lshlrev_b32 v68, 16, v68
	s_delay_alu instid0(VALU_DEP_1) | instskip(NEXT) | instid1(VALU_DEP_1)
	v_dual_mul_f32 v68, v50, v68 :: v_dual_add_f32 v65, v67, v65
	v_bfe_u32 v75, v68, 16, 1
	v_cmp_u_f32_e32 vcc_lo, v68, v68
	v_and_b32_e32 v67, 0xffff0000, v62
	s_delay_alu instid0(VALU_DEP_3) | instskip(SKIP_1) | instid1(VALU_DEP_3)
	v_add3_u32 v71, v75, v68, 0x7fff
	v_or_b32_e32 v75, 0x400000, v68
	v_mul_f32_e32 v67, v46, v67
	s_wait_alu 0xfffd
	s_delay_alu instid0(VALU_DEP_2) | instskip(SKIP_3) | instid1(VALU_DEP_3)
	v_cndmask_b32_e32 v68, v71, v75, vcc_lo
	v_dual_mul_f32 v66, v45, v69 :: v_dual_and_b32 v75, 0xffff0000, v63
	v_bfe_u32 v71, v61, 16, 1
	v_lshlrev_b32_e32 v63, 16, v63
	v_dual_mul_f32 v75, v47, v75 :: v_dual_lshlrev_b32 v62, 16, v62
	s_delay_alu instid0(VALU_DEP_4) | instskip(SKIP_3) | instid1(VALU_DEP_4)
	v_bfe_u32 v69, v66, 16, 1
	v_or_b32_e32 v70, 0x400000, v66
	v_cmp_u_f32_e32 vcc_lo, v66, v66
	v_mul_f32_e32 v63, v52, v63
	v_add3_u32 v69, v69, v66, 0x7fff
	s_delay_alu instid0(VALU_DEP_2) | instskip(SKIP_1) | instid1(VALU_DEP_2)
	v_or_b32_e32 v102, 0x400000, v63
	s_wait_alu 0xfffd
	v_cndmask_b32_e32 v66, v69, v70, vcc_lo
	v_add3_u32 v69, v71, v61, 0x7fff
	v_or_b32_e32 v70, 0x400000, v61
	v_cmp_u_f32_e32 vcc_lo, v61, v61
	v_bfe_u32 v71, v67, 16, 1
	s_wait_alu 0xfffd
	s_delay_alu instid0(VALU_DEP_3) | instskip(SKIP_1) | instid1(VALU_DEP_3)
	v_cndmask_b32_e32 v61, v69, v70, vcc_lo
	v_mul_f32_e32 v62, v51, v62
	v_add3_u32 v69, v71, v67, 0x7fff
	v_or_b32_e32 v70, 0x400000, v67
	v_cmp_u_f32_e32 vcc_lo, v67, v67
	v_and_b32_e32 v61, 0xffff0000, v61
	v_bfe_u32 v71, v62, 16, 1
	s_wait_alu 0xfffd
	v_dual_cndmask_b32 v67, v69, v70 :: v_dual_and_b32 v68, 0xffff0000, v68
	v_or_b32_e32 v70, 0x400000, v62
	s_delay_alu instid0(VALU_DEP_3) | instskip(SKIP_3) | instid1(VALU_DEP_3)
	v_add3_u32 v69, v71, v62, 0x7fff
	v_cmp_u_f32_e32 vcc_lo, v62, v62
	v_bfe_u32 v71, v75, 16, 1
	s_wait_alu 0xfffd
	v_dual_cndmask_b32 v62, v69, v70 :: v_dual_and_b32 v67, 0xffff0000, v67
	v_bfe_u32 v69, v63, 16, 1
	s_delay_alu instid0(VALU_DEP_3)
	v_add3_u32 v70, v71, v75, 0x7fff
	v_mul_f32_e32 v71, v48, v76
	v_or_b32_e32 v76, 0x400000, v75
	v_cmp_u_f32_e32 vcc_lo, v75, v75
	v_and_b32_e32 v62, 0xffff0000, v62
	v_add3_u32 v69, v69, v63, 0x7fff
	v_bfe_u32 v103, v71, 16, 1
	s_wait_alu 0xfffd
	v_cndmask_b32_e32 v70, v70, v76, vcc_lo
	v_cmp_u_f32_e32 vcc_lo, v63, v63
	v_add_f32_e32 v62, v62, v67
	v_and_b32_e32 v66, 0xffff0000, v66
	s_wait_alu 0xfffd
	v_dual_cndmask_b32 v63, v69, v102 :: v_dual_lshlrev_b32 v64, 16, v64
	v_add3_u32 v69, v103, v71, 0x7fff
	s_delay_alu instid0(VALU_DEP_2) | instskip(SKIP_1) | instid1(VALU_DEP_4)
	v_dual_add_f32 v61, v61, v66 :: v_dual_mul_f32 v64, v50, v64
	v_or_b32_e32 v102, 0x400000, v71
	v_and_b32_e32 v63, 0xffff0000, v63
	s_delay_alu instid0(VALU_DEP_3) | instskip(SKIP_2) | instid1(VALU_DEP_3)
	v_bfe_u32 v104, v64, 16, 1
	v_or_b32_e32 v76, 0x400000, v64
	v_cmp_u_f32_e32 vcc_lo, v64, v64
	v_add3_u32 v75, v104, v64, 0x7fff
	s_wait_alu 0xfffd
	s_delay_alu instid0(VALU_DEP_1)
	v_cndmask_b32_e32 v64, v75, v76, vcc_lo
	v_cmp_u_f32_e32 vcc_lo, v71, v71
	s_wait_alu 0xfffd
	v_cndmask_b32_e32 v67, v69, v102, vcc_lo
	v_and_b32_e32 v69, 0xffff0000, v72
	v_dual_add_f32 v61, v62, v61 :: v_dual_and_b32 v66, 0xffff0000, v70
	s_delay_alu instid0(VALU_DEP_1) | instskip(SKIP_3) | instid1(VALU_DEP_4)
	v_add_f32_e32 v62, v63, v66
	v_and_b32_e32 v66, 0xffff0000, v57
	v_lshlrev_b32_e32 v57, 16, v57
	v_and_b32_e32 v63, 0xffff0000, v64
	v_dual_add_f32 v61, v62, v61 :: v_dual_and_b32 v64, 0xffff0000, v67
	v_add_f32_e32 v67, v68, v69
	s_delay_alu instid0(VALU_DEP_2) | instskip(NEXT) | instid1(VALU_DEP_1)
	v_dual_mul_f32 v57, v49, v57 :: v_dual_add_f32 v62, v63, v64
	v_dual_mul_f32 v63, v45, v66 :: v_dual_add_f32 v0, v62, v61
	s_delay_alu instid0(VALU_DEP_1) | instskip(NEXT) | instid1(VALU_DEP_4)
	v_bfe_u32 v61, v63, 16, 1
	v_add_f32_e32 v64, v67, v65
	s_delay_alu instid0(VALU_DEP_4)
	v_bfe_u32 v62, v57, 16, 1
	v_cmp_u_f32_e32 vcc_lo, v63, v63
	v_add_f32_e32 v85, v85, v0
	v_add3_u32 v0, v61, v63, 0x7fff
	v_or_b32_e32 v61, 0x400000, v63
	v_add3_u32 v62, v62, v57, 0x7fff
	v_or_b32_e32 v65, 0x400000, v57
	s_wait_alu 0xfffd
	s_delay_alu instid0(VALU_DEP_3)
	v_cndmask_b32_e32 v0, v0, v61, vcc_lo
	v_cmp_u_f32_e32 vcc_lo, v57, v57
	v_add_f32_e32 v84, v84, v64
	v_and_b32_e32 v64, 0xffff0000, v58
	v_lshlrev_b32_e32 v58, 16, v58
	s_wait_alu 0xfffd
	v_dual_cndmask_b32 v57, v62, v65 :: v_dual_and_b32 v0, 0xffff0000, v0
	v_and_b32_e32 v62, 0xffff0000, v59
	v_dual_mul_f32 v64, v46, v64 :: v_dual_lshlrev_b32 v59, 16, v59
	s_delay_alu instid0(VALU_DEP_3) | instskip(NEXT) | instid1(VALU_DEP_2)
	v_dual_mul_f32 v58, v51, v58 :: v_dual_and_b32 v57, 0xffff0000, v57
	v_mul_f32_e32 v59, v52, v59
	s_delay_alu instid0(VALU_DEP_3) | instskip(SKIP_1) | instid1(VALU_DEP_4)
	v_bfe_u32 v61, v64, 16, 1
	v_or_b32_e32 v63, 0x400000, v64
	v_bfe_u32 v65, v58, 16, 1
	v_cmp_u_f32_e32 vcc_lo, v64, v64
	v_bfe_u32 v67, v59, 16, 1
	v_add3_u32 v61, v61, v64, 0x7fff
	v_or_b32_e32 v64, 0x400000, v58
	v_add_f32_e32 v0, v57, v0
	s_wait_alu 0xfffd
	s_delay_alu instid0(VALU_DEP_3) | instskip(SKIP_2) | instid1(VALU_DEP_3)
	v_dual_cndmask_b32 v61, v61, v63 :: v_dual_mul_f32 v62, v47, v62
	v_add3_u32 v63, v65, v58, 0x7fff
	v_cmp_u_f32_e32 vcc_lo, v58, v58
	v_and_b32_e32 v61, 0xffff0000, v61
	s_delay_alu instid0(VALU_DEP_4) | instskip(SKIP_3) | instid1(VALU_DEP_3)
	v_bfe_u32 v65, v62, 16, 1
	s_wait_alu 0xfffd
	v_cndmask_b32_e32 v58, v63, v64, vcc_lo
	v_cmp_u_f32_e32 vcc_lo, v62, v62
	v_add3_u32 v63, v65, v62, 0x7fff
	v_or_b32_e32 v65, 0x400000, v62
	s_delay_alu instid0(VALU_DEP_4) | instskip(SKIP_2) | instid1(VALU_DEP_3)
	v_and_b32_e32 v58, 0xffff0000, v58
	v_and_b32_e32 v66, 0xffff0000, v60
	s_wait_alu 0xfffd
	v_cndmask_b32_e32 v62, v63, v65, vcc_lo
	v_cmp_u_f32_e32 vcc_lo, v59, v59
	s_delay_alu instid0(VALU_DEP_3) | instskip(SKIP_3) | instid1(VALU_DEP_1)
	v_dual_add_f32 v57, v58, v61 :: v_dual_mul_f32 v64, v48, v66
	v_add3_u32 v66, v67, v59, 0x7fff
	v_or_b32_e32 v67, 0x400000, v59
	s_wait_alu 0xfffd
	v_cndmask_b32_e32 v59, v66, v67, vcc_lo
	s_delay_alu instid0(VALU_DEP_1) | instskip(SKIP_4) | instid1(VALU_DEP_4)
	v_and_b32_e32 v58, 0xffff0000, v59
	v_and_b32_e32 v59, 0xffff0000, v53
	v_lshlrev_b32_e32 v53, 16, v53
	v_lshlrev_b32_e32 v60, 16, v60
	v_add_f32_e32 v0, v57, v0
	v_mul_f32_e32 v57, v45, v59
	v_bfe_u32 v68, v64, 16, 1
	s_delay_alu instid0(VALU_DEP_4) | instskip(SKIP_2) | instid1(VALU_DEP_4)
	v_dual_mul_f32 v53, v49, v53 :: v_dual_mul_f32 v60, v50, v60
	v_or_b32_e32 v65, 0x400000, v64
	v_cmp_u_f32_e32 vcc_lo, v64, v64
	v_add3_u32 v63, v68, v64, 0x7fff
	s_delay_alu instid0(VALU_DEP_4) | instskip(SKIP_1) | instid1(VALU_DEP_2)
	v_bfe_u32 v66, v60, 16, 1
	s_wait_alu 0xfffd
	v_cndmask_b32_e32 v63, v63, v65, vcc_lo
	v_or_b32_e32 v65, 0x400000, v60
	s_delay_alu instid0(VALU_DEP_3) | instskip(SKIP_2) | instid1(VALU_DEP_2)
	v_add3_u32 v64, v66, v60, 0x7fff
	v_cmp_u_f32_e32 vcc_lo, v60, v60
	s_wait_alu 0xfffd
	v_cndmask_b32_e32 v60, v64, v65, vcc_lo
	v_cmp_u_f32_e32 vcc_lo, v57, v57
	s_delay_alu instid0(VALU_DEP_2)
	v_and_b32_e32 v59, 0xffff0000, v60
	v_and_b32_e32 v61, 0xffff0000, v62
	;; [unrolled: 1-line block ×4, first 2 shown]
	v_lshlrev_b32_e32 v55, 16, v55
	v_bfe_u32 v62, v53, 16, 1
	v_add_f32_e32 v58, v58, v61
	v_bfe_u32 v61, v57, 16, 1
	v_add_f32_e32 v59, v59, v60
	v_mul_f32_e32 v55, v52, v55
	v_mul_f32_e32 v63, v47, v63
	s_delay_alu instid0(VALU_DEP_4) | instskip(SKIP_1) | instid1(VALU_DEP_4)
	v_add3_u32 v60, v61, v57, 0x7fff
	v_or_b32_e32 v61, 0x400000, v57
	v_or_b32_e32 v65, 0x400000, v55
	s_wait_alu 0xfffd
	s_delay_alu instid0(VALU_DEP_2) | instskip(SKIP_3) | instid1(VALU_DEP_4)
	v_dual_add_f32 v0, v58, v0 :: v_dual_cndmask_b32 v57, v60, v61
	v_add3_u32 v60, v62, v53, 0x7fff
	v_or_b32_e32 v61, 0x400000, v53
	v_cmp_u_f32_e32 vcc_lo, v53, v53
	v_and_b32_e32 v57, 0xffff0000, v57
	s_wait_alu 0xfffd
	s_delay_alu instid0(VALU_DEP_3) | instskip(NEXT) | instid1(VALU_DEP_1)
	v_cndmask_b32_e32 v53, v60, v61, vcc_lo
	v_and_b32_e32 v53, 0xffff0000, v53
	v_and_b32_e32 v58, 0xffff0000, v54
	s_delay_alu instid0(VALU_DEP_2) | instskip(NEXT) | instid1(VALU_DEP_2)
	v_dual_add_f32 v53, v53, v57 :: v_dual_lshlrev_b32 v54, 16, v54
	v_mul_f32_e32 v58, v46, v58
	s_delay_alu instid0(VALU_DEP_2) | instskip(NEXT) | instid1(VALU_DEP_2)
	v_mul_f32_e32 v54, v51, v54
	v_bfe_u32 v62, v58, 16, 1
	v_or_b32_e32 v61, 0x400000, v58
	v_cmp_u_f32_e32 vcc_lo, v58, v58
	s_delay_alu instid0(VALU_DEP_3) | instskip(SKIP_2) | instid1(VALU_DEP_2)
	v_add3_u32 v60, v62, v58, 0x7fff
	v_bfe_u32 v62, v54, 16, 1
	s_wait_alu 0xfffd
	v_cndmask_b32_e32 v58, v60, v61, vcc_lo
	s_delay_alu instid0(VALU_DEP_2)
	v_add3_u32 v60, v62, v54, 0x7fff
	v_or_b32_e32 v61, 0x400000, v54
	v_cmp_u_f32_e32 vcc_lo, v54, v54
	v_bfe_u32 v62, v63, 16, 1
	v_and_b32_e32 v58, 0xffff0000, v58
	s_wait_alu 0xfffd
	v_cndmask_b32_e32 v54, v60, v61, vcc_lo
	v_bfe_u32 v60, v55, 16, 1
	v_add3_u32 v61, v62, v63, 0x7fff
	v_cmp_u_f32_e32 vcc_lo, v63, v63
	s_delay_alu instid0(VALU_DEP_4) | instskip(NEXT) | instid1(VALU_DEP_4)
	v_and_b32_e32 v54, 0xffff0000, v54
	v_add3_u32 v60, v60, v55, 0x7fff
	s_delay_alu instid0(VALU_DEP_2) | instskip(NEXT) | instid1(VALU_DEP_1)
	v_add_f32_e32 v54, v54, v58
	v_dual_add_f32 v53, v54, v53 :: v_dual_and_b32 v64, 0xffff0000, v56
	s_delay_alu instid0(VALU_DEP_1) | instskip(SKIP_2) | instid1(VALU_DEP_1)
	v_mul_f32_e32 v62, v48, v64
	v_or_b32_e32 v64, 0x400000, v63
	s_wait_alu 0xfffd
	v_cndmask_b32_e32 v61, v61, v64, vcc_lo
	v_cmp_u_f32_e32 vcc_lo, v55, v55
	s_delay_alu instid0(VALU_DEP_2) | instskip(SKIP_2) | instid1(VALU_DEP_1)
	v_and_b32_e32 v57, 0xffff0000, v61
	s_wait_alu 0xfffd
	v_cndmask_b32_e32 v55, v60, v65, vcc_lo
	v_and_b32_e32 v55, 0xffff0000, v55
	s_delay_alu instid0(VALU_DEP_1)
	v_add_f32_e32 v54, v55, v57
	v_lshlrev_b32_e32 v56, 16, v56
	v_and_b32_e32 v55, 0xffff0000, v41
	v_lshlrev_b32_e32 v41, 16, v41
	v_bfe_u32 v66, v62, 16, 1
	v_add_f32_e32 v53, v54, v53
	v_mul_f32_e32 v56, v50, v56
	v_or_b32_e32 v64, 0x400000, v62
	v_mul_f32_e32 v55, v45, v55
	v_add3_u32 v60, v66, v62, 0x7fff
	v_mul_f32_e32 v41, v49, v41
	v_bfe_u32 v63, v56, 16, 1
	v_or_b32_e32 v65, 0x400000, v56
	v_cmp_u_f32_e32 vcc_lo, v56, v56
	s_delay_alu instid0(VALU_DEP_3) | instskip(SKIP_1) | instid1(VALU_DEP_1)
	v_add3_u32 v63, v63, v56, 0x7fff
	s_wait_alu 0xfffd
	v_cndmask_b32_e32 v56, v63, v65, vcc_lo
	v_cmp_u_f32_e32 vcc_lo, v62, v62
	s_delay_alu instid0(VALU_DEP_2) | instskip(SKIP_3) | instid1(VALU_DEP_2)
	v_and_b32_e32 v56, 0xffff0000, v56
	s_wait_alu 0xfffd
	v_cndmask_b32_e32 v58, v60, v64, vcc_lo
	v_cmp_u_f32_e32 vcc_lo, v55, v55
	v_and_b32_e32 v57, 0xffff0000, v58
	v_or_b32_e32 v58, 0x400000, v41
	s_delay_alu instid0(VALU_DEP_2) | instskip(SKIP_2) | instid1(VALU_DEP_3)
	v_add_f32_e32 v54, v56, v57
	v_and_b32_e32 v56, 0xffff0000, v42
	v_bfe_u32 v57, v55, 16, 1
	v_dual_add_f32 v53, v54, v53 :: v_dual_lshlrev_b32 v42, 16, v42
	s_delay_alu instid0(VALU_DEP_3) | instskip(NEXT) | instid1(VALU_DEP_3)
	v_mul_f32_e32 v54, v46, v56
	v_add3_u32 v56, v57, v55, 0x7fff
	v_or_b32_e32 v57, 0x400000, v55
	v_add_f32_e32 v0, v59, v0
	v_add_f32_e32 v87, v87, v53
	s_wait_alu 0xfffd
	s_delay_alu instid0(VALU_DEP_2) | instskip(SKIP_3) | instid1(VALU_DEP_4)
	v_dual_cndmask_b32 v55, v56, v57 :: v_dual_add_f32 v86, v86, v0
	v_bfe_u32 v0, v41, 16, 1
	v_cmp_u_f32_e32 vcc_lo, v41, v41
	v_and_b32_e32 v57, 0xffff0000, v43
	v_and_b32_e32 v55, 0xffff0000, v55
	v_bfe_u32 v59, v54, 16, 1
	v_add3_u32 v0, v0, v41, 0x7fff
	v_mul_f32_e32 v41, v51, v42
	v_or_b32_e32 v56, 0x400000, v54
	v_lshlrev_b32_e32 v43, 16, v43
	v_add3_u32 v42, v59, v54, 0x7fff
	s_wait_alu 0xfffd
	v_cndmask_b32_e32 v0, v0, v58, vcc_lo
	v_cmp_u_f32_e32 vcc_lo, v54, v54
	v_bfe_u32 v58, v41, 16, 1
	s_wait_alu 0xfffd
	v_dual_mul_f32 v43, v52, v43 :: v_dual_cndmask_b32 v42, v42, v56
	s_delay_alu instid0(VALU_DEP_2) | instskip(SKIP_2) | instid1(VALU_DEP_4)
	v_add3_u32 v56, v58, v41, 0x7fff
	v_cmp_u_f32_e32 vcc_lo, v41, v41
	v_and_b32_e32 v58, 0xffff0000, v44
	v_bfe_u32 v60, v43, 16, 1
	v_and_b32_e32 v42, 0xffff0000, v42
	v_mul_f32_e32 v54, v47, v57
	v_or_b32_e32 v57, 0x400000, v41
	s_wait_alu 0xfffd
	s_delay_alu instid0(VALU_DEP_1) | instskip(SKIP_1) | instid1(VALU_DEP_2)
	v_dual_cndmask_b32 v41, v56, v57 :: v_dual_lshlrev_b32 v44, 16, v44
	v_mul_f32_e32 v56, v48, v58
	v_dual_mul_f32 v44, v50, v44 :: v_dual_and_b32 v41, 0xffff0000, v41
	s_delay_alu instid0(VALU_DEP_1) | instskip(SKIP_3) | instid1(VALU_DEP_4)
	v_dual_add_f32 v41, v41, v42 :: v_dual_and_b32 v0, 0xffff0000, v0
	v_bfe_u32 v59, v54, 16, 1
	v_or_b32_e32 v58, 0x400000, v54
	v_cmp_u_f32_e32 vcc_lo, v54, v54
	v_add_f32_e32 v0, v0, v55
	s_delay_alu instid0(VALU_DEP_4) | instskip(SKIP_3) | instid1(VALU_DEP_3)
	v_add3_u32 v57, v59, v54, 0x7fff
	v_add3_u32 v59, v60, v43, 0x7fff
	v_or_b32_e32 v60, 0x400000, v43
	s_wait_alu 0xfffd
	v_cndmask_b32_e32 v54, v57, v58, vcc_lo
	v_cmp_u_f32_e32 vcc_lo, v43, v43
	s_wait_alu 0xfffd
	v_cndmask_b32_e32 v43, v59, v60, vcc_lo
	s_delay_alu instid0(VALU_DEP_1)
	v_and_b32_e32 v42, 0xffff0000, v43
	v_and_b32_e32 v43, 0xffff0000, v37
	v_lshlrev_b32_e32 v37, 16, v37
	v_bfe_u32 v61, v56, 16, 1
	v_or_b32_e32 v58, 0x400000, v56
	v_cmp_u_f32_e32 vcc_lo, v56, v56
	s_delay_alu instid0(VALU_DEP_4) | instskip(NEXT) | instid1(VALU_DEP_4)
	v_mul_f32_e32 v37, v49, v37
	v_add3_u32 v57, v61, v56, 0x7fff
	s_wait_alu 0xfffd
	s_delay_alu instid0(VALU_DEP_1)
	v_cndmask_b32_e32 v56, v57, v58, vcc_lo
	v_bfe_u32 v57, v44, 16, 1
	v_cmp_u_f32_e32 vcc_lo, v44, v44
	v_and_b32_e32 v58, 0xffff0000, v40
	v_add_f32_e32 v0, v41, v0
	v_mul_f32_e32 v41, v45, v43
	v_add3_u32 v55, v57, v44, 0x7fff
	v_or_b32_e32 v57, 0x400000, v44
	s_delay_alu instid0(VALU_DEP_3) | instskip(SKIP_1) | instid1(VALU_DEP_2)
	v_bfe_u32 v44, v41, 16, 1
	s_wait_alu 0xfffd
	v_cndmask_b32_e32 v43, v55, v57, vcc_lo
	v_and_b32_e32 v57, 0xffff0000, v39
	v_lshlrev_b32_e32 v39, 16, v39
	v_add3_u32 v44, v44, v41, 0x7fff
	v_bfe_u32 v55, v37, 16, 1
	v_and_b32_e32 v43, 0xffff0000, v43
	v_cmp_u_f32_e32 vcc_lo, v41, v41
	v_mul_f32_e32 v39, v52, v39
	v_mul_f32_e32 v57, v47, v57
	s_delay_alu instid0(VALU_DEP_2) | instskip(SKIP_1) | instid1(VALU_DEP_1)
	v_or_b32_e32 v59, 0x400000, v39
	v_and_b32_e32 v54, 0xffff0000, v54
	v_add_f32_e32 v42, v42, v54
	v_or_b32_e32 v54, 0x400000, v41
	s_wait_alu 0xfffd
	s_delay_alu instid0(VALU_DEP_1) | instskip(SKIP_3) | instid1(VALU_DEP_4)
	v_cndmask_b32_e32 v41, v44, v54, vcc_lo
	v_add3_u32 v44, v55, v37, 0x7fff
	v_or_b32_e32 v54, 0x400000, v37
	v_cmp_u_f32_e32 vcc_lo, v37, v37
	v_and_b32_e32 v41, 0xffff0000, v41
	s_wait_alu 0xfffd
	s_delay_alu instid0(VALU_DEP_3) | instskip(NEXT) | instid1(VALU_DEP_1)
	v_cndmask_b32_e32 v37, v44, v54, vcc_lo
	v_dual_add_f32 v0, v42, v0 :: v_dual_and_b32 v37, 0xffff0000, v37
	s_delay_alu instid0(VALU_DEP_1) | instskip(SKIP_1) | instid1(VALU_DEP_2)
	v_dual_add_f32 v37, v37, v41 :: v_dual_and_b32 v42, 0xffff0000, v38
	v_lshlrev_b32_e32 v38, 16, v38
	v_mul_f32_e32 v42, v46, v42
	s_delay_alu instid0(VALU_DEP_2) | instskip(NEXT) | instid1(VALU_DEP_2)
	v_mul_f32_e32 v38, v51, v38
	v_bfe_u32 v55, v42, 16, 1
	v_or_b32_e32 v54, 0x400000, v42
	v_cmp_u_f32_e32 vcc_lo, v42, v42
	s_delay_alu instid0(VALU_DEP_3) | instskip(SKIP_2) | instid1(VALU_DEP_2)
	v_add3_u32 v44, v55, v42, 0x7fff
	v_bfe_u32 v55, v38, 16, 1
	s_wait_alu 0xfffd
	v_cndmask_b32_e32 v42, v44, v54, vcc_lo
	s_delay_alu instid0(VALU_DEP_2)
	v_add3_u32 v44, v55, v38, 0x7fff
	v_or_b32_e32 v54, 0x400000, v38
	v_bfe_u32 v55, v57, 16, 1
	v_cmp_u_f32_e32 vcc_lo, v38, v38
	v_and_b32_e32 v42, 0xffff0000, v42
	s_wait_alu 0xfffd
	v_cndmask_b32_e32 v38, v44, v54, vcc_lo
	v_bfe_u32 v44, v39, 16, 1
	v_add3_u32 v54, v55, v57, 0x7fff
	v_mul_f32_e32 v55, v48, v58
	v_or_b32_e32 v58, 0x400000, v57
	v_cmp_u_f32_e32 vcc_lo, v57, v57
	v_add3_u32 v44, v44, v39, 0x7fff
	v_and_b32_e32 v38, 0xffff0000, v38
	v_bfe_u32 v60, v55, 16, 1
	s_wait_alu 0xfffd
	v_cndmask_b32_e32 v54, v54, v58, vcc_lo
	v_cmp_u_f32_e32 vcc_lo, v39, v39
	s_wait_alu 0xfffd
	v_dual_add_f32 v38, v38, v42 :: v_dual_cndmask_b32 v39, v44, v59
	v_add3_u32 v44, v60, v55, 0x7fff
	v_or_b32_e32 v59, 0x400000, v55
	v_and_b32_e32 v41, 0xffff0000, v54
	s_delay_alu instid0(VALU_DEP_4) | instskip(SKIP_1) | instid1(VALU_DEP_1)
	v_add_f32_e32 v37, v38, v37
	v_and_b32_e32 v39, 0xffff0000, v39
	v_add_f32_e32 v38, v39, v41
	v_and_b32_e32 v41, 0xffff0000, v33
	v_lshlrev_b32_e32 v33, 16, v33
	s_delay_alu instid0(VALU_DEP_3) | instskip(NEXT) | instid1(VALU_DEP_1)
	v_dual_add_f32 v37, v38, v37 :: v_dual_lshlrev_b32 v40, 16, v40
	v_dual_mul_f32 v33, v49, v33 :: v_dual_mul_f32 v40, v50, v40
	s_delay_alu instid0(VALU_DEP_1) | instskip(SKIP_2) | instid1(VALU_DEP_3)
	v_bfe_u32 v61, v40, 16, 1
	v_or_b32_e32 v58, 0x400000, v40
	v_cmp_u_f32_e32 vcc_lo, v40, v40
	v_add3_u32 v57, v61, v40, 0x7fff
	s_wait_alu 0xfffd
	s_delay_alu instid0(VALU_DEP_1) | instskip(SKIP_2) | instid1(VALU_DEP_2)
	v_cndmask_b32_e32 v40, v57, v58, vcc_lo
	v_cmp_u_f32_e32 vcc_lo, v55, v55
	s_wait_alu 0xfffd
	v_dual_cndmask_b32 v42, v44, v59 :: v_dual_and_b32 v39, 0xffff0000, v40
	s_delay_alu instid0(VALU_DEP_1) | instskip(NEXT) | instid1(VALU_DEP_1)
	v_and_b32_e32 v40, 0xffff0000, v42
	v_dual_add_f32 v38, v39, v40 :: v_dual_mul_f32 v39, v45, v41
	v_and_b32_e32 v40, 0xffff0000, v34
	v_lshlrev_b32_e32 v34, 16, v34
	v_or_b32_e32 v41, 0x400000, v33
	s_delay_alu instid0(VALU_DEP_4) | instskip(SKIP_2) | instid1(VALU_DEP_3)
	v_add_f32_e32 v37, v38, v37
	v_bfe_u32 v38, v39, 16, 1
	v_cmp_u_f32_e32 vcc_lo, v39, v39
	v_dual_mul_f32 v40, v46, v40 :: v_dual_add_f32 v89, v89, v37
	s_delay_alu instid0(VALU_DEP_3) | instskip(SKIP_2) | instid1(VALU_DEP_4)
	v_add3_u32 v37, v38, v39, 0x7fff
	v_or_b32_e32 v38, 0x400000, v39
	v_and_b32_e32 v44, 0xffff0000, v56
	v_or_b32_e32 v39, 0x400000, v40
	s_wait_alu 0xfffd
	s_delay_alu instid0(VALU_DEP_2) | instskip(SKIP_2) | instid1(VALU_DEP_3)
	v_dual_cndmask_b32 v37, v37, v38 :: v_dual_add_f32 v42, v43, v44
	v_cmp_u_f32_e32 vcc_lo, v33, v33
	v_bfe_u32 v38, v40, 16, 1
	v_dual_add_f32 v0, v42, v0 :: v_dual_and_b32 v37, 0xffff0000, v37
	v_and_b32_e32 v42, 0xffff0000, v36
	s_delay_alu instid0(VALU_DEP_3) | instskip(SKIP_1) | instid1(VALU_DEP_4)
	v_add3_u32 v38, v38, v40, 0x7fff
	v_lshlrev_b32_e32 v36, 16, v36
	v_add_f32_e32 v88, v88, v0
	v_bfe_u32 v0, v33, 16, 1
	s_delay_alu instid0(VALU_DEP_3) | instskip(NEXT) | instid1(VALU_DEP_2)
	v_mul_f32_e32 v36, v50, v36
	v_add3_u32 v0, v0, v33, 0x7fff
	s_wait_alu 0xfffd
	s_delay_alu instid0(VALU_DEP_1) | instskip(SKIP_1) | instid1(VALU_DEP_2)
	v_cndmask_b32_e32 v0, v0, v41, vcc_lo
	v_cmp_u_f32_e32 vcc_lo, v40, v40
	v_and_b32_e32 v0, 0xffff0000, v0
	s_wait_alu 0xfffd
	v_cndmask_b32_e32 v38, v38, v39, vcc_lo
	s_delay_alu instid0(VALU_DEP_2) | instskip(SKIP_2) | instid1(VALU_DEP_1)
	v_add_f32_e32 v0, v0, v37
	v_and_b32_e32 v37, 0xffff0000, v29
	v_lshlrev_b32_e32 v29, 16, v29
	v_dual_mul_f32 v29, v49, v29 :: v_dual_and_b32 v38, 0xffff0000, v38
	v_dual_mul_f32 v33, v51, v34 :: v_dual_and_b32 v34, 0xffff0000, v35
	v_lshlrev_b32_e32 v35, 16, v35
	s_delay_alu instid0(VALU_DEP_2) | instskip(NEXT) | instid1(VALU_DEP_2)
	v_bfe_u32 v41, v33, 16, 1
	v_dual_mul_f32 v34, v47, v34 :: v_dual_mul_f32 v35, v52, v35
	v_or_b32_e32 v40, 0x400000, v33
	v_cmp_u_f32_e32 vcc_lo, v33, v33
	s_delay_alu instid0(VALU_DEP_4) | instskip(NEXT) | instid1(VALU_DEP_4)
	v_add3_u32 v39, v41, v33, 0x7fff
	v_bfe_u32 v41, v34, 16, 1
	v_bfe_u32 v43, v35, 16, 1
	s_wait_alu 0xfffd
	s_delay_alu instid0(VALU_DEP_3) | instskip(NEXT) | instid1(VALU_DEP_3)
	v_cndmask_b32_e32 v33, v39, v40, vcc_lo
	v_add3_u32 v39, v41, v34, 0x7fff
	v_mul_f32_e32 v40, v48, v42
	v_or_b32_e32 v41, 0x400000, v34
	v_cmp_u_f32_e32 vcc_lo, v34, v34
	v_add3_u32 v42, v43, v35, 0x7fff
	v_or_b32_e32 v43, 0x400000, v35
	v_bfe_u32 v44, v40, 16, 1
	v_and_b32_e32 v33, 0xffff0000, v33
	s_wait_alu 0xfffd
	v_cndmask_b32_e32 v34, v39, v41, vcc_lo
	v_cmp_u_f32_e32 vcc_lo, v35, v35
	v_or_b32_e32 v41, 0x400000, v40
	v_add3_u32 v39, v44, v40, 0x7fff
	v_add_f32_e32 v33, v33, v38
	s_wait_alu 0xfffd
	v_dual_cndmask_b32 v35, v42, v43 :: v_dual_and_b32 v34, 0xffff0000, v34
	v_bfe_u32 v42, v36, 16, 1
	v_cmp_u_f32_e32 vcc_lo, v40, v40
	v_add_f32_e32 v0, v33, v0
	v_mul_f32_e32 v33, v45, v37
	v_and_b32_e32 v35, 0xffff0000, v35
	v_add3_u32 v40, v42, v36, 0x7fff
	s_wait_alu 0xfffd
	v_cndmask_b32_e32 v39, v39, v41, vcc_lo
	v_or_b32_e32 v41, 0x400000, v36
	v_cmp_u_f32_e32 vcc_lo, v36, v36
	v_add_f32_e32 v34, v35, v34
	v_bfe_u32 v37, v33, 16, 1
	v_bfe_u32 v38, v29, 16, 1
	s_wait_alu 0xfffd
	v_cndmask_b32_e32 v36, v40, v41, vcc_lo
	v_cmp_u_f32_e32 vcc_lo, v33, v33
	s_delay_alu instid0(VALU_DEP_2) | instskip(SKIP_3) | instid1(VALU_DEP_3)
	v_and_b32_e32 v35, 0xffff0000, v36
	v_and_b32_e32 v36, 0xffff0000, v39
	;; [unrolled: 1-line block ×3, first 2 shown]
	v_lshlrev_b32_e32 v31, 16, v31
	v_add_f32_e32 v35, v35, v36
	v_add3_u32 v36, v37, v33, 0x7fff
	v_or_b32_e32 v37, 0x400000, v33
	v_mul_f32_e32 v39, v47, v39
	v_mul_f32_e32 v31, v52, v31
	s_wait_alu 0xfffd
	s_delay_alu instid0(VALU_DEP_3)
	v_cndmask_b32_e32 v33, v36, v37, vcc_lo
	v_add3_u32 v36, v38, v29, 0x7fff
	v_or_b32_e32 v37, 0x400000, v29
	v_cmp_u_f32_e32 vcc_lo, v29, v29
	v_or_b32_e32 v41, 0x400000, v31
	v_and_b32_e32 v33, 0xffff0000, v33
	s_wait_alu 0xfffd
	v_cndmask_b32_e32 v29, v36, v37, vcc_lo
	s_delay_alu instid0(VALU_DEP_1) | instskip(NEXT) | instid1(VALU_DEP_1)
	v_dual_add_f32 v0, v34, v0 :: v_dual_and_b32 v29, 0xffff0000, v29
	v_dual_add_f32 v29, v29, v33 :: v_dual_and_b32 v34, 0xffff0000, v30
	v_lshlrev_b32_e32 v30, 16, v30
	s_delay_alu instid0(VALU_DEP_2) | instskip(NEXT) | instid1(VALU_DEP_2)
	v_mul_f32_e32 v34, v46, v34
	v_mul_f32_e32 v30, v51, v30
	s_delay_alu instid0(VALU_DEP_2) | instskip(SKIP_2) | instid1(VALU_DEP_3)
	v_bfe_u32 v38, v34, 16, 1
	v_or_b32_e32 v37, 0x400000, v34
	v_cmp_u_f32_e32 vcc_lo, v34, v34
	v_add3_u32 v36, v38, v34, 0x7fff
	v_bfe_u32 v38, v30, 16, 1
	s_wait_alu 0xfffd
	s_delay_alu instid0(VALU_DEP_2) | instskip(NEXT) | instid1(VALU_DEP_2)
	v_cndmask_b32_e32 v34, v36, v37, vcc_lo
	v_add3_u32 v36, v38, v30, 0x7fff
	v_or_b32_e32 v37, 0x400000, v30
	v_cmp_u_f32_e32 vcc_lo, v30, v30
	v_bfe_u32 v38, v39, 16, 1
	v_and_b32_e32 v34, 0xffff0000, v34
	s_wait_alu 0xfffd
	v_cndmask_b32_e32 v30, v36, v37, vcc_lo
	v_bfe_u32 v36, v31, 16, 1
	v_add3_u32 v37, v38, v39, 0x7fff
	v_cmp_u_f32_e32 vcc_lo, v39, v39
	s_delay_alu instid0(VALU_DEP_4) | instskip(NEXT) | instid1(VALU_DEP_4)
	v_and_b32_e32 v30, 0xffff0000, v30
	v_add3_u32 v36, v36, v31, 0x7fff
	s_delay_alu instid0(VALU_DEP_2) | instskip(NEXT) | instid1(VALU_DEP_1)
	v_add_f32_e32 v30, v30, v34
	v_dual_add_f32 v29, v30, v29 :: v_dual_and_b32 v40, 0xffff0000, v32
	s_delay_alu instid0(VALU_DEP_1) | instskip(SKIP_2) | instid1(VALU_DEP_1)
	v_mul_f32_e32 v38, v48, v40
	v_or_b32_e32 v40, 0x400000, v39
	s_wait_alu 0xfffd
	v_cndmask_b32_e32 v37, v37, v40, vcc_lo
	v_cmp_u_f32_e32 vcc_lo, v31, v31
	s_delay_alu instid0(VALU_DEP_2) | instskip(SKIP_2) | instid1(VALU_DEP_1)
	v_and_b32_e32 v33, 0xffff0000, v37
	s_wait_alu 0xfffd
	v_dual_cndmask_b32 v31, v36, v41 :: v_dual_add_f32 v0, v35, v0
	v_dual_add_f32 v90, v90, v0 :: v_dual_and_b32 v31, 0xffff0000, v31
	s_delay_alu instid0(VALU_DEP_1) | instskip(SKIP_2) | instid1(VALU_DEP_3)
	v_add_f32_e32 v30, v31, v33
	v_and_b32_e32 v31, 0xffff0000, v25
	v_lshlrev_b32_e32 v25, 16, v25
	v_dual_add_f32 v29, v30, v29 :: v_dual_lshlrev_b32 v32, 16, v32
	s_delay_alu instid0(VALU_DEP_2) | instskip(SKIP_2) | instid1(VALU_DEP_4)
	v_mul_f32_e32 v25, v49, v25
	v_bfe_u32 v42, v38, 16, 1
	v_or_b32_e32 v40, 0x400000, v38
	v_dual_mul_f32 v31, v45, v31 :: v_dual_mul_f32 v32, v50, v32
	s_delay_alu instid0(VALU_DEP_4) | instskip(NEXT) | instid1(VALU_DEP_4)
	v_bfe_u32 v0, v25, 16, 1
	v_add3_u32 v36, v42, v38, 0x7fff
	s_delay_alu instid0(VALU_DEP_3) | instskip(SKIP_3) | instid1(VALU_DEP_4)
	v_bfe_u32 v39, v32, 16, 1
	v_or_b32_e32 v41, 0x400000, v32
	v_cmp_u_f32_e32 vcc_lo, v32, v32
	v_add3_u32 v0, v0, v25, 0x7fff
	v_add3_u32 v39, v39, v32, 0x7fff
	s_wait_alu 0xfffd
	s_delay_alu instid0(VALU_DEP_1) | instskip(SKIP_1) | instid1(VALU_DEP_2)
	v_cndmask_b32_e32 v32, v39, v41, vcc_lo
	v_cmp_u_f32_e32 vcc_lo, v38, v38
	v_and_b32_e32 v32, 0xffff0000, v32
	s_wait_alu 0xfffd
	v_cndmask_b32_e32 v34, v36, v40, vcc_lo
	v_cmp_u_f32_e32 vcc_lo, v31, v31
	s_delay_alu instid0(VALU_DEP_2) | instskip(SKIP_1) | instid1(VALU_DEP_2)
	v_and_b32_e32 v33, 0xffff0000, v34
	v_or_b32_e32 v34, 0x400000, v25
	v_add_f32_e32 v30, v32, v33
	v_and_b32_e32 v32, 0xffff0000, v26
	v_bfe_u32 v33, v31, 16, 1
	s_delay_alu instid0(VALU_DEP_3) | instskip(NEXT) | instid1(VALU_DEP_3)
	v_dual_add_f32 v29, v30, v29 :: v_dual_lshlrev_b32 v26, 16, v26
	v_mul_f32_e32 v30, v46, v32
	s_delay_alu instid0(VALU_DEP_3) | instskip(SKIP_1) | instid1(VALU_DEP_4)
	v_add3_u32 v32, v33, v31, 0x7fff
	v_or_b32_e32 v33, 0x400000, v31
	v_add_f32_e32 v91, v91, v29
	s_delay_alu instid0(VALU_DEP_4) | instskip(SKIP_1) | instid1(VALU_DEP_3)
	v_bfe_u32 v35, v30, 16, 1
	s_wait_alu 0xfffd
	v_cndmask_b32_e32 v31, v32, v33, vcc_lo
	v_cmp_u_f32_e32 vcc_lo, v25, v25
	v_mul_f32_e32 v25, v51, v26
	v_and_b32_e32 v33, 0xffff0000, v27
	v_add3_u32 v26, v35, v30, 0x7fff
	v_or_b32_e32 v32, 0x400000, v30
	s_wait_alu 0xfffd
	v_dual_cndmask_b32 v0, v0, v34 :: v_dual_lshlrev_b32 v27, 16, v27
	v_bfe_u32 v34, v25, 16, 1
	v_cmp_u_f32_e32 vcc_lo, v30, v30
	v_mul_f32_e32 v30, v47, v33
	v_or_b32_e32 v33, 0x400000, v25
	v_dual_mul_f32 v27, v52, v27 :: v_dual_and_b32 v0, 0xffff0000, v0
	s_wait_alu 0xfffd
	v_cndmask_b32_e32 v26, v26, v32, vcc_lo
	v_add3_u32 v32, v34, v25, 0x7fff
	v_and_b32_e32 v34, 0xffff0000, v28
	v_bfe_u32 v35, v30, 16, 1
	v_cmp_u_f32_e32 vcc_lo, v25, v25
	v_bfe_u32 v36, v27, 16, 1
	v_and_b32_e32 v31, 0xffff0000, v31
	s_wait_alu 0xfffd
	v_dual_cndmask_b32 v25, v32, v33 :: v_dual_and_b32 v26, 0xffff0000, v26
	v_mul_f32_e32 v32, v48, v34
	v_add3_u32 v33, v35, v30, 0x7fff
	v_or_b32_e32 v34, 0x400000, v30
	v_cmp_u_f32_e32 vcc_lo, v30, v30
	v_add3_u32 v35, v36, v27, 0x7fff
	v_or_b32_e32 v36, 0x400000, v27
	v_bfe_u32 v37, v32, 16, 1
	s_wait_alu 0xfffd
	v_dual_cndmask_b32 v30, v33, v34 :: v_dual_and_b32 v25, 0xffff0000, v25
	v_cmp_u_f32_e32 vcc_lo, v27, v27
	v_or_b32_e32 v34, 0x400000, v32
	v_add3_u32 v33, v37, v32, 0x7fff
	s_delay_alu instid0(VALU_DEP_4) | instskip(SKIP_3) | instid1(VALU_DEP_3)
	v_dual_add_f32 v0, v0, v31 :: v_dual_add_f32 v25, v25, v26
	s_wait_alu 0xfffd
	v_cndmask_b32_e32 v27, v35, v36, vcc_lo
	v_cmp_u_f32_e32 vcc_lo, v32, v32
	v_add_f32_e32 v0, v25, v0
	s_delay_alu instid0(VALU_DEP_3)
	v_and_b32_e32 v26, 0xffff0000, v27
	s_wait_alu 0xfffd
	v_cndmask_b32_e32 v32, v33, v34, vcc_lo
	v_and_b32_e32 v34, 0xffff0000, v20
	v_lshlrev_b32_e32 v28, 16, v28
	v_and_b32_e32 v27, 0xffff0000, v17
	v_lshlrev_b32_e32 v17, 16, v17
	v_lshlrev_b32_e32 v20, 16, v20
	s_delay_alu instid0(VALU_DEP_3) | instskip(NEXT) | instid1(VALU_DEP_2)
	v_dual_mul_f32 v28, v50, v28 :: v_dual_mul_f32 v25, v45, v27
	v_dual_mul_f32 v17, v49, v17 :: v_dual_mul_f32 v20, v50, v20
	s_delay_alu instid0(VALU_DEP_2) | instskip(SKIP_1) | instid1(VALU_DEP_3)
	v_bfe_u32 v33, v28, 16, 1
	v_cmp_u_f32_e32 vcc_lo, v28, v28
	v_bfe_u32 v37, v20, 16, 1
	s_delay_alu instid0(VALU_DEP_3) | instskip(SKIP_3) | instid1(VALU_DEP_2)
	v_add3_u32 v31, v33, v28, 0x7fff
	v_or_b32_e32 v33, 0x400000, v28
	v_bfe_u32 v28, v25, 16, 1
	s_wait_alu 0xfffd
	v_cndmask_b32_e32 v27, v31, v33, vcc_lo
	v_and_b32_e32 v33, 0xffff0000, v19
	v_lshlrev_b32_e32 v19, 16, v19
	v_add3_u32 v28, v28, v25, 0x7fff
	v_bfe_u32 v31, v17, 16, 1
	v_cmp_u_f32_e32 vcc_lo, v25, v25
	v_mul_f32_e32 v33, v47, v33
	v_dual_mul_f32 v19, v52, v19 :: v_dual_and_b32 v30, 0xffff0000, v30
	v_and_b32_e32 v27, 0xffff0000, v27
	s_delay_alu instid0(VALU_DEP_2) | instskip(NEXT) | instid1(VALU_DEP_3)
	v_or_b32_e32 v35, 0x400000, v19
	v_add_f32_e32 v26, v26, v30
	v_or_b32_e32 v30, 0x400000, v25
	s_delay_alu instid0(VALU_DEP_2)
	v_add_f32_e32 v0, v26, v0
	v_and_b32_e32 v26, 0xffff0000, v18
	v_lshlrev_b32_e32 v18, 16, v18
	s_wait_alu 0xfffd
	v_cndmask_b32_e32 v25, v28, v30, vcc_lo
	v_add3_u32 v28, v31, v17, 0x7fff
	v_or_b32_e32 v30, 0x400000, v17
	v_mul_f32_e32 v26, v46, v26
	v_mul_f32_e32 v18, v51, v18
	v_cmp_u_f32_e32 vcc_lo, v17, v17
	v_and_b32_e32 v25, 0xffff0000, v25
	s_delay_alu instid0(VALU_DEP_4)
	v_bfe_u32 v31, v26, 16, 1
	s_wait_alu 0xfffd
	v_cndmask_b32_e32 v17, v28, v30, vcc_lo
	v_or_b32_e32 v30, 0x400000, v26
	v_cmp_u_f32_e32 vcc_lo, v26, v26
	v_add3_u32 v28, v31, v26, 0x7fff
	v_bfe_u32 v31, v18, 16, 1
	s_wait_alu 0xfffd
	s_delay_alu instid0(VALU_DEP_2) | instskip(NEXT) | instid1(VALU_DEP_2)
	v_dual_cndmask_b32 v26, v28, v30 :: v_dual_and_b32 v17, 0xffff0000, v17
	v_add3_u32 v28, v31, v18, 0x7fff
	v_or_b32_e32 v30, 0x400000, v18
	v_bfe_u32 v31, v33, 16, 1
	v_cmp_u_f32_e32 vcc_lo, v18, v18
	v_dual_add_f32 v17, v17, v25 :: v_dual_and_b32 v26, 0xffff0000, v26
	s_wait_alu 0xfffd
	v_cndmask_b32_e32 v18, v28, v30, vcc_lo
	v_bfe_u32 v28, v19, 16, 1
	v_add3_u32 v30, v31, v33, 0x7fff
	v_mul_f32_e32 v31, v48, v34
	v_or_b32_e32 v34, 0x400000, v33
	v_cmp_u_f32_e32 vcc_lo, v33, v33
	v_add3_u32 v28, v28, v19, 0x7fff
	v_add3_u32 v33, v37, v20, 0x7fff
	v_bfe_u32 v36, v31, 16, 1
	v_and_b32_e32 v18, 0xffff0000, v18
	s_wait_alu 0xfffd
	v_cndmask_b32_e32 v30, v30, v34, vcc_lo
	v_cmp_u_f32_e32 vcc_lo, v19, v19
	v_or_b32_e32 v34, 0x400000, v20
	v_add_f32_e32 v18, v18, v26
	s_delay_alu instid0(VALU_DEP_4)
	v_and_b32_e32 v25, 0xffff0000, v30
	s_wait_alu 0xfffd
	v_cndmask_b32_e32 v19, v28, v35, vcc_lo
	v_cmp_u_f32_e32 vcc_lo, v20, v20
	v_add3_u32 v28, v36, v31, 0x7fff
	v_or_b32_e32 v35, 0x400000, v31
	v_add_f32_e32 v17, v18, v17
	s_wait_alu 0xfffd
	v_dual_cndmask_b32 v20, v33, v34 :: v_dual_and_b32 v19, 0xffff0000, v19
	v_cmp_u_f32_e32 vcc_lo, v31, v31
	s_delay_alu instid0(VALU_DEP_2)
	v_dual_add_f32 v18, v19, v25 :: v_dual_and_b32 v19, 0xffff0000, v20
	s_wait_alu 0xfffd
	v_cndmask_b32_e32 v26, v28, v35, vcc_lo
	v_and_b32_e32 v28, 0xffff0000, v32
	v_and_b32_e32 v25, 0xffff0000, v13
	v_lshlrev_b32_e32 v13, 16, v13
	s_delay_alu instid0(VALU_DEP_4) | instskip(NEXT) | instid1(VALU_DEP_2)
	v_dual_add_f32 v17, v18, v17 :: v_dual_and_b32 v20, 0xffff0000, v26
	v_dual_add_f32 v26, v27, v28 :: v_dual_mul_f32 v13, v49, v13
	s_delay_alu instid0(VALU_DEP_2) | instskip(NEXT) | instid1(VALU_DEP_2)
	v_dual_add_f32 v18, v19, v20 :: v_dual_mul_f32 v19, v45, v25
	v_add_f32_e32 v0, v26, v0
	v_and_b32_e32 v20, 0xffff0000, v14
	s_delay_alu instid0(VALU_DEP_3) | instskip(NEXT) | instid1(VALU_DEP_4)
	v_dual_add_f32 v17, v18, v17 :: v_dual_lshlrev_b32 v14, 16, v14
	v_bfe_u32 v18, v19, 16, 1
	s_delay_alu instid0(VALU_DEP_4) | instskip(SKIP_1) | instid1(VALU_DEP_4)
	v_add_f32_e32 v92, v92, v0
	v_bfe_u32 v0, v13, 16, 1
	v_dual_mul_f32 v20, v46, v20 :: v_dual_add_f32 v93, v93, v17
	s_delay_alu instid0(VALU_DEP_4)
	v_add3_u32 v17, v18, v19, 0x7fff
	v_or_b32_e32 v18, 0x400000, v19
	v_cmp_u_f32_e32 vcc_lo, v19, v19
	v_add3_u32 v0, v0, v13, 0x7fff
	v_or_b32_e32 v25, 0x400000, v13
	v_or_b32_e32 v19, 0x400000, v20
	s_wait_alu 0xfffd
	v_dual_cndmask_b32 v17, v17, v18 :: v_dual_and_b32 v26, 0xffff0000, v16
	v_bfe_u32 v18, v20, 16, 1
	v_cmp_u_f32_e32 vcc_lo, v13, v13
	v_dual_mul_f32 v13, v51, v14 :: v_dual_and_b32 v14, 0xffff0000, v15
	v_lshlrev_b32_e32 v15, 16, v15
	s_delay_alu instid0(VALU_DEP_4)
	v_add3_u32 v18, v18, v20, 0x7fff
	s_wait_alu 0xfffd
	v_cndmask_b32_e32 v0, v0, v25, vcc_lo
	v_bfe_u32 v25, v13, 16, 1
	v_mul_f32_e32 v14, v47, v14
	v_cmp_u_f32_e32 vcc_lo, v20, v20
	v_mul_f32_e32 v15, v52, v15
	v_or_b32_e32 v20, 0x400000, v13
	v_lshlrev_b32_e32 v16, 16, v16
	v_and_b32_e32 v0, 0xffff0000, v0
	s_wait_alu 0xfffd
	v_cndmask_b32_e32 v18, v18, v19, vcc_lo
	v_add3_u32 v19, v25, v13, 0x7fff
	v_bfe_u32 v25, v14, 16, 1
	v_cmp_u_f32_e32 vcc_lo, v13, v13
	v_bfe_u32 v27, v15, 16, 1
	v_dual_mul_f32 v16, v50, v16 :: v_dual_and_b32 v17, 0xffff0000, v17
	s_wait_alu 0xfffd
	v_dual_cndmask_b32 v13, v19, v20 :: v_dual_and_b32 v18, 0xffff0000, v18
	v_add3_u32 v19, v25, v14, 0x7fff
	v_mul_f32_e32 v20, v48, v26
	v_or_b32_e32 v25, 0x400000, v14
	v_cmp_u_f32_e32 vcc_lo, v14, v14
	v_add3_u32 v26, v27, v15, 0x7fff
	v_or_b32_e32 v27, 0x400000, v15
	v_bfe_u32 v28, v20, 16, 1
	v_and_b32_e32 v13, 0xffff0000, v13
	s_wait_alu 0xfffd
	v_cndmask_b32_e32 v14, v19, v25, vcc_lo
	v_cmp_u_f32_e32 vcc_lo, v15, v15
	v_or_b32_e32 v25, 0x400000, v20
	v_add3_u32 v19, v28, v20, 0x7fff
	v_dual_add_f32 v0, v0, v17 :: v_dual_add_f32 v13, v13, v18
	s_wait_alu 0xfffd
	v_cndmask_b32_e32 v15, v26, v27, vcc_lo
	v_bfe_u32 v26, v16, 16, 1
	v_cmp_u_f32_e32 vcc_lo, v20, v20
	v_and_b32_e32 v17, 0xffff0000, v9
	v_and_b32_e32 v14, 0xffff0000, v14
	;; [unrolled: 1-line block ×3, first 2 shown]
	v_add3_u32 v20, v26, v16, 0x7fff
	s_wait_alu 0xfffd
	v_cndmask_b32_e32 v19, v19, v25, vcc_lo
	v_or_b32_e32 v25, 0x400000, v16
	v_cmp_u_f32_e32 vcc_lo, v16, v16
	v_dual_add_f32 v0, v13, v0 :: v_dual_lshlrev_b32 v9, 16, v9
	v_dual_mul_f32 v13, v45, v17 :: v_dual_add_f32 v14, v15, v14
	s_wait_alu 0xfffd
	v_cndmask_b32_e32 v16, v20, v25, vcc_lo
	s_delay_alu instid0(VALU_DEP_3) | instskip(NEXT) | instid1(VALU_DEP_3)
	v_dual_mul_f32 v15, v49, v9 :: v_dual_and_b32 v18, 0xffff0000, v10
	v_bfe_u32 v17, v13, 16, 1
	v_add_f32_e32 v0, v14, v0
	s_delay_alu instid0(VALU_DEP_4)
	v_and_b32_e32 v9, 0xffff0000, v16
	v_and_b32_e32 v16, 0xffff0000, v19
	v_bfe_u32 v14, v15, 16, 1
	v_mul_f32_e32 v18, v46, v18
	v_lshlrev_b32_e32 v10, 16, v10
	v_cmp_u_f32_e32 vcc_lo, v13, v13
	v_add_f32_e32 v9, v9, v16
	v_add3_u32 v16, v17, v13, 0x7fff
	v_or_b32_e32 v17, 0x400000, v13
	v_add3_u32 v14, v14, v15, 0x7fff
	v_or_b32_e32 v19, 0x400000, v15
	v_mul_f32_e32 v10, v51, v10
	s_wait_alu 0xfffd
	v_dual_cndmask_b32 v13, v16, v17 :: v_dual_and_b32 v20, 0xffff0000, v12
	v_bfe_u32 v16, v18, 16, 1
	v_cmp_u_f32_e32 vcc_lo, v15, v15
	v_and_b32_e32 v15, 0xffff0000, v11
	v_or_b32_e32 v17, 0x400000, v18
	v_lshlrev_b32_e32 v11, 16, v11
	v_add3_u32 v16, v16, v18, 0x7fff
	s_wait_alu 0xfffd
	v_cndmask_b32_e32 v14, v14, v19, vcc_lo
	v_bfe_u32 v19, v10, 16, 1
	v_mul_f32_e32 v15, v47, v15
	v_cmp_u_f32_e32 vcc_lo, v18, v18
	v_mul_f32_e32 v11, v52, v11
	v_or_b32_e32 v18, 0x400000, v10
	v_lshlrev_b32_e32 v12, 16, v12
	v_and_b32_e32 v14, 0xffff0000, v14
	s_wait_alu 0xfffd
	v_cndmask_b32_e32 v16, v16, v17, vcc_lo
	v_add3_u32 v17, v19, v10, 0x7fff
	v_bfe_u32 v19, v15, 16, 1
	v_cmp_u_f32_e32 vcc_lo, v10, v10
	v_bfe_u32 v25, v11, 16, 1
	v_dual_mul_f32 v12, v50, v12 :: v_dual_and_b32 v13, 0xffff0000, v13
	v_and_b32_e32 v16, 0xffff0000, v16
	s_wait_alu 0xfffd
	v_cndmask_b32_e32 v10, v17, v18, vcc_lo
	v_add3_u32 v17, v19, v15, 0x7fff
	v_mul_f32_e32 v18, v48, v20
	v_or_b32_e32 v19, 0x400000, v15
	v_cmp_u_f32_e32 vcc_lo, v15, v15
	v_add3_u32 v20, v25, v11, 0x7fff
	v_or_b32_e32 v25, 0x400000, v11
	v_bfe_u32 v26, v18, 16, 1
	s_wait_alu 0xfffd
	v_dual_cndmask_b32 v15, v17, v19 :: v_dual_and_b32 v10, 0xffff0000, v10
	v_cmp_u_f32_e32 vcc_lo, v11, v11
	v_or_b32_e32 v19, 0x400000, v18
	v_add3_u32 v17, v26, v18, 0x7fff
	v_add_f32_e32 v13, v14, v13
	s_wait_alu 0xfffd
	v_dual_add_f32 v10, v10, v16 :: v_dual_cndmask_b32 v11, v20, v25
	v_bfe_u32 v20, v12, 16, 1
	v_cmp_u_f32_e32 vcc_lo, v18, v18
	v_and_b32_e32 v14, 0xffff0000, v15
	v_and_b32_e32 v15, 0xffff0000, v5
	;; [unrolled: 1-line block ×3, first 2 shown]
	v_add3_u32 v18, v20, v12, 0x7fff
	s_wait_alu 0xfffd
	v_cndmask_b32_e32 v17, v17, v19, vcc_lo
	v_or_b32_e32 v19, 0x400000, v12
	v_cmp_u_f32_e32 vcc_lo, v12, v12
	v_lshlrev_b32_e32 v5, 16, v5
	v_dual_add_f32 v10, v10, v13 :: v_dual_mul_f32 v13, v45, v15
	s_wait_alu 0xfffd
	v_dual_add_f32 v11, v11, v14 :: v_dual_cndmask_b32 v12, v18, v19
	s_delay_alu instid0(VALU_DEP_3)
	v_mul_f32_e32 v5, v49, v5
	v_and_b32_e32 v14, 0xffff0000, v17
	v_and_b32_e32 v15, 0xffff0000, v6
	v_bfe_u32 v16, v13, 16, 1
	v_and_b32_e32 v12, 0xffff0000, v12
	v_add_f32_e32 v10, v11, v10
	v_bfe_u32 v11, v5, 16, 1
	v_lshlrev_b32_e32 v6, 16, v6
	v_cmp_u_f32_e32 vcc_lo, v13, v13
	v_add_f32_e32 v12, v12, v14
	v_mul_f32_e32 v14, v46, v15
	v_add3_u32 v15, v16, v13, 0x7fff
	v_or_b32_e32 v16, 0x400000, v13
	v_add3_u32 v11, v11, v5, 0x7fff
	v_or_b32_e32 v17, 0x400000, v5
	v_bfe_u32 v18, v14, 16, 1
	v_mul_f32_e32 v6, v51, v6
	s_wait_alu 0xfffd
	v_cndmask_b32_e32 v13, v15, v16, vcc_lo
	v_cmp_u_f32_e32 vcc_lo, v5, v5
	v_and_b32_e32 v16, 0xffff0000, v7
	v_or_b32_e32 v15, 0x400000, v14
	v_lshlrev_b32_e32 v7, 16, v7
	v_and_b32_e32 v13, 0xffff0000, v13
	s_wait_alu 0xfffd
	v_cndmask_b32_e32 v5, v11, v17, vcc_lo
	v_add3_u32 v11, v18, v14, 0x7fff
	v_bfe_u32 v17, v6, 16, 1
	v_cmp_u_f32_e32 vcc_lo, v14, v14
	v_dual_mul_f32 v14, v47, v16 :: v_dual_mul_f32 v7, v52, v7
	v_or_b32_e32 v16, 0x400000, v6
	v_and_b32_e32 v5, 0xffff0000, v5
	s_wait_alu 0xfffd
	v_cndmask_b32_e32 v11, v11, v15, vcc_lo
	v_add3_u32 v15, v17, v6, 0x7fff
	v_and_b32_e32 v17, 0xffff0000, v8
	v_bfe_u32 v18, v14, 16, 1
	v_cmp_u_f32_e32 vcc_lo, v6, v6
	v_bfe_u32 v19, v7, 16, 1
	v_lshlrev_b32_e32 v8, 16, v8
	v_and_b32_e32 v11, 0xffff0000, v11
	s_wait_alu 0xfffd
	v_dual_add_f32 v5, v5, v13 :: v_dual_cndmask_b32 v6, v15, v16
	v_mul_f32_e32 v15, v48, v17
	v_add3_u32 v16, v18, v14, 0x7fff
	v_or_b32_e32 v17, 0x400000, v14
	v_cmp_u_f32_e32 vcc_lo, v14, v14
	v_add3_u32 v18, v19, v7, 0x7fff
	v_or_b32_e32 v19, 0x400000, v7
	v_bfe_u32 v20, v15, 16, 1
	v_and_b32_e32 v6, 0xffff0000, v6
	s_wait_alu 0xfffd
	v_cndmask_b32_e32 v14, v16, v17, vcc_lo
	v_cmp_u_f32_e32 vcc_lo, v7, v7
	v_or_b32_e32 v17, 0x400000, v15
	v_add3_u32 v16, v20, v15, 0x7fff
	v_mul_f32_e32 v8, v50, v8
	v_add_f32_e32 v6, v6, v11
	s_wait_alu 0xfffd
	v_cndmask_b32_e32 v7, v18, v19, vcc_lo
	v_cmp_u_f32_e32 vcc_lo, v15, v15
	v_and_b32_e32 v11, 0xffff0000, v1
	v_and_b32_e32 v13, 0xffff0000, v14
	v_add_f32_e32 v5, v6, v5
	v_and_b32_e32 v7, 0xffff0000, v7
	s_wait_alu 0xfffd
	v_cndmask_b32_e32 v15, v16, v17, vcc_lo
	v_bfe_u32 v16, v8, 16, 1
	v_dual_mul_f32 v6, v45, v11 :: v_dual_lshlrev_b32 v1, 16, v1
	v_add_f32_e32 v7, v7, v13
	v_cmp_u_f32_e32 vcc_lo, v8, v8
	s_delay_alu instid0(VALU_DEP_4)
	v_add3_u32 v14, v16, v8, 0x7fff
	v_or_b32_e32 v16, 0x400000, v8
	v_bfe_u32 v11, v6, 16, 1
	v_add_f32_e32 v5, v7, v5
	v_and_b32_e32 v7, 0xffff0000, v2
	s_wait_alu 0xfffd
	v_dual_mul_f32 v1, v49, v1 :: v_dual_cndmask_b32 v8, v14, v16
	v_add3_u32 v11, v11, v6, 0x7fff
	v_or_b32_e32 v13, 0x400000, v6
	v_mul_f32_e32 v7, v46, v7
	v_and_b32_e32 v14, 0xffff0000, v15
	v_bfe_u32 v15, v1, 16, 1
	v_cmp_u_f32_e32 vcc_lo, v6, v6
	v_lshlrev_b32_e32 v2, 16, v2
	v_or_b32_e32 v16, 0x400000, v1
	v_or_b32_e32 v17, 0x400000, v7
	s_wait_loadcnt 0x0
	v_lshlrev_b32_e32 v20, 16, v24
	s_wait_alu 0xfffd
	v_cndmask_b32_e32 v6, v11, v13, vcc_lo
	v_bfe_u32 v11, v7, 16, 1
	v_add3_u32 v13, v15, v1, 0x7fff
	v_dual_mul_f32 v2, v51, v2 :: v_dual_and_b32 v15, 0xffff0000, v3
	v_cmp_u_f32_e32 vcc_lo, v1, v1
	s_delay_alu instid0(VALU_DEP_4) | instskip(SKIP_1) | instid1(VALU_DEP_4)
	v_add3_u32 v11, v11, v7, 0x7fff
	v_lshlrev_b32_e32 v3, 16, v3
	v_mul_f32_e32 v15, v47, v15
	v_and_b32_e32 v19, 0xffff0000, v23
	s_wait_alu 0xfffd
	v_cndmask_b32_e32 v1, v13, v16, vcc_lo
	v_bfe_u32 v13, v2, 16, 1
	v_cmp_u_f32_e32 vcc_lo, v7, v7
	v_mul_f32_e32 v3, v52, v3
	v_or_b32_e32 v18, 0x400000, v15
	v_and_b32_e32 v16, 0xffff0000, v4
	v_add3_u32 v13, v13, v2, 0x7fff
	s_wait_alu 0xfffd
	v_cndmask_b32_e32 v7, v11, v17, vcc_lo
	v_bfe_u32 v11, v15, 16, 1
	v_or_b32_e32 v17, 0x400000, v2
	v_cmp_u_f32_e32 vcc_lo, v2, v2
	v_dual_mul_f32 v16, v48, v16 :: v_dual_and_b32 v1, 0xffff0000, v1
	s_delay_alu instid0(VALU_DEP_4)
	v_add3_u32 v11, v11, v15, 0x7fff
	s_wait_alu 0xfffd
	v_dual_cndmask_b32 v2, v13, v17 :: v_dual_and_b32 v7, 0xffff0000, v7
	v_bfe_u32 v13, v3, 16, 1
	v_cmp_u_f32_e32 vcc_lo, v15, v15
	v_or_b32_e32 v15, 0x400000, v3
	v_dual_mul_f32 v19, v47, v19 :: v_dual_lshlrev_b32 v4, 16, v4
	s_delay_alu instid0(VALU_DEP_4)
	v_add3_u32 v13, v13, v3, 0x7fff
	s_wait_alu 0xfffd
	v_cndmask_b32_e32 v11, v11, v18, vcc_lo
	v_cmp_u_f32_e32 vcc_lo, v3, v3
	v_and_b32_e32 v2, 0xffff0000, v2
	s_wait_alu 0xfffd
	v_dual_mul_f32 v4, v50, v4 :: v_dual_cndmask_b32 v3, v13, v15
	s_delay_alu instid0(VALU_DEP_2) | instskip(NEXT) | instid1(VALU_DEP_2)
	v_add_f32_e32 v2, v2, v7
	v_bfe_u32 v15, v4, 16, 1
	s_delay_alu instid0(VALU_DEP_3) | instskip(SKIP_1) | instid1(VALU_DEP_3)
	v_and_b32_e32 v3, 0xffff0000, v3
	v_and_b32_e32 v6, 0xffff0000, v6
	v_add3_u32 v15, v15, v4, 0x7fff
	s_delay_alu instid0(VALU_DEP_2) | instskip(SKIP_1) | instid1(VALU_DEP_1)
	v_dual_add_f32 v1, v1, v6 :: v_dual_and_b32 v6, 0xffff0000, v11
	v_and_b32_e32 v11, 0xffff0000, v21
	v_dual_add_f32 v3, v3, v6 :: v_dual_mul_f32 v6, v45, v11
	v_lshlrev_b32_e32 v11, 16, v22
	v_bfe_u32 v17, v16, 16, 1
	v_or_b32_e32 v18, 0x400000, v16
	v_cmp_u_f32_e32 vcc_lo, v16, v16
	s_delay_alu instid0(VALU_DEP_4) | instskip(NEXT) | instid1(VALU_DEP_4)
	v_mul_f32_e32 v11, v51, v11
	v_add3_u32 v17, v17, v16, 0x7fff
	v_or_b32_e32 v16, 0x400000, v4
	s_wait_alu 0xfffd
	s_delay_alu instid0(VALU_DEP_2) | instskip(SKIP_3) | instid1(VALU_DEP_3)
	v_cndmask_b32_e32 v13, v17, v18, vcc_lo
	v_lshlrev_b32_e32 v17, 16, v21
	v_and_b32_e32 v21, 0xffff0000, v24
	v_dual_add_f32 v1, v2, v1 :: v_dual_and_b32 v8, 0xffff0000, v8
	v_dual_mul_f32 v7, v49, v17 :: v_dual_lshlrev_b32 v18, 16, v23
	v_cmp_u_f32_e32 vcc_lo, v4, v4
	v_and_b32_e32 v17, 0xffff0000, v22
	s_delay_alu instid0(VALU_DEP_3) | instskip(NEXT) | instid1(VALU_DEP_4)
	v_dual_add_f32 v1, v3, v1 :: v_dual_mul_f32 v18, v52, v18
	v_bfe_u32 v2, v7, 16, 1
	s_wait_alu 0xfffd
	v_cndmask_b32_e32 v4, v15, v16, vcc_lo
	v_or_b32_e32 v15, 0x400000, v7
	v_bfe_u32 v16, v6, 16, 1
	v_cmp_u_f32_e32 vcc_lo, v7, v7
	v_add3_u32 v2, v2, v7, 0x7fff
	v_mul_f32_e32 v17, v46, v17
	v_and_b32_e32 v13, 0xffff0000, v13
	v_add3_u32 v7, v16, v6, 0x7fff
	v_bfe_u32 v16, v11, 16, 1
	s_wait_alu 0xfffd
	v_cndmask_b32_e32 v2, v2, v15, vcc_lo
	v_or_b32_e32 v15, 0x400000, v6
	v_cmp_u_f32_e32 vcc_lo, v6, v6
	v_add_f32_e32 v8, v8, v14
	v_or_b32_e32 v22, 0x400000, v19
	s_wait_alu 0xfffd
	v_cndmask_b32_e32 v6, v7, v15, vcc_lo
	v_add3_u32 v7, v16, v11, 0x7fff
	v_or_b32_e32 v15, 0x400000, v11
	v_bfe_u32 v16, v17, 16, 1
	v_cmp_u_f32_e32 vcc_lo, v11, v11
	v_dual_add_f32 v5, v8, v5 :: v_dual_and_b32 v6, 0xffff0000, v6
	v_and_b32_e32 v2, 0xffff0000, v2
	s_delay_alu instid0(VALU_DEP_4)
	v_add3_u32 v11, v16, v17, 0x7fff
	s_wait_alu 0xfffd
	v_cndmask_b32_e32 v7, v7, v15, vcc_lo
	v_or_b32_e32 v15, 0x400000, v17
	v_bfe_u32 v16, v18, 16, 1
	v_cmp_u_f32_e32 vcc_lo, v17, v17
	v_dual_mul_f32 v17, v50, v20 :: v_dual_mul_f32 v20, v48, v21
	v_and_b32_e32 v7, 0xffff0000, v7
	s_delay_alu instid0(VALU_DEP_4)
	v_add3_u32 v16, v16, v18, 0x7fff
	s_wait_alu 0xfffd
	v_cndmask_b32_e32 v11, v11, v15, vcc_lo
	v_bfe_u32 v15, v19, 16, 1
	v_or_b32_e32 v21, 0x400000, v18
	v_cmp_u_f32_e32 vcc_lo, v18, v18
	v_bfe_u32 v24, v20, 16, 1
	v_bfe_u32 v23, v17, 16, 1
	v_add3_u32 v15, v15, v19, 0x7fff
	s_wait_alu 0xfffd
	v_dual_cndmask_b32 v16, v16, v21 :: v_dual_and_b32 v11, 0xffff0000, v11
	v_cmp_u_f32_e32 vcc_lo, v19, v19
	v_add3_u32 v19, v24, v20, 0x7fff
	v_or_b32_e32 v21, 0x400000, v20
	v_add3_u32 v18, v23, v17, 0x7fff
	v_add_f32_e32 v97, v97, v5
	s_wait_alu 0xfffd
	v_cndmask_b32_e32 v15, v15, v22, vcc_lo
	v_cmp_u_f32_e32 vcc_lo, v20, v20
	v_or_b32_e32 v22, 0x400000, v17
	s_wait_alu 0xfffd
	v_cndmask_b32_e32 v19, v19, v21, vcc_lo
	v_cmp_u_f32_e32 vcc_lo, v17, v17
	v_and_b32_e32 v4, 0xffff0000, v4
	v_add_f32_e32 v2, v2, v6
	v_add_f32_e32 v6, v7, v11
	v_and_b32_e32 v7, 0xffff0000, v15
	v_and_b32_e32 v11, 0xffff0000, v16
	s_wait_alu 0xfffd
	v_cndmask_b32_e32 v15, v18, v22, vcc_lo
	v_dual_add_f32 v3, v4, v13 :: v_dual_add_f32 v2, v6, v2
	s_delay_alu instid0(VALU_DEP_3) | instskip(SKIP_1) | instid1(VALU_DEP_4)
	v_add_f32_e32 v6, v11, v7
	v_and_b32_e32 v7, 0xffff0000, v19
	v_and_b32_e32 v11, 0xffff0000, v15
	s_delay_alu instid0(VALU_DEP_3) | instskip(SKIP_1) | instid1(VALU_DEP_3)
	v_dual_add_f32 v1, v3, v1 :: v_dual_add_f32 v2, v6, v2
	v_add_f32_e32 v6, v12, v10
	v_add_f32_e32 v4, v11, v7
	;; [unrolled: 1-line block ×3, first 2 shown]
	s_delay_alu instid0(VALU_DEP_3) | instskip(NEXT) | instid1(VALU_DEP_3)
	v_dual_add_f32 v96, v96, v1 :: v_dual_add_f32 v95, v95, v6
	v_add_f32_e32 v2, v4, v2
	s_delay_alu instid0(VALU_DEP_3) | instskip(NEXT) | instid1(VALU_DEP_2)
	v_add_f32_e32 v94, v94, v0
	v_add_f32_e32 v82, v82, v2
.LBB177_37:                             ;   in Loop: Header=BB177_38 Depth=1
	s_wait_alu 0xfffe
	s_or_b32 exec_lo, exec_lo, s10
	v_add_nc_u32_e32 v78, 4, v78
	v_add_co_u32 v73, s0, v73, 16
	s_wait_alu 0xf1ff
	v_add_co_ci_u32_e64 v74, null, 0, v74, s0
	s_delay_alu instid0(VALU_DEP_3) | instskip(SKIP_3) | instid1(SALU_CYCLE_1)
	v_cmp_le_i32_e32 vcc_lo, s33, v78
	v_add_nc_u32_e32 v77, 0x80, v77
	v_add_nc_u32_e32 v101, 0x200, v101
	s_or_b32 s6, vcc_lo, s6
	s_and_not1_b32 exec_lo, exec_lo, s6
	s_cbranch_execz .LBB177_71
.LBB177_38:                             ; =>This Inner Loop Header: Depth=1
	v_sub_nc_u32_e32 v0, 0, v77
	s_delay_alu instid0(VALU_DEP_1) | instskip(NEXT) | instid1(VALU_DEP_1)
	v_max_i32_e32 v0, v77, v0
	v_mul_hi_u32 v1, v0, s18
	s_delay_alu instid0(VALU_DEP_1) | instskip(NEXT) | instid1(VALU_DEP_1)
	v_mul_lo_u32 v2, v1, s12
	v_sub_nc_u32_e32 v0, v0, v2
	v_add_nc_u32_e32 v2, 1, v1
	s_delay_alu instid0(VALU_DEP_2) | instskip(SKIP_2) | instid1(VALU_DEP_2)
	v_subrev_nc_u32_e32 v3, s12, v0
	v_cmp_le_u32_e32 vcc_lo, s12, v0
	s_wait_alu 0xfffd
	v_dual_cndmask_b32 v1, v1, v2 :: v_dual_cndmask_b32 v0, v0, v3
	v_ashrrev_i32_e32 v2, 31, v77
	s_delay_alu instid0(VALU_DEP_2) | instskip(NEXT) | instid1(VALU_DEP_3)
	v_add_nc_u32_e32 v3, 1, v1
	v_cmp_le_u32_e32 vcc_lo, s12, v0
	s_delay_alu instid0(VALU_DEP_3) | instskip(SKIP_1) | instid1(VALU_DEP_3)
	v_xor_b32_e32 v2, s19, v2
	s_wait_alu 0xfffd
	v_cndmask_b32_e32 v0, v1, v3, vcc_lo
	s_delay_alu instid0(VALU_DEP_1) | instskip(NEXT) | instid1(VALU_DEP_1)
	v_xor_b32_e32 v0, v0, v2
	v_sub_nc_u32_e32 v0, v0, v2
	s_delay_alu instid0(VALU_DEP_1) | instskip(SKIP_1) | instid1(VALU_DEP_2)
	v_add_nc_u32_e32 v1, s17, v0
	v_cmp_lt_i32_e64 s0, s3, v0
	v_sub_nc_u32_e32 v2, 0, v1
	s_delay_alu instid0(VALU_DEP_1) | instskip(SKIP_1) | instid1(VALU_DEP_1)
	v_max_i32_e32 v2, v1, v2
	s_wait_alu 0xfffe
	v_mul_hi_u32 v3, v2, s9
	s_delay_alu instid0(VALU_DEP_1) | instskip(NEXT) | instid1(VALU_DEP_1)
	v_mul_lo_u32 v3, v3, s2
	v_sub_nc_u32_e32 v2, v2, v3
	s_delay_alu instid0(VALU_DEP_1) | instskip(SKIP_2) | instid1(VALU_DEP_2)
	v_subrev_nc_u32_e32 v3, s2, v2
	v_cmp_le_u32_e32 vcc_lo, s2, v2
	s_wait_alu 0xfffd
	v_cndmask_b32_e32 v2, v2, v3, vcc_lo
	v_ashrrev_i32_e32 v1, 31, v1
	s_delay_alu instid0(VALU_DEP_2) | instskip(SKIP_2) | instid1(VALU_DEP_2)
	v_subrev_nc_u32_e32 v3, s2, v2
	v_cmp_le_u32_e32 vcc_lo, s2, v2
	s_wait_alu 0xfffd
	v_cndmask_b32_e32 v2, v2, v3, vcc_lo
	s_delay_alu instid0(VALU_DEP_1) | instskip(NEXT) | instid1(VALU_DEP_1)
	v_xor_b32_e32 v2, v2, v1
	v_sub_nc_u32_e32 v1, v2, v1
	s_delay_alu instid0(VALU_DEP_1)
	v_cmp_eq_u32_e32 vcc_lo, 0, v1
	s_or_b32 s0, vcc_lo, s0
	s_wait_alu 0xfffe
	s_and_saveexec_b32 s10, s0
	s_cbranch_execz .LBB177_37
; %bb.39:                               ;   in Loop: Header=BB177_38 Depth=1
	global_load_b32 v0, v[73:74], off
	v_add_nc_u32_e32 v109, v98, v77
	s_delay_alu instid0(VALU_DEP_1)
	v_add_nc_u32_e32 v107, 1, v109
	v_or_b32_e32 v106, 3, v109
	v_or_b32_e32 v108, 2, v109
	;; [unrolled: 1-line block ×6, first 2 shown]
	s_wait_loadcnt 0x0
	v_mad_co_i64_i32 v[0:1], null, v0, s4, 0
	s_delay_alu instid0(VALU_DEP_1) | instskip(NEXT) | instid1(VALU_DEP_1)
	v_lshlrev_b64_e32 v[0:1], 1, v[0:1]
	v_add_co_u32 v21, vcc_lo, v99, v0
	s_wait_alu 0xfffd
	s_delay_alu instid0(VALU_DEP_2)
	v_add_co_ci_u32_e64 v22, null, v100, v1, vcc_lo
	v_cmp_eq_u32_e32 vcc_lo, s5, v78
	global_load_b128 v[1:4], v[21:22], off
	ds_load_2addr_b64 v[49:52], v101 offset1:1
	ds_load_2addr_b64 v[45:48], v101 offset0:2 offset1:3
	s_and_saveexec_b32 s11, vcc_lo
	s_cbranch_execnz .LBB177_55
; %bb.40:                               ;   in Loop: Header=BB177_38 Depth=1
	s_wait_alu 0xfffe
	s_or_b32 exec_lo, exec_lo, s11
	global_load_b128 v[5:8], v[21:22], off offset:512
	s_and_saveexec_b32 s11, vcc_lo
	s_cbranch_execnz .LBB177_56
.LBB177_41:                             ;   in Loop: Header=BB177_38 Depth=1
	s_wait_alu 0xfffe
	s_or_b32 exec_lo, exec_lo, s11
	global_load_b128 v[9:12], v[21:22], off offset:1024
	s_and_saveexec_b32 s11, vcc_lo
	s_cbranch_execnz .LBB177_57
.LBB177_42:                             ;   in Loop: Header=BB177_38 Depth=1
	s_wait_alu 0xfffe
	s_or_b32 exec_lo, exec_lo, s11
	global_load_b128 v[13:16], v[21:22], off offset:1536
	s_and_saveexec_b32 s11, vcc_lo
	s_cbranch_execnz .LBB177_58
.LBB177_43:                             ;   in Loop: Header=BB177_38 Depth=1
	s_wait_alu 0xfffe
	s_or_b32 exec_lo, exec_lo, s11
	global_load_b128 v[17:20], v[21:22], off offset:2048
	s_and_saveexec_b32 s11, vcc_lo
	s_cbranch_execnz .LBB177_59
.LBB177_44:                             ;   in Loop: Header=BB177_38 Depth=1
	s_wait_alu 0xfffe
	s_or_b32 exec_lo, exec_lo, s11
	global_load_b128 v[25:28], v[21:22], off offset:2560
	s_and_saveexec_b32 s11, vcc_lo
	s_cbranch_execnz .LBB177_60
.LBB177_45:                             ;   in Loop: Header=BB177_38 Depth=1
	s_wait_alu 0xfffe
	s_or_b32 exec_lo, exec_lo, s11
	global_load_b128 v[29:32], v[21:22], off offset:3072
	s_and_saveexec_b32 s11, vcc_lo
	s_cbranch_execnz .LBB177_61
.LBB177_46:                             ;   in Loop: Header=BB177_38 Depth=1
	s_wait_alu 0xfffe
	s_or_b32 exec_lo, exec_lo, s11
	global_load_b128 v[33:36], v[21:22], off offset:3584
	s_and_saveexec_b32 s11, vcc_lo
	s_cbranch_execnz .LBB177_62
.LBB177_47:                             ;   in Loop: Header=BB177_38 Depth=1
	s_wait_alu 0xfffe
	s_or_b32 exec_lo, exec_lo, s11
	global_load_b128 v[37:40], v[21:22], off offset:4096
	s_and_saveexec_b32 s11, vcc_lo
	s_cbranch_execnz .LBB177_63
.LBB177_48:                             ;   in Loop: Header=BB177_38 Depth=1
	s_wait_alu 0xfffe
	s_or_b32 exec_lo, exec_lo, s11
	global_load_b128 v[41:44], v[21:22], off offset:4608
	s_and_saveexec_b32 s11, vcc_lo
	s_cbranch_execnz .LBB177_64
.LBB177_49:                             ;   in Loop: Header=BB177_38 Depth=1
	s_wait_alu 0xfffe
	s_or_b32 exec_lo, exec_lo, s11
	global_load_b128 v[53:56], v[21:22], off offset:5120
	s_and_saveexec_b32 s11, vcc_lo
	s_cbranch_execnz .LBB177_65
.LBB177_50:                             ;   in Loop: Header=BB177_38 Depth=1
	s_wait_alu 0xfffe
	s_or_b32 exec_lo, exec_lo, s11
	global_load_b128 v[57:60], v[21:22], off offset:5632
	s_and_saveexec_b32 s11, vcc_lo
	s_cbranch_execnz .LBB177_66
.LBB177_51:                             ;   in Loop: Header=BB177_38 Depth=1
	s_wait_alu 0xfffe
	s_or_b32 exec_lo, exec_lo, s11
	global_load_b128 v[61:64], v[21:22], off offset:6144
	s_and_saveexec_b32 s11, vcc_lo
	s_cbranch_execnz .LBB177_67
.LBB177_52:                             ;   in Loop: Header=BB177_38 Depth=1
	s_wait_alu 0xfffe
	s_or_b32 exec_lo, exec_lo, s11
	global_load_b128 v[65:68], v[21:22], off offset:6656
	s_and_saveexec_b32 s11, vcc_lo
	s_cbranch_execnz .LBB177_68
.LBB177_53:                             ;   in Loop: Header=BB177_38 Depth=1
	s_wait_alu 0xfffe
	s_or_b32 exec_lo, exec_lo, s11
	global_load_b128 v[69:72], v[21:22], off offset:7168
	s_and_saveexec_b32 s11, vcc_lo
	s_cbranch_execnz .LBB177_69
.LBB177_54:                             ;   in Loop: Header=BB177_38 Depth=1
	s_wait_alu 0xfffe
	s_or_b32 exec_lo, exec_lo, s11
	global_load_b128 v[21:24], v[21:22], off offset:7680
	s_and_saveexec_b32 s0, vcc_lo
	s_cbranch_execz .LBB177_36
	s_branch .LBB177_70
.LBB177_55:                             ;   in Loop: Header=BB177_38 Depth=1
	v_cmp_gt_i32_e64 s0, s31, v109
	s_wait_loadcnt 0x0
	v_lshrrev_b32_e32 v0, 16, v1
	v_lshrrev_b32_e32 v5, 16, v2
	;; [unrolled: 1-line block ×4, first 2 shown]
	s_wait_alu 0xf1ff
	v_cndmask_b32_e64 v1, 0, v1, s0
	v_cmp_gt_i32_e64 s0, s8, v107
	s_wait_alu 0xf1ff
	s_delay_alu instid0(VALU_DEP_1) | instskip(SKIP_1) | instid1(VALU_DEP_2)
	v_cndmask_b32_e64 v0, 0, v0, s0
	v_cmp_gt_i32_e64 s0, s31, v108
	v_perm_b32 v1, v0, v1, 0x5040100
	s_wait_alu 0xf1ff
	s_delay_alu instid0(VALU_DEP_2) | instskip(SKIP_2) | instid1(VALU_DEP_1)
	v_cndmask_b32_e64 v2, 0, v2, s0
	v_cmp_gt_i32_e64 s0, s8, v106
	s_wait_alu 0xf1ff
	v_cndmask_b32_e64 v5, 0, v5, s0
	v_cmp_gt_i32_e64 s0, s31, v105
	s_delay_alu instid0(VALU_DEP_2) | instskip(SKIP_1) | instid1(VALU_DEP_2)
	v_perm_b32 v2, v5, v2, 0x5040100
	s_wait_alu 0xf1ff
	v_cndmask_b32_e64 v3, 0, v3, s0
	v_cmp_gt_i32_e64 s0, s8, v103
	s_wait_alu 0xf1ff
	s_delay_alu instid0(VALU_DEP_1) | instskip(SKIP_1) | instid1(VALU_DEP_2)
	v_cndmask_b32_e64 v6, 0, v6, s0
	v_cmp_gt_i32_e64 s0, s31, v104
	v_perm_b32 v3, v6, v3, 0x5040100
	s_wait_alu 0xf1ff
	s_delay_alu instid0(VALU_DEP_2) | instskip(SKIP_2) | instid1(VALU_DEP_1)
	v_cndmask_b32_e64 v4, 0, v4, s0
	v_cmp_gt_i32_e64 s0, s8, v102
	s_wait_alu 0xf1ff
	v_cndmask_b32_e64 v7, 0, v7, s0
	s_delay_alu instid0(VALU_DEP_1)
	v_perm_b32 v4, v7, v4, 0x5040100
	s_wait_alu 0xfffe
	s_or_b32 exec_lo, exec_lo, s11
	global_load_b128 v[5:8], v[21:22], off offset:512
	s_and_saveexec_b32 s11, vcc_lo
	s_cbranch_execz .LBB177_41
.LBB177_56:                             ;   in Loop: Header=BB177_38 Depth=1
	v_cmp_gt_i32_e64 s0, s31, v109
	s_wait_loadcnt 0x0
	v_lshrrev_b32_e32 v0, 16, v5
	v_lshrrev_b32_e32 v9, 16, v6
	;; [unrolled: 1-line block ×4, first 2 shown]
	s_wait_alu 0xf1ff
	v_cndmask_b32_e64 v5, 0, v5, s0
	v_cmp_gt_i32_e64 s0, s8, v107
	s_wait_alu 0xf1ff
	s_delay_alu instid0(VALU_DEP_1) | instskip(SKIP_1) | instid1(VALU_DEP_2)
	v_cndmask_b32_e64 v0, 0, v0, s0
	v_cmp_gt_i32_e64 s0, s31, v108
	v_perm_b32 v5, v0, v5, 0x5040100
	s_wait_alu 0xf1ff
	s_delay_alu instid0(VALU_DEP_2) | instskip(SKIP_2) | instid1(VALU_DEP_1)
	v_cndmask_b32_e64 v6, 0, v6, s0
	v_cmp_gt_i32_e64 s0, s8, v106
	s_wait_alu 0xf1ff
	v_cndmask_b32_e64 v9, 0, v9, s0
	v_cmp_gt_i32_e64 s0, s31, v105
	s_delay_alu instid0(VALU_DEP_2) | instskip(SKIP_1) | instid1(VALU_DEP_2)
	v_perm_b32 v6, v9, v6, 0x5040100
	s_wait_alu 0xf1ff
	v_cndmask_b32_e64 v7, 0, v7, s0
	v_cmp_gt_i32_e64 s0, s8, v103
	s_wait_alu 0xf1ff
	s_delay_alu instid0(VALU_DEP_1) | instskip(SKIP_1) | instid1(VALU_DEP_2)
	v_cndmask_b32_e64 v10, 0, v10, s0
	v_cmp_gt_i32_e64 s0, s31, v104
	v_perm_b32 v7, v10, v7, 0x5040100
	s_wait_alu 0xf1ff
	s_delay_alu instid0(VALU_DEP_2) | instskip(SKIP_2) | instid1(VALU_DEP_1)
	v_cndmask_b32_e64 v8, 0, v8, s0
	v_cmp_gt_i32_e64 s0, s8, v102
	s_wait_alu 0xf1ff
	v_cndmask_b32_e64 v11, 0, v11, s0
	s_delay_alu instid0(VALU_DEP_1)
	v_perm_b32 v8, v11, v8, 0x5040100
	s_wait_alu 0xfffe
	s_or_b32 exec_lo, exec_lo, s11
	global_load_b128 v[9:12], v[21:22], off offset:1024
	s_and_saveexec_b32 s11, vcc_lo
	s_cbranch_execz .LBB177_42
.LBB177_57:                             ;   in Loop: Header=BB177_38 Depth=1
	v_cmp_gt_i32_e64 s0, s31, v109
	s_wait_loadcnt 0x0
	v_lshrrev_b32_e32 v0, 16, v9
	v_lshrrev_b32_e32 v13, 16, v10
	;; [unrolled: 1-line block ×4, first 2 shown]
	s_wait_alu 0xf1ff
	v_cndmask_b32_e64 v9, 0, v9, s0
	v_cmp_gt_i32_e64 s0, s8, v107
	s_wait_alu 0xf1ff
	s_delay_alu instid0(VALU_DEP_1) | instskip(SKIP_1) | instid1(VALU_DEP_2)
	v_cndmask_b32_e64 v0, 0, v0, s0
	v_cmp_gt_i32_e64 s0, s31, v108
	v_perm_b32 v9, v0, v9, 0x5040100
	s_wait_alu 0xf1ff
	s_delay_alu instid0(VALU_DEP_2) | instskip(SKIP_2) | instid1(VALU_DEP_1)
	v_cndmask_b32_e64 v10, 0, v10, s0
	v_cmp_gt_i32_e64 s0, s8, v106
	s_wait_alu 0xf1ff
	v_cndmask_b32_e64 v13, 0, v13, s0
	v_cmp_gt_i32_e64 s0, s31, v105
	s_delay_alu instid0(VALU_DEP_2) | instskip(SKIP_1) | instid1(VALU_DEP_2)
	v_perm_b32 v10, v13, v10, 0x5040100
	s_wait_alu 0xf1ff
	v_cndmask_b32_e64 v11, 0, v11, s0
	v_cmp_gt_i32_e64 s0, s8, v103
	s_wait_alu 0xf1ff
	s_delay_alu instid0(VALU_DEP_1) | instskip(SKIP_1) | instid1(VALU_DEP_2)
	v_cndmask_b32_e64 v14, 0, v14, s0
	v_cmp_gt_i32_e64 s0, s31, v104
	v_perm_b32 v11, v14, v11, 0x5040100
	s_wait_alu 0xf1ff
	s_delay_alu instid0(VALU_DEP_2) | instskip(SKIP_2) | instid1(VALU_DEP_1)
	v_cndmask_b32_e64 v12, 0, v12, s0
	v_cmp_gt_i32_e64 s0, s8, v102
	s_wait_alu 0xf1ff
	v_cndmask_b32_e64 v15, 0, v15, s0
	s_delay_alu instid0(VALU_DEP_1)
	v_perm_b32 v12, v15, v12, 0x5040100
	s_wait_alu 0xfffe
	s_or_b32 exec_lo, exec_lo, s11
	global_load_b128 v[13:16], v[21:22], off offset:1536
	s_and_saveexec_b32 s11, vcc_lo
	s_cbranch_execz .LBB177_43
.LBB177_58:                             ;   in Loop: Header=BB177_38 Depth=1
	v_cmp_gt_i32_e64 s0, s31, v109
	s_wait_loadcnt 0x0
	v_lshrrev_b32_e32 v0, 16, v13
	v_lshrrev_b32_e32 v17, 16, v14
	v_lshrrev_b32_e32 v18, 16, v15
	v_lshrrev_b32_e32 v19, 16, v16
	s_wait_alu 0xf1ff
	v_cndmask_b32_e64 v13, 0, v13, s0
	v_cmp_gt_i32_e64 s0, s8, v107
	s_wait_alu 0xf1ff
	s_delay_alu instid0(VALU_DEP_1) | instskip(SKIP_1) | instid1(VALU_DEP_2)
	v_cndmask_b32_e64 v0, 0, v0, s0
	v_cmp_gt_i32_e64 s0, s31, v108
	v_perm_b32 v13, v0, v13, 0x5040100
	s_wait_alu 0xf1ff
	s_delay_alu instid0(VALU_DEP_2) | instskip(SKIP_2) | instid1(VALU_DEP_1)
	v_cndmask_b32_e64 v14, 0, v14, s0
	v_cmp_gt_i32_e64 s0, s8, v106
	s_wait_alu 0xf1ff
	v_cndmask_b32_e64 v17, 0, v17, s0
	v_cmp_gt_i32_e64 s0, s31, v105
	s_delay_alu instid0(VALU_DEP_2) | instskip(SKIP_1) | instid1(VALU_DEP_2)
	v_perm_b32 v14, v17, v14, 0x5040100
	s_wait_alu 0xf1ff
	v_cndmask_b32_e64 v15, 0, v15, s0
	v_cmp_gt_i32_e64 s0, s8, v103
	s_wait_alu 0xf1ff
	s_delay_alu instid0(VALU_DEP_1) | instskip(SKIP_1) | instid1(VALU_DEP_2)
	v_cndmask_b32_e64 v18, 0, v18, s0
	v_cmp_gt_i32_e64 s0, s31, v104
	v_perm_b32 v15, v18, v15, 0x5040100
	s_wait_alu 0xf1ff
	s_delay_alu instid0(VALU_DEP_2) | instskip(SKIP_2) | instid1(VALU_DEP_1)
	v_cndmask_b32_e64 v16, 0, v16, s0
	v_cmp_gt_i32_e64 s0, s8, v102
	s_wait_alu 0xf1ff
	v_cndmask_b32_e64 v19, 0, v19, s0
	s_delay_alu instid0(VALU_DEP_1)
	v_perm_b32 v16, v19, v16, 0x5040100
	s_wait_alu 0xfffe
	s_or_b32 exec_lo, exec_lo, s11
	global_load_b128 v[17:20], v[21:22], off offset:2048
	s_and_saveexec_b32 s11, vcc_lo
	s_cbranch_execz .LBB177_44
.LBB177_59:                             ;   in Loop: Header=BB177_38 Depth=1
	v_cmp_gt_i32_e64 s0, s31, v109
	s_wait_loadcnt 0x0
	v_lshrrev_b32_e32 v0, 16, v17
	v_lshrrev_b32_e32 v23, 16, v18
	v_lshrrev_b32_e32 v24, 16, v19
	v_lshrrev_b32_e32 v25, 16, v20
	s_wait_alu 0xf1ff
	v_cndmask_b32_e64 v17, 0, v17, s0
	v_cmp_gt_i32_e64 s0, s8, v107
	s_wait_alu 0xf1ff
	s_delay_alu instid0(VALU_DEP_1) | instskip(SKIP_1) | instid1(VALU_DEP_2)
	v_cndmask_b32_e64 v0, 0, v0, s0
	v_cmp_gt_i32_e64 s0, s31, v108
	v_perm_b32 v17, v0, v17, 0x5040100
	s_wait_alu 0xf1ff
	s_delay_alu instid0(VALU_DEP_2) | instskip(SKIP_2) | instid1(VALU_DEP_1)
	v_cndmask_b32_e64 v18, 0, v18, s0
	v_cmp_gt_i32_e64 s0, s8, v106
	s_wait_alu 0xf1ff
	v_cndmask_b32_e64 v23, 0, v23, s0
	v_cmp_gt_i32_e64 s0, s31, v105
	s_delay_alu instid0(VALU_DEP_2) | instskip(SKIP_1) | instid1(VALU_DEP_2)
	v_perm_b32 v18, v23, v18, 0x5040100
	s_wait_alu 0xf1ff
	v_cndmask_b32_e64 v19, 0, v19, s0
	v_cmp_gt_i32_e64 s0, s8, v103
	s_wait_alu 0xf1ff
	s_delay_alu instid0(VALU_DEP_1) | instskip(SKIP_1) | instid1(VALU_DEP_2)
	v_cndmask_b32_e64 v24, 0, v24, s0
	v_cmp_gt_i32_e64 s0, s31, v104
	v_perm_b32 v19, v24, v19, 0x5040100
	s_wait_alu 0xf1ff
	s_delay_alu instid0(VALU_DEP_2) | instskip(SKIP_2) | instid1(VALU_DEP_1)
	v_cndmask_b32_e64 v20, 0, v20, s0
	v_cmp_gt_i32_e64 s0, s8, v102
	s_wait_alu 0xf1ff
	v_cndmask_b32_e64 v25, 0, v25, s0
	s_delay_alu instid0(VALU_DEP_1)
	v_perm_b32 v20, v25, v20, 0x5040100
	s_wait_alu 0xfffe
	s_or_b32 exec_lo, exec_lo, s11
	global_load_b128 v[25:28], v[21:22], off offset:2560
	s_and_saveexec_b32 s11, vcc_lo
	s_cbranch_execz .LBB177_45
.LBB177_60:                             ;   in Loop: Header=BB177_38 Depth=1
	v_cmp_gt_i32_e64 s0, s31, v109
	s_wait_loadcnt 0x0
	v_lshrrev_b32_e32 v0, 16, v25
	v_lshrrev_b32_e32 v24, 16, v26
	;; [unrolled: 1-line block ×3, first 2 shown]
	s_wait_alu 0xf1ff
	v_cndmask_b32_e64 v23, 0, v25, s0
	v_cmp_gt_i32_e64 s0, s8, v107
	v_lshrrev_b32_e32 v25, 16, v27
	s_wait_alu 0xf1ff
	s_delay_alu instid0(VALU_DEP_2) | instskip(SKIP_2) | instid1(VALU_DEP_1)
	v_cndmask_b32_e64 v0, 0, v0, s0
	v_cmp_gt_i32_e64 s0, s31, v108
	s_wait_alu 0xf1ff
	v_cndmask_b32_e64 v26, 0, v26, s0
	v_cmp_gt_i32_e64 s0, s8, v106
	s_wait_alu 0xf1ff
	s_delay_alu instid0(VALU_DEP_1) | instskip(SKIP_1) | instid1(VALU_DEP_2)
	v_cndmask_b32_e64 v24, 0, v24, s0
	v_cmp_gt_i32_e64 s0, s31, v105
	v_perm_b32 v26, v24, v26, 0x5040100
	s_wait_alu 0xf1ff
	s_delay_alu instid0(VALU_DEP_2) | instskip(SKIP_2) | instid1(VALU_DEP_1)
	v_cndmask_b32_e64 v27, 0, v27, s0
	v_cmp_gt_i32_e64 s0, s8, v103
	s_wait_alu 0xf1ff
	v_cndmask_b32_e64 v30, 0, v25, s0
	v_cmp_gt_i32_e64 s0, s31, v104
	v_perm_b32 v25, v0, v23, 0x5040100
	s_delay_alu instid0(VALU_DEP_3) | instskip(SKIP_1) | instid1(VALU_DEP_3)
	v_perm_b32 v27, v30, v27, 0x5040100
	s_wait_alu 0xf1ff
	v_cndmask_b32_e64 v28, 0, v28, s0
	v_cmp_gt_i32_e64 s0, s8, v102
	s_wait_alu 0xf1ff
	s_delay_alu instid0(VALU_DEP_1) | instskip(NEXT) | instid1(VALU_DEP_1)
	v_cndmask_b32_e64 v29, 0, v29, s0
	v_perm_b32 v28, v29, v28, 0x5040100
	s_wait_alu 0xfffe
	s_or_b32 exec_lo, exec_lo, s11
	global_load_b128 v[29:32], v[21:22], off offset:3072
	s_and_saveexec_b32 s11, vcc_lo
	s_cbranch_execz .LBB177_46
.LBB177_61:                             ;   in Loop: Header=BB177_38 Depth=1
	v_cmp_gt_i32_e64 s0, s31, v109
	s_wait_loadcnt 0x0
	v_lshrrev_b32_e32 v0, 16, v29
	v_lshrrev_b32_e32 v24, 16, v30
	;; [unrolled: 1-line block ×3, first 2 shown]
	s_wait_alu 0xf1ff
	v_cndmask_b32_e64 v23, 0, v29, s0
	v_cmp_gt_i32_e64 s0, s8, v107
	v_lshrrev_b32_e32 v29, 16, v31
	s_wait_alu 0xf1ff
	s_delay_alu instid0(VALU_DEP_2) | instskip(SKIP_2) | instid1(VALU_DEP_1)
	v_cndmask_b32_e64 v0, 0, v0, s0
	v_cmp_gt_i32_e64 s0, s31, v108
	s_wait_alu 0xf1ff
	v_cndmask_b32_e64 v30, 0, v30, s0
	v_cmp_gt_i32_e64 s0, s8, v106
	s_wait_alu 0xf1ff
	s_delay_alu instid0(VALU_DEP_1) | instskip(SKIP_1) | instid1(VALU_DEP_2)
	v_cndmask_b32_e64 v24, 0, v24, s0
	v_cmp_gt_i32_e64 s0, s31, v105
	v_perm_b32 v30, v24, v30, 0x5040100
	s_wait_alu 0xf1ff
	s_delay_alu instid0(VALU_DEP_2) | instskip(SKIP_2) | instid1(VALU_DEP_1)
	v_cndmask_b32_e64 v31, 0, v31, s0
	v_cmp_gt_i32_e64 s0, s8, v103
	s_wait_alu 0xf1ff
	v_cndmask_b32_e64 v34, 0, v29, s0
	v_cmp_gt_i32_e64 s0, s31, v104
	v_perm_b32 v29, v0, v23, 0x5040100
	s_delay_alu instid0(VALU_DEP_3) | instskip(SKIP_1) | instid1(VALU_DEP_3)
	v_perm_b32 v31, v34, v31, 0x5040100
	s_wait_alu 0xf1ff
	v_cndmask_b32_e64 v32, 0, v32, s0
	v_cmp_gt_i32_e64 s0, s8, v102
	s_wait_alu 0xf1ff
	s_delay_alu instid0(VALU_DEP_1) | instskip(NEXT) | instid1(VALU_DEP_1)
	v_cndmask_b32_e64 v33, 0, v33, s0
	v_perm_b32 v32, v33, v32, 0x5040100
	s_wait_alu 0xfffe
	s_or_b32 exec_lo, exec_lo, s11
	global_load_b128 v[33:36], v[21:22], off offset:3584
	s_and_saveexec_b32 s11, vcc_lo
	s_cbranch_execz .LBB177_47
.LBB177_62:                             ;   in Loop: Header=BB177_38 Depth=1
	v_cmp_gt_i32_e64 s0, s31, v109
	s_wait_loadcnt 0x0
	v_lshrrev_b32_e32 v0, 16, v33
	v_lshrrev_b32_e32 v24, 16, v34
	;; [unrolled: 1-line block ×3, first 2 shown]
	s_wait_alu 0xf1ff
	v_cndmask_b32_e64 v23, 0, v33, s0
	v_cmp_gt_i32_e64 s0, s8, v107
	v_lshrrev_b32_e32 v33, 16, v35
	s_wait_alu 0xf1ff
	s_delay_alu instid0(VALU_DEP_2) | instskip(SKIP_2) | instid1(VALU_DEP_1)
	v_cndmask_b32_e64 v0, 0, v0, s0
	v_cmp_gt_i32_e64 s0, s31, v108
	s_wait_alu 0xf1ff
	v_cndmask_b32_e64 v34, 0, v34, s0
	v_cmp_gt_i32_e64 s0, s8, v106
	s_wait_alu 0xf1ff
	s_delay_alu instid0(VALU_DEP_1) | instskip(SKIP_1) | instid1(VALU_DEP_2)
	v_cndmask_b32_e64 v24, 0, v24, s0
	v_cmp_gt_i32_e64 s0, s31, v105
	v_perm_b32 v34, v24, v34, 0x5040100
	s_wait_alu 0xf1ff
	s_delay_alu instid0(VALU_DEP_2) | instskip(SKIP_2) | instid1(VALU_DEP_1)
	v_cndmask_b32_e64 v35, 0, v35, s0
	v_cmp_gt_i32_e64 s0, s8, v103
	s_wait_alu 0xf1ff
	v_cndmask_b32_e64 v38, 0, v33, s0
	v_cmp_gt_i32_e64 s0, s31, v104
	v_perm_b32 v33, v0, v23, 0x5040100
	s_delay_alu instid0(VALU_DEP_3) | instskip(SKIP_1) | instid1(VALU_DEP_3)
	v_perm_b32 v35, v38, v35, 0x5040100
	s_wait_alu 0xf1ff
	v_cndmask_b32_e64 v36, 0, v36, s0
	v_cmp_gt_i32_e64 s0, s8, v102
	s_wait_alu 0xf1ff
	s_delay_alu instid0(VALU_DEP_1) | instskip(NEXT) | instid1(VALU_DEP_1)
	v_cndmask_b32_e64 v37, 0, v37, s0
	v_perm_b32 v36, v37, v36, 0x5040100
	s_wait_alu 0xfffe
	s_or_b32 exec_lo, exec_lo, s11
	global_load_b128 v[37:40], v[21:22], off offset:4096
	s_and_saveexec_b32 s11, vcc_lo
	s_cbranch_execz .LBB177_48
.LBB177_63:                             ;   in Loop: Header=BB177_38 Depth=1
	v_cmp_gt_i32_e64 s0, s31, v109
	s_wait_loadcnt 0x0
	v_lshrrev_b32_e32 v0, 16, v37
	v_lshrrev_b32_e32 v24, 16, v38
	;; [unrolled: 1-line block ×3, first 2 shown]
	s_wait_alu 0xf1ff
	v_cndmask_b32_e64 v23, 0, v37, s0
	v_cmp_gt_i32_e64 s0, s8, v107
	v_lshrrev_b32_e32 v37, 16, v39
	s_wait_alu 0xf1ff
	s_delay_alu instid0(VALU_DEP_2) | instskip(SKIP_2) | instid1(VALU_DEP_1)
	v_cndmask_b32_e64 v0, 0, v0, s0
	v_cmp_gt_i32_e64 s0, s31, v108
	s_wait_alu 0xf1ff
	v_cndmask_b32_e64 v38, 0, v38, s0
	v_cmp_gt_i32_e64 s0, s8, v106
	s_wait_alu 0xf1ff
	s_delay_alu instid0(VALU_DEP_1) | instskip(SKIP_1) | instid1(VALU_DEP_2)
	v_cndmask_b32_e64 v24, 0, v24, s0
	v_cmp_gt_i32_e64 s0, s31, v105
	v_perm_b32 v38, v24, v38, 0x5040100
	s_wait_alu 0xf1ff
	s_delay_alu instid0(VALU_DEP_2) | instskip(SKIP_2) | instid1(VALU_DEP_1)
	v_cndmask_b32_e64 v39, 0, v39, s0
	v_cmp_gt_i32_e64 s0, s8, v103
	s_wait_alu 0xf1ff
	v_cndmask_b32_e64 v42, 0, v37, s0
	v_cmp_gt_i32_e64 s0, s31, v104
	v_perm_b32 v37, v0, v23, 0x5040100
	s_delay_alu instid0(VALU_DEP_3) | instskip(SKIP_1) | instid1(VALU_DEP_3)
	v_perm_b32 v39, v42, v39, 0x5040100
	s_wait_alu 0xf1ff
	v_cndmask_b32_e64 v40, 0, v40, s0
	v_cmp_gt_i32_e64 s0, s8, v102
	s_wait_alu 0xf1ff
	s_delay_alu instid0(VALU_DEP_1) | instskip(NEXT) | instid1(VALU_DEP_1)
	v_cndmask_b32_e64 v41, 0, v41, s0
	v_perm_b32 v40, v41, v40, 0x5040100
	s_wait_alu 0xfffe
	s_or_b32 exec_lo, exec_lo, s11
	global_load_b128 v[41:44], v[21:22], off offset:4608
	s_and_saveexec_b32 s11, vcc_lo
	s_cbranch_execz .LBB177_49
.LBB177_64:                             ;   in Loop: Header=BB177_38 Depth=1
	v_cmp_gt_i32_e64 s0, s31, v109
	s_wait_loadcnt 0x0
	v_lshrrev_b32_e32 v0, 16, v41
	v_lshrrev_b32_e32 v24, 16, v42
	v_lshrrev_b32_e32 v53, 16, v44
	s_wait_alu 0xf1ff
	v_cndmask_b32_e64 v23, 0, v41, s0
	v_cmp_gt_i32_e64 s0, s8, v107
	v_lshrrev_b32_e32 v41, 16, v43
	s_wait_alu 0xf1ff
	s_delay_alu instid0(VALU_DEP_2) | instskip(SKIP_2) | instid1(VALU_DEP_1)
	v_cndmask_b32_e64 v0, 0, v0, s0
	v_cmp_gt_i32_e64 s0, s31, v108
	s_wait_alu 0xf1ff
	v_cndmask_b32_e64 v42, 0, v42, s0
	v_cmp_gt_i32_e64 s0, s8, v106
	s_wait_alu 0xf1ff
	s_delay_alu instid0(VALU_DEP_1) | instskip(SKIP_1) | instid1(VALU_DEP_2)
	v_cndmask_b32_e64 v24, 0, v24, s0
	v_cmp_gt_i32_e64 s0, s31, v105
	v_perm_b32 v42, v24, v42, 0x5040100
	s_wait_alu 0xf1ff
	s_delay_alu instid0(VALU_DEP_2) | instskip(SKIP_2) | instid1(VALU_DEP_1)
	v_cndmask_b32_e64 v43, 0, v43, s0
	v_cmp_gt_i32_e64 s0, s8, v103
	s_wait_alu 0xf1ff
	v_cndmask_b32_e64 v54, 0, v41, s0
	v_cmp_gt_i32_e64 s0, s31, v104
	v_perm_b32 v41, v0, v23, 0x5040100
	s_delay_alu instid0(VALU_DEP_3) | instskip(SKIP_1) | instid1(VALU_DEP_3)
	v_perm_b32 v43, v54, v43, 0x5040100
	s_wait_alu 0xf1ff
	v_cndmask_b32_e64 v44, 0, v44, s0
	v_cmp_gt_i32_e64 s0, s8, v102
	s_wait_alu 0xf1ff
	s_delay_alu instid0(VALU_DEP_1) | instskip(NEXT) | instid1(VALU_DEP_1)
	v_cndmask_b32_e64 v53, 0, v53, s0
	v_perm_b32 v44, v53, v44, 0x5040100
	s_wait_alu 0xfffe
	s_or_b32 exec_lo, exec_lo, s11
	global_load_b128 v[53:56], v[21:22], off offset:5120
	s_and_saveexec_b32 s11, vcc_lo
	s_cbranch_execz .LBB177_50
.LBB177_65:                             ;   in Loop: Header=BB177_38 Depth=1
	v_cmp_gt_i32_e64 s0, s31, v109
	s_wait_loadcnt 0x0
	v_lshrrev_b32_e32 v0, 16, v53
	v_lshrrev_b32_e32 v24, 16, v54
	;; [unrolled: 1-line block ×3, first 2 shown]
	s_wait_alu 0xf1ff
	v_cndmask_b32_e64 v23, 0, v53, s0
	v_cmp_gt_i32_e64 s0, s8, v107
	v_lshrrev_b32_e32 v53, 16, v55
	s_wait_alu 0xf1ff
	s_delay_alu instid0(VALU_DEP_2) | instskip(SKIP_2) | instid1(VALU_DEP_1)
	v_cndmask_b32_e64 v0, 0, v0, s0
	v_cmp_gt_i32_e64 s0, s31, v108
	s_wait_alu 0xf1ff
	v_cndmask_b32_e64 v54, 0, v54, s0
	v_cmp_gt_i32_e64 s0, s8, v106
	s_wait_alu 0xf1ff
	s_delay_alu instid0(VALU_DEP_1) | instskip(SKIP_1) | instid1(VALU_DEP_2)
	v_cndmask_b32_e64 v24, 0, v24, s0
	v_cmp_gt_i32_e64 s0, s31, v105
	v_perm_b32 v54, v24, v54, 0x5040100
	s_wait_alu 0xf1ff
	s_delay_alu instid0(VALU_DEP_2) | instskip(SKIP_2) | instid1(VALU_DEP_1)
	v_cndmask_b32_e64 v55, 0, v55, s0
	v_cmp_gt_i32_e64 s0, s8, v103
	s_wait_alu 0xf1ff
	v_cndmask_b32_e64 v58, 0, v53, s0
	v_cmp_gt_i32_e64 s0, s31, v104
	v_perm_b32 v53, v0, v23, 0x5040100
	s_delay_alu instid0(VALU_DEP_3) | instskip(SKIP_1) | instid1(VALU_DEP_3)
	v_perm_b32 v55, v58, v55, 0x5040100
	s_wait_alu 0xf1ff
	v_cndmask_b32_e64 v56, 0, v56, s0
	v_cmp_gt_i32_e64 s0, s8, v102
	s_wait_alu 0xf1ff
	s_delay_alu instid0(VALU_DEP_1) | instskip(NEXT) | instid1(VALU_DEP_1)
	v_cndmask_b32_e64 v57, 0, v57, s0
	v_perm_b32 v56, v57, v56, 0x5040100
	s_wait_alu 0xfffe
	s_or_b32 exec_lo, exec_lo, s11
	global_load_b128 v[57:60], v[21:22], off offset:5632
	s_and_saveexec_b32 s11, vcc_lo
	s_cbranch_execz .LBB177_51
.LBB177_66:                             ;   in Loop: Header=BB177_38 Depth=1
	v_cmp_gt_i32_e64 s0, s31, v109
	s_wait_loadcnt 0x0
	v_lshrrev_b32_e32 v0, 16, v57
	v_lshrrev_b32_e32 v24, 16, v58
	;; [unrolled: 1-line block ×3, first 2 shown]
	s_wait_alu 0xf1ff
	v_cndmask_b32_e64 v23, 0, v57, s0
	v_cmp_gt_i32_e64 s0, s8, v107
	v_lshrrev_b32_e32 v57, 16, v59
	s_wait_alu 0xf1ff
	s_delay_alu instid0(VALU_DEP_2) | instskip(SKIP_2) | instid1(VALU_DEP_1)
	v_cndmask_b32_e64 v0, 0, v0, s0
	v_cmp_gt_i32_e64 s0, s31, v108
	s_wait_alu 0xf1ff
	v_cndmask_b32_e64 v58, 0, v58, s0
	v_cmp_gt_i32_e64 s0, s8, v106
	s_wait_alu 0xf1ff
	s_delay_alu instid0(VALU_DEP_1) | instskip(SKIP_1) | instid1(VALU_DEP_2)
	v_cndmask_b32_e64 v24, 0, v24, s0
	v_cmp_gt_i32_e64 s0, s31, v105
	v_perm_b32 v58, v24, v58, 0x5040100
	s_wait_alu 0xf1ff
	s_delay_alu instid0(VALU_DEP_2) | instskip(SKIP_2) | instid1(VALU_DEP_1)
	v_cndmask_b32_e64 v59, 0, v59, s0
	v_cmp_gt_i32_e64 s0, s8, v103
	s_wait_alu 0xf1ff
	v_cndmask_b32_e64 v62, 0, v57, s0
	v_cmp_gt_i32_e64 s0, s31, v104
	v_perm_b32 v57, v0, v23, 0x5040100
	s_delay_alu instid0(VALU_DEP_3) | instskip(SKIP_1) | instid1(VALU_DEP_3)
	v_perm_b32 v59, v62, v59, 0x5040100
	s_wait_alu 0xf1ff
	v_cndmask_b32_e64 v60, 0, v60, s0
	v_cmp_gt_i32_e64 s0, s8, v102
	s_wait_alu 0xf1ff
	s_delay_alu instid0(VALU_DEP_1) | instskip(NEXT) | instid1(VALU_DEP_1)
	v_cndmask_b32_e64 v61, 0, v61, s0
	v_perm_b32 v60, v61, v60, 0x5040100
	s_wait_alu 0xfffe
	s_or_b32 exec_lo, exec_lo, s11
	global_load_b128 v[61:64], v[21:22], off offset:6144
	s_and_saveexec_b32 s11, vcc_lo
	s_cbranch_execz .LBB177_52
.LBB177_67:                             ;   in Loop: Header=BB177_38 Depth=1
	v_cmp_gt_i32_e64 s0, s31, v109
	s_wait_loadcnt 0x0
	v_lshrrev_b32_e32 v0, 16, v61
	v_lshrrev_b32_e32 v24, 16, v62
	;; [unrolled: 1-line block ×3, first 2 shown]
	s_wait_alu 0xf1ff
	v_cndmask_b32_e64 v23, 0, v61, s0
	v_cmp_gt_i32_e64 s0, s8, v107
	v_lshrrev_b32_e32 v61, 16, v63
	s_wait_alu 0xf1ff
	s_delay_alu instid0(VALU_DEP_2) | instskip(SKIP_2) | instid1(VALU_DEP_1)
	v_cndmask_b32_e64 v0, 0, v0, s0
	v_cmp_gt_i32_e64 s0, s31, v108
	s_wait_alu 0xf1ff
	v_cndmask_b32_e64 v62, 0, v62, s0
	v_cmp_gt_i32_e64 s0, s8, v106
	s_wait_alu 0xf1ff
	s_delay_alu instid0(VALU_DEP_1) | instskip(SKIP_1) | instid1(VALU_DEP_2)
	v_cndmask_b32_e64 v24, 0, v24, s0
	v_cmp_gt_i32_e64 s0, s31, v105
	v_perm_b32 v62, v24, v62, 0x5040100
	s_wait_alu 0xf1ff
	s_delay_alu instid0(VALU_DEP_2) | instskip(SKIP_2) | instid1(VALU_DEP_1)
	v_cndmask_b32_e64 v63, 0, v63, s0
	v_cmp_gt_i32_e64 s0, s8, v103
	s_wait_alu 0xf1ff
	v_cndmask_b32_e64 v66, 0, v61, s0
	v_cmp_gt_i32_e64 s0, s31, v104
	v_perm_b32 v61, v0, v23, 0x5040100
	s_delay_alu instid0(VALU_DEP_3) | instskip(SKIP_1) | instid1(VALU_DEP_3)
	v_perm_b32 v63, v66, v63, 0x5040100
	s_wait_alu 0xf1ff
	v_cndmask_b32_e64 v64, 0, v64, s0
	v_cmp_gt_i32_e64 s0, s8, v102
	s_wait_alu 0xf1ff
	s_delay_alu instid0(VALU_DEP_1) | instskip(NEXT) | instid1(VALU_DEP_1)
	v_cndmask_b32_e64 v65, 0, v65, s0
	v_perm_b32 v64, v65, v64, 0x5040100
	s_wait_alu 0xfffe
	s_or_b32 exec_lo, exec_lo, s11
	global_load_b128 v[65:68], v[21:22], off offset:6656
	s_and_saveexec_b32 s11, vcc_lo
	s_cbranch_execz .LBB177_53
.LBB177_68:                             ;   in Loop: Header=BB177_38 Depth=1
	v_cmp_gt_i32_e64 s0, s31, v109
	s_wait_loadcnt 0x0
	v_lshrrev_b32_e32 v0, 16, v65
	v_lshrrev_b32_e32 v24, 16, v66
	;; [unrolled: 1-line block ×3, first 2 shown]
	s_wait_alu 0xf1ff
	v_cndmask_b32_e64 v23, 0, v65, s0
	v_cmp_gt_i32_e64 s0, s8, v107
	v_lshrrev_b32_e32 v65, 16, v67
	s_wait_alu 0xf1ff
	s_delay_alu instid0(VALU_DEP_2) | instskip(SKIP_2) | instid1(VALU_DEP_1)
	v_cndmask_b32_e64 v0, 0, v0, s0
	v_cmp_gt_i32_e64 s0, s31, v108
	s_wait_alu 0xf1ff
	v_cndmask_b32_e64 v66, 0, v66, s0
	v_cmp_gt_i32_e64 s0, s8, v106
	s_wait_alu 0xf1ff
	s_delay_alu instid0(VALU_DEP_1) | instskip(SKIP_1) | instid1(VALU_DEP_2)
	v_cndmask_b32_e64 v24, 0, v24, s0
	v_cmp_gt_i32_e64 s0, s31, v105
	v_perm_b32 v66, v24, v66, 0x5040100
	s_wait_alu 0xf1ff
	s_delay_alu instid0(VALU_DEP_2) | instskip(SKIP_2) | instid1(VALU_DEP_1)
	v_cndmask_b32_e64 v67, 0, v67, s0
	v_cmp_gt_i32_e64 s0, s8, v103
	s_wait_alu 0xf1ff
	v_cndmask_b32_e64 v70, 0, v65, s0
	v_cmp_gt_i32_e64 s0, s31, v104
	v_perm_b32 v65, v0, v23, 0x5040100
	s_delay_alu instid0(VALU_DEP_3) | instskip(SKIP_1) | instid1(VALU_DEP_3)
	v_perm_b32 v67, v70, v67, 0x5040100
	s_wait_alu 0xf1ff
	v_cndmask_b32_e64 v68, 0, v68, s0
	v_cmp_gt_i32_e64 s0, s8, v102
	s_wait_alu 0xf1ff
	s_delay_alu instid0(VALU_DEP_1) | instskip(NEXT) | instid1(VALU_DEP_1)
	v_cndmask_b32_e64 v69, 0, v69, s0
	v_perm_b32 v68, v69, v68, 0x5040100
	s_wait_alu 0xfffe
	s_or_b32 exec_lo, exec_lo, s11
	global_load_b128 v[69:72], v[21:22], off offset:7168
	s_and_saveexec_b32 s11, vcc_lo
	s_cbranch_execz .LBB177_54
.LBB177_69:                             ;   in Loop: Header=BB177_38 Depth=1
	v_cmp_gt_i32_e64 s0, s31, v109
	s_wait_loadcnt 0x0
	v_lshrrev_b32_e32 v0, 16, v69
	v_lshrrev_b32_e32 v24, 16, v70
	;; [unrolled: 1-line block ×3, first 2 shown]
	s_wait_alu 0xf1ff
	v_cndmask_b32_e64 v23, 0, v69, s0
	v_cmp_gt_i32_e64 s0, s8, v107
	v_lshrrev_b32_e32 v69, 16, v71
	s_wait_alu 0xf1ff
	s_delay_alu instid0(VALU_DEP_2) | instskip(SKIP_2) | instid1(VALU_DEP_1)
	v_cndmask_b32_e64 v0, 0, v0, s0
	v_cmp_gt_i32_e64 s0, s31, v108
	s_wait_alu 0xf1ff
	v_cndmask_b32_e64 v70, 0, v70, s0
	v_cmp_gt_i32_e64 s0, s8, v106
	s_wait_alu 0xf1ff
	s_delay_alu instid0(VALU_DEP_1) | instskip(SKIP_1) | instid1(VALU_DEP_2)
	v_cndmask_b32_e64 v24, 0, v24, s0
	v_cmp_gt_i32_e64 s0, s31, v105
	v_perm_b32 v70, v24, v70, 0x5040100
	s_wait_alu 0xf1ff
	s_delay_alu instid0(VALU_DEP_2) | instskip(SKIP_2) | instid1(VALU_DEP_1)
	v_cndmask_b32_e64 v71, 0, v71, s0
	v_cmp_gt_i32_e64 s0, s8, v103
	s_wait_alu 0xf1ff
	v_cndmask_b32_e64 v76, 0, v69, s0
	v_cmp_gt_i32_e64 s0, s31, v104
	v_perm_b32 v69, v0, v23, 0x5040100
	s_delay_alu instid0(VALU_DEP_3) | instskip(SKIP_1) | instid1(VALU_DEP_3)
	v_perm_b32 v71, v76, v71, 0x5040100
	s_wait_alu 0xf1ff
	v_cndmask_b32_e64 v72, 0, v72, s0
	v_cmp_gt_i32_e64 s0, s8, v102
	s_wait_alu 0xf1ff
	s_delay_alu instid0(VALU_DEP_1) | instskip(NEXT) | instid1(VALU_DEP_1)
	v_cndmask_b32_e64 v75, 0, v75, s0
	v_perm_b32 v72, v75, v72, 0x5040100
	s_wait_alu 0xfffe
	s_or_b32 exec_lo, exec_lo, s11
	global_load_b128 v[21:24], v[21:22], off offset:7680
	s_and_saveexec_b32 s0, vcc_lo
	s_cbranch_execz .LBB177_36
.LBB177_70:                             ;   in Loop: Header=BB177_38 Depth=1
	v_cmp_gt_i32_e32 vcc_lo, s31, v109
	s_wait_loadcnt 0x0
	v_lshrrev_b32_e32 v0, 16, v21
	v_lshrrev_b32_e32 v75, 16, v22
	;; [unrolled: 1-line block ×3, first 2 shown]
	s_wait_alu 0xfffd
	v_cndmask_b32_e32 v21, 0, v21, vcc_lo
	v_cmp_gt_i32_e32 vcc_lo, s8, v107
	s_wait_alu 0xfffd
	v_cndmask_b32_e32 v0, 0, v0, vcc_lo
	v_cmp_gt_i32_e32 vcc_lo, s31, v108
	s_delay_alu instid0(VALU_DEP_2)
	v_perm_b32 v21, v0, v21, 0x5040100
	s_wait_alu 0xfffd
	v_cndmask_b32_e32 v22, 0, v22, vcc_lo
	v_cmp_gt_i32_e32 vcc_lo, s8, v106
	s_wait_alu 0xfffd
	v_cndmask_b32_e32 v75, 0, v75, vcc_lo
	v_cmp_gt_i32_e32 vcc_lo, s31, v105
	v_lshrrev_b32_e32 v105, 16, v24
	s_delay_alu instid0(VALU_DEP_3)
	v_perm_b32 v22, v75, v22, 0x5040100
	s_wait_alu 0xfffd
	v_cndmask_b32_e32 v23, 0, v23, vcc_lo
	v_cmp_gt_i32_e32 vcc_lo, s8, v103
	s_wait_alu 0xfffd
	v_cndmask_b32_e32 v76, 0, v76, vcc_lo
	v_cmp_gt_i32_e32 vcc_lo, s31, v104
	s_delay_alu instid0(VALU_DEP_2)
	v_perm_b32 v23, v76, v23, 0x5040100
	s_wait_alu 0xfffd
	v_cndmask_b32_e32 v24, 0, v24, vcc_lo
	v_cmp_gt_i32_e32 vcc_lo, s8, v102
	s_wait_alu 0xfffd
	v_cndmask_b32_e32 v102, 0, v105, vcc_lo
	s_delay_alu instid0(VALU_DEP_1)
	v_perm_b32 v24, v102, v24, 0x5040100
	s_branch .LBB177_36
.LBB177_71:
	s_or_b32 exec_lo, exec_lo, s6
.LBB177_72:
	s_wait_alu 0xfffe
	s_or_b32 exec_lo, exec_lo, s1
	ds_bpermute_b32 v0, v80, v96
	ds_bpermute_b32 v6, v80, v91
	;; [unrolled: 1-line block ×16, first 2 shown]
	s_mov_b32 s0, exec_lo
	s_wait_dscnt 0xf
	v_add_f32_e32 v0, v96, v0
	s_wait_dscnt 0xd
	v_dual_add_f32 v6, v91, v6 :: v_dual_add_f32 v7, v90, v7
	s_wait_dscnt 0xb
	v_dual_add_f32 v8, v89, v8 :: v_dual_add_f32 v23, v88, v9
	s_wait_dscnt 0xa
	v_add_f32_e32 v1, v97, v1
	ds_bpermute_b32 v16, v79, v0
	ds_bpermute_b32 v9, v79, v7
	s_wait_dscnt 0xa
	v_add_f32_e32 v34, v82, v15
	ds_bpermute_b32 v27, v79, v23
	v_add_f32_e32 v30, v84, v13
	s_wait_dscnt 0x9
	v_dual_add_f32 v4, v93, v4 :: v_dual_add_f32 v5, v92, v5
	s_wait_dscnt 0x7
	v_dual_add_f32 v2, v95, v2 :: v_dual_add_f32 v3, v94, v3
	ds_bpermute_b32 v17, v79, v1
	s_wait_dscnt 0x6
	v_add_f32_e32 v24, v87, v10
	ds_bpermute_b32 v21, v79, v5
	v_add_f32_e32 v26, v86, v11
	ds_bpermute_b32 v19, v79, v3
	ds_bpermute_b32 v18, v79, v2
	s_wait_dscnt 0x8
	v_add_f32_e32 v28, v85, v12
	ds_bpermute_b32 v20, v79, v4
	ds_bpermute_b32 v22, v79, v6
	;; [unrolled: 1-line block ×3, first 2 shown]
	s_wait_dscnt 0x8
	v_add_f32_e32 v9, v7, v9
	ds_bpermute_b32 v37, v79, v34
	s_wait_dscnt 0x8
	v_add_f32_e32 v7, v23, v27
	ds_bpermute_b32 v35, v79, v30
	v_add_f32_e32 v16, v0, v16
	scratch_load_b32 v0, off, off th:TH_LOAD_LU ; 4-byte Folded Reload
	s_wait_storecnt 0x0
	s_wait_loadcnt_dscnt 0x0
	s_barrier_signal -1
	v_add_f32_e32 v15, v1, v17
	ds_bpermute_b32 v29, v79, v24
	v_add_f32_e32 v11, v5, v21
	ds_bpermute_b32 v31, v79, v26
	v_add_f32_e32 v32, v83, v14
	v_add_f32_e32 v13, v3, v19
	ds_bpermute_b32 v33, v79, v28
	v_add_f32_e32 v14, v2, v18
	v_dual_add_f32 v12, v4, v20 :: v_dual_and_b32 v19, 0x3c3, v110
	v_add_f32_e32 v8, v8, v25
	v_lshlrev_b32_e32 v18, 9, v183
	s_barrier_wait -1
	s_wait_dscnt 0x0
	global_inv scope:SCOPE_SE
	v_add_f32_e32 v3, v34, v37
	v_add_f32_e32 v1, v30, v35
	;; [unrolled: 1-line block ×3, first 2 shown]
	ds_bpermute_b32 v36, v79, v32
	v_add_f32_e32 v4, v28, v33
	s_wait_dscnt 0x0
	v_add_f32_e32 v2, v32, v36
	v_dual_add_f32 v10, v6, v22 :: v_dual_and_b32 v17, 28, v0
	v_add_f32_e32 v6, v24, v29
	v_lshrrev_b32_e32 v0, 2, v0
	s_delay_alu instid0(VALU_DEP_3)
	v_add_nc_u32_e32 v17, 0x120, v17
	v_cmpx_eq_u32_e32 64, v19
	s_cbranch_execz .LBB177_74
; %bb.73:
	s_delay_alu instid0(VALU_DEP_2) | instskip(NEXT) | instid1(VALU_DEP_1)
	v_add_nc_u32_e32 v19, v17, v18
	v_add_nc_u32_e32 v20, 0xfffffc00, v19
	;; [unrolled: 1-line block ×9, first 2 shown]
	ds_store_b32 v20, v16
	ds_store_b32 v21, v15
	;; [unrolled: 1-line block ×8, first 2 shown]
	v_add_nc_u32_e32 v20, 0xfffffd00, v19
	v_add_nc_u32_e32 v21, 0xfffffd20, v19
	;; [unrolled: 1-line block ×8, first 2 shown]
	ds_store_b32 v20, v8
	ds_store_b32 v21, v7
	;; [unrolled: 1-line block ×8, first 2 shown]
.LBB177_74:
	s_wait_alu 0xfffe
	s_or_b32 exec_lo, exec_lo, s0
	v_lshlrev_b32_e32 v0, 2, v0
	s_mov_b32 s1, exec_lo
	v_cmp_eq_u32_e32 vcc_lo, 0, v81
	s_wait_loadcnt_dscnt 0x0
	s_barrier_signal -1
	v_add3_u32 v0, 0x120, v18, v0
	s_barrier_wait -1
	global_inv scope:SCOPE_SE
	v_cmpx_gt_u32_e32 64, v110
	s_cbranch_execz .LBB177_93
; %bb.75:
	s_and_saveexec_b32 s0, vcc_lo
	s_cbranch_execnz .LBB177_117
; %bb.76:
	s_wait_alu 0xfffe
	s_or_b32 exec_lo, exec_lo, s0
	s_and_saveexec_b32 s0, vcc_lo
	s_cbranch_execnz .LBB177_118
.LBB177_77:
	s_wait_alu 0xfffe
	s_or_b32 exec_lo, exec_lo, s0
	s_and_saveexec_b32 s0, vcc_lo
	s_cbranch_execnz .LBB177_119
.LBB177_78:
	s_wait_alu 0xfffe
	s_or_b32 exec_lo, exec_lo, s0
	s_and_saveexec_b32 s0, vcc_lo
	s_cbranch_execnz .LBB177_120
.LBB177_79:
	s_wait_alu 0xfffe
	s_or_b32 exec_lo, exec_lo, s0
	s_and_saveexec_b32 s0, vcc_lo
	s_cbranch_execnz .LBB177_121
.LBB177_80:
	s_wait_alu 0xfffe
	s_or_b32 exec_lo, exec_lo, s0
	s_and_saveexec_b32 s0, vcc_lo
	s_cbranch_execnz .LBB177_122
.LBB177_81:
	s_wait_alu 0xfffe
	s_or_b32 exec_lo, exec_lo, s0
	s_and_saveexec_b32 s0, vcc_lo
	s_cbranch_execnz .LBB177_123
.LBB177_82:
	s_wait_alu 0xfffe
	s_or_b32 exec_lo, exec_lo, s0
	s_and_saveexec_b32 s0, vcc_lo
	s_cbranch_execnz .LBB177_124
.LBB177_83:
	s_wait_alu 0xfffe
	s_or_b32 exec_lo, exec_lo, s0
	s_and_saveexec_b32 s0, vcc_lo
	s_cbranch_execnz .LBB177_125
.LBB177_84:
	s_wait_alu 0xfffe
	s_or_b32 exec_lo, exec_lo, s0
	s_and_saveexec_b32 s0, vcc_lo
	s_cbranch_execnz .LBB177_126
.LBB177_85:
	s_wait_alu 0xfffe
	s_or_b32 exec_lo, exec_lo, s0
	s_and_saveexec_b32 s0, vcc_lo
	s_cbranch_execnz .LBB177_127
.LBB177_86:
	s_wait_alu 0xfffe
	s_or_b32 exec_lo, exec_lo, s0
	s_and_saveexec_b32 s0, vcc_lo
	s_cbranch_execnz .LBB177_128
.LBB177_87:
	s_wait_alu 0xfffe
	s_or_b32 exec_lo, exec_lo, s0
	s_and_saveexec_b32 s0, vcc_lo
	s_cbranch_execnz .LBB177_129
.LBB177_88:
	s_wait_alu 0xfffe
	s_or_b32 exec_lo, exec_lo, s0
	s_and_saveexec_b32 s0, vcc_lo
	s_cbranch_execnz .LBB177_130
.LBB177_89:
	s_wait_alu 0xfffe
	s_or_b32 exec_lo, exec_lo, s0
	s_and_saveexec_b32 s0, vcc_lo
	s_cbranch_execnz .LBB177_131
.LBB177_90:
	s_wait_alu 0xfffe
	s_or_b32 exec_lo, exec_lo, s0
	s_and_saveexec_b32 s0, vcc_lo
	s_cbranch_execz .LBB177_92
.LBB177_91:
	ds_load_b32 v18, v0 offset:480
	s_wait_dscnt 0x0
	v_add_f32_e32 v3, v3, v18
.LBB177_92:
	s_wait_alu 0xfffe
	s_or_b32 exec_lo, exec_lo, s0
.LBB177_93:
	s_wait_alu 0xfffe
	s_or_b32 exec_lo, exec_lo, s1
	v_and_b32_e32 v18, 0x3e3, v110
	s_mov_b32 s1, exec_lo
	s_wait_loadcnt 0x0
	s_barrier_signal -1
	s_barrier_wait -1
	global_inv scope:SCOPE_SE
	v_cmpx_eq_u32_e32 32, v18
	s_cbranch_execz .LBB177_95
; %bb.94:
	ds_store_2addr_b32 v17, v16, v15 offset1:8
	ds_store_2addr_b32 v17, v14, v13 offset0:16 offset1:24
	ds_store_2addr_b32 v17, v12, v11 offset0:32 offset1:40
	;; [unrolled: 1-line block ×7, first 2 shown]
.LBB177_95:
	s_wait_alu 0xfffe
	s_or_b32 exec_lo, exec_lo, s1
	s_delay_alu instid0(SALU_CYCLE_1)
	s_mov_b32 s1, exec_lo
	s_wait_loadcnt_dscnt 0x0
	s_barrier_signal -1
	s_barrier_wait -1
	global_inv scope:SCOPE_SE
	v_cmpx_gt_u32_e32 32, v110
	s_cbranch_execz .LBB177_114
; %bb.96:
	s_and_saveexec_b32 s0, vcc_lo
	s_cbranch_execnz .LBB177_132
; %bb.97:
	s_wait_alu 0xfffe
	s_or_b32 exec_lo, exec_lo, s0
	s_and_saveexec_b32 s0, vcc_lo
	s_cbranch_execnz .LBB177_133
.LBB177_98:
	s_wait_alu 0xfffe
	s_or_b32 exec_lo, exec_lo, s0
	s_and_saveexec_b32 s0, vcc_lo
	s_cbranch_execnz .LBB177_134
.LBB177_99:
	s_wait_alu 0xfffe
	s_or_b32 exec_lo, exec_lo, s0
	s_and_saveexec_b32 s0, vcc_lo
	s_cbranch_execnz .LBB177_135
.LBB177_100:
	s_wait_alu 0xfffe
	s_or_b32 exec_lo, exec_lo, s0
	s_and_saveexec_b32 s0, vcc_lo
	s_cbranch_execnz .LBB177_136
.LBB177_101:
	s_wait_alu 0xfffe
	s_or_b32 exec_lo, exec_lo, s0
	s_and_saveexec_b32 s0, vcc_lo
	s_cbranch_execnz .LBB177_137
.LBB177_102:
	s_wait_alu 0xfffe
	s_or_b32 exec_lo, exec_lo, s0
	s_and_saveexec_b32 s0, vcc_lo
	s_cbranch_execnz .LBB177_138
.LBB177_103:
	s_wait_alu 0xfffe
	s_or_b32 exec_lo, exec_lo, s0
	s_and_saveexec_b32 s0, vcc_lo
	s_cbranch_execnz .LBB177_139
.LBB177_104:
	s_wait_alu 0xfffe
	s_or_b32 exec_lo, exec_lo, s0
	s_and_saveexec_b32 s0, vcc_lo
	s_cbranch_execnz .LBB177_140
.LBB177_105:
	s_wait_alu 0xfffe
	s_or_b32 exec_lo, exec_lo, s0
	s_and_saveexec_b32 s0, vcc_lo
	s_cbranch_execnz .LBB177_141
.LBB177_106:
	s_wait_alu 0xfffe
	s_or_b32 exec_lo, exec_lo, s0
	s_and_saveexec_b32 s0, vcc_lo
	s_cbranch_execnz .LBB177_142
.LBB177_107:
	s_wait_alu 0xfffe
	s_or_b32 exec_lo, exec_lo, s0
	s_and_saveexec_b32 s0, vcc_lo
	s_cbranch_execnz .LBB177_143
.LBB177_108:
	s_wait_alu 0xfffe
	s_or_b32 exec_lo, exec_lo, s0
	s_and_saveexec_b32 s0, vcc_lo
	s_cbranch_execnz .LBB177_144
.LBB177_109:
	s_wait_alu 0xfffe
	s_or_b32 exec_lo, exec_lo, s0
	s_and_saveexec_b32 s0, vcc_lo
	s_cbranch_execnz .LBB177_145
.LBB177_110:
	s_wait_alu 0xfffe
	s_or_b32 exec_lo, exec_lo, s0
	s_and_saveexec_b32 s0, vcc_lo
	s_cbranch_execnz .LBB177_146
.LBB177_111:
	s_wait_alu 0xfffe
	s_or_b32 exec_lo, exec_lo, s0
	s_and_saveexec_b32 s0, vcc_lo
	s_cbranch_execz .LBB177_113
.LBB177_112:
	ds_load_b32 v0, v0 offset:480
	s_wait_dscnt 0x0
	v_add_f32_e32 v3, v3, v0
.LBB177_113:
	s_wait_alu 0xfffe
	s_or_b32 exec_lo, exec_lo, s0
.LBB177_114:
	s_wait_alu 0xfffe
	s_or_b32 exec_lo, exec_lo, s1
	s_mov_b32 s1, 0
	s_wait_loadcnt 0x0
	s_barrier_signal -1
	s_barrier_wait -1
	global_inv scope:SCOPE_SE
	s_mov_b32 s0, exec_lo
	v_cmpx_eq_u32_e32 0, v18
	s_cbranch_execz .LBB177_116
; %bb.115:
	v_bfe_u32 v0, v16, 16, 1
	v_bfe_u32 v17, v15, 16, 1
	v_or_b32_e32 v19, 0x400000, v16
	v_cmp_u_f32_e32 vcc_lo, v16, v16
	v_or_b32_e32 v20, 0x400000, v15
	v_add3_u32 v0, v0, v16, 0x7fff
	v_add3_u32 v17, v17, v15, 0x7fff
	v_bfe_u32 v21, v14, 16, 1
	v_bfe_u32 v16, v13, 16, 1
	s_lshl_b32 s2, s20, 7
	s_wait_alu 0xfffd
	v_cndmask_b32_e32 v0, v0, v19, vcc_lo
	v_cmp_u_f32_e32 vcc_lo, v15, v15
	v_or_b32_e32 v19, 0x400000, v14
	v_add3_u32 v16, v16, v13, 0x7fff
	s_mul_i32 s4, s7, s16
	s_wait_alu 0xfffe
	s_ashr_i32 s3, s2, 31
	s_wait_alu 0xfffd
	v_cndmask_b32_e32 v15, v17, v20, vcc_lo
	v_add3_u32 v17, v21, v14, 0x7fff
	v_cmp_u_f32_e32 vcc_lo, v14, v14
	v_bfe_u32 v20, v12, 16, 1
	v_or_b32_e32 v21, 0x400000, v13
	s_ashr_i32 s5, s4, 31
	s_wait_alu 0xfffe
	s_lshl_b64 s[2:3], s[2:3], 1
	s_wait_alu 0xfffd
	v_cndmask_b32_e32 v14, v17, v19, vcc_lo
	v_cmp_u_f32_e32 vcc_lo, v13, v13
	v_add3_u32 v17, v20, v12, 0x7fff
	v_or_b32_e32 v19, 0x400000, v12
	v_bfe_u32 v20, v10, 16, 1
	s_lshl_b64 s[4:5], s[4:5], 1
	s_wait_alu 0xfffd
	v_cndmask_b32_e32 v13, v16, v21, vcc_lo
	v_bfe_u32 v16, v11, 16, 1
	v_cmp_u_f32_e32 vcc_lo, v12, v12
	v_add3_u32 v20, v20, v10, 0x7fff
	v_or_b32_e32 v21, 0x400000, v10
	s_wait_kmcnt 0x0
	s_wait_alu 0xfffe
	s_add_nc_u64 s[2:3], s[14:15], s[2:3]
	v_add3_u32 v16, v16, v11, 0x7fff
	s_wait_alu 0xfffd
	v_cndmask_b32_e32 v12, v17, v19, vcc_lo
	v_or_b32_e32 v19, 0x400000, v11
	v_cmp_u_f32_e32 vcc_lo, v11, v11
	v_bfe_u32 v17, v9, 16, 1
	v_or_b32_e32 v22, 0x400000, v9
	v_lshrrev_b32_e32 v18, 1, v110
	s_wait_alu 0xfffe
	s_add_nc_u64 s[2:3], s[2:3], s[4:5]
	s_wait_alu 0xfffd
	v_cndmask_b32_e32 v11, v16, v19, vcc_lo
	v_cmp_u_f32_e32 vcc_lo, v10, v10
	v_add3_u32 v17, v17, v9, 0x7fff
	v_bfe_u32 v16, v8, 16, 1
	s_lshl_b32 s0, s30, 8
	s_wait_alu 0xfffd
	v_cndmask_b32_e32 v10, v20, v21, vcc_lo
	v_cmp_u_f32_e32 vcc_lo, v9, v9
	s_wait_alu 0xfffe
	s_add_nc_u64 s[0:1], s[2:3], s[0:1]
	s_wait_alu 0xfffd
	v_cndmask_b32_e32 v9, v17, v22, vcc_lo
	v_bfe_u32 v17, v7, 16, 1
	s_clause 0x7
	global_store_d16_hi_b16 v18, v0, s[0:1]
	global_store_d16_hi_b16 v18, v15, s[0:1] offset:16
	global_store_d16_hi_b16 v18, v14, s[0:1] offset:32
	;; [unrolled: 1-line block ×7, first 2 shown]
	v_add3_u32 v0, v16, v8, 0x7fff
	v_or_b32_e32 v9, 0x400000, v8
	v_cmp_u_f32_e32 vcc_lo, v8, v8
	v_add3_u32 v10, v17, v7, 0x7fff
	v_or_b32_e32 v11, 0x400000, v7
	v_bfe_u32 v12, v6, 16, 1
	v_bfe_u32 v8, v5, 16, 1
	s_wait_alu 0xfffd
	v_cndmask_b32_e32 v0, v0, v9, vcc_lo
	v_cmp_u_f32_e32 vcc_lo, v7, v7
	v_or_b32_e32 v13, 0x400000, v3
	v_add3_u32 v9, v12, v6, 0x7fff
	v_add3_u32 v8, v8, v5, 0x7fff
	v_or_b32_e32 v12, 0x400000, v5
	s_wait_alu 0xfffd
	v_cndmask_b32_e32 v7, v10, v11, vcc_lo
	v_or_b32_e32 v10, 0x400000, v6
	v_cmp_u_f32_e32 vcc_lo, v6, v6
	v_bfe_u32 v11, v4, 16, 1
	s_wait_alu 0xfffd
	s_delay_alu instid0(VALU_DEP_3) | instskip(SKIP_1) | instid1(VALU_DEP_3)
	v_cndmask_b32_e32 v6, v9, v10, vcc_lo
	v_cmp_u_f32_e32 vcc_lo, v5, v5
	v_add3_u32 v9, v11, v4, 0x7fff
	v_or_b32_e32 v10, 0x400000, v4
	v_bfe_u32 v11, v2, 16, 1
	s_wait_alu 0xfffd
	v_cndmask_b32_e32 v5, v8, v12, vcc_lo
	v_bfe_u32 v8, v1, 16, 1
	v_cmp_u_f32_e32 vcc_lo, v4, v4
	v_add3_u32 v11, v11, v2, 0x7fff
	v_or_b32_e32 v12, 0x400000, v2
	s_delay_alu instid0(VALU_DEP_4)
	v_add3_u32 v8, v8, v1, 0x7fff
	s_wait_alu 0xfffd
	v_cndmask_b32_e32 v4, v9, v10, vcc_lo
	v_or_b32_e32 v10, 0x400000, v1
	v_cmp_u_f32_e32 vcc_lo, v1, v1
	v_bfe_u32 v9, v3, 16, 1
	s_wait_alu 0xfffd
	s_delay_alu instid0(VALU_DEP_3) | instskip(SKIP_1) | instid1(VALU_DEP_3)
	v_cndmask_b32_e32 v1, v8, v10, vcc_lo
	v_cmp_u_f32_e32 vcc_lo, v2, v2
	v_add3_u32 v9, v9, v3, 0x7fff
	s_wait_alu 0xfffd
	v_cndmask_b32_e32 v2, v11, v12, vcc_lo
	v_cmp_u_f32_e32 vcc_lo, v3, v3
	s_wait_alu 0xfffd
	v_cndmask_b32_e32 v3, v9, v13, vcc_lo
	s_clause 0x7
	global_store_d16_hi_b16 v18, v0, s[0:1] offset:128
	global_store_d16_hi_b16 v18, v7, s[0:1] offset:144
	;; [unrolled: 1-line block ×8, first 2 shown]
.LBB177_116:
	s_nop 0
	s_sendmsg sendmsg(MSG_DEALLOC_VGPRS)
	s_endpgm
.LBB177_117:
	ds_load_b32 v18, v0
	s_wait_dscnt 0x0
	v_add_f32_e32 v16, v16, v18
	s_wait_alu 0xfffe
	s_or_b32 exec_lo, exec_lo, s0
	s_and_saveexec_b32 s0, vcc_lo
	s_cbranch_execz .LBB177_77
.LBB177_118:
	ds_load_b32 v18, v0 offset:32
	s_wait_dscnt 0x0
	v_add_f32_e32 v15, v15, v18
	s_wait_alu 0xfffe
	s_or_b32 exec_lo, exec_lo, s0
	s_and_saveexec_b32 s0, vcc_lo
	s_cbranch_execz .LBB177_78
.LBB177_119:
	ds_load_b32 v18, v0 offset:64
	s_wait_dscnt 0x0
	v_add_f32_e32 v14, v14, v18
	s_wait_alu 0xfffe
	s_or_b32 exec_lo, exec_lo, s0
	s_and_saveexec_b32 s0, vcc_lo
	s_cbranch_execz .LBB177_79
.LBB177_120:
	ds_load_b32 v18, v0 offset:96
	s_wait_dscnt 0x0
	v_add_f32_e32 v13, v13, v18
	s_wait_alu 0xfffe
	s_or_b32 exec_lo, exec_lo, s0
	s_and_saveexec_b32 s0, vcc_lo
	s_cbranch_execz .LBB177_80
.LBB177_121:
	ds_load_b32 v18, v0 offset:128
	s_wait_dscnt 0x0
	v_add_f32_e32 v12, v12, v18
	s_wait_alu 0xfffe
	s_or_b32 exec_lo, exec_lo, s0
	s_and_saveexec_b32 s0, vcc_lo
	s_cbranch_execz .LBB177_81
.LBB177_122:
	ds_load_b32 v18, v0 offset:160
	s_wait_dscnt 0x0
	v_add_f32_e32 v11, v11, v18
	s_wait_alu 0xfffe
	s_or_b32 exec_lo, exec_lo, s0
	s_and_saveexec_b32 s0, vcc_lo
	s_cbranch_execz .LBB177_82
.LBB177_123:
	ds_load_b32 v18, v0 offset:192
	s_wait_dscnt 0x0
	v_add_f32_e32 v10, v10, v18
	s_wait_alu 0xfffe
	s_or_b32 exec_lo, exec_lo, s0
	s_and_saveexec_b32 s0, vcc_lo
	s_cbranch_execz .LBB177_83
.LBB177_124:
	ds_load_b32 v18, v0 offset:224
	s_wait_dscnt 0x0
	v_add_f32_e32 v9, v9, v18
	s_wait_alu 0xfffe
	s_or_b32 exec_lo, exec_lo, s0
	s_and_saveexec_b32 s0, vcc_lo
	s_cbranch_execz .LBB177_84
.LBB177_125:
	ds_load_b32 v18, v0 offset:256
	s_wait_dscnt 0x0
	v_add_f32_e32 v8, v8, v18
	s_wait_alu 0xfffe
	s_or_b32 exec_lo, exec_lo, s0
	s_and_saveexec_b32 s0, vcc_lo
	s_cbranch_execz .LBB177_85
.LBB177_126:
	ds_load_b32 v18, v0 offset:288
	s_wait_dscnt 0x0
	v_add_f32_e32 v7, v7, v18
	s_wait_alu 0xfffe
	s_or_b32 exec_lo, exec_lo, s0
	s_and_saveexec_b32 s0, vcc_lo
	s_cbranch_execz .LBB177_86
.LBB177_127:
	ds_load_b32 v18, v0 offset:320
	s_wait_dscnt 0x0
	v_add_f32_e32 v6, v6, v18
	s_wait_alu 0xfffe
	s_or_b32 exec_lo, exec_lo, s0
	s_and_saveexec_b32 s0, vcc_lo
	s_cbranch_execz .LBB177_87
.LBB177_128:
	ds_load_b32 v18, v0 offset:352
	s_wait_dscnt 0x0
	v_add_f32_e32 v5, v5, v18
	s_wait_alu 0xfffe
	s_or_b32 exec_lo, exec_lo, s0
	s_and_saveexec_b32 s0, vcc_lo
	s_cbranch_execz .LBB177_88
.LBB177_129:
	ds_load_b32 v18, v0 offset:384
	s_wait_dscnt 0x0
	v_add_f32_e32 v4, v4, v18
	s_wait_alu 0xfffe
	s_or_b32 exec_lo, exec_lo, s0
	s_and_saveexec_b32 s0, vcc_lo
	s_cbranch_execz .LBB177_89
.LBB177_130:
	ds_load_b32 v18, v0 offset:416
	s_wait_dscnt 0x0
	v_add_f32_e32 v1, v1, v18
	s_wait_alu 0xfffe
	s_or_b32 exec_lo, exec_lo, s0
	s_and_saveexec_b32 s0, vcc_lo
	s_cbranch_execz .LBB177_90
.LBB177_131:
	ds_load_b32 v18, v0 offset:448
	s_wait_dscnt 0x0
	v_add_f32_e32 v2, v2, v18
	s_wait_alu 0xfffe
	s_or_b32 exec_lo, exec_lo, s0
	s_and_saveexec_b32 s0, vcc_lo
	s_cbranch_execnz .LBB177_91
	s_branch .LBB177_92
.LBB177_132:
	ds_load_b32 v17, v0
	s_wait_dscnt 0x0
	v_add_f32_e32 v16, v16, v17
	s_wait_alu 0xfffe
	s_or_b32 exec_lo, exec_lo, s0
	s_and_saveexec_b32 s0, vcc_lo
	s_cbranch_execz .LBB177_98
.LBB177_133:
	ds_load_b32 v17, v0 offset:32
	s_wait_dscnt 0x0
	v_add_f32_e32 v15, v15, v17
	s_wait_alu 0xfffe
	s_or_b32 exec_lo, exec_lo, s0
	s_and_saveexec_b32 s0, vcc_lo
	s_cbranch_execz .LBB177_99
.LBB177_134:
	ds_load_b32 v17, v0 offset:64
	s_wait_dscnt 0x0
	v_add_f32_e32 v14, v14, v17
	s_wait_alu 0xfffe
	s_or_b32 exec_lo, exec_lo, s0
	s_and_saveexec_b32 s0, vcc_lo
	s_cbranch_execz .LBB177_100
.LBB177_135:
	ds_load_b32 v17, v0 offset:96
	s_wait_dscnt 0x0
	v_add_f32_e32 v13, v13, v17
	s_wait_alu 0xfffe
	s_or_b32 exec_lo, exec_lo, s0
	s_and_saveexec_b32 s0, vcc_lo
	s_cbranch_execz .LBB177_101
.LBB177_136:
	ds_load_b32 v17, v0 offset:128
	s_wait_dscnt 0x0
	v_add_f32_e32 v12, v12, v17
	s_wait_alu 0xfffe
	s_or_b32 exec_lo, exec_lo, s0
	s_and_saveexec_b32 s0, vcc_lo
	s_cbranch_execz .LBB177_102
.LBB177_137:
	ds_load_b32 v17, v0 offset:160
	s_wait_dscnt 0x0
	v_add_f32_e32 v11, v11, v17
	s_wait_alu 0xfffe
	s_or_b32 exec_lo, exec_lo, s0
	s_and_saveexec_b32 s0, vcc_lo
	s_cbranch_execz .LBB177_103
.LBB177_138:
	ds_load_b32 v17, v0 offset:192
	s_wait_dscnt 0x0
	v_add_f32_e32 v10, v10, v17
	s_wait_alu 0xfffe
	s_or_b32 exec_lo, exec_lo, s0
	s_and_saveexec_b32 s0, vcc_lo
	s_cbranch_execz .LBB177_104
.LBB177_139:
	ds_load_b32 v17, v0 offset:224
	s_wait_dscnt 0x0
	v_add_f32_e32 v9, v9, v17
	s_wait_alu 0xfffe
	s_or_b32 exec_lo, exec_lo, s0
	s_and_saveexec_b32 s0, vcc_lo
	s_cbranch_execz .LBB177_105
.LBB177_140:
	ds_load_b32 v17, v0 offset:256
	s_wait_dscnt 0x0
	v_add_f32_e32 v8, v8, v17
	s_wait_alu 0xfffe
	s_or_b32 exec_lo, exec_lo, s0
	s_and_saveexec_b32 s0, vcc_lo
	s_cbranch_execz .LBB177_106
.LBB177_141:
	ds_load_b32 v17, v0 offset:288
	s_wait_dscnt 0x0
	v_add_f32_e32 v7, v7, v17
	s_wait_alu 0xfffe
	s_or_b32 exec_lo, exec_lo, s0
	s_and_saveexec_b32 s0, vcc_lo
	s_cbranch_execz .LBB177_107
.LBB177_142:
	ds_load_b32 v17, v0 offset:320
	s_wait_dscnt 0x0
	v_add_f32_e32 v6, v6, v17
	s_wait_alu 0xfffe
	s_or_b32 exec_lo, exec_lo, s0
	s_and_saveexec_b32 s0, vcc_lo
	s_cbranch_execz .LBB177_108
.LBB177_143:
	ds_load_b32 v17, v0 offset:352
	s_wait_dscnt 0x0
	v_add_f32_e32 v5, v5, v17
	s_wait_alu 0xfffe
	s_or_b32 exec_lo, exec_lo, s0
	s_and_saveexec_b32 s0, vcc_lo
	s_cbranch_execz .LBB177_109
.LBB177_144:
	ds_load_b32 v17, v0 offset:384
	s_wait_dscnt 0x0
	v_add_f32_e32 v4, v4, v17
	s_wait_alu 0xfffe
	s_or_b32 exec_lo, exec_lo, s0
	s_and_saveexec_b32 s0, vcc_lo
	s_cbranch_execz .LBB177_110
.LBB177_145:
	ds_load_b32 v17, v0 offset:416
	s_wait_dscnt 0x0
	v_add_f32_e32 v1, v1, v17
	s_wait_alu 0xfffe
	s_or_b32 exec_lo, exec_lo, s0
	s_and_saveexec_b32 s0, vcc_lo
	s_cbranch_execz .LBB177_111
.LBB177_146:
	ds_load_b32 v17, v0 offset:448
	s_wait_dscnt 0x0
	v_add_f32_e32 v2, v2, v17
	s_wait_alu 0xfffe
	s_or_b32 exec_lo, exec_lo, s0
	s_and_saveexec_b32 s0, vcc_lo
	s_cbranch_execnz .LBB177_112
	s_branch .LBB177_113
	.section	.rodata,"a",@progbits
	.p2align	6, 0x0
	.amdhsa_kernel _ZN4vllm25paged_attention_v2_kernelI14__hip_bfloat16S1_Li128ELi32ELi128ELNS_18Fp8KVCacheDataTypeE0ELb1ELi512EEEvPfS3_PT_PKS4_PKT0_SA_ifPKiSC_iPKfiiiSE_SE_iiiii
		.amdhsa_group_segment_fixed_size 288
		.amdhsa_private_segment_fixed_size 72
		.amdhsa_kernarg_size 400
		.amdhsa_user_sgpr_count 2
		.amdhsa_user_sgpr_dispatch_ptr 0
		.amdhsa_user_sgpr_queue_ptr 0
		.amdhsa_user_sgpr_kernarg_segment_ptr 1
		.amdhsa_user_sgpr_dispatch_id 0
		.amdhsa_user_sgpr_private_segment_size 0
		.amdhsa_wavefront_size32 1
		.amdhsa_uses_dynamic_stack 0
		.amdhsa_enable_private_segment 1
		.amdhsa_system_sgpr_workgroup_id_x 1
		.amdhsa_system_sgpr_workgroup_id_y 1
		.amdhsa_system_sgpr_workgroup_id_z 1
		.amdhsa_system_sgpr_workgroup_info 0
		.amdhsa_system_vgpr_workitem_id 0
		.amdhsa_next_free_vgpr 192
		.amdhsa_next_free_sgpr 42
		.amdhsa_reserve_vcc 1
		.amdhsa_float_round_mode_32 0
		.amdhsa_float_round_mode_16_64 0
		.amdhsa_float_denorm_mode_32 3
		.amdhsa_float_denorm_mode_16_64 3
		.amdhsa_fp16_overflow 0
		.amdhsa_workgroup_processor_mode 1
		.amdhsa_memory_ordered 1
		.amdhsa_forward_progress 1
		.amdhsa_inst_pref_size 189
		.amdhsa_round_robin_scheduling 0
		.amdhsa_exception_fp_ieee_invalid_op 0
		.amdhsa_exception_fp_denorm_src 0
		.amdhsa_exception_fp_ieee_div_zero 0
		.amdhsa_exception_fp_ieee_overflow 0
		.amdhsa_exception_fp_ieee_underflow 0
		.amdhsa_exception_fp_ieee_inexact 0
		.amdhsa_exception_int_div_zero 0
	.end_amdhsa_kernel
	.section	.text._ZN4vllm25paged_attention_v2_kernelI14__hip_bfloat16S1_Li128ELi32ELi128ELNS_18Fp8KVCacheDataTypeE0ELb1ELi512EEEvPfS3_PT_PKS4_PKT0_SA_ifPKiSC_iPKfiiiSE_SE_iiiii,"axG",@progbits,_ZN4vllm25paged_attention_v2_kernelI14__hip_bfloat16S1_Li128ELi32ELi128ELNS_18Fp8KVCacheDataTypeE0ELb1ELi512EEEvPfS3_PT_PKS4_PKT0_SA_ifPKiSC_iPKfiiiSE_SE_iiiii,comdat
.Lfunc_end177:
	.size	_ZN4vllm25paged_attention_v2_kernelI14__hip_bfloat16S1_Li128ELi32ELi128ELNS_18Fp8KVCacheDataTypeE0ELb1ELi512EEEvPfS3_PT_PKS4_PKT0_SA_ifPKiSC_iPKfiiiSE_SE_iiiii, .Lfunc_end177-_ZN4vllm25paged_attention_v2_kernelI14__hip_bfloat16S1_Li128ELi32ELi128ELNS_18Fp8KVCacheDataTypeE0ELb1ELi512EEEvPfS3_PT_PKS4_PKT0_SA_ifPKiSC_iPKfiiiSE_SE_iiiii
                                        ; -- End function
	.set _ZN4vllm25paged_attention_v2_kernelI14__hip_bfloat16S1_Li128ELi32ELi128ELNS_18Fp8KVCacheDataTypeE0ELb1ELi512EEEvPfS3_PT_PKS4_PKT0_SA_ifPKiSC_iPKfiiiSE_SE_iiiii.num_vgpr, 192
	.set _ZN4vllm25paged_attention_v2_kernelI14__hip_bfloat16S1_Li128ELi32ELi128ELNS_18Fp8KVCacheDataTypeE0ELb1ELi512EEEvPfS3_PT_PKS4_PKT0_SA_ifPKiSC_iPKfiiiSE_SE_iiiii.num_agpr, 0
	.set _ZN4vllm25paged_attention_v2_kernelI14__hip_bfloat16S1_Li128ELi32ELi128ELNS_18Fp8KVCacheDataTypeE0ELb1ELi512EEEvPfS3_PT_PKS4_PKT0_SA_ifPKiSC_iPKfiiiSE_SE_iiiii.numbered_sgpr, 42
	.set _ZN4vllm25paged_attention_v2_kernelI14__hip_bfloat16S1_Li128ELi32ELi128ELNS_18Fp8KVCacheDataTypeE0ELb1ELi512EEEvPfS3_PT_PKS4_PKT0_SA_ifPKiSC_iPKfiiiSE_SE_iiiii.num_named_barrier, 0
	.set _ZN4vllm25paged_attention_v2_kernelI14__hip_bfloat16S1_Li128ELi32ELi128ELNS_18Fp8KVCacheDataTypeE0ELb1ELi512EEEvPfS3_PT_PKS4_PKT0_SA_ifPKiSC_iPKfiiiSE_SE_iiiii.private_seg_size, 72
	.set _ZN4vllm25paged_attention_v2_kernelI14__hip_bfloat16S1_Li128ELi32ELi128ELNS_18Fp8KVCacheDataTypeE0ELb1ELi512EEEvPfS3_PT_PKS4_PKT0_SA_ifPKiSC_iPKfiiiSE_SE_iiiii.uses_vcc, 1
	.set _ZN4vllm25paged_attention_v2_kernelI14__hip_bfloat16S1_Li128ELi32ELi128ELNS_18Fp8KVCacheDataTypeE0ELb1ELi512EEEvPfS3_PT_PKS4_PKT0_SA_ifPKiSC_iPKfiiiSE_SE_iiiii.uses_flat_scratch, 1
	.set _ZN4vllm25paged_attention_v2_kernelI14__hip_bfloat16S1_Li128ELi32ELi128ELNS_18Fp8KVCacheDataTypeE0ELb1ELi512EEEvPfS3_PT_PKS4_PKT0_SA_ifPKiSC_iPKfiiiSE_SE_iiiii.has_dyn_sized_stack, 0
	.set _ZN4vllm25paged_attention_v2_kernelI14__hip_bfloat16S1_Li128ELi32ELi128ELNS_18Fp8KVCacheDataTypeE0ELb1ELi512EEEvPfS3_PT_PKS4_PKT0_SA_ifPKiSC_iPKfiiiSE_SE_iiiii.has_recursion, 0
	.set _ZN4vllm25paged_attention_v2_kernelI14__hip_bfloat16S1_Li128ELi32ELi128ELNS_18Fp8KVCacheDataTypeE0ELb1ELi512EEEvPfS3_PT_PKS4_PKT0_SA_ifPKiSC_iPKfiiiSE_SE_iiiii.has_indirect_call, 0
	.section	.AMDGPU.csdata,"",@progbits
; Kernel info:
; codeLenInByte = 24068
; TotalNumSgprs: 44
; NumVgprs: 192
; ScratchSize: 72
; MemoryBound: 0
; FloatMode: 240
; IeeeMode: 1
; LDSByteSize: 288 bytes/workgroup (compile time only)
; SGPRBlocks: 0
; VGPRBlocks: 23
; NumSGPRsForWavesPerEU: 44
; NumVGPRsForWavesPerEU: 192
; Occupancy: 8
; WaveLimiterHint : 1
; COMPUTE_PGM_RSRC2:SCRATCH_EN: 1
; COMPUTE_PGM_RSRC2:USER_SGPR: 2
; COMPUTE_PGM_RSRC2:TRAP_HANDLER: 0
; COMPUTE_PGM_RSRC2:TGID_X_EN: 1
; COMPUTE_PGM_RSRC2:TGID_Y_EN: 1
; COMPUTE_PGM_RSRC2:TGID_Z_EN: 1
; COMPUTE_PGM_RSRC2:TIDIG_COMP_CNT: 0
	.section	.text._ZN4vllm25paged_attention_v2_kernelI14__hip_bfloat16S1_Li192ELi32ELi128ELNS_18Fp8KVCacheDataTypeE0ELb1ELi512EEEvPfS3_PT_PKS4_PKT0_SA_ifPKiSC_iPKfiiiSE_SE_iiiii,"axG",@progbits,_ZN4vllm25paged_attention_v2_kernelI14__hip_bfloat16S1_Li192ELi32ELi128ELNS_18Fp8KVCacheDataTypeE0ELb1ELi512EEEvPfS3_PT_PKS4_PKT0_SA_ifPKiSC_iPKfiiiSE_SE_iiiii,comdat
	.protected	_ZN4vllm25paged_attention_v2_kernelI14__hip_bfloat16S1_Li192ELi32ELi128ELNS_18Fp8KVCacheDataTypeE0ELb1ELi512EEEvPfS3_PT_PKS4_PKT0_SA_ifPKiSC_iPKfiiiSE_SE_iiiii ; -- Begin function _ZN4vllm25paged_attention_v2_kernelI14__hip_bfloat16S1_Li192ELi32ELi128ELNS_18Fp8KVCacheDataTypeE0ELb1ELi512EEEvPfS3_PT_PKS4_PKT0_SA_ifPKiSC_iPKfiiiSE_SE_iiiii
	.globl	_ZN4vllm25paged_attention_v2_kernelI14__hip_bfloat16S1_Li192ELi32ELi128ELNS_18Fp8KVCacheDataTypeE0ELb1ELi512EEEvPfS3_PT_PKS4_PKT0_SA_ifPKiSC_iPKfiiiSE_SE_iiiii
	.p2align	8
	.type	_ZN4vllm25paged_attention_v2_kernelI14__hip_bfloat16S1_Li192ELi32ELi128ELNS_18Fp8KVCacheDataTypeE0ELb1ELi512EEEvPfS3_PT_PKS4_PKT0_SA_ifPKiSC_iPKfiiiSE_SE_iiiii,@function
_ZN4vllm25paged_attention_v2_kernelI14__hip_bfloat16S1_Li192ELi32ELi128ELNS_18Fp8KVCacheDataTypeE0ELb1ELi512EEEvPfS3_PT_PKS4_PKT0_SA_ifPKiSC_iPKfiiiSE_SE_iiiii: ; @_ZN4vllm25paged_attention_v2_kernelI14__hip_bfloat16S1_Li192ELi32ELi128ELNS_18Fp8KVCacheDataTypeE0ELb1ELi512EEEvPfS3_PT_PKS4_PKT0_SA_ifPKiSC_iPKfiiiSE_SE_iiiii
; %bb.0:
	s_load_b64 s[2:3], s[0:1], 0x40
	s_and_b32 s20, ttmp7, 0xffff
	s_lshr_b32 s30, ttmp7, 16
	s_lshl_b32 s4, s20, 2
	s_lshl_b32 s34, s30, 9
	s_wait_kmcnt 0x0
	s_load_b32 s31, s[2:3], s4 offset:0x0
	s_wait_kmcnt 0x0
	s_cmp_ge_i32 s34, s31
	s_cbranch_scc1 .LBB178_148
; %bb.1:
	s_clause 0x1
	s_load_b32 s21, s[0:1], 0x90
	s_load_b64 s[8:9], s[0:1], 0x30
	v_mov_b32_e32 v150, v0
	s_wait_kmcnt 0x0
	s_abs_i32 s5, s21
	s_abs_i32 s2, s8
	s_delay_alu instid0(SALU_CYCLE_1) | instskip(SKIP_1) | instid1(SALU_CYCLE_2)
	s_cvt_f32_u32 s3, s2
	s_sub_co_i32 s4, 0, s2
	v_rcp_iflag_f32_e32 v0, s3
	s_delay_alu instid0(TRANS32_DEP_1) | instskip(SKIP_2) | instid1(SALU_CYCLE_2)
	v_readfirstlane_b32 s3, v0
	s_mul_f32 s3, s3, 0x4f7ffffe
	s_wait_alu 0xfffe
	s_cvt_u32_f32 s3, s3
	s_wait_alu 0xfffe
	s_delay_alu instid0(SALU_CYCLE_2) | instskip(NEXT) | instid1(SALU_CYCLE_1)
	s_mul_i32 s4, s4, s3
	s_mul_hi_u32 s4, s3, s4
	s_delay_alu instid0(SALU_CYCLE_1)
	s_add_co_i32 s3, s3, s4
	s_xor_b32 s4, s21, s8
	s_wait_alu 0xfffe
	s_mul_hi_u32 s3, s5, s3
	s_ashr_i32 s4, s4, 31
	s_wait_alu 0xfffe
	s_mul_i32 s6, s3, s2
	s_delay_alu instid0(SALU_CYCLE_1)
	s_sub_co_i32 s5, s5, s6
	s_add_co_i32 s6, s3, 1
	s_sub_co_i32 s7, s5, s2
	s_cmp_ge_u32 s5, s2
	s_cselect_b32 s3, s6, s3
	s_cselect_b32 s5, s7, s5
	s_wait_alu 0xfffe
	s_add_co_i32 s6, s3, 1
	s_cmp_ge_u32 s5, s2
	s_cselect_b32 s2, s6, s3
	s_load_b64 s[6:7], s[0:1], 0x50
	s_xor_b32 s2, s2, s4
	s_mov_b32 s3, 0
	s_wait_alu 0xfffe
	s_sub_co_i32 s16, s2, s4
	s_mov_b32 s15, s3
	s_abs_i32 s18, s16
	s_delay_alu instid0(SALU_CYCLE_1) | instskip(SKIP_1) | instid1(SALU_CYCLE_2)
	s_cvt_f32_u32 s2, s18
	s_wait_alu 0xfffe
	v_rcp_iflag_f32_e32 v0, s2
	s_delay_alu instid0(TRANS32_DEP_1) | instskip(SKIP_2) | instid1(SALU_CYCLE_2)
	v_readfirstlane_b32 s2, v0
	s_mul_f32 s2, s2, 0x4f7ffffe
	s_wait_alu 0xfffe
	s_cvt_u32_f32 s4, s2
	s_sub_co_i32 s2, 0, s18
	s_wait_alu 0xfffe
	s_delay_alu instid0(SALU_CYCLE_1)
	s_mul_i32 s2, s2, s4
	s_wait_alu 0xfffe
	s_mul_hi_u32 s5, s4, s2
	s_abs_i32 s2, ttmp9
	s_add_co_i32 s4, s4, s5
	s_mov_b32 s5, s3
	s_wait_kmcnt 0x0
	s_cmp_eq_u64 s[6:7], 0
	s_cbranch_scc1 .LBB178_3
; %bb.2:
	s_mov_b32 s10, ttmp9
	s_ashr_i32 s11, ttmp9, 31
	s_delay_alu instid0(SALU_CYCLE_1) | instskip(NEXT) | instid1(SALU_CYCLE_1)
	s_lshl_b64 s[10:11], s[10:11], 2
	s_add_nc_u64 s[6:7], s[6:7], s[10:11]
	s_load_b32 s15, s[6:7], 0x0
.LBB178_3:
	s_load_b96 s[12:14], s[0:1], 0x58
	v_lshlrev_b32_e32 v10, 4, v150
	s_mul_u64 s[10:11], s[2:3], s[4:5]
	s_ashr_i32 s3, ttmp9, 31
	s_ashr_i32 s10, s16, 31
	s_mul_i32 s16, ttmp9, 0xc0
	s_mov_b32 s4, exec_lo
	v_cmpx_gt_u32_e32 24, v150
	s_cbranch_execz .LBB178_5
; %bb.4:
	s_load_b64 s[6:7], s[0:1], 0x18
	s_wait_kmcnt 0x0
	s_mul_i32 s22, s12, s20
	s_ashr_i32 s17, s16, 31
	s_ashr_i32 s23, s22, 31
	s_delay_alu instid0(SALU_CYCLE_1) | instskip(NEXT) | instid1(SALU_CYCLE_1)
	s_lshl_b64 s[22:23], s[22:23], 1
	s_add_nc_u64 s[6:7], s[6:7], s[22:23]
	s_lshl_b64 s[22:23], s[16:17], 1
	s_delay_alu instid0(SALU_CYCLE_1)
	s_add_nc_u64 s[6:7], s[6:7], s[22:23]
	global_load_b128 v[0:3], v10, s[6:7]
	s_wait_loadcnt 0x0
	ds_store_b128 v10, v[0:3]
.LBB178_5:
	s_or_b32 exec_lo, exec_lo, s4
	s_clause 0x1
	s_load_b128 s[4:7], s[0:1], 0x78
	s_load_b32 s22, s[0:1], 0x88
	s_wait_kmcnt 0x0
	s_mul_i32 s12, s11, s18
	s_xor_b32 s3, s3, s10
	s_sub_co_i32 s2, s2, s12
	s_add_co_i32 s10, s11, 1
	s_wait_alu 0xfffe
	s_sub_co_i32 s12, s2, s18
	s_cmp_ge_u32 s2, s18
	s_mov_b32 s24, -1
	s_cselect_b32 s10, s10, s11
	s_cselect_b32 s2, s12, s2
	s_add_co_i32 s11, s10, 1
	s_wait_alu 0xfffe
	s_cmp_ge_u32 s2, s18
	s_wait_dscnt 0x0
	s_cselect_b32 s2, s11, s10
	s_add_co_i32 s23, s31, -1
	s_wait_alu 0xfffe
	s_xor_b32 s2, s2, s3
	s_barrier_signal -1
	s_wait_alu 0xfffe
	s_sub_co_i32 s26, s2, s3
	s_barrier_wait -1
	s_abs_i32 s12, s7
	global_inv scope:SCOPE_SE
	s_cvt_f32_u32 s10, s12
                                        ; implicit-def: $sgpr17
	s_delay_alu instid0(SALU_CYCLE_3) | instskip(NEXT) | instid1(TRANS32_DEP_1)
	v_rcp_iflag_f32_e32 v0, s10
	v_readfirstlane_b32 s10, v0
	s_mul_f32 s2, s10, 0x4f7ffffe
	s_wait_alu 0xfffe
	s_delay_alu instid0(SALU_CYCLE_2) | instskip(SKIP_2) | instid1(SALU_CYCLE_1)
	s_cvt_u32_f32 s10, s2
	s_sub_co_i32 s2, 0, s12
	s_wait_alu 0xfffe
	s_mul_i32 s3, s2, s10
	s_abs_i32 s2, s23
	s_wait_alu 0xfffe
	s_mul_hi_u32 s11, s10, s3
	s_mov_b32 s3, 0
	s_wait_alu 0xfffe
	s_add_co_i32 s18, s10, s11
	s_cmp_lt_i32 s22, 0
	s_mov_b32 s19, s3
	s_cbranch_scc0 .LBB178_7
; %bb.6:
	s_mul_i32 s8, s4, s8
	s_mov_b32 s24, s3
	s_add_co_i32 s8, s26, s8
	s_delay_alu instid0(SALU_CYCLE_1) | instskip(NEXT) | instid1(SALU_CYCLE_1)
	s_mul_i32 s8, s8, s22
	s_sub_co_i32 s17, 1, s8
.LBB178_7:
	s_mul_u64 s[10:11], s[2:3], s[18:19]
	s_ashr_i32 s3, s23, 31
	s_and_not1_b32 vcc_lo, exec_lo, s24
	s_ashr_i32 s19, s7, 31
	s_cbranch_vccnz .LBB178_9
; %bb.8:
	s_mul_i32 s4, s21, s4
	s_delay_alu instid0(SALU_CYCLE_1) | instskip(NEXT) | instid1(SALU_CYCLE_1)
	s_add_co_i32 s4, s4, ttmp9
	s_mul_i32 s4, s4, s22
	s_delay_alu instid0(SALU_CYCLE_1)
	s_add_co_i32 s17, s4, 1
.LBB178_9:
	s_clause 0x2
	s_load_b32 s4, s[0:1], 0x48
	s_load_b64 s[22:23], s[0:1], 0x38
	s_load_b32 s7, s[0:1], 0x98
	s_mul_i32 s8, s11, s12
	s_xor_b32 s3, s3, s19
	s_sub_co_i32 s2, s2, s8
	s_add_co_i32 s10, s11, 1
	v_lshrrev_b32_e32 v151, 5, v150
	v_dual_mov_b32 v87, 0xff7fffff :: v_dual_and_b32 v0, 31, v150
	s_mul_i32 s26, s26, s14
	s_delay_alu instid0(VALU_DEP_2) | instskip(NEXT) | instid1(VALU_DEP_2)
	v_lshl_add_u32 v109, v151, 5, s34
	v_lshlrev_b32_e32 v12, 2, v0
	scratch_store_b32 off, v0, off          ; 4-byte Folded Spill
	s_wait_kmcnt 0x0
	s_mul_i32 s24, s4, s20
	s_wait_alu 0xfffe
	s_sub_co_i32 s4, s2, s12
	s_ashr_i32 s25, s24, 31
	s_cmp_ge_u32 s2, s12
	s_cselect_b32 s8, s10, s11
	s_cselect_b32 s2, s4, s2
	s_add_co_i32 s4, s8, 1
	s_wait_alu 0xfffe
	s_cmp_ge_u32 s2, s12
	s_cselect_b32 s2, s4, s8
	s_add_co_i32 s4, s31, 31
	s_lshl_b32 s37, s30, 4
	s_ashr_i32 s8, s4, 31
	v_add_nc_u32_e32 v113, s37, v151
	s_lshr_b32 s8, s8, 27
	s_delay_alu instid0(SALU_CYCLE_1)
	s_add_co_i32 s4, s4, s8
	s_add_co_i32 s8, s37, 16
	s_ashr_i32 s35, s4, 5
	s_wait_alu 0xfffe
	s_xor_b32 s4, s2, s3
	s_min_i32 s33, s8, s35
	v_lshlrev_b32_e32 v11, 2, v113
	v_cmp_gt_i32_e64 s2, s33, v113
	s_sub_co_i32 s36, s4, s3
	s_and_saveexec_b32 s8, s2
	s_cbranch_execz .LBB178_17
; %bb.10:
	v_mov_b32_e32 v1, 0
	s_clause 0x1
	scratch_store_b32 off, v10, off offset:324
	scratch_store_b32 off, v150, off offset:316
	v_mov_b32_e32 v6, v151
	s_ashr_i32 s27, s26, 31
	s_wait_alu 0xfffe
	s_sub_co_i32 s10, s36, s5
	ds_load_b128 v[2:5], v1
	s_lshl_b64 s[28:29], s[26:27], 1
	s_cmp_neq_f32 s15, 0
	s_load_b64 s[38:39], s[0:1], 0x20
	s_mov_b32 s14, s13
	s_mov_b32 s27, 0
	s_cselect_b32 vcc_lo, -1, 0
	s_abs_i32 s11, s6
	s_lshl_b64 s[40:41], s[24:25], 2
	s_wait_alu 0xfffe
	s_cvt_f32_u32 s3, s11
	s_sub_co_i32 s4, 0, s11
	s_add_nc_u64 s[40:41], s[22:23], s[40:41]
	v_mov_b32_e32 v87, 0xff7fffff
	scratch_store_b32 off, v12, off offset:328 ; 4-byte Folded Spill
	v_mov_b32_e32 v110, v113
	s_wait_dscnt 0x0
	v_and_b32_e32 v0, 0xffff0000, v2
	s_wait_kmcnt 0x0
	s_add_nc_u64 s[38:39], s[38:39], s[28:29]
	scratch_store_b32 off, v0, off offset:4 ; 4-byte Folded Spill
	v_lshlrev_b32_e32 v0, 16, v2
	scratch_store_b32 off, v0, off offset:8 ; 4-byte Folded Spill
	v_and_b32_e32 v0, 0xffff0000, v3
	scratch_store_b32 off, v0, off offset:12 ; 4-byte Folded Spill
	v_lshlrev_b32_e32 v0, 16, v3
	scratch_store_b32 off, v0, off offset:16 ; 4-byte Folded Spill
	v_and_b32_e32 v0, 0xffff0000, v4
	scratch_store_b32 off, v0, off offset:20 ; 4-byte Folded Spill
	v_lshlrev_b32_e32 v0, 16, v4
	scratch_store_b32 off, v0, off offset:24 ; 4-byte Folded Spill
	v_and_b32_e32 v0, 0xffff0000, v5
	scratch_store_b32 off, v0, off offset:28 ; 4-byte Folded Spill
	v_lshlrev_b32_e32 v0, 16, v5
	ds_load_b128 v[2:5], v1 offset:16
	scratch_store_b32 off, v0, off offset:32 ; 4-byte Folded Spill
	s_wait_dscnt 0x0
	v_and_b32_e32 v0, 0xffff0000, v2
	scratch_store_b32 off, v0, off offset:36 ; 4-byte Folded Spill
	v_lshlrev_b32_e32 v0, 16, v2
	scratch_store_b32 off, v0, off offset:40 ; 4-byte Folded Spill
	v_and_b32_e32 v0, 0xffff0000, v3
	scratch_store_b32 off, v0, off offset:44 ; 4-byte Folded Spill
	v_lshlrev_b32_e32 v0, 16, v3
	scratch_store_b32 off, v0, off offset:48 ; 4-byte Folded Spill
	v_and_b32_e32 v0, 0xffff0000, v4
	scratch_store_b32 off, v0, off offset:52 ; 4-byte Folded Spill
	v_lshlrev_b32_e32 v0, 16, v4
	scratch_store_b32 off, v0, off offset:56 ; 4-byte Folded Spill
	v_and_b32_e32 v0, 0xffff0000, v5
	scratch_store_b32 off, v0, off offset:60 ; 4-byte Folded Spill
	v_lshlrev_b32_e32 v0, 16, v5
	ds_load_b128 v[2:5], v1 offset:32
	scratch_store_b32 off, v0, off offset:64 ; 4-byte Folded Spill
	s_wait_dscnt 0x0
	v_and_b32_e32 v0, 0xffff0000, v2
	;; [unrolled: 18-line block ×9, first 2 shown]
	v_and_b32_e32 v130, 0xffff0000, v5
	v_lshlrev_b32_e32 v131, 16, v5
	scratch_store_b32 off, v0, off offset:292 ; 4-byte Folded Spill
	v_lshlrev_b32_e32 v0, 16, v2
	scratch_store_b32 off, v0, off offset:296 ; 4-byte Folded Spill
	v_and_b32_e32 v0, 0xffff0000, v3
	scratch_store_b32 off, v0, off offset:300 ; 4-byte Folded Spill
	v_lshlrev_b32_e32 v0, 16, v3
	scratch_store_b32 off, v0, off offset:304 ; 4-byte Folded Spill
	v_and_b32_e32 v0, 0xffff0000, v4
	scratch_store_b32 off, v0, off offset:308 ; 4-byte Folded Spill
	v_lshlrev_b32_e32 v0, 16, v4
	ds_load_b128 v[2:5], v1 offset:160
	scratch_store_b32 off, v0, off offset:312 ; 4-byte Folded Spill
	s_wait_dscnt 0x0
	v_and_b32_e32 v132, 0xffff0000, v2
	v_lshlrev_b32_e32 v133, 16, v2
	v_and_b32_e32 v134, 0xffff0000, v3
	v_lshlrev_b32_e32 v135, 16, v3
	v_and_b32_e32 v136, 0xffff0000, v4
	v_lshlrev_b32_e32 v137, 16, v4
	v_and_b32_e32 v138, 0xffff0000, v5
	v_lshlrev_b32_e32 v139, 16, v5
	ds_load_b128 v[2:5], v1 offset:176
	s_wait_dscnt 0x0
	v_and_b32_e32 v140, 0xffff0000, v2
	v_lshlrev_b32_e32 v141, 16, v2
	v_and_b32_e32 v142, 0xffff0000, v3
	v_lshlrev_b32_e32 v143, 16, v3
	v_and_b32_e32 v144, 0xffff0000, v4
	v_lshlrev_b32_e32 v145, 16, v4
	v_and_b32_e32 v146, 0xffff0000, v5
	v_lshlrev_b32_e32 v147, 16, v5
	ds_load_b128 v[2:5], v1 offset:192
	s_wait_dscnt 0x0
	v_and_b32_e32 v148, 0xffff0000, v2
	v_lshlrev_b32_e32 v149, 16, v2
	v_and_b32_e32 v150, 0xffff0000, v3
	v_lshlrev_b32_e32 v151, 16, v3
	v_and_b32_e32 v152, 0xffff0000, v4
	v_lshlrev_b32_e32 v153, 16, v4
	v_and_b32_e32 v154, 0xffff0000, v5
	v_lshlrev_b32_e32 v155, 16, v5
	ds_load_b128 v[2:5], v1 offset:208
	v_lshl_add_u32 v99, v6, 5, s34
	scratch_store_b32 off, v6, off offset:320 ; 4-byte Folded Spill
	s_wait_dscnt 0x0
	v_and_b32_e32 v156, 0xffff0000, v2
	v_lshlrev_b32_e32 v157, 16, v2
	v_and_b32_e32 v158, 0xffff0000, v3
	v_lshlrev_b32_e32 v159, 16, v3
	v_and_b32_e32 v160, 0xffff0000, v4
	v_lshlrev_b32_e32 v161, 16, v4
	v_and_b32_e32 v162, 0xffff0000, v5
	v_lshlrev_b32_e32 v163, 16, v5
	ds_load_b128 v[2:5], v1 offset:224
	s_wait_dscnt 0x0
	v_and_b32_e32 v164, 0xffff0000, v2
	v_lshlrev_b32_e32 v165, 16, v2
	v_and_b32_e32 v166, 0xffff0000, v3
	v_lshlrev_b32_e32 v167, 16, v3
	v_and_b32_e32 v168, 0xffff0000, v4
	v_lshlrev_b32_e32 v169, 16, v4
	v_and_b32_e32 v170, 0xffff0000, v5
	v_lshlrev_b32_e32 v171, 16, v5
	ds_load_b128 v[2:5], v1 offset:240
	s_wait_dscnt 0x0
	v_and_b32_e32 v172, 0xffff0000, v2
	v_lshlrev_b32_e32 v173, 16, v2
	v_and_b32_e32 v174, 0xffff0000, v3
	v_lshlrev_b32_e32 v175, 16, v3
	v_and_b32_e32 v176, 0xffff0000, v4
	v_lshlrev_b32_e32 v177, 16, v4
	v_and_b32_e32 v178, 0xffff0000, v5
	v_lshlrev_b32_e32 v179, 16, v5
	ds_load_b128 v[2:5], v1 offset:256
	s_wait_dscnt 0x0
	v_and_b32_e32 v180, 0xffff0000, v2
	v_lshlrev_b32_e32 v181, 16, v2
	v_and_b32_e32 v182, 0xffff0000, v3
	v_lshlrev_b32_e32 v183, 16, v3
	v_and_b32_e32 v184, 0xffff0000, v4
	v_lshlrev_b32_e32 v185, 16, v4
	v_and_b32_e32 v186, 0xffff0000, v5
	v_lshlrev_b32_e32 v187, 16, v5
	ds_load_b128 v[2:5], v1 offset:272
	s_wait_dscnt 0x0
	v_and_b32_e32 v188, 0xffff0000, v2
	v_lshlrev_b32_e32 v189, 16, v2
	v_and_b32_e32 v190, 0xffff0000, v3
	v_lshlrev_b32_e32 v191, 16, v3
	v_and_b32_e32 v46, 0xffff0000, v4
	v_lshlrev_b32_e32 v45, 16, v4
	v_and_b32_e32 v47, 0xffff0000, v5
	v_lshlrev_b32_e32 v107, 16, v5
	ds_load_b128 v[2:5], v1 offset:288
	s_wait_dscnt 0x0
	v_and_b32_e32 v108, 0xffff0000, v2
	v_lshlrev_b32_e32 v48, 16, v2
	v_and_b32_e32 v0, 0xffff0000, v3
	v_lshlrev_b32_e32 v49, 16, v3
	v_and_b32_e32 v50, 0xffff0000, v4
	v_lshlrev_b32_e32 v51, 16, v4
	v_and_b32_e32 v52, 0xffff0000, v5
	v_lshlrev_b32_e32 v53, 16, v5
	ds_load_b128 v[2:5], v1 offset:304
	s_wait_dscnt 0x0
	v_and_b32_e32 v54, 0xffff0000, v2
	v_lshlrev_b32_e32 v55, 16, v2
	v_and_b32_e32 v56, 0xffff0000, v3
	v_lshlrev_b32_e32 v57, 16, v3
	v_and_b32_e32 v58, 0xffff0000, v4
	v_lshlrev_b32_e32 v59, 16, v4
	v_and_b32_e32 v60, 0xffff0000, v5
	v_lshlrev_b32_e32 v61, 16, v5
	ds_load_b128 v[2:5], v1 offset:320
	s_wait_dscnt 0x0
	v_and_b32_e32 v62, 0xffff0000, v2
	v_lshlrev_b32_e32 v63, 16, v2
	v_and_b32_e32 v64, 0xffff0000, v3
	v_lshlrev_b32_e32 v65, 16, v3
	v_and_b32_e32 v66, 0xffff0000, v4
	v_lshlrev_b32_e32 v67, 16, v4
	v_and_b32_e32 v68, 0xffff0000, v5
	v_lshlrev_b32_e32 v69, 16, v5
	ds_load_b128 v[2:5], v1 offset:336
	s_wait_dscnt 0x0
	v_and_b32_e32 v70, 0xffff0000, v2
	v_lshlrev_b32_e32 v71, 16, v2
	v_and_b32_e32 v72, 0xffff0000, v3
	v_lshlrev_b32_e32 v73, 16, v3
	v_and_b32_e32 v74, 0xffff0000, v4
	v_lshlrev_b32_e32 v75, 16, v4
	v_and_b32_e32 v76, 0xffff0000, v5
	v_lshlrev_b32_e32 v77, 16, v5
	ds_load_b128 v[2:5], v1 offset:352
	s_wait_dscnt 0x0
	v_and_b32_e32 v78, 0xffff0000, v2
	v_lshlrev_b32_e32 v79, 16, v2
	v_and_b32_e32 v80, 0xffff0000, v3
	v_lshlrev_b32_e32 v81, 16, v3
	;; [unrolled: 2-line block ×3, first 2 shown]
	ds_load_b128 v[1:4], v1 offset:368
	v_and_b32_e32 v84, 0xffff0000, v5
	v_lshlrev_b32_e32 v85, 16, v5
	s_wait_dscnt 0x0
	v_and_b32_e32 v89, 0xffff0000, v2
	v_lshlrev_b32_e32 v90, 16, v2
	scratch_load_b32 v2, off, off           ; 4-byte Folded Reload
	v_and_b32_e32 v86, 0xffff0000, v1
	v_lshlrev_b32_e32 v88, 16, v1
	s_wait_alu 0xfffe
	v_rcp_iflag_f32_e32 v1, s3
	v_and_b32_e32 v91, 0xffff0000, v3
	v_lshlrev_b32_e32 v92, 16, v3
	v_and_b32_e32 v93, 0xffff0000, v4
	v_lshlrev_b32_e32 v94, 16, v4
	s_delay_alu instid0(TRANS32_DEP_1) | instskip(SKIP_2) | instid1(SALU_CYCLE_2)
	v_readfirstlane_b32 s3, v1
	s_mul_f32 s3, s3, 0x4f7ffffe
	s_wait_alu 0xfffe
	s_cvt_u32_f32 s3, s3
	s_wait_alu 0xfffe
	s_delay_alu instid0(SALU_CYCLE_2) | instskip(NEXT) | instid1(SALU_CYCLE_1)
	s_mul_i32 s4, s4, s3
	s_mul_hi_u32 s4, s3, s4
	s_delay_alu instid0(SALU_CYCLE_1)
	s_add_co_i32 s28, s3, s4
	v_add_co_u32 v41, s3, s40, v11
	s_wait_alu 0xf1ff
	v_add_co_ci_u32_e64 v42, null, s41, 0, s3
	s_wait_loadcnt 0x0
	v_subrev_nc_u32_e32 v1, s31, v2
	s_delay_alu instid0(VALU_DEP_1) | instskip(SKIP_1) | instid1(VALU_DEP_1)
	v_add_nc_u32_e32 v95, 1, v1
	v_lshl_or_b32 v1, v6, 7, v12
	v_add_nc_u32_e32 v96, 0x1a0, v1
	v_lshlrev_b32_e32 v1, 4, v2
	s_delay_alu instid0(VALU_DEP_1)
	v_add_co_u32 v97, s3, s38, v1
	s_wait_alu 0xf1ff
	v_add_co_ci_u32_e64 v98, null, s39, 0, s3
	s_branch .LBB178_12
.LBB178_11:                             ;   in Loop: Header=BB178_12 Depth=1
	s_or_b32 exec_lo, exec_lo, s4
	v_add_nc_u32_e32 v110, 4, v110
	v_add_co_u32 v41, s3, v41, 16
	s_wait_alu 0xf1ff
	v_add_co_ci_u32_e64 v42, null, 0, v42, s3
	s_delay_alu instid0(VALU_DEP_3) | instskip(SKIP_3) | instid1(SALU_CYCLE_1)
	v_cmp_le_i32_e64 s3, s33, v110
	v_add_nc_u32_e32 v99, 0x80, v99
	v_add_nc_u32_e32 v96, 0x200, v96
	s_or_b32 s27, s3, s27
	s_and_not1_b32 exec_lo, exec_lo, s27
	s_cbranch_execz .LBB178_16
.LBB178_12:                             ; =>This Inner Loop Header: Depth=1
	v_sub_nc_u32_e32 v1, 0, v99
	s_delay_alu instid0(VALU_DEP_1) | instskip(NEXT) | instid1(VALU_DEP_1)
	v_max_i32_e32 v1, v99, v1
	v_mul_hi_u32 v2, v1, s18
	s_delay_alu instid0(VALU_DEP_1) | instskip(NEXT) | instid1(VALU_DEP_1)
	v_mul_lo_u32 v3, v2, s12
	v_sub_nc_u32_e32 v1, v1, v3
	v_add_nc_u32_e32 v3, 1, v2
	s_delay_alu instid0(VALU_DEP_2) | instskip(SKIP_2) | instid1(VALU_DEP_1)
	v_subrev_nc_u32_e32 v4, s12, v1
	v_cmp_le_u32_e64 s3, s12, v1
	s_wait_alu 0xf1ff
	v_cndmask_b32_e64 v2, v2, v3, s3
	s_delay_alu instid0(VALU_DEP_3) | instskip(SKIP_1) | instid1(VALU_DEP_3)
	v_cndmask_b32_e64 v1, v1, v4, s3
	v_ashrrev_i32_e32 v3, 31, v99
	v_add_nc_u32_e32 v4, 1, v2
	s_delay_alu instid0(VALU_DEP_3) | instskip(NEXT) | instid1(VALU_DEP_3)
	v_cmp_le_u32_e64 s3, s12, v1
	v_xor_b32_e32 v3, s19, v3
	s_wait_alu 0xf1ff
	s_delay_alu instid0(VALU_DEP_2) | instskip(NEXT) | instid1(VALU_DEP_1)
	v_cndmask_b32_e64 v1, v2, v4, s3
	v_xor_b32_e32 v1, v1, v3
	s_delay_alu instid0(VALU_DEP_1) | instskip(NEXT) | instid1(VALU_DEP_1)
	v_sub_nc_u32_e32 v1, v1, v3
	v_add_nc_u32_e32 v2, s17, v1
	v_cmp_ge_i32_e64 s4, s10, v1
	s_delay_alu instid0(VALU_DEP_2) | instskip(NEXT) | instid1(VALU_DEP_1)
	v_sub_nc_u32_e32 v3, 0, v2
	v_max_i32_e32 v3, v2, v3
	v_ashrrev_i32_e32 v2, 31, v2
	s_delay_alu instid0(VALU_DEP_2) | instskip(NEXT) | instid1(VALU_DEP_1)
	v_mul_hi_u32 v4, v3, s28
	v_mul_lo_u32 v4, v4, s11
	s_delay_alu instid0(VALU_DEP_1) | instskip(NEXT) | instid1(VALU_DEP_1)
	v_sub_nc_u32_e32 v3, v3, v4
	v_subrev_nc_u32_e32 v4, s11, v3
	v_cmp_le_u32_e64 s3, s11, v3
	s_wait_alu 0xf1ff
	s_delay_alu instid0(VALU_DEP_1) | instskip(NEXT) | instid1(VALU_DEP_1)
	v_cndmask_b32_e64 v3, v3, v4, s3
	v_subrev_nc_u32_e32 v4, s11, v3
	v_cmp_le_u32_e64 s3, s11, v3
	s_wait_alu 0xf1ff
	s_delay_alu instid0(VALU_DEP_1) | instskip(NEXT) | instid1(VALU_DEP_1)
	v_cndmask_b32_e64 v3, v3, v4, s3
	v_xor_b32_e32 v3, v3, v2
	s_delay_alu instid0(VALU_DEP_1) | instskip(NEXT) | instid1(VALU_DEP_1)
	v_sub_nc_u32_e32 v2, v3, v2
	v_cmp_ne_u32_e64 s3, 0, v2
	s_and_b32 s3, s3, s4
	s_wait_alu 0xfffe
	s_and_saveexec_b32 s4, s3
	s_delay_alu instid0(SALU_CYCLE_1)
	s_xor_b32 s3, exec_lo, s4
; %bb.13:                               ;   in Loop: Header=BB178_12 Depth=1
	v_mov_b32_e32 v1, 0xff7fffff
	ds_store_b32 v96, v1
; %bb.14:                               ;   in Loop: Header=BB178_12 Depth=1
	s_wait_alu 0xfffe
	s_and_not1_saveexec_b32 s4, s3
	s_cbranch_execz .LBB178_11
; %bb.15:                               ;   in Loop: Header=BB178_12 Depth=1
	global_load_b32 v1, v[41:42], off
	s_clause 0x1
	scratch_load_b32 v2, off, off
	scratch_load_b32 v6, off, off offset:40
	s_wait_loadcnt 0x1
	v_add_nc_u32_e32 v3, v2, v99
	v_mad_co_i64_i32 v[1:2], null, v1, s14, 0
	s_delay_alu instid0(VALU_DEP_1) | instskip(NEXT) | instid1(VALU_DEP_1)
	v_lshlrev_b64_e32 v[1:2], 1, v[1:2]
	v_add_co_u32 v43, s3, v97, v1
	v_add_nc_u32_e32 v1, v95, v99
	s_wait_alu 0xf1ff
	s_delay_alu instid0(VALU_DEP_3) | instskip(SKIP_1) | instid1(VALU_DEP_3)
	v_add_co_ci_u32_e64 v44, null, v98, v2, s3
	v_cmp_gt_i32_e64 s3, s31, v3
	v_cvt_f32_i32_e32 v1, v1
	s_delay_alu instid0(VALU_DEP_1) | instskip(NEXT) | instid1(VALU_DEP_1)
	v_mul_f32_e32 v1, s15, v1
	v_cndmask_b32_e32 v101, 0, v1, vcc_lo
	global_load_b128 v[1:4], v[43:44], off
	s_wait_loadcnt 0x0
	v_lshlrev_b32_e32 v116, 16, v1
	v_and_b32_e32 v117, 0xffff0000, v1
	v_lshlrev_b32_e32 v118, 16, v2
	v_and_b32_e32 v119, 0xffff0000, v2
	;; [unrolled: 2-line block ×4, first 2 shown]
	global_load_b128 v[1:4], v[43:44], off offset:512
	s_wait_loadcnt 0x0
	v_and_b32_e32 v5, 0xffff0000, v1
	v_lshlrev_b32_e32 v1, 16, v1
	s_delay_alu instid0(VALU_DEP_1)
	v_mul_f32_e32 v112, v6, v1
	scratch_load_b32 v1, off, off offset:36 ; 4-byte Folded Reload
	s_wait_loadcnt 0x0
	v_mul_f32_e32 v100, v1, v5
	scratch_load_b32 v5, off, off offset:48 ; 4-byte Folded Reload
	v_and_b32_e32 v1, 0xffff0000, v2
	v_lshlrev_b32_e32 v2, 16, v2
	s_wait_loadcnt 0x0
	s_delay_alu instid0(VALU_DEP_1)
	v_mul_f32_e32 v111, v5, v2
	scratch_load_b32 v2, off, off offset:44 ; 4-byte Folded Reload
	s_wait_loadcnt 0x0
	v_dual_mul_f32 v106, v2, v1 :: v_dual_and_b32 v1, 0xffff0000, v3
	v_lshlrev_b32_e32 v2, 16, v3
	scratch_load_b32 v3, off, off offset:56 ; 4-byte Folded Reload
	s_wait_loadcnt 0x0
	v_mul_f32_e32 v105, v3, v2
	s_clause 0x1
	scratch_load_b32 v2, off, off offset:52
	scratch_load_b32 v3, off, off offset:64
	s_wait_loadcnt 0x1
	v_mul_f32_e32 v102, v2, v1
	v_lshlrev_b32_e32 v2, 16, v4
	s_wait_loadcnt 0x0
	s_delay_alu instid0(VALU_DEP_1)
	v_dual_mul_f32 v104, v3, v2 :: v_dual_and_b32 v1, 0xffff0000, v4
	scratch_load_b32 v2, off, off offset:60 ; 4-byte Folded Reload
	s_wait_loadcnt 0x0
	v_mul_f32_e32 v103, v2, v1
	global_load_b128 v[1:4], v[43:44], off offset:1024
	s_wait_loadcnt 0x0
	v_and_b32_e32 v120, 0xffff0000, v1
	v_lshlrev_b32_e32 v121, 16, v1
	v_and_b32_e32 v122, 0xffff0000, v2
	v_lshlrev_b32_e32 v123, 16, v2
	v_and_b32_e32 v124, 0xffff0000, v3
	v_lshlrev_b32_e32 v125, 16, v3
	v_and_b32_e32 v39, 0xffff0000, v4
	v_lshlrev_b32_e32 v40, 16, v4
	s_clause 0x8
	global_load_b128 v[33:36], v[43:44], off offset:1536
	global_load_b128 v[29:32], v[43:44], off offset:2048
	global_load_b128 v[25:28], v[43:44], off offset:2560
	global_load_b128 v[21:24], v[43:44], off offset:3072
	global_load_b128 v[17:20], v[43:44], off offset:3584
	global_load_b128 v[13:16], v[43:44], off offset:4096
	global_load_b128 v[9:12], v[43:44], off offset:4608
	global_load_b128 v[5:8], v[43:44], off offset:5120
	global_load_b128 v[1:4], v[43:44], off offset:5632
	scratch_load_b32 v126, off, off offset:4 ; 4-byte Folded Reload
	s_wait_loadcnt 0x0
	v_fmac_f32_e32 v100, v126, v117
	scratch_load_b32 v117, off, off offset:8 ; 4-byte Folded Reload
	s_wait_loadcnt 0x0
	v_fmac_f32_e32 v112, v117, v116
	s_clause 0x1
	scratch_load_b32 v116, off, off offset:72
	scratch_load_b32 v117, off, off offset:100
	s_wait_loadcnt 0x1
	v_fmac_f32_e32 v112, v116, v121
	scratch_load_b32 v116, off, off offset:68 ; 4-byte Folded Reload
	s_wait_loadcnt 0x0
	v_fmac_f32_e32 v100, v116, v120
	v_lshlrev_b32_e32 v116, 16, v33
	v_and_b32_e32 v33, 0xffff0000, v33
	s_delay_alu instid0(VALU_DEP_1)
	v_fmac_f32_e32 v100, v117, v33
	scratch_load_b32 v33, off, off offset:104 ; 4-byte Folded Reload
	s_wait_loadcnt 0x0
	v_fmac_f32_e32 v112, v33, v116
	scratch_load_b32 v116, off, off offset:136 ; 4-byte Folded Reload
	v_and_b32_e32 v33, 0xffff0000, v29
	v_lshlrev_b32_e32 v29, 16, v29
	s_wait_loadcnt 0x0
	s_delay_alu instid0(VALU_DEP_1)
	v_fmac_f32_e32 v112, v116, v29
	scratch_load_b32 v29, off, off offset:132 ; 4-byte Folded Reload
	s_wait_loadcnt 0x0
	v_fmac_f32_e32 v100, v29, v33
	scratch_load_b32 v33, off, off offset:164 ; 4-byte Folded Reload
	v_lshlrev_b32_e32 v29, 16, v25
	v_and_b32_e32 v25, 0xffff0000, v25
	s_wait_loadcnt 0x0
	s_delay_alu instid0(VALU_DEP_1)
	v_fmac_f32_e32 v100, v33, v25
	scratch_load_b32 v25, off, off offset:168 ; 4-byte Folded Reload
	s_wait_loadcnt 0x0
	v_fmac_f32_e32 v112, v25, v29
	scratch_load_b32 v29, off, off offset:200 ; 4-byte Folded Reload
	v_and_b32_e32 v25, 0xffff0000, v21
	v_lshlrev_b32_e32 v21, 16, v21
	s_wait_loadcnt 0x0
	s_delay_alu instid0(VALU_DEP_1)
	v_fmac_f32_e32 v112, v29, v21
	scratch_load_b32 v21, off, off offset:196 ; 4-byte Folded Reload
	s_wait_loadcnt 0x0
	v_fmac_f32_e32 v100, v21, v25
	scratch_load_b32 v25, off, off offset:228 ; 4-byte Folded Reload
	v_lshlrev_b32_e32 v21, 16, v17
	v_and_b32_e32 v17, 0xffff0000, v17
	s_wait_loadcnt 0x0
	;; [unrolled: 18-line block ×3, first 2 shown]
	s_delay_alu instid0(VALU_DEP_1)
	v_fmac_f32_e32 v100, v17, v9
	scratch_load_b32 v9, off, off offset:296 ; 4-byte Folded Reload
	s_wait_loadcnt 0x0
	v_fmac_f32_e32 v112, v9, v13
	v_and_b32_e32 v9, 0xffff0000, v5
	v_lshlrev_b32_e32 v5, 16, v5
	s_delay_alu instid0(VALU_DEP_2) | instskip(NEXT) | instid1(VALU_DEP_2)
	v_fmac_f32_e32 v100, v132, v9
	v_fmac_f32_e32 v112, v133, v5
	v_lshlrev_b32_e32 v5, 16, v1
	v_and_b32_e32 v1, 0xffff0000, v1
	scratch_load_b32 v9, off, off offset:108 ; 4-byte Folded Reload
	v_fmac_f32_e32 v112, v141, v5
	v_fmac_f32_e32 v100, v140, v1
	scratch_load_b32 v1, off, off offset:12 ; 4-byte Folded Reload
	s_wait_loadcnt 0x0
	v_dual_fmac_f32 v106, v1, v119 :: v_dual_and_b32 v5, 0xffff0000, v34
	scratch_load_b32 v1, off, off offset:16 ; 4-byte Folded Reload
	s_wait_loadcnt 0x0
	v_fmac_f32_e32 v111, v1, v118
	scratch_load_b32 v1, off, off offset:80 ; 4-byte Folded Reload
	s_wait_loadcnt 0x0
	v_fmac_f32_e32 v111, v1, v123
	scratch_load_b32 v1, off, off offset:76 ; 4-byte Folded Reload
	s_wait_loadcnt 0x0
	v_fmac_f32_e32 v106, v1, v122
	s_delay_alu instid0(VALU_DEP_1)
	v_dual_fmac_f32 v106, v9, v5 :: v_dual_lshlrev_b32 v1, 16, v34
	s_clause 0x1
	scratch_load_b32 v5, off, off offset:112
	scratch_load_b32 v9, off, off offset:144
	s_wait_loadcnt 0x1
	v_fmac_f32_e32 v111, v5, v1
	v_lshlrev_b32_e32 v5, 16, v30
	v_and_b32_e32 v1, 0xffff0000, v30
	s_wait_loadcnt 0x0
	s_delay_alu instid0(VALU_DEP_2)
	v_fmac_f32_e32 v111, v9, v5
	s_clause 0x1
	scratch_load_b32 v5, off, off offset:140
	scratch_load_b32 v9, off, off offset:172
	s_wait_loadcnt 0x1
	v_dual_fmac_f32 v106, v5, v1 :: v_dual_and_b32 v5, 0xffff0000, v26
	s_wait_loadcnt 0x0
	s_delay_alu instid0(VALU_DEP_1)
	v_dual_fmac_f32 v106, v9, v5 :: v_dual_lshlrev_b32 v1, 16, v26
	s_clause 0x1
	scratch_load_b32 v5, off, off offset:176
	scratch_load_b32 v9, off, off offset:208
	s_wait_loadcnt 0x1
	v_fmac_f32_e32 v111, v5, v1
	v_lshlrev_b32_e32 v5, 16, v22
	v_and_b32_e32 v1, 0xffff0000, v22
	s_wait_loadcnt 0x0
	s_delay_alu instid0(VALU_DEP_2)
	v_fmac_f32_e32 v111, v9, v5
	s_clause 0x1
	scratch_load_b32 v5, off, off offset:204
	scratch_load_b32 v9, off, off offset:236
	s_wait_loadcnt 0x1
	v_dual_fmac_f32 v106, v5, v1 :: v_dual_and_b32 v5, 0xffff0000, v18
	s_wait_loadcnt 0x0
	s_delay_alu instid0(VALU_DEP_1)
	v_dual_fmac_f32 v106, v9, v5 :: v_dual_lshlrev_b32 v1, 16, v18
	s_clause 0x1
	scratch_load_b32 v5, off, off offset:240
	scratch_load_b32 v9, off, off offset:272
	s_wait_loadcnt 0x1
	v_fmac_f32_e32 v111, v5, v1
	v_lshlrev_b32_e32 v5, 16, v14
	v_and_b32_e32 v1, 0xffff0000, v14
	s_wait_loadcnt 0x0
	s_delay_alu instid0(VALU_DEP_2)
	v_fmac_f32_e32 v111, v9, v5
	s_clause 0x1
	scratch_load_b32 v5, off, off offset:268
	scratch_load_b32 v9, off, off offset:300
	s_wait_loadcnt 0x1
	v_dual_fmac_f32 v106, v5, v1 :: v_dual_and_b32 v5, 0xffff0000, v10
	s_wait_loadcnt 0x0
	s_delay_alu instid0(VALU_DEP_1) | instskip(SKIP_4) | instid1(VALU_DEP_1)
	v_dual_fmac_f32 v106, v9, v5 :: v_dual_lshlrev_b32 v1, 16, v10
	scratch_load_b32 v5, off, off offset:304 ; 4-byte Folded Reload
	s_wait_loadcnt 0x0
	v_fmac_f32_e32 v111, v5, v1
	v_and_b32_e32 v1, 0xffff0000, v6
	v_dual_fmac_f32 v106, v134, v1 :: v_dual_lshlrev_b32 v5, 16, v6
	s_delay_alu instid0(VALU_DEP_1)
	v_fmac_f32_e32 v111, v135, v5
	v_lshlrev_b32_e32 v1, 16, v2
	scratch_load_b32 v5, off, off offset:116 ; 4-byte Folded Reload
	v_dual_fmac_f32 v111, v143, v1 :: v_dual_and_b32 v2, 0xffff0000, v2
	scratch_load_b32 v1, off, off offset:20 ; 4-byte Folded Reload
	v_fmac_f32_e32 v106, v142, v2
	v_and_b32_e32 v2, 0xffff0000, v35
	s_wait_loadcnt 0x0
	v_fmac_f32_e32 v102, v1, v115
	scratch_load_b32 v1, off, off offset:24 ; 4-byte Folded Reload
	s_wait_loadcnt 0x0
	v_fmac_f32_e32 v105, v1, v114
	scratch_load_b32 v1, off, off offset:88 ; 4-byte Folded Reload
	;; [unrolled: 3-line block ×3, first 2 shown]
	s_wait_loadcnt 0x0
	v_dual_fmac_f32 v102, v1, v124 :: v_dual_lshlrev_b32 v1, 16, v35
	s_delay_alu instid0(VALU_DEP_1)
	v_fmac_f32_e32 v102, v5, v2
	s_clause 0x1
	scratch_load_b32 v2, off, off offset:120
	scratch_load_b32 v5, off, off offset:152
	s_wait_loadcnt 0x1
	v_dual_fmac_f32 v105, v2, v1 :: v_dual_lshlrev_b32 v2, 16, v31
	v_and_b32_e32 v1, 0xffff0000, v31
	s_wait_loadcnt 0x0
	s_delay_alu instid0(VALU_DEP_2)
	v_fmac_f32_e32 v105, v5, v2
	s_clause 0x1
	scratch_load_b32 v2, off, off offset:148
	scratch_load_b32 v5, off, off offset:180
	s_wait_loadcnt 0x1
	v_fmac_f32_e32 v102, v2, v1
	v_and_b32_e32 v2, 0xffff0000, v27
	s_wait_loadcnt 0x0
	s_delay_alu instid0(VALU_DEP_1)
	v_dual_fmac_f32 v102, v5, v2 :: v_dual_lshlrev_b32 v1, 16, v27
	s_clause 0x1
	scratch_load_b32 v2, off, off offset:184
	scratch_load_b32 v5, off, off offset:216
	s_wait_loadcnt 0x1
	v_dual_fmac_f32 v105, v2, v1 :: v_dual_lshlrev_b32 v2, 16, v23
	v_and_b32_e32 v1, 0xffff0000, v23
	s_wait_loadcnt 0x0
	s_delay_alu instid0(VALU_DEP_2)
	v_fmac_f32_e32 v105, v5, v2
	s_clause 0x1
	scratch_load_b32 v2, off, off offset:212
	scratch_load_b32 v5, off, off offset:244
	s_wait_loadcnt 0x1
	v_fmac_f32_e32 v102, v2, v1
	v_and_b32_e32 v2, 0xffff0000, v19
	s_wait_loadcnt 0x0
	s_delay_alu instid0(VALU_DEP_1)
	v_dual_fmac_f32 v102, v5, v2 :: v_dual_lshlrev_b32 v1, 16, v19
	;; [unrolled: 18-line block ×3, first 2 shown]
	scratch_load_b32 v2, off, off offset:312 ; 4-byte Folded Reload
	s_wait_loadcnt 0x0
	v_fmac_f32_e32 v105, v2, v1
	v_and_b32_e32 v1, 0xffff0000, v7
	v_lshlrev_b32_e32 v2, 16, v7
	s_delay_alu instid0(VALU_DEP_1)
	v_dual_fmac_f32 v102, v136, v1 :: v_dual_fmac_f32 v105, v137, v2
	v_lshlrev_b32_e32 v1, 16, v3
	v_and_b32_e32 v2, 0xffff0000, v3
	scratch_load_b32 v3, off, off offset:124 ; 4-byte Folded Reload
	v_fmac_f32_e32 v105, v145, v1
	scratch_load_b32 v1, off, off offset:28 ; 4-byte Folded Reload
	v_fmac_f32_e32 v102, v144, v2
	s_wait_loadcnt 0x0
	v_dual_fmac_f32 v103, v1, v38 :: v_dual_and_b32 v2, 0xffff0000, v36
	scratch_load_b32 v1, off, off offset:32 ; 4-byte Folded Reload
	s_wait_loadcnt 0x0
	v_fmac_f32_e32 v104, v1, v37
	scratch_load_b32 v1, off, off offset:96 ; 4-byte Folded Reload
	s_wait_loadcnt 0x0
	v_fmac_f32_e32 v104, v1, v40
	;; [unrolled: 3-line block ×3, first 2 shown]
	v_lshlrev_b32_e32 v1, 16, v36
	s_delay_alu instid0(VALU_DEP_2)
	v_fmac_f32_e32 v103, v3, v2
	s_clause 0x1
	scratch_load_b32 v2, off, off offset:128
	scratch_load_b32 v3, off, off offset:160
	s_wait_loadcnt 0x1
	v_fmac_f32_e32 v104, v2, v1
	v_lshlrev_b32_e32 v2, 16, v32
	s_wait_loadcnt 0x0
	s_delay_alu instid0(VALU_DEP_1)
	v_dual_fmac_f32 v104, v3, v2 :: v_dual_and_b32 v1, 0xffff0000, v32
	s_clause 0x1
	scratch_load_b32 v2, off, off offset:156
	scratch_load_b32 v3, off, off offset:188
	s_wait_loadcnt 0x1
	v_dual_fmac_f32 v103, v2, v1 :: v_dual_and_b32 v2, 0xffff0000, v28
	v_lshlrev_b32_e32 v1, 16, v28
	s_wait_loadcnt 0x0
	s_delay_alu instid0(VALU_DEP_2)
	v_fmac_f32_e32 v103, v3, v2
	s_clause 0x1
	scratch_load_b32 v2, off, off offset:192
	scratch_load_b32 v3, off, off offset:224
	s_wait_loadcnt 0x1
	v_fmac_f32_e32 v104, v2, v1
	v_lshlrev_b32_e32 v2, 16, v24
	s_wait_loadcnt 0x0
	s_delay_alu instid0(VALU_DEP_1)
	v_dual_fmac_f32 v104, v3, v2 :: v_dual_and_b32 v1, 0xffff0000, v24
	s_clause 0x1
	scratch_load_b32 v2, off, off offset:220
	scratch_load_b32 v3, off, off offset:252
	s_wait_loadcnt 0x1
	v_dual_fmac_f32 v103, v2, v1 :: v_dual_and_b32 v2, 0xffff0000, v20
	v_lshlrev_b32_e32 v1, 16, v20
	s_wait_loadcnt 0x0
	s_delay_alu instid0(VALU_DEP_2)
	v_fmac_f32_e32 v103, v3, v2
	s_clause 0x1
	scratch_load_b32 v2, off, off offset:256
	scratch_load_b32 v3, off, off offset:288
	s_wait_loadcnt 0x1
	v_fmac_f32_e32 v104, v2, v1
	v_lshlrev_b32_e32 v2, 16, v16
	s_wait_loadcnt 0x0
	s_delay_alu instid0(VALU_DEP_1) | instskip(SKIP_4) | instid1(VALU_DEP_1)
	v_dual_fmac_f32 v104, v3, v2 :: v_dual_and_b32 v1, 0xffff0000, v16
	scratch_load_b32 v2, off, off offset:284 ; 4-byte Folded Reload
	s_wait_loadcnt 0x0
	v_dual_fmac_f32 v103, v2, v1 :: v_dual_and_b32 v2, 0xffff0000, v12
	v_lshlrev_b32_e32 v1, 16, v12
	v_dual_fmac_f32 v103, v130, v2 :: v_dual_fmac_f32 v104, v131, v1
	v_and_b32_e32 v1, 0xffff0000, v8
	s_delay_alu instid0(VALU_DEP_1) | instskip(NEXT) | instid1(VALU_DEP_1)
	v_dual_fmac_f32 v103, v138, v1 :: v_dual_lshlrev_b32 v2, 16, v8
	v_dual_fmac_f32 v104, v139, v2 :: v_dual_lshlrev_b32 v1, 16, v4
	v_and_b32_e32 v2, 0xffff0000, v4
	s_delay_alu instid0(VALU_DEP_1)
	v_dual_fmac_f32 v104, v147, v1 :: v_dual_fmac_f32 v103, v146, v2
	global_load_b128 v[1:4], v[43:44], off offset:6144
	s_wait_loadcnt 0x0
	v_lshlrev_b32_e32 v123, 16, v2
	v_and_b32_e32 v122, 0xffff0000, v2
	v_lshlrev_b32_e32 v121, 16, v1
	v_and_b32_e32 v118, 0xffff0000, v3
	v_lshlrev_b32_e32 v119, 16, v3
	v_and_b32_e32 v114, 0xffff0000, v4
	v_lshlrev_b32_e32 v115, 16, v4
	v_dual_fmac_f32 v111, v151, v123 :: v_dual_and_b32 v120, 0xffff0000, v1
	global_load_b128 v[1:4], v[43:44], off offset:6656
	v_fmac_f32_e32 v106, v150, v122
	v_fmac_f32_e32 v112, v149, v121
	s_wait_loadcnt 0x0
	v_lshlrev_b32_e32 v124, 16, v1
	v_lshlrev_b32_e32 v126, 16, v2
	v_and_b32_e32 v127, 0xffff0000, v2
	v_and_b32_e32 v125, 0xffff0000, v1
	v_lshlrev_b32_e32 v128, 16, v3
	v_and_b32_e32 v129, 0xffff0000, v3
	v_lshlrev_b32_e32 v116, 16, v4
	v_and_b32_e32 v117, 0xffff0000, v4
	s_clause 0x9
	global_load_b128 v[37:40], v[43:44], off offset:7168
	global_load_b128 v[33:36], v[43:44], off offset:7680
	;; [unrolled: 1-line block ×10, first 2 shown]
	v_dual_fmac_f32 v111, v159, v126 :: v_dual_fmac_f32 v100, v148, v120
	v_fmac_f32_e32 v112, v157, v124
	v_fmac_f32_e32 v106, v158, v127
	s_delay_alu instid0(VALU_DEP_3) | instskip(SKIP_2) | instid1(VALU_DEP_1)
	v_fmac_f32_e32 v100, v156, v125
	s_wait_loadcnt 0x9
	v_and_b32_e32 v43, 0xffff0000, v37
	v_dual_fmac_f32 v100, v164, v43 :: v_dual_lshlrev_b32 v37, 16, v37
	s_delay_alu instid0(VALU_DEP_1) | instskip(SKIP_3) | instid1(VALU_DEP_2)
	v_fmac_f32_e32 v112, v165, v37
	s_wait_loadcnt 0x8
	v_lshlrev_b32_e32 v37, 16, v33
	v_and_b32_e32 v33, 0xffff0000, v33
	v_fmac_f32_e32 v112, v173, v37
	s_delay_alu instid0(VALU_DEP_2) | instskip(SKIP_3) | instid1(VALU_DEP_2)
	v_fmac_f32_e32 v100, v172, v33
	s_wait_loadcnt 0x7
	v_and_b32_e32 v33, 0xffff0000, v29
	v_lshlrev_b32_e32 v29, 16, v29
	v_fmac_f32_e32 v100, v180, v33
	s_delay_alu instid0(VALU_DEP_2) | instskip(SKIP_3) | instid1(VALU_DEP_2)
	v_fmac_f32_e32 v112, v181, v29
	s_wait_loadcnt 0x6
	v_lshlrev_b32_e32 v29, 16, v25
	v_and_b32_e32 v25, 0xffff0000, v25
	v_fmac_f32_e32 v112, v189, v29
	s_delay_alu instid0(VALU_DEP_2) | instskip(SKIP_3) | instid1(VALU_DEP_2)
	v_fmac_f32_e32 v100, v188, v25
	s_wait_loadcnt 0x5
	v_and_b32_e32 v25, 0xffff0000, v21
	v_lshlrev_b32_e32 v21, 16, v21
	v_fmac_f32_e32 v100, v108, v25
	s_delay_alu instid0(VALU_DEP_2) | instskip(SKIP_3) | instid1(VALU_DEP_2)
	v_fmac_f32_e32 v112, v48, v21
	s_wait_loadcnt 0x4
	v_lshlrev_b32_e32 v21, 16, v17
	v_and_b32_e32 v17, 0xffff0000, v17
	v_fmac_f32_e32 v112, v55, v21
	s_delay_alu instid0(VALU_DEP_2) | instskip(SKIP_3) | instid1(VALU_DEP_2)
	v_fmac_f32_e32 v100, v54, v17
	s_wait_loadcnt 0x3
	v_and_b32_e32 v17, 0xffff0000, v13
	v_lshlrev_b32_e32 v13, 16, v13
	v_fmac_f32_e32 v100, v62, v17
	s_delay_alu instid0(VALU_DEP_2)
	v_fmac_f32_e32 v112, v63, v13
	s_wait_loadcnt 0x2
	v_lshlrev_b32_e32 v13, 16, v9
	v_and_b32_e32 v9, 0xffff0000, v9
	v_fmac_f32_e32 v105, v153, v119
	v_fmac_f32_e32 v104, v155, v115
	s_delay_alu instid0(VALU_DEP_4) | instskip(NEXT) | instid1(VALU_DEP_4)
	v_fmac_f32_e32 v112, v71, v13
	v_fmac_f32_e32 v100, v70, v9
	s_wait_loadcnt 0x1
	v_and_b32_e32 v9, 0xffff0000, v5
	v_lshlrev_b32_e32 v5, 16, v5
	s_delay_alu instid0(VALU_DEP_2) | instskip(NEXT) | instid1(VALU_DEP_2)
	v_fmac_f32_e32 v100, v78, v9
	v_fmac_f32_e32 v112, v79, v5
	s_wait_loadcnt 0x0
	v_lshlrev_b32_e32 v5, 16, v1
	v_and_b32_e32 v1, 0xffff0000, v1
	s_delay_alu instid0(VALU_DEP_2) | instskip(NEXT) | instid1(VALU_DEP_2)
	v_fmac_f32_e32 v112, v88, v5
	v_dual_fmac_f32 v100, v86, v1 :: v_dual_lshlrev_b32 v5, 16, v38
	v_and_b32_e32 v1, 0xffff0000, v38
	s_delay_alu instid0(VALU_DEP_2) | instskip(NEXT) | instid1(VALU_DEP_2)
	v_fmac_f32_e32 v111, v167, v5
	v_dual_fmac_f32 v106, v166, v1 :: v_dual_and_b32 v5, 0xffff0000, v34
	s_delay_alu instid0(VALU_DEP_1) | instskip(NEXT) | instid1(VALU_DEP_1)
	v_dual_fmac_f32 v106, v174, v5 :: v_dual_lshlrev_b32 v1, 16, v34
	v_fmac_f32_e32 v111, v175, v1
	v_and_b32_e32 v1, 0xffff0000, v30
	v_lshlrev_b32_e32 v5, 16, v30
	v_fmac_f32_e32 v102, v152, v118
	s_delay_alu instid0(VALU_DEP_3) | instskip(NEXT) | instid1(VALU_DEP_3)
	v_fmac_f32_e32 v106, v182, v1
	v_fmac_f32_e32 v111, v183, v5
	v_and_b32_e32 v5, 0xffff0000, v26
	s_delay_alu instid0(VALU_DEP_4) | instskip(NEXT) | instid1(VALU_DEP_2)
	v_dual_fmac_f32 v102, v160, v129 :: v_dual_lshlrev_b32 v1, 16, v26
	v_fmac_f32_e32 v106, v190, v5
	s_delay_alu instid0(VALU_DEP_2) | instskip(SKIP_1) | instid1(VALU_DEP_1)
	v_fmac_f32_e32 v111, v191, v1
	v_lshlrev_b32_e32 v5, 16, v22
	v_fmac_f32_e32 v111, v49, v5
	v_and_b32_e32 v5, 0xffff0000, v18
	v_and_b32_e32 v1, 0xffff0000, v22
	s_delay_alu instid0(VALU_DEP_1) | instskip(NEXT) | instid1(VALU_DEP_1)
	v_dual_fmac_f32 v105, v161, v128 :: v_dual_fmac_f32 v106, v0, v1
	v_dual_fmac_f32 v106, v56, v5 :: v_dual_lshlrev_b32 v1, 16, v18
	s_delay_alu instid0(VALU_DEP_1) | instskip(SKIP_2) | instid1(VALU_DEP_2)
	v_fmac_f32_e32 v111, v57, v1
	v_and_b32_e32 v1, 0xffff0000, v14
	v_dual_fmac_f32 v104, v163, v116 :: v_dual_lshlrev_b32 v5, 16, v14
	v_fmac_f32_e32 v106, v64, v1
	s_delay_alu instid0(VALU_DEP_2) | instskip(SKIP_2) | instid1(VALU_DEP_2)
	v_fmac_f32_e32 v111, v65, v5
	v_lshlrev_b32_e32 v1, 16, v10
	v_and_b32_e32 v5, 0xffff0000, v10
	v_fmac_f32_e32 v111, v73, v1
	s_delay_alu instid0(VALU_DEP_2) | instskip(NEXT) | instid1(VALU_DEP_1)
	v_dual_fmac_f32 v106, v72, v5 :: v_dual_and_b32 v1, 0xffff0000, v6
	v_dual_fmac_f32 v106, v80, v1 :: v_dual_lshlrev_b32 v5, 16, v6
	v_lshlrev_b32_e32 v1, 16, v2
	v_and_b32_e32 v2, 0xffff0000, v2
	s_delay_alu instid0(VALU_DEP_1) | instskip(NEXT) | instid1(VALU_DEP_4)
	v_fmac_f32_e32 v106, v89, v2
	v_dual_fmac_f32 v111, v81, v5 :: v_dual_lshlrev_b32 v2, 16, v39
	s_delay_alu instid0(VALU_DEP_1) | instskip(NEXT) | instid1(VALU_DEP_2)
	v_dual_fmac_f32 v105, v169, v2 :: v_dual_and_b32 v2, 0xffff0000, v35
	v_fmac_f32_e32 v111, v90, v1
	v_and_b32_e32 v1, 0xffff0000, v39
	s_delay_alu instid0(VALU_DEP_1) | instskip(NEXT) | instid1(VALU_DEP_1)
	v_dual_fmac_f32 v102, v168, v1 :: v_dual_lshlrev_b32 v1, 16, v35
	v_dual_fmac_f32 v102, v176, v2 :: v_dual_fmac_f32 v105, v177, v1
	v_and_b32_e32 v1, 0xffff0000, v31
	v_lshlrev_b32_e32 v2, 16, v31
	s_delay_alu instid0(VALU_DEP_1) | instskip(SKIP_1) | instid1(VALU_DEP_1)
	v_dual_fmac_f32 v102, v184, v1 :: v_dual_fmac_f32 v105, v185, v2
	v_lshlrev_b32_e32 v1, 16, v27
	v_dual_fmac_f32 v105, v45, v1 :: v_dual_and_b32 v2, 0xffff0000, v27
	s_delay_alu instid0(VALU_DEP_1) | instskip(SKIP_1) | instid1(VALU_DEP_1)
	v_dual_fmac_f32 v102, v46, v2 :: v_dual_and_b32 v1, 0xffff0000, v23
	v_lshlrev_b32_e32 v2, 16, v23
	v_dual_fmac_f32 v102, v50, v1 :: v_dual_fmac_f32 v105, v51, v2
	v_lshlrev_b32_e32 v1, 16, v19
	s_delay_alu instid0(VALU_DEP_1) | instskip(NEXT) | instid1(VALU_DEP_1)
	v_dual_fmac_f32 v105, v59, v1 :: v_dual_and_b32 v2, 0xffff0000, v19
	v_dual_fmac_f32 v102, v58, v2 :: v_dual_and_b32 v1, 0xffff0000, v15
	v_lshlrev_b32_e32 v2, 16, v15
	s_delay_alu instid0(VALU_DEP_1) | instskip(SKIP_1) | instid1(VALU_DEP_1)
	v_dual_fmac_f32 v102, v66, v1 :: v_dual_fmac_f32 v105, v67, v2
	v_lshlrev_b32_e32 v1, 16, v11
	v_dual_fmac_f32 v105, v75, v1 :: v_dual_and_b32 v2, 0xffff0000, v11
	s_delay_alu instid0(VALU_DEP_1) | instskip(SKIP_1) | instid1(VALU_DEP_1)
	v_dual_fmac_f32 v102, v74, v2 :: v_dual_and_b32 v1, 0xffff0000, v7
	v_lshlrev_b32_e32 v2, 16, v7
	v_dual_fmac_f32 v102, v82, v1 :: v_dual_fmac_f32 v105, v83, v2
	v_and_b32_e32 v2, 0xffff0000, v3
	s_delay_alu instid0(VALU_DEP_1) | instskip(NEXT) | instid1(VALU_DEP_1)
	v_dual_fmac_f32 v102, v91, v2 :: v_dual_lshlrev_b32 v1, 16, v3
	v_dual_fmac_f32 v105, v92, v1 :: v_dual_lshlrev_b32 v2, 16, v40
	s_delay_alu instid0(VALU_DEP_1) | instskip(SKIP_1) | instid1(VALU_DEP_1)
	v_dual_fmac_f32 v104, v171, v2 :: v_dual_and_b32 v1, 0xffff0000, v40
	v_dual_fmac_f32 v103, v154, v114 :: v_dual_and_b32 v2, 0xffff0000, v36
	v_fmac_f32_e32 v103, v162, v117
	s_delay_alu instid0(VALU_DEP_1) | instskip(SKIP_1) | instid1(VALU_DEP_1)
	v_fmac_f32_e32 v103, v170, v1
	v_lshlrev_b32_e32 v1, 16, v36
	v_dual_fmac_f32 v103, v178, v2 :: v_dual_fmac_f32 v104, v179, v1
	v_and_b32_e32 v1, 0xffff0000, v32
	s_delay_alu instid0(VALU_DEP_1) | instskip(NEXT) | instid1(VALU_DEP_1)
	v_dual_fmac_f32 v103, v186, v1 :: v_dual_lshlrev_b32 v2, 16, v32
	v_dual_fmac_f32 v104, v187, v2 :: v_dual_lshlrev_b32 v1, 16, v28
	v_and_b32_e32 v2, 0xffff0000, v28
	s_delay_alu instid0(VALU_DEP_2) | instskip(NEXT) | instid1(VALU_DEP_2)
	v_fmac_f32_e32 v104, v107, v1
	v_fmac_f32_e32 v103, v47, v2
	v_and_b32_e32 v1, 0xffff0000, v24
	v_lshlrev_b32_e32 v2, 16, v24
	s_delay_alu instid0(VALU_DEP_1) | instskip(NEXT) | instid1(VALU_DEP_3)
	v_fmac_f32_e32 v104, v53, v2
	v_dual_fmac_f32 v103, v52, v1 :: v_dual_and_b32 v2, 0xffff0000, v20
	v_lshlrev_b32_e32 v1, 16, v20
	s_delay_alu instid0(VALU_DEP_1) | instskip(SKIP_1) | instid1(VALU_DEP_1)
	v_dual_fmac_f32 v103, v60, v2 :: v_dual_fmac_f32 v104, v61, v1
	v_and_b32_e32 v1, 0xffff0000, v16
	v_dual_fmac_f32 v103, v68, v1 :: v_dual_lshlrev_b32 v2, 16, v16
	s_delay_alu instid0(VALU_DEP_1) | instskip(SKIP_1) | instid1(VALU_DEP_1)
	v_dual_fmac_f32 v104, v69, v2 :: v_dual_lshlrev_b32 v1, 16, v12
	v_and_b32_e32 v2, 0xffff0000, v12
	v_dual_fmac_f32 v104, v77, v1 :: v_dual_fmac_f32 v103, v76, v2
	v_and_b32_e32 v1, 0xffff0000, v8
	s_delay_alu instid0(VALU_DEP_1) | instskip(NEXT) | instid1(VALU_DEP_1)
	v_dual_fmac_f32 v103, v84, v1 :: v_dual_lshlrev_b32 v2, 16, v8
	v_dual_fmac_f32 v104, v85, v2 :: v_dual_lshlrev_b32 v1, 16, v4
	s_delay_alu instid0(VALU_DEP_1) | instskip(NEXT) | instid1(VALU_DEP_1)
	v_dual_fmac_f32 v104, v94, v1 :: v_dual_add_f32 v1, v112, v100
	v_dual_add_f32 v1, v1, v111 :: v_dual_and_b32 v2, 0xffff0000, v4
	s_delay_alu instid0(VALU_DEP_1) | instskip(NEXT) | instid1(VALU_DEP_2)
	v_fmac_f32_e32 v103, v93, v2
	v_add_f32_e32 v1, v106, v1
	s_delay_alu instid0(VALU_DEP_1) | instskip(NEXT) | instid1(VALU_DEP_1)
	v_add_f32_e32 v1, v105, v1
	v_add_f32_e32 v1, v102, v1
	s_delay_alu instid0(VALU_DEP_1) | instskip(NEXT) | instid1(VALU_DEP_1)
	v_add_f32_e32 v1, v104, v1
	v_add_f32_e32 v1, v103, v1
	s_delay_alu instid0(VALU_DEP_1) | instskip(SKIP_1) | instid1(VALU_DEP_1)
	v_fmac_f32_e32 v101, s9, v1
	s_wait_alu 0xf1ff
	v_cndmask_b32_e64 v1, 0, v101, s3
	ds_store_b32 v96, v1
	v_max_num_f32_e32 v1, v87, v87
	s_delay_alu instid0(VALU_DEP_1) | instskip(NEXT) | instid1(VALU_DEP_1)
	v_max_num_f32_e32 v1, v1, v101
	v_cndmask_b32_e64 v87, v87, v1, s3
	s_branch .LBB178_11
.LBB178_16:
	s_or_b32 exec_lo, exec_lo, s27
	s_clause 0x3
	scratch_load_b32 v150, off, off offset:316
	scratch_load_b32 v151, off, off offset:320
	;; [unrolled: 1-line block ×4, first 2 shown]
	v_lshlrev_b32_e32 v11, 2, v113
.LBB178_17:
	s_or_b32 exec_lo, exec_lo, s8
	v_mbcnt_lo_u32_b32 v0, -1, 0
	s_clause 0x2
	s_load_b128 s[8:11], s[0:1], 0x0
	s_load_b64 s[14:15], s[0:1], 0x10
	s_load_b64 s[28:29], s[0:1], 0x28
	v_max_num_f32_e32 v4, v87, v87
	v_xor_b32_e32 v1, 16, v0
	v_xor_b32_e32 v3, 8, v0
	s_delay_alu instid0(VALU_DEP_2) | instskip(SKIP_2) | instid1(VALU_DEP_3)
	v_cmp_gt_i32_e32 vcc_lo, 32, v1
	s_wait_alu 0xfffd
	v_cndmask_b32_e32 v1, v0, v1, vcc_lo
	v_cmp_gt_i32_e32 vcc_lo, 32, v3
	s_delay_alu instid0(VALU_DEP_2)
	v_lshlrev_b32_e32 v1, 2, v1
	s_wait_alu 0xfffd
	v_cndmask_b32_e32 v3, v0, v3, vcc_lo
	ds_bpermute_b32 v2, v1, v87
	s_wait_dscnt 0x0
	v_dual_max_num_f32 v5, v2, v2 :: v_dual_lshlrev_b32 v2, 2, v3
	s_delay_alu instid0(VALU_DEP_1)
	v_max_num_f32_e32 v3, v4, v5
	v_xor_b32_e32 v5, 4, v0
	ds_bpermute_b32 v4, v2, v3
	v_cmp_gt_i32_e32 vcc_lo, 32, v5
	s_wait_alu 0xfffd
	v_cndmask_b32_e32 v5, v0, v5, vcc_lo
	s_wait_dscnt 0x0
	v_max_num_f32_e32 v6, v4, v4
	s_delay_alu instid0(VALU_DEP_1)
	v_dual_max_num_f32 v3, v3, v6 :: v_dual_lshlrev_b32 v4, 2, v5
	v_xor_b32_e32 v6, 2, v0
	ds_bpermute_b32 v5, v4, v3
	v_cmp_gt_i32_e32 vcc_lo, 32, v6
	s_wait_dscnt 0x0
	s_wait_alu 0xfffd
	v_dual_cndmask_b32 v6, v0, v6 :: v_dual_max_num_f32 v5, v5, v5
	s_delay_alu instid0(VALU_DEP_1) | instskip(SKIP_1) | instid1(VALU_DEP_1)
	v_lshlrev_b32_e32 v112, 2, v6
	v_xor_b32_e32 v6, 1, v0
	v_cmp_gt_i32_e32 vcc_lo, 32, v6
	s_wait_alu 0xfffd
	v_dual_max_num_f32 v3, v3, v5 :: v_dual_cndmask_b32 v6, v0, v6
	ds_bpermute_b32 v5, v112, v3
	v_lshlrev_b32_e32 v111, 2, v6
	s_wait_dscnt 0x0
	v_max_num_f32_e32 v5, v5, v5
	s_delay_alu instid0(VALU_DEP_1)
	v_max_num_f32_e32 v0, v3, v5
	scratch_load_b32 v5, off, off           ; 4-byte Folded Reload
	ds_bpermute_b32 v3, v111, v0
	s_wait_loadcnt 0x0
	v_cmp_eq_u32_e32 vcc_lo, 0, v5
	v_lshlrev_b32_e32 v5, 2, v151
	s_and_saveexec_b32 s0, vcc_lo
	s_cbranch_execz .LBB178_19
; %bb.18:
	s_wait_dscnt 0x0
	v_dual_max_num_f32 v3, v3, v3 :: v_dual_max_num_f32 v0, v0, v0
	s_delay_alu instid0(VALU_DEP_1)
	v_max_num_f32_e32 v0, v0, v3
	ds_store_b32 v5, v0 offset:384
.LBB178_19:
	s_or_b32 exec_lo, exec_lo, s0
	scratch_load_b32 v0, off, off           ; 4-byte Folded Reload
	s_wait_storecnt 0x0
	s_wait_loadcnt_dscnt 0x0
	s_barrier_signal -1
	s_barrier_wait -1
	global_inv scope:SCOPE_SE
	v_cmp_gt_u32_e64 s0, 4, v0
	v_mov_b32_e32 v0, 0xff7fffff
	s_and_saveexec_b32 s1, s0
; %bb.20:
	ds_load_b32 v0, v12 offset:384
; %bb.21:
	s_or_b32 exec_lo, exec_lo, s1
	s_wait_dscnt 0x0
	ds_bpermute_b32 v3, v112, v0
	v_max_num_f32_e32 v0, v0, v0
	s_sub_co_i32 s1, s33, s37
	v_mov_b32_e32 v6, 0
	s_lshl_b32 s1, s1, 5
	s_delay_alu instid0(SALU_CYCLE_1) | instskip(NEXT) | instid1(SALU_CYCLE_1)
	s_add_co_i32 s1, s1, s34
	s_min_i32 s1, s1, s31
	s_delay_alu instid0(SALU_CYCLE_1) | instskip(NEXT) | instid1(SALU_CYCLE_1)
	s_sub_co_i32 s4, s1, s34
	v_cmp_gt_i32_e64 s1, s4, v150
	s_wait_dscnt 0x0
	v_max_num_f32_e32 v3, v3, v3
	s_delay_alu instid0(VALU_DEP_1) | instskip(SKIP_3) | instid1(VALU_DEP_1)
	v_max_num_f32_e32 v0, v0, v3
	ds_bpermute_b32 v3, v111, v0
	s_wait_dscnt 0x0
	v_max_num_f32_e32 v3, v3, v3
	v_max_num_f32_e32 v0, v0, v3
	v_lshl_add_u32 v3, v150, 2, 0x1a0
	ds_bpermute_b32 v0, v6, v0
	s_and_saveexec_b32 s27, s1
	s_cbranch_execz .LBB178_25
; %bb.22:
	v_lshl_add_u32 v7, v150, 2, 0x1a0
	v_mov_b32_e32 v6, 0
	v_mov_b32_e32 v8, v150
	s_mov_b32 s34, 0
.LBB178_23:                             ; =>This Inner Loop Header: Depth=1
	ds_load_b32 v9, v7
	v_add_nc_u32_e32 v8, 0x80, v8
	s_delay_alu instid0(VALU_DEP_1) | instskip(SKIP_4) | instid1(VALU_DEP_1)
	v_cmp_le_i32_e64 s3, s4, v8
	s_wait_alu 0xfffe
	s_or_b32 s34, s3, s34
	s_wait_dscnt 0x0
	v_sub_f32_e32 v9, v9, v0
	v_mul_f32_e32 v9, 0x3fb8aa3b, v9
	s_delay_alu instid0(VALU_DEP_1)
	v_exp_f32_e32 v9, v9
	ds_store_b32 v7, v9
	v_dual_add_f32 v6, v6, v9 :: v_dual_add_nc_u32 v7, 0x200, v7
	s_wait_alu 0xfffe
	s_and_not1_b32 exec_lo, exec_lo, s34
	s_cbranch_execnz .LBB178_23
; %bb.24:
	s_or_b32 exec_lo, exec_lo, s34
.LBB178_25:
	s_delay_alu instid0(SALU_CYCLE_1)
	s_or_b32 exec_lo, exec_lo, s27
	ds_bpermute_b32 v1, v1, v6
	s_wait_dscnt 0x0
	v_add_f32_e32 v1, v6, v1
	ds_bpermute_b32 v2, v2, v1
	s_wait_dscnt 0x0
	v_add_f32_e32 v1, v1, v2
	;; [unrolled: 3-line block ×5, first 2 shown]
	s_and_saveexec_b32 s3, vcc_lo
; %bb.26:
	ds_store_b32 v5, v1 offset:400
; %bb.27:
	s_wait_alu 0xfffe
	s_or_b32 exec_lo, exec_lo, s3
	s_wait_loadcnt_dscnt 0x0
	s_barrier_signal -1
	s_barrier_wait -1
	global_inv scope:SCOPE_SE
	s_and_saveexec_b32 s3, s0
; %bb.28:
	ds_load_b32 v1, v12 offset:400
; %bb.29:
	s_wait_alu 0xfffe
	s_or_b32 exec_lo, exec_lo, s3
	s_wait_dscnt 0x0
	ds_bpermute_b32 v2, v112, v1
	s_wait_dscnt 0x0
	v_add_f32_e32 v1, v1, v2
	ds_bpermute_b32 v2, v111, v1
	s_wait_dscnt 0x0
	v_dual_add_f32 v1, v1, v2 :: v_dual_mov_b32 v2, 0
	ds_bpermute_b32 v1, v2, v1
	s_and_saveexec_b32 s0, s1
	s_cbranch_execz .LBB178_32
; %bb.30:
	s_wait_dscnt 0x0
	v_add_f32_e32 v2, 0x358637bd, v1
	s_mov_b32 s1, 0
	s_delay_alu instid0(VALU_DEP_1) | instskip(SKIP_1) | instid1(VALU_DEP_2)
	v_div_scale_f32 v4, null, v2, v2, 1.0
	v_div_scale_f32 v7, vcc_lo, 1.0, v2, 1.0
	v_rcp_f32_e32 v5, v4
	s_delay_alu instid0(TRANS32_DEP_1) | instskip(NEXT) | instid1(VALU_DEP_1)
	v_fma_f32 v6, -v4, v5, 1.0
	v_fmac_f32_e32 v5, v6, v5
	s_delay_alu instid0(VALU_DEP_1) | instskip(NEXT) | instid1(VALU_DEP_1)
	v_mul_f32_e32 v6, v7, v5
	v_fma_f32 v8, -v4, v6, v7
	s_delay_alu instid0(VALU_DEP_1) | instskip(NEXT) | instid1(VALU_DEP_1)
	v_fmac_f32_e32 v6, v8, v5
	v_fma_f32 v4, -v4, v6, v7
	s_wait_alu 0xfffd
	s_delay_alu instid0(VALU_DEP_1) | instskip(NEXT) | instid1(VALU_DEP_1)
	v_div_fmas_f32 v4, v4, v5, v6
	v_div_fixup_f32 v2, v4, v2, 1.0
	v_mov_b32_e32 v4, v150
.LBB178_31:                             ; =>This Inner Loop Header: Depth=1
	ds_load_b32 v5, v3
	s_wait_dscnt 0x0
	v_dual_mul_f32 v5, v2, v5 :: v_dual_add_nc_u32 v4, 0x80, v4
	s_delay_alu instid0(VALU_DEP_1) | instskip(SKIP_3) | instid1(SALU_CYCLE_1)
	v_cmp_le_i32_e32 vcc_lo, s4, v4
	ds_store_b32 v3, v5
	v_add_nc_u32_e32 v3, 0x200, v3
	s_or_b32 s1, vcc_lo, s1
	s_and_not1_b32 exec_lo, exec_lo, s1
	s_cbranch_execnz .LBB178_31
.LBB178_32:
	s_or_b32 exec_lo, exec_lo, s0
	s_mul_i32 s0, s7, s20
	s_wait_loadcnt_dscnt 0x0
	s_mul_i32 s20, s0, s21
	s_mov_b32 s0, exec_lo
	s_barrier_signal -1
	s_barrier_wait -1
	global_inv scope:SCOPE_SE
	v_cmpx_eq_u32_e32 0, v150
	s_cbranch_execz .LBB178_34
; %bb.33:
	s_ashr_i32 s21, s20, 31
	s_mul_i32 s38, s7, ttmp9
	s_lshl_b32 s1, s30, 2
	s_lshl_b64 s[40:41], s[20:21], 2
	s_wait_alu 0xfffe
	s_ashr_i32 s39, s38, 31
	v_mov_b32_e32 v2, s1
	s_wait_kmcnt 0x0
	s_add_nc_u64 s[10:11], s[10:11], s[40:41]
	s_wait_alu 0xfffe
	s_lshl_b64 s[38:39], s[38:39], 2
	s_add_nc_u64 s[8:9], s[8:9], s[40:41]
	s_wait_alu 0xfffe
	s_add_nc_u64 s[10:11], s[10:11], s[38:39]
	s_add_nc_u64 s[8:9], s[8:9], s[38:39]
	s_clause 0x1
	global_store_b32 v2, v0, s[10:11]
	global_store_b32 v2, v1, s[8:9]
.LBB178_34:
	s_or_b32 exec_lo, exec_lo, s0
	v_dual_mov_b32 v136, 0 :: v_dual_mov_b32 v137, 0
	v_dual_mov_b32 v135, 0 :: v_dual_and_b32 v0, 3, v150
	v_dual_mov_b32 v134, 0 :: v_dual_mov_b32 v133, 0
	v_dual_mov_b32 v132, 0 :: v_dual_mov_b32 v131, 0
	;; [unrolled: 1-line block ×10, first 2 shown]
	v_mov_b32_e32 v114, 0
	s_and_saveexec_b32 s1, s2
	s_cbranch_execz .LBB178_88
; %bb.35:
	s_abs_i32 s2, s6
	s_ashr_i32 s27, s26, 31
	s_wait_alu 0xfffe
	s_cvt_f32_u32 s0, s2
	v_dual_mov_b32 v114, 0 :: v_dual_and_b32 v3, 0x1f0, v10
	s_wait_kmcnt 0x0
	s_lshl_b64 s[8:9], s[24:25], 2
	s_wait_alu 0xfffe
	v_rcp_iflag_f32_e32 v1, s0
	s_lshl_b64 s[10:11], s[26:27], 1
	v_dual_mov_b32 v115, 0 :: v_dual_lshlrev_b32 v2, 3, v150
	s_add_nc_u64 s[8:9], s[22:23], s[8:9]
	s_wait_alu 0xfffe
	s_add_nc_u64 s[10:11], s[28:29], s[10:11]
	s_mov_b32 s4, s13
	s_sub_co_i32 s13, 0, s2
	s_wait_alu 0xfffe
	v_add_co_u32 v139, s10, s10, v3
	v_readfirstlane_b32 s0, v1
	v_dual_mov_b32 v116, 0 :: v_dual_lshlrev_b32 v1, 5, v0
	v_add_co_u32 v105, s8, s8, v11
	s_mul_f32 s0, s0, 0x4f7ffffe
	v_lshl_or_b32 v1, v151, 7, v1
	v_dual_mov_b32 v117, 0 :: v_dual_and_b32 v138, 24, v2
	s_wait_alu 0xfffe
	s_cvt_u32_f32 s0, s0
	v_add_co_ci_u32_e64 v140, null, s11, 0, s10
	v_add_co_ci_u32_e64 v106, null, s9, 0, s8
	s_wait_alu 0xfffe
	s_mul_i32 s13, s13, s0
	v_dual_mov_b32 v118, 0 :: v_dual_add_nc_u32 v141, 0x1a0, v1
	v_dual_mov_b32 v119, 0 :: v_dual_mov_b32 v120, 0
	v_dual_mov_b32 v121, 0 :: v_dual_mov_b32 v122, 0
	;; [unrolled: 1-line block ×9, first 2 shown]
	v_mov_b32_e32 v137, 0
	s_wait_alu 0xfffe
	s_mul_hi_u32 s9, s0, s13
	s_sub_co_i32 s3, s36, s5
	s_add_co_i32 s5, s35, -1
	s_mov_b32 s6, 0
	s_mov_b32 s8, s31
	s_wait_alu 0xfffe
	s_add_co_i32 s9, s0, s9
	s_branch .LBB178_38
.LBB178_36:                             ;   in Loop: Header=BB178_38 Depth=1
	s_wait_alu 0xfffe
	s_or_b32 exec_lo, exec_lo, s0
	s_wait_dscnt 0x1
	v_bfe_u32 v107, v69, 16, 1
	v_or_b32_e32 v108, 0x400000, v69
	v_bfe_u32 v110, v70, 16, 1
	v_cmp_u_f32_e32 vcc_lo, v69, v69
	v_bfe_u32 v142, v71, 16, 1
	v_add3_u32 v107, v107, v69, 0x7fff
	v_or_b32_e32 v143, 0x400000, v70
	v_add3_u32 v110, v110, v70, 0x7fff
	v_or_b32_e32 v144, 0x400000, v71
	v_add3_u32 v142, v142, v71, 0x7fff
	s_wait_alu 0xfffd
	v_cndmask_b32_e32 v69, v107, v108, vcc_lo
	v_cmp_u_f32_e32 vcc_lo, v70, v70
	v_bfe_u32 v107, v72, 16, 1
	s_wait_dscnt 0x0
	v_bfe_u32 v108, v65, 16, 1
	s_wait_alu 0xfffd
	v_cndmask_b32_e32 v70, v110, v143, vcc_lo
	v_cmp_u_f32_e32 vcc_lo, v71, v71
	v_add3_u32 v107, v107, v72, 0x7fff
	v_or_b32_e32 v110, 0x400000, v72
	v_add3_u32 v108, v108, v65, 0x7fff
	v_bfe_u32 v143, v66, 16, 1
	s_wait_alu 0xfffd
	v_cndmask_b32_e32 v71, v142, v144, vcc_lo
	v_cmp_u_f32_e32 vcc_lo, v72, v72
	v_or_b32_e32 v142, 0x400000, v65
	s_wait_alu 0xfffd
	v_dual_cndmask_b32 v72, v107, v110 :: v_dual_and_b32 v69, 0xffff0000, v69
	v_cmp_u_f32_e32 vcc_lo, v65, v65
	v_or_b32_e32 v110, 0x400000, v66
	v_and_b32_e32 v71, 0xffff0000, v71
	s_wait_alu 0xfffd
	v_cndmask_b32_e32 v107, v108, v142, vcc_lo
	v_add3_u32 v108, v143, v66, 0x7fff
	v_bfe_u32 v142, v67, 16, 1
	v_cmp_u_f32_e32 vcc_lo, v66, v66
	s_delay_alu instid0(VALU_DEP_2)
	v_add3_u32 v66, v142, v67, 0x7fff
	s_wait_alu 0xfffd
	v_cndmask_b32_e32 v108, v108, v110, vcc_lo
	v_or_b32_e32 v110, 0x400000, v67
	v_cmp_u_f32_e32 vcc_lo, v67, v67
	v_bfe_u32 v142, v68, 16, 1
	s_wait_alu 0xfffd
	s_delay_alu instid0(VALU_DEP_3)
	v_cndmask_b32_e32 v110, v66, v110, vcc_lo
	v_and_b32_e32 v66, 0xffff0000, v72
	s_wait_loadcnt 0x1
	v_and_b32_e32 v72, 0xffff0000, v102
	v_and_b32_e32 v65, 0xffff0000, v70
	;; [unrolled: 1-line block ×3, first 2 shown]
	v_lshlrev_b32_e32 v101, 16, v101
	v_add3_u32 v67, v142, v68, 0x7fff
	v_mul_f32_e32 v144, v66, v72
	v_or_b32_e32 v142, 0x400000, v68
	v_mul_f32_e32 v70, v65, v70
	v_mul_f32_e32 v101, v69, v101
	v_cmp_u_f32_e32 vcc_lo, v68, v68
	v_lshlrev_b32_e32 v72, 16, v102
	s_delay_alu instid0(VALU_DEP_4)
	v_bfe_u32 v143, v70, 16, 1
	s_wait_alu 0xfffd
	v_cndmask_b32_e32 v68, v67, v142, vcc_lo
	v_or_b32_e32 v142, 0x400000, v70
	v_cmp_u_f32_e32 vcc_lo, v70, v70
	v_add3_u32 v67, v143, v70, 0x7fff
	v_bfe_u32 v143, v101, 16, 1
	v_dual_mul_f32 v145, v71, v72 :: v_dual_and_b32 v72, 0xffff0000, v103
	v_and_b32_e32 v68, 0xffff0000, v68
	s_wait_alu 0xfffd
	v_dual_cndmask_b32 v102, v67, v142 :: v_dual_and_b32 v67, 0xffff0000, v108
	v_add3_u32 v70, v143, v101, 0x7fff
	v_or_b32_e32 v142, 0x400000, v101
	v_bfe_u32 v143, v144, 16, 1
	v_cmp_u_f32_e32 vcc_lo, v101, v101
	v_or_b32_e32 v108, 0x400000, v144
	v_and_b32_e32 v102, 0xffff0000, v102
	s_wait_alu 0xfffd
	v_cndmask_b32_e32 v101, v70, v142, vcc_lo
	v_add3_u32 v70, v143, v144, 0x7fff
	v_bfe_u32 v142, v145, 16, 1
	v_cmp_u_f32_e32 vcc_lo, v144, v144
	v_dual_mul_f32 v143, v67, v72 :: v_dual_and_b32 v72, 0xffff0000, v107
	v_and_b32_e32 v101, 0xffff0000, v101
	s_wait_alu 0xfffd
	v_cndmask_b32_e32 v107, v70, v108, vcc_lo
	v_add3_u32 v70, v142, v145, 0x7fff
	v_or_b32_e32 v108, 0x400000, v145
	v_cmp_u_f32_e32 vcc_lo, v145, v145
	v_lshlrev_b32_e32 v103, 16, v103
	v_bfe_u32 v142, v143, 16, 1
	v_and_b32_e32 v107, 0xffff0000, v107
	s_wait_alu 0xfffd
	v_dual_add_f32 v101, v101, v102 :: v_dual_cndmask_b32 v108, v70, v108
	v_mul_f32_e32 v103, v72, v103
	v_add3_u32 v142, v142, v143, 0x7fff
	v_and_b32_e32 v70, 0xffff0000, v110
	v_or_b32_e32 v110, 0x400000, v143
	v_cmp_u_f32_e32 vcc_lo, v143, v143
	v_bfe_u32 v145, v103, 16, 1
	v_or_b32_e32 v146, 0x400000, v103
	v_and_b32_e32 v108, 0xffff0000, v108
	s_wait_alu 0xfffd
	v_cndmask_b32_e32 v110, v142, v110, vcc_lo
	v_add3_u32 v145, v145, v103, 0x7fff
	v_cmp_u_f32_e32 vcc_lo, v103, v103
	v_and_b32_e32 v144, 0xffff0000, v104
	v_lshlrev_b32_e32 v104, 16, v104
	v_dual_add_f32 v102, v108, v107 :: v_dual_and_b32 v107, 0xffff0000, v110
	s_wait_alu 0xfffd
	s_delay_alu instid0(VALU_DEP_3) | instskip(NEXT) | instid1(VALU_DEP_2)
	v_dual_cndmask_b32 v103, v145, v146 :: v_dual_mul_f32 v144, v68, v144
	v_add_f32_e32 v101, v102, v101
	s_delay_alu instid0(VALU_DEP_2) | instskip(NEXT) | instid1(VALU_DEP_3)
	v_and_b32_e32 v103, 0xffff0000, v103
	v_bfe_u32 v147, v144, 16, 1
	v_or_b32_e32 v145, 0x400000, v144
	s_delay_alu instid0(VALU_DEP_3) | instskip(SKIP_1) | instid1(VALU_DEP_4)
	v_dual_add_f32 v102, v103, v107 :: v_dual_and_b32 v103, 0xffff0000, v97
	v_lshlrev_b32_e32 v97, 16, v97
	v_add3_u32 v142, v147, v144, 0x7fff
	s_delay_alu instid0(VALU_DEP_3) | instskip(NEXT) | instid1(VALU_DEP_4)
	v_add_f32_e32 v101, v102, v101
	v_dual_mul_f32 v103, v65, v103 :: v_dual_mul_f32 v104, v70, v104
	s_delay_alu instid0(VALU_DEP_4) | instskip(NEXT) | instid1(VALU_DEP_2)
	v_mul_f32_e32 v97, v69, v97
	v_bfe_u32 v143, v104, 16, 1
	v_or_b32_e32 v146, 0x400000, v104
	v_cmp_u_f32_e32 vcc_lo, v104, v104
	s_delay_alu instid0(VALU_DEP_4) | instskip(NEXT) | instid1(VALU_DEP_4)
	v_or_b32_e32 v110, 0x400000, v97
	v_add3_u32 v143, v143, v104, 0x7fff
	s_wait_alu 0xfffd
	s_delay_alu instid0(VALU_DEP_1) | instskip(SKIP_1) | instid1(VALU_DEP_2)
	v_cndmask_b32_e32 v104, v143, v146, vcc_lo
	v_cmp_u_f32_e32 vcc_lo, v144, v144
	v_and_b32_e32 v104, 0xffff0000, v104
	s_wait_alu 0xfffd
	v_cndmask_b32_e32 v108, v142, v145, vcc_lo
	v_cmp_u_f32_e32 vcc_lo, v103, v103
	s_delay_alu instid0(VALU_DEP_2) | instskip(SKIP_1) | instid1(VALU_DEP_2)
	v_and_b32_e32 v107, 0xffff0000, v108
	v_bfe_u32 v108, v97, 16, 1
	v_add_f32_e32 v102, v104, v107
	v_and_b32_e32 v104, 0xffff0000, v98
	v_bfe_u32 v107, v103, 16, 1
	s_delay_alu instid0(VALU_DEP_4) | instskip(NEXT) | instid1(VALU_DEP_4)
	v_add3_u32 v108, v108, v97, 0x7fff
	v_dual_add_f32 v101, v102, v101 :: v_dual_lshlrev_b32 v98, 16, v98
	s_delay_alu instid0(VALU_DEP_4) | instskip(NEXT) | instid1(VALU_DEP_4)
	v_mul_f32_e32 v102, v66, v104
	v_add3_u32 v104, v107, v103, 0x7fff
	v_or_b32_e32 v107, 0x400000, v103
	s_wait_alu 0xfffd
	s_delay_alu instid0(VALU_DEP_1) | instskip(SKIP_1) | instid1(VALU_DEP_2)
	v_dual_mul_f32 v98, v71, v98 :: v_dual_cndmask_b32 v103, v104, v107
	v_cmp_u_f32_e32 vcc_lo, v97, v97
	v_and_b32_e32 v103, 0xffff0000, v103
	s_wait_alu 0xfffd
	v_cndmask_b32_e32 v97, v108, v110, vcc_lo
	v_bfe_u32 v142, v102, 16, 1
	v_or_b32_e32 v107, 0x400000, v102
	v_bfe_u32 v110, v98, 16, 1
	v_cmp_u_f32_e32 vcc_lo, v102, v102
	v_and_b32_e32 v97, 0xffff0000, v97
	v_add3_u32 v104, v142, v102, 0x7fff
	s_delay_alu instid0(VALU_DEP_2) | instskip(SKIP_1) | instid1(VALU_DEP_2)
	v_add_f32_e32 v97, v97, v103
	s_wait_alu 0xfffd
	v_cndmask_b32_e32 v102, v104, v107, vcc_lo
	v_add3_u32 v107, v110, v98, 0x7fff
	v_and_b32_e32 v110, 0xffff0000, v100
	v_and_b32_e32 v108, 0xffff0000, v99
	v_lshlrev_b32_e32 v99, 16, v99
	v_cmp_u_f32_e32 vcc_lo, v98, v98
	s_delay_alu instid0(VALU_DEP_2) | instskip(SKIP_1) | instid1(VALU_DEP_2)
	v_dual_mul_f32 v104, v67, v108 :: v_dual_mul_f32 v99, v72, v99
	v_or_b32_e32 v108, 0x400000, v98
	v_bfe_u32 v142, v104, 16, 1
	s_delay_alu instid0(VALU_DEP_3) | instskip(SKIP_1) | instid1(VALU_DEP_3)
	v_bfe_u32 v143, v99, 16, 1
	s_wait_alu 0xfffd
	v_dual_cndmask_b32 v98, v107, v108 :: v_dual_mul_f32 v107, v68, v110
	v_or_b32_e32 v110, 0x400000, v104
	v_add3_u32 v108, v142, v104, 0x7fff
	v_cmp_u_f32_e32 vcc_lo, v104, v104
	v_add3_u32 v142, v143, v99, 0x7fff
	v_or_b32_e32 v143, 0x400000, v99
	v_bfe_u32 v144, v107, 16, 1
	s_wait_alu 0xfffd
	v_cndmask_b32_e32 v104, v108, v110, vcc_lo
	v_cmp_u_f32_e32 vcc_lo, v99, v99
	v_or_b32_e32 v110, 0x400000, v107
	v_add3_u32 v108, v144, v107, 0x7fff
	s_wait_alu 0xfffd
	v_cndmask_b32_e32 v99, v142, v143, vcc_lo
	v_cmp_u_f32_e32 vcc_lo, v107, v107
	s_delay_alu instid0(VALU_DEP_2) | instskip(SKIP_4) | instid1(VALU_DEP_1)
	v_and_b32_e32 v99, 0xffff0000, v99
	s_wait_alu 0xfffd
	v_cndmask_b32_e32 v107, v108, v110, vcc_lo
	v_and_b32_e32 v98, 0xffff0000, v98
	v_and_b32_e32 v103, 0xffff0000, v104
	v_dual_add_f32 v99, v99, v103 :: v_dual_and_b32 v102, 0xffff0000, v102
	s_delay_alu instid0(VALU_DEP_1) | instskip(NEXT) | instid1(VALU_DEP_1)
	v_add_f32_e32 v98, v98, v102
	v_dual_add_f32 v97, v98, v97 :: v_dual_lshlrev_b32 v100, 16, v100
	s_delay_alu instid0(VALU_DEP_1) | instskip(NEXT) | instid1(VALU_DEP_1)
	v_dual_mul_f32 v100, v70, v100 :: v_dual_add_f32 v97, v99, v97
	v_bfe_u32 v108, v100, 16, 1
	v_cmp_u_f32_e32 vcc_lo, v100, v100
	v_and_b32_e32 v99, 0xffff0000, v94
	v_and_b32_e32 v102, 0xffff0000, v93
	v_lshlrev_b32_e32 v93, 16, v93
	v_add3_u32 v104, v108, v100, 0x7fff
	v_or_b32_e32 v108, 0x400000, v100
	s_delay_alu instid0(VALU_DEP_4) | instskip(SKIP_1) | instid1(VALU_DEP_2)
	v_dual_mul_f32 v99, v66, v99 :: v_dual_mul_f32 v98, v65, v102
	s_wait_alu 0xfffd
	v_dual_mul_f32 v93, v69, v93 :: v_dual_cndmask_b32 v100, v104, v108
	v_and_b32_e32 v108, 0xffff0000, v95
	s_delay_alu instid0(VALU_DEP_3) | instskip(SKIP_1) | instid1(VALU_DEP_4)
	v_bfe_u32 v102, v98, 16, 1
	v_or_b32_e32 v103, 0x400000, v98
	v_bfe_u32 v104, v93, 16, 1
	v_cmp_u_f32_e32 vcc_lo, v98, v98
	v_lshlrev_b32_e32 v95, 16, v95
	v_add3_u32 v102, v102, v98, 0x7fff
	s_delay_alu instid0(VALU_DEP_2) | instskip(SKIP_1) | instid1(VALU_DEP_2)
	v_dual_mul_f32 v108, v67, v108 :: v_dual_mul_f32 v95, v72, v95
	s_wait_alu 0xfffd
	v_cndmask_b32_e32 v98, v102, v103, vcc_lo
	v_add3_u32 v102, v104, v93, 0x7fff
	v_or_b32_e32 v103, 0x400000, v93
	v_bfe_u32 v104, v99, 16, 1
	v_cmp_u_f32_e32 vcc_lo, v93, v93
	v_and_b32_e32 v100, 0xffff0000, v100
	v_or_b32_e32 v142, 0x400000, v95
	s_wait_alu 0xfffd
	v_cndmask_b32_e32 v93, v102, v103, vcc_lo
	v_add3_u32 v102, v104, v99, 0x7fff
	v_or_b32_e32 v103, 0x400000, v99
	v_cmp_u_f32_e32 vcc_lo, v99, v99
	v_lshlrev_b32_e32 v94, 16, v94
	v_and_b32_e32 v93, 0xffff0000, v93
	s_wait_alu 0xfffd
	v_dual_cndmask_b32 v99, v102, v103 :: v_dual_and_b32 v110, 0xffff0000, v96
	s_delay_alu instid0(VALU_DEP_1) | instskip(NEXT) | instid1(VALU_DEP_1)
	v_dual_mul_f32 v94, v71, v94 :: v_dual_and_b32 v99, 0xffff0000, v99
	v_bfe_u32 v104, v94, 16, 1
	v_or_b32_e32 v103, 0x400000, v94
	v_cmp_u_f32_e32 vcc_lo, v94, v94
	s_delay_alu instid0(VALU_DEP_3) | instskip(SKIP_2) | instid1(VALU_DEP_2)
	v_add3_u32 v102, v104, v94, 0x7fff
	v_bfe_u32 v104, v108, 16, 1
	s_wait_alu 0xfffd
	v_cndmask_b32_e32 v94, v102, v103, vcc_lo
	v_bfe_u32 v102, v95, 16, 1
	s_delay_alu instid0(VALU_DEP_3)
	v_add3_u32 v103, v104, v108, 0x7fff
	v_mul_f32_e32 v104, v68, v110
	v_or_b32_e32 v110, 0x400000, v108
	v_cmp_u_f32_e32 vcc_lo, v108, v108
	v_add3_u32 v102, v102, v95, 0x7fff
	v_and_b32_e32 v94, 0xffff0000, v94
	v_bfe_u32 v143, v104, 16, 1
	s_wait_alu 0xfffd
	v_cndmask_b32_e32 v103, v103, v110, vcc_lo
	v_cmp_u_f32_e32 vcc_lo, v95, v95
	s_wait_alu 0xfffd
	v_cndmask_b32_e32 v95, v102, v142, vcc_lo
	v_add3_u32 v102, v143, v104, 0x7fff
	v_or_b32_e32 v142, 0x400000, v104
	v_lshlrev_b32_e32 v96, 16, v96
	s_delay_alu instid0(VALU_DEP_1) | instskip(NEXT) | instid1(VALU_DEP_1)
	v_dual_mul_f32 v96, v70, v96 :: v_dual_and_b32 v95, 0xffff0000, v95
	v_bfe_u32 v144, v96, 16, 1
	v_or_b32_e32 v110, 0x400000, v96
	v_cmp_u_f32_e32 vcc_lo, v96, v96
	s_delay_alu instid0(VALU_DEP_3) | instskip(SKIP_1) | instid1(VALU_DEP_1)
	v_add3_u32 v108, v144, v96, 0x7fff
	s_wait_alu 0xfffd
	v_cndmask_b32_e32 v96, v108, v110, vcc_lo
	v_add_f32_e32 v94, v94, v99
	v_and_b32_e32 v98, 0xffff0000, v98
	v_cmp_u_f32_e32 vcc_lo, v104, v104
	s_delay_alu instid0(VALU_DEP_2) | instskip(SKIP_2) | instid1(VALU_DEP_2)
	v_add_f32_e32 v93, v93, v98
	s_wait_alu 0xfffd
	v_cndmask_b32_e32 v99, v102, v142, vcc_lo
	v_dual_add_f32 v93, v94, v93 :: v_dual_and_b32 v102, 0xffff0000, v107
	v_and_b32_e32 v98, 0xffff0000, v103
	s_delay_alu instid0(VALU_DEP_1) | instskip(SKIP_3) | instid1(VALU_DEP_4)
	v_add_f32_e32 v94, v95, v98
	v_and_b32_e32 v98, 0xffff0000, v89
	v_lshlrev_b32_e32 v89, 16, v89
	v_and_b32_e32 v95, 0xffff0000, v96
	v_dual_add_f32 v93, v94, v93 :: v_dual_and_b32 v96, 0xffff0000, v99
	v_add_f32_e32 v99, v100, v102
	s_delay_alu instid0(VALU_DEP_2) | instskip(NEXT) | instid1(VALU_DEP_2)
	v_dual_mul_f32 v89, v69, v89 :: v_dual_add_f32 v94, v95, v96
	v_dual_mul_f32 v95, v65, v98 :: v_dual_add_f32 v96, v99, v97
	v_and_b32_e32 v97, 0xffff0000, v90
	s_delay_alu instid0(VALU_DEP_3) | instskip(NEXT) | instid1(VALU_DEP_3)
	v_dual_add_f32 v93, v94, v93 :: v_dual_lshlrev_b32 v90, 16, v90
	v_bfe_u32 v94, v95, 16, 1
	v_cmp_u_f32_e32 vcc_lo, v95, v95
	s_delay_alu instid0(VALU_DEP_3) | instskip(NEXT) | instid1(VALU_DEP_4)
	v_dual_mul_f32 v97, v66, v97 :: v_dual_mul_f32 v90, v71, v90
	v_add_f32_e32 v117, v117, v93
	s_delay_alu instid0(VALU_DEP_4)
	v_add3_u32 v93, v94, v95, 0x7fff
	v_or_b32_e32 v94, 0x400000, v95
	v_and_b32_e32 v95, 0xffff0000, v91
	v_dual_add_f32 v115, v115, v101 :: v_dual_add_f32 v116, v116, v96
	v_bfe_u32 v96, v89, 16, 1
	v_or_b32_e32 v98, 0x400000, v89
	s_wait_alu 0xfffd
	v_cndmask_b32_e32 v93, v93, v94, vcc_lo
	v_bfe_u32 v94, v97, 16, 1
	v_cmp_u_f32_e32 vcc_lo, v89, v89
	v_add3_u32 v96, v96, v89, 0x7fff
	v_mul_f32_e32 v95, v67, v95
	v_and_b32_e32 v99, 0xffff0000, v92
	v_add3_u32 v94, v94, v97, 0x7fff
	s_wait_alu 0xfffd
	v_dual_cndmask_b32 v89, v96, v98 :: v_dual_lshlrev_b32 v92, 16, v92
	v_or_b32_e32 v96, 0x400000, v97
	v_bfe_u32 v98, v90, 16, 1
	v_cmp_u_f32_e32 vcc_lo, v97, v97
	v_or_b32_e32 v97, 0x400000, v90
	v_dual_mul_f32 v92, v70, v92 :: v_dual_and_b32 v93, 0xffff0000, v93
	s_wait_alu 0xfffd
	v_cndmask_b32_e32 v94, v94, v96, vcc_lo
	v_add3_u32 v96, v98, v90, 0x7fff
	v_cmp_u_f32_e32 vcc_lo, v90, v90
	v_lshlrev_b32_e32 v91, 16, v91
	v_bfe_u32 v98, v95, 16, 1
	v_and_b32_e32 v94, 0xffff0000, v94
	s_wait_alu 0xfffd
	v_cndmask_b32_e32 v90, v96, v97, vcc_lo
	v_mul_f32_e32 v91, v72, v91
	v_add3_u32 v96, v98, v95, 0x7fff
	v_mul_f32_e32 v97, v68, v99
	v_or_b32_e32 v98, 0x400000, v95
	v_cmp_u_f32_e32 vcc_lo, v95, v95
	v_bfe_u32 v100, v91, 16, 1
	v_and_b32_e32 v90, 0xffff0000, v90
	v_and_b32_e32 v89, 0xffff0000, v89
	v_bfe_u32 v101, v97, 16, 1
	s_delay_alu instid0(VALU_DEP_4) | instskip(SKIP_1) | instid1(VALU_DEP_4)
	v_add3_u32 v99, v100, v91, 0x7fff
	v_or_b32_e32 v100, 0x400000, v91
	v_add_f32_e32 v89, v89, v93
	v_and_b32_e32 v93, 0xffff0000, v85
	s_wait_alu 0xfffd
	v_cndmask_b32_e32 v95, v96, v98, vcc_lo
	v_cmp_u_f32_e32 vcc_lo, v91, v91
	v_add3_u32 v96, v101, v97, 0x7fff
	v_or_b32_e32 v98, 0x400000, v97
	s_wait_alu 0xfffd
	v_dual_add_f32 v90, v90, v94 :: v_dual_cndmask_b32 v91, v99, v100
	v_bfe_u32 v99, v92, 16, 1
	v_cmp_u_f32_e32 vcc_lo, v97, v97
	s_delay_alu instid0(VALU_DEP_2)
	v_add3_u32 v97, v99, v92, 0x7fff
	s_wait_alu 0xfffd
	v_cndmask_b32_e32 v96, v96, v98, vcc_lo
	v_or_b32_e32 v98, 0x400000, v92
	v_cmp_u_f32_e32 vcc_lo, v92, v92
	s_wait_alu 0xfffd
	s_delay_alu instid0(VALU_DEP_2) | instskip(SKIP_3) | instid1(VALU_DEP_4)
	v_dual_cndmask_b32 v92, v97, v98 :: v_dual_add_f32 v89, v90, v89
	v_mul_f32_e32 v90, v65, v93
	v_and_b32_e32 v94, 0xffff0000, v95
	v_and_b32_e32 v93, 0xffff0000, v96
	;; [unrolled: 1-line block ×4, first 2 shown]
	v_cmp_u_f32_e32 vcc_lo, v90, v90
	v_and_b32_e32 v96, 0xffff0000, v87
	s_delay_alu instid0(VALU_DEP_4) | instskip(NEXT) | instid1(VALU_DEP_4)
	v_dual_add_f32 v92, v92, v93 :: v_dual_and_b32 v97, 0xffff0000, v88
	v_add_f32_e32 v91, v91, v94
	v_bfe_u32 v94, v90, 16, 1
	s_delay_alu instid0(VALU_DEP_4) | instskip(NEXT) | instid1(VALU_DEP_3)
	v_mul_f32_e32 v96, v67, v96
	v_dual_add_f32 v89, v91, v89 :: v_dual_lshlrev_b32 v88, 16, v88
	s_delay_alu instid0(VALU_DEP_3) | instskip(SKIP_2) | instid1(VALU_DEP_4)
	v_add3_u32 v93, v94, v90, 0x7fff
	v_or_b32_e32 v94, 0x400000, v90
	v_lshlrev_b32_e32 v85, 16, v85
	v_dual_mul_f32 v88, v70, v88 :: v_dual_and_b32 v91, 0xffff0000, v86
	v_lshlrev_b32_e32 v86, 16, v86
	s_wait_alu 0xfffd
	v_cndmask_b32_e32 v90, v93, v94, vcc_lo
	v_mul_f32_e32 v85, v69, v85
	v_mul_f32_e32 v91, v66, v91
	v_dual_add_f32 v89, v92, v89 :: v_dual_mul_f32 v86, v71, v86
	s_delay_alu instid0(VALU_DEP_4) | instskip(NEXT) | instid1(VALU_DEP_4)
	v_and_b32_e32 v90, 0xffff0000, v90
	v_bfe_u32 v95, v85, 16, 1
	v_or_b32_e32 v94, 0x400000, v85
	v_cmp_u_f32_e32 vcc_lo, v85, v85
	v_add_f32_e32 v118, v118, v89
	s_delay_alu instid0(VALU_DEP_4) | instskip(SKIP_2) | instid1(VALU_DEP_2)
	v_add3_u32 v93, v95, v85, 0x7fff
	v_bfe_u32 v95, v91, 16, 1
	s_wait_alu 0xfffd
	v_cndmask_b32_e32 v85, v93, v94, vcc_lo
	s_delay_alu instid0(VALU_DEP_2) | instskip(SKIP_4) | instid1(VALU_DEP_3)
	v_add3_u32 v93, v95, v91, 0x7fff
	v_or_b32_e32 v94, 0x400000, v91
	v_bfe_u32 v95, v86, 16, 1
	v_cmp_u_f32_e32 vcc_lo, v91, v91
	s_wait_alu 0xfffd
	v_cndmask_b32_e32 v91, v93, v94, vcc_lo
	s_delay_alu instid0(VALU_DEP_3) | instskip(SKIP_4) | instid1(VALU_DEP_3)
	v_add3_u32 v93, v95, v86, 0x7fff
	v_or_b32_e32 v94, 0x400000, v86
	v_bfe_u32 v95, v96, 16, 1
	v_cmp_u_f32_e32 vcc_lo, v86, v86
	s_wait_alu 0xfffd
	v_cndmask_b32_e32 v86, v93, v94, vcc_lo
	s_delay_alu instid0(VALU_DEP_3)
	v_add3_u32 v94, v95, v96, 0x7fff
	v_mul_f32_e32 v95, v68, v97
	v_or_b32_e32 v97, 0x400000, v96
	v_cmp_u_f32_e32 vcc_lo, v96, v96
	v_bfe_u32 v96, v88, 16, 1
	v_and_b32_e32 v86, 0xffff0000, v86
	v_bfe_u32 v99, v95, 16, 1
	s_wait_alu 0xfffd
	v_cndmask_b32_e32 v94, v94, v97, vcc_lo
	v_add3_u32 v96, v96, v88, 0x7fff
	v_lshlrev_b32_e32 v87, 16, v87
	v_or_b32_e32 v97, 0x400000, v95
	s_delay_alu instid0(VALU_DEP_2) | instskip(NEXT) | instid1(VALU_DEP_1)
	v_mul_f32_e32 v87, v72, v87
	v_bfe_u32 v93, v87, 16, 1
	v_or_b32_e32 v98, 0x400000, v87
	v_cmp_u_f32_e32 vcc_lo, v87, v87
	s_delay_alu instid0(VALU_DEP_3) | instskip(SKIP_1) | instid1(VALU_DEP_1)
	v_add3_u32 v93, v93, v87, 0x7fff
	s_wait_alu 0xfffd
	v_cndmask_b32_e32 v87, v93, v98, vcc_lo
	v_or_b32_e32 v98, 0x400000, v88
	v_cmp_u_f32_e32 vcc_lo, v88, v88
	v_add3_u32 v93, v99, v95, 0x7fff
	s_delay_alu instid0(VALU_DEP_4) | instskip(SKIP_3) | instid1(VALU_DEP_2)
	v_and_b32_e32 v87, 0xffff0000, v87
	s_wait_alu 0xfffd
	v_dual_cndmask_b32 v88, v96, v98 :: v_dual_and_b32 v85, 0xffff0000, v85
	v_cmp_u_f32_e32 vcc_lo, v95, v95
	v_dual_add_f32 v85, v85, v90 :: v_dual_and_b32 v88, 0xffff0000, v88
	v_and_b32_e32 v91, 0xffff0000, v91
	v_and_b32_e32 v90, 0xffff0000, v94
	s_wait_alu 0xfffd
	s_delay_alu instid0(VALU_DEP_2) | instskip(NEXT) | instid1(VALU_DEP_1)
	v_dual_add_f32 v86, v86, v91 :: v_dual_cndmask_b32 v91, v93, v97
	v_dual_add_f32 v85, v86, v85 :: v_dual_add_f32 v86, v87, v90
	s_delay_alu instid0(VALU_DEP_1) | instskip(NEXT) | instid1(VALU_DEP_1)
	v_dual_add_f32 v85, v86, v85 :: v_dual_and_b32 v90, 0xffff0000, v91
	v_add_f32_e32 v86, v88, v90
	v_and_b32_e32 v88, 0xffff0000, v82
	v_lshlrev_b32_e32 v82, 16, v82
	v_and_b32_e32 v87, 0xffff0000, v81
	s_delay_alu instid0(VALU_DEP_4) | instskip(NEXT) | instid1(VALU_DEP_4)
	v_add_f32_e32 v85, v86, v85
	v_mul_f32_e32 v86, v66, v88
	s_delay_alu instid0(VALU_DEP_3) | instskip(NEXT) | instid1(VALU_DEP_2)
	v_dual_mul_f32 v82, v71, v82 :: v_dual_mul_f32 v87, v65, v87
	v_bfe_u32 v92, v86, 16, 1
	s_delay_alu instid0(VALU_DEP_2) | instskip(SKIP_1) | instid1(VALU_DEP_2)
	v_bfe_u32 v90, v87, 16, 1
	v_cmp_u_f32_e32 vcc_lo, v87, v87
	v_add3_u32 v88, v90, v87, 0x7fff
	v_or_b32_e32 v90, 0x400000, v87
	s_wait_alu 0xfffd
	s_delay_alu instid0(VALU_DEP_1) | instskip(SKIP_2) | instid1(VALU_DEP_2)
	v_dual_cndmask_b32 v87, v88, v90 :: v_dual_and_b32 v90, 0xffff0000, v83
	v_lshlrev_b32_e32 v81, 16, v81
	v_add3_u32 v88, v92, v86, 0x7fff
	v_mul_f32_e32 v81, v69, v81
	s_delay_alu instid0(VALU_DEP_1) | instskip(SKIP_2) | instid1(VALU_DEP_3)
	v_bfe_u32 v89, v81, 16, 1
	v_or_b32_e32 v91, 0x400000, v81
	v_cmp_u_f32_e32 vcc_lo, v81, v81
	v_add3_u32 v89, v89, v81, 0x7fff
	s_wait_alu 0xfffd
	s_delay_alu instid0(VALU_DEP_1) | instskip(SKIP_4) | instid1(VALU_DEP_3)
	v_cndmask_b32_e32 v81, v89, v91, vcc_lo
	v_or_b32_e32 v89, 0x400000, v86
	v_bfe_u32 v91, v82, 16, 1
	v_cmp_u_f32_e32 vcc_lo, v86, v86
	s_wait_alu 0xfffd
	v_cndmask_b32_e32 v86, v88, v89, vcc_lo
	v_mul_f32_e32 v88, v67, v90
	v_add3_u32 v89, v91, v82, 0x7fff
	v_or_b32_e32 v90, 0x400000, v82
	v_cmp_u_f32_e32 vcc_lo, v82, v82
	v_and_b32_e32 v86, 0xffff0000, v86
	v_bfe_u32 v92, v88, 16, 1
	s_wait_alu 0xfffd
	v_cndmask_b32_e32 v82, v89, v90, vcc_lo
	v_cmp_u_f32_e32 vcc_lo, v88, v88
	s_delay_alu instid0(VALU_DEP_3) | instskip(NEXT) | instid1(VALU_DEP_3)
	v_add3_u32 v90, v92, v88, 0x7fff
	v_and_b32_e32 v82, 0xffff0000, v82
	s_delay_alu instid0(VALU_DEP_1) | instskip(NEXT) | instid1(VALU_DEP_1)
	v_dual_add_f32 v82, v82, v86 :: v_dual_lshlrev_b32 v83, 16, v83
	v_dual_mul_f32 v83, v72, v83 :: v_dual_and_b32 v86, 0xffff0000, v77
	v_and_b32_e32 v91, 0xffff0000, v84
	v_lshlrev_b32_e32 v84, 16, v84
	v_and_b32_e32 v87, 0xffff0000, v87
	s_delay_alu instid0(VALU_DEP_4) | instskip(NEXT) | instid1(VALU_DEP_3)
	v_bfe_u32 v93, v83, 16, 1
	v_dual_mul_f32 v84, v70, v84 :: v_dual_and_b32 v81, 0xffff0000, v81
	s_delay_alu instid0(VALU_DEP_2) | instskip(SKIP_1) | instid1(VALU_DEP_3)
	v_add3_u32 v92, v93, v83, 0x7fff
	v_or_b32_e32 v93, 0x400000, v83
	v_add_f32_e32 v81, v81, v87
	s_delay_alu instid0(VALU_DEP_1) | instskip(SKIP_2) | instid1(VALU_DEP_3)
	v_dual_add_f32 v81, v82, v81 :: v_dual_mul_f32 v82, v65, v86
	v_mul_f32_e32 v89, v68, v91
	v_or_b32_e32 v91, 0x400000, v88
	v_bfe_u32 v86, v82, 16, 1
	s_delay_alu instid0(VALU_DEP_3) | instskip(SKIP_1) | instid1(VALU_DEP_3)
	v_bfe_u32 v94, v89, 16, 1
	s_wait_alu 0xfffd
	v_cndmask_b32_e32 v88, v90, v91, vcc_lo
	v_cmp_u_f32_e32 vcc_lo, v83, v83
	v_or_b32_e32 v91, 0x400000, v89
	v_add3_u32 v86, v86, v82, 0x7fff
	v_add3_u32 v90, v94, v89, 0x7fff
	s_wait_alu 0xfffd
	v_cndmask_b32_e32 v83, v92, v93, vcc_lo
	v_cmp_u_f32_e32 vcc_lo, v89, v89
	s_wait_alu 0xfffd
	v_cndmask_b32_e32 v89, v90, v91, vcc_lo
	v_bfe_u32 v90, v84, 16, 1
	v_cmp_u_f32_e32 vcc_lo, v84, v84
	v_and_b32_e32 v91, 0xffff0000, v80
	v_and_b32_e32 v87, 0xffff0000, v88
	v_lshlrev_b32_e32 v80, 16, v80
	v_add3_u32 v88, v90, v84, 0x7fff
	v_or_b32_e32 v90, 0x400000, v84
	s_delay_alu instid0(VALU_DEP_3) | instskip(SKIP_1) | instid1(VALU_DEP_2)
	v_mul_f32_e32 v80, v70, v80
	s_wait_alu 0xfffd
	v_cndmask_b32_e32 v84, v88, v90, vcc_lo
	v_and_b32_e32 v90, 0xffff0000, v79
	v_and_b32_e32 v83, 0xffff0000, v83
	v_cmp_u_f32_e32 vcc_lo, v82, v82
	v_bfe_u32 v94, v80, 16, 1
	v_and_b32_e32 v84, 0xffff0000, v84
	v_mul_f32_e32 v90, v67, v90
	v_add_f32_e32 v83, v83, v87
	v_or_b32_e32 v87, 0x400000, v82
	v_lshlrev_b32_e32 v77, 16, v77
	s_delay_alu instid0(VALU_DEP_3) | instskip(SKIP_1) | instid1(VALU_DEP_3)
	v_add_f32_e32 v81, v83, v81
	s_wait_alu 0xfffd
	v_dual_cndmask_b32 v82, v86, v87 :: v_dual_and_b32 v83, 0xffff0000, v78
	s_delay_alu instid0(VALU_DEP_3) | instskip(NEXT) | instid1(VALU_DEP_2)
	v_dual_mul_f32 v77, v69, v77 :: v_dual_lshlrev_b32 v78, 16, v78
	v_dual_mul_f32 v83, v66, v83 :: v_dual_and_b32 v82, 0xffff0000, v82
	s_delay_alu instid0(VALU_DEP_2) | instskip(SKIP_1) | instid1(VALU_DEP_4)
	v_bfe_u32 v88, v77, 16, 1
	v_or_b32_e32 v87, 0x400000, v77
	v_mul_f32_e32 v78, v71, v78
	v_cmp_u_f32_e32 vcc_lo, v77, v77
	s_delay_alu instid0(VALU_DEP_4) | instskip(SKIP_2) | instid1(VALU_DEP_2)
	v_add3_u32 v86, v88, v77, 0x7fff
	v_bfe_u32 v88, v83, 16, 1
	s_wait_alu 0xfffd
	v_cndmask_b32_e32 v77, v86, v87, vcc_lo
	s_delay_alu instid0(VALU_DEP_2) | instskip(SKIP_4) | instid1(VALU_DEP_3)
	v_add3_u32 v86, v88, v83, 0x7fff
	v_or_b32_e32 v87, 0x400000, v83
	v_bfe_u32 v88, v78, 16, 1
	v_cmp_u_f32_e32 vcc_lo, v83, v83
	s_wait_alu 0xfffd
	v_cndmask_b32_e32 v83, v86, v87, vcc_lo
	s_delay_alu instid0(VALU_DEP_3)
	v_add3_u32 v86, v88, v78, 0x7fff
	v_or_b32_e32 v87, 0x400000, v78
	v_cmp_u_f32_e32 vcc_lo, v78, v78
	v_bfe_u32 v88, v90, 16, 1
	v_and_b32_e32 v83, 0xffff0000, v83
	s_wait_alu 0xfffd
	v_cndmask_b32_e32 v78, v86, v87, vcc_lo
	v_lshlrev_b32_e32 v79, 16, v79
	v_add3_u32 v87, v88, v90, 0x7fff
	v_cmp_u_f32_e32 vcc_lo, v90, v90
	s_delay_alu instid0(VALU_DEP_3) | instskip(NEXT) | instid1(VALU_DEP_1)
	v_dual_mul_f32 v79, v72, v79 :: v_dual_and_b32 v78, 0xffff0000, v78
	v_dual_add_f32 v78, v78, v83 :: v_dual_and_b32 v77, 0xffff0000, v77
	s_delay_alu instid0(VALU_DEP_2)
	v_bfe_u32 v86, v79, 16, 1
	v_mul_f32_e32 v88, v68, v91
	v_or_b32_e32 v91, 0x400000, v90
	v_or_b32_e32 v92, 0x400000, v79
	v_add3_u32 v90, v94, v80, 0x7fff
	v_add3_u32 v86, v86, v79, 0x7fff
	v_bfe_u32 v93, v88, 16, 1
	s_wait_alu 0xfffd
	v_cndmask_b32_e32 v87, v87, v91, vcc_lo
	v_cmp_u_f32_e32 vcc_lo, v79, v79
	v_or_b32_e32 v91, 0x400000, v80
	s_wait_alu 0xfffd
	v_cndmask_b32_e32 v79, v86, v92, vcc_lo
	v_cmp_u_f32_e32 vcc_lo, v80, v80
	v_add3_u32 v86, v93, v88, 0x7fff
	v_or_b32_e32 v92, 0x400000, v88
	s_wait_alu 0xfffd
	v_cndmask_b32_e32 v80, v90, v91, vcc_lo
	v_cmp_u_f32_e32 vcc_lo, v88, v88
	s_wait_alu 0xfffd
	v_cndmask_b32_e32 v83, v86, v92, vcc_lo
	v_dual_add_f32 v77, v77, v82 :: v_dual_and_b32 v82, 0xffff0000, v87
	v_and_b32_e32 v79, 0xffff0000, v79
	v_and_b32_e32 v86, 0xffff0000, v89
	s_delay_alu instid0(VALU_DEP_2) | instskip(SKIP_2) | instid1(VALU_DEP_4)
	v_dual_add_f32 v77, v78, v77 :: v_dual_add_f32 v78, v79, v82
	v_and_b32_e32 v79, 0xffff0000, v80
	v_and_b32_e32 v80, 0xffff0000, v83
	v_dual_add_f32 v83, v84, v86 :: v_dual_and_b32 v82, 0xffff0000, v73
	s_delay_alu instid0(VALU_DEP_2) | instskip(NEXT) | instid1(VALU_DEP_2)
	v_dual_add_f32 v77, v78, v77 :: v_dual_add_f32 v78, v79, v80
	v_dual_mul_f32 v79, v65, v82 :: v_dual_add_f32 v80, v83, v81
	v_and_b32_e32 v83, 0xffff0000, v76
	v_lshlrev_b32_e32 v76, 16, v76
	v_lshlrev_b32_e32 v73, 16, v73
	v_add_f32_e32 v77, v78, v77
	v_bfe_u32 v78, v79, 16, 1
	v_add_f32_e32 v120, v120, v80
	s_delay_alu instid0(VALU_DEP_4) | instskip(NEXT) | instid1(VALU_DEP_4)
	v_dual_mul_f32 v76, v70, v76 :: v_dual_mul_f32 v73, v69, v73
	v_add_f32_e32 v121, v121, v77
	s_delay_alu instid0(VALU_DEP_4)
	v_add3_u32 v77, v78, v79, 0x7fff
	v_or_b32_e32 v78, 0x400000, v79
	v_cmp_u_f32_e32 vcc_lo, v79, v79
	v_bfe_u32 v80, v73, 16, 1
	v_or_b32_e32 v82, 0x400000, v73
	v_and_b32_e32 v79, 0xffff0000, v75
	v_lshlrev_b32_e32 v75, 16, v75
	s_wait_alu 0xfffd
	v_cndmask_b32_e32 v77, v77, v78, vcc_lo
	v_add3_u32 v80, v80, v73, 0x7fff
	v_cmp_u_f32_e32 vcc_lo, v73, v73
	v_mul_f32_e32 v79, v67, v79
	v_mul_f32_e32 v75, v72, v75
	v_and_b32_e32 v77, 0xffff0000, v77
	s_wait_alu 0xfffd
	v_cndmask_b32_e32 v73, v80, v82, vcc_lo
	s_delay_alu instid0(VALU_DEP_3) | instskip(NEXT) | instid1(VALU_DEP_2)
	v_bfe_u32 v84, v75, 16, 1
	v_and_b32_e32 v73, 0xffff0000, v73
	s_delay_alu instid0(VALU_DEP_1) | instskip(SKIP_4) | instid1(VALU_DEP_2)
	v_add_f32_e32 v73, v73, v77
	v_and_b32_e32 v77, 0xffff0000, v61
	v_and_b32_e32 v81, 0xffff0000, v74
	v_lshlrev_b32_e32 v74, 16, v74
	v_lshlrev_b32_e32 v61, 16, v61
	v_dual_mul_f32 v81, v66, v81 :: v_dual_mul_f32 v74, v71, v74
	s_delay_alu instid0(VALU_DEP_2) | instskip(NEXT) | instid1(VALU_DEP_2)
	v_mul_f32_e32 v61, v69, v61
	v_bfe_u32 v78, v81, 16, 1
	v_or_b32_e32 v80, 0x400000, v81
	s_delay_alu instid0(VALU_DEP_4) | instskip(SKIP_1) | instid1(VALU_DEP_4)
	v_bfe_u32 v82, v74, 16, 1
	v_cmp_u_f32_e32 vcc_lo, v81, v81
	v_add3_u32 v78, v78, v81, 0x7fff
	v_or_b32_e32 v81, 0x400000, v74
	s_wait_alu 0xfffd
	s_delay_alu instid0(VALU_DEP_2) | instskip(SKIP_3) | instid1(VALU_DEP_4)
	v_cndmask_b32_e32 v78, v78, v80, vcc_lo
	v_add3_u32 v80, v82, v74, 0x7fff
	v_bfe_u32 v82, v79, 16, 1
	v_cmp_u_f32_e32 vcc_lo, v74, v74
	v_and_b32_e32 v78, 0xffff0000, v78
	s_wait_alu 0xfffd
	v_cndmask_b32_e32 v74, v80, v81, vcc_lo
	v_add3_u32 v80, v82, v79, 0x7fff
	v_or_b32_e32 v82, 0x400000, v79
	v_cmp_u_f32_e32 vcc_lo, v79, v79
	v_mul_f32_e32 v81, v68, v83
	v_add3_u32 v83, v84, v75, 0x7fff
	v_or_b32_e32 v84, 0x400000, v75
	v_and_b32_e32 v74, 0xffff0000, v74
	s_wait_alu 0xfffd
	v_cndmask_b32_e32 v79, v80, v82, vcc_lo
	v_cmp_u_f32_e32 vcc_lo, v75, v75
	v_or_b32_e32 v82, 0x400000, v81
	s_wait_alu 0xfffd
	v_dual_add_f32 v74, v74, v78 :: v_dual_cndmask_b32 v75, v83, v84
	v_cmp_u_f32_e32 vcc_lo, v81, v81
	v_add_f32_e32 v119, v119, v85
	v_bfe_u32 v85, v81, 16, 1
	v_bfe_u32 v83, v76, 16, 1
	v_and_b32_e32 v75, 0xffff0000, v75
	v_add_f32_e32 v73, v74, v73
	v_mul_f32_e32 v74, v65, v77
	v_add3_u32 v80, v85, v81, 0x7fff
	v_add3_u32 v81, v83, v76, 0x7fff
	s_wait_alu 0xfffd
	s_delay_alu instid0(VALU_DEP_2) | instskip(SKIP_2) | instid1(VALU_DEP_3)
	v_cndmask_b32_e32 v80, v80, v82, vcc_lo
	v_or_b32_e32 v82, 0x400000, v76
	v_cmp_u_f32_e32 vcc_lo, v76, v76
	v_and_b32_e32 v77, 0xffff0000, v80
	v_and_b32_e32 v80, 0xffff0000, v63
	s_wait_alu 0xfffd
	v_dual_cndmask_b32 v76, v81, v82 :: v_dual_and_b32 v81, 0xffff0000, v64
	v_lshlrev_b32_e32 v64, 16, v64
	v_cmp_u_f32_e32 vcc_lo, v74, v74
	v_mul_f32_e32 v80, v67, v80
	s_delay_alu instid0(VALU_DEP_4) | instskip(NEXT) | instid1(VALU_DEP_4)
	v_and_b32_e32 v76, 0xffff0000, v76
	v_dual_mul_f32 v64, v70, v64 :: v_dual_lshlrev_b32 v63, 16, v63
	v_and_b32_e32 v78, 0xffff0000, v79
	v_bfe_u32 v79, v61, 16, 1
	s_delay_alu instid0(VALU_DEP_4) | instskip(NEXT) | instid1(VALU_DEP_4)
	v_add_f32_e32 v76, v76, v77
	v_mul_f32_e32 v63, v72, v63
	s_delay_alu instid0(VALU_DEP_4) | instskip(SKIP_1) | instid1(VALU_DEP_3)
	v_add_f32_e32 v75, v75, v78
	v_bfe_u32 v78, v74, 16, 1
	v_or_b32_e32 v82, 0x400000, v63
	s_delay_alu instid0(VALU_DEP_3) | instskip(SKIP_1) | instid1(VALU_DEP_4)
	v_add_f32_e32 v73, v75, v73
	v_and_b32_e32 v75, 0xffff0000, v62
	v_add3_u32 v77, v78, v74, 0x7fff
	v_or_b32_e32 v78, 0x400000, v74
	s_delay_alu instid0(VALU_DEP_3) | instskip(SKIP_1) | instid1(VALU_DEP_2)
	v_dual_mul_f32 v75, v66, v75 :: v_dual_lshlrev_b32 v62, 16, v62
	s_wait_alu 0xfffd
	v_cndmask_b32_e32 v74, v77, v78, vcc_lo
	v_add3_u32 v77, v79, v61, 0x7fff
	v_or_b32_e32 v78, 0x400000, v61
	v_bfe_u32 v79, v75, 16, 1
	v_mul_f32_e32 v62, v71, v62
	v_cmp_u_f32_e32 vcc_lo, v61, v61
	v_and_b32_e32 v74, 0xffff0000, v74
	s_wait_alu 0xfffd
	v_cndmask_b32_e32 v61, v77, v78, vcc_lo
	v_add3_u32 v77, v79, v75, 0x7fff
	v_or_b32_e32 v78, 0x400000, v75
	v_bfe_u32 v79, v62, 16, 1
	v_cmp_u_f32_e32 vcc_lo, v75, v75
	v_and_b32_e32 v61, 0xffff0000, v61
	s_wait_alu 0xfffd
	v_cndmask_b32_e32 v75, v77, v78, vcc_lo
	v_add3_u32 v77, v79, v62, 0x7fff
	v_or_b32_e32 v78, 0x400000, v62
	v_bfe_u32 v79, v80, 16, 1
	v_cmp_u_f32_e32 vcc_lo, v62, v62
	v_and_b32_e32 v75, 0xffff0000, v75
	v_add_f32_e32 v61, v61, v74
	s_wait_alu 0xfffd
	v_cndmask_b32_e32 v62, v77, v78, vcc_lo
	v_bfe_u32 v77, v63, 16, 1
	v_add3_u32 v78, v79, v80, 0x7fff
	v_mul_f32_e32 v79, v68, v81
	v_or_b32_e32 v81, 0x400000, v80
	v_cmp_u_f32_e32 vcc_lo, v80, v80
	v_add3_u32 v77, v77, v63, 0x7fff
	v_bfe_u32 v80, v64, 16, 1
	v_bfe_u32 v83, v79, 16, 1
	v_and_b32_e32 v62, 0xffff0000, v62
	s_wait_alu 0xfffd
	v_cndmask_b32_e32 v78, v78, v81, vcc_lo
	v_cmp_u_f32_e32 vcc_lo, v63, v63
	v_add3_u32 v80, v80, v64, 0x7fff
	v_or_b32_e32 v81, 0x400000, v79
	v_add_f32_e32 v62, v62, v75
	v_and_b32_e32 v74, 0xffff0000, v78
	s_wait_alu 0xfffd
	v_cndmask_b32_e32 v63, v77, v82, vcc_lo
	v_or_b32_e32 v82, 0x400000, v64
	v_cmp_u_f32_e32 vcc_lo, v64, v64
	v_add3_u32 v77, v83, v79, 0x7fff
	v_add_f32_e32 v61, v62, v61
	v_and_b32_e32 v63, 0xffff0000, v63
	v_add_f32_e32 v73, v76, v73
	s_wait_alu 0xfffd
	v_cndmask_b32_e32 v64, v80, v82, vcc_lo
	v_cmp_u_f32_e32 vcc_lo, v79, v79
	v_dual_add_f32 v62, v63, v74 :: v_dual_and_b32 v63, 0xffff0000, v57
	s_wait_alu 0xfffd
	s_delay_alu instid0(VALU_DEP_3) | instskip(SKIP_1) | instid1(VALU_DEP_3)
	v_dual_cndmask_b32 v75, v77, v81 :: v_dual_and_b32 v64, 0xffff0000, v64
	v_lshlrev_b32_e32 v57, 16, v57
	v_add_f32_e32 v61, v62, v61
	v_dual_mul_f32 v63, v65, v63 :: v_dual_add_f32 v122, v122, v73
	s_delay_alu instid0(VALU_DEP_3) | instskip(NEXT) | instid1(VALU_DEP_2)
	v_dual_mul_f32 v57, v69, v57 :: v_dual_and_b32 v74, 0xffff0000, v75
	v_cmp_u_f32_e32 vcc_lo, v63, v63
	s_delay_alu instid0(VALU_DEP_2)
	v_add_f32_e32 v62, v64, v74
	v_and_b32_e32 v64, 0xffff0000, v58
	v_bfe_u32 v74, v63, 16, 1
	v_bfe_u32 v73, v57, 16, 1
	v_or_b32_e32 v75, 0x400000, v57
	v_add_f32_e32 v61, v62, v61
	v_mul_f32_e32 v62, v66, v64
	v_add3_u32 v64, v74, v63, 0x7fff
	v_or_b32_e32 v74, 0x400000, v63
	v_add3_u32 v73, v73, v57, 0x7fff
	v_lshlrev_b32_e32 v58, 16, v58
	v_bfe_u32 v76, v62, 16, 1
	s_wait_alu 0xfffd
	v_cndmask_b32_e32 v63, v64, v74, vcc_lo
	v_cmp_u_f32_e32 vcc_lo, v57, v57
	v_mul_f32_e32 v58, v71, v58
	v_add3_u32 v64, v76, v62, 0x7fff
	v_and_b32_e32 v74, 0xffff0000, v59
	v_lshlrev_b32_e32 v59, 16, v59
	s_wait_alu 0xfffd
	v_cndmask_b32_e32 v57, v73, v75, vcc_lo
	v_or_b32_e32 v73, 0x400000, v62
	v_cmp_u_f32_e32 vcc_lo, v62, v62
	v_bfe_u32 v75, v58, 16, 1
	v_mul_f32_e32 v59, v72, v59
	s_wait_alu 0xfffd
	v_cndmask_b32_e32 v62, v64, v73, vcc_lo
	v_mul_f32_e32 v64, v67, v74
	v_add3_u32 v73, v75, v58, 0x7fff
	v_or_b32_e32 v74, 0x400000, v58
	v_and_b32_e32 v75, 0xffff0000, v60
	v_cmp_u_f32_e32 vcc_lo, v58, v58
	v_bfe_u32 v76, v64, 16, 1
	v_bfe_u32 v77, v59, 16, 1
	v_lshlrev_b32_e32 v60, 16, v60
	v_and_b32_e32 v62, 0xffff0000, v62
	s_wait_alu 0xfffd
	v_dual_cndmask_b32 v58, v73, v74 :: v_dual_mul_f32 v73, v68, v75
	v_add3_u32 v74, v76, v64, 0x7fff
	v_or_b32_e32 v75, 0x400000, v64
	v_cmp_u_f32_e32 vcc_lo, v64, v64
	v_add3_u32 v76, v77, v59, 0x7fff
	v_or_b32_e32 v77, 0x400000, v59
	v_bfe_u32 v78, v73, 16, 1
	v_and_b32_e32 v58, 0xffff0000, v58
	s_wait_alu 0xfffd
	v_cndmask_b32_e32 v64, v74, v75, vcc_lo
	v_cmp_u_f32_e32 vcc_lo, v59, v59
	v_or_b32_e32 v75, 0x400000, v73
	v_add3_u32 v74, v78, v73, 0x7fff
	v_mul_f32_e32 v60, v70, v60
	s_wait_alu 0xfffd
	v_dual_add_f32 v58, v58, v62 :: v_dual_cndmask_b32 v59, v76, v77
	v_cmp_u_f32_e32 vcc_lo, v73, v73
	v_and_b32_e32 v62, 0xffff0000, v53
	v_lshlrev_b32_e32 v53, 16, v53
	s_delay_alu instid0(VALU_DEP_4)
	v_and_b32_e32 v59, 0xffff0000, v59
	s_wait_alu 0xfffd
	v_cndmask_b32_e32 v73, v74, v75, vcc_lo
	v_and_b32_e32 v75, 0xffff0000, v56
	v_lshlrev_b32_e32 v56, 16, v56
	v_and_b32_e32 v63, 0xffff0000, v63
	v_bfe_u32 v74, v60, 16, 1
	v_cmp_u_f32_e32 vcc_lo, v60, v60
	s_delay_alu instid0(VALU_DEP_4) | instskip(SKIP_1) | instid1(VALU_DEP_2)
	v_dual_mul_f32 v53, v69, v53 :: v_dual_mul_f32 v56, v70, v56
	v_and_b32_e32 v57, 0xffff0000, v57
	v_bfe_u32 v78, v56, 16, 1
	s_delay_alu instid0(VALU_DEP_2) | instskip(SKIP_3) | instid1(VALU_DEP_4)
	v_add_f32_e32 v57, v57, v63
	v_and_b32_e32 v63, 0xffff0000, v64
	v_add3_u32 v64, v74, v60, 0x7fff
	v_or_b32_e32 v74, 0x400000, v60
	v_dual_add_f32 v57, v58, v57 :: v_dual_mul_f32 v58, v65, v62
	s_wait_alu 0xfffd
	s_delay_alu instid0(VALU_DEP_2) | instskip(SKIP_3) | instid1(VALU_DEP_4)
	v_dual_add_f32 v59, v59, v63 :: v_dual_cndmask_b32 v60, v64, v74
	v_bfe_u32 v64, v53, 16, 1
	v_and_b32_e32 v74, 0xffff0000, v55
	v_bfe_u32 v62, v58, 16, 1
	v_add_f32_e32 v57, v59, v57
	v_and_b32_e32 v59, 0xffff0000, v54
	v_or_b32_e32 v63, 0x400000, v58
	v_lshlrev_b32_e32 v54, 16, v54
	v_add3_u32 v62, v62, v58, 0x7fff
	v_cmp_u_f32_e32 vcc_lo, v58, v58
	v_dual_mul_f32 v59, v66, v59 :: v_dual_mul_f32 v74, v67, v74
	s_delay_alu instid0(VALU_DEP_4)
	v_dual_mul_f32 v54, v71, v54 :: v_dual_lshlrev_b32 v55, 16, v55
	s_wait_alu 0xfffd
	v_cndmask_b32_e32 v58, v62, v63, vcc_lo
	v_add3_u32 v62, v64, v53, 0x7fff
	v_or_b32_e32 v63, 0x400000, v53
	v_bfe_u32 v64, v59, 16, 1
	v_cmp_u_f32_e32 vcc_lo, v53, v53
	v_dual_mul_f32 v55, v72, v55 :: v_dual_and_b32 v58, 0xffff0000, v58
	v_dual_add_f32 v123, v123, v61 :: v_dual_and_b32 v60, 0xffff0000, v60
	s_wait_alu 0xfffd
	v_cndmask_b32_e32 v53, v62, v63, vcc_lo
	v_add3_u32 v62, v64, v59, 0x7fff
	v_or_b32_e32 v63, 0x400000, v59
	v_bfe_u32 v64, v54, 16, 1
	v_cmp_u_f32_e32 vcc_lo, v59, v59
	v_or_b32_e32 v76, 0x400000, v55
	v_and_b32_e32 v53, 0xffff0000, v53
	s_wait_alu 0xfffd
	v_cndmask_b32_e32 v59, v62, v63, vcc_lo
	v_add3_u32 v62, v64, v54, 0x7fff
	v_or_b32_e32 v63, 0x400000, v54
	v_bfe_u32 v64, v74, 16, 1
	v_cmp_u_f32_e32 vcc_lo, v54, v54
	v_and_b32_e32 v59, 0xffff0000, v59
	s_wait_alu 0xfffd
	v_dual_add_f32 v53, v53, v58 :: v_dual_cndmask_b32 v54, v62, v63
	v_bfe_u32 v62, v55, 16, 1
	v_add3_u32 v63, v64, v74, 0x7fff
	v_mul_f32_e32 v64, v68, v75
	v_or_b32_e32 v75, 0x400000, v74
	v_cmp_u_f32_e32 vcc_lo, v74, v74
	v_add3_u32 v62, v62, v55, 0x7fff
	v_add3_u32 v74, v78, v56, 0x7fff
	v_bfe_u32 v77, v64, 16, 1
	s_wait_alu 0xfffd
	v_dual_cndmask_b32 v63, v63, v75 :: v_dual_and_b32 v54, 0xffff0000, v54
	v_cmp_u_f32_e32 vcc_lo, v55, v55
	v_or_b32_e32 v75, 0x400000, v56
	s_delay_alu instid0(VALU_DEP_3)
	v_add_f32_e32 v54, v54, v59
	s_wait_alu 0xfffd
	v_dual_cndmask_b32 v55, v62, v76 :: v_dual_and_b32 v58, 0xffff0000, v63
	v_cmp_u_f32_e32 vcc_lo, v56, v56
	v_add3_u32 v62, v77, v64, 0x7fff
	v_or_b32_e32 v76, 0x400000, v64
	v_add_f32_e32 v53, v54, v53
	v_and_b32_e32 v55, 0xffff0000, v55
	s_wait_alu 0xfffd
	v_cndmask_b32_e32 v56, v74, v75, vcc_lo
	v_cmp_u_f32_e32 vcc_lo, v64, v64
	s_delay_alu instid0(VALU_DEP_2) | instskip(SKIP_4) | instid1(VALU_DEP_3)
	v_dual_add_f32 v54, v55, v58 :: v_dual_and_b32 v55, 0xffff0000, v56
	s_wait_alu 0xfffd
	v_dual_cndmask_b32 v59, v62, v76 :: v_dual_and_b32 v58, 0xffff0000, v49
	v_and_b32_e32 v62, 0xffff0000, v73
	v_lshlrev_b32_e32 v49, 16, v49
	v_dual_add_f32 v53, v54, v53 :: v_dual_and_b32 v56, 0xffff0000, v59
	s_delay_alu instid0(VALU_DEP_3) | instskip(NEXT) | instid1(VALU_DEP_2)
	v_add_f32_e32 v59, v60, v62
	v_dual_mul_f32 v49, v69, v49 :: v_dual_add_f32 v54, v55, v56
	s_delay_alu instid0(VALU_DEP_2) | instskip(SKIP_1) | instid1(VALU_DEP_3)
	v_dual_mul_f32 v55, v65, v58 :: v_dual_add_f32 v56, v59, v57
	v_and_b32_e32 v57, 0xffff0000, v50
	v_dual_add_f32 v53, v54, v53 :: v_dual_lshlrev_b32 v50, 16, v50
	s_delay_alu instid0(VALU_DEP_3) | instskip(NEXT) | instid1(VALU_DEP_4)
	v_bfe_u32 v54, v55, 16, 1
	v_add_f32_e32 v124, v124, v56
	v_bfe_u32 v56, v49, 16, 1
	v_mul_f32_e32 v57, v66, v57
	v_add_f32_e32 v125, v125, v53
	v_add3_u32 v53, v54, v55, 0x7fff
	v_or_b32_e32 v54, 0x400000, v55
	v_cmp_u_f32_e32 vcc_lo, v55, v55
	v_add3_u32 v56, v56, v49, 0x7fff
	v_or_b32_e32 v58, 0x400000, v49
	v_dual_mul_f32 v50, v71, v50 :: v_dual_and_b32 v55, 0xffff0000, v51
	s_wait_alu 0xfffd
	v_cndmask_b32_e32 v53, v53, v54, vcc_lo
	v_bfe_u32 v54, v57, 16, 1
	v_cmp_u_f32_e32 vcc_lo, v49, v49
	v_lshlrev_b32_e32 v51, 16, v51
	v_mul_f32_e32 v55, v67, v55
	v_and_b32_e32 v59, 0xffff0000, v52
	v_add3_u32 v54, v54, v57, 0x7fff
	s_wait_alu 0xfffd
	v_cndmask_b32_e32 v49, v56, v58, vcc_lo
	v_or_b32_e32 v56, 0x400000, v57
	v_bfe_u32 v58, v50, 16, 1
	v_cmp_u_f32_e32 vcc_lo, v57, v57
	v_mul_f32_e32 v51, v72, v51
	v_or_b32_e32 v57, 0x400000, v50
	v_lshlrev_b32_e32 v52, 16, v52
	s_wait_alu 0xfffd
	v_dual_cndmask_b32 v54, v54, v56 :: v_dual_and_b32 v49, 0xffff0000, v49
	v_add3_u32 v56, v58, v50, 0x7fff
	v_bfe_u32 v58, v55, 16, 1
	v_cmp_u_f32_e32 vcc_lo, v50, v50
	v_bfe_u32 v60, v51, 16, 1
	v_dual_mul_f32 v52, v70, v52 :: v_dual_and_b32 v53, 0xffff0000, v53
	v_and_b32_e32 v54, 0xffff0000, v54
	s_wait_alu 0xfffd
	v_cndmask_b32_e32 v50, v56, v57, vcc_lo
	v_add3_u32 v56, v58, v55, 0x7fff
	v_mul_f32_e32 v57, v68, v59
	v_or_b32_e32 v58, 0x400000, v55
	v_cmp_u_f32_e32 vcc_lo, v55, v55
	v_add3_u32 v59, v60, v51, 0x7fff
	v_or_b32_e32 v60, 0x400000, v51
	v_bfe_u32 v61, v57, 16, 1
	v_and_b32_e32 v50, 0xffff0000, v50
	s_wait_alu 0xfffd
	v_cndmask_b32_e32 v55, v56, v58, vcc_lo
	v_cmp_u_f32_e32 vcc_lo, v51, v51
	v_or_b32_e32 v58, 0x400000, v57
	v_add3_u32 v56, v61, v57, 0x7fff
	v_dual_add_f32 v49, v49, v53 :: v_dual_add_f32 v50, v50, v54
	s_wait_alu 0xfffd
	v_cndmask_b32_e32 v51, v59, v60, vcc_lo
	v_bfe_u32 v59, v52, 16, 1
	v_cmp_u_f32_e32 vcc_lo, v57, v57
	v_and_b32_e32 v53, 0xffff0000, v45
	v_and_b32_e32 v54, 0xffff0000, v55
	;; [unrolled: 1-line block ×3, first 2 shown]
	v_add3_u32 v57, v59, v52, 0x7fff
	s_wait_alu 0xfffd
	v_cndmask_b32_e32 v56, v56, v58, vcc_lo
	v_or_b32_e32 v58, 0x400000, v52
	v_cmp_u_f32_e32 vcc_lo, v52, v52
	v_add_f32_e32 v49, v50, v49
	v_dual_mul_f32 v50, v65, v53 :: v_dual_add_f32 v51, v51, v54
	s_wait_alu 0xfffd
	v_dual_cndmask_b32 v52, v57, v58 :: v_dual_lshlrev_b32 v45, 16, v45
	v_and_b32_e32 v53, 0xffff0000, v56
	s_delay_alu instid0(VALU_DEP_3) | instskip(SKIP_1) | instid1(VALU_DEP_4)
	v_bfe_u32 v54, v50, 16, 1
	v_add_f32_e32 v49, v51, v49
	v_dual_mul_f32 v45, v69, v45 :: v_dual_and_b32 v52, 0xffff0000, v52
	v_and_b32_e32 v51, 0xffff0000, v46
	v_lshlrev_b32_e32 v46, 16, v46
	v_cmp_u_f32_e32 vcc_lo, v50, v50
	s_delay_alu instid0(VALU_DEP_4)
	v_bfe_u32 v55, v45, 16, 1
	v_add_f32_e32 v52, v52, v53
	v_add3_u32 v53, v54, v50, 0x7fff
	v_or_b32_e32 v54, 0x400000, v50
	v_dual_mul_f32 v51, v66, v51 :: v_dual_mul_f32 v46, v71, v46
	v_and_b32_e32 v56, 0xffff0000, v47
	s_wait_alu 0xfffd
	s_delay_alu instid0(VALU_DEP_3)
	v_dual_cndmask_b32 v50, v53, v54 :: v_dual_lshlrev_b32 v47, 16, v47
	v_add3_u32 v53, v55, v45, 0x7fff
	v_or_b32_e32 v54, 0x400000, v45
	v_bfe_u32 v55, v51, 16, 1
	v_cmp_u_f32_e32 vcc_lo, v45, v45
	v_dual_mul_f32 v56, v67, v56 :: v_dual_mul_f32 v47, v72, v47
	v_and_b32_e32 v57, 0xffff0000, v48
	s_wait_alu 0xfffd
	v_dual_cndmask_b32 v45, v53, v54 :: v_dual_lshlrev_b32 v48, 16, v48
	v_add3_u32 v53, v55, v51, 0x7fff
	v_or_b32_e32 v54, 0x400000, v51
	v_bfe_u32 v55, v46, 16, 1
	v_cmp_u_f32_e32 vcc_lo, v51, v51
	v_mul_f32_e32 v48, v70, v48
	v_or_b32_e32 v58, 0x400000, v47
	v_and_b32_e32 v45, 0xffff0000, v45
	v_and_b32_e32 v50, 0xffff0000, v50
	s_wait_alu 0xfffd
	v_cndmask_b32_e32 v51, v53, v54, vcc_lo
	v_add3_u32 v53, v55, v46, 0x7fff
	v_or_b32_e32 v54, 0x400000, v46
	v_bfe_u32 v55, v56, 16, 1
	v_cmp_u_f32_e32 vcc_lo, v46, v46
	v_and_b32_e32 v51, 0xffff0000, v51
	v_add_f32_e32 v45, v45, v50
	s_wait_alu 0xfffd
	v_dual_add_f32 v49, v52, v49 :: v_dual_cndmask_b32 v46, v53, v54
	v_bfe_u32 v53, v47, 16, 1
	v_add3_u32 v54, v55, v56, 0x7fff
	v_mul_f32_e32 v55, v68, v57
	v_or_b32_e32 v57, 0x400000, v56
	v_cmp_u_f32_e32 vcc_lo, v56, v56
	v_add3_u32 v53, v53, v47, 0x7fff
	v_bfe_u32 v56, v48, 16, 1
	v_bfe_u32 v59, v55, 16, 1
	v_and_b32_e32 v46, 0xffff0000, v46
	s_wait_alu 0xfffd
	v_cndmask_b32_e32 v54, v54, v57, vcc_lo
	v_cmp_u_f32_e32 vcc_lo, v47, v47
	v_add3_u32 v56, v56, v48, 0x7fff
	v_or_b32_e32 v57, 0x400000, v55
	v_add_f32_e32 v46, v46, v51
	v_and_b32_e32 v50, 0xffff0000, v54
	s_wait_alu 0xfffd
	v_cndmask_b32_e32 v47, v53, v58, vcc_lo
	v_or_b32_e32 v58, 0x400000, v48
	v_cmp_u_f32_e32 vcc_lo, v48, v48
	v_add3_u32 v53, v59, v55, 0x7fff
	v_add_f32_e32 v45, v46, v45
	v_dual_add_f32 v126, v126, v49 :: v_dual_and_b32 v47, 0xffff0000, v47
	s_wait_alu 0xfffd
	v_cndmask_b32_e32 v48, v56, v58, vcc_lo
	v_cmp_u_f32_e32 vcc_lo, v55, v55
	s_delay_alu instid0(VALU_DEP_3) | instskip(SKIP_1) | instid1(VALU_DEP_3)
	v_dual_add_f32 v46, v47, v50 :: v_dual_and_b32 v47, 0xffff0000, v41
	s_wait_alu 0xfffd
	v_dual_cndmask_b32 v51, v53, v57 :: v_dual_and_b32 v48, 0xffff0000, v48
	v_lshlrev_b32_e32 v41, 16, v41
	s_delay_alu instid0(VALU_DEP_3) | instskip(SKIP_1) | instid1(VALU_DEP_3)
	v_add_f32_e32 v45, v46, v45
	v_mul_f32_e32 v47, v65, v47
	v_dual_mul_f32 v41, v69, v41 :: v_dual_and_b32 v50, 0xffff0000, v51
	s_delay_alu instid0(VALU_DEP_2) | instskip(NEXT) | instid1(VALU_DEP_2)
	v_cmp_u_f32_e32 vcc_lo, v47, v47
	v_add_f32_e32 v46, v48, v50
	v_and_b32_e32 v48, 0xffff0000, v42
	v_bfe_u32 v50, v47, 16, 1
	v_bfe_u32 v49, v41, 16, 1
	v_or_b32_e32 v51, 0x400000, v41
	v_add_f32_e32 v45, v46, v45
	v_mul_f32_e32 v46, v66, v48
	v_add3_u32 v48, v50, v47, 0x7fff
	v_or_b32_e32 v50, 0x400000, v47
	v_add3_u32 v49, v49, v41, 0x7fff
	v_lshlrev_b32_e32 v42, 16, v42
	v_bfe_u32 v52, v46, 16, 1
	s_wait_alu 0xfffd
	v_cndmask_b32_e32 v47, v48, v50, vcc_lo
	v_cmp_u_f32_e32 vcc_lo, v41, v41
	v_mul_f32_e32 v42, v71, v42
	v_add3_u32 v48, v52, v46, 0x7fff
	v_and_b32_e32 v50, 0xffff0000, v43
	v_lshlrev_b32_e32 v43, 16, v43
	s_wait_alu 0xfffd
	v_cndmask_b32_e32 v41, v49, v51, vcc_lo
	v_or_b32_e32 v49, 0x400000, v46
	v_cmp_u_f32_e32 vcc_lo, v46, v46
	v_bfe_u32 v51, v42, 16, 1
	v_mul_f32_e32 v43, v72, v43
	v_and_b32_e32 v41, 0xffff0000, v41
	s_wait_alu 0xfffd
	v_dual_cndmask_b32 v46, v48, v49 :: v_dual_and_b32 v47, 0xffff0000, v47
	v_mul_f32_e32 v48, v67, v50
	v_add3_u32 v49, v51, v42, 0x7fff
	v_or_b32_e32 v50, 0x400000, v42
	v_and_b32_e32 v51, 0xffff0000, v44
	v_cmp_u_f32_e32 vcc_lo, v42, v42
	v_bfe_u32 v52, v48, 16, 1
	v_bfe_u32 v53, v43, 16, 1
	v_lshlrev_b32_e32 v44, 16, v44
	v_and_b32_e32 v46, 0xffff0000, v46
	s_wait_alu 0xfffd
	v_dual_cndmask_b32 v42, v49, v50 :: v_dual_mul_f32 v49, v68, v51
	v_add3_u32 v50, v52, v48, 0x7fff
	v_or_b32_e32 v51, 0x400000, v48
	v_cmp_u_f32_e32 vcc_lo, v48, v48
	v_add3_u32 v52, v53, v43, 0x7fff
	v_or_b32_e32 v53, 0x400000, v43
	v_bfe_u32 v54, v49, 16, 1
	v_and_b32_e32 v42, 0xffff0000, v42
	s_wait_alu 0xfffd
	v_cndmask_b32_e32 v48, v50, v51, vcc_lo
	v_cmp_u_f32_e32 vcc_lo, v43, v43
	v_or_b32_e32 v51, 0x400000, v49
	v_add3_u32 v50, v54, v49, 0x7fff
	v_dual_mul_f32 v44, v70, v44 :: v_dual_add_f32 v41, v41, v47
	s_wait_alu 0xfffd
	v_cndmask_b32_e32 v43, v52, v53, vcc_lo
	v_cmp_u_f32_e32 vcc_lo, v49, v49
	v_add_f32_e32 v42, v42, v46
	v_and_b32_e32 v46, 0xffff0000, v37
	v_and_b32_e32 v47, 0xffff0000, v48
	;; [unrolled: 1-line block ×3, first 2 shown]
	s_wait_alu 0xfffd
	v_cndmask_b32_e32 v49, v50, v51, vcc_lo
	v_bfe_u32 v50, v44, 16, 1
	v_dual_add_f32 v41, v42, v41 :: v_dual_mul_f32 v42, v65, v46
	v_add_f32_e32 v43, v43, v47
	v_lshlrev_b32_e32 v37, 16, v37
	s_delay_alu instid0(VALU_DEP_4)
	v_add3_u32 v48, v50, v44, 0x7fff
	v_or_b32_e32 v50, 0x400000, v44
	v_cmp_u_f32_e32 vcc_lo, v44, v44
	v_bfe_u32 v46, v42, 16, 1
	v_add_f32_e32 v41, v43, v41
	v_mul_f32_e32 v37, v69, v37
	v_and_b32_e32 v43, 0xffff0000, v38
	s_wait_alu 0xfffd
	v_cndmask_b32_e32 v44, v48, v50, vcc_lo
	v_add3_u32 v46, v46, v42, 0x7fff
	v_or_b32_e32 v47, 0x400000, v42
	v_bfe_u32 v48, v37, 16, 1
	v_dual_mul_f32 v43, v66, v43 :: v_dual_lshlrev_b32 v38, 16, v38
	v_cmp_u_f32_e32 vcc_lo, v42, v42
	v_and_b32_e32 v50, 0xffff0000, v39
	v_lshlrev_b32_e32 v39, 16, v39
	s_delay_alu instid0(VALU_DEP_4)
	v_dual_mul_f32 v38, v71, v38 :: v_dual_and_b32 v51, 0xffff0000, v40
	s_wait_alu 0xfffd
	v_cndmask_b32_e32 v42, v46, v47, vcc_lo
	v_add3_u32 v46, v48, v37, 0x7fff
	v_or_b32_e32 v47, 0x400000, v37
	v_bfe_u32 v48, v43, 16, 1
	v_cmp_u_f32_e32 vcc_lo, v37, v37
	v_dual_mul_f32 v50, v67, v50 :: v_dual_mul_f32 v39, v72, v39
	v_lshlrev_b32_e32 v40, 16, v40
	s_wait_alu 0xfffd
	v_dual_cndmask_b32 v37, v46, v47 :: v_dual_and_b32 v42, 0xffff0000, v42
	v_add3_u32 v46, v48, v43, 0x7fff
	v_or_b32_e32 v47, 0x400000, v43
	v_bfe_u32 v48, v38, 16, 1
	v_cmp_u_f32_e32 vcc_lo, v43, v43
	v_mul_f32_e32 v40, v70, v40
	v_or_b32_e32 v52, 0x400000, v39
	v_and_b32_e32 v37, 0xffff0000, v37
	s_wait_alu 0xfffd
	v_dual_cndmask_b32 v43, v46, v47 :: v_dual_and_b32 v44, 0xffff0000, v44
	v_add3_u32 v46, v48, v38, 0x7fff
	v_or_b32_e32 v47, 0x400000, v38
	v_bfe_u32 v48, v50, 16, 1
	v_cmp_u_f32_e32 vcc_lo, v38, v38
	v_bfe_u32 v54, v40, 16, 1
	v_and_b32_e32 v43, 0xffff0000, v43
	s_wait_alu 0xfffd
	v_dual_add_f32 v37, v37, v42 :: v_dual_cndmask_b32 v38, v46, v47
	v_bfe_u32 v46, v39, 16, 1
	v_add3_u32 v47, v48, v50, 0x7fff
	v_mul_f32_e32 v48, v68, v51
	v_or_b32_e32 v51, 0x400000, v50
	v_cmp_u_f32_e32 vcc_lo, v50, v50
	v_add3_u32 v46, v46, v39, 0x7fff
	v_add3_u32 v50, v54, v40, 0x7fff
	v_bfe_u32 v53, v48, 16, 1
	s_wait_alu 0xfffd
	v_dual_cndmask_b32 v47, v47, v51 :: v_dual_and_b32 v38, 0xffff0000, v38
	v_cmp_u_f32_e32 vcc_lo, v39, v39
	v_or_b32_e32 v51, 0x400000, v40
	s_delay_alu instid0(VALU_DEP_3)
	v_add_f32_e32 v38, v38, v43
	s_wait_alu 0xfffd
	v_dual_cndmask_b32 v39, v46, v52 :: v_dual_and_b32 v42, 0xffff0000, v47
	v_cmp_u_f32_e32 vcc_lo, v40, v40
	v_add3_u32 v46, v53, v48, 0x7fff
	v_or_b32_e32 v52, 0x400000, v48
	v_add_f32_e32 v37, v38, v37
	v_and_b32_e32 v39, 0xffff0000, v39
	s_wait_alu 0xfffd
	v_cndmask_b32_e32 v40, v50, v51, vcc_lo
	v_cmp_u_f32_e32 vcc_lo, v48, v48
	s_delay_alu instid0(VALU_DEP_2) | instskip(SKIP_4) | instid1(VALU_DEP_3)
	v_dual_add_f32 v38, v39, v42 :: v_dual_and_b32 v39, 0xffff0000, v40
	s_wait_alu 0xfffd
	v_dual_cndmask_b32 v43, v46, v52 :: v_dual_and_b32 v46, 0xffff0000, v49
	v_and_b32_e32 v42, 0xffff0000, v29
	v_lshlrev_b32_e32 v29, 16, v29
	v_dual_add_f32 v37, v38, v37 :: v_dual_and_b32 v40, 0xffff0000, v43
	s_delay_alu instid0(VALU_DEP_4) | instskip(NEXT) | instid1(VALU_DEP_2)
	v_add_f32_e32 v43, v44, v46
	v_dual_mul_f32 v29, v69, v29 :: v_dual_add_f32 v38, v39, v40
	s_delay_alu instid0(VALU_DEP_2) | instskip(SKIP_1) | instid1(VALU_DEP_3)
	v_dual_mul_f32 v39, v65, v42 :: v_dual_add_f32 v40, v43, v41
	v_and_b32_e32 v41, 0xffff0000, v30
	v_dual_add_f32 v37, v38, v37 :: v_dual_lshlrev_b32 v30, 16, v30
	s_delay_alu instid0(VALU_DEP_3) | instskip(NEXT) | instid1(VALU_DEP_4)
	v_bfe_u32 v38, v39, 16, 1
	v_add_f32_e32 v128, v128, v40
	v_bfe_u32 v40, v29, 16, 1
	v_mul_f32_e32 v41, v66, v41
	v_add_f32_e32 v129, v129, v37
	v_add3_u32 v37, v38, v39, 0x7fff
	v_or_b32_e32 v38, 0x400000, v39
	v_cmp_u_f32_e32 vcc_lo, v39, v39
	v_add3_u32 v40, v40, v29, 0x7fff
	v_or_b32_e32 v42, 0x400000, v29
	v_dual_mul_f32 v30, v71, v30 :: v_dual_and_b32 v39, 0xffff0000, v31
	s_wait_alu 0xfffd
	v_cndmask_b32_e32 v37, v37, v38, vcc_lo
	v_bfe_u32 v38, v41, 16, 1
	v_cmp_u_f32_e32 vcc_lo, v29, v29
	v_lshlrev_b32_e32 v31, 16, v31
	v_mul_f32_e32 v39, v67, v39
	v_and_b32_e32 v43, 0xffff0000, v32
	v_add3_u32 v38, v38, v41, 0x7fff
	s_wait_alu 0xfffd
	v_cndmask_b32_e32 v29, v40, v42, vcc_lo
	v_or_b32_e32 v40, 0x400000, v41
	v_bfe_u32 v42, v30, 16, 1
	v_cmp_u_f32_e32 vcc_lo, v41, v41
	v_mul_f32_e32 v31, v72, v31
	v_or_b32_e32 v41, 0x400000, v30
	v_dual_add_f32 v127, v127, v45 :: v_dual_lshlrev_b32 v32, 16, v32
	s_wait_alu 0xfffd
	v_cndmask_b32_e32 v38, v38, v40, vcc_lo
	v_add3_u32 v40, v42, v30, 0x7fff
	v_bfe_u32 v42, v39, 16, 1
	v_cmp_u_f32_e32 vcc_lo, v30, v30
	v_bfe_u32 v44, v31, 16, 1
	v_dual_mul_f32 v32, v70, v32 :: v_dual_and_b32 v29, 0xffff0000, v29
	v_and_b32_e32 v37, 0xffff0000, v37
	s_wait_alu 0xfffd
	v_cndmask_b32_e32 v30, v40, v41, vcc_lo
	v_add3_u32 v40, v42, v39, 0x7fff
	v_mul_f32_e32 v41, v68, v43
	v_or_b32_e32 v42, 0x400000, v39
	v_cmp_u_f32_e32 vcc_lo, v39, v39
	v_add3_u32 v43, v44, v31, 0x7fff
	v_or_b32_e32 v44, 0x400000, v31
	v_bfe_u32 v45, v41, 16, 1
	v_and_b32_e32 v30, 0xffff0000, v30
	s_wait_alu 0xfffd
	v_cndmask_b32_e32 v39, v40, v42, vcc_lo
	v_cmp_u_f32_e32 vcc_lo, v31, v31
	v_or_b32_e32 v42, 0x400000, v41
	v_add3_u32 v40, v45, v41, 0x7fff
	v_dual_add_f32 v29, v29, v37 :: v_dual_and_b32 v38, 0xffff0000, v38
	s_wait_alu 0xfffd
	v_cndmask_b32_e32 v31, v43, v44, vcc_lo
	v_bfe_u32 v43, v32, 16, 1
	v_cmp_u_f32_e32 vcc_lo, v41, v41
	v_dual_add_f32 v30, v30, v38 :: v_dual_and_b32 v37, 0xffff0000, v25
	s_delay_alu instid0(VALU_DEP_4) | instskip(NEXT) | instid1(VALU_DEP_4)
	v_and_b32_e32 v31, 0xffff0000, v31
	v_add3_u32 v41, v43, v32, 0x7fff
	s_wait_alu 0xfffd
	v_cndmask_b32_e32 v40, v40, v42, vcc_lo
	v_or_b32_e32 v42, 0x400000, v32
	v_and_b32_e32 v38, 0xffff0000, v39
	v_cmp_u_f32_e32 vcc_lo, v32, v32
	v_add_f32_e32 v29, v30, v29
	v_mul_f32_e32 v30, v65, v37
	v_lshlrev_b32_e32 v25, 16, v25
	v_add_f32_e32 v31, v31, v38
	s_wait_alu 0xfffd
	v_dual_cndmask_b32 v32, v41, v42 :: v_dual_and_b32 v37, 0xffff0000, v40
	v_bfe_u32 v38, v30, 16, 1
	v_mul_f32_e32 v25, v69, v25
	s_delay_alu instid0(VALU_DEP_3) | instskip(SKIP_2) | instid1(VALU_DEP_4)
	v_dual_add_f32 v29, v31, v29 :: v_dual_and_b32 v32, 0xffff0000, v32
	v_and_b32_e32 v31, 0xffff0000, v26
	v_lshlrev_b32_e32 v26, 16, v26
	v_bfe_u32 v39, v25, 16, 1
	v_cmp_u_f32_e32 vcc_lo, v30, v30
	v_add_f32_e32 v32, v32, v37
	v_add3_u32 v37, v38, v30, 0x7fff
	v_or_b32_e32 v38, 0x400000, v30
	v_dual_mul_f32 v31, v66, v31 :: v_dual_mul_f32 v26, v71, v26
	v_and_b32_e32 v40, 0xffff0000, v27
	s_wait_alu 0xfffd
	s_delay_alu instid0(VALU_DEP_3)
	v_dual_cndmask_b32 v30, v37, v38 :: v_dual_lshlrev_b32 v27, 16, v27
	v_add3_u32 v37, v39, v25, 0x7fff
	v_or_b32_e32 v38, 0x400000, v25
	v_bfe_u32 v39, v31, 16, 1
	v_cmp_u_f32_e32 vcc_lo, v25, v25
	v_dual_mul_f32 v40, v67, v40 :: v_dual_mul_f32 v27, v72, v27
	v_and_b32_e32 v41, 0xffff0000, v28
	s_wait_alu 0xfffd
	v_dual_cndmask_b32 v25, v37, v38 :: v_dual_lshlrev_b32 v28, 16, v28
	v_add3_u32 v37, v39, v31, 0x7fff
	v_or_b32_e32 v38, 0x400000, v31
	v_bfe_u32 v39, v26, 16, 1
	v_cmp_u_f32_e32 vcc_lo, v31, v31
	v_mul_f32_e32 v28, v70, v28
	v_or_b32_e32 v42, 0x400000, v27
	v_and_b32_e32 v25, 0xffff0000, v25
	v_and_b32_e32 v30, 0xffff0000, v30
	s_wait_alu 0xfffd
	v_cndmask_b32_e32 v31, v37, v38, vcc_lo
	v_add3_u32 v37, v39, v26, 0x7fff
	v_or_b32_e32 v38, 0x400000, v26
	v_bfe_u32 v39, v40, 16, 1
	v_cmp_u_f32_e32 vcc_lo, v26, v26
	v_and_b32_e32 v31, 0xffff0000, v31
	v_add_f32_e32 v25, v25, v30
	s_wait_alu 0xfffd
	v_dual_add_f32 v29, v32, v29 :: v_dual_cndmask_b32 v26, v37, v38
	v_bfe_u32 v37, v27, 16, 1
	v_add3_u32 v38, v39, v40, 0x7fff
	v_mul_f32_e32 v39, v68, v41
	v_or_b32_e32 v41, 0x400000, v40
	v_cmp_u_f32_e32 vcc_lo, v40, v40
	v_add3_u32 v37, v37, v27, 0x7fff
	v_bfe_u32 v40, v28, 16, 1
	v_bfe_u32 v43, v39, 16, 1
	v_and_b32_e32 v26, 0xffff0000, v26
	s_wait_alu 0xfffd
	v_cndmask_b32_e32 v38, v38, v41, vcc_lo
	v_cmp_u_f32_e32 vcc_lo, v27, v27
	v_add3_u32 v40, v40, v28, 0x7fff
	v_or_b32_e32 v41, 0x400000, v39
	v_add_f32_e32 v26, v26, v31
	v_and_b32_e32 v30, 0xffff0000, v38
	s_wait_alu 0xfffd
	v_cndmask_b32_e32 v27, v37, v42, vcc_lo
	v_or_b32_e32 v42, 0x400000, v28
	v_cmp_u_f32_e32 vcc_lo, v28, v28
	v_add3_u32 v37, v43, v39, 0x7fff
	v_add_f32_e32 v25, v26, v25
	v_dual_add_f32 v130, v130, v29 :: v_dual_and_b32 v27, 0xffff0000, v27
	s_wait_alu 0xfffd
	v_cndmask_b32_e32 v28, v40, v42, vcc_lo
	v_cmp_u_f32_e32 vcc_lo, v39, v39
	s_delay_alu instid0(VALU_DEP_3) | instskip(SKIP_1) | instid1(VALU_DEP_3)
	v_dual_add_f32 v26, v27, v30 :: v_dual_and_b32 v27, 0xffff0000, v21
	s_wait_alu 0xfffd
	v_dual_cndmask_b32 v31, v37, v41 :: v_dual_and_b32 v28, 0xffff0000, v28
	v_lshlrev_b32_e32 v21, 16, v21
	s_delay_alu instid0(VALU_DEP_3) | instskip(SKIP_1) | instid1(VALU_DEP_3)
	v_add_f32_e32 v25, v26, v25
	v_mul_f32_e32 v27, v65, v27
	v_dual_mul_f32 v21, v69, v21 :: v_dual_and_b32 v30, 0xffff0000, v31
	s_delay_alu instid0(VALU_DEP_2) | instskip(NEXT) | instid1(VALU_DEP_2)
	v_cmp_u_f32_e32 vcc_lo, v27, v27
	v_add_f32_e32 v26, v28, v30
	v_and_b32_e32 v28, 0xffff0000, v22
	v_bfe_u32 v30, v27, 16, 1
	v_bfe_u32 v29, v21, 16, 1
	v_or_b32_e32 v31, 0x400000, v21
	v_add_f32_e32 v25, v26, v25
	v_mul_f32_e32 v26, v66, v28
	v_add3_u32 v28, v30, v27, 0x7fff
	v_or_b32_e32 v30, 0x400000, v27
	v_add3_u32 v29, v29, v21, 0x7fff
	v_lshlrev_b32_e32 v22, 16, v22
	v_bfe_u32 v32, v26, 16, 1
	s_wait_alu 0xfffd
	v_cndmask_b32_e32 v27, v28, v30, vcc_lo
	v_cmp_u_f32_e32 vcc_lo, v21, v21
	v_mul_f32_e32 v22, v71, v22
	v_add3_u32 v28, v32, v26, 0x7fff
	v_and_b32_e32 v30, 0xffff0000, v23
	v_lshlrev_b32_e32 v23, 16, v23
	s_wait_alu 0xfffd
	v_cndmask_b32_e32 v21, v29, v31, vcc_lo
	v_or_b32_e32 v29, 0x400000, v26
	v_cmp_u_f32_e32 vcc_lo, v26, v26
	v_bfe_u32 v31, v22, 16, 1
	v_mul_f32_e32 v23, v72, v23
	v_and_b32_e32 v21, 0xffff0000, v21
	s_wait_alu 0xfffd
	v_dual_cndmask_b32 v26, v28, v29 :: v_dual_and_b32 v27, 0xffff0000, v27
	v_mul_f32_e32 v28, v67, v30
	v_add3_u32 v29, v31, v22, 0x7fff
	v_or_b32_e32 v30, 0x400000, v22
	v_and_b32_e32 v31, 0xffff0000, v24
	v_cmp_u_f32_e32 vcc_lo, v22, v22
	v_bfe_u32 v32, v28, 16, 1
	v_bfe_u32 v37, v23, 16, 1
	v_lshlrev_b32_e32 v24, 16, v24
	v_and_b32_e32 v26, 0xffff0000, v26
	s_wait_alu 0xfffd
	v_dual_cndmask_b32 v22, v29, v30 :: v_dual_mul_f32 v29, v68, v31
	v_add3_u32 v30, v32, v28, 0x7fff
	v_or_b32_e32 v31, 0x400000, v28
	v_cmp_u_f32_e32 vcc_lo, v28, v28
	v_add3_u32 v32, v37, v23, 0x7fff
	v_or_b32_e32 v37, 0x400000, v23
	v_bfe_u32 v38, v29, 16, 1
	v_and_b32_e32 v22, 0xffff0000, v22
	s_wait_alu 0xfffd
	v_cndmask_b32_e32 v28, v30, v31, vcc_lo
	v_cmp_u_f32_e32 vcc_lo, v23, v23
	v_or_b32_e32 v31, 0x400000, v29
	v_add3_u32 v30, v38, v29, 0x7fff
	v_dual_mul_f32 v24, v70, v24 :: v_dual_add_f32 v21, v21, v27
	s_wait_alu 0xfffd
	v_cndmask_b32_e32 v23, v32, v37, vcc_lo
	v_cmp_u_f32_e32 vcc_lo, v29, v29
	v_add_f32_e32 v22, v22, v26
	v_and_b32_e32 v26, 0xffff0000, v17
	v_and_b32_e32 v27, 0xffff0000, v28
	;; [unrolled: 1-line block ×3, first 2 shown]
	s_wait_alu 0xfffd
	v_cndmask_b32_e32 v29, v30, v31, vcc_lo
	v_bfe_u32 v30, v24, 16, 1
	v_dual_add_f32 v21, v22, v21 :: v_dual_mul_f32 v22, v65, v26
	v_add_f32_e32 v23, v23, v27
	v_lshlrev_b32_e32 v17, 16, v17
	s_delay_alu instid0(VALU_DEP_4)
	v_add3_u32 v28, v30, v24, 0x7fff
	v_or_b32_e32 v30, 0x400000, v24
	v_cmp_u_f32_e32 vcc_lo, v24, v24
	v_bfe_u32 v26, v22, 16, 1
	v_add_f32_e32 v21, v23, v21
	v_mul_f32_e32 v17, v69, v17
	v_and_b32_e32 v23, 0xffff0000, v18
	s_wait_alu 0xfffd
	v_cndmask_b32_e32 v24, v28, v30, vcc_lo
	v_add3_u32 v26, v26, v22, 0x7fff
	v_or_b32_e32 v27, 0x400000, v22
	v_bfe_u32 v28, v17, 16, 1
	v_dual_mul_f32 v23, v66, v23 :: v_dual_lshlrev_b32 v18, 16, v18
	v_cmp_u_f32_e32 vcc_lo, v22, v22
	v_and_b32_e32 v30, 0xffff0000, v19
	v_lshlrev_b32_e32 v19, 16, v19
	s_delay_alu instid0(VALU_DEP_4)
	v_dual_mul_f32 v18, v71, v18 :: v_dual_and_b32 v31, 0xffff0000, v20
	s_wait_alu 0xfffd
	v_cndmask_b32_e32 v22, v26, v27, vcc_lo
	v_add3_u32 v26, v28, v17, 0x7fff
	v_or_b32_e32 v27, 0x400000, v17
	v_bfe_u32 v28, v23, 16, 1
	v_cmp_u_f32_e32 vcc_lo, v17, v17
	v_dual_mul_f32 v30, v67, v30 :: v_dual_mul_f32 v19, v72, v19
	v_lshlrev_b32_e32 v20, 16, v20
	s_wait_alu 0xfffd
	v_dual_cndmask_b32 v17, v26, v27 :: v_dual_and_b32 v22, 0xffff0000, v22
	v_add3_u32 v26, v28, v23, 0x7fff
	v_or_b32_e32 v27, 0x400000, v23
	v_bfe_u32 v28, v18, 16, 1
	v_cmp_u_f32_e32 vcc_lo, v23, v23
	v_mul_f32_e32 v20, v70, v20
	v_or_b32_e32 v32, 0x400000, v19
	v_and_b32_e32 v17, 0xffff0000, v17
	s_wait_alu 0xfffd
	v_dual_cndmask_b32 v23, v26, v27 :: v_dual_and_b32 v24, 0xffff0000, v24
	v_add3_u32 v26, v28, v18, 0x7fff
	v_or_b32_e32 v27, 0x400000, v18
	v_bfe_u32 v28, v30, 16, 1
	v_cmp_u_f32_e32 vcc_lo, v18, v18
	v_bfe_u32 v38, v20, 16, 1
	v_and_b32_e32 v23, 0xffff0000, v23
	s_wait_alu 0xfffd
	v_dual_add_f32 v17, v17, v22 :: v_dual_cndmask_b32 v18, v26, v27
	v_bfe_u32 v26, v19, 16, 1
	v_add3_u32 v27, v28, v30, 0x7fff
	v_mul_f32_e32 v28, v68, v31
	v_or_b32_e32 v31, 0x400000, v30
	v_cmp_u_f32_e32 vcc_lo, v30, v30
	v_add3_u32 v26, v26, v19, 0x7fff
	v_add3_u32 v30, v38, v20, 0x7fff
	v_bfe_u32 v37, v28, 16, 1
	s_wait_alu 0xfffd
	v_dual_cndmask_b32 v27, v27, v31 :: v_dual_and_b32 v18, 0xffff0000, v18
	v_cmp_u_f32_e32 vcc_lo, v19, v19
	v_or_b32_e32 v31, 0x400000, v20
	s_delay_alu instid0(VALU_DEP_3)
	v_add_f32_e32 v18, v18, v23
	s_wait_alu 0xfffd
	v_dual_cndmask_b32 v19, v26, v32 :: v_dual_and_b32 v22, 0xffff0000, v27
	v_cmp_u_f32_e32 vcc_lo, v20, v20
	v_add3_u32 v26, v37, v28, 0x7fff
	v_or_b32_e32 v32, 0x400000, v28
	v_add_f32_e32 v17, v18, v17
	v_and_b32_e32 v19, 0xffff0000, v19
	s_wait_alu 0xfffd
	v_cndmask_b32_e32 v20, v30, v31, vcc_lo
	v_cmp_u_f32_e32 vcc_lo, v28, v28
	s_delay_alu instid0(VALU_DEP_2) | instskip(SKIP_4) | instid1(VALU_DEP_3)
	v_dual_add_f32 v18, v19, v22 :: v_dual_and_b32 v19, 0xffff0000, v20
	s_wait_alu 0xfffd
	v_dual_cndmask_b32 v23, v26, v32 :: v_dual_and_b32 v26, 0xffff0000, v29
	v_and_b32_e32 v22, 0xffff0000, v13
	v_lshlrev_b32_e32 v13, 16, v13
	v_dual_add_f32 v17, v18, v17 :: v_dual_and_b32 v20, 0xffff0000, v23
	s_delay_alu instid0(VALU_DEP_4) | instskip(NEXT) | instid1(VALU_DEP_2)
	v_add_f32_e32 v23, v24, v26
	v_dual_mul_f32 v13, v69, v13 :: v_dual_add_f32 v18, v19, v20
	s_delay_alu instid0(VALU_DEP_2) | instskip(SKIP_1) | instid1(VALU_DEP_3)
	v_dual_mul_f32 v19, v65, v22 :: v_dual_add_f32 v20, v23, v21
	v_and_b32_e32 v21, 0xffff0000, v14
	v_dual_add_f32 v17, v18, v17 :: v_dual_lshlrev_b32 v14, 16, v14
	s_delay_alu instid0(VALU_DEP_3) | instskip(NEXT) | instid1(VALU_DEP_4)
	v_bfe_u32 v18, v19, 16, 1
	v_add_f32_e32 v132, v132, v20
	v_bfe_u32 v20, v13, 16, 1
	v_mul_f32_e32 v21, v66, v21
	v_add_f32_e32 v133, v133, v17
	v_add3_u32 v17, v18, v19, 0x7fff
	v_or_b32_e32 v18, 0x400000, v19
	v_cmp_u_f32_e32 vcc_lo, v19, v19
	v_add3_u32 v20, v20, v13, 0x7fff
	v_or_b32_e32 v22, 0x400000, v13
	v_dual_mul_f32 v14, v71, v14 :: v_dual_and_b32 v19, 0xffff0000, v15
	s_wait_alu 0xfffd
	v_cndmask_b32_e32 v17, v17, v18, vcc_lo
	v_bfe_u32 v18, v21, 16, 1
	v_cmp_u_f32_e32 vcc_lo, v13, v13
	v_lshlrev_b32_e32 v15, 16, v15
	v_mul_f32_e32 v19, v67, v19
	v_and_b32_e32 v23, 0xffff0000, v16
	v_add3_u32 v18, v18, v21, 0x7fff
	s_wait_alu 0xfffd
	v_cndmask_b32_e32 v13, v20, v22, vcc_lo
	v_or_b32_e32 v20, 0x400000, v21
	v_bfe_u32 v22, v14, 16, 1
	v_cmp_u_f32_e32 vcc_lo, v21, v21
	v_or_b32_e32 v21, 0x400000, v14
	v_mul_f32_e32 v15, v72, v15
	v_and_b32_e32 v13, 0xffff0000, v13
	s_wait_alu 0xfffd
	v_dual_cndmask_b32 v18, v18, v20 :: v_dual_and_b32 v17, 0xffff0000, v17
	v_add3_u32 v20, v22, v14, 0x7fff
	v_cmp_u_f32_e32 vcc_lo, v14, v14
	v_bfe_u32 v22, v19, 16, 1
	v_bfe_u32 v24, v15, 16, 1
	v_and_b32_e32 v18, 0xffff0000, v18
	v_lshlrev_b32_e32 v16, 16, v16
	s_wait_alu 0xfffd
	v_cndmask_b32_e32 v14, v20, v21, vcc_lo
	v_add3_u32 v20, v22, v19, 0x7fff
	v_mul_f32_e32 v21, v68, v23
	v_or_b32_e32 v22, 0x400000, v19
	v_cmp_u_f32_e32 vcc_lo, v19, v19
	v_dual_add_f32 v13, v13, v17 :: v_dual_and_b32 v14, 0xffff0000, v14
	v_add3_u32 v23, v24, v15, 0x7fff
	v_or_b32_e32 v24, 0x400000, v15
	s_wait_alu 0xfffd
	v_cndmask_b32_e32 v19, v20, v22, vcc_lo
	v_add_f32_e32 v14, v14, v18
	v_and_b32_e32 v18, 0xffff0000, v9
	v_mul_f32_e32 v16, v70, v16
	v_cmp_u_f32_e32 vcc_lo, v15, v15
	v_or_b32_e32 v22, 0x400000, v21
	s_delay_alu instid0(VALU_DEP_4)
	v_dual_add_f32 v13, v14, v13 :: v_dual_mul_f32 v14, v65, v18
	v_add_f32_e32 v131, v131, v25
	v_bfe_u32 v25, v21, 16, 1
	s_wait_alu 0xfffd
	v_cndmask_b32_e32 v15, v23, v24, vcc_lo
	v_bfe_u32 v23, v16, 16, 1
	v_cmp_u_f32_e32 vcc_lo, v21, v21
	v_and_b32_e32 v17, 0xffff0000, v19
	v_add3_u32 v20, v25, v21, 0x7fff
	v_and_b32_e32 v15, 0xffff0000, v15
	v_add3_u32 v21, v23, v16, 0x7fff
	v_lshlrev_b32_e32 v9, 16, v9
	v_bfe_u32 v19, v14, 16, 1
	s_wait_alu 0xfffd
	v_cndmask_b32_e32 v20, v20, v22, vcc_lo
	v_or_b32_e32 v22, 0x400000, v16
	v_cmp_u_f32_e32 vcc_lo, v16, v16
	v_add_f32_e32 v15, v15, v17
	s_delay_alu instid0(VALU_DEP_4) | instskip(SKIP_2) | instid1(VALU_DEP_3)
	v_dual_mul_f32 v17, v69, v9 :: v_dual_and_b32 v18, 0xffff0000, v20
	v_and_b32_e32 v20, 0xffff0000, v10
	s_wait_alu 0xfffd
	v_dual_cndmask_b32 v16, v21, v22 :: v_dual_add_f32 v9, v15, v13
	s_delay_alu instid0(VALU_DEP_3) | instskip(SKIP_2) | instid1(VALU_DEP_4)
	v_bfe_u32 v15, v17, 16, 1
	v_lshlrev_b32_e32 v10, 16, v10
	v_cmp_u_f32_e32 vcc_lo, v14, v14
	v_and_b32_e32 v16, 0xffff0000, v16
	v_and_b32_e32 v21, 0xffff0000, v12
	v_add3_u32 v15, v15, v17, 0x7fff
	v_mul_f32_e32 v10, v71, v10
	s_delay_alu instid0(VALU_DEP_4)
	v_dual_add_f32 v13, v16, v18 :: v_dual_lshlrev_b32 v12, 16, v12
	v_add3_u32 v16, v19, v14, 0x7fff
	v_or_b32_e32 v18, 0x400000, v14
	v_mul_f32_e32 v19, v66, v20
	v_or_b32_e32 v20, 0x400000, v17
	v_mul_f32_e32 v12, v70, v12
	s_wait_alu 0xfffd
	v_cndmask_b32_e32 v14, v16, v18, vcc_lo
	v_bfe_u32 v16, v19, 16, 1
	v_cmp_u_f32_e32 vcc_lo, v17, v17
	v_and_b32_e32 v17, 0xffff0000, v11
	v_or_b32_e32 v18, 0x400000, v19
	v_lshlrev_b32_e32 v11, 16, v11
	v_add3_u32 v16, v16, v19, 0x7fff
	s_wait_alu 0xfffd
	v_cndmask_b32_e32 v15, v15, v20, vcc_lo
	v_bfe_u32 v20, v10, 16, 1
	v_mul_f32_e32 v17, v67, v17
	v_cmp_u_f32_e32 vcc_lo, v19, v19
	v_mul_f32_e32 v11, v72, v11
	v_or_b32_e32 v19, 0x400000, v10
	v_and_b32_e32 v15, 0xffff0000, v15
	v_and_b32_e32 v14, 0xffff0000, v14
	s_wait_alu 0xfffd
	v_cndmask_b32_e32 v16, v16, v18, vcc_lo
	v_add3_u32 v18, v20, v10, 0x7fff
	v_bfe_u32 v20, v17, 16, 1
	v_cmp_u_f32_e32 vcc_lo, v10, v10
	v_bfe_u32 v22, v11, 16, 1
	v_and_b32_e32 v16, 0xffff0000, v16
	v_add_f32_e32 v14, v15, v14
	s_wait_alu 0xfffd
	v_cndmask_b32_e32 v10, v18, v19, vcc_lo
	v_add3_u32 v18, v20, v17, 0x7fff
	v_mul_f32_e32 v19, v68, v21
	v_or_b32_e32 v20, 0x400000, v17
	v_cmp_u_f32_e32 vcc_lo, v17, v17
	v_add3_u32 v21, v22, v11, 0x7fff
	v_or_b32_e32 v22, 0x400000, v11
	v_bfe_u32 v23, v19, 16, 1
	s_wait_alu 0xfffd
	v_dual_cndmask_b32 v17, v18, v20 :: v_dual_and_b32 v10, 0xffff0000, v10
	v_cmp_u_f32_e32 vcc_lo, v11, v11
	v_or_b32_e32 v20, 0x400000, v19
	v_add3_u32 v18, v23, v19, 0x7fff
	s_delay_alu instid0(VALU_DEP_4)
	v_add_f32_e32 v10, v10, v16
	s_wait_alu 0xfffd
	v_dual_cndmask_b32 v11, v21, v22 :: v_dual_and_b32 v16, 0xffff0000, v5
	v_bfe_u32 v21, v12, 16, 1
	v_cmp_u_f32_e32 vcc_lo, v19, v19
	v_and_b32_e32 v15, 0xffff0000, v17
	v_lshlrev_b32_e32 v5, 16, v5
	v_and_b32_e32 v11, 0xffff0000, v11
	v_add3_u32 v19, v21, v12, 0x7fff
	s_wait_alu 0xfffd
	v_cndmask_b32_e32 v18, v18, v20, vcc_lo
	v_or_b32_e32 v20, 0x400000, v12
	v_cmp_u_f32_e32 vcc_lo, v12, v12
	v_add_f32_e32 v10, v10, v14
	v_mul_f32_e32 v14, v65, v16
	v_dual_mul_f32 v5, v69, v5 :: v_dual_and_b32 v16, 0xffff0000, v6
	s_wait_alu 0xfffd
	v_cndmask_b32_e32 v12, v19, v20, vcc_lo
	s_wait_loadcnt 0x0
	v_dual_add_f32 v11, v11, v15 :: v_dual_and_b32 v22, 0xffff0000, v36
	v_and_b32_e32 v15, 0xffff0000, v18
	v_bfe_u32 v17, v14, 16, 1
	v_and_b32_e32 v12, 0xffff0000, v12
	v_lshlrev_b32_e32 v6, 16, v6
	v_add_f32_e32 v10, v11, v10
	v_bfe_u32 v11, v5, 16, 1
	v_cmp_u_f32_e32 vcc_lo, v14, v14
	v_dual_add_f32 v12, v12, v15 :: v_dual_mul_f32 v15, v66, v16
	v_add3_u32 v16, v17, v14, 0x7fff
	v_or_b32_e32 v17, 0x400000, v14
	v_add3_u32 v11, v11, v5, 0x7fff
	v_or_b32_e32 v18, 0x400000, v5
	v_bfe_u32 v19, v15, 16, 1
	v_mul_f32_e32 v6, v71, v6
	s_wait_alu 0xfffd
	v_cndmask_b32_e32 v14, v16, v17, vcc_lo
	v_cmp_u_f32_e32 vcc_lo, v5, v5
	v_and_b32_e32 v17, 0xffff0000, v7
	v_or_b32_e32 v16, 0x400000, v15
	v_lshlrev_b32_e32 v7, 16, v7
	v_and_b32_e32 v14, 0xffff0000, v14
	s_wait_alu 0xfffd
	v_cndmask_b32_e32 v5, v11, v18, vcc_lo
	v_add3_u32 v11, v19, v15, 0x7fff
	v_bfe_u32 v18, v6, 16, 1
	v_cmp_u_f32_e32 vcc_lo, v15, v15
	v_mul_f32_e32 v15, v67, v17
	v_mul_f32_e32 v7, v72, v7
	v_or_b32_e32 v17, 0x400000, v6
	v_and_b32_e32 v5, 0xffff0000, v5
	s_wait_alu 0xfffd
	v_cndmask_b32_e32 v11, v11, v16, vcc_lo
	v_add3_u32 v16, v18, v6, 0x7fff
	v_and_b32_e32 v18, 0xffff0000, v8
	v_bfe_u32 v19, v15, 16, 1
	v_cmp_u_f32_e32 vcc_lo, v6, v6
	v_bfe_u32 v20, v7, 16, 1
	v_lshlrev_b32_e32 v8, 16, v8
	v_and_b32_e32 v11, 0xffff0000, v11
	s_wait_alu 0xfffd
	v_dual_add_f32 v5, v5, v14 :: v_dual_cndmask_b32 v6, v16, v17
	v_mul_f32_e32 v16, v68, v18
	v_add3_u32 v17, v19, v15, 0x7fff
	v_or_b32_e32 v18, 0x400000, v15
	v_cmp_u_f32_e32 vcc_lo, v15, v15
	v_add3_u32 v19, v20, v7, 0x7fff
	v_or_b32_e32 v20, 0x400000, v7
	v_bfe_u32 v21, v16, 16, 1
	v_and_b32_e32 v6, 0xffff0000, v6
	s_wait_alu 0xfffd
	v_cndmask_b32_e32 v15, v17, v18, vcc_lo
	v_cmp_u_f32_e32 vcc_lo, v7, v7
	v_or_b32_e32 v18, 0x400000, v16
	v_add3_u32 v17, v21, v16, 0x7fff
	v_mul_f32_e32 v8, v70, v8
	s_wait_alu 0xfffd
	v_dual_add_f32 v6, v6, v11 :: v_dual_cndmask_b32 v7, v19, v20
	v_cmp_u_f32_e32 vcc_lo, v16, v16
	v_and_b32_e32 v11, 0xffff0000, v1
	s_delay_alu instid0(VALU_DEP_3) | instskip(SKIP_4) | instid1(VALU_DEP_3)
	v_dual_add_f32 v5, v6, v5 :: v_dual_and_b32 v14, 0xffff0000, v15
	s_wait_alu 0xfffd
	v_dual_cndmask_b32 v16, v17, v18 :: v_dual_and_b32 v7, 0xffff0000, v7
	v_bfe_u32 v17, v8, 16, 1
	v_dual_mul_f32 v6, v65, v11 :: v_dual_lshlrev_b32 v1, 16, v1
	v_add_f32_e32 v7, v7, v14
	v_cmp_u_f32_e32 vcc_lo, v8, v8
	s_delay_alu instid0(VALU_DEP_4)
	v_add3_u32 v15, v17, v8, 0x7fff
	v_or_b32_e32 v17, 0x400000, v8
	v_bfe_u32 v11, v6, 16, 1
	v_add_f32_e32 v5, v7, v5
	v_and_b32_e32 v7, 0xffff0000, v2
	v_mul_f32_e32 v1, v69, v1
	s_wait_alu 0xfffd
	v_cndmask_b32_e32 v8, v15, v17, vcc_lo
	v_add3_u32 v11, v11, v6, 0x7fff
	v_or_b32_e32 v14, 0x400000, v6
	v_mul_f32_e32 v7, v66, v7
	v_and_b32_e32 v15, 0xffff0000, v16
	v_bfe_u32 v16, v1, 16, 1
	v_cmp_u_f32_e32 vcc_lo, v6, v6
	v_lshlrev_b32_e32 v2, 16, v2
	v_or_b32_e32 v17, 0x400000, v1
	v_or_b32_e32 v18, 0x400000, v7
	v_and_b32_e32 v20, 0xffff0000, v35
	s_wait_alu 0xfffd
	v_cndmask_b32_e32 v6, v11, v14, vcc_lo
	v_bfe_u32 v11, v7, 16, 1
	v_add3_u32 v14, v16, v1, 0x7fff
	v_and_b32_e32 v16, 0xffff0000, v3
	v_mul_f32_e32 v2, v71, v2
	v_cmp_u_f32_e32 vcc_lo, v1, v1
	v_add3_u32 v11, v11, v7, 0x7fff
	s_delay_alu instid0(VALU_DEP_4)
	v_dual_mul_f32 v16, v67, v16 :: v_dual_lshlrev_b32 v3, 16, v3
	s_wait_alu 0xfffd
	v_dual_cndmask_b32 v1, v14, v17 :: v_dual_and_b32 v6, 0xffff0000, v6
	v_bfe_u32 v14, v2, 16, 1
	v_cmp_u_f32_e32 vcc_lo, v7, v7
	v_and_b32_e32 v17, 0xffff0000, v4
	v_mul_f32_e32 v3, v72, v3
	v_or_b32_e32 v19, 0x400000, v16
	v_add3_u32 v14, v14, v2, 0x7fff
	s_wait_alu 0xfffd
	v_cndmask_b32_e32 v7, v11, v18, vcc_lo
	v_bfe_u32 v11, v16, 16, 1
	v_or_b32_e32 v18, 0x400000, v2
	v_cmp_u_f32_e32 vcc_lo, v2, v2
	v_dual_mul_f32 v17, v68, v17 :: v_dual_lshlrev_b32 v4, 16, v4
	s_delay_alu instid0(VALU_DEP_4)
	v_add3_u32 v11, v11, v16, 0x7fff
	s_wait_alu 0xfffd
	v_dual_cndmask_b32 v2, v14, v18 :: v_dual_and_b32 v1, 0xffff0000, v1
	v_bfe_u32 v14, v3, 16, 1
	v_cmp_u_f32_e32 vcc_lo, v16, v16
	v_bfe_u32 v18, v17, 16, 1
	v_or_b32_e32 v16, 0x400000, v3
	v_mul_f32_e32 v4, v70, v4
	v_add3_u32 v14, v14, v3, 0x7fff
	s_wait_alu 0xfffd
	v_cndmask_b32_e32 v11, v11, v19, vcc_lo
	v_cmp_u_f32_e32 vcc_lo, v3, v3
	v_add3_u32 v18, v18, v17, 0x7fff
	v_or_b32_e32 v19, 0x400000, v17
	v_and_b32_e32 v2, 0xffff0000, v2
	v_and_b32_e32 v7, 0xffff0000, v7
	s_wait_alu 0xfffd
	v_cndmask_b32_e32 v3, v14, v16, vcc_lo
	v_cmp_u_f32_e32 vcc_lo, v17, v17
	v_bfe_u32 v16, v4, 16, 1
	v_dual_add_f32 v1, v1, v6 :: v_dual_add_f32 v2, v2, v7
	s_delay_alu instid0(VALU_DEP_4)
	v_and_b32_e32 v3, 0xffff0000, v3
	s_wait_alu 0xfffd
	v_cndmask_b32_e32 v14, v18, v19, vcc_lo
	v_lshlrev_b32_e32 v18, 16, v33
	v_and_b32_e32 v6, 0xffff0000, v11
	v_and_b32_e32 v11, 0xffff0000, v33
	v_add3_u32 v16, v16, v4, 0x7fff
	v_or_b32_e32 v17, 0x400000, v4
	v_mul_f32_e32 v7, v69, v18
	v_cmp_u_f32_e32 vcc_lo, v4, v4
	v_add_f32_e32 v1, v2, v1
	v_dual_add_f32 v3, v3, v6 :: v_dual_mul_f32 v6, v65, v11
	s_delay_alu instid0(VALU_DEP_4)
	v_bfe_u32 v2, v7, 16, 1
	s_wait_alu 0xfffd
	v_dual_cndmask_b32 v4, v16, v17 :: v_dual_lshlrev_b32 v11, 16, v34
	v_or_b32_e32 v16, 0x400000, v7
	v_bfe_u32 v17, v6, 16, 1
	v_add3_u32 v2, v2, v7, 0x7fff
	s_delay_alu instid0(VALU_DEP_4) | instskip(SKIP_1) | instid1(VALU_DEP_4)
	v_dual_mul_f32 v11, v71, v11 :: v_dual_and_b32 v18, 0xffff0000, v34
	v_cmp_u_f32_e32 vcc_lo, v7, v7
	v_add3_u32 v7, v17, v6, 0x7fff
	v_lshlrev_b32_e32 v19, 16, v35
	s_delay_alu instid0(VALU_DEP_4)
	v_bfe_u32 v17, v11, 16, 1
	v_mul_f32_e32 v18, v66, v18
	s_wait_alu 0xfffd
	v_cndmask_b32_e32 v2, v2, v16, vcc_lo
	v_or_b32_e32 v16, 0x400000, v6
	v_cmp_u_f32_e32 vcc_lo, v6, v6
	v_dual_mul_f32 v19, v72, v19 :: v_dual_mul_f32 v20, v67, v20
	v_lshlrev_b32_e32 v21, 16, v36
	v_and_b32_e32 v2, 0xffff0000, v2
	s_wait_alu 0xfffd
	v_cndmask_b32_e32 v6, v7, v16, vcc_lo
	v_add3_u32 v7, v17, v11, 0x7fff
	v_or_b32_e32 v16, 0x400000, v11
	v_bfe_u32 v17, v18, 16, 1
	v_cmp_u_f32_e32 vcc_lo, v11, v11
	v_or_b32_e32 v23, 0x400000, v20
	v_and_b32_e32 v6, 0xffff0000, v6
	v_and_b32_e32 v8, 0xffff0000, v8
	v_add3_u32 v11, v17, v18, 0x7fff
	s_wait_alu 0xfffd
	v_cndmask_b32_e32 v7, v7, v16, vcc_lo
	v_or_b32_e32 v16, 0x400000, v18
	v_bfe_u32 v17, v19, 16, 1
	v_cmp_u_f32_e32 vcc_lo, v18, v18
	v_dual_mul_f32 v18, v70, v21 :: v_dual_mul_f32 v21, v68, v22
	v_or_b32_e32 v22, 0x400000, v19
	s_delay_alu instid0(VALU_DEP_4)
	v_add3_u32 v17, v17, v19, 0x7fff
	s_wait_alu 0xfffd
	v_cndmask_b32_e32 v11, v11, v16, vcc_lo
	v_bfe_u32 v16, v20, 16, 1
	v_cmp_u_f32_e32 vcc_lo, v19, v19
	v_bfe_u32 v25, v21, 16, 1
	v_bfe_u32 v24, v18, 16, 1
	v_and_b32_e32 v11, 0xffff0000, v11
	v_add3_u32 v16, v16, v20, 0x7fff
	s_wait_alu 0xfffd
	v_cndmask_b32_e32 v17, v17, v22, vcc_lo
	v_cmp_u_f32_e32 vcc_lo, v20, v20
	v_add3_u32 v20, v25, v21, 0x7fff
	v_or_b32_e32 v22, 0x400000, v21
	v_add3_u32 v19, v24, v18, 0x7fff
	v_and_b32_e32 v7, 0xffff0000, v7
	s_wait_alu 0xfffd
	v_cndmask_b32_e32 v16, v16, v23, vcc_lo
	v_cmp_u_f32_e32 vcc_lo, v21, v21
	v_or_b32_e32 v23, 0x400000, v18
	v_add_f32_e32 v2, v2, v6
	s_delay_alu instid0(VALU_DEP_4)
	v_dual_add_f32 v6, v7, v11 :: v_dual_and_b32 v7, 0xffff0000, v16
	s_wait_alu 0xfffd
	v_cndmask_b32_e32 v20, v20, v22, vcc_lo
	v_cmp_u_f32_e32 vcc_lo, v18, v18
	v_and_b32_e32 v11, 0xffff0000, v17
	v_and_b32_e32 v4, 0xffff0000, v4
	;; [unrolled: 1-line block ×3, first 2 shown]
	v_add_f32_e32 v2, v6, v2
	s_wait_alu 0xfffd
	v_cndmask_b32_e32 v16, v19, v23, vcc_lo
	v_dual_add_f32 v6, v11, v7 :: v_dual_and_b32 v7, 0xffff0000, v20
	v_dual_add_f32 v8, v8, v15 :: v_dual_add_f32 v1, v3, v1
	s_delay_alu instid0(VALU_DEP_3) | instskip(SKIP_1) | instid1(VALU_DEP_4)
	v_and_b32_e32 v11, 0xffff0000, v16
	v_add_f32_e32 v3, v4, v14
	v_add_f32_e32 v2, v6, v2
	;; [unrolled: 1-line block ×3, first 2 shown]
	s_delay_alu instid0(VALU_DEP_4) | instskip(SKIP_1) | instid1(VALU_DEP_3)
	v_dual_add_f32 v5, v8, v5 :: v_dual_add_f32 v4, v11, v7
	v_add_f32_e32 v7, v12, v10
	v_dual_add_f32 v1, v3, v1 :: v_dual_add_f32 v134, v134, v6
	s_delay_alu instid0(VALU_DEP_3) | instskip(NEXT) | instid1(VALU_DEP_2)
	v_dual_add_f32 v137, v137, v5 :: v_dual_add_f32 v2, v4, v2
	v_dual_add_f32 v135, v135, v7 :: v_dual_add_f32 v136, v136, v1
	s_delay_alu instid0(VALU_DEP_2)
	v_add_f32_e32 v114, v114, v2
.LBB178_37:                             ;   in Loop: Header=BB178_38 Depth=1
	s_wait_alu 0xfffe
	s_or_b32 exec_lo, exec_lo, s10
	v_add_nc_u32_e32 v113, 4, v113
	v_add_co_u32 v105, s0, v105, 16
	s_wait_alu 0xf1ff
	v_add_co_ci_u32_e64 v106, null, 0, v106, s0
	s_delay_alu instid0(VALU_DEP_3) | instskip(SKIP_3) | instid1(SALU_CYCLE_1)
	v_cmp_le_i32_e32 vcc_lo, s33, v113
	v_add_nc_u32_e32 v109, 0x80, v109
	v_add_nc_u32_e32 v141, 0x200, v141
	s_or_b32 s6, vcc_lo, s6
	s_and_not1_b32 exec_lo, exec_lo, s6
	s_cbranch_execz .LBB178_87
.LBB178_38:                             ; =>This Inner Loop Header: Depth=1
	v_sub_nc_u32_e32 v1, 0, v109
	s_delay_alu instid0(VALU_DEP_1) | instskip(NEXT) | instid1(VALU_DEP_1)
	v_max_i32_e32 v1, v109, v1
	v_mul_hi_u32 v2, v1, s18
	s_delay_alu instid0(VALU_DEP_1) | instskip(NEXT) | instid1(VALU_DEP_1)
	v_mul_lo_u32 v3, v2, s12
	v_sub_nc_u32_e32 v1, v1, v3
	v_add_nc_u32_e32 v3, 1, v2
	s_delay_alu instid0(VALU_DEP_2) | instskip(SKIP_2) | instid1(VALU_DEP_2)
	v_subrev_nc_u32_e32 v4, s12, v1
	v_cmp_le_u32_e32 vcc_lo, s12, v1
	s_wait_alu 0xfffd
	v_dual_cndmask_b32 v2, v2, v3 :: v_dual_cndmask_b32 v1, v1, v4
	v_ashrrev_i32_e32 v3, 31, v109
	s_delay_alu instid0(VALU_DEP_2) | instskip(NEXT) | instid1(VALU_DEP_3)
	v_add_nc_u32_e32 v4, 1, v2
	v_cmp_le_u32_e32 vcc_lo, s12, v1
	s_delay_alu instid0(VALU_DEP_3) | instskip(SKIP_1) | instid1(VALU_DEP_3)
	v_xor_b32_e32 v3, s19, v3
	s_wait_alu 0xfffd
	v_cndmask_b32_e32 v1, v2, v4, vcc_lo
	s_delay_alu instid0(VALU_DEP_1) | instskip(NEXT) | instid1(VALU_DEP_1)
	v_xor_b32_e32 v1, v1, v3
	v_sub_nc_u32_e32 v1, v1, v3
	s_delay_alu instid0(VALU_DEP_1) | instskip(SKIP_1) | instid1(VALU_DEP_2)
	v_add_nc_u32_e32 v2, s17, v1
	v_cmp_lt_i32_e64 s0, s3, v1
	v_sub_nc_u32_e32 v3, 0, v2
	s_delay_alu instid0(VALU_DEP_1) | instskip(SKIP_1) | instid1(VALU_DEP_1)
	v_max_i32_e32 v3, v2, v3
	s_wait_alu 0xfffe
	v_mul_hi_u32 v4, v3, s9
	s_delay_alu instid0(VALU_DEP_1) | instskip(NEXT) | instid1(VALU_DEP_1)
	v_mul_lo_u32 v4, v4, s2
	v_sub_nc_u32_e32 v3, v3, v4
	s_delay_alu instid0(VALU_DEP_1) | instskip(SKIP_2) | instid1(VALU_DEP_2)
	v_subrev_nc_u32_e32 v4, s2, v3
	v_cmp_le_u32_e32 vcc_lo, s2, v3
	s_wait_alu 0xfffd
	v_cndmask_b32_e32 v3, v3, v4, vcc_lo
	v_ashrrev_i32_e32 v2, 31, v2
	s_delay_alu instid0(VALU_DEP_2) | instskip(SKIP_2) | instid1(VALU_DEP_2)
	v_subrev_nc_u32_e32 v4, s2, v3
	v_cmp_le_u32_e32 vcc_lo, s2, v3
	s_wait_alu 0xfffd
	v_cndmask_b32_e32 v3, v3, v4, vcc_lo
	s_delay_alu instid0(VALU_DEP_1) | instskip(NEXT) | instid1(VALU_DEP_1)
	v_xor_b32_e32 v3, v3, v2
	v_sub_nc_u32_e32 v2, v3, v2
	s_delay_alu instid0(VALU_DEP_1)
	v_cmp_eq_u32_e32 vcc_lo, 0, v2
	s_or_b32 s0, vcc_lo, s0
	s_wait_alu 0xfffe
	s_and_saveexec_b32 s10, s0
	s_cbranch_execz .LBB178_37
; %bb.39:                               ;   in Loop: Header=BB178_38 Depth=1
	global_load_b32 v1, v[105:106], off
	v_add_nc_u32_e32 v146, v138, v109
	s_delay_alu instid0(VALU_DEP_1)
	v_add_nc_u32_e32 v144, 1, v146
	v_or_b32_e32 v143, 3, v146
	v_or_b32_e32 v145, 2, v146
	;; [unrolled: 1-line block ×6, first 2 shown]
	s_wait_loadcnt 0x0
	v_mad_co_i64_i32 v[1:2], null, v1, s4, 0
	s_delay_alu instid0(VALU_DEP_1) | instskip(NEXT) | instid1(VALU_DEP_1)
	v_lshlrev_b64_e32 v[1:2], 1, v[1:2]
	v_add_co_u32 v33, vcc_lo, v139, v1
	s_wait_alu 0xfffd
	s_delay_alu instid0(VALU_DEP_2)
	v_add_co_ci_u32_e64 v34, null, v140, v2, vcc_lo
	v_cmp_eq_u32_e32 vcc_lo, s5, v113
	global_load_b128 v[1:4], v[33:34], off
	ds_load_2addr_b64 v[69:72], v141 offset1:1
	ds_load_2addr_b64 v[65:68], v141 offset0:2 offset1:3
	s_and_saveexec_b32 s11, vcc_lo
	s_cbranch_execnz .LBB178_63
; %bb.40:                               ;   in Loop: Header=BB178_38 Depth=1
	s_wait_alu 0xfffe
	s_or_b32 exec_lo, exec_lo, s11
	global_load_b128 v[5:8], v[33:34], off offset:512
	s_and_saveexec_b32 s11, vcc_lo
	s_cbranch_execnz .LBB178_64
.LBB178_41:                             ;   in Loop: Header=BB178_38 Depth=1
	s_wait_alu 0xfffe
	s_or_b32 exec_lo, exec_lo, s11
	global_load_b128 v[9:12], v[33:34], off offset:1024
	s_and_saveexec_b32 s11, vcc_lo
	s_cbranch_execnz .LBB178_65
.LBB178_42:                             ;   in Loop: Header=BB178_38 Depth=1
	s_wait_alu 0xfffe
	s_or_b32 exec_lo, exec_lo, s11
	global_load_b128 v[13:16], v[33:34], off offset:1536
	s_and_saveexec_b32 s11, vcc_lo
	s_cbranch_execnz .LBB178_66
.LBB178_43:                             ;   in Loop: Header=BB178_38 Depth=1
	s_wait_alu 0xfffe
	s_or_b32 exec_lo, exec_lo, s11
	global_load_b128 v[17:20], v[33:34], off offset:2048
	s_and_saveexec_b32 s11, vcc_lo
	s_cbranch_execnz .LBB178_67
.LBB178_44:                             ;   in Loop: Header=BB178_38 Depth=1
	s_wait_alu 0xfffe
	s_or_b32 exec_lo, exec_lo, s11
	global_load_b128 v[21:24], v[33:34], off offset:2560
	s_and_saveexec_b32 s11, vcc_lo
	s_cbranch_execnz .LBB178_68
.LBB178_45:                             ;   in Loop: Header=BB178_38 Depth=1
	s_wait_alu 0xfffe
	s_or_b32 exec_lo, exec_lo, s11
	global_load_b128 v[25:28], v[33:34], off offset:3072
	s_and_saveexec_b32 s11, vcc_lo
	s_cbranch_execnz .LBB178_69
.LBB178_46:                             ;   in Loop: Header=BB178_38 Depth=1
	s_wait_alu 0xfffe
	s_or_b32 exec_lo, exec_lo, s11
	global_load_b128 v[29:32], v[33:34], off offset:3584
	s_and_saveexec_b32 s11, vcc_lo
	s_cbranch_execnz .LBB178_70
.LBB178_47:                             ;   in Loop: Header=BB178_38 Depth=1
	s_wait_alu 0xfffe
	s_or_b32 exec_lo, exec_lo, s11
	global_load_b128 v[37:40], v[33:34], off offset:4096
	s_and_saveexec_b32 s11, vcc_lo
	s_cbranch_execnz .LBB178_71
.LBB178_48:                             ;   in Loop: Header=BB178_38 Depth=1
	s_wait_alu 0xfffe
	s_or_b32 exec_lo, exec_lo, s11
	global_load_b128 v[41:44], v[33:34], off offset:4608
	s_and_saveexec_b32 s11, vcc_lo
	s_cbranch_execnz .LBB178_72
.LBB178_49:                             ;   in Loop: Header=BB178_38 Depth=1
	s_wait_alu 0xfffe
	s_or_b32 exec_lo, exec_lo, s11
	global_load_b128 v[45:48], v[33:34], off offset:5120
	s_and_saveexec_b32 s11, vcc_lo
	s_cbranch_execnz .LBB178_73
.LBB178_50:                             ;   in Loop: Header=BB178_38 Depth=1
	s_wait_alu 0xfffe
	s_or_b32 exec_lo, exec_lo, s11
	global_load_b128 v[49:52], v[33:34], off offset:5632
	s_and_saveexec_b32 s11, vcc_lo
	s_cbranch_execnz .LBB178_74
.LBB178_51:                             ;   in Loop: Header=BB178_38 Depth=1
	s_wait_alu 0xfffe
	s_or_b32 exec_lo, exec_lo, s11
	global_load_b128 v[53:56], v[33:34], off offset:6144
	s_and_saveexec_b32 s11, vcc_lo
	s_cbranch_execnz .LBB178_75
.LBB178_52:                             ;   in Loop: Header=BB178_38 Depth=1
	s_wait_alu 0xfffe
	s_or_b32 exec_lo, exec_lo, s11
	global_load_b128 v[57:60], v[33:34], off offset:6656
	s_and_saveexec_b32 s11, vcc_lo
	s_cbranch_execnz .LBB178_76
.LBB178_53:                             ;   in Loop: Header=BB178_38 Depth=1
	s_wait_alu 0xfffe
	s_or_b32 exec_lo, exec_lo, s11
	global_load_b128 v[61:64], v[33:34], off offset:7168
	s_and_saveexec_b32 s11, vcc_lo
	s_cbranch_execnz .LBB178_77
.LBB178_54:                             ;   in Loop: Header=BB178_38 Depth=1
	s_wait_alu 0xfffe
	s_or_b32 exec_lo, exec_lo, s11
	global_load_b128 v[73:76], v[33:34], off offset:7680
	s_and_saveexec_b32 s11, vcc_lo
	s_cbranch_execnz .LBB178_78
.LBB178_55:                             ;   in Loop: Header=BB178_38 Depth=1
	s_wait_alu 0xfffe
	s_or_b32 exec_lo, exec_lo, s11
	global_load_b128 v[77:80], v[33:34], off offset:8192
	s_and_saveexec_b32 s11, vcc_lo
	s_cbranch_execnz .LBB178_79
.LBB178_56:                             ;   in Loop: Header=BB178_38 Depth=1
	s_wait_alu 0xfffe
	s_or_b32 exec_lo, exec_lo, s11
	global_load_b128 v[81:84], v[33:34], off offset:8704
	s_and_saveexec_b32 s11, vcc_lo
	s_cbranch_execnz .LBB178_80
.LBB178_57:                             ;   in Loop: Header=BB178_38 Depth=1
	s_wait_alu 0xfffe
	s_or_b32 exec_lo, exec_lo, s11
	global_load_b128 v[85:88], v[33:34], off offset:9216
	s_and_saveexec_b32 s11, vcc_lo
	s_cbranch_execnz .LBB178_81
.LBB178_58:                             ;   in Loop: Header=BB178_38 Depth=1
	s_wait_alu 0xfffe
	s_or_b32 exec_lo, exec_lo, s11
	global_load_b128 v[89:92], v[33:34], off offset:9728
	s_and_saveexec_b32 s11, vcc_lo
	s_cbranch_execnz .LBB178_82
.LBB178_59:                             ;   in Loop: Header=BB178_38 Depth=1
	s_wait_alu 0xfffe
	s_or_b32 exec_lo, exec_lo, s11
	global_load_b128 v[93:96], v[33:34], off offset:10240
	s_and_saveexec_b32 s11, vcc_lo
	s_cbranch_execnz .LBB178_83
.LBB178_60:                             ;   in Loop: Header=BB178_38 Depth=1
	s_wait_alu 0xfffe
	s_or_b32 exec_lo, exec_lo, s11
	global_load_b128 v[97:100], v[33:34], off offset:10752
	s_and_saveexec_b32 s11, vcc_lo
	s_cbranch_execnz .LBB178_84
.LBB178_61:                             ;   in Loop: Header=BB178_38 Depth=1
	s_wait_alu 0xfffe
	s_or_b32 exec_lo, exec_lo, s11
	global_load_b128 v[101:104], v[33:34], off offset:11264
	s_and_saveexec_b32 s11, vcc_lo
	s_cbranch_execnz .LBB178_85
.LBB178_62:                             ;   in Loop: Header=BB178_38 Depth=1
	s_wait_alu 0xfffe
	s_or_b32 exec_lo, exec_lo, s11
	global_load_b128 v[33:36], v[33:34], off offset:11776
	s_and_saveexec_b32 s0, vcc_lo
	s_cbranch_execz .LBB178_36
	s_branch .LBB178_86
.LBB178_63:                             ;   in Loop: Header=BB178_38 Depth=1
	v_cmp_gt_i32_e64 s0, s31, v146
	s_wait_loadcnt 0x0
	v_lshrrev_b32_e32 v5, 16, v1
	v_lshrrev_b32_e32 v6, 16, v2
	;; [unrolled: 1-line block ×4, first 2 shown]
	s_wait_alu 0xf1ff
	v_cndmask_b32_e64 v1, 0, v1, s0
	v_cmp_gt_i32_e64 s0, s8, v144
	s_wait_alu 0xf1ff
	s_delay_alu instid0(VALU_DEP_1) | instskip(SKIP_1) | instid1(VALU_DEP_2)
	v_cndmask_b32_e64 v5, 0, v5, s0
	v_cmp_gt_i32_e64 s0, s31, v145
	v_perm_b32 v1, v5, v1, 0x5040100
	s_wait_alu 0xf1ff
	s_delay_alu instid0(VALU_DEP_2) | instskip(SKIP_2) | instid1(VALU_DEP_1)
	v_cndmask_b32_e64 v2, 0, v2, s0
	v_cmp_gt_i32_e64 s0, s8, v143
	s_wait_alu 0xf1ff
	v_cndmask_b32_e64 v6, 0, v6, s0
	v_cmp_gt_i32_e64 s0, s31, v142
	s_delay_alu instid0(VALU_DEP_2) | instskip(SKIP_1) | instid1(VALU_DEP_2)
	v_perm_b32 v2, v6, v2, 0x5040100
	s_wait_alu 0xf1ff
	v_cndmask_b32_e64 v3, 0, v3, s0
	v_cmp_gt_i32_e64 s0, s8, v108
	s_wait_alu 0xf1ff
	s_delay_alu instid0(VALU_DEP_1) | instskip(SKIP_1) | instid1(VALU_DEP_2)
	v_cndmask_b32_e64 v7, 0, v7, s0
	v_cmp_gt_i32_e64 s0, s31, v110
	v_perm_b32 v3, v7, v3, 0x5040100
	s_wait_alu 0xf1ff
	s_delay_alu instid0(VALU_DEP_2) | instskip(SKIP_2) | instid1(VALU_DEP_1)
	v_cndmask_b32_e64 v4, 0, v4, s0
	v_cmp_gt_i32_e64 s0, s8, v107
	s_wait_alu 0xf1ff
	v_cndmask_b32_e64 v8, 0, v8, s0
	s_delay_alu instid0(VALU_DEP_1)
	v_perm_b32 v4, v8, v4, 0x5040100
	s_wait_alu 0xfffe
	s_or_b32 exec_lo, exec_lo, s11
	global_load_b128 v[5:8], v[33:34], off offset:512
	s_and_saveexec_b32 s11, vcc_lo
	s_cbranch_execz .LBB178_41
.LBB178_64:                             ;   in Loop: Header=BB178_38 Depth=1
	v_cmp_gt_i32_e64 s0, s31, v146
	s_wait_loadcnt 0x0
	v_lshrrev_b32_e32 v9, 16, v5
	v_lshrrev_b32_e32 v10, 16, v6
	;; [unrolled: 1-line block ×4, first 2 shown]
	s_wait_alu 0xf1ff
	v_cndmask_b32_e64 v5, 0, v5, s0
	v_cmp_gt_i32_e64 s0, s8, v144
	s_wait_alu 0xf1ff
	s_delay_alu instid0(VALU_DEP_1) | instskip(SKIP_1) | instid1(VALU_DEP_2)
	v_cndmask_b32_e64 v9, 0, v9, s0
	v_cmp_gt_i32_e64 s0, s31, v145
	v_perm_b32 v5, v9, v5, 0x5040100
	s_wait_alu 0xf1ff
	s_delay_alu instid0(VALU_DEP_2) | instskip(SKIP_2) | instid1(VALU_DEP_1)
	v_cndmask_b32_e64 v6, 0, v6, s0
	v_cmp_gt_i32_e64 s0, s8, v143
	s_wait_alu 0xf1ff
	v_cndmask_b32_e64 v10, 0, v10, s0
	v_cmp_gt_i32_e64 s0, s31, v142
	s_delay_alu instid0(VALU_DEP_2) | instskip(SKIP_1) | instid1(VALU_DEP_2)
	v_perm_b32 v6, v10, v6, 0x5040100
	s_wait_alu 0xf1ff
	v_cndmask_b32_e64 v7, 0, v7, s0
	v_cmp_gt_i32_e64 s0, s8, v108
	s_wait_alu 0xf1ff
	s_delay_alu instid0(VALU_DEP_1) | instskip(SKIP_1) | instid1(VALU_DEP_2)
	v_cndmask_b32_e64 v11, 0, v11, s0
	v_cmp_gt_i32_e64 s0, s31, v110
	v_perm_b32 v7, v11, v7, 0x5040100
	s_wait_alu 0xf1ff
	s_delay_alu instid0(VALU_DEP_2) | instskip(SKIP_2) | instid1(VALU_DEP_1)
	v_cndmask_b32_e64 v8, 0, v8, s0
	v_cmp_gt_i32_e64 s0, s8, v107
	s_wait_alu 0xf1ff
	v_cndmask_b32_e64 v12, 0, v12, s0
	s_delay_alu instid0(VALU_DEP_1)
	v_perm_b32 v8, v12, v8, 0x5040100
	s_wait_alu 0xfffe
	s_or_b32 exec_lo, exec_lo, s11
	global_load_b128 v[9:12], v[33:34], off offset:1024
	s_and_saveexec_b32 s11, vcc_lo
	s_cbranch_execz .LBB178_42
.LBB178_65:                             ;   in Loop: Header=BB178_38 Depth=1
	v_cmp_gt_i32_e64 s0, s31, v146
	s_wait_loadcnt 0x0
	v_lshrrev_b32_e32 v13, 16, v9
	v_lshrrev_b32_e32 v14, 16, v10
	;; [unrolled: 1-line block ×4, first 2 shown]
	s_wait_alu 0xf1ff
	v_cndmask_b32_e64 v9, 0, v9, s0
	v_cmp_gt_i32_e64 s0, s8, v144
	s_wait_alu 0xf1ff
	s_delay_alu instid0(VALU_DEP_1) | instskip(SKIP_1) | instid1(VALU_DEP_2)
	v_cndmask_b32_e64 v13, 0, v13, s0
	v_cmp_gt_i32_e64 s0, s31, v145
	v_perm_b32 v9, v13, v9, 0x5040100
	s_wait_alu 0xf1ff
	s_delay_alu instid0(VALU_DEP_2) | instskip(SKIP_2) | instid1(VALU_DEP_1)
	v_cndmask_b32_e64 v10, 0, v10, s0
	v_cmp_gt_i32_e64 s0, s8, v143
	s_wait_alu 0xf1ff
	v_cndmask_b32_e64 v14, 0, v14, s0
	v_cmp_gt_i32_e64 s0, s31, v142
	s_delay_alu instid0(VALU_DEP_2) | instskip(SKIP_1) | instid1(VALU_DEP_2)
	v_perm_b32 v10, v14, v10, 0x5040100
	s_wait_alu 0xf1ff
	v_cndmask_b32_e64 v11, 0, v11, s0
	v_cmp_gt_i32_e64 s0, s8, v108
	s_wait_alu 0xf1ff
	s_delay_alu instid0(VALU_DEP_1) | instskip(SKIP_1) | instid1(VALU_DEP_2)
	v_cndmask_b32_e64 v15, 0, v15, s0
	v_cmp_gt_i32_e64 s0, s31, v110
	v_perm_b32 v11, v15, v11, 0x5040100
	s_wait_alu 0xf1ff
	s_delay_alu instid0(VALU_DEP_2) | instskip(SKIP_2) | instid1(VALU_DEP_1)
	v_cndmask_b32_e64 v12, 0, v12, s0
	v_cmp_gt_i32_e64 s0, s8, v107
	s_wait_alu 0xf1ff
	v_cndmask_b32_e64 v16, 0, v16, s0
	s_delay_alu instid0(VALU_DEP_1)
	v_perm_b32 v12, v16, v12, 0x5040100
	s_wait_alu 0xfffe
	s_or_b32 exec_lo, exec_lo, s11
	global_load_b128 v[13:16], v[33:34], off offset:1536
	s_and_saveexec_b32 s11, vcc_lo
	s_cbranch_execz .LBB178_43
.LBB178_66:                             ;   in Loop: Header=BB178_38 Depth=1
	v_cmp_gt_i32_e64 s0, s31, v146
	s_wait_loadcnt 0x0
	v_lshrrev_b32_e32 v17, 16, v13
	v_lshrrev_b32_e32 v18, 16, v14
	;; [unrolled: 1-line block ×4, first 2 shown]
	s_wait_alu 0xf1ff
	v_cndmask_b32_e64 v13, 0, v13, s0
	v_cmp_gt_i32_e64 s0, s8, v144
	s_wait_alu 0xf1ff
	s_delay_alu instid0(VALU_DEP_1) | instskip(SKIP_1) | instid1(VALU_DEP_2)
	v_cndmask_b32_e64 v17, 0, v17, s0
	v_cmp_gt_i32_e64 s0, s31, v145
	v_perm_b32 v13, v17, v13, 0x5040100
	s_wait_alu 0xf1ff
	s_delay_alu instid0(VALU_DEP_2) | instskip(SKIP_2) | instid1(VALU_DEP_1)
	v_cndmask_b32_e64 v14, 0, v14, s0
	v_cmp_gt_i32_e64 s0, s8, v143
	s_wait_alu 0xf1ff
	v_cndmask_b32_e64 v18, 0, v18, s0
	v_cmp_gt_i32_e64 s0, s31, v142
	s_delay_alu instid0(VALU_DEP_2) | instskip(SKIP_1) | instid1(VALU_DEP_2)
	v_perm_b32 v14, v18, v14, 0x5040100
	s_wait_alu 0xf1ff
	v_cndmask_b32_e64 v15, 0, v15, s0
	v_cmp_gt_i32_e64 s0, s8, v108
	s_wait_alu 0xf1ff
	s_delay_alu instid0(VALU_DEP_1) | instskip(SKIP_1) | instid1(VALU_DEP_2)
	v_cndmask_b32_e64 v19, 0, v19, s0
	v_cmp_gt_i32_e64 s0, s31, v110
	v_perm_b32 v15, v19, v15, 0x5040100
	s_wait_alu 0xf1ff
	s_delay_alu instid0(VALU_DEP_2) | instskip(SKIP_2) | instid1(VALU_DEP_1)
	v_cndmask_b32_e64 v16, 0, v16, s0
	v_cmp_gt_i32_e64 s0, s8, v107
	s_wait_alu 0xf1ff
	v_cndmask_b32_e64 v20, 0, v20, s0
	s_delay_alu instid0(VALU_DEP_1)
	v_perm_b32 v16, v20, v16, 0x5040100
	s_wait_alu 0xfffe
	s_or_b32 exec_lo, exec_lo, s11
	global_load_b128 v[17:20], v[33:34], off offset:2048
	s_and_saveexec_b32 s11, vcc_lo
	s_cbranch_execz .LBB178_44
.LBB178_67:                             ;   in Loop: Header=BB178_38 Depth=1
	v_cmp_gt_i32_e64 s0, s31, v146
	s_wait_loadcnt 0x0
	v_lshrrev_b32_e32 v21, 16, v17
	v_lshrrev_b32_e32 v22, 16, v18
	;; [unrolled: 1-line block ×4, first 2 shown]
	s_wait_alu 0xf1ff
	v_cndmask_b32_e64 v17, 0, v17, s0
	v_cmp_gt_i32_e64 s0, s8, v144
	s_wait_alu 0xf1ff
	s_delay_alu instid0(VALU_DEP_1) | instskip(SKIP_1) | instid1(VALU_DEP_2)
	v_cndmask_b32_e64 v21, 0, v21, s0
	v_cmp_gt_i32_e64 s0, s31, v145
	v_perm_b32 v17, v21, v17, 0x5040100
	s_wait_alu 0xf1ff
	s_delay_alu instid0(VALU_DEP_2) | instskip(SKIP_2) | instid1(VALU_DEP_1)
	v_cndmask_b32_e64 v18, 0, v18, s0
	v_cmp_gt_i32_e64 s0, s8, v143
	s_wait_alu 0xf1ff
	v_cndmask_b32_e64 v22, 0, v22, s0
	v_cmp_gt_i32_e64 s0, s31, v142
	s_delay_alu instid0(VALU_DEP_2) | instskip(SKIP_1) | instid1(VALU_DEP_2)
	v_perm_b32 v18, v22, v18, 0x5040100
	s_wait_alu 0xf1ff
	v_cndmask_b32_e64 v19, 0, v19, s0
	v_cmp_gt_i32_e64 s0, s8, v108
	s_wait_alu 0xf1ff
	s_delay_alu instid0(VALU_DEP_1) | instskip(SKIP_1) | instid1(VALU_DEP_2)
	v_cndmask_b32_e64 v23, 0, v23, s0
	v_cmp_gt_i32_e64 s0, s31, v110
	v_perm_b32 v19, v23, v19, 0x5040100
	s_wait_alu 0xf1ff
	s_delay_alu instid0(VALU_DEP_2) | instskip(SKIP_2) | instid1(VALU_DEP_1)
	v_cndmask_b32_e64 v20, 0, v20, s0
	v_cmp_gt_i32_e64 s0, s8, v107
	s_wait_alu 0xf1ff
	v_cndmask_b32_e64 v24, 0, v24, s0
	s_delay_alu instid0(VALU_DEP_1)
	v_perm_b32 v20, v24, v20, 0x5040100
	s_wait_alu 0xfffe
	s_or_b32 exec_lo, exec_lo, s11
	global_load_b128 v[21:24], v[33:34], off offset:2560
	s_and_saveexec_b32 s11, vcc_lo
	s_cbranch_execz .LBB178_45
.LBB178_68:                             ;   in Loop: Header=BB178_38 Depth=1
	v_cmp_gt_i32_e64 s0, s31, v146
	s_wait_loadcnt 0x0
	v_lshrrev_b32_e32 v25, 16, v21
	v_lshrrev_b32_e32 v26, 16, v22
	;; [unrolled: 1-line block ×4, first 2 shown]
	s_wait_alu 0xf1ff
	v_cndmask_b32_e64 v21, 0, v21, s0
	v_cmp_gt_i32_e64 s0, s8, v144
	s_wait_alu 0xf1ff
	s_delay_alu instid0(VALU_DEP_1) | instskip(SKIP_1) | instid1(VALU_DEP_2)
	v_cndmask_b32_e64 v25, 0, v25, s0
	v_cmp_gt_i32_e64 s0, s31, v145
	v_perm_b32 v21, v25, v21, 0x5040100
	s_wait_alu 0xf1ff
	s_delay_alu instid0(VALU_DEP_2) | instskip(SKIP_2) | instid1(VALU_DEP_1)
	v_cndmask_b32_e64 v22, 0, v22, s0
	v_cmp_gt_i32_e64 s0, s8, v143
	s_wait_alu 0xf1ff
	v_cndmask_b32_e64 v26, 0, v26, s0
	v_cmp_gt_i32_e64 s0, s31, v142
	s_delay_alu instid0(VALU_DEP_2) | instskip(SKIP_1) | instid1(VALU_DEP_2)
	v_perm_b32 v22, v26, v22, 0x5040100
	s_wait_alu 0xf1ff
	v_cndmask_b32_e64 v23, 0, v23, s0
	v_cmp_gt_i32_e64 s0, s8, v108
	s_wait_alu 0xf1ff
	s_delay_alu instid0(VALU_DEP_1) | instskip(SKIP_1) | instid1(VALU_DEP_2)
	v_cndmask_b32_e64 v27, 0, v27, s0
	v_cmp_gt_i32_e64 s0, s31, v110
	v_perm_b32 v23, v27, v23, 0x5040100
	s_wait_alu 0xf1ff
	s_delay_alu instid0(VALU_DEP_2) | instskip(SKIP_2) | instid1(VALU_DEP_1)
	v_cndmask_b32_e64 v24, 0, v24, s0
	v_cmp_gt_i32_e64 s0, s8, v107
	s_wait_alu 0xf1ff
	v_cndmask_b32_e64 v28, 0, v28, s0
	s_delay_alu instid0(VALU_DEP_1)
	v_perm_b32 v24, v28, v24, 0x5040100
	s_wait_alu 0xfffe
	s_or_b32 exec_lo, exec_lo, s11
	global_load_b128 v[25:28], v[33:34], off offset:3072
	s_and_saveexec_b32 s11, vcc_lo
	s_cbranch_execz .LBB178_46
.LBB178_69:                             ;   in Loop: Header=BB178_38 Depth=1
	v_cmp_gt_i32_e64 s0, s31, v146
	s_wait_loadcnt 0x0
	v_lshrrev_b32_e32 v29, 16, v25
	v_lshrrev_b32_e32 v30, 16, v26
	;; [unrolled: 1-line block ×4, first 2 shown]
	s_wait_alu 0xf1ff
	v_cndmask_b32_e64 v25, 0, v25, s0
	v_cmp_gt_i32_e64 s0, s8, v144
	s_wait_alu 0xf1ff
	s_delay_alu instid0(VALU_DEP_1) | instskip(SKIP_1) | instid1(VALU_DEP_2)
	v_cndmask_b32_e64 v29, 0, v29, s0
	v_cmp_gt_i32_e64 s0, s31, v145
	v_perm_b32 v25, v29, v25, 0x5040100
	s_wait_alu 0xf1ff
	s_delay_alu instid0(VALU_DEP_2) | instskip(SKIP_2) | instid1(VALU_DEP_1)
	v_cndmask_b32_e64 v26, 0, v26, s0
	v_cmp_gt_i32_e64 s0, s8, v143
	s_wait_alu 0xf1ff
	v_cndmask_b32_e64 v30, 0, v30, s0
	v_cmp_gt_i32_e64 s0, s31, v142
	s_delay_alu instid0(VALU_DEP_2) | instskip(SKIP_1) | instid1(VALU_DEP_2)
	v_perm_b32 v26, v30, v26, 0x5040100
	s_wait_alu 0xf1ff
	v_cndmask_b32_e64 v27, 0, v27, s0
	v_cmp_gt_i32_e64 s0, s8, v108
	s_wait_alu 0xf1ff
	s_delay_alu instid0(VALU_DEP_1) | instskip(SKIP_1) | instid1(VALU_DEP_2)
	v_cndmask_b32_e64 v31, 0, v31, s0
	v_cmp_gt_i32_e64 s0, s31, v110
	v_perm_b32 v27, v31, v27, 0x5040100
	s_wait_alu 0xf1ff
	s_delay_alu instid0(VALU_DEP_2) | instskip(SKIP_2) | instid1(VALU_DEP_1)
	v_cndmask_b32_e64 v28, 0, v28, s0
	v_cmp_gt_i32_e64 s0, s8, v107
	s_wait_alu 0xf1ff
	v_cndmask_b32_e64 v32, 0, v32, s0
	s_delay_alu instid0(VALU_DEP_1)
	v_perm_b32 v28, v32, v28, 0x5040100
	s_wait_alu 0xfffe
	s_or_b32 exec_lo, exec_lo, s11
	global_load_b128 v[29:32], v[33:34], off offset:3584
	s_and_saveexec_b32 s11, vcc_lo
	s_cbranch_execz .LBB178_47
.LBB178_70:                             ;   in Loop: Header=BB178_38 Depth=1
	v_cmp_gt_i32_e64 s0, s31, v146
	s_wait_loadcnt 0x0
	v_lshrrev_b32_e32 v35, 16, v29
	v_lshrrev_b32_e32 v36, 16, v30
	v_lshrrev_b32_e32 v37, 16, v31
	v_lshrrev_b32_e32 v38, 16, v32
	s_wait_alu 0xf1ff
	v_cndmask_b32_e64 v29, 0, v29, s0
	v_cmp_gt_i32_e64 s0, s8, v144
	s_wait_alu 0xf1ff
	s_delay_alu instid0(VALU_DEP_1) | instskip(SKIP_1) | instid1(VALU_DEP_2)
	v_cndmask_b32_e64 v35, 0, v35, s0
	v_cmp_gt_i32_e64 s0, s31, v145
	v_perm_b32 v29, v35, v29, 0x5040100
	s_wait_alu 0xf1ff
	s_delay_alu instid0(VALU_DEP_2) | instskip(SKIP_2) | instid1(VALU_DEP_1)
	v_cndmask_b32_e64 v30, 0, v30, s0
	v_cmp_gt_i32_e64 s0, s8, v143
	s_wait_alu 0xf1ff
	v_cndmask_b32_e64 v36, 0, v36, s0
	v_cmp_gt_i32_e64 s0, s31, v142
	s_delay_alu instid0(VALU_DEP_2) | instskip(SKIP_1) | instid1(VALU_DEP_2)
	v_perm_b32 v30, v36, v30, 0x5040100
	s_wait_alu 0xf1ff
	v_cndmask_b32_e64 v31, 0, v31, s0
	v_cmp_gt_i32_e64 s0, s8, v108
	s_wait_alu 0xf1ff
	s_delay_alu instid0(VALU_DEP_1) | instskip(SKIP_1) | instid1(VALU_DEP_2)
	v_cndmask_b32_e64 v37, 0, v37, s0
	v_cmp_gt_i32_e64 s0, s31, v110
	v_perm_b32 v31, v37, v31, 0x5040100
	s_wait_alu 0xf1ff
	s_delay_alu instid0(VALU_DEP_2) | instskip(SKIP_2) | instid1(VALU_DEP_1)
	v_cndmask_b32_e64 v32, 0, v32, s0
	v_cmp_gt_i32_e64 s0, s8, v107
	s_wait_alu 0xf1ff
	v_cndmask_b32_e64 v38, 0, v38, s0
	s_delay_alu instid0(VALU_DEP_1)
	v_perm_b32 v32, v38, v32, 0x5040100
	s_wait_alu 0xfffe
	s_or_b32 exec_lo, exec_lo, s11
	global_load_b128 v[37:40], v[33:34], off offset:4096
	s_and_saveexec_b32 s11, vcc_lo
	s_cbranch_execz .LBB178_48
.LBB178_71:                             ;   in Loop: Header=BB178_38 Depth=1
	v_cmp_gt_i32_e64 s0, s31, v146
	s_wait_loadcnt 0x0
	v_lshrrev_b32_e32 v35, 16, v37
	v_lshrrev_b32_e32 v42, 16, v40
	s_wait_alu 0xf1ff
	v_cndmask_b32_e64 v36, 0, v37, s0
	v_cmp_gt_i32_e64 s0, s8, v144
	v_lshrrev_b32_e32 v37, 16, v38
	s_wait_alu 0xf1ff
	s_delay_alu instid0(VALU_DEP_2) | instskip(SKIP_2) | instid1(VALU_DEP_1)
	v_cndmask_b32_e64 v35, 0, v35, s0
	v_cmp_gt_i32_e64 s0, s31, v145
	s_wait_alu 0xf1ff
	v_cndmask_b32_e64 v38, 0, v38, s0
	v_cmp_gt_i32_e64 s0, s8, v143
	s_wait_alu 0xf1ff
	s_delay_alu instid0(VALU_DEP_1) | instskip(SKIP_2) | instid1(VALU_DEP_3)
	v_cndmask_b32_e64 v41, 0, v37, s0
	v_cmp_gt_i32_e64 s0, s31, v142
	v_lshrrev_b32_e32 v37, 16, v39
	v_perm_b32 v38, v41, v38, 0x5040100
	s_wait_alu 0xf1ff
	s_delay_alu instid0(VALU_DEP_3) | instskip(SKIP_2) | instid1(VALU_DEP_1)
	v_cndmask_b32_e64 v39, 0, v39, s0
	v_cmp_gt_i32_e64 s0, s8, v108
	s_wait_alu 0xf1ff
	v_cndmask_b32_e64 v43, 0, v37, s0
	v_cmp_gt_i32_e64 s0, s31, v110
	v_perm_b32 v37, v35, v36, 0x5040100
	s_delay_alu instid0(VALU_DEP_3) | instskip(SKIP_1) | instid1(VALU_DEP_3)
	v_perm_b32 v39, v43, v39, 0x5040100
	s_wait_alu 0xf1ff
	v_cndmask_b32_e64 v40, 0, v40, s0
	v_cmp_gt_i32_e64 s0, s8, v107
	s_wait_alu 0xf1ff
	s_delay_alu instid0(VALU_DEP_1) | instskip(NEXT) | instid1(VALU_DEP_1)
	v_cndmask_b32_e64 v42, 0, v42, s0
	v_perm_b32 v40, v42, v40, 0x5040100
	s_wait_alu 0xfffe
	s_or_b32 exec_lo, exec_lo, s11
	global_load_b128 v[41:44], v[33:34], off offset:4608
	s_and_saveexec_b32 s11, vcc_lo
	s_cbranch_execz .LBB178_49
.LBB178_72:                             ;   in Loop: Header=BB178_38 Depth=1
	v_cmp_gt_i32_e64 s0, s31, v146
	s_wait_loadcnt 0x0
	v_lshrrev_b32_e32 v35, 16, v41
	v_lshrrev_b32_e32 v46, 16, v44
	s_wait_alu 0xf1ff
	v_cndmask_b32_e64 v36, 0, v41, s0
	v_cmp_gt_i32_e64 s0, s8, v144
	v_lshrrev_b32_e32 v41, 16, v42
	s_wait_alu 0xf1ff
	s_delay_alu instid0(VALU_DEP_2) | instskip(SKIP_2) | instid1(VALU_DEP_1)
	v_cndmask_b32_e64 v35, 0, v35, s0
	v_cmp_gt_i32_e64 s0, s31, v145
	s_wait_alu 0xf1ff
	v_cndmask_b32_e64 v42, 0, v42, s0
	v_cmp_gt_i32_e64 s0, s8, v143
	s_wait_alu 0xf1ff
	s_delay_alu instid0(VALU_DEP_1) | instskip(SKIP_2) | instid1(VALU_DEP_3)
	v_cndmask_b32_e64 v45, 0, v41, s0
	v_cmp_gt_i32_e64 s0, s31, v142
	v_lshrrev_b32_e32 v41, 16, v43
	v_perm_b32 v42, v45, v42, 0x5040100
	s_wait_alu 0xf1ff
	s_delay_alu instid0(VALU_DEP_3) | instskip(SKIP_2) | instid1(VALU_DEP_1)
	v_cndmask_b32_e64 v43, 0, v43, s0
	v_cmp_gt_i32_e64 s0, s8, v108
	s_wait_alu 0xf1ff
	v_cndmask_b32_e64 v47, 0, v41, s0
	v_cmp_gt_i32_e64 s0, s31, v110
	v_perm_b32 v41, v35, v36, 0x5040100
	s_delay_alu instid0(VALU_DEP_3) | instskip(SKIP_1) | instid1(VALU_DEP_3)
	v_perm_b32 v43, v47, v43, 0x5040100
	s_wait_alu 0xf1ff
	v_cndmask_b32_e64 v44, 0, v44, s0
	v_cmp_gt_i32_e64 s0, s8, v107
	s_wait_alu 0xf1ff
	s_delay_alu instid0(VALU_DEP_1) | instskip(NEXT) | instid1(VALU_DEP_1)
	v_cndmask_b32_e64 v46, 0, v46, s0
	v_perm_b32 v44, v46, v44, 0x5040100
	s_wait_alu 0xfffe
	s_or_b32 exec_lo, exec_lo, s11
	global_load_b128 v[45:48], v[33:34], off offset:5120
	s_and_saveexec_b32 s11, vcc_lo
	s_cbranch_execz .LBB178_50
.LBB178_73:                             ;   in Loop: Header=BB178_38 Depth=1
	v_cmp_gt_i32_e64 s0, s31, v146
	s_wait_loadcnt 0x0
	v_lshrrev_b32_e32 v35, 16, v45
	v_lshrrev_b32_e32 v50, 16, v48
	s_wait_alu 0xf1ff
	v_cndmask_b32_e64 v36, 0, v45, s0
	v_cmp_gt_i32_e64 s0, s8, v144
	v_lshrrev_b32_e32 v45, 16, v46
	s_wait_alu 0xf1ff
	s_delay_alu instid0(VALU_DEP_2) | instskip(SKIP_2) | instid1(VALU_DEP_1)
	v_cndmask_b32_e64 v35, 0, v35, s0
	v_cmp_gt_i32_e64 s0, s31, v145
	s_wait_alu 0xf1ff
	v_cndmask_b32_e64 v46, 0, v46, s0
	v_cmp_gt_i32_e64 s0, s8, v143
	s_wait_alu 0xf1ff
	s_delay_alu instid0(VALU_DEP_1) | instskip(SKIP_2) | instid1(VALU_DEP_3)
	v_cndmask_b32_e64 v49, 0, v45, s0
	v_cmp_gt_i32_e64 s0, s31, v142
	v_lshrrev_b32_e32 v45, 16, v47
	v_perm_b32 v46, v49, v46, 0x5040100
	s_wait_alu 0xf1ff
	s_delay_alu instid0(VALU_DEP_3) | instskip(SKIP_2) | instid1(VALU_DEP_1)
	v_cndmask_b32_e64 v47, 0, v47, s0
	v_cmp_gt_i32_e64 s0, s8, v108
	s_wait_alu 0xf1ff
	v_cndmask_b32_e64 v51, 0, v45, s0
	v_cmp_gt_i32_e64 s0, s31, v110
	v_perm_b32 v45, v35, v36, 0x5040100
	s_delay_alu instid0(VALU_DEP_3) | instskip(SKIP_1) | instid1(VALU_DEP_3)
	v_perm_b32 v47, v51, v47, 0x5040100
	s_wait_alu 0xf1ff
	v_cndmask_b32_e64 v48, 0, v48, s0
	v_cmp_gt_i32_e64 s0, s8, v107
	s_wait_alu 0xf1ff
	s_delay_alu instid0(VALU_DEP_1) | instskip(NEXT) | instid1(VALU_DEP_1)
	v_cndmask_b32_e64 v50, 0, v50, s0
	v_perm_b32 v48, v50, v48, 0x5040100
	s_wait_alu 0xfffe
	s_or_b32 exec_lo, exec_lo, s11
	global_load_b128 v[49:52], v[33:34], off offset:5632
	s_and_saveexec_b32 s11, vcc_lo
	s_cbranch_execz .LBB178_51
.LBB178_74:                             ;   in Loop: Header=BB178_38 Depth=1
	v_cmp_gt_i32_e64 s0, s31, v146
	s_wait_loadcnt 0x0
	v_lshrrev_b32_e32 v35, 16, v49
	v_lshrrev_b32_e32 v54, 16, v52
	s_wait_alu 0xf1ff
	v_cndmask_b32_e64 v36, 0, v49, s0
	v_cmp_gt_i32_e64 s0, s8, v144
	v_lshrrev_b32_e32 v49, 16, v50
	s_wait_alu 0xf1ff
	s_delay_alu instid0(VALU_DEP_2) | instskip(SKIP_2) | instid1(VALU_DEP_1)
	v_cndmask_b32_e64 v35, 0, v35, s0
	v_cmp_gt_i32_e64 s0, s31, v145
	s_wait_alu 0xf1ff
	v_cndmask_b32_e64 v50, 0, v50, s0
	v_cmp_gt_i32_e64 s0, s8, v143
	s_wait_alu 0xf1ff
	s_delay_alu instid0(VALU_DEP_1) | instskip(SKIP_2) | instid1(VALU_DEP_3)
	v_cndmask_b32_e64 v53, 0, v49, s0
	v_cmp_gt_i32_e64 s0, s31, v142
	v_lshrrev_b32_e32 v49, 16, v51
	v_perm_b32 v50, v53, v50, 0x5040100
	s_wait_alu 0xf1ff
	s_delay_alu instid0(VALU_DEP_3) | instskip(SKIP_2) | instid1(VALU_DEP_1)
	v_cndmask_b32_e64 v51, 0, v51, s0
	v_cmp_gt_i32_e64 s0, s8, v108
	s_wait_alu 0xf1ff
	v_cndmask_b32_e64 v55, 0, v49, s0
	v_cmp_gt_i32_e64 s0, s31, v110
	v_perm_b32 v49, v35, v36, 0x5040100
	s_delay_alu instid0(VALU_DEP_3) | instskip(SKIP_1) | instid1(VALU_DEP_3)
	v_perm_b32 v51, v55, v51, 0x5040100
	s_wait_alu 0xf1ff
	v_cndmask_b32_e64 v52, 0, v52, s0
	v_cmp_gt_i32_e64 s0, s8, v107
	s_wait_alu 0xf1ff
	s_delay_alu instid0(VALU_DEP_1) | instskip(NEXT) | instid1(VALU_DEP_1)
	v_cndmask_b32_e64 v54, 0, v54, s0
	v_perm_b32 v52, v54, v52, 0x5040100
	s_wait_alu 0xfffe
	s_or_b32 exec_lo, exec_lo, s11
	global_load_b128 v[53:56], v[33:34], off offset:6144
	s_and_saveexec_b32 s11, vcc_lo
	s_cbranch_execz .LBB178_52
.LBB178_75:                             ;   in Loop: Header=BB178_38 Depth=1
	v_cmp_gt_i32_e64 s0, s31, v146
	s_wait_loadcnt 0x0
	v_lshrrev_b32_e32 v35, 16, v53
	v_lshrrev_b32_e32 v58, 16, v56
	s_wait_alu 0xf1ff
	v_cndmask_b32_e64 v36, 0, v53, s0
	v_cmp_gt_i32_e64 s0, s8, v144
	v_lshrrev_b32_e32 v53, 16, v54
	s_wait_alu 0xf1ff
	s_delay_alu instid0(VALU_DEP_2) | instskip(SKIP_2) | instid1(VALU_DEP_1)
	v_cndmask_b32_e64 v35, 0, v35, s0
	v_cmp_gt_i32_e64 s0, s31, v145
	s_wait_alu 0xf1ff
	v_cndmask_b32_e64 v54, 0, v54, s0
	v_cmp_gt_i32_e64 s0, s8, v143
	s_wait_alu 0xf1ff
	s_delay_alu instid0(VALU_DEP_1) | instskip(SKIP_2) | instid1(VALU_DEP_3)
	v_cndmask_b32_e64 v57, 0, v53, s0
	v_cmp_gt_i32_e64 s0, s31, v142
	v_lshrrev_b32_e32 v53, 16, v55
	v_perm_b32 v54, v57, v54, 0x5040100
	s_wait_alu 0xf1ff
	s_delay_alu instid0(VALU_DEP_3) | instskip(SKIP_2) | instid1(VALU_DEP_1)
	v_cndmask_b32_e64 v55, 0, v55, s0
	v_cmp_gt_i32_e64 s0, s8, v108
	s_wait_alu 0xf1ff
	v_cndmask_b32_e64 v59, 0, v53, s0
	v_cmp_gt_i32_e64 s0, s31, v110
	v_perm_b32 v53, v35, v36, 0x5040100
	s_delay_alu instid0(VALU_DEP_3) | instskip(SKIP_1) | instid1(VALU_DEP_3)
	v_perm_b32 v55, v59, v55, 0x5040100
	s_wait_alu 0xf1ff
	v_cndmask_b32_e64 v56, 0, v56, s0
	v_cmp_gt_i32_e64 s0, s8, v107
	s_wait_alu 0xf1ff
	s_delay_alu instid0(VALU_DEP_1) | instskip(NEXT) | instid1(VALU_DEP_1)
	v_cndmask_b32_e64 v58, 0, v58, s0
	v_perm_b32 v56, v58, v56, 0x5040100
	s_wait_alu 0xfffe
	s_or_b32 exec_lo, exec_lo, s11
	global_load_b128 v[57:60], v[33:34], off offset:6656
	s_and_saveexec_b32 s11, vcc_lo
	s_cbranch_execz .LBB178_53
.LBB178_76:                             ;   in Loop: Header=BB178_38 Depth=1
	v_cmp_gt_i32_e64 s0, s31, v146
	s_wait_loadcnt 0x0
	v_lshrrev_b32_e32 v35, 16, v57
	v_lshrrev_b32_e32 v62, 16, v60
	s_wait_alu 0xf1ff
	v_cndmask_b32_e64 v36, 0, v57, s0
	v_cmp_gt_i32_e64 s0, s8, v144
	v_lshrrev_b32_e32 v57, 16, v58
	s_wait_alu 0xf1ff
	s_delay_alu instid0(VALU_DEP_2) | instskip(SKIP_2) | instid1(VALU_DEP_1)
	v_cndmask_b32_e64 v35, 0, v35, s0
	v_cmp_gt_i32_e64 s0, s31, v145
	s_wait_alu 0xf1ff
	v_cndmask_b32_e64 v58, 0, v58, s0
	v_cmp_gt_i32_e64 s0, s8, v143
	s_wait_alu 0xf1ff
	s_delay_alu instid0(VALU_DEP_1) | instskip(SKIP_2) | instid1(VALU_DEP_3)
	v_cndmask_b32_e64 v61, 0, v57, s0
	v_cmp_gt_i32_e64 s0, s31, v142
	v_lshrrev_b32_e32 v57, 16, v59
	v_perm_b32 v58, v61, v58, 0x5040100
	s_wait_alu 0xf1ff
	s_delay_alu instid0(VALU_DEP_3) | instskip(SKIP_2) | instid1(VALU_DEP_1)
	v_cndmask_b32_e64 v59, 0, v59, s0
	v_cmp_gt_i32_e64 s0, s8, v108
	s_wait_alu 0xf1ff
	v_cndmask_b32_e64 v63, 0, v57, s0
	v_cmp_gt_i32_e64 s0, s31, v110
	v_perm_b32 v57, v35, v36, 0x5040100
	s_delay_alu instid0(VALU_DEP_3) | instskip(SKIP_1) | instid1(VALU_DEP_3)
	v_perm_b32 v59, v63, v59, 0x5040100
	s_wait_alu 0xf1ff
	v_cndmask_b32_e64 v60, 0, v60, s0
	v_cmp_gt_i32_e64 s0, s8, v107
	s_wait_alu 0xf1ff
	s_delay_alu instid0(VALU_DEP_1) | instskip(NEXT) | instid1(VALU_DEP_1)
	v_cndmask_b32_e64 v62, 0, v62, s0
	v_perm_b32 v60, v62, v60, 0x5040100
	s_wait_alu 0xfffe
	s_or_b32 exec_lo, exec_lo, s11
	global_load_b128 v[61:64], v[33:34], off offset:7168
	s_and_saveexec_b32 s11, vcc_lo
	s_cbranch_execz .LBB178_54
.LBB178_77:                             ;   in Loop: Header=BB178_38 Depth=1
	v_cmp_gt_i32_e64 s0, s31, v146
	s_wait_loadcnt 0x0
	v_lshrrev_b32_e32 v35, 16, v61
	v_lshrrev_b32_e32 v74, 16, v64
	s_wait_alu 0xf1ff
	v_cndmask_b32_e64 v36, 0, v61, s0
	v_cmp_gt_i32_e64 s0, s8, v144
	v_lshrrev_b32_e32 v61, 16, v62
	s_wait_alu 0xf1ff
	s_delay_alu instid0(VALU_DEP_2) | instskip(SKIP_2) | instid1(VALU_DEP_1)
	v_cndmask_b32_e64 v35, 0, v35, s0
	v_cmp_gt_i32_e64 s0, s31, v145
	s_wait_alu 0xf1ff
	v_cndmask_b32_e64 v62, 0, v62, s0
	v_cmp_gt_i32_e64 s0, s8, v143
	s_wait_alu 0xf1ff
	s_delay_alu instid0(VALU_DEP_1) | instskip(SKIP_2) | instid1(VALU_DEP_3)
	v_cndmask_b32_e64 v73, 0, v61, s0
	v_cmp_gt_i32_e64 s0, s31, v142
	v_lshrrev_b32_e32 v61, 16, v63
	v_perm_b32 v62, v73, v62, 0x5040100
	s_wait_alu 0xf1ff
	s_delay_alu instid0(VALU_DEP_3) | instskip(SKIP_2) | instid1(VALU_DEP_1)
	v_cndmask_b32_e64 v63, 0, v63, s0
	v_cmp_gt_i32_e64 s0, s8, v108
	s_wait_alu 0xf1ff
	v_cndmask_b32_e64 v75, 0, v61, s0
	v_cmp_gt_i32_e64 s0, s31, v110
	v_perm_b32 v61, v35, v36, 0x5040100
	s_delay_alu instid0(VALU_DEP_3) | instskip(SKIP_1) | instid1(VALU_DEP_3)
	v_perm_b32 v63, v75, v63, 0x5040100
	s_wait_alu 0xf1ff
	v_cndmask_b32_e64 v64, 0, v64, s0
	v_cmp_gt_i32_e64 s0, s8, v107
	s_wait_alu 0xf1ff
	s_delay_alu instid0(VALU_DEP_1) | instskip(NEXT) | instid1(VALU_DEP_1)
	v_cndmask_b32_e64 v74, 0, v74, s0
	v_perm_b32 v64, v74, v64, 0x5040100
	s_wait_alu 0xfffe
	s_or_b32 exec_lo, exec_lo, s11
	global_load_b128 v[73:76], v[33:34], off offset:7680
	s_and_saveexec_b32 s11, vcc_lo
	s_cbranch_execz .LBB178_55
.LBB178_78:                             ;   in Loop: Header=BB178_38 Depth=1
	v_cmp_gt_i32_e64 s0, s31, v146
	s_wait_loadcnt 0x0
	v_lshrrev_b32_e32 v35, 16, v73
	v_lshrrev_b32_e32 v78, 16, v76
	s_wait_alu 0xf1ff
	v_cndmask_b32_e64 v36, 0, v73, s0
	v_cmp_gt_i32_e64 s0, s8, v144
	v_lshrrev_b32_e32 v73, 16, v74
	s_wait_alu 0xf1ff
	s_delay_alu instid0(VALU_DEP_2) | instskip(SKIP_2) | instid1(VALU_DEP_1)
	v_cndmask_b32_e64 v35, 0, v35, s0
	v_cmp_gt_i32_e64 s0, s31, v145
	s_wait_alu 0xf1ff
	v_cndmask_b32_e64 v74, 0, v74, s0
	v_cmp_gt_i32_e64 s0, s8, v143
	s_wait_alu 0xf1ff
	s_delay_alu instid0(VALU_DEP_1) | instskip(SKIP_2) | instid1(VALU_DEP_3)
	v_cndmask_b32_e64 v77, 0, v73, s0
	v_cmp_gt_i32_e64 s0, s31, v142
	v_lshrrev_b32_e32 v73, 16, v75
	v_perm_b32 v74, v77, v74, 0x5040100
	s_wait_alu 0xf1ff
	s_delay_alu instid0(VALU_DEP_3) | instskip(SKIP_2) | instid1(VALU_DEP_1)
	v_cndmask_b32_e64 v75, 0, v75, s0
	v_cmp_gt_i32_e64 s0, s8, v108
	s_wait_alu 0xf1ff
	v_cndmask_b32_e64 v79, 0, v73, s0
	v_cmp_gt_i32_e64 s0, s31, v110
	v_perm_b32 v73, v35, v36, 0x5040100
	s_delay_alu instid0(VALU_DEP_3) | instskip(SKIP_1) | instid1(VALU_DEP_3)
	v_perm_b32 v75, v79, v75, 0x5040100
	s_wait_alu 0xf1ff
	v_cndmask_b32_e64 v76, 0, v76, s0
	v_cmp_gt_i32_e64 s0, s8, v107
	s_wait_alu 0xf1ff
	s_delay_alu instid0(VALU_DEP_1) | instskip(NEXT) | instid1(VALU_DEP_1)
	v_cndmask_b32_e64 v78, 0, v78, s0
	v_perm_b32 v76, v78, v76, 0x5040100
	s_wait_alu 0xfffe
	s_or_b32 exec_lo, exec_lo, s11
	global_load_b128 v[77:80], v[33:34], off offset:8192
	s_and_saveexec_b32 s11, vcc_lo
	s_cbranch_execz .LBB178_56
.LBB178_79:                             ;   in Loop: Header=BB178_38 Depth=1
	v_cmp_gt_i32_e64 s0, s31, v146
	s_wait_loadcnt 0x0
	v_lshrrev_b32_e32 v35, 16, v77
	v_lshrrev_b32_e32 v82, 16, v80
	s_wait_alu 0xf1ff
	v_cndmask_b32_e64 v36, 0, v77, s0
	v_cmp_gt_i32_e64 s0, s8, v144
	v_lshrrev_b32_e32 v77, 16, v78
	s_wait_alu 0xf1ff
	s_delay_alu instid0(VALU_DEP_2) | instskip(SKIP_2) | instid1(VALU_DEP_1)
	v_cndmask_b32_e64 v35, 0, v35, s0
	v_cmp_gt_i32_e64 s0, s31, v145
	s_wait_alu 0xf1ff
	v_cndmask_b32_e64 v78, 0, v78, s0
	v_cmp_gt_i32_e64 s0, s8, v143
	s_wait_alu 0xf1ff
	s_delay_alu instid0(VALU_DEP_1) | instskip(SKIP_2) | instid1(VALU_DEP_3)
	v_cndmask_b32_e64 v81, 0, v77, s0
	v_cmp_gt_i32_e64 s0, s31, v142
	v_lshrrev_b32_e32 v77, 16, v79
	v_perm_b32 v78, v81, v78, 0x5040100
	s_wait_alu 0xf1ff
	s_delay_alu instid0(VALU_DEP_3) | instskip(SKIP_2) | instid1(VALU_DEP_1)
	v_cndmask_b32_e64 v79, 0, v79, s0
	v_cmp_gt_i32_e64 s0, s8, v108
	s_wait_alu 0xf1ff
	v_cndmask_b32_e64 v83, 0, v77, s0
	v_cmp_gt_i32_e64 s0, s31, v110
	v_perm_b32 v77, v35, v36, 0x5040100
	s_delay_alu instid0(VALU_DEP_3) | instskip(SKIP_1) | instid1(VALU_DEP_3)
	v_perm_b32 v79, v83, v79, 0x5040100
	s_wait_alu 0xf1ff
	v_cndmask_b32_e64 v80, 0, v80, s0
	v_cmp_gt_i32_e64 s0, s8, v107
	s_wait_alu 0xf1ff
	s_delay_alu instid0(VALU_DEP_1) | instskip(NEXT) | instid1(VALU_DEP_1)
	v_cndmask_b32_e64 v82, 0, v82, s0
	v_perm_b32 v80, v82, v80, 0x5040100
	s_wait_alu 0xfffe
	s_or_b32 exec_lo, exec_lo, s11
	global_load_b128 v[81:84], v[33:34], off offset:8704
	s_and_saveexec_b32 s11, vcc_lo
	s_cbranch_execz .LBB178_57
.LBB178_80:                             ;   in Loop: Header=BB178_38 Depth=1
	v_cmp_gt_i32_e64 s0, s31, v146
	s_wait_loadcnt 0x0
	v_lshrrev_b32_e32 v35, 16, v81
	v_lshrrev_b32_e32 v86, 16, v84
	s_wait_alu 0xf1ff
	v_cndmask_b32_e64 v36, 0, v81, s0
	v_cmp_gt_i32_e64 s0, s8, v144
	v_lshrrev_b32_e32 v81, 16, v82
	s_wait_alu 0xf1ff
	s_delay_alu instid0(VALU_DEP_2) | instskip(SKIP_2) | instid1(VALU_DEP_1)
	v_cndmask_b32_e64 v35, 0, v35, s0
	v_cmp_gt_i32_e64 s0, s31, v145
	s_wait_alu 0xf1ff
	v_cndmask_b32_e64 v82, 0, v82, s0
	v_cmp_gt_i32_e64 s0, s8, v143
	s_wait_alu 0xf1ff
	s_delay_alu instid0(VALU_DEP_1) | instskip(SKIP_2) | instid1(VALU_DEP_3)
	v_cndmask_b32_e64 v85, 0, v81, s0
	v_cmp_gt_i32_e64 s0, s31, v142
	v_lshrrev_b32_e32 v81, 16, v83
	v_perm_b32 v82, v85, v82, 0x5040100
	s_wait_alu 0xf1ff
	s_delay_alu instid0(VALU_DEP_3) | instskip(SKIP_2) | instid1(VALU_DEP_1)
	v_cndmask_b32_e64 v83, 0, v83, s0
	v_cmp_gt_i32_e64 s0, s8, v108
	s_wait_alu 0xf1ff
	v_cndmask_b32_e64 v87, 0, v81, s0
	v_cmp_gt_i32_e64 s0, s31, v110
	v_perm_b32 v81, v35, v36, 0x5040100
	s_delay_alu instid0(VALU_DEP_3) | instskip(SKIP_1) | instid1(VALU_DEP_3)
	v_perm_b32 v83, v87, v83, 0x5040100
	s_wait_alu 0xf1ff
	v_cndmask_b32_e64 v84, 0, v84, s0
	v_cmp_gt_i32_e64 s0, s8, v107
	s_wait_alu 0xf1ff
	s_delay_alu instid0(VALU_DEP_1) | instskip(NEXT) | instid1(VALU_DEP_1)
	v_cndmask_b32_e64 v86, 0, v86, s0
	v_perm_b32 v84, v86, v84, 0x5040100
	s_wait_alu 0xfffe
	s_or_b32 exec_lo, exec_lo, s11
	global_load_b128 v[85:88], v[33:34], off offset:9216
	s_and_saveexec_b32 s11, vcc_lo
	s_cbranch_execz .LBB178_58
.LBB178_81:                             ;   in Loop: Header=BB178_38 Depth=1
	v_cmp_gt_i32_e64 s0, s31, v146
	s_wait_loadcnt 0x0
	v_lshrrev_b32_e32 v35, 16, v85
	v_lshrrev_b32_e32 v90, 16, v88
	s_wait_alu 0xf1ff
	v_cndmask_b32_e64 v36, 0, v85, s0
	v_cmp_gt_i32_e64 s0, s8, v144
	v_lshrrev_b32_e32 v85, 16, v86
	s_wait_alu 0xf1ff
	s_delay_alu instid0(VALU_DEP_2) | instskip(SKIP_2) | instid1(VALU_DEP_1)
	v_cndmask_b32_e64 v35, 0, v35, s0
	v_cmp_gt_i32_e64 s0, s31, v145
	s_wait_alu 0xf1ff
	v_cndmask_b32_e64 v86, 0, v86, s0
	v_cmp_gt_i32_e64 s0, s8, v143
	s_wait_alu 0xf1ff
	s_delay_alu instid0(VALU_DEP_1) | instskip(SKIP_2) | instid1(VALU_DEP_3)
	v_cndmask_b32_e64 v89, 0, v85, s0
	v_cmp_gt_i32_e64 s0, s31, v142
	v_lshrrev_b32_e32 v85, 16, v87
	v_perm_b32 v86, v89, v86, 0x5040100
	s_wait_alu 0xf1ff
	s_delay_alu instid0(VALU_DEP_3) | instskip(SKIP_2) | instid1(VALU_DEP_1)
	v_cndmask_b32_e64 v87, 0, v87, s0
	v_cmp_gt_i32_e64 s0, s8, v108
	s_wait_alu 0xf1ff
	v_cndmask_b32_e64 v91, 0, v85, s0
	v_cmp_gt_i32_e64 s0, s31, v110
	v_perm_b32 v85, v35, v36, 0x5040100
	s_delay_alu instid0(VALU_DEP_3) | instskip(SKIP_1) | instid1(VALU_DEP_3)
	v_perm_b32 v87, v91, v87, 0x5040100
	s_wait_alu 0xf1ff
	v_cndmask_b32_e64 v88, 0, v88, s0
	v_cmp_gt_i32_e64 s0, s8, v107
	s_wait_alu 0xf1ff
	s_delay_alu instid0(VALU_DEP_1) | instskip(NEXT) | instid1(VALU_DEP_1)
	v_cndmask_b32_e64 v90, 0, v90, s0
	v_perm_b32 v88, v90, v88, 0x5040100
	s_wait_alu 0xfffe
	s_or_b32 exec_lo, exec_lo, s11
	global_load_b128 v[89:92], v[33:34], off offset:9728
	s_and_saveexec_b32 s11, vcc_lo
	s_cbranch_execz .LBB178_59
.LBB178_82:                             ;   in Loop: Header=BB178_38 Depth=1
	v_cmp_gt_i32_e64 s0, s31, v146
	s_wait_loadcnt 0x0
	v_lshrrev_b32_e32 v35, 16, v89
	v_lshrrev_b32_e32 v94, 16, v92
	s_wait_alu 0xf1ff
	v_cndmask_b32_e64 v36, 0, v89, s0
	v_cmp_gt_i32_e64 s0, s8, v144
	v_lshrrev_b32_e32 v89, 16, v90
	s_wait_alu 0xf1ff
	s_delay_alu instid0(VALU_DEP_2) | instskip(SKIP_2) | instid1(VALU_DEP_1)
	v_cndmask_b32_e64 v35, 0, v35, s0
	v_cmp_gt_i32_e64 s0, s31, v145
	s_wait_alu 0xf1ff
	v_cndmask_b32_e64 v90, 0, v90, s0
	v_cmp_gt_i32_e64 s0, s8, v143
	s_wait_alu 0xf1ff
	s_delay_alu instid0(VALU_DEP_1) | instskip(SKIP_2) | instid1(VALU_DEP_3)
	v_cndmask_b32_e64 v93, 0, v89, s0
	v_cmp_gt_i32_e64 s0, s31, v142
	v_lshrrev_b32_e32 v89, 16, v91
	v_perm_b32 v90, v93, v90, 0x5040100
	s_wait_alu 0xf1ff
	s_delay_alu instid0(VALU_DEP_3) | instskip(SKIP_2) | instid1(VALU_DEP_1)
	v_cndmask_b32_e64 v91, 0, v91, s0
	v_cmp_gt_i32_e64 s0, s8, v108
	s_wait_alu 0xf1ff
	v_cndmask_b32_e64 v95, 0, v89, s0
	v_cmp_gt_i32_e64 s0, s31, v110
	v_perm_b32 v89, v35, v36, 0x5040100
	s_delay_alu instid0(VALU_DEP_3) | instskip(SKIP_1) | instid1(VALU_DEP_3)
	v_perm_b32 v91, v95, v91, 0x5040100
	s_wait_alu 0xf1ff
	v_cndmask_b32_e64 v92, 0, v92, s0
	v_cmp_gt_i32_e64 s0, s8, v107
	s_wait_alu 0xf1ff
	s_delay_alu instid0(VALU_DEP_1) | instskip(NEXT) | instid1(VALU_DEP_1)
	v_cndmask_b32_e64 v94, 0, v94, s0
	v_perm_b32 v92, v94, v92, 0x5040100
	s_wait_alu 0xfffe
	s_or_b32 exec_lo, exec_lo, s11
	global_load_b128 v[93:96], v[33:34], off offset:10240
	s_and_saveexec_b32 s11, vcc_lo
	s_cbranch_execz .LBB178_60
.LBB178_83:                             ;   in Loop: Header=BB178_38 Depth=1
	v_cmp_gt_i32_e64 s0, s31, v146
	s_wait_loadcnt 0x0
	v_lshrrev_b32_e32 v35, 16, v93
	v_lshrrev_b32_e32 v98, 16, v96
	s_wait_alu 0xf1ff
	v_cndmask_b32_e64 v36, 0, v93, s0
	v_cmp_gt_i32_e64 s0, s8, v144
	v_lshrrev_b32_e32 v93, 16, v94
	s_wait_alu 0xf1ff
	s_delay_alu instid0(VALU_DEP_2) | instskip(SKIP_2) | instid1(VALU_DEP_1)
	v_cndmask_b32_e64 v35, 0, v35, s0
	v_cmp_gt_i32_e64 s0, s31, v145
	s_wait_alu 0xf1ff
	v_cndmask_b32_e64 v94, 0, v94, s0
	v_cmp_gt_i32_e64 s0, s8, v143
	s_wait_alu 0xf1ff
	s_delay_alu instid0(VALU_DEP_1) | instskip(SKIP_2) | instid1(VALU_DEP_3)
	v_cndmask_b32_e64 v97, 0, v93, s0
	v_cmp_gt_i32_e64 s0, s31, v142
	v_lshrrev_b32_e32 v93, 16, v95
	v_perm_b32 v94, v97, v94, 0x5040100
	s_wait_alu 0xf1ff
	s_delay_alu instid0(VALU_DEP_3) | instskip(SKIP_2) | instid1(VALU_DEP_1)
	v_cndmask_b32_e64 v95, 0, v95, s0
	v_cmp_gt_i32_e64 s0, s8, v108
	s_wait_alu 0xf1ff
	v_cndmask_b32_e64 v99, 0, v93, s0
	v_cmp_gt_i32_e64 s0, s31, v110
	v_perm_b32 v93, v35, v36, 0x5040100
	s_delay_alu instid0(VALU_DEP_3) | instskip(SKIP_1) | instid1(VALU_DEP_3)
	v_perm_b32 v95, v99, v95, 0x5040100
	s_wait_alu 0xf1ff
	v_cndmask_b32_e64 v96, 0, v96, s0
	v_cmp_gt_i32_e64 s0, s8, v107
	s_wait_alu 0xf1ff
	s_delay_alu instid0(VALU_DEP_1) | instskip(NEXT) | instid1(VALU_DEP_1)
	v_cndmask_b32_e64 v98, 0, v98, s0
	v_perm_b32 v96, v98, v96, 0x5040100
	s_wait_alu 0xfffe
	s_or_b32 exec_lo, exec_lo, s11
	global_load_b128 v[97:100], v[33:34], off offset:10752
	s_and_saveexec_b32 s11, vcc_lo
	s_cbranch_execz .LBB178_61
.LBB178_84:                             ;   in Loop: Header=BB178_38 Depth=1
	v_cmp_gt_i32_e64 s0, s31, v146
	s_wait_loadcnt 0x0
	v_lshrrev_b32_e32 v35, 16, v97
	v_lshrrev_b32_e32 v102, 16, v100
	s_wait_alu 0xf1ff
	v_cndmask_b32_e64 v36, 0, v97, s0
	v_cmp_gt_i32_e64 s0, s8, v144
	v_lshrrev_b32_e32 v97, 16, v98
	s_wait_alu 0xf1ff
	s_delay_alu instid0(VALU_DEP_2) | instskip(SKIP_2) | instid1(VALU_DEP_1)
	v_cndmask_b32_e64 v35, 0, v35, s0
	v_cmp_gt_i32_e64 s0, s31, v145
	s_wait_alu 0xf1ff
	v_cndmask_b32_e64 v98, 0, v98, s0
	v_cmp_gt_i32_e64 s0, s8, v143
	s_wait_alu 0xf1ff
	s_delay_alu instid0(VALU_DEP_1) | instskip(SKIP_2) | instid1(VALU_DEP_3)
	v_cndmask_b32_e64 v101, 0, v97, s0
	v_cmp_gt_i32_e64 s0, s31, v142
	v_lshrrev_b32_e32 v97, 16, v99
	v_perm_b32 v98, v101, v98, 0x5040100
	s_wait_alu 0xf1ff
	s_delay_alu instid0(VALU_DEP_3) | instskip(SKIP_2) | instid1(VALU_DEP_1)
	v_cndmask_b32_e64 v99, 0, v99, s0
	v_cmp_gt_i32_e64 s0, s8, v108
	s_wait_alu 0xf1ff
	v_cndmask_b32_e64 v103, 0, v97, s0
	v_cmp_gt_i32_e64 s0, s31, v110
	v_perm_b32 v97, v35, v36, 0x5040100
	s_delay_alu instid0(VALU_DEP_3) | instskip(SKIP_1) | instid1(VALU_DEP_3)
	v_perm_b32 v99, v103, v99, 0x5040100
	s_wait_alu 0xf1ff
	v_cndmask_b32_e64 v100, 0, v100, s0
	v_cmp_gt_i32_e64 s0, s8, v107
	s_wait_alu 0xf1ff
	s_delay_alu instid0(VALU_DEP_1) | instskip(NEXT) | instid1(VALU_DEP_1)
	v_cndmask_b32_e64 v102, 0, v102, s0
	v_perm_b32 v100, v102, v100, 0x5040100
	s_wait_alu 0xfffe
	s_or_b32 exec_lo, exec_lo, s11
	global_load_b128 v[101:104], v[33:34], off offset:11264
	s_and_saveexec_b32 s11, vcc_lo
	s_cbranch_execz .LBB178_62
.LBB178_85:                             ;   in Loop: Header=BB178_38 Depth=1
	v_cmp_gt_i32_e64 s0, s31, v146
	s_wait_loadcnt 0x0
	v_lshrrev_b32_e32 v35, 16, v101
	v_lshrrev_b32_e32 v148, 16, v104
	s_wait_alu 0xf1ff
	v_cndmask_b32_e64 v36, 0, v101, s0
	v_cmp_gt_i32_e64 s0, s8, v144
	v_lshrrev_b32_e32 v101, 16, v102
	s_wait_alu 0xf1ff
	s_delay_alu instid0(VALU_DEP_2) | instskip(SKIP_2) | instid1(VALU_DEP_1)
	v_cndmask_b32_e64 v35, 0, v35, s0
	v_cmp_gt_i32_e64 s0, s31, v145
	s_wait_alu 0xf1ff
	v_cndmask_b32_e64 v102, 0, v102, s0
	v_cmp_gt_i32_e64 s0, s8, v143
	s_wait_alu 0xf1ff
	s_delay_alu instid0(VALU_DEP_1) | instskip(SKIP_2) | instid1(VALU_DEP_3)
	v_cndmask_b32_e64 v147, 0, v101, s0
	v_cmp_gt_i32_e64 s0, s31, v142
	v_lshrrev_b32_e32 v101, 16, v103
	v_perm_b32 v102, v147, v102, 0x5040100
	s_wait_alu 0xf1ff
	s_delay_alu instid0(VALU_DEP_3) | instskip(SKIP_2) | instid1(VALU_DEP_1)
	v_cndmask_b32_e64 v103, 0, v103, s0
	v_cmp_gt_i32_e64 s0, s8, v108
	s_wait_alu 0xf1ff
	v_cndmask_b32_e64 v149, 0, v101, s0
	v_cmp_gt_i32_e64 s0, s31, v110
	v_perm_b32 v101, v35, v36, 0x5040100
	s_delay_alu instid0(VALU_DEP_3) | instskip(SKIP_1) | instid1(VALU_DEP_3)
	v_perm_b32 v103, v149, v103, 0x5040100
	s_wait_alu 0xf1ff
	v_cndmask_b32_e64 v104, 0, v104, s0
	v_cmp_gt_i32_e64 s0, s8, v107
	s_wait_alu 0xf1ff
	s_delay_alu instid0(VALU_DEP_1) | instskip(NEXT) | instid1(VALU_DEP_1)
	v_cndmask_b32_e64 v148, 0, v148, s0
	v_perm_b32 v104, v148, v104, 0x5040100
	s_wait_alu 0xfffe
	s_or_b32 exec_lo, exec_lo, s11
	global_load_b128 v[33:36], v[33:34], off offset:11776
	s_and_saveexec_b32 s0, vcc_lo
	s_cbranch_execz .LBB178_36
.LBB178_86:                             ;   in Loop: Header=BB178_38 Depth=1
	v_cmp_gt_i32_e32 vcc_lo, s31, v146
	s_wait_loadcnt 0x0
	v_lshrrev_b32_e32 v147, 16, v33
	v_lshrrev_b32_e32 v146, 16, v34
	s_wait_alu 0xfffd
	v_cndmask_b32_e32 v33, 0, v33, vcc_lo
	v_cmp_gt_i32_e32 vcc_lo, s8, v144
	s_wait_alu 0xfffd
	v_cndmask_b32_e32 v144, 0, v147, vcc_lo
	v_cmp_gt_i32_e32 vcc_lo, s31, v145
	v_lshrrev_b32_e32 v145, 16, v35
	s_delay_alu instid0(VALU_DEP_3)
	v_perm_b32 v33, v144, v33, 0x5040100
	s_wait_alu 0xfffd
	v_cndmask_b32_e32 v34, 0, v34, vcc_lo
	v_cmp_gt_i32_e32 vcc_lo, s8, v143
	s_wait_alu 0xfffd
	v_cndmask_b32_e32 v143, 0, v146, vcc_lo
	v_cmp_gt_i32_e32 vcc_lo, s31, v142
	v_lshrrev_b32_e32 v142, 16, v36
	s_wait_alu 0xfffd
	v_cndmask_b32_e32 v35, 0, v35, vcc_lo
	v_cmp_gt_i32_e32 vcc_lo, s8, v108
	s_wait_alu 0xfffd
	v_cndmask_b32_e32 v108, 0, v145, vcc_lo
	v_cmp_gt_i32_e32 vcc_lo, s31, v110
	v_perm_b32 v34, v143, v34, 0x5040100
	s_delay_alu instid0(VALU_DEP_3)
	v_perm_b32 v35, v108, v35, 0x5040100
	s_wait_alu 0xfffd
	v_cndmask_b32_e32 v36, 0, v36, vcc_lo
	v_cmp_gt_i32_e32 vcc_lo, s8, v107
	s_wait_alu 0xfffd
	v_cndmask_b32_e32 v107, 0, v142, vcc_lo
	s_delay_alu instid0(VALU_DEP_1)
	v_perm_b32 v36, v107, v36, 0x5040100
	s_branch .LBB178_36
.LBB178_87:
	s_or_b32 exec_lo, exec_lo, s6
.LBB178_88:
	s_wait_alu 0xfffe
	s_or_b32 exec_lo, exec_lo, s1
	ds_bpermute_b32 v1, v112, v136
	ds_bpermute_b32 v2, v112, v137
	;; [unrolled: 1-line block ×20, first 2 shown]
	s_wait_dscnt 0x12
	v_dual_add_f32 v1, v136, v1 :: v_dual_add_f32 v2, v137, v2
	s_wait_dscnt 0x10
	v_dual_add_f32 v3, v135, v3 :: v_dual_add_f32 v4, v134, v4
	s_mov_b32 s0, exec_lo
	ds_bpermute_b32 v17, v111, v1
	ds_bpermute_b32 v18, v111, v2
	;; [unrolled: 1-line block ×4, first 2 shown]
	s_wait_dscnt 0x10
	v_add_f32_e32 v11, v127, v11
	s_wait_dscnt 0xd
	v_dual_add_f32 v5, v133, v5 :: v_dual_add_f32 v36, v123, v15
	s_wait_dscnt 0xa
	v_dual_add_f32 v6, v132, v6 :: v_dual_add_f32 v9, v129, v9
	s_wait_dscnt 0x9
	v_add_f32_e32 v10, v128, v10
	ds_bpermute_b32 v27, v111, v5
	s_wait_dscnt 0x8
	v_dual_add_f32 v34, v124, v14 :: v_dual_add_f32 v25, v119, v25
	ds_bpermute_b32 v28, v111, v6
	ds_bpermute_b32 v32, v111, v10
	s_wait_dscnt 0x8
	v_dual_add_f32 v7, v131, v7 :: v_dual_add_f32 v8, v130, v8
	ds_bpermute_b32 v46, v111, v25
	s_wait_dscnt 0x8
	v_add_f32_e32 v42, v120, v21
	ds_bpermute_b32 v31, v111, v9
	s_wait_dscnt 0x8
	v_add_f32_e32 v23, v1, v17
	s_wait_dscnt 0x7
	v_add_f32_e32 v19, v2, v18
	;; [unrolled: 2-line block ×3, first 2 shown]
	ds_bpermute_b32 v1, v112, v117
	ds_bpermute_b32 v3, v112, v116
	s_wait_dscnt 0x7
	v_dual_add_f32 v17, v4, v24 :: v_dual_add_f32 v4, v125, v13
	v_add_f32_e32 v38, v122, v16
	v_add_f32_e32 v40, v121, v20
	;; [unrolled: 1-line block ×3, first 2 shown]
	ds_bpermute_b32 v12, v112, v115
	ds_bpermute_b32 v37, v111, v4
	;; [unrolled: 1-line block ×3, first 2 shown]
	s_wait_dscnt 0x7
	v_dual_add_f32 v24, v5, v27 :: v_dual_add_f32 v15, v10, v32
	ds_bpermute_b32 v35, v111, v2
	ds_bpermute_b32 v13, v112, v114
	;; [unrolled: 1-line block ×6, first 2 shown]
	v_add_f32_e32 v21, v6, v28
	ds_bpermute_b32 v45, v111, v42
	s_wait_dscnt 0xb
	v_add_f32_e32 v1, v117, v1
	s_wait_dscnt 0xa
	v_add_f32_e32 v3, v116, v3
	ds_bpermute_b32 v43, v111, v38
	ds_bpermute_b32 v44, v111, v40
	v_add_f32_e32 v6, v25, v46
	ds_bpermute_b32 v49, v111, v1
	ds_bpermute_b32 v51, v111, v3
	v_add_f32_e32 v26, v118, v26
	s_wait_dscnt 0xd
	v_add_f32_e32 v48, v115, v12
	s_wait_dscnt 0xc
	v_add_f32_e32 v12, v4, v37
	v_add_f32_e32 v16, v9, v31
	s_wait_dscnt 0x8
	v_add_f32_e32 v22, v7, v29
	s_wait_dscnt 0x7
	v_add_f32_e32 v20, v8, v30
	v_and_b32_e32 v29, 0x3c3, v150
	s_wait_dscnt 0x4
	v_add_f32_e32 v7, v42, v45
	s_wait_dscnt 0x1
	v_dual_add_f32 v9, v38, v43 :: v_dual_add_f32 v4, v1, v49
	s_wait_dscnt 0x0
	v_add_f32_e32 v1, v3, v51
	ds_bpermute_b32 v47, v111, v26
	v_dual_add_f32 v14, v11, v33 :: v_dual_add_f32 v11, v34, v39
	s_wait_dscnt 0x0
	v_add_f32_e32 v5, v26, v47
	scratch_load_b32 v26, off, off th:TH_LOAD_LU ; 4-byte Folded Reload
	v_add_f32_e32 v50, v114, v13
	v_add_f32_e32 v13, v2, v35
	ds_bpermute_b32 v27, v111, v48
	s_wait_storecnt 0x0
	s_wait_loadcnt_dscnt 0x0
	s_barrier_signal -1
	s_barrier_wait -1
	global_inv scope:SCOPE_SE
	v_add_f32_e32 v2, v48, v27
	v_mul_u32_u24_e32 v27, 0x300, v151
	v_and_b32_e32 v25, 28, v26
	ds_bpermute_b32 v28, v111, v50
	v_add_f32_e32 v10, v36, v41
	v_add_f32_e32 v8, v40, v44
	v_lshrrev_b32_e32 v26, 2, v26
	v_add_nc_u32_e32 v25, 0x1a0, v25
	s_wait_dscnt 0x0
	v_add_f32_e32 v3, v50, v28
	v_cmpx_eq_u32_e32 64, v29
	s_cbranch_execz .LBB178_90
; %bb.89:
	v_add_nc_u32_e32 v28, v25, v27
	s_delay_alu instid0(VALU_DEP_1)
	v_add_nc_u32_e32 v29, 0xfffffa00, v28
	v_add_nc_u32_e32 v30, 0xfffffa20, v28
	v_add_nc_u32_e32 v31, 0xfffffa40, v28
	v_add_nc_u32_e32 v32, 0xfffffa60, v28
	v_add_nc_u32_e32 v33, 0xfffffa80, v28
	v_add_nc_u32_e32 v34, 0xfffffaa0, v28
	v_add_nc_u32_e32 v35, 0xfffffac0, v28
	v_add_nc_u32_e32 v36, 0xfffffae0, v28
	ds_store_b32 v29, v23
	ds_store_b32 v30, v19
	ds_store_b32 v31, v18
	ds_store_b32 v32, v17
	ds_store_b32 v33, v24
	ds_store_b32 v34, v21
	ds_store_b32 v35, v22
	ds_store_b32 v36, v20
	v_add_nc_u32_e32 v29, 0xfffffb00, v28
	v_add_nc_u32_e32 v30, 0xfffffb20, v28
	v_add_nc_u32_e32 v31, 0xfffffb40, v28
	v_add_nc_u32_e32 v32, 0xfffffb60, v28
	v_add_nc_u32_e32 v33, 0xfffffb80, v28
	v_add_nc_u32_e32 v34, 0xfffffba0, v28
	v_add_nc_u32_e32 v35, 0xfffffbc0, v28
	v_add_nc_u32_e32 v36, 0xfffffbe0, v28
	ds_store_b32 v29, v16
	ds_store_b32 v30, v15
	ds_store_b32 v31, v14
	ds_store_b32 v32, v13
	ds_store_b32 v33, v12
	ds_store_b32 v34, v11
	ds_store_b32 v35, v10
	ds_store_b32 v36, v9
	;; [unrolled: 16-line block ×3, first 2 shown]
.LBB178_90:
	s_wait_alu 0xfffe
	s_or_b32 exec_lo, exec_lo, s0
	v_lshlrev_b32_e32 v26, 2, v26
	v_cmp_eq_u32_e32 vcc_lo, 0, v0
	s_mov_b32 s1, exec_lo
	s_wait_loadcnt_dscnt 0x0
	s_barrier_signal -1
	v_add3_u32 v0, 0x1a0, v27, v26
	s_barrier_wait -1
	global_inv scope:SCOPE_SE
	v_cmpx_gt_u32_e32 64, v150
	s_cbranch_execz .LBB178_117
; %bb.91:
	s_and_saveexec_b32 s0, vcc_lo
	s_cbranch_execnz .LBB178_149
; %bb.92:
	s_wait_alu 0xfffe
	s_or_b32 exec_lo, exec_lo, s0
	s_and_saveexec_b32 s0, vcc_lo
	s_cbranch_execnz .LBB178_150
.LBB178_93:
	s_wait_alu 0xfffe
	s_or_b32 exec_lo, exec_lo, s0
	s_and_saveexec_b32 s0, vcc_lo
	s_cbranch_execnz .LBB178_151
.LBB178_94:
	s_wait_alu 0xfffe
	s_or_b32 exec_lo, exec_lo, s0
	s_and_saveexec_b32 s0, vcc_lo
	s_cbranch_execnz .LBB178_152
.LBB178_95:
	s_wait_alu 0xfffe
	s_or_b32 exec_lo, exec_lo, s0
	s_and_saveexec_b32 s0, vcc_lo
	s_cbranch_execnz .LBB178_153
.LBB178_96:
	s_wait_alu 0xfffe
	s_or_b32 exec_lo, exec_lo, s0
	s_and_saveexec_b32 s0, vcc_lo
	s_cbranch_execnz .LBB178_154
.LBB178_97:
	s_wait_alu 0xfffe
	s_or_b32 exec_lo, exec_lo, s0
	s_and_saveexec_b32 s0, vcc_lo
	s_cbranch_execnz .LBB178_155
.LBB178_98:
	s_wait_alu 0xfffe
	s_or_b32 exec_lo, exec_lo, s0
	s_and_saveexec_b32 s0, vcc_lo
	s_cbranch_execnz .LBB178_156
.LBB178_99:
	s_wait_alu 0xfffe
	s_or_b32 exec_lo, exec_lo, s0
	s_and_saveexec_b32 s0, vcc_lo
	s_cbranch_execnz .LBB178_157
.LBB178_100:
	s_wait_alu 0xfffe
	s_or_b32 exec_lo, exec_lo, s0
	s_and_saveexec_b32 s0, vcc_lo
	s_cbranch_execnz .LBB178_158
.LBB178_101:
	s_wait_alu 0xfffe
	s_or_b32 exec_lo, exec_lo, s0
	s_and_saveexec_b32 s0, vcc_lo
	s_cbranch_execnz .LBB178_159
.LBB178_102:
	s_wait_alu 0xfffe
	s_or_b32 exec_lo, exec_lo, s0
	s_and_saveexec_b32 s0, vcc_lo
	s_cbranch_execnz .LBB178_160
.LBB178_103:
	s_wait_alu 0xfffe
	s_or_b32 exec_lo, exec_lo, s0
	s_and_saveexec_b32 s0, vcc_lo
	s_cbranch_execnz .LBB178_161
.LBB178_104:
	s_wait_alu 0xfffe
	s_or_b32 exec_lo, exec_lo, s0
	s_and_saveexec_b32 s0, vcc_lo
	s_cbranch_execnz .LBB178_162
.LBB178_105:
	s_wait_alu 0xfffe
	s_or_b32 exec_lo, exec_lo, s0
	s_and_saveexec_b32 s0, vcc_lo
	s_cbranch_execnz .LBB178_163
.LBB178_106:
	s_wait_alu 0xfffe
	s_or_b32 exec_lo, exec_lo, s0
	s_and_saveexec_b32 s0, vcc_lo
	s_cbranch_execnz .LBB178_164
.LBB178_107:
	s_wait_alu 0xfffe
	s_or_b32 exec_lo, exec_lo, s0
	s_and_saveexec_b32 s0, vcc_lo
	s_cbranch_execnz .LBB178_165
.LBB178_108:
	s_wait_alu 0xfffe
	s_or_b32 exec_lo, exec_lo, s0
	s_and_saveexec_b32 s0, vcc_lo
	s_cbranch_execnz .LBB178_166
.LBB178_109:
	s_wait_alu 0xfffe
	s_or_b32 exec_lo, exec_lo, s0
	s_and_saveexec_b32 s0, vcc_lo
	s_cbranch_execnz .LBB178_167
.LBB178_110:
	s_wait_alu 0xfffe
	s_or_b32 exec_lo, exec_lo, s0
	s_and_saveexec_b32 s0, vcc_lo
	s_cbranch_execnz .LBB178_168
.LBB178_111:
	s_wait_alu 0xfffe
	s_or_b32 exec_lo, exec_lo, s0
	s_and_saveexec_b32 s0, vcc_lo
	s_cbranch_execnz .LBB178_169
.LBB178_112:
	s_wait_alu 0xfffe
	s_or_b32 exec_lo, exec_lo, s0
	s_and_saveexec_b32 s0, vcc_lo
	s_cbranch_execnz .LBB178_170
.LBB178_113:
	s_wait_alu 0xfffe
	s_or_b32 exec_lo, exec_lo, s0
	s_and_saveexec_b32 s0, vcc_lo
	s_cbranch_execnz .LBB178_171
.LBB178_114:
	s_wait_alu 0xfffe
	s_or_b32 exec_lo, exec_lo, s0
	s_and_saveexec_b32 s0, vcc_lo
	s_cbranch_execz .LBB178_116
.LBB178_115:
	ds_load_b32 v26, v0 offset:736
	s_wait_dscnt 0x0
	v_add_f32_e32 v3, v3, v26
.LBB178_116:
	s_wait_alu 0xfffe
	s_or_b32 exec_lo, exec_lo, s0
.LBB178_117:
	s_wait_alu 0xfffe
	s_or_b32 exec_lo, exec_lo, s1
	v_and_b32_e32 v26, 0x3e3, v150
	s_mov_b32 s1, exec_lo
	s_wait_loadcnt 0x0
	s_barrier_signal -1
	s_barrier_wait -1
	global_inv scope:SCOPE_SE
	v_cmpx_eq_u32_e32 32, v26
	s_cbranch_execz .LBB178_119
; %bb.118:
	ds_store_2addr_b32 v25, v23, v19 offset1:8
	ds_store_2addr_b32 v25, v18, v17 offset0:16 offset1:24
	ds_store_2addr_b32 v25, v24, v21 offset0:32 offset1:40
	;; [unrolled: 1-line block ×11, first 2 shown]
.LBB178_119:
	s_wait_alu 0xfffe
	s_or_b32 exec_lo, exec_lo, s1
	s_delay_alu instid0(SALU_CYCLE_1)
	s_mov_b32 s1, exec_lo
	s_wait_loadcnt_dscnt 0x0
	s_barrier_signal -1
	s_barrier_wait -1
	global_inv scope:SCOPE_SE
	v_cmpx_gt_u32_e32 32, v150
	s_cbranch_execz .LBB178_146
; %bb.120:
	s_and_saveexec_b32 s0, vcc_lo
	s_cbranch_execnz .LBB178_172
; %bb.121:
	s_wait_alu 0xfffe
	s_or_b32 exec_lo, exec_lo, s0
	s_and_saveexec_b32 s0, vcc_lo
	s_cbranch_execnz .LBB178_173
.LBB178_122:
	s_wait_alu 0xfffe
	s_or_b32 exec_lo, exec_lo, s0
	s_and_saveexec_b32 s0, vcc_lo
	s_cbranch_execnz .LBB178_174
.LBB178_123:
	s_wait_alu 0xfffe
	s_or_b32 exec_lo, exec_lo, s0
	s_and_saveexec_b32 s0, vcc_lo
	s_cbranch_execnz .LBB178_175
.LBB178_124:
	s_wait_alu 0xfffe
	s_or_b32 exec_lo, exec_lo, s0
	s_and_saveexec_b32 s0, vcc_lo
	s_cbranch_execnz .LBB178_176
.LBB178_125:
	s_wait_alu 0xfffe
	s_or_b32 exec_lo, exec_lo, s0
	s_and_saveexec_b32 s0, vcc_lo
	s_cbranch_execnz .LBB178_177
.LBB178_126:
	s_wait_alu 0xfffe
	s_or_b32 exec_lo, exec_lo, s0
	s_and_saveexec_b32 s0, vcc_lo
	s_cbranch_execnz .LBB178_178
.LBB178_127:
	s_wait_alu 0xfffe
	s_or_b32 exec_lo, exec_lo, s0
	s_and_saveexec_b32 s0, vcc_lo
	s_cbranch_execnz .LBB178_179
.LBB178_128:
	s_wait_alu 0xfffe
	s_or_b32 exec_lo, exec_lo, s0
	s_and_saveexec_b32 s0, vcc_lo
	s_cbranch_execnz .LBB178_180
.LBB178_129:
	s_wait_alu 0xfffe
	s_or_b32 exec_lo, exec_lo, s0
	s_and_saveexec_b32 s0, vcc_lo
	s_cbranch_execnz .LBB178_181
.LBB178_130:
	s_wait_alu 0xfffe
	s_or_b32 exec_lo, exec_lo, s0
	s_and_saveexec_b32 s0, vcc_lo
	s_cbranch_execnz .LBB178_182
.LBB178_131:
	s_wait_alu 0xfffe
	s_or_b32 exec_lo, exec_lo, s0
	s_and_saveexec_b32 s0, vcc_lo
	s_cbranch_execnz .LBB178_183
.LBB178_132:
	s_wait_alu 0xfffe
	s_or_b32 exec_lo, exec_lo, s0
	s_and_saveexec_b32 s0, vcc_lo
	s_cbranch_execnz .LBB178_184
.LBB178_133:
	s_wait_alu 0xfffe
	s_or_b32 exec_lo, exec_lo, s0
	s_and_saveexec_b32 s0, vcc_lo
	s_cbranch_execnz .LBB178_185
.LBB178_134:
	s_wait_alu 0xfffe
	s_or_b32 exec_lo, exec_lo, s0
	s_and_saveexec_b32 s0, vcc_lo
	s_cbranch_execnz .LBB178_186
.LBB178_135:
	s_wait_alu 0xfffe
	s_or_b32 exec_lo, exec_lo, s0
	s_and_saveexec_b32 s0, vcc_lo
	s_cbranch_execnz .LBB178_187
.LBB178_136:
	s_wait_alu 0xfffe
	s_or_b32 exec_lo, exec_lo, s0
	s_and_saveexec_b32 s0, vcc_lo
	s_cbranch_execnz .LBB178_188
.LBB178_137:
	s_wait_alu 0xfffe
	s_or_b32 exec_lo, exec_lo, s0
	s_and_saveexec_b32 s0, vcc_lo
	s_cbranch_execnz .LBB178_189
.LBB178_138:
	s_wait_alu 0xfffe
	s_or_b32 exec_lo, exec_lo, s0
	s_and_saveexec_b32 s0, vcc_lo
	s_cbranch_execnz .LBB178_190
.LBB178_139:
	s_wait_alu 0xfffe
	s_or_b32 exec_lo, exec_lo, s0
	s_and_saveexec_b32 s0, vcc_lo
	s_cbranch_execnz .LBB178_191
.LBB178_140:
	s_wait_alu 0xfffe
	s_or_b32 exec_lo, exec_lo, s0
	s_and_saveexec_b32 s0, vcc_lo
	s_cbranch_execnz .LBB178_192
.LBB178_141:
	s_wait_alu 0xfffe
	s_or_b32 exec_lo, exec_lo, s0
	s_and_saveexec_b32 s0, vcc_lo
	s_cbranch_execnz .LBB178_193
.LBB178_142:
	s_wait_alu 0xfffe
	s_or_b32 exec_lo, exec_lo, s0
	s_and_saveexec_b32 s0, vcc_lo
	s_cbranch_execnz .LBB178_194
.LBB178_143:
	s_wait_alu 0xfffe
	s_or_b32 exec_lo, exec_lo, s0
	s_and_saveexec_b32 s0, vcc_lo
	s_cbranch_execz .LBB178_145
.LBB178_144:
	ds_load_b32 v0, v0 offset:736
	s_wait_dscnt 0x0
	v_add_f32_e32 v3, v3, v0
.LBB178_145:
	s_wait_alu 0xfffe
	s_or_b32 exec_lo, exec_lo, s0
.LBB178_146:
	s_wait_alu 0xfffe
	s_or_b32 exec_lo, exec_lo, s1
	s_mov_b32 s1, 0
	s_wait_loadcnt 0x0
	s_barrier_signal -1
	s_barrier_wait -1
	global_inv scope:SCOPE_SE
	s_mov_b32 s0, exec_lo
	v_cmpx_eq_u32_e32 0, v26
	s_cbranch_execz .LBB178_148
; %bb.147:
	v_bfe_u32 v0, v23, 16, 1
	v_bfe_u32 v25, v19, 16, 1
	v_or_b32_e32 v27, 0x400000, v23
	v_cmp_u_f32_e32 vcc_lo, v23, v23
	v_or_b32_e32 v28, 0x400000, v19
	v_add3_u32 v0, v0, v23, 0x7fff
	v_add3_u32 v25, v25, v19, 0x7fff
	v_bfe_u32 v29, v18, 16, 1
	v_bfe_u32 v23, v17, 16, 1
	s_mul_i32 s2, s20, 0xc0
	s_wait_alu 0xfffd
	v_cndmask_b32_e32 v0, v0, v27, vcc_lo
	v_cmp_u_f32_e32 vcc_lo, v19, v19
	v_or_b32_e32 v27, 0x400000, v18
	v_add3_u32 v23, v23, v17, 0x7fff
	s_mul_i32 s4, s7, s16
	s_wait_alu 0xfffe
	s_ashr_i32 s3, s2, 31
	s_wait_alu 0xfffd
	v_cndmask_b32_e32 v19, v25, v28, vcc_lo
	v_add3_u32 v25, v29, v18, 0x7fff
	v_cmp_u_f32_e32 vcc_lo, v18, v18
	v_bfe_u32 v28, v24, 16, 1
	v_or_b32_e32 v29, 0x400000, v17
	s_ashr_i32 s5, s4, 31
	s_wait_alu 0xfffe
	s_lshl_b64 s[2:3], s[2:3], 1
	s_wait_alu 0xfffd
	v_cndmask_b32_e32 v18, v25, v27, vcc_lo
	v_cmp_u_f32_e32 vcc_lo, v17, v17
	v_add3_u32 v25, v28, v24, 0x7fff
	v_or_b32_e32 v27, 0x400000, v24
	v_bfe_u32 v28, v22, 16, 1
	s_lshl_b64 s[4:5], s[4:5], 1
	s_wait_alu 0xfffd
	v_cndmask_b32_e32 v17, v23, v29, vcc_lo
	v_bfe_u32 v23, v21, 16, 1
	v_cmp_u_f32_e32 vcc_lo, v24, v24
	v_add3_u32 v28, v28, v22, 0x7fff
	v_or_b32_e32 v29, 0x400000, v22
	s_wait_kmcnt 0x0
	s_wait_alu 0xfffe
	s_add_nc_u64 s[2:3], s[14:15], s[2:3]
	v_add3_u32 v23, v23, v21, 0x7fff
	s_wait_alu 0xfffd
	v_cndmask_b32_e32 v24, v25, v27, vcc_lo
	v_or_b32_e32 v27, 0x400000, v21
	v_cmp_u_f32_e32 vcc_lo, v21, v21
	v_bfe_u32 v25, v20, 16, 1
	v_lshrrev_b32_e32 v26, 1, v150
	v_or_b32_e32 v30, 0x400000, v20
	s_wait_alu 0xfffe
	s_add_nc_u64 s[2:3], s[2:3], s[4:5]
	s_wait_alu 0xfffd
	v_cndmask_b32_e32 v21, v23, v27, vcc_lo
	v_cmp_u_f32_e32 vcc_lo, v22, v22
	v_add3_u32 v25, v25, v20, 0x7fff
	v_bfe_u32 v23, v16, 16, 1
	s_mul_i32 s0, s30, 0x180
	s_wait_alu 0xfffd
	v_cndmask_b32_e32 v22, v28, v29, vcc_lo
	v_cmp_u_f32_e32 vcc_lo, v20, v20
	s_wait_alu 0xfffe
	s_add_nc_u64 s[0:1], s[2:3], s[0:1]
	s_wait_alu 0xfffd
	v_cndmask_b32_e32 v20, v25, v30, vcc_lo
	v_bfe_u32 v25, v15, 16, 1
	s_clause 0x7
	global_store_d16_hi_b16 v26, v0, s[0:1]
	global_store_d16_hi_b16 v26, v19, s[0:1] offset:16
	global_store_d16_hi_b16 v26, v18, s[0:1] offset:32
	;; [unrolled: 1-line block ×7, first 2 shown]
	v_add3_u32 v0, v23, v16, 0x7fff
	v_or_b32_e32 v17, 0x400000, v16
	v_cmp_u_f32_e32 vcc_lo, v16, v16
	v_add3_u32 v18, v25, v15, 0x7fff
	v_or_b32_e32 v19, 0x400000, v15
	v_bfe_u32 v20, v14, 16, 1
	v_bfe_u32 v16, v13, 16, 1
	s_wait_alu 0xfffd
	v_cndmask_b32_e32 v0, v0, v17, vcc_lo
	v_cmp_u_f32_e32 vcc_lo, v15, v15
	v_or_b32_e32 v21, 0x400000, v9
	v_add3_u32 v17, v20, v14, 0x7fff
	v_add3_u32 v16, v16, v13, 0x7fff
	v_or_b32_e32 v20, 0x400000, v13
	s_wait_alu 0xfffd
	v_cndmask_b32_e32 v15, v18, v19, vcc_lo
	v_or_b32_e32 v18, 0x400000, v14
	v_cmp_u_f32_e32 vcc_lo, v14, v14
	v_bfe_u32 v19, v12, 16, 1
	s_wait_alu 0xfffd
	s_delay_alu instid0(VALU_DEP_3) | instskip(SKIP_1) | instid1(VALU_DEP_3)
	v_cndmask_b32_e32 v14, v17, v18, vcc_lo
	v_cmp_u_f32_e32 vcc_lo, v13, v13
	v_add3_u32 v17, v19, v12, 0x7fff
	v_or_b32_e32 v18, 0x400000, v12
	v_bfe_u32 v19, v10, 16, 1
	s_wait_alu 0xfffd
	v_cndmask_b32_e32 v13, v16, v20, vcc_lo
	v_bfe_u32 v16, v11, 16, 1
	v_cmp_u_f32_e32 vcc_lo, v12, v12
	v_add3_u32 v19, v19, v10, 0x7fff
	v_or_b32_e32 v20, 0x400000, v10
	s_delay_alu instid0(VALU_DEP_4)
	v_add3_u32 v16, v16, v11, 0x7fff
	s_wait_alu 0xfffd
	v_cndmask_b32_e32 v12, v17, v18, vcc_lo
	v_or_b32_e32 v18, 0x400000, v11
	v_cmp_u_f32_e32 vcc_lo, v11, v11
	v_bfe_u32 v17, v9, 16, 1
	s_wait_alu 0xfffd
	s_delay_alu instid0(VALU_DEP_3) | instskip(SKIP_1) | instid1(VALU_DEP_3)
	v_cndmask_b32_e32 v11, v16, v18, vcc_lo
	v_cmp_u_f32_e32 vcc_lo, v10, v10
	v_add3_u32 v17, v17, v9, 0x7fff
	v_bfe_u32 v16, v8, 16, 1
	s_wait_alu 0xfffd
	v_cndmask_b32_e32 v10, v19, v20, vcc_lo
	v_cmp_u_f32_e32 vcc_lo, v9, v9
	s_wait_alu 0xfffd
	v_cndmask_b32_e32 v9, v17, v21, vcc_lo
	v_bfe_u32 v17, v7, 16, 1
	s_clause 0x7
	global_store_d16_hi_b16 v26, v0, s[0:1] offset:128
	global_store_d16_hi_b16 v26, v15, s[0:1] offset:144
	;; [unrolled: 1-line block ×8, first 2 shown]
	v_add3_u32 v0, v16, v8, 0x7fff
	v_or_b32_e32 v9, 0x400000, v8
	v_cmp_u_f32_e32 vcc_lo, v8, v8
	v_add3_u32 v10, v17, v7, 0x7fff
	v_or_b32_e32 v11, 0x400000, v7
	v_bfe_u32 v12, v6, 16, 1
	v_bfe_u32 v8, v5, 16, 1
	s_wait_alu 0xfffd
	v_cndmask_b32_e32 v0, v0, v9, vcc_lo
	v_cmp_u_f32_e32 vcc_lo, v7, v7
	v_or_b32_e32 v13, 0x400000, v3
	v_add3_u32 v9, v12, v6, 0x7fff
	v_add3_u32 v8, v8, v5, 0x7fff
	v_or_b32_e32 v12, 0x400000, v5
	s_wait_alu 0xfffd
	v_cndmask_b32_e32 v7, v10, v11, vcc_lo
	v_or_b32_e32 v10, 0x400000, v6
	v_cmp_u_f32_e32 vcc_lo, v6, v6
	v_bfe_u32 v11, v4, 16, 1
	s_wait_alu 0xfffd
	s_delay_alu instid0(VALU_DEP_3) | instskip(SKIP_1) | instid1(VALU_DEP_3)
	v_cndmask_b32_e32 v6, v9, v10, vcc_lo
	v_cmp_u_f32_e32 vcc_lo, v5, v5
	v_add3_u32 v9, v11, v4, 0x7fff
	v_or_b32_e32 v10, 0x400000, v4
	v_bfe_u32 v11, v2, 16, 1
	s_wait_alu 0xfffd
	v_cndmask_b32_e32 v5, v8, v12, vcc_lo
	v_bfe_u32 v8, v1, 16, 1
	v_cmp_u_f32_e32 vcc_lo, v4, v4
	v_add3_u32 v11, v11, v2, 0x7fff
	v_or_b32_e32 v12, 0x400000, v2
	s_delay_alu instid0(VALU_DEP_4)
	v_add3_u32 v8, v8, v1, 0x7fff
	s_wait_alu 0xfffd
	v_cndmask_b32_e32 v4, v9, v10, vcc_lo
	v_or_b32_e32 v10, 0x400000, v1
	v_cmp_u_f32_e32 vcc_lo, v1, v1
	v_bfe_u32 v9, v3, 16, 1
	s_wait_alu 0xfffd
	s_delay_alu instid0(VALU_DEP_3) | instskip(SKIP_1) | instid1(VALU_DEP_3)
	v_cndmask_b32_e32 v1, v8, v10, vcc_lo
	v_cmp_u_f32_e32 vcc_lo, v2, v2
	v_add3_u32 v9, v9, v3, 0x7fff
	s_wait_alu 0xfffd
	v_cndmask_b32_e32 v2, v11, v12, vcc_lo
	v_cmp_u_f32_e32 vcc_lo, v3, v3
	s_wait_alu 0xfffd
	v_cndmask_b32_e32 v3, v9, v13, vcc_lo
	s_clause 0x7
	global_store_d16_hi_b16 v26, v0, s[0:1] offset:256
	global_store_d16_hi_b16 v26, v7, s[0:1] offset:272
	;; [unrolled: 1-line block ×8, first 2 shown]
.LBB178_148:
	s_nop 0
	s_sendmsg sendmsg(MSG_DEALLOC_VGPRS)
	s_endpgm
.LBB178_149:
	ds_load_b32 v26, v0
	s_wait_dscnt 0x0
	v_add_f32_e32 v23, v23, v26
	s_wait_alu 0xfffe
	s_or_b32 exec_lo, exec_lo, s0
	s_and_saveexec_b32 s0, vcc_lo
	s_cbranch_execz .LBB178_93
.LBB178_150:
	ds_load_b32 v26, v0 offset:32
	s_wait_dscnt 0x0
	v_add_f32_e32 v19, v19, v26
	s_wait_alu 0xfffe
	s_or_b32 exec_lo, exec_lo, s0
	s_and_saveexec_b32 s0, vcc_lo
	s_cbranch_execz .LBB178_94
.LBB178_151:
	ds_load_b32 v26, v0 offset:64
	s_wait_dscnt 0x0
	v_add_f32_e32 v18, v18, v26
	s_wait_alu 0xfffe
	s_or_b32 exec_lo, exec_lo, s0
	s_and_saveexec_b32 s0, vcc_lo
	s_cbranch_execz .LBB178_95
.LBB178_152:
	ds_load_b32 v26, v0 offset:96
	s_wait_dscnt 0x0
	v_add_f32_e32 v17, v17, v26
	s_wait_alu 0xfffe
	s_or_b32 exec_lo, exec_lo, s0
	s_and_saveexec_b32 s0, vcc_lo
	s_cbranch_execz .LBB178_96
.LBB178_153:
	ds_load_b32 v26, v0 offset:128
	s_wait_dscnt 0x0
	v_add_f32_e32 v24, v24, v26
	s_wait_alu 0xfffe
	s_or_b32 exec_lo, exec_lo, s0
	s_and_saveexec_b32 s0, vcc_lo
	s_cbranch_execz .LBB178_97
.LBB178_154:
	ds_load_b32 v26, v0 offset:160
	s_wait_dscnt 0x0
	v_add_f32_e32 v21, v21, v26
	s_wait_alu 0xfffe
	s_or_b32 exec_lo, exec_lo, s0
	s_and_saveexec_b32 s0, vcc_lo
	s_cbranch_execz .LBB178_98
.LBB178_155:
	ds_load_b32 v26, v0 offset:192
	s_wait_dscnt 0x0
	v_add_f32_e32 v22, v22, v26
	s_wait_alu 0xfffe
	s_or_b32 exec_lo, exec_lo, s0
	s_and_saveexec_b32 s0, vcc_lo
	s_cbranch_execz .LBB178_99
.LBB178_156:
	ds_load_b32 v26, v0 offset:224
	s_wait_dscnt 0x0
	v_add_f32_e32 v20, v20, v26
	s_wait_alu 0xfffe
	s_or_b32 exec_lo, exec_lo, s0
	s_and_saveexec_b32 s0, vcc_lo
	s_cbranch_execz .LBB178_100
.LBB178_157:
	ds_load_b32 v26, v0 offset:256
	s_wait_dscnt 0x0
	v_add_f32_e32 v16, v16, v26
	s_wait_alu 0xfffe
	s_or_b32 exec_lo, exec_lo, s0
	s_and_saveexec_b32 s0, vcc_lo
	s_cbranch_execz .LBB178_101
.LBB178_158:
	ds_load_b32 v26, v0 offset:288
	s_wait_dscnt 0x0
	v_add_f32_e32 v15, v15, v26
	s_wait_alu 0xfffe
	s_or_b32 exec_lo, exec_lo, s0
	s_and_saveexec_b32 s0, vcc_lo
	s_cbranch_execz .LBB178_102
.LBB178_159:
	ds_load_b32 v26, v0 offset:320
	s_wait_dscnt 0x0
	v_add_f32_e32 v14, v14, v26
	s_wait_alu 0xfffe
	s_or_b32 exec_lo, exec_lo, s0
	s_and_saveexec_b32 s0, vcc_lo
	s_cbranch_execz .LBB178_103
.LBB178_160:
	ds_load_b32 v26, v0 offset:352
	s_wait_dscnt 0x0
	v_add_f32_e32 v13, v13, v26
	s_wait_alu 0xfffe
	s_or_b32 exec_lo, exec_lo, s0
	s_and_saveexec_b32 s0, vcc_lo
	s_cbranch_execz .LBB178_104
.LBB178_161:
	ds_load_b32 v26, v0 offset:384
	s_wait_dscnt 0x0
	v_add_f32_e32 v12, v12, v26
	s_wait_alu 0xfffe
	s_or_b32 exec_lo, exec_lo, s0
	s_and_saveexec_b32 s0, vcc_lo
	s_cbranch_execz .LBB178_105
.LBB178_162:
	ds_load_b32 v26, v0 offset:416
	s_wait_dscnt 0x0
	v_add_f32_e32 v11, v11, v26
	s_wait_alu 0xfffe
	s_or_b32 exec_lo, exec_lo, s0
	s_and_saveexec_b32 s0, vcc_lo
	s_cbranch_execz .LBB178_106
.LBB178_163:
	ds_load_b32 v26, v0 offset:448
	s_wait_dscnt 0x0
	v_add_f32_e32 v10, v10, v26
	s_wait_alu 0xfffe
	s_or_b32 exec_lo, exec_lo, s0
	s_and_saveexec_b32 s0, vcc_lo
	s_cbranch_execz .LBB178_107
.LBB178_164:
	ds_load_b32 v26, v0 offset:480
	s_wait_dscnt 0x0
	v_add_f32_e32 v9, v9, v26
	s_wait_alu 0xfffe
	s_or_b32 exec_lo, exec_lo, s0
	s_and_saveexec_b32 s0, vcc_lo
	s_cbranch_execz .LBB178_108
.LBB178_165:
	ds_load_b32 v26, v0 offset:512
	s_wait_dscnt 0x0
	v_add_f32_e32 v8, v8, v26
	s_wait_alu 0xfffe
	s_or_b32 exec_lo, exec_lo, s0
	s_and_saveexec_b32 s0, vcc_lo
	s_cbranch_execz .LBB178_109
.LBB178_166:
	ds_load_b32 v26, v0 offset:544
	s_wait_dscnt 0x0
	v_add_f32_e32 v7, v7, v26
	s_wait_alu 0xfffe
	s_or_b32 exec_lo, exec_lo, s0
	s_and_saveexec_b32 s0, vcc_lo
	s_cbranch_execz .LBB178_110
.LBB178_167:
	ds_load_b32 v26, v0 offset:576
	s_wait_dscnt 0x0
	v_add_f32_e32 v6, v6, v26
	s_wait_alu 0xfffe
	s_or_b32 exec_lo, exec_lo, s0
	s_and_saveexec_b32 s0, vcc_lo
	s_cbranch_execz .LBB178_111
.LBB178_168:
	ds_load_b32 v26, v0 offset:608
	s_wait_dscnt 0x0
	v_add_f32_e32 v5, v5, v26
	s_wait_alu 0xfffe
	s_or_b32 exec_lo, exec_lo, s0
	s_and_saveexec_b32 s0, vcc_lo
	s_cbranch_execz .LBB178_112
.LBB178_169:
	ds_load_b32 v26, v0 offset:640
	s_wait_dscnt 0x0
	v_add_f32_e32 v4, v4, v26
	s_wait_alu 0xfffe
	s_or_b32 exec_lo, exec_lo, s0
	s_and_saveexec_b32 s0, vcc_lo
	s_cbranch_execz .LBB178_113
.LBB178_170:
	ds_load_b32 v26, v0 offset:672
	s_wait_dscnt 0x0
	v_add_f32_e32 v1, v1, v26
	s_wait_alu 0xfffe
	s_or_b32 exec_lo, exec_lo, s0
	s_and_saveexec_b32 s0, vcc_lo
	s_cbranch_execz .LBB178_114
.LBB178_171:
	ds_load_b32 v26, v0 offset:704
	s_wait_dscnt 0x0
	v_add_f32_e32 v2, v2, v26
	s_wait_alu 0xfffe
	s_or_b32 exec_lo, exec_lo, s0
	s_and_saveexec_b32 s0, vcc_lo
	s_cbranch_execnz .LBB178_115
	s_branch .LBB178_116
.LBB178_172:
	ds_load_b32 v25, v0
	s_wait_dscnt 0x0
	v_add_f32_e32 v23, v23, v25
	s_wait_alu 0xfffe
	s_or_b32 exec_lo, exec_lo, s0
	s_and_saveexec_b32 s0, vcc_lo
	s_cbranch_execz .LBB178_122
.LBB178_173:
	ds_load_b32 v25, v0 offset:32
	s_wait_dscnt 0x0
	v_add_f32_e32 v19, v19, v25
	s_wait_alu 0xfffe
	s_or_b32 exec_lo, exec_lo, s0
	s_and_saveexec_b32 s0, vcc_lo
	s_cbranch_execz .LBB178_123
.LBB178_174:
	ds_load_b32 v25, v0 offset:64
	s_wait_dscnt 0x0
	v_add_f32_e32 v18, v18, v25
	s_wait_alu 0xfffe
	s_or_b32 exec_lo, exec_lo, s0
	s_and_saveexec_b32 s0, vcc_lo
	s_cbranch_execz .LBB178_124
.LBB178_175:
	ds_load_b32 v25, v0 offset:96
	s_wait_dscnt 0x0
	v_add_f32_e32 v17, v17, v25
	s_wait_alu 0xfffe
	s_or_b32 exec_lo, exec_lo, s0
	s_and_saveexec_b32 s0, vcc_lo
	s_cbranch_execz .LBB178_125
.LBB178_176:
	ds_load_b32 v25, v0 offset:128
	s_wait_dscnt 0x0
	v_add_f32_e32 v24, v24, v25
	s_wait_alu 0xfffe
	s_or_b32 exec_lo, exec_lo, s0
	s_and_saveexec_b32 s0, vcc_lo
	s_cbranch_execz .LBB178_126
.LBB178_177:
	ds_load_b32 v25, v0 offset:160
	s_wait_dscnt 0x0
	v_add_f32_e32 v21, v21, v25
	s_wait_alu 0xfffe
	s_or_b32 exec_lo, exec_lo, s0
	s_and_saveexec_b32 s0, vcc_lo
	s_cbranch_execz .LBB178_127
.LBB178_178:
	ds_load_b32 v25, v0 offset:192
	s_wait_dscnt 0x0
	v_add_f32_e32 v22, v22, v25
	s_wait_alu 0xfffe
	s_or_b32 exec_lo, exec_lo, s0
	s_and_saveexec_b32 s0, vcc_lo
	s_cbranch_execz .LBB178_128
.LBB178_179:
	ds_load_b32 v25, v0 offset:224
	s_wait_dscnt 0x0
	v_add_f32_e32 v20, v20, v25
	s_wait_alu 0xfffe
	s_or_b32 exec_lo, exec_lo, s0
	s_and_saveexec_b32 s0, vcc_lo
	s_cbranch_execz .LBB178_129
.LBB178_180:
	ds_load_b32 v25, v0 offset:256
	s_wait_dscnt 0x0
	v_add_f32_e32 v16, v16, v25
	s_wait_alu 0xfffe
	s_or_b32 exec_lo, exec_lo, s0
	s_and_saveexec_b32 s0, vcc_lo
	s_cbranch_execz .LBB178_130
.LBB178_181:
	ds_load_b32 v25, v0 offset:288
	s_wait_dscnt 0x0
	v_add_f32_e32 v15, v15, v25
	s_wait_alu 0xfffe
	s_or_b32 exec_lo, exec_lo, s0
	s_and_saveexec_b32 s0, vcc_lo
	s_cbranch_execz .LBB178_131
.LBB178_182:
	ds_load_b32 v25, v0 offset:320
	s_wait_dscnt 0x0
	v_add_f32_e32 v14, v14, v25
	s_wait_alu 0xfffe
	s_or_b32 exec_lo, exec_lo, s0
	s_and_saveexec_b32 s0, vcc_lo
	s_cbranch_execz .LBB178_132
.LBB178_183:
	ds_load_b32 v25, v0 offset:352
	s_wait_dscnt 0x0
	v_add_f32_e32 v13, v13, v25
	s_wait_alu 0xfffe
	s_or_b32 exec_lo, exec_lo, s0
	s_and_saveexec_b32 s0, vcc_lo
	s_cbranch_execz .LBB178_133
.LBB178_184:
	ds_load_b32 v25, v0 offset:384
	s_wait_dscnt 0x0
	v_add_f32_e32 v12, v12, v25
	s_wait_alu 0xfffe
	s_or_b32 exec_lo, exec_lo, s0
	s_and_saveexec_b32 s0, vcc_lo
	s_cbranch_execz .LBB178_134
.LBB178_185:
	ds_load_b32 v25, v0 offset:416
	s_wait_dscnt 0x0
	v_add_f32_e32 v11, v11, v25
	s_wait_alu 0xfffe
	s_or_b32 exec_lo, exec_lo, s0
	s_and_saveexec_b32 s0, vcc_lo
	s_cbranch_execz .LBB178_135
.LBB178_186:
	ds_load_b32 v25, v0 offset:448
	s_wait_dscnt 0x0
	v_add_f32_e32 v10, v10, v25
	s_wait_alu 0xfffe
	s_or_b32 exec_lo, exec_lo, s0
	s_and_saveexec_b32 s0, vcc_lo
	s_cbranch_execz .LBB178_136
.LBB178_187:
	ds_load_b32 v25, v0 offset:480
	s_wait_dscnt 0x0
	v_add_f32_e32 v9, v9, v25
	s_wait_alu 0xfffe
	s_or_b32 exec_lo, exec_lo, s0
	s_and_saveexec_b32 s0, vcc_lo
	s_cbranch_execz .LBB178_137
.LBB178_188:
	ds_load_b32 v25, v0 offset:512
	s_wait_dscnt 0x0
	v_add_f32_e32 v8, v8, v25
	s_wait_alu 0xfffe
	s_or_b32 exec_lo, exec_lo, s0
	s_and_saveexec_b32 s0, vcc_lo
	s_cbranch_execz .LBB178_138
.LBB178_189:
	ds_load_b32 v25, v0 offset:544
	s_wait_dscnt 0x0
	v_add_f32_e32 v7, v7, v25
	s_wait_alu 0xfffe
	s_or_b32 exec_lo, exec_lo, s0
	s_and_saveexec_b32 s0, vcc_lo
	s_cbranch_execz .LBB178_139
.LBB178_190:
	ds_load_b32 v25, v0 offset:576
	s_wait_dscnt 0x0
	v_add_f32_e32 v6, v6, v25
	s_wait_alu 0xfffe
	s_or_b32 exec_lo, exec_lo, s0
	s_and_saveexec_b32 s0, vcc_lo
	s_cbranch_execz .LBB178_140
.LBB178_191:
	ds_load_b32 v25, v0 offset:608
	s_wait_dscnt 0x0
	v_add_f32_e32 v5, v5, v25
	s_wait_alu 0xfffe
	s_or_b32 exec_lo, exec_lo, s0
	s_and_saveexec_b32 s0, vcc_lo
	s_cbranch_execz .LBB178_141
.LBB178_192:
	ds_load_b32 v25, v0 offset:640
	s_wait_dscnt 0x0
	v_add_f32_e32 v4, v4, v25
	s_wait_alu 0xfffe
	s_or_b32 exec_lo, exec_lo, s0
	s_and_saveexec_b32 s0, vcc_lo
	s_cbranch_execz .LBB178_142
.LBB178_193:
	ds_load_b32 v25, v0 offset:672
	s_wait_dscnt 0x0
	v_add_f32_e32 v1, v1, v25
	s_wait_alu 0xfffe
	s_or_b32 exec_lo, exec_lo, s0
	s_and_saveexec_b32 s0, vcc_lo
	s_cbranch_execz .LBB178_143
.LBB178_194:
	ds_load_b32 v25, v0 offset:704
	s_wait_dscnt 0x0
	v_add_f32_e32 v2, v2, v25
	s_wait_alu 0xfffe
	s_or_b32 exec_lo, exec_lo, s0
	s_and_saveexec_b32 s0, vcc_lo
	s_cbranch_execnz .LBB178_144
	s_branch .LBB178_145
	.section	.rodata,"a",@progbits
	.p2align	6, 0x0
	.amdhsa_kernel _ZN4vllm25paged_attention_v2_kernelI14__hip_bfloat16S1_Li192ELi32ELi128ELNS_18Fp8KVCacheDataTypeE0ELb1ELi512EEEvPfS3_PT_PKS4_PKT0_SA_ifPKiSC_iPKfiiiSE_SE_iiiii
		.amdhsa_group_segment_fixed_size 416
		.amdhsa_private_segment_fixed_size 336
		.amdhsa_kernarg_size 400
		.amdhsa_user_sgpr_count 2
		.amdhsa_user_sgpr_dispatch_ptr 0
		.amdhsa_user_sgpr_queue_ptr 0
		.amdhsa_user_sgpr_kernarg_segment_ptr 1
		.amdhsa_user_sgpr_dispatch_id 0
		.amdhsa_user_sgpr_private_segment_size 0
		.amdhsa_wavefront_size32 1
		.amdhsa_uses_dynamic_stack 0
		.amdhsa_enable_private_segment 1
		.amdhsa_system_sgpr_workgroup_id_x 1
		.amdhsa_system_sgpr_workgroup_id_y 1
		.amdhsa_system_sgpr_workgroup_id_z 1
		.amdhsa_system_sgpr_workgroup_info 0
		.amdhsa_system_vgpr_workitem_id 0
		.amdhsa_next_free_vgpr 192
		.amdhsa_next_free_sgpr 42
		.amdhsa_reserve_vcc 1
		.amdhsa_float_round_mode_32 0
		.amdhsa_float_round_mode_16_64 0
		.amdhsa_float_denorm_mode_32 3
		.amdhsa_float_denorm_mode_16_64 3
		.amdhsa_fp16_overflow 0
		.amdhsa_workgroup_processor_mode 1
		.amdhsa_memory_ordered 1
		.amdhsa_forward_progress 1
		.amdhsa_inst_pref_size 255
		.amdhsa_round_robin_scheduling 0
		.amdhsa_exception_fp_ieee_invalid_op 0
		.amdhsa_exception_fp_denorm_src 0
		.amdhsa_exception_fp_ieee_div_zero 0
		.amdhsa_exception_fp_ieee_overflow 0
		.amdhsa_exception_fp_ieee_underflow 0
		.amdhsa_exception_fp_ieee_inexact 0
		.amdhsa_exception_int_div_zero 0
	.end_amdhsa_kernel
	.section	.text._ZN4vllm25paged_attention_v2_kernelI14__hip_bfloat16S1_Li192ELi32ELi128ELNS_18Fp8KVCacheDataTypeE0ELb1ELi512EEEvPfS3_PT_PKS4_PKT0_SA_ifPKiSC_iPKfiiiSE_SE_iiiii,"axG",@progbits,_ZN4vllm25paged_attention_v2_kernelI14__hip_bfloat16S1_Li192ELi32ELi128ELNS_18Fp8KVCacheDataTypeE0ELb1ELi512EEEvPfS3_PT_PKS4_PKT0_SA_ifPKiSC_iPKfiiiSE_SE_iiiii,comdat
.Lfunc_end178:
	.size	_ZN4vllm25paged_attention_v2_kernelI14__hip_bfloat16S1_Li192ELi32ELi128ELNS_18Fp8KVCacheDataTypeE0ELb1ELi512EEEvPfS3_PT_PKS4_PKT0_SA_ifPKiSC_iPKfiiiSE_SE_iiiii, .Lfunc_end178-_ZN4vllm25paged_attention_v2_kernelI14__hip_bfloat16S1_Li192ELi32ELi128ELNS_18Fp8KVCacheDataTypeE0ELb1ELi512EEEvPfS3_PT_PKS4_PKT0_SA_ifPKiSC_iPKfiiiSE_SE_iiiii
                                        ; -- End function
	.set _ZN4vllm25paged_attention_v2_kernelI14__hip_bfloat16S1_Li192ELi32ELi128ELNS_18Fp8KVCacheDataTypeE0ELb1ELi512EEEvPfS3_PT_PKS4_PKT0_SA_ifPKiSC_iPKfiiiSE_SE_iiiii.num_vgpr, 192
	.set _ZN4vllm25paged_attention_v2_kernelI14__hip_bfloat16S1_Li192ELi32ELi128ELNS_18Fp8KVCacheDataTypeE0ELb1ELi512EEEvPfS3_PT_PKS4_PKT0_SA_ifPKiSC_iPKfiiiSE_SE_iiiii.num_agpr, 0
	.set _ZN4vllm25paged_attention_v2_kernelI14__hip_bfloat16S1_Li192ELi32ELi128ELNS_18Fp8KVCacheDataTypeE0ELb1ELi512EEEvPfS3_PT_PKS4_PKT0_SA_ifPKiSC_iPKfiiiSE_SE_iiiii.numbered_sgpr, 42
	.set _ZN4vllm25paged_attention_v2_kernelI14__hip_bfloat16S1_Li192ELi32ELi128ELNS_18Fp8KVCacheDataTypeE0ELb1ELi512EEEvPfS3_PT_PKS4_PKT0_SA_ifPKiSC_iPKfiiiSE_SE_iiiii.num_named_barrier, 0
	.set _ZN4vllm25paged_attention_v2_kernelI14__hip_bfloat16S1_Li192ELi32ELi128ELNS_18Fp8KVCacheDataTypeE0ELb1ELi512EEEvPfS3_PT_PKS4_PKT0_SA_ifPKiSC_iPKfiiiSE_SE_iiiii.private_seg_size, 336
	.set _ZN4vllm25paged_attention_v2_kernelI14__hip_bfloat16S1_Li192ELi32ELi128ELNS_18Fp8KVCacheDataTypeE0ELb1ELi512EEEvPfS3_PT_PKS4_PKT0_SA_ifPKiSC_iPKfiiiSE_SE_iiiii.uses_vcc, 1
	.set _ZN4vllm25paged_attention_v2_kernelI14__hip_bfloat16S1_Li192ELi32ELi128ELNS_18Fp8KVCacheDataTypeE0ELb1ELi512EEEvPfS3_PT_PKS4_PKT0_SA_ifPKiSC_iPKfiiiSE_SE_iiiii.uses_flat_scratch, 1
	.set _ZN4vllm25paged_attention_v2_kernelI14__hip_bfloat16S1_Li192ELi32ELi128ELNS_18Fp8KVCacheDataTypeE0ELb1ELi512EEEvPfS3_PT_PKS4_PKT0_SA_ifPKiSC_iPKfiiiSE_SE_iiiii.has_dyn_sized_stack, 0
	.set _ZN4vllm25paged_attention_v2_kernelI14__hip_bfloat16S1_Li192ELi32ELi128ELNS_18Fp8KVCacheDataTypeE0ELb1ELi512EEEvPfS3_PT_PKS4_PKT0_SA_ifPKiSC_iPKfiiiSE_SE_iiiii.has_recursion, 0
	.set _ZN4vllm25paged_attention_v2_kernelI14__hip_bfloat16S1_Li192ELi32ELi128ELNS_18Fp8KVCacheDataTypeE0ELb1ELi512EEEvPfS3_PT_PKS4_PKT0_SA_ifPKiSC_iPKfiiiSE_SE_iiiii.has_indirect_call, 0
	.section	.AMDGPU.csdata,"",@progbits
; Kernel info:
; codeLenInByte = 35384
; TotalNumSgprs: 44
; NumVgprs: 192
; ScratchSize: 336
; MemoryBound: 0
; FloatMode: 240
; IeeeMode: 1
; LDSByteSize: 416 bytes/workgroup (compile time only)
; SGPRBlocks: 0
; VGPRBlocks: 23
; NumSGPRsForWavesPerEU: 44
; NumVGPRsForWavesPerEU: 192
; Occupancy: 8
; WaveLimiterHint : 1
; COMPUTE_PGM_RSRC2:SCRATCH_EN: 1
; COMPUTE_PGM_RSRC2:USER_SGPR: 2
; COMPUTE_PGM_RSRC2:TRAP_HANDLER: 0
; COMPUTE_PGM_RSRC2:TGID_X_EN: 1
; COMPUTE_PGM_RSRC2:TGID_Y_EN: 1
; COMPUTE_PGM_RSRC2:TGID_Z_EN: 1
; COMPUTE_PGM_RSRC2:TIDIG_COMP_CNT: 0
	.section	.text._ZN4vllm25paged_attention_v2_kernelI14__hip_bfloat16S1_Li256ELi32ELi128ELNS_18Fp8KVCacheDataTypeE0ELb1ELi512EEEvPfS3_PT_PKS4_PKT0_SA_ifPKiSC_iPKfiiiSE_SE_iiiii,"axG",@progbits,_ZN4vllm25paged_attention_v2_kernelI14__hip_bfloat16S1_Li256ELi32ELi128ELNS_18Fp8KVCacheDataTypeE0ELb1ELi512EEEvPfS3_PT_PKS4_PKT0_SA_ifPKiSC_iPKfiiiSE_SE_iiiii,comdat
	.protected	_ZN4vllm25paged_attention_v2_kernelI14__hip_bfloat16S1_Li256ELi32ELi128ELNS_18Fp8KVCacheDataTypeE0ELb1ELi512EEEvPfS3_PT_PKS4_PKT0_SA_ifPKiSC_iPKfiiiSE_SE_iiiii ; -- Begin function _ZN4vllm25paged_attention_v2_kernelI14__hip_bfloat16S1_Li256ELi32ELi128ELNS_18Fp8KVCacheDataTypeE0ELb1ELi512EEEvPfS3_PT_PKS4_PKT0_SA_ifPKiSC_iPKfiiiSE_SE_iiiii
	.globl	_ZN4vllm25paged_attention_v2_kernelI14__hip_bfloat16S1_Li256ELi32ELi128ELNS_18Fp8KVCacheDataTypeE0ELb1ELi512EEEvPfS3_PT_PKS4_PKT0_SA_ifPKiSC_iPKfiiiSE_SE_iiiii
	.p2align	8
	.type	_ZN4vllm25paged_attention_v2_kernelI14__hip_bfloat16S1_Li256ELi32ELi128ELNS_18Fp8KVCacheDataTypeE0ELb1ELi512EEEvPfS3_PT_PKS4_PKT0_SA_ifPKiSC_iPKfiiiSE_SE_iiiii,@function
_ZN4vllm25paged_attention_v2_kernelI14__hip_bfloat16S1_Li256ELi32ELi128ELNS_18Fp8KVCacheDataTypeE0ELb1ELi512EEEvPfS3_PT_PKS4_PKT0_SA_ifPKiSC_iPKfiiiSE_SE_iiiii: ; @_ZN4vllm25paged_attention_v2_kernelI14__hip_bfloat16S1_Li256ELi32ELi128ELNS_18Fp8KVCacheDataTypeE0ELb1ELi512EEEvPfS3_PT_PKS4_PKT0_SA_ifPKiSC_iPKfiiiSE_SE_iiiii
; %bb.0:
	s_load_b64 s[2:3], s[0:1], 0x40
	s_and_b32 s35, ttmp7, 0xffff
	s_lshr_b32 s34, ttmp7, 16
	s_lshl_b32 s4, s35, 2
	s_lshl_b32 s6, s34, 9
	s_wait_kmcnt 0x0
	s_load_b32 s7, s[2:3], s4 offset:0x0
	s_wait_kmcnt 0x0
	s_cmp_ge_i32 s6, s7
	s_cbranch_scc1 .LBB179_180
; %bb.1:
	s_clause 0x1
	s_load_b32 s36, s[0:1], 0x90
	s_load_b64 s[12:13], s[0:1], 0x30
	v_mov_b32_e32 v58, v0
	s_wait_kmcnt 0x0
	s_abs_i32 s5, s36
	s_abs_i32 s2, s12
	s_delay_alu instid0(SALU_CYCLE_1) | instskip(SKIP_1) | instid1(SALU_CYCLE_2)
	s_cvt_f32_u32 s3, s2
	s_sub_co_i32 s4, 0, s2
	v_rcp_iflag_f32_e32 v0, s3
	s_delay_alu instid0(TRANS32_DEP_1) | instskip(SKIP_2) | instid1(SALU_CYCLE_2)
	v_readfirstlane_b32 s3, v0
	s_mul_f32 s3, s3, 0x4f7ffffe
	s_wait_alu 0xfffe
	s_cvt_u32_f32 s3, s3
	s_wait_alu 0xfffe
	s_delay_alu instid0(SALU_CYCLE_2) | instskip(NEXT) | instid1(SALU_CYCLE_1)
	s_mul_i32 s4, s4, s3
	s_mul_hi_u32 s4, s3, s4
	s_delay_alu instid0(SALU_CYCLE_1)
	s_add_co_i32 s3, s3, s4
	s_xor_b32 s4, s36, s12
	s_wait_alu 0xfffe
	s_mul_hi_u32 s3, s5, s3
	s_ashr_i32 s4, s4, 31
	s_wait_alu 0xfffe
	s_mul_i32 s8, s3, s2
	s_delay_alu instid0(SALU_CYCLE_1)
	s_sub_co_i32 s5, s5, s8
	s_add_co_i32 s8, s3, 1
	s_sub_co_i32 s9, s5, s2
	s_cmp_ge_u32 s5, s2
	s_cselect_b32 s3, s8, s3
	s_cselect_b32 s5, s9, s5
	s_wait_alu 0xfffe
	s_add_co_i32 s8, s3, 1
	s_cmp_ge_u32 s5, s2
	s_mov_b32 s5, 0
	s_cselect_b32 s2, s8, s3
	s_load_b64 s[8:9], s[0:1], 0x50
	s_xor_b32 s2, s2, s4
	s_mov_b32 s19, s5
	s_wait_alu 0xfffe
	s_sub_co_i32 s10, s2, s4
	s_abs_i32 s4, ttmp9
	s_abs_i32 s14, s10
	s_delay_alu instid0(SALU_CYCLE_1) | instskip(SKIP_2) | instid1(SALU_CYCLE_1)
	s_cvt_f32_u32 s2, s14
	s_sub_co_i32 s3, 0, s14
	s_wait_alu 0xfffe
	v_rcp_iflag_f32_e32 v0, s2
	s_delay_alu instid0(TRANS32_DEP_1) | instskip(SKIP_2) | instid1(SALU_CYCLE_2)
	v_readfirstlane_b32 s2, v0
	s_mul_f32 s2, s2, 0x4f7ffffe
	s_wait_alu 0xfffe
	s_cvt_u32_f32 s2, s2
	s_wait_alu 0xfffe
	s_delay_alu instid0(SALU_CYCLE_2)
	s_mul_i32 s3, s3, s2
	s_wait_alu 0xfffe
	s_mul_hi_u32 s3, s2, s3
	s_wait_alu 0xfffe
	s_add_co_i32 s2, s2, s3
	s_mov_b32 s3, s5
	s_wait_kmcnt 0x0
	s_cmp_eq_u64 s[8:9], 0
	s_cbranch_scc1 .LBB179_3
; %bb.2:
	s_mov_b32 s16, ttmp9
	s_ashr_i32 s17, ttmp9, 31
	s_delay_alu instid0(SALU_CYCLE_1) | instskip(NEXT) | instid1(SALU_CYCLE_1)
	s_lshl_b64 s[16:17], s[16:17], 2
	s_add_nc_u64 s[8:9], s[8:9], s[16:17]
	s_load_b32 s19, s[8:9], 0x0
.LBB179_3:
	s_load_b96 s[16:18], s[0:1], 0x58
	s_mul_u64 s[2:3], s[4:5], s[2:3]
	v_cmp_gt_u32_e64 s2, 32, v58
	s_ashr_i32 s5, ttmp9, 31
	s_ashr_i32 s15, s10, 31
	s_lshl_b32 s20, ttmp9, 8
	s_wait_alu 0xfffe
	s_and_saveexec_b32 s8, s2
	s_cbranch_execz .LBB179_5
; %bb.4:
	s_load_b64 s[10:11], s[0:1], 0x18
	s_wait_kmcnt 0x0
	s_mul_i32 s22, s16, s35
	s_ashr_i32 s21, s20, 31
	s_ashr_i32 s23, s22, 31
	v_lshlrev_b32_e32 v4, 4, v58
	s_lshl_b64 s[22:23], s[22:23], 1
	s_delay_alu instid0(SALU_CYCLE_1) | instskip(SKIP_1) | instid1(SALU_CYCLE_1)
	s_add_nc_u64 s[10:11], s[10:11], s[22:23]
	s_lshl_b64 s[22:23], s[20:21], 1
	s_add_nc_u64 s[10:11], s[10:11], s[22:23]
	global_load_b128 v[0:3], v4, s[10:11]
	s_wait_loadcnt 0x0
	ds_store_b128 v4, v[0:3]
.LBB179_5:
	s_or_b32 exec_lo, exec_lo, s8
	s_load_b128 s[8:11], s[0:1], 0x78
	s_wait_kmcnt 0x0
	s_mul_i32 s16, s3, s14
	s_xor_b32 s5, s5, s15
	s_sub_co_i32 s4, s4, s16
	s_add_co_i32 s15, s3, 1
	s_sub_co_i32 s16, s4, s14
	s_cmp_ge_u32 s4, s14
	s_mov_b32 s25, -1
	s_cselect_b32 s3, s15, s3
	s_cselect_b32 s4, s16, s4
	s_wait_alu 0xfffe
	s_add_co_i32 s15, s3, 1
	s_cmp_ge_u32 s4, s14
                                        ; implicit-def: $sgpr21
	s_cselect_b32 s4, s15, s3
	s_load_b32 s3, s[0:1], 0x88
	s_xor_b32 s4, s4, s5
	s_add_co_i32 s24, s7, -1
	s_sub_co_i32 s28, s4, s5
	s_wait_dscnt 0x0
	s_barrier_signal -1
	s_abs_i32 s16, s11
	s_barrier_wait -1
	s_cvt_f32_u32 s14, s16
	global_inv scope:SCOPE_SE
	v_rcp_iflag_f32_e32 v0, s14
	s_delay_alu instid0(TRANS32_DEP_1) | instskip(SKIP_1) | instid1(SALU_CYCLE_3)
	v_readfirstlane_b32 s14, v0
	s_mul_f32 s4, s14, 0x4f7ffffe
	s_cvt_u32_f32 s14, s4
	s_sub_co_i32 s4, 0, s16
	s_wait_alu 0xfffe
	s_delay_alu instid0(SALU_CYCLE_1)
	s_mul_i32 s5, s4, s14
	s_abs_i32 s4, s24
	s_mul_hi_u32 s15, s14, s5
	s_mov_b32 s5, 0
	s_wait_alu 0xfffe
	s_add_co_i32 s22, s14, s15
	s_wait_kmcnt 0x0
	s_cmp_lt_i32 s3, 0
	s_mov_b32 s23, s5
	s_cbranch_scc0 .LBB179_7
; %bb.6:
	s_mul_i32 s12, s8, s12
	s_mov_b32 s25, s5
	s_add_co_i32 s12, s28, s12
	s_delay_alu instid0(SALU_CYCLE_1) | instskip(NEXT) | instid1(SALU_CYCLE_1)
	s_mul_i32 s12, s12, s3
	s_sub_co_i32 s21, 1, s12
.LBB179_7:
	s_mul_u64 s[14:15], s[4:5], s[22:23]
	s_ashr_i32 s5, s24, 31
	s_and_not1_b32 vcc_lo, exec_lo, s25
	s_ashr_i32 s23, s11, 31
	s_cbranch_vccnz .LBB179_9
; %bb.8:
	s_mul_i32 s8, s36, s8
	s_delay_alu instid0(SALU_CYCLE_1) | instskip(NEXT) | instid1(SALU_CYCLE_1)
	s_add_co_i32 s8, s8, ttmp9
	s_mul_i32 s3, s8, s3
	s_wait_alu 0xfffe
	s_add_co_i32 s21, s3, 1
.LBB179_9:
	s_clause 0x2
	s_load_b32 s3, s[0:1], 0x48
	s_load_b64 s[24:25], s[0:1], 0x38
	s_load_b32 s11, s[0:1], 0x98
	s_mul_i32 s8, s15, s16
	s_xor_b32 s5, s5, s23
	s_sub_co_i32 s4, s4, s8
	s_add_co_i32 s12, s15, 1
	v_lshrrev_b32_e32 v0, 5, v58
	v_and_b32_e32 v1, 31, v58
	s_mul_i32 s28, s28, s18
	s_delay_alu instid0(VALU_DEP_2) | instskip(NEXT) | instid1(VALU_DEP_2)
	v_lshl_add_u32 v141, v0, 5, s6
	v_lshlrev_b32_e32 v19, 2, v1
	s_clause 0x1
	scratch_store_b32 off, v0, off offset:572
	scratch_store_b32 off, v1, off
	s_wait_kmcnt 0x0
	s_mul_i32 s26, s3, s35
	s_sub_co_i32 s3, s4, s16
	s_ashr_i32 s27, s26, 31
	s_cmp_ge_u32 s4, s16
	s_cselect_b32 s8, s12, s15
	s_wait_alu 0xfffe
	s_cselect_b32 s3, s3, s4
	s_add_co_i32 s4, s8, 1
	s_wait_alu 0xfffe
	s_cmp_ge_u32 s3, s16
	s_cselect_b32 s3, s4, s8
	s_add_co_i32 s4, s7, 31
	s_lshl_b32 s38, s34, 4
	s_ashr_i32 s8, s4, 31
	v_dual_mov_b32 v155, 0xff7fffff :: v_dual_add_nc_u32 v178, s38, v0
	s_lshr_b32 s8, s8, 27
	s_add_co_i32 s12, s38, 16
	s_add_co_i32 s4, s4, s8
	s_delay_alu instid0(SALU_CYCLE_1)
	s_ashr_i32 s8, s4, 5
	s_wait_alu 0xfffe
	s_xor_b32 s4, s3, s5
	s_min_i32 s33, s12, s8
	v_lshlrev_b32_e32 v18, 2, v178
	v_cmp_gt_i32_e64 s3, s33, v178
	s_sub_co_i32 s37, s4, s5
	s_and_saveexec_b32 s12, s3
	s_cbranch_execz .LBB179_17
; %bb.10:
	v_mov_b32_e32 v1, 0
	scratch_store_b32 off, v58, off offset:576 ; 4-byte Folded Spill
	s_ashr_i32 s29, s28, 31
	s_sub_co_i32 s14, s37, s9
	s_lshl_b64 s[4:5], s[28:29], 1
	ds_load_b128 v[2:5], v1
	ds_load_b128 v[6:9], v1 offset:16
	ds_load_b128 v[10:13], v1 offset:32
	;; [unrolled: 1-line block ×3, first 2 shown]
	s_cmp_neq_f32 s19, 0
	s_load_b64 s[30:31], s[0:1], 0x20
	v_dual_mov_b32 v155, 0xff7fffff :: v_dual_mov_b32 v142, v178
	s_cselect_b32 vcc_lo, -1, 0
	s_abs_i32 s15, s10
	s_lshl_b64 s[40:41], s[26:27], 2
	s_wait_alu 0xfffe
	s_cvt_f32_u32 s18, s15
	s_add_nc_u64 s[40:41], s[24:25], s[40:41]
	s_sub_co_i32 s29, 0, s15
	s_wait_dscnt 0x3
	v_and_b32_e32 v0, 0xffff0000, v2
	scratch_store_b32 off, v0, off offset:4 ; 4-byte Folded Spill
	v_lshlrev_b32_e32 v0, 16, v2
	s_wait_kmcnt 0x0
	s_add_nc_u64 s[4:5], s[30:31], s[4:5]
	v_add_co_u32 v41, s31, s40, v18
	s_delay_alu instid0(VALU_DEP_1)
	v_add_co_ci_u32_e64 v42, null, s41, 0, s31
	scratch_store_b32 off, v0, off offset:8 ; 4-byte Folded Spill
	s_wait_dscnt 0x2
	v_and_b32_e32 v0, 0xffff0000, v6
	scratch_store_b32 off, v0, off offset:12 ; 4-byte Folded Spill
	v_lshlrev_b32_e32 v0, 16, v6
	scratch_store_b32 off, v0, off offset:16 ; 4-byte Folded Spill
	s_wait_dscnt 0x1
	v_and_b32_e32 v0, 0xffff0000, v10
	scratch_store_b32 off, v0, off offset:20 ; 4-byte Folded Spill
	v_lshlrev_b32_e32 v0, 16, v10
	scratch_store_b32 off, v0, off offset:24 ; 4-byte Folded Spill
	v_and_b32_e32 v0, 0xffff0000, v3
	scratch_store_b32 off, v0, off offset:28 ; 4-byte Folded Spill
	v_lshlrev_b32_e32 v0, 16, v3
	scratch_store_b32 off, v0, off offset:32 ; 4-byte Folded Spill
	;; [unrolled: 4-line block ×10, first 2 shown]
	s_wait_dscnt 0x0
	v_and_b32_e32 v0, 0xffff0000, v14
	scratch_store_b32 off, v0, off offset:100 ; 4-byte Folded Spill
	v_lshlrev_b32_e32 v0, 16, v14
	scratch_store_b32 off, v0, off offset:104 ; 4-byte Folded Spill
	v_and_b32_e32 v0, 0xffff0000, v15
	scratch_store_b32 off, v0, off offset:108 ; 4-byte Folded Spill
	v_lshlrev_b32_e32 v0, 16, v15
	scratch_store_b32 off, v0, off offset:112 ; 4-byte Folded Spill
	v_and_b32_e32 v0, 0xffff0000, v16
	scratch_store_b32 off, v0, off offset:116 ; 4-byte Folded Spill
	v_lshlrev_b32_e32 v0, 16, v16
	scratch_store_b32 off, v0, off offset:120 ; 4-byte Folded Spill
	v_and_b32_e32 v0, 0xffff0000, v17
	scratch_store_b32 off, v0, off offset:124 ; 4-byte Folded Spill
	v_lshlrev_b32_e32 v0, 16, v17
	scratch_store_b32 off, v0, off offset:128 ; 4-byte Folded Spill
	ds_load_b128 v[2:5], v1 offset:64
	ds_load_b128 v[6:9], v1 offset:80
	s_wait_dscnt 0x1
	v_and_b32_e32 v0, 0xffff0000, v2
	scratch_store_b32 off, v0, off offset:132 ; 4-byte Folded Spill
	v_lshlrev_b32_e32 v0, 16, v2
	scratch_store_b32 off, v0, off offset:136 ; 4-byte Folded Spill
	v_and_b32_e32 v0, 0xffff0000, v3
	scratch_store_b32 off, v0, off offset:140 ; 4-byte Folded Spill
	v_lshlrev_b32_e32 v0, 16, v3
	scratch_store_b32 off, v0, off offset:144 ; 4-byte Folded Spill
	v_and_b32_e32 v0, 0xffff0000, v4
	scratch_store_b32 off, v0, off offset:148 ; 4-byte Folded Spill
	v_lshlrev_b32_e32 v0, 16, v4
	scratch_store_b32 off, v0, off offset:152 ; 4-byte Folded Spill
	v_and_b32_e32 v0, 0xffff0000, v5
	scratch_store_b32 off, v0, off offset:156 ; 4-byte Folded Spill
	v_lshlrev_b32_e32 v0, 16, v5
	scratch_store_b32 off, v0, off offset:160 ; 4-byte Folded Spill
	s_wait_dscnt 0x0
	v_and_b32_e32 v0, 0xffff0000, v6
	scratch_store_b32 off, v0, off offset:164 ; 4-byte Folded Spill
	v_lshlrev_b32_e32 v0, 16, v6
	scratch_store_b32 off, v0, off offset:168 ; 4-byte Folded Spill
	v_and_b32_e32 v0, 0xffff0000, v7
	scratch_store_b32 off, v0, off offset:172 ; 4-byte Folded Spill
	v_lshlrev_b32_e32 v0, 16, v7
	scratch_store_b32 off, v0, off offset:176 ; 4-byte Folded Spill
	v_and_b32_e32 v0, 0xffff0000, v8
	scratch_store_b32 off, v0, off offset:180 ; 4-byte Folded Spill
	v_lshlrev_b32_e32 v0, 16, v8
	scratch_store_b32 off, v0, off offset:184 ; 4-byte Folded Spill
	v_and_b32_e32 v0, 0xffff0000, v9
	scratch_store_b32 off, v0, off offset:188 ; 4-byte Folded Spill
	v_lshlrev_b32_e32 v0, 16, v9
	scratch_store_b32 off, v0, off offset:192 ; 4-byte Folded Spill
	ds_load_b128 v[2:5], v1 offset:96
	ds_load_b128 v[6:9], v1 offset:112
	s_wait_dscnt 0x1
	v_and_b32_e32 v0, 0xffff0000, v2
	scratch_store_b32 off, v0, off offset:196 ; 4-byte Folded Spill
	v_lshlrev_b32_e32 v0, 16, v2
	scratch_store_b32 off, v0, off offset:200 ; 4-byte Folded Spill
	v_and_b32_e32 v0, 0xffff0000, v3
	scratch_store_b32 off, v0, off offset:204 ; 4-byte Folded Spill
	v_lshlrev_b32_e32 v0, 16, v3
	scratch_store_b32 off, v0, off offset:208 ; 4-byte Folded Spill
	v_and_b32_e32 v0, 0xffff0000, v4
	scratch_store_b32 off, v0, off offset:212 ; 4-byte Folded Spill
	v_lshlrev_b32_e32 v0, 16, v4
	scratch_store_b32 off, v0, off offset:216 ; 4-byte Folded Spill
	v_and_b32_e32 v0, 0xffff0000, v5
	scratch_store_b32 off, v0, off offset:220 ; 4-byte Folded Spill
	v_lshlrev_b32_e32 v0, 16, v5
	scratch_store_b32 off, v0, off offset:224 ; 4-byte Folded Spill
	;; [unrolled: 36-line block ×6, first 2 shown]
	s_wait_dscnt 0x0
	v_and_b32_e32 v0, 0xffff0000, v6
	scratch_store_b32 off, v0, off offset:484 ; 4-byte Folded Spill
	v_lshlrev_b32_e32 v0, 16, v6
	scratch_store_b32 off, v0, off offset:488 ; 4-byte Folded Spill
	v_and_b32_e32 v0, 0xffff0000, v7
	scratch_store_b32 off, v0, off offset:492 ; 4-byte Folded Spill
	v_lshlrev_b32_e32 v0, 16, v7
	scratch_store_b32 off, v0, off offset:496 ; 4-byte Folded Spill
	;; [unrolled: 4-line block ×4, first 2 shown]
	ds_load_b128 v[2:5], v1 offset:256
	ds_load_b128 v[6:9], v1 offset:272
	s_wait_dscnt 0x1
	v_and_b32_e32 v0, 0xffff0000, v2
	s_wait_dscnt 0x0
	v_and_b32_e32 v46, 0xffff0000, v9
	v_lshlrev_b32_e32 v139, 16, v9
	scratch_store_b32 off, v0, off offset:516 ; 4-byte Folded Spill
	v_lshlrev_b32_e32 v0, 16, v2
	scratch_store_b32 off, v0, off offset:520 ; 4-byte Folded Spill
	v_and_b32_e32 v0, 0xffff0000, v3
	scratch_store_b32 off, v0, off offset:524 ; 4-byte Folded Spill
	v_lshlrev_b32_e32 v0, 16, v3
	scratch_store_b32 off, v0, off offset:528 ; 4-byte Folded Spill
	v_and_b32_e32 v0, 0xffff0000, v4
	;; [unrolled: 4-line block ×6, first 2 shown]
	scratch_store_b32 off, v0, off offset:564 ; 4-byte Folded Spill
	v_lshlrev_b32_e32 v0, 16, v8
	scratch_store_b32 off, v0, off offset:568 ; 4-byte Folded Spill
	ds_load_b128 v[2:5], v1 offset:288
	ds_load_b128 v[6:9], v1 offset:304
	s_wait_dscnt 0x1
	v_and_b32_e32 v140, 0xffff0000, v2
	v_lshlrev_b32_e32 v47, 16, v2
	v_and_b32_e32 v0, 0xffff0000, v3
	v_lshlrev_b32_e32 v48, 16, v3
	v_and_b32_e32 v49, 0xffff0000, v4
	v_lshlrev_b32_e32 v50, 16, v4
	v_and_b32_e32 v51, 0xffff0000, v5
	v_lshlrev_b32_e32 v52, 16, v5
	s_wait_dscnt 0x0
	v_and_b32_e32 v53, 0xffff0000, v6
	v_lshlrev_b32_e32 v54, 16, v6
	v_and_b32_e32 v55, 0xffff0000, v7
	v_lshlrev_b32_e32 v56, 16, v7
	v_and_b32_e32 v57, 0xffff0000, v8
	v_lshlrev_b32_e32 v58, 16, v8
	v_and_b32_e32 v59, 0xffff0000, v9
	v_lshlrev_b32_e32 v60, 16, v9
	ds_load_b128 v[2:5], v1 offset:320
	ds_load_b128 v[6:9], v1 offset:336
	s_wait_dscnt 0x1
	v_and_b32_e32 v61, 0xffff0000, v2
	v_lshlrev_b32_e32 v62, 16, v2
	v_and_b32_e32 v63, 0xffff0000, v3
	v_lshlrev_b32_e32 v64, 16, v3
	v_and_b32_e32 v65, 0xffff0000, v4
	v_lshlrev_b32_e32 v66, 16, v4
	v_and_b32_e32 v67, 0xffff0000, v5
	v_lshlrev_b32_e32 v68, 16, v5
	s_wait_dscnt 0x0
	v_and_b32_e32 v69, 0xffff0000, v6
	v_lshlrev_b32_e32 v70, 16, v6
	v_and_b32_e32 v71, 0xffff0000, v7
	v_lshlrev_b32_e32 v72, 16, v7
	v_and_b32_e32 v73, 0xffff0000, v8
	v_lshlrev_b32_e32 v74, 16, v8
	v_and_b32_e32 v75, 0xffff0000, v9
	v_lshlrev_b32_e32 v76, 16, v9
	;; [unrolled: 20-line block ×6, first 2 shown]
	ds_load_b128 v[2:5], v1 offset:480
	ds_load_b128 v[6:9], v1 offset:496
	v_rcp_iflag_f32_e32 v1, s18
	scratch_store_b32 off, v19, off offset:580 ; 4-byte Folded Spill
	v_readfirstlane_b32 s18, v1
	s_mul_f32 s18, s18, 0x4f7ffffe
	s_wait_dscnt 0x1
	v_and_b32_e32 v145, 0xffff0000, v2
	v_lshlrev_b32_e32 v146, 16, v2
	scratch_load_b32 v2, off, off           ; 4-byte Folded Reload
	v_and_b32_e32 v147, 0xffff0000, v3
	v_lshlrev_b32_e32 v148, 16, v3
	scratch_load_b32 v3, off, off offset:572 ; 4-byte Folded Reload
	s_wait_alu 0xfffe
	s_cvt_u32_f32 s39, s18
	v_and_b32_e32 v149, 0xffff0000, v4
	v_lshlrev_b32_e32 v150, 16, v4
	v_and_b32_e32 v151, 0xffff0000, v5
	s_wait_alu 0xfffe
	s_mul_i32 s30, s29, s39
	v_lshlrev_b32_e32 v152, 16, v5
	s_wait_dscnt 0x0
	v_and_b32_e32 v153, 0xffff0000, v6
	v_lshlrev_b32_e32 v154, 16, v6
	v_and_b32_e32 v156, 0xffff0000, v7
	v_lshlrev_b32_e32 v157, 16, v7
	v_and_b32_e32 v158, 0xffff0000, v8
	v_lshlrev_b32_e32 v159, 16, v8
	v_and_b32_e32 v160, 0xffff0000, v9
	v_lshlrev_b32_e32 v161, 16, v9
	s_wait_alu 0xfffe
	s_mul_hi_u32 s30, s39, s30
	s_mov_b32 s18, s17
	s_mov_b32 s29, 0
	s_wait_alu 0xfffe
	s_add_co_i32 s30, s39, s30
	s_wait_loadcnt 0x1
	v_lshlrev_b32_e32 v1, 4, v2
	v_subrev_nc_u32_e32 v2, s7, v2
	s_wait_loadcnt 0x0
	v_lshl_add_u32 v166, v3, 5, s6
	s_delay_alu instid0(VALU_DEP_3) | instskip(NEXT) | instid1(VALU_DEP_3)
	v_add_co_u32 v164, s4, s4, v1
	v_add_nc_u32_e32 v162, 1, v2
	v_lshl_or_b32 v2, v3, 7, v19
	s_wait_alu 0xf1ff
	v_add_co_ci_u32_e64 v165, null, s5, 0, s4
	s_delay_alu instid0(VALU_DEP_2)
	v_add_nc_u32_e32 v163, 0x220, v2
	s_branch .LBB179_12
.LBB179_11:                             ;   in Loop: Header=BB179_12 Depth=1
	s_wait_alu 0xfffe
	s_or_b32 exec_lo, exec_lo, s5
	v_add_nc_u32_e32 v142, 4, v142
	v_add_co_u32 v41, s4, v41, 16
	s_wait_alu 0xf1ff
	v_add_co_ci_u32_e64 v42, null, 0, v42, s4
	s_delay_alu instid0(VALU_DEP_3) | instskip(SKIP_3) | instid1(SALU_CYCLE_1)
	v_cmp_le_i32_e64 s4, s33, v142
	v_add_nc_u32_e32 v166, 0x80, v166
	v_add_nc_u32_e32 v163, 0x200, v163
	s_or_b32 s29, s4, s29
	s_and_not1_b32 exec_lo, exec_lo, s29
	s_cbranch_execz .LBB179_16
.LBB179_12:                             ; =>This Inner Loop Header: Depth=1
	v_sub_nc_u32_e32 v1, 0, v166
	s_delay_alu instid0(VALU_DEP_1) | instskip(NEXT) | instid1(VALU_DEP_1)
	v_max_i32_e32 v1, v166, v1
	v_mul_hi_u32 v2, v1, s22
	s_delay_alu instid0(VALU_DEP_1) | instskip(NEXT) | instid1(VALU_DEP_1)
	v_mul_lo_u32 v3, v2, s16
	v_sub_nc_u32_e32 v1, v1, v3
	v_add_nc_u32_e32 v3, 1, v2
	s_delay_alu instid0(VALU_DEP_2) | instskip(SKIP_2) | instid1(VALU_DEP_1)
	v_subrev_nc_u32_e32 v4, s16, v1
	v_cmp_le_u32_e64 s4, s16, v1
	s_wait_alu 0xf1ff
	v_cndmask_b32_e64 v2, v2, v3, s4
	s_delay_alu instid0(VALU_DEP_3) | instskip(SKIP_1) | instid1(VALU_DEP_3)
	v_cndmask_b32_e64 v1, v1, v4, s4
	v_ashrrev_i32_e32 v3, 31, v166
	v_add_nc_u32_e32 v4, 1, v2
	s_delay_alu instid0(VALU_DEP_3) | instskip(NEXT) | instid1(VALU_DEP_3)
	v_cmp_le_u32_e64 s4, s16, v1
	v_xor_b32_e32 v3, s23, v3
	s_wait_alu 0xf1ff
	s_delay_alu instid0(VALU_DEP_2) | instskip(NEXT) | instid1(VALU_DEP_1)
	v_cndmask_b32_e64 v1, v2, v4, s4
	v_xor_b32_e32 v1, v1, v3
	s_delay_alu instid0(VALU_DEP_1) | instskip(NEXT) | instid1(VALU_DEP_1)
	v_sub_nc_u32_e32 v1, v1, v3
	v_add_nc_u32_e32 v2, s21, v1
	v_cmp_ge_i32_e64 s5, s14, v1
	s_delay_alu instid0(VALU_DEP_2) | instskip(NEXT) | instid1(VALU_DEP_1)
	v_sub_nc_u32_e32 v3, 0, v2
	v_max_i32_e32 v3, v2, v3
	v_ashrrev_i32_e32 v2, 31, v2
	s_wait_alu 0xfffe
	s_delay_alu instid0(VALU_DEP_2) | instskip(NEXT) | instid1(VALU_DEP_1)
	v_mul_hi_u32 v4, v3, s30
	v_mul_lo_u32 v4, v4, s15
	s_delay_alu instid0(VALU_DEP_1) | instskip(NEXT) | instid1(VALU_DEP_1)
	v_sub_nc_u32_e32 v3, v3, v4
	v_subrev_nc_u32_e32 v4, s15, v3
	v_cmp_le_u32_e64 s4, s15, v3
	s_wait_alu 0xf1ff
	s_delay_alu instid0(VALU_DEP_1) | instskip(NEXT) | instid1(VALU_DEP_1)
	v_cndmask_b32_e64 v3, v3, v4, s4
	v_subrev_nc_u32_e32 v4, s15, v3
	v_cmp_le_u32_e64 s4, s15, v3
	s_wait_alu 0xf1ff
	s_delay_alu instid0(VALU_DEP_1) | instskip(NEXT) | instid1(VALU_DEP_1)
	v_cndmask_b32_e64 v3, v3, v4, s4
	v_xor_b32_e32 v3, v3, v2
	s_delay_alu instid0(VALU_DEP_1) | instskip(NEXT) | instid1(VALU_DEP_1)
	v_sub_nc_u32_e32 v2, v3, v2
	v_cmp_ne_u32_e64 s4, 0, v2
	s_and_b32 s4, s4, s5
	s_wait_alu 0xfffe
	s_and_saveexec_b32 s5, s4
	s_wait_alu 0xfffe
	s_xor_b32 s4, exec_lo, s5
; %bb.13:                               ;   in Loop: Header=BB179_12 Depth=1
	v_mov_b32_e32 v1, 0xff7fffff
	ds_store_b32 v163, v1
; %bb.14:                               ;   in Loop: Header=BB179_12 Depth=1
	s_wait_alu 0xfffe
	s_and_not1_saveexec_b32 s5, s4
	s_cbranch_execz .LBB179_11
; %bb.15:                               ;   in Loop: Header=BB179_12 Depth=1
	global_load_b32 v1, v[41:42], off
	scratch_load_b32 v2, off, off           ; 4-byte Folded Reload
	s_wait_loadcnt 0x0
	v_add_nc_u32_e32 v3, v2, v166
	v_mad_co_i64_i32 v[1:2], null, v1, s18, 0
	s_delay_alu instid0(VALU_DEP_1) | instskip(NEXT) | instid1(VALU_DEP_1)
	v_lshlrev_b64_e32 v[1:2], 1, v[1:2]
	v_add_co_u32 v43, s4, v164, v1
	v_add_nc_u32_e32 v1, v162, v166
	s_wait_alu 0xf1ff
	s_delay_alu instid0(VALU_DEP_3) | instskip(NEXT) | instid1(VALU_DEP_2)
	v_add_co_ci_u32_e64 v44, null, v165, v2, s4
	v_cvt_f32_i32_e32 v1, v1
	s_delay_alu instid0(VALU_DEP_1) | instskip(NEXT) | instid1(VALU_DEP_1)
	v_mul_f32_e32 v1, s19, v1
	v_cndmask_b32_e32 v168, 0, v1, vcc_lo
	v_cmp_gt_i32_e64 s4, s7, v3
	s_clause 0x8
	global_load_b128 v[33:36], v[43:44], off
	global_load_b128 v[29:32], v[43:44], off offset:512
	global_load_b128 v[25:28], v[43:44], off offset:1024
	global_load_b128 v[21:24], v[43:44], off offset:1536
	global_load_b128 v[17:20], v[43:44], off offset:2048
	global_load_b128 v[13:16], v[43:44], off offset:2560
	global_load_b128 v[9:12], v[43:44], off offset:3072
	global_load_b128 v[5:8], v[43:44], off offset:3584
	global_load_b128 v[1:4], v[43:44], off offset:4096
	scratch_load_b32 v39, off, off offset:16 ; 4-byte Folded Reload
	s_wait_loadcnt 0x9
	v_lshlrev_b32_e32 v37, 16, v33
	s_wait_loadcnt 0x8
	v_and_b32_e32 v38, 0xffff0000, v29
	v_lshlrev_b32_e32 v29, 16, v29
	v_and_b32_e32 v33, 0xffff0000, v33
	s_wait_loadcnt 0x0
	s_delay_alu instid0(VALU_DEP_2)
	v_mul_f32_e32 v169, v39, v29
	scratch_load_b32 v29, off, off offset:12 ; 4-byte Folded Reload
	s_wait_loadcnt 0x0
	v_mul_f32_e32 v170, v29, v38
	scratch_load_b32 v29, off, off offset:4 ; 4-byte Folded Reload
	s_wait_loadcnt 0x0
	v_fmac_f32_e32 v170, v29, v33
	s_clause 0x1
	scratch_load_b32 v29, off, off offset:8
	scratch_load_b32 v33, off, off offset:24
	s_wait_loadcnt 0x1
	v_fmac_f32_e32 v169, v29, v37
	v_and_b32_e32 v29, 0xffff0000, v25
	v_lshlrev_b32_e32 v25, 16, v25
	s_wait_loadcnt 0x0
	s_delay_alu instid0(VALU_DEP_1)
	v_fmac_f32_e32 v169, v33, v25
	scratch_load_b32 v25, off, off offset:20 ; 4-byte Folded Reload
	s_wait_loadcnt 0x0
	v_fmac_f32_e32 v170, v25, v29
	scratch_load_b32 v29, off, off offset:100 ; 4-byte Folded Reload
	v_lshlrev_b32_e32 v25, 16, v21
	v_and_b32_e32 v21, 0xffff0000, v21
	s_wait_loadcnt 0x0
	s_delay_alu instid0(VALU_DEP_1)
	v_fmac_f32_e32 v170, v29, v21
	scratch_load_b32 v21, off, off offset:104 ; 4-byte Folded Reload
	s_wait_loadcnt 0x0
	v_fmac_f32_e32 v169, v21, v25
	scratch_load_b32 v25, off, off offset:136 ; 4-byte Folded Reload
	v_and_b32_e32 v21, 0xffff0000, v17
	v_lshlrev_b32_e32 v17, 16, v17
	s_wait_loadcnt 0x0
	s_delay_alu instid0(VALU_DEP_1)
	v_fmac_f32_e32 v169, v25, v17
	scratch_load_b32 v17, off, off offset:132 ; 4-byte Folded Reload
	s_wait_loadcnt 0x0
	v_fmac_f32_e32 v170, v17, v21
	scratch_load_b32 v21, off, off offset:164 ; 4-byte Folded Reload
	v_lshlrev_b32_e32 v17, 16, v13
	v_and_b32_e32 v13, 0xffff0000, v13
	s_wait_loadcnt 0x0
	s_delay_alu instid0(VALU_DEP_1)
	v_fmac_f32_e32 v170, v21, v13
	scratch_load_b32 v13, off, off offset:168 ; 4-byte Folded Reload
	s_wait_loadcnt 0x0
	v_fmac_f32_e32 v169, v13, v17
	scratch_load_b32 v17, off, off offset:200 ; 4-byte Folded Reload
	v_and_b32_e32 v13, 0xffff0000, v9
	v_lshlrev_b32_e32 v9, 16, v9
	s_wait_loadcnt 0x0
	s_delay_alu instid0(VALU_DEP_1)
	v_fmac_f32_e32 v169, v17, v9
	s_clause 0x1
	scratch_load_b32 v9, off, off offset:196
	scratch_load_b32 v17, off, off offset:40
	s_wait_loadcnt 0x1
	v_fmac_f32_e32 v170, v9, v13
	scratch_load_b32 v13, off, off offset:228 ; 4-byte Folded Reload
	v_lshlrev_b32_e32 v9, 16, v5
	v_and_b32_e32 v5, 0xffff0000, v5
	s_wait_loadcnt 0x0
	s_delay_alu instid0(VALU_DEP_1) | instskip(SKIP_2) | instid1(VALU_DEP_1)
	v_fmac_f32_e32 v170, v13, v5
	scratch_load_b32 v5, off, off offset:232 ; 4-byte Folded Reload
	v_lshlrev_b32_e32 v13, 16, v30
	v_mul_f32_e32 v172, v17, v13
	scratch_load_b32 v13, off, off offset:36 ; 4-byte Folded Reload
	s_wait_loadcnt 0x1
	v_fmac_f32_e32 v169, v5, v9
	scratch_load_b32 v9, off, off offset:264 ; 4-byte Folded Reload
	v_and_b32_e32 v5, 0xffff0000, v1
	v_lshlrev_b32_e32 v1, 16, v1
	s_wait_loadcnt 0x0
	s_delay_alu instid0(VALU_DEP_1) | instskip(SKIP_2) | instid1(VALU_DEP_1)
	v_fmac_f32_e32 v169, v9, v1
	scratch_load_b32 v1, off, off offset:260 ; 4-byte Folded Reload
	v_and_b32_e32 v9, 0xffff0000, v30
	v_mul_f32_e32 v171, v13, v9
	scratch_load_b32 v9, off, off offset:28 ; 4-byte Folded Reload
	s_wait_loadcnt 0x1
	v_dual_fmac_f32 v170, v1, v5 :: v_dual_and_b32 v5, 0xffff0000, v34
	v_lshlrev_b32_e32 v1, 16, v34
	s_wait_loadcnt 0x0
	s_delay_alu instid0(VALU_DEP_2)
	v_fmac_f32_e32 v171, v9, v5
	s_clause 0x1
	scratch_load_b32 v5, off, off offset:32
	scratch_load_b32 v9, off, off offset:48
	s_wait_loadcnt 0x1
	v_dual_fmac_f32 v172, v5, v1 :: v_dual_lshlrev_b32 v5, 16, v26
	s_wait_loadcnt 0x0
	s_delay_alu instid0(VALU_DEP_1)
	v_dual_fmac_f32 v172, v9, v5 :: v_dual_and_b32 v1, 0xffff0000, v26
	s_clause 0x1
	scratch_load_b32 v5, off, off offset:44
	scratch_load_b32 v9, off, off offset:108
	s_wait_loadcnt 0x1
	v_fmac_f32_e32 v171, v5, v1
	v_and_b32_e32 v5, 0xffff0000, v22
	v_lshlrev_b32_e32 v1, 16, v22
	s_wait_loadcnt 0x0
	s_delay_alu instid0(VALU_DEP_2)
	v_fmac_f32_e32 v171, v9, v5
	s_clause 0x1
	scratch_load_b32 v5, off, off offset:112
	scratch_load_b32 v9, off, off offset:144
	s_wait_loadcnt 0x1
	v_dual_fmac_f32 v172, v5, v1 :: v_dual_lshlrev_b32 v5, 16, v18
	s_wait_loadcnt 0x0
	s_delay_alu instid0(VALU_DEP_1)
	v_dual_fmac_f32 v172, v9, v5 :: v_dual_and_b32 v1, 0xffff0000, v18
	s_clause 0x1
	scratch_load_b32 v5, off, off offset:140
	scratch_load_b32 v9, off, off offset:172
	s_wait_loadcnt 0x1
	v_fmac_f32_e32 v171, v5, v1
	v_and_b32_e32 v5, 0xffff0000, v14
	v_lshlrev_b32_e32 v1, 16, v14
	s_wait_loadcnt 0x0
	s_delay_alu instid0(VALU_DEP_2)
	v_fmac_f32_e32 v171, v9, v5
	s_clause 0x1
	scratch_load_b32 v5, off, off offset:176
	scratch_load_b32 v9, off, off offset:208
	s_wait_loadcnt 0x1
	v_dual_fmac_f32 v172, v5, v1 :: v_dual_and_b32 v1, 0xffff0000, v10
	v_lshlrev_b32_e32 v5, 16, v10
	s_wait_loadcnt 0x0
	s_delay_alu instid0(VALU_DEP_1)
	v_fmac_f32_e32 v172, v9, v5
	s_clause 0x1
	scratch_load_b32 v5, off, off offset:204
	scratch_load_b32 v9, off, off offset:72
	s_wait_loadcnt 0x1
	v_fmac_f32_e32 v171, v5, v1
	v_lshlrev_b32_e32 v1, 16, v6
	v_and_b32_e32 v5, 0xffff0000, v6
	scratch_load_b32 v6, off, off offset:236 ; 4-byte Folded Reload
	s_wait_loadcnt 0x0
	v_fmac_f32_e32 v171, v6, v5
	scratch_load_b32 v5, off, off offset:240 ; 4-byte Folded Reload
	v_lshlrev_b32_e32 v6, 16, v31
	s_delay_alu instid0(VALU_DEP_1)
	v_mul_f32_e32 v174, v9, v6
	scratch_load_b32 v6, off, off offset:68 ; 4-byte Folded Reload
	s_wait_loadcnt 0x1
	v_dual_fmac_f32 v172, v5, v1 :: v_dual_and_b32 v1, 0xffff0000, v2
	scratch_load_b32 v5, off, off offset:272 ; 4-byte Folded Reload
	v_lshlrev_b32_e32 v2, 16, v2
	s_wait_loadcnt 0x0
	s_delay_alu instid0(VALU_DEP_1) | instskip(SKIP_2) | instid1(VALU_DEP_1)
	v_fmac_f32_e32 v172, v5, v2
	scratch_load_b32 v2, off, off offset:268 ; 4-byte Folded Reload
	v_and_b32_e32 v5, 0xffff0000, v31
	v_mul_f32_e32 v173, v6, v5
	s_clause 0x1
	scratch_load_b32 v5, off, off offset:52
	scratch_load_b32 v6, off, off offset:80
	s_wait_loadcnt 0x2
	v_dual_fmac_f32 v171, v2, v1 :: v_dual_and_b32 v2, 0xffff0000, v35
	v_lshlrev_b32_e32 v1, 16, v35
	s_wait_loadcnt 0x1
	s_delay_alu instid0(VALU_DEP_2)
	v_fmac_f32_e32 v173, v5, v2
	s_clause 0x1
	scratch_load_b32 v2, off, off offset:56
	scratch_load_b32 v5, off, off offset:88
	s_wait_loadcnt 0x1
	v_fmac_f32_e32 v174, v2, v1
	v_lshlrev_b32_e32 v2, 16, v27
	s_wait_loadcnt 0x0
	s_delay_alu instid0(VALU_DEP_1)
	v_dual_fmac_f32 v174, v5, v2 :: v_dual_and_b32 v1, 0xffff0000, v27
	s_clause 0x1
	scratch_load_b32 v2, off, off offset:84
	scratch_load_b32 v5, off, off offset:116
	s_wait_loadcnt 0x1
	v_dual_fmac_f32 v173, v2, v1 :: v_dual_and_b32 v2, 0xffff0000, v23
	v_lshlrev_b32_e32 v1, 16, v23
	s_wait_loadcnt 0x0
	s_delay_alu instid0(VALU_DEP_2)
	v_fmac_f32_e32 v173, v5, v2
	s_clause 0x1
	scratch_load_b32 v2, off, off offset:120
	scratch_load_b32 v5, off, off offset:152
	s_wait_loadcnt 0x1
	v_fmac_f32_e32 v174, v2, v1
	v_lshlrev_b32_e32 v2, 16, v19
	s_wait_loadcnt 0x0
	s_delay_alu instid0(VALU_DEP_1)
	v_dual_fmac_f32 v174, v5, v2 :: v_dual_and_b32 v1, 0xffff0000, v19
	;; [unrolled: 18-line block ×3, first 2 shown]
	s_clause 0x1
	scratch_load_b32 v2, off, off offset:212
	scratch_load_b32 v5, off, off offset:244
	s_wait_loadcnt 0x1
	v_dual_fmac_f32 v173, v2, v1 :: v_dual_and_b32 v2, 0xffff0000, v7
	v_lshlrev_b32_e32 v1, 16, v7
	s_wait_loadcnt 0x0
	s_delay_alu instid0(VALU_DEP_2) | instskip(SKIP_2) | instid1(VALU_DEP_1)
	v_fmac_f32_e32 v173, v5, v2
	scratch_load_b32 v2, off, off offset:248 ; 4-byte Folded Reload
	v_lshlrev_b32_e32 v5, 16, v32
	v_mul_f32_e32 v176, v6, v5
	scratch_load_b32 v5, off, off offset:76 ; 4-byte Folded Reload
	s_wait_loadcnt 0x1
	v_dual_fmac_f32 v174, v2, v1 :: v_dual_and_b32 v1, 0xffff0000, v3
	v_lshlrev_b32_e32 v2, 16, v3
	scratch_load_b32 v3, off, off offset:280 ; 4-byte Folded Reload
	s_wait_loadcnt 0x0
	v_fmac_f32_e32 v174, v3, v2
	scratch_load_b32 v2, off, off offset:276 ; 4-byte Folded Reload
	v_and_b32_e32 v3, 0xffff0000, v32
	s_delay_alu instid0(VALU_DEP_1)
	v_mul_f32_e32 v175, v5, v3
	scratch_load_b32 v3, off, off offset:60 ; 4-byte Folded Reload
	s_wait_loadcnt 0x1
	v_dual_fmac_f32 v173, v2, v1 :: v_dual_and_b32 v2, 0xffff0000, v36
	v_lshlrev_b32_e32 v1, 16, v36
	s_wait_loadcnt 0x0
	s_delay_alu instid0(VALU_DEP_2)
	v_fmac_f32_e32 v175, v3, v2
	s_clause 0x1
	scratch_load_b32 v2, off, off offset:64
	scratch_load_b32 v3, off, off offset:96
	s_wait_loadcnt 0x1
	v_fmac_f32_e32 v176, v2, v1
	v_lshlrev_b32_e32 v2, 16, v28
	s_wait_loadcnt 0x0
	s_delay_alu instid0(VALU_DEP_1)
	v_dual_fmac_f32 v176, v3, v2 :: v_dual_and_b32 v1, 0xffff0000, v28
	s_clause 0x1
	scratch_load_b32 v2, off, off offset:92
	scratch_load_b32 v3, off, off offset:124
	s_wait_loadcnt 0x1
	v_dual_fmac_f32 v175, v2, v1 :: v_dual_and_b32 v2, 0xffff0000, v24
	v_lshlrev_b32_e32 v1, 16, v24
	s_wait_loadcnt 0x0
	s_delay_alu instid0(VALU_DEP_2)
	v_fmac_f32_e32 v175, v3, v2
	s_clause 0x1
	scratch_load_b32 v2, off, off offset:128
	scratch_load_b32 v3, off, off offset:160
	s_wait_loadcnt 0x1
	v_fmac_f32_e32 v176, v2, v1
	v_lshlrev_b32_e32 v2, 16, v20
	s_wait_loadcnt 0x0
	s_delay_alu instid0(VALU_DEP_1)
	v_dual_fmac_f32 v176, v3, v2 :: v_dual_and_b32 v1, 0xffff0000, v20
	s_clause 0x1
	scratch_load_b32 v2, off, off offset:156
	scratch_load_b32 v3, off, off offset:188
	;; [unrolled: 18-line block ×3, first 2 shown]
	s_wait_loadcnt 0x1
	v_dual_fmac_f32 v175, v2, v1 :: v_dual_and_b32 v2, 0xffff0000, v8
	v_lshlrev_b32_e32 v1, 16, v8
	s_wait_loadcnt 0x0
	s_delay_alu instid0(VALU_DEP_2)
	v_fmac_f32_e32 v175, v3, v2
	s_clause 0x1
	scratch_load_b32 v2, off, off offset:256
	scratch_load_b32 v3, off, off offset:288
	s_wait_loadcnt 0x1
	v_fmac_f32_e32 v176, v2, v1
	v_lshlrev_b32_e32 v2, 16, v4
	s_wait_loadcnt 0x0
	s_delay_alu instid0(VALU_DEP_1)
	v_dual_fmac_f32 v176, v3, v2 :: v_dual_and_b32 v1, 0xffff0000, v4
	scratch_load_b32 v2, off, off offset:284 ; 4-byte Folded Reload
	s_wait_loadcnt 0x0
	v_fmac_f32_e32 v175, v2, v1
	global_load_b128 v[1:4], v[43:44], off offset:4608
	s_wait_loadcnt 0x0
	v_lshlrev_b32_e32 v167, 16, v1
	v_and_b32_e32 v177, 0xffff0000, v1
	v_lshlrev_b32_e32 v179, 16, v2
	v_and_b32_e32 v180, 0xffff0000, v2
	;; [unrolled: 2-line block ×4, first 2 shown]
	global_load_b128 v[1:4], v[43:44], off offset:5120
	s_wait_loadcnt 0x0
	v_and_b32_e32 v183, 0xffff0000, v1
	v_lshlrev_b32_e32 v184, 16, v1
	v_and_b32_e32 v185, 0xffff0000, v2
	v_lshlrev_b32_e32 v186, 16, v2
	;; [unrolled: 2-line block ×4, first 2 shown]
	s_clause 0x8
	global_load_b128 v[33:36], v[43:44], off offset:5632
	global_load_b128 v[29:32], v[43:44], off offset:6144
	global_load_b128 v[25:28], v[43:44], off offset:6656
	global_load_b128 v[21:24], v[43:44], off offset:7168
	global_load_b128 v[17:20], v[43:44], off offset:7680
	global_load_b128 v[13:16], v[43:44], off offset:8192
	global_load_b128 v[9:12], v[43:44], off offset:8704
	global_load_b128 v[5:8], v[43:44], off offset:9216
	global_load_b128 v[1:4], v[43:44], off offset:9728
	scratch_load_b32 v45, off, off offset:292 ; 4-byte Folded Reload
	s_wait_loadcnt 0x0
	v_fmac_f32_e32 v170, v45, v177
	scratch_load_b32 v45, off, off offset:296 ; 4-byte Folded Reload
	s_wait_loadcnt 0x0
	v_fmac_f32_e32 v169, v45, v167
	scratch_load_b32 v45, off, off offset:328 ; 4-byte Folded Reload
	v_lshlrev_b32_e32 v167, 16, v33
	v_and_b32_e32 v33, 0xffff0000, v33
	s_wait_loadcnt 0x0
	v_fmac_f32_e32 v169, v45, v184
	scratch_load_b32 v45, off, off offset:324 ; 4-byte Folded Reload
	s_wait_loadcnt 0x0
	v_fmac_f32_e32 v170, v45, v183
	scratch_load_b32 v45, off, off offset:356 ; 4-byte Folded Reload
	s_wait_loadcnt 0x0
	v_fmac_f32_e32 v170, v45, v33
	s_clause 0x1
	scratch_load_b32 v33, off, off offset:360
	scratch_load_b32 v45, off, off offset:392
	s_wait_loadcnt 0x1
	v_fmac_f32_e32 v169, v33, v167
	v_and_b32_e32 v33, 0xffff0000, v29
	v_lshlrev_b32_e32 v29, 16, v29
	s_wait_loadcnt 0x0
	s_delay_alu instid0(VALU_DEP_1)
	v_fmac_f32_e32 v169, v45, v29
	scratch_load_b32 v29, off, off offset:388 ; 4-byte Folded Reload
	s_wait_loadcnt 0x0
	v_fmac_f32_e32 v170, v29, v33
	scratch_load_b32 v33, off, off offset:420 ; 4-byte Folded Reload
	v_lshlrev_b32_e32 v29, 16, v25
	v_and_b32_e32 v25, 0xffff0000, v25
	s_wait_loadcnt 0x0
	s_delay_alu instid0(VALU_DEP_1)
	v_fmac_f32_e32 v170, v33, v25
	scratch_load_b32 v25, off, off offset:424 ; 4-byte Folded Reload
	s_wait_loadcnt 0x0
	v_fmac_f32_e32 v169, v25, v29
	scratch_load_b32 v29, off, off offset:456 ; 4-byte Folded Reload
	v_and_b32_e32 v25, 0xffff0000, v21
	v_lshlrev_b32_e32 v21, 16, v21
	s_wait_loadcnt 0x0
	s_delay_alu instid0(VALU_DEP_1)
	v_fmac_f32_e32 v169, v29, v21
	scratch_load_b32 v21, off, off offset:452 ; 4-byte Folded Reload
	s_wait_loadcnt 0x0
	v_fmac_f32_e32 v170, v21, v25
	scratch_load_b32 v25, off, off offset:484 ; 4-byte Folded Reload
	v_lshlrev_b32_e32 v21, 16, v17
	v_and_b32_e32 v17, 0xffff0000, v17
	s_wait_loadcnt 0x0
	s_delay_alu instid0(VALU_DEP_1)
	v_fmac_f32_e32 v170, v25, v17
	scratch_load_b32 v17, off, off offset:488 ; 4-byte Folded Reload
	s_wait_loadcnt 0x0
	v_fmac_f32_e32 v169, v17, v21
	scratch_load_b32 v21, off, off offset:520 ; 4-byte Folded Reload
	v_and_b32_e32 v17, 0xffff0000, v13
	v_lshlrev_b32_e32 v13, 16, v13
	s_wait_loadcnt 0x0
	s_delay_alu instid0(VALU_DEP_1)
	v_fmac_f32_e32 v169, v21, v13
	scratch_load_b32 v13, off, off offset:516 ; 4-byte Folded Reload
	s_wait_loadcnt 0x0
	v_fmac_f32_e32 v170, v13, v17
	scratch_load_b32 v17, off, off offset:548 ; 4-byte Folded Reload
	v_lshlrev_b32_e32 v13, 16, v9
	v_and_b32_e32 v9, 0xffff0000, v9
	s_wait_loadcnt 0x0
	s_delay_alu instid0(VALU_DEP_1)
	v_fmac_f32_e32 v170, v17, v9
	scratch_load_b32 v9, off, off offset:552 ; 4-byte Folded Reload
	s_wait_loadcnt 0x0
	v_fmac_f32_e32 v169, v9, v13
	v_and_b32_e32 v9, 0xffff0000, v5
	v_lshlrev_b32_e32 v5, 16, v5
	s_delay_alu instid0(VALU_DEP_2) | instskip(NEXT) | instid1(VALU_DEP_2)
	v_fmac_f32_e32 v170, v140, v9
	v_fmac_f32_e32 v169, v47, v5
	v_lshlrev_b32_e32 v5, 16, v1
	v_and_b32_e32 v1, 0xffff0000, v1
	scratch_load_b32 v9, off, off offset:364 ; 4-byte Folded Reload
	v_fmac_f32_e32 v169, v54, v5
	v_fmac_f32_e32 v170, v53, v1
	scratch_load_b32 v1, off, off offset:300 ; 4-byte Folded Reload
	v_and_b32_e32 v5, 0xffff0000, v34
	s_wait_loadcnt 0x0
	v_fmac_f32_e32 v171, v1, v180
	scratch_load_b32 v1, off, off offset:304 ; 4-byte Folded Reload
	s_wait_loadcnt 0x0
	v_fmac_f32_e32 v172, v1, v179
	scratch_load_b32 v1, off, off offset:336 ; 4-byte Folded Reload
	s_wait_loadcnt 0x0
	v_fmac_f32_e32 v172, v1, v186
	scratch_load_b32 v1, off, off offset:332 ; 4-byte Folded Reload
	s_wait_loadcnt 0x0
	v_fmac_f32_e32 v171, v1, v185
	v_lshlrev_b32_e32 v1, 16, v34
	s_delay_alu instid0(VALU_DEP_2)
	v_fmac_f32_e32 v171, v9, v5
	s_clause 0x1
	scratch_load_b32 v5, off, off offset:368
	scratch_load_b32 v9, off, off offset:400
	s_wait_loadcnt 0x1
	v_dual_fmac_f32 v172, v5, v1 :: v_dual_lshlrev_b32 v5, 16, v30
	s_wait_loadcnt 0x0
	s_delay_alu instid0(VALU_DEP_1)
	v_dual_fmac_f32 v172, v9, v5 :: v_dual_and_b32 v1, 0xffff0000, v30
	s_clause 0x1
	scratch_load_b32 v5, off, off offset:396
	scratch_load_b32 v9, off, off offset:428
	s_wait_loadcnt 0x1
	v_fmac_f32_e32 v171, v5, v1
	v_and_b32_e32 v5, 0xffff0000, v26
	v_lshlrev_b32_e32 v1, 16, v26
	s_wait_loadcnt 0x0
	s_delay_alu instid0(VALU_DEP_2)
	v_fmac_f32_e32 v171, v9, v5
	s_clause 0x1
	scratch_load_b32 v5, off, off offset:432
	scratch_load_b32 v9, off, off offset:464
	s_wait_loadcnt 0x1
	v_dual_fmac_f32 v172, v5, v1 :: v_dual_lshlrev_b32 v5, 16, v22
	s_wait_loadcnt 0x0
	s_delay_alu instid0(VALU_DEP_1)
	v_dual_fmac_f32 v172, v9, v5 :: v_dual_and_b32 v1, 0xffff0000, v22
	s_clause 0x1
	scratch_load_b32 v5, off, off offset:460
	scratch_load_b32 v9, off, off offset:492
	s_wait_loadcnt 0x1
	v_fmac_f32_e32 v171, v5, v1
	v_and_b32_e32 v5, 0xffff0000, v18
	v_lshlrev_b32_e32 v1, 16, v18
	s_wait_loadcnt 0x0
	;; [unrolled: 18-line block ×3, first 2 shown]
	s_delay_alu instid0(VALU_DEP_2) | instskip(SKIP_4) | instid1(VALU_DEP_2)
	v_fmac_f32_e32 v171, v9, v5
	scratch_load_b32 v5, off, off offset:560 ; 4-byte Folded Reload
	s_wait_loadcnt 0x0
	v_dual_fmac_f32 v172, v5, v1 :: v_dual_and_b32 v1, 0xffff0000, v6
	v_lshlrev_b32_e32 v5, 16, v6
	v_fmac_f32_e32 v171, v0, v1
	s_delay_alu instid0(VALU_DEP_2)
	v_dual_fmac_f32 v172, v48, v5 :: v_dual_lshlrev_b32 v1, 16, v2
	scratch_load_b32 v5, off, off offset:372 ; 4-byte Folded Reload
	v_and_b32_e32 v2, 0xffff0000, v2
	v_fmac_f32_e32 v172, v56, v1
	scratch_load_b32 v1, off, off offset:308 ; 4-byte Folded Reload
	v_dual_fmac_f32 v171, v55, v2 :: v_dual_and_b32 v2, 0xffff0000, v35
	s_wait_loadcnt 0x0
	v_fmac_f32_e32 v173, v1, v182
	scratch_load_b32 v1, off, off offset:312 ; 4-byte Folded Reload
	s_wait_loadcnt 0x0
	v_fmac_f32_e32 v174, v1, v181
	scratch_load_b32 v1, off, off offset:344 ; 4-byte Folded Reload
	;; [unrolled: 3-line block ×3, first 2 shown]
	s_wait_loadcnt 0x0
	v_fmac_f32_e32 v173, v1, v187
	v_lshlrev_b32_e32 v1, 16, v35
	s_delay_alu instid0(VALU_DEP_2)
	v_fmac_f32_e32 v173, v5, v2
	s_clause 0x1
	scratch_load_b32 v2, off, off offset:376
	scratch_load_b32 v5, off, off offset:408
	s_wait_loadcnt 0x1
	v_fmac_f32_e32 v174, v2, v1
	v_lshlrev_b32_e32 v2, 16, v31
	s_wait_loadcnt 0x0
	s_delay_alu instid0(VALU_DEP_1)
	v_dual_fmac_f32 v174, v5, v2 :: v_dual_and_b32 v1, 0xffff0000, v31
	s_clause 0x1
	scratch_load_b32 v2, off, off offset:404
	scratch_load_b32 v5, off, off offset:436
	s_wait_loadcnt 0x1
	v_dual_fmac_f32 v173, v2, v1 :: v_dual_and_b32 v2, 0xffff0000, v27
	v_lshlrev_b32_e32 v1, 16, v27
	s_wait_loadcnt 0x0
	s_delay_alu instid0(VALU_DEP_2)
	v_fmac_f32_e32 v173, v5, v2
	s_clause 0x1
	scratch_load_b32 v2, off, off offset:440
	scratch_load_b32 v5, off, off offset:472
	s_wait_loadcnt 0x1
	v_fmac_f32_e32 v174, v2, v1
	v_lshlrev_b32_e32 v2, 16, v23
	s_wait_loadcnt 0x0
	s_delay_alu instid0(VALU_DEP_1)
	v_dual_fmac_f32 v174, v5, v2 :: v_dual_and_b32 v1, 0xffff0000, v23
	s_clause 0x1
	scratch_load_b32 v2, off, off offset:468
	scratch_load_b32 v5, off, off offset:500
	s_wait_loadcnt 0x1
	v_dual_fmac_f32 v173, v2, v1 :: v_dual_and_b32 v2, 0xffff0000, v19
	v_lshlrev_b32_e32 v1, 16, v19
	s_wait_loadcnt 0x0
	s_delay_alu instid0(VALU_DEP_2)
	v_fmac_f32_e32 v173, v5, v2
	s_clause 0x1
	scratch_load_b32 v2, off, off offset:504
	scratch_load_b32 v5, off, off offset:536
	s_wait_loadcnt 0x1
	v_fmac_f32_e32 v174, v2, v1
	v_lshlrev_b32_e32 v2, 16, v15
	s_wait_loadcnt 0x0
	s_delay_alu instid0(VALU_DEP_1)
	v_dual_fmac_f32 v174, v5, v2 :: v_dual_and_b32 v1, 0xffff0000, v15
	s_clause 0x1
	scratch_load_b32 v2, off, off offset:532
	scratch_load_b32 v5, off, off offset:564
	s_wait_loadcnt 0x1
	v_dual_fmac_f32 v173, v2, v1 :: v_dual_and_b32 v2, 0xffff0000, v11
	v_lshlrev_b32_e32 v1, 16, v11
	s_wait_loadcnt 0x0
	s_delay_alu instid0(VALU_DEP_2) | instskip(SKIP_3) | instid1(VALU_DEP_1)
	v_fmac_f32_e32 v173, v5, v2
	scratch_load_b32 v2, off, off offset:568 ; 4-byte Folded Reload
	s_wait_loadcnt 0x0
	v_dual_fmac_f32 v174, v2, v1 :: v_dual_and_b32 v1, 0xffff0000, v7
	v_dual_fmac_f32 v173, v49, v1 :: v_dual_lshlrev_b32 v2, 16, v7
	s_delay_alu instid0(VALU_DEP_1)
	v_dual_fmac_f32 v174, v50, v2 :: v_dual_lshlrev_b32 v1, 16, v3
	v_and_b32_e32 v2, 0xffff0000, v3
	scratch_load_b32 v3, off, off offset:380 ; 4-byte Folded Reload
	v_fmac_f32_e32 v174, v58, v1
	scratch_load_b32 v1, off, off offset:316 ; 4-byte Folded Reload
	v_dual_fmac_f32 v173, v57, v2 :: v_dual_and_b32 v2, 0xffff0000, v36
	s_wait_loadcnt 0x0
	v_fmac_f32_e32 v175, v1, v38
	scratch_load_b32 v1, off, off offset:320 ; 4-byte Folded Reload
	s_wait_loadcnt 0x0
	v_fmac_f32_e32 v176, v1, v37
	scratch_load_b32 v1, off, off offset:352 ; 4-byte Folded Reload
	;; [unrolled: 3-line block ×3, first 2 shown]
	s_wait_loadcnt 0x0
	v_fmac_f32_e32 v175, v1, v39
	v_lshlrev_b32_e32 v1, 16, v36
	s_delay_alu instid0(VALU_DEP_2)
	v_fmac_f32_e32 v175, v3, v2
	s_clause 0x1
	scratch_load_b32 v2, off, off offset:384
	scratch_load_b32 v3, off, off offset:416
	s_wait_loadcnt 0x1
	v_fmac_f32_e32 v176, v2, v1
	v_lshlrev_b32_e32 v2, 16, v32
	s_wait_loadcnt 0x0
	s_delay_alu instid0(VALU_DEP_1)
	v_dual_fmac_f32 v176, v3, v2 :: v_dual_and_b32 v1, 0xffff0000, v32
	s_clause 0x1
	scratch_load_b32 v2, off, off offset:412
	scratch_load_b32 v3, off, off offset:444
	s_wait_loadcnt 0x1
	v_dual_fmac_f32 v175, v2, v1 :: v_dual_and_b32 v2, 0xffff0000, v28
	v_lshlrev_b32_e32 v1, 16, v28
	s_wait_loadcnt 0x0
	s_delay_alu instid0(VALU_DEP_2)
	v_fmac_f32_e32 v175, v3, v2
	s_clause 0x1
	scratch_load_b32 v2, off, off offset:448
	scratch_load_b32 v3, off, off offset:480
	s_wait_loadcnt 0x1
	v_fmac_f32_e32 v176, v2, v1
	v_lshlrev_b32_e32 v2, 16, v24
	s_wait_loadcnt 0x0
	s_delay_alu instid0(VALU_DEP_1)
	v_dual_fmac_f32 v176, v3, v2 :: v_dual_and_b32 v1, 0xffff0000, v24
	s_clause 0x1
	scratch_load_b32 v2, off, off offset:476
	scratch_load_b32 v3, off, off offset:508
	s_wait_loadcnt 0x1
	v_dual_fmac_f32 v175, v2, v1 :: v_dual_and_b32 v2, 0xffff0000, v20
	v_lshlrev_b32_e32 v1, 16, v20
	s_wait_loadcnt 0x0
	s_delay_alu instid0(VALU_DEP_2)
	v_fmac_f32_e32 v175, v3, v2
	s_clause 0x1
	scratch_load_b32 v2, off, off offset:512
	scratch_load_b32 v3, off, off offset:544
	s_wait_loadcnt 0x1
	v_fmac_f32_e32 v176, v2, v1
	v_lshlrev_b32_e32 v2, 16, v16
	s_wait_loadcnt 0x0
	s_delay_alu instid0(VALU_DEP_1)
	v_dual_fmac_f32 v176, v3, v2 :: v_dual_and_b32 v1, 0xffff0000, v16
	scratch_load_b32 v2, off, off offset:540 ; 4-byte Folded Reload
	s_wait_loadcnt 0x0
	v_fmac_f32_e32 v175, v2, v1
	v_lshlrev_b32_e32 v1, 16, v12
	v_and_b32_e32 v2, 0xffff0000, v12
	s_delay_alu instid0(VALU_DEP_1) | instskip(SKIP_1) | instid1(VALU_DEP_1)
	v_dual_fmac_f32 v176, v139, v1 :: v_dual_fmac_f32 v175, v46, v2
	v_and_b32_e32 v1, 0xffff0000, v8
	v_dual_fmac_f32 v175, v51, v1 :: v_dual_lshlrev_b32 v2, 16, v8
	s_delay_alu instid0(VALU_DEP_1) | instskip(SKIP_1) | instid1(VALU_DEP_1)
	v_dual_fmac_f32 v176, v52, v2 :: v_dual_lshlrev_b32 v1, 16, v4
	v_and_b32_e32 v2, 0xffff0000, v4
	v_dual_fmac_f32 v176, v60, v1 :: v_dual_fmac_f32 v175, v59, v2
	global_load_b128 v[1:4], v[43:44], off offset:10240
	s_wait_loadcnt 0x0
	v_and_b32_e32 v183, 0xffff0000, v1
	v_lshlrev_b32_e32 v184, 16, v1
	v_and_b32_e32 v185, 0xffff0000, v2
	v_lshlrev_b32_e32 v186, 16, v2
	;; [unrolled: 2-line block ×4, first 2 shown]
	global_load_b128 v[1:4], v[43:44], off offset:10752
	v_dual_fmac_f32 v169, v62, v184 :: v_dual_fmac_f32 v170, v61, v183
	v_dual_fmac_f32 v172, v64, v186 :: v_dual_fmac_f32 v171, v63, v185
	;; [unrolled: 1-line block ×4, first 2 shown]
	s_wait_loadcnt 0x0
	v_lshlrev_b32_e32 v187, 16, v1
	v_and_b32_e32 v188, 0xffff0000, v1
	v_lshlrev_b32_e32 v189, 16, v2
	v_and_b32_e32 v190, 0xffff0000, v2
	;; [unrolled: 2-line block ×4, first 2 shown]
	s_clause 0x9
	global_load_b128 v[37:40], v[43:44], off offset:11264
	global_load_b128 v[33:36], v[43:44], off offset:11776
	;; [unrolled: 1-line block ×10, first 2 shown]
	v_dual_fmac_f32 v170, v69, v188 :: v_dual_fmac_f32 v169, v70, v187
	v_dual_fmac_f32 v171, v71, v190 :: v_dual_fmac_f32 v172, v72, v189
	;; [unrolled: 1-line block ×4, first 2 shown]
	s_wait_loadcnt 0x9
	v_and_b32_e32 v43, 0xffff0000, v37
	s_delay_alu instid0(VALU_DEP_1) | instskip(NEXT) | instid1(VALU_DEP_1)
	v_dual_fmac_f32 v170, v77, v43 :: v_dual_lshlrev_b32 v37, 16, v37
	v_fmac_f32_e32 v169, v78, v37
	s_wait_loadcnt 0x8
	v_lshlrev_b32_e32 v37, 16, v33
	v_and_b32_e32 v33, 0xffff0000, v33
	s_delay_alu instid0(VALU_DEP_2) | instskip(NEXT) | instid1(VALU_DEP_2)
	v_fmac_f32_e32 v169, v86, v37
	v_fmac_f32_e32 v170, v85, v33
	s_wait_loadcnt 0x7
	v_and_b32_e32 v33, 0xffff0000, v29
	v_lshlrev_b32_e32 v29, 16, v29
	s_delay_alu instid0(VALU_DEP_2) | instskip(NEXT) | instid1(VALU_DEP_2)
	v_fmac_f32_e32 v170, v93, v33
	v_fmac_f32_e32 v169, v94, v29
	s_wait_loadcnt 0x6
	v_lshlrev_b32_e32 v29, 16, v25
	v_and_b32_e32 v25, 0xffff0000, v25
	s_delay_alu instid0(VALU_DEP_2) | instskip(NEXT) | instid1(VALU_DEP_2)
	v_fmac_f32_e32 v169, v29, v102
	v_fmac_f32_e32 v170, v25, v101
	s_wait_loadcnt 0x5
	v_and_b32_e32 v25, 0xffff0000, v21
	v_lshlrev_b32_e32 v21, 16, v21
	s_delay_alu instid0(VALU_DEP_2) | instskip(NEXT) | instid1(VALU_DEP_2)
	v_fmac_f32_e32 v170, v25, v109
	;; [unrolled: 12-line block ×4, first 2 shown]
	v_fmac_f32_e32 v169, v5, v146
	s_wait_loadcnt 0x0
	v_lshlrev_b32_e32 v5, 16, v1
	v_and_b32_e32 v1, 0xffff0000, v1
	s_delay_alu instid0(VALU_DEP_2) | instskip(NEXT) | instid1(VALU_DEP_2)
	v_fmac_f32_e32 v169, v5, v154
	v_dual_fmac_f32 v170, v1, v153 :: v_dual_and_b32 v1, 0xffff0000, v38
	v_lshlrev_b32_e32 v5, 16, v38
	s_delay_alu instid0(VALU_DEP_2) | instskip(NEXT) | instid1(VALU_DEP_2)
	v_fmac_f32_e32 v171, v79, v1
	v_dual_fmac_f32 v172, v80, v5 :: v_dual_lshlrev_b32 v1, 16, v34
	s_delay_alu instid0(VALU_DEP_1) | instskip(NEXT) | instid1(VALU_DEP_1)
	v_dual_fmac_f32 v172, v88, v1 :: v_dual_and_b32 v5, 0xffff0000, v34
	v_fmac_f32_e32 v171, v87, v5
	v_and_b32_e32 v1, 0xffff0000, v30
	v_lshlrev_b32_e32 v5, 16, v30
	s_delay_alu instid0(VALU_DEP_2) | instskip(NEXT) | instid1(VALU_DEP_2)
	v_fmac_f32_e32 v171, v95, v1
	v_dual_fmac_f32 v172, v96, v5 :: v_dual_lshlrev_b32 v1, 16, v26
	s_delay_alu instid0(VALU_DEP_1) | instskip(NEXT) | instid1(VALU_DEP_1)
	v_dual_fmac_f32 v172, v1, v104 :: v_dual_and_b32 v5, 0xffff0000, v26
	v_fmac_f32_e32 v171, v5, v103
	v_and_b32_e32 v1, 0xffff0000, v22
	;; [unrolled: 8-line block ×4, first 2 shown]
	v_lshlrev_b32_e32 v5, 16, v6
	s_delay_alu instid0(VALU_DEP_2) | instskip(NEXT) | instid1(VALU_DEP_2)
	v_fmac_f32_e32 v171, v1, v147
	v_dual_fmac_f32 v172, v5, v148 :: v_dual_lshlrev_b32 v1, 16, v2
	v_and_b32_e32 v2, 0xffff0000, v2
	s_delay_alu instid0(VALU_DEP_1) | instskip(SKIP_1) | instid1(VALU_DEP_1)
	v_dual_fmac_f32 v172, v1, v157 :: v_dual_fmac_f32 v171, v2, v156
	v_and_b32_e32 v1, 0xffff0000, v39
	v_dual_fmac_f32 v173, v81, v1 :: v_dual_lshlrev_b32 v2, 16, v39
	s_delay_alu instid0(VALU_DEP_1) | instskip(SKIP_1) | instid1(VALU_DEP_1)
	v_dual_fmac_f32 v174, v82, v2 :: v_dual_lshlrev_b32 v1, 16, v35
	v_and_b32_e32 v2, 0xffff0000, v35
	v_dual_fmac_f32 v174, v90, v1 :: v_dual_fmac_f32 v173, v89, v2
	v_and_b32_e32 v1, 0xffff0000, v31
	s_delay_alu instid0(VALU_DEP_1) | instskip(NEXT) | instid1(VALU_DEP_1)
	v_dual_fmac_f32 v173, v97, v1 :: v_dual_lshlrev_b32 v2, 16, v31
	v_dual_fmac_f32 v174, v98, v2 :: v_dual_lshlrev_b32 v1, 16, v27
	v_and_b32_e32 v2, 0xffff0000, v27
	s_delay_alu instid0(VALU_DEP_1) | instskip(SKIP_1) | instid1(VALU_DEP_1)
	v_dual_fmac_f32 v174, v1, v106 :: v_dual_fmac_f32 v173, v2, v105
	v_and_b32_e32 v1, 0xffff0000, v23
	v_dual_fmac_f32 v173, v1, v113 :: v_dual_lshlrev_b32 v2, 16, v23
	s_delay_alu instid0(VALU_DEP_1) | instskip(SKIP_1) | instid1(VALU_DEP_1)
	v_dual_fmac_f32 v174, v2, v114 :: v_dual_lshlrev_b32 v1, 16, v19
	v_and_b32_e32 v2, 0xffff0000, v19
	v_dual_fmac_f32 v174, v1, v122 :: v_dual_fmac_f32 v173, v2, v121
	v_and_b32_e32 v1, 0xffff0000, v15
	s_delay_alu instid0(VALU_DEP_1) | instskip(NEXT) | instid1(VALU_DEP_1)
	v_dual_fmac_f32 v173, v1, v129 :: v_dual_lshlrev_b32 v2, 16, v15
	;; [unrolled: 13-line block ×4, first 2 shown]
	v_fmac_f32_e32 v176, v2, v116
	v_lshlrev_b32_e32 v1, 16, v20
	v_and_b32_e32 v2, 0xffff0000, v20
	s_delay_alu instid0(VALU_DEP_1) | instskip(SKIP_1) | instid1(VALU_DEP_1)
	v_dual_fmac_f32 v176, v1, v124 :: v_dual_fmac_f32 v175, v2, v123
	v_and_b32_e32 v1, 0xffff0000, v16
	v_dual_fmac_f32 v175, v1, v131 :: v_dual_lshlrev_b32 v2, 16, v16
	s_delay_alu instid0(VALU_DEP_1) | instskip(SKIP_2) | instid1(VALU_DEP_1)
	v_fmac_f32_e32 v176, v2, v132
	v_lshlrev_b32_e32 v1, 16, v12
	v_and_b32_e32 v2, 0xffff0000, v12
	v_dual_fmac_f32 v176, v1, v144 :: v_dual_fmac_f32 v175, v2, v143
	v_and_b32_e32 v1, 0xffff0000, v8
	s_delay_alu instid0(VALU_DEP_1) | instskip(NEXT) | instid1(VALU_DEP_1)
	v_dual_fmac_f32 v175, v1, v151 :: v_dual_lshlrev_b32 v2, 16, v8
	v_fmac_f32_e32 v176, v2, v152
	v_lshlrev_b32_e32 v1, 16, v4
	v_and_b32_e32 v2, 0xffff0000, v4
	s_delay_alu instid0(VALU_DEP_2) | instskip(SKIP_1) | instid1(VALU_DEP_3)
	v_fmac_f32_e32 v176, v1, v161
	v_add_f32_e32 v1, v169, v170
	v_fmac_f32_e32 v175, v2, v160
	s_delay_alu instid0(VALU_DEP_2) | instskip(NEXT) | instid1(VALU_DEP_1)
	v_add_f32_e32 v1, v1, v172
	v_add_f32_e32 v1, v171, v1
	s_delay_alu instid0(VALU_DEP_1) | instskip(NEXT) | instid1(VALU_DEP_1)
	v_add_f32_e32 v1, v174, v1
	v_add_f32_e32 v1, v173, v1
	s_delay_alu instid0(VALU_DEP_1) | instskip(NEXT) | instid1(VALU_DEP_1)
	v_add_f32_e32 v1, v176, v1
	v_add_f32_e32 v1, v175, v1
	s_delay_alu instid0(VALU_DEP_1) | instskip(SKIP_1) | instid1(VALU_DEP_1)
	v_fmac_f32_e32 v168, s13, v1
	s_wait_alu 0xf1ff
	v_cndmask_b32_e64 v1, 0, v168, s4
	ds_store_b32 v163, v1
	v_max_num_f32_e32 v1, v155, v155
	s_delay_alu instid0(VALU_DEP_1) | instskip(NEXT) | instid1(VALU_DEP_1)
	v_max_num_f32_e32 v1, v1, v168
	v_cndmask_b32_e64 v155, v155, v1, s4
	s_branch .LBB179_11
.LBB179_16:
	s_or_b32 exec_lo, exec_lo, s29
	s_clause 0x1
	scratch_load_b32 v58, off, off offset:576
	scratch_load_b32 v19, off, off offset:580
	v_lshlrev_b32_e32 v18, 2, v178
.LBB179_17:
	s_or_b32 exec_lo, exec_lo, s12
	v_mbcnt_lo_u32_b32 v0, -1, 0
	s_clause 0x2
	s_load_b128 s[12:15], s[0:1], 0x0
	s_load_b64 s[18:19], s[0:1], 0x10
	s_load_b64 s[30:31], s[0:1], 0x28
	v_max_num_f32_e32 v4, v155, v155
	v_xor_b32_e32 v1, 16, v0
	v_xor_b32_e32 v3, 8, v0
	s_delay_alu instid0(VALU_DEP_2) | instskip(SKIP_2) | instid1(VALU_DEP_3)
	v_cmp_gt_i32_e32 vcc_lo, 32, v1
	s_wait_alu 0xfffd
	v_cndmask_b32_e32 v1, v0, v1, vcc_lo
	v_cmp_gt_i32_e32 vcc_lo, 32, v3
	s_delay_alu instid0(VALU_DEP_2)
	v_lshlrev_b32_e32 v1, 2, v1
	s_wait_alu 0xfffd
	v_cndmask_b32_e32 v3, v0, v3, vcc_lo
	ds_bpermute_b32 v2, v1, v155
	s_wait_dscnt 0x0
	v_dual_max_num_f32 v5, v2, v2 :: v_dual_lshlrev_b32 v2, 2, v3
	s_delay_alu instid0(VALU_DEP_1)
	v_max_num_f32_e32 v3, v4, v5
	v_xor_b32_e32 v5, 4, v0
	ds_bpermute_b32 v4, v2, v3
	v_cmp_gt_i32_e32 vcc_lo, 32, v5
	s_wait_alu 0xfffd
	v_cndmask_b32_e32 v5, v0, v5, vcc_lo
	s_wait_dscnt 0x0
	v_max_num_f32_e32 v6, v4, v4
	s_delay_alu instid0(VALU_DEP_1)
	v_dual_max_num_f32 v3, v3, v6 :: v_dual_lshlrev_b32 v4, 2, v5
	v_xor_b32_e32 v6, 2, v0
	ds_bpermute_b32 v5, v4, v3
	v_cmp_gt_i32_e32 vcc_lo, 32, v6
	s_wait_dscnt 0x0
	s_wait_alu 0xfffd
	v_dual_cndmask_b32 v6, v0, v6 :: v_dual_max_num_f32 v5, v5, v5
	s_delay_alu instid0(VALU_DEP_1) | instskip(SKIP_1) | instid1(VALU_DEP_1)
	v_lshlrev_b32_e32 v144, 2, v6
	v_xor_b32_e32 v6, 1, v0
	v_cmp_gt_i32_e32 vcc_lo, 32, v6
	s_wait_alu 0xfffd
	v_dual_max_num_f32 v3, v3, v5 :: v_dual_cndmask_b32 v6, v0, v6
	ds_bpermute_b32 v5, v144, v3
	v_lshlrev_b32_e32 v143, 2, v6
	s_wait_dscnt 0x0
	v_max_num_f32_e32 v5, v5, v5
	s_delay_alu instid0(VALU_DEP_1)
	v_max_num_f32_e32 v0, v3, v5
	scratch_load_b32 v5, off, off           ; 4-byte Folded Reload
	ds_bpermute_b32 v3, v143, v0
	s_wait_loadcnt 0x0
	v_cmp_eq_u32_e32 vcc_lo, 0, v5
	scratch_load_b32 v5, off, off offset:572 ; 4-byte Folded Reload
	s_wait_loadcnt 0x0
	v_lshlrev_b32_e32 v5, 2, v5
	s_and_saveexec_b32 s0, vcc_lo
	s_cbranch_execz .LBB179_19
; %bb.18:
	s_wait_dscnt 0x0
	v_dual_max_num_f32 v3, v3, v3 :: v_dual_max_num_f32 v0, v0, v0
	s_delay_alu instid0(VALU_DEP_1)
	v_max_num_f32_e32 v0, v0, v3
	ds_store_b32 v5, v0 offset:512
.LBB179_19:
	s_or_b32 exec_lo, exec_lo, s0
	scratch_load_b32 v0, off, off           ; 4-byte Folded Reload
	s_wait_storecnt 0x0
	s_wait_loadcnt_dscnt 0x0
	s_barrier_signal -1
	s_barrier_wait -1
	global_inv scope:SCOPE_SE
	v_cmp_gt_u32_e64 s0, 4, v0
	v_mov_b32_e32 v0, 0xff7fffff
	s_and_saveexec_b32 s1, s0
; %bb.20:
	ds_load_b32 v0, v19 offset:512
; %bb.21:
	s_or_b32 exec_lo, exec_lo, s1
	s_wait_dscnt 0x0
	ds_bpermute_b32 v3, v144, v0
	v_max_num_f32_e32 v0, v0, v0
	s_sub_co_i32 s1, s33, s38
	v_mov_b32_e32 v6, 0
	s_lshl_b32 s1, s1, 5
	s_delay_alu instid0(SALU_CYCLE_1) | instskip(NEXT) | instid1(SALU_CYCLE_1)
	s_add_co_i32 s1, s1, s6
	s_min_i32 s1, s1, s7
	s_delay_alu instid0(SALU_CYCLE_1) | instskip(SKIP_4) | instid1(VALU_DEP_1)
	s_sub_co_i32 s5, s1, s6
	s_wait_alu 0xfffe
	v_cmp_gt_i32_e64 s1, s5, v58
	s_wait_dscnt 0x0
	v_max_num_f32_e32 v3, v3, v3
	v_max_num_f32_e32 v0, v0, v3
	ds_bpermute_b32 v3, v143, v0
	s_wait_dscnt 0x0
	v_max_num_f32_e32 v3, v3, v3
	s_delay_alu instid0(VALU_DEP_1)
	v_max_num_f32_e32 v0, v0, v3
	v_lshl_add_u32 v3, v58, 2, 0x220
	ds_bpermute_b32 v0, v6, v0
	s_and_saveexec_b32 s29, s1
	s_cbranch_execz .LBB179_25
; %bb.22:
	v_lshl_add_u32 v7, v58, 2, 0x220
	v_mov_b32_e32 v6, 0
	v_mov_b32_e32 v8, v58
	s_mov_b32 s38, 0
.LBB179_23:                             ; =>This Inner Loop Header: Depth=1
	ds_load_b32 v9, v7
	v_add_nc_u32_e32 v8, 0x80, v8
	s_delay_alu instid0(VALU_DEP_1) | instskip(SKIP_4) | instid1(VALU_DEP_1)
	v_cmp_le_i32_e64 s4, s5, v8
	s_wait_alu 0xfffe
	s_or_b32 s38, s4, s38
	s_wait_dscnt 0x0
	v_sub_f32_e32 v9, v9, v0
	v_mul_f32_e32 v9, 0x3fb8aa3b, v9
	s_delay_alu instid0(VALU_DEP_1)
	v_exp_f32_e32 v9, v9
	ds_store_b32 v7, v9
	v_dual_add_f32 v6, v6, v9 :: v_dual_add_nc_u32 v7, 0x200, v7
	s_wait_alu 0xfffe
	s_and_not1_b32 exec_lo, exec_lo, s38
	s_cbranch_execnz .LBB179_23
; %bb.24:
	s_or_b32 exec_lo, exec_lo, s38
.LBB179_25:
	s_delay_alu instid0(SALU_CYCLE_1)
	s_or_b32 exec_lo, exec_lo, s29
	ds_bpermute_b32 v1, v1, v6
	s_wait_dscnt 0x0
	v_add_f32_e32 v1, v6, v1
	ds_bpermute_b32 v2, v2, v1
	s_wait_dscnt 0x0
	v_add_f32_e32 v1, v1, v2
	;; [unrolled: 3-line block ×5, first 2 shown]
	s_and_saveexec_b32 s4, vcc_lo
; %bb.26:
	ds_store_b32 v5, v1 offset:528
; %bb.27:
	s_wait_alu 0xfffe
	s_or_b32 exec_lo, exec_lo, s4
	s_wait_loadcnt_dscnt 0x0
	s_barrier_signal -1
	s_barrier_wait -1
	global_inv scope:SCOPE_SE
	s_and_saveexec_b32 s4, s0
; %bb.28:
	ds_load_b32 v1, v19 offset:528
; %bb.29:
	s_wait_alu 0xfffe
	s_or_b32 exec_lo, exec_lo, s4
	s_wait_dscnt 0x0
	ds_bpermute_b32 v2, v144, v1
	s_wait_dscnt 0x0
	v_add_f32_e32 v1, v1, v2
	ds_bpermute_b32 v2, v143, v1
	s_wait_dscnt 0x0
	v_dual_add_f32 v1, v1, v2 :: v_dual_mov_b32 v2, 0
	ds_bpermute_b32 v1, v2, v1
	s_and_saveexec_b32 s0, s1
	s_cbranch_execz .LBB179_32
; %bb.30:
	s_wait_dscnt 0x0
	v_add_f32_e32 v2, 0x358637bd, v1
	s_mov_b32 s1, 0
	s_delay_alu instid0(VALU_DEP_1) | instskip(SKIP_1) | instid1(VALU_DEP_2)
	v_div_scale_f32 v4, null, v2, v2, 1.0
	v_div_scale_f32 v7, vcc_lo, 1.0, v2, 1.0
	v_rcp_f32_e32 v5, v4
	s_delay_alu instid0(TRANS32_DEP_1) | instskip(NEXT) | instid1(VALU_DEP_1)
	v_fma_f32 v6, -v4, v5, 1.0
	v_fmac_f32_e32 v5, v6, v5
	s_delay_alu instid0(VALU_DEP_1) | instskip(NEXT) | instid1(VALU_DEP_1)
	v_mul_f32_e32 v6, v7, v5
	v_fma_f32 v8, -v4, v6, v7
	s_delay_alu instid0(VALU_DEP_1) | instskip(NEXT) | instid1(VALU_DEP_1)
	v_fmac_f32_e32 v6, v8, v5
	v_fma_f32 v4, -v4, v6, v7
	s_wait_alu 0xfffd
	s_delay_alu instid0(VALU_DEP_1) | instskip(NEXT) | instid1(VALU_DEP_1)
	v_div_fmas_f32 v4, v4, v5, v6
	v_div_fixup_f32 v2, v4, v2, 1.0
	v_mov_b32_e32 v4, v58
.LBB179_31:                             ; =>This Inner Loop Header: Depth=1
	ds_load_b32 v5, v3
	s_wait_dscnt 0x0
	v_dual_mul_f32 v5, v2, v5 :: v_dual_add_nc_u32 v4, 0x80, v4
	s_delay_alu instid0(VALU_DEP_1) | instskip(SKIP_3) | instid1(SALU_CYCLE_1)
	v_cmp_le_i32_e32 vcc_lo, s5, v4
	ds_store_b32 v3, v5
	v_add_nc_u32_e32 v3, 0x200, v3
	s_or_b32 s1, vcc_lo, s1
	s_and_not1_b32 exec_lo, exec_lo, s1
	s_cbranch_execnz .LBB179_31
.LBB179_32:
	s_or_b32 exec_lo, exec_lo, s0
	s_mul_i32 s0, s11, s35
	s_wait_loadcnt_dscnt 0x0
	s_mul_i32 s4, s0, s36
	s_mov_b32 s0, exec_lo
	s_barrier_signal -1
	s_barrier_wait -1
	global_inv scope:SCOPE_SE
	v_cmpx_eq_u32_e32 0, v58
	s_cbranch_execz .LBB179_34
; %bb.33:
	s_wait_alu 0xfffe
	s_ashr_i32 s5, s4, 31
	s_mul_i32 s38, s11, ttmp9
	s_lshl_b32 s1, s34, 2
	s_wait_alu 0xfffe
	s_lshl_b64 s[40:41], s[4:5], 2
	s_ashr_i32 s39, s38, 31
	v_mov_b32_e32 v2, s1
	s_wait_kmcnt 0x0
	s_wait_alu 0xfffe
	s_add_nc_u64 s[14:15], s[14:15], s[40:41]
	s_lshl_b64 s[34:35], s[38:39], 2
	s_add_nc_u64 s[12:13], s[12:13], s[40:41]
	s_wait_alu 0xfffe
	s_add_nc_u64 s[14:15], s[14:15], s[34:35]
	s_add_nc_u64 s[12:13], s[12:13], s[34:35]
	s_clause 0x1
	global_store_b32 v2, v0, s[14:15]
	global_store_b32 v2, v1, s[12:13]
.LBB179_34:
	s_or_b32 exec_lo, exec_lo, s0
	v_dual_mov_b32 v176, 0 :: v_dual_and_b32 v145, 3, v58
	v_dual_mov_b32 v177, 0 :: v_dual_mov_b32 v174, 0
	v_dual_mov_b32 v175, 0 :: v_dual_mov_b32 v172, 0
	v_dual_mov_b32 v173, 0 :: v_dual_mov_b32 v170, 0
	v_dual_mov_b32 v171, 0 :: v_dual_mov_b32 v168, 0
	v_dual_mov_b32 v169, 0 :: v_dual_mov_b32 v166, 0
	v_dual_mov_b32 v167, 0 :: v_dual_mov_b32 v164, 0
	v_dual_mov_b32 v165, 0 :: v_dual_mov_b32 v162, 0
	v_dual_mov_b32 v163, 0 :: v_dual_mov_b32 v160, 0
	v_dual_mov_b32 v161, 0 :: v_dual_mov_b32 v158, 0
	v_dual_mov_b32 v159, 0 :: v_dual_mov_b32 v156, 0
	v_dual_mov_b32 v157, 0 :: v_dual_mov_b32 v154, 0
	v_dual_mov_b32 v155, 0 :: v_dual_mov_b32 v152, 0
	v_dual_mov_b32 v153, 0 :: v_dual_mov_b32 v150, 0
	v_dual_mov_b32 v151, 0 :: v_dual_mov_b32 v148, 0
	v_dual_mov_b32 v149, 0 :: v_dual_mov_b32 v146, 0
	v_mov_b32_e32 v147, 0
	s_and_saveexec_b32 s5, s3
	s_cbranch_execz .LBB179_104
; %bb.35:
	s_abs_i32 s3, s10
	s_wait_kmcnt 0x0
	s_mov_b32 s12, s17
	s_wait_alu 0xfffe
	s_cvt_f32_u32 s0, s3
	v_dual_mov_b32 v147, 0 :: v_dual_lshlrev_b32 v0, 3, v58
	v_dual_mov_b32 v149, 0 :: v_dual_lshlrev_b32 v2, 5, v145
	s_wait_alu 0xfffe
	v_rcp_iflag_f32_e32 v1, s0
	s_lshl_b64 s[0:1], s[26:27], 2
	v_or_b32_e32 v3, 0x1f00, v0
	s_wait_alu 0xfffe
	s_add_nc_u64 s[0:1], s[24:25], s[0:1]
	s_sub_co_i32 s15, 0, s3
	s_wait_alu 0xfffe
	v_add_co_u32 v137, s0, s0, v18
	s_wait_alu 0xf1ff
	v_add_co_ci_u32_e64 v138, null, s1, 0, s0
	s_ashr_i32 s29, s28, 31
	v_readfirstlane_b32 s17, v1
	scratch_load_b32 v1, off, off offset:572 ; 4-byte Folded Reload
	v_dual_mov_b32 v146, 0 :: v_dual_lshlrev_b32 v181, 1, v3
	v_dual_mov_b32 v148, 0 :: v_dual_mov_b32 v157, 0
	s_mul_f32 s0, s17, 0x4f7ffffe
	v_dual_mov_b32 v150, 0 :: v_dual_mov_b32 v159, 0
	v_dual_mov_b32 v152, 0 :: v_dual_mov_b32 v161, 0
	s_wait_alu 0xfffe
	s_cvt_u32_f32 s0, s0
	v_dual_mov_b32 v154, 0 :: v_dual_mov_b32 v163, 0
	v_dual_mov_b32 v156, 0 :: v_dual_mov_b32 v165, 0
	s_wait_alu 0xfffe
	s_mul_i32 s15, s15, s0
	v_dual_mov_b32 v158, 0 :: v_dual_mov_b32 v167, 0
	v_dual_mov_b32 v160, 0 :: v_dual_mov_b32 v169, 0
	;; [unrolled: 1-line block ×6, first 2 shown]
	v_mov_b32_e32 v170, 0
	v_mov_b32_e32 v172, 0
	;; [unrolled: 1-line block ×4, first 2 shown]
	s_sub_co_i32 s10, s37, s9
	s_add_co_i32 s14, s8, -1
	s_lshl_b64 s[8:9], s[28:29], 1
	s_wait_alu 0xfffe
	s_mul_hi_u32 s1, s0, s15
	s_mov_b32 s13, 0
	s_add_nc_u64 s[8:9], s[30:31], s[8:9]
	s_mov_b32 s15, s7
	s_wait_alu 0xfffe
	s_add_co_i32 s17, s0, s1
	v_mov_b32_e32 v151, 0
	v_mov_b32_e32 v153, 0
	;; [unrolled: 1-line block ×3, first 2 shown]
	s_wait_loadcnt 0x0
	v_lshl_or_b32 v1, v1, 7, v2
	v_and_b32_e32 v2, 0xf8, v0
	v_mov_b32_e32 v188, v58
	v_and_b32_e32 v0, 24, v0
	s_delay_alu instid0(VALU_DEP_4) | instskip(NEXT) | instid1(VALU_DEP_4)
	v_add_nc_u32_e32 v179, 0x220, v1
	v_lshlrev_b32_e32 v180, 1, v2
	s_branch .LBB179_38
.LBB179_36:                             ;   in Loop: Header=BB179_38 Depth=1
	s_wait_alu 0xfffe
	s_or_b32 exec_lo, exec_lo, s0
	s_wait_dscnt 0x1
	v_bfe_u32 v139, v89, 16, 1
	v_or_b32_e32 v140, 0x400000, v89
	v_bfe_u32 v142, v90, 16, 1
	v_cmp_u_f32_e32 vcc_lo, v89, v89
	v_bfe_u32 v182, v91, 16, 1
	v_add3_u32 v139, v139, v89, 0x7fff
	v_or_b32_e32 v183, 0x400000, v90
	v_add3_u32 v142, v142, v90, 0x7fff
	v_or_b32_e32 v184, 0x400000, v91
	v_add3_u32 v182, v182, v91, 0x7fff
	s_wait_alu 0xfffd
	v_cndmask_b32_e32 v89, v139, v140, vcc_lo
	v_cmp_u_f32_e32 vcc_lo, v90, v90
	v_bfe_u32 v139, v92, 16, 1
	s_wait_dscnt 0x0
	v_bfe_u32 v140, v85, 16, 1
	s_wait_alu 0xfffd
	v_cndmask_b32_e32 v90, v142, v183, vcc_lo
	v_cmp_u_f32_e32 vcc_lo, v91, v91
	v_add3_u32 v139, v139, v92, 0x7fff
	v_or_b32_e32 v142, 0x400000, v92
	v_add3_u32 v140, v140, v85, 0x7fff
	v_bfe_u32 v183, v86, 16, 1
	s_wait_alu 0xfffd
	v_cndmask_b32_e32 v91, v182, v184, vcc_lo
	v_cmp_u_f32_e32 vcc_lo, v92, v92
	v_or_b32_e32 v182, 0x400000, v85
	s_wait_alu 0xfffd
	v_dual_cndmask_b32 v92, v139, v142 :: v_dual_and_b32 v89, 0xffff0000, v89
	v_cmp_u_f32_e32 vcc_lo, v85, v85
	v_or_b32_e32 v142, 0x400000, v86
	v_and_b32_e32 v91, 0xffff0000, v91
	s_wait_alu 0xfffd
	v_cndmask_b32_e32 v139, v140, v182, vcc_lo
	v_add3_u32 v140, v183, v86, 0x7fff
	v_bfe_u32 v182, v87, 16, 1
	v_cmp_u_f32_e32 vcc_lo, v86, v86
	s_delay_alu instid0(VALU_DEP_2)
	v_add3_u32 v86, v182, v87, 0x7fff
	s_wait_alu 0xfffd
	v_cndmask_b32_e32 v140, v140, v142, vcc_lo
	v_or_b32_e32 v142, 0x400000, v87
	v_cmp_u_f32_e32 vcc_lo, v87, v87
	v_bfe_u32 v182, v88, 16, 1
	s_wait_alu 0xfffd
	s_delay_alu instid0(VALU_DEP_3)
	v_cndmask_b32_e32 v142, v86, v142, vcc_lo
	v_and_b32_e32 v86, 0xffff0000, v92
	s_wait_loadcnt 0x1
	v_and_b32_e32 v92, 0xffff0000, v134
	v_and_b32_e32 v85, 0xffff0000, v90
	;; [unrolled: 1-line block ×3, first 2 shown]
	v_lshlrev_b32_e32 v133, 16, v133
	v_add3_u32 v87, v182, v88, 0x7fff
	v_mul_f32_e32 v184, v86, v92
	v_or_b32_e32 v182, 0x400000, v88
	v_mul_f32_e32 v90, v85, v90
	v_mul_f32_e32 v133, v89, v133
	v_cmp_u_f32_e32 vcc_lo, v88, v88
	v_lshlrev_b32_e32 v92, 16, v134
	s_delay_alu instid0(VALU_DEP_4)
	v_bfe_u32 v183, v90, 16, 1
	s_wait_alu 0xfffd
	v_cndmask_b32_e32 v88, v87, v182, vcc_lo
	v_or_b32_e32 v182, 0x400000, v90
	v_cmp_u_f32_e32 vcc_lo, v90, v90
	v_add3_u32 v87, v183, v90, 0x7fff
	v_bfe_u32 v183, v133, 16, 1
	v_dual_mul_f32 v185, v91, v92 :: v_dual_and_b32 v92, 0xffff0000, v135
	v_and_b32_e32 v88, 0xffff0000, v88
	s_wait_alu 0xfffd
	v_dual_cndmask_b32 v134, v87, v182 :: v_dual_and_b32 v87, 0xffff0000, v140
	v_add3_u32 v90, v183, v133, 0x7fff
	v_or_b32_e32 v182, 0x400000, v133
	v_bfe_u32 v183, v184, 16, 1
	v_cmp_u_f32_e32 vcc_lo, v133, v133
	v_or_b32_e32 v140, 0x400000, v184
	v_and_b32_e32 v134, 0xffff0000, v134
	s_wait_alu 0xfffd
	v_cndmask_b32_e32 v133, v90, v182, vcc_lo
	v_add3_u32 v90, v183, v184, 0x7fff
	v_bfe_u32 v182, v185, 16, 1
	v_cmp_u_f32_e32 vcc_lo, v184, v184
	v_dual_mul_f32 v183, v87, v92 :: v_dual_and_b32 v92, 0xffff0000, v139
	v_and_b32_e32 v133, 0xffff0000, v133
	s_wait_alu 0xfffd
	v_cndmask_b32_e32 v139, v90, v140, vcc_lo
	v_add3_u32 v90, v182, v185, 0x7fff
	v_or_b32_e32 v140, 0x400000, v185
	v_cmp_u_f32_e32 vcc_lo, v185, v185
	v_lshlrev_b32_e32 v135, 16, v135
	v_bfe_u32 v182, v183, 16, 1
	v_and_b32_e32 v139, 0xffff0000, v139
	s_wait_alu 0xfffd
	v_dual_add_f32 v133, v133, v134 :: v_dual_cndmask_b32 v140, v90, v140
	v_mul_f32_e32 v135, v92, v135
	v_add3_u32 v182, v182, v183, 0x7fff
	v_and_b32_e32 v90, 0xffff0000, v142
	v_or_b32_e32 v142, 0x400000, v183
	v_cmp_u_f32_e32 vcc_lo, v183, v183
	v_bfe_u32 v185, v135, 16, 1
	v_or_b32_e32 v186, 0x400000, v135
	v_and_b32_e32 v140, 0xffff0000, v140
	s_wait_alu 0xfffd
	v_cndmask_b32_e32 v142, v182, v142, vcc_lo
	v_add3_u32 v185, v185, v135, 0x7fff
	v_cmp_u_f32_e32 vcc_lo, v135, v135
	v_and_b32_e32 v184, 0xffff0000, v136
	v_lshlrev_b32_e32 v136, 16, v136
	v_dual_add_f32 v134, v140, v139 :: v_dual_and_b32 v139, 0xffff0000, v142
	s_wait_alu 0xfffd
	s_delay_alu instid0(VALU_DEP_3) | instskip(NEXT) | instid1(VALU_DEP_2)
	v_dual_cndmask_b32 v135, v185, v186 :: v_dual_mul_f32 v184, v88, v184
	v_add_f32_e32 v133, v134, v133
	s_delay_alu instid0(VALU_DEP_2) | instskip(NEXT) | instid1(VALU_DEP_3)
	v_and_b32_e32 v135, 0xffff0000, v135
	v_bfe_u32 v187, v184, 16, 1
	v_or_b32_e32 v185, 0x400000, v184
	s_delay_alu instid0(VALU_DEP_3) | instskip(SKIP_1) | instid1(VALU_DEP_4)
	v_dual_add_f32 v134, v135, v139 :: v_dual_and_b32 v135, 0xffff0000, v129
	v_lshlrev_b32_e32 v129, 16, v129
	v_add3_u32 v182, v187, v184, 0x7fff
	s_delay_alu instid0(VALU_DEP_3) | instskip(NEXT) | instid1(VALU_DEP_4)
	v_add_f32_e32 v133, v134, v133
	v_dual_mul_f32 v135, v85, v135 :: v_dual_mul_f32 v136, v90, v136
	s_delay_alu instid0(VALU_DEP_4) | instskip(NEXT) | instid1(VALU_DEP_2)
	v_mul_f32_e32 v129, v89, v129
	v_bfe_u32 v183, v136, 16, 1
	v_or_b32_e32 v186, 0x400000, v136
	v_cmp_u_f32_e32 vcc_lo, v136, v136
	s_delay_alu instid0(VALU_DEP_4) | instskip(NEXT) | instid1(VALU_DEP_4)
	v_or_b32_e32 v142, 0x400000, v129
	v_add3_u32 v183, v183, v136, 0x7fff
	s_wait_alu 0xfffd
	s_delay_alu instid0(VALU_DEP_1) | instskip(SKIP_1) | instid1(VALU_DEP_2)
	v_cndmask_b32_e32 v136, v183, v186, vcc_lo
	v_cmp_u_f32_e32 vcc_lo, v184, v184
	v_and_b32_e32 v136, 0xffff0000, v136
	s_wait_alu 0xfffd
	v_cndmask_b32_e32 v140, v182, v185, vcc_lo
	v_cmp_u_f32_e32 vcc_lo, v135, v135
	s_delay_alu instid0(VALU_DEP_2) | instskip(SKIP_1) | instid1(VALU_DEP_2)
	v_and_b32_e32 v139, 0xffff0000, v140
	v_bfe_u32 v140, v129, 16, 1
	v_add_f32_e32 v134, v136, v139
	v_and_b32_e32 v136, 0xffff0000, v130
	v_bfe_u32 v139, v135, 16, 1
	s_delay_alu instid0(VALU_DEP_4) | instskip(NEXT) | instid1(VALU_DEP_4)
	v_add3_u32 v140, v140, v129, 0x7fff
	v_dual_add_f32 v133, v134, v133 :: v_dual_lshlrev_b32 v130, 16, v130
	s_delay_alu instid0(VALU_DEP_4) | instskip(NEXT) | instid1(VALU_DEP_4)
	v_mul_f32_e32 v134, v86, v136
	v_add3_u32 v136, v139, v135, 0x7fff
	v_or_b32_e32 v139, 0x400000, v135
	s_wait_alu 0xfffd
	s_delay_alu instid0(VALU_DEP_1) | instskip(SKIP_1) | instid1(VALU_DEP_2)
	v_dual_mul_f32 v130, v91, v130 :: v_dual_cndmask_b32 v135, v136, v139
	v_cmp_u_f32_e32 vcc_lo, v129, v129
	v_and_b32_e32 v135, 0xffff0000, v135
	s_wait_alu 0xfffd
	v_cndmask_b32_e32 v129, v140, v142, vcc_lo
	v_bfe_u32 v182, v134, 16, 1
	v_or_b32_e32 v139, 0x400000, v134
	v_bfe_u32 v142, v130, 16, 1
	v_cmp_u_f32_e32 vcc_lo, v134, v134
	v_and_b32_e32 v129, 0xffff0000, v129
	v_add3_u32 v136, v182, v134, 0x7fff
	s_delay_alu instid0(VALU_DEP_2) | instskip(SKIP_1) | instid1(VALU_DEP_2)
	v_add_f32_e32 v129, v129, v135
	s_wait_alu 0xfffd
	v_cndmask_b32_e32 v134, v136, v139, vcc_lo
	v_add3_u32 v139, v142, v130, 0x7fff
	v_and_b32_e32 v142, 0xffff0000, v132
	v_and_b32_e32 v140, 0xffff0000, v131
	v_lshlrev_b32_e32 v131, 16, v131
	v_cmp_u_f32_e32 vcc_lo, v130, v130
	s_delay_alu instid0(VALU_DEP_2) | instskip(SKIP_1) | instid1(VALU_DEP_2)
	v_dual_mul_f32 v136, v87, v140 :: v_dual_mul_f32 v131, v92, v131
	v_or_b32_e32 v140, 0x400000, v130
	v_bfe_u32 v182, v136, 16, 1
	s_delay_alu instid0(VALU_DEP_3) | instskip(SKIP_1) | instid1(VALU_DEP_3)
	v_bfe_u32 v183, v131, 16, 1
	s_wait_alu 0xfffd
	v_dual_cndmask_b32 v130, v139, v140 :: v_dual_mul_f32 v139, v88, v142
	v_or_b32_e32 v142, 0x400000, v136
	v_add3_u32 v140, v182, v136, 0x7fff
	v_cmp_u_f32_e32 vcc_lo, v136, v136
	v_add3_u32 v182, v183, v131, 0x7fff
	v_or_b32_e32 v183, 0x400000, v131
	v_bfe_u32 v184, v139, 16, 1
	s_wait_alu 0xfffd
	v_cndmask_b32_e32 v136, v140, v142, vcc_lo
	v_cmp_u_f32_e32 vcc_lo, v131, v131
	v_or_b32_e32 v142, 0x400000, v139
	v_add3_u32 v140, v184, v139, 0x7fff
	s_wait_alu 0xfffd
	v_cndmask_b32_e32 v131, v182, v183, vcc_lo
	v_cmp_u_f32_e32 vcc_lo, v139, v139
	s_delay_alu instid0(VALU_DEP_2) | instskip(SKIP_4) | instid1(VALU_DEP_1)
	v_and_b32_e32 v131, 0xffff0000, v131
	s_wait_alu 0xfffd
	v_cndmask_b32_e32 v139, v140, v142, vcc_lo
	v_and_b32_e32 v130, 0xffff0000, v130
	v_and_b32_e32 v135, 0xffff0000, v136
	v_dual_add_f32 v131, v131, v135 :: v_dual_and_b32 v134, 0xffff0000, v134
	s_delay_alu instid0(VALU_DEP_1) | instskip(NEXT) | instid1(VALU_DEP_1)
	v_add_f32_e32 v130, v130, v134
	v_dual_add_f32 v129, v130, v129 :: v_dual_lshlrev_b32 v132, 16, v132
	s_delay_alu instid0(VALU_DEP_1) | instskip(NEXT) | instid1(VALU_DEP_1)
	v_dual_mul_f32 v132, v90, v132 :: v_dual_add_f32 v129, v131, v129
	v_bfe_u32 v140, v132, 16, 1
	v_cmp_u_f32_e32 vcc_lo, v132, v132
	v_and_b32_e32 v131, 0xffff0000, v126
	v_and_b32_e32 v134, 0xffff0000, v125
	v_lshlrev_b32_e32 v125, 16, v125
	v_add3_u32 v136, v140, v132, 0x7fff
	v_or_b32_e32 v140, 0x400000, v132
	s_delay_alu instid0(VALU_DEP_4) | instskip(SKIP_1) | instid1(VALU_DEP_2)
	v_dual_mul_f32 v131, v86, v131 :: v_dual_mul_f32 v130, v85, v134
	s_wait_alu 0xfffd
	v_dual_mul_f32 v125, v89, v125 :: v_dual_cndmask_b32 v132, v136, v140
	v_and_b32_e32 v140, 0xffff0000, v127
	s_delay_alu instid0(VALU_DEP_3) | instskip(SKIP_1) | instid1(VALU_DEP_4)
	v_bfe_u32 v134, v130, 16, 1
	v_or_b32_e32 v135, 0x400000, v130
	v_bfe_u32 v136, v125, 16, 1
	v_cmp_u_f32_e32 vcc_lo, v130, v130
	v_lshlrev_b32_e32 v127, 16, v127
	v_add3_u32 v134, v134, v130, 0x7fff
	s_delay_alu instid0(VALU_DEP_2) | instskip(SKIP_1) | instid1(VALU_DEP_2)
	v_dual_mul_f32 v140, v87, v140 :: v_dual_mul_f32 v127, v92, v127
	s_wait_alu 0xfffd
	v_cndmask_b32_e32 v130, v134, v135, vcc_lo
	v_add3_u32 v134, v136, v125, 0x7fff
	v_or_b32_e32 v135, 0x400000, v125
	v_bfe_u32 v136, v131, 16, 1
	v_cmp_u_f32_e32 vcc_lo, v125, v125
	v_and_b32_e32 v132, 0xffff0000, v132
	v_or_b32_e32 v182, 0x400000, v127
	s_wait_alu 0xfffd
	v_cndmask_b32_e32 v125, v134, v135, vcc_lo
	v_add3_u32 v134, v136, v131, 0x7fff
	v_or_b32_e32 v135, 0x400000, v131
	v_cmp_u_f32_e32 vcc_lo, v131, v131
	v_lshlrev_b32_e32 v126, 16, v126
	v_and_b32_e32 v125, 0xffff0000, v125
	s_wait_alu 0xfffd
	v_dual_cndmask_b32 v131, v134, v135 :: v_dual_and_b32 v142, 0xffff0000, v128
	s_delay_alu instid0(VALU_DEP_1) | instskip(NEXT) | instid1(VALU_DEP_1)
	v_dual_mul_f32 v126, v91, v126 :: v_dual_and_b32 v131, 0xffff0000, v131
	v_bfe_u32 v136, v126, 16, 1
	v_or_b32_e32 v135, 0x400000, v126
	v_cmp_u_f32_e32 vcc_lo, v126, v126
	s_delay_alu instid0(VALU_DEP_3) | instskip(SKIP_2) | instid1(VALU_DEP_2)
	v_add3_u32 v134, v136, v126, 0x7fff
	v_bfe_u32 v136, v140, 16, 1
	s_wait_alu 0xfffd
	v_cndmask_b32_e32 v126, v134, v135, vcc_lo
	v_bfe_u32 v134, v127, 16, 1
	s_delay_alu instid0(VALU_DEP_3)
	v_add3_u32 v135, v136, v140, 0x7fff
	v_mul_f32_e32 v136, v88, v142
	v_or_b32_e32 v142, 0x400000, v140
	v_cmp_u_f32_e32 vcc_lo, v140, v140
	v_add3_u32 v134, v134, v127, 0x7fff
	v_and_b32_e32 v126, 0xffff0000, v126
	v_bfe_u32 v183, v136, 16, 1
	s_wait_alu 0xfffd
	v_cndmask_b32_e32 v135, v135, v142, vcc_lo
	v_cmp_u_f32_e32 vcc_lo, v127, v127
	s_wait_alu 0xfffd
	v_cndmask_b32_e32 v127, v134, v182, vcc_lo
	v_add3_u32 v134, v183, v136, 0x7fff
	v_or_b32_e32 v182, 0x400000, v136
	v_lshlrev_b32_e32 v128, 16, v128
	s_delay_alu instid0(VALU_DEP_1) | instskip(NEXT) | instid1(VALU_DEP_1)
	v_dual_mul_f32 v128, v90, v128 :: v_dual_and_b32 v127, 0xffff0000, v127
	v_bfe_u32 v184, v128, 16, 1
	v_or_b32_e32 v142, 0x400000, v128
	v_cmp_u_f32_e32 vcc_lo, v128, v128
	s_delay_alu instid0(VALU_DEP_3) | instskip(SKIP_1) | instid1(VALU_DEP_1)
	v_add3_u32 v140, v184, v128, 0x7fff
	s_wait_alu 0xfffd
	v_cndmask_b32_e32 v128, v140, v142, vcc_lo
	v_add_f32_e32 v126, v126, v131
	v_and_b32_e32 v130, 0xffff0000, v130
	v_cmp_u_f32_e32 vcc_lo, v136, v136
	s_delay_alu instid0(VALU_DEP_2) | instskip(SKIP_2) | instid1(VALU_DEP_2)
	v_add_f32_e32 v125, v125, v130
	s_wait_alu 0xfffd
	v_cndmask_b32_e32 v131, v134, v182, vcc_lo
	v_dual_add_f32 v125, v126, v125 :: v_dual_and_b32 v134, 0xffff0000, v139
	v_and_b32_e32 v130, 0xffff0000, v135
	s_delay_alu instid0(VALU_DEP_1) | instskip(SKIP_3) | instid1(VALU_DEP_4)
	v_add_f32_e32 v126, v127, v130
	v_and_b32_e32 v130, 0xffff0000, v121
	v_lshlrev_b32_e32 v121, 16, v121
	v_and_b32_e32 v127, 0xffff0000, v128
	v_dual_add_f32 v125, v126, v125 :: v_dual_and_b32 v128, 0xffff0000, v131
	v_add_f32_e32 v131, v132, v134
	s_delay_alu instid0(VALU_DEP_2) | instskip(NEXT) | instid1(VALU_DEP_2)
	v_dual_mul_f32 v121, v89, v121 :: v_dual_add_f32 v126, v127, v128
	v_dual_mul_f32 v127, v85, v130 :: v_dual_add_f32 v128, v131, v129
	v_and_b32_e32 v129, 0xffff0000, v122
	s_delay_alu instid0(VALU_DEP_3) | instskip(NEXT) | instid1(VALU_DEP_3)
	v_dual_add_f32 v125, v126, v125 :: v_dual_lshlrev_b32 v122, 16, v122
	v_bfe_u32 v126, v127, 16, 1
	v_cmp_u_f32_e32 vcc_lo, v127, v127
	s_delay_alu instid0(VALU_DEP_3) | instskip(NEXT) | instid1(VALU_DEP_4)
	v_dual_mul_f32 v129, v86, v129 :: v_dual_mul_f32 v122, v91, v122
	v_add_f32_e32 v149, v149, v125
	s_delay_alu instid0(VALU_DEP_4)
	v_add3_u32 v125, v126, v127, 0x7fff
	v_or_b32_e32 v126, 0x400000, v127
	v_and_b32_e32 v127, 0xffff0000, v123
	v_dual_add_f32 v147, v147, v133 :: v_dual_add_f32 v148, v148, v128
	v_bfe_u32 v128, v121, 16, 1
	v_or_b32_e32 v130, 0x400000, v121
	s_wait_alu 0xfffd
	v_cndmask_b32_e32 v125, v125, v126, vcc_lo
	v_bfe_u32 v126, v129, 16, 1
	v_cmp_u_f32_e32 vcc_lo, v121, v121
	v_add3_u32 v128, v128, v121, 0x7fff
	v_mul_f32_e32 v127, v87, v127
	v_and_b32_e32 v131, 0xffff0000, v124
	v_add3_u32 v126, v126, v129, 0x7fff
	s_wait_alu 0xfffd
	v_dual_cndmask_b32 v121, v128, v130 :: v_dual_lshlrev_b32 v124, 16, v124
	v_or_b32_e32 v128, 0x400000, v129
	v_bfe_u32 v130, v122, 16, 1
	v_cmp_u_f32_e32 vcc_lo, v129, v129
	v_or_b32_e32 v129, 0x400000, v122
	v_dual_mul_f32 v124, v90, v124 :: v_dual_and_b32 v125, 0xffff0000, v125
	s_wait_alu 0xfffd
	v_cndmask_b32_e32 v126, v126, v128, vcc_lo
	v_add3_u32 v128, v130, v122, 0x7fff
	v_cmp_u_f32_e32 vcc_lo, v122, v122
	v_lshlrev_b32_e32 v123, 16, v123
	v_bfe_u32 v130, v127, 16, 1
	v_and_b32_e32 v126, 0xffff0000, v126
	s_wait_alu 0xfffd
	v_cndmask_b32_e32 v122, v128, v129, vcc_lo
	v_mul_f32_e32 v123, v92, v123
	v_add3_u32 v128, v130, v127, 0x7fff
	v_mul_f32_e32 v129, v88, v131
	v_or_b32_e32 v130, 0x400000, v127
	v_cmp_u_f32_e32 vcc_lo, v127, v127
	v_bfe_u32 v132, v123, 16, 1
	v_and_b32_e32 v122, 0xffff0000, v122
	v_and_b32_e32 v121, 0xffff0000, v121
	v_bfe_u32 v133, v129, 16, 1
	s_delay_alu instid0(VALU_DEP_4) | instskip(SKIP_1) | instid1(VALU_DEP_4)
	v_add3_u32 v131, v132, v123, 0x7fff
	v_or_b32_e32 v132, 0x400000, v123
	v_add_f32_e32 v121, v121, v125
	v_and_b32_e32 v125, 0xffff0000, v117
	s_wait_alu 0xfffd
	v_cndmask_b32_e32 v127, v128, v130, vcc_lo
	v_cmp_u_f32_e32 vcc_lo, v123, v123
	v_add3_u32 v128, v133, v129, 0x7fff
	v_or_b32_e32 v130, 0x400000, v129
	s_wait_alu 0xfffd
	v_dual_add_f32 v122, v122, v126 :: v_dual_cndmask_b32 v123, v131, v132
	v_bfe_u32 v131, v124, 16, 1
	v_cmp_u_f32_e32 vcc_lo, v129, v129
	s_delay_alu instid0(VALU_DEP_2)
	v_add3_u32 v129, v131, v124, 0x7fff
	s_wait_alu 0xfffd
	v_cndmask_b32_e32 v128, v128, v130, vcc_lo
	v_or_b32_e32 v130, 0x400000, v124
	v_cmp_u_f32_e32 vcc_lo, v124, v124
	s_wait_alu 0xfffd
	s_delay_alu instid0(VALU_DEP_2) | instskip(SKIP_3) | instid1(VALU_DEP_4)
	v_dual_cndmask_b32 v124, v129, v130 :: v_dual_add_f32 v121, v122, v121
	v_mul_f32_e32 v122, v85, v125
	v_and_b32_e32 v126, 0xffff0000, v127
	v_and_b32_e32 v125, 0xffff0000, v128
	;; [unrolled: 1-line block ×4, first 2 shown]
	v_cmp_u_f32_e32 vcc_lo, v122, v122
	v_and_b32_e32 v128, 0xffff0000, v119
	s_delay_alu instid0(VALU_DEP_4) | instskip(NEXT) | instid1(VALU_DEP_4)
	v_dual_add_f32 v124, v124, v125 :: v_dual_and_b32 v129, 0xffff0000, v120
	v_add_f32_e32 v123, v123, v126
	v_bfe_u32 v126, v122, 16, 1
	s_delay_alu instid0(VALU_DEP_4) | instskip(NEXT) | instid1(VALU_DEP_3)
	v_mul_f32_e32 v128, v87, v128
	v_dual_add_f32 v121, v123, v121 :: v_dual_lshlrev_b32 v120, 16, v120
	s_delay_alu instid0(VALU_DEP_3) | instskip(SKIP_2) | instid1(VALU_DEP_4)
	v_add3_u32 v125, v126, v122, 0x7fff
	v_or_b32_e32 v126, 0x400000, v122
	v_lshlrev_b32_e32 v117, 16, v117
	v_dual_mul_f32 v120, v90, v120 :: v_dual_and_b32 v123, 0xffff0000, v118
	v_lshlrev_b32_e32 v118, 16, v118
	s_wait_alu 0xfffd
	v_cndmask_b32_e32 v122, v125, v126, vcc_lo
	v_mul_f32_e32 v117, v89, v117
	v_mul_f32_e32 v123, v86, v123
	v_dual_add_f32 v121, v124, v121 :: v_dual_mul_f32 v118, v91, v118
	s_delay_alu instid0(VALU_DEP_4) | instskip(NEXT) | instid1(VALU_DEP_4)
	v_and_b32_e32 v122, 0xffff0000, v122
	v_bfe_u32 v127, v117, 16, 1
	v_or_b32_e32 v126, 0x400000, v117
	v_cmp_u_f32_e32 vcc_lo, v117, v117
	v_add_f32_e32 v150, v150, v121
	s_delay_alu instid0(VALU_DEP_4) | instskip(SKIP_2) | instid1(VALU_DEP_2)
	v_add3_u32 v125, v127, v117, 0x7fff
	v_bfe_u32 v127, v123, 16, 1
	s_wait_alu 0xfffd
	v_cndmask_b32_e32 v117, v125, v126, vcc_lo
	s_delay_alu instid0(VALU_DEP_2) | instskip(SKIP_4) | instid1(VALU_DEP_3)
	v_add3_u32 v125, v127, v123, 0x7fff
	v_or_b32_e32 v126, 0x400000, v123
	v_bfe_u32 v127, v118, 16, 1
	v_cmp_u_f32_e32 vcc_lo, v123, v123
	s_wait_alu 0xfffd
	v_cndmask_b32_e32 v123, v125, v126, vcc_lo
	s_delay_alu instid0(VALU_DEP_3) | instskip(SKIP_4) | instid1(VALU_DEP_3)
	v_add3_u32 v125, v127, v118, 0x7fff
	v_or_b32_e32 v126, 0x400000, v118
	v_bfe_u32 v127, v128, 16, 1
	v_cmp_u_f32_e32 vcc_lo, v118, v118
	s_wait_alu 0xfffd
	v_cndmask_b32_e32 v118, v125, v126, vcc_lo
	s_delay_alu instid0(VALU_DEP_3)
	v_add3_u32 v126, v127, v128, 0x7fff
	v_mul_f32_e32 v127, v88, v129
	v_or_b32_e32 v129, 0x400000, v128
	v_cmp_u_f32_e32 vcc_lo, v128, v128
	v_bfe_u32 v128, v120, 16, 1
	v_and_b32_e32 v118, 0xffff0000, v118
	v_bfe_u32 v131, v127, 16, 1
	s_wait_alu 0xfffd
	v_cndmask_b32_e32 v126, v126, v129, vcc_lo
	v_add3_u32 v128, v128, v120, 0x7fff
	v_lshlrev_b32_e32 v119, 16, v119
	v_or_b32_e32 v129, 0x400000, v127
	s_delay_alu instid0(VALU_DEP_2) | instskip(NEXT) | instid1(VALU_DEP_1)
	v_mul_f32_e32 v119, v92, v119
	v_bfe_u32 v125, v119, 16, 1
	v_or_b32_e32 v130, 0x400000, v119
	v_cmp_u_f32_e32 vcc_lo, v119, v119
	s_delay_alu instid0(VALU_DEP_3) | instskip(SKIP_1) | instid1(VALU_DEP_1)
	v_add3_u32 v125, v125, v119, 0x7fff
	s_wait_alu 0xfffd
	v_cndmask_b32_e32 v119, v125, v130, vcc_lo
	v_or_b32_e32 v130, 0x400000, v120
	v_cmp_u_f32_e32 vcc_lo, v120, v120
	v_add3_u32 v125, v131, v127, 0x7fff
	s_delay_alu instid0(VALU_DEP_4) | instskip(SKIP_3) | instid1(VALU_DEP_2)
	v_and_b32_e32 v119, 0xffff0000, v119
	s_wait_alu 0xfffd
	v_dual_cndmask_b32 v120, v128, v130 :: v_dual_and_b32 v117, 0xffff0000, v117
	v_cmp_u_f32_e32 vcc_lo, v127, v127
	v_dual_add_f32 v117, v117, v122 :: v_dual_and_b32 v120, 0xffff0000, v120
	v_and_b32_e32 v123, 0xffff0000, v123
	v_and_b32_e32 v122, 0xffff0000, v126
	s_wait_alu 0xfffd
	s_delay_alu instid0(VALU_DEP_2) | instskip(NEXT) | instid1(VALU_DEP_1)
	v_dual_add_f32 v118, v118, v123 :: v_dual_cndmask_b32 v123, v125, v129
	v_dual_add_f32 v117, v118, v117 :: v_dual_add_f32 v118, v119, v122
	s_delay_alu instid0(VALU_DEP_1) | instskip(NEXT) | instid1(VALU_DEP_1)
	v_dual_add_f32 v117, v118, v117 :: v_dual_and_b32 v122, 0xffff0000, v123
	v_add_f32_e32 v118, v120, v122
	v_and_b32_e32 v120, 0xffff0000, v114
	v_lshlrev_b32_e32 v114, 16, v114
	v_and_b32_e32 v119, 0xffff0000, v113
	s_delay_alu instid0(VALU_DEP_4) | instskip(NEXT) | instid1(VALU_DEP_4)
	v_add_f32_e32 v117, v118, v117
	v_mul_f32_e32 v118, v86, v120
	s_delay_alu instid0(VALU_DEP_3) | instskip(NEXT) | instid1(VALU_DEP_2)
	v_dual_mul_f32 v114, v91, v114 :: v_dual_mul_f32 v119, v85, v119
	v_bfe_u32 v124, v118, 16, 1
	s_delay_alu instid0(VALU_DEP_2) | instskip(SKIP_1) | instid1(VALU_DEP_2)
	v_bfe_u32 v122, v119, 16, 1
	v_cmp_u_f32_e32 vcc_lo, v119, v119
	v_add3_u32 v120, v122, v119, 0x7fff
	v_or_b32_e32 v122, 0x400000, v119
	s_wait_alu 0xfffd
	s_delay_alu instid0(VALU_DEP_1) | instskip(SKIP_2) | instid1(VALU_DEP_2)
	v_dual_cndmask_b32 v119, v120, v122 :: v_dual_and_b32 v122, 0xffff0000, v115
	v_lshlrev_b32_e32 v113, 16, v113
	v_add3_u32 v120, v124, v118, 0x7fff
	v_mul_f32_e32 v113, v89, v113
	s_delay_alu instid0(VALU_DEP_1) | instskip(SKIP_2) | instid1(VALU_DEP_3)
	v_bfe_u32 v121, v113, 16, 1
	v_or_b32_e32 v123, 0x400000, v113
	v_cmp_u_f32_e32 vcc_lo, v113, v113
	v_add3_u32 v121, v121, v113, 0x7fff
	s_wait_alu 0xfffd
	s_delay_alu instid0(VALU_DEP_1) | instskip(SKIP_4) | instid1(VALU_DEP_3)
	v_cndmask_b32_e32 v113, v121, v123, vcc_lo
	v_or_b32_e32 v121, 0x400000, v118
	v_bfe_u32 v123, v114, 16, 1
	v_cmp_u_f32_e32 vcc_lo, v118, v118
	s_wait_alu 0xfffd
	v_cndmask_b32_e32 v118, v120, v121, vcc_lo
	v_mul_f32_e32 v120, v87, v122
	v_add3_u32 v121, v123, v114, 0x7fff
	v_or_b32_e32 v122, 0x400000, v114
	v_cmp_u_f32_e32 vcc_lo, v114, v114
	v_and_b32_e32 v118, 0xffff0000, v118
	v_bfe_u32 v124, v120, 16, 1
	s_wait_alu 0xfffd
	v_cndmask_b32_e32 v114, v121, v122, vcc_lo
	v_cmp_u_f32_e32 vcc_lo, v120, v120
	s_delay_alu instid0(VALU_DEP_3) | instskip(NEXT) | instid1(VALU_DEP_3)
	v_add3_u32 v122, v124, v120, 0x7fff
	v_and_b32_e32 v114, 0xffff0000, v114
	s_delay_alu instid0(VALU_DEP_1) | instskip(NEXT) | instid1(VALU_DEP_1)
	v_dual_add_f32 v114, v114, v118 :: v_dual_lshlrev_b32 v115, 16, v115
	v_dual_mul_f32 v115, v92, v115 :: v_dual_and_b32 v118, 0xffff0000, v109
	v_and_b32_e32 v123, 0xffff0000, v116
	v_lshlrev_b32_e32 v116, 16, v116
	v_and_b32_e32 v119, 0xffff0000, v119
	s_delay_alu instid0(VALU_DEP_4) | instskip(NEXT) | instid1(VALU_DEP_3)
	v_bfe_u32 v125, v115, 16, 1
	v_dual_mul_f32 v116, v90, v116 :: v_dual_and_b32 v113, 0xffff0000, v113
	s_delay_alu instid0(VALU_DEP_2) | instskip(SKIP_1) | instid1(VALU_DEP_3)
	v_add3_u32 v124, v125, v115, 0x7fff
	v_or_b32_e32 v125, 0x400000, v115
	v_add_f32_e32 v113, v113, v119
	s_delay_alu instid0(VALU_DEP_1) | instskip(SKIP_2) | instid1(VALU_DEP_3)
	v_dual_add_f32 v113, v114, v113 :: v_dual_mul_f32 v114, v85, v118
	v_mul_f32_e32 v121, v88, v123
	v_or_b32_e32 v123, 0x400000, v120
	v_bfe_u32 v118, v114, 16, 1
	s_delay_alu instid0(VALU_DEP_3) | instskip(SKIP_1) | instid1(VALU_DEP_3)
	v_bfe_u32 v126, v121, 16, 1
	s_wait_alu 0xfffd
	v_cndmask_b32_e32 v120, v122, v123, vcc_lo
	v_cmp_u_f32_e32 vcc_lo, v115, v115
	v_or_b32_e32 v123, 0x400000, v121
	v_add3_u32 v118, v118, v114, 0x7fff
	v_add3_u32 v122, v126, v121, 0x7fff
	s_wait_alu 0xfffd
	v_cndmask_b32_e32 v115, v124, v125, vcc_lo
	v_cmp_u_f32_e32 vcc_lo, v121, v121
	s_wait_alu 0xfffd
	v_cndmask_b32_e32 v121, v122, v123, vcc_lo
	v_bfe_u32 v122, v116, 16, 1
	v_cmp_u_f32_e32 vcc_lo, v116, v116
	v_and_b32_e32 v123, 0xffff0000, v112
	v_and_b32_e32 v119, 0xffff0000, v120
	v_lshlrev_b32_e32 v112, 16, v112
	v_add3_u32 v120, v122, v116, 0x7fff
	v_or_b32_e32 v122, 0x400000, v116
	s_delay_alu instid0(VALU_DEP_3) | instskip(SKIP_1) | instid1(VALU_DEP_2)
	v_mul_f32_e32 v112, v90, v112
	s_wait_alu 0xfffd
	v_cndmask_b32_e32 v116, v120, v122, vcc_lo
	v_and_b32_e32 v122, 0xffff0000, v111
	v_and_b32_e32 v115, 0xffff0000, v115
	v_cmp_u_f32_e32 vcc_lo, v114, v114
	v_bfe_u32 v126, v112, 16, 1
	v_and_b32_e32 v116, 0xffff0000, v116
	v_mul_f32_e32 v122, v87, v122
	v_add_f32_e32 v115, v115, v119
	v_or_b32_e32 v119, 0x400000, v114
	v_lshlrev_b32_e32 v109, 16, v109
	s_delay_alu instid0(VALU_DEP_3) | instskip(SKIP_1) | instid1(VALU_DEP_3)
	v_add_f32_e32 v113, v115, v113
	s_wait_alu 0xfffd
	v_dual_cndmask_b32 v114, v118, v119 :: v_dual_and_b32 v115, 0xffff0000, v110
	s_delay_alu instid0(VALU_DEP_3) | instskip(NEXT) | instid1(VALU_DEP_2)
	v_dual_mul_f32 v109, v89, v109 :: v_dual_lshlrev_b32 v110, 16, v110
	v_dual_mul_f32 v115, v86, v115 :: v_dual_and_b32 v114, 0xffff0000, v114
	s_delay_alu instid0(VALU_DEP_2) | instskip(SKIP_1) | instid1(VALU_DEP_4)
	v_bfe_u32 v120, v109, 16, 1
	v_or_b32_e32 v119, 0x400000, v109
	v_mul_f32_e32 v110, v91, v110
	v_cmp_u_f32_e32 vcc_lo, v109, v109
	s_delay_alu instid0(VALU_DEP_4) | instskip(SKIP_2) | instid1(VALU_DEP_2)
	v_add3_u32 v118, v120, v109, 0x7fff
	v_bfe_u32 v120, v115, 16, 1
	s_wait_alu 0xfffd
	v_cndmask_b32_e32 v109, v118, v119, vcc_lo
	s_delay_alu instid0(VALU_DEP_2) | instskip(SKIP_4) | instid1(VALU_DEP_3)
	v_add3_u32 v118, v120, v115, 0x7fff
	v_or_b32_e32 v119, 0x400000, v115
	v_bfe_u32 v120, v110, 16, 1
	v_cmp_u_f32_e32 vcc_lo, v115, v115
	s_wait_alu 0xfffd
	v_cndmask_b32_e32 v115, v118, v119, vcc_lo
	s_delay_alu instid0(VALU_DEP_3)
	v_add3_u32 v118, v120, v110, 0x7fff
	v_or_b32_e32 v119, 0x400000, v110
	v_cmp_u_f32_e32 vcc_lo, v110, v110
	v_bfe_u32 v120, v122, 16, 1
	v_and_b32_e32 v115, 0xffff0000, v115
	s_wait_alu 0xfffd
	v_cndmask_b32_e32 v110, v118, v119, vcc_lo
	v_lshlrev_b32_e32 v111, 16, v111
	v_add3_u32 v119, v120, v122, 0x7fff
	v_cmp_u_f32_e32 vcc_lo, v122, v122
	s_delay_alu instid0(VALU_DEP_3) | instskip(NEXT) | instid1(VALU_DEP_1)
	v_dual_mul_f32 v111, v92, v111 :: v_dual_and_b32 v110, 0xffff0000, v110
	v_dual_add_f32 v110, v110, v115 :: v_dual_and_b32 v109, 0xffff0000, v109
	s_delay_alu instid0(VALU_DEP_2)
	v_bfe_u32 v118, v111, 16, 1
	v_mul_f32_e32 v120, v88, v123
	v_or_b32_e32 v123, 0x400000, v122
	v_or_b32_e32 v124, 0x400000, v111
	v_add3_u32 v122, v126, v112, 0x7fff
	v_add3_u32 v118, v118, v111, 0x7fff
	v_bfe_u32 v125, v120, 16, 1
	s_wait_alu 0xfffd
	v_cndmask_b32_e32 v119, v119, v123, vcc_lo
	v_cmp_u_f32_e32 vcc_lo, v111, v111
	v_or_b32_e32 v123, 0x400000, v112
	s_wait_alu 0xfffd
	v_cndmask_b32_e32 v111, v118, v124, vcc_lo
	v_cmp_u_f32_e32 vcc_lo, v112, v112
	v_add3_u32 v118, v125, v120, 0x7fff
	v_or_b32_e32 v124, 0x400000, v120
	s_wait_alu 0xfffd
	v_cndmask_b32_e32 v112, v122, v123, vcc_lo
	v_cmp_u_f32_e32 vcc_lo, v120, v120
	s_wait_alu 0xfffd
	v_cndmask_b32_e32 v115, v118, v124, vcc_lo
	v_dual_add_f32 v109, v109, v114 :: v_dual_and_b32 v114, 0xffff0000, v119
	v_and_b32_e32 v111, 0xffff0000, v111
	v_and_b32_e32 v118, 0xffff0000, v121
	s_delay_alu instid0(VALU_DEP_2) | instskip(SKIP_2) | instid1(VALU_DEP_4)
	v_dual_add_f32 v109, v110, v109 :: v_dual_add_f32 v110, v111, v114
	v_and_b32_e32 v111, 0xffff0000, v112
	v_and_b32_e32 v112, 0xffff0000, v115
	v_dual_add_f32 v115, v116, v118 :: v_dual_and_b32 v114, 0xffff0000, v105
	s_delay_alu instid0(VALU_DEP_2) | instskip(NEXT) | instid1(VALU_DEP_2)
	v_dual_add_f32 v109, v110, v109 :: v_dual_add_f32 v110, v111, v112
	v_dual_mul_f32 v111, v85, v114 :: v_dual_add_f32 v112, v115, v113
	v_and_b32_e32 v115, 0xffff0000, v108
	v_lshlrev_b32_e32 v108, 16, v108
	v_lshlrev_b32_e32 v105, 16, v105
	v_add_f32_e32 v109, v110, v109
	v_bfe_u32 v110, v111, 16, 1
	v_add_f32_e32 v152, v152, v112
	s_delay_alu instid0(VALU_DEP_4) | instskip(NEXT) | instid1(VALU_DEP_4)
	v_dual_mul_f32 v108, v90, v108 :: v_dual_mul_f32 v105, v89, v105
	v_add_f32_e32 v153, v153, v109
	s_delay_alu instid0(VALU_DEP_4)
	v_add3_u32 v109, v110, v111, 0x7fff
	v_or_b32_e32 v110, 0x400000, v111
	v_cmp_u_f32_e32 vcc_lo, v111, v111
	v_bfe_u32 v112, v105, 16, 1
	v_or_b32_e32 v114, 0x400000, v105
	v_and_b32_e32 v111, 0xffff0000, v107
	v_lshlrev_b32_e32 v107, 16, v107
	s_wait_alu 0xfffd
	v_cndmask_b32_e32 v109, v109, v110, vcc_lo
	v_add3_u32 v112, v112, v105, 0x7fff
	v_cmp_u_f32_e32 vcc_lo, v105, v105
	v_mul_f32_e32 v111, v87, v111
	v_mul_f32_e32 v107, v92, v107
	v_and_b32_e32 v109, 0xffff0000, v109
	s_wait_alu 0xfffd
	v_cndmask_b32_e32 v105, v112, v114, vcc_lo
	s_delay_alu instid0(VALU_DEP_3) | instskip(NEXT) | instid1(VALU_DEP_2)
	v_bfe_u32 v116, v107, 16, 1
	v_and_b32_e32 v105, 0xffff0000, v105
	s_delay_alu instid0(VALU_DEP_1) | instskip(SKIP_4) | instid1(VALU_DEP_2)
	v_add_f32_e32 v105, v105, v109
	v_and_b32_e32 v109, 0xffff0000, v101
	v_and_b32_e32 v113, 0xffff0000, v106
	v_lshlrev_b32_e32 v106, 16, v106
	v_lshlrev_b32_e32 v101, 16, v101
	v_dual_mul_f32 v113, v86, v113 :: v_dual_mul_f32 v106, v91, v106
	s_delay_alu instid0(VALU_DEP_2) | instskip(NEXT) | instid1(VALU_DEP_2)
	v_mul_f32_e32 v101, v89, v101
	v_bfe_u32 v110, v113, 16, 1
	v_or_b32_e32 v112, 0x400000, v113
	s_delay_alu instid0(VALU_DEP_4) | instskip(SKIP_1) | instid1(VALU_DEP_4)
	v_bfe_u32 v114, v106, 16, 1
	v_cmp_u_f32_e32 vcc_lo, v113, v113
	v_add3_u32 v110, v110, v113, 0x7fff
	v_or_b32_e32 v113, 0x400000, v106
	s_wait_alu 0xfffd
	s_delay_alu instid0(VALU_DEP_2) | instskip(SKIP_3) | instid1(VALU_DEP_4)
	v_cndmask_b32_e32 v110, v110, v112, vcc_lo
	v_add3_u32 v112, v114, v106, 0x7fff
	v_bfe_u32 v114, v111, 16, 1
	v_cmp_u_f32_e32 vcc_lo, v106, v106
	v_and_b32_e32 v110, 0xffff0000, v110
	s_wait_alu 0xfffd
	v_cndmask_b32_e32 v106, v112, v113, vcc_lo
	v_add3_u32 v112, v114, v111, 0x7fff
	v_or_b32_e32 v114, 0x400000, v111
	v_cmp_u_f32_e32 vcc_lo, v111, v111
	v_mul_f32_e32 v113, v88, v115
	v_add3_u32 v115, v116, v107, 0x7fff
	v_or_b32_e32 v116, 0x400000, v107
	v_and_b32_e32 v106, 0xffff0000, v106
	s_wait_alu 0xfffd
	v_cndmask_b32_e32 v111, v112, v114, vcc_lo
	v_cmp_u_f32_e32 vcc_lo, v107, v107
	v_or_b32_e32 v114, 0x400000, v113
	s_wait_alu 0xfffd
	v_dual_add_f32 v106, v106, v110 :: v_dual_cndmask_b32 v107, v115, v116
	v_cmp_u_f32_e32 vcc_lo, v113, v113
	v_add_f32_e32 v151, v151, v117
	v_bfe_u32 v117, v113, 16, 1
	v_bfe_u32 v115, v108, 16, 1
	v_and_b32_e32 v107, 0xffff0000, v107
	v_add_f32_e32 v105, v106, v105
	v_mul_f32_e32 v106, v85, v109
	v_add3_u32 v112, v117, v113, 0x7fff
	v_add3_u32 v113, v115, v108, 0x7fff
	s_wait_alu 0xfffd
	s_delay_alu instid0(VALU_DEP_2) | instskip(SKIP_2) | instid1(VALU_DEP_3)
	v_cndmask_b32_e32 v112, v112, v114, vcc_lo
	v_or_b32_e32 v114, 0x400000, v108
	v_cmp_u_f32_e32 vcc_lo, v108, v108
	v_and_b32_e32 v109, 0xffff0000, v112
	v_and_b32_e32 v112, 0xffff0000, v103
	s_wait_alu 0xfffd
	v_dual_cndmask_b32 v108, v113, v114 :: v_dual_and_b32 v113, 0xffff0000, v104
	v_lshlrev_b32_e32 v104, 16, v104
	v_cmp_u_f32_e32 vcc_lo, v106, v106
	v_mul_f32_e32 v112, v87, v112
	s_delay_alu instid0(VALU_DEP_4) | instskip(NEXT) | instid1(VALU_DEP_4)
	v_and_b32_e32 v108, 0xffff0000, v108
	v_dual_mul_f32 v104, v90, v104 :: v_dual_lshlrev_b32 v103, 16, v103
	v_and_b32_e32 v110, 0xffff0000, v111
	v_bfe_u32 v111, v101, 16, 1
	s_delay_alu instid0(VALU_DEP_4) | instskip(NEXT) | instid1(VALU_DEP_4)
	v_add_f32_e32 v108, v108, v109
	v_mul_f32_e32 v103, v92, v103
	s_delay_alu instid0(VALU_DEP_4) | instskip(SKIP_1) | instid1(VALU_DEP_3)
	v_add_f32_e32 v107, v107, v110
	v_bfe_u32 v110, v106, 16, 1
	v_or_b32_e32 v114, 0x400000, v103
	s_delay_alu instid0(VALU_DEP_3) | instskip(SKIP_1) | instid1(VALU_DEP_4)
	v_add_f32_e32 v105, v107, v105
	v_and_b32_e32 v107, 0xffff0000, v102
	v_add3_u32 v109, v110, v106, 0x7fff
	v_or_b32_e32 v110, 0x400000, v106
	s_delay_alu instid0(VALU_DEP_3) | instskip(SKIP_1) | instid1(VALU_DEP_2)
	v_dual_mul_f32 v107, v86, v107 :: v_dual_lshlrev_b32 v102, 16, v102
	s_wait_alu 0xfffd
	v_cndmask_b32_e32 v106, v109, v110, vcc_lo
	v_add3_u32 v109, v111, v101, 0x7fff
	v_or_b32_e32 v110, 0x400000, v101
	v_bfe_u32 v111, v107, 16, 1
	v_mul_f32_e32 v102, v91, v102
	v_cmp_u_f32_e32 vcc_lo, v101, v101
	v_and_b32_e32 v106, 0xffff0000, v106
	s_wait_alu 0xfffd
	v_cndmask_b32_e32 v101, v109, v110, vcc_lo
	v_add3_u32 v109, v111, v107, 0x7fff
	v_or_b32_e32 v110, 0x400000, v107
	v_bfe_u32 v111, v102, 16, 1
	v_cmp_u_f32_e32 vcc_lo, v107, v107
	v_and_b32_e32 v101, 0xffff0000, v101
	s_wait_alu 0xfffd
	v_cndmask_b32_e32 v107, v109, v110, vcc_lo
	v_add3_u32 v109, v111, v102, 0x7fff
	v_or_b32_e32 v110, 0x400000, v102
	v_bfe_u32 v111, v112, 16, 1
	v_cmp_u_f32_e32 vcc_lo, v102, v102
	v_and_b32_e32 v107, 0xffff0000, v107
	v_add_f32_e32 v101, v101, v106
	s_wait_alu 0xfffd
	v_cndmask_b32_e32 v102, v109, v110, vcc_lo
	v_bfe_u32 v109, v103, 16, 1
	v_add3_u32 v110, v111, v112, 0x7fff
	v_mul_f32_e32 v111, v88, v113
	v_or_b32_e32 v113, 0x400000, v112
	v_cmp_u_f32_e32 vcc_lo, v112, v112
	v_add3_u32 v109, v109, v103, 0x7fff
	v_bfe_u32 v112, v104, 16, 1
	v_bfe_u32 v115, v111, 16, 1
	v_and_b32_e32 v102, 0xffff0000, v102
	s_wait_alu 0xfffd
	v_cndmask_b32_e32 v110, v110, v113, vcc_lo
	v_cmp_u_f32_e32 vcc_lo, v103, v103
	v_add3_u32 v112, v112, v104, 0x7fff
	v_or_b32_e32 v113, 0x400000, v111
	v_add_f32_e32 v102, v102, v107
	v_and_b32_e32 v106, 0xffff0000, v110
	s_wait_alu 0xfffd
	v_cndmask_b32_e32 v103, v109, v114, vcc_lo
	v_or_b32_e32 v114, 0x400000, v104
	v_cmp_u_f32_e32 vcc_lo, v104, v104
	v_add3_u32 v109, v115, v111, 0x7fff
	v_add_f32_e32 v101, v102, v101
	v_and_b32_e32 v103, 0xffff0000, v103
	v_add_f32_e32 v105, v108, v105
	s_wait_alu 0xfffd
	v_cndmask_b32_e32 v104, v112, v114, vcc_lo
	v_cmp_u_f32_e32 vcc_lo, v111, v111
	v_dual_add_f32 v102, v103, v106 :: v_dual_and_b32 v103, 0xffff0000, v97
	s_wait_alu 0xfffd
	s_delay_alu instid0(VALU_DEP_3) | instskip(SKIP_1) | instid1(VALU_DEP_3)
	v_dual_cndmask_b32 v107, v109, v113 :: v_dual_and_b32 v104, 0xffff0000, v104
	v_lshlrev_b32_e32 v97, 16, v97
	v_add_f32_e32 v101, v102, v101
	v_dual_mul_f32 v103, v85, v103 :: v_dual_add_f32 v154, v154, v105
	s_delay_alu instid0(VALU_DEP_3) | instskip(NEXT) | instid1(VALU_DEP_2)
	v_dual_mul_f32 v97, v89, v97 :: v_dual_and_b32 v106, 0xffff0000, v107
	v_cmp_u_f32_e32 vcc_lo, v103, v103
	s_delay_alu instid0(VALU_DEP_2)
	v_add_f32_e32 v102, v104, v106
	v_and_b32_e32 v104, 0xffff0000, v98
	v_bfe_u32 v106, v103, 16, 1
	v_bfe_u32 v105, v97, 16, 1
	v_or_b32_e32 v107, 0x400000, v97
	v_add_f32_e32 v101, v102, v101
	v_mul_f32_e32 v102, v86, v104
	v_add3_u32 v104, v106, v103, 0x7fff
	v_or_b32_e32 v106, 0x400000, v103
	v_add3_u32 v105, v105, v97, 0x7fff
	v_lshlrev_b32_e32 v98, 16, v98
	v_bfe_u32 v108, v102, 16, 1
	s_wait_alu 0xfffd
	v_cndmask_b32_e32 v103, v104, v106, vcc_lo
	v_cmp_u_f32_e32 vcc_lo, v97, v97
	v_mul_f32_e32 v98, v91, v98
	v_add3_u32 v104, v108, v102, 0x7fff
	v_and_b32_e32 v106, 0xffff0000, v99
	v_lshlrev_b32_e32 v99, 16, v99
	s_wait_alu 0xfffd
	v_cndmask_b32_e32 v97, v105, v107, vcc_lo
	v_or_b32_e32 v105, 0x400000, v102
	v_cmp_u_f32_e32 vcc_lo, v102, v102
	v_bfe_u32 v107, v98, 16, 1
	v_mul_f32_e32 v99, v92, v99
	s_wait_alu 0xfffd
	v_cndmask_b32_e32 v102, v104, v105, vcc_lo
	v_mul_f32_e32 v104, v87, v106
	v_add3_u32 v105, v107, v98, 0x7fff
	v_or_b32_e32 v106, 0x400000, v98
	v_and_b32_e32 v107, 0xffff0000, v100
	v_cmp_u_f32_e32 vcc_lo, v98, v98
	v_bfe_u32 v108, v104, 16, 1
	v_bfe_u32 v109, v99, 16, 1
	v_lshlrev_b32_e32 v100, 16, v100
	v_and_b32_e32 v102, 0xffff0000, v102
	s_wait_alu 0xfffd
	v_dual_cndmask_b32 v98, v105, v106 :: v_dual_mul_f32 v105, v88, v107
	v_add3_u32 v106, v108, v104, 0x7fff
	v_or_b32_e32 v107, 0x400000, v104
	v_cmp_u_f32_e32 vcc_lo, v104, v104
	v_add3_u32 v108, v109, v99, 0x7fff
	v_or_b32_e32 v109, 0x400000, v99
	v_bfe_u32 v110, v105, 16, 1
	v_and_b32_e32 v98, 0xffff0000, v98
	s_wait_alu 0xfffd
	v_cndmask_b32_e32 v104, v106, v107, vcc_lo
	v_cmp_u_f32_e32 vcc_lo, v99, v99
	v_or_b32_e32 v107, 0x400000, v105
	v_add3_u32 v106, v110, v105, 0x7fff
	v_mul_f32_e32 v100, v90, v100
	s_wait_alu 0xfffd
	v_dual_add_f32 v98, v98, v102 :: v_dual_cndmask_b32 v99, v108, v109
	v_cmp_u_f32_e32 vcc_lo, v105, v105
	v_and_b32_e32 v102, 0xffff0000, v93
	v_lshlrev_b32_e32 v93, 16, v93
	s_delay_alu instid0(VALU_DEP_4)
	v_and_b32_e32 v99, 0xffff0000, v99
	s_wait_alu 0xfffd
	v_cndmask_b32_e32 v105, v106, v107, vcc_lo
	v_and_b32_e32 v107, 0xffff0000, v96
	v_lshlrev_b32_e32 v96, 16, v96
	v_and_b32_e32 v103, 0xffff0000, v103
	v_bfe_u32 v106, v100, 16, 1
	v_cmp_u_f32_e32 vcc_lo, v100, v100
	s_delay_alu instid0(VALU_DEP_4) | instskip(SKIP_1) | instid1(VALU_DEP_2)
	v_dual_mul_f32 v93, v89, v93 :: v_dual_mul_f32 v96, v90, v96
	v_and_b32_e32 v97, 0xffff0000, v97
	v_bfe_u32 v110, v96, 16, 1
	s_delay_alu instid0(VALU_DEP_2) | instskip(SKIP_3) | instid1(VALU_DEP_4)
	v_add_f32_e32 v97, v97, v103
	v_and_b32_e32 v103, 0xffff0000, v104
	v_add3_u32 v104, v106, v100, 0x7fff
	v_or_b32_e32 v106, 0x400000, v100
	v_dual_add_f32 v97, v98, v97 :: v_dual_mul_f32 v98, v85, v102
	s_wait_alu 0xfffd
	s_delay_alu instid0(VALU_DEP_2) | instskip(SKIP_3) | instid1(VALU_DEP_4)
	v_dual_add_f32 v99, v99, v103 :: v_dual_cndmask_b32 v100, v104, v106
	v_bfe_u32 v104, v93, 16, 1
	v_and_b32_e32 v106, 0xffff0000, v95
	v_bfe_u32 v102, v98, 16, 1
	v_add_f32_e32 v97, v99, v97
	v_and_b32_e32 v99, 0xffff0000, v94
	v_or_b32_e32 v103, 0x400000, v98
	v_lshlrev_b32_e32 v94, 16, v94
	v_add3_u32 v102, v102, v98, 0x7fff
	v_cmp_u_f32_e32 vcc_lo, v98, v98
	v_dual_mul_f32 v99, v86, v99 :: v_dual_mul_f32 v106, v87, v106
	s_delay_alu instid0(VALU_DEP_4)
	v_dual_mul_f32 v94, v91, v94 :: v_dual_lshlrev_b32 v95, 16, v95
	s_wait_alu 0xfffd
	v_cndmask_b32_e32 v98, v102, v103, vcc_lo
	v_add3_u32 v102, v104, v93, 0x7fff
	v_or_b32_e32 v103, 0x400000, v93
	v_bfe_u32 v104, v99, 16, 1
	v_cmp_u_f32_e32 vcc_lo, v93, v93
	v_dual_mul_f32 v95, v92, v95 :: v_dual_and_b32 v98, 0xffff0000, v98
	v_dual_add_f32 v155, v155, v101 :: v_dual_and_b32 v100, 0xffff0000, v100
	s_wait_alu 0xfffd
	v_cndmask_b32_e32 v93, v102, v103, vcc_lo
	v_add3_u32 v102, v104, v99, 0x7fff
	v_or_b32_e32 v103, 0x400000, v99
	v_bfe_u32 v104, v94, 16, 1
	v_cmp_u_f32_e32 vcc_lo, v99, v99
	v_or_b32_e32 v108, 0x400000, v95
	v_and_b32_e32 v93, 0xffff0000, v93
	s_wait_alu 0xfffd
	v_cndmask_b32_e32 v99, v102, v103, vcc_lo
	v_add3_u32 v102, v104, v94, 0x7fff
	v_or_b32_e32 v103, 0x400000, v94
	v_bfe_u32 v104, v106, 16, 1
	v_cmp_u_f32_e32 vcc_lo, v94, v94
	v_and_b32_e32 v99, 0xffff0000, v99
	s_wait_alu 0xfffd
	v_dual_add_f32 v93, v93, v98 :: v_dual_cndmask_b32 v94, v102, v103
	v_bfe_u32 v102, v95, 16, 1
	v_add3_u32 v103, v104, v106, 0x7fff
	v_mul_f32_e32 v104, v88, v107
	v_or_b32_e32 v107, 0x400000, v106
	v_cmp_u_f32_e32 vcc_lo, v106, v106
	v_add3_u32 v102, v102, v95, 0x7fff
	v_add3_u32 v106, v110, v96, 0x7fff
	v_bfe_u32 v109, v104, 16, 1
	s_wait_alu 0xfffd
	v_dual_cndmask_b32 v103, v103, v107 :: v_dual_and_b32 v94, 0xffff0000, v94
	v_cmp_u_f32_e32 vcc_lo, v95, v95
	v_or_b32_e32 v107, 0x400000, v96
	s_delay_alu instid0(VALU_DEP_3)
	v_add_f32_e32 v94, v94, v99
	s_wait_alu 0xfffd
	v_dual_cndmask_b32 v95, v102, v108 :: v_dual_and_b32 v98, 0xffff0000, v103
	v_cmp_u_f32_e32 vcc_lo, v96, v96
	v_add3_u32 v102, v109, v104, 0x7fff
	v_or_b32_e32 v108, 0x400000, v104
	v_add_f32_e32 v93, v94, v93
	v_and_b32_e32 v95, 0xffff0000, v95
	s_wait_alu 0xfffd
	v_cndmask_b32_e32 v96, v106, v107, vcc_lo
	v_cmp_u_f32_e32 vcc_lo, v104, v104
	s_delay_alu instid0(VALU_DEP_2) | instskip(SKIP_4) | instid1(VALU_DEP_3)
	v_dual_add_f32 v94, v95, v98 :: v_dual_and_b32 v95, 0xffff0000, v96
	s_wait_alu 0xfffd
	v_dual_cndmask_b32 v99, v102, v108 :: v_dual_and_b32 v98, 0xffff0000, v81
	v_and_b32_e32 v102, 0xffff0000, v105
	v_lshlrev_b32_e32 v81, 16, v81
	v_dual_add_f32 v93, v94, v93 :: v_dual_and_b32 v96, 0xffff0000, v99
	s_delay_alu instid0(VALU_DEP_3) | instskip(NEXT) | instid1(VALU_DEP_2)
	v_add_f32_e32 v99, v100, v102
	v_dual_mul_f32 v81, v89, v81 :: v_dual_add_f32 v94, v95, v96
	s_delay_alu instid0(VALU_DEP_2) | instskip(SKIP_1) | instid1(VALU_DEP_3)
	v_dual_mul_f32 v95, v85, v98 :: v_dual_add_f32 v96, v99, v97
	v_and_b32_e32 v97, 0xffff0000, v82
	v_dual_add_f32 v93, v94, v93 :: v_dual_lshlrev_b32 v82, 16, v82
	s_delay_alu instid0(VALU_DEP_3) | instskip(NEXT) | instid1(VALU_DEP_4)
	v_bfe_u32 v94, v95, 16, 1
	v_add_f32_e32 v156, v156, v96
	v_bfe_u32 v96, v81, 16, 1
	v_mul_f32_e32 v97, v86, v97
	v_add_f32_e32 v157, v157, v93
	v_add3_u32 v93, v94, v95, 0x7fff
	v_or_b32_e32 v94, 0x400000, v95
	v_cmp_u_f32_e32 vcc_lo, v95, v95
	v_add3_u32 v96, v96, v81, 0x7fff
	v_or_b32_e32 v98, 0x400000, v81
	v_dual_mul_f32 v82, v91, v82 :: v_dual_and_b32 v95, 0xffff0000, v83
	s_wait_alu 0xfffd
	v_cndmask_b32_e32 v93, v93, v94, vcc_lo
	v_bfe_u32 v94, v97, 16, 1
	v_cmp_u_f32_e32 vcc_lo, v81, v81
	v_lshlrev_b32_e32 v83, 16, v83
	v_mul_f32_e32 v95, v87, v95
	v_and_b32_e32 v99, 0xffff0000, v84
	v_add3_u32 v94, v94, v97, 0x7fff
	s_wait_alu 0xfffd
	v_cndmask_b32_e32 v81, v96, v98, vcc_lo
	v_or_b32_e32 v96, 0x400000, v97
	v_bfe_u32 v98, v82, 16, 1
	v_cmp_u_f32_e32 vcc_lo, v97, v97
	v_mul_f32_e32 v83, v92, v83
	v_or_b32_e32 v97, 0x400000, v82
	v_lshlrev_b32_e32 v84, 16, v84
	s_wait_alu 0xfffd
	v_dual_cndmask_b32 v94, v94, v96 :: v_dual_and_b32 v81, 0xffff0000, v81
	v_add3_u32 v96, v98, v82, 0x7fff
	v_bfe_u32 v98, v95, 16, 1
	v_cmp_u_f32_e32 vcc_lo, v82, v82
	v_bfe_u32 v100, v83, 16, 1
	v_dual_mul_f32 v84, v90, v84 :: v_dual_and_b32 v93, 0xffff0000, v93
	v_and_b32_e32 v94, 0xffff0000, v94
	s_wait_alu 0xfffd
	v_cndmask_b32_e32 v82, v96, v97, vcc_lo
	v_add3_u32 v96, v98, v95, 0x7fff
	v_mul_f32_e32 v97, v88, v99
	v_or_b32_e32 v98, 0x400000, v95
	v_cmp_u_f32_e32 vcc_lo, v95, v95
	v_add3_u32 v99, v100, v83, 0x7fff
	v_or_b32_e32 v100, 0x400000, v83
	v_bfe_u32 v101, v97, 16, 1
	v_and_b32_e32 v82, 0xffff0000, v82
	s_wait_alu 0xfffd
	v_cndmask_b32_e32 v95, v96, v98, vcc_lo
	v_cmp_u_f32_e32 vcc_lo, v83, v83
	v_or_b32_e32 v98, 0x400000, v97
	v_add3_u32 v96, v101, v97, 0x7fff
	v_dual_add_f32 v81, v81, v93 :: v_dual_add_f32 v82, v82, v94
	s_wait_alu 0xfffd
	v_cndmask_b32_e32 v83, v99, v100, vcc_lo
	v_bfe_u32 v99, v84, 16, 1
	v_cmp_u_f32_e32 vcc_lo, v97, v97
	v_and_b32_e32 v93, 0xffff0000, v77
	v_and_b32_e32 v94, 0xffff0000, v95
	;; [unrolled: 1-line block ×3, first 2 shown]
	v_add3_u32 v97, v99, v84, 0x7fff
	s_wait_alu 0xfffd
	v_cndmask_b32_e32 v96, v96, v98, vcc_lo
	v_or_b32_e32 v98, 0x400000, v84
	v_cmp_u_f32_e32 vcc_lo, v84, v84
	v_add_f32_e32 v81, v82, v81
	v_dual_mul_f32 v82, v85, v93 :: v_dual_add_f32 v83, v83, v94
	s_wait_alu 0xfffd
	v_dual_cndmask_b32 v84, v97, v98 :: v_dual_lshlrev_b32 v77, 16, v77
	v_and_b32_e32 v93, 0xffff0000, v96
	s_delay_alu instid0(VALU_DEP_3) | instskip(SKIP_1) | instid1(VALU_DEP_4)
	v_bfe_u32 v94, v82, 16, 1
	v_add_f32_e32 v81, v83, v81
	v_dual_mul_f32 v77, v89, v77 :: v_dual_and_b32 v84, 0xffff0000, v84
	v_and_b32_e32 v83, 0xffff0000, v78
	v_lshlrev_b32_e32 v78, 16, v78
	v_cmp_u_f32_e32 vcc_lo, v82, v82
	s_delay_alu instid0(VALU_DEP_4)
	v_bfe_u32 v95, v77, 16, 1
	v_add_f32_e32 v84, v84, v93
	v_add3_u32 v93, v94, v82, 0x7fff
	v_or_b32_e32 v94, 0x400000, v82
	v_dual_mul_f32 v83, v86, v83 :: v_dual_mul_f32 v78, v91, v78
	v_and_b32_e32 v96, 0xffff0000, v79
	s_wait_alu 0xfffd
	s_delay_alu instid0(VALU_DEP_3)
	v_dual_cndmask_b32 v82, v93, v94 :: v_dual_lshlrev_b32 v79, 16, v79
	v_add3_u32 v93, v95, v77, 0x7fff
	v_or_b32_e32 v94, 0x400000, v77
	v_bfe_u32 v95, v83, 16, 1
	v_cmp_u_f32_e32 vcc_lo, v77, v77
	v_dual_mul_f32 v96, v87, v96 :: v_dual_mul_f32 v79, v92, v79
	v_and_b32_e32 v97, 0xffff0000, v80
	s_wait_alu 0xfffd
	v_dual_cndmask_b32 v77, v93, v94 :: v_dual_lshlrev_b32 v80, 16, v80
	v_add3_u32 v93, v95, v83, 0x7fff
	v_or_b32_e32 v94, 0x400000, v83
	v_bfe_u32 v95, v78, 16, 1
	v_cmp_u_f32_e32 vcc_lo, v83, v83
	v_mul_f32_e32 v80, v90, v80
	v_or_b32_e32 v98, 0x400000, v79
	v_and_b32_e32 v77, 0xffff0000, v77
	v_and_b32_e32 v82, 0xffff0000, v82
	s_wait_alu 0xfffd
	v_cndmask_b32_e32 v83, v93, v94, vcc_lo
	v_add3_u32 v93, v95, v78, 0x7fff
	v_or_b32_e32 v94, 0x400000, v78
	v_bfe_u32 v95, v96, 16, 1
	v_cmp_u_f32_e32 vcc_lo, v78, v78
	v_and_b32_e32 v83, 0xffff0000, v83
	v_add_f32_e32 v77, v77, v82
	s_wait_alu 0xfffd
	v_dual_add_f32 v81, v84, v81 :: v_dual_cndmask_b32 v78, v93, v94
	v_bfe_u32 v93, v79, 16, 1
	v_add3_u32 v94, v95, v96, 0x7fff
	v_mul_f32_e32 v95, v88, v97
	v_or_b32_e32 v97, 0x400000, v96
	v_cmp_u_f32_e32 vcc_lo, v96, v96
	v_add3_u32 v93, v93, v79, 0x7fff
	v_bfe_u32 v96, v80, 16, 1
	v_bfe_u32 v99, v95, 16, 1
	v_and_b32_e32 v78, 0xffff0000, v78
	s_wait_alu 0xfffd
	v_cndmask_b32_e32 v94, v94, v97, vcc_lo
	v_cmp_u_f32_e32 vcc_lo, v79, v79
	v_add3_u32 v96, v96, v80, 0x7fff
	v_or_b32_e32 v97, 0x400000, v95
	v_add_f32_e32 v78, v78, v83
	v_and_b32_e32 v82, 0xffff0000, v94
	s_wait_alu 0xfffd
	v_cndmask_b32_e32 v79, v93, v98, vcc_lo
	v_or_b32_e32 v98, 0x400000, v80
	v_cmp_u_f32_e32 vcc_lo, v80, v80
	v_add3_u32 v93, v99, v95, 0x7fff
	v_add_f32_e32 v77, v78, v77
	v_dual_add_f32 v158, v158, v81 :: v_dual_and_b32 v79, 0xffff0000, v79
	s_wait_alu 0xfffd
	v_cndmask_b32_e32 v80, v96, v98, vcc_lo
	v_cmp_u_f32_e32 vcc_lo, v95, v95
	s_delay_alu instid0(VALU_DEP_3) | instskip(SKIP_1) | instid1(VALU_DEP_3)
	v_dual_add_f32 v78, v79, v82 :: v_dual_and_b32 v79, 0xffff0000, v73
	s_wait_alu 0xfffd
	v_dual_cndmask_b32 v83, v93, v97 :: v_dual_and_b32 v80, 0xffff0000, v80
	v_lshlrev_b32_e32 v73, 16, v73
	s_delay_alu instid0(VALU_DEP_3) | instskip(SKIP_1) | instid1(VALU_DEP_3)
	v_add_f32_e32 v77, v78, v77
	v_mul_f32_e32 v79, v85, v79
	v_dual_mul_f32 v73, v89, v73 :: v_dual_and_b32 v82, 0xffff0000, v83
	s_delay_alu instid0(VALU_DEP_2) | instskip(NEXT) | instid1(VALU_DEP_2)
	v_cmp_u_f32_e32 vcc_lo, v79, v79
	v_add_f32_e32 v78, v80, v82
	v_and_b32_e32 v80, 0xffff0000, v74
	v_bfe_u32 v82, v79, 16, 1
	v_bfe_u32 v81, v73, 16, 1
	v_or_b32_e32 v83, 0x400000, v73
	v_add_f32_e32 v77, v78, v77
	v_mul_f32_e32 v78, v86, v80
	v_add3_u32 v80, v82, v79, 0x7fff
	v_or_b32_e32 v82, 0x400000, v79
	v_add3_u32 v81, v81, v73, 0x7fff
	v_lshlrev_b32_e32 v74, 16, v74
	v_bfe_u32 v84, v78, 16, 1
	s_wait_alu 0xfffd
	v_cndmask_b32_e32 v79, v80, v82, vcc_lo
	v_cmp_u_f32_e32 vcc_lo, v73, v73
	v_mul_f32_e32 v74, v91, v74
	v_add3_u32 v80, v84, v78, 0x7fff
	v_and_b32_e32 v82, 0xffff0000, v75
	v_lshlrev_b32_e32 v75, 16, v75
	s_wait_alu 0xfffd
	v_cndmask_b32_e32 v73, v81, v83, vcc_lo
	v_or_b32_e32 v81, 0x400000, v78
	v_cmp_u_f32_e32 vcc_lo, v78, v78
	v_bfe_u32 v83, v74, 16, 1
	v_mul_f32_e32 v75, v92, v75
	v_and_b32_e32 v73, 0xffff0000, v73
	s_wait_alu 0xfffd
	v_dual_cndmask_b32 v78, v80, v81 :: v_dual_and_b32 v79, 0xffff0000, v79
	v_mul_f32_e32 v80, v87, v82
	v_add3_u32 v81, v83, v74, 0x7fff
	v_or_b32_e32 v82, 0x400000, v74
	v_and_b32_e32 v83, 0xffff0000, v76
	v_cmp_u_f32_e32 vcc_lo, v74, v74
	v_bfe_u32 v84, v80, 16, 1
	v_bfe_u32 v93, v75, 16, 1
	v_lshlrev_b32_e32 v76, 16, v76
	v_and_b32_e32 v78, 0xffff0000, v78
	s_wait_alu 0xfffd
	v_dual_cndmask_b32 v74, v81, v82 :: v_dual_mul_f32 v81, v88, v83
	v_add3_u32 v82, v84, v80, 0x7fff
	v_or_b32_e32 v83, 0x400000, v80
	v_cmp_u_f32_e32 vcc_lo, v80, v80
	v_add3_u32 v84, v93, v75, 0x7fff
	v_or_b32_e32 v93, 0x400000, v75
	v_bfe_u32 v94, v81, 16, 1
	v_and_b32_e32 v74, 0xffff0000, v74
	s_wait_alu 0xfffd
	v_cndmask_b32_e32 v80, v82, v83, vcc_lo
	v_cmp_u_f32_e32 vcc_lo, v75, v75
	v_or_b32_e32 v83, 0x400000, v81
	v_add3_u32 v82, v94, v81, 0x7fff
	v_dual_mul_f32 v76, v90, v76 :: v_dual_add_f32 v73, v73, v79
	s_wait_alu 0xfffd
	v_cndmask_b32_e32 v75, v84, v93, vcc_lo
	v_cmp_u_f32_e32 vcc_lo, v81, v81
	v_add_f32_e32 v74, v74, v78
	v_and_b32_e32 v78, 0xffff0000, v69
	v_and_b32_e32 v79, 0xffff0000, v80
	;; [unrolled: 1-line block ×3, first 2 shown]
	s_wait_alu 0xfffd
	v_cndmask_b32_e32 v81, v82, v83, vcc_lo
	v_bfe_u32 v82, v76, 16, 1
	v_dual_add_f32 v73, v74, v73 :: v_dual_mul_f32 v74, v85, v78
	v_add_f32_e32 v75, v75, v79
	v_lshlrev_b32_e32 v69, 16, v69
	s_delay_alu instid0(VALU_DEP_4)
	v_add3_u32 v80, v82, v76, 0x7fff
	v_or_b32_e32 v82, 0x400000, v76
	v_cmp_u_f32_e32 vcc_lo, v76, v76
	v_bfe_u32 v78, v74, 16, 1
	v_add_f32_e32 v73, v75, v73
	v_mul_f32_e32 v69, v89, v69
	v_and_b32_e32 v75, 0xffff0000, v70
	s_wait_alu 0xfffd
	v_cndmask_b32_e32 v76, v80, v82, vcc_lo
	v_add3_u32 v78, v78, v74, 0x7fff
	v_or_b32_e32 v79, 0x400000, v74
	v_bfe_u32 v80, v69, 16, 1
	v_dual_mul_f32 v75, v86, v75 :: v_dual_lshlrev_b32 v70, 16, v70
	v_cmp_u_f32_e32 vcc_lo, v74, v74
	v_and_b32_e32 v82, 0xffff0000, v71
	v_lshlrev_b32_e32 v71, 16, v71
	s_delay_alu instid0(VALU_DEP_4)
	v_dual_mul_f32 v70, v91, v70 :: v_dual_and_b32 v83, 0xffff0000, v72
	s_wait_alu 0xfffd
	v_cndmask_b32_e32 v74, v78, v79, vcc_lo
	v_add3_u32 v78, v80, v69, 0x7fff
	v_or_b32_e32 v79, 0x400000, v69
	v_bfe_u32 v80, v75, 16, 1
	v_cmp_u_f32_e32 vcc_lo, v69, v69
	v_dual_mul_f32 v82, v87, v82 :: v_dual_mul_f32 v71, v92, v71
	v_lshlrev_b32_e32 v72, 16, v72
	s_wait_alu 0xfffd
	v_dual_cndmask_b32 v69, v78, v79 :: v_dual_and_b32 v74, 0xffff0000, v74
	v_add3_u32 v78, v80, v75, 0x7fff
	v_or_b32_e32 v79, 0x400000, v75
	v_bfe_u32 v80, v70, 16, 1
	v_cmp_u_f32_e32 vcc_lo, v75, v75
	v_mul_f32_e32 v72, v90, v72
	v_or_b32_e32 v84, 0x400000, v71
	v_and_b32_e32 v69, 0xffff0000, v69
	s_wait_alu 0xfffd
	v_dual_cndmask_b32 v75, v78, v79 :: v_dual_and_b32 v76, 0xffff0000, v76
	v_add3_u32 v78, v80, v70, 0x7fff
	v_or_b32_e32 v79, 0x400000, v70
	v_bfe_u32 v80, v82, 16, 1
	v_cmp_u_f32_e32 vcc_lo, v70, v70
	v_bfe_u32 v94, v72, 16, 1
	v_and_b32_e32 v75, 0xffff0000, v75
	s_wait_alu 0xfffd
	v_dual_add_f32 v69, v69, v74 :: v_dual_cndmask_b32 v70, v78, v79
	v_bfe_u32 v78, v71, 16, 1
	v_add3_u32 v79, v80, v82, 0x7fff
	v_mul_f32_e32 v80, v88, v83
	v_or_b32_e32 v83, 0x400000, v82
	v_cmp_u_f32_e32 vcc_lo, v82, v82
	v_add3_u32 v78, v78, v71, 0x7fff
	v_add3_u32 v82, v94, v72, 0x7fff
	v_bfe_u32 v93, v80, 16, 1
	s_wait_alu 0xfffd
	v_dual_cndmask_b32 v79, v79, v83 :: v_dual_and_b32 v70, 0xffff0000, v70
	v_cmp_u_f32_e32 vcc_lo, v71, v71
	v_or_b32_e32 v83, 0x400000, v72
	s_delay_alu instid0(VALU_DEP_3)
	v_add_f32_e32 v70, v70, v75
	s_wait_alu 0xfffd
	v_dual_cndmask_b32 v71, v78, v84 :: v_dual_and_b32 v74, 0xffff0000, v79
	v_cmp_u_f32_e32 vcc_lo, v72, v72
	v_add3_u32 v78, v93, v80, 0x7fff
	v_or_b32_e32 v84, 0x400000, v80
	v_add_f32_e32 v69, v70, v69
	v_and_b32_e32 v71, 0xffff0000, v71
	s_wait_alu 0xfffd
	v_cndmask_b32_e32 v72, v82, v83, vcc_lo
	v_cmp_u_f32_e32 vcc_lo, v80, v80
	s_delay_alu instid0(VALU_DEP_2) | instskip(SKIP_4) | instid1(VALU_DEP_3)
	v_dual_add_f32 v70, v71, v74 :: v_dual_and_b32 v71, 0xffff0000, v72
	s_wait_alu 0xfffd
	v_dual_cndmask_b32 v75, v78, v84 :: v_dual_and_b32 v78, 0xffff0000, v81
	v_and_b32_e32 v74, 0xffff0000, v65
	v_lshlrev_b32_e32 v65, 16, v65
	v_dual_add_f32 v69, v70, v69 :: v_dual_and_b32 v72, 0xffff0000, v75
	s_delay_alu instid0(VALU_DEP_4) | instskip(NEXT) | instid1(VALU_DEP_2)
	v_add_f32_e32 v75, v76, v78
	v_dual_mul_f32 v65, v89, v65 :: v_dual_add_f32 v70, v71, v72
	s_delay_alu instid0(VALU_DEP_2) | instskip(SKIP_1) | instid1(VALU_DEP_3)
	v_dual_mul_f32 v71, v85, v74 :: v_dual_add_f32 v72, v75, v73
	v_and_b32_e32 v73, 0xffff0000, v66
	v_dual_add_f32 v69, v70, v69 :: v_dual_lshlrev_b32 v66, 16, v66
	s_delay_alu instid0(VALU_DEP_3) | instskip(NEXT) | instid1(VALU_DEP_4)
	v_bfe_u32 v70, v71, 16, 1
	v_add_f32_e32 v160, v160, v72
	v_bfe_u32 v72, v65, 16, 1
	v_mul_f32_e32 v73, v86, v73
	v_add_f32_e32 v161, v161, v69
	v_add3_u32 v69, v70, v71, 0x7fff
	v_or_b32_e32 v70, 0x400000, v71
	v_cmp_u_f32_e32 vcc_lo, v71, v71
	v_add3_u32 v72, v72, v65, 0x7fff
	v_or_b32_e32 v74, 0x400000, v65
	v_dual_mul_f32 v66, v91, v66 :: v_dual_and_b32 v71, 0xffff0000, v67
	s_wait_alu 0xfffd
	v_cndmask_b32_e32 v69, v69, v70, vcc_lo
	v_bfe_u32 v70, v73, 16, 1
	v_cmp_u_f32_e32 vcc_lo, v65, v65
	v_lshlrev_b32_e32 v67, 16, v67
	v_mul_f32_e32 v71, v87, v71
	v_and_b32_e32 v75, 0xffff0000, v68
	v_add3_u32 v70, v70, v73, 0x7fff
	s_wait_alu 0xfffd
	v_cndmask_b32_e32 v65, v72, v74, vcc_lo
	v_or_b32_e32 v72, 0x400000, v73
	v_bfe_u32 v74, v66, 16, 1
	v_cmp_u_f32_e32 vcc_lo, v73, v73
	v_mul_f32_e32 v67, v92, v67
	v_or_b32_e32 v73, 0x400000, v66
	v_dual_add_f32 v159, v159, v77 :: v_dual_lshlrev_b32 v68, 16, v68
	s_wait_alu 0xfffd
	v_cndmask_b32_e32 v70, v70, v72, vcc_lo
	v_add3_u32 v72, v74, v66, 0x7fff
	v_bfe_u32 v74, v71, 16, 1
	v_cmp_u_f32_e32 vcc_lo, v66, v66
	v_bfe_u32 v76, v67, 16, 1
	v_dual_mul_f32 v68, v90, v68 :: v_dual_and_b32 v65, 0xffff0000, v65
	v_and_b32_e32 v69, 0xffff0000, v69
	s_wait_alu 0xfffd
	v_cndmask_b32_e32 v66, v72, v73, vcc_lo
	v_add3_u32 v72, v74, v71, 0x7fff
	v_mul_f32_e32 v73, v88, v75
	v_or_b32_e32 v74, 0x400000, v71
	v_cmp_u_f32_e32 vcc_lo, v71, v71
	v_add3_u32 v75, v76, v67, 0x7fff
	v_or_b32_e32 v76, 0x400000, v67
	v_bfe_u32 v77, v73, 16, 1
	v_and_b32_e32 v66, 0xffff0000, v66
	s_wait_alu 0xfffd
	v_cndmask_b32_e32 v71, v72, v74, vcc_lo
	v_cmp_u_f32_e32 vcc_lo, v67, v67
	v_or_b32_e32 v74, 0x400000, v73
	v_add3_u32 v72, v77, v73, 0x7fff
	v_dual_add_f32 v65, v65, v69 :: v_dual_and_b32 v70, 0xffff0000, v70
	s_wait_alu 0xfffd
	v_cndmask_b32_e32 v67, v75, v76, vcc_lo
	v_bfe_u32 v75, v68, 16, 1
	v_cmp_u_f32_e32 vcc_lo, v73, v73
	v_dual_add_f32 v66, v66, v70 :: v_dual_and_b32 v69, 0xffff0000, v61
	s_delay_alu instid0(VALU_DEP_4) | instskip(NEXT) | instid1(VALU_DEP_4)
	v_and_b32_e32 v67, 0xffff0000, v67
	v_add3_u32 v73, v75, v68, 0x7fff
	s_wait_alu 0xfffd
	v_cndmask_b32_e32 v72, v72, v74, vcc_lo
	v_or_b32_e32 v74, 0x400000, v68
	v_and_b32_e32 v70, 0xffff0000, v71
	v_cmp_u_f32_e32 vcc_lo, v68, v68
	v_add_f32_e32 v65, v66, v65
	v_mul_f32_e32 v66, v85, v69
	v_lshlrev_b32_e32 v61, 16, v61
	v_add_f32_e32 v67, v67, v70
	s_wait_alu 0xfffd
	v_dual_cndmask_b32 v68, v73, v74 :: v_dual_and_b32 v69, 0xffff0000, v72
	v_bfe_u32 v70, v66, 16, 1
	v_mul_f32_e32 v61, v89, v61
	s_delay_alu instid0(VALU_DEP_3) | instskip(SKIP_2) | instid1(VALU_DEP_4)
	v_dual_add_f32 v65, v67, v65 :: v_dual_and_b32 v68, 0xffff0000, v68
	v_and_b32_e32 v67, 0xffff0000, v62
	v_lshlrev_b32_e32 v62, 16, v62
	v_bfe_u32 v71, v61, 16, 1
	v_cmp_u_f32_e32 vcc_lo, v66, v66
	v_add_f32_e32 v68, v68, v69
	v_add3_u32 v69, v70, v66, 0x7fff
	v_or_b32_e32 v70, 0x400000, v66
	v_dual_mul_f32 v67, v86, v67 :: v_dual_mul_f32 v62, v91, v62
	v_and_b32_e32 v72, 0xffff0000, v63
	s_wait_alu 0xfffd
	s_delay_alu instid0(VALU_DEP_3)
	v_dual_cndmask_b32 v66, v69, v70 :: v_dual_lshlrev_b32 v63, 16, v63
	v_add3_u32 v69, v71, v61, 0x7fff
	v_or_b32_e32 v70, 0x400000, v61
	v_bfe_u32 v71, v67, 16, 1
	v_cmp_u_f32_e32 vcc_lo, v61, v61
	v_dual_mul_f32 v72, v87, v72 :: v_dual_mul_f32 v63, v92, v63
	v_and_b32_e32 v73, 0xffff0000, v64
	s_wait_alu 0xfffd
	v_dual_cndmask_b32 v61, v69, v70 :: v_dual_lshlrev_b32 v64, 16, v64
	v_add3_u32 v69, v71, v67, 0x7fff
	v_or_b32_e32 v70, 0x400000, v67
	v_bfe_u32 v71, v62, 16, 1
	v_cmp_u_f32_e32 vcc_lo, v67, v67
	v_mul_f32_e32 v64, v90, v64
	v_or_b32_e32 v74, 0x400000, v63
	v_and_b32_e32 v61, 0xffff0000, v61
	v_and_b32_e32 v66, 0xffff0000, v66
	s_wait_alu 0xfffd
	v_cndmask_b32_e32 v67, v69, v70, vcc_lo
	v_add3_u32 v69, v71, v62, 0x7fff
	v_or_b32_e32 v70, 0x400000, v62
	v_bfe_u32 v71, v72, 16, 1
	v_cmp_u_f32_e32 vcc_lo, v62, v62
	v_and_b32_e32 v67, 0xffff0000, v67
	v_add_f32_e32 v61, v61, v66
	s_wait_alu 0xfffd
	v_dual_add_f32 v65, v68, v65 :: v_dual_cndmask_b32 v62, v69, v70
	v_bfe_u32 v69, v63, 16, 1
	v_add3_u32 v70, v71, v72, 0x7fff
	v_mul_f32_e32 v71, v88, v73
	v_or_b32_e32 v73, 0x400000, v72
	v_cmp_u_f32_e32 vcc_lo, v72, v72
	v_add3_u32 v69, v69, v63, 0x7fff
	v_bfe_u32 v72, v64, 16, 1
	v_bfe_u32 v75, v71, 16, 1
	v_and_b32_e32 v62, 0xffff0000, v62
	s_wait_alu 0xfffd
	v_cndmask_b32_e32 v70, v70, v73, vcc_lo
	v_cmp_u_f32_e32 vcc_lo, v63, v63
	v_add3_u32 v72, v72, v64, 0x7fff
	v_or_b32_e32 v73, 0x400000, v71
	v_add_f32_e32 v62, v62, v67
	v_and_b32_e32 v66, 0xffff0000, v70
	s_wait_alu 0xfffd
	v_cndmask_b32_e32 v63, v69, v74, vcc_lo
	v_or_b32_e32 v74, 0x400000, v64
	v_cmp_u_f32_e32 vcc_lo, v64, v64
	v_add3_u32 v69, v75, v71, 0x7fff
	v_add_f32_e32 v61, v62, v61
	v_dual_add_f32 v162, v162, v65 :: v_dual_and_b32 v63, 0xffff0000, v63
	s_wait_alu 0xfffd
	v_cndmask_b32_e32 v64, v72, v74, vcc_lo
	v_cmp_u_f32_e32 vcc_lo, v71, v71
	s_delay_alu instid0(VALU_DEP_3) | instskip(SKIP_1) | instid1(VALU_DEP_3)
	v_dual_add_f32 v62, v63, v66 :: v_dual_and_b32 v63, 0xffff0000, v57
	s_wait_alu 0xfffd
	v_dual_cndmask_b32 v67, v69, v73 :: v_dual_and_b32 v64, 0xffff0000, v64
	v_lshlrev_b32_e32 v57, 16, v57
	s_delay_alu instid0(VALU_DEP_3) | instskip(SKIP_1) | instid1(VALU_DEP_3)
	v_add_f32_e32 v61, v62, v61
	v_mul_f32_e32 v63, v85, v63
	v_dual_mul_f32 v57, v89, v57 :: v_dual_and_b32 v66, 0xffff0000, v67
	s_delay_alu instid0(VALU_DEP_2) | instskip(NEXT) | instid1(VALU_DEP_2)
	v_cmp_u_f32_e32 vcc_lo, v63, v63
	v_add_f32_e32 v62, v64, v66
	v_and_b32_e32 v64, 0xffff0000, v58
	v_bfe_u32 v66, v63, 16, 1
	v_bfe_u32 v65, v57, 16, 1
	v_or_b32_e32 v67, 0x400000, v57
	v_add_f32_e32 v61, v62, v61
	v_mul_f32_e32 v62, v86, v64
	v_add3_u32 v64, v66, v63, 0x7fff
	v_or_b32_e32 v66, 0x400000, v63
	v_add3_u32 v65, v65, v57, 0x7fff
	v_lshlrev_b32_e32 v58, 16, v58
	v_bfe_u32 v68, v62, 16, 1
	v_add_f32_e32 v163, v163, v61
	s_wait_alu 0xfffd
	v_cndmask_b32_e32 v63, v64, v66, vcc_lo
	v_cmp_u_f32_e32 vcc_lo, v57, v57
	v_mul_f32_e32 v58, v91, v58
	v_add3_u32 v64, v68, v62, 0x7fff
	v_and_b32_e32 v66, 0xffff0000, v59
	v_lshlrev_b32_e32 v59, 16, v59
	s_wait_alu 0xfffd
	v_cndmask_b32_e32 v57, v65, v67, vcc_lo
	v_or_b32_e32 v65, 0x400000, v62
	v_cmp_u_f32_e32 vcc_lo, v62, v62
	v_bfe_u32 v67, v58, 16, 1
	v_mul_f32_e32 v59, v92, v59
	v_and_b32_e32 v57, 0xffff0000, v57
	s_wait_alu 0xfffd
	v_dual_cndmask_b32 v62, v64, v65 :: v_dual_and_b32 v63, 0xffff0000, v63
	v_mul_f32_e32 v64, v87, v66
	v_add3_u32 v65, v67, v58, 0x7fff
	v_or_b32_e32 v66, 0x400000, v58
	v_and_b32_e32 v67, 0xffff0000, v60
	v_cmp_u_f32_e32 vcc_lo, v58, v58
	v_bfe_u32 v68, v64, 16, 1
	v_bfe_u32 v69, v59, 16, 1
	v_lshlrev_b32_e32 v60, 16, v60
	v_and_b32_e32 v62, 0xffff0000, v62
	s_wait_alu 0xfffd
	v_dual_cndmask_b32 v58, v65, v66 :: v_dual_mul_f32 v65, v88, v67
	v_add3_u32 v66, v68, v64, 0x7fff
	v_or_b32_e32 v67, 0x400000, v64
	v_cmp_u_f32_e32 vcc_lo, v64, v64
	v_add3_u32 v68, v69, v59, 0x7fff
	v_or_b32_e32 v69, 0x400000, v59
	v_bfe_u32 v70, v65, 16, 1
	v_and_b32_e32 v58, 0xffff0000, v58
	s_wait_alu 0xfffd
	v_cndmask_b32_e32 v64, v66, v67, vcc_lo
	v_cmp_u_f32_e32 vcc_lo, v59, v59
	v_or_b32_e32 v67, 0x400000, v65
	v_add3_u32 v66, v70, v65, 0x7fff
	v_dual_mul_f32 v60, v90, v60 :: v_dual_add_f32 v57, v57, v63
	s_wait_alu 0xfffd
	v_cndmask_b32_e32 v59, v68, v69, vcc_lo
	v_cmp_u_f32_e32 vcc_lo, v65, v65
	v_add_f32_e32 v58, v58, v62
	v_and_b32_e32 v62, 0xffff0000, v53
	v_and_b32_e32 v63, 0xffff0000, v64
	;; [unrolled: 1-line block ×3, first 2 shown]
	s_wait_alu 0xfffd
	v_cndmask_b32_e32 v65, v66, v67, vcc_lo
	v_bfe_u32 v66, v60, 16, 1
	v_dual_add_f32 v57, v58, v57 :: v_dual_mul_f32 v58, v85, v62
	v_add_f32_e32 v59, v59, v63
	v_lshlrev_b32_e32 v53, 16, v53
	s_delay_alu instid0(VALU_DEP_4)
	v_add3_u32 v64, v66, v60, 0x7fff
	v_or_b32_e32 v66, 0x400000, v60
	v_cmp_u_f32_e32 vcc_lo, v60, v60
	v_bfe_u32 v62, v58, 16, 1
	v_add_f32_e32 v57, v59, v57
	v_mul_f32_e32 v53, v89, v53
	v_and_b32_e32 v59, 0xffff0000, v54
	s_wait_alu 0xfffd
	v_cndmask_b32_e32 v60, v64, v66, vcc_lo
	v_add3_u32 v62, v62, v58, 0x7fff
	v_or_b32_e32 v63, 0x400000, v58
	v_bfe_u32 v64, v53, 16, 1
	v_dual_mul_f32 v59, v86, v59 :: v_dual_lshlrev_b32 v54, 16, v54
	v_cmp_u_f32_e32 vcc_lo, v58, v58
	v_and_b32_e32 v66, 0xffff0000, v55
	v_lshlrev_b32_e32 v55, 16, v55
	s_delay_alu instid0(VALU_DEP_4)
	v_dual_mul_f32 v54, v91, v54 :: v_dual_and_b32 v67, 0xffff0000, v56
	s_wait_alu 0xfffd
	v_cndmask_b32_e32 v58, v62, v63, vcc_lo
	v_add3_u32 v62, v64, v53, 0x7fff
	v_or_b32_e32 v63, 0x400000, v53
	v_bfe_u32 v64, v59, 16, 1
	v_cmp_u_f32_e32 vcc_lo, v53, v53
	v_dual_mul_f32 v66, v87, v66 :: v_dual_mul_f32 v55, v92, v55
	v_lshlrev_b32_e32 v56, 16, v56
	s_wait_alu 0xfffd
	v_dual_cndmask_b32 v53, v62, v63 :: v_dual_and_b32 v58, 0xffff0000, v58
	v_add3_u32 v62, v64, v59, 0x7fff
	v_or_b32_e32 v63, 0x400000, v59
	v_bfe_u32 v64, v54, 16, 1
	v_cmp_u_f32_e32 vcc_lo, v59, v59
	v_mul_f32_e32 v56, v90, v56
	v_or_b32_e32 v68, 0x400000, v55
	v_and_b32_e32 v53, 0xffff0000, v53
	s_wait_alu 0xfffd
	v_dual_cndmask_b32 v59, v62, v63 :: v_dual_and_b32 v60, 0xffff0000, v60
	v_add3_u32 v62, v64, v54, 0x7fff
	v_or_b32_e32 v63, 0x400000, v54
	v_bfe_u32 v64, v66, 16, 1
	v_cmp_u_f32_e32 vcc_lo, v54, v54
	v_bfe_u32 v70, v56, 16, 1
	v_and_b32_e32 v59, 0xffff0000, v59
	s_wait_alu 0xfffd
	v_dual_add_f32 v53, v53, v58 :: v_dual_cndmask_b32 v54, v62, v63
	v_bfe_u32 v62, v55, 16, 1
	v_add3_u32 v63, v64, v66, 0x7fff
	v_mul_f32_e32 v64, v88, v67
	v_or_b32_e32 v67, 0x400000, v66
	v_cmp_u_f32_e32 vcc_lo, v66, v66
	v_add3_u32 v62, v62, v55, 0x7fff
	v_add3_u32 v66, v70, v56, 0x7fff
	v_bfe_u32 v69, v64, 16, 1
	s_wait_alu 0xfffd
	v_dual_cndmask_b32 v63, v63, v67 :: v_dual_and_b32 v54, 0xffff0000, v54
	v_cmp_u_f32_e32 vcc_lo, v55, v55
	v_or_b32_e32 v67, 0x400000, v56
	s_delay_alu instid0(VALU_DEP_3)
	v_add_f32_e32 v54, v54, v59
	s_wait_alu 0xfffd
	v_dual_cndmask_b32 v55, v62, v68 :: v_dual_and_b32 v58, 0xffff0000, v63
	v_cmp_u_f32_e32 vcc_lo, v56, v56
	v_add3_u32 v62, v69, v64, 0x7fff
	v_or_b32_e32 v68, 0x400000, v64
	v_add_f32_e32 v53, v54, v53
	v_and_b32_e32 v55, 0xffff0000, v55
	s_wait_alu 0xfffd
	v_cndmask_b32_e32 v56, v66, v67, vcc_lo
	v_cmp_u_f32_e32 vcc_lo, v64, v64
	s_delay_alu instid0(VALU_DEP_2) | instskip(SKIP_4) | instid1(VALU_DEP_3)
	v_dual_add_f32 v54, v55, v58 :: v_dual_and_b32 v55, 0xffff0000, v56
	s_wait_alu 0xfffd
	v_dual_cndmask_b32 v59, v62, v68 :: v_dual_and_b32 v62, 0xffff0000, v65
	v_and_b32_e32 v58, 0xffff0000, v49
	v_lshlrev_b32_e32 v49, 16, v49
	v_dual_add_f32 v53, v54, v53 :: v_dual_and_b32 v56, 0xffff0000, v59
	s_delay_alu instid0(VALU_DEP_4) | instskip(NEXT) | instid1(VALU_DEP_2)
	v_add_f32_e32 v59, v60, v62
	v_dual_mul_f32 v49, v89, v49 :: v_dual_add_f32 v54, v55, v56
	s_delay_alu instid0(VALU_DEP_2) | instskip(SKIP_1) | instid1(VALU_DEP_3)
	v_dual_mul_f32 v55, v85, v58 :: v_dual_add_f32 v56, v59, v57
	v_and_b32_e32 v57, 0xffff0000, v50
	v_dual_add_f32 v53, v54, v53 :: v_dual_lshlrev_b32 v50, 16, v50
	s_delay_alu instid0(VALU_DEP_3) | instskip(NEXT) | instid1(VALU_DEP_4)
	v_bfe_u32 v54, v55, 16, 1
	v_add_f32_e32 v164, v164, v56
	v_bfe_u32 v56, v49, 16, 1
	v_mul_f32_e32 v57, v86, v57
	v_add_f32_e32 v165, v165, v53
	v_add3_u32 v53, v54, v55, 0x7fff
	v_or_b32_e32 v54, 0x400000, v55
	v_cmp_u_f32_e32 vcc_lo, v55, v55
	v_add3_u32 v56, v56, v49, 0x7fff
	v_or_b32_e32 v58, 0x400000, v49
	v_dual_mul_f32 v50, v91, v50 :: v_dual_and_b32 v55, 0xffff0000, v51
	s_wait_alu 0xfffd
	v_cndmask_b32_e32 v53, v53, v54, vcc_lo
	v_bfe_u32 v54, v57, 16, 1
	v_cmp_u_f32_e32 vcc_lo, v49, v49
	v_lshlrev_b32_e32 v51, 16, v51
	v_mul_f32_e32 v55, v87, v55
	v_and_b32_e32 v59, 0xffff0000, v52
	v_add3_u32 v54, v54, v57, 0x7fff
	s_wait_alu 0xfffd
	v_cndmask_b32_e32 v49, v56, v58, vcc_lo
	v_or_b32_e32 v56, 0x400000, v57
	v_bfe_u32 v58, v50, 16, 1
	v_cmp_u_f32_e32 vcc_lo, v57, v57
	v_mul_f32_e32 v51, v92, v51
	v_or_b32_e32 v57, 0x400000, v50
	v_lshlrev_b32_e32 v52, 16, v52
	s_wait_alu 0xfffd
	v_dual_cndmask_b32 v54, v54, v56 :: v_dual_and_b32 v49, 0xffff0000, v49
	v_add3_u32 v56, v58, v50, 0x7fff
	v_bfe_u32 v58, v55, 16, 1
	v_cmp_u_f32_e32 vcc_lo, v50, v50
	v_bfe_u32 v60, v51, 16, 1
	v_dual_mul_f32 v52, v90, v52 :: v_dual_and_b32 v53, 0xffff0000, v53
	v_and_b32_e32 v54, 0xffff0000, v54
	s_wait_alu 0xfffd
	v_cndmask_b32_e32 v50, v56, v57, vcc_lo
	v_add3_u32 v56, v58, v55, 0x7fff
	v_mul_f32_e32 v57, v88, v59
	v_or_b32_e32 v58, 0x400000, v55
	v_cmp_u_f32_e32 vcc_lo, v55, v55
	v_add3_u32 v59, v60, v51, 0x7fff
	v_or_b32_e32 v60, 0x400000, v51
	v_bfe_u32 v61, v57, 16, 1
	v_and_b32_e32 v50, 0xffff0000, v50
	s_wait_alu 0xfffd
	v_cndmask_b32_e32 v55, v56, v58, vcc_lo
	v_cmp_u_f32_e32 vcc_lo, v51, v51
	v_or_b32_e32 v58, 0x400000, v57
	v_add3_u32 v56, v61, v57, 0x7fff
	v_dual_add_f32 v49, v49, v53 :: v_dual_add_f32 v50, v50, v54
	s_wait_alu 0xfffd
	v_cndmask_b32_e32 v51, v59, v60, vcc_lo
	v_bfe_u32 v59, v52, 16, 1
	v_cmp_u_f32_e32 vcc_lo, v57, v57
	v_and_b32_e32 v53, 0xffff0000, v41
	v_and_b32_e32 v54, 0xffff0000, v55
	;; [unrolled: 1-line block ×3, first 2 shown]
	v_add3_u32 v57, v59, v52, 0x7fff
	s_wait_alu 0xfffd
	v_cndmask_b32_e32 v56, v56, v58, vcc_lo
	v_or_b32_e32 v58, 0x400000, v52
	v_cmp_u_f32_e32 vcc_lo, v52, v52
	v_add_f32_e32 v49, v50, v49
	v_dual_mul_f32 v50, v85, v53 :: v_dual_add_f32 v51, v51, v54
	s_wait_alu 0xfffd
	v_dual_cndmask_b32 v52, v57, v58 :: v_dual_lshlrev_b32 v41, 16, v41
	v_and_b32_e32 v53, 0xffff0000, v56
	s_delay_alu instid0(VALU_DEP_3) | instskip(SKIP_1) | instid1(VALU_DEP_4)
	v_bfe_u32 v54, v50, 16, 1
	v_add_f32_e32 v49, v51, v49
	v_dual_mul_f32 v41, v89, v41 :: v_dual_and_b32 v52, 0xffff0000, v52
	v_and_b32_e32 v51, 0xffff0000, v42
	v_lshlrev_b32_e32 v42, 16, v42
	v_cmp_u_f32_e32 vcc_lo, v50, v50
	s_delay_alu instid0(VALU_DEP_4)
	v_bfe_u32 v55, v41, 16, 1
	v_add_f32_e32 v52, v52, v53
	v_add3_u32 v53, v54, v50, 0x7fff
	v_or_b32_e32 v54, 0x400000, v50
	v_dual_mul_f32 v51, v86, v51 :: v_dual_mul_f32 v42, v91, v42
	v_and_b32_e32 v56, 0xffff0000, v43
	s_wait_alu 0xfffd
	s_delay_alu instid0(VALU_DEP_3)
	v_dual_cndmask_b32 v50, v53, v54 :: v_dual_lshlrev_b32 v43, 16, v43
	v_add3_u32 v53, v55, v41, 0x7fff
	v_or_b32_e32 v54, 0x400000, v41
	v_bfe_u32 v55, v51, 16, 1
	v_cmp_u_f32_e32 vcc_lo, v41, v41
	v_dual_mul_f32 v56, v87, v56 :: v_dual_mul_f32 v43, v92, v43
	v_and_b32_e32 v57, 0xffff0000, v44
	s_wait_alu 0xfffd
	v_dual_cndmask_b32 v41, v53, v54 :: v_dual_lshlrev_b32 v44, 16, v44
	v_add3_u32 v53, v55, v51, 0x7fff
	v_or_b32_e32 v54, 0x400000, v51
	v_bfe_u32 v55, v42, 16, 1
	v_cmp_u_f32_e32 vcc_lo, v51, v51
	v_mul_f32_e32 v44, v90, v44
	v_or_b32_e32 v58, 0x400000, v43
	v_and_b32_e32 v41, 0xffff0000, v41
	v_and_b32_e32 v50, 0xffff0000, v50
	s_wait_alu 0xfffd
	v_cndmask_b32_e32 v51, v53, v54, vcc_lo
	v_add3_u32 v53, v55, v42, 0x7fff
	v_or_b32_e32 v54, 0x400000, v42
	v_bfe_u32 v55, v56, 16, 1
	v_cmp_u_f32_e32 vcc_lo, v42, v42
	v_and_b32_e32 v51, 0xffff0000, v51
	v_add_f32_e32 v41, v41, v50
	s_wait_alu 0xfffd
	v_dual_add_f32 v49, v52, v49 :: v_dual_cndmask_b32 v42, v53, v54
	v_bfe_u32 v53, v43, 16, 1
	v_add3_u32 v54, v55, v56, 0x7fff
	v_mul_f32_e32 v55, v88, v57
	v_or_b32_e32 v57, 0x400000, v56
	v_cmp_u_f32_e32 vcc_lo, v56, v56
	v_add3_u32 v53, v53, v43, 0x7fff
	v_bfe_u32 v56, v44, 16, 1
	v_bfe_u32 v59, v55, 16, 1
	v_and_b32_e32 v42, 0xffff0000, v42
	s_wait_alu 0xfffd
	v_cndmask_b32_e32 v54, v54, v57, vcc_lo
	v_cmp_u_f32_e32 vcc_lo, v43, v43
	v_add3_u32 v56, v56, v44, 0x7fff
	v_or_b32_e32 v57, 0x400000, v55
	v_add_f32_e32 v42, v42, v51
	v_and_b32_e32 v50, 0xffff0000, v54
	s_wait_alu 0xfffd
	v_cndmask_b32_e32 v43, v53, v58, vcc_lo
	v_or_b32_e32 v58, 0x400000, v44
	v_cmp_u_f32_e32 vcc_lo, v44, v44
	v_add3_u32 v53, v59, v55, 0x7fff
	v_add_f32_e32 v41, v42, v41
	v_dual_add_f32 v166, v166, v49 :: v_dual_and_b32 v43, 0xffff0000, v43
	s_wait_alu 0xfffd
	v_cndmask_b32_e32 v44, v56, v58, vcc_lo
	v_cmp_u_f32_e32 vcc_lo, v55, v55
	s_delay_alu instid0(VALU_DEP_3) | instskip(SKIP_1) | instid1(VALU_DEP_3)
	v_dual_add_f32 v42, v43, v50 :: v_dual_and_b32 v43, 0xffff0000, v37
	s_wait_alu 0xfffd
	v_dual_cndmask_b32 v51, v53, v57 :: v_dual_and_b32 v44, 0xffff0000, v44
	v_lshlrev_b32_e32 v37, 16, v37
	s_delay_alu instid0(VALU_DEP_3) | instskip(SKIP_1) | instid1(VALU_DEP_3)
	v_add_f32_e32 v41, v42, v41
	v_mul_f32_e32 v43, v85, v43
	v_dual_mul_f32 v37, v89, v37 :: v_dual_and_b32 v50, 0xffff0000, v51
	s_delay_alu instid0(VALU_DEP_2) | instskip(NEXT) | instid1(VALU_DEP_2)
	v_cmp_u_f32_e32 vcc_lo, v43, v43
	v_add_f32_e32 v42, v44, v50
	v_and_b32_e32 v44, 0xffff0000, v38
	v_bfe_u32 v50, v43, 16, 1
	v_bfe_u32 v49, v37, 16, 1
	v_or_b32_e32 v51, 0x400000, v37
	v_add_f32_e32 v41, v42, v41
	v_mul_f32_e32 v42, v86, v44
	v_add3_u32 v44, v50, v43, 0x7fff
	v_or_b32_e32 v50, 0x400000, v43
	v_add3_u32 v49, v49, v37, 0x7fff
	v_lshlrev_b32_e32 v38, 16, v38
	v_bfe_u32 v52, v42, 16, 1
	v_add_f32_e32 v167, v167, v41
	s_wait_alu 0xfffd
	v_cndmask_b32_e32 v43, v44, v50, vcc_lo
	v_cmp_u_f32_e32 vcc_lo, v37, v37
	v_mul_f32_e32 v38, v91, v38
	v_add3_u32 v44, v52, v42, 0x7fff
	v_and_b32_e32 v50, 0xffff0000, v39
	v_lshlrev_b32_e32 v39, 16, v39
	s_wait_alu 0xfffd
	v_cndmask_b32_e32 v37, v49, v51, vcc_lo
	v_or_b32_e32 v49, 0x400000, v42
	v_cmp_u_f32_e32 vcc_lo, v42, v42
	v_bfe_u32 v51, v38, 16, 1
	v_mul_f32_e32 v39, v92, v39
	v_and_b32_e32 v37, 0xffff0000, v37
	s_wait_alu 0xfffd
	v_dual_cndmask_b32 v42, v44, v49 :: v_dual_and_b32 v43, 0xffff0000, v43
	v_mul_f32_e32 v44, v87, v50
	v_add3_u32 v49, v51, v38, 0x7fff
	v_or_b32_e32 v50, 0x400000, v38
	v_and_b32_e32 v51, 0xffff0000, v40
	v_cmp_u_f32_e32 vcc_lo, v38, v38
	v_bfe_u32 v52, v44, 16, 1
	v_bfe_u32 v53, v39, 16, 1
	v_lshlrev_b32_e32 v40, 16, v40
	v_and_b32_e32 v42, 0xffff0000, v42
	s_wait_alu 0xfffd
	v_dual_cndmask_b32 v38, v49, v50 :: v_dual_mul_f32 v49, v88, v51
	v_add3_u32 v50, v52, v44, 0x7fff
	v_or_b32_e32 v51, 0x400000, v44
	v_cmp_u_f32_e32 vcc_lo, v44, v44
	v_add3_u32 v52, v53, v39, 0x7fff
	v_or_b32_e32 v53, 0x400000, v39
	v_bfe_u32 v54, v49, 16, 1
	v_and_b32_e32 v38, 0xffff0000, v38
	s_wait_alu 0xfffd
	v_cndmask_b32_e32 v44, v50, v51, vcc_lo
	v_cmp_u_f32_e32 vcc_lo, v39, v39
	v_or_b32_e32 v51, 0x400000, v49
	v_add3_u32 v50, v54, v49, 0x7fff
	v_dual_mul_f32 v40, v90, v40 :: v_dual_add_f32 v37, v37, v43
	s_wait_alu 0xfffd
	v_cndmask_b32_e32 v39, v52, v53, vcc_lo
	v_cmp_u_f32_e32 vcc_lo, v49, v49
	v_add_f32_e32 v38, v38, v42
	v_and_b32_e32 v42, 0xffff0000, v33
	v_and_b32_e32 v43, 0xffff0000, v44
	;; [unrolled: 1-line block ×3, first 2 shown]
	s_wait_alu 0xfffd
	v_cndmask_b32_e32 v49, v50, v51, vcc_lo
	v_bfe_u32 v50, v40, 16, 1
	v_dual_add_f32 v37, v38, v37 :: v_dual_mul_f32 v38, v85, v42
	v_add_f32_e32 v39, v39, v43
	v_lshlrev_b32_e32 v33, 16, v33
	s_delay_alu instid0(VALU_DEP_4)
	v_add3_u32 v44, v50, v40, 0x7fff
	v_or_b32_e32 v50, 0x400000, v40
	v_cmp_u_f32_e32 vcc_lo, v40, v40
	v_bfe_u32 v42, v38, 16, 1
	v_add_f32_e32 v37, v39, v37
	v_mul_f32_e32 v33, v89, v33
	v_and_b32_e32 v39, 0xffff0000, v34
	s_wait_alu 0xfffd
	v_cndmask_b32_e32 v40, v44, v50, vcc_lo
	v_add3_u32 v42, v42, v38, 0x7fff
	v_or_b32_e32 v43, 0x400000, v38
	v_bfe_u32 v44, v33, 16, 1
	v_dual_mul_f32 v39, v86, v39 :: v_dual_lshlrev_b32 v34, 16, v34
	v_cmp_u_f32_e32 vcc_lo, v38, v38
	v_and_b32_e32 v50, 0xffff0000, v35
	v_lshlrev_b32_e32 v35, 16, v35
	s_delay_alu instid0(VALU_DEP_4)
	v_dual_mul_f32 v34, v91, v34 :: v_dual_and_b32 v51, 0xffff0000, v36
	s_wait_alu 0xfffd
	v_cndmask_b32_e32 v38, v42, v43, vcc_lo
	v_add3_u32 v42, v44, v33, 0x7fff
	v_or_b32_e32 v43, 0x400000, v33
	v_bfe_u32 v44, v39, 16, 1
	v_cmp_u_f32_e32 vcc_lo, v33, v33
	v_dual_mul_f32 v50, v87, v50 :: v_dual_mul_f32 v35, v92, v35
	v_lshlrev_b32_e32 v36, 16, v36
	s_wait_alu 0xfffd
	v_dual_cndmask_b32 v33, v42, v43 :: v_dual_and_b32 v38, 0xffff0000, v38
	v_add3_u32 v42, v44, v39, 0x7fff
	v_or_b32_e32 v43, 0x400000, v39
	v_bfe_u32 v44, v34, 16, 1
	v_cmp_u_f32_e32 vcc_lo, v39, v39
	v_mul_f32_e32 v36, v90, v36
	v_or_b32_e32 v52, 0x400000, v35
	v_and_b32_e32 v33, 0xffff0000, v33
	s_wait_alu 0xfffd
	v_dual_cndmask_b32 v39, v42, v43 :: v_dual_and_b32 v40, 0xffff0000, v40
	v_add3_u32 v42, v44, v34, 0x7fff
	v_or_b32_e32 v43, 0x400000, v34
	v_bfe_u32 v44, v50, 16, 1
	v_cmp_u_f32_e32 vcc_lo, v34, v34
	v_bfe_u32 v54, v36, 16, 1
	v_and_b32_e32 v39, 0xffff0000, v39
	s_wait_alu 0xfffd
	v_dual_add_f32 v33, v33, v38 :: v_dual_cndmask_b32 v34, v42, v43
	v_bfe_u32 v42, v35, 16, 1
	v_add3_u32 v43, v44, v50, 0x7fff
	v_mul_f32_e32 v44, v88, v51
	v_or_b32_e32 v51, 0x400000, v50
	v_cmp_u_f32_e32 vcc_lo, v50, v50
	v_add3_u32 v42, v42, v35, 0x7fff
	v_add3_u32 v50, v54, v36, 0x7fff
	v_bfe_u32 v53, v44, 16, 1
	s_wait_alu 0xfffd
	v_dual_cndmask_b32 v43, v43, v51 :: v_dual_and_b32 v34, 0xffff0000, v34
	v_cmp_u_f32_e32 vcc_lo, v35, v35
	v_or_b32_e32 v51, 0x400000, v36
	s_delay_alu instid0(VALU_DEP_3)
	v_add_f32_e32 v34, v34, v39
	s_wait_alu 0xfffd
	v_dual_cndmask_b32 v35, v42, v52 :: v_dual_and_b32 v38, 0xffff0000, v43
	v_cmp_u_f32_e32 vcc_lo, v36, v36
	v_add3_u32 v42, v53, v44, 0x7fff
	v_or_b32_e32 v52, 0x400000, v44
	v_add_f32_e32 v33, v34, v33
	v_and_b32_e32 v35, 0xffff0000, v35
	s_wait_alu 0xfffd
	v_cndmask_b32_e32 v36, v50, v51, vcc_lo
	v_cmp_u_f32_e32 vcc_lo, v44, v44
	s_delay_alu instid0(VALU_DEP_2) | instskip(SKIP_4) | instid1(VALU_DEP_3)
	v_dual_add_f32 v34, v35, v38 :: v_dual_and_b32 v35, 0xffff0000, v36
	s_wait_alu 0xfffd
	v_dual_cndmask_b32 v39, v42, v52 :: v_dual_and_b32 v42, 0xffff0000, v49
	v_and_b32_e32 v38, 0xffff0000, v29
	v_lshlrev_b32_e32 v29, 16, v29
	v_dual_add_f32 v33, v34, v33 :: v_dual_and_b32 v36, 0xffff0000, v39
	s_delay_alu instid0(VALU_DEP_4) | instskip(NEXT) | instid1(VALU_DEP_2)
	v_add_f32_e32 v39, v40, v42
	v_dual_mul_f32 v29, v89, v29 :: v_dual_add_f32 v34, v35, v36
	s_delay_alu instid0(VALU_DEP_2) | instskip(SKIP_1) | instid1(VALU_DEP_3)
	v_dual_mul_f32 v35, v85, v38 :: v_dual_add_f32 v36, v39, v37
	v_and_b32_e32 v37, 0xffff0000, v30
	v_dual_add_f32 v33, v34, v33 :: v_dual_lshlrev_b32 v30, 16, v30
	s_delay_alu instid0(VALU_DEP_3) | instskip(NEXT) | instid1(VALU_DEP_4)
	v_bfe_u32 v34, v35, 16, 1
	v_add_f32_e32 v168, v168, v36
	v_bfe_u32 v36, v29, 16, 1
	v_mul_f32_e32 v37, v86, v37
	v_add_f32_e32 v169, v169, v33
	v_add3_u32 v33, v34, v35, 0x7fff
	v_or_b32_e32 v34, 0x400000, v35
	v_cmp_u_f32_e32 vcc_lo, v35, v35
	v_add3_u32 v36, v36, v29, 0x7fff
	v_or_b32_e32 v38, 0x400000, v29
	v_dual_mul_f32 v30, v91, v30 :: v_dual_and_b32 v35, 0xffff0000, v31
	s_wait_alu 0xfffd
	v_cndmask_b32_e32 v33, v33, v34, vcc_lo
	v_bfe_u32 v34, v37, 16, 1
	v_cmp_u_f32_e32 vcc_lo, v29, v29
	v_lshlrev_b32_e32 v31, 16, v31
	v_mul_f32_e32 v35, v87, v35
	v_and_b32_e32 v39, 0xffff0000, v32
	v_add3_u32 v34, v34, v37, 0x7fff
	s_wait_alu 0xfffd
	v_cndmask_b32_e32 v29, v36, v38, vcc_lo
	v_or_b32_e32 v36, 0x400000, v37
	v_bfe_u32 v38, v30, 16, 1
	v_cmp_u_f32_e32 vcc_lo, v37, v37
	v_mul_f32_e32 v31, v92, v31
	v_or_b32_e32 v37, 0x400000, v30
	v_lshlrev_b32_e32 v32, 16, v32
	s_wait_alu 0xfffd
	v_dual_cndmask_b32 v34, v34, v36 :: v_dual_and_b32 v29, 0xffff0000, v29
	v_add3_u32 v36, v38, v30, 0x7fff
	v_bfe_u32 v38, v35, 16, 1
	v_cmp_u_f32_e32 vcc_lo, v30, v30
	v_bfe_u32 v40, v31, 16, 1
	v_dual_mul_f32 v32, v90, v32 :: v_dual_and_b32 v33, 0xffff0000, v33
	v_and_b32_e32 v34, 0xffff0000, v34
	s_wait_alu 0xfffd
	v_cndmask_b32_e32 v30, v36, v37, vcc_lo
	v_add3_u32 v36, v38, v35, 0x7fff
	v_mul_f32_e32 v37, v88, v39
	v_or_b32_e32 v38, 0x400000, v35
	v_cmp_u_f32_e32 vcc_lo, v35, v35
	v_add3_u32 v39, v40, v31, 0x7fff
	v_or_b32_e32 v40, 0x400000, v31
	v_bfe_u32 v41, v37, 16, 1
	v_and_b32_e32 v30, 0xffff0000, v30
	s_wait_alu 0xfffd
	v_cndmask_b32_e32 v35, v36, v38, vcc_lo
	v_cmp_u_f32_e32 vcc_lo, v31, v31
	v_or_b32_e32 v38, 0x400000, v37
	v_add3_u32 v36, v41, v37, 0x7fff
	v_dual_add_f32 v29, v29, v33 :: v_dual_add_f32 v30, v30, v34
	s_wait_alu 0xfffd
	v_cndmask_b32_e32 v31, v39, v40, vcc_lo
	v_bfe_u32 v39, v32, 16, 1
	v_cmp_u_f32_e32 vcc_lo, v37, v37
	v_and_b32_e32 v33, 0xffff0000, v25
	v_and_b32_e32 v34, 0xffff0000, v35
	;; [unrolled: 1-line block ×3, first 2 shown]
	v_add3_u32 v37, v39, v32, 0x7fff
	s_wait_alu 0xfffd
	v_cndmask_b32_e32 v36, v36, v38, vcc_lo
	v_or_b32_e32 v38, 0x400000, v32
	v_cmp_u_f32_e32 vcc_lo, v32, v32
	v_add_f32_e32 v29, v30, v29
	v_dual_mul_f32 v30, v85, v33 :: v_dual_add_f32 v31, v31, v34
	s_wait_alu 0xfffd
	v_dual_cndmask_b32 v32, v37, v38 :: v_dual_lshlrev_b32 v25, 16, v25
	v_and_b32_e32 v33, 0xffff0000, v36
	s_delay_alu instid0(VALU_DEP_3) | instskip(SKIP_1) | instid1(VALU_DEP_4)
	v_bfe_u32 v34, v30, 16, 1
	v_add_f32_e32 v29, v31, v29
	v_dual_mul_f32 v25, v89, v25 :: v_dual_and_b32 v32, 0xffff0000, v32
	v_and_b32_e32 v31, 0xffff0000, v26
	v_lshlrev_b32_e32 v26, 16, v26
	v_cmp_u_f32_e32 vcc_lo, v30, v30
	s_delay_alu instid0(VALU_DEP_4)
	v_bfe_u32 v35, v25, 16, 1
	v_add_f32_e32 v32, v32, v33
	v_add3_u32 v33, v34, v30, 0x7fff
	v_or_b32_e32 v34, 0x400000, v30
	v_dual_mul_f32 v31, v86, v31 :: v_dual_mul_f32 v26, v91, v26
	v_and_b32_e32 v36, 0xffff0000, v27
	s_wait_alu 0xfffd
	s_delay_alu instid0(VALU_DEP_3)
	v_dual_cndmask_b32 v30, v33, v34 :: v_dual_lshlrev_b32 v27, 16, v27
	v_add3_u32 v33, v35, v25, 0x7fff
	v_or_b32_e32 v34, 0x400000, v25
	v_bfe_u32 v35, v31, 16, 1
	v_cmp_u_f32_e32 vcc_lo, v25, v25
	v_dual_mul_f32 v36, v87, v36 :: v_dual_mul_f32 v27, v92, v27
	v_and_b32_e32 v37, 0xffff0000, v28
	s_wait_alu 0xfffd
	v_dual_cndmask_b32 v25, v33, v34 :: v_dual_lshlrev_b32 v28, 16, v28
	v_add3_u32 v33, v35, v31, 0x7fff
	v_or_b32_e32 v34, 0x400000, v31
	v_bfe_u32 v35, v26, 16, 1
	v_cmp_u_f32_e32 vcc_lo, v31, v31
	v_mul_f32_e32 v28, v90, v28
	v_or_b32_e32 v38, 0x400000, v27
	v_and_b32_e32 v25, 0xffff0000, v25
	v_and_b32_e32 v30, 0xffff0000, v30
	s_wait_alu 0xfffd
	v_cndmask_b32_e32 v31, v33, v34, vcc_lo
	v_add3_u32 v33, v35, v26, 0x7fff
	v_or_b32_e32 v34, 0x400000, v26
	v_bfe_u32 v35, v36, 16, 1
	v_cmp_u_f32_e32 vcc_lo, v26, v26
	v_and_b32_e32 v31, 0xffff0000, v31
	v_add_f32_e32 v25, v25, v30
	s_wait_alu 0xfffd
	v_dual_add_f32 v29, v32, v29 :: v_dual_cndmask_b32 v26, v33, v34
	v_bfe_u32 v33, v27, 16, 1
	v_add3_u32 v34, v35, v36, 0x7fff
	v_mul_f32_e32 v35, v88, v37
	v_or_b32_e32 v37, 0x400000, v36
	v_cmp_u_f32_e32 vcc_lo, v36, v36
	v_add3_u32 v33, v33, v27, 0x7fff
	v_bfe_u32 v36, v28, 16, 1
	v_bfe_u32 v39, v35, 16, 1
	v_and_b32_e32 v26, 0xffff0000, v26
	s_wait_alu 0xfffd
	v_cndmask_b32_e32 v34, v34, v37, vcc_lo
	v_cmp_u_f32_e32 vcc_lo, v27, v27
	v_add3_u32 v36, v36, v28, 0x7fff
	v_or_b32_e32 v37, 0x400000, v35
	v_add_f32_e32 v26, v26, v31
	v_and_b32_e32 v30, 0xffff0000, v34
	s_wait_alu 0xfffd
	v_cndmask_b32_e32 v27, v33, v38, vcc_lo
	v_or_b32_e32 v38, 0x400000, v28
	v_cmp_u_f32_e32 vcc_lo, v28, v28
	v_add3_u32 v33, v39, v35, 0x7fff
	v_add_f32_e32 v25, v26, v25
	v_dual_add_f32 v170, v170, v29 :: v_dual_and_b32 v27, 0xffff0000, v27
	s_wait_alu 0xfffd
	v_cndmask_b32_e32 v28, v36, v38, vcc_lo
	v_cmp_u_f32_e32 vcc_lo, v35, v35
	s_delay_alu instid0(VALU_DEP_3) | instskip(SKIP_1) | instid1(VALU_DEP_3)
	v_dual_add_f32 v26, v27, v30 :: v_dual_and_b32 v27, 0xffff0000, v21
	s_wait_alu 0xfffd
	v_dual_cndmask_b32 v31, v33, v37 :: v_dual_and_b32 v28, 0xffff0000, v28
	v_lshlrev_b32_e32 v21, 16, v21
	s_delay_alu instid0(VALU_DEP_3) | instskip(SKIP_1) | instid1(VALU_DEP_3)
	v_add_f32_e32 v25, v26, v25
	v_mul_f32_e32 v27, v85, v27
	v_dual_mul_f32 v21, v89, v21 :: v_dual_and_b32 v30, 0xffff0000, v31
	s_delay_alu instid0(VALU_DEP_2) | instskip(NEXT) | instid1(VALU_DEP_2)
	v_cmp_u_f32_e32 vcc_lo, v27, v27
	v_add_f32_e32 v26, v28, v30
	v_and_b32_e32 v28, 0xffff0000, v22
	v_bfe_u32 v30, v27, 16, 1
	v_bfe_u32 v29, v21, 16, 1
	v_or_b32_e32 v31, 0x400000, v21
	v_add_f32_e32 v25, v26, v25
	v_mul_f32_e32 v26, v86, v28
	v_add3_u32 v28, v30, v27, 0x7fff
	v_or_b32_e32 v30, 0x400000, v27
	v_add3_u32 v29, v29, v21, 0x7fff
	v_lshlrev_b32_e32 v22, 16, v22
	v_bfe_u32 v32, v26, 16, 1
	v_add_f32_e32 v171, v171, v25
	s_wait_alu 0xfffd
	v_cndmask_b32_e32 v27, v28, v30, vcc_lo
	v_cmp_u_f32_e32 vcc_lo, v21, v21
	v_mul_f32_e32 v22, v91, v22
	v_add3_u32 v28, v32, v26, 0x7fff
	v_and_b32_e32 v30, 0xffff0000, v23
	v_lshlrev_b32_e32 v23, 16, v23
	s_wait_alu 0xfffd
	v_cndmask_b32_e32 v21, v29, v31, vcc_lo
	v_or_b32_e32 v29, 0x400000, v26
	v_cmp_u_f32_e32 vcc_lo, v26, v26
	v_bfe_u32 v31, v22, 16, 1
	v_mul_f32_e32 v23, v92, v23
	v_and_b32_e32 v21, 0xffff0000, v21
	s_wait_alu 0xfffd
	v_dual_cndmask_b32 v26, v28, v29 :: v_dual_and_b32 v27, 0xffff0000, v27
	v_mul_f32_e32 v28, v87, v30
	v_add3_u32 v29, v31, v22, 0x7fff
	v_or_b32_e32 v30, 0x400000, v22
	v_and_b32_e32 v31, 0xffff0000, v24
	v_cmp_u_f32_e32 vcc_lo, v22, v22
	v_bfe_u32 v32, v28, 16, 1
	v_bfe_u32 v33, v23, 16, 1
	v_lshlrev_b32_e32 v24, 16, v24
	v_and_b32_e32 v26, 0xffff0000, v26
	s_wait_alu 0xfffd
	v_dual_cndmask_b32 v22, v29, v30 :: v_dual_mul_f32 v29, v88, v31
	v_add3_u32 v30, v32, v28, 0x7fff
	v_or_b32_e32 v31, 0x400000, v28
	v_cmp_u_f32_e32 vcc_lo, v28, v28
	v_add3_u32 v32, v33, v23, 0x7fff
	v_or_b32_e32 v33, 0x400000, v23
	v_bfe_u32 v34, v29, 16, 1
	v_and_b32_e32 v22, 0xffff0000, v22
	s_wait_alu 0xfffd
	v_cndmask_b32_e32 v28, v30, v31, vcc_lo
	v_cmp_u_f32_e32 vcc_lo, v23, v23
	v_or_b32_e32 v31, 0x400000, v29
	v_add3_u32 v30, v34, v29, 0x7fff
	v_dual_mul_f32 v24, v90, v24 :: v_dual_add_f32 v21, v21, v27
	s_wait_alu 0xfffd
	v_cndmask_b32_e32 v23, v32, v33, vcc_lo
	v_cmp_u_f32_e32 vcc_lo, v29, v29
	v_add_f32_e32 v22, v22, v26
	v_and_b32_e32 v26, 0xffff0000, v17
	v_and_b32_e32 v27, 0xffff0000, v28
	;; [unrolled: 1-line block ×3, first 2 shown]
	s_wait_alu 0xfffd
	v_cndmask_b32_e32 v29, v30, v31, vcc_lo
	v_bfe_u32 v30, v24, 16, 1
	v_dual_add_f32 v21, v22, v21 :: v_dual_mul_f32 v22, v85, v26
	v_add_f32_e32 v23, v23, v27
	v_lshlrev_b32_e32 v17, 16, v17
	s_delay_alu instid0(VALU_DEP_4)
	v_add3_u32 v28, v30, v24, 0x7fff
	v_or_b32_e32 v30, 0x400000, v24
	v_cmp_u_f32_e32 vcc_lo, v24, v24
	v_bfe_u32 v26, v22, 16, 1
	v_add_f32_e32 v21, v23, v21
	v_mul_f32_e32 v17, v89, v17
	v_and_b32_e32 v23, 0xffff0000, v18
	s_wait_alu 0xfffd
	v_cndmask_b32_e32 v24, v28, v30, vcc_lo
	v_add3_u32 v26, v26, v22, 0x7fff
	v_or_b32_e32 v27, 0x400000, v22
	v_bfe_u32 v28, v17, 16, 1
	v_dual_mul_f32 v23, v86, v23 :: v_dual_lshlrev_b32 v18, 16, v18
	v_cmp_u_f32_e32 vcc_lo, v22, v22
	v_and_b32_e32 v30, 0xffff0000, v19
	v_lshlrev_b32_e32 v19, 16, v19
	s_delay_alu instid0(VALU_DEP_4)
	v_dual_mul_f32 v18, v91, v18 :: v_dual_and_b32 v31, 0xffff0000, v20
	s_wait_alu 0xfffd
	v_cndmask_b32_e32 v22, v26, v27, vcc_lo
	v_add3_u32 v26, v28, v17, 0x7fff
	v_or_b32_e32 v27, 0x400000, v17
	v_bfe_u32 v28, v23, 16, 1
	v_cmp_u_f32_e32 vcc_lo, v17, v17
	v_dual_mul_f32 v30, v87, v30 :: v_dual_mul_f32 v19, v92, v19
	v_lshlrev_b32_e32 v20, 16, v20
	s_wait_alu 0xfffd
	v_dual_cndmask_b32 v17, v26, v27 :: v_dual_and_b32 v22, 0xffff0000, v22
	v_add3_u32 v26, v28, v23, 0x7fff
	v_or_b32_e32 v27, 0x400000, v23
	v_bfe_u32 v28, v18, 16, 1
	v_cmp_u_f32_e32 vcc_lo, v23, v23
	v_mul_f32_e32 v20, v90, v20
	v_or_b32_e32 v32, 0x400000, v19
	v_and_b32_e32 v17, 0xffff0000, v17
	s_wait_alu 0xfffd
	v_dual_cndmask_b32 v23, v26, v27 :: v_dual_and_b32 v24, 0xffff0000, v24
	v_add3_u32 v26, v28, v18, 0x7fff
	v_or_b32_e32 v27, 0x400000, v18
	v_bfe_u32 v28, v30, 16, 1
	v_cmp_u_f32_e32 vcc_lo, v18, v18
	v_bfe_u32 v34, v20, 16, 1
	v_and_b32_e32 v23, 0xffff0000, v23
	s_wait_alu 0xfffd
	v_dual_add_f32 v17, v17, v22 :: v_dual_cndmask_b32 v18, v26, v27
	v_bfe_u32 v26, v19, 16, 1
	v_add3_u32 v27, v28, v30, 0x7fff
	v_mul_f32_e32 v28, v88, v31
	v_or_b32_e32 v31, 0x400000, v30
	v_cmp_u_f32_e32 vcc_lo, v30, v30
	v_add3_u32 v26, v26, v19, 0x7fff
	v_add3_u32 v30, v34, v20, 0x7fff
	v_bfe_u32 v33, v28, 16, 1
	s_wait_alu 0xfffd
	v_dual_cndmask_b32 v27, v27, v31 :: v_dual_and_b32 v18, 0xffff0000, v18
	v_cmp_u_f32_e32 vcc_lo, v19, v19
	v_or_b32_e32 v31, 0x400000, v20
	s_delay_alu instid0(VALU_DEP_3)
	v_add_f32_e32 v18, v18, v23
	s_wait_alu 0xfffd
	v_dual_cndmask_b32 v19, v26, v32 :: v_dual_and_b32 v22, 0xffff0000, v27
	v_cmp_u_f32_e32 vcc_lo, v20, v20
	v_add3_u32 v26, v33, v28, 0x7fff
	v_or_b32_e32 v32, 0x400000, v28
	v_add_f32_e32 v17, v18, v17
	v_and_b32_e32 v19, 0xffff0000, v19
	s_wait_alu 0xfffd
	v_cndmask_b32_e32 v20, v30, v31, vcc_lo
	v_cmp_u_f32_e32 vcc_lo, v28, v28
	s_delay_alu instid0(VALU_DEP_2) | instskip(SKIP_4) | instid1(VALU_DEP_3)
	v_dual_add_f32 v18, v19, v22 :: v_dual_and_b32 v19, 0xffff0000, v20
	s_wait_alu 0xfffd
	v_dual_cndmask_b32 v23, v26, v32 :: v_dual_and_b32 v26, 0xffff0000, v29
	v_and_b32_e32 v22, 0xffff0000, v13
	v_lshlrev_b32_e32 v13, 16, v13
	v_dual_add_f32 v17, v18, v17 :: v_dual_and_b32 v20, 0xffff0000, v23
	s_delay_alu instid0(VALU_DEP_4) | instskip(NEXT) | instid1(VALU_DEP_2)
	v_add_f32_e32 v23, v24, v26
	v_dual_mul_f32 v13, v89, v13 :: v_dual_add_f32 v18, v19, v20
	s_delay_alu instid0(VALU_DEP_2) | instskip(SKIP_1) | instid1(VALU_DEP_3)
	v_dual_mul_f32 v19, v85, v22 :: v_dual_add_f32 v20, v23, v21
	v_and_b32_e32 v21, 0xffff0000, v14
	v_dual_add_f32 v17, v18, v17 :: v_dual_lshlrev_b32 v14, 16, v14
	s_delay_alu instid0(VALU_DEP_3) | instskip(NEXT) | instid1(VALU_DEP_4)
	v_bfe_u32 v18, v19, 16, 1
	v_add_f32_e32 v172, v172, v20
	v_bfe_u32 v20, v13, 16, 1
	v_mul_f32_e32 v21, v86, v21
	v_add_f32_e32 v173, v173, v17
	v_add3_u32 v17, v18, v19, 0x7fff
	v_or_b32_e32 v18, 0x400000, v19
	v_cmp_u_f32_e32 vcc_lo, v19, v19
	v_add3_u32 v20, v20, v13, 0x7fff
	v_or_b32_e32 v22, 0x400000, v13
	v_dual_mul_f32 v14, v91, v14 :: v_dual_and_b32 v19, 0xffff0000, v15
	s_wait_alu 0xfffd
	v_cndmask_b32_e32 v17, v17, v18, vcc_lo
	v_bfe_u32 v18, v21, 16, 1
	v_cmp_u_f32_e32 vcc_lo, v13, v13
	v_lshlrev_b32_e32 v15, 16, v15
	v_mul_f32_e32 v19, v87, v19
	v_and_b32_e32 v23, 0xffff0000, v16
	v_add3_u32 v18, v18, v21, 0x7fff
	s_wait_alu 0xfffd
	v_cndmask_b32_e32 v13, v20, v22, vcc_lo
	v_or_b32_e32 v20, 0x400000, v21
	v_bfe_u32 v22, v14, 16, 1
	v_cmp_u_f32_e32 vcc_lo, v21, v21
	v_mul_f32_e32 v15, v92, v15
	v_or_b32_e32 v21, 0x400000, v14
	v_lshlrev_b32_e32 v16, 16, v16
	s_wait_alu 0xfffd
	v_dual_cndmask_b32 v18, v18, v20 :: v_dual_and_b32 v13, 0xffff0000, v13
	v_add3_u32 v20, v22, v14, 0x7fff
	v_bfe_u32 v22, v19, 16, 1
	v_cmp_u_f32_e32 vcc_lo, v14, v14
	v_bfe_u32 v24, v15, 16, 1
	v_dual_mul_f32 v16, v90, v16 :: v_dual_and_b32 v17, 0xffff0000, v17
	v_and_b32_e32 v18, 0xffff0000, v18
	s_wait_alu 0xfffd
	v_cndmask_b32_e32 v14, v20, v21, vcc_lo
	v_add3_u32 v20, v22, v19, 0x7fff
	v_mul_f32_e32 v21, v88, v23
	v_or_b32_e32 v22, 0x400000, v19
	v_cmp_u_f32_e32 vcc_lo, v19, v19
	v_add3_u32 v23, v24, v15, 0x7fff
	v_or_b32_e32 v24, 0x400000, v15
	v_bfe_u32 v25, v21, 16, 1
	v_and_b32_e32 v14, 0xffff0000, v14
	s_wait_alu 0xfffd
	v_cndmask_b32_e32 v19, v20, v22, vcc_lo
	v_cmp_u_f32_e32 vcc_lo, v15, v15
	v_or_b32_e32 v22, 0x400000, v21
	v_add3_u32 v20, v25, v21, 0x7fff
	v_dual_add_f32 v13, v13, v17 :: v_dual_add_f32 v14, v14, v18
	s_wait_alu 0xfffd
	v_cndmask_b32_e32 v15, v23, v24, vcc_lo
	v_bfe_u32 v23, v16, 16, 1
	v_cmp_u_f32_e32 vcc_lo, v21, v21
	v_and_b32_e32 v18, 0xffff0000, v9
	v_and_b32_e32 v17, 0xffff0000, v19
	;; [unrolled: 1-line block ×3, first 2 shown]
	v_add3_u32 v21, v23, v16, 0x7fff
	s_wait_alu 0xfffd
	v_cndmask_b32_e32 v20, v20, v22, vcc_lo
	v_or_b32_e32 v22, 0x400000, v16
	v_cmp_u_f32_e32 vcc_lo, v16, v16
	v_lshlrev_b32_e32 v9, 16, v9
	v_dual_add_f32 v13, v14, v13 :: v_dual_mul_f32 v14, v85, v18
	s_wait_alu 0xfffd
	v_dual_add_f32 v15, v15, v17 :: v_dual_cndmask_b32 v16, v21, v22
	s_delay_alu instid0(VALU_DEP_3) | instskip(NEXT) | instid1(VALU_DEP_3)
	v_dual_mul_f32 v17, v89, v9 :: v_dual_and_b32 v18, 0xffff0000, v20
	v_bfe_u32 v19, v14, 16, 1
	v_and_b32_e32 v20, 0xffff0000, v10
	s_delay_alu instid0(VALU_DEP_4) | instskip(NEXT) | instid1(VALU_DEP_4)
	v_dual_add_f32 v9, v15, v13 :: v_dual_and_b32 v16, 0xffff0000, v16
	v_bfe_u32 v15, v17, 16, 1
	v_lshlrev_b32_e32 v10, 16, v10
	v_cmp_u_f32_e32 vcc_lo, v14, v14
	s_delay_alu instid0(VALU_DEP_4)
	v_add_f32_e32 v13, v16, v18
	v_add3_u32 v16, v19, v14, 0x7fff
	v_or_b32_e32 v18, 0x400000, v14
	v_mul_f32_e32 v19, v86, v20
	v_add3_u32 v15, v15, v17, 0x7fff
	v_or_b32_e32 v20, 0x400000, v17
	v_mul_f32_e32 v10, v91, v10
	s_wait_alu 0xfffd
	v_cndmask_b32_e32 v14, v16, v18, vcc_lo
	v_bfe_u32 v16, v19, 16, 1
	v_cmp_u_f32_e32 vcc_lo, v17, v17
	v_and_b32_e32 v17, 0xffff0000, v11
	v_or_b32_e32 v18, 0x400000, v19
	v_lshlrev_b32_e32 v11, 16, v11
	v_add3_u32 v16, v16, v19, 0x7fff
	s_wait_alu 0xfffd
	v_cndmask_b32_e32 v15, v15, v20, vcc_lo
	v_bfe_u32 v20, v10, 16, 1
	v_mul_f32_e32 v17, v87, v17
	v_cmp_u_f32_e32 vcc_lo, v19, v19
	v_mul_f32_e32 v11, v92, v11
	v_or_b32_e32 v19, 0x400000, v10
	v_and_b32_e32 v21, 0xffff0000, v12
	v_lshlrev_b32_e32 v12, 16, v12
	s_wait_alu 0xfffd
	v_cndmask_b32_e32 v16, v16, v18, vcc_lo
	v_add3_u32 v18, v20, v10, 0x7fff
	v_bfe_u32 v20, v17, 16, 1
	v_cmp_u_f32_e32 vcc_lo, v10, v10
	v_bfe_u32 v22, v11, 16, 1
	v_dual_mul_f32 v12, v90, v12 :: v_dual_and_b32 v15, 0xffff0000, v15
	v_and_b32_e32 v14, 0xffff0000, v14
	s_wait_alu 0xfffd
	v_cndmask_b32_e32 v10, v18, v19, vcc_lo
	v_add3_u32 v18, v20, v17, 0x7fff
	v_mul_f32_e32 v19, v88, v21
	v_or_b32_e32 v20, 0x400000, v17
	v_cmp_u_f32_e32 vcc_lo, v17, v17
	v_add3_u32 v21, v22, v11, 0x7fff
	v_or_b32_e32 v22, 0x400000, v11
	v_bfe_u32 v23, v19, 16, 1
	s_wait_alu 0xfffd
	v_dual_cndmask_b32 v17, v18, v20 :: v_dual_and_b32 v10, 0xffff0000, v10
	v_cmp_u_f32_e32 vcc_lo, v11, v11
	v_or_b32_e32 v20, 0x400000, v19
	v_add3_u32 v18, v23, v19, 0x7fff
	v_and_b32_e32 v16, 0xffff0000, v16
	v_add_f32_e32 v14, v15, v14
	s_wait_alu 0xfffd
	v_cndmask_b32_e32 v11, v21, v22, vcc_lo
	v_bfe_u32 v21, v12, 16, 1
	v_cmp_u_f32_e32 vcc_lo, v19, v19
	v_add_f32_e32 v10, v10, v16
	v_and_b32_e32 v16, 0xffff0000, v5
	v_and_b32_e32 v11, 0xffff0000, v11
	v_add3_u32 v19, v21, v12, 0x7fff
	s_wait_alu 0xfffd
	v_cndmask_b32_e32 v18, v18, v20, vcc_lo
	v_or_b32_e32 v20, 0x400000, v12
	v_cmp_u_f32_e32 vcc_lo, v12, v12
	v_and_b32_e32 v15, 0xffff0000, v17
	v_dual_add_f32 v10, v10, v14 :: v_dual_lshlrev_b32 v5, 16, v5
	v_mul_f32_e32 v14, v85, v16
	s_wait_alu 0xfffd
	v_cndmask_b32_e32 v12, v19, v20, vcc_lo
	v_add_f32_e32 v11, v11, v15
	v_mul_f32_e32 v5, v89, v5
	v_and_b32_e32 v15, 0xffff0000, v18
	v_and_b32_e32 v16, 0xffff0000, v6
	;; [unrolled: 1-line block ×3, first 2 shown]
	v_bfe_u32 v17, v14, 16, 1
	v_add_f32_e32 v10, v11, v10
	v_bfe_u32 v11, v5, 16, 1
	v_lshlrev_b32_e32 v6, 16, v6
	v_dual_add_f32 v12, v12, v15 :: v_dual_mul_f32 v15, v86, v16
	v_add3_u32 v16, v17, v14, 0x7fff
	v_or_b32_e32 v17, 0x400000, v14
	v_cmp_u_f32_e32 vcc_lo, v14, v14
	v_add3_u32 v11, v11, v5, 0x7fff
	v_or_b32_e32 v18, 0x400000, v5
	v_bfe_u32 v19, v15, 16, 1
	v_mul_f32_e32 v6, v91, v6
	s_wait_alu 0xfffd
	v_cndmask_b32_e32 v14, v16, v17, vcc_lo
	v_cmp_u_f32_e32 vcc_lo, v5, v5
	v_and_b32_e32 v17, 0xffff0000, v7
	v_or_b32_e32 v16, 0x400000, v15
	v_lshlrev_b32_e32 v7, 16, v7
	v_and_b32_e32 v14, 0xffff0000, v14
	s_wait_alu 0xfffd
	v_cndmask_b32_e32 v5, v11, v18, vcc_lo
	v_add3_u32 v11, v19, v15, 0x7fff
	v_bfe_u32 v18, v6, 16, 1
	v_cmp_u_f32_e32 vcc_lo, v15, v15
	v_mul_f32_e32 v15, v87, v17
	v_mul_f32_e32 v7, v92, v7
	v_or_b32_e32 v17, 0x400000, v6
	v_and_b32_e32 v5, 0xffff0000, v5
	s_wait_alu 0xfffd
	v_cndmask_b32_e32 v11, v11, v16, vcc_lo
	v_add3_u32 v16, v18, v6, 0x7fff
	v_and_b32_e32 v18, 0xffff0000, v8
	v_bfe_u32 v19, v15, 16, 1
	v_cmp_u_f32_e32 vcc_lo, v6, v6
	v_bfe_u32 v20, v7, 16, 1
	v_lshlrev_b32_e32 v8, 16, v8
	v_and_b32_e32 v11, 0xffff0000, v11
	s_wait_alu 0xfffd
	v_dual_add_f32 v5, v5, v14 :: v_dual_cndmask_b32 v6, v16, v17
	v_mul_f32_e32 v16, v88, v18
	v_add3_u32 v17, v19, v15, 0x7fff
	v_or_b32_e32 v18, 0x400000, v15
	v_cmp_u_f32_e32 vcc_lo, v15, v15
	v_add3_u32 v19, v20, v7, 0x7fff
	v_or_b32_e32 v20, 0x400000, v7
	v_bfe_u32 v21, v16, 16, 1
	v_and_b32_e32 v6, 0xffff0000, v6
	s_wait_alu 0xfffd
	v_cndmask_b32_e32 v15, v17, v18, vcc_lo
	v_cmp_u_f32_e32 vcc_lo, v7, v7
	v_or_b32_e32 v18, 0x400000, v16
	v_add3_u32 v17, v21, v16, 0x7fff
	v_mul_f32_e32 v8, v90, v8
	s_wait_alu 0xfffd
	v_dual_add_f32 v6, v6, v11 :: v_dual_cndmask_b32 v7, v19, v20
	v_cmp_u_f32_e32 vcc_lo, v16, v16
	v_and_b32_e32 v11, 0xffff0000, v1
	s_delay_alu instid0(VALU_DEP_3) | instskip(SKIP_4) | instid1(VALU_DEP_3)
	v_dual_add_f32 v5, v6, v5 :: v_dual_and_b32 v14, 0xffff0000, v15
	s_wait_alu 0xfffd
	v_dual_cndmask_b32 v16, v17, v18 :: v_dual_and_b32 v7, 0xffff0000, v7
	v_bfe_u32 v17, v8, 16, 1
	v_dual_mul_f32 v6, v85, v11 :: v_dual_lshlrev_b32 v1, 16, v1
	v_add_f32_e32 v7, v7, v14
	v_cmp_u_f32_e32 vcc_lo, v8, v8
	s_delay_alu instid0(VALU_DEP_4)
	v_add3_u32 v15, v17, v8, 0x7fff
	v_or_b32_e32 v17, 0x400000, v8
	v_bfe_u32 v11, v6, 16, 1
	v_add_f32_e32 v5, v7, v5
	v_and_b32_e32 v7, 0xffff0000, v2
	v_mul_f32_e32 v1, v89, v1
	s_wait_alu 0xfffd
	v_cndmask_b32_e32 v8, v15, v17, vcc_lo
	v_add3_u32 v11, v11, v6, 0x7fff
	v_or_b32_e32 v14, 0x400000, v6
	v_mul_f32_e32 v7, v86, v7
	v_and_b32_e32 v15, 0xffff0000, v16
	v_bfe_u32 v16, v1, 16, 1
	v_cmp_u_f32_e32 vcc_lo, v6, v6
	v_lshlrev_b32_e32 v2, 16, v2
	v_or_b32_e32 v17, 0x400000, v1
	v_or_b32_e32 v18, 0x400000, v7
	s_wait_loadcnt 0x0
	v_and_b32_e32 v20, 0xffff0000, v47
	s_wait_alu 0xfffd
	v_cndmask_b32_e32 v6, v11, v14, vcc_lo
	v_bfe_u32 v11, v7, 16, 1
	v_add3_u32 v14, v16, v1, 0x7fff
	v_and_b32_e32 v16, 0xffff0000, v3
	v_mul_f32_e32 v2, v91, v2
	v_cmp_u_f32_e32 vcc_lo, v1, v1
	v_add3_u32 v11, v11, v7, 0x7fff
	s_delay_alu instid0(VALU_DEP_4)
	v_dual_mul_f32 v16, v87, v16 :: v_dual_lshlrev_b32 v3, 16, v3
	s_wait_alu 0xfffd
	v_dual_cndmask_b32 v1, v14, v17 :: v_dual_and_b32 v6, 0xffff0000, v6
	v_bfe_u32 v14, v2, 16, 1
	v_cmp_u_f32_e32 vcc_lo, v7, v7
	v_and_b32_e32 v17, 0xffff0000, v4
	v_mul_f32_e32 v3, v92, v3
	v_or_b32_e32 v19, 0x400000, v16
	v_add3_u32 v14, v14, v2, 0x7fff
	s_wait_alu 0xfffd
	v_cndmask_b32_e32 v7, v11, v18, vcc_lo
	v_bfe_u32 v11, v16, 16, 1
	v_or_b32_e32 v18, 0x400000, v2
	v_cmp_u_f32_e32 vcc_lo, v2, v2
	v_dual_mul_f32 v17, v88, v17 :: v_dual_lshlrev_b32 v4, 16, v4
	s_delay_alu instid0(VALU_DEP_4)
	v_add3_u32 v11, v11, v16, 0x7fff
	s_wait_alu 0xfffd
	v_dual_cndmask_b32 v2, v14, v18 :: v_dual_and_b32 v1, 0xffff0000, v1
	v_bfe_u32 v14, v3, 16, 1
	v_cmp_u_f32_e32 vcc_lo, v16, v16
	v_bfe_u32 v18, v17, 16, 1
	v_or_b32_e32 v16, 0x400000, v3
	v_mul_f32_e32 v4, v90, v4
	v_add3_u32 v14, v14, v3, 0x7fff
	s_wait_alu 0xfffd
	v_cndmask_b32_e32 v11, v11, v19, vcc_lo
	v_cmp_u_f32_e32 vcc_lo, v3, v3
	v_add3_u32 v18, v18, v17, 0x7fff
	v_or_b32_e32 v19, 0x400000, v17
	v_and_b32_e32 v2, 0xffff0000, v2
	v_and_b32_e32 v7, 0xffff0000, v7
	s_wait_alu 0xfffd
	v_cndmask_b32_e32 v3, v14, v16, vcc_lo
	v_cmp_u_f32_e32 vcc_lo, v17, v17
	v_bfe_u32 v16, v4, 16, 1
	v_dual_add_f32 v1, v1, v6 :: v_dual_add_f32 v2, v2, v7
	s_delay_alu instid0(VALU_DEP_4)
	v_and_b32_e32 v3, 0xffff0000, v3
	s_wait_alu 0xfffd
	v_cndmask_b32_e32 v14, v18, v19, vcc_lo
	v_lshlrev_b32_e32 v18, 16, v45
	v_and_b32_e32 v6, 0xffff0000, v11
	v_and_b32_e32 v11, 0xffff0000, v45
	v_add3_u32 v16, v16, v4, 0x7fff
	v_or_b32_e32 v17, 0x400000, v4
	v_mul_f32_e32 v7, v89, v18
	v_cmp_u_f32_e32 vcc_lo, v4, v4
	v_add_f32_e32 v1, v2, v1
	v_dual_add_f32 v3, v3, v6 :: v_dual_mul_f32 v6, v85, v11
	s_delay_alu instid0(VALU_DEP_4)
	v_bfe_u32 v2, v7, 16, 1
	s_wait_alu 0xfffd
	v_dual_cndmask_b32 v4, v16, v17 :: v_dual_lshlrev_b32 v11, 16, v46
	v_or_b32_e32 v16, 0x400000, v7
	v_bfe_u32 v17, v6, 16, 1
	v_add3_u32 v2, v2, v7, 0x7fff
	s_delay_alu instid0(VALU_DEP_4) | instskip(SKIP_1) | instid1(VALU_DEP_4)
	v_dual_mul_f32 v11, v91, v11 :: v_dual_and_b32 v18, 0xffff0000, v46
	v_cmp_u_f32_e32 vcc_lo, v7, v7
	v_add3_u32 v7, v17, v6, 0x7fff
	v_lshlrev_b32_e32 v19, 16, v47
	s_delay_alu instid0(VALU_DEP_4)
	v_bfe_u32 v17, v11, 16, 1
	v_mul_f32_e32 v18, v86, v18
	s_wait_alu 0xfffd
	v_cndmask_b32_e32 v2, v2, v16, vcc_lo
	v_or_b32_e32 v16, 0x400000, v6
	v_cmp_u_f32_e32 vcc_lo, v6, v6
	v_dual_mul_f32 v19, v92, v19 :: v_dual_mul_f32 v20, v87, v20
	v_lshlrev_b32_e32 v21, 16, v48
	v_and_b32_e32 v22, 0xffff0000, v48
	s_wait_alu 0xfffd
	v_cndmask_b32_e32 v6, v7, v16, vcc_lo
	v_add3_u32 v7, v17, v11, 0x7fff
	v_or_b32_e32 v16, 0x400000, v11
	v_bfe_u32 v17, v18, 16, 1
	v_cmp_u_f32_e32 vcc_lo, v11, v11
	v_or_b32_e32 v23, 0x400000, v20
	v_and_b32_e32 v6, 0xffff0000, v6
	v_and_b32_e32 v2, 0xffff0000, v2
	v_add3_u32 v11, v17, v18, 0x7fff
	s_wait_alu 0xfffd
	v_cndmask_b32_e32 v7, v7, v16, vcc_lo
	v_or_b32_e32 v16, 0x400000, v18
	v_bfe_u32 v17, v19, 16, 1
	v_cmp_u_f32_e32 vcc_lo, v18, v18
	v_dual_mul_f32 v18, v90, v21 :: v_dual_mul_f32 v21, v88, v22
	v_or_b32_e32 v22, 0x400000, v19
	s_delay_alu instid0(VALU_DEP_4)
	v_add3_u32 v17, v17, v19, 0x7fff
	s_wait_alu 0xfffd
	v_cndmask_b32_e32 v11, v11, v16, vcc_lo
	v_bfe_u32 v16, v20, 16, 1
	v_cmp_u_f32_e32 vcc_lo, v19, v19
	v_bfe_u32 v25, v21, 16, 1
	v_bfe_u32 v24, v18, 16, 1
	v_and_b32_e32 v11, 0xffff0000, v11
	v_add3_u32 v16, v16, v20, 0x7fff
	s_wait_alu 0xfffd
	v_cndmask_b32_e32 v17, v17, v22, vcc_lo
	v_cmp_u_f32_e32 vcc_lo, v20, v20
	v_add3_u32 v20, v25, v21, 0x7fff
	v_or_b32_e32 v22, 0x400000, v21
	v_add3_u32 v19, v24, v18, 0x7fff
	v_and_b32_e32 v7, 0xffff0000, v7
	s_wait_alu 0xfffd
	v_cndmask_b32_e32 v16, v16, v23, vcc_lo
	v_cmp_u_f32_e32 vcc_lo, v21, v21
	v_or_b32_e32 v23, 0x400000, v18
	v_add_f32_e32 v2, v2, v6
	s_delay_alu instid0(VALU_DEP_4)
	v_dual_add_f32 v6, v7, v11 :: v_dual_and_b32 v7, 0xffff0000, v16
	s_wait_alu 0xfffd
	v_cndmask_b32_e32 v20, v20, v22, vcc_lo
	v_cmp_u_f32_e32 vcc_lo, v18, v18
	v_and_b32_e32 v11, 0xffff0000, v17
	v_and_b32_e32 v8, 0xffff0000, v8
	;; [unrolled: 1-line block ×4, first 2 shown]
	s_wait_alu 0xfffd
	v_cndmask_b32_e32 v16, v19, v23, vcc_lo
	v_add_f32_e32 v2, v6, v2
	v_dual_add_f32 v6, v11, v7 :: v_dual_and_b32 v7, 0xffff0000, v20
	s_delay_alu instid0(VALU_DEP_3) | instskip(SKIP_2) | instid1(VALU_DEP_4)
	v_dual_add_f32 v8, v8, v15 :: v_dual_and_b32 v11, 0xffff0000, v16
	v_add_f32_e32 v1, v3, v1
	v_add_f32_e32 v3, v4, v14
	;; [unrolled: 1-line block ×4, first 2 shown]
	v_dual_add_f32 v4, v11, v7 :: v_dual_add_f32 v7, v12, v10
	v_add_f32_e32 v5, v8, v5
	s_delay_alu instid0(VALU_DEP_3) | instskip(NEXT) | instid1(VALU_DEP_3)
	v_dual_add_f32 v1, v3, v1 :: v_dual_add_f32 v174, v174, v6
	v_dual_add_f32 v2, v4, v2 :: v_dual_add_f32 v175, v175, v7
	s_delay_alu instid0(VALU_DEP_3) | instskip(NEXT) | instid1(VALU_DEP_3)
	v_add_f32_e32 v177, v177, v5
	v_add_f32_e32 v176, v176, v1
	s_delay_alu instid0(VALU_DEP_3)
	v_add_f32_e32 v146, v146, v2
.LBB179_37:                             ;   in Loop: Header=BB179_38 Depth=1
	s_or_b32 exec_lo, exec_lo, s24
	v_add_nc_u32_e32 v178, 4, v178
	v_add_co_u32 v137, s0, v137, 16
	s_wait_alu 0xf1ff
	v_add_co_ci_u32_e64 v138, null, 0, v138, s0
	s_delay_alu instid0(VALU_DEP_3)
	v_cmp_le_i32_e32 vcc_lo, s33, v178
	v_add_nc_u32_e32 v141, 0x80, v141
	v_add_nc_u32_e32 v179, 0x200, v179
	s_or_b32 s13, vcc_lo, s13
	s_wait_alu 0xfffe
	s_and_not1_b32 exec_lo, exec_lo, s13
	s_cbranch_execz .LBB179_103
.LBB179_38:                             ; =>This Inner Loop Header: Depth=1
	v_sub_nc_u32_e32 v1, 0, v141
	s_delay_alu instid0(VALU_DEP_1) | instskip(NEXT) | instid1(VALU_DEP_1)
	v_max_i32_e32 v1, v141, v1
	v_mul_hi_u32 v2, v1, s22
	s_delay_alu instid0(VALU_DEP_1) | instskip(NEXT) | instid1(VALU_DEP_1)
	v_mul_lo_u32 v3, v2, s16
	v_sub_nc_u32_e32 v1, v1, v3
	v_add_nc_u32_e32 v3, 1, v2
	s_delay_alu instid0(VALU_DEP_2) | instskip(SKIP_2) | instid1(VALU_DEP_2)
	v_subrev_nc_u32_e32 v4, s16, v1
	v_cmp_le_u32_e32 vcc_lo, s16, v1
	s_wait_alu 0xfffd
	v_dual_cndmask_b32 v2, v2, v3 :: v_dual_cndmask_b32 v1, v1, v4
	v_ashrrev_i32_e32 v3, 31, v141
	s_delay_alu instid0(VALU_DEP_2) | instskip(NEXT) | instid1(VALU_DEP_3)
	v_add_nc_u32_e32 v4, 1, v2
	v_cmp_le_u32_e32 vcc_lo, s16, v1
	s_delay_alu instid0(VALU_DEP_3) | instskip(SKIP_1) | instid1(VALU_DEP_3)
	v_xor_b32_e32 v3, s23, v3
	s_wait_alu 0xfffd
	v_cndmask_b32_e32 v1, v2, v4, vcc_lo
	s_delay_alu instid0(VALU_DEP_1) | instskip(NEXT) | instid1(VALU_DEP_1)
	v_xor_b32_e32 v1, v1, v3
	v_sub_nc_u32_e32 v1, v1, v3
	s_delay_alu instid0(VALU_DEP_1) | instskip(SKIP_1) | instid1(VALU_DEP_2)
	v_add_nc_u32_e32 v2, s21, v1
	v_cmp_lt_i32_e64 s0, s10, v1
	v_sub_nc_u32_e32 v3, 0, v2
	s_delay_alu instid0(VALU_DEP_1) | instskip(SKIP_1) | instid1(VALU_DEP_1)
	v_max_i32_e32 v3, v2, v3
	s_wait_alu 0xfffe
	v_mul_hi_u32 v4, v3, s17
	s_delay_alu instid0(VALU_DEP_1) | instskip(NEXT) | instid1(VALU_DEP_1)
	v_mul_lo_u32 v4, v4, s3
	v_sub_nc_u32_e32 v3, v3, v4
	s_delay_alu instid0(VALU_DEP_1) | instskip(SKIP_2) | instid1(VALU_DEP_2)
	v_subrev_nc_u32_e32 v4, s3, v3
	v_cmp_le_u32_e32 vcc_lo, s3, v3
	s_wait_alu 0xfffd
	v_cndmask_b32_e32 v3, v3, v4, vcc_lo
	v_ashrrev_i32_e32 v2, 31, v2
	s_delay_alu instid0(VALU_DEP_2) | instskip(SKIP_2) | instid1(VALU_DEP_2)
	v_subrev_nc_u32_e32 v4, s3, v3
	v_cmp_le_u32_e32 vcc_lo, s3, v3
	s_wait_alu 0xfffd
	v_cndmask_b32_e32 v3, v3, v4, vcc_lo
	s_delay_alu instid0(VALU_DEP_1) | instskip(NEXT) | instid1(VALU_DEP_1)
	v_xor_b32_e32 v3, v3, v2
	v_sub_nc_u32_e32 v2, v3, v2
	s_delay_alu instid0(VALU_DEP_1)
	v_cmp_eq_u32_e32 vcc_lo, 0, v2
	s_or_b32 s0, vcc_lo, s0
	s_wait_alu 0xfffe
	s_and_saveexec_b32 s24, s0
	s_cbranch_execz .LBB179_37
; %bb.39:                               ;   in Loop: Header=BB179_38 Depth=1
	global_load_b32 v1, v[137:138], off
	v_add_nc_u32_e32 v186, v0, v141
	s_delay_alu instid0(VALU_DEP_1)
	v_add_nc_u32_e32 v184, 1, v186
	v_or_b32_e32 v183, 3, v186
	v_or_b32_e32 v185, 2, v186
	;; [unrolled: 1-line block ×6, first 2 shown]
	s_wait_loadcnt 0x0
	v_mad_co_i64_i32 v[1:2], null, v1, s12, 0
	s_delay_alu instid0(VALU_DEP_1) | instskip(NEXT) | instid1(VALU_DEP_1)
	v_lshlrev_b64_e32 v[1:2], 1, v[1:2]
	v_add_co_u32 v47, vcc_lo, s8, v1
	s_wait_alu 0xfffd
	s_delay_alu instid0(VALU_DEP_2) | instskip(NEXT) | instid1(VALU_DEP_2)
	v_add_co_ci_u32_e64 v48, null, s9, v2, vcc_lo
	v_add_co_u32 v45, vcc_lo, v47, v180
	s_wait_alu 0xfffd
	s_delay_alu instid0(VALU_DEP_2)
	v_add_co_ci_u32_e64 v46, null, 0, v48, vcc_lo
	v_cmp_eq_u32_e32 vcc_lo, s14, v178
	global_load_b128 v[1:4], v[45:46], off
	ds_load_2addr_b64 v[89:92], v179 offset1:1
	ds_load_2addr_b64 v[85:88], v179 offset0:2 offset1:3
	s_and_saveexec_b32 s1, vcc_lo
	s_cbranch_execnz .LBB179_73
; %bb.40:                               ;   in Loop: Header=BB179_38 Depth=1
	s_wait_alu 0xfffe
	s_or_b32 exec_lo, exec_lo, s1
	global_load_b128 v[5:8], v[45:46], off offset:512
	s_and_saveexec_b32 s1, vcc_lo
	s_cbranch_execnz .LBB179_74
.LBB179_41:                             ;   in Loop: Header=BB179_38 Depth=1
	s_wait_alu 0xfffe
	s_or_b32 exec_lo, exec_lo, s1
	global_load_b128 v[9:12], v[45:46], off offset:1024
	s_and_saveexec_b32 s1, vcc_lo
	s_cbranch_execnz .LBB179_75
.LBB179_42:                             ;   in Loop: Header=BB179_38 Depth=1
	s_wait_alu 0xfffe
	s_or_b32 exec_lo, exec_lo, s1
	global_load_b128 v[13:16], v[45:46], off offset:1536
	s_and_saveexec_b32 s1, vcc_lo
	s_cbranch_execnz .LBB179_76
.LBB179_43:                             ;   in Loop: Header=BB179_38 Depth=1
	s_wait_alu 0xfffe
	s_or_b32 exec_lo, exec_lo, s1
	global_load_b128 v[17:20], v[45:46], off offset:2048
	s_and_saveexec_b32 s1, vcc_lo
	s_cbranch_execnz .LBB179_77
.LBB179_44:                             ;   in Loop: Header=BB179_38 Depth=1
	s_wait_alu 0xfffe
	s_or_b32 exec_lo, exec_lo, s1
	global_load_b128 v[21:24], v[45:46], off offset:2560
	s_and_saveexec_b32 s1, vcc_lo
	s_cbranch_execnz .LBB179_78
.LBB179_45:                             ;   in Loop: Header=BB179_38 Depth=1
	s_wait_alu 0xfffe
	s_or_b32 exec_lo, exec_lo, s1
	global_load_b128 v[25:28], v[45:46], off offset:3072
	s_and_saveexec_b32 s1, vcc_lo
	s_cbranch_execnz .LBB179_79
.LBB179_46:                             ;   in Loop: Header=BB179_38 Depth=1
	s_wait_alu 0xfffe
	s_or_b32 exec_lo, exec_lo, s1
	global_load_b128 v[29:32], v[45:46], off offset:3584
	s_and_saveexec_b32 s1, vcc_lo
	s_cbranch_execnz .LBB179_80
.LBB179_47:                             ;   in Loop: Header=BB179_38 Depth=1
	s_wait_alu 0xfffe
	s_or_b32 exec_lo, exec_lo, s1
	global_load_b128 v[33:36], v[45:46], off offset:4096
	s_and_saveexec_b32 s1, vcc_lo
	s_cbranch_execnz .LBB179_81
.LBB179_48:                             ;   in Loop: Header=BB179_38 Depth=1
	s_wait_alu 0xfffe
	s_or_b32 exec_lo, exec_lo, s1
	global_load_b128 v[37:40], v[45:46], off offset:4608
	s_and_saveexec_b32 s1, vcc_lo
	s_cbranch_execnz .LBB179_82
.LBB179_49:                             ;   in Loop: Header=BB179_38 Depth=1
	s_wait_alu 0xfffe
	s_or_b32 exec_lo, exec_lo, s1
	global_load_b128 v[41:44], v[45:46], off offset:5120
	s_and_saveexec_b32 s1, vcc_lo
	s_cbranch_execnz .LBB179_83
.LBB179_50:                             ;   in Loop: Header=BB179_38 Depth=1
	s_wait_alu 0xfffe
	s_or_b32 exec_lo, exec_lo, s1
	global_load_b128 v[49:52], v[45:46], off offset:5632
	s_and_saveexec_b32 s1, vcc_lo
	s_cbranch_execnz .LBB179_84
.LBB179_51:                             ;   in Loop: Header=BB179_38 Depth=1
	s_wait_alu 0xfffe
	s_or_b32 exec_lo, exec_lo, s1
	global_load_b128 v[53:56], v[45:46], off offset:6144
	s_and_saveexec_b32 s1, vcc_lo
	s_cbranch_execnz .LBB179_85
.LBB179_52:                             ;   in Loop: Header=BB179_38 Depth=1
	s_wait_alu 0xfffe
	s_or_b32 exec_lo, exec_lo, s1
	global_load_b128 v[57:60], v[45:46], off offset:6656
	s_and_saveexec_b32 s1, vcc_lo
	s_cbranch_execnz .LBB179_86
.LBB179_53:                             ;   in Loop: Header=BB179_38 Depth=1
	s_wait_alu 0xfffe
	s_or_b32 exec_lo, exec_lo, s1
	global_load_b128 v[61:64], v[45:46], off offset:7168
	s_and_saveexec_b32 s1, vcc_lo
	s_cbranch_execnz .LBB179_87
.LBB179_54:                             ;   in Loop: Header=BB179_38 Depth=1
	s_wait_alu 0xfffe
	s_or_b32 exec_lo, exec_lo, s1
	global_load_b128 v[65:68], v[45:46], off offset:7680
	s_and_saveexec_b32 s1, vcc_lo
	s_cbranch_execnz .LBB179_88
.LBB179_55:                             ;   in Loop: Header=BB179_38 Depth=1
	s_wait_alu 0xfffe
	s_or_b32 exec_lo, exec_lo, s1
	global_load_b128 v[69:72], v[45:46], off offset:8192
	s_and_saveexec_b32 s1, vcc_lo
	s_cbranch_execnz .LBB179_89
.LBB179_56:                             ;   in Loop: Header=BB179_38 Depth=1
	s_wait_alu 0xfffe
	s_or_b32 exec_lo, exec_lo, s1
	global_load_b128 v[73:76], v[45:46], off offset:8704
	s_and_saveexec_b32 s1, vcc_lo
	s_cbranch_execnz .LBB179_90
.LBB179_57:                             ;   in Loop: Header=BB179_38 Depth=1
	s_wait_alu 0xfffe
	s_or_b32 exec_lo, exec_lo, s1
	global_load_b128 v[77:80], v[45:46], off offset:9216
	s_and_saveexec_b32 s1, vcc_lo
	s_cbranch_execnz .LBB179_91
.LBB179_58:                             ;   in Loop: Header=BB179_38 Depth=1
	s_wait_alu 0xfffe
	s_or_b32 exec_lo, exec_lo, s1
	global_load_b128 v[81:84], v[45:46], off offset:9728
	s_and_saveexec_b32 s1, vcc_lo
	s_cbranch_execnz .LBB179_92
.LBB179_59:                             ;   in Loop: Header=BB179_38 Depth=1
	s_wait_alu 0xfffe
	s_or_b32 exec_lo, exec_lo, s1
	global_load_b128 v[93:96], v[45:46], off offset:10240
	s_and_saveexec_b32 s1, vcc_lo
	s_cbranch_execnz .LBB179_93
.LBB179_60:                             ;   in Loop: Header=BB179_38 Depth=1
	s_wait_alu 0xfffe
	s_or_b32 exec_lo, exec_lo, s1
	global_load_b128 v[97:100], v[45:46], off offset:10752
	s_and_saveexec_b32 s1, vcc_lo
	s_cbranch_execnz .LBB179_94
.LBB179_61:                             ;   in Loop: Header=BB179_38 Depth=1
	s_wait_alu 0xfffe
	s_or_b32 exec_lo, exec_lo, s1
	global_load_b128 v[101:104], v[45:46], off offset:11264
	s_and_saveexec_b32 s1, vcc_lo
	s_cbranch_execnz .LBB179_95
.LBB179_62:                             ;   in Loop: Header=BB179_38 Depth=1
	s_wait_alu 0xfffe
	s_or_b32 exec_lo, exec_lo, s1
	global_load_b128 v[105:108], v[45:46], off offset:11776
	s_and_saveexec_b32 s1, vcc_lo
	s_cbranch_execnz .LBB179_96
.LBB179_63:                             ;   in Loop: Header=BB179_38 Depth=1
	s_wait_alu 0xfffe
	s_or_b32 exec_lo, exec_lo, s1
	global_load_b128 v[109:112], v[45:46], off offset:12288
	s_and_saveexec_b32 s1, vcc_lo
	s_cbranch_execnz .LBB179_97
.LBB179_64:                             ;   in Loop: Header=BB179_38 Depth=1
	s_wait_alu 0xfffe
	s_or_b32 exec_lo, exec_lo, s1
	global_load_b128 v[113:116], v[45:46], off offset:12800
	s_and_saveexec_b32 s1, vcc_lo
	s_cbranch_execnz .LBB179_98
.LBB179_65:                             ;   in Loop: Header=BB179_38 Depth=1
	s_wait_alu 0xfffe
	s_or_b32 exec_lo, exec_lo, s1
	global_load_b128 v[117:120], v[45:46], off offset:13312
	s_and_saveexec_b32 s1, vcc_lo
	s_cbranch_execnz .LBB179_99
.LBB179_66:                             ;   in Loop: Header=BB179_38 Depth=1
	s_wait_alu 0xfffe
	s_or_b32 exec_lo, exec_lo, s1
	global_load_b128 v[121:124], v[45:46], off offset:13824
	s_and_saveexec_b32 s1, vcc_lo
	s_cbranch_execnz .LBB179_100
.LBB179_67:                             ;   in Loop: Header=BB179_38 Depth=1
	s_wait_alu 0xfffe
	s_or_b32 exec_lo, exec_lo, s1
	global_load_b128 v[125:128], v[45:46], off offset:14336
	s_and_saveexec_b32 s1, vcc_lo
	s_cbranch_execnz .LBB179_101
.LBB179_68:                             ;   in Loop: Header=BB179_38 Depth=1
	s_wait_alu 0xfffe
	s_or_b32 exec_lo, exec_lo, s1
	global_load_b128 v[129:132], v[45:46], off offset:14848
	s_and_saveexec_b32 s1, vcc_lo
	s_cbranch_execnz .LBB179_102
.LBB179_69:                             ;   in Loop: Header=BB179_38 Depth=1
	s_wait_alu 0xfffe
	s_or_b32 exec_lo, exec_lo, s1
	global_load_b128 v[133:136], v[45:46], off offset:15360
	s_and_saveexec_b32 s25, vcc_lo
	s_cbranch_execz .LBB179_71
.LBB179_70:                             ;   in Loop: Header=BB179_38 Depth=1
	v_cmp_gt_i32_e64 s0, s7, v186
	v_cmp_gt_i32_e64 s1, s15, v184
	s_wait_loadcnt 0x0
	v_lshrrev_b32_e32 v45, 16, v133
	s_wait_alu 0xf1ff
	v_cndmask_b32_e64 v46, 0, v133, s0
	v_cmp_gt_i32_e64 s0, s15, v183
	s_delay_alu instid0(VALU_DEP_3) | instskip(SKIP_1) | instid1(VALU_DEP_2)
	v_cndmask_b32_e64 v45, 0, v45, s1
	v_cmp_gt_i32_e64 s1, s7, v185
	v_perm_b32 v133, v45, v46, 0x5040100
	v_lshrrev_b32_e32 v46, 16, v134
	s_wait_alu 0xf1ff
	s_delay_alu instid0(VALU_DEP_3) | instskip(SKIP_1) | instid1(VALU_DEP_3)
	v_cndmask_b32_e64 v45, 0, v134, s1
	v_cmp_gt_i32_e64 s1, s7, v182
	v_cndmask_b32_e64 v46, 0, v46, s0
	v_cmp_gt_i32_e64 s0, s15, v140
	s_delay_alu instid0(VALU_DEP_2) | instskip(SKIP_4) | instid1(VALU_DEP_3)
	v_perm_b32 v134, v46, v45, 0x5040100
	v_lshrrev_b32_e32 v46, 16, v135
	s_wait_alu 0xf1ff
	v_cndmask_b32_e64 v45, 0, v135, s1
	v_cmp_gt_i32_e64 s1, s7, v142
	v_cndmask_b32_e64 v46, 0, v46, s0
	v_cmp_gt_i32_e64 s0, s15, v139
	s_delay_alu instid0(VALU_DEP_2) | instskip(SKIP_3) | instid1(VALU_DEP_2)
	v_perm_b32 v135, v46, v45, 0x5040100
	v_lshrrev_b32_e32 v46, 16, v136
	s_wait_alu 0xf1ff
	v_cndmask_b32_e64 v45, 0, v136, s1
	v_cndmask_b32_e64 v46, 0, v46, s0
	s_delay_alu instid0(VALU_DEP_1)
	v_perm_b32 v136, v46, v45, 0x5040100
.LBB179_71:                             ;   in Loop: Header=BB179_38 Depth=1
	s_or_b32 exec_lo, exec_lo, s25
	v_add_co_u32 v45, s0, v47, v181
	s_wait_alu 0xf1ff
	v_add_co_ci_u32_e64 v46, null, 0, v48, s0
	global_load_b128 v[45:48], v[45:46], off
	s_and_saveexec_b32 s0, vcc_lo
	s_cbranch_execz .LBB179_36
; %bb.72:                               ;   in Loop: Header=BB179_38 Depth=1
	v_cmp_gt_i32_e32 vcc_lo, s7, v186
	s_wait_loadcnt 0x0
	v_lshrrev_b32_e32 v187, 16, v45
	v_lshrrev_b32_e32 v186, 16, v46
	s_wait_alu 0xfffd
	v_cndmask_b32_e32 v45, 0, v45, vcc_lo
	v_cmp_gt_i32_e32 vcc_lo, s15, v184
	s_wait_alu 0xfffd
	v_cndmask_b32_e32 v184, 0, v187, vcc_lo
	v_cmp_gt_i32_e32 vcc_lo, s7, v185
	v_lshrrev_b32_e32 v185, 16, v47
	s_delay_alu instid0(VALU_DEP_3)
	v_perm_b32 v45, v184, v45, 0x5040100
	s_wait_alu 0xfffd
	v_cndmask_b32_e32 v46, 0, v46, vcc_lo
	v_cmp_gt_i32_e32 vcc_lo, s15, v183
	s_wait_alu 0xfffd
	v_cndmask_b32_e32 v183, 0, v186, vcc_lo
	v_cmp_gt_i32_e32 vcc_lo, s7, v182
	v_lshrrev_b32_e32 v182, 16, v48
	s_wait_alu 0xfffd
	v_cndmask_b32_e32 v47, 0, v47, vcc_lo
	v_cmp_gt_i32_e32 vcc_lo, s15, v140
	s_wait_alu 0xfffd
	v_cndmask_b32_e32 v140, 0, v185, vcc_lo
	v_cmp_gt_i32_e32 vcc_lo, s7, v142
	v_perm_b32 v46, v183, v46, 0x5040100
	s_delay_alu instid0(VALU_DEP_3)
	v_perm_b32 v47, v140, v47, 0x5040100
	s_wait_alu 0xfffd
	v_cndmask_b32_e32 v48, 0, v48, vcc_lo
	v_cmp_gt_i32_e32 vcc_lo, s15, v139
	s_wait_alu 0xfffd
	v_cndmask_b32_e32 v139, 0, v182, vcc_lo
	s_delay_alu instid0(VALU_DEP_1)
	v_perm_b32 v48, v139, v48, 0x5040100
	s_branch .LBB179_36
.LBB179_73:                             ;   in Loop: Header=BB179_38 Depth=1
	v_cmp_gt_i32_e64 s0, s7, v186
	s_wait_loadcnt 0x0
	v_lshrrev_b32_e32 v5, 16, v1
	v_lshrrev_b32_e32 v6, 16, v2
	;; [unrolled: 1-line block ×4, first 2 shown]
	s_wait_alu 0xf1ff
	v_cndmask_b32_e64 v1, 0, v1, s0
	v_cmp_gt_i32_e64 s0, s15, v184
	s_wait_alu 0xf1ff
	s_delay_alu instid0(VALU_DEP_1) | instskip(SKIP_1) | instid1(VALU_DEP_2)
	v_cndmask_b32_e64 v5, 0, v5, s0
	v_cmp_gt_i32_e64 s0, s7, v185
	v_perm_b32 v1, v5, v1, 0x5040100
	s_wait_alu 0xf1ff
	s_delay_alu instid0(VALU_DEP_2) | instskip(SKIP_2) | instid1(VALU_DEP_1)
	v_cndmask_b32_e64 v2, 0, v2, s0
	v_cmp_gt_i32_e64 s0, s15, v183
	s_wait_alu 0xf1ff
	v_cndmask_b32_e64 v6, 0, v6, s0
	v_cmp_gt_i32_e64 s0, s7, v182
	s_delay_alu instid0(VALU_DEP_2) | instskip(SKIP_1) | instid1(VALU_DEP_2)
	v_perm_b32 v2, v6, v2, 0x5040100
	s_wait_alu 0xf1ff
	v_cndmask_b32_e64 v3, 0, v3, s0
	v_cmp_gt_i32_e64 s0, s15, v140
	s_wait_alu 0xf1ff
	s_delay_alu instid0(VALU_DEP_1) | instskip(SKIP_1) | instid1(VALU_DEP_2)
	v_cndmask_b32_e64 v7, 0, v7, s0
	v_cmp_gt_i32_e64 s0, s7, v142
	v_perm_b32 v3, v7, v3, 0x5040100
	s_wait_alu 0xf1ff
	s_delay_alu instid0(VALU_DEP_2) | instskip(SKIP_2) | instid1(VALU_DEP_1)
	v_cndmask_b32_e64 v4, 0, v4, s0
	v_cmp_gt_i32_e64 s0, s15, v139
	s_wait_alu 0xf1ff
	v_cndmask_b32_e64 v8, 0, v8, s0
	s_delay_alu instid0(VALU_DEP_1)
	v_perm_b32 v4, v8, v4, 0x5040100
	s_wait_alu 0xfffe
	s_or_b32 exec_lo, exec_lo, s1
	global_load_b128 v[5:8], v[45:46], off offset:512
	s_and_saveexec_b32 s1, vcc_lo
	s_cbranch_execz .LBB179_41
.LBB179_74:                             ;   in Loop: Header=BB179_38 Depth=1
	v_cmp_gt_i32_e64 s0, s7, v186
	s_wait_loadcnt 0x0
	v_lshrrev_b32_e32 v9, 16, v5
	v_lshrrev_b32_e32 v10, 16, v6
	;; [unrolled: 1-line block ×4, first 2 shown]
	s_wait_alu 0xf1ff
	v_cndmask_b32_e64 v5, 0, v5, s0
	v_cmp_gt_i32_e64 s0, s15, v184
	s_wait_alu 0xf1ff
	s_delay_alu instid0(VALU_DEP_1) | instskip(SKIP_1) | instid1(VALU_DEP_2)
	v_cndmask_b32_e64 v9, 0, v9, s0
	v_cmp_gt_i32_e64 s0, s7, v185
	v_perm_b32 v5, v9, v5, 0x5040100
	s_wait_alu 0xf1ff
	s_delay_alu instid0(VALU_DEP_2) | instskip(SKIP_2) | instid1(VALU_DEP_1)
	v_cndmask_b32_e64 v6, 0, v6, s0
	v_cmp_gt_i32_e64 s0, s15, v183
	s_wait_alu 0xf1ff
	v_cndmask_b32_e64 v10, 0, v10, s0
	v_cmp_gt_i32_e64 s0, s7, v182
	s_delay_alu instid0(VALU_DEP_2) | instskip(SKIP_1) | instid1(VALU_DEP_2)
	v_perm_b32 v6, v10, v6, 0x5040100
	s_wait_alu 0xf1ff
	v_cndmask_b32_e64 v7, 0, v7, s0
	v_cmp_gt_i32_e64 s0, s15, v140
	s_wait_alu 0xf1ff
	s_delay_alu instid0(VALU_DEP_1) | instskip(SKIP_1) | instid1(VALU_DEP_2)
	v_cndmask_b32_e64 v11, 0, v11, s0
	v_cmp_gt_i32_e64 s0, s7, v142
	v_perm_b32 v7, v11, v7, 0x5040100
	s_wait_alu 0xf1ff
	s_delay_alu instid0(VALU_DEP_2) | instskip(SKIP_2) | instid1(VALU_DEP_1)
	v_cndmask_b32_e64 v8, 0, v8, s0
	v_cmp_gt_i32_e64 s0, s15, v139
	s_wait_alu 0xf1ff
	v_cndmask_b32_e64 v12, 0, v12, s0
	s_delay_alu instid0(VALU_DEP_1)
	v_perm_b32 v8, v12, v8, 0x5040100
	s_wait_alu 0xfffe
	s_or_b32 exec_lo, exec_lo, s1
	global_load_b128 v[9:12], v[45:46], off offset:1024
	s_and_saveexec_b32 s1, vcc_lo
	s_cbranch_execz .LBB179_42
.LBB179_75:                             ;   in Loop: Header=BB179_38 Depth=1
	v_cmp_gt_i32_e64 s0, s7, v186
	s_wait_loadcnt 0x0
	v_lshrrev_b32_e32 v13, 16, v9
	v_lshrrev_b32_e32 v14, 16, v10
	;; [unrolled: 1-line block ×4, first 2 shown]
	s_wait_alu 0xf1ff
	v_cndmask_b32_e64 v9, 0, v9, s0
	v_cmp_gt_i32_e64 s0, s15, v184
	s_wait_alu 0xf1ff
	s_delay_alu instid0(VALU_DEP_1) | instskip(SKIP_1) | instid1(VALU_DEP_2)
	v_cndmask_b32_e64 v13, 0, v13, s0
	v_cmp_gt_i32_e64 s0, s7, v185
	v_perm_b32 v9, v13, v9, 0x5040100
	s_wait_alu 0xf1ff
	s_delay_alu instid0(VALU_DEP_2) | instskip(SKIP_2) | instid1(VALU_DEP_1)
	v_cndmask_b32_e64 v10, 0, v10, s0
	v_cmp_gt_i32_e64 s0, s15, v183
	s_wait_alu 0xf1ff
	v_cndmask_b32_e64 v14, 0, v14, s0
	v_cmp_gt_i32_e64 s0, s7, v182
	s_delay_alu instid0(VALU_DEP_2) | instskip(SKIP_1) | instid1(VALU_DEP_2)
	v_perm_b32 v10, v14, v10, 0x5040100
	s_wait_alu 0xf1ff
	v_cndmask_b32_e64 v11, 0, v11, s0
	v_cmp_gt_i32_e64 s0, s15, v140
	s_wait_alu 0xf1ff
	s_delay_alu instid0(VALU_DEP_1) | instskip(SKIP_1) | instid1(VALU_DEP_2)
	v_cndmask_b32_e64 v15, 0, v15, s0
	v_cmp_gt_i32_e64 s0, s7, v142
	v_perm_b32 v11, v15, v11, 0x5040100
	s_wait_alu 0xf1ff
	s_delay_alu instid0(VALU_DEP_2) | instskip(SKIP_2) | instid1(VALU_DEP_1)
	v_cndmask_b32_e64 v12, 0, v12, s0
	v_cmp_gt_i32_e64 s0, s15, v139
	s_wait_alu 0xf1ff
	v_cndmask_b32_e64 v16, 0, v16, s0
	s_delay_alu instid0(VALU_DEP_1)
	v_perm_b32 v12, v16, v12, 0x5040100
	s_wait_alu 0xfffe
	s_or_b32 exec_lo, exec_lo, s1
	global_load_b128 v[13:16], v[45:46], off offset:1536
	s_and_saveexec_b32 s1, vcc_lo
	s_cbranch_execz .LBB179_43
.LBB179_76:                             ;   in Loop: Header=BB179_38 Depth=1
	v_cmp_gt_i32_e64 s0, s7, v186
	s_wait_loadcnt 0x0
	v_lshrrev_b32_e32 v17, 16, v13
	v_lshrrev_b32_e32 v18, 16, v14
	;; [unrolled: 1-line block ×4, first 2 shown]
	s_wait_alu 0xf1ff
	v_cndmask_b32_e64 v13, 0, v13, s0
	v_cmp_gt_i32_e64 s0, s15, v184
	s_wait_alu 0xf1ff
	s_delay_alu instid0(VALU_DEP_1) | instskip(SKIP_1) | instid1(VALU_DEP_2)
	v_cndmask_b32_e64 v17, 0, v17, s0
	v_cmp_gt_i32_e64 s0, s7, v185
	v_perm_b32 v13, v17, v13, 0x5040100
	s_wait_alu 0xf1ff
	s_delay_alu instid0(VALU_DEP_2) | instskip(SKIP_2) | instid1(VALU_DEP_1)
	v_cndmask_b32_e64 v14, 0, v14, s0
	v_cmp_gt_i32_e64 s0, s15, v183
	s_wait_alu 0xf1ff
	v_cndmask_b32_e64 v18, 0, v18, s0
	v_cmp_gt_i32_e64 s0, s7, v182
	s_delay_alu instid0(VALU_DEP_2) | instskip(SKIP_1) | instid1(VALU_DEP_2)
	v_perm_b32 v14, v18, v14, 0x5040100
	s_wait_alu 0xf1ff
	v_cndmask_b32_e64 v15, 0, v15, s0
	v_cmp_gt_i32_e64 s0, s15, v140
	s_wait_alu 0xf1ff
	s_delay_alu instid0(VALU_DEP_1) | instskip(SKIP_1) | instid1(VALU_DEP_2)
	v_cndmask_b32_e64 v19, 0, v19, s0
	v_cmp_gt_i32_e64 s0, s7, v142
	v_perm_b32 v15, v19, v15, 0x5040100
	s_wait_alu 0xf1ff
	s_delay_alu instid0(VALU_DEP_2) | instskip(SKIP_2) | instid1(VALU_DEP_1)
	v_cndmask_b32_e64 v16, 0, v16, s0
	v_cmp_gt_i32_e64 s0, s15, v139
	s_wait_alu 0xf1ff
	v_cndmask_b32_e64 v20, 0, v20, s0
	s_delay_alu instid0(VALU_DEP_1)
	v_perm_b32 v16, v20, v16, 0x5040100
	s_wait_alu 0xfffe
	s_or_b32 exec_lo, exec_lo, s1
	global_load_b128 v[17:20], v[45:46], off offset:2048
	s_and_saveexec_b32 s1, vcc_lo
	s_cbranch_execz .LBB179_44
.LBB179_77:                             ;   in Loop: Header=BB179_38 Depth=1
	v_cmp_gt_i32_e64 s0, s7, v186
	s_wait_loadcnt 0x0
	v_lshrrev_b32_e32 v21, 16, v17
	v_lshrrev_b32_e32 v22, 16, v18
	;; [unrolled: 1-line block ×4, first 2 shown]
	s_wait_alu 0xf1ff
	v_cndmask_b32_e64 v17, 0, v17, s0
	v_cmp_gt_i32_e64 s0, s15, v184
	s_wait_alu 0xf1ff
	s_delay_alu instid0(VALU_DEP_1) | instskip(SKIP_1) | instid1(VALU_DEP_2)
	v_cndmask_b32_e64 v21, 0, v21, s0
	v_cmp_gt_i32_e64 s0, s7, v185
	v_perm_b32 v17, v21, v17, 0x5040100
	s_wait_alu 0xf1ff
	s_delay_alu instid0(VALU_DEP_2) | instskip(SKIP_2) | instid1(VALU_DEP_1)
	v_cndmask_b32_e64 v18, 0, v18, s0
	v_cmp_gt_i32_e64 s0, s15, v183
	s_wait_alu 0xf1ff
	v_cndmask_b32_e64 v22, 0, v22, s0
	v_cmp_gt_i32_e64 s0, s7, v182
	s_delay_alu instid0(VALU_DEP_2) | instskip(SKIP_1) | instid1(VALU_DEP_2)
	v_perm_b32 v18, v22, v18, 0x5040100
	s_wait_alu 0xf1ff
	v_cndmask_b32_e64 v19, 0, v19, s0
	v_cmp_gt_i32_e64 s0, s15, v140
	s_wait_alu 0xf1ff
	s_delay_alu instid0(VALU_DEP_1) | instskip(SKIP_1) | instid1(VALU_DEP_2)
	v_cndmask_b32_e64 v23, 0, v23, s0
	v_cmp_gt_i32_e64 s0, s7, v142
	v_perm_b32 v19, v23, v19, 0x5040100
	s_wait_alu 0xf1ff
	s_delay_alu instid0(VALU_DEP_2) | instskip(SKIP_2) | instid1(VALU_DEP_1)
	v_cndmask_b32_e64 v20, 0, v20, s0
	v_cmp_gt_i32_e64 s0, s15, v139
	s_wait_alu 0xf1ff
	v_cndmask_b32_e64 v24, 0, v24, s0
	s_delay_alu instid0(VALU_DEP_1)
	v_perm_b32 v20, v24, v20, 0x5040100
	s_wait_alu 0xfffe
	s_or_b32 exec_lo, exec_lo, s1
	global_load_b128 v[21:24], v[45:46], off offset:2560
	s_and_saveexec_b32 s1, vcc_lo
	s_cbranch_execz .LBB179_45
.LBB179_78:                             ;   in Loop: Header=BB179_38 Depth=1
	v_cmp_gt_i32_e64 s0, s7, v186
	s_wait_loadcnt 0x0
	v_lshrrev_b32_e32 v25, 16, v21
	v_lshrrev_b32_e32 v26, 16, v22
	;; [unrolled: 1-line block ×4, first 2 shown]
	s_wait_alu 0xf1ff
	v_cndmask_b32_e64 v21, 0, v21, s0
	v_cmp_gt_i32_e64 s0, s15, v184
	s_wait_alu 0xf1ff
	s_delay_alu instid0(VALU_DEP_1) | instskip(SKIP_1) | instid1(VALU_DEP_2)
	v_cndmask_b32_e64 v25, 0, v25, s0
	v_cmp_gt_i32_e64 s0, s7, v185
	v_perm_b32 v21, v25, v21, 0x5040100
	s_wait_alu 0xf1ff
	s_delay_alu instid0(VALU_DEP_2) | instskip(SKIP_2) | instid1(VALU_DEP_1)
	v_cndmask_b32_e64 v22, 0, v22, s0
	v_cmp_gt_i32_e64 s0, s15, v183
	s_wait_alu 0xf1ff
	v_cndmask_b32_e64 v26, 0, v26, s0
	v_cmp_gt_i32_e64 s0, s7, v182
	s_delay_alu instid0(VALU_DEP_2) | instskip(SKIP_1) | instid1(VALU_DEP_2)
	v_perm_b32 v22, v26, v22, 0x5040100
	s_wait_alu 0xf1ff
	v_cndmask_b32_e64 v23, 0, v23, s0
	v_cmp_gt_i32_e64 s0, s15, v140
	s_wait_alu 0xf1ff
	s_delay_alu instid0(VALU_DEP_1) | instskip(SKIP_1) | instid1(VALU_DEP_2)
	v_cndmask_b32_e64 v27, 0, v27, s0
	v_cmp_gt_i32_e64 s0, s7, v142
	v_perm_b32 v23, v27, v23, 0x5040100
	s_wait_alu 0xf1ff
	s_delay_alu instid0(VALU_DEP_2) | instskip(SKIP_2) | instid1(VALU_DEP_1)
	v_cndmask_b32_e64 v24, 0, v24, s0
	v_cmp_gt_i32_e64 s0, s15, v139
	s_wait_alu 0xf1ff
	v_cndmask_b32_e64 v28, 0, v28, s0
	s_delay_alu instid0(VALU_DEP_1)
	v_perm_b32 v24, v28, v24, 0x5040100
	s_wait_alu 0xfffe
	s_or_b32 exec_lo, exec_lo, s1
	global_load_b128 v[25:28], v[45:46], off offset:3072
	s_and_saveexec_b32 s1, vcc_lo
	s_cbranch_execz .LBB179_46
.LBB179_79:                             ;   in Loop: Header=BB179_38 Depth=1
	v_cmp_gt_i32_e64 s0, s7, v186
	s_wait_loadcnt 0x0
	v_lshrrev_b32_e32 v29, 16, v25
	v_lshrrev_b32_e32 v30, 16, v26
	;; [unrolled: 1-line block ×4, first 2 shown]
	s_wait_alu 0xf1ff
	v_cndmask_b32_e64 v25, 0, v25, s0
	v_cmp_gt_i32_e64 s0, s15, v184
	s_wait_alu 0xf1ff
	s_delay_alu instid0(VALU_DEP_1) | instskip(SKIP_1) | instid1(VALU_DEP_2)
	v_cndmask_b32_e64 v29, 0, v29, s0
	v_cmp_gt_i32_e64 s0, s7, v185
	v_perm_b32 v25, v29, v25, 0x5040100
	s_wait_alu 0xf1ff
	s_delay_alu instid0(VALU_DEP_2) | instskip(SKIP_2) | instid1(VALU_DEP_1)
	v_cndmask_b32_e64 v26, 0, v26, s0
	v_cmp_gt_i32_e64 s0, s15, v183
	s_wait_alu 0xf1ff
	v_cndmask_b32_e64 v30, 0, v30, s0
	v_cmp_gt_i32_e64 s0, s7, v182
	s_delay_alu instid0(VALU_DEP_2) | instskip(SKIP_1) | instid1(VALU_DEP_2)
	v_perm_b32 v26, v30, v26, 0x5040100
	s_wait_alu 0xf1ff
	v_cndmask_b32_e64 v27, 0, v27, s0
	v_cmp_gt_i32_e64 s0, s15, v140
	s_wait_alu 0xf1ff
	s_delay_alu instid0(VALU_DEP_1) | instskip(SKIP_1) | instid1(VALU_DEP_2)
	v_cndmask_b32_e64 v31, 0, v31, s0
	v_cmp_gt_i32_e64 s0, s7, v142
	v_perm_b32 v27, v31, v27, 0x5040100
	s_wait_alu 0xf1ff
	s_delay_alu instid0(VALU_DEP_2) | instskip(SKIP_2) | instid1(VALU_DEP_1)
	v_cndmask_b32_e64 v28, 0, v28, s0
	v_cmp_gt_i32_e64 s0, s15, v139
	s_wait_alu 0xf1ff
	v_cndmask_b32_e64 v32, 0, v32, s0
	s_delay_alu instid0(VALU_DEP_1)
	v_perm_b32 v28, v32, v28, 0x5040100
	s_wait_alu 0xfffe
	s_or_b32 exec_lo, exec_lo, s1
	global_load_b128 v[29:32], v[45:46], off offset:3584
	s_and_saveexec_b32 s1, vcc_lo
	s_cbranch_execz .LBB179_47
.LBB179_80:                             ;   in Loop: Header=BB179_38 Depth=1
	v_cmp_gt_i32_e64 s0, s7, v186
	s_wait_loadcnt 0x0
	v_lshrrev_b32_e32 v33, 16, v29
	v_lshrrev_b32_e32 v34, 16, v30
	;; [unrolled: 1-line block ×4, first 2 shown]
	s_wait_alu 0xf1ff
	v_cndmask_b32_e64 v29, 0, v29, s0
	v_cmp_gt_i32_e64 s0, s15, v184
	s_wait_alu 0xf1ff
	s_delay_alu instid0(VALU_DEP_1) | instskip(SKIP_1) | instid1(VALU_DEP_2)
	v_cndmask_b32_e64 v33, 0, v33, s0
	v_cmp_gt_i32_e64 s0, s7, v185
	v_perm_b32 v29, v33, v29, 0x5040100
	s_wait_alu 0xf1ff
	s_delay_alu instid0(VALU_DEP_2) | instskip(SKIP_2) | instid1(VALU_DEP_1)
	v_cndmask_b32_e64 v30, 0, v30, s0
	v_cmp_gt_i32_e64 s0, s15, v183
	s_wait_alu 0xf1ff
	v_cndmask_b32_e64 v34, 0, v34, s0
	v_cmp_gt_i32_e64 s0, s7, v182
	s_delay_alu instid0(VALU_DEP_2) | instskip(SKIP_1) | instid1(VALU_DEP_2)
	v_perm_b32 v30, v34, v30, 0x5040100
	s_wait_alu 0xf1ff
	v_cndmask_b32_e64 v31, 0, v31, s0
	v_cmp_gt_i32_e64 s0, s15, v140
	s_wait_alu 0xf1ff
	s_delay_alu instid0(VALU_DEP_1) | instskip(SKIP_1) | instid1(VALU_DEP_2)
	v_cndmask_b32_e64 v35, 0, v35, s0
	v_cmp_gt_i32_e64 s0, s7, v142
	v_perm_b32 v31, v35, v31, 0x5040100
	s_wait_alu 0xf1ff
	s_delay_alu instid0(VALU_DEP_2) | instskip(SKIP_2) | instid1(VALU_DEP_1)
	v_cndmask_b32_e64 v32, 0, v32, s0
	v_cmp_gt_i32_e64 s0, s15, v139
	s_wait_alu 0xf1ff
	v_cndmask_b32_e64 v36, 0, v36, s0
	s_delay_alu instid0(VALU_DEP_1)
	v_perm_b32 v32, v36, v32, 0x5040100
	s_wait_alu 0xfffe
	s_or_b32 exec_lo, exec_lo, s1
	global_load_b128 v[33:36], v[45:46], off offset:4096
	s_and_saveexec_b32 s1, vcc_lo
	s_cbranch_execz .LBB179_48
.LBB179_81:                             ;   in Loop: Header=BB179_38 Depth=1
	v_cmp_gt_i32_e64 s0, s7, v186
	s_wait_loadcnt 0x0
	v_lshrrev_b32_e32 v37, 16, v33
	v_lshrrev_b32_e32 v38, 16, v34
	;; [unrolled: 1-line block ×4, first 2 shown]
	s_wait_alu 0xf1ff
	v_cndmask_b32_e64 v33, 0, v33, s0
	v_cmp_gt_i32_e64 s0, s15, v184
	s_wait_alu 0xf1ff
	s_delay_alu instid0(VALU_DEP_1) | instskip(SKIP_1) | instid1(VALU_DEP_2)
	v_cndmask_b32_e64 v37, 0, v37, s0
	v_cmp_gt_i32_e64 s0, s7, v185
	v_perm_b32 v33, v37, v33, 0x5040100
	s_wait_alu 0xf1ff
	s_delay_alu instid0(VALU_DEP_2) | instskip(SKIP_2) | instid1(VALU_DEP_1)
	v_cndmask_b32_e64 v34, 0, v34, s0
	v_cmp_gt_i32_e64 s0, s15, v183
	s_wait_alu 0xf1ff
	v_cndmask_b32_e64 v38, 0, v38, s0
	v_cmp_gt_i32_e64 s0, s7, v182
	s_delay_alu instid0(VALU_DEP_2) | instskip(SKIP_1) | instid1(VALU_DEP_2)
	v_perm_b32 v34, v38, v34, 0x5040100
	s_wait_alu 0xf1ff
	v_cndmask_b32_e64 v35, 0, v35, s0
	v_cmp_gt_i32_e64 s0, s15, v140
	s_wait_alu 0xf1ff
	s_delay_alu instid0(VALU_DEP_1) | instskip(SKIP_1) | instid1(VALU_DEP_2)
	v_cndmask_b32_e64 v39, 0, v39, s0
	v_cmp_gt_i32_e64 s0, s7, v142
	v_perm_b32 v35, v39, v35, 0x5040100
	s_wait_alu 0xf1ff
	s_delay_alu instid0(VALU_DEP_2) | instskip(SKIP_2) | instid1(VALU_DEP_1)
	v_cndmask_b32_e64 v36, 0, v36, s0
	v_cmp_gt_i32_e64 s0, s15, v139
	s_wait_alu 0xf1ff
	v_cndmask_b32_e64 v40, 0, v40, s0
	s_delay_alu instid0(VALU_DEP_1)
	v_perm_b32 v36, v40, v36, 0x5040100
	s_wait_alu 0xfffe
	s_or_b32 exec_lo, exec_lo, s1
	global_load_b128 v[37:40], v[45:46], off offset:4608
	s_and_saveexec_b32 s1, vcc_lo
	s_cbranch_execz .LBB179_49
.LBB179_82:                             ;   in Loop: Header=BB179_38 Depth=1
	v_cmp_gt_i32_e64 s0, s7, v186
	s_wait_loadcnt 0x0
	v_lshrrev_b32_e32 v41, 16, v37
	v_lshrrev_b32_e32 v42, 16, v38
	;; [unrolled: 1-line block ×4, first 2 shown]
	s_wait_alu 0xf1ff
	v_cndmask_b32_e64 v37, 0, v37, s0
	v_cmp_gt_i32_e64 s0, s15, v184
	s_wait_alu 0xf1ff
	s_delay_alu instid0(VALU_DEP_1) | instskip(SKIP_1) | instid1(VALU_DEP_2)
	v_cndmask_b32_e64 v41, 0, v41, s0
	v_cmp_gt_i32_e64 s0, s7, v185
	v_perm_b32 v37, v41, v37, 0x5040100
	s_wait_alu 0xf1ff
	s_delay_alu instid0(VALU_DEP_2) | instskip(SKIP_2) | instid1(VALU_DEP_1)
	v_cndmask_b32_e64 v38, 0, v38, s0
	v_cmp_gt_i32_e64 s0, s15, v183
	s_wait_alu 0xf1ff
	v_cndmask_b32_e64 v42, 0, v42, s0
	v_cmp_gt_i32_e64 s0, s7, v182
	s_delay_alu instid0(VALU_DEP_2) | instskip(SKIP_1) | instid1(VALU_DEP_2)
	v_perm_b32 v38, v42, v38, 0x5040100
	s_wait_alu 0xf1ff
	v_cndmask_b32_e64 v39, 0, v39, s0
	v_cmp_gt_i32_e64 s0, s15, v140
	s_wait_alu 0xf1ff
	s_delay_alu instid0(VALU_DEP_1) | instskip(SKIP_1) | instid1(VALU_DEP_2)
	v_cndmask_b32_e64 v43, 0, v43, s0
	v_cmp_gt_i32_e64 s0, s7, v142
	v_perm_b32 v39, v43, v39, 0x5040100
	s_wait_alu 0xf1ff
	s_delay_alu instid0(VALU_DEP_2) | instskip(SKIP_2) | instid1(VALU_DEP_1)
	v_cndmask_b32_e64 v40, 0, v40, s0
	v_cmp_gt_i32_e64 s0, s15, v139
	s_wait_alu 0xf1ff
	v_cndmask_b32_e64 v44, 0, v44, s0
	s_delay_alu instid0(VALU_DEP_1)
	v_perm_b32 v40, v44, v40, 0x5040100
	s_wait_alu 0xfffe
	s_or_b32 exec_lo, exec_lo, s1
	global_load_b128 v[41:44], v[45:46], off offset:5120
	s_and_saveexec_b32 s1, vcc_lo
	s_cbranch_execz .LBB179_50
.LBB179_83:                             ;   in Loop: Header=BB179_38 Depth=1
	v_cmp_gt_i32_e64 s0, s7, v186
	s_wait_loadcnt 0x0
	v_lshrrev_b32_e32 v49, 16, v41
	v_lshrrev_b32_e32 v50, 16, v42
	;; [unrolled: 1-line block ×4, first 2 shown]
	s_wait_alu 0xf1ff
	v_cndmask_b32_e64 v41, 0, v41, s0
	v_cmp_gt_i32_e64 s0, s15, v184
	s_wait_alu 0xf1ff
	s_delay_alu instid0(VALU_DEP_1) | instskip(SKIP_1) | instid1(VALU_DEP_2)
	v_cndmask_b32_e64 v49, 0, v49, s0
	v_cmp_gt_i32_e64 s0, s7, v185
	v_perm_b32 v41, v49, v41, 0x5040100
	s_wait_alu 0xf1ff
	s_delay_alu instid0(VALU_DEP_2) | instskip(SKIP_2) | instid1(VALU_DEP_1)
	v_cndmask_b32_e64 v42, 0, v42, s0
	v_cmp_gt_i32_e64 s0, s15, v183
	s_wait_alu 0xf1ff
	v_cndmask_b32_e64 v50, 0, v50, s0
	v_cmp_gt_i32_e64 s0, s7, v182
	s_delay_alu instid0(VALU_DEP_2) | instskip(SKIP_1) | instid1(VALU_DEP_2)
	v_perm_b32 v42, v50, v42, 0x5040100
	s_wait_alu 0xf1ff
	v_cndmask_b32_e64 v43, 0, v43, s0
	v_cmp_gt_i32_e64 s0, s15, v140
	s_wait_alu 0xf1ff
	s_delay_alu instid0(VALU_DEP_1) | instskip(SKIP_1) | instid1(VALU_DEP_2)
	v_cndmask_b32_e64 v51, 0, v51, s0
	v_cmp_gt_i32_e64 s0, s7, v142
	v_perm_b32 v43, v51, v43, 0x5040100
	s_wait_alu 0xf1ff
	s_delay_alu instid0(VALU_DEP_2) | instskip(SKIP_2) | instid1(VALU_DEP_1)
	v_cndmask_b32_e64 v44, 0, v44, s0
	v_cmp_gt_i32_e64 s0, s15, v139
	s_wait_alu 0xf1ff
	v_cndmask_b32_e64 v52, 0, v52, s0
	s_delay_alu instid0(VALU_DEP_1)
	v_perm_b32 v44, v52, v44, 0x5040100
	s_wait_alu 0xfffe
	s_or_b32 exec_lo, exec_lo, s1
	global_load_b128 v[49:52], v[45:46], off offset:5632
	s_and_saveexec_b32 s1, vcc_lo
	s_cbranch_execz .LBB179_51
.LBB179_84:                             ;   in Loop: Header=BB179_38 Depth=1
	v_cmp_gt_i32_e64 s0, s7, v186
	s_wait_loadcnt 0x0
	v_lshrrev_b32_e32 v53, 16, v49
	v_lshrrev_b32_e32 v54, 16, v50
	;; [unrolled: 1-line block ×4, first 2 shown]
	s_wait_alu 0xf1ff
	v_cndmask_b32_e64 v49, 0, v49, s0
	v_cmp_gt_i32_e64 s0, s15, v184
	s_wait_alu 0xf1ff
	s_delay_alu instid0(VALU_DEP_1) | instskip(SKIP_1) | instid1(VALU_DEP_2)
	v_cndmask_b32_e64 v53, 0, v53, s0
	v_cmp_gt_i32_e64 s0, s7, v185
	v_perm_b32 v49, v53, v49, 0x5040100
	s_wait_alu 0xf1ff
	s_delay_alu instid0(VALU_DEP_2) | instskip(SKIP_2) | instid1(VALU_DEP_1)
	v_cndmask_b32_e64 v50, 0, v50, s0
	v_cmp_gt_i32_e64 s0, s15, v183
	s_wait_alu 0xf1ff
	v_cndmask_b32_e64 v54, 0, v54, s0
	v_cmp_gt_i32_e64 s0, s7, v182
	s_delay_alu instid0(VALU_DEP_2) | instskip(SKIP_1) | instid1(VALU_DEP_2)
	v_perm_b32 v50, v54, v50, 0x5040100
	s_wait_alu 0xf1ff
	v_cndmask_b32_e64 v51, 0, v51, s0
	v_cmp_gt_i32_e64 s0, s15, v140
	s_wait_alu 0xf1ff
	s_delay_alu instid0(VALU_DEP_1) | instskip(SKIP_1) | instid1(VALU_DEP_2)
	v_cndmask_b32_e64 v55, 0, v55, s0
	v_cmp_gt_i32_e64 s0, s7, v142
	v_perm_b32 v51, v55, v51, 0x5040100
	s_wait_alu 0xf1ff
	s_delay_alu instid0(VALU_DEP_2) | instskip(SKIP_2) | instid1(VALU_DEP_1)
	v_cndmask_b32_e64 v52, 0, v52, s0
	v_cmp_gt_i32_e64 s0, s15, v139
	s_wait_alu 0xf1ff
	v_cndmask_b32_e64 v56, 0, v56, s0
	s_delay_alu instid0(VALU_DEP_1)
	v_perm_b32 v52, v56, v52, 0x5040100
	s_wait_alu 0xfffe
	s_or_b32 exec_lo, exec_lo, s1
	global_load_b128 v[53:56], v[45:46], off offset:6144
	s_and_saveexec_b32 s1, vcc_lo
	s_cbranch_execz .LBB179_52
.LBB179_85:                             ;   in Loop: Header=BB179_38 Depth=1
	v_cmp_gt_i32_e64 s0, s7, v186
	s_wait_loadcnt 0x0
	v_lshrrev_b32_e32 v57, 16, v53
	v_lshrrev_b32_e32 v58, 16, v54
	;; [unrolled: 1-line block ×4, first 2 shown]
	s_wait_alu 0xf1ff
	v_cndmask_b32_e64 v53, 0, v53, s0
	v_cmp_gt_i32_e64 s0, s15, v184
	s_wait_alu 0xf1ff
	s_delay_alu instid0(VALU_DEP_1) | instskip(SKIP_1) | instid1(VALU_DEP_2)
	v_cndmask_b32_e64 v57, 0, v57, s0
	v_cmp_gt_i32_e64 s0, s7, v185
	v_perm_b32 v53, v57, v53, 0x5040100
	s_wait_alu 0xf1ff
	s_delay_alu instid0(VALU_DEP_2) | instskip(SKIP_2) | instid1(VALU_DEP_1)
	v_cndmask_b32_e64 v54, 0, v54, s0
	v_cmp_gt_i32_e64 s0, s15, v183
	s_wait_alu 0xf1ff
	v_cndmask_b32_e64 v58, 0, v58, s0
	v_cmp_gt_i32_e64 s0, s7, v182
	s_delay_alu instid0(VALU_DEP_2) | instskip(SKIP_1) | instid1(VALU_DEP_2)
	v_perm_b32 v54, v58, v54, 0x5040100
	s_wait_alu 0xf1ff
	v_cndmask_b32_e64 v55, 0, v55, s0
	v_cmp_gt_i32_e64 s0, s15, v140
	s_wait_alu 0xf1ff
	s_delay_alu instid0(VALU_DEP_1) | instskip(SKIP_1) | instid1(VALU_DEP_2)
	v_cndmask_b32_e64 v59, 0, v59, s0
	v_cmp_gt_i32_e64 s0, s7, v142
	v_perm_b32 v55, v59, v55, 0x5040100
	s_wait_alu 0xf1ff
	s_delay_alu instid0(VALU_DEP_2) | instskip(SKIP_2) | instid1(VALU_DEP_1)
	v_cndmask_b32_e64 v56, 0, v56, s0
	v_cmp_gt_i32_e64 s0, s15, v139
	s_wait_alu 0xf1ff
	v_cndmask_b32_e64 v60, 0, v60, s0
	s_delay_alu instid0(VALU_DEP_1)
	v_perm_b32 v56, v60, v56, 0x5040100
	s_wait_alu 0xfffe
	s_or_b32 exec_lo, exec_lo, s1
	global_load_b128 v[57:60], v[45:46], off offset:6656
	s_and_saveexec_b32 s1, vcc_lo
	s_cbranch_execz .LBB179_53
.LBB179_86:                             ;   in Loop: Header=BB179_38 Depth=1
	v_cmp_gt_i32_e64 s0, s7, v186
	s_wait_loadcnt 0x0
	v_lshrrev_b32_e32 v61, 16, v57
	v_lshrrev_b32_e32 v62, 16, v58
	;; [unrolled: 1-line block ×4, first 2 shown]
	s_wait_alu 0xf1ff
	v_cndmask_b32_e64 v57, 0, v57, s0
	v_cmp_gt_i32_e64 s0, s15, v184
	s_wait_alu 0xf1ff
	s_delay_alu instid0(VALU_DEP_1) | instskip(SKIP_1) | instid1(VALU_DEP_2)
	v_cndmask_b32_e64 v61, 0, v61, s0
	v_cmp_gt_i32_e64 s0, s7, v185
	v_perm_b32 v57, v61, v57, 0x5040100
	s_wait_alu 0xf1ff
	s_delay_alu instid0(VALU_DEP_2) | instskip(SKIP_2) | instid1(VALU_DEP_1)
	v_cndmask_b32_e64 v58, 0, v58, s0
	v_cmp_gt_i32_e64 s0, s15, v183
	s_wait_alu 0xf1ff
	v_cndmask_b32_e64 v62, 0, v62, s0
	v_cmp_gt_i32_e64 s0, s7, v182
	s_delay_alu instid0(VALU_DEP_2) | instskip(SKIP_1) | instid1(VALU_DEP_2)
	v_perm_b32 v58, v62, v58, 0x5040100
	s_wait_alu 0xf1ff
	v_cndmask_b32_e64 v59, 0, v59, s0
	v_cmp_gt_i32_e64 s0, s15, v140
	s_wait_alu 0xf1ff
	s_delay_alu instid0(VALU_DEP_1) | instskip(SKIP_1) | instid1(VALU_DEP_2)
	v_cndmask_b32_e64 v63, 0, v63, s0
	v_cmp_gt_i32_e64 s0, s7, v142
	v_perm_b32 v59, v63, v59, 0x5040100
	s_wait_alu 0xf1ff
	s_delay_alu instid0(VALU_DEP_2) | instskip(SKIP_2) | instid1(VALU_DEP_1)
	v_cndmask_b32_e64 v60, 0, v60, s0
	v_cmp_gt_i32_e64 s0, s15, v139
	s_wait_alu 0xf1ff
	v_cndmask_b32_e64 v64, 0, v64, s0
	s_delay_alu instid0(VALU_DEP_1)
	v_perm_b32 v60, v64, v60, 0x5040100
	s_wait_alu 0xfffe
	s_or_b32 exec_lo, exec_lo, s1
	global_load_b128 v[61:64], v[45:46], off offset:7168
	s_and_saveexec_b32 s1, vcc_lo
	s_cbranch_execz .LBB179_54
.LBB179_87:                             ;   in Loop: Header=BB179_38 Depth=1
	v_cmp_gt_i32_e64 s0, s7, v186
	s_wait_loadcnt 0x0
	v_lshrrev_b32_e32 v65, 16, v61
	v_lshrrev_b32_e32 v66, 16, v62
	;; [unrolled: 1-line block ×4, first 2 shown]
	s_wait_alu 0xf1ff
	v_cndmask_b32_e64 v61, 0, v61, s0
	v_cmp_gt_i32_e64 s0, s15, v184
	s_wait_alu 0xf1ff
	s_delay_alu instid0(VALU_DEP_1) | instskip(SKIP_1) | instid1(VALU_DEP_2)
	v_cndmask_b32_e64 v65, 0, v65, s0
	v_cmp_gt_i32_e64 s0, s7, v185
	v_perm_b32 v61, v65, v61, 0x5040100
	s_wait_alu 0xf1ff
	s_delay_alu instid0(VALU_DEP_2) | instskip(SKIP_2) | instid1(VALU_DEP_1)
	v_cndmask_b32_e64 v62, 0, v62, s0
	v_cmp_gt_i32_e64 s0, s15, v183
	s_wait_alu 0xf1ff
	v_cndmask_b32_e64 v66, 0, v66, s0
	v_cmp_gt_i32_e64 s0, s7, v182
	s_delay_alu instid0(VALU_DEP_2) | instskip(SKIP_1) | instid1(VALU_DEP_2)
	v_perm_b32 v62, v66, v62, 0x5040100
	s_wait_alu 0xf1ff
	v_cndmask_b32_e64 v63, 0, v63, s0
	v_cmp_gt_i32_e64 s0, s15, v140
	s_wait_alu 0xf1ff
	s_delay_alu instid0(VALU_DEP_1) | instskip(SKIP_1) | instid1(VALU_DEP_2)
	v_cndmask_b32_e64 v67, 0, v67, s0
	v_cmp_gt_i32_e64 s0, s7, v142
	v_perm_b32 v63, v67, v63, 0x5040100
	s_wait_alu 0xf1ff
	s_delay_alu instid0(VALU_DEP_2) | instskip(SKIP_2) | instid1(VALU_DEP_1)
	v_cndmask_b32_e64 v64, 0, v64, s0
	v_cmp_gt_i32_e64 s0, s15, v139
	s_wait_alu 0xf1ff
	v_cndmask_b32_e64 v68, 0, v68, s0
	s_delay_alu instid0(VALU_DEP_1)
	v_perm_b32 v64, v68, v64, 0x5040100
	s_wait_alu 0xfffe
	s_or_b32 exec_lo, exec_lo, s1
	global_load_b128 v[65:68], v[45:46], off offset:7680
	s_and_saveexec_b32 s1, vcc_lo
	s_cbranch_execz .LBB179_55
.LBB179_88:                             ;   in Loop: Header=BB179_38 Depth=1
	v_cmp_gt_i32_e64 s0, s7, v186
	s_wait_loadcnt 0x0
	v_lshrrev_b32_e32 v69, 16, v65
	v_lshrrev_b32_e32 v70, 16, v66
	;; [unrolled: 1-line block ×4, first 2 shown]
	s_wait_alu 0xf1ff
	v_cndmask_b32_e64 v65, 0, v65, s0
	v_cmp_gt_i32_e64 s0, s15, v184
	s_wait_alu 0xf1ff
	s_delay_alu instid0(VALU_DEP_1) | instskip(SKIP_1) | instid1(VALU_DEP_2)
	v_cndmask_b32_e64 v69, 0, v69, s0
	v_cmp_gt_i32_e64 s0, s7, v185
	v_perm_b32 v65, v69, v65, 0x5040100
	s_wait_alu 0xf1ff
	s_delay_alu instid0(VALU_DEP_2) | instskip(SKIP_2) | instid1(VALU_DEP_1)
	v_cndmask_b32_e64 v66, 0, v66, s0
	v_cmp_gt_i32_e64 s0, s15, v183
	s_wait_alu 0xf1ff
	v_cndmask_b32_e64 v70, 0, v70, s0
	v_cmp_gt_i32_e64 s0, s7, v182
	s_delay_alu instid0(VALU_DEP_2) | instskip(SKIP_1) | instid1(VALU_DEP_2)
	v_perm_b32 v66, v70, v66, 0x5040100
	s_wait_alu 0xf1ff
	v_cndmask_b32_e64 v67, 0, v67, s0
	v_cmp_gt_i32_e64 s0, s15, v140
	s_wait_alu 0xf1ff
	s_delay_alu instid0(VALU_DEP_1) | instskip(SKIP_1) | instid1(VALU_DEP_2)
	v_cndmask_b32_e64 v71, 0, v71, s0
	v_cmp_gt_i32_e64 s0, s7, v142
	v_perm_b32 v67, v71, v67, 0x5040100
	s_wait_alu 0xf1ff
	s_delay_alu instid0(VALU_DEP_2) | instskip(SKIP_2) | instid1(VALU_DEP_1)
	v_cndmask_b32_e64 v68, 0, v68, s0
	v_cmp_gt_i32_e64 s0, s15, v139
	s_wait_alu 0xf1ff
	v_cndmask_b32_e64 v72, 0, v72, s0
	s_delay_alu instid0(VALU_DEP_1)
	v_perm_b32 v68, v72, v68, 0x5040100
	s_wait_alu 0xfffe
	s_or_b32 exec_lo, exec_lo, s1
	global_load_b128 v[69:72], v[45:46], off offset:8192
	s_and_saveexec_b32 s1, vcc_lo
	s_cbranch_execz .LBB179_56
.LBB179_89:                             ;   in Loop: Header=BB179_38 Depth=1
	v_cmp_gt_i32_e64 s0, s7, v186
	s_wait_loadcnt 0x0
	v_lshrrev_b32_e32 v73, 16, v69
	v_lshrrev_b32_e32 v74, 16, v70
	;; [unrolled: 1-line block ×4, first 2 shown]
	s_wait_alu 0xf1ff
	v_cndmask_b32_e64 v69, 0, v69, s0
	v_cmp_gt_i32_e64 s0, s15, v184
	s_wait_alu 0xf1ff
	s_delay_alu instid0(VALU_DEP_1) | instskip(SKIP_1) | instid1(VALU_DEP_2)
	v_cndmask_b32_e64 v73, 0, v73, s0
	v_cmp_gt_i32_e64 s0, s7, v185
	v_perm_b32 v69, v73, v69, 0x5040100
	s_wait_alu 0xf1ff
	s_delay_alu instid0(VALU_DEP_2) | instskip(SKIP_2) | instid1(VALU_DEP_1)
	v_cndmask_b32_e64 v70, 0, v70, s0
	v_cmp_gt_i32_e64 s0, s15, v183
	s_wait_alu 0xf1ff
	v_cndmask_b32_e64 v74, 0, v74, s0
	v_cmp_gt_i32_e64 s0, s7, v182
	s_delay_alu instid0(VALU_DEP_2) | instskip(SKIP_1) | instid1(VALU_DEP_2)
	v_perm_b32 v70, v74, v70, 0x5040100
	s_wait_alu 0xf1ff
	v_cndmask_b32_e64 v71, 0, v71, s0
	v_cmp_gt_i32_e64 s0, s15, v140
	s_wait_alu 0xf1ff
	s_delay_alu instid0(VALU_DEP_1) | instskip(SKIP_1) | instid1(VALU_DEP_2)
	v_cndmask_b32_e64 v75, 0, v75, s0
	v_cmp_gt_i32_e64 s0, s7, v142
	v_perm_b32 v71, v75, v71, 0x5040100
	s_wait_alu 0xf1ff
	s_delay_alu instid0(VALU_DEP_2) | instskip(SKIP_2) | instid1(VALU_DEP_1)
	v_cndmask_b32_e64 v72, 0, v72, s0
	v_cmp_gt_i32_e64 s0, s15, v139
	s_wait_alu 0xf1ff
	v_cndmask_b32_e64 v76, 0, v76, s0
	s_delay_alu instid0(VALU_DEP_1)
	v_perm_b32 v72, v76, v72, 0x5040100
	s_wait_alu 0xfffe
	s_or_b32 exec_lo, exec_lo, s1
	global_load_b128 v[73:76], v[45:46], off offset:8704
	s_and_saveexec_b32 s1, vcc_lo
	s_cbranch_execz .LBB179_57
.LBB179_90:                             ;   in Loop: Header=BB179_38 Depth=1
	v_cmp_gt_i32_e64 s0, s7, v186
	s_wait_loadcnt 0x0
	v_lshrrev_b32_e32 v77, 16, v73
	v_lshrrev_b32_e32 v78, 16, v74
	;; [unrolled: 1-line block ×4, first 2 shown]
	s_wait_alu 0xf1ff
	v_cndmask_b32_e64 v73, 0, v73, s0
	v_cmp_gt_i32_e64 s0, s15, v184
	s_wait_alu 0xf1ff
	s_delay_alu instid0(VALU_DEP_1) | instskip(SKIP_1) | instid1(VALU_DEP_2)
	v_cndmask_b32_e64 v77, 0, v77, s0
	v_cmp_gt_i32_e64 s0, s7, v185
	v_perm_b32 v73, v77, v73, 0x5040100
	s_wait_alu 0xf1ff
	s_delay_alu instid0(VALU_DEP_2) | instskip(SKIP_2) | instid1(VALU_DEP_1)
	v_cndmask_b32_e64 v74, 0, v74, s0
	v_cmp_gt_i32_e64 s0, s15, v183
	s_wait_alu 0xf1ff
	v_cndmask_b32_e64 v78, 0, v78, s0
	v_cmp_gt_i32_e64 s0, s7, v182
	s_delay_alu instid0(VALU_DEP_2) | instskip(SKIP_1) | instid1(VALU_DEP_2)
	v_perm_b32 v74, v78, v74, 0x5040100
	s_wait_alu 0xf1ff
	v_cndmask_b32_e64 v75, 0, v75, s0
	v_cmp_gt_i32_e64 s0, s15, v140
	s_wait_alu 0xf1ff
	s_delay_alu instid0(VALU_DEP_1) | instskip(SKIP_1) | instid1(VALU_DEP_2)
	v_cndmask_b32_e64 v79, 0, v79, s0
	v_cmp_gt_i32_e64 s0, s7, v142
	v_perm_b32 v75, v79, v75, 0x5040100
	s_wait_alu 0xf1ff
	s_delay_alu instid0(VALU_DEP_2) | instskip(SKIP_2) | instid1(VALU_DEP_1)
	v_cndmask_b32_e64 v76, 0, v76, s0
	v_cmp_gt_i32_e64 s0, s15, v139
	s_wait_alu 0xf1ff
	v_cndmask_b32_e64 v80, 0, v80, s0
	s_delay_alu instid0(VALU_DEP_1)
	v_perm_b32 v76, v80, v76, 0x5040100
	s_wait_alu 0xfffe
	s_or_b32 exec_lo, exec_lo, s1
	global_load_b128 v[77:80], v[45:46], off offset:9216
	s_and_saveexec_b32 s1, vcc_lo
	s_cbranch_execz .LBB179_58
.LBB179_91:                             ;   in Loop: Header=BB179_38 Depth=1
	v_cmp_gt_i32_e64 s0, s7, v186
	s_wait_loadcnt 0x0
	v_lshrrev_b32_e32 v81, 16, v77
	v_lshrrev_b32_e32 v82, 16, v78
	;; [unrolled: 1-line block ×4, first 2 shown]
	s_wait_alu 0xf1ff
	v_cndmask_b32_e64 v77, 0, v77, s0
	v_cmp_gt_i32_e64 s0, s15, v184
	s_wait_alu 0xf1ff
	s_delay_alu instid0(VALU_DEP_1) | instskip(SKIP_1) | instid1(VALU_DEP_2)
	v_cndmask_b32_e64 v81, 0, v81, s0
	v_cmp_gt_i32_e64 s0, s7, v185
	v_perm_b32 v77, v81, v77, 0x5040100
	s_wait_alu 0xf1ff
	s_delay_alu instid0(VALU_DEP_2) | instskip(SKIP_2) | instid1(VALU_DEP_1)
	v_cndmask_b32_e64 v78, 0, v78, s0
	v_cmp_gt_i32_e64 s0, s15, v183
	s_wait_alu 0xf1ff
	v_cndmask_b32_e64 v82, 0, v82, s0
	v_cmp_gt_i32_e64 s0, s7, v182
	s_delay_alu instid0(VALU_DEP_2) | instskip(SKIP_1) | instid1(VALU_DEP_2)
	v_perm_b32 v78, v82, v78, 0x5040100
	s_wait_alu 0xf1ff
	v_cndmask_b32_e64 v79, 0, v79, s0
	v_cmp_gt_i32_e64 s0, s15, v140
	s_wait_alu 0xf1ff
	s_delay_alu instid0(VALU_DEP_1) | instskip(SKIP_1) | instid1(VALU_DEP_2)
	v_cndmask_b32_e64 v83, 0, v83, s0
	v_cmp_gt_i32_e64 s0, s7, v142
	v_perm_b32 v79, v83, v79, 0x5040100
	s_wait_alu 0xf1ff
	s_delay_alu instid0(VALU_DEP_2) | instskip(SKIP_2) | instid1(VALU_DEP_1)
	v_cndmask_b32_e64 v80, 0, v80, s0
	v_cmp_gt_i32_e64 s0, s15, v139
	s_wait_alu 0xf1ff
	v_cndmask_b32_e64 v84, 0, v84, s0
	s_delay_alu instid0(VALU_DEP_1)
	v_perm_b32 v80, v84, v80, 0x5040100
	s_wait_alu 0xfffe
	s_or_b32 exec_lo, exec_lo, s1
	global_load_b128 v[81:84], v[45:46], off offset:9728
	s_and_saveexec_b32 s1, vcc_lo
	s_cbranch_execz .LBB179_59
.LBB179_92:                             ;   in Loop: Header=BB179_38 Depth=1
	v_cmp_gt_i32_e64 s0, s7, v186
	s_wait_loadcnt 0x0
	v_lshrrev_b32_e32 v93, 16, v81
	v_lshrrev_b32_e32 v94, 16, v82
	;; [unrolled: 1-line block ×4, first 2 shown]
	s_wait_alu 0xf1ff
	v_cndmask_b32_e64 v81, 0, v81, s0
	v_cmp_gt_i32_e64 s0, s15, v184
	s_wait_alu 0xf1ff
	s_delay_alu instid0(VALU_DEP_1) | instskip(SKIP_1) | instid1(VALU_DEP_2)
	v_cndmask_b32_e64 v93, 0, v93, s0
	v_cmp_gt_i32_e64 s0, s7, v185
	v_perm_b32 v81, v93, v81, 0x5040100
	s_wait_alu 0xf1ff
	s_delay_alu instid0(VALU_DEP_2) | instskip(SKIP_2) | instid1(VALU_DEP_1)
	v_cndmask_b32_e64 v82, 0, v82, s0
	v_cmp_gt_i32_e64 s0, s15, v183
	s_wait_alu 0xf1ff
	v_cndmask_b32_e64 v94, 0, v94, s0
	v_cmp_gt_i32_e64 s0, s7, v182
	s_delay_alu instid0(VALU_DEP_2) | instskip(SKIP_1) | instid1(VALU_DEP_2)
	v_perm_b32 v82, v94, v82, 0x5040100
	s_wait_alu 0xf1ff
	v_cndmask_b32_e64 v83, 0, v83, s0
	v_cmp_gt_i32_e64 s0, s15, v140
	s_wait_alu 0xf1ff
	s_delay_alu instid0(VALU_DEP_1) | instskip(SKIP_1) | instid1(VALU_DEP_2)
	v_cndmask_b32_e64 v95, 0, v95, s0
	v_cmp_gt_i32_e64 s0, s7, v142
	v_perm_b32 v83, v95, v83, 0x5040100
	s_wait_alu 0xf1ff
	s_delay_alu instid0(VALU_DEP_2) | instskip(SKIP_2) | instid1(VALU_DEP_1)
	v_cndmask_b32_e64 v84, 0, v84, s0
	v_cmp_gt_i32_e64 s0, s15, v139
	s_wait_alu 0xf1ff
	v_cndmask_b32_e64 v96, 0, v96, s0
	s_delay_alu instid0(VALU_DEP_1)
	v_perm_b32 v84, v96, v84, 0x5040100
	s_wait_alu 0xfffe
	s_or_b32 exec_lo, exec_lo, s1
	global_load_b128 v[93:96], v[45:46], off offset:10240
	s_and_saveexec_b32 s1, vcc_lo
	s_cbranch_execz .LBB179_60
.LBB179_93:                             ;   in Loop: Header=BB179_38 Depth=1
	v_cmp_gt_i32_e64 s0, s7, v186
	s_wait_loadcnt 0x0
	v_lshrrev_b32_e32 v97, 16, v93
	v_lshrrev_b32_e32 v98, 16, v94
	;; [unrolled: 1-line block ×4, first 2 shown]
	s_wait_alu 0xf1ff
	v_cndmask_b32_e64 v93, 0, v93, s0
	v_cmp_gt_i32_e64 s0, s15, v184
	s_wait_alu 0xf1ff
	s_delay_alu instid0(VALU_DEP_1) | instskip(SKIP_1) | instid1(VALU_DEP_2)
	v_cndmask_b32_e64 v97, 0, v97, s0
	v_cmp_gt_i32_e64 s0, s7, v185
	v_perm_b32 v93, v97, v93, 0x5040100
	s_wait_alu 0xf1ff
	s_delay_alu instid0(VALU_DEP_2) | instskip(SKIP_2) | instid1(VALU_DEP_1)
	v_cndmask_b32_e64 v94, 0, v94, s0
	v_cmp_gt_i32_e64 s0, s15, v183
	s_wait_alu 0xf1ff
	v_cndmask_b32_e64 v98, 0, v98, s0
	v_cmp_gt_i32_e64 s0, s7, v182
	s_delay_alu instid0(VALU_DEP_2) | instskip(SKIP_1) | instid1(VALU_DEP_2)
	v_perm_b32 v94, v98, v94, 0x5040100
	s_wait_alu 0xf1ff
	v_cndmask_b32_e64 v95, 0, v95, s0
	v_cmp_gt_i32_e64 s0, s15, v140
	s_wait_alu 0xf1ff
	s_delay_alu instid0(VALU_DEP_1) | instskip(SKIP_1) | instid1(VALU_DEP_2)
	v_cndmask_b32_e64 v99, 0, v99, s0
	v_cmp_gt_i32_e64 s0, s7, v142
	v_perm_b32 v95, v99, v95, 0x5040100
	s_wait_alu 0xf1ff
	s_delay_alu instid0(VALU_DEP_2) | instskip(SKIP_2) | instid1(VALU_DEP_1)
	v_cndmask_b32_e64 v96, 0, v96, s0
	v_cmp_gt_i32_e64 s0, s15, v139
	s_wait_alu 0xf1ff
	v_cndmask_b32_e64 v100, 0, v100, s0
	s_delay_alu instid0(VALU_DEP_1)
	v_perm_b32 v96, v100, v96, 0x5040100
	s_wait_alu 0xfffe
	s_or_b32 exec_lo, exec_lo, s1
	global_load_b128 v[97:100], v[45:46], off offset:10752
	s_and_saveexec_b32 s1, vcc_lo
	s_cbranch_execz .LBB179_61
.LBB179_94:                             ;   in Loop: Header=BB179_38 Depth=1
	v_cmp_gt_i32_e64 s0, s7, v186
	s_wait_loadcnt 0x0
	v_lshrrev_b32_e32 v101, 16, v97
	v_lshrrev_b32_e32 v102, 16, v98
	v_lshrrev_b32_e32 v103, 16, v99
	v_lshrrev_b32_e32 v104, 16, v100
	s_wait_alu 0xf1ff
	v_cndmask_b32_e64 v97, 0, v97, s0
	v_cmp_gt_i32_e64 s0, s15, v184
	s_wait_alu 0xf1ff
	s_delay_alu instid0(VALU_DEP_1) | instskip(SKIP_1) | instid1(VALU_DEP_2)
	v_cndmask_b32_e64 v101, 0, v101, s0
	v_cmp_gt_i32_e64 s0, s7, v185
	v_perm_b32 v97, v101, v97, 0x5040100
	s_wait_alu 0xf1ff
	s_delay_alu instid0(VALU_DEP_2) | instskip(SKIP_2) | instid1(VALU_DEP_1)
	v_cndmask_b32_e64 v98, 0, v98, s0
	v_cmp_gt_i32_e64 s0, s15, v183
	s_wait_alu 0xf1ff
	v_cndmask_b32_e64 v102, 0, v102, s0
	v_cmp_gt_i32_e64 s0, s7, v182
	s_delay_alu instid0(VALU_DEP_2) | instskip(SKIP_1) | instid1(VALU_DEP_2)
	v_perm_b32 v98, v102, v98, 0x5040100
	s_wait_alu 0xf1ff
	v_cndmask_b32_e64 v99, 0, v99, s0
	v_cmp_gt_i32_e64 s0, s15, v140
	s_wait_alu 0xf1ff
	s_delay_alu instid0(VALU_DEP_1) | instskip(SKIP_1) | instid1(VALU_DEP_2)
	v_cndmask_b32_e64 v103, 0, v103, s0
	v_cmp_gt_i32_e64 s0, s7, v142
	v_perm_b32 v99, v103, v99, 0x5040100
	s_wait_alu 0xf1ff
	s_delay_alu instid0(VALU_DEP_2) | instskip(SKIP_2) | instid1(VALU_DEP_1)
	v_cndmask_b32_e64 v100, 0, v100, s0
	v_cmp_gt_i32_e64 s0, s15, v139
	s_wait_alu 0xf1ff
	v_cndmask_b32_e64 v104, 0, v104, s0
	s_delay_alu instid0(VALU_DEP_1)
	v_perm_b32 v100, v104, v100, 0x5040100
	s_wait_alu 0xfffe
	s_or_b32 exec_lo, exec_lo, s1
	global_load_b128 v[101:104], v[45:46], off offset:11264
	s_and_saveexec_b32 s1, vcc_lo
	s_cbranch_execz .LBB179_62
.LBB179_95:                             ;   in Loop: Header=BB179_38 Depth=1
	v_cmp_gt_i32_e64 s0, s7, v186
	s_wait_loadcnt 0x0
	v_lshrrev_b32_e32 v105, 16, v101
	v_lshrrev_b32_e32 v106, 16, v102
	v_lshrrev_b32_e32 v107, 16, v103
	v_lshrrev_b32_e32 v108, 16, v104
	s_wait_alu 0xf1ff
	v_cndmask_b32_e64 v101, 0, v101, s0
	v_cmp_gt_i32_e64 s0, s15, v184
	s_wait_alu 0xf1ff
	s_delay_alu instid0(VALU_DEP_1) | instskip(SKIP_1) | instid1(VALU_DEP_2)
	v_cndmask_b32_e64 v105, 0, v105, s0
	v_cmp_gt_i32_e64 s0, s7, v185
	v_perm_b32 v101, v105, v101, 0x5040100
	s_wait_alu 0xf1ff
	s_delay_alu instid0(VALU_DEP_2) | instskip(SKIP_2) | instid1(VALU_DEP_1)
	v_cndmask_b32_e64 v102, 0, v102, s0
	v_cmp_gt_i32_e64 s0, s15, v183
	s_wait_alu 0xf1ff
	v_cndmask_b32_e64 v106, 0, v106, s0
	v_cmp_gt_i32_e64 s0, s7, v182
	s_delay_alu instid0(VALU_DEP_2) | instskip(SKIP_1) | instid1(VALU_DEP_2)
	v_perm_b32 v102, v106, v102, 0x5040100
	s_wait_alu 0xf1ff
	v_cndmask_b32_e64 v103, 0, v103, s0
	v_cmp_gt_i32_e64 s0, s15, v140
	s_wait_alu 0xf1ff
	s_delay_alu instid0(VALU_DEP_1) | instskip(SKIP_1) | instid1(VALU_DEP_2)
	v_cndmask_b32_e64 v107, 0, v107, s0
	v_cmp_gt_i32_e64 s0, s7, v142
	v_perm_b32 v103, v107, v103, 0x5040100
	s_wait_alu 0xf1ff
	s_delay_alu instid0(VALU_DEP_2) | instskip(SKIP_2) | instid1(VALU_DEP_1)
	v_cndmask_b32_e64 v104, 0, v104, s0
	v_cmp_gt_i32_e64 s0, s15, v139
	s_wait_alu 0xf1ff
	v_cndmask_b32_e64 v108, 0, v108, s0
	s_delay_alu instid0(VALU_DEP_1)
	v_perm_b32 v104, v108, v104, 0x5040100
	s_wait_alu 0xfffe
	s_or_b32 exec_lo, exec_lo, s1
	global_load_b128 v[105:108], v[45:46], off offset:11776
	s_and_saveexec_b32 s1, vcc_lo
	s_cbranch_execz .LBB179_63
.LBB179_96:                             ;   in Loop: Header=BB179_38 Depth=1
	v_cmp_gt_i32_e64 s0, s7, v186
	s_wait_loadcnt 0x0
	v_lshrrev_b32_e32 v109, 16, v105
	v_lshrrev_b32_e32 v110, 16, v106
	;; [unrolled: 1-line block ×4, first 2 shown]
	s_wait_alu 0xf1ff
	v_cndmask_b32_e64 v105, 0, v105, s0
	v_cmp_gt_i32_e64 s0, s15, v184
	s_wait_alu 0xf1ff
	s_delay_alu instid0(VALU_DEP_1) | instskip(SKIP_1) | instid1(VALU_DEP_2)
	v_cndmask_b32_e64 v109, 0, v109, s0
	v_cmp_gt_i32_e64 s0, s7, v185
	v_perm_b32 v105, v109, v105, 0x5040100
	s_wait_alu 0xf1ff
	s_delay_alu instid0(VALU_DEP_2) | instskip(SKIP_2) | instid1(VALU_DEP_1)
	v_cndmask_b32_e64 v106, 0, v106, s0
	v_cmp_gt_i32_e64 s0, s15, v183
	s_wait_alu 0xf1ff
	v_cndmask_b32_e64 v110, 0, v110, s0
	v_cmp_gt_i32_e64 s0, s7, v182
	s_delay_alu instid0(VALU_DEP_2) | instskip(SKIP_1) | instid1(VALU_DEP_2)
	v_perm_b32 v106, v110, v106, 0x5040100
	s_wait_alu 0xf1ff
	v_cndmask_b32_e64 v107, 0, v107, s0
	v_cmp_gt_i32_e64 s0, s15, v140
	s_wait_alu 0xf1ff
	s_delay_alu instid0(VALU_DEP_1) | instskip(SKIP_1) | instid1(VALU_DEP_2)
	v_cndmask_b32_e64 v111, 0, v111, s0
	v_cmp_gt_i32_e64 s0, s7, v142
	v_perm_b32 v107, v111, v107, 0x5040100
	s_wait_alu 0xf1ff
	s_delay_alu instid0(VALU_DEP_2) | instskip(SKIP_2) | instid1(VALU_DEP_1)
	v_cndmask_b32_e64 v108, 0, v108, s0
	v_cmp_gt_i32_e64 s0, s15, v139
	s_wait_alu 0xf1ff
	v_cndmask_b32_e64 v112, 0, v112, s0
	s_delay_alu instid0(VALU_DEP_1)
	v_perm_b32 v108, v112, v108, 0x5040100
	s_wait_alu 0xfffe
	s_or_b32 exec_lo, exec_lo, s1
	global_load_b128 v[109:112], v[45:46], off offset:12288
	s_and_saveexec_b32 s1, vcc_lo
	s_cbranch_execz .LBB179_64
.LBB179_97:                             ;   in Loop: Header=BB179_38 Depth=1
	v_cmp_gt_i32_e64 s0, s7, v186
	s_wait_loadcnt 0x0
	v_lshrrev_b32_e32 v113, 16, v109
	v_lshrrev_b32_e32 v114, 16, v110
	;; [unrolled: 1-line block ×4, first 2 shown]
	s_wait_alu 0xf1ff
	v_cndmask_b32_e64 v109, 0, v109, s0
	v_cmp_gt_i32_e64 s0, s15, v184
	s_wait_alu 0xf1ff
	s_delay_alu instid0(VALU_DEP_1) | instskip(SKIP_1) | instid1(VALU_DEP_2)
	v_cndmask_b32_e64 v113, 0, v113, s0
	v_cmp_gt_i32_e64 s0, s7, v185
	v_perm_b32 v109, v113, v109, 0x5040100
	s_wait_alu 0xf1ff
	s_delay_alu instid0(VALU_DEP_2) | instskip(SKIP_2) | instid1(VALU_DEP_1)
	v_cndmask_b32_e64 v110, 0, v110, s0
	v_cmp_gt_i32_e64 s0, s15, v183
	s_wait_alu 0xf1ff
	v_cndmask_b32_e64 v114, 0, v114, s0
	v_cmp_gt_i32_e64 s0, s7, v182
	s_delay_alu instid0(VALU_DEP_2) | instskip(SKIP_1) | instid1(VALU_DEP_2)
	v_perm_b32 v110, v114, v110, 0x5040100
	s_wait_alu 0xf1ff
	v_cndmask_b32_e64 v111, 0, v111, s0
	v_cmp_gt_i32_e64 s0, s15, v140
	s_wait_alu 0xf1ff
	s_delay_alu instid0(VALU_DEP_1) | instskip(SKIP_1) | instid1(VALU_DEP_2)
	v_cndmask_b32_e64 v115, 0, v115, s0
	v_cmp_gt_i32_e64 s0, s7, v142
	v_perm_b32 v111, v115, v111, 0x5040100
	s_wait_alu 0xf1ff
	s_delay_alu instid0(VALU_DEP_2) | instskip(SKIP_2) | instid1(VALU_DEP_1)
	v_cndmask_b32_e64 v112, 0, v112, s0
	v_cmp_gt_i32_e64 s0, s15, v139
	s_wait_alu 0xf1ff
	v_cndmask_b32_e64 v116, 0, v116, s0
	s_delay_alu instid0(VALU_DEP_1)
	v_perm_b32 v112, v116, v112, 0x5040100
	s_wait_alu 0xfffe
	s_or_b32 exec_lo, exec_lo, s1
	global_load_b128 v[113:116], v[45:46], off offset:12800
	s_and_saveexec_b32 s1, vcc_lo
	s_cbranch_execz .LBB179_65
.LBB179_98:                             ;   in Loop: Header=BB179_38 Depth=1
	v_cmp_gt_i32_e64 s0, s7, v186
	s_wait_loadcnt 0x0
	v_lshrrev_b32_e32 v117, 16, v113
	v_lshrrev_b32_e32 v118, 16, v114
	;; [unrolled: 1-line block ×4, first 2 shown]
	s_wait_alu 0xf1ff
	v_cndmask_b32_e64 v113, 0, v113, s0
	v_cmp_gt_i32_e64 s0, s15, v184
	s_wait_alu 0xf1ff
	s_delay_alu instid0(VALU_DEP_1) | instskip(SKIP_1) | instid1(VALU_DEP_2)
	v_cndmask_b32_e64 v117, 0, v117, s0
	v_cmp_gt_i32_e64 s0, s7, v185
	v_perm_b32 v113, v117, v113, 0x5040100
	s_wait_alu 0xf1ff
	s_delay_alu instid0(VALU_DEP_2) | instskip(SKIP_2) | instid1(VALU_DEP_1)
	v_cndmask_b32_e64 v114, 0, v114, s0
	v_cmp_gt_i32_e64 s0, s15, v183
	s_wait_alu 0xf1ff
	v_cndmask_b32_e64 v118, 0, v118, s0
	v_cmp_gt_i32_e64 s0, s7, v182
	s_delay_alu instid0(VALU_DEP_2) | instskip(SKIP_1) | instid1(VALU_DEP_2)
	v_perm_b32 v114, v118, v114, 0x5040100
	s_wait_alu 0xf1ff
	v_cndmask_b32_e64 v115, 0, v115, s0
	v_cmp_gt_i32_e64 s0, s15, v140
	s_wait_alu 0xf1ff
	s_delay_alu instid0(VALU_DEP_1) | instskip(SKIP_1) | instid1(VALU_DEP_2)
	v_cndmask_b32_e64 v119, 0, v119, s0
	v_cmp_gt_i32_e64 s0, s7, v142
	v_perm_b32 v115, v119, v115, 0x5040100
	s_wait_alu 0xf1ff
	s_delay_alu instid0(VALU_DEP_2) | instskip(SKIP_2) | instid1(VALU_DEP_1)
	v_cndmask_b32_e64 v116, 0, v116, s0
	v_cmp_gt_i32_e64 s0, s15, v139
	s_wait_alu 0xf1ff
	v_cndmask_b32_e64 v120, 0, v120, s0
	s_delay_alu instid0(VALU_DEP_1)
	v_perm_b32 v116, v120, v116, 0x5040100
	s_wait_alu 0xfffe
	s_or_b32 exec_lo, exec_lo, s1
	global_load_b128 v[117:120], v[45:46], off offset:13312
	s_and_saveexec_b32 s1, vcc_lo
	s_cbranch_execz .LBB179_66
.LBB179_99:                             ;   in Loop: Header=BB179_38 Depth=1
	v_cmp_gt_i32_e64 s0, s7, v186
	s_wait_loadcnt 0x0
	v_lshrrev_b32_e32 v121, 16, v117
	v_lshrrev_b32_e32 v122, 16, v118
	;; [unrolled: 1-line block ×4, first 2 shown]
	s_wait_alu 0xf1ff
	v_cndmask_b32_e64 v117, 0, v117, s0
	v_cmp_gt_i32_e64 s0, s15, v184
	s_wait_alu 0xf1ff
	s_delay_alu instid0(VALU_DEP_1) | instskip(SKIP_1) | instid1(VALU_DEP_2)
	v_cndmask_b32_e64 v121, 0, v121, s0
	v_cmp_gt_i32_e64 s0, s7, v185
	v_perm_b32 v117, v121, v117, 0x5040100
	s_wait_alu 0xf1ff
	s_delay_alu instid0(VALU_DEP_2) | instskip(SKIP_2) | instid1(VALU_DEP_1)
	v_cndmask_b32_e64 v118, 0, v118, s0
	v_cmp_gt_i32_e64 s0, s15, v183
	s_wait_alu 0xf1ff
	v_cndmask_b32_e64 v122, 0, v122, s0
	v_cmp_gt_i32_e64 s0, s7, v182
	s_delay_alu instid0(VALU_DEP_2) | instskip(SKIP_1) | instid1(VALU_DEP_2)
	v_perm_b32 v118, v122, v118, 0x5040100
	s_wait_alu 0xf1ff
	v_cndmask_b32_e64 v119, 0, v119, s0
	v_cmp_gt_i32_e64 s0, s15, v140
	s_wait_alu 0xf1ff
	s_delay_alu instid0(VALU_DEP_1) | instskip(SKIP_1) | instid1(VALU_DEP_2)
	v_cndmask_b32_e64 v123, 0, v123, s0
	v_cmp_gt_i32_e64 s0, s7, v142
	v_perm_b32 v119, v123, v119, 0x5040100
	s_wait_alu 0xf1ff
	s_delay_alu instid0(VALU_DEP_2) | instskip(SKIP_2) | instid1(VALU_DEP_1)
	v_cndmask_b32_e64 v120, 0, v120, s0
	v_cmp_gt_i32_e64 s0, s15, v139
	s_wait_alu 0xf1ff
	v_cndmask_b32_e64 v124, 0, v124, s0
	s_delay_alu instid0(VALU_DEP_1)
	v_perm_b32 v120, v124, v120, 0x5040100
	s_wait_alu 0xfffe
	s_or_b32 exec_lo, exec_lo, s1
	global_load_b128 v[121:124], v[45:46], off offset:13824
	s_and_saveexec_b32 s1, vcc_lo
	s_cbranch_execz .LBB179_67
.LBB179_100:                            ;   in Loop: Header=BB179_38 Depth=1
	v_cmp_gt_i32_e64 s0, s7, v186
	s_wait_loadcnt 0x0
	v_lshrrev_b32_e32 v125, 16, v121
	v_lshrrev_b32_e32 v126, 16, v122
	;; [unrolled: 1-line block ×4, first 2 shown]
	s_wait_alu 0xf1ff
	v_cndmask_b32_e64 v121, 0, v121, s0
	v_cmp_gt_i32_e64 s0, s15, v184
	s_wait_alu 0xf1ff
	s_delay_alu instid0(VALU_DEP_1) | instskip(SKIP_1) | instid1(VALU_DEP_2)
	v_cndmask_b32_e64 v125, 0, v125, s0
	v_cmp_gt_i32_e64 s0, s7, v185
	v_perm_b32 v121, v125, v121, 0x5040100
	s_wait_alu 0xf1ff
	s_delay_alu instid0(VALU_DEP_2) | instskip(SKIP_2) | instid1(VALU_DEP_1)
	v_cndmask_b32_e64 v122, 0, v122, s0
	v_cmp_gt_i32_e64 s0, s15, v183
	s_wait_alu 0xf1ff
	v_cndmask_b32_e64 v126, 0, v126, s0
	v_cmp_gt_i32_e64 s0, s7, v182
	s_delay_alu instid0(VALU_DEP_2) | instskip(SKIP_1) | instid1(VALU_DEP_2)
	v_perm_b32 v122, v126, v122, 0x5040100
	s_wait_alu 0xf1ff
	v_cndmask_b32_e64 v123, 0, v123, s0
	v_cmp_gt_i32_e64 s0, s15, v140
	s_wait_alu 0xf1ff
	s_delay_alu instid0(VALU_DEP_1) | instskip(SKIP_1) | instid1(VALU_DEP_2)
	v_cndmask_b32_e64 v127, 0, v127, s0
	v_cmp_gt_i32_e64 s0, s7, v142
	v_perm_b32 v123, v127, v123, 0x5040100
	s_wait_alu 0xf1ff
	s_delay_alu instid0(VALU_DEP_2) | instskip(SKIP_2) | instid1(VALU_DEP_1)
	v_cndmask_b32_e64 v124, 0, v124, s0
	v_cmp_gt_i32_e64 s0, s15, v139
	s_wait_alu 0xf1ff
	v_cndmask_b32_e64 v128, 0, v128, s0
	s_delay_alu instid0(VALU_DEP_1)
	v_perm_b32 v124, v128, v124, 0x5040100
	s_wait_alu 0xfffe
	s_or_b32 exec_lo, exec_lo, s1
	global_load_b128 v[125:128], v[45:46], off offset:14336
	s_and_saveexec_b32 s1, vcc_lo
	s_cbranch_execz .LBB179_68
.LBB179_101:                            ;   in Loop: Header=BB179_38 Depth=1
	v_cmp_gt_i32_e64 s0, s7, v186
	s_wait_loadcnt 0x0
	v_lshrrev_b32_e32 v129, 16, v125
	v_lshrrev_b32_e32 v130, 16, v126
	;; [unrolled: 1-line block ×4, first 2 shown]
	s_wait_alu 0xf1ff
	v_cndmask_b32_e64 v125, 0, v125, s0
	v_cmp_gt_i32_e64 s0, s15, v184
	s_wait_alu 0xf1ff
	s_delay_alu instid0(VALU_DEP_1) | instskip(SKIP_1) | instid1(VALU_DEP_2)
	v_cndmask_b32_e64 v129, 0, v129, s0
	v_cmp_gt_i32_e64 s0, s7, v185
	v_perm_b32 v125, v129, v125, 0x5040100
	s_wait_alu 0xf1ff
	s_delay_alu instid0(VALU_DEP_2) | instskip(SKIP_2) | instid1(VALU_DEP_1)
	v_cndmask_b32_e64 v126, 0, v126, s0
	v_cmp_gt_i32_e64 s0, s15, v183
	s_wait_alu 0xf1ff
	v_cndmask_b32_e64 v130, 0, v130, s0
	v_cmp_gt_i32_e64 s0, s7, v182
	s_delay_alu instid0(VALU_DEP_2) | instskip(SKIP_1) | instid1(VALU_DEP_2)
	v_perm_b32 v126, v130, v126, 0x5040100
	s_wait_alu 0xf1ff
	v_cndmask_b32_e64 v127, 0, v127, s0
	v_cmp_gt_i32_e64 s0, s15, v140
	s_wait_alu 0xf1ff
	s_delay_alu instid0(VALU_DEP_1) | instskip(SKIP_1) | instid1(VALU_DEP_2)
	v_cndmask_b32_e64 v131, 0, v131, s0
	v_cmp_gt_i32_e64 s0, s7, v142
	v_perm_b32 v127, v131, v127, 0x5040100
	s_wait_alu 0xf1ff
	s_delay_alu instid0(VALU_DEP_2) | instskip(SKIP_2) | instid1(VALU_DEP_1)
	v_cndmask_b32_e64 v128, 0, v128, s0
	v_cmp_gt_i32_e64 s0, s15, v139
	s_wait_alu 0xf1ff
	v_cndmask_b32_e64 v132, 0, v132, s0
	s_delay_alu instid0(VALU_DEP_1)
	v_perm_b32 v128, v132, v128, 0x5040100
	s_wait_alu 0xfffe
	s_or_b32 exec_lo, exec_lo, s1
	global_load_b128 v[129:132], v[45:46], off offset:14848
	s_and_saveexec_b32 s1, vcc_lo
	s_cbranch_execz .LBB179_69
.LBB179_102:                            ;   in Loop: Header=BB179_38 Depth=1
	v_cmp_gt_i32_e64 s0, s7, v186
	s_wait_loadcnt 0x0
	v_lshrrev_b32_e32 v133, 16, v129
	v_lshrrev_b32_e32 v134, 16, v130
	v_lshrrev_b32_e32 v135, 16, v131
	v_lshrrev_b32_e32 v136, 16, v132
	s_wait_alu 0xf1ff
	v_cndmask_b32_e64 v129, 0, v129, s0
	v_cmp_gt_i32_e64 s0, s15, v184
	s_wait_alu 0xf1ff
	s_delay_alu instid0(VALU_DEP_1) | instskip(SKIP_1) | instid1(VALU_DEP_2)
	v_cndmask_b32_e64 v133, 0, v133, s0
	v_cmp_gt_i32_e64 s0, s7, v185
	v_perm_b32 v129, v133, v129, 0x5040100
	s_wait_alu 0xf1ff
	s_delay_alu instid0(VALU_DEP_2) | instskip(SKIP_2) | instid1(VALU_DEP_1)
	v_cndmask_b32_e64 v130, 0, v130, s0
	v_cmp_gt_i32_e64 s0, s15, v183
	s_wait_alu 0xf1ff
	v_cndmask_b32_e64 v134, 0, v134, s0
	v_cmp_gt_i32_e64 s0, s7, v182
	s_delay_alu instid0(VALU_DEP_2) | instskip(SKIP_1) | instid1(VALU_DEP_2)
	v_perm_b32 v130, v134, v130, 0x5040100
	s_wait_alu 0xf1ff
	v_cndmask_b32_e64 v131, 0, v131, s0
	v_cmp_gt_i32_e64 s0, s15, v140
	s_wait_alu 0xf1ff
	s_delay_alu instid0(VALU_DEP_1) | instskip(SKIP_1) | instid1(VALU_DEP_2)
	v_cndmask_b32_e64 v135, 0, v135, s0
	v_cmp_gt_i32_e64 s0, s7, v142
	v_perm_b32 v131, v135, v131, 0x5040100
	s_wait_alu 0xf1ff
	s_delay_alu instid0(VALU_DEP_2) | instskip(SKIP_2) | instid1(VALU_DEP_1)
	v_cndmask_b32_e64 v132, 0, v132, s0
	v_cmp_gt_i32_e64 s0, s15, v139
	s_wait_alu 0xf1ff
	v_cndmask_b32_e64 v136, 0, v136, s0
	s_delay_alu instid0(VALU_DEP_1)
	v_perm_b32 v132, v136, v132, 0x5040100
	s_wait_alu 0xfffe
	s_or_b32 exec_lo, exec_lo, s1
	global_load_b128 v[133:136], v[45:46], off offset:15360
	s_and_saveexec_b32 s25, vcc_lo
	s_cbranch_execnz .LBB179_70
	s_branch .LBB179_71
.LBB179_103:
	s_or_b32 exec_lo, exec_lo, s13
	v_mov_b32_e32 v58, v188
.LBB179_104:
	s_wait_alu 0xfffe
	s_or_b32 exec_lo, exec_lo, s5
	ds_bpermute_b32 v0, v144, v176
	ds_bpermute_b32 v1, v144, v177
	;; [unrolled: 1-line block ×19, first 2 shown]
	s_mov_b32 s0, exec_lo
	s_wait_dscnt 0x11
	v_dual_add_f32 v0, v176, v0 :: v_dual_add_f32 v1, v177, v1
	s_wait_dscnt 0xf
	v_dual_add_f32 v2, v175, v2 :: v_dual_add_f32 v3, v174, v3
	s_wait_dscnt 0xe
	v_add_f32_e32 v4, v173, v4
	ds_bpermute_b32 v13, v143, v0
	ds_bpermute_b32 v14, v143, v1
	s_wait_dscnt 0xe
	v_dual_add_f32 v6, v171, v6 :: v_dual_add_f32 v7, v170, v7
	ds_bpermute_b32 v16, v143, v3
	s_wait_dscnt 0xd
	v_dual_add_f32 v8, v169, v8 :: v_dual_add_f32 v9, v168, v9
	s_wait_dscnt 0xc
	v_add_f32_e32 v5, v172, v5
	ds_bpermute_b32 v15, v143, v2
	ds_bpermute_b32 v17, v143, v4
	;; [unrolled: 1-line block ×3, first 2 shown]
	s_wait_dscnt 0xd
	v_dual_add_f32 v10, v167, v10 :: v_dual_add_f32 v11, v166, v11
	ds_bpermute_b32 v26, v143, v9
	ds_bpermute_b32 v18, v143, v5
	;; [unrolled: 1-line block ×6, first 2 shown]
	s_wait_dscnt 0xe
	v_add_f32_e32 v37, v147, v37
	s_wait_dscnt 0xb
	v_add_f32_e32 v31, v0, v13
	ds_bpermute_b32 v0, v144, v161
	s_wait_dscnt 0xb
	v_add_f32_e32 v29, v1, v14
	ds_bpermute_b32 v1, v144, v160
	;; [unrolled: 3-line block ×3, first 2 shown]
	ds_bpermute_b32 v13, v144, v156
	v_add_f32_e32 v35, v149, v35
	s_wait_dscnt 0xc
	v_add_f32_e32 v25, v2, v15
	s_wait_dscnt 0xb
	v_dual_add_f32 v23, v4, v17 :: v_dual_add_f32 v2, v165, v12
	s_wait_dscnt 0xa
	v_add_f32_e32 v21, v7, v21
	ds_bpermute_b32 v7, v144, v158
	s_wait_dscnt 0xa
	v_add_f32_e32 v14, v9, v26
	ds_bpermute_b32 v26, v144, v153
	s_wait_dscnt 0x9
	v_dual_add_f32 v20, v5, v18 :: v_dual_add_f32 v19, v6, v19
	s_wait_dscnt 0x6
	v_dual_add_f32 v16, v8, v22 :: v_dual_add_f32 v11, v11, v28
	v_add_f32_e32 v8, v162, v33
	ds_bpermute_b32 v4, v143, v2
	s_wait_dscnt 0x6
	v_dual_add_f32 v0, v161, v0 :: v_dual_add_f32 v5, v164, v30
	v_add_f32_e32 v6, v163, v32
	ds_bpermute_b32 v9, v144, v157
	ds_bpermute_b32 v18, v144, v155
	;; [unrolled: 1-line block ×3, first 2 shown]
	s_wait_dscnt 0x8
	v_add_f32_e32 v1, v160, v1
	s_wait_dscnt 0x6
	v_dual_add_f32 v3, v159, v3 :: v_dual_add_f32 v38, v156, v13
	ds_bpermute_b32 v32, v143, v0
	ds_bpermute_b32 v28, v144, v151
	ds_bpermute_b32 v30, v144, v150
	ds_bpermute_b32 v17, v143, v8
	ds_bpermute_b32 v34, v143, v3
	s_wait_dscnt 0x9
	v_dual_add_f32 v7, v158, v7 :: v_dual_add_f32 v44, v153, v26
	ds_bpermute_b32 v54, v143, v35
	v_add_f32_e32 v12, v10, v27
	ds_bpermute_b32 v27, v144, v152
	ds_bpermute_b32 v13, v144, v146
	;; [unrolled: 1-line block ×5, first 2 shown]
	s_wait_dscnt 0xc
	v_dual_add_f32 v9, v157, v9 :: v_dual_add_f32 v40, v155, v18
	ds_bpermute_b32 v39, v143, v7
	s_wait_dscnt 0xc
	v_add_f32_e32 v42, v154, v22
	v_add_f32_e32 v36, v148, v36
	ds_bpermute_b32 v41, v143, v9
	ds_bpermute_b32 v43, v143, v38
	s_wait_dscnt 0xc
	v_add_f32_e32 v48, v151, v28
	s_wait_dscnt 0xb
	v_add_f32_e32 v50, v150, v30
	v_add_f32_e32 v30, v2, v4
	ds_bpermute_b32 v2, v143, v37
	v_add_f32_e32 v22, v0, v32
	scratch_load_b32 v32, off, off th:TH_LOAD_LU ; 4-byte Folded Reload
	s_wait_dscnt 0xa
	v_dual_add_f32 v26, v8, v17 :: v_dual_add_f32 v17, v3, v34
	scratch_load_b32 v34, off, off offset:572 th:TH_LOAD_LU ; 4-byte Folded Reload
	s_wait_dscnt 0x7
	v_dual_add_f32 v46, v152, v27 :: v_dual_add_f32 v55, v146, v13
	ds_bpermute_b32 v45, v143, v40
	ds_bpermute_b32 v47, v143, v42
	;; [unrolled: 1-line block ×5, first 2 shown]
	s_wait_dscnt 0xb
	v_add_f32_e32 v27, v5, v10
	ds_bpermute_b32 v56, v143, v36
	ds_bpermute_b32 v57, v143, v55
	s_wait_dscnt 0x9
	v_dual_add_f32 v28, v6, v15 :: v_dual_add_f32 v13, v9, v41
	v_add_f32_e32 v15, v7, v39
	ds_bpermute_b32 v53, v143, v50
	v_add_f32_e32 v18, v1, v33
	s_wait_dscnt 0x9
	v_dual_add_f32 v10, v38, v43 :: v_dual_add_f32 v3, v35, v54
	s_wait_dscnt 0x8
	v_add_f32_e32 v1, v37, v2
	v_and_b32_e32 v35, 0x3c3, v58
	s_wait_storecnt 0x0
	s_wait_loadcnt_dscnt 0x0
	s_barrier_signal -1
	s_barrier_wait -1
	v_dual_add_f32 v9, v40, v45 :: v_dual_add_f32 v8, v42, v47
	v_dual_add_f32 v7, v44, v49 :: v_dual_add_f32 v6, v46, v51
	v_add_f32_e32 v5, v48, v52
	global_inv scope:SCOPE_SE
	v_add_f32_e32 v2, v55, v57
	v_dual_add_f32 v4, v50, v53 :: v_dual_and_b32 v33, 28, v32
	v_add_f32_e32 v0, v36, v56
	v_lshrrev_b32_e32 v32, 2, v32
	v_lshlrev_b32_e32 v34, 10, v34
	s_delay_alu instid0(VALU_DEP_4)
	v_add_nc_u32_e32 v33, 0x220, v33
	v_cmpx_eq_u32_e32 64, v35
	s_cbranch_execz .LBB179_106
; %bb.105:
	s_delay_alu instid0(VALU_DEP_2) | instskip(NEXT) | instid1(VALU_DEP_1)
	v_add_nc_u32_e32 v35, v33, v34
	v_add_nc_u32_e32 v36, 0xfffff800, v35
	;; [unrolled: 1-line block ×9, first 2 shown]
	ds_store_b32 v36, v31
	ds_store_b32 v37, v29
	ds_store_b32 v38, v25
	ds_store_b32 v39, v24
	ds_store_b32 v40, v23
	ds_store_b32 v41, v20
	ds_store_b32 v42, v19
	ds_store_b32 v43, v21
	v_add_nc_u32_e32 v36, 0xfffff900, v35
	v_add_nc_u32_e32 v37, 0xfffff920, v35
	v_add_nc_u32_e32 v38, 0xfffff940, v35
	v_add_nc_u32_e32 v39, 0xfffff960, v35
	v_add_nc_u32_e32 v40, 0xfffff980, v35
	v_add_nc_u32_e32 v41, 0xfffff9a0, v35
	v_add_nc_u32_e32 v42, 0xfffff9c0, v35
	v_add_nc_u32_e32 v43, 0xfffff9e0, v35
	ds_store_b32 v36, v16
	ds_store_b32 v37, v14
	ds_store_b32 v38, v12
	ds_store_b32 v39, v11
	ds_store_b32 v40, v30
	ds_store_b32 v41, v27
	ds_store_b32 v42, v28
	ds_store_b32 v43, v26
	v_add_nc_u32_e32 v36, 0xfffffa00, v35
	v_add_nc_u32_e32 v37, 0xfffffa20, v35
	v_add_nc_u32_e32 v38, 0xfffffa40, v35
	v_add_nc_u32_e32 v39, 0xfffffa60, v35
	v_add_nc_u32_e32 v40, 0xfffffa80, v35
	v_add_nc_u32_e32 v41, 0xfffffaa0, v35
	v_add_nc_u32_e32 v42, 0xfffffac0, v35
	v_add_nc_u32_e32 v43, 0xfffffae0, v35
	;; [unrolled: 16-line block ×3, first 2 shown]
	ds_store_b32 v36, v7
	ds_store_b32 v37, v6
	;; [unrolled: 1-line block ×8, first 2 shown]
.LBB179_106:
	s_wait_alu 0xfffe
	s_or_b32 exec_lo, exec_lo, s0
	v_lshlrev_b32_e32 v32, 2, v32
	s_mov_b32 s1, exec_lo
	v_cmp_eq_u32_e32 vcc_lo, 0, v145
	s_wait_loadcnt_dscnt 0x0
	s_barrier_signal -1
	v_add3_u32 v32, 0x220, v34, v32
	s_barrier_wait -1
	global_inv scope:SCOPE_SE
	v_cmpx_gt_u32_e32 64, v58
	s_cbranch_execz .LBB179_141
; %bb.107:
	s_and_saveexec_b32 s0, vcc_lo
	s_cbranch_execnz .LBB179_181
; %bb.108:
	s_wait_alu 0xfffe
	s_or_b32 exec_lo, exec_lo, s0
	s_and_saveexec_b32 s0, vcc_lo
	s_cbranch_execnz .LBB179_182
.LBB179_109:
	s_wait_alu 0xfffe
	s_or_b32 exec_lo, exec_lo, s0
	s_and_saveexec_b32 s0, vcc_lo
	s_cbranch_execnz .LBB179_183
.LBB179_110:
	s_wait_alu 0xfffe
	s_or_b32 exec_lo, exec_lo, s0
	s_and_saveexec_b32 s0, vcc_lo
	s_cbranch_execnz .LBB179_184
.LBB179_111:
	s_wait_alu 0xfffe
	s_or_b32 exec_lo, exec_lo, s0
	s_and_saveexec_b32 s0, vcc_lo
	s_cbranch_execnz .LBB179_185
.LBB179_112:
	s_wait_alu 0xfffe
	s_or_b32 exec_lo, exec_lo, s0
	s_and_saveexec_b32 s0, vcc_lo
	s_cbranch_execnz .LBB179_186
.LBB179_113:
	s_wait_alu 0xfffe
	s_or_b32 exec_lo, exec_lo, s0
	s_and_saveexec_b32 s0, vcc_lo
	s_cbranch_execnz .LBB179_187
.LBB179_114:
	s_wait_alu 0xfffe
	s_or_b32 exec_lo, exec_lo, s0
	s_and_saveexec_b32 s0, vcc_lo
	s_cbranch_execnz .LBB179_188
.LBB179_115:
	s_wait_alu 0xfffe
	s_or_b32 exec_lo, exec_lo, s0
	s_and_saveexec_b32 s0, vcc_lo
	s_cbranch_execnz .LBB179_189
.LBB179_116:
	s_wait_alu 0xfffe
	s_or_b32 exec_lo, exec_lo, s0
	s_and_saveexec_b32 s0, vcc_lo
	s_cbranch_execnz .LBB179_190
.LBB179_117:
	s_wait_alu 0xfffe
	s_or_b32 exec_lo, exec_lo, s0
	s_and_saveexec_b32 s0, vcc_lo
	s_cbranch_execnz .LBB179_191
.LBB179_118:
	s_wait_alu 0xfffe
	s_or_b32 exec_lo, exec_lo, s0
	s_and_saveexec_b32 s0, vcc_lo
	s_cbranch_execnz .LBB179_192
.LBB179_119:
	s_wait_alu 0xfffe
	s_or_b32 exec_lo, exec_lo, s0
	s_and_saveexec_b32 s0, vcc_lo
	s_cbranch_execnz .LBB179_193
.LBB179_120:
	s_wait_alu 0xfffe
	s_or_b32 exec_lo, exec_lo, s0
	s_and_saveexec_b32 s0, vcc_lo
	s_cbranch_execnz .LBB179_194
.LBB179_121:
	s_wait_alu 0xfffe
	s_or_b32 exec_lo, exec_lo, s0
	s_and_saveexec_b32 s0, vcc_lo
	s_cbranch_execnz .LBB179_195
.LBB179_122:
	s_wait_alu 0xfffe
	s_or_b32 exec_lo, exec_lo, s0
	s_and_saveexec_b32 s0, vcc_lo
	s_cbranch_execnz .LBB179_196
.LBB179_123:
	s_wait_alu 0xfffe
	s_or_b32 exec_lo, exec_lo, s0
	s_and_saveexec_b32 s0, vcc_lo
	s_cbranch_execnz .LBB179_197
.LBB179_124:
	s_wait_alu 0xfffe
	s_or_b32 exec_lo, exec_lo, s0
	s_and_saveexec_b32 s0, vcc_lo
	s_cbranch_execnz .LBB179_198
.LBB179_125:
	s_wait_alu 0xfffe
	s_or_b32 exec_lo, exec_lo, s0
	s_and_saveexec_b32 s0, vcc_lo
	s_cbranch_execnz .LBB179_199
.LBB179_126:
	s_wait_alu 0xfffe
	s_or_b32 exec_lo, exec_lo, s0
	s_and_saveexec_b32 s0, vcc_lo
	s_cbranch_execnz .LBB179_200
.LBB179_127:
	s_wait_alu 0xfffe
	s_or_b32 exec_lo, exec_lo, s0
	s_and_saveexec_b32 s0, vcc_lo
	s_cbranch_execnz .LBB179_201
.LBB179_128:
	s_wait_alu 0xfffe
	s_or_b32 exec_lo, exec_lo, s0
	s_and_saveexec_b32 s0, vcc_lo
	s_cbranch_execnz .LBB179_202
.LBB179_129:
	s_wait_alu 0xfffe
	s_or_b32 exec_lo, exec_lo, s0
	s_and_saveexec_b32 s0, vcc_lo
	s_cbranch_execnz .LBB179_203
.LBB179_130:
	s_wait_alu 0xfffe
	s_or_b32 exec_lo, exec_lo, s0
	s_and_saveexec_b32 s0, vcc_lo
	s_cbranch_execnz .LBB179_204
.LBB179_131:
	s_wait_alu 0xfffe
	s_or_b32 exec_lo, exec_lo, s0
	s_and_saveexec_b32 s0, vcc_lo
	s_cbranch_execnz .LBB179_205
.LBB179_132:
	s_wait_alu 0xfffe
	s_or_b32 exec_lo, exec_lo, s0
	s_and_saveexec_b32 s0, vcc_lo
	s_cbranch_execnz .LBB179_206
.LBB179_133:
	s_wait_alu 0xfffe
	s_or_b32 exec_lo, exec_lo, s0
	s_and_saveexec_b32 s0, vcc_lo
	s_cbranch_execnz .LBB179_207
.LBB179_134:
	s_wait_alu 0xfffe
	s_or_b32 exec_lo, exec_lo, s0
	s_and_saveexec_b32 s0, vcc_lo
	s_cbranch_execnz .LBB179_208
.LBB179_135:
	s_wait_alu 0xfffe
	s_or_b32 exec_lo, exec_lo, s0
	s_and_saveexec_b32 s0, vcc_lo
	s_cbranch_execnz .LBB179_209
.LBB179_136:
	s_wait_alu 0xfffe
	s_or_b32 exec_lo, exec_lo, s0
	s_and_saveexec_b32 s0, vcc_lo
	s_cbranch_execnz .LBB179_210
.LBB179_137:
	s_wait_alu 0xfffe
	s_or_b32 exec_lo, exec_lo, s0
	s_and_saveexec_b32 s0, vcc_lo
	s_cbranch_execnz .LBB179_211
.LBB179_138:
	s_wait_alu 0xfffe
	s_or_b32 exec_lo, exec_lo, s0
	s_and_saveexec_b32 s0, vcc_lo
	s_cbranch_execz .LBB179_140
.LBB179_139:
	ds_load_b32 v34, v32 offset:992
	s_wait_dscnt 0x0
	v_add_f32_e32 v2, v2, v34
.LBB179_140:
	s_wait_alu 0xfffe
	s_or_b32 exec_lo, exec_lo, s0
.LBB179_141:
	s_wait_alu 0xfffe
	s_or_b32 exec_lo, exec_lo, s1
	v_and_b32_e32 v34, 0x3e3, v58
	s_mov_b32 s1, exec_lo
	s_wait_loadcnt 0x0
	s_barrier_signal -1
	s_barrier_wait -1
	global_inv scope:SCOPE_SE
	v_cmpx_eq_u32_e32 32, v34
	s_cbranch_execz .LBB179_143
; %bb.142:
	ds_store_2addr_b32 v33, v31, v29 offset1:8
	ds_store_2addr_b32 v33, v25, v24 offset0:16 offset1:24
	ds_store_2addr_b32 v33, v23, v20 offset0:32 offset1:40
	;; [unrolled: 1-line block ×15, first 2 shown]
.LBB179_143:
	s_wait_alu 0xfffe
	s_or_b32 exec_lo, exec_lo, s1
	s_wait_loadcnt_dscnt 0x0
	s_barrier_signal -1
	s_barrier_wait -1
	global_inv scope:SCOPE_SE
	s_and_saveexec_b32 s0, s2
	s_cbranch_execz .LBB179_178
; %bb.144:
	s_and_saveexec_b32 s1, vcc_lo
	s_cbranch_execnz .LBB179_212
; %bb.145:
	s_wait_alu 0xfffe
	s_or_b32 exec_lo, exec_lo, s1
	s_and_saveexec_b32 s1, vcc_lo
	s_cbranch_execnz .LBB179_213
.LBB179_146:
	s_wait_alu 0xfffe
	s_or_b32 exec_lo, exec_lo, s1
	s_and_saveexec_b32 s1, vcc_lo
	s_cbranch_execnz .LBB179_214
.LBB179_147:
	s_wait_alu 0xfffe
	s_or_b32 exec_lo, exec_lo, s1
	s_and_saveexec_b32 s1, vcc_lo
	s_cbranch_execnz .LBB179_215
.LBB179_148:
	s_wait_alu 0xfffe
	s_or_b32 exec_lo, exec_lo, s1
	s_and_saveexec_b32 s1, vcc_lo
	s_cbranch_execnz .LBB179_216
.LBB179_149:
	s_wait_alu 0xfffe
	s_or_b32 exec_lo, exec_lo, s1
	s_and_saveexec_b32 s1, vcc_lo
	s_cbranch_execnz .LBB179_217
.LBB179_150:
	s_wait_alu 0xfffe
	s_or_b32 exec_lo, exec_lo, s1
	s_and_saveexec_b32 s1, vcc_lo
	s_cbranch_execnz .LBB179_218
.LBB179_151:
	s_wait_alu 0xfffe
	s_or_b32 exec_lo, exec_lo, s1
	s_and_saveexec_b32 s1, vcc_lo
	s_cbranch_execnz .LBB179_219
.LBB179_152:
	s_wait_alu 0xfffe
	s_or_b32 exec_lo, exec_lo, s1
	s_and_saveexec_b32 s1, vcc_lo
	s_cbranch_execnz .LBB179_220
.LBB179_153:
	s_wait_alu 0xfffe
	s_or_b32 exec_lo, exec_lo, s1
	s_and_saveexec_b32 s1, vcc_lo
	s_cbranch_execnz .LBB179_221
.LBB179_154:
	s_wait_alu 0xfffe
	s_or_b32 exec_lo, exec_lo, s1
	s_and_saveexec_b32 s1, vcc_lo
	s_cbranch_execnz .LBB179_222
.LBB179_155:
	s_wait_alu 0xfffe
	s_or_b32 exec_lo, exec_lo, s1
	s_and_saveexec_b32 s1, vcc_lo
	s_cbranch_execnz .LBB179_223
.LBB179_156:
	s_wait_alu 0xfffe
	s_or_b32 exec_lo, exec_lo, s1
	s_and_saveexec_b32 s1, vcc_lo
	s_cbranch_execnz .LBB179_224
.LBB179_157:
	s_wait_alu 0xfffe
	s_or_b32 exec_lo, exec_lo, s1
	s_and_saveexec_b32 s1, vcc_lo
	s_cbranch_execnz .LBB179_225
.LBB179_158:
	s_wait_alu 0xfffe
	s_or_b32 exec_lo, exec_lo, s1
	s_and_saveexec_b32 s1, vcc_lo
	s_cbranch_execnz .LBB179_226
.LBB179_159:
	s_wait_alu 0xfffe
	s_or_b32 exec_lo, exec_lo, s1
	s_and_saveexec_b32 s1, vcc_lo
	s_cbranch_execnz .LBB179_227
.LBB179_160:
	s_wait_alu 0xfffe
	s_or_b32 exec_lo, exec_lo, s1
	s_and_saveexec_b32 s1, vcc_lo
	s_cbranch_execnz .LBB179_228
.LBB179_161:
	s_wait_alu 0xfffe
	s_or_b32 exec_lo, exec_lo, s1
	s_and_saveexec_b32 s1, vcc_lo
	s_cbranch_execnz .LBB179_229
.LBB179_162:
	s_wait_alu 0xfffe
	s_or_b32 exec_lo, exec_lo, s1
	s_and_saveexec_b32 s1, vcc_lo
	s_cbranch_execnz .LBB179_230
.LBB179_163:
	s_wait_alu 0xfffe
	s_or_b32 exec_lo, exec_lo, s1
	s_and_saveexec_b32 s1, vcc_lo
	s_cbranch_execnz .LBB179_231
.LBB179_164:
	s_wait_alu 0xfffe
	s_or_b32 exec_lo, exec_lo, s1
	s_and_saveexec_b32 s1, vcc_lo
	s_cbranch_execnz .LBB179_232
.LBB179_165:
	s_wait_alu 0xfffe
	s_or_b32 exec_lo, exec_lo, s1
	s_and_saveexec_b32 s1, vcc_lo
	s_cbranch_execnz .LBB179_233
.LBB179_166:
	s_wait_alu 0xfffe
	s_or_b32 exec_lo, exec_lo, s1
	s_and_saveexec_b32 s1, vcc_lo
	s_cbranch_execnz .LBB179_234
.LBB179_167:
	s_wait_alu 0xfffe
	s_or_b32 exec_lo, exec_lo, s1
	s_and_saveexec_b32 s1, vcc_lo
	s_cbranch_execnz .LBB179_235
.LBB179_168:
	s_wait_alu 0xfffe
	s_or_b32 exec_lo, exec_lo, s1
	s_and_saveexec_b32 s1, vcc_lo
	s_cbranch_execnz .LBB179_236
.LBB179_169:
	s_wait_alu 0xfffe
	s_or_b32 exec_lo, exec_lo, s1
	s_and_saveexec_b32 s1, vcc_lo
	s_cbranch_execnz .LBB179_237
.LBB179_170:
	s_wait_alu 0xfffe
	s_or_b32 exec_lo, exec_lo, s1
	s_and_saveexec_b32 s1, vcc_lo
	s_cbranch_execnz .LBB179_238
.LBB179_171:
	s_wait_alu 0xfffe
	s_or_b32 exec_lo, exec_lo, s1
	s_and_saveexec_b32 s1, vcc_lo
	s_cbranch_execnz .LBB179_239
.LBB179_172:
	s_wait_alu 0xfffe
	s_or_b32 exec_lo, exec_lo, s1
	s_and_saveexec_b32 s1, vcc_lo
	s_cbranch_execnz .LBB179_240
.LBB179_173:
	s_wait_alu 0xfffe
	s_or_b32 exec_lo, exec_lo, s1
	s_and_saveexec_b32 s1, vcc_lo
	s_cbranch_execnz .LBB179_241
.LBB179_174:
	s_wait_alu 0xfffe
	s_or_b32 exec_lo, exec_lo, s1
	s_and_saveexec_b32 s1, vcc_lo
	s_cbranch_execnz .LBB179_242
.LBB179_175:
	s_wait_alu 0xfffe
	s_or_b32 exec_lo, exec_lo, s1
	s_and_saveexec_b32 s1, vcc_lo
	s_cbranch_execz .LBB179_177
.LBB179_176:
	ds_load_b32 v32, v32 offset:992
	s_wait_dscnt 0x0
	v_add_f32_e32 v2, v2, v32
.LBB179_177:
	s_wait_alu 0xfffe
	s_or_b32 exec_lo, exec_lo, s1
.LBB179_178:
	s_wait_alu 0xfffe
	s_or_b32 exec_lo, exec_lo, s0
	s_mov_b32 s7, 0
	s_wait_loadcnt 0x0
	s_barrier_signal -1
	s_barrier_wait -1
	global_inv scope:SCOPE_SE
	s_mov_b32 s0, exec_lo
	v_cmpx_eq_u32_e32 0, v34
	s_cbranch_execz .LBB179_180
; %bb.179:
	v_bfe_u32 v32, v31, 16, 1
	v_bfe_u32 v33, v29, 16, 1
	v_or_b32_e32 v35, 0x400000, v31
	v_cmp_u_f32_e32 vcc_lo, v31, v31
	v_or_b32_e32 v36, 0x400000, v29
	v_add3_u32 v32, v32, v31, 0x7fff
	v_add3_u32 v33, v33, v29, 0x7fff
	v_bfe_u32 v37, v25, 16, 1
	s_lshl_b32 s0, s4, 8
	s_mul_i32 s2, s11, s20
	s_wait_alu 0xfffd
	v_cndmask_b32_e32 v31, v32, v35, vcc_lo
	v_bfe_u32 v32, v24, 16, 1
	v_cmp_u_f32_e32 vcc_lo, v29, v29
	v_or_b32_e32 v35, 0x400000, v25
	s_wait_alu 0xfffe
	s_ashr_i32 s1, s0, 31
	v_or_b32_e32 v38, 0x400000, v21
	v_add3_u32 v32, v32, v24, 0x7fff
	s_wait_alu 0xfffd
	v_cndmask_b32_e32 v29, v33, v36, vcc_lo
	v_add3_u32 v33, v37, v25, 0x7fff
	v_cmp_u_f32_e32 vcc_lo, v25, v25
	v_bfe_u32 v36, v23, 16, 1
	v_or_b32_e32 v37, 0x400000, v24
	s_ashr_i32 s3, s2, 31
	s_wait_alu 0xfffe
	s_lshl_b64 s[0:1], s[0:1], 1
	s_wait_alu 0xfffd
	v_cndmask_b32_e32 v25, v33, v35, vcc_lo
	v_cmp_u_f32_e32 vcc_lo, v24, v24
	v_add3_u32 v33, v36, v23, 0x7fff
	v_or_b32_e32 v35, 0x400000, v23
	v_bfe_u32 v36, v19, 16, 1
	s_lshl_b64 s[2:3], s[2:3], 1
	s_wait_alu 0xfffd
	v_cndmask_b32_e32 v24, v32, v37, vcc_lo
	v_bfe_u32 v32, v20, 16, 1
	v_cmp_u_f32_e32 vcc_lo, v23, v23
	v_add3_u32 v36, v36, v19, 0x7fff
	v_or_b32_e32 v37, 0x400000, v19
	s_wait_kmcnt 0x0
	s_wait_alu 0xfffe
	s_add_nc_u64 s[0:1], s[18:19], s[0:1]
	v_add3_u32 v32, v32, v20, 0x7fff
	s_wait_alu 0xfffd
	v_cndmask_b32_e32 v23, v33, v35, vcc_lo
	v_bfe_u32 v33, v21, 16, 1
	v_or_b32_e32 v35, 0x400000, v20
	v_cmp_u_f32_e32 vcc_lo, v20, v20
	v_lshrrev_b32_e32 v34, 1, v58
	s_wait_alu 0xfffe
	s_add_nc_u64 s[0:1], s[0:1], s[2:3]
	v_add3_u32 v33, v33, v21, 0x7fff
	s_wait_alu 0xfffe
	s_add_nc_u64 s[0:1], s[0:1], s[6:7]
	s_wait_alu 0xfffd
	v_cndmask_b32_e32 v20, v32, v35, vcc_lo
	v_cmp_u_f32_e32 vcc_lo, v19, v19
	v_bfe_u32 v32, v16, 16, 1
	s_wait_alu 0xfffd
	v_cndmask_b32_e32 v19, v36, v37, vcc_lo
	v_cmp_u_f32_e32 vcc_lo, v21, v21
	s_wait_alu 0xfffd
	v_cndmask_b32_e32 v21, v33, v38, vcc_lo
	v_bfe_u32 v33, v14, 16, 1
	s_clause 0x7
	global_store_d16_hi_b16 v34, v31, s[0:1]
	global_store_d16_hi_b16 v34, v29, s[0:1] offset:16
	global_store_d16_hi_b16 v34, v25, s[0:1] offset:32
	;; [unrolled: 1-line block ×7, first 2 shown]
	v_add3_u32 v19, v32, v16, 0x7fff
	v_or_b32_e32 v20, 0x400000, v16
	v_cmp_u_f32_e32 vcc_lo, v16, v16
	v_add3_u32 v21, v33, v14, 0x7fff
	v_or_b32_e32 v23, 0x400000, v14
	v_bfe_u32 v24, v12, 16, 1
	v_or_b32_e32 v25, 0x400000, v28
	s_wait_alu 0xfffd
	v_cndmask_b32_e32 v16, v19, v20, vcc_lo
	v_cmp_u_f32_e32 vcc_lo, v14, v14
	v_bfe_u32 v19, v11, 16, 1
	v_add3_u32 v20, v24, v12, 0x7fff
	v_or_b32_e32 v24, 0x400000, v11
	v_or_b32_e32 v29, 0x400000, v26
	s_wait_alu 0xfffd
	v_cndmask_b32_e32 v14, v21, v23, vcc_lo
	v_or_b32_e32 v21, 0x400000, v12
	v_cmp_u_f32_e32 vcc_lo, v12, v12
	v_bfe_u32 v23, v30, 16, 1
	v_add3_u32 v19, v19, v11, 0x7fff
	s_wait_alu 0xfffd
	v_cndmask_b32_e32 v12, v20, v21, vcc_lo
	v_cmp_u_f32_e32 vcc_lo, v11, v11
	v_add3_u32 v20, v23, v30, 0x7fff
	v_or_b32_e32 v21, 0x400000, v30
	v_bfe_u32 v23, v28, 16, 1
	s_wait_alu 0xfffd
	v_cndmask_b32_e32 v11, v19, v24, vcc_lo
	v_bfe_u32 v19, v27, 16, 1
	v_cmp_u_f32_e32 vcc_lo, v30, v30
	v_or_b32_e32 v24, 0x400000, v27
	v_add3_u32 v23, v23, v28, 0x7fff
	s_delay_alu instid0(VALU_DEP_4)
	v_add3_u32 v19, v19, v27, 0x7fff
	s_wait_alu 0xfffd
	v_cndmask_b32_e32 v20, v20, v21, vcc_lo
	v_cmp_u_f32_e32 vcc_lo, v27, v27
	v_bfe_u32 v21, v26, 16, 1
	s_wait_alu 0xfffd
	v_cndmask_b32_e32 v19, v19, v24, vcc_lo
	v_cmp_u_f32_e32 vcc_lo, v28, v28
	s_delay_alu instid0(VALU_DEP_3)
	v_add3_u32 v21, v21, v26, 0x7fff
	v_bfe_u32 v24, v22, 16, 1
	s_wait_alu 0xfffd
	v_cndmask_b32_e32 v23, v23, v25, vcc_lo
	v_cmp_u_f32_e32 vcc_lo, v26, v26
	v_bfe_u32 v25, v18, 16, 1
	s_wait_alu 0xfffd
	v_cndmask_b32_e32 v21, v21, v29, vcc_lo
	s_clause 0x7
	global_store_d16_hi_b16 v34, v16, s[0:1] offset:128
	global_store_d16_hi_b16 v34, v14, s[0:1] offset:144
	;; [unrolled: 1-line block ×8, first 2 shown]
	v_add3_u32 v11, v24, v22, 0x7fff
	v_or_b32_e32 v12, 0x400000, v22
	v_cmp_u_f32_e32 vcc_lo, v22, v22
	v_add3_u32 v14, v25, v18, 0x7fff
	v_or_b32_e32 v16, 0x400000, v18
	v_bfe_u32 v19, v17, 16, 1
	v_or_b32_e32 v20, 0x400000, v15
	s_wait_alu 0xfffd
	v_cndmask_b32_e32 v11, v11, v12, vcc_lo
	v_cmp_u_f32_e32 vcc_lo, v18, v18
	v_bfe_u32 v12, v15, 16, 1
	v_or_b32_e32 v18, 0x400000, v17
	v_or_b32_e32 v21, 0x400000, v8
	s_wait_alu 0xfffd
	v_cndmask_b32_e32 v14, v14, v16, vcc_lo
	v_add3_u32 v16, v19, v17, 0x7fff
	v_cmp_u_f32_e32 vcc_lo, v17, v17
	v_bfe_u32 v19, v13, 16, 1
	v_add3_u32 v12, v12, v15, 0x7fff
	s_wait_alu 0xfffd
	v_cndmask_b32_e32 v16, v16, v18, vcc_lo
	v_cmp_u_f32_e32 vcc_lo, v15, v15
	v_add3_u32 v17, v19, v13, 0x7fff
	v_or_b32_e32 v18, 0x400000, v13
	v_bfe_u32 v15, v10, 16, 1
	v_bfe_u32 v19, v9, 16, 1
	s_wait_alu 0xfffd
	v_cndmask_b32_e32 v12, v12, v20, vcc_lo
	v_cmp_u_f32_e32 vcc_lo, v13, v13
	v_or_b32_e32 v20, 0x400000, v9
	v_add3_u32 v15, v15, v10, 0x7fff
	v_add3_u32 v19, v19, v9, 0x7fff
	s_wait_alu 0xfffd
	v_cndmask_b32_e32 v13, v17, v18, vcc_lo
	v_or_b32_e32 v18, 0x400000, v10
	v_cmp_u_f32_e32 vcc_lo, v10, v10
	v_bfe_u32 v17, v8, 16, 1
	s_wait_alu 0xfffd
	s_delay_alu instid0(VALU_DEP_3) | instskip(SKIP_1) | instid1(VALU_DEP_3)
	v_cndmask_b32_e32 v10, v15, v18, vcc_lo
	v_cmp_u_f32_e32 vcc_lo, v9, v9
	v_add3_u32 v17, v17, v8, 0x7fff
	v_bfe_u32 v15, v7, 16, 1
	s_wait_alu 0xfffd
	v_cndmask_b32_e32 v9, v19, v20, vcc_lo
	v_cmp_u_f32_e32 vcc_lo, v8, v8
	s_wait_alu 0xfffd
	v_cndmask_b32_e32 v8, v17, v21, vcc_lo
	v_bfe_u32 v17, v6, 16, 1
	s_clause 0x7
	global_store_d16_hi_b16 v34, v11, s[0:1] offset:256
	global_store_d16_hi_b16 v34, v14, s[0:1] offset:272
	;; [unrolled: 1-line block ×8, first 2 shown]
	v_add3_u32 v8, v15, v7, 0x7fff
	v_or_b32_e32 v9, 0x400000, v7
	v_cmp_u_f32_e32 vcc_lo, v7, v7
	v_add3_u32 v10, v17, v6, 0x7fff
	v_or_b32_e32 v11, 0x400000, v6
	v_bfe_u32 v12, v5, 16, 1
	v_or_b32_e32 v13, 0x400000, v2
	s_wait_alu 0xfffd
	v_cndmask_b32_e32 v7, v8, v9, vcc_lo
	v_cmp_u_f32_e32 vcc_lo, v6, v6
	v_bfe_u32 v8, v4, 16, 1
	v_add3_u32 v9, v12, v5, 0x7fff
	v_or_b32_e32 v12, 0x400000, v4
	s_wait_alu 0xfffd
	v_cndmask_b32_e32 v6, v10, v11, vcc_lo
	v_or_b32_e32 v10, 0x400000, v5
	v_cmp_u_f32_e32 vcc_lo, v5, v5
	v_bfe_u32 v11, v3, 16, 1
	v_add3_u32 v8, v8, v4, 0x7fff
	s_wait_alu 0xfffd
	v_cndmask_b32_e32 v5, v9, v10, vcc_lo
	v_cmp_u_f32_e32 vcc_lo, v4, v4
	v_add3_u32 v9, v11, v3, 0x7fff
	v_or_b32_e32 v10, 0x400000, v3
	v_bfe_u32 v11, v1, 16, 1
	s_wait_alu 0xfffd
	v_cndmask_b32_e32 v4, v8, v12, vcc_lo
	v_bfe_u32 v8, v0, 16, 1
	v_cmp_u_f32_e32 vcc_lo, v3, v3
	v_add3_u32 v11, v11, v1, 0x7fff
	v_or_b32_e32 v12, 0x400000, v1
	s_delay_alu instid0(VALU_DEP_4)
	v_add3_u32 v8, v8, v0, 0x7fff
	s_wait_alu 0xfffd
	v_cndmask_b32_e32 v3, v9, v10, vcc_lo
	v_or_b32_e32 v10, 0x400000, v0
	v_cmp_u_f32_e32 vcc_lo, v0, v0
	v_bfe_u32 v9, v2, 16, 1
	s_wait_alu 0xfffd
	s_delay_alu instid0(VALU_DEP_3) | instskip(SKIP_1) | instid1(VALU_DEP_3)
	v_cndmask_b32_e32 v0, v8, v10, vcc_lo
	v_cmp_u_f32_e32 vcc_lo, v1, v1
	v_add3_u32 v9, v9, v2, 0x7fff
	s_wait_alu 0xfffd
	v_cndmask_b32_e32 v1, v11, v12, vcc_lo
	v_cmp_u_f32_e32 vcc_lo, v2, v2
	s_wait_alu 0xfffd
	v_cndmask_b32_e32 v2, v9, v13, vcc_lo
	s_clause 0x7
	global_store_d16_hi_b16 v34, v7, s[0:1] offset:384
	global_store_d16_hi_b16 v34, v6, s[0:1] offset:400
	;; [unrolled: 1-line block ×8, first 2 shown]
.LBB179_180:
	s_nop 0
	s_sendmsg sendmsg(MSG_DEALLOC_VGPRS)
	s_endpgm
.LBB179_181:
	ds_load_b32 v34, v32
	s_wait_dscnt 0x0
	v_add_f32_e32 v31, v31, v34
	s_wait_alu 0xfffe
	s_or_b32 exec_lo, exec_lo, s0
	s_and_saveexec_b32 s0, vcc_lo
	s_cbranch_execz .LBB179_109
.LBB179_182:
	ds_load_b32 v34, v32 offset:32
	s_wait_dscnt 0x0
	v_add_f32_e32 v29, v29, v34
	s_wait_alu 0xfffe
	s_or_b32 exec_lo, exec_lo, s0
	s_and_saveexec_b32 s0, vcc_lo
	s_cbranch_execz .LBB179_110
.LBB179_183:
	ds_load_b32 v34, v32 offset:64
	s_wait_dscnt 0x0
	v_add_f32_e32 v25, v25, v34
	s_wait_alu 0xfffe
	s_or_b32 exec_lo, exec_lo, s0
	s_and_saveexec_b32 s0, vcc_lo
	s_cbranch_execz .LBB179_111
.LBB179_184:
	ds_load_b32 v34, v32 offset:96
	s_wait_dscnt 0x0
	v_add_f32_e32 v24, v24, v34
	s_wait_alu 0xfffe
	s_or_b32 exec_lo, exec_lo, s0
	s_and_saveexec_b32 s0, vcc_lo
	s_cbranch_execz .LBB179_112
.LBB179_185:
	ds_load_b32 v34, v32 offset:128
	s_wait_dscnt 0x0
	v_add_f32_e32 v23, v23, v34
	s_wait_alu 0xfffe
	s_or_b32 exec_lo, exec_lo, s0
	s_and_saveexec_b32 s0, vcc_lo
	s_cbranch_execz .LBB179_113
.LBB179_186:
	ds_load_b32 v34, v32 offset:160
	s_wait_dscnt 0x0
	v_add_f32_e32 v20, v20, v34
	s_wait_alu 0xfffe
	s_or_b32 exec_lo, exec_lo, s0
	s_and_saveexec_b32 s0, vcc_lo
	s_cbranch_execz .LBB179_114
.LBB179_187:
	ds_load_b32 v34, v32 offset:192
	s_wait_dscnt 0x0
	v_add_f32_e32 v19, v19, v34
	s_wait_alu 0xfffe
	s_or_b32 exec_lo, exec_lo, s0
	s_and_saveexec_b32 s0, vcc_lo
	s_cbranch_execz .LBB179_115
.LBB179_188:
	ds_load_b32 v34, v32 offset:224
	s_wait_dscnt 0x0
	v_add_f32_e32 v21, v21, v34
	s_wait_alu 0xfffe
	s_or_b32 exec_lo, exec_lo, s0
	s_and_saveexec_b32 s0, vcc_lo
	s_cbranch_execz .LBB179_116
.LBB179_189:
	ds_load_b32 v34, v32 offset:256
	s_wait_dscnt 0x0
	v_add_f32_e32 v16, v16, v34
	s_wait_alu 0xfffe
	s_or_b32 exec_lo, exec_lo, s0
	s_and_saveexec_b32 s0, vcc_lo
	s_cbranch_execz .LBB179_117
.LBB179_190:
	ds_load_b32 v34, v32 offset:288
	s_wait_dscnt 0x0
	v_add_f32_e32 v14, v14, v34
	s_wait_alu 0xfffe
	s_or_b32 exec_lo, exec_lo, s0
	s_and_saveexec_b32 s0, vcc_lo
	s_cbranch_execz .LBB179_118
.LBB179_191:
	ds_load_b32 v34, v32 offset:320
	s_wait_dscnt 0x0
	v_add_f32_e32 v12, v12, v34
	s_wait_alu 0xfffe
	s_or_b32 exec_lo, exec_lo, s0
	s_and_saveexec_b32 s0, vcc_lo
	s_cbranch_execz .LBB179_119
.LBB179_192:
	ds_load_b32 v34, v32 offset:352
	s_wait_dscnt 0x0
	v_add_f32_e32 v11, v11, v34
	s_wait_alu 0xfffe
	s_or_b32 exec_lo, exec_lo, s0
	s_and_saveexec_b32 s0, vcc_lo
	s_cbranch_execz .LBB179_120
.LBB179_193:
	ds_load_b32 v34, v32 offset:384
	s_wait_dscnt 0x0
	v_add_f32_e32 v30, v30, v34
	s_wait_alu 0xfffe
	s_or_b32 exec_lo, exec_lo, s0
	s_and_saveexec_b32 s0, vcc_lo
	s_cbranch_execz .LBB179_121
.LBB179_194:
	ds_load_b32 v34, v32 offset:416
	s_wait_dscnt 0x0
	v_add_f32_e32 v27, v27, v34
	s_wait_alu 0xfffe
	s_or_b32 exec_lo, exec_lo, s0
	s_and_saveexec_b32 s0, vcc_lo
	s_cbranch_execz .LBB179_122
.LBB179_195:
	ds_load_b32 v34, v32 offset:448
	s_wait_dscnt 0x0
	v_add_f32_e32 v28, v28, v34
	s_wait_alu 0xfffe
	s_or_b32 exec_lo, exec_lo, s0
	s_and_saveexec_b32 s0, vcc_lo
	s_cbranch_execz .LBB179_123
.LBB179_196:
	ds_load_b32 v34, v32 offset:480
	s_wait_dscnt 0x0
	v_add_f32_e32 v26, v26, v34
	s_wait_alu 0xfffe
	s_or_b32 exec_lo, exec_lo, s0
	s_and_saveexec_b32 s0, vcc_lo
	s_cbranch_execz .LBB179_124
.LBB179_197:
	ds_load_b32 v34, v32 offset:512
	s_wait_dscnt 0x0
	v_add_f32_e32 v22, v22, v34
	s_wait_alu 0xfffe
	s_or_b32 exec_lo, exec_lo, s0
	s_and_saveexec_b32 s0, vcc_lo
	s_cbranch_execz .LBB179_125
.LBB179_198:
	ds_load_b32 v34, v32 offset:544
	s_wait_dscnt 0x0
	v_add_f32_e32 v18, v18, v34
	s_wait_alu 0xfffe
	s_or_b32 exec_lo, exec_lo, s0
	s_and_saveexec_b32 s0, vcc_lo
	s_cbranch_execz .LBB179_126
.LBB179_199:
	ds_load_b32 v34, v32 offset:576
	s_wait_dscnt 0x0
	v_add_f32_e32 v17, v17, v34
	s_wait_alu 0xfffe
	s_or_b32 exec_lo, exec_lo, s0
	s_and_saveexec_b32 s0, vcc_lo
	s_cbranch_execz .LBB179_127
.LBB179_200:
	ds_load_b32 v34, v32 offset:608
	s_wait_dscnt 0x0
	v_add_f32_e32 v15, v15, v34
	s_wait_alu 0xfffe
	s_or_b32 exec_lo, exec_lo, s0
	s_and_saveexec_b32 s0, vcc_lo
	s_cbranch_execz .LBB179_128
.LBB179_201:
	ds_load_b32 v34, v32 offset:640
	s_wait_dscnt 0x0
	v_add_f32_e32 v13, v13, v34
	s_wait_alu 0xfffe
	s_or_b32 exec_lo, exec_lo, s0
	s_and_saveexec_b32 s0, vcc_lo
	s_cbranch_execz .LBB179_129
.LBB179_202:
	ds_load_b32 v34, v32 offset:672
	s_wait_dscnt 0x0
	v_add_f32_e32 v10, v10, v34
	s_wait_alu 0xfffe
	s_or_b32 exec_lo, exec_lo, s0
	s_and_saveexec_b32 s0, vcc_lo
	s_cbranch_execz .LBB179_130
.LBB179_203:
	ds_load_b32 v34, v32 offset:704
	s_wait_dscnt 0x0
	v_add_f32_e32 v9, v9, v34
	s_wait_alu 0xfffe
	s_or_b32 exec_lo, exec_lo, s0
	s_and_saveexec_b32 s0, vcc_lo
	s_cbranch_execz .LBB179_131
.LBB179_204:
	ds_load_b32 v34, v32 offset:736
	s_wait_dscnt 0x0
	v_add_f32_e32 v8, v8, v34
	s_wait_alu 0xfffe
	s_or_b32 exec_lo, exec_lo, s0
	s_and_saveexec_b32 s0, vcc_lo
	s_cbranch_execz .LBB179_132
.LBB179_205:
	ds_load_b32 v34, v32 offset:768
	s_wait_dscnt 0x0
	v_add_f32_e32 v7, v7, v34
	s_wait_alu 0xfffe
	s_or_b32 exec_lo, exec_lo, s0
	s_and_saveexec_b32 s0, vcc_lo
	s_cbranch_execz .LBB179_133
.LBB179_206:
	ds_load_b32 v34, v32 offset:800
	s_wait_dscnt 0x0
	v_add_f32_e32 v6, v6, v34
	s_wait_alu 0xfffe
	s_or_b32 exec_lo, exec_lo, s0
	s_and_saveexec_b32 s0, vcc_lo
	s_cbranch_execz .LBB179_134
.LBB179_207:
	ds_load_b32 v34, v32 offset:832
	s_wait_dscnt 0x0
	v_add_f32_e32 v5, v5, v34
	s_wait_alu 0xfffe
	s_or_b32 exec_lo, exec_lo, s0
	s_and_saveexec_b32 s0, vcc_lo
	s_cbranch_execz .LBB179_135
.LBB179_208:
	ds_load_b32 v34, v32 offset:864
	s_wait_dscnt 0x0
	v_add_f32_e32 v4, v4, v34
	s_wait_alu 0xfffe
	s_or_b32 exec_lo, exec_lo, s0
	s_and_saveexec_b32 s0, vcc_lo
	s_cbranch_execz .LBB179_136
.LBB179_209:
	ds_load_b32 v34, v32 offset:896
	s_wait_dscnt 0x0
	v_add_f32_e32 v3, v3, v34
	s_wait_alu 0xfffe
	s_or_b32 exec_lo, exec_lo, s0
	s_and_saveexec_b32 s0, vcc_lo
	s_cbranch_execz .LBB179_137
.LBB179_210:
	ds_load_b32 v34, v32 offset:928
	s_wait_dscnt 0x0
	v_add_f32_e32 v0, v0, v34
	s_wait_alu 0xfffe
	s_or_b32 exec_lo, exec_lo, s0
	s_and_saveexec_b32 s0, vcc_lo
	s_cbranch_execz .LBB179_138
.LBB179_211:
	ds_load_b32 v34, v32 offset:960
	s_wait_dscnt 0x0
	v_add_f32_e32 v1, v1, v34
	s_wait_alu 0xfffe
	s_or_b32 exec_lo, exec_lo, s0
	s_and_saveexec_b32 s0, vcc_lo
	s_cbranch_execnz .LBB179_139
	s_branch .LBB179_140
.LBB179_212:
	ds_load_b32 v33, v32
	s_wait_dscnt 0x0
	v_add_f32_e32 v31, v31, v33
	s_wait_alu 0xfffe
	s_or_b32 exec_lo, exec_lo, s1
	s_and_saveexec_b32 s1, vcc_lo
	s_cbranch_execz .LBB179_146
.LBB179_213:
	ds_load_b32 v33, v32 offset:32
	s_wait_dscnt 0x0
	v_add_f32_e32 v29, v29, v33
	s_wait_alu 0xfffe
	s_or_b32 exec_lo, exec_lo, s1
	s_and_saveexec_b32 s1, vcc_lo
	s_cbranch_execz .LBB179_147
.LBB179_214:
	ds_load_b32 v33, v32 offset:64
	s_wait_dscnt 0x0
	v_add_f32_e32 v25, v25, v33
	s_wait_alu 0xfffe
	s_or_b32 exec_lo, exec_lo, s1
	s_and_saveexec_b32 s1, vcc_lo
	s_cbranch_execz .LBB179_148
.LBB179_215:
	ds_load_b32 v33, v32 offset:96
	s_wait_dscnt 0x0
	v_add_f32_e32 v24, v24, v33
	s_wait_alu 0xfffe
	s_or_b32 exec_lo, exec_lo, s1
	s_and_saveexec_b32 s1, vcc_lo
	s_cbranch_execz .LBB179_149
.LBB179_216:
	ds_load_b32 v33, v32 offset:128
	s_wait_dscnt 0x0
	v_add_f32_e32 v23, v23, v33
	s_wait_alu 0xfffe
	s_or_b32 exec_lo, exec_lo, s1
	s_and_saveexec_b32 s1, vcc_lo
	s_cbranch_execz .LBB179_150
.LBB179_217:
	ds_load_b32 v33, v32 offset:160
	s_wait_dscnt 0x0
	v_add_f32_e32 v20, v20, v33
	s_wait_alu 0xfffe
	s_or_b32 exec_lo, exec_lo, s1
	s_and_saveexec_b32 s1, vcc_lo
	s_cbranch_execz .LBB179_151
.LBB179_218:
	ds_load_b32 v33, v32 offset:192
	s_wait_dscnt 0x0
	v_add_f32_e32 v19, v19, v33
	s_wait_alu 0xfffe
	s_or_b32 exec_lo, exec_lo, s1
	s_and_saveexec_b32 s1, vcc_lo
	s_cbranch_execz .LBB179_152
.LBB179_219:
	ds_load_b32 v33, v32 offset:224
	s_wait_dscnt 0x0
	v_add_f32_e32 v21, v21, v33
	s_wait_alu 0xfffe
	s_or_b32 exec_lo, exec_lo, s1
	s_and_saveexec_b32 s1, vcc_lo
	s_cbranch_execz .LBB179_153
.LBB179_220:
	ds_load_b32 v33, v32 offset:256
	s_wait_dscnt 0x0
	v_add_f32_e32 v16, v16, v33
	s_wait_alu 0xfffe
	s_or_b32 exec_lo, exec_lo, s1
	s_and_saveexec_b32 s1, vcc_lo
	s_cbranch_execz .LBB179_154
.LBB179_221:
	ds_load_b32 v33, v32 offset:288
	s_wait_dscnt 0x0
	v_add_f32_e32 v14, v14, v33
	s_wait_alu 0xfffe
	s_or_b32 exec_lo, exec_lo, s1
	s_and_saveexec_b32 s1, vcc_lo
	s_cbranch_execz .LBB179_155
.LBB179_222:
	ds_load_b32 v33, v32 offset:320
	s_wait_dscnt 0x0
	v_add_f32_e32 v12, v12, v33
	s_wait_alu 0xfffe
	s_or_b32 exec_lo, exec_lo, s1
	s_and_saveexec_b32 s1, vcc_lo
	s_cbranch_execz .LBB179_156
.LBB179_223:
	ds_load_b32 v33, v32 offset:352
	s_wait_dscnt 0x0
	v_add_f32_e32 v11, v11, v33
	s_wait_alu 0xfffe
	s_or_b32 exec_lo, exec_lo, s1
	s_and_saveexec_b32 s1, vcc_lo
	s_cbranch_execz .LBB179_157
.LBB179_224:
	ds_load_b32 v33, v32 offset:384
	s_wait_dscnt 0x0
	v_add_f32_e32 v30, v30, v33
	s_wait_alu 0xfffe
	s_or_b32 exec_lo, exec_lo, s1
	s_and_saveexec_b32 s1, vcc_lo
	s_cbranch_execz .LBB179_158
.LBB179_225:
	ds_load_b32 v33, v32 offset:416
	s_wait_dscnt 0x0
	v_add_f32_e32 v27, v27, v33
	s_wait_alu 0xfffe
	s_or_b32 exec_lo, exec_lo, s1
	s_and_saveexec_b32 s1, vcc_lo
	s_cbranch_execz .LBB179_159
.LBB179_226:
	ds_load_b32 v33, v32 offset:448
	s_wait_dscnt 0x0
	v_add_f32_e32 v28, v28, v33
	s_wait_alu 0xfffe
	s_or_b32 exec_lo, exec_lo, s1
	s_and_saveexec_b32 s1, vcc_lo
	s_cbranch_execz .LBB179_160
.LBB179_227:
	ds_load_b32 v33, v32 offset:480
	s_wait_dscnt 0x0
	v_add_f32_e32 v26, v26, v33
	s_wait_alu 0xfffe
	s_or_b32 exec_lo, exec_lo, s1
	s_and_saveexec_b32 s1, vcc_lo
	s_cbranch_execz .LBB179_161
.LBB179_228:
	ds_load_b32 v33, v32 offset:512
	s_wait_dscnt 0x0
	v_add_f32_e32 v22, v22, v33
	s_wait_alu 0xfffe
	s_or_b32 exec_lo, exec_lo, s1
	s_and_saveexec_b32 s1, vcc_lo
	s_cbranch_execz .LBB179_162
.LBB179_229:
	ds_load_b32 v33, v32 offset:544
	s_wait_dscnt 0x0
	v_add_f32_e32 v18, v18, v33
	s_wait_alu 0xfffe
	s_or_b32 exec_lo, exec_lo, s1
	s_and_saveexec_b32 s1, vcc_lo
	s_cbranch_execz .LBB179_163
.LBB179_230:
	ds_load_b32 v33, v32 offset:576
	s_wait_dscnt 0x0
	v_add_f32_e32 v17, v17, v33
	s_wait_alu 0xfffe
	s_or_b32 exec_lo, exec_lo, s1
	s_and_saveexec_b32 s1, vcc_lo
	s_cbranch_execz .LBB179_164
.LBB179_231:
	ds_load_b32 v33, v32 offset:608
	s_wait_dscnt 0x0
	v_add_f32_e32 v15, v15, v33
	s_wait_alu 0xfffe
	s_or_b32 exec_lo, exec_lo, s1
	s_and_saveexec_b32 s1, vcc_lo
	s_cbranch_execz .LBB179_165
.LBB179_232:
	ds_load_b32 v33, v32 offset:640
	s_wait_dscnt 0x0
	v_add_f32_e32 v13, v13, v33
	s_wait_alu 0xfffe
	s_or_b32 exec_lo, exec_lo, s1
	s_and_saveexec_b32 s1, vcc_lo
	s_cbranch_execz .LBB179_166
.LBB179_233:
	ds_load_b32 v33, v32 offset:672
	s_wait_dscnt 0x0
	v_add_f32_e32 v10, v10, v33
	s_wait_alu 0xfffe
	s_or_b32 exec_lo, exec_lo, s1
	s_and_saveexec_b32 s1, vcc_lo
	s_cbranch_execz .LBB179_167
.LBB179_234:
	ds_load_b32 v33, v32 offset:704
	s_wait_dscnt 0x0
	v_add_f32_e32 v9, v9, v33
	s_wait_alu 0xfffe
	s_or_b32 exec_lo, exec_lo, s1
	s_and_saveexec_b32 s1, vcc_lo
	s_cbranch_execz .LBB179_168
.LBB179_235:
	ds_load_b32 v33, v32 offset:736
	s_wait_dscnt 0x0
	v_add_f32_e32 v8, v8, v33
	s_wait_alu 0xfffe
	s_or_b32 exec_lo, exec_lo, s1
	s_and_saveexec_b32 s1, vcc_lo
	s_cbranch_execz .LBB179_169
.LBB179_236:
	ds_load_b32 v33, v32 offset:768
	s_wait_dscnt 0x0
	v_add_f32_e32 v7, v7, v33
	s_wait_alu 0xfffe
	s_or_b32 exec_lo, exec_lo, s1
	s_and_saveexec_b32 s1, vcc_lo
	s_cbranch_execz .LBB179_170
.LBB179_237:
	ds_load_b32 v33, v32 offset:800
	s_wait_dscnt 0x0
	v_add_f32_e32 v6, v6, v33
	s_wait_alu 0xfffe
	s_or_b32 exec_lo, exec_lo, s1
	s_and_saveexec_b32 s1, vcc_lo
	s_cbranch_execz .LBB179_171
.LBB179_238:
	ds_load_b32 v33, v32 offset:832
	s_wait_dscnt 0x0
	v_add_f32_e32 v5, v5, v33
	s_wait_alu 0xfffe
	s_or_b32 exec_lo, exec_lo, s1
	s_and_saveexec_b32 s1, vcc_lo
	s_cbranch_execz .LBB179_172
.LBB179_239:
	ds_load_b32 v33, v32 offset:864
	s_wait_dscnt 0x0
	v_add_f32_e32 v4, v4, v33
	s_wait_alu 0xfffe
	s_or_b32 exec_lo, exec_lo, s1
	s_and_saveexec_b32 s1, vcc_lo
	s_cbranch_execz .LBB179_173
.LBB179_240:
	ds_load_b32 v33, v32 offset:896
	s_wait_dscnt 0x0
	v_add_f32_e32 v3, v3, v33
	s_wait_alu 0xfffe
	s_or_b32 exec_lo, exec_lo, s1
	s_and_saveexec_b32 s1, vcc_lo
	s_cbranch_execz .LBB179_174
.LBB179_241:
	ds_load_b32 v33, v32 offset:928
	s_wait_dscnt 0x0
	v_add_f32_e32 v0, v0, v33
	s_wait_alu 0xfffe
	s_or_b32 exec_lo, exec_lo, s1
	s_and_saveexec_b32 s1, vcc_lo
	s_cbranch_execz .LBB179_175
.LBB179_242:
	ds_load_b32 v33, v32 offset:960
	s_wait_dscnt 0x0
	v_add_f32_e32 v1, v1, v33
	s_wait_alu 0xfffe
	s_or_b32 exec_lo, exec_lo, s1
	s_and_saveexec_b32 s1, vcc_lo
	s_cbranch_execnz .LBB179_176
	s_branch .LBB179_177
	.section	.rodata,"a",@progbits
	.p2align	6, 0x0
	.amdhsa_kernel _ZN4vllm25paged_attention_v2_kernelI14__hip_bfloat16S1_Li256ELi32ELi128ELNS_18Fp8KVCacheDataTypeE0ELb1ELi512EEEvPfS3_PT_PKS4_PKT0_SA_ifPKiSC_iPKfiiiSE_SE_iiiii
		.amdhsa_group_segment_fixed_size 544
		.amdhsa_private_segment_fixed_size 588
		.amdhsa_kernarg_size 400
		.amdhsa_user_sgpr_count 2
		.amdhsa_user_sgpr_dispatch_ptr 0
		.amdhsa_user_sgpr_queue_ptr 0
		.amdhsa_user_sgpr_kernarg_segment_ptr 1
		.amdhsa_user_sgpr_dispatch_id 0
		.amdhsa_user_sgpr_private_segment_size 0
		.amdhsa_wavefront_size32 1
		.amdhsa_uses_dynamic_stack 0
		.amdhsa_enable_private_segment 1
		.amdhsa_system_sgpr_workgroup_id_x 1
		.amdhsa_system_sgpr_workgroup_id_y 1
		.amdhsa_system_sgpr_workgroup_id_z 1
		.amdhsa_system_sgpr_workgroup_info 0
		.amdhsa_system_vgpr_workitem_id 0
		.amdhsa_next_free_vgpr 192
		.amdhsa_next_free_sgpr 42
		.amdhsa_reserve_vcc 1
		.amdhsa_float_round_mode_32 0
		.amdhsa_float_round_mode_16_64 0
		.amdhsa_float_denorm_mode_32 3
		.amdhsa_float_denorm_mode_16_64 3
		.amdhsa_fp16_overflow 0
		.amdhsa_workgroup_processor_mode 1
		.amdhsa_memory_ordered 1
		.amdhsa_forward_progress 1
		.amdhsa_inst_pref_size 255
		.amdhsa_round_robin_scheduling 0
		.amdhsa_exception_fp_ieee_invalid_op 0
		.amdhsa_exception_fp_denorm_src 0
		.amdhsa_exception_fp_ieee_div_zero 0
		.amdhsa_exception_fp_ieee_overflow 0
		.amdhsa_exception_fp_ieee_underflow 0
		.amdhsa_exception_fp_ieee_inexact 0
		.amdhsa_exception_int_div_zero 0
	.end_amdhsa_kernel
	.section	.text._ZN4vllm25paged_attention_v2_kernelI14__hip_bfloat16S1_Li256ELi32ELi128ELNS_18Fp8KVCacheDataTypeE0ELb1ELi512EEEvPfS3_PT_PKS4_PKT0_SA_ifPKiSC_iPKfiiiSE_SE_iiiii,"axG",@progbits,_ZN4vllm25paged_attention_v2_kernelI14__hip_bfloat16S1_Li256ELi32ELi128ELNS_18Fp8KVCacheDataTypeE0ELb1ELi512EEEvPfS3_PT_PKS4_PKT0_SA_ifPKiSC_iPKfiiiSE_SE_iiiii,comdat
.Lfunc_end179:
	.size	_ZN4vllm25paged_attention_v2_kernelI14__hip_bfloat16S1_Li256ELi32ELi128ELNS_18Fp8KVCacheDataTypeE0ELb1ELi512EEEvPfS3_PT_PKS4_PKT0_SA_ifPKiSC_iPKfiiiSE_SE_iiiii, .Lfunc_end179-_ZN4vllm25paged_attention_v2_kernelI14__hip_bfloat16S1_Li256ELi32ELi128ELNS_18Fp8KVCacheDataTypeE0ELb1ELi512EEEvPfS3_PT_PKS4_PKT0_SA_ifPKiSC_iPKfiiiSE_SE_iiiii
                                        ; -- End function
	.set _ZN4vllm25paged_attention_v2_kernelI14__hip_bfloat16S1_Li256ELi32ELi128ELNS_18Fp8KVCacheDataTypeE0ELb1ELi512EEEvPfS3_PT_PKS4_PKT0_SA_ifPKiSC_iPKfiiiSE_SE_iiiii.num_vgpr, 192
	.set _ZN4vllm25paged_attention_v2_kernelI14__hip_bfloat16S1_Li256ELi32ELi128ELNS_18Fp8KVCacheDataTypeE0ELb1ELi512EEEvPfS3_PT_PKS4_PKT0_SA_ifPKiSC_iPKfiiiSE_SE_iiiii.num_agpr, 0
	.set _ZN4vllm25paged_attention_v2_kernelI14__hip_bfloat16S1_Li256ELi32ELi128ELNS_18Fp8KVCacheDataTypeE0ELb1ELi512EEEvPfS3_PT_PKS4_PKT0_SA_ifPKiSC_iPKfiiiSE_SE_iiiii.numbered_sgpr, 42
	.set _ZN4vllm25paged_attention_v2_kernelI14__hip_bfloat16S1_Li256ELi32ELi128ELNS_18Fp8KVCacheDataTypeE0ELb1ELi512EEEvPfS3_PT_PKS4_PKT0_SA_ifPKiSC_iPKfiiiSE_SE_iiiii.num_named_barrier, 0
	.set _ZN4vllm25paged_attention_v2_kernelI14__hip_bfloat16S1_Li256ELi32ELi128ELNS_18Fp8KVCacheDataTypeE0ELb1ELi512EEEvPfS3_PT_PKS4_PKT0_SA_ifPKiSC_iPKfiiiSE_SE_iiiii.private_seg_size, 588
	.set _ZN4vllm25paged_attention_v2_kernelI14__hip_bfloat16S1_Li256ELi32ELi128ELNS_18Fp8KVCacheDataTypeE0ELb1ELi512EEEvPfS3_PT_PKS4_PKT0_SA_ifPKiSC_iPKfiiiSE_SE_iiiii.uses_vcc, 1
	.set _ZN4vllm25paged_attention_v2_kernelI14__hip_bfloat16S1_Li256ELi32ELi128ELNS_18Fp8KVCacheDataTypeE0ELb1ELi512EEEvPfS3_PT_PKS4_PKT0_SA_ifPKiSC_iPKfiiiSE_SE_iiiii.uses_flat_scratch, 1
	.set _ZN4vllm25paged_attention_v2_kernelI14__hip_bfloat16S1_Li256ELi32ELi128ELNS_18Fp8KVCacheDataTypeE0ELb1ELi512EEEvPfS3_PT_PKS4_PKT0_SA_ifPKiSC_iPKfiiiSE_SE_iiiii.has_dyn_sized_stack, 0
	.set _ZN4vllm25paged_attention_v2_kernelI14__hip_bfloat16S1_Li256ELi32ELi128ELNS_18Fp8KVCacheDataTypeE0ELb1ELi512EEEvPfS3_PT_PKS4_PKT0_SA_ifPKiSC_iPKfiiiSE_SE_iiiii.has_recursion, 0
	.set _ZN4vllm25paged_attention_v2_kernelI14__hip_bfloat16S1_Li256ELi32ELi128ELNS_18Fp8KVCacheDataTypeE0ELb1ELi512EEEvPfS3_PT_PKS4_PKT0_SA_ifPKiSC_iPKfiiiSE_SE_iiiii.has_indirect_call, 0
	.section	.AMDGPU.csdata,"",@progbits
; Kernel info:
; codeLenInByte = 46772
; TotalNumSgprs: 44
; NumVgprs: 192
; ScratchSize: 588
; MemoryBound: 0
; FloatMode: 240
; IeeeMode: 1
; LDSByteSize: 544 bytes/workgroup (compile time only)
; SGPRBlocks: 0
; VGPRBlocks: 23
; NumSGPRsForWavesPerEU: 44
; NumVGPRsForWavesPerEU: 192
; Occupancy: 8
; WaveLimiterHint : 1
; COMPUTE_PGM_RSRC2:SCRATCH_EN: 1
; COMPUTE_PGM_RSRC2:USER_SGPR: 2
; COMPUTE_PGM_RSRC2:TRAP_HANDLER: 0
; COMPUTE_PGM_RSRC2:TGID_X_EN: 1
; COMPUTE_PGM_RSRC2:TGID_Y_EN: 1
; COMPUTE_PGM_RSRC2:TGID_Z_EN: 1
; COMPUTE_PGM_RSRC2:TIDIG_COMP_CNT: 0
	.section	.text._ZN4vllm25paged_attention_v2_kernelI14__hip_bfloat16S1_Li32ELi32ELi128ELNS_18Fp8KVCacheDataTypeE0ELb0ELi512EEEvPfS3_PT_PKS4_PKT0_SA_ifPKiSC_iPKfiiiSE_SE_iiiii,"axG",@progbits,_ZN4vllm25paged_attention_v2_kernelI14__hip_bfloat16S1_Li32ELi32ELi128ELNS_18Fp8KVCacheDataTypeE0ELb0ELi512EEEvPfS3_PT_PKS4_PKT0_SA_ifPKiSC_iPKfiiiSE_SE_iiiii,comdat
	.protected	_ZN4vllm25paged_attention_v2_kernelI14__hip_bfloat16S1_Li32ELi32ELi128ELNS_18Fp8KVCacheDataTypeE0ELb0ELi512EEEvPfS3_PT_PKS4_PKT0_SA_ifPKiSC_iPKfiiiSE_SE_iiiii ; -- Begin function _ZN4vllm25paged_attention_v2_kernelI14__hip_bfloat16S1_Li32ELi32ELi128ELNS_18Fp8KVCacheDataTypeE0ELb0ELi512EEEvPfS3_PT_PKS4_PKT0_SA_ifPKiSC_iPKfiiiSE_SE_iiiii
	.globl	_ZN4vllm25paged_attention_v2_kernelI14__hip_bfloat16S1_Li32ELi32ELi128ELNS_18Fp8KVCacheDataTypeE0ELb0ELi512EEEvPfS3_PT_PKS4_PKT0_SA_ifPKiSC_iPKfiiiSE_SE_iiiii
	.p2align	8
	.type	_ZN4vllm25paged_attention_v2_kernelI14__hip_bfloat16S1_Li32ELi32ELi128ELNS_18Fp8KVCacheDataTypeE0ELb0ELi512EEEvPfS3_PT_PKS4_PKT0_SA_ifPKiSC_iPKfiiiSE_SE_iiiii,@function
_ZN4vllm25paged_attention_v2_kernelI14__hip_bfloat16S1_Li32ELi32ELi128ELNS_18Fp8KVCacheDataTypeE0ELb0ELi512EEEvPfS3_PT_PKS4_PKT0_SA_ifPKiSC_iPKfiiiSE_SE_iiiii: ; @_ZN4vllm25paged_attention_v2_kernelI14__hip_bfloat16S1_Li32ELi32ELi128ELNS_18Fp8KVCacheDataTypeE0ELb0ELi512EEEvPfS3_PT_PKS4_PKT0_SA_ifPKiSC_iPKfiiiSE_SE_iiiii
; %bb.0:
	s_load_b64 s[2:3], s[0:1], 0x40
	s_and_b32 s14, ttmp7, 0xffff
	s_lshr_b32 s24, ttmp7, 16
	s_lshl_b32 s4, s14, 2
	s_lshl_b32 s26, s24, 9
	s_wait_kmcnt 0x0
	s_load_b32 s25, s[2:3], s4 offset:0x0
	s_wait_kmcnt 0x0
	s_cmp_ge_i32 s26, s25
	s_cbranch_scc1 .LBB180_58
; %bb.1:
	s_clause 0x1
	s_load_b32 s15, s[0:1], 0x90
	s_load_b64 s[4:5], s[0:1], 0x30
	s_wait_kmcnt 0x0
	s_abs_i32 s7, s15
	s_abs_i32 s2, s4
	s_xor_b32 s4, s15, s4
	s_cvt_f32_u32 s3, s2
	s_sub_co_i32 s6, 0, s2
	s_ashr_i32 s4, s4, 31
	s_delay_alu instid0(SALU_CYCLE_1) | instskip(NEXT) | instid1(TRANS32_DEP_1)
	v_rcp_iflag_f32_e32 v1, s3
	v_readfirstlane_b32 s3, v1
	s_mul_f32 s3, s3, 0x4f7ffffe
	s_wait_alu 0xfffe
	s_delay_alu instid0(SALU_CYCLE_2) | instskip(SKIP_1) | instid1(SALU_CYCLE_2)
	s_cvt_u32_f32 s3, s3
	s_wait_alu 0xfffe
	s_mul_i32 s6, s6, s3
	s_delay_alu instid0(SALU_CYCLE_1) | instskip(NEXT) | instid1(SALU_CYCLE_1)
	s_mul_hi_u32 s6, s3, s6
	s_add_co_i32 s3, s3, s6
	s_wait_alu 0xfffe
	s_mul_hi_u32 s3, s7, s3
	s_wait_alu 0xfffe
	s_mul_i32 s6, s3, s2
	s_delay_alu instid0(SALU_CYCLE_1)
	s_sub_co_i32 s6, s7, s6
	s_add_co_i32 s7, s3, 1
	s_sub_co_i32 s8, s6, s2
	s_cmp_ge_u32 s6, s2
	s_cselect_b32 s3, s7, s3
	s_cselect_b32 s6, s8, s6
	s_wait_alu 0xfffe
	s_add_co_i32 s7, s3, 1
	s_cmp_ge_u32 s6, s2
	s_load_b64 s[8:9], s[0:1], 0x50
	s_cselect_b32 s2, s7, s3
	s_mov_b32 s3, 0
	s_wait_alu 0xfffe
	s_xor_b32 s2, s2, s4
	s_mov_b32 s11, s3
	s_wait_alu 0xfffe
	s_sub_co_i32 s12, s2, s4
	s_delay_alu instid0(SALU_CYCLE_1) | instskip(NEXT) | instid1(SALU_CYCLE_1)
	s_abs_i32 s4, s12
	s_cvt_f32_u32 s2, s4
	s_wait_alu 0xfffe
	s_delay_alu instid0(SALU_CYCLE_2) | instskip(NEXT) | instid1(TRANS32_DEP_1)
	v_rcp_iflag_f32_e32 v1, s2
	v_readfirstlane_b32 s2, v1
	s_mul_f32 s2, s2, 0x4f7ffffe
	s_wait_alu 0xfffe
	s_delay_alu instid0(SALU_CYCLE_2) | instskip(SKIP_2) | instid1(SALU_CYCLE_1)
	s_cvt_u32_f32 s6, s2
	s_sub_co_i32 s2, 0, s4
	s_wait_alu 0xfffe
	s_mul_i32 s2, s2, s6
	s_wait_alu 0xfffe
	s_mul_hi_u32 s7, s6, s2
	s_abs_i32 s2, ttmp9
	s_add_co_i32 s6, s6, s7
	s_mov_b32 s7, s3
	s_wait_kmcnt 0x0
	s_cmp_eq_u64 s[8:9], 0
	s_cbranch_scc1 .LBB180_3
; %bb.2:
	s_mov_b32 s10, ttmp9
	s_ashr_i32 s11, ttmp9, 31
	s_delay_alu instid0(SALU_CYCLE_1) | instskip(NEXT) | instid1(SALU_CYCLE_1)
	s_lshl_b64 s[10:11], s[10:11], 2
	s_add_nc_u64 s[8:9], s[8:9], s[10:11]
	s_load_b32 s11, s[8:9], 0x0
.LBB180_3:
	s_load_b96 s[8:10], s[0:1], 0x58
	v_lshlrev_b32_e32 v3, 4, v0
	s_mul_u64 s[6:7], s[2:3], s[6:7]
	s_ashr_i32 s3, ttmp9, 31
	s_ashr_i32 s6, s12, 31
	s_lshl_b32 s12, ttmp9, 5
	s_mov_b32 s16, exec_lo
	v_cmpx_gt_u32_e32 4, v0
	s_cbranch_execz .LBB180_5
; %bb.4:
	s_load_b64 s[18:19], s[0:1], 0x18
	s_wait_kmcnt 0x0
	s_mul_i32 s20, s8, s14
	s_ashr_i32 s13, s12, 31
	s_ashr_i32 s21, s20, 31
	s_delay_alu instid0(SALU_CYCLE_1) | instskip(NEXT) | instid1(SALU_CYCLE_1)
	s_lshl_b64 s[20:21], s[20:21], 1
	s_add_nc_u64 s[18:19], s[18:19], s[20:21]
	s_lshl_b64 s[20:21], s[12:13], 1
	s_delay_alu instid0(SALU_CYCLE_1)
	s_add_nc_u64 s[18:19], s[18:19], s[20:21]
	global_load_b128 v[4:7], v3, s[18:19]
	s_wait_loadcnt 0x0
	ds_store_b128 v3, v[4:7]
.LBB180_5:
	s_or_b32 exec_lo, exec_lo, s16
	s_wait_kmcnt 0x0
	s_add_co_i32 s8, s25, 31
	s_lshl_b32 s28, s24, 4
	s_ashr_i32 s13, s8, 31
	s_mul_i32 s19, s7, s4
	s_lshr_b32 s13, s13, 27
	s_sub_co_i32 s2, s2, s19
	s_add_co_i32 s8, s8, s13
	s_add_co_i32 s13, s28, 16
	s_ashr_i32 s27, s8, 5
	s_clause 0x2
	s_load_b64 s[16:17], s[0:1], 0x38
	s_load_b32 s8, s[0:1], 0x98
	s_load_b32 s18, s[0:1], 0x48
	s_min_i32 s13, s13, s27
	s_xor_b32 s3, s3, s6
	s_add_co_i32 s6, s7, 1
	s_sub_co_i32 s19, s2, s4
	s_cmp_ge_u32 s2, s4
	v_lshrrev_b32_e32 v27, 5, v0
	s_cselect_b32 s6, s6, s7
	s_cselect_b32 s2, s19, s2
	s_add_co_i32 s7, s6, 1
	s_wait_alu 0xfffe
	s_cmp_ge_u32 s2, s4
	v_and_b32_e32 v28, 31, v0
	v_dual_mov_b32 v22, 0xff7fffff :: v_dual_add_nc_u32 v29, s28, v27
	s_cselect_b32 s2, s7, s6
	v_lshlrev_b32_e32 v5, 5, v27
	s_wait_alu 0xfffe
	s_xor_b32 s2, s2, s3
	v_lshlrev_b32_e32 v6, 2, v28
	s_wait_alu 0xfffe
	s_sub_co_i32 s3, s2, s3
	v_cmp_gt_i32_e64 s2, s13, v29
	v_lshlrev_b32_e32 v4, 2, v29
	s_wait_kmcnt 0x0
	s_mul_i32 s18, s18, s14
	s_wait_alu 0xfffe
	s_mul_i32 s20, s3, s10
	s_ashr_i32 s19, s18, 31
	s_wait_dscnt 0x0
	s_barrier_signal -1
	s_barrier_wait -1
	global_inv scope:SCOPE_SE
	s_and_saveexec_b32 s6, s2
	s_cbranch_execz .LBB180_9
; %bb.6:
	s_load_b64 s[22:23], s[0:1], 0x20
	v_dual_mov_b32 v1, 0 :: v_dual_lshlrev_b32 v2, 4, v28
	s_ashr_i32 s21, s20, 31
	s_mov_b32 s10, s9
	ds_load_b128 v[30:33], v1
	ds_load_b128 v[34:37], v1 offset:16
	ds_load_b128 v[38:41], v1 offset:32
	;; [unrolled: 1-line block ×3, first 2 shown]
	s_lshl_b64 s[30:31], s[20:21], 1
	s_cmp_neq_f32 s11, 0
	v_lshl_or_b32 v1, v27, 7, v6
	s_mov_b32 s7, 0
	v_mov_b32_e32 v22, 0xff7fffff
	s_cselect_b32 vcc_lo, -1, 0
	s_delay_alu instid0(VALU_DEP_2) | instskip(SKIP_3) | instid1(SALU_CYCLE_1)
	v_dual_mov_b32 v47, v29 :: v_dual_add_nc_u32 v46, 0x60, v1
	s_sub_co_i32 s21, 1, s25
	s_wait_kmcnt 0x0
	s_add_nc_u64 s[22:23], s[22:23], s[30:31]
	v_add_co_u32 v7, s3, s22, v2
	s_wait_alu 0xf1ff
	v_add_co_ci_u32_e64 v8, null, s23, 0, s3
	s_lshl_b64 s[22:23], s[18:19], 2
	s_wait_dscnt 0x3
	v_and_b32_e32 v9, 0xffff0000, v30
	s_wait_alu 0xfffe
	s_add_nc_u64 s[22:23], s[16:17], s[22:23]
	v_lshlrev_b32_e32 v10, 16, v30
	s_wait_alu 0xfffe
	v_add_co_u32 v1, s3, s22, v4
	s_wait_dscnt 0x2
	v_and_b32_e32 v11, 0xffff0000, v34
	v_lshlrev_b32_e32 v12, 16, v34
	s_wait_dscnt 0x1
	v_and_b32_e32 v13, 0xffff0000, v38
	v_lshlrev_b32_e32 v14, 16, v38
	v_and_b32_e32 v15, 0xffff0000, v31
	v_lshlrev_b32_e32 v16, 16, v31
	;; [unrolled: 2-line block ×10, first 2 shown]
	s_wait_dscnt 0x0
	v_and_b32_e32 v37, 0xffff0000, v42
	v_lshlrev_b32_e32 v38, 16, v42
	v_and_b32_e32 v39, 0xffff0000, v43
	v_lshlrev_b32_e32 v40, 16, v43
	;; [unrolled: 2-line block ×4, first 2 shown]
	v_add3_u32 v45, s26, v5, v28
	s_wait_alu 0xf1ff
	v_add_co_ci_u32_e64 v2, null, s23, 0, s3
.LBB180_7:                              ; =>This Inner Loop Header: Depth=1
	global_load_b32 v48, v[1:2], off
	v_dual_max_num_f32 v65, v22, v22 :: v_dual_add_nc_u32 v64, s21, v45
	v_add_nc_u32_e32 v47, 4, v47
	s_delay_alu instid0(VALU_DEP_2) | instskip(NEXT) | instid1(VALU_DEP_2)
	v_cvt_f32_i32_e32 v64, v64
	v_cmp_le_i32_e64 s4, s13, v47
	s_or_b32 s7, s4, s7
	s_wait_loadcnt 0x0
	v_mad_co_i64_i32 v[48:49], null, v48, s10, 0
	s_delay_alu instid0(VALU_DEP_1) | instskip(NEXT) | instid1(VALU_DEP_1)
	v_lshlrev_b64_e32 v[48:49], 1, v[48:49]
	v_add_co_u32 v60, s3, v7, v48
	s_wait_alu 0xf1ff
	s_delay_alu instid0(VALU_DEP_2)
	v_add_co_ci_u32_e64 v61, null, v8, v49, s3
	v_add_co_u32 v1, s3, v1, 16
	s_wait_alu 0xf1ff
	v_add_co_ci_u32_e64 v2, null, 0, v2, s3
	s_clause 0x3
	global_load_b128 v[48:51], v[60:61], off
	global_load_b128 v[52:55], v[60:61], off offset:512
	global_load_b128 v[56:59], v[60:61], off offset:1024
	;; [unrolled: 1-line block ×3, first 2 shown]
	v_cmp_gt_i32_e64 s3, s25, v45
	v_add_nc_u32_e32 v45, 0x80, v45
	s_wait_loadcnt 0x3
	v_lshlrev_b32_e32 v74, 16, v50
	s_wait_loadcnt 0x2
	v_and_b32_e32 v75, 0xffff0000, v54
	s_wait_loadcnt 0x1
	v_and_b32_e32 v68, 0xffff0000, v56
	v_lshlrev_b32_e32 v54, 16, v54
	v_and_b32_e32 v67, 0xffff0000, v52
	v_and_b32_e32 v79, 0xffff0000, v55
	v_lshlrev_b32_e32 v55, 16, v55
	v_lshlrev_b32_e32 v56, 16, v56
	v_dual_mul_f32 v54, v25, v54 :: v_dual_and_b32 v71, 0xffff0000, v53
	v_dual_mul_f32 v67, v11, v67 :: v_dual_lshlrev_b32 v66, 16, v48
	s_delay_alu instid0(VALU_DEP_4) | instskip(NEXT) | instid1(VALU_DEP_3)
	v_mul_f32_e32 v55, v34, v55
	v_dual_fmac_f32 v54, v23, v74 :: v_dual_lshlrev_b32 v53, 16, v53
	s_delay_alu instid0(VALU_DEP_4) | instskip(NEXT) | instid1(VALU_DEP_2)
	v_dual_mul_f32 v71, v17, v71 :: v_dual_lshlrev_b32 v52, 16, v52
	v_dual_mul_f32 v53, v18, v53 :: v_dual_and_b32 v48, 0xffff0000, v48
	v_lshlrev_b32_e32 v70, 16, v49
	s_delay_alu instid0(VALU_DEP_3)
	v_dual_mul_f32 v52, v12, v52 :: v_dual_and_b32 v49, 0xffff0000, v49
	s_wait_loadcnt 0x0
	v_lshlrev_b32_e32 v69, 16, v60
	v_fmac_f32_e32 v67, v9, v48
	v_dual_mul_f32 v79, v33, v79 :: v_dual_and_b32 v60, 0xffff0000, v60
	v_fmac_f32_e32 v52, v10, v66
	v_dual_fmac_f32 v53, v16, v70 :: v_dual_and_b32 v72, 0xffff0000, v57
	v_fmac_f32_e32 v71, v15, v49
	s_delay_alu instid0(VALU_DEP_3) | instskip(SKIP_2) | instid1(VALU_DEP_3)
	v_dual_fmac_f32 v52, v14, v56 :: v_dual_lshlrev_b32 v81, 16, v63
	v_and_b32_e32 v63, 0xffff0000, v63
	v_mul_f32_e32 v49, s11, v64
	v_dual_fmac_f32 v71, v19, v72 :: v_dual_fmac_f32 v52, v38, v69
	v_mul_f32_e32 v75, v24, v75
	v_dual_fmac_f32 v67, v13, v68 :: v_dual_lshlrev_b32 v78, 16, v51
	s_delay_alu instid0(VALU_DEP_4) | instskip(NEXT) | instid1(VALU_DEP_2)
	v_cndmask_b32_e32 v49, 0, v49, vcc_lo
	v_fmac_f32_e32 v67, v37, v60
	s_delay_alu instid0(VALU_DEP_1) | instskip(NEXT) | instid1(VALU_DEP_1)
	v_dual_add_f32 v48, v52, v67 :: v_dual_lshlrev_b32 v57, 16, v57
	v_dual_fmac_f32 v53, v20, v57 :: v_dual_and_b32 v76, 0xffff0000, v58
	v_lshlrev_b32_e32 v58, 16, v58
	s_delay_alu instid0(VALU_DEP_1) | instskip(NEXT) | instid1(VALU_DEP_1)
	v_dual_fmac_f32 v54, v30, v58 :: v_dual_lshlrev_b32 v73, 16, v61
	v_fmac_f32_e32 v53, v40, v73
	s_delay_alu instid0(VALU_DEP_1) | instskip(SKIP_1) | instid1(VALU_DEP_2)
	v_dual_add_f32 v48, v48, v53 :: v_dual_lshlrev_b32 v77, 16, v62
	v_and_b32_e32 v61, 0xffff0000, v61
	v_dual_fmac_f32 v54, v42, v77 :: v_dual_and_b32 v51, 0xffff0000, v51
	v_and_b32_e32 v50, 0xffff0000, v50
	s_delay_alu instid0(VALU_DEP_3) | instskip(NEXT) | instid1(VALU_DEP_3)
	v_dual_fmac_f32 v71, v39, v61 :: v_dual_and_b32 v62, 0xffff0000, v62
	v_fmac_f32_e32 v79, v31, v51
	s_delay_alu instid0(VALU_DEP_3) | instskip(NEXT) | instid1(VALU_DEP_3)
	v_dual_fmac_f32 v75, v21, v50 :: v_dual_and_b32 v80, 0xffff0000, v59
	v_dual_fmac_f32 v55, v32, v78 :: v_dual_add_f32 v48, v71, v48
	s_delay_alu instid0(VALU_DEP_2) | instskip(NEXT) | instid1(VALU_DEP_3)
	v_fmac_f32_e32 v75, v26, v76
	v_fmac_f32_e32 v79, v35, v80
	s_delay_alu instid0(VALU_DEP_2) | instskip(NEXT) | instid1(VALU_DEP_2)
	v_dual_add_f32 v48, v54, v48 :: v_dual_fmac_f32 v75, v41, v62
	v_fmac_f32_e32 v79, v43, v63
	s_delay_alu instid0(VALU_DEP_2) | instskip(NEXT) | instid1(VALU_DEP_1)
	v_dual_add_f32 v48, v75, v48 :: v_dual_lshlrev_b32 v59, 16, v59
	v_fmac_f32_e32 v55, v36, v59
	s_delay_alu instid0(VALU_DEP_1) | instskip(NEXT) | instid1(VALU_DEP_1)
	v_fmac_f32_e32 v55, v44, v81
	v_add_f32_e32 v48, v55, v48
	s_delay_alu instid0(VALU_DEP_1) | instskip(NEXT) | instid1(VALU_DEP_1)
	v_add_f32_e32 v48, v79, v48
	v_fmac_f32_e32 v49, s5, v48
	s_delay_alu instid0(VALU_DEP_1) | instskip(SKIP_2) | instid1(VALU_DEP_2)
	v_max_num_f32_e32 v48, v65, v49
	s_wait_alu 0xf1ff
	v_cndmask_b32_e64 v49, 0, v49, s3
	v_cndmask_b32_e64 v22, v22, v48, s3
	ds_store_b32 v46, v49
	v_add_nc_u32_e32 v46, 0x200, v46
	s_and_not1_b32 exec_lo, exec_lo, s7
	s_cbranch_execnz .LBB180_7
; %bb.8:
	s_or_b32 exec_lo, exec_lo, s7
.LBB180_9:
	s_delay_alu instid0(SALU_CYCLE_1)
	s_or_b32 exec_lo, exec_lo, s6
	v_mbcnt_lo_u32_b32 v1, -1, 0
	s_clause 0x2
	s_load_b128 s[4:7], s[0:1], 0x0
	s_load_b64 s[10:11], s[0:1], 0x10
	s_load_b64 s[22:23], s[0:1], 0x28
	v_xor_b32_e32 v2, 16, v1
	v_xor_b32_e32 v8, 8, v1
	s_delay_alu instid0(VALU_DEP_2) | instskip(SKIP_2) | instid1(VALU_DEP_3)
	v_cmp_gt_i32_e32 vcc_lo, 32, v2
	s_wait_alu 0xfffd
	v_cndmask_b32_e32 v2, v1, v2, vcc_lo
	v_cmp_gt_i32_e32 vcc_lo, 32, v8
	v_max_num_f32_e32 v9, v22, v22
	s_delay_alu instid0(VALU_DEP_3)
	v_lshlrev_b32_e32 v2, 2, v2
	s_wait_alu 0xfffd
	v_cndmask_b32_e32 v8, v1, v8, vcc_lo
	ds_bpermute_b32 v7, v2, v22
	s_wait_dscnt 0x0
	v_dual_max_num_f32 v10, v7, v7 :: v_dual_lshlrev_b32 v7, 2, v8
	s_delay_alu instid0(VALU_DEP_1)
	v_max_num_f32_e32 v8, v9, v10
	v_xor_b32_e32 v10, 4, v1
	ds_bpermute_b32 v9, v7, v8
	v_cmp_gt_i32_e32 vcc_lo, 32, v10
	s_wait_alu 0xfffd
	v_cndmask_b32_e32 v10, v1, v10, vcc_lo
	s_wait_dscnt 0x0
	v_max_num_f32_e32 v11, v9, v9
	s_delay_alu instid0(VALU_DEP_1)
	v_dual_max_num_f32 v8, v8, v11 :: v_dual_lshlrev_b32 v9, 2, v10
	v_xor_b32_e32 v11, 2, v1
	ds_bpermute_b32 v10, v9, v8
	v_cmp_gt_i32_e32 vcc_lo, 32, v11
	s_wait_dscnt 0x0
	s_wait_alu 0xfffd
	v_dual_cndmask_b32 v11, v1, v11 :: v_dual_max_num_f32 v10, v10, v10
	s_delay_alu instid0(VALU_DEP_1) | instskip(NEXT) | instid1(VALU_DEP_2)
	v_max_num_f32_e32 v8, v8, v10
	v_lshlrev_b32_e32 v30, 2, v11
	v_xor_b32_e32 v11, 1, v1
	s_delay_alu instid0(VALU_DEP_1)
	v_cmp_gt_i32_e32 vcc_lo, 32, v11
	s_wait_alu 0xfffd
	v_cndmask_b32_e32 v11, v1, v11, vcc_lo
	ds_bpermute_b32 v10, v30, v8
	v_cmp_eq_u32_e32 vcc_lo, 0, v28
	s_wait_dscnt 0x0
	v_dual_max_num_f32 v10, v10, v10 :: v_dual_lshlrev_b32 v31, 2, v11
	s_delay_alu instid0(VALU_DEP_1)
	v_dual_max_num_f32 v1, v8, v10 :: v_dual_lshlrev_b32 v10, 2, v27
	ds_bpermute_b32 v8, v31, v1
	s_and_saveexec_b32 s0, vcc_lo
	s_cbranch_execz .LBB180_11
; %bb.10:
	s_wait_dscnt 0x0
	v_dual_max_num_f32 v8, v8, v8 :: v_dual_max_num_f32 v1, v1, v1
	s_delay_alu instid0(VALU_DEP_1)
	v_max_num_f32_e32 v1, v1, v8
	ds_store_b32 v10, v1 offset:64
.LBB180_11:
	s_or_b32 exec_lo, exec_lo, s0
	v_cmp_gt_u32_e64 s0, 4, v28
	v_mov_b32_e32 v1, 0xff7fffff
	s_wait_loadcnt_dscnt 0x0
	s_barrier_signal -1
	s_barrier_wait -1
	global_inv scope:SCOPE_SE
	s_and_saveexec_b32 s1, s0
; %bb.12:
	ds_load_b32 v1, v6 offset:64
; %bb.13:
	s_or_b32 exec_lo, exec_lo, s1
	s_wait_dscnt 0x0
	ds_bpermute_b32 v8, v30, v1
	v_max_num_f32_e32 v1, v1, v1
	s_sub_co_i32 s1, s13, s28
	v_mov_b32_e32 v11, 0
	s_lshl_b32 s1, s1, 5
	s_delay_alu instid0(SALU_CYCLE_1) | instskip(NEXT) | instid1(SALU_CYCLE_1)
	s_add_co_i32 s1, s1, s26
	s_min_i32 s1, s1, s25
	s_delay_alu instid0(SALU_CYCLE_1) | instskip(SKIP_4) | instid1(VALU_DEP_1)
	s_sub_co_i32 s21, s1, s26
	s_wait_alu 0xfffe
	v_cmp_gt_i32_e64 s1, s21, v0
	s_wait_dscnt 0x0
	v_max_num_f32_e32 v8, v8, v8
	v_max_num_f32_e32 v1, v1, v8
	ds_bpermute_b32 v8, v31, v1
	s_wait_dscnt 0x0
	v_max_num_f32_e32 v8, v8, v8
	s_delay_alu instid0(VALU_DEP_1)
	v_max_num_f32_e32 v1, v1, v8
	v_lshl_add_u32 v8, v0, 2, 0x60
	ds_bpermute_b32 v1, v11, v1
	s_and_saveexec_b32 s28, s1
	s_cbranch_execz .LBB180_17
; %bb.14:
	v_lshl_add_u32 v12, v0, 2, 0x60
	v_mov_b32_e32 v11, 0
	v_mov_b32_e32 v13, v0
	s_mov_b32 s29, 0
.LBB180_15:                             ; =>This Inner Loop Header: Depth=1
	ds_load_b32 v14, v12
	v_add_nc_u32_e32 v13, 0x80, v13
	s_delay_alu instid0(VALU_DEP_1) | instskip(SKIP_4) | instid1(VALU_DEP_1)
	v_cmp_le_i32_e64 s3, s21, v13
	s_wait_alu 0xfffe
	s_or_b32 s29, s3, s29
	s_wait_dscnt 0x0
	v_sub_f32_e32 v14, v14, v1
	v_mul_f32_e32 v14, 0x3fb8aa3b, v14
	s_delay_alu instid0(VALU_DEP_1)
	v_exp_f32_e32 v14, v14
	ds_store_b32 v12, v14
	v_dual_add_f32 v11, v11, v14 :: v_dual_add_nc_u32 v12, 0x200, v12
	s_wait_alu 0xfffe
	s_and_not1_b32 exec_lo, exec_lo, s29
	s_cbranch_execnz .LBB180_15
; %bb.16:
	s_or_b32 exec_lo, exec_lo, s29
.LBB180_17:
	s_wait_alu 0xfffe
	s_or_b32 exec_lo, exec_lo, s28
	ds_bpermute_b32 v2, v2, v11
	s_wait_dscnt 0x0
	v_add_f32_e32 v2, v11, v2
	ds_bpermute_b32 v7, v7, v2
	s_wait_dscnt 0x0
	v_add_f32_e32 v2, v2, v7
	;; [unrolled: 3-line block ×5, first 2 shown]
	s_and_saveexec_b32 s3, vcc_lo
; %bb.18:
	ds_store_b32 v10, v2 offset:80
; %bb.19:
	s_wait_alu 0xfffe
	s_or_b32 exec_lo, exec_lo, s3
	s_wait_loadcnt_dscnt 0x0
	s_barrier_signal -1
	s_barrier_wait -1
	global_inv scope:SCOPE_SE
	s_and_saveexec_b32 s3, s0
; %bb.20:
	ds_load_b32 v2, v6 offset:80
; %bb.21:
	s_wait_alu 0xfffe
	s_or_b32 exec_lo, exec_lo, s3
	s_wait_dscnt 0x0
	ds_bpermute_b32 v6, v30, v2
	s_wait_dscnt 0x0
	v_add_f32_e32 v2, v2, v6
	ds_bpermute_b32 v6, v31, v2
	s_wait_dscnt 0x0
	v_add_f32_e32 v2, v2, v6
	v_mov_b32_e32 v6, 0
	ds_bpermute_b32 v2, v6, v2
	s_and_saveexec_b32 s0, s1
	s_cbranch_execz .LBB180_24
; %bb.22:
	s_wait_dscnt 0x0
	v_add_f32_e32 v6, 0x358637bd, v2
	s_mov_b32 s1, 0
	s_delay_alu instid0(VALU_DEP_1) | instskip(NEXT) | instid1(VALU_DEP_1)
	v_div_scale_f32 v7, null, v6, v6, 1.0
	v_rcp_f32_e32 v9, v7
	s_delay_alu instid0(TRANS32_DEP_1) | instskip(NEXT) | instid1(VALU_DEP_1)
	v_fma_f32 v10, -v7, v9, 1.0
	v_fmac_f32_e32 v9, v10, v9
	v_div_scale_f32 v11, vcc_lo, 1.0, v6, 1.0
	s_delay_alu instid0(VALU_DEP_1) | instskip(NEXT) | instid1(VALU_DEP_1)
	v_mul_f32_e32 v10, v11, v9
	v_fma_f32 v12, -v7, v10, v11
	s_delay_alu instid0(VALU_DEP_1) | instskip(NEXT) | instid1(VALU_DEP_1)
	v_fmac_f32_e32 v10, v12, v9
	v_fma_f32 v7, -v7, v10, v11
	s_wait_alu 0xfffd
	s_delay_alu instid0(VALU_DEP_1) | instskip(NEXT) | instid1(VALU_DEP_1)
	v_div_fmas_f32 v7, v7, v9, v10
	v_div_fixup_f32 v6, v7, v6, 1.0
	v_mov_b32_e32 v7, v0
.LBB180_23:                             ; =>This Inner Loop Header: Depth=1
	ds_load_b32 v9, v8
	v_add_nc_u32_e32 v7, 0x80, v7
	s_delay_alu instid0(VALU_DEP_1)
	v_cmp_le_i32_e32 vcc_lo, s21, v7
	s_or_b32 s1, vcc_lo, s1
	s_wait_dscnt 0x0
	v_mul_f32_e32 v9, v6, v9
	ds_store_b32 v8, v9
	v_add_nc_u32_e32 v8, 0x200, v8
	s_and_not1_b32 exec_lo, exec_lo, s1
	s_cbranch_execnz .LBB180_23
.LBB180_24:
	s_or_b32 exec_lo, exec_lo, s0
	s_mul_i32 s0, s8, s14
	s_wait_loadcnt_dscnt 0x0
	s_mul_i32 s14, s0, s15
	s_mov_b32 s0, exec_lo
	s_barrier_signal -1
	s_barrier_wait -1
	global_inv scope:SCOPE_SE
	v_cmpx_eq_u32_e32 0, v0
	s_cbranch_execz .LBB180_26
; %bb.25:
	s_ashr_i32 s15, s14, 31
	s_mul_i32 s28, s8, ttmp9
	s_lshl_b32 s1, s24, 2
	s_lshl_b64 s[30:31], s[14:15], 2
	s_wait_alu 0xfffe
	s_ashr_i32 s29, s28, 31
	v_mov_b32_e32 v6, s1
	s_wait_kmcnt 0x0
	s_add_nc_u64 s[6:7], s[6:7], s[30:31]
	s_wait_alu 0xfffe
	s_lshl_b64 s[28:29], s[28:29], 2
	s_add_nc_u64 s[4:5], s[4:5], s[30:31]
	s_wait_alu 0xfffe
	s_add_nc_u64 s[6:7], s[6:7], s[28:29]
	s_add_nc_u64 s[4:5], s[4:5], s[28:29]
	s_clause 0x1
	global_store_b32 v6, v1, s[6:7]
	global_store_b32 v6, v2, s[4:5]
.LBB180_26:
	s_or_b32 exec_lo, exec_lo, s0
	v_dual_mov_b32 v34, 0 :: v_dual_mov_b32 v35, 0
	v_dual_mov_b32 v33, 0 :: v_dual_and_b32 v32, 3, v0
	v_mov_b32_e32 v36, 0
	s_and_saveexec_b32 s1, s2
	s_cbranch_execz .LBB180_38
; %bb.27:
	s_ashr_i32 s21, s20, 31
	v_and_b32_e32 v3, 0x1f0, v3
	s_wait_kmcnt 0x0
	s_wait_alu 0xfffe
	s_lshl_b64 s[4:5], s[20:21], 1
	v_dual_mov_b32 v36, 0 :: v_dual_lshlrev_b32 v1, 3, v0
	v_dual_mov_b32 v33, 0 :: v_dual_lshlrev_b32 v2, 5, v32
	s_wait_alu 0xfffe
	s_add_nc_u64 s[4:5], s[22:23], s[4:5]
	s_delay_alu instid0(VALU_DEP_2)
	v_dual_mov_b32 v34, 0 :: v_dual_and_b32 v1, 24, v1
	s_wait_alu 0xfffe
	v_add_co_u32 v37, s0, s4, v3
	s_wait_alu 0xf1ff
	v_add_co_ci_u32_e64 v38, null, s5, 0, s0
	s_lshl_b64 s[4:5], s[18:19], 2
	v_lshl_or_b32 v2, v27, 7, v2
	s_wait_alu 0xfffe
	s_add_nc_u64 s[4:5], s[16:17], s[4:5]
	v_add3_u32 v39, s26, v5, v1
	s_wait_alu 0xfffe
	v_add_co_u32 v25, s0, s4, v4
	v_dual_mov_b32 v35, 0 :: v_dual_add_nc_u32 v40, 0x60, v2
	s_wait_alu 0xf1ff
	v_add_co_ci_u32_e64 v26, null, s5, 0, s0
	s_mov_b32 s2, s9
	s_add_co_i32 s3, s27, -1
	s_mov_b32 s5, s25
	s_mov_b32 s4, 0
	s_branch .LBB180_29
.LBB180_28:                             ;   in Loop: Header=BB180_29 Depth=1
	s_wait_alu 0xfffe
	s_or_b32 exec_lo, exec_lo, s0
	s_wait_dscnt 0x1
	v_bfe_u32 v41, v17, 16, 1
	v_bfe_u32 v42, v18, 16, 1
	v_or_b32_e32 v43, 0x400000, v17
	v_cmp_u_f32_e32 vcc_lo, v17, v17
	v_or_b32_e32 v44, 0x400000, v18
	v_add3_u32 v41, v41, v17, 0x7fff
	v_bfe_u32 v45, v19, 16, 1
	v_add3_u32 v42, v42, v18, 0x7fff
	v_bfe_u32 v46, v20, 16, 1
	s_wait_loadcnt 0x1
	s_wait_alu 0xfffd
	v_dual_cndmask_b32 v17, v41, v43 :: v_dual_and_b32 v48, 0xffff0000, v24
	v_cmp_u_f32_e32 vcc_lo, v18, v18
	v_add3_u32 v41, v45, v19, 0x7fff
	v_add3_u32 v43, v46, v20, 0x7fff
	s_wait_dscnt 0x0
	v_bfe_u32 v45, v13, 16, 1
	s_wait_alu 0xfffd
	v_dual_cndmask_b32 v18, v42, v44 :: v_dual_add_nc_u32 v29, 4, v29
	v_or_b32_e32 v42, 0x400000, v19
	v_cmp_u_f32_e32 vcc_lo, v19, v19
	v_or_b32_e32 v44, 0x400000, v20
	v_add_co_u32 v25, s0, v25, 16
	v_add_nc_u32_e32 v39, 0x80, v39
	s_wait_alu 0xfffd
	v_cndmask_b32_e32 v19, v41, v42, vcc_lo
	v_cmp_u_f32_e32 vcc_lo, v20, v20
	v_bfe_u32 v41, v14, 16, 1
	v_add3_u32 v42, v45, v13, 0x7fff
	v_bfe_u32 v45, v15, 16, 1
	s_wait_alu 0xf1ff
	v_add_co_ci_u32_e64 v26, null, 0, v26, s0
	s_wait_alu 0xfffd
	v_cndmask_b32_e32 v20, v43, v44, vcc_lo
	v_or_b32_e32 v43, 0x400000, v13
	v_cmp_u_f32_e32 vcc_lo, v13, v13
	v_add3_u32 v41, v41, v14, 0x7fff
	v_or_b32_e32 v44, 0x400000, v14
	v_and_b32_e32 v19, 0xffff0000, v19
	s_wait_alu 0xfffd
	v_dual_cndmask_b32 v13, v42, v43 :: v_dual_and_b32 v20, 0xffff0000, v20
	v_cmp_u_f32_e32 vcc_lo, v14, v14
	v_bfe_u32 v42, v16, 16, 1
	v_add_nc_u32_e32 v40, 0x200, v40
	s_wait_alu 0xfffd
	v_cndmask_b32_e32 v14, v41, v44, vcc_lo
	v_add3_u32 v41, v45, v15, 0x7fff
	v_or_b32_e32 v44, 0x400000, v15
	v_cmp_u_f32_e32 vcc_lo, v15, v15
	v_add3_u32 v42, v42, v16, 0x7fff
	v_or_b32_e32 v45, 0x400000, v16
	v_and_b32_e32 v13, 0xffff0000, v13
	s_wait_alu 0xfffd
	v_dual_cndmask_b32 v15, v41, v44 :: v_dual_and_b32 v14, 0xffff0000, v14
	v_cmp_u_f32_e32 vcc_lo, v16, v16
	v_and_b32_e32 v44, 0xffff0000, v22
	v_lshlrev_b32_e32 v22, 16, v22
	v_and_b32_e32 v43, 0xffff0000, v21
	v_and_b32_e32 v17, 0xffff0000, v17
	s_wait_alu 0xfffd
	v_cndmask_b32_e32 v16, v42, v45, vcc_lo
	v_mul_f32_e32 v44, v20, v44
	v_dual_mul_f32 v22, v19, v22 :: v_dual_and_b32 v15, 0xffff0000, v15
	s_delay_alu instid0(VALU_DEP_3) | instskip(SKIP_1) | instid1(VALU_DEP_1)
	v_and_b32_e32 v16, 0xffff0000, v16
	v_lshlrev_b32_e32 v21, 16, v21
	v_dual_mul_f32 v21, v17, v21 :: v_dual_and_b32 v18, 0xffff0000, v18
	s_delay_alu instid0(VALU_DEP_1) | instskip(NEXT) | instid1(VALU_DEP_2)
	v_mul_f32_e32 v43, v18, v43
	v_bfe_u32 v42, v21, 16, 1
	s_delay_alu instid0(VALU_DEP_2)
	v_bfe_u32 v41, v43, 16, 1
	v_or_b32_e32 v45, 0x400000, v43
	v_cmp_u_f32_e32 vcc_lo, v43, v43
	v_or_b32_e32 v46, 0x400000, v21
	v_add3_u32 v42, v42, v21, 0x7fff
	v_add3_u32 v41, v41, v43, 0x7fff
	s_wait_alu 0xfffd
	s_delay_alu instid0(VALU_DEP_1) | instskip(SKIP_2) | instid1(VALU_DEP_3)
	v_cndmask_b32_e32 v41, v41, v45, vcc_lo
	v_cmp_u_f32_e32 vcc_lo, v21, v21
	v_or_b32_e32 v45, 0x400000, v44
	v_and_b32_e32 v41, 0xffff0000, v41
	s_wait_alu 0xfffd
	v_cndmask_b32_e32 v21, v42, v46, vcc_lo
	v_bfe_u32 v42, v44, 16, 1
	v_bfe_u32 v46, v22, 16, 1
	v_cmp_u_f32_e32 vcc_lo, v44, v44
	s_delay_alu instid0(VALU_DEP_3) | instskip(NEXT) | instid1(VALU_DEP_3)
	v_add3_u32 v42, v42, v44, 0x7fff
	v_add3_u32 v44, v46, v22, 0x7fff
	s_wait_alu 0xfffd
	s_delay_alu instid0(VALU_DEP_2) | instskip(SKIP_2) | instid1(VALU_DEP_3)
	v_cndmask_b32_e32 v42, v42, v45, vcc_lo
	v_or_b32_e32 v45, 0x400000, v22
	v_cmp_u_f32_e32 vcc_lo, v22, v22
	v_and_b32_e32 v42, 0xffff0000, v42
	s_wait_alu 0xfffd
	s_delay_alu instid0(VALU_DEP_3) | instskip(SKIP_1) | instid1(VALU_DEP_1)
	v_cndmask_b32_e32 v22, v44, v45, vcc_lo
	v_and_b32_e32 v21, 0xffff0000, v21
	v_dual_add_f32 v21, v21, v41 :: v_dual_and_b32 v22, 0xffff0000, v22
	s_delay_alu instid0(VALU_DEP_1) | instskip(SKIP_3) | instid1(VALU_DEP_4)
	v_add_f32_e32 v22, v22, v42
	v_lshlrev_b32_e32 v24, 16, v24
	v_and_b32_e32 v42, 0xffff0000, v9
	v_lshlrev_b32_e32 v9, 16, v9
	v_add_f32_e32 v21, v22, v21
	s_delay_alu instid0(VALU_DEP_4) | instskip(NEXT) | instid1(VALU_DEP_3)
	v_dual_mul_f32 v24, v15, v24 :: v_dual_and_b32 v43, 0xffff0000, v23
	v_mul_f32_e32 v9, v17, v9
	s_delay_alu instid0(VALU_DEP_2) | instskip(NEXT) | instid1(VALU_DEP_1)
	v_mul_f32_e32 v43, v14, v43
	v_bfe_u32 v46, v43, 16, 1
	v_or_b32_e32 v45, 0x400000, v43
	v_cmp_u_f32_e32 vcc_lo, v43, v43
	s_delay_alu instid0(VALU_DEP_3) | instskip(SKIP_1) | instid1(VALU_DEP_1)
	v_add3_u32 v44, v46, v43, 0x7fff
	s_wait_alu 0xfffd
	v_cndmask_b32_e32 v43, v44, v45, vcc_lo
	s_delay_alu instid0(VALU_DEP_1) | instskip(NEXT) | instid1(VALU_DEP_1)
	v_dual_mul_f32 v46, v16, v48 :: v_dual_and_b32 v41, 0xffff0000, v43
	v_bfe_u32 v49, v46, 16, 1
	v_or_b32_e32 v45, 0x400000, v46
	s_delay_alu instid0(VALU_DEP_2) | instskip(SKIP_1) | instid1(VALU_DEP_1)
	v_add3_u32 v44, v49, v46, 0x7fff
	v_lshlrev_b32_e32 v23, 16, v23
	v_mul_f32_e32 v23, v13, v23
	s_delay_alu instid0(VALU_DEP_1) | instskip(SKIP_2) | instid1(VALU_DEP_3)
	v_bfe_u32 v47, v23, 16, 1
	v_or_b32_e32 v48, 0x400000, v23
	v_cmp_u_f32_e32 vcc_lo, v23, v23
	v_add3_u32 v47, v47, v23, 0x7fff
	s_wait_alu 0xfffd
	s_delay_alu instid0(VALU_DEP_1)
	v_cndmask_b32_e32 v23, v47, v48, vcc_lo
	v_bfe_u32 v47, v24, 16, 1
	v_cmp_u_f32_e32 vcc_lo, v46, v46
	v_or_b32_e32 v46, 0x400000, v24
	s_wait_alu 0xfffd
	v_cndmask_b32_e32 v44, v44, v45, vcc_lo
	v_add3_u32 v45, v47, v24, 0x7fff
	v_cmp_u_f32_e32 vcc_lo, v24, v24
	s_wait_alu 0xfffd
	s_delay_alu instid0(VALU_DEP_2) | instskip(NEXT) | instid1(VALU_DEP_1)
	v_cndmask_b32_e32 v24, v45, v46, vcc_lo
	v_and_b32_e32 v24, 0xffff0000, v24
	v_and_b32_e32 v23, 0xffff0000, v23
	s_delay_alu instid0(VALU_DEP_1) | instskip(SKIP_2) | instid1(VALU_DEP_3)
	v_dual_add_f32 v22, v23, v41 :: v_dual_mul_f32 v23, v18, v42
	v_and_b32_e32 v41, 0xffff0000, v44
	v_or_b32_e32 v44, 0x400000, v9
	v_add_f32_e32 v21, v22, v21
	v_bfe_u32 v22, v9, 16, 1
	v_bfe_u32 v43, v23, 16, 1
	v_add_f32_e32 v24, v24, v41
	v_cmp_u_f32_e32 vcc_lo, v23, v23
	s_delay_alu instid0(VALU_DEP_4) | instskip(SKIP_1) | instid1(VALU_DEP_1)
	v_add3_u32 v22, v22, v9, 0x7fff
	v_and_b32_e32 v42, 0xffff0000, v10
	v_mul_f32_e32 v41, v20, v42
	v_add3_u32 v42, v43, v23, 0x7fff
	v_or_b32_e32 v43, 0x400000, v23
	v_lshlrev_b32_e32 v10, 16, v10
	s_delay_alu instid0(VALU_DEP_4) | instskip(SKIP_1) | instid1(VALU_DEP_3)
	v_bfe_u32 v45, v41, 16, 1
	s_wait_alu 0xfffd
	v_cndmask_b32_e32 v23, v42, v43, vcc_lo
	v_cmp_u_f32_e32 vcc_lo, v9, v9
	v_mul_f32_e32 v10, v19, v10
	v_or_b32_e32 v42, 0x400000, v41
	s_delay_alu instid0(VALU_DEP_4)
	v_and_b32_e32 v23, 0xffff0000, v23
	s_wait_alu 0xfffd
	v_cndmask_b32_e32 v9, v22, v44, vcc_lo
	v_add3_u32 v22, v45, v41, 0x7fff
	v_bfe_u32 v44, v10, 16, 1
	v_cmp_u_f32_e32 vcc_lo, v41, v41
	s_wait_alu 0xfffd
	s_delay_alu instid0(VALU_DEP_3) | instskip(NEXT) | instid1(VALU_DEP_3)
	v_dual_cndmask_b32 v22, v22, v42 :: v_dual_and_b32 v9, 0xffff0000, v9
	v_add3_u32 v42, v44, v10, 0x7fff
	v_and_b32_e32 v44, 0xffff0000, v12
	s_delay_alu instid0(VALU_DEP_3) | instskip(SKIP_3) | instid1(VALU_DEP_3)
	v_dual_add_f32 v9, v9, v23 :: v_dual_lshlrev_b32 v12, 16, v12
	v_and_b32_e32 v43, 0xffff0000, v11
	v_cmp_u_f32_e32 vcc_lo, v10, v10
	v_and_b32_e32 v22, 0xffff0000, v22
	v_dual_mul_f32 v12, v15, v12 :: v_dual_mul_f32 v41, v14, v43
	v_or_b32_e32 v43, 0x400000, v10
	s_wait_alu 0xfffd
	s_delay_alu instid0(VALU_DEP_1) | instskip(SKIP_1) | instid1(VALU_DEP_2)
	v_cndmask_b32_e32 v10, v42, v43, vcc_lo
	v_mul_f32_e32 v42, v16, v44
	v_and_b32_e32 v10, 0xffff0000, v10
	v_bfe_u32 v45, v41, 16, 1
	v_or_b32_e32 v44, 0x400000, v41
	s_delay_alu instid0(VALU_DEP_4) | instskip(SKIP_4) | instid1(VALU_DEP_1)
	v_bfe_u32 v47, v42, 16, 1
	v_cmp_u_f32_e32 vcc_lo, v41, v41
	v_add_f32_e32 v10, v10, v22
	v_add3_u32 v43, v45, v41, 0x7fff
	s_wait_alu 0xfffd
	v_dual_cndmask_b32 v41, v43, v44 :: v_dual_and_b32 v22, 0xffff0000, v1
	v_add3_u32 v43, v47, v42, 0x7fff
	v_or_b32_e32 v44, 0x400000, v42
	v_lshlrev_b32_e32 v11, 16, v11
	s_delay_alu instid0(VALU_DEP_1) | instskip(NEXT) | instid1(VALU_DEP_1)
	v_mul_f32_e32 v11, v13, v11
	v_bfe_u32 v46, v11, 16, 1
	v_cmp_u_f32_e32 vcc_lo, v11, v11
	s_delay_alu instid0(VALU_DEP_2) | instskip(SKIP_2) | instid1(VALU_DEP_1)
	v_add3_u32 v45, v46, v11, 0x7fff
	v_or_b32_e32 v46, 0x400000, v11
	s_wait_alu 0xfffd
	v_cndmask_b32_e32 v11, v45, v46, vcc_lo
	v_cmp_u_f32_e32 vcc_lo, v42, v42
	s_wait_alu 0xfffd
	s_delay_alu instid0(VALU_DEP_2) | instskip(SKIP_3) | instid1(VALU_DEP_3)
	v_dual_cndmask_b32 v42, v43, v44 :: v_dual_and_b32 v11, 0xffff0000, v11
	v_bfe_u32 v43, v12, 16, 1
	v_cmp_u_f32_e32 vcc_lo, v12, v12
	v_and_b32_e32 v23, 0xffff0000, v41
	v_add3_u32 v41, v43, v12, 0x7fff
	v_or_b32_e32 v43, 0x400000, v12
	s_wait_alu 0xfffd
	s_delay_alu instid0(VALU_DEP_1) | instskip(SKIP_2) | instid1(VALU_DEP_3)
	v_dual_cndmask_b32 v12, v41, v43 :: v_dual_add_f32 v9, v10, v9
	v_dual_mul_f32 v10, v18, v22 :: v_dual_add_f32 v11, v11, v23
	v_and_b32_e32 v41, 0xffff0000, v42
	v_and_b32_e32 v12, 0xffff0000, v12
	s_delay_alu instid0(VALU_DEP_3)
	v_bfe_u32 v22, v10, 16, 1
	v_or_b32_e32 v23, 0x400000, v10
	v_cmp_u_f32_e32 vcc_lo, v10, v10
	v_add_f32_e32 v9, v11, v9
	v_and_b32_e32 v11, 0xffff0000, v2
	v_add3_u32 v22, v22, v10, 0x7fff
	v_lshlrev_b32_e32 v1, 16, v1
	v_lshlrev_b32_e32 v2, 16, v2
	s_wait_alu 0xfffd
	s_delay_alu instid0(VALU_DEP_2) | instskip(NEXT) | instid1(VALU_DEP_2)
	v_dual_cndmask_b32 v10, v22, v23 :: v_dual_mul_f32 v1, v17, v1
	v_mul_f32_e32 v2, v19, v2
	s_delay_alu instid0(VALU_DEP_2) | instskip(NEXT) | instid1(VALU_DEP_3)
	v_and_b32_e32 v10, 0xffff0000, v10
	v_bfe_u32 v42, v1, 16, 1
	v_or_b32_e32 v43, 0x400000, v1
	v_cmp_u_f32_e32 vcc_lo, v1, v1
	s_delay_alu instid0(VALU_DEP_3) | instskip(SKIP_3) | instid1(VALU_DEP_2)
	v_add3_u32 v23, v42, v1, 0x7fff
	v_and_b32_e32 v42, 0xffff0000, v3
	v_lshlrev_b32_e32 v3, 16, v3
	s_wait_alu 0xfffd
	v_dual_cndmask_b32 v1, v23, v43 :: v_dual_mul_f32 v42, v14, v42
	v_bfe_u32 v23, v2, 16, 1
	s_delay_alu instid0(VALU_DEP_3) | instskip(NEXT) | instid1(VALU_DEP_3)
	v_mul_f32_e32 v3, v13, v3
	v_and_b32_e32 v1, 0xffff0000, v1
	s_delay_alu instid0(VALU_DEP_4) | instskip(SKIP_2) | instid1(VALU_DEP_4)
	v_or_b32_e32 v45, 0x400000, v42
	v_mul_f32_e32 v11, v20, v11
	v_add3_u32 v23, v23, v2, 0x7fff
	v_add_f32_e32 v1, v1, v10
	s_delay_alu instid0(VALU_DEP_3) | instskip(SKIP_2) | instid1(VALU_DEP_3)
	v_bfe_u32 v22, v11, 16, 1
	v_or_b32_e32 v44, 0x400000, v11
	v_cmp_u_f32_e32 vcc_lo, v11, v11
	v_add3_u32 v22, v22, v11, 0x7fff
	s_wait_alu 0xfffd
	s_delay_alu instid0(VALU_DEP_1) | instskip(SKIP_4) | instid1(VALU_DEP_3)
	v_cndmask_b32_e32 v11, v22, v44, vcc_lo
	v_or_b32_e32 v44, 0x400000, v2
	v_cmp_u_f32_e32 vcc_lo, v2, v2
	v_bfe_u32 v22, v42, 16, 1
	s_wait_alu 0xfffd
	v_cndmask_b32_e32 v2, v23, v44, vcc_lo
	s_delay_alu instid0(VALU_DEP_2)
	v_add3_u32 v22, v22, v42, 0x7fff
	v_cmp_u_f32_e32 vcc_lo, v42, v42
	v_bfe_u32 v23, v3, 16, 1
	v_or_b32_e32 v42, 0x400000, v3
	v_and_b32_e32 v2, 0xffff0000, v2
	v_and_b32_e32 v11, 0xffff0000, v11
	s_wait_alu 0xfffd
	v_dual_cndmask_b32 v22, v22, v45 :: v_dual_and_b32 v43, 0xffff0000, v4
	v_lshlrev_b32_e32 v4, 16, v4
	v_add3_u32 v23, v23, v3, 0x7fff
	v_add_f32_e32 v2, v2, v11
	s_delay_alu instid0(VALU_DEP_4) | instskip(NEXT) | instid1(VALU_DEP_4)
	v_dual_mul_f32 v43, v16, v43 :: v_dual_and_b32 v10, 0xffff0000, v22
	v_mul_f32_e32 v4, v15, v4
	v_cmp_u_f32_e32 vcc_lo, v3, v3
	s_delay_alu instid0(VALU_DEP_3)
	v_bfe_u32 v44, v43, 16, 1
	v_or_b32_e32 v45, 0x400000, v43
	s_wait_alu 0xfffd
	v_cndmask_b32_e32 v3, v23, v42, vcc_lo
	v_cmp_u_f32_e32 vcc_lo, v43, v43
	v_add3_u32 v44, v44, v43, 0x7fff
	v_bfe_u32 v42, v4, 16, 1
	v_or_b32_e32 v43, 0x400000, v4
	s_wait_alu 0xfffd
	s_delay_alu instid0(VALU_DEP_3) | instskip(NEXT) | instid1(VALU_DEP_3)
	v_cndmask_b32_e32 v23, v44, v45, vcc_lo
	v_add3_u32 v42, v42, v4, 0x7fff
	v_cmp_u_f32_e32 vcc_lo, v4, v4
	s_wait_loadcnt 0x0
	v_lshlrev_b32_e32 v44, 16, v5
	s_wait_alu 0xfffd
	v_cndmask_b32_e32 v4, v42, v43, vcc_lo
	v_and_b32_e32 v3, 0xffff0000, v3
	s_delay_alu instid0(VALU_DEP_3) | instskip(NEXT) | instid1(VALU_DEP_2)
	v_mul_f32_e32 v11, v17, v44
	v_dual_add_f32 v3, v3, v10 :: v_dual_and_b32 v4, 0xffff0000, v4
	v_dual_add_f32 v1, v2, v1 :: v_dual_lshlrev_b32 v10, 16, v6
	v_and_b32_e32 v6, 0xffff0000, v6
	s_delay_alu instid0(VALU_DEP_4) | instskip(SKIP_1) | instid1(VALU_DEP_4)
	v_bfe_u32 v2, v11, 16, 1
	v_or_b32_e32 v17, 0x400000, v11
	v_dual_mul_f32 v10, v19, v10 :: v_dual_lshlrev_b32 v19, 16, v7
	v_and_b32_e32 v7, 0xffff0000, v7
	s_delay_alu instid0(VALU_DEP_4) | instskip(SKIP_1) | instid1(VALU_DEP_3)
	v_add3_u32 v2, v2, v11, 0x7fff
	v_cmp_u_f32_e32 vcc_lo, v11, v11
	v_dual_mul_f32 v6, v20, v6 :: v_dual_mul_f32 v7, v14, v7
	v_lshlrev_b32_e32 v14, 16, v8
	v_and_b32_e32 v5, 0xffff0000, v5
	v_and_b32_e32 v8, 0xffff0000, v8
	s_wait_alu 0xfffd
	v_cndmask_b32_e32 v2, v2, v17, vcc_lo
	s_delay_alu instid0(VALU_DEP_3) | instskip(NEXT) | instid1(VALU_DEP_3)
	v_dual_mul_f32 v14, v15, v14 :: v_dual_mul_f32 v5, v18, v5
	v_mul_f32_e32 v8, v16, v8
	s_delay_alu instid0(VALU_DEP_3) | instskip(NEXT) | instid1(VALU_DEP_3)
	v_and_b32_e32 v2, 0xffff0000, v2
	v_bfe_u32 v18, v5, 16, 1
	v_or_b32_e32 v17, 0x400000, v5
	v_cmp_u_f32_e32 vcc_lo, v5, v5
	s_delay_alu instid0(VALU_DEP_3) | instskip(SKIP_2) | instid1(VALU_DEP_2)
	v_add3_u32 v11, v18, v5, 0x7fff
	v_bfe_u32 v18, v10, 16, 1
	s_wait_alu 0xfffd
	v_cndmask_b32_e32 v5, v11, v17, vcc_lo
	s_delay_alu instid0(VALU_DEP_2)
	v_add3_u32 v11, v18, v10, 0x7fff
	v_or_b32_e32 v17, 0x400000, v10
	v_bfe_u32 v18, v6, 16, 1
	v_cmp_u_f32_e32 vcc_lo, v10, v10
	v_and_b32_e32 v5, 0xffff0000, v5
	s_wait_alu 0xfffd
	v_cndmask_b32_e32 v10, v11, v17, vcc_lo
	v_add3_u32 v11, v18, v6, 0x7fff
	v_or_b32_e32 v17, 0x400000, v6
	v_cmp_u_f32_e32 vcc_lo, v6, v6
	v_add_f32_e32 v2, v2, v5
	v_and_b32_e32 v10, 0xffff0000, v10
	v_or_b32_e32 v16, 0x400000, v7
	s_wait_alu 0xfffd
	v_dual_cndmask_b32 v6, v11, v17 :: v_dual_mul_f32 v13, v13, v19
	v_bfe_u32 v11, v7, 16, 1
	v_bfe_u32 v19, v8, 16, 1
	s_delay_alu instid0(VALU_DEP_3) | instskip(NEXT) | instid1(VALU_DEP_4)
	v_and_b32_e32 v6, 0xffff0000, v6
	v_bfe_u32 v18, v13, 16, 1
	v_or_b32_e32 v15, 0x400000, v13
	v_cmp_u_f32_e32 vcc_lo, v13, v13
	v_add3_u32 v11, v11, v7, 0x7fff
	v_add_f32_e32 v5, v10, v6
	v_add3_u32 v17, v18, v13, 0x7fff
	v_bfe_u32 v18, v14, 16, 1
	s_delay_alu instid0(VALU_DEP_3) | instskip(SKIP_1) | instid1(VALU_DEP_3)
	v_add_f32_e32 v2, v5, v2
	s_wait_alu 0xfffd
	v_cndmask_b32_e32 v13, v17, v15, vcc_lo
	v_cmp_u_f32_e32 vcc_lo, v7, v7
	v_add3_u32 v15, v19, v8, 0x7fff
	v_or_b32_e32 v17, 0x400000, v14
	s_wait_alu 0xfffd
	v_cndmask_b32_e32 v7, v11, v16, vcc_lo
	v_or_b32_e32 v16, 0x400000, v8
	v_cmp_u_f32_e32 vcc_lo, v8, v8
	v_add3_u32 v11, v18, v14, 0x7fff
	s_delay_alu instid0(VALU_DEP_4) | instskip(SKIP_3) | instid1(VALU_DEP_2)
	v_and_b32_e32 v6, 0xffff0000, v7
	s_wait_alu 0xfffd
	v_dual_cndmask_b32 v8, v15, v16 :: v_dual_and_b32 v7, 0xffff0000, v13
	v_cmp_u_f32_e32 vcc_lo, v14, v14
	v_dual_add_f32 v5, v7, v6 :: v_dual_and_b32 v6, 0xffff0000, v8
	s_wait_alu 0xfffd
	v_dual_cndmask_b32 v10, v11, v17 :: v_dual_and_b32 v11, 0xffff0000, v23
	v_add_f32_e32 v8, v12, v41
	s_delay_alu instid0(VALU_DEP_3) | instskip(NEXT) | instid1(VALU_DEP_3)
	v_dual_add_f32 v2, v5, v2 :: v_dual_add_f32 v1, v3, v1
	v_and_b32_e32 v7, 0xffff0000, v10
	s_delay_alu instid0(VALU_DEP_4) | instskip(SKIP_2) | instid1(VALU_DEP_4)
	v_add_f32_e32 v3, v4, v11
	v_add_f32_e32 v5, v24, v21
	v_cmp_le_i32_e32 vcc_lo, s13, v29
	v_add_f32_e32 v4, v7, v6
	s_delay_alu instid0(VALU_DEP_3) | instskip(SKIP_1) | instid1(VALU_DEP_2)
	v_add_f32_e32 v35, v35, v5
	s_or_b32 s4, vcc_lo, s4
	v_add_f32_e32 v2, v4, v2
	s_delay_alu instid0(VALU_DEP_1) | instskip(NEXT) | instid1(VALU_DEP_1)
	v_dual_add_f32 v6, v8, v9 :: v_dual_add_f32 v33, v33, v2
	v_dual_add_f32 v1, v3, v1 :: v_dual_add_f32 v36, v36, v6
	s_delay_alu instid0(VALU_DEP_1)
	v_add_f32_e32 v34, v34, v1
	s_wait_alu 0xfffe
	s_and_not1_b32 exec_lo, exec_lo, s4
	s_cbranch_execz .LBB180_37
.LBB180_29:                             ; =>This Inner Loop Header: Depth=1
	global_load_b32 v1, v[25:26], off
	v_add_nc_u32_e32 v46, 1, v39
	v_or_b32_e32 v45, 3, v39
	v_or_b32_e32 v47, 2, v39
	v_or_b32_e32 v42, 5, v39
	v_or_b32_e32 v44, 4, v39
	v_or_b32_e32 v41, 7, v39
	v_or_b32_e32 v43, 6, v39
	s_wait_loadcnt 0x0
	s_wait_alu 0xfffe
	v_mad_co_i64_i32 v[1:2], null, v1, s2, 0
	s_delay_alu instid0(VALU_DEP_1) | instskip(NEXT) | instid1(VALU_DEP_1)
	v_lshlrev_b64_e32 v[1:2], 1, v[1:2]
	v_add_co_u32 v5, vcc_lo, v37, v1
	s_wait_alu 0xfffd
	s_delay_alu instid0(VALU_DEP_2)
	v_add_co_ci_u32_e64 v6, null, v38, v2, vcc_lo
	v_cmp_eq_u32_e32 vcc_lo, s3, v29
	global_load_b128 v[1:4], v[5:6], off
	ds_load_2addr_b64 v[17:20], v40 offset1:1
	ds_load_2addr_b64 v[13:16], v40 offset0:2 offset1:3
	s_and_saveexec_b32 s6, vcc_lo
	s_cbranch_execnz .LBB180_33
; %bb.30:                               ;   in Loop: Header=BB180_29 Depth=1
	s_or_b32 exec_lo, exec_lo, s6
	global_load_b128 v[9:12], v[5:6], off offset:512
	s_and_saveexec_b32 s6, vcc_lo
	s_cbranch_execnz .LBB180_34
.LBB180_31:                             ;   in Loop: Header=BB180_29 Depth=1
	s_or_b32 exec_lo, exec_lo, s6
	global_load_b128 v[21:24], v[5:6], off offset:1024
	s_and_saveexec_b32 s6, vcc_lo
	s_cbranch_execnz .LBB180_35
.LBB180_32:                             ;   in Loop: Header=BB180_29 Depth=1
	s_or_b32 exec_lo, exec_lo, s6
	global_load_b128 v[5:8], v[5:6], off offset:1536
	s_and_saveexec_b32 s0, vcc_lo
	s_cbranch_execz .LBB180_28
	s_branch .LBB180_36
.LBB180_33:                             ;   in Loop: Header=BB180_29 Depth=1
	v_cmp_gt_i32_e64 s0, s25, v39
	s_wait_loadcnt 0x0
	v_lshrrev_b32_e32 v7, 16, v1
	v_lshrrev_b32_e32 v8, 16, v2
	;; [unrolled: 1-line block ×4, first 2 shown]
	s_wait_alu 0xf1ff
	v_cndmask_b32_e64 v1, 0, v1, s0
	v_cmp_gt_i32_e64 s0, s5, v46
	s_wait_alu 0xf1ff
	s_delay_alu instid0(VALU_DEP_1) | instskip(SKIP_1) | instid1(VALU_DEP_2)
	v_cndmask_b32_e64 v7, 0, v7, s0
	v_cmp_gt_i32_e64 s0, s25, v47
	v_perm_b32 v1, v7, v1, 0x5040100
	s_wait_alu 0xf1ff
	s_delay_alu instid0(VALU_DEP_2) | instskip(SKIP_2) | instid1(VALU_DEP_1)
	v_cndmask_b32_e64 v2, 0, v2, s0
	v_cmp_gt_i32_e64 s0, s5, v45
	s_wait_alu 0xf1ff
	v_cndmask_b32_e64 v8, 0, v8, s0
	v_cmp_gt_i32_e64 s0, s25, v44
	s_delay_alu instid0(VALU_DEP_2) | instskip(SKIP_1) | instid1(VALU_DEP_2)
	v_perm_b32 v2, v8, v2, 0x5040100
	s_wait_alu 0xf1ff
	v_cndmask_b32_e64 v3, 0, v3, s0
	v_cmp_gt_i32_e64 s0, s5, v42
	s_wait_alu 0xf1ff
	s_delay_alu instid0(VALU_DEP_1) | instskip(SKIP_1) | instid1(VALU_DEP_2)
	v_cndmask_b32_e64 v9, 0, v9, s0
	v_cmp_gt_i32_e64 s0, s25, v43
	v_perm_b32 v3, v9, v3, 0x5040100
	s_wait_alu 0xf1ff
	s_delay_alu instid0(VALU_DEP_2) | instskip(SKIP_2) | instid1(VALU_DEP_1)
	v_cndmask_b32_e64 v4, 0, v4, s0
	v_cmp_gt_i32_e64 s0, s5, v41
	s_wait_alu 0xf1ff
	v_cndmask_b32_e64 v10, 0, v10, s0
	s_delay_alu instid0(VALU_DEP_1)
	v_perm_b32 v4, v10, v4, 0x5040100
	s_or_b32 exec_lo, exec_lo, s6
	global_load_b128 v[9:12], v[5:6], off offset:512
	s_and_saveexec_b32 s6, vcc_lo
	s_cbranch_execz .LBB180_31
.LBB180_34:                             ;   in Loop: Header=BB180_29 Depth=1
	v_cmp_gt_i32_e64 s0, s25, v39
	s_wait_loadcnt 0x0
	v_lshrrev_b32_e32 v7, 16, v9
	v_lshrrev_b32_e32 v22, 16, v12
	s_wait_alu 0xf1ff
	v_cndmask_b32_e64 v8, 0, v9, s0
	v_cmp_gt_i32_e64 s0, s5, v46
	v_lshrrev_b32_e32 v9, 16, v10
	s_wait_alu 0xf1ff
	s_delay_alu instid0(VALU_DEP_2) | instskip(SKIP_2) | instid1(VALU_DEP_1)
	v_cndmask_b32_e64 v7, 0, v7, s0
	v_cmp_gt_i32_e64 s0, s25, v47
	s_wait_alu 0xf1ff
	v_cndmask_b32_e64 v10, 0, v10, s0
	v_cmp_gt_i32_e64 s0, s5, v45
	s_wait_alu 0xf1ff
	s_delay_alu instid0(VALU_DEP_1) | instskip(SKIP_2) | instid1(VALU_DEP_3)
	v_cndmask_b32_e64 v21, 0, v9, s0
	v_cmp_gt_i32_e64 s0, s25, v44
	v_lshrrev_b32_e32 v9, 16, v11
	v_perm_b32 v10, v21, v10, 0x5040100
	s_wait_alu 0xf1ff
	s_delay_alu instid0(VALU_DEP_3) | instskip(SKIP_2) | instid1(VALU_DEP_1)
	v_cndmask_b32_e64 v11, 0, v11, s0
	v_cmp_gt_i32_e64 s0, s5, v42
	s_wait_alu 0xf1ff
	v_cndmask_b32_e64 v23, 0, v9, s0
	v_cmp_gt_i32_e64 s0, s25, v43
	v_perm_b32 v9, v7, v8, 0x5040100
	s_delay_alu instid0(VALU_DEP_3) | instskip(SKIP_1) | instid1(VALU_DEP_3)
	v_perm_b32 v11, v23, v11, 0x5040100
	s_wait_alu 0xf1ff
	v_cndmask_b32_e64 v12, 0, v12, s0
	v_cmp_gt_i32_e64 s0, s5, v41
	s_wait_alu 0xf1ff
	s_delay_alu instid0(VALU_DEP_1) | instskip(NEXT) | instid1(VALU_DEP_1)
	v_cndmask_b32_e64 v22, 0, v22, s0
	v_perm_b32 v12, v22, v12, 0x5040100
	s_or_b32 exec_lo, exec_lo, s6
	global_load_b128 v[21:24], v[5:6], off offset:1024
	s_and_saveexec_b32 s6, vcc_lo
	s_cbranch_execz .LBB180_32
.LBB180_35:                             ;   in Loop: Header=BB180_29 Depth=1
	v_cmp_gt_i32_e64 s0, s25, v39
	s_wait_loadcnt 0x0
	v_lshrrev_b32_e32 v7, 16, v21
	v_lshrrev_b32_e32 v49, 16, v24
	s_wait_alu 0xf1ff
	v_cndmask_b32_e64 v8, 0, v21, s0
	v_cmp_gt_i32_e64 s0, s5, v46
	v_lshrrev_b32_e32 v21, 16, v22
	s_wait_alu 0xf1ff
	s_delay_alu instid0(VALU_DEP_2) | instskip(SKIP_2) | instid1(VALU_DEP_1)
	v_cndmask_b32_e64 v7, 0, v7, s0
	v_cmp_gt_i32_e64 s0, s25, v47
	s_wait_alu 0xf1ff
	v_cndmask_b32_e64 v22, 0, v22, s0
	v_cmp_gt_i32_e64 s0, s5, v45
	s_wait_alu 0xf1ff
	s_delay_alu instid0(VALU_DEP_1) | instskip(SKIP_2) | instid1(VALU_DEP_3)
	v_cndmask_b32_e64 v48, 0, v21, s0
	v_cmp_gt_i32_e64 s0, s25, v44
	v_lshrrev_b32_e32 v21, 16, v23
	v_perm_b32 v22, v48, v22, 0x5040100
	s_wait_alu 0xf1ff
	s_delay_alu instid0(VALU_DEP_3) | instskip(SKIP_2) | instid1(VALU_DEP_1)
	v_cndmask_b32_e64 v23, 0, v23, s0
	v_cmp_gt_i32_e64 s0, s5, v42
	s_wait_alu 0xf1ff
	v_cndmask_b32_e64 v50, 0, v21, s0
	v_cmp_gt_i32_e64 s0, s25, v43
	v_perm_b32 v21, v7, v8, 0x5040100
	s_delay_alu instid0(VALU_DEP_3) | instskip(SKIP_1) | instid1(VALU_DEP_3)
	v_perm_b32 v23, v50, v23, 0x5040100
	s_wait_alu 0xf1ff
	v_cndmask_b32_e64 v24, 0, v24, s0
	v_cmp_gt_i32_e64 s0, s5, v41
	s_wait_alu 0xf1ff
	s_delay_alu instid0(VALU_DEP_1) | instskip(NEXT) | instid1(VALU_DEP_1)
	v_cndmask_b32_e64 v49, 0, v49, s0
	v_perm_b32 v24, v49, v24, 0x5040100
	s_or_b32 exec_lo, exec_lo, s6
	global_load_b128 v[5:8], v[5:6], off offset:1536
	s_and_saveexec_b32 s0, vcc_lo
	s_cbranch_execz .LBB180_28
.LBB180_36:                             ;   in Loop: Header=BB180_29 Depth=1
	v_cmp_gt_i32_e32 vcc_lo, s25, v39
	s_wait_loadcnt 0x0
	v_lshrrev_b32_e32 v48, 16, v5
	v_lshrrev_b32_e32 v49, 16, v6
	s_wait_alu 0xfffd
	v_cndmask_b32_e32 v5, 0, v5, vcc_lo
	v_cmp_gt_i32_e32 vcc_lo, s5, v46
	s_wait_alu 0xfffd
	v_cndmask_b32_e32 v46, 0, v48, vcc_lo
	v_cmp_gt_i32_e32 vcc_lo, s25, v47
	v_lshrrev_b32_e32 v47, 16, v7
	s_delay_alu instid0(VALU_DEP_3)
	v_perm_b32 v5, v46, v5, 0x5040100
	s_wait_alu 0xfffd
	v_cndmask_b32_e32 v6, 0, v6, vcc_lo
	v_cmp_gt_i32_e32 vcc_lo, s5, v45
	s_wait_alu 0xfffd
	v_cndmask_b32_e32 v45, 0, v49, vcc_lo
	v_cmp_gt_i32_e32 vcc_lo, s25, v44
	v_lshrrev_b32_e32 v44, 16, v8
	s_delay_alu instid0(VALU_DEP_3)
	v_perm_b32 v6, v45, v6, 0x5040100
	s_wait_alu 0xfffd
	v_cndmask_b32_e32 v7, 0, v7, vcc_lo
	v_cmp_gt_i32_e32 vcc_lo, s5, v42
	s_wait_alu 0xfffd
	v_cndmask_b32_e32 v42, 0, v47, vcc_lo
	v_cmp_gt_i32_e32 vcc_lo, s25, v43
	;; [unrolled: 3-line block ×3, first 2 shown]
	s_wait_alu 0xfffd
	v_cndmask_b32_e32 v41, 0, v44, vcc_lo
	v_perm_b32 v7, v42, v7, 0x5040100
	s_delay_alu instid0(VALU_DEP_2)
	v_perm_b32 v8, v41, v8, 0x5040100
	s_branch .LBB180_28
.LBB180_37:
	s_or_b32 exec_lo, exec_lo, s4
.LBB180_38:
	s_wait_alu 0xfffe
	s_or_b32 exec_lo, exec_lo, s1
	ds_bpermute_b32 v1, v30, v34
	ds_bpermute_b32 v2, v30, v36
	;; [unrolled: 1-line block ×4, first 2 shown]
	v_lshrrev_b32_e32 v5, 2, v28
	s_mov_b32 s0, exec_lo
	s_wait_storecnt 0x0
	s_wait_loadcnt_dscnt 0x0
	s_barrier_signal -1
	s_barrier_wait -1
	global_inv scope:SCOPE_SE
	v_dual_add_f32 v1, v34, v1 :: v_dual_add_f32 v2, v36, v2
	v_dual_add_f32 v7, v35, v3 :: v_dual_add_f32 v8, v33, v4
	ds_bpermute_b32 v3, v31, v1
	ds_bpermute_b32 v9, v31, v2
	ds_bpermute_b32 v10, v31, v7
	ds_bpermute_b32 v11, v31, v8
	v_and_b32_e32 v4, 28, v28
	v_and_b32_e32 v12, 0x3c3, v0
	s_delay_alu instid0(VALU_DEP_2)
	v_add_nc_u32_e32 v6, 0x60, v4
	s_wait_dscnt 0x2
	v_dual_add_f32 v4, v1, v3 :: v_dual_add_f32 v3, v2, v9
	s_wait_dscnt 0x0
	v_dual_add_f32 v2, v7, v10 :: v_dual_add_f32 v1, v8, v11
	v_cmpx_eq_u32_e32 64, v12
	s_cbranch_execz .LBB180_40
; %bb.39:
	v_lshl_add_u32 v7, v27, 7, v6
	s_delay_alu instid0(VALU_DEP_1)
	v_add_nc_u32_e32 v8, 0xffffff00, v7
	v_add_nc_u32_e32 v9, 0xffffff20, v7
	;; [unrolled: 1-line block ×4, first 2 shown]
	ds_store_b32 v8, v4
	ds_store_b32 v9, v3
	;; [unrolled: 1-line block ×4, first 2 shown]
.LBB180_40:
	s_wait_alu 0xfffe
	s_or_b32 exec_lo, exec_lo, s0
	v_and_b32_e32 v7, 0x3e0, v0
	v_lshlrev_b32_e32 v5, 2, v5
	s_mov_b32 s1, exec_lo
	v_cmp_eq_u32_e32 vcc_lo, 0, v32
	s_wait_loadcnt_dscnt 0x0
	v_lshlrev_b32_e32 v7, 2, v7
	s_barrier_signal -1
	s_barrier_wait -1
	global_inv scope:SCOPE_SE
	v_add3_u32 v5, 0x60, v7, v5
	v_cmpx_gt_u32_e32 64, v0
	s_cbranch_execz .LBB180_47
; %bb.41:
	s_and_saveexec_b32 s0, vcc_lo
	s_cbranch_execnz .LBB180_59
; %bb.42:
	s_wait_alu 0xfffe
	s_or_b32 exec_lo, exec_lo, s0
	s_and_saveexec_b32 s0, vcc_lo
	s_cbranch_execnz .LBB180_60
.LBB180_43:
	s_wait_alu 0xfffe
	s_or_b32 exec_lo, exec_lo, s0
	s_and_saveexec_b32 s0, vcc_lo
	s_cbranch_execnz .LBB180_61
.LBB180_44:
	s_wait_alu 0xfffe
	s_or_b32 exec_lo, exec_lo, s0
	s_and_saveexec_b32 s0, vcc_lo
	s_cbranch_execz .LBB180_46
.LBB180_45:
	ds_load_b32 v7, v5 offset:96
	s_wait_dscnt 0x0
	v_add_f32_e32 v1, v1, v7
.LBB180_46:
	s_wait_alu 0xfffe
	s_or_b32 exec_lo, exec_lo, s0
.LBB180_47:
	s_wait_alu 0xfffe
	s_or_b32 exec_lo, exec_lo, s1
	v_and_b32_e32 v7, 0x3e3, v0
	s_mov_b32 s1, exec_lo
	s_wait_loadcnt 0x0
	s_barrier_signal -1
	s_barrier_wait -1
	global_inv scope:SCOPE_SE
	v_cmpx_eq_u32_e32 32, v7
	s_cbranch_execz .LBB180_49
; %bb.48:
	ds_store_2addr_b32 v6, v4, v3 offset1:8
	ds_store_2addr_b32 v6, v2, v1 offset0:16 offset1:24
.LBB180_49:
	s_wait_alu 0xfffe
	s_or_b32 exec_lo, exec_lo, s1
	s_delay_alu instid0(SALU_CYCLE_1)
	s_mov_b32 s1, exec_lo
	s_wait_loadcnt_dscnt 0x0
	s_barrier_signal -1
	s_barrier_wait -1
	global_inv scope:SCOPE_SE
	v_cmpx_gt_u32_e32 32, v0
	s_cbranch_execz .LBB180_56
; %bb.50:
	s_and_saveexec_b32 s0, vcc_lo
	s_cbranch_execnz .LBB180_62
; %bb.51:
	s_wait_alu 0xfffe
	s_or_b32 exec_lo, exec_lo, s0
	s_and_saveexec_b32 s0, vcc_lo
	s_cbranch_execnz .LBB180_63
.LBB180_52:
	s_wait_alu 0xfffe
	s_or_b32 exec_lo, exec_lo, s0
	s_and_saveexec_b32 s0, vcc_lo
	s_cbranch_execnz .LBB180_64
.LBB180_53:
	s_wait_alu 0xfffe
	s_or_b32 exec_lo, exec_lo, s0
	s_and_saveexec_b32 s0, vcc_lo
	s_cbranch_execz .LBB180_55
.LBB180_54:
	ds_load_b32 v5, v5 offset:96
	s_wait_dscnt 0x0
	v_add_f32_e32 v1, v1, v5
.LBB180_55:
	s_wait_alu 0xfffe
	s_or_b32 exec_lo, exec_lo, s0
.LBB180_56:
	s_wait_alu 0xfffe
	s_or_b32 exec_lo, exec_lo, s1
	s_mov_b32 s1, 0
	s_wait_loadcnt 0x0
	s_barrier_signal -1
	s_barrier_wait -1
	global_inv scope:SCOPE_SE
	s_mov_b32 s0, exec_lo
	v_cmpx_eq_u32_e32 0, v7
	s_cbranch_execz .LBB180_58
; %bb.57:
	v_bfe_u32 v5, v4, 16, 1
	v_or_b32_e32 v6, 0x400000, v4
	v_bfe_u32 v7, v3, 16, 1
	v_cmp_u_f32_e32 vcc_lo, v4, v4
	v_bfe_u32 v8, v2, 16, 1
	v_add3_u32 v5, v5, v4, 0x7fff
	s_lshl_b32 s2, s14, 5
	v_or_b32_e32 v9, 0x400000, v2
	s_wait_kmcnt 0x0
	s_mul_i32 s4, s8, s12
	v_add3_u32 v8, v8, v2, 0x7fff
	s_wait_alu 0xfffd
	v_cndmask_b32_e32 v4, v5, v6, vcc_lo
	v_add3_u32 v6, v7, v3, 0x7fff
	v_or_b32_e32 v7, 0x400000, v3
	v_cmp_u_f32_e32 vcc_lo, v3, v3
	v_bfe_u32 v5, v1, 16, 1
	s_wait_alu 0xfffe
	s_ashr_i32 s3, s2, 31
	s_ashr_i32 s5, s4, 31
	s_wait_alu 0xfffe
	s_lshl_b64 s[2:3], s[2:3], 1
	s_wait_alu 0xfffd
	v_cndmask_b32_e32 v3, v6, v7, vcc_lo
	v_cmp_u_f32_e32 vcc_lo, v2, v2
	v_add3_u32 v5, v5, v1, 0x7fff
	v_or_b32_e32 v10, 0x400000, v1
	s_lshl_b64 s[4:5], s[4:5], 1
	s_wait_alu 0xfffe
	s_add_nc_u64 s[2:3], s[10:11], s[2:3]
	s_wait_alu 0xfffd
	v_cndmask_b32_e32 v2, v8, v9, vcc_lo
	v_cmp_u_f32_e32 vcc_lo, v1, v1
	v_lshrrev_b32_e32 v0, 1, v0
	s_lshl_b32 s0, s24, 6
	s_wait_alu 0xfffe
	s_add_nc_u64 s[2:3], s[2:3], s[4:5]
	s_wait_alu 0xfffe
	s_add_nc_u64 s[0:1], s[2:3], s[0:1]
	s_wait_alu 0xfffd
	v_cndmask_b32_e32 v1, v5, v10, vcc_lo
	s_clause 0x3
	global_store_d16_hi_b16 v0, v4, s[0:1]
	global_store_d16_hi_b16 v0, v3, s[0:1] offset:16
	global_store_d16_hi_b16 v0, v2, s[0:1] offset:32
	;; [unrolled: 1-line block ×3, first 2 shown]
.LBB180_58:
	s_endpgm
.LBB180_59:
	ds_load_b32 v7, v5
	s_wait_dscnt 0x0
	v_add_f32_e32 v4, v4, v7
	s_wait_alu 0xfffe
	s_or_b32 exec_lo, exec_lo, s0
	s_and_saveexec_b32 s0, vcc_lo
	s_cbranch_execz .LBB180_43
.LBB180_60:
	ds_load_b32 v7, v5 offset:32
	s_wait_dscnt 0x0
	v_add_f32_e32 v3, v3, v7
	s_wait_alu 0xfffe
	s_or_b32 exec_lo, exec_lo, s0
	s_and_saveexec_b32 s0, vcc_lo
	s_cbranch_execz .LBB180_44
.LBB180_61:
	ds_load_b32 v7, v5 offset:64
	s_wait_dscnt 0x0
	v_add_f32_e32 v2, v2, v7
	s_wait_alu 0xfffe
	s_or_b32 exec_lo, exec_lo, s0
	s_and_saveexec_b32 s0, vcc_lo
	s_cbranch_execnz .LBB180_45
	s_branch .LBB180_46
.LBB180_62:
	ds_load_b32 v6, v5
	s_wait_dscnt 0x0
	v_add_f32_e32 v4, v4, v6
	s_wait_alu 0xfffe
	s_or_b32 exec_lo, exec_lo, s0
	s_and_saveexec_b32 s0, vcc_lo
	s_cbranch_execz .LBB180_52
.LBB180_63:
	ds_load_b32 v6, v5 offset:32
	s_wait_dscnt 0x0
	v_add_f32_e32 v3, v3, v6
	s_wait_alu 0xfffe
	s_or_b32 exec_lo, exec_lo, s0
	s_and_saveexec_b32 s0, vcc_lo
	s_cbranch_execz .LBB180_53
.LBB180_64:
	ds_load_b32 v6, v5 offset:64
	s_wait_dscnt 0x0
	v_add_f32_e32 v2, v2, v6
	s_wait_alu 0xfffe
	s_or_b32 exec_lo, exec_lo, s0
	s_and_saveexec_b32 s0, vcc_lo
	s_cbranch_execnz .LBB180_54
	s_branch .LBB180_55
	.section	.rodata,"a",@progbits
	.p2align	6, 0x0
	.amdhsa_kernel _ZN4vllm25paged_attention_v2_kernelI14__hip_bfloat16S1_Li32ELi32ELi128ELNS_18Fp8KVCacheDataTypeE0ELb0ELi512EEEvPfS3_PT_PKS4_PKT0_SA_ifPKiSC_iPKfiiiSE_SE_iiiii
		.amdhsa_group_segment_fixed_size 96
		.amdhsa_private_segment_fixed_size 0
		.amdhsa_kernarg_size 400
		.amdhsa_user_sgpr_count 2
		.amdhsa_user_sgpr_dispatch_ptr 0
		.amdhsa_user_sgpr_queue_ptr 0
		.amdhsa_user_sgpr_kernarg_segment_ptr 1
		.amdhsa_user_sgpr_dispatch_id 0
		.amdhsa_user_sgpr_private_segment_size 0
		.amdhsa_wavefront_size32 1
		.amdhsa_uses_dynamic_stack 0
		.amdhsa_enable_private_segment 0
		.amdhsa_system_sgpr_workgroup_id_x 1
		.amdhsa_system_sgpr_workgroup_id_y 1
		.amdhsa_system_sgpr_workgroup_id_z 1
		.amdhsa_system_sgpr_workgroup_info 0
		.amdhsa_system_vgpr_workitem_id 0
		.amdhsa_next_free_vgpr 82
		.amdhsa_next_free_sgpr 32
		.amdhsa_reserve_vcc 1
		.amdhsa_float_round_mode_32 0
		.amdhsa_float_round_mode_16_64 0
		.amdhsa_float_denorm_mode_32 3
		.amdhsa_float_denorm_mode_16_64 3
		.amdhsa_fp16_overflow 0
		.amdhsa_workgroup_processor_mode 1
		.amdhsa_memory_ordered 1
		.amdhsa_forward_progress 1
		.amdhsa_inst_pref_size 64
		.amdhsa_round_robin_scheduling 0
		.amdhsa_exception_fp_ieee_invalid_op 0
		.amdhsa_exception_fp_denorm_src 0
		.amdhsa_exception_fp_ieee_div_zero 0
		.amdhsa_exception_fp_ieee_overflow 0
		.amdhsa_exception_fp_ieee_underflow 0
		.amdhsa_exception_fp_ieee_inexact 0
		.amdhsa_exception_int_div_zero 0
	.end_amdhsa_kernel
	.section	.text._ZN4vllm25paged_attention_v2_kernelI14__hip_bfloat16S1_Li32ELi32ELi128ELNS_18Fp8KVCacheDataTypeE0ELb0ELi512EEEvPfS3_PT_PKS4_PKT0_SA_ifPKiSC_iPKfiiiSE_SE_iiiii,"axG",@progbits,_ZN4vllm25paged_attention_v2_kernelI14__hip_bfloat16S1_Li32ELi32ELi128ELNS_18Fp8KVCacheDataTypeE0ELb0ELi512EEEvPfS3_PT_PKS4_PKT0_SA_ifPKiSC_iPKfiiiSE_SE_iiiii,comdat
.Lfunc_end180:
	.size	_ZN4vllm25paged_attention_v2_kernelI14__hip_bfloat16S1_Li32ELi32ELi128ELNS_18Fp8KVCacheDataTypeE0ELb0ELi512EEEvPfS3_PT_PKS4_PKT0_SA_ifPKiSC_iPKfiiiSE_SE_iiiii, .Lfunc_end180-_ZN4vllm25paged_attention_v2_kernelI14__hip_bfloat16S1_Li32ELi32ELi128ELNS_18Fp8KVCacheDataTypeE0ELb0ELi512EEEvPfS3_PT_PKS4_PKT0_SA_ifPKiSC_iPKfiiiSE_SE_iiiii
                                        ; -- End function
	.set _ZN4vllm25paged_attention_v2_kernelI14__hip_bfloat16S1_Li32ELi32ELi128ELNS_18Fp8KVCacheDataTypeE0ELb0ELi512EEEvPfS3_PT_PKS4_PKT0_SA_ifPKiSC_iPKfiiiSE_SE_iiiii.num_vgpr, 82
	.set _ZN4vllm25paged_attention_v2_kernelI14__hip_bfloat16S1_Li32ELi32ELi128ELNS_18Fp8KVCacheDataTypeE0ELb0ELi512EEEvPfS3_PT_PKS4_PKT0_SA_ifPKiSC_iPKfiiiSE_SE_iiiii.num_agpr, 0
	.set _ZN4vllm25paged_attention_v2_kernelI14__hip_bfloat16S1_Li32ELi32ELi128ELNS_18Fp8KVCacheDataTypeE0ELb0ELi512EEEvPfS3_PT_PKS4_PKT0_SA_ifPKiSC_iPKfiiiSE_SE_iiiii.numbered_sgpr, 32
	.set _ZN4vllm25paged_attention_v2_kernelI14__hip_bfloat16S1_Li32ELi32ELi128ELNS_18Fp8KVCacheDataTypeE0ELb0ELi512EEEvPfS3_PT_PKS4_PKT0_SA_ifPKiSC_iPKfiiiSE_SE_iiiii.num_named_barrier, 0
	.set _ZN4vllm25paged_attention_v2_kernelI14__hip_bfloat16S1_Li32ELi32ELi128ELNS_18Fp8KVCacheDataTypeE0ELb0ELi512EEEvPfS3_PT_PKS4_PKT0_SA_ifPKiSC_iPKfiiiSE_SE_iiiii.private_seg_size, 0
	.set _ZN4vllm25paged_attention_v2_kernelI14__hip_bfloat16S1_Li32ELi32ELi128ELNS_18Fp8KVCacheDataTypeE0ELb0ELi512EEEvPfS3_PT_PKS4_PKT0_SA_ifPKiSC_iPKfiiiSE_SE_iiiii.uses_vcc, 1
	.set _ZN4vllm25paged_attention_v2_kernelI14__hip_bfloat16S1_Li32ELi32ELi128ELNS_18Fp8KVCacheDataTypeE0ELb0ELi512EEEvPfS3_PT_PKS4_PKT0_SA_ifPKiSC_iPKfiiiSE_SE_iiiii.uses_flat_scratch, 0
	.set _ZN4vllm25paged_attention_v2_kernelI14__hip_bfloat16S1_Li32ELi32ELi128ELNS_18Fp8KVCacheDataTypeE0ELb0ELi512EEEvPfS3_PT_PKS4_PKT0_SA_ifPKiSC_iPKfiiiSE_SE_iiiii.has_dyn_sized_stack, 0
	.set _ZN4vllm25paged_attention_v2_kernelI14__hip_bfloat16S1_Li32ELi32ELi128ELNS_18Fp8KVCacheDataTypeE0ELb0ELi512EEEvPfS3_PT_PKS4_PKT0_SA_ifPKiSC_iPKfiiiSE_SE_iiiii.has_recursion, 0
	.set _ZN4vllm25paged_attention_v2_kernelI14__hip_bfloat16S1_Li32ELi32ELi128ELNS_18Fp8KVCacheDataTypeE0ELb0ELi512EEEvPfS3_PT_PKS4_PKT0_SA_ifPKiSC_iPKfiiiSE_SE_iiiii.has_indirect_call, 0
	.section	.AMDGPU.csdata,"",@progbits
; Kernel info:
; codeLenInByte = 8108
; TotalNumSgprs: 34
; NumVgprs: 82
; ScratchSize: 0
; MemoryBound: 0
; FloatMode: 240
; IeeeMode: 1
; LDSByteSize: 96 bytes/workgroup (compile time only)
; SGPRBlocks: 0
; VGPRBlocks: 10
; NumSGPRsForWavesPerEU: 34
; NumVGPRsForWavesPerEU: 82
; Occupancy: 16
; WaveLimiterHint : 1
; COMPUTE_PGM_RSRC2:SCRATCH_EN: 0
; COMPUTE_PGM_RSRC2:USER_SGPR: 2
; COMPUTE_PGM_RSRC2:TRAP_HANDLER: 0
; COMPUTE_PGM_RSRC2:TGID_X_EN: 1
; COMPUTE_PGM_RSRC2:TGID_Y_EN: 1
; COMPUTE_PGM_RSRC2:TGID_Z_EN: 1
; COMPUTE_PGM_RSRC2:TIDIG_COMP_CNT: 0
	.section	.text._ZN4vllm25paged_attention_v2_kernelI14__hip_bfloat16S1_Li64ELi32ELi128ELNS_18Fp8KVCacheDataTypeE0ELb0ELi512EEEvPfS3_PT_PKS4_PKT0_SA_ifPKiSC_iPKfiiiSE_SE_iiiii,"axG",@progbits,_ZN4vllm25paged_attention_v2_kernelI14__hip_bfloat16S1_Li64ELi32ELi128ELNS_18Fp8KVCacheDataTypeE0ELb0ELi512EEEvPfS3_PT_PKS4_PKT0_SA_ifPKiSC_iPKfiiiSE_SE_iiiii,comdat
	.protected	_ZN4vllm25paged_attention_v2_kernelI14__hip_bfloat16S1_Li64ELi32ELi128ELNS_18Fp8KVCacheDataTypeE0ELb0ELi512EEEvPfS3_PT_PKS4_PKT0_SA_ifPKiSC_iPKfiiiSE_SE_iiiii ; -- Begin function _ZN4vllm25paged_attention_v2_kernelI14__hip_bfloat16S1_Li64ELi32ELi128ELNS_18Fp8KVCacheDataTypeE0ELb0ELi512EEEvPfS3_PT_PKS4_PKT0_SA_ifPKiSC_iPKfiiiSE_SE_iiiii
	.globl	_ZN4vllm25paged_attention_v2_kernelI14__hip_bfloat16S1_Li64ELi32ELi128ELNS_18Fp8KVCacheDataTypeE0ELb0ELi512EEEvPfS3_PT_PKS4_PKT0_SA_ifPKiSC_iPKfiiiSE_SE_iiiii
	.p2align	8
	.type	_ZN4vllm25paged_attention_v2_kernelI14__hip_bfloat16S1_Li64ELi32ELi128ELNS_18Fp8KVCacheDataTypeE0ELb0ELi512EEEvPfS3_PT_PKS4_PKT0_SA_ifPKiSC_iPKfiiiSE_SE_iiiii,@function
_ZN4vllm25paged_attention_v2_kernelI14__hip_bfloat16S1_Li64ELi32ELi128ELNS_18Fp8KVCacheDataTypeE0ELb0ELi512EEEvPfS3_PT_PKS4_PKT0_SA_ifPKiSC_iPKfiiiSE_SE_iiiii: ; @_ZN4vllm25paged_attention_v2_kernelI14__hip_bfloat16S1_Li64ELi32ELi128ELNS_18Fp8KVCacheDataTypeE0ELb0ELi512EEEvPfS3_PT_PKS4_PKT0_SA_ifPKiSC_iPKfiiiSE_SE_iiiii
; %bb.0:
	s_load_b64 s[2:3], s[0:1], 0x40
	s_and_b32 s14, ttmp7, 0xffff
	s_lshr_b32 s24, ttmp7, 16
	s_lshl_b32 s4, s14, 2
	s_lshl_b32 s26, s24, 9
	s_wait_kmcnt 0x0
	s_load_b32 s25, s[2:3], s4 offset:0x0
	s_wait_kmcnt 0x0
	s_cmp_ge_i32 s26, s25
	s_cbranch_scc1 .LBB181_74
; %bb.1:
	s_clause 0x1
	s_load_b32 s15, s[0:1], 0x90
	s_load_b64 s[4:5], s[0:1], 0x30
	s_wait_kmcnt 0x0
	s_abs_i32 s7, s15
	s_abs_i32 s2, s4
	s_xor_b32 s4, s15, s4
	s_cvt_f32_u32 s3, s2
	s_sub_co_i32 s6, 0, s2
	s_ashr_i32 s4, s4, 31
	s_delay_alu instid0(SALU_CYCLE_1) | instskip(NEXT) | instid1(TRANS32_DEP_1)
	v_rcp_iflag_f32_e32 v1, s3
	v_readfirstlane_b32 s3, v1
	s_mul_f32 s3, s3, 0x4f7ffffe
	s_wait_alu 0xfffe
	s_delay_alu instid0(SALU_CYCLE_2) | instskip(SKIP_1) | instid1(SALU_CYCLE_2)
	s_cvt_u32_f32 s3, s3
	s_wait_alu 0xfffe
	s_mul_i32 s6, s6, s3
	s_delay_alu instid0(SALU_CYCLE_1) | instskip(NEXT) | instid1(SALU_CYCLE_1)
	s_mul_hi_u32 s6, s3, s6
	s_add_co_i32 s3, s3, s6
	s_wait_alu 0xfffe
	s_mul_hi_u32 s3, s7, s3
	s_wait_alu 0xfffe
	s_mul_i32 s6, s3, s2
	s_delay_alu instid0(SALU_CYCLE_1)
	s_sub_co_i32 s6, s7, s6
	s_add_co_i32 s7, s3, 1
	s_sub_co_i32 s8, s6, s2
	s_cmp_ge_u32 s6, s2
	s_cselect_b32 s3, s7, s3
	s_cselect_b32 s6, s8, s6
	s_wait_alu 0xfffe
	s_add_co_i32 s7, s3, 1
	s_cmp_ge_u32 s6, s2
	s_load_b64 s[8:9], s[0:1], 0x50
	s_cselect_b32 s2, s7, s3
	s_mov_b32 s3, 0
	s_wait_alu 0xfffe
	s_xor_b32 s2, s2, s4
	s_mov_b32 s11, s3
	s_wait_alu 0xfffe
	s_sub_co_i32 s12, s2, s4
	s_delay_alu instid0(SALU_CYCLE_1) | instskip(NEXT) | instid1(SALU_CYCLE_1)
	s_abs_i32 s4, s12
	s_cvt_f32_u32 s2, s4
	s_wait_alu 0xfffe
	s_delay_alu instid0(SALU_CYCLE_2) | instskip(NEXT) | instid1(TRANS32_DEP_1)
	v_rcp_iflag_f32_e32 v1, s2
	v_readfirstlane_b32 s2, v1
	s_mul_f32 s2, s2, 0x4f7ffffe
	s_wait_alu 0xfffe
	s_delay_alu instid0(SALU_CYCLE_2) | instskip(SKIP_2) | instid1(SALU_CYCLE_1)
	s_cvt_u32_f32 s6, s2
	s_sub_co_i32 s2, 0, s4
	s_wait_alu 0xfffe
	s_mul_i32 s2, s2, s6
	s_wait_alu 0xfffe
	s_mul_hi_u32 s7, s6, s2
	s_abs_i32 s2, ttmp9
	s_add_co_i32 s6, s6, s7
	s_mov_b32 s7, s3
	s_wait_kmcnt 0x0
	s_cmp_eq_u64 s[8:9], 0
	s_cbranch_scc1 .LBB181_3
; %bb.2:
	s_mov_b32 s10, ttmp9
	s_ashr_i32 s11, ttmp9, 31
	s_delay_alu instid0(SALU_CYCLE_1) | instskip(NEXT) | instid1(SALU_CYCLE_1)
	s_lshl_b64 s[10:11], s[10:11], 2
	s_add_nc_u64 s[8:9], s[8:9], s[10:11]
	s_load_b32 s11, s[8:9], 0x0
.LBB181_3:
	s_load_b96 s[8:10], s[0:1], 0x58
	v_lshlrev_b32_e32 v11, 4, v0
	s_mul_u64 s[6:7], s[2:3], s[6:7]
	s_ashr_i32 s3, ttmp9, 31
	s_ashr_i32 s6, s12, 31
	s_lshl_b32 s12, ttmp9, 6
	s_mov_b32 s16, exec_lo
	v_cmpx_gt_u32_e32 8, v0
	s_cbranch_execz .LBB181_5
; %bb.4:
	s_load_b64 s[18:19], s[0:1], 0x18
	s_wait_kmcnt 0x0
	s_mul_i32 s20, s8, s14
	s_ashr_i32 s13, s12, 31
	s_ashr_i32 s21, s20, 31
	s_delay_alu instid0(SALU_CYCLE_1) | instskip(NEXT) | instid1(SALU_CYCLE_1)
	s_lshl_b64 s[20:21], s[20:21], 1
	s_add_nc_u64 s[18:19], s[18:19], s[20:21]
	s_lshl_b64 s[20:21], s[12:13], 1
	s_delay_alu instid0(SALU_CYCLE_1)
	s_add_nc_u64 s[18:19], s[18:19], s[20:21]
	global_load_b128 v[1:4], v11, s[18:19]
	s_wait_loadcnt 0x0
	ds_store_b128 v11, v[1:4]
.LBB181_5:
	s_or_b32 exec_lo, exec_lo, s16
	s_wait_kmcnt 0x0
	s_add_co_i32 s8, s25, 31
	s_lshl_b32 s28, s24, 4
	s_ashr_i32 s13, s8, 31
	s_mul_i32 s19, s7, s4
	s_lshr_b32 s13, s13, 27
	s_sub_co_i32 s2, s2, s19
	s_add_co_i32 s8, s8, s13
	s_add_co_i32 s13, s28, 16
	s_ashr_i32 s27, s8, 5
	s_clause 0x2
	s_load_b64 s[16:17], s[0:1], 0x38
	s_load_b32 s8, s[0:1], 0x98
	s_load_b32 s18, s[0:1], 0x48
	s_min_i32 s13, s13, s27
	s_xor_b32 s3, s3, s6
	s_add_co_i32 s6, s7, 1
	s_sub_co_i32 s19, s2, s4
	s_cmp_ge_u32 s2, s4
	v_lshrrev_b32_e32 v43, 5, v0
	s_cselect_b32 s6, s6, s7
	s_cselect_b32 s2, s19, s2
	s_add_co_i32 s7, s6, 1
	s_wait_alu 0xfffe
	s_cmp_ge_u32 s2, s4
	v_dual_mov_b32 v65, 0xff7fffff :: v_dual_and_b32 v44, 31, v0
	v_add_nc_u32_e32 v45, s28, v43
	s_cselect_b32 s2, s7, s6
	v_lshlrev_b32_e32 v13, 5, v43
	s_wait_alu 0xfffe
	s_xor_b32 s2, s2, s3
	v_lshlrev_b32_e32 v14, 2, v44
	s_wait_alu 0xfffe
	s_sub_co_i32 s3, s2, s3
	v_cmp_gt_i32_e64 s2, s13, v45
	v_lshlrev_b32_e32 v12, 2, v45
	s_wait_kmcnt 0x0
	s_mul_i32 s18, s18, s14
	s_wait_alu 0xfffe
	s_mul_i32 s20, s3, s10
	s_ashr_i32 s19, s18, 31
	s_wait_dscnt 0x0
	s_barrier_signal -1
	s_barrier_wait -1
	global_inv scope:SCOPE_SE
	s_and_saveexec_b32 s6, s2
	s_cbranch_execz .LBB181_9
; %bb.6:
	s_load_b64 s[22:23], s[0:1], 0x20
	v_dual_mov_b32 v9, 0 :: v_dual_lshlrev_b32 v10, 4, v44
	s_ashr_i32 s21, s20, 31
	s_mov_b32 s10, s9
	ds_load_b128 v[1:4], v9
	ds_load_b128 v[5:8], v9 offset:16
	ds_load_b128 v[62:65], v9 offset:32
	ds_load_b128 v[67:70], v9 offset:48
	ds_load_b128 v[71:74], v9 offset:64
	ds_load_b128 v[75:78], v9 offset:80
	ds_load_b128 v[79:82], v9 offset:96
	ds_load_b128 v[83:86], v9 offset:112
	s_lshl_b64 s[30:31], s[20:21], 1
	s_cmp_neq_f32 s11, 0
	s_mov_b32 s7, 0
	v_mov_b32_e32 v87, v45
	s_cselect_b32 vcc_lo, -1, 0
	s_sub_co_i32 s21, 1, s25
	s_wait_kmcnt 0x0
	s_add_nc_u64 s[22:23], s[22:23], s[30:31]
	s_delay_alu instid0(SALU_CYCLE_1)
	v_add_co_u32 v15, s3, s22, v10
	s_wait_alu 0xf1ff
	v_add_co_ci_u32_e64 v16, null, s23, 0, s3
	s_lshl_b64 s[22:23], s[18:19], 2
	s_wait_dscnt 0x7
	v_and_b32_e32 v17, 0xffff0000, v1
	v_lshlrev_b32_e32 v18, 16, v1
	v_lshl_or_b32 v1, v43, 7, v14
	s_wait_alu 0xfffe
	s_add_nc_u64 s[22:23], s[16:17], s[22:23]
	s_wait_dscnt 0x6
	v_and_b32_e32 v19, 0xffff0000, v5
	s_wait_alu 0xfffe
	v_add_co_u32 v9, s3, s22, v12
	v_lshlrev_b32_e32 v20, 16, v5
	s_wait_dscnt 0x5
	v_and_b32_e32 v21, 0xffff0000, v62
	v_lshlrev_b32_e32 v22, 16, v62
	s_wait_dscnt 0x4
	v_and_b32_e32 v23, 0xffff0000, v67
	;; [unrolled: 3-line block ×5, first 2 shown]
	v_lshlrev_b32_e32 v30, 16, v79
	v_and_b32_e32 v31, 0xffff0000, v2
	v_lshlrev_b32_e32 v32, 16, v2
	v_and_b32_e32 v33, 0xffff0000, v6
	;; [unrolled: 2-line block ×21, first 2 shown]
	v_lshlrev_b32_e32 v76, 16, v82
	s_wait_dscnt 0x0
	v_and_b32_e32 v77, 0xffff0000, v83
	v_lshlrev_b32_e32 v78, 16, v83
	v_and_b32_e32 v79, 0xffff0000, v84
	v_lshlrev_b32_e32 v80, 16, v84
	v_and_b32_e32 v81, 0xffff0000, v85
	v_lshlrev_b32_e32 v82, 16, v85
	v_and_b32_e32 v83, 0xffff0000, v86
	v_lshlrev_b32_e32 v84, 16, v86
	v_add3_u32 v85, s26, v13, v44
	v_add_nc_u32_e32 v86, 0xa0, v1
	s_wait_alu 0xf1ff
	v_add_co_ci_u32_e64 v10, null, s23, 0, s3
	v_mov_b32_e32 v65, 0xff7fffff
.LBB181_7:                              ; =>This Inner Loop Header: Depth=1
	global_load_b32 v1, v[9:10], off
	v_add_nc_u32_e32 v87, 4, v87
	s_delay_alu instid0(VALU_DEP_1) | instskip(SKIP_3) | instid1(VALU_DEP_1)
	v_cmp_le_i32_e64 s4, s13, v87
	s_or_b32 s7, s4, s7
	s_wait_loadcnt 0x0
	v_mad_co_i64_i32 v[1:2], null, v1, s10, 0
	v_lshlrev_b64_e32 v[1:2], 1, v[1:2]
	s_delay_alu instid0(VALU_DEP_1) | instskip(SKIP_1) | instid1(VALU_DEP_2)
	v_add_co_u32 v108, s3, v15, v1
	s_wait_alu 0xf1ff
	v_add_co_ci_u32_e64 v109, null, v16, v2, s3
	v_add_co_u32 v9, s3, v9, 16
	s_wait_alu 0xf1ff
	v_add_co_ci_u32_e64 v10, null, 0, v10, s3
	s_clause 0x7
	global_load_b128 v[5:8], v[108:109], off
	global_load_b128 v[1:4], v[108:109], off offset:512
	global_load_b128 v[88:91], v[108:109], off offset:1024
	;; [unrolled: 1-line block ×7, first 2 shown]
	v_max_num_f32_e32 v113, v65, v65
	v_cmp_gt_i32_e64 s3, s25, v85
	s_wait_loadcnt 0x7
	v_lshlrev_b32_e32 v116, 16, v6
	s_wait_loadcnt 0x6
	v_and_b32_e32 v120, 0xffff0000, v3
	v_and_b32_e32 v115, 0xffff0000, v1
	;; [unrolled: 1-line block ×3, first 2 shown]
	v_lshlrev_b32_e32 v4, 16, v4
	v_lshlrev_b32_e32 v1, 16, v1
	s_wait_loadcnt 0x5
	v_and_b32_e32 v124, 0xffff0000, v90
	v_lshlrev_b32_e32 v3, 16, v3
	v_lshlrev_b32_e32 v114, 16, v5
	v_mul_f32_e32 v4, v66, v4
	v_dual_mul_f32 v1, v20, v1 :: v_dual_and_b32 v6, 0xffff0000, v6
	v_and_b32_e32 v117, 0xffff0000, v2
	s_wait_loadcnt 0x4
	v_dual_mul_f32 v3, v51, v3 :: v_dual_lshlrev_b32 v128, 16, v94
	s_wait_loadcnt 0x3
	v_and_b32_e32 v132, 0xffff0000, v98
	v_fmac_f32_e32 v1, v18, v114
	v_mul_f32_e32 v120, v50, v120
	v_dual_mul_f32 v115, v19, v115 :: v_dual_add_nc_u32 v112, s21, v85
	v_lshlrev_b32_e32 v2, 16, v2
	v_and_b32_e32 v5, 0xffff0000, v5
	v_lshlrev_b32_e32 v127, 16, v93
	s_wait_loadcnt 0x1
	v_and_b32_e32 v140, 0xffff0000, v106
	v_dual_mul_f32 v2, v34, v2 :: v_dual_lshlrev_b32 v135, 16, v101
	v_fmac_f32_e32 v115, v17, v5
	v_and_b32_e32 v131, 0xffff0000, v97
	s_wait_loadcnt 0x0
	v_lshlrev_b32_e32 v143, 16, v109
	v_dual_fmac_f32 v2, v32, v116 :: v_dual_lshlrev_b32 v97, 16, v97
	v_dual_mul_f32 v117, v33, v117 :: v_dual_lshlrev_b32 v118, 16, v7
	v_and_b32_e32 v122, 0xffff0000, v88
	v_lshlrev_b32_e32 v129, 16, v95
	v_cvt_f32_i32_e32 v112, v112
	s_delay_alu instid0(VALU_DEP_4) | instskip(NEXT) | instid1(VALU_DEP_4)
	v_dual_fmac_f32 v3, v49, v118 :: v_dual_lshlrev_b32 v88, 16, v88
	v_fmac_f32_e32 v115, v21, v122
	v_and_b32_e32 v94, 0xffff0000, v94
	v_and_b32_e32 v125, 0xffff0000, v91
	v_lshlrev_b32_e32 v91, 16, v91
	v_and_b32_e32 v123, 0xffff0000, v89
	v_lshlrev_b32_e32 v89, 16, v89
	v_and_b32_e32 v7, 0xffff0000, v7
	v_dual_fmac_f32 v1, v22, v88 :: v_dual_lshlrev_b32 v90, 16, v90
	s_delay_alu instid0(VALU_DEP_3) | instskip(NEXT) | instid1(VALU_DEP_3)
	v_dual_fmac_f32 v117, v31, v6 :: v_dual_fmac_f32 v2, v36, v89
	v_dual_fmac_f32 v120, v48, v7 :: v_dual_lshlrev_b32 v119, 16, v8
	s_delay_alu instid0(VALU_DEP_3) | instskip(SKIP_1) | instid1(VALU_DEP_3)
	v_fmac_f32_e32 v3, v53, v90
	v_and_b32_e32 v139, 0xffff0000, v105
	v_dual_fmac_f32 v4, v63, v119 :: v_dual_lshlrev_b32 v105, 16, v105
	v_dual_mul_f32 v121, v64, v121 :: v_dual_and_b32 v8, 0xffff0000, v8
	v_and_b32_e32 v109, 0xffff0000, v109
	v_lshlrev_b32_e32 v145, 16, v111
	s_delay_alu instid0(VALU_DEP_4) | instskip(SKIP_4) | instid1(VALU_DEP_4)
	v_fmac_f32_e32 v4, v68, v91
	v_dual_fmac_f32 v117, v35, v123 :: v_dual_lshlrev_b32 v126, 16, v92
	v_and_b32_e32 v92, 0xffff0000, v92
	v_fmac_f32_e32 v121, v62, v8
	v_fmac_f32_e32 v120, v52, v124
	v_dual_fmac_f32 v1, v24, v126 :: v_dual_and_b32 v130, 0xffff0000, v96
	s_delay_alu instid0(VALU_DEP_4) | instskip(NEXT) | instid1(VALU_DEP_3)
	v_dual_fmac_f32 v115, v23, v92 :: v_dual_lshlrev_b32 v136, 16, v102
	v_fmac_f32_e32 v120, v54, v94
	v_lshlrev_b32_e32 v144, 16, v110
	v_and_b32_e32 v110, 0xffff0000, v110
	v_lshlrev_b32_e32 v137, 16, v103
	v_and_b32_e32 v133, 0xffff0000, v99
	v_dual_fmac_f32 v121, v67, v125 :: v_dual_and_b32 v102, 0xffff0000, v102
	v_fmac_f32_e32 v3, v55, v128
	v_fmac_f32_e32 v120, v56, v132
	;; [unrolled: 1-line block ×3, first 2 shown]
	v_and_b32_e32 v95, 0xffff0000, v95
	v_dual_fmac_f32 v115, v25, v130 :: v_dual_lshlrev_b32 v134, 16, v100
	s_delay_alu instid0(VALU_DEP_4) | instskip(NEXT) | instid1(VALU_DEP_4)
	v_fmac_f32_e32 v120, v58, v102
	v_fmac_f32_e32 v2, v40, v97
	;; [unrolled: 1-line block ×3, first 2 shown]
	v_dual_fmac_f32 v121, v69, v95 :: v_dual_lshlrev_b32 v98, 16, v98
	s_delay_alu instid0(VALU_DEP_4) | instskip(NEXT) | instid1(VALU_DEP_4)
	v_fmac_f32_e32 v120, v60, v140
	v_fmac_f32_e32 v2, v42, v135
	v_lshlrev_b32_e32 v99, 16, v99
	s_delay_alu instid0(VALU_DEP_4) | instskip(NEXT) | instid1(VALU_DEP_3)
	v_dual_fmac_f32 v3, v57, v98 :: v_dual_and_b32 v138, 0xffff0000, v104
	v_dual_fmac_f32 v2, v47, v105 :: v_dual_and_b32 v111, 0xffff0000, v111
	s_delay_alu instid0(VALU_DEP_3) | instskip(SKIP_1) | instid1(VALU_DEP_3)
	v_dual_fmac_f32 v4, v72, v99 :: v_dual_and_b32 v93, 0xffff0000, v93
	v_lshlrev_b32_e32 v96, 16, v96
	v_dual_fmac_f32 v2, v80, v143 :: v_dual_add_nc_u32 v85, 0x80, v85
	s_delay_alu instid0(VALU_DEP_3) | instskip(NEXT) | instid1(VALU_DEP_3)
	v_dual_fmac_f32 v117, v37, v93 :: v_dual_and_b32 v100, 0xffff0000, v100
	v_fmac_f32_e32 v1, v26, v96
	v_lshlrev_b32_e32 v104, 16, v104
	v_fmac_f32_e32 v3, v59, v136
	s_delay_alu instid0(VALU_DEP_4) | instskip(SKIP_2) | instid1(VALU_DEP_2)
	v_fmac_f32_e32 v117, v39, v131
	v_fmac_f32_e32 v115, v27, v100
	;; [unrolled: 1-line block ×4, first 2 shown]
	s_delay_alu instid0(VALU_DEP_2) | instskip(SKIP_2) | instid1(VALU_DEP_1)
	v_dual_fmac_f32 v1, v30, v104 :: v_dual_fmac_f32 v120, v81, v110
	v_fmac_f32_e32 v4, v74, v137
	v_dual_fmac_f32 v121, v71, v133 :: v_dual_lshlrev_b32 v142, 16, v108
	v_dual_fmac_f32 v1, v78, v142 :: v_dual_and_b32 v108, 0xffff0000, v108
	s_delay_alu instid0(VALU_DEP_1) | instskip(NEXT) | instid1(VALU_DEP_1)
	v_fmac_f32_e32 v115, v77, v108
	v_add_f32_e32 v1, v1, v115
	s_delay_alu instid0(VALU_DEP_1) | instskip(NEXT) | instid1(VALU_DEP_1)
	v_dual_add_f32 v1, v1, v2 :: v_dual_mul_f32 v2, s11, v112
	v_dual_cndmask_b32 v2, 0, v2 :: v_dual_and_b32 v141, 0xffff0000, v107
	v_lshlrev_b32_e32 v107, 16, v107
	s_delay_alu instid0(VALU_DEP_1) | instskip(NEXT) | instid1(VALU_DEP_1)
	v_dual_fmac_f32 v4, v76, v107 :: v_dual_and_b32 v101, 0xffff0000, v101
	v_dual_fmac_f32 v117, v41, v101 :: v_dual_lshlrev_b32 v106, 16, v106
	s_delay_alu instid0(VALU_DEP_2) | instskip(NEXT) | instid1(VALU_DEP_2)
	v_dual_fmac_f32 v4, v84, v145 :: v_dual_and_b32 v103, 0xffff0000, v103
	v_fmac_f32_e32 v3, v61, v106
	s_delay_alu instid0(VALU_DEP_3) | instskip(NEXT) | instid1(VALU_DEP_3)
	v_fmac_f32_e32 v117, v46, v139
	v_fmac_f32_e32 v121, v73, v103
	s_delay_alu instid0(VALU_DEP_3) | instskip(NEXT) | instid1(VALU_DEP_3)
	v_fmac_f32_e32 v3, v82, v144
	v_fmac_f32_e32 v117, v79, v109
	s_delay_alu instid0(VALU_DEP_3) | instskip(NEXT) | instid1(VALU_DEP_2)
	v_fmac_f32_e32 v121, v75, v141
	v_add_f32_e32 v1, v117, v1
	s_delay_alu instid0(VALU_DEP_2) | instskip(NEXT) | instid1(VALU_DEP_2)
	v_fmac_f32_e32 v121, v83, v111
	v_add_f32_e32 v1, v3, v1
	s_delay_alu instid0(VALU_DEP_1) | instskip(NEXT) | instid1(VALU_DEP_1)
	v_add_f32_e32 v1, v120, v1
	v_add_f32_e32 v1, v4, v1
	s_delay_alu instid0(VALU_DEP_1) | instskip(NEXT) | instid1(VALU_DEP_1)
	v_add_f32_e32 v1, v121, v1
	v_fmac_f32_e32 v2, s5, v1
	s_delay_alu instid0(VALU_DEP_1) | instskip(SKIP_2) | instid1(VALU_DEP_2)
	v_max_num_f32_e32 v1, v113, v2
	s_wait_alu 0xf1ff
	v_cndmask_b32_e64 v2, 0, v2, s3
	v_cndmask_b32_e64 v65, v65, v1, s3
	ds_store_b32 v86, v2
	v_add_nc_u32_e32 v86, 0x200, v86
	s_and_not1_b32 exec_lo, exec_lo, s7
	s_cbranch_execnz .LBB181_7
; %bb.8:
	s_or_b32 exec_lo, exec_lo, s7
.LBB181_9:
	s_delay_alu instid0(SALU_CYCLE_1)
	s_or_b32 exec_lo, exec_lo, s6
	v_mbcnt_lo_u32_b32 v1, -1, 0
	s_clause 0x2
	s_load_b128 s[4:7], s[0:1], 0x0
	s_load_b64 s[10:11], s[0:1], 0x10
	s_load_b64 s[22:23], s[0:1], 0x28
	v_max_num_f32_e32 v5, v65, v65
	v_xor_b32_e32 v2, 16, v1
	v_xor_b32_e32 v4, 8, v1
	s_delay_alu instid0(VALU_DEP_2) | instskip(SKIP_2) | instid1(VALU_DEP_3)
	v_cmp_gt_i32_e32 vcc_lo, 32, v2
	s_wait_alu 0xfffd
	v_cndmask_b32_e32 v2, v1, v2, vcc_lo
	v_cmp_gt_i32_e32 vcc_lo, 32, v4
	s_delay_alu instid0(VALU_DEP_2)
	v_lshlrev_b32_e32 v2, 2, v2
	s_wait_alu 0xfffd
	v_cndmask_b32_e32 v4, v1, v4, vcc_lo
	ds_bpermute_b32 v3, v2, v65
	s_wait_dscnt 0x0
	v_dual_max_num_f32 v6, v3, v3 :: v_dual_lshlrev_b32 v3, 2, v4
	s_delay_alu instid0(VALU_DEP_1)
	v_max_num_f32_e32 v4, v5, v6
	v_xor_b32_e32 v6, 4, v1
	ds_bpermute_b32 v5, v3, v4
	v_cmp_gt_i32_e32 vcc_lo, 32, v6
	s_wait_alu 0xfffd
	v_cndmask_b32_e32 v6, v1, v6, vcc_lo
	s_wait_dscnt 0x0
	v_max_num_f32_e32 v7, v5, v5
	s_delay_alu instid0(VALU_DEP_1)
	v_dual_max_num_f32 v4, v4, v7 :: v_dual_lshlrev_b32 v5, 2, v6
	v_xor_b32_e32 v7, 2, v1
	ds_bpermute_b32 v6, v5, v4
	v_cmp_gt_i32_e32 vcc_lo, 32, v7
	s_wait_dscnt 0x0
	s_wait_alu 0xfffd
	v_dual_cndmask_b32 v7, v1, v7 :: v_dual_max_num_f32 v6, v6, v6
	s_delay_alu instid0(VALU_DEP_1) | instskip(SKIP_1) | instid1(VALU_DEP_1)
	v_lshlrev_b32_e32 v47, 2, v7
	v_xor_b32_e32 v7, 1, v1
	v_cmp_gt_i32_e32 vcc_lo, 32, v7
	s_wait_alu 0xfffd
	v_dual_max_num_f32 v4, v4, v6 :: v_dual_cndmask_b32 v7, v1, v7
	ds_bpermute_b32 v6, v47, v4
	v_cmp_eq_u32_e32 vcc_lo, 0, v44
	v_lshlrev_b32_e32 v46, 2, v7
	s_wait_dscnt 0x0
	v_max_num_f32_e32 v6, v6, v6
	s_delay_alu instid0(VALU_DEP_1)
	v_dual_max_num_f32 v1, v4, v6 :: v_dual_lshlrev_b32 v6, 2, v43
	ds_bpermute_b32 v4, v46, v1
	s_and_saveexec_b32 s0, vcc_lo
	s_cbranch_execz .LBB181_11
; %bb.10:
	s_wait_dscnt 0x0
	v_dual_max_num_f32 v4, v4, v4 :: v_dual_max_num_f32 v1, v1, v1
	s_delay_alu instid0(VALU_DEP_1)
	v_max_num_f32_e32 v1, v1, v4
	ds_store_b32 v6, v1 offset:128
.LBB181_11:
	s_or_b32 exec_lo, exec_lo, s0
	v_cmp_gt_u32_e64 s0, 4, v44
	v_mov_b32_e32 v1, 0xff7fffff
	s_wait_loadcnt_dscnt 0x0
	s_barrier_signal -1
	s_barrier_wait -1
	global_inv scope:SCOPE_SE
	s_and_saveexec_b32 s1, s0
; %bb.12:
	ds_load_b32 v1, v14 offset:128
; %bb.13:
	s_or_b32 exec_lo, exec_lo, s1
	s_wait_dscnt 0x0
	ds_bpermute_b32 v4, v47, v1
	v_max_num_f32_e32 v1, v1, v1
	s_sub_co_i32 s1, s13, s28
	v_mov_b32_e32 v7, 0
	s_lshl_b32 s1, s1, 5
	s_delay_alu instid0(SALU_CYCLE_1) | instskip(NEXT) | instid1(SALU_CYCLE_1)
	s_add_co_i32 s1, s1, s26
	s_min_i32 s1, s1, s25
	s_delay_alu instid0(SALU_CYCLE_1) | instskip(SKIP_4) | instid1(VALU_DEP_1)
	s_sub_co_i32 s21, s1, s26
	s_wait_alu 0xfffe
	v_cmp_gt_i32_e64 s1, s21, v0
	s_wait_dscnt 0x0
	v_max_num_f32_e32 v4, v4, v4
	v_max_num_f32_e32 v1, v1, v4
	ds_bpermute_b32 v4, v46, v1
	s_wait_dscnt 0x0
	v_max_num_f32_e32 v4, v4, v4
	s_delay_alu instid0(VALU_DEP_1)
	v_max_num_f32_e32 v1, v1, v4
	v_lshl_add_u32 v4, v0, 2, 0xa0
	ds_bpermute_b32 v1, v7, v1
	s_and_saveexec_b32 s28, s1
	s_cbranch_execz .LBB181_17
; %bb.14:
	v_lshl_add_u32 v8, v0, 2, 0xa0
	v_mov_b32_e32 v7, 0
	v_mov_b32_e32 v9, v0
	s_mov_b32 s29, 0
.LBB181_15:                             ; =>This Inner Loop Header: Depth=1
	ds_load_b32 v10, v8
	v_add_nc_u32_e32 v9, 0x80, v9
	s_delay_alu instid0(VALU_DEP_1) | instskip(SKIP_4) | instid1(VALU_DEP_1)
	v_cmp_le_i32_e64 s3, s21, v9
	s_wait_alu 0xfffe
	s_or_b32 s29, s3, s29
	s_wait_dscnt 0x0
	v_sub_f32_e32 v10, v10, v1
	v_mul_f32_e32 v10, 0x3fb8aa3b, v10
	s_delay_alu instid0(VALU_DEP_1)
	v_exp_f32_e32 v10, v10
	ds_store_b32 v8, v10
	v_dual_add_f32 v7, v7, v10 :: v_dual_add_nc_u32 v8, 0x200, v8
	s_wait_alu 0xfffe
	s_and_not1_b32 exec_lo, exec_lo, s29
	s_cbranch_execnz .LBB181_15
; %bb.16:
	s_or_b32 exec_lo, exec_lo, s29
.LBB181_17:
	s_wait_alu 0xfffe
	s_or_b32 exec_lo, exec_lo, s28
	ds_bpermute_b32 v2, v2, v7
	s_wait_dscnt 0x0
	v_add_f32_e32 v2, v7, v2
	ds_bpermute_b32 v3, v3, v2
	s_wait_dscnt 0x0
	v_add_f32_e32 v2, v2, v3
	;; [unrolled: 3-line block ×5, first 2 shown]
	s_and_saveexec_b32 s3, vcc_lo
; %bb.18:
	ds_store_b32 v6, v2 offset:144
; %bb.19:
	s_wait_alu 0xfffe
	s_or_b32 exec_lo, exec_lo, s3
	s_wait_loadcnt_dscnt 0x0
	s_barrier_signal -1
	s_barrier_wait -1
	global_inv scope:SCOPE_SE
	s_and_saveexec_b32 s3, s0
; %bb.20:
	ds_load_b32 v2, v14 offset:144
; %bb.21:
	s_wait_alu 0xfffe
	s_or_b32 exec_lo, exec_lo, s3
	s_wait_dscnt 0x0
	ds_bpermute_b32 v3, v47, v2
	s_wait_dscnt 0x0
	v_add_f32_e32 v2, v2, v3
	ds_bpermute_b32 v3, v46, v2
	s_wait_dscnt 0x0
	v_dual_add_f32 v2, v2, v3 :: v_dual_mov_b32 v3, 0
	ds_bpermute_b32 v2, v3, v2
	s_and_saveexec_b32 s0, s1
	s_cbranch_execz .LBB181_24
; %bb.22:
	s_wait_dscnt 0x0
	v_add_f32_e32 v3, 0x358637bd, v2
	s_mov_b32 s1, 0
	s_delay_alu instid0(VALU_DEP_1) | instskip(SKIP_1) | instid1(VALU_DEP_2)
	v_div_scale_f32 v5, null, v3, v3, 1.0
	v_div_scale_f32 v8, vcc_lo, 1.0, v3, 1.0
	v_rcp_f32_e32 v6, v5
	s_delay_alu instid0(TRANS32_DEP_1) | instskip(NEXT) | instid1(VALU_DEP_1)
	v_fma_f32 v7, -v5, v6, 1.0
	v_fmac_f32_e32 v6, v7, v6
	s_delay_alu instid0(VALU_DEP_1) | instskip(NEXT) | instid1(VALU_DEP_1)
	v_mul_f32_e32 v7, v8, v6
	v_fma_f32 v9, -v5, v7, v8
	s_delay_alu instid0(VALU_DEP_1) | instskip(NEXT) | instid1(VALU_DEP_1)
	v_fmac_f32_e32 v7, v9, v6
	v_fma_f32 v5, -v5, v7, v8
	s_wait_alu 0xfffd
	s_delay_alu instid0(VALU_DEP_1) | instskip(NEXT) | instid1(VALU_DEP_1)
	v_div_fmas_f32 v5, v5, v6, v7
	v_div_fixup_f32 v3, v5, v3, 1.0
	v_mov_b32_e32 v5, v0
.LBB181_23:                             ; =>This Inner Loop Header: Depth=1
	ds_load_b32 v6, v4
	s_wait_dscnt 0x0
	v_dual_mul_f32 v6, v3, v6 :: v_dual_add_nc_u32 v5, 0x80, v5
	s_delay_alu instid0(VALU_DEP_1) | instskip(SKIP_3) | instid1(SALU_CYCLE_1)
	v_cmp_le_i32_e32 vcc_lo, s21, v5
	ds_store_b32 v4, v6
	v_add_nc_u32_e32 v4, 0x200, v4
	s_or_b32 s1, vcc_lo, s1
	s_and_not1_b32 exec_lo, exec_lo, s1
	s_cbranch_execnz .LBB181_23
.LBB181_24:
	s_or_b32 exec_lo, exec_lo, s0
	s_mul_i32 s0, s8, s14
	s_wait_loadcnt_dscnt 0x0
	s_mul_i32 s14, s0, s15
	s_mov_b32 s0, exec_lo
	s_barrier_signal -1
	s_barrier_wait -1
	global_inv scope:SCOPE_SE
	v_cmpx_eq_u32_e32 0, v0
	s_cbranch_execz .LBB181_26
; %bb.25:
	s_ashr_i32 s15, s14, 31
	s_mul_i32 s28, s8, ttmp9
	s_lshl_b32 s1, s24, 2
	s_lshl_b64 s[30:31], s[14:15], 2
	s_wait_alu 0xfffe
	s_ashr_i32 s29, s28, 31
	v_mov_b32_e32 v3, s1
	s_wait_kmcnt 0x0
	s_add_nc_u64 s[6:7], s[6:7], s[30:31]
	s_wait_alu 0xfffe
	s_lshl_b64 s[28:29], s[28:29], 2
	s_add_nc_u64 s[4:5], s[4:5], s[30:31]
	s_wait_alu 0xfffe
	s_add_nc_u64 s[6:7], s[6:7], s[28:29]
	s_add_nc_u64 s[4:5], s[4:5], s[28:29]
	s_clause 0x1
	global_store_b32 v3, v1, s[6:7]
	global_store_b32 v3, v2, s[4:5]
.LBB181_26:
	s_or_b32 exec_lo, exec_lo, s0
	v_dual_mov_b32 v54, 0 :: v_dual_mov_b32 v55, 0
	v_dual_mov_b32 v53, 0 :: v_dual_and_b32 v48, 3, v0
	v_dual_mov_b32 v56, 0 :: v_dual_mov_b32 v51, 0
	v_dual_mov_b32 v52, 0 :: v_dual_mov_b32 v49, 0
	v_mov_b32_e32 v50, 0
	s_and_saveexec_b32 s1, s2
	s_cbranch_execz .LBB181_46
; %bb.27:
	s_ashr_i32 s21, s20, 31
	v_dual_mov_b32 v56, 0 :: v_dual_and_b32 v3, 0x1f0, v11
	s_wait_kmcnt 0x0
	s_wait_alu 0xfffe
	s_lshl_b64 s[4:5], s[20:21], 1
	v_dual_mov_b32 v50, 0 :: v_dual_lshlrev_b32 v1, 3, v0
	v_dual_mov_b32 v49, 0 :: v_dual_lshlrev_b32 v2, 5, v48
	s_wait_alu 0xfffe
	s_add_nc_u64 s[4:5], s[22:23], s[4:5]
	s_delay_alu instid0(VALU_DEP_2)
	v_dual_mov_b32 v52, 0 :: v_dual_and_b32 v1, 24, v1
	s_wait_alu 0xfffe
	v_add_co_u32 v57, s0, s4, v3
	s_wait_alu 0xf1ff
	v_add_co_ci_u32_e64 v58, null, s5, 0, s0
	s_lshl_b64 s[4:5], s[18:19], 2
	v_lshl_or_b32 v2, v43, 7, v2
	s_wait_alu 0xfffe
	s_add_nc_u64 s[4:5], s[16:17], s[4:5]
	v_add3_u32 v59, s26, v13, v1
	s_wait_alu 0xfffe
	v_add_co_u32 v41, s0, s4, v12
	v_dual_mov_b32 v51, 0 :: v_dual_add_nc_u32 v60, 0xa0, v2
	s_wait_alu 0xf1ff
	v_add_co_ci_u32_e64 v42, null, s5, 0, s0
	v_dual_mov_b32 v53, 0 :: v_dual_mov_b32 v54, 0
	v_mov_b32_e32 v55, 0
	s_mov_b32 s2, s9
	s_add_co_i32 s3, s27, -1
	s_mov_b32 s5, s25
	s_mov_b32 s4, 0
	s_branch .LBB181_29
.LBB181_28:                             ;   in Loop: Header=BB181_29 Depth=1
	s_wait_alu 0xfffe
	s_or_b32 exec_lo, exec_lo, s0
	s_wait_dscnt 0x1
	v_bfe_u32 v61, v29, 16, 1
	v_bfe_u32 v62, v30, 16, 1
	v_or_b32_e32 v63, 0x400000, v29
	v_cmp_u_f32_e32 vcc_lo, v29, v29
	v_or_b32_e32 v64, 0x400000, v30
	v_add3_u32 v61, v61, v29, 0x7fff
	v_bfe_u32 v65, v31, 16, 1
	v_add3_u32 v62, v62, v30, 0x7fff
	v_bfe_u32 v66, v32, 16, 1
	v_add_nc_u32_e32 v45, 4, v45
	s_wait_alu 0xfffd
	v_cndmask_b32_e32 v29, v61, v63, vcc_lo
	v_cmp_u_f32_e32 vcc_lo, v30, v30
	v_add3_u32 v61, v65, v31, 0x7fff
	s_wait_dscnt 0x0
	v_bfe_u32 v63, v25, 16, 1
	v_or_b32_e32 v65, 0x400000, v32
	v_add_co_u32 v41, s0, v41, 16
	s_wait_alu 0xfffd
	v_cndmask_b32_e32 v30, v62, v64, vcc_lo
	v_or_b32_e32 v62, 0x400000, v31
	v_cmp_u_f32_e32 vcc_lo, v31, v31
	v_add3_u32 v64, v66, v32, 0x7fff
	v_add_nc_u32_e32 v59, 0x80, v59
	s_wait_alu 0xf1ff
	v_add_co_ci_u32_e64 v42, null, 0, v42, s0
	s_wait_alu 0xfffd
	v_cndmask_b32_e32 v31, v61, v62, vcc_lo
	v_cmp_u_f32_e32 vcc_lo, v32, v32
	v_add3_u32 v61, v63, v25, 0x7fff
	v_or_b32_e32 v62, 0x400000, v25
	v_bfe_u32 v63, v26, 16, 1
	v_and_b32_e32 v29, 0xffff0000, v29
	s_wait_alu 0xfffd
	v_cndmask_b32_e32 v32, v64, v65, vcc_lo
	v_cmp_u_f32_e32 vcc_lo, v25, v25
	v_or_b32_e32 v64, 0x400000, v26
	v_add3_u32 v63, v63, v26, 0x7fff
	v_or_b32_e32 v65, 0x400000, v27
	s_wait_alu 0xfffd
	v_dual_cndmask_b32 v61, v61, v62 :: v_dual_add_nc_u32 v60, 0x200, v60
	v_bfe_u32 v62, v27, 16, 1
	v_cmp_u_f32_e32 vcc_lo, v26, v26
	v_and_b32_e32 v25, 0xffff0000, v30
	s_wait_loadcnt 0x1
	v_and_b32_e32 v30, 0xffff0000, v37
	v_add3_u32 v62, v62, v27, 0x7fff
	s_wait_alu 0xfffd
	v_cndmask_b32_e32 v26, v63, v64, vcc_lo
	v_bfe_u32 v63, v28, 16, 1
	v_mul_f32_e32 v30, v25, v30
	v_cmp_u_f32_e32 vcc_lo, v27, v27
	v_or_b32_e32 v64, 0x400000, v28
	v_and_b32_e32 v26, 0xffff0000, v26
	v_add3_u32 v63, v63, v28, 0x7fff
	v_bfe_u32 v27, v30, 16, 1
	s_wait_alu 0xfffd
	v_cndmask_b32_e32 v62, v62, v65, vcc_lo
	v_cmp_u_f32_e32 vcc_lo, v28, v28
	v_lshlrev_b32_e32 v37, 16, v37
	v_or_b32_e32 v66, 0x400000, v30
	v_add3_u32 v65, v27, v30, 0x7fff
	v_and_b32_e32 v27, 0xffff0000, v32
	v_and_b32_e32 v32, 0xffff0000, v38
	s_wait_alu 0xfffd
	v_dual_cndmask_b32 v28, v63, v64 :: v_dual_mul_f32 v37, v29, v37
	v_cmp_u_f32_e32 vcc_lo, v30, v30
	v_and_b32_e32 v30, 0xffff0000, v31
	v_lshlrev_b32_e32 v31, 16, v38
	s_delay_alu instid0(VALU_DEP_4)
	v_and_b32_e32 v28, 0xffff0000, v28
	v_bfe_u32 v64, v37, 16, 1
	s_wait_alu 0xfffd
	v_cndmask_b32_e32 v63, v65, v66, vcc_lo
	v_mul_f32_e32 v65, v27, v32
	v_cmp_u_f32_e32 vcc_lo, v37, v37
	v_add3_u32 v38, v64, v37, 0x7fff
	v_or_b32_e32 v64, 0x400000, v37
	s_delay_alu instid0(VALU_DEP_4)
	v_bfe_u32 v66, v65, 16, 1
	v_and_b32_e32 v32, 0xffff0000, v39
	v_and_b32_e32 v63, 0xffff0000, v63
	s_wait_alu 0xfffd
	v_cndmask_b32_e32 v37, v38, v64, vcc_lo
	v_add3_u32 v38, v66, v65, 0x7fff
	v_or_b32_e32 v64, 0x400000, v65
	v_cmp_u_f32_e32 vcc_lo, v65, v65
	v_dual_mul_f32 v67, v26, v32 :: v_dual_and_b32 v32, 0xffff0000, v61
	s_wait_alu 0xfffd
	s_delay_alu instid0(VALU_DEP_3) | instskip(SKIP_1) | instid1(VALU_DEP_2)
	v_dual_cndmask_b32 v38, v38, v64 :: v_dual_and_b32 v37, 0xffff0000, v37
	v_mul_f32_e32 v31, v30, v31
	v_dual_add_f32 v37, v37, v63 :: v_dual_and_b32 v38, 0xffff0000, v38
	s_delay_alu instid0(VALU_DEP_2) | instskip(SKIP_2) | instid1(VALU_DEP_3)
	v_bfe_u32 v66, v31, 16, 1
	v_or_b32_e32 v64, 0x400000, v31
	v_cmp_u_f32_e32 vcc_lo, v31, v31
	v_add3_u32 v61, v66, v31, 0x7fff
	v_and_b32_e32 v66, 0xffff0000, v40
	v_and_b32_e32 v31, 0xffff0000, v62
	v_lshlrev_b32_e32 v40, 16, v40
	v_lshlrev_b32_e32 v39, 16, v39
	s_wait_alu 0xfffd
	v_dual_cndmask_b32 v61, v61, v64 :: v_dual_mul_f32 v64, v28, v66
	v_bfe_u32 v68, v67, 16, 1
	s_delay_alu instid0(VALU_DEP_3) | instskip(SKIP_1) | instid1(VALU_DEP_3)
	v_dual_mul_f32 v40, v31, v40 :: v_dual_mul_f32 v39, v32, v39
	v_cmp_u_f32_e32 vcc_lo, v67, v67
	v_add3_u32 v65, v68, v67, 0x7fff
	v_or_b32_e32 v68, 0x400000, v67
	s_delay_alu instid0(VALU_DEP_4) | instskip(SKIP_2) | instid1(VALU_DEP_3)
	v_bfe_u32 v69, v39, 16, 1
	v_or_b32_e32 v67, 0x400000, v39
	s_wait_alu 0xfffd
	v_cndmask_b32_e32 v65, v65, v68, vcc_lo
	s_delay_alu instid0(VALU_DEP_3) | instskip(SKIP_2) | instid1(VALU_DEP_4)
	v_add3_u32 v66, v69, v39, 0x7fff
	v_bfe_u32 v68, v64, 16, 1
	v_cmp_u_f32_e32 vcc_lo, v39, v39
	v_and_b32_e32 v63, 0xffff0000, v65
	v_or_b32_e32 v65, 0x400000, v40
	s_delay_alu instid0(VALU_DEP_4)
	v_add3_u32 v62, v68, v64, 0x7fff
	s_wait_alu 0xfffd
	v_cndmask_b32_e32 v39, v66, v67, vcc_lo
	v_or_b32_e32 v66, 0x400000, v64
	v_cmp_u_f32_e32 vcc_lo, v64, v64
	v_bfe_u32 v64, v40, 16, 1
	s_wait_alu 0xfffd
	s_delay_alu instid0(VALU_DEP_3) | instskip(NEXT) | instid1(VALU_DEP_2)
	v_cndmask_b32_e32 v62, v62, v66, vcc_lo
	v_add3_u32 v64, v64, v40, 0x7fff
	v_cmp_u_f32_e32 vcc_lo, v40, v40
	v_and_b32_e32 v61, 0xffff0000, v61
	v_and_b32_e32 v66, 0xffff0000, v36
	;; [unrolled: 1-line block ×3, first 2 shown]
	v_lshlrev_b32_e32 v36, 16, v36
	s_wait_alu 0xfffd
	v_dual_cndmask_b32 v40, v64, v65 :: v_dual_and_b32 v65, 0xffff0000, v35
	s_delay_alu instid0(VALU_DEP_3) | instskip(SKIP_1) | instid1(VALU_DEP_3)
	v_dual_add_f32 v38, v61, v38 :: v_dual_add_f32 v39, v39, v63
	v_and_b32_e32 v61, 0xffff0000, v33
	v_dual_mul_f32 v65, v26, v65 :: v_dual_and_b32 v40, 0xffff0000, v40
	s_delay_alu instid0(VALU_DEP_3) | instskip(NEXT) | instid1(VALU_DEP_3)
	v_add_f32_e32 v37, v38, v37
	v_mul_f32_e32 v38, v25, v61
	v_mul_f32_e32 v36, v31, v36
	s_delay_alu instid0(VALU_DEP_3) | instskip(SKIP_1) | instid1(VALU_DEP_4)
	v_add_f32_e32 v37, v39, v37
	v_and_b32_e32 v39, 0xffff0000, v34
	v_bfe_u32 v61, v38, 16, 1
	v_or_b32_e32 v63, 0x400000, v38
	v_cmp_u_f32_e32 vcc_lo, v38, v38
	s_delay_alu instid0(VALU_DEP_4) | instskip(NEXT) | instid1(VALU_DEP_4)
	v_dual_mul_f32 v39, v27, v39 :: v_dual_lshlrev_b32 v34, 16, v34
	v_add3_u32 v61, v61, v38, 0x7fff
	v_lshlrev_b32_e32 v33, 16, v33
	s_delay_alu instid0(VALU_DEP_3) | instskip(SKIP_4) | instid1(VALU_DEP_2)
	v_dual_mul_f32 v34, v30, v34 :: v_dual_lshlrev_b32 v35, 16, v35
	v_bfe_u32 v69, v36, 16, 1
	s_wait_alu 0xfffd
	v_cndmask_b32_e32 v38, v61, v63, vcc_lo
	v_mul_f32_e32 v33, v29, v33
	v_dual_mul_f32 v35, v32, v35 :: v_dual_and_b32 v38, 0xffff0000, v38
	s_delay_alu instid0(VALU_DEP_2) | instskip(SKIP_2) | instid1(VALU_DEP_4)
	v_bfe_u32 v64, v33, 16, 1
	v_or_b32_e32 v63, 0x400000, v33
	v_cmp_u_f32_e32 vcc_lo, v33, v33
	v_or_b32_e32 v67, 0x400000, v35
	s_delay_alu instid0(VALU_DEP_4) | instskip(SKIP_2) | instid1(VALU_DEP_2)
	v_add3_u32 v61, v64, v33, 0x7fff
	v_bfe_u32 v64, v39, 16, 1
	s_wait_alu 0xfffd
	v_cndmask_b32_e32 v33, v61, v63, vcc_lo
	s_delay_alu instid0(VALU_DEP_2)
	v_add3_u32 v61, v64, v39, 0x7fff
	v_or_b32_e32 v63, 0x400000, v39
	v_bfe_u32 v64, v34, 16, 1
	v_cmp_u_f32_e32 vcc_lo, v39, v39
	v_and_b32_e32 v33, 0xffff0000, v33
	s_wait_alu 0xfffd
	v_cndmask_b32_e32 v39, v61, v63, vcc_lo
	v_add3_u32 v61, v64, v34, 0x7fff
	v_or_b32_e32 v63, 0x400000, v34
	v_bfe_u32 v64, v65, 16, 1
	v_cmp_u_f32_e32 vcc_lo, v34, v34
	v_and_b32_e32 v39, 0xffff0000, v39
	s_wait_alu 0xfffd
	v_cndmask_b32_e32 v34, v61, v63, vcc_lo
	v_bfe_u32 v61, v35, 16, 1
	v_add3_u32 v63, v64, v65, 0x7fff
	v_mul_f32_e32 v64, v28, v66
	v_or_b32_e32 v66, 0x400000, v65
	v_cmp_u_f32_e32 vcc_lo, v65, v65
	v_add3_u32 v61, v61, v35, 0x7fff
	v_and_b32_e32 v34, 0xffff0000, v34
	v_bfe_u32 v68, v64, 16, 1
	v_add3_u32 v65, v69, v36, 0x7fff
	s_wait_alu 0xfffd
	v_cndmask_b32_e32 v63, v63, v66, vcc_lo
	v_cmp_u_f32_e32 vcc_lo, v35, v35
	v_or_b32_e32 v66, 0x400000, v36
	v_dual_add_f32 v34, v34, v39 :: v_dual_add_f32 v33, v33, v38
	s_delay_alu instid0(VALU_DEP_4)
	v_and_b32_e32 v38, 0xffff0000, v63
	s_wait_alu 0xfffd
	v_cndmask_b32_e32 v35, v61, v67, vcc_lo
	v_cmp_u_f32_e32 vcc_lo, v36, v36
	v_add3_u32 v61, v68, v64, 0x7fff
	v_or_b32_e32 v67, 0x400000, v64
	s_wait_alu 0xfffd
	v_dual_cndmask_b32 v36, v65, v66 :: v_dual_and_b32 v35, 0xffff0000, v35
	v_cmp_u_f32_e32 vcc_lo, v64, v64
	s_wait_alu 0xfffd
	v_cndmask_b32_e32 v39, v61, v67, vcc_lo
	v_and_b32_e32 v61, 0xffff0000, v62
	v_dual_add_f32 v33, v34, v33 :: v_dual_add_f32 v34, v35, v38
	v_and_b32_e32 v35, 0xffff0000, v36
	s_delay_alu instid0(VALU_DEP_4) | instskip(SKIP_3) | instid1(VALU_DEP_4)
	v_and_b32_e32 v36, 0xffff0000, v39
	v_and_b32_e32 v38, 0xffff0000, v21
	v_add_f32_e32 v39, v40, v61
	v_lshlrev_b32_e32 v21, 16, v21
	v_dual_add_f32 v33, v34, v33 :: v_dual_add_f32 v34, v35, v36
	s_delay_alu instid0(VALU_DEP_3) | instskip(NEXT) | instid1(VALU_DEP_3)
	v_dual_mul_f32 v35, v25, v38 :: v_dual_add_f32 v36, v39, v37
	v_mul_f32_e32 v21, v29, v21
	v_and_b32_e32 v37, 0xffff0000, v22
	s_delay_alu instid0(VALU_DEP_4) | instskip(NEXT) | instid1(VALU_DEP_4)
	v_add_f32_e32 v33, v34, v33
	v_bfe_u32 v34, v35, 16, 1
	v_add_f32_e32 v50, v50, v36
	v_bfe_u32 v36, v21, 16, 1
	v_mul_f32_e32 v37, v27, v37
	v_add_f32_e32 v51, v51, v33
	v_add3_u32 v33, v34, v35, 0x7fff
	v_or_b32_e32 v34, 0x400000, v35
	v_lshlrev_b32_e32 v22, 16, v22
	v_cmp_u_f32_e32 vcc_lo, v35, v35
	v_add3_u32 v36, v36, v21, 0x7fff
	v_or_b32_e32 v38, 0x400000, v21
	s_delay_alu instid0(VALU_DEP_4)
	v_dual_mul_f32 v22, v30, v22 :: v_dual_and_b32 v35, 0xffff0000, v23
	s_wait_alu 0xfffd
	v_cndmask_b32_e32 v33, v33, v34, vcc_lo
	v_bfe_u32 v34, v37, 16, 1
	v_cmp_u_f32_e32 vcc_lo, v21, v21
	v_lshlrev_b32_e32 v23, 16, v23
	v_mul_f32_e32 v35, v26, v35
	v_and_b32_e32 v39, 0xffff0000, v24
	v_add3_u32 v34, v34, v37, 0x7fff
	s_wait_alu 0xfffd
	v_cndmask_b32_e32 v21, v36, v38, vcc_lo
	v_or_b32_e32 v36, 0x400000, v37
	v_bfe_u32 v38, v22, 16, 1
	v_cmp_u_f32_e32 vcc_lo, v37, v37
	v_mul_f32_e32 v23, v32, v23
	v_or_b32_e32 v37, 0x400000, v22
	v_lshlrev_b32_e32 v24, 16, v24
	s_wait_alu 0xfffd
	v_dual_cndmask_b32 v34, v34, v36 :: v_dual_and_b32 v33, 0xffff0000, v33
	v_add3_u32 v36, v38, v22, 0x7fff
	v_bfe_u32 v38, v35, 16, 1
	v_cmp_u_f32_e32 vcc_lo, v22, v22
	v_bfe_u32 v40, v23, 16, 1
	v_mul_f32_e32 v24, v31, v24
	v_and_b32_e32 v34, 0xffff0000, v34
	s_wait_alu 0xfffd
	v_cndmask_b32_e32 v22, v36, v37, vcc_lo
	v_add3_u32 v36, v38, v35, 0x7fff
	v_mul_f32_e32 v37, v28, v39
	v_or_b32_e32 v38, 0x400000, v35
	v_cmp_u_f32_e32 vcc_lo, v35, v35
	v_add3_u32 v39, v40, v23, 0x7fff
	v_or_b32_e32 v40, 0x400000, v23
	v_bfe_u32 v61, v37, 16, 1
	v_and_b32_e32 v22, 0xffff0000, v22
	s_wait_alu 0xfffd
	v_cndmask_b32_e32 v35, v36, v38, vcc_lo
	v_cmp_u_f32_e32 vcc_lo, v23, v23
	v_or_b32_e32 v38, 0x400000, v37
	v_add3_u32 v36, v61, v37, 0x7fff
	v_add_f32_e32 v22, v22, v34
	s_wait_alu 0xfffd
	v_dual_cndmask_b32 v23, v39, v40 :: v_dual_and_b32 v34, 0xffff0000, v17
	v_bfe_u32 v39, v24, 16, 1
	v_cmp_u_f32_e32 vcc_lo, v37, v37
	v_lshlrev_b32_e32 v17, 16, v17
	s_delay_alu instid0(VALU_DEP_4) | instskip(NEXT) | instid1(VALU_DEP_4)
	v_and_b32_e32 v23, 0xffff0000, v23
	v_add3_u32 v37, v39, v24, 0x7fff
	s_wait_alu 0xfffd
	v_cndmask_b32_e32 v36, v36, v38, vcc_lo
	v_or_b32_e32 v38, 0x400000, v24
	v_cmp_u_f32_e32 vcc_lo, v24, v24
	v_mul_f32_e32 v17, v29, v17
	s_wait_alu 0xfffd
	s_delay_alu instid0(VALU_DEP_3) | instskip(SKIP_2) | instid1(VALU_DEP_3)
	v_dual_cndmask_b32 v24, v37, v38 :: v_dual_and_b32 v37, 0xffff0000, v20
	v_lshlrev_b32_e32 v20, 16, v20
	v_and_b32_e32 v21, 0xffff0000, v21
	v_and_b32_e32 v24, 0xffff0000, v24
	s_delay_alu instid0(VALU_DEP_2) | instskip(SKIP_1) | instid1(VALU_DEP_2)
	v_dual_mul_f32 v20, v31, v20 :: v_dual_add_f32 v21, v21, v33
	v_and_b32_e32 v33, 0xffff0000, v35
	v_add_f32_e32 v21, v22, v21
	s_delay_alu instid0(VALU_DEP_2) | instskip(SKIP_1) | instid1(VALU_DEP_2)
	v_add_f32_e32 v23, v23, v33
	v_dual_mul_f32 v22, v25, v34 :: v_dual_and_b32 v33, 0xffff0000, v36
	v_add_f32_e32 v21, v23, v21
	s_delay_alu instid0(VALU_DEP_2) | instskip(NEXT) | instid1(VALU_DEP_3)
	v_add_f32_e32 v24, v24, v33
	v_bfe_u32 v34, v22, 16, 1
	v_cmp_u_f32_e32 vcc_lo, v22, v22
	s_delay_alu instid0(VALU_DEP_3) | instskip(NEXT) | instid1(VALU_DEP_3)
	v_add_f32_e32 v21, v24, v21
	v_add3_u32 v33, v34, v22, 0x7fff
	v_or_b32_e32 v34, 0x400000, v22
	v_and_b32_e32 v24, 0xffff0000, v16
	s_delay_alu instid0(VALU_DEP_4)
	v_dual_add_f32 v52, v52, v21 :: v_dual_and_b32 v35, 0xffff0000, v18
	v_and_b32_e32 v21, 0xffff0000, v14
	v_lshlrev_b32_e32 v14, 16, v14
	v_bfe_u32 v23, v17, 16, 1
	v_or_b32_e32 v36, 0x400000, v17
	s_wait_alu 0xfffd
	v_cndmask_b32_e32 v22, v33, v34, vcc_lo
	v_cmp_u_f32_e32 vcc_lo, v17, v17
	v_mul_f32_e32 v35, v27, v35
	v_add3_u32 v23, v23, v17, 0x7fff
	v_lshlrev_b32_e32 v18, 16, v18
	v_and_b32_e32 v22, 0xffff0000, v22
	v_lshlrev_b32_e32 v16, 16, v16
	v_bfe_u32 v33, v35, 16, 1
	s_wait_alu 0xfffd
	v_cndmask_b32_e32 v17, v23, v36, vcc_lo
	v_or_b32_e32 v34, 0x400000, v35
	v_cmp_u_f32_e32 vcc_lo, v35, v35
	v_mul_f32_e32 v18, v30, v18
	v_add3_u32 v33, v33, v35, 0x7fff
	v_and_b32_e32 v17, 0xffff0000, v17
	v_dual_mul_f32 v16, v31, v16 :: v_dual_and_b32 v23, 0xffff0000, v19
	v_lshlrev_b32_e32 v19, 16, v19
	s_wait_alu 0xfffd
	v_cndmask_b32_e32 v33, v33, v34, vcc_lo
	v_add_f32_e32 v17, v17, v22
	v_bfe_u32 v36, v18, 16, 1
	v_mul_f32_e32 v23, v26, v23
	v_mul_f32_e32 v19, v32, v19
	v_or_b32_e32 v35, 0x400000, v18
	v_cmp_u_f32_e32 vcc_lo, v18, v18
	v_add3_u32 v34, v36, v18, 0x7fff
	v_bfe_u32 v36, v23, 16, 1
	v_bfe_u32 v38, v19, 16, 1
	v_and_b32_e32 v33, 0xffff0000, v33
	s_wait_alu 0xfffd
	v_dual_mul_f32 v21, v27, v21 :: v_dual_cndmask_b32 v18, v34, v35
	v_add3_u32 v34, v36, v23, 0x7fff
	v_mul_f32_e32 v35, v28, v37
	v_or_b32_e32 v36, 0x400000, v23
	v_cmp_u_f32_e32 vcc_lo, v23, v23
	v_add3_u32 v37, v38, v19, 0x7fff
	v_or_b32_e32 v38, 0x400000, v19
	v_bfe_u32 v39, v35, 16, 1
	s_wait_alu 0xfffd
	v_dual_cndmask_b32 v23, v34, v36 :: v_dual_and_b32 v18, 0xffff0000, v18
	v_cmp_u_f32_e32 vcc_lo, v19, v19
	v_or_b32_e32 v36, 0x400000, v35
	v_add3_u32 v34, v39, v35, 0x7fff
	s_delay_alu instid0(VALU_DEP_4)
	v_add_f32_e32 v18, v18, v33
	s_wait_alu 0xfffd
	v_dual_cndmask_b32 v19, v37, v38 :: v_dual_and_b32 v22, 0xffff0000, v23
	v_bfe_u32 v37, v20, 16, 1
	v_cmp_u_f32_e32 vcc_lo, v35, v35
	v_add_f32_e32 v17, v18, v17
	v_and_b32_e32 v18, 0xffff0000, v13
	v_and_b32_e32 v19, 0xffff0000, v19
	v_add3_u32 v35, v37, v20, 0x7fff
	s_wait_alu 0xfffd
	v_cndmask_b32_e32 v34, v34, v36, vcc_lo
	v_or_b32_e32 v36, 0x400000, v20
	v_cmp_u_f32_e32 vcc_lo, v20, v20
	v_add_f32_e32 v19, v19, v22
	v_lshlrev_b32_e32 v13, 16, v13
	v_and_b32_e32 v22, 0xffff0000, v34
	v_mul_f32_e32 v18, v25, v18
	s_wait_alu 0xfffd
	v_cndmask_b32_e32 v20, v35, v36, vcc_lo
	v_dual_mul_f32 v14, v30, v14 :: v_dual_mul_f32 v23, v29, v13
	v_add_f32_e32 v13, v19, v17
	v_bfe_u32 v19, v18, 16, 1
	s_delay_alu instid0(VALU_DEP_4) | instskip(SKIP_1) | instid1(VALU_DEP_2)
	v_and_b32_e32 v20, 0xffff0000, v20
	v_cmp_u_f32_e32 vcc_lo, v18, v18
	v_add_f32_e32 v17, v20, v22
	v_bfe_u32 v20, v23, 16, 1
	v_or_b32_e32 v22, 0x400000, v23
	s_delay_alu instid0(VALU_DEP_3)
	v_add_f32_e32 v13, v17, v13
	v_add3_u32 v17, v19, v18, 0x7fff
	v_or_b32_e32 v19, 0x400000, v18
	v_add3_u32 v20, v20, v23, 0x7fff
	v_bfe_u32 v18, v21, 16, 1
	s_wait_alu 0xfffd
	s_delay_alu instid0(VALU_DEP_3) | instskip(SKIP_1) | instid1(VALU_DEP_3)
	v_cndmask_b32_e32 v17, v17, v19, vcc_lo
	v_cmp_u_f32_e32 vcc_lo, v23, v23
	v_add3_u32 v18, v18, v21, 0x7fff
	v_bfe_u32 v23, v14, 16, 1
	s_delay_alu instid0(VALU_DEP_4)
	v_and_b32_e32 v17, 0xffff0000, v17
	s_wait_alu 0xfffd
	v_dual_cndmask_b32 v19, v20, v22 :: v_dual_and_b32 v20, 0xffff0000, v15
	v_or_b32_e32 v22, 0x400000, v21
	v_lshlrev_b32_e32 v15, 16, v15
	v_cmp_u_f32_e32 vcc_lo, v21, v21
	v_add3_u32 v21, v23, v14, 0x7fff
	v_dual_mul_f32 v20, v26, v20 :: v_dual_and_b32 v19, 0xffff0000, v19
	s_wait_alu 0xfffd
	v_dual_mul_f32 v15, v32, v15 :: v_dual_cndmask_b32 v18, v18, v22
	v_or_b32_e32 v22, 0x400000, v14
	s_delay_alu instid0(VALU_DEP_3) | instskip(SKIP_1) | instid1(VALU_DEP_4)
	v_bfe_u32 v23, v20, 16, 1
	v_cmp_u_f32_e32 vcc_lo, v14, v14
	v_bfe_u32 v33, v15, 16, 1
	v_dual_add_f32 v17, v19, v17 :: v_dual_and_b32 v18, 0xffff0000, v18
	s_wait_alu 0xfffd
	v_dual_cndmask_b32 v14, v21, v22 :: v_dual_and_b32 v19, 0xffff0000, v5
	v_add3_u32 v21, v23, v20, 0x7fff
	v_mul_f32_e32 v22, v28, v24
	v_or_b32_e32 v23, 0x400000, v20
	v_cmp_u_f32_e32 vcc_lo, v20, v20
	v_add3_u32 v24, v33, v15, 0x7fff
	v_or_b32_e32 v33, 0x400000, v15
	v_bfe_u32 v34, v22, 16, 1
	v_and_b32_e32 v14, 0xffff0000, v14
	s_wait_alu 0xfffd
	v_cndmask_b32_e32 v20, v21, v23, vcc_lo
	v_cmp_u_f32_e32 vcc_lo, v15, v15
	v_or_b32_e32 v23, 0x400000, v22
	v_add3_u32 v21, v34, v22, 0x7fff
	v_add_f32_e32 v14, v14, v18
	s_wait_alu 0xfffd
	v_dual_cndmask_b32 v15, v24, v33 :: v_dual_and_b32 v18, 0xffff0000, v20
	v_bfe_u32 v24, v16, 16, 1
	v_cmp_u_f32_e32 vcc_lo, v22, v22
	v_lshlrev_b32_e32 v5, 16, v5
	s_delay_alu instid0(VALU_DEP_4) | instskip(NEXT) | instid1(VALU_DEP_4)
	v_dual_add_f32 v14, v14, v17 :: v_dual_and_b32 v15, 0xffff0000, v15
	v_add3_u32 v22, v24, v16, 0x7fff
	s_wait_alu 0xfffd
	v_cndmask_b32_e32 v21, v21, v23, vcc_lo
	v_or_b32_e32 v23, 0x400000, v16
	v_cmp_u_f32_e32 vcc_lo, v16, v16
	v_mul_f32_e32 v17, v25, v19
	v_add_f32_e32 v15, v15, v18
	v_mul_f32_e32 v5, v29, v5
	v_and_b32_e32 v18, 0xffff0000, v21
	s_wait_alu 0xfffd
	v_dual_cndmask_b32 v16, v22, v23 :: v_dual_and_b32 v19, 0xffff0000, v6
	v_bfe_u32 v20, v17, 16, 1
	v_add_f32_e32 v14, v15, v14
	v_bfe_u32 v15, v5, 16, 1
	s_delay_alu instid0(VALU_DEP_4)
	v_and_b32_e32 v16, 0xffff0000, v16
	v_lshlrev_b32_e32 v6, 16, v6
	v_cmp_u_f32_e32 vcc_lo, v17, v17
	v_or_b32_e32 v21, 0x400000, v5
	v_add3_u32 v15, v15, v5, 0x7fff
	v_add_f32_e32 v16, v16, v18
	v_mul_f32_e32 v18, v27, v19
	v_add3_u32 v19, v20, v17, 0x7fff
	v_or_b32_e32 v20, 0x400000, v17
	v_mul_f32_e32 v6, v30, v6
	s_delay_alu instid0(VALU_DEP_4) | instskip(SKIP_1) | instid1(VALU_DEP_3)
	v_bfe_u32 v22, v18, 16, 1
	s_wait_alu 0xfffd
	v_cndmask_b32_e32 v17, v19, v20, vcc_lo
	v_cmp_u_f32_e32 vcc_lo, v5, v5
	v_and_b32_e32 v20, 0xffff0000, v7
	v_or_b32_e32 v19, 0x400000, v18
	v_lshlrev_b32_e32 v7, 16, v7
	v_and_b32_e32 v17, 0xffff0000, v17
	s_wait_alu 0xfffd
	v_cndmask_b32_e32 v5, v15, v21, vcc_lo
	v_add3_u32 v15, v22, v18, 0x7fff
	v_bfe_u32 v21, v6, 16, 1
	v_cmp_u_f32_e32 vcc_lo, v18, v18
	v_dual_mul_f32 v18, v26, v20 :: v_dual_mul_f32 v7, v32, v7
	v_or_b32_e32 v20, 0x400000, v6
	v_and_b32_e32 v5, 0xffff0000, v5
	s_wait_alu 0xfffd
	v_cndmask_b32_e32 v15, v15, v19, vcc_lo
	v_add3_u32 v19, v21, v6, 0x7fff
	v_and_b32_e32 v21, 0xffff0000, v8
	v_bfe_u32 v22, v18, 16, 1
	v_cmp_u_f32_e32 vcc_lo, v6, v6
	v_bfe_u32 v23, v7, 16, 1
	v_lshlrev_b32_e32 v8, 16, v8
	v_and_b32_e32 v15, 0xffff0000, v15
	s_wait_alu 0xfffd
	v_dual_add_f32 v5, v5, v17 :: v_dual_cndmask_b32 v6, v19, v20
	v_mul_f32_e32 v19, v28, v21
	v_add3_u32 v20, v22, v18, 0x7fff
	v_or_b32_e32 v21, 0x400000, v18
	v_cmp_u_f32_e32 vcc_lo, v18, v18
	v_add3_u32 v22, v23, v7, 0x7fff
	v_or_b32_e32 v23, 0x400000, v7
	v_bfe_u32 v24, v19, 16, 1
	v_mul_f32_e32 v8, v31, v8
	s_wait_alu 0xfffd
	v_cndmask_b32_e32 v18, v20, v21, vcc_lo
	v_cmp_u_f32_e32 vcc_lo, v7, v7
	v_or_b32_e32 v21, 0x400000, v19
	v_add3_u32 v20, v24, v19, 0x7fff
	v_and_b32_e32 v6, 0xffff0000, v6
	v_and_b32_e32 v17, 0xffff0000, v18
	s_wait_alu 0xfffd
	v_cndmask_b32_e32 v7, v22, v23, vcc_lo
	v_cmp_u_f32_e32 vcc_lo, v19, v19
	v_dual_add_f32 v53, v53, v13 :: v_dual_add_f32 v6, v6, v15
	v_and_b32_e32 v15, 0xffff0000, v1
	s_delay_alu instid0(VALU_DEP_4)
	v_and_b32_e32 v7, 0xffff0000, v7
	s_wait_alu 0xfffd
	v_cndmask_b32_e32 v19, v20, v21, vcc_lo
	v_bfe_u32 v20, v8, 16, 1
	v_cmp_u_f32_e32 vcc_lo, v8, v8
	v_dual_add_f32 v5, v6, v5 :: v_dual_mul_f32 v6, v25, v15
	v_add_f32_e32 v7, v7, v17
	s_delay_alu instid0(VALU_DEP_4)
	v_add3_u32 v18, v20, v8, 0x7fff
	v_or_b32_e32 v20, 0x400000, v8
	v_lshlrev_b32_e32 v1, 16, v1
	v_bfe_u32 v15, v6, 16, 1
	v_add_f32_e32 v5, v7, v5
	s_wait_alu 0xfffd
	v_dual_cndmask_b32 v8, v18, v20 :: v_dual_and_b32 v7, 0xffff0000, v2
	v_and_b32_e32 v18, 0xffff0000, v19
	v_add3_u32 v15, v15, v6, 0x7fff
	v_or_b32_e32 v17, 0x400000, v6
	s_delay_alu instid0(VALU_DEP_4) | instskip(SKIP_3) | instid1(VALU_DEP_4)
	v_dual_mul_f32 v7, v27, v7 :: v_dual_and_b32 v8, 0xffff0000, v8
	v_mul_f32_e32 v1, v29, v1
	v_cmp_u_f32_e32 vcc_lo, v6, v6
	v_lshlrev_b32_e32 v2, 16, v2
	v_or_b32_e32 v21, 0x400000, v7
	v_add_f32_e32 v8, v8, v18
	v_bfe_u32 v19, v1, 16, 1
	s_wait_alu 0xfffd
	v_cndmask_b32_e32 v6, v15, v17, vcc_lo
	v_bfe_u32 v15, v7, 16, 1
	v_or_b32_e32 v20, 0x400000, v1
	v_mul_f32_e32 v2, v30, v2
	v_add3_u32 v17, v19, v1, 0x7fff
	v_and_b32_e32 v19, 0xffff0000, v3
	v_cmp_u_f32_e32 vcc_lo, v1, v1
	v_add3_u32 v15, v15, v7, 0x7fff
	v_lshlrev_b32_e32 v3, 16, v3
	s_delay_alu instid0(VALU_DEP_4)
	v_dual_mul_f32 v19, v26, v19 :: v_dual_and_b32 v6, 0xffff0000, v6
	s_wait_alu 0xfffd
	v_cndmask_b32_e32 v1, v17, v20, vcc_lo
	v_bfe_u32 v17, v2, 16, 1
	v_cmp_u_f32_e32 vcc_lo, v7, v7
	v_dual_mul_f32 v3, v32, v3 :: v_dual_and_b32 v20, 0xffff0000, v4
	v_or_b32_e32 v22, 0x400000, v19
	s_delay_alu instid0(VALU_DEP_4)
	v_add3_u32 v17, v17, v2, 0x7fff
	s_wait_alu 0xfffd
	v_cndmask_b32_e32 v7, v15, v21, vcc_lo
	v_bfe_u32 v15, v19, 16, 1
	v_or_b32_e32 v21, 0x400000, v2
	v_cmp_u_f32_e32 vcc_lo, v2, v2
	v_mul_f32_e32 v20, v28, v20
	v_lshlrev_b32_e32 v4, 16, v4
	v_add3_u32 v15, v15, v19, 0x7fff
	v_and_b32_e32 v1, 0xffff0000, v1
	s_wait_alu 0xfffd
	v_cndmask_b32_e32 v2, v17, v21, vcc_lo
	v_bfe_u32 v17, v3, 16, 1
	v_cmp_u_f32_e32 vcc_lo, v19, v19
	v_bfe_u32 v21, v20, 16, 1
	v_or_b32_e32 v19, 0x400000, v3
	v_mul_f32_e32 v4, v31, v4
	v_add3_u32 v17, v17, v3, 0x7fff
	s_wait_alu 0xfffd
	v_cndmask_b32_e32 v15, v15, v22, vcc_lo
	v_cmp_u_f32_e32 vcc_lo, v3, v3
	v_add3_u32 v21, v21, v20, 0x7fff
	v_or_b32_e32 v22, 0x400000, v20
	v_and_b32_e32 v2, 0xffff0000, v2
	v_and_b32_e32 v7, 0xffff0000, v7
	s_wait_alu 0xfffd
	v_cndmask_b32_e32 v3, v17, v19, vcc_lo
	v_cmp_u_f32_e32 vcc_lo, v20, v20
	v_bfe_u32 v19, v4, 16, 1
	v_dual_add_f32 v1, v1, v6 :: v_dual_add_f32 v2, v2, v7
	s_delay_alu instid0(VALU_DEP_4)
	v_and_b32_e32 v3, 0xffff0000, v3
	s_wait_alu 0xfffd
	v_cndmask_b32_e32 v17, v21, v22, vcc_lo
	s_wait_loadcnt 0x0
	v_lshlrev_b32_e32 v21, 16, v9
	v_and_b32_e32 v6, 0xffff0000, v15
	v_and_b32_e32 v9, 0xffff0000, v9
	v_add3_u32 v19, v19, v4, 0x7fff
	v_or_b32_e32 v20, 0x400000, v4
	v_mul_f32_e32 v7, v29, v21
	v_cmp_u_f32_e32 vcc_lo, v4, v4
	v_add_f32_e32 v1, v2, v1
	v_dual_add_f32 v3, v3, v6 :: v_dual_mul_f32 v6, v25, v9
	s_delay_alu instid0(VALU_DEP_4)
	v_bfe_u32 v2, v7, 16, 1
	s_wait_alu 0xfffd
	v_dual_cndmask_b32 v4, v19, v20 :: v_dual_lshlrev_b32 v9, 16, v10
	v_or_b32_e32 v15, 0x400000, v7
	v_bfe_u32 v19, v6, 16, 1
	v_add3_u32 v2, v2, v7, 0x7fff
	s_delay_alu instid0(VALU_DEP_4) | instskip(SKIP_1) | instid1(VALU_DEP_4)
	v_dual_mul_f32 v9, v30, v9 :: v_dual_and_b32 v10, 0xffff0000, v10
	v_cmp_u_f32_e32 vcc_lo, v7, v7
	v_add3_u32 v7, v19, v6, 0x7fff
	v_lshlrev_b32_e32 v20, 16, v11
	s_delay_alu instid0(VALU_DEP_4)
	v_bfe_u32 v19, v9, 16, 1
	v_mul_f32_e32 v10, v27, v10
	s_wait_alu 0xfffd
	v_cndmask_b32_e32 v2, v2, v15, vcc_lo
	v_or_b32_e32 v15, 0x400000, v6
	v_cmp_u_f32_e32 vcc_lo, v6, v6
	v_dual_mul_f32 v20, v32, v20 :: v_dual_and_b32 v11, 0xffff0000, v11
	v_lshlrev_b32_e32 v21, 16, v12
	v_and_b32_e32 v12, 0xffff0000, v12
	s_wait_alu 0xfffd
	v_cndmask_b32_e32 v6, v7, v15, vcc_lo
	v_add3_u32 v7, v19, v9, 0x7fff
	v_or_b32_e32 v15, 0x400000, v9
	v_bfe_u32 v19, v10, 16, 1
	v_cmp_u_f32_e32 vcc_lo, v9, v9
	v_dual_mul_f32 v11, v26, v11 :: v_dual_mul_f32 v12, v28, v12
	v_and_b32_e32 v6, 0xffff0000, v6
	s_delay_alu instid0(VALU_DEP_4)
	v_add3_u32 v9, v19, v10, 0x7fff
	s_wait_alu 0xfffd
	v_cndmask_b32_e32 v7, v7, v15, vcc_lo
	v_or_b32_e32 v15, 0x400000, v10
	v_bfe_u32 v19, v20, 16, 1
	v_cmp_u_f32_e32 vcc_lo, v10, v10
	v_bfe_u32 v10, v11, 16, 1
	v_or_b32_e32 v22, 0x400000, v11
	v_bfe_u32 v24, v12, 16, 1
	s_wait_alu 0xfffd
	v_dual_cndmask_b32 v9, v9, v15 :: v_dual_and_b32 v2, 0xffff0000, v2
	v_add3_u32 v15, v19, v20, 0x7fff
	v_mul_f32_e32 v19, v31, v21
	v_or_b32_e32 v21, 0x400000, v20
	v_cmp_u_f32_e32 vcc_lo, v20, v20
	v_add3_u32 v10, v10, v11, 0x7fff
	v_add3_u32 v20, v24, v12, 0x7fff
	v_bfe_u32 v23, v19, 16, 1
	v_and_b32_e32 v9, 0xffff0000, v9
	s_wait_alu 0xfffd
	v_cndmask_b32_e32 v15, v15, v21, vcc_lo
	v_cmp_u_f32_e32 vcc_lo, v11, v11
	v_or_b32_e32 v21, 0x400000, v12
	v_add3_u32 v11, v23, v19, 0x7fff
	v_dual_add_f32 v2, v2, v6 :: v_dual_and_b32 v7, 0xffff0000, v7
	s_wait_alu 0xfffd
	v_cndmask_b32_e32 v10, v10, v22, vcc_lo
	v_cmp_u_f32_e32 vcc_lo, v12, v12
	v_or_b32_e32 v22, 0x400000, v19
	v_dual_add_f32 v6, v7, v9 :: v_dual_and_b32 v9, 0xffff0000, v15
	s_wait_alu 0xfffd
	v_dual_cndmask_b32 v12, v20, v21 :: v_dual_and_b32 v7, 0xffff0000, v10
	v_cmp_u_f32_e32 vcc_lo, v19, v19
	v_and_b32_e32 v4, 0xffff0000, v4
	v_add_f32_e32 v2, v6, v2
	s_delay_alu instid0(VALU_DEP_4) | instskip(SKIP_2) | instid1(VALU_DEP_2)
	v_dual_add_f32 v6, v9, v7 :: v_dual_and_b32 v7, 0xffff0000, v12
	s_wait_alu 0xfffd
	v_dual_cndmask_b32 v10, v11, v22 :: v_dual_and_b32 v11, 0xffff0000, v17
	v_dual_add_f32 v1, v3, v1 :: v_dual_add_f32 v2, v6, v2
	v_add_f32_e32 v6, v16, v14
	s_delay_alu instid0(VALU_DEP_3) | instskip(NEXT) | instid1(VALU_DEP_4)
	v_and_b32_e32 v9, 0xffff0000, v10
	v_add_f32_e32 v3, v4, v11
	v_add_f32_e32 v5, v8, v5
	v_cmp_le_i32_e32 vcc_lo, s13, v45
	s_delay_alu instid0(VALU_DEP_4) | instskip(NEXT) | instid1(VALU_DEP_4)
	v_dual_add_f32 v55, v55, v6 :: v_dual_add_f32 v4, v9, v7
	v_add_f32_e32 v1, v3, v1
	s_delay_alu instid0(VALU_DEP_4) | instskip(SKIP_1) | instid1(VALU_DEP_3)
	v_add_f32_e32 v56, v56, v5
	s_or_b32 s4, vcc_lo, s4
	v_add_f32_e32 v2, v4, v2
	s_delay_alu instid0(VALU_DEP_1)
	v_dual_add_f32 v54, v54, v1 :: v_dual_add_f32 v49, v49, v2
	s_wait_alu 0xfffe
	s_and_not1_b32 exec_lo, exec_lo, s4
	s_cbranch_execz .LBB181_45
.LBB181_29:                             ; =>This Inner Loop Header: Depth=1
	global_load_b32 v1, v[41:42], off
	v_add_nc_u32_e32 v66, 1, v59
	v_or_b32_e32 v65, 3, v59
	v_or_b32_e32 v67, 2, v59
	;; [unrolled: 1-line block ×6, first 2 shown]
	s_wait_loadcnt 0x0
	s_wait_alu 0xfffe
	v_mad_co_i64_i32 v[1:2], null, v1, s2, 0
	s_delay_alu instid0(VALU_DEP_1) | instskip(NEXT) | instid1(VALU_DEP_1)
	v_lshlrev_b64_e32 v[1:2], 1, v[1:2]
	v_add_co_u32 v9, vcc_lo, v57, v1
	s_wait_alu 0xfffd
	s_delay_alu instid0(VALU_DEP_2)
	v_add_co_ci_u32_e64 v10, null, v58, v2, vcc_lo
	v_cmp_eq_u32_e32 vcc_lo, s3, v45
	global_load_b128 v[1:4], v[9:10], off
	ds_load_2addr_b64 v[29:32], v60 offset1:1
	ds_load_2addr_b64 v[25:28], v60 offset0:2 offset1:3
	s_and_saveexec_b32 s6, vcc_lo
	s_cbranch_execnz .LBB181_37
; %bb.30:                               ;   in Loop: Header=BB181_29 Depth=1
	s_or_b32 exec_lo, exec_lo, s6
	global_load_b128 v[5:8], v[9:10], off offset:512
	s_and_saveexec_b32 s6, vcc_lo
	s_cbranch_execnz .LBB181_38
.LBB181_31:                             ;   in Loop: Header=BB181_29 Depth=1
	s_or_b32 exec_lo, exec_lo, s6
	global_load_b128 v[13:16], v[9:10], off offset:1024
	s_and_saveexec_b32 s6, vcc_lo
	s_cbranch_execnz .LBB181_39
.LBB181_32:                             ;   in Loop: Header=BB181_29 Depth=1
	s_or_b32 exec_lo, exec_lo, s6
	global_load_b128 v[17:20], v[9:10], off offset:1536
	s_and_saveexec_b32 s6, vcc_lo
	s_cbranch_execnz .LBB181_40
.LBB181_33:                             ;   in Loop: Header=BB181_29 Depth=1
	s_or_b32 exec_lo, exec_lo, s6
	global_load_b128 v[21:24], v[9:10], off offset:2048
	s_and_saveexec_b32 s6, vcc_lo
	s_cbranch_execnz .LBB181_41
.LBB181_34:                             ;   in Loop: Header=BB181_29 Depth=1
	s_or_b32 exec_lo, exec_lo, s6
	global_load_b128 v[33:36], v[9:10], off offset:2560
	s_and_saveexec_b32 s6, vcc_lo
	s_cbranch_execnz .LBB181_42
.LBB181_35:                             ;   in Loop: Header=BB181_29 Depth=1
	s_or_b32 exec_lo, exec_lo, s6
	global_load_b128 v[37:40], v[9:10], off offset:3072
	s_and_saveexec_b32 s6, vcc_lo
	s_cbranch_execnz .LBB181_43
.LBB181_36:                             ;   in Loop: Header=BB181_29 Depth=1
	s_or_b32 exec_lo, exec_lo, s6
	global_load_b128 v[9:12], v[9:10], off offset:3584
	s_and_saveexec_b32 s0, vcc_lo
	s_cbranch_execz .LBB181_28
	s_branch .LBB181_44
.LBB181_37:                             ;   in Loop: Header=BB181_29 Depth=1
	v_cmp_gt_i32_e64 s0, s25, v59
	s_wait_loadcnt 0x0
	v_lshrrev_b32_e32 v5, 16, v1
	v_lshrrev_b32_e32 v6, 16, v2
	;; [unrolled: 1-line block ×4, first 2 shown]
	s_wait_alu 0xf1ff
	v_cndmask_b32_e64 v1, 0, v1, s0
	v_cmp_gt_i32_e64 s0, s5, v66
	s_wait_alu 0xf1ff
	s_delay_alu instid0(VALU_DEP_1) | instskip(SKIP_1) | instid1(VALU_DEP_2)
	v_cndmask_b32_e64 v5, 0, v5, s0
	v_cmp_gt_i32_e64 s0, s25, v67
	v_perm_b32 v1, v5, v1, 0x5040100
	s_wait_alu 0xf1ff
	s_delay_alu instid0(VALU_DEP_2) | instskip(SKIP_2) | instid1(VALU_DEP_1)
	v_cndmask_b32_e64 v2, 0, v2, s0
	v_cmp_gt_i32_e64 s0, s5, v65
	s_wait_alu 0xf1ff
	v_cndmask_b32_e64 v6, 0, v6, s0
	v_cmp_gt_i32_e64 s0, s25, v64
	s_delay_alu instid0(VALU_DEP_2) | instskip(SKIP_1) | instid1(VALU_DEP_2)
	v_perm_b32 v2, v6, v2, 0x5040100
	s_wait_alu 0xf1ff
	v_cndmask_b32_e64 v3, 0, v3, s0
	v_cmp_gt_i32_e64 s0, s5, v62
	s_wait_alu 0xf1ff
	s_delay_alu instid0(VALU_DEP_1) | instskip(SKIP_1) | instid1(VALU_DEP_2)
	v_cndmask_b32_e64 v7, 0, v7, s0
	v_cmp_gt_i32_e64 s0, s25, v63
	v_perm_b32 v3, v7, v3, 0x5040100
	s_wait_alu 0xf1ff
	s_delay_alu instid0(VALU_DEP_2) | instskip(SKIP_2) | instid1(VALU_DEP_1)
	v_cndmask_b32_e64 v4, 0, v4, s0
	v_cmp_gt_i32_e64 s0, s5, v61
	s_wait_alu 0xf1ff
	v_cndmask_b32_e64 v8, 0, v8, s0
	s_delay_alu instid0(VALU_DEP_1)
	v_perm_b32 v4, v8, v4, 0x5040100
	s_or_b32 exec_lo, exec_lo, s6
	global_load_b128 v[5:8], v[9:10], off offset:512
	s_and_saveexec_b32 s6, vcc_lo
	s_cbranch_execz .LBB181_31
.LBB181_38:                             ;   in Loop: Header=BB181_29 Depth=1
	v_cmp_gt_i32_e64 s0, s25, v59
	s_wait_loadcnt 0x0
	v_lshrrev_b32_e32 v11, 16, v5
	v_lshrrev_b32_e32 v12, 16, v6
	;; [unrolled: 1-line block ×4, first 2 shown]
	s_wait_alu 0xf1ff
	v_cndmask_b32_e64 v5, 0, v5, s0
	v_cmp_gt_i32_e64 s0, s5, v66
	s_wait_alu 0xf1ff
	s_delay_alu instid0(VALU_DEP_1) | instskip(SKIP_1) | instid1(VALU_DEP_2)
	v_cndmask_b32_e64 v11, 0, v11, s0
	v_cmp_gt_i32_e64 s0, s25, v67
	v_perm_b32 v5, v11, v5, 0x5040100
	s_wait_alu 0xf1ff
	s_delay_alu instid0(VALU_DEP_2) | instskip(SKIP_2) | instid1(VALU_DEP_1)
	v_cndmask_b32_e64 v6, 0, v6, s0
	v_cmp_gt_i32_e64 s0, s5, v65
	s_wait_alu 0xf1ff
	v_cndmask_b32_e64 v12, 0, v12, s0
	v_cmp_gt_i32_e64 s0, s25, v64
	s_delay_alu instid0(VALU_DEP_2) | instskip(SKIP_1) | instid1(VALU_DEP_2)
	v_perm_b32 v6, v12, v6, 0x5040100
	s_wait_alu 0xf1ff
	v_cndmask_b32_e64 v7, 0, v7, s0
	v_cmp_gt_i32_e64 s0, s5, v62
	s_wait_alu 0xf1ff
	s_delay_alu instid0(VALU_DEP_1) | instskip(SKIP_1) | instid1(VALU_DEP_2)
	v_cndmask_b32_e64 v13, 0, v13, s0
	v_cmp_gt_i32_e64 s0, s25, v63
	v_perm_b32 v7, v13, v7, 0x5040100
	s_wait_alu 0xf1ff
	s_delay_alu instid0(VALU_DEP_2) | instskip(SKIP_2) | instid1(VALU_DEP_1)
	v_cndmask_b32_e64 v8, 0, v8, s0
	v_cmp_gt_i32_e64 s0, s5, v61
	s_wait_alu 0xf1ff
	v_cndmask_b32_e64 v14, 0, v14, s0
	s_delay_alu instid0(VALU_DEP_1)
	v_perm_b32 v8, v14, v8, 0x5040100
	s_or_b32 exec_lo, exec_lo, s6
	global_load_b128 v[13:16], v[9:10], off offset:1024
	s_and_saveexec_b32 s6, vcc_lo
	s_cbranch_execz .LBB181_32
.LBB181_39:                             ;   in Loop: Header=BB181_29 Depth=1
	v_cmp_gt_i32_e64 s0, s25, v59
	s_wait_loadcnt 0x0
	v_lshrrev_b32_e32 v11, 16, v13
	v_lshrrev_b32_e32 v18, 16, v16
	s_wait_alu 0xf1ff
	v_cndmask_b32_e64 v12, 0, v13, s0
	v_cmp_gt_i32_e64 s0, s5, v66
	v_lshrrev_b32_e32 v13, 16, v14
	s_wait_alu 0xf1ff
	s_delay_alu instid0(VALU_DEP_2) | instskip(SKIP_2) | instid1(VALU_DEP_1)
	v_cndmask_b32_e64 v11, 0, v11, s0
	v_cmp_gt_i32_e64 s0, s25, v67
	s_wait_alu 0xf1ff
	v_cndmask_b32_e64 v14, 0, v14, s0
	v_cmp_gt_i32_e64 s0, s5, v65
	s_wait_alu 0xf1ff
	s_delay_alu instid0(VALU_DEP_1) | instskip(SKIP_2) | instid1(VALU_DEP_3)
	v_cndmask_b32_e64 v17, 0, v13, s0
	v_cmp_gt_i32_e64 s0, s25, v64
	v_lshrrev_b32_e32 v13, 16, v15
	v_perm_b32 v14, v17, v14, 0x5040100
	s_wait_alu 0xf1ff
	s_delay_alu instid0(VALU_DEP_3) | instskip(SKIP_2) | instid1(VALU_DEP_1)
	v_cndmask_b32_e64 v15, 0, v15, s0
	v_cmp_gt_i32_e64 s0, s5, v62
	s_wait_alu 0xf1ff
	v_cndmask_b32_e64 v19, 0, v13, s0
	v_cmp_gt_i32_e64 s0, s25, v63
	v_perm_b32 v13, v11, v12, 0x5040100
	s_delay_alu instid0(VALU_DEP_3) | instskip(SKIP_1) | instid1(VALU_DEP_3)
	v_perm_b32 v15, v19, v15, 0x5040100
	s_wait_alu 0xf1ff
	v_cndmask_b32_e64 v16, 0, v16, s0
	v_cmp_gt_i32_e64 s0, s5, v61
	s_wait_alu 0xf1ff
	s_delay_alu instid0(VALU_DEP_1) | instskip(NEXT) | instid1(VALU_DEP_1)
	v_cndmask_b32_e64 v18, 0, v18, s0
	v_perm_b32 v16, v18, v16, 0x5040100
	s_or_b32 exec_lo, exec_lo, s6
	global_load_b128 v[17:20], v[9:10], off offset:1536
	s_and_saveexec_b32 s6, vcc_lo
	s_cbranch_execz .LBB181_33
.LBB181_40:                             ;   in Loop: Header=BB181_29 Depth=1
	v_cmp_gt_i32_e64 s0, s25, v59
	s_wait_loadcnt 0x0
	v_lshrrev_b32_e32 v11, 16, v17
	v_lshrrev_b32_e32 v22, 16, v20
	s_wait_alu 0xf1ff
	v_cndmask_b32_e64 v12, 0, v17, s0
	v_cmp_gt_i32_e64 s0, s5, v66
	v_lshrrev_b32_e32 v17, 16, v18
	s_wait_alu 0xf1ff
	s_delay_alu instid0(VALU_DEP_2) | instskip(SKIP_2) | instid1(VALU_DEP_1)
	v_cndmask_b32_e64 v11, 0, v11, s0
	v_cmp_gt_i32_e64 s0, s25, v67
	s_wait_alu 0xf1ff
	v_cndmask_b32_e64 v18, 0, v18, s0
	v_cmp_gt_i32_e64 s0, s5, v65
	s_wait_alu 0xf1ff
	s_delay_alu instid0(VALU_DEP_1) | instskip(SKIP_2) | instid1(VALU_DEP_3)
	v_cndmask_b32_e64 v21, 0, v17, s0
	v_cmp_gt_i32_e64 s0, s25, v64
	v_lshrrev_b32_e32 v17, 16, v19
	v_perm_b32 v18, v21, v18, 0x5040100
	s_wait_alu 0xf1ff
	s_delay_alu instid0(VALU_DEP_3) | instskip(SKIP_2) | instid1(VALU_DEP_1)
	v_cndmask_b32_e64 v19, 0, v19, s0
	v_cmp_gt_i32_e64 s0, s5, v62
	s_wait_alu 0xf1ff
	v_cndmask_b32_e64 v23, 0, v17, s0
	v_cmp_gt_i32_e64 s0, s25, v63
	v_perm_b32 v17, v11, v12, 0x5040100
	s_delay_alu instid0(VALU_DEP_3) | instskip(SKIP_1) | instid1(VALU_DEP_3)
	v_perm_b32 v19, v23, v19, 0x5040100
	s_wait_alu 0xf1ff
	v_cndmask_b32_e64 v20, 0, v20, s0
	v_cmp_gt_i32_e64 s0, s5, v61
	s_wait_alu 0xf1ff
	s_delay_alu instid0(VALU_DEP_1) | instskip(NEXT) | instid1(VALU_DEP_1)
	v_cndmask_b32_e64 v22, 0, v22, s0
	v_perm_b32 v20, v22, v20, 0x5040100
	s_or_b32 exec_lo, exec_lo, s6
	global_load_b128 v[21:24], v[9:10], off offset:2048
	s_and_saveexec_b32 s6, vcc_lo
	s_cbranch_execz .LBB181_34
.LBB181_41:                             ;   in Loop: Header=BB181_29 Depth=1
	v_cmp_gt_i32_e64 s0, s25, v59
	s_wait_loadcnt 0x0
	v_lshrrev_b32_e32 v11, 16, v21
	v_lshrrev_b32_e32 v34, 16, v24
	s_wait_alu 0xf1ff
	v_cndmask_b32_e64 v12, 0, v21, s0
	v_cmp_gt_i32_e64 s0, s5, v66
	v_lshrrev_b32_e32 v21, 16, v22
	s_wait_alu 0xf1ff
	s_delay_alu instid0(VALU_DEP_2) | instskip(SKIP_2) | instid1(VALU_DEP_1)
	v_cndmask_b32_e64 v11, 0, v11, s0
	v_cmp_gt_i32_e64 s0, s25, v67
	s_wait_alu 0xf1ff
	v_cndmask_b32_e64 v22, 0, v22, s0
	v_cmp_gt_i32_e64 s0, s5, v65
	s_wait_alu 0xf1ff
	s_delay_alu instid0(VALU_DEP_1) | instskip(SKIP_2) | instid1(VALU_DEP_3)
	v_cndmask_b32_e64 v33, 0, v21, s0
	v_cmp_gt_i32_e64 s0, s25, v64
	v_lshrrev_b32_e32 v21, 16, v23
	v_perm_b32 v22, v33, v22, 0x5040100
	s_wait_alu 0xf1ff
	s_delay_alu instid0(VALU_DEP_3) | instskip(SKIP_2) | instid1(VALU_DEP_1)
	v_cndmask_b32_e64 v23, 0, v23, s0
	v_cmp_gt_i32_e64 s0, s5, v62
	s_wait_alu 0xf1ff
	v_cndmask_b32_e64 v35, 0, v21, s0
	v_cmp_gt_i32_e64 s0, s25, v63
	v_perm_b32 v21, v11, v12, 0x5040100
	s_delay_alu instid0(VALU_DEP_3) | instskip(SKIP_1) | instid1(VALU_DEP_3)
	v_perm_b32 v23, v35, v23, 0x5040100
	s_wait_alu 0xf1ff
	v_cndmask_b32_e64 v24, 0, v24, s0
	v_cmp_gt_i32_e64 s0, s5, v61
	s_wait_alu 0xf1ff
	s_delay_alu instid0(VALU_DEP_1) | instskip(NEXT) | instid1(VALU_DEP_1)
	v_cndmask_b32_e64 v34, 0, v34, s0
	v_perm_b32 v24, v34, v24, 0x5040100
	s_or_b32 exec_lo, exec_lo, s6
	global_load_b128 v[33:36], v[9:10], off offset:2560
	s_and_saveexec_b32 s6, vcc_lo
	s_cbranch_execz .LBB181_35
.LBB181_42:                             ;   in Loop: Header=BB181_29 Depth=1
	v_cmp_gt_i32_e64 s0, s25, v59
	s_wait_loadcnt 0x0
	v_lshrrev_b32_e32 v11, 16, v33
	v_lshrrev_b32_e32 v38, 16, v36
	s_wait_alu 0xf1ff
	v_cndmask_b32_e64 v12, 0, v33, s0
	v_cmp_gt_i32_e64 s0, s5, v66
	v_lshrrev_b32_e32 v33, 16, v34
	s_wait_alu 0xf1ff
	s_delay_alu instid0(VALU_DEP_2) | instskip(SKIP_2) | instid1(VALU_DEP_1)
	v_cndmask_b32_e64 v11, 0, v11, s0
	v_cmp_gt_i32_e64 s0, s25, v67
	s_wait_alu 0xf1ff
	v_cndmask_b32_e64 v34, 0, v34, s0
	v_cmp_gt_i32_e64 s0, s5, v65
	s_wait_alu 0xf1ff
	s_delay_alu instid0(VALU_DEP_1) | instskip(SKIP_2) | instid1(VALU_DEP_3)
	v_cndmask_b32_e64 v37, 0, v33, s0
	v_cmp_gt_i32_e64 s0, s25, v64
	v_lshrrev_b32_e32 v33, 16, v35
	v_perm_b32 v34, v37, v34, 0x5040100
	s_wait_alu 0xf1ff
	s_delay_alu instid0(VALU_DEP_3) | instskip(SKIP_2) | instid1(VALU_DEP_1)
	v_cndmask_b32_e64 v35, 0, v35, s0
	v_cmp_gt_i32_e64 s0, s5, v62
	s_wait_alu 0xf1ff
	v_cndmask_b32_e64 v39, 0, v33, s0
	v_cmp_gt_i32_e64 s0, s25, v63
	v_perm_b32 v33, v11, v12, 0x5040100
	s_delay_alu instid0(VALU_DEP_3) | instskip(SKIP_1) | instid1(VALU_DEP_3)
	v_perm_b32 v35, v39, v35, 0x5040100
	s_wait_alu 0xf1ff
	v_cndmask_b32_e64 v36, 0, v36, s0
	v_cmp_gt_i32_e64 s0, s5, v61
	s_wait_alu 0xf1ff
	s_delay_alu instid0(VALU_DEP_1) | instskip(NEXT) | instid1(VALU_DEP_1)
	v_cndmask_b32_e64 v38, 0, v38, s0
	v_perm_b32 v36, v38, v36, 0x5040100
	s_or_b32 exec_lo, exec_lo, s6
	global_load_b128 v[37:40], v[9:10], off offset:3072
	s_and_saveexec_b32 s6, vcc_lo
	s_cbranch_execz .LBB181_36
.LBB181_43:                             ;   in Loop: Header=BB181_29 Depth=1
	v_cmp_gt_i32_e64 s0, s25, v59
	s_wait_loadcnt 0x0
	v_lshrrev_b32_e32 v11, 16, v37
	v_lshrrev_b32_e32 v69, 16, v40
	s_wait_alu 0xf1ff
	v_cndmask_b32_e64 v12, 0, v37, s0
	v_cmp_gt_i32_e64 s0, s5, v66
	v_lshrrev_b32_e32 v37, 16, v38
	s_wait_alu 0xf1ff
	s_delay_alu instid0(VALU_DEP_2) | instskip(SKIP_2) | instid1(VALU_DEP_1)
	v_cndmask_b32_e64 v11, 0, v11, s0
	v_cmp_gt_i32_e64 s0, s25, v67
	s_wait_alu 0xf1ff
	v_cndmask_b32_e64 v38, 0, v38, s0
	v_cmp_gt_i32_e64 s0, s5, v65
	s_wait_alu 0xf1ff
	s_delay_alu instid0(VALU_DEP_1) | instskip(SKIP_2) | instid1(VALU_DEP_3)
	v_cndmask_b32_e64 v68, 0, v37, s0
	v_cmp_gt_i32_e64 s0, s25, v64
	v_lshrrev_b32_e32 v37, 16, v39
	v_perm_b32 v38, v68, v38, 0x5040100
	s_wait_alu 0xf1ff
	s_delay_alu instid0(VALU_DEP_3) | instskip(SKIP_2) | instid1(VALU_DEP_1)
	v_cndmask_b32_e64 v39, 0, v39, s0
	v_cmp_gt_i32_e64 s0, s5, v62
	s_wait_alu 0xf1ff
	v_cndmask_b32_e64 v70, 0, v37, s0
	v_cmp_gt_i32_e64 s0, s25, v63
	v_perm_b32 v37, v11, v12, 0x5040100
	s_delay_alu instid0(VALU_DEP_3) | instskip(SKIP_1) | instid1(VALU_DEP_3)
	v_perm_b32 v39, v70, v39, 0x5040100
	s_wait_alu 0xf1ff
	v_cndmask_b32_e64 v40, 0, v40, s0
	v_cmp_gt_i32_e64 s0, s5, v61
	s_wait_alu 0xf1ff
	s_delay_alu instid0(VALU_DEP_1) | instskip(NEXT) | instid1(VALU_DEP_1)
	v_cndmask_b32_e64 v69, 0, v69, s0
	v_perm_b32 v40, v69, v40, 0x5040100
	s_or_b32 exec_lo, exec_lo, s6
	global_load_b128 v[9:12], v[9:10], off offset:3584
	s_and_saveexec_b32 s0, vcc_lo
	s_cbranch_execz .LBB181_28
.LBB181_44:                             ;   in Loop: Header=BB181_29 Depth=1
	v_cmp_gt_i32_e32 vcc_lo, s25, v59
	s_wait_loadcnt 0x0
	v_lshrrev_b32_e32 v68, 16, v9
	v_lshrrev_b32_e32 v69, 16, v10
	s_wait_alu 0xfffd
	v_cndmask_b32_e32 v9, 0, v9, vcc_lo
	v_cmp_gt_i32_e32 vcc_lo, s5, v66
	s_wait_alu 0xfffd
	v_cndmask_b32_e32 v66, 0, v68, vcc_lo
	v_cmp_gt_i32_e32 vcc_lo, s25, v67
	v_lshrrev_b32_e32 v67, 16, v11
	s_delay_alu instid0(VALU_DEP_3)
	v_perm_b32 v9, v66, v9, 0x5040100
	s_wait_alu 0xfffd
	v_cndmask_b32_e32 v10, 0, v10, vcc_lo
	v_cmp_gt_i32_e32 vcc_lo, s5, v65
	s_wait_alu 0xfffd
	v_cndmask_b32_e32 v65, 0, v69, vcc_lo
	v_cmp_gt_i32_e32 vcc_lo, s25, v64
	v_lshrrev_b32_e32 v64, 16, v12
	s_delay_alu instid0(VALU_DEP_3)
	v_perm_b32 v10, v65, v10, 0x5040100
	s_wait_alu 0xfffd
	v_cndmask_b32_e32 v11, 0, v11, vcc_lo
	v_cmp_gt_i32_e32 vcc_lo, s5, v62
	s_wait_alu 0xfffd
	v_cndmask_b32_e32 v62, 0, v67, vcc_lo
	v_cmp_gt_i32_e32 vcc_lo, s25, v63
	;; [unrolled: 3-line block ×3, first 2 shown]
	s_wait_alu 0xfffd
	v_cndmask_b32_e32 v61, 0, v64, vcc_lo
	v_perm_b32 v11, v62, v11, 0x5040100
	s_delay_alu instid0(VALU_DEP_2)
	v_perm_b32 v12, v61, v12, 0x5040100
	s_branch .LBB181_28
.LBB181_45:
	s_or_b32 exec_lo, exec_lo, s4
.LBB181_46:
	s_wait_alu 0xfffe
	s_or_b32 exec_lo, exec_lo, s1
	ds_bpermute_b32 v1, v47, v54
	ds_bpermute_b32 v2, v47, v56
	;; [unrolled: 1-line block ×8, first 2 shown]
	v_lshrrev_b32_e32 v9, 2, v44
	s_mov_b32 s0, exec_lo
	s_wait_storecnt 0x0
	s_wait_loadcnt_dscnt 0x0
	s_barrier_signal -1
	s_barrier_wait -1
	global_inv scope:SCOPE_SE
	v_dual_add_f32 v1, v54, v1 :: v_dual_add_f32 v2, v56, v2
	v_dual_add_f32 v3, v55, v3 :: v_dual_add_f32 v4, v53, v4
	;; [unrolled: 1-line block ×4, first 2 shown]
	ds_bpermute_b32 v5, v46, v1
	ds_bpermute_b32 v6, v46, v2
	;; [unrolled: 1-line block ×8, first 2 shown]
	v_and_b32_e32 v7, 28, v44
	v_lshlrev_b32_e32 v11, 8, v43
	v_and_b32_e32 v22, 0x3c3, v0
	s_wait_dscnt 0x7
	v_add_f32_e32 v8, v1, v5
	s_wait_dscnt 0x6
	v_dual_add_f32 v7, v2, v6 :: v_dual_add_nc_u32 v10, 0xa0, v7
	s_wait_dscnt 0x4
	v_dual_add_f32 v6, v3, v16 :: v_dual_add_f32 v5, v4, v17
	s_wait_dscnt 0x2
	v_dual_add_f32 v4, v12, v18 :: v_dual_add_f32 v3, v13, v19
	;; [unrolled: 2-line block ×3, first 2 shown]
	v_cmpx_eq_u32_e32 64, v22
	s_cbranch_execz .LBB181_48
; %bb.47:
	v_add_nc_u32_e32 v12, v10, v11
	s_delay_alu instid0(VALU_DEP_1)
	v_add_nc_u32_e32 v13, 0xfffffe00, v12
	v_add_nc_u32_e32 v14, 0xfffffe20, v12
	;; [unrolled: 1-line block ×8, first 2 shown]
	ds_store_b32 v13, v8
	ds_store_b32 v14, v7
	;; [unrolled: 1-line block ×8, first 2 shown]
.LBB181_48:
	s_wait_alu 0xfffe
	s_or_b32 exec_lo, exec_lo, s0
	v_lshlrev_b32_e32 v9, 2, v9
	s_mov_b32 s1, exec_lo
	v_cmp_eq_u32_e32 vcc_lo, 0, v48
	s_wait_loadcnt_dscnt 0x0
	s_barrier_signal -1
	v_add3_u32 v9, 0xa0, v11, v9
	s_barrier_wait -1
	global_inv scope:SCOPE_SE
	v_cmpx_gt_u32_e32 64, v0
	s_cbranch_execz .LBB181_59
; %bb.49:
	s_and_saveexec_b32 s0, vcc_lo
	s_cbranch_execnz .LBB181_75
; %bb.50:
	s_wait_alu 0xfffe
	s_or_b32 exec_lo, exec_lo, s0
	s_and_saveexec_b32 s0, vcc_lo
	s_cbranch_execnz .LBB181_76
.LBB181_51:
	s_wait_alu 0xfffe
	s_or_b32 exec_lo, exec_lo, s0
	s_and_saveexec_b32 s0, vcc_lo
	s_cbranch_execnz .LBB181_77
.LBB181_52:
	s_wait_alu 0xfffe
	s_or_b32 exec_lo, exec_lo, s0
	s_and_saveexec_b32 s0, vcc_lo
	s_cbranch_execnz .LBB181_78
.LBB181_53:
	s_wait_alu 0xfffe
	s_or_b32 exec_lo, exec_lo, s0
	s_and_saveexec_b32 s0, vcc_lo
	s_cbranch_execnz .LBB181_79
.LBB181_54:
	s_wait_alu 0xfffe
	s_or_b32 exec_lo, exec_lo, s0
	s_and_saveexec_b32 s0, vcc_lo
	s_cbranch_execnz .LBB181_80
.LBB181_55:
	s_wait_alu 0xfffe
	s_or_b32 exec_lo, exec_lo, s0
	s_and_saveexec_b32 s0, vcc_lo
	s_cbranch_execnz .LBB181_81
.LBB181_56:
	s_wait_alu 0xfffe
	s_or_b32 exec_lo, exec_lo, s0
	s_and_saveexec_b32 s0, vcc_lo
	s_cbranch_execz .LBB181_58
.LBB181_57:
	ds_load_b32 v11, v9 offset:224
	s_wait_dscnt 0x0
	v_add_f32_e32 v1, v1, v11
.LBB181_58:
	s_wait_alu 0xfffe
	s_or_b32 exec_lo, exec_lo, s0
.LBB181_59:
	s_wait_alu 0xfffe
	s_or_b32 exec_lo, exec_lo, s1
	v_and_b32_e32 v11, 0x3e3, v0
	s_mov_b32 s1, exec_lo
	s_wait_loadcnt 0x0
	s_barrier_signal -1
	s_barrier_wait -1
	global_inv scope:SCOPE_SE
	v_cmpx_eq_u32_e32 32, v11
	s_cbranch_execz .LBB181_61
; %bb.60:
	ds_store_2addr_b32 v10, v8, v7 offset1:8
	ds_store_2addr_b32 v10, v6, v5 offset0:16 offset1:24
	ds_store_2addr_b32 v10, v4, v3 offset0:32 offset1:40
	;; [unrolled: 1-line block ×3, first 2 shown]
.LBB181_61:
	s_wait_alu 0xfffe
	s_or_b32 exec_lo, exec_lo, s1
	s_delay_alu instid0(SALU_CYCLE_1)
	s_mov_b32 s1, exec_lo
	s_wait_loadcnt_dscnt 0x0
	s_barrier_signal -1
	s_barrier_wait -1
	global_inv scope:SCOPE_SE
	v_cmpx_gt_u32_e32 32, v0
	s_cbranch_execz .LBB181_72
; %bb.62:
	s_and_saveexec_b32 s0, vcc_lo
	s_cbranch_execnz .LBB181_82
; %bb.63:
	s_wait_alu 0xfffe
	s_or_b32 exec_lo, exec_lo, s0
	s_and_saveexec_b32 s0, vcc_lo
	s_cbranch_execnz .LBB181_83
.LBB181_64:
	s_wait_alu 0xfffe
	s_or_b32 exec_lo, exec_lo, s0
	s_and_saveexec_b32 s0, vcc_lo
	s_cbranch_execnz .LBB181_84
.LBB181_65:
	s_wait_alu 0xfffe
	s_or_b32 exec_lo, exec_lo, s0
	s_and_saveexec_b32 s0, vcc_lo
	s_cbranch_execnz .LBB181_85
.LBB181_66:
	s_wait_alu 0xfffe
	s_or_b32 exec_lo, exec_lo, s0
	s_and_saveexec_b32 s0, vcc_lo
	s_cbranch_execnz .LBB181_86
.LBB181_67:
	s_wait_alu 0xfffe
	s_or_b32 exec_lo, exec_lo, s0
	s_and_saveexec_b32 s0, vcc_lo
	s_cbranch_execnz .LBB181_87
.LBB181_68:
	s_wait_alu 0xfffe
	s_or_b32 exec_lo, exec_lo, s0
	s_and_saveexec_b32 s0, vcc_lo
	s_cbranch_execnz .LBB181_88
.LBB181_69:
	s_wait_alu 0xfffe
	s_or_b32 exec_lo, exec_lo, s0
	s_and_saveexec_b32 s0, vcc_lo
	s_cbranch_execz .LBB181_71
.LBB181_70:
	ds_load_b32 v9, v9 offset:224
	s_wait_dscnt 0x0
	v_add_f32_e32 v1, v1, v9
.LBB181_71:
	s_wait_alu 0xfffe
	s_or_b32 exec_lo, exec_lo, s0
.LBB181_72:
	s_wait_alu 0xfffe
	s_or_b32 exec_lo, exec_lo, s1
	s_mov_b32 s1, 0
	s_wait_loadcnt 0x0
	s_barrier_signal -1
	s_barrier_wait -1
	global_inv scope:SCOPE_SE
	s_mov_b32 s0, exec_lo
	v_cmpx_eq_u32_e32 0, v11
	s_cbranch_execz .LBB181_74
; %bb.73:
	v_bfe_u32 v9, v8, 16, 1
	v_bfe_u32 v10, v7, 16, 1
	v_or_b32_e32 v11, 0x400000, v8
	v_cmp_u_f32_e32 vcc_lo, v8, v8
	v_or_b32_e32 v12, 0x400000, v7
	v_add3_u32 v9, v9, v8, 0x7fff
	v_add3_u32 v10, v10, v7, 0x7fff
	v_bfe_u32 v13, v6, 16, 1
	s_lshl_b32 s2, s14, 6
	s_wait_kmcnt 0x0
	s_mul_i32 s4, s8, s12
	s_wait_alu 0xfffd
	v_cndmask_b32_e32 v8, v9, v11, vcc_lo
	v_cmp_u_f32_e32 vcc_lo, v7, v7
	v_bfe_u32 v9, v5, 16, 1
	v_or_b32_e32 v11, 0x400000, v6
	s_wait_alu 0xfffe
	s_ashr_i32 s3, s2, 31
	s_ashr_i32 s5, s4, 31
	s_wait_alu 0xfffd
	v_cndmask_b32_e32 v7, v10, v12, vcc_lo
	v_add3_u32 v10, v13, v6, 0x7fff
	v_cmp_u_f32_e32 vcc_lo, v6, v6
	v_bfe_u32 v12, v4, 16, 1
	v_add3_u32 v9, v9, v5, 0x7fff
	v_or_b32_e32 v13, 0x400000, v5
	s_wait_alu 0xfffe
	s_lshl_b64 s[2:3], s[2:3], 1
	s_wait_alu 0xfffd
	v_cndmask_b32_e32 v6, v10, v11, vcc_lo
	v_cmp_u_f32_e32 vcc_lo, v5, v5
	v_add3_u32 v10, v12, v4, 0x7fff
	v_or_b32_e32 v11, 0x400000, v4
	v_bfe_u32 v12, v2, 16, 1
	s_lshl_b64 s[4:5], s[4:5], 1
	s_wait_alu 0xfffd
	v_cndmask_b32_e32 v5, v9, v13, vcc_lo
	v_bfe_u32 v9, v3, 16, 1
	v_cmp_u_f32_e32 vcc_lo, v4, v4
	v_add3_u32 v12, v12, v2, 0x7fff
	v_or_b32_e32 v13, 0x400000, v2
	s_wait_alu 0xfffe
	s_add_nc_u64 s[2:3], s[10:11], s[2:3]
	v_add3_u32 v9, v9, v3, 0x7fff
	s_wait_alu 0xfffd
	v_cndmask_b32_e32 v4, v10, v11, vcc_lo
	v_or_b32_e32 v11, 0x400000, v3
	v_cmp_u_f32_e32 vcc_lo, v3, v3
	v_bfe_u32 v10, v1, 16, 1
	v_lshrrev_b32_e32 v0, 1, v0
	v_or_b32_e32 v14, 0x400000, v1
	s_wait_alu 0xfffe
	s_add_nc_u64 s[2:3], s[2:3], s[4:5]
	s_wait_alu 0xfffd
	v_cndmask_b32_e32 v3, v9, v11, vcc_lo
	v_cmp_u_f32_e32 vcc_lo, v2, v2
	v_add3_u32 v10, v10, v1, 0x7fff
	s_lshl_b32 s0, s24, 7
	s_wait_alu 0xfffe
	s_add_nc_u64 s[0:1], s[2:3], s[0:1]
	s_wait_alu 0xfffd
	v_cndmask_b32_e32 v2, v12, v13, vcc_lo
	v_cmp_u_f32_e32 vcc_lo, v1, v1
	s_wait_alu 0xfffd
	v_cndmask_b32_e32 v1, v10, v14, vcc_lo
	s_clause 0x7
	global_store_d16_hi_b16 v0, v8, s[0:1]
	global_store_d16_hi_b16 v0, v7, s[0:1] offset:16
	global_store_d16_hi_b16 v0, v6, s[0:1] offset:32
	;; [unrolled: 1-line block ×7, first 2 shown]
.LBB181_74:
	s_nop 0
	s_sendmsg sendmsg(MSG_DEALLOC_VGPRS)
	s_endpgm
.LBB181_75:
	ds_load_b32 v11, v9
	s_wait_dscnt 0x0
	v_add_f32_e32 v8, v8, v11
	s_wait_alu 0xfffe
	s_or_b32 exec_lo, exec_lo, s0
	s_and_saveexec_b32 s0, vcc_lo
	s_cbranch_execz .LBB181_51
.LBB181_76:
	ds_load_b32 v11, v9 offset:32
	s_wait_dscnt 0x0
	v_add_f32_e32 v7, v7, v11
	s_wait_alu 0xfffe
	s_or_b32 exec_lo, exec_lo, s0
	s_and_saveexec_b32 s0, vcc_lo
	s_cbranch_execz .LBB181_52
.LBB181_77:
	ds_load_b32 v11, v9 offset:64
	s_wait_dscnt 0x0
	v_add_f32_e32 v6, v6, v11
	s_wait_alu 0xfffe
	s_or_b32 exec_lo, exec_lo, s0
	s_and_saveexec_b32 s0, vcc_lo
	s_cbranch_execz .LBB181_53
.LBB181_78:
	ds_load_b32 v11, v9 offset:96
	s_wait_dscnt 0x0
	v_add_f32_e32 v5, v5, v11
	s_wait_alu 0xfffe
	s_or_b32 exec_lo, exec_lo, s0
	s_and_saveexec_b32 s0, vcc_lo
	s_cbranch_execz .LBB181_54
.LBB181_79:
	ds_load_b32 v11, v9 offset:128
	s_wait_dscnt 0x0
	v_add_f32_e32 v4, v4, v11
	s_wait_alu 0xfffe
	s_or_b32 exec_lo, exec_lo, s0
	s_and_saveexec_b32 s0, vcc_lo
	s_cbranch_execz .LBB181_55
.LBB181_80:
	ds_load_b32 v11, v9 offset:160
	s_wait_dscnt 0x0
	v_add_f32_e32 v3, v3, v11
	s_wait_alu 0xfffe
	s_or_b32 exec_lo, exec_lo, s0
	s_and_saveexec_b32 s0, vcc_lo
	s_cbranch_execz .LBB181_56
.LBB181_81:
	ds_load_b32 v11, v9 offset:192
	s_wait_dscnt 0x0
	v_add_f32_e32 v2, v2, v11
	s_wait_alu 0xfffe
	s_or_b32 exec_lo, exec_lo, s0
	s_and_saveexec_b32 s0, vcc_lo
	s_cbranch_execnz .LBB181_57
	s_branch .LBB181_58
.LBB181_82:
	ds_load_b32 v10, v9
	s_wait_dscnt 0x0
	v_add_f32_e32 v8, v8, v10
	s_wait_alu 0xfffe
	s_or_b32 exec_lo, exec_lo, s0
	s_and_saveexec_b32 s0, vcc_lo
	s_cbranch_execz .LBB181_64
.LBB181_83:
	ds_load_b32 v10, v9 offset:32
	s_wait_dscnt 0x0
	v_add_f32_e32 v7, v7, v10
	s_wait_alu 0xfffe
	s_or_b32 exec_lo, exec_lo, s0
	s_and_saveexec_b32 s0, vcc_lo
	s_cbranch_execz .LBB181_65
.LBB181_84:
	ds_load_b32 v10, v9 offset:64
	s_wait_dscnt 0x0
	v_add_f32_e32 v6, v6, v10
	s_wait_alu 0xfffe
	s_or_b32 exec_lo, exec_lo, s0
	s_and_saveexec_b32 s0, vcc_lo
	s_cbranch_execz .LBB181_66
.LBB181_85:
	ds_load_b32 v10, v9 offset:96
	s_wait_dscnt 0x0
	v_add_f32_e32 v5, v5, v10
	s_wait_alu 0xfffe
	s_or_b32 exec_lo, exec_lo, s0
	s_and_saveexec_b32 s0, vcc_lo
	s_cbranch_execz .LBB181_67
.LBB181_86:
	ds_load_b32 v10, v9 offset:128
	s_wait_dscnt 0x0
	v_add_f32_e32 v4, v4, v10
	s_wait_alu 0xfffe
	s_or_b32 exec_lo, exec_lo, s0
	s_and_saveexec_b32 s0, vcc_lo
	s_cbranch_execz .LBB181_68
.LBB181_87:
	ds_load_b32 v10, v9 offset:160
	s_wait_dscnt 0x0
	v_add_f32_e32 v3, v3, v10
	s_wait_alu 0xfffe
	s_or_b32 exec_lo, exec_lo, s0
	s_and_saveexec_b32 s0, vcc_lo
	s_cbranch_execz .LBB181_69
.LBB181_88:
	ds_load_b32 v10, v9 offset:192
	s_wait_dscnt 0x0
	v_add_f32_e32 v2, v2, v10
	s_wait_alu 0xfffe
	s_or_b32 exec_lo, exec_lo, s0
	s_and_saveexec_b32 s0, vcc_lo
	s_cbranch_execnz .LBB181_70
	s_branch .LBB181_71
	.section	.rodata,"a",@progbits
	.p2align	6, 0x0
	.amdhsa_kernel _ZN4vllm25paged_attention_v2_kernelI14__hip_bfloat16S1_Li64ELi32ELi128ELNS_18Fp8KVCacheDataTypeE0ELb0ELi512EEEvPfS3_PT_PKS4_PKT0_SA_ifPKiSC_iPKfiiiSE_SE_iiiii
		.amdhsa_group_segment_fixed_size 160
		.amdhsa_private_segment_fixed_size 0
		.amdhsa_kernarg_size 400
		.amdhsa_user_sgpr_count 2
		.amdhsa_user_sgpr_dispatch_ptr 0
		.amdhsa_user_sgpr_queue_ptr 0
		.amdhsa_user_sgpr_kernarg_segment_ptr 1
		.amdhsa_user_sgpr_dispatch_id 0
		.amdhsa_user_sgpr_private_segment_size 0
		.amdhsa_wavefront_size32 1
		.amdhsa_uses_dynamic_stack 0
		.amdhsa_enable_private_segment 0
		.amdhsa_system_sgpr_workgroup_id_x 1
		.amdhsa_system_sgpr_workgroup_id_y 1
		.amdhsa_system_sgpr_workgroup_id_z 1
		.amdhsa_system_sgpr_workgroup_info 0
		.amdhsa_system_vgpr_workitem_id 0
		.amdhsa_next_free_vgpr 146
		.amdhsa_next_free_sgpr 32
		.amdhsa_reserve_vcc 1
		.amdhsa_float_round_mode_32 0
		.amdhsa_float_round_mode_16_64 0
		.amdhsa_float_denorm_mode_32 3
		.amdhsa_float_denorm_mode_16_64 3
		.amdhsa_fp16_overflow 0
		.amdhsa_workgroup_processor_mode 1
		.amdhsa_memory_ordered 1
		.amdhsa_forward_progress 1
		.amdhsa_inst_pref_size 100
		.amdhsa_round_robin_scheduling 0
		.amdhsa_exception_fp_ieee_invalid_op 0
		.amdhsa_exception_fp_denorm_src 0
		.amdhsa_exception_fp_ieee_div_zero 0
		.amdhsa_exception_fp_ieee_overflow 0
		.amdhsa_exception_fp_ieee_underflow 0
		.amdhsa_exception_fp_ieee_inexact 0
		.amdhsa_exception_int_div_zero 0
	.end_amdhsa_kernel
	.section	.text._ZN4vllm25paged_attention_v2_kernelI14__hip_bfloat16S1_Li64ELi32ELi128ELNS_18Fp8KVCacheDataTypeE0ELb0ELi512EEEvPfS3_PT_PKS4_PKT0_SA_ifPKiSC_iPKfiiiSE_SE_iiiii,"axG",@progbits,_ZN4vllm25paged_attention_v2_kernelI14__hip_bfloat16S1_Li64ELi32ELi128ELNS_18Fp8KVCacheDataTypeE0ELb0ELi512EEEvPfS3_PT_PKS4_PKT0_SA_ifPKiSC_iPKfiiiSE_SE_iiiii,comdat
.Lfunc_end181:
	.size	_ZN4vllm25paged_attention_v2_kernelI14__hip_bfloat16S1_Li64ELi32ELi128ELNS_18Fp8KVCacheDataTypeE0ELb0ELi512EEEvPfS3_PT_PKS4_PKT0_SA_ifPKiSC_iPKfiiiSE_SE_iiiii, .Lfunc_end181-_ZN4vllm25paged_attention_v2_kernelI14__hip_bfloat16S1_Li64ELi32ELi128ELNS_18Fp8KVCacheDataTypeE0ELb0ELi512EEEvPfS3_PT_PKS4_PKT0_SA_ifPKiSC_iPKfiiiSE_SE_iiiii
                                        ; -- End function
	.set _ZN4vllm25paged_attention_v2_kernelI14__hip_bfloat16S1_Li64ELi32ELi128ELNS_18Fp8KVCacheDataTypeE0ELb0ELi512EEEvPfS3_PT_PKS4_PKT0_SA_ifPKiSC_iPKfiiiSE_SE_iiiii.num_vgpr, 146
	.set _ZN4vllm25paged_attention_v2_kernelI14__hip_bfloat16S1_Li64ELi32ELi128ELNS_18Fp8KVCacheDataTypeE0ELb0ELi512EEEvPfS3_PT_PKS4_PKT0_SA_ifPKiSC_iPKfiiiSE_SE_iiiii.num_agpr, 0
	.set _ZN4vllm25paged_attention_v2_kernelI14__hip_bfloat16S1_Li64ELi32ELi128ELNS_18Fp8KVCacheDataTypeE0ELb0ELi512EEEvPfS3_PT_PKS4_PKT0_SA_ifPKiSC_iPKfiiiSE_SE_iiiii.numbered_sgpr, 32
	.set _ZN4vllm25paged_attention_v2_kernelI14__hip_bfloat16S1_Li64ELi32ELi128ELNS_18Fp8KVCacheDataTypeE0ELb0ELi512EEEvPfS3_PT_PKS4_PKT0_SA_ifPKiSC_iPKfiiiSE_SE_iiiii.num_named_barrier, 0
	.set _ZN4vllm25paged_attention_v2_kernelI14__hip_bfloat16S1_Li64ELi32ELi128ELNS_18Fp8KVCacheDataTypeE0ELb0ELi512EEEvPfS3_PT_PKS4_PKT0_SA_ifPKiSC_iPKfiiiSE_SE_iiiii.private_seg_size, 0
	.set _ZN4vllm25paged_attention_v2_kernelI14__hip_bfloat16S1_Li64ELi32ELi128ELNS_18Fp8KVCacheDataTypeE0ELb0ELi512EEEvPfS3_PT_PKS4_PKT0_SA_ifPKiSC_iPKfiiiSE_SE_iiiii.uses_vcc, 1
	.set _ZN4vllm25paged_attention_v2_kernelI14__hip_bfloat16S1_Li64ELi32ELi128ELNS_18Fp8KVCacheDataTypeE0ELb0ELi512EEEvPfS3_PT_PKS4_PKT0_SA_ifPKiSC_iPKfiiiSE_SE_iiiii.uses_flat_scratch, 0
	.set _ZN4vllm25paged_attention_v2_kernelI14__hip_bfloat16S1_Li64ELi32ELi128ELNS_18Fp8KVCacheDataTypeE0ELb0ELi512EEEvPfS3_PT_PKS4_PKT0_SA_ifPKiSC_iPKfiiiSE_SE_iiiii.has_dyn_sized_stack, 0
	.set _ZN4vllm25paged_attention_v2_kernelI14__hip_bfloat16S1_Li64ELi32ELi128ELNS_18Fp8KVCacheDataTypeE0ELb0ELi512EEEvPfS3_PT_PKS4_PKT0_SA_ifPKiSC_iPKfiiiSE_SE_iiiii.has_recursion, 0
	.set _ZN4vllm25paged_attention_v2_kernelI14__hip_bfloat16S1_Li64ELi32ELi128ELNS_18Fp8KVCacheDataTypeE0ELb0ELi512EEEvPfS3_PT_PKS4_PKT0_SA_ifPKiSC_iPKfiiiSE_SE_iiiii.has_indirect_call, 0
	.section	.AMDGPU.csdata,"",@progbits
; Kernel info:
; codeLenInByte = 12716
; TotalNumSgprs: 34
; NumVgprs: 146
; ScratchSize: 0
; MemoryBound: 0
; FloatMode: 240
; IeeeMode: 1
; LDSByteSize: 160 bytes/workgroup (compile time only)
; SGPRBlocks: 0
; VGPRBlocks: 18
; NumSGPRsForWavesPerEU: 34
; NumVGPRsForWavesPerEU: 146
; Occupancy: 9
; WaveLimiterHint : 1
; COMPUTE_PGM_RSRC2:SCRATCH_EN: 0
; COMPUTE_PGM_RSRC2:USER_SGPR: 2
; COMPUTE_PGM_RSRC2:TRAP_HANDLER: 0
; COMPUTE_PGM_RSRC2:TGID_X_EN: 1
; COMPUTE_PGM_RSRC2:TGID_Y_EN: 1
; COMPUTE_PGM_RSRC2:TGID_Z_EN: 1
; COMPUTE_PGM_RSRC2:TIDIG_COMP_CNT: 0
	.section	.text._ZN4vllm25paged_attention_v2_kernelI14__hip_bfloat16S1_Li80ELi32ELi128ELNS_18Fp8KVCacheDataTypeE0ELb0ELi512EEEvPfS3_PT_PKS4_PKT0_SA_ifPKiSC_iPKfiiiSE_SE_iiiii,"axG",@progbits,_ZN4vllm25paged_attention_v2_kernelI14__hip_bfloat16S1_Li80ELi32ELi128ELNS_18Fp8KVCacheDataTypeE0ELb0ELi512EEEvPfS3_PT_PKS4_PKT0_SA_ifPKiSC_iPKfiiiSE_SE_iiiii,comdat
	.protected	_ZN4vllm25paged_attention_v2_kernelI14__hip_bfloat16S1_Li80ELi32ELi128ELNS_18Fp8KVCacheDataTypeE0ELb0ELi512EEEvPfS3_PT_PKS4_PKT0_SA_ifPKiSC_iPKfiiiSE_SE_iiiii ; -- Begin function _ZN4vllm25paged_attention_v2_kernelI14__hip_bfloat16S1_Li80ELi32ELi128ELNS_18Fp8KVCacheDataTypeE0ELb0ELi512EEEvPfS3_PT_PKS4_PKT0_SA_ifPKiSC_iPKfiiiSE_SE_iiiii
	.globl	_ZN4vllm25paged_attention_v2_kernelI14__hip_bfloat16S1_Li80ELi32ELi128ELNS_18Fp8KVCacheDataTypeE0ELb0ELi512EEEvPfS3_PT_PKS4_PKT0_SA_ifPKiSC_iPKfiiiSE_SE_iiiii
	.p2align	8
	.type	_ZN4vllm25paged_attention_v2_kernelI14__hip_bfloat16S1_Li80ELi32ELi128ELNS_18Fp8KVCacheDataTypeE0ELb0ELi512EEEvPfS3_PT_PKS4_PKT0_SA_ifPKiSC_iPKfiiiSE_SE_iiiii,@function
_ZN4vllm25paged_attention_v2_kernelI14__hip_bfloat16S1_Li80ELi32ELi128ELNS_18Fp8KVCacheDataTypeE0ELb0ELi512EEEvPfS3_PT_PKS4_PKT0_SA_ifPKiSC_iPKfiiiSE_SE_iiiii: ; @_ZN4vllm25paged_attention_v2_kernelI14__hip_bfloat16S1_Li80ELi32ELi128ELNS_18Fp8KVCacheDataTypeE0ELb0ELi512EEEvPfS3_PT_PKS4_PKT0_SA_ifPKiSC_iPKfiiiSE_SE_iiiii
; %bb.0:
	s_load_b64 s[2:3], s[0:1], 0x40
	s_and_b32 s14, ttmp7, 0xffff
	s_lshr_b32 s24, ttmp7, 16
	s_lshl_b32 s4, s14, 2
	s_lshl_b32 s26, s24, 9
	s_wait_kmcnt 0x0
	s_load_b32 s25, s[2:3], s4 offset:0x0
	s_wait_kmcnt 0x0
	s_cmp_ge_i32 s26, s25
	s_cbranch_scc1 .LBB182_82
; %bb.1:
	s_clause 0x1
	s_load_b32 s15, s[0:1], 0x90
	s_load_b64 s[4:5], s[0:1], 0x30
	s_wait_kmcnt 0x0
	s_abs_i32 s7, s15
	s_abs_i32 s2, s4
	s_xor_b32 s4, s15, s4
	s_cvt_f32_u32 s3, s2
	s_sub_co_i32 s6, 0, s2
	s_ashr_i32 s4, s4, 31
	s_delay_alu instid0(SALU_CYCLE_1) | instskip(NEXT) | instid1(TRANS32_DEP_1)
	v_rcp_iflag_f32_e32 v1, s3
	v_readfirstlane_b32 s3, v1
	s_mul_f32 s3, s3, 0x4f7ffffe
	s_wait_alu 0xfffe
	s_delay_alu instid0(SALU_CYCLE_2) | instskip(SKIP_1) | instid1(SALU_CYCLE_2)
	s_cvt_u32_f32 s3, s3
	s_wait_alu 0xfffe
	s_mul_i32 s6, s6, s3
	s_delay_alu instid0(SALU_CYCLE_1) | instskip(NEXT) | instid1(SALU_CYCLE_1)
	s_mul_hi_u32 s6, s3, s6
	s_add_co_i32 s3, s3, s6
	s_wait_alu 0xfffe
	s_mul_hi_u32 s3, s7, s3
	s_wait_alu 0xfffe
	s_mul_i32 s6, s3, s2
	s_delay_alu instid0(SALU_CYCLE_1)
	s_sub_co_i32 s6, s7, s6
	s_add_co_i32 s7, s3, 1
	s_sub_co_i32 s8, s6, s2
	s_cmp_ge_u32 s6, s2
	s_cselect_b32 s3, s7, s3
	s_cselect_b32 s6, s8, s6
	s_wait_alu 0xfffe
	s_add_co_i32 s7, s3, 1
	s_cmp_ge_u32 s6, s2
	s_load_b64 s[8:9], s[0:1], 0x50
	s_cselect_b32 s2, s7, s3
	s_mov_b32 s3, 0
	s_wait_alu 0xfffe
	s_xor_b32 s2, s2, s4
	s_mov_b32 s11, s3
	s_wait_alu 0xfffe
	s_sub_co_i32 s12, s2, s4
	s_delay_alu instid0(SALU_CYCLE_1) | instskip(NEXT) | instid1(SALU_CYCLE_1)
	s_abs_i32 s4, s12
	s_cvt_f32_u32 s2, s4
	s_wait_alu 0xfffe
	s_delay_alu instid0(SALU_CYCLE_2) | instskip(NEXT) | instid1(TRANS32_DEP_1)
	v_rcp_iflag_f32_e32 v1, s2
	v_readfirstlane_b32 s2, v1
	s_mul_f32 s2, s2, 0x4f7ffffe
	s_wait_alu 0xfffe
	s_delay_alu instid0(SALU_CYCLE_2) | instskip(SKIP_2) | instid1(SALU_CYCLE_1)
	s_cvt_u32_f32 s6, s2
	s_sub_co_i32 s2, 0, s4
	s_wait_alu 0xfffe
	s_mul_i32 s2, s2, s6
	s_wait_alu 0xfffe
	s_mul_hi_u32 s7, s6, s2
	s_abs_i32 s2, ttmp9
	s_add_co_i32 s6, s6, s7
	s_mov_b32 s7, s3
	s_wait_kmcnt 0x0
	s_cmp_eq_u64 s[8:9], 0
	s_cbranch_scc1 .LBB182_3
; %bb.2:
	s_mov_b32 s10, ttmp9
	s_ashr_i32 s11, ttmp9, 31
	s_delay_alu instid0(SALU_CYCLE_1) | instskip(NEXT) | instid1(SALU_CYCLE_1)
	s_lshl_b64 s[10:11], s[10:11], 2
	s_add_nc_u64 s[8:9], s[8:9], s[10:11]
	s_load_b32 s11, s[8:9], 0x0
.LBB182_3:
	s_load_b96 s[8:10], s[0:1], 0x58
	v_lshlrev_b32_e32 v11, 4, v0
	s_mul_u64 s[6:7], s[2:3], s[6:7]
	s_ashr_i32 s3, ttmp9, 31
	s_ashr_i32 s6, s12, 31
	s_mul_i32 s12, ttmp9, 0x50
	s_mov_b32 s16, exec_lo
	v_cmpx_gt_u32_e32 10, v0
	s_cbranch_execz .LBB182_5
; %bb.4:
	s_load_b64 s[18:19], s[0:1], 0x18
	s_wait_kmcnt 0x0
	s_mul_i32 s20, s8, s14
	s_ashr_i32 s13, s12, 31
	s_ashr_i32 s21, s20, 31
	s_delay_alu instid0(SALU_CYCLE_1) | instskip(NEXT) | instid1(SALU_CYCLE_1)
	s_lshl_b64 s[20:21], s[20:21], 1
	s_add_nc_u64 s[18:19], s[18:19], s[20:21]
	s_lshl_b64 s[20:21], s[12:13], 1
	s_delay_alu instid0(SALU_CYCLE_1)
	s_add_nc_u64 s[18:19], s[18:19], s[20:21]
	global_load_b128 v[1:4], v11, s[18:19]
	s_wait_loadcnt 0x0
	ds_store_b128 v11, v[1:4]
.LBB182_5:
	s_or_b32 exec_lo, exec_lo, s16
	s_wait_kmcnt 0x0
	s_add_co_i32 s8, s25, 31
	s_lshl_b32 s28, s24, 4
	s_ashr_i32 s13, s8, 31
	s_mul_i32 s19, s7, s4
	s_lshr_b32 s13, s13, 27
	s_sub_co_i32 s2, s2, s19
	s_add_co_i32 s8, s8, s13
	s_add_co_i32 s13, s28, 16
	s_ashr_i32 s27, s8, 5
	s_clause 0x2
	s_load_b64 s[16:17], s[0:1], 0x38
	s_load_b32 s8, s[0:1], 0x98
	s_load_b32 s18, s[0:1], 0x48
	s_min_i32 s13, s13, s27
	s_xor_b32 s3, s3, s6
	s_add_co_i32 s6, s7, 1
	s_sub_co_i32 s19, s2, s4
	s_cmp_ge_u32 s2, s4
	v_lshrrev_b32_e32 v51, 5, v0
	s_cselect_b32 s6, s6, s7
	s_cselect_b32 s2, s19, s2
	s_add_co_i32 s7, s6, 1
	s_wait_alu 0xfffe
	s_cmp_ge_u32 s2, s4
	v_and_b32_e32 v52, 31, v0
	v_dual_mov_b32 v84, 0xff7fffff :: v_dual_add_nc_u32 v53, s28, v51
	s_cselect_b32 s2, s7, s6
	v_lshlrev_b32_e32 v13, 5, v51
	s_wait_alu 0xfffe
	s_xor_b32 s2, s2, s3
	v_lshlrev_b32_e32 v14, 2, v52
	s_wait_alu 0xfffe
	s_sub_co_i32 s3, s2, s3
	v_cmp_gt_i32_e64 s2, s13, v53
	v_lshlrev_b32_e32 v12, 2, v53
	s_wait_kmcnt 0x0
	s_mul_i32 s18, s18, s14
	s_wait_alu 0xfffe
	s_mul_i32 s20, s3, s10
	s_ashr_i32 s19, s18, 31
	s_wait_dscnt 0x0
	s_barrier_signal -1
	s_barrier_wait -1
	global_inv scope:SCOPE_SE
	s_and_saveexec_b32 s6, s2
	s_cbranch_execz .LBB182_9
; %bb.6:
	s_load_b64 s[22:23], s[0:1], 0x20
	v_dual_mov_b32 v9, 0 :: v_dual_lshlrev_b32 v10, 4, v52
	s_ashr_i32 s21, s20, 31
	v_add3_u32 v101, s26, v13, v52
	ds_load_b128 v[1:4], v9
	ds_load_b128 v[5:8], v9 offset:16
	ds_load_b128 v[69:72], v9 offset:32
	;; [unrolled: 1-line block ×9, first 2 shown]
	s_lshl_b64 s[30:31], s[20:21], 1
	s_cmp_neq_f32 s11, 0
	s_mov_b32 s10, s9
	s_mov_b32 s7, 0
	v_mov_b32_e32 v103, v53
	s_cselect_b32 vcc_lo, -1, 0
	s_sub_co_i32 s21, 1, s25
	s_wait_kmcnt 0x0
	s_add_nc_u64 s[22:23], s[22:23], s[30:31]
	s_delay_alu instid0(SALU_CYCLE_1)
	v_add_co_u32 v15, s3, s22, v10
	s_wait_alu 0xf1ff
	v_add_co_ci_u32_e64 v16, null, s23, 0, s3
	s_lshl_b64 s[22:23], s[18:19], 2
	s_wait_dscnt 0x9
	v_and_b32_e32 v17, 0xffff0000, v1
	v_lshlrev_b32_e32 v18, 16, v1
	v_lshl_or_b32 v1, v51, 7, v14
	s_wait_alu 0xfffe
	s_add_nc_u64 s[22:23], s[16:17], s[22:23]
	s_wait_dscnt 0x8
	v_and_b32_e32 v19, 0xffff0000, v5
	s_wait_alu 0xfffe
	v_add_co_u32 v9, s3, s22, v12
	v_lshlrev_b32_e32 v20, 16, v5
	s_wait_dscnt 0x7
	v_and_b32_e32 v21, 0xffff0000, v69
	v_lshlrev_b32_e32 v22, 16, v69
	s_wait_dscnt 0x6
	v_and_b32_e32 v23, 0xffff0000, v73
	;; [unrolled: 3-line block ×7, first 2 shown]
	v_lshlrev_b32_e32 v34, 16, v93
	v_and_b32_e32 v35, 0xffff0000, v2
	v_lshlrev_b32_e32 v36, 16, v2
	v_and_b32_e32 v37, 0xffff0000, v6
	;; [unrolled: 2-line block ×13, first 2 shown]
	v_and_b32_e32 v63, 0xffff0000, v4
	v_lshlrev_b32_e32 v64, 16, v4
	v_lshlrev_b32_e32 v65, 16, v75
	v_and_b32_e32 v66, 0xffff0000, v79
	v_and_b32_e32 v67, 0xffff0000, v8
	v_lshlrev_b32_e32 v68, 16, v8
	v_lshlrev_b32_e32 v69, 16, v79
	v_and_b32_e32 v70, 0xffff0000, v83
	;; [unrolled: 4-line block ×6, first 2 shown]
	v_lshlrev_b32_e32 v88, 16, v88
	v_and_b32_e32 v89, 0xffff0000, v92
	v_lshlrev_b32_e32 v90, 16, v92
	v_and_b32_e32 v91, 0xffff0000, v96
	v_lshlrev_b32_e32 v92, 16, v96
	s_wait_dscnt 0x0
	v_and_b32_e32 v93, 0xffff0000, v97
	v_lshlrev_b32_e32 v94, 16, v97
	v_and_b32_e32 v95, 0xffff0000, v98
	v_lshlrev_b32_e32 v96, 16, v98
	;; [unrolled: 2-line block ×4, first 2 shown]
	v_add_nc_u32_e32 v102, 0xc0, v1
	s_wait_alu 0xf1ff
	v_add_co_ci_u32_e64 v10, null, s23, 0, s3
	v_mov_b32_e32 v84, 0xff7fffff
.LBB182_7:                              ; =>This Inner Loop Header: Depth=1
	global_load_b32 v1, v[9:10], off
	v_dual_max_num_f32 v137, v84, v84 :: v_dual_add_nc_u32 v136, s21, v101
	v_add_nc_u32_e32 v103, 4, v103
	s_delay_alu instid0(VALU_DEP_2) | instskip(NEXT) | instid1(VALU_DEP_2)
	v_cvt_f32_i32_e32 v136, v136
	v_cmp_le_i32_e64 s4, s13, v103
	s_or_b32 s7, s4, s7
	s_wait_loadcnt 0x0
	v_mad_co_i64_i32 v[1:2], null, v1, s10, 0
	s_delay_alu instid0(VALU_DEP_1) | instskip(NEXT) | instid1(VALU_DEP_1)
	v_lshlrev_b64_e32 v[1:2], 1, v[1:2]
	v_add_co_u32 v132, s3, v15, v1
	s_wait_alu 0xf1ff
	s_delay_alu instid0(VALU_DEP_2)
	v_add_co_ci_u32_e64 v133, null, v16, v2, s3
	v_add_co_u32 v9, s3, v9, 16
	s_wait_alu 0xf1ff
	v_add_co_ci_u32_e64 v10, null, 0, v10, s3
	s_clause 0x9
	global_load_b128 v[5:8], v[132:133], off
	global_load_b128 v[1:4], v[132:133], off offset:512
	global_load_b128 v[104:107], v[132:133], off offset:1024
	;; [unrolled: 1-line block ×9, first 2 shown]
	v_cmp_gt_i32_e64 s3, s25, v101
	v_add_nc_u32_e32 v101, 0x80, v101
	s_wait_loadcnt 0x8
	v_and_b32_e32 v144, 0xffff0000, v3
	v_lshlrev_b32_e32 v139, 16, v6
	s_wait_loadcnt 0x7
	s_delay_alu instid0(VALU_DEP_2)
	v_dual_mul_f32 v144, v58, v144 :: v_dual_and_b32 v147, 0xffff0000, v105
	v_and_b32_e32 v145, 0xffff0000, v4
	v_lshlrev_b32_e32 v140, 16, v7
	v_and_b32_e32 v143, 0xffff0000, v2
	v_lshlrev_b32_e32 v4, 16, v4
	s_wait_loadcnt 0x0
	v_dual_mul_f32 v145, v67, v145 :: v_dual_lshlrev_b32 v174, 16, v132
	v_lshlrev_b32_e32 v2, 16, v2
	v_and_b32_e32 v7, 0xffff0000, v7
	v_and_b32_e32 v170, 0xffff0000, v128
	v_mul_f32_e32 v4, v68, v4
	s_delay_alu instid0(VALU_DEP_4) | instskip(NEXT) | instid1(VALU_DEP_4)
	v_mul_f32_e32 v2, v38, v2
	v_fmac_f32_e32 v144, v56, v7
	s_delay_alu instid0(VALU_DEP_2) | instskip(SKIP_3) | instid1(VALU_DEP_1)
	v_fmac_f32_e32 v2, v36, v139
	v_dual_mul_f32 v143, v37, v143 :: v_dual_lshlrev_b32 v138, 16, v5
	v_and_b32_e32 v142, 0xffff0000, v1
	v_lshlrev_b32_e32 v1, 16, v1
	v_dual_mul_f32 v1, v20, v1 :: v_dual_and_b32 v6, 0xffff0000, v6
	s_delay_alu instid0(VALU_DEP_1) | instskip(NEXT) | instid1(VALU_DEP_2)
	v_fmac_f32_e32 v143, v35, v6
	v_fmac_f32_e32 v1, v18, v138
	v_dual_mul_f32 v142, v19, v142 :: v_dual_and_b32 v5, 0xffff0000, v5
	s_delay_alu instid0(VALU_DEP_1) | instskip(NEXT) | instid1(VALU_DEP_1)
	v_dual_fmac_f32 v142, v17, v5 :: v_dual_lshlrev_b32 v141, 16, v8
	v_dual_fmac_f32 v4, v64, v141 :: v_dual_lshlrev_b32 v3, 16, v3
	v_and_b32_e32 v8, 0xffff0000, v8
	v_lshlrev_b32_e32 v151, 16, v109
	s_delay_alu instid0(VALU_DEP_3) | instskip(NEXT) | instid1(VALU_DEP_3)
	v_dual_mul_f32 v3, v59, v3 :: v_dual_and_b32 v148, 0xffff0000, v106
	v_fmac_f32_e32 v145, v63, v8
	v_lshlrev_b32_e32 v105, 16, v105
	s_delay_alu instid0(VALU_DEP_3) | instskip(SKIP_2) | instid1(VALU_DEP_4)
	v_dual_fmac_f32 v3, v57, v140 :: v_dual_lshlrev_b32 v106, 16, v106
	v_and_b32_e32 v146, 0xffff0000, v104
	v_dual_fmac_f32 v144, v60, v148 :: v_dual_and_b32 v149, 0xffff0000, v107
	v_fmac_f32_e32 v2, v40, v105
	v_lshlrev_b32_e32 v104, 16, v104
	v_and_b32_e32 v109, 0xffff0000, v109
	v_lshlrev_b32_e32 v153, 16, v111
	v_fmac_f32_e32 v145, v71, v149
	s_delay_alu instid0(VALU_DEP_4) | instskip(SKIP_2) | instid1(VALU_DEP_1)
	v_fmac_f32_e32 v1, v22, v104
	v_fmac_f32_e32 v3, v61, v106
	v_dual_fmac_f32 v142, v21, v146 :: v_dual_fmac_f32 v143, v39, v147
	v_dual_fmac_f32 v143, v41, v109 :: v_dual_lshlrev_b32 v150, 16, v108
	s_delay_alu instid0(VALU_DEP_1) | instskip(SKIP_2) | instid1(VALU_DEP_3)
	v_dual_fmac_f32 v1, v24, v150 :: v_dual_and_b32 v108, 0xffff0000, v108
	v_lshlrev_b32_e32 v107, 16, v107
	v_and_b32_e32 v156, 0xffff0000, v114
	v_dual_fmac_f32 v142, v23, v108 :: v_dual_and_b32 v155, 0xffff0000, v113
	s_delay_alu instid0(VALU_DEP_3)
	v_fmac_f32_e32 v4, v72, v107
	v_and_b32_e32 v111, 0xffff0000, v111
	v_lshlrev_b32_e32 v152, 16, v110
	v_fmac_f32_e32 v2, v42, v151
	v_and_b32_e32 v157, 0xffff0000, v115
	v_dual_fmac_f32 v143, v43, v155 :: v_dual_and_b32 v154, 0xffff0000, v112
	v_dual_fmac_f32 v145, v75, v111 :: v_dual_and_b32 v110, 0xffff0000, v110
	v_dual_fmac_f32 v3, v65, v152 :: v_dual_lshlrev_b32 v114, 16, v114
	s_delay_alu instid0(VALU_DEP_2) | instskip(SKIP_1) | instid1(VALU_DEP_4)
	v_dual_fmac_f32 v142, v25, v154 :: v_dual_fmac_f32 v145, v79, v157
	v_lshlrev_b32_e32 v112, 16, v112
	v_fmac_f32_e32 v144, v62, v110
	s_delay_alu instid0(VALU_DEP_4) | instskip(SKIP_1) | instid1(VALU_DEP_4)
	v_dual_fmac_f32 v3, v69, v114 :: v_dual_fmac_f32 v4, v76, v153
	v_lshlrev_b32_e32 v159, 16, v117
	v_fmac_f32_e32 v1, v26, v112
	s_delay_alu instid0(VALU_DEP_4) | instskip(NEXT) | instid1(VALU_DEP_1)
	v_dual_fmac_f32 v144, v66, v156 :: v_dual_lshlrev_b32 v113, 16, v113
	v_dual_fmac_f32 v2, v44, v113 :: v_dual_lshlrev_b32 v161, 16, v119
	v_and_b32_e32 v117, 0xffff0000, v117
	s_delay_alu instid0(VALU_DEP_1) | instskip(NEXT) | instid1(VALU_DEP_1)
	v_dual_fmac_f32 v143, v45, v117 :: v_dual_lshlrev_b32 v158, 16, v116
	v_dual_fmac_f32 v1, v28, v158 :: v_dual_and_b32 v116, 0xffff0000, v116
	v_lshlrev_b32_e32 v115, 16, v115
	v_and_b32_e32 v164, 0xffff0000, v122
	s_delay_alu instid0(VALU_DEP_3) | instskip(NEXT) | instid1(VALU_DEP_3)
	v_dual_fmac_f32 v142, v27, v116 :: v_dual_and_b32 v163, 0xffff0000, v121
	v_fmac_f32_e32 v4, v80, v115
	v_and_b32_e32 v119, 0xffff0000, v119
	v_lshlrev_b32_e32 v160, 16, v118
	v_fmac_f32_e32 v2, v46, v159
	v_and_b32_e32 v165, 0xffff0000, v123
	v_dual_fmac_f32 v143, v47, v163 :: v_dual_and_b32 v162, 0xffff0000, v120
	v_dual_fmac_f32 v145, v83, v119 :: v_dual_and_b32 v118, 0xffff0000, v118
	v_dual_fmac_f32 v3, v73, v160 :: v_dual_lshlrev_b32 v122, 16, v122
	s_delay_alu instid0(VALU_DEP_2) | instskip(SKIP_1) | instid1(VALU_DEP_4)
	v_dual_fmac_f32 v142, v29, v162 :: v_dual_fmac_f32 v145, v87, v165
	v_lshlrev_b32_e32 v120, 16, v120
	v_fmac_f32_e32 v144, v70, v118
	s_delay_alu instid0(VALU_DEP_4) | instskip(SKIP_4) | instid1(VALU_DEP_1)
	v_fmac_f32_e32 v3, v77, v122
	v_fmac_f32_e32 v4, v85, v161
	v_lshlrev_b32_e32 v167, 16, v125
	v_fmac_f32_e32 v1, v30, v120
	v_dual_fmac_f32 v144, v74, v164 :: v_dual_lshlrev_b32 v121, 16, v121
	v_dual_fmac_f32 v2, v48, v121 :: v_dual_lshlrev_b32 v169, 16, v127
	v_and_b32_e32 v125, 0xffff0000, v125
	s_delay_alu instid0(VALU_DEP_1) | instskip(NEXT) | instid1(VALU_DEP_1)
	v_dual_fmac_f32 v143, v49, v125 :: v_dual_lshlrev_b32 v166, 16, v124
	v_dual_fmac_f32 v1, v32, v166 :: v_dual_and_b32 v124, 0xffff0000, v124
	s_delay_alu instid0(VALU_DEP_1) | instskip(NEXT) | instid1(VALU_DEP_1)
	v_dual_fmac_f32 v142, v31, v124 :: v_dual_lshlrev_b32 v123, 16, v123
	v_dual_fmac_f32 v4, v88, v123 :: v_dual_and_b32 v171, 0xffff0000, v129
	v_and_b32_e32 v127, 0xffff0000, v127
	v_lshlrev_b32_e32 v168, 16, v126
	s_delay_alu instid0(VALU_DEP_3) | instskip(NEXT) | instid1(VALU_DEP_3)
	v_dual_fmac_f32 v143, v54, v171 :: v_dual_lshlrev_b32 v128, 16, v128
	v_dual_fmac_f32 v145, v89, v127 :: v_dual_and_b32 v172, 0xffff0000, v130
	s_delay_alu instid0(VALU_DEP_3) | instskip(NEXT) | instid1(VALU_DEP_3)
	v_dual_fmac_f32 v3, v81, v168 :: v_dual_and_b32 v126, 0xffff0000, v126
	v_fmac_f32_e32 v1, v34, v128
	v_fmac_f32_e32 v2, v50, v167
	s_delay_alu instid0(VALU_DEP_3)
	v_fmac_f32_e32 v144, v78, v126
	v_fmac_f32_e32 v4, v90, v169
	v_lshlrev_b32_e32 v175, 16, v133
	v_and_b32_e32 v133, 0xffff0000, v133
	v_lshlrev_b32_e32 v130, 16, v130
	v_fmac_f32_e32 v1, v94, v174
	v_fmac_f32_e32 v142, v33, v170
	s_delay_alu instid0(VALU_DEP_4) | instskip(NEXT) | instid1(VALU_DEP_4)
	v_dual_fmac_f32 v144, v82, v172 :: v_dual_fmac_f32 v143, v95, v133
	v_dual_fmac_f32 v3, v86, v130 :: v_dual_and_b32 v132, 0xffff0000, v132
	s_delay_alu instid0(VALU_DEP_1) | instskip(NEXT) | instid1(VALU_DEP_1)
	v_dual_fmac_f32 v142, v93, v132 :: v_dual_lshlrev_b32 v129, 16, v129
	v_dual_fmac_f32 v2, v55, v129 :: v_dual_and_b32 v173, 0xffff0000, v131
	v_lshlrev_b32_e32 v131, 16, v131
	s_delay_alu instid0(VALU_DEP_3) | instskip(NEXT) | instid1(VALU_DEP_2)
	v_add_f32_e32 v1, v1, v142
	v_dual_fmac_f32 v145, v91, v173 :: v_dual_fmac_f32 v4, v92, v131
	s_delay_alu instid0(VALU_DEP_4) | instskip(NEXT) | instid1(VALU_DEP_1)
	v_fmac_f32_e32 v2, v96, v175
	v_dual_add_f32 v1, v1, v2 :: v_dual_mul_f32 v2, s11, v136
	s_delay_alu instid0(VALU_DEP_1) | instskip(NEXT) | instid1(VALU_DEP_1)
	v_dual_add_f32 v1, v143, v1 :: v_dual_lshlrev_b32 v176, 16, v134
	v_dual_fmac_f32 v3, v98, v176 :: v_dual_and_b32 v134, 0xffff0000, v134
	s_delay_alu instid0(VALU_DEP_3) | instskip(NEXT) | instid1(VALU_DEP_2)
	v_dual_cndmask_b32 v2, 0, v2 :: v_dual_lshlrev_b32 v177, 16, v135
	v_dual_fmac_f32 v144, v97, v134 :: v_dual_add_f32 v1, v3, v1
	s_delay_alu instid0(VALU_DEP_2) | instskip(NEXT) | instid1(VALU_DEP_2)
	v_dual_fmac_f32 v4, v100, v177 :: v_dual_and_b32 v135, 0xffff0000, v135
	v_add_f32_e32 v1, v144, v1
	s_delay_alu instid0(VALU_DEP_2) | instskip(NEXT) | instid1(VALU_DEP_2)
	v_fmac_f32_e32 v145, v99, v135
	v_add_f32_e32 v1, v4, v1
	s_delay_alu instid0(VALU_DEP_1) | instskip(NEXT) | instid1(VALU_DEP_1)
	v_add_f32_e32 v1, v145, v1
	v_fmac_f32_e32 v2, s5, v1
	s_delay_alu instid0(VALU_DEP_1) | instskip(SKIP_2) | instid1(VALU_DEP_2)
	v_max_num_f32_e32 v1, v137, v2
	s_wait_alu 0xf1ff
	v_cndmask_b32_e64 v2, 0, v2, s3
	v_cndmask_b32_e64 v84, v84, v1, s3
	ds_store_b32 v102, v2
	v_add_nc_u32_e32 v102, 0x200, v102
	s_and_not1_b32 exec_lo, exec_lo, s7
	s_cbranch_execnz .LBB182_7
; %bb.8:
	s_or_b32 exec_lo, exec_lo, s7
.LBB182_9:
	s_delay_alu instid0(SALU_CYCLE_1)
	s_or_b32 exec_lo, exec_lo, s6
	v_mbcnt_lo_u32_b32 v1, -1, 0
	s_clause 0x2
	s_load_b128 s[4:7], s[0:1], 0x0
	s_load_b64 s[10:11], s[0:1], 0x10
	s_load_b64 s[22:23], s[0:1], 0x28
	v_max_num_f32_e32 v5, v84, v84
	v_xor_b32_e32 v2, 16, v1
	v_xor_b32_e32 v4, 8, v1
	s_delay_alu instid0(VALU_DEP_2) | instskip(SKIP_2) | instid1(VALU_DEP_3)
	v_cmp_gt_i32_e32 vcc_lo, 32, v2
	s_wait_alu 0xfffd
	v_cndmask_b32_e32 v2, v1, v2, vcc_lo
	v_cmp_gt_i32_e32 vcc_lo, 32, v4
	s_delay_alu instid0(VALU_DEP_2)
	v_lshlrev_b32_e32 v2, 2, v2
	s_wait_alu 0xfffd
	v_cndmask_b32_e32 v4, v1, v4, vcc_lo
	ds_bpermute_b32 v3, v2, v84
	s_wait_dscnt 0x0
	v_dual_max_num_f32 v6, v3, v3 :: v_dual_lshlrev_b32 v3, 2, v4
	s_delay_alu instid0(VALU_DEP_1)
	v_max_num_f32_e32 v4, v5, v6
	v_xor_b32_e32 v6, 4, v1
	ds_bpermute_b32 v5, v3, v4
	v_cmp_gt_i32_e32 vcc_lo, 32, v6
	s_wait_alu 0xfffd
	v_cndmask_b32_e32 v6, v1, v6, vcc_lo
	s_wait_dscnt 0x0
	v_max_num_f32_e32 v7, v5, v5
	s_delay_alu instid0(VALU_DEP_1)
	v_dual_max_num_f32 v4, v4, v7 :: v_dual_lshlrev_b32 v5, 2, v6
	v_xor_b32_e32 v7, 2, v1
	ds_bpermute_b32 v6, v5, v4
	v_cmp_gt_i32_e32 vcc_lo, 32, v7
	s_wait_dscnt 0x0
	s_wait_alu 0xfffd
	v_dual_cndmask_b32 v7, v1, v7 :: v_dual_max_num_f32 v6, v6, v6
	s_delay_alu instid0(VALU_DEP_1) | instskip(SKIP_1) | instid1(VALU_DEP_1)
	v_lshlrev_b32_e32 v55, 2, v7
	v_xor_b32_e32 v7, 1, v1
	v_cmp_gt_i32_e32 vcc_lo, 32, v7
	s_wait_alu 0xfffd
	v_dual_max_num_f32 v4, v4, v6 :: v_dual_cndmask_b32 v7, v1, v7
	ds_bpermute_b32 v6, v55, v4
	v_cmp_eq_u32_e32 vcc_lo, 0, v52
	v_lshlrev_b32_e32 v54, 2, v7
	s_wait_dscnt 0x0
	v_max_num_f32_e32 v6, v6, v6
	s_delay_alu instid0(VALU_DEP_1)
	v_dual_max_num_f32 v1, v4, v6 :: v_dual_lshlrev_b32 v6, 2, v51
	ds_bpermute_b32 v4, v54, v1
	s_and_saveexec_b32 s0, vcc_lo
	s_cbranch_execz .LBB182_11
; %bb.10:
	s_wait_dscnt 0x0
	v_dual_max_num_f32 v4, v4, v4 :: v_dual_max_num_f32 v1, v1, v1
	s_delay_alu instid0(VALU_DEP_1)
	v_max_num_f32_e32 v1, v1, v4
	ds_store_b32 v6, v1 offset:160
.LBB182_11:
	s_or_b32 exec_lo, exec_lo, s0
	v_cmp_gt_u32_e64 s0, 4, v52
	v_mov_b32_e32 v1, 0xff7fffff
	s_wait_loadcnt_dscnt 0x0
	s_barrier_signal -1
	s_barrier_wait -1
	global_inv scope:SCOPE_SE
	s_and_saveexec_b32 s1, s0
; %bb.12:
	ds_load_b32 v1, v14 offset:160
; %bb.13:
	s_or_b32 exec_lo, exec_lo, s1
	s_wait_dscnt 0x0
	ds_bpermute_b32 v4, v55, v1
	v_max_num_f32_e32 v1, v1, v1
	s_sub_co_i32 s1, s13, s28
	v_mov_b32_e32 v7, 0
	s_lshl_b32 s1, s1, 5
	s_delay_alu instid0(SALU_CYCLE_1) | instskip(NEXT) | instid1(SALU_CYCLE_1)
	s_add_co_i32 s1, s1, s26
	s_min_i32 s1, s1, s25
	s_delay_alu instid0(SALU_CYCLE_1) | instskip(SKIP_4) | instid1(VALU_DEP_1)
	s_sub_co_i32 s21, s1, s26
	s_wait_alu 0xfffe
	v_cmp_gt_i32_e64 s1, s21, v0
	s_wait_dscnt 0x0
	v_max_num_f32_e32 v4, v4, v4
	v_max_num_f32_e32 v1, v1, v4
	ds_bpermute_b32 v4, v54, v1
	s_wait_dscnt 0x0
	v_max_num_f32_e32 v4, v4, v4
	s_delay_alu instid0(VALU_DEP_1)
	v_max_num_f32_e32 v1, v1, v4
	v_lshl_add_u32 v4, v0, 2, 0xc0
	ds_bpermute_b32 v1, v7, v1
	s_and_saveexec_b32 s28, s1
	s_cbranch_execz .LBB182_17
; %bb.14:
	v_lshl_add_u32 v8, v0, 2, 0xc0
	v_mov_b32_e32 v7, 0
	v_mov_b32_e32 v9, v0
	s_mov_b32 s29, 0
.LBB182_15:                             ; =>This Inner Loop Header: Depth=1
	ds_load_b32 v10, v8
	v_add_nc_u32_e32 v9, 0x80, v9
	s_delay_alu instid0(VALU_DEP_1) | instskip(SKIP_4) | instid1(VALU_DEP_1)
	v_cmp_le_i32_e64 s3, s21, v9
	s_wait_alu 0xfffe
	s_or_b32 s29, s3, s29
	s_wait_dscnt 0x0
	v_sub_f32_e32 v10, v10, v1
	v_mul_f32_e32 v10, 0x3fb8aa3b, v10
	s_delay_alu instid0(VALU_DEP_1)
	v_exp_f32_e32 v10, v10
	ds_store_b32 v8, v10
	v_dual_add_f32 v7, v7, v10 :: v_dual_add_nc_u32 v8, 0x200, v8
	s_wait_alu 0xfffe
	s_and_not1_b32 exec_lo, exec_lo, s29
	s_cbranch_execnz .LBB182_15
; %bb.16:
	s_or_b32 exec_lo, exec_lo, s29
.LBB182_17:
	s_wait_alu 0xfffe
	s_or_b32 exec_lo, exec_lo, s28
	ds_bpermute_b32 v2, v2, v7
	s_wait_dscnt 0x0
	v_add_f32_e32 v2, v7, v2
	ds_bpermute_b32 v3, v3, v2
	s_wait_dscnt 0x0
	v_add_f32_e32 v2, v2, v3
	;; [unrolled: 3-line block ×5, first 2 shown]
	s_and_saveexec_b32 s3, vcc_lo
; %bb.18:
	ds_store_b32 v6, v2 offset:176
; %bb.19:
	s_wait_alu 0xfffe
	s_or_b32 exec_lo, exec_lo, s3
	s_wait_loadcnt_dscnt 0x0
	s_barrier_signal -1
	s_barrier_wait -1
	global_inv scope:SCOPE_SE
	s_and_saveexec_b32 s3, s0
; %bb.20:
	ds_load_b32 v2, v14 offset:176
; %bb.21:
	s_wait_alu 0xfffe
	s_or_b32 exec_lo, exec_lo, s3
	s_wait_dscnt 0x0
	ds_bpermute_b32 v3, v55, v2
	s_wait_dscnt 0x0
	v_add_f32_e32 v2, v2, v3
	ds_bpermute_b32 v3, v54, v2
	s_wait_dscnt 0x0
	v_dual_add_f32 v2, v2, v3 :: v_dual_mov_b32 v3, 0
	ds_bpermute_b32 v2, v3, v2
	s_and_saveexec_b32 s0, s1
	s_cbranch_execz .LBB182_24
; %bb.22:
	s_wait_dscnt 0x0
	v_add_f32_e32 v3, 0x358637bd, v2
	s_mov_b32 s1, 0
	s_delay_alu instid0(VALU_DEP_1) | instskip(SKIP_1) | instid1(VALU_DEP_2)
	v_div_scale_f32 v5, null, v3, v3, 1.0
	v_div_scale_f32 v8, vcc_lo, 1.0, v3, 1.0
	v_rcp_f32_e32 v6, v5
	s_delay_alu instid0(TRANS32_DEP_1) | instskip(NEXT) | instid1(VALU_DEP_1)
	v_fma_f32 v7, -v5, v6, 1.0
	v_fmac_f32_e32 v6, v7, v6
	s_delay_alu instid0(VALU_DEP_1) | instskip(NEXT) | instid1(VALU_DEP_1)
	v_mul_f32_e32 v7, v8, v6
	v_fma_f32 v9, -v5, v7, v8
	s_delay_alu instid0(VALU_DEP_1) | instskip(NEXT) | instid1(VALU_DEP_1)
	v_fmac_f32_e32 v7, v9, v6
	v_fma_f32 v5, -v5, v7, v8
	s_wait_alu 0xfffd
	s_delay_alu instid0(VALU_DEP_1) | instskip(NEXT) | instid1(VALU_DEP_1)
	v_div_fmas_f32 v5, v5, v6, v7
	v_div_fixup_f32 v3, v5, v3, 1.0
	v_mov_b32_e32 v5, v0
.LBB182_23:                             ; =>This Inner Loop Header: Depth=1
	ds_load_b32 v6, v4
	s_wait_dscnt 0x0
	v_dual_mul_f32 v6, v3, v6 :: v_dual_add_nc_u32 v5, 0x80, v5
	s_delay_alu instid0(VALU_DEP_1) | instskip(SKIP_3) | instid1(SALU_CYCLE_1)
	v_cmp_le_i32_e32 vcc_lo, s21, v5
	ds_store_b32 v4, v6
	v_add_nc_u32_e32 v4, 0x200, v4
	s_or_b32 s1, vcc_lo, s1
	s_and_not1_b32 exec_lo, exec_lo, s1
	s_cbranch_execnz .LBB182_23
.LBB182_24:
	s_or_b32 exec_lo, exec_lo, s0
	s_mul_i32 s0, s8, s14
	s_wait_loadcnt_dscnt 0x0
	s_mul_i32 s14, s0, s15
	s_mov_b32 s0, exec_lo
	s_barrier_signal -1
	s_barrier_wait -1
	global_inv scope:SCOPE_SE
	v_cmpx_eq_u32_e32 0, v0
	s_cbranch_execz .LBB182_26
; %bb.25:
	s_ashr_i32 s15, s14, 31
	s_mul_i32 s28, s8, ttmp9
	s_lshl_b32 s1, s24, 2
	s_lshl_b64 s[30:31], s[14:15], 2
	s_wait_alu 0xfffe
	s_ashr_i32 s29, s28, 31
	v_mov_b32_e32 v3, s1
	s_wait_kmcnt 0x0
	s_add_nc_u64 s[6:7], s[6:7], s[30:31]
	s_wait_alu 0xfffe
	s_lshl_b64 s[28:29], s[28:29], 2
	s_add_nc_u64 s[4:5], s[4:5], s[30:31]
	s_wait_alu 0xfffe
	s_add_nc_u64 s[6:7], s[6:7], s[28:29]
	s_add_nc_u64 s[4:5], s[4:5], s[28:29]
	s_clause 0x1
	global_store_b32 v3, v1, s[6:7]
	global_store_b32 v3, v2, s[4:5]
.LBB182_26:
	s_or_b32 exec_lo, exec_lo, s0
	v_dual_mov_b32 v64, 0 :: v_dual_mov_b32 v65, 0
	v_dual_mov_b32 v63, 0 :: v_dual_and_b32 v56, 3, v0
	v_dual_mov_b32 v66, 0 :: v_dual_mov_b32 v61, 0
	v_dual_mov_b32 v62, 0 :: v_dual_mov_b32 v59, 0
	;; [unrolled: 1-line block ×3, first 2 shown]
	v_mov_b32_e32 v58, 0
	s_and_saveexec_b32 s1, s2
	s_cbranch_execz .LBB182_50
; %bb.27:
	s_ashr_i32 s21, s20, 31
	v_dual_mov_b32 v62, 0 :: v_dual_and_b32 v3, 0x1f0, v11
	s_wait_kmcnt 0x0
	s_wait_alu 0xfffe
	s_lshl_b64 s[4:5], s[20:21], 1
	v_dual_mov_b32 v58, 0 :: v_dual_lshlrev_b32 v1, 3, v0
	v_dual_mov_b32 v57, 0 :: v_dual_lshlrev_b32 v2, 5, v56
	s_wait_alu 0xfffe
	s_add_nc_u64 s[4:5], s[22:23], s[4:5]
	s_delay_alu instid0(VALU_DEP_2)
	v_dual_mov_b32 v60, 0 :: v_dual_and_b32 v1, 24, v1
	s_wait_alu 0xfffe
	v_add_co_u32 v67, s0, s4, v3
	s_wait_alu 0xf1ff
	v_add_co_ci_u32_e64 v68, null, s5, 0, s0
	s_lshl_b64 s[4:5], s[18:19], 2
	v_lshl_or_b32 v2, v51, 7, v2
	s_wait_alu 0xfffe
	s_add_nc_u64 s[4:5], s[16:17], s[4:5]
	v_add3_u32 v69, s26, v13, v1
	s_wait_alu 0xfffe
	v_add_co_u32 v49, s0, s4, v12
	v_dual_mov_b32 v59, 0 :: v_dual_add_nc_u32 v70, 0xc0, v2
	s_wait_alu 0xf1ff
	v_add_co_ci_u32_e64 v50, null, s5, 0, s0
	v_dual_mov_b32 v61, 0 :: v_dual_mov_b32 v66, 0
	v_dual_mov_b32 v63, 0 :: v_dual_mov_b32 v64, 0
	v_mov_b32_e32 v65, 0
	s_mov_b32 s2, s9
	s_add_co_i32 s3, s27, -1
	s_mov_b32 s5, s25
	s_mov_b32 s4, 0
	s_branch .LBB182_29
.LBB182_28:                             ;   in Loop: Header=BB182_29 Depth=1
	s_wait_alu 0xfffe
	s_or_b32 exec_lo, exec_lo, s0
	s_wait_dscnt 0x1
	v_bfe_u32 v71, v33, 16, 1
	v_bfe_u32 v72, v34, 16, 1
	v_or_b32_e32 v73, 0x400000, v33
	v_cmp_u_f32_e32 vcc_lo, v33, v33
	v_or_b32_e32 v74, 0x400000, v34
	v_add3_u32 v71, v71, v33, 0x7fff
	v_bfe_u32 v75, v35, 16, 1
	v_add3_u32 v72, v72, v34, 0x7fff
	v_bfe_u32 v76, v36, 16, 1
	s_wait_loadcnt 0x1
	s_wait_alu 0xfffd
	v_dual_cndmask_b32 v33, v71, v73 :: v_dual_and_b32 v78, 0xffff0000, v48
	v_cmp_u_f32_e32 vcc_lo, v34, v34
	v_add3_u32 v71, v75, v35, 0x7fff
	v_add3_u32 v73, v76, v36, 0x7fff
	s_wait_dscnt 0x0
	v_bfe_u32 v75, v29, 16, 1
	s_wait_alu 0xfffd
	v_dual_cndmask_b32 v34, v72, v74 :: v_dual_add_nc_u32 v53, 4, v53
	v_or_b32_e32 v72, 0x400000, v35
	v_cmp_u_f32_e32 vcc_lo, v35, v35
	v_or_b32_e32 v74, 0x400000, v36
	v_add_co_u32 v49, s0, v49, 16
	v_add_nc_u32_e32 v69, 0x80, v69
	s_wait_alu 0xfffd
	v_cndmask_b32_e32 v35, v71, v72, vcc_lo
	v_cmp_u_f32_e32 vcc_lo, v36, v36
	v_bfe_u32 v71, v30, 16, 1
	v_add3_u32 v72, v75, v29, 0x7fff
	v_bfe_u32 v75, v31, 16, 1
	s_wait_alu 0xf1ff
	v_add_co_ci_u32_e64 v50, null, 0, v50, s0
	s_wait_alu 0xfffd
	v_cndmask_b32_e32 v36, v73, v74, vcc_lo
	v_or_b32_e32 v73, 0x400000, v29
	v_cmp_u_f32_e32 vcc_lo, v29, v29
	v_add3_u32 v71, v71, v30, 0x7fff
	v_or_b32_e32 v74, 0x400000, v30
	v_add_nc_u32_e32 v70, 0x200, v70
	s_wait_alu 0xfffd
	v_cndmask_b32_e32 v72, v72, v73, vcc_lo
	v_cmp_u_f32_e32 vcc_lo, v30, v30
	v_add3_u32 v30, v75, v31, 0x7fff
	v_bfe_u32 v73, v32, 16, 1
	v_or_b32_e32 v75, 0x400000, v32
	s_wait_alu 0xfffd
	v_cndmask_b32_e32 v71, v71, v74, vcc_lo
	v_or_b32_e32 v74, 0x400000, v31
	v_cmp_u_f32_e32 vcc_lo, v31, v31
	v_add3_u32 v73, v73, v32, 0x7fff
	s_wait_alu 0xfffd
	s_delay_alu instid0(VALU_DEP_3)
	v_cndmask_b32_e32 v74, v30, v74, vcc_lo
	v_cmp_u_f32_e32 vcc_lo, v32, v32
	v_and_b32_e32 v29, 0xffff0000, v34
	v_and_b32_e32 v30, 0xffff0000, v36
	;; [unrolled: 1-line block ×4, first 2 shown]
	s_wait_alu 0xfffd
	s_delay_alu instid0(VALU_DEP_2) | instskip(NEXT) | instid1(VALU_DEP_2)
	v_dual_cndmask_b32 v32, v73, v75 :: v_dual_mul_f32 v77, v30, v36
	v_dual_mul_f32 v34, v29, v34 :: v_dual_and_b32 v33, 0xffff0000, v33
	v_and_b32_e32 v36, 0xffff0000, v35
	v_lshlrev_b32_e32 v35, 16, v46
	s_delay_alu instid0(VALU_DEP_3) | instskip(SKIP_2) | instid1(VALU_DEP_3)
	v_bfe_u32 v31, v34, 16, 1
	v_or_b32_e32 v75, 0x400000, v34
	v_cmp_u_f32_e32 vcc_lo, v34, v34
	v_add3_u32 v31, v31, v34, 0x7fff
	v_lshlrev_b32_e32 v45, 16, v45
	v_and_b32_e32 v34, 0xffff0000, v72
	s_wait_alu 0xfffd
	s_delay_alu instid0(VALU_DEP_2) | instskip(NEXT) | instid1(VALU_DEP_1)
	v_dual_cndmask_b32 v46, v31, v75 :: v_dual_mul_f32 v45, v33, v45
	v_and_b32_e32 v46, 0xffff0000, v46
	s_delay_alu instid0(VALU_DEP_2) | instskip(SKIP_2) | instid1(VALU_DEP_3)
	v_bfe_u32 v73, v45, 16, 1
	v_or_b32_e32 v76, 0x400000, v45
	v_cmp_u_f32_e32 vcc_lo, v45, v45
	v_add3_u32 v73, v73, v45, 0x7fff
	s_wait_alu 0xfffd
	s_delay_alu instid0(VALU_DEP_1) | instskip(SKIP_2) | instid1(VALU_DEP_3)
	v_cndmask_b32_e32 v45, v73, v76, vcc_lo
	v_bfe_u32 v73, v77, 16, 1
	v_cmp_u_f32_e32 vcc_lo, v77, v77
	v_and_b32_e32 v45, 0xffff0000, v45
	s_delay_alu instid0(VALU_DEP_3) | instskip(SKIP_1) | instid1(VALU_DEP_3)
	v_add3_u32 v72, v73, v77, 0x7fff
	v_or_b32_e32 v73, 0x400000, v77
	v_dual_add_f32 v45, v45, v46 :: v_dual_lshlrev_b32 v48, 16, v48
	s_wait_alu 0xfffd
	s_delay_alu instid0(VALU_DEP_2) | instskip(NEXT) | instid1(VALU_DEP_1)
	v_cndmask_b32_e32 v72, v72, v73, vcc_lo
	v_dual_mul_f32 v35, v36, v35 :: v_dual_and_b32 v72, 0xffff0000, v72
	s_delay_alu instid0(VALU_DEP_1) | instskip(SKIP_1) | instid1(VALU_DEP_2)
	v_bfe_u32 v75, v35, 16, 1
	v_cmp_u_f32_e32 vcc_lo, v35, v35
	v_add3_u32 v73, v75, v35, 0x7fff
	v_or_b32_e32 v75, 0x400000, v35
	v_and_b32_e32 v32, 0xffff0000, v32
	v_and_b32_e32 v35, 0xffff0000, v74
	s_wait_alu 0xfffd
	s_delay_alu instid0(VALU_DEP_3) | instskip(NEXT) | instid1(VALU_DEP_3)
	v_cndmask_b32_e32 v73, v73, v75, vcc_lo
	v_dual_mul_f32 v78, v32, v78 :: v_dual_and_b32 v31, 0xffff0000, v71
	s_delay_alu instid0(VALU_DEP_3) | instskip(NEXT) | instid1(VALU_DEP_3)
	v_dual_mul_f32 v48, v35, v48 :: v_dual_and_b32 v71, 0xffff0000, v47
	v_and_b32_e32 v73, 0xffff0000, v73
	v_lshlrev_b32_e32 v47, 16, v47
	s_delay_alu instid0(VALU_DEP_4) | instskip(NEXT) | instid1(VALU_DEP_3)
	v_bfe_u32 v79, v78, 16, 1
	v_dual_mul_f32 v71, v31, v71 :: v_dual_add_f32 v46, v73, v72
	s_delay_alu instid0(VALU_DEP_3) | instskip(NEXT) | instid1(VALU_DEP_2)
	v_dual_mul_f32 v47, v34, v47 :: v_dual_and_b32 v72, 0xffff0000, v41
	v_bfe_u32 v76, v71, 16, 1
	v_cmp_u_f32_e32 vcc_lo, v71, v71
	s_delay_alu instid0(VALU_DEP_4) | instskip(NEXT) | instid1(VALU_DEP_4)
	v_add_f32_e32 v45, v46, v45
	v_bfe_u32 v77, v47, 16, 1
	v_or_b32_e32 v74, 0x400000, v47
	v_add3_u32 v75, v76, v71, 0x7fff
	v_or_b32_e32 v76, 0x400000, v71
	v_mul_f32_e32 v46, v29, v72
	v_add3_u32 v77, v77, v47, 0x7fff
	s_wait_alu 0xfffd
	s_delay_alu instid0(VALU_DEP_3)
	v_cndmask_b32_e32 v71, v75, v76, vcc_lo
	v_cmp_u_f32_e32 vcc_lo, v47, v47
	v_or_b32_e32 v75, 0x400000, v78
	v_bfe_u32 v76, v48, 16, 1
	v_bfe_u32 v72, v46, 16, 1
	v_and_b32_e32 v71, 0xffff0000, v71
	s_wait_alu 0xfffd
	v_cndmask_b32_e32 v47, v77, v74, vcc_lo
	v_add3_u32 v74, v79, v78, 0x7fff
	v_cmp_u_f32_e32 vcc_lo, v78, v78
	s_wait_alu 0xfffd
	s_delay_alu instid0(VALU_DEP_2) | instskip(SKIP_4) | instid1(VALU_DEP_2)
	v_cndmask_b32_e32 v74, v74, v75, vcc_lo
	v_add3_u32 v75, v76, v48, 0x7fff
	v_or_b32_e32 v76, 0x400000, v48
	v_cmp_u_f32_e32 vcc_lo, v48, v48
	s_wait_alu 0xfffd
	v_cndmask_b32_e32 v48, v75, v76, vcc_lo
	v_cmp_u_f32_e32 vcc_lo, v46, v46
	v_and_b32_e32 v47, 0xffff0000, v47
	v_and_b32_e32 v75, 0xffff0000, v44
	s_delay_alu instid0(VALU_DEP_2) | instskip(SKIP_1) | instid1(VALU_DEP_2)
	v_dual_add_f32 v47, v47, v71 :: v_dual_lshlrev_b32 v44, 16, v44
	v_and_b32_e32 v48, 0xffff0000, v48
	v_dual_mul_f32 v44, v35, v44 :: v_dual_and_b32 v71, 0xffff0000, v74
	s_delay_alu instid0(VALU_DEP_3) | instskip(NEXT) | instid1(VALU_DEP_2)
	v_add_f32_e32 v45, v47, v45
	v_dual_add_f32 v48, v48, v71 :: v_dual_lshlrev_b32 v41, 16, v41
	v_and_b32_e32 v47, 0xffff0000, v42
	v_add3_u32 v71, v72, v46, 0x7fff
	v_or_b32_e32 v72, 0x400000, v46
	s_delay_alu instid0(VALU_DEP_4) | instskip(SKIP_1) | instid1(VALU_DEP_2)
	v_dual_mul_f32 v41, v33, v41 :: v_dual_lshlrev_b32 v42, 16, v42
	s_wait_alu 0xfffd
	v_dual_add_f32 v45, v48, v45 :: v_dual_cndmask_b32 v46, v71, v72
	s_delay_alu instid0(VALU_DEP_2)
	v_bfe_u32 v73, v41, 16, 1
	v_or_b32_e32 v72, 0x400000, v41
	v_cmp_u_f32_e32 vcc_lo, v41, v41
	v_mul_f32_e32 v42, v36, v42
	v_and_b32_e32 v46, 0xffff0000, v46
	v_add3_u32 v71, v73, v41, 0x7fff
	v_and_b32_e32 v74, 0xffff0000, v43
	s_wait_alu 0xfffd
	s_delay_alu instid0(VALU_DEP_2) | instskip(NEXT) | instid1(VALU_DEP_2)
	v_dual_add_f32 v58, v58, v45 :: v_dual_cndmask_b32 v41, v71, v72
	v_dual_mul_f32 v47, v30, v47 :: v_dual_mul_f32 v74, v31, v74
	s_delay_alu instid0(VALU_DEP_1) | instskip(SKIP_2) | instid1(VALU_DEP_3)
	v_bfe_u32 v73, v47, 16, 1
	v_or_b32_e32 v72, 0x400000, v47
	v_cmp_u_f32_e32 vcc_lo, v47, v47
	v_add3_u32 v71, v73, v47, 0x7fff
	v_bfe_u32 v73, v42, 16, 1
	s_wait_alu 0xfffd
	s_delay_alu instid0(VALU_DEP_2) | instskip(NEXT) | instid1(VALU_DEP_2)
	v_cndmask_b32_e32 v47, v71, v72, vcc_lo
	v_add3_u32 v71, v73, v42, 0x7fff
	v_or_b32_e32 v72, 0x400000, v42
	v_bfe_u32 v73, v74, 16, 1
	v_cmp_u_f32_e32 vcc_lo, v42, v42
	s_wait_alu 0xfffd
	s_delay_alu instid0(VALU_DEP_3) | instskip(NEXT) | instid1(VALU_DEP_3)
	v_cndmask_b32_e32 v42, v71, v72, vcc_lo
	v_add3_u32 v72, v73, v74, 0x7fff
	v_mul_f32_e32 v73, v32, v75
	v_or_b32_e32 v75, 0x400000, v74
	v_cmp_u_f32_e32 vcc_lo, v74, v74
	v_bfe_u32 v74, v44, 16, 1
	v_and_b32_e32 v42, 0xffff0000, v42
	v_bfe_u32 v77, v73, 16, 1
	s_wait_alu 0xfffd
	v_cndmask_b32_e32 v72, v72, v75, vcc_lo
	v_add3_u32 v74, v74, v44, 0x7fff
	v_lshlrev_b32_e32 v43, 16, v43
	v_or_b32_e32 v75, 0x400000, v73
	s_delay_alu instid0(VALU_DEP_2) | instskip(NEXT) | instid1(VALU_DEP_1)
	v_mul_f32_e32 v43, v34, v43
	v_bfe_u32 v71, v43, 16, 1
	v_or_b32_e32 v76, 0x400000, v43
	v_cmp_u_f32_e32 vcc_lo, v43, v43
	s_delay_alu instid0(VALU_DEP_3) | instskip(SKIP_1) | instid1(VALU_DEP_1)
	v_add3_u32 v71, v71, v43, 0x7fff
	s_wait_alu 0xfffd
	v_cndmask_b32_e32 v43, v71, v76, vcc_lo
	v_or_b32_e32 v76, 0x400000, v44
	v_cmp_u_f32_e32 vcc_lo, v44, v44
	v_add3_u32 v71, v77, v73, 0x7fff
	s_delay_alu instid0(VALU_DEP_4) | instskip(SKIP_3) | instid1(VALU_DEP_2)
	v_and_b32_e32 v43, 0xffff0000, v43
	s_wait_alu 0xfffd
	v_dual_cndmask_b32 v44, v74, v76 :: v_dual_and_b32 v41, 0xffff0000, v41
	v_cmp_u_f32_e32 vcc_lo, v73, v73
	v_dual_add_f32 v41, v41, v46 :: v_dual_and_b32 v44, 0xffff0000, v44
	v_and_b32_e32 v47, 0xffff0000, v47
	v_and_b32_e32 v46, 0xffff0000, v72
	s_delay_alu instid0(VALU_DEP_2) | instskip(SKIP_2) | instid1(VALU_DEP_2)
	v_add_f32_e32 v42, v42, v47
	s_wait_alu 0xfffd
	v_cndmask_b32_e32 v47, v71, v75, vcc_lo
	v_dual_add_f32 v41, v42, v41 :: v_dual_add_f32 v42, v43, v46
	s_delay_alu instid0(VALU_DEP_1) | instskip(NEXT) | instid1(VALU_DEP_1)
	v_dual_add_f32 v41, v42, v41 :: v_dual_and_b32 v46, 0xffff0000, v47
	v_add_f32_e32 v42, v44, v46
	v_and_b32_e32 v44, 0xffff0000, v38
	v_and_b32_e32 v43, 0xffff0000, v37
	v_lshlrev_b32_e32 v38, 16, v38
	v_lshlrev_b32_e32 v37, 16, v37
	v_add_f32_e32 v41, v42, v41
	s_delay_alu instid0(VALU_DEP_4) | instskip(NEXT) | instid1(VALU_DEP_4)
	v_dual_mul_f32 v42, v30, v44 :: v_dual_mul_f32 v43, v29, v43
	v_mul_f32_e32 v38, v36, v38
	s_delay_alu instid0(VALU_DEP_2) | instskip(NEXT) | instid1(VALU_DEP_3)
	v_bfe_u32 v48, v42, 16, 1
	v_bfe_u32 v46, v43, 16, 1
	v_cmp_u_f32_e32 vcc_lo, v43, v43
	s_delay_alu instid0(VALU_DEP_2) | instskip(SKIP_2) | instid1(VALU_DEP_1)
	v_add3_u32 v44, v46, v43, 0x7fff
	v_or_b32_e32 v46, 0x400000, v43
	s_wait_alu 0xfffd
	v_dual_cndmask_b32 v43, v44, v46 :: v_dual_and_b32 v46, 0xffff0000, v39
	v_mul_f32_e32 v37, v33, v37
	v_add3_u32 v44, v48, v42, 0x7fff
	s_delay_alu instid0(VALU_DEP_2) | instskip(SKIP_2) | instid1(VALU_DEP_3)
	v_bfe_u32 v45, v37, 16, 1
	v_or_b32_e32 v47, 0x400000, v37
	v_cmp_u_f32_e32 vcc_lo, v37, v37
	v_add3_u32 v45, v45, v37, 0x7fff
	s_wait_alu 0xfffd
	s_delay_alu instid0(VALU_DEP_1) | instskip(SKIP_4) | instid1(VALU_DEP_3)
	v_cndmask_b32_e32 v37, v45, v47, vcc_lo
	v_or_b32_e32 v45, 0x400000, v42
	v_bfe_u32 v47, v38, 16, 1
	v_cmp_u_f32_e32 vcc_lo, v42, v42
	s_wait_alu 0xfffd
	v_cndmask_b32_e32 v42, v44, v45, vcc_lo
	v_mul_f32_e32 v44, v31, v46
	v_add3_u32 v45, v47, v38, 0x7fff
	v_or_b32_e32 v46, 0x400000, v38
	v_cmp_u_f32_e32 vcc_lo, v38, v38
	v_and_b32_e32 v42, 0xffff0000, v42
	v_and_b32_e32 v47, 0xffff0000, v40
	v_lshlrev_b32_e32 v40, 16, v40
	s_wait_alu 0xfffd
	v_dual_cndmask_b32 v38, v45, v46 :: v_dual_lshlrev_b32 v39, 16, v39
	v_bfe_u32 v48, v44, 16, 1
	v_cmp_u_f32_e32 vcc_lo, v44, v44
	s_delay_alu instid0(VALU_DEP_3) | instskip(NEXT) | instid1(VALU_DEP_4)
	v_dual_mul_f32 v40, v35, v40 :: v_dual_mul_f32 v39, v34, v39
	v_and_b32_e32 v38, 0xffff0000, v38
	s_delay_alu instid0(VALU_DEP_4) | instskip(NEXT) | instid1(VALU_DEP_3)
	v_add3_u32 v46, v48, v44, 0x7fff
	v_bfe_u32 v71, v39, 16, 1
	s_delay_alu instid0(VALU_DEP_3) | instskip(SKIP_2) | instid1(VALU_DEP_4)
	v_dual_add_f32 v38, v38, v42 :: v_dual_mul_f32 v45, v32, v47
	v_and_b32_e32 v42, 0xffff0000, v25
	v_or_b32_e32 v47, 0x400000, v44
	v_add3_u32 v48, v71, v39, 0x7fff
	v_or_b32_e32 v71, 0x400000, v39
	v_bfe_u32 v72, v45, 16, 1
	s_wait_alu 0xfffd
	v_dual_cndmask_b32 v44, v46, v47 :: v_dual_and_b32 v37, 0xffff0000, v37
	v_cmp_u_f32_e32 vcc_lo, v39, v39
	v_or_b32_e32 v47, 0x400000, v45
	v_add3_u32 v46, v72, v45, 0x7fff
	s_wait_alu 0xfffd
	v_cndmask_b32_e32 v39, v48, v71, vcc_lo
	v_cmp_u_f32_e32 vcc_lo, v45, v45
	s_delay_alu instid0(VALU_DEP_2)
	v_and_b32_e32 v39, 0xffff0000, v39
	s_wait_alu 0xfffd
	v_cndmask_b32_e32 v45, v46, v47, vcc_lo
	v_bfe_u32 v46, v40, 16, 1
	v_cmp_u_f32_e32 vcc_lo, v40, v40
	v_and_b32_e32 v43, 0xffff0000, v43
	v_and_b32_e32 v47, 0xffff0000, v28
	s_delay_alu instid0(VALU_DEP_2) | instskip(SKIP_3) | instid1(VALU_DEP_4)
	v_dual_add_f32 v37, v37, v43 :: v_dual_lshlrev_b32 v28, 16, v28
	v_and_b32_e32 v43, 0xffff0000, v44
	v_add3_u32 v44, v46, v40, 0x7fff
	v_or_b32_e32 v46, 0x400000, v40
	v_mul_f32_e32 v28, v35, v28
	s_wait_alu 0xfffd
	s_delay_alu instid0(VALU_DEP_2) | instskip(SKIP_1) | instid1(VALU_DEP_3)
	v_cndmask_b32_e32 v40, v44, v46, vcc_lo
	v_and_b32_e32 v46, 0xffff0000, v27
	v_bfe_u32 v72, v28, 16, 1
	s_delay_alu instid0(VALU_DEP_3) | instskip(SKIP_1) | instid1(VALU_DEP_4)
	v_dual_add_f32 v37, v38, v37 :: v_dual_and_b32 v40, 0xffff0000, v40
	v_mul_f32_e32 v38, v29, v42
	v_mul_f32_e32 v46, v31, v46
	v_add_f32_e32 v39, v39, v43
	s_delay_alu instid0(VALU_DEP_3) | instskip(SKIP_2) | instid1(VALU_DEP_4)
	v_bfe_u32 v42, v38, 16, 1
	v_or_b32_e32 v43, 0x400000, v38
	v_cmp_u_f32_e32 vcc_lo, v38, v38
	v_add_f32_e32 v37, v39, v37
	v_and_b32_e32 v39, 0xffff0000, v26
	v_add3_u32 v42, v42, v38, 0x7fff
	v_lshlrev_b32_e32 v25, 16, v25
	v_lshlrev_b32_e32 v26, 16, v26
	s_wait_alu 0xfffd
	s_delay_alu instid0(VALU_DEP_2) | instskip(NEXT) | instid1(VALU_DEP_2)
	v_dual_cndmask_b32 v38, v42, v43 :: v_dual_mul_f32 v25, v33, v25
	v_dual_mul_f32 v39, v30, v39 :: v_dual_mul_f32 v26, v36, v26
	s_delay_alu instid0(VALU_DEP_2) | instskip(NEXT) | instid1(VALU_DEP_3)
	v_and_b32_e32 v38, 0xffff0000, v38
	v_bfe_u32 v44, v25, 16, 1
	v_or_b32_e32 v43, 0x400000, v25
	v_cmp_u_f32_e32 vcc_lo, v25, v25
	s_delay_alu instid0(VALU_DEP_3) | instskip(SKIP_2) | instid1(VALU_DEP_2)
	v_add3_u32 v42, v44, v25, 0x7fff
	v_bfe_u32 v44, v39, 16, 1
	s_wait_alu 0xfffd
	v_cndmask_b32_e32 v25, v42, v43, vcc_lo
	s_delay_alu instid0(VALU_DEP_2) | instskip(SKIP_4) | instid1(VALU_DEP_3)
	v_add3_u32 v42, v44, v39, 0x7fff
	v_or_b32_e32 v43, 0x400000, v39
	v_bfe_u32 v44, v26, 16, 1
	v_cmp_u_f32_e32 vcc_lo, v39, v39
	s_wait_alu 0xfffd
	v_cndmask_b32_e32 v39, v42, v43, vcc_lo
	s_delay_alu instid0(VALU_DEP_3)
	v_add3_u32 v42, v44, v26, 0x7fff
	v_or_b32_e32 v43, 0x400000, v26
	v_cmp_u_f32_e32 vcc_lo, v26, v26
	v_bfe_u32 v44, v46, 16, 1
	v_and_b32_e32 v39, 0xffff0000, v39
	s_wait_alu 0xfffd
	v_cndmask_b32_e32 v26, v42, v43, vcc_lo
	v_lshlrev_b32_e32 v27, 16, v27
	v_add3_u32 v43, v44, v46, 0x7fff
	v_cmp_u_f32_e32 vcc_lo, v46, v46
	s_delay_alu instid0(VALU_DEP_3) | instskip(NEXT) | instid1(VALU_DEP_1)
	v_dual_mul_f32 v27, v34, v27 :: v_dual_and_b32 v26, 0xffff0000, v26
	v_add_f32_e32 v26, v26, v39
	s_delay_alu instid0(VALU_DEP_2)
	v_bfe_u32 v42, v27, 16, 1
	v_mul_f32_e32 v44, v32, v47
	v_or_b32_e32 v47, 0x400000, v46
	v_or_b32_e32 v48, 0x400000, v27
	v_add3_u32 v46, v72, v28, 0x7fff
	v_add3_u32 v42, v42, v27, 0x7fff
	v_bfe_u32 v71, v44, 16, 1
	s_wait_alu 0xfffd
	v_cndmask_b32_e32 v43, v43, v47, vcc_lo
	v_cmp_u_f32_e32 vcc_lo, v27, v27
	v_or_b32_e32 v47, 0x400000, v28
	s_wait_alu 0xfffd
	v_cndmask_b32_e32 v27, v42, v48, vcc_lo
	v_cmp_u_f32_e32 vcc_lo, v28, v28
	v_add3_u32 v42, v71, v44, 0x7fff
	v_and_b32_e32 v25, 0xffff0000, v25
	v_or_b32_e32 v48, 0x400000, v44
	v_and_b32_e32 v27, 0xffff0000, v27
	s_wait_alu 0xfffd
	v_cndmask_b32_e32 v28, v46, v47, vcc_lo
	v_cmp_u_f32_e32 vcc_lo, v44, v44
	v_dual_add_f32 v25, v25, v38 :: v_dual_and_b32 v38, 0xffff0000, v43
	s_wait_alu 0xfffd
	v_dual_cndmask_b32 v39, v42, v48 :: v_dual_and_b32 v42, 0xffff0000, v45
	s_delay_alu instid0(VALU_DEP_2) | instskip(SKIP_1) | instid1(VALU_DEP_3)
	v_dual_add_f32 v25, v26, v25 :: v_dual_add_f32 v26, v27, v38
	v_and_b32_e32 v27, 0xffff0000, v28
	v_and_b32_e32 v28, 0xffff0000, v39
	s_delay_alu instid0(VALU_DEP_4) | instskip(NEXT) | instid1(VALU_DEP_2)
	v_dual_add_f32 v39, v40, v42 :: v_dual_and_b32 v38, 0xffff0000, v21
	v_dual_add_f32 v25, v26, v25 :: v_dual_add_f32 v26, v27, v28
	s_delay_alu instid0(VALU_DEP_2) | instskip(NEXT) | instid1(VALU_DEP_3)
	v_dual_add_f32 v28, v39, v37 :: v_dual_and_b32 v39, 0xffff0000, v24
	v_dual_mul_f32 v27, v29, v38 :: v_dual_lshlrev_b32 v24, 16, v24
	s_delay_alu instid0(VALU_DEP_3) | instskip(NEXT) | instid1(VALU_DEP_3)
	v_add_f32_e32 v25, v26, v25
	v_dual_add_f32 v60, v60, v28 :: v_dual_and_b32 v37, 0xffff0000, v22
	s_delay_alu instid0(VALU_DEP_3) | instskip(NEXT) | instid1(VALU_DEP_4)
	v_mul_f32_e32 v24, v35, v24
	v_bfe_u32 v26, v27, 16, 1
	s_delay_alu instid0(VALU_DEP_4) | instskip(NEXT) | instid1(VALU_DEP_4)
	v_add_f32_e32 v61, v61, v25
	v_mul_f32_e32 v37, v30, v37
	v_cmp_u_f32_e32 vcc_lo, v27, v27
	v_lshlrev_b32_e32 v22, 16, v22
	v_add3_u32 v25, v26, v27, 0x7fff
	v_or_b32_e32 v26, 0x400000, v27
	v_and_b32_e32 v27, 0xffff0000, v23
	s_delay_alu instid0(VALU_DEP_4) | instskip(SKIP_1) | instid1(VALU_DEP_3)
	v_dual_mul_f32 v22, v36, v22 :: v_dual_lshlrev_b32 v23, 16, v23
	s_wait_alu 0xfffd
	v_cndmask_b32_e32 v25, v25, v26, vcc_lo
	v_bfe_u32 v26, v37, 16, 1
	v_mul_f32_e32 v27, v31, v27
	v_mul_f32_e32 v23, v34, v23
	s_delay_alu instid0(VALU_DEP_3) | instskip(SKIP_1) | instid1(VALU_DEP_3)
	v_add3_u32 v26, v26, v37, 0x7fff
	v_lshlrev_b32_e32 v21, 16, v21
	v_bfe_u32 v40, v23, 16, 1
	s_delay_alu instid0(VALU_DEP_2) | instskip(NEXT) | instid1(VALU_DEP_1)
	v_mul_f32_e32 v21, v33, v21
	v_bfe_u32 v28, v21, 16, 1
	v_or_b32_e32 v38, 0x400000, v21
	v_cmp_u_f32_e32 vcc_lo, v21, v21
	s_delay_alu instid0(VALU_DEP_3) | instskip(SKIP_1) | instid1(VALU_DEP_1)
	v_add3_u32 v28, v28, v21, 0x7fff
	s_wait_alu 0xfffd
	v_cndmask_b32_e32 v21, v28, v38, vcc_lo
	v_or_b32_e32 v28, 0x400000, v37
	v_bfe_u32 v38, v22, 16, 1
	v_cmp_u_f32_e32 vcc_lo, v37, v37
	v_or_b32_e32 v37, 0x400000, v22
	s_wait_alu 0xfffd
	v_cndmask_b32_e32 v26, v26, v28, vcc_lo
	v_add3_u32 v28, v38, v22, 0x7fff
	v_bfe_u32 v38, v27, 16, 1
	v_cmp_u_f32_e32 vcc_lo, v22, v22
	s_delay_alu instid0(VALU_DEP_4)
	v_dual_add_f32 v59, v59, v41 :: v_dual_and_b32 v26, 0xffff0000, v26
	s_wait_alu 0xfffd
	v_cndmask_b32_e32 v22, v28, v37, vcc_lo
	v_add3_u32 v28, v38, v27, 0x7fff
	v_mul_f32_e32 v37, v32, v39
	v_or_b32_e32 v38, 0x400000, v27
	v_cmp_u_f32_e32 vcc_lo, v27, v27
	v_add3_u32 v39, v40, v23, 0x7fff
	v_or_b32_e32 v40, 0x400000, v23
	v_bfe_u32 v41, v37, 16, 1
	v_and_b32_e32 v22, 0xffff0000, v22
	s_wait_alu 0xfffd
	v_cndmask_b32_e32 v27, v28, v38, vcc_lo
	v_cmp_u_f32_e32 vcc_lo, v23, v23
	v_or_b32_e32 v38, 0x400000, v37
	v_add3_u32 v28, v41, v37, 0x7fff
	v_add_f32_e32 v22, v22, v26
	s_wait_alu 0xfffd
	v_dual_cndmask_b32 v23, v39, v40 :: v_dual_and_b32 v26, 0xffff0000, v17
	v_bfe_u32 v39, v24, 16, 1
	v_cmp_u_f32_e32 vcc_lo, v37, v37
	v_and_b32_e32 v25, 0xffff0000, v25
	s_delay_alu instid0(VALU_DEP_4) | instskip(NEXT) | instid1(VALU_DEP_4)
	v_and_b32_e32 v23, 0xffff0000, v23
	v_add3_u32 v37, v39, v24, 0x7fff
	s_wait_alu 0xfffd
	v_cndmask_b32_e32 v28, v28, v38, vcc_lo
	v_or_b32_e32 v38, 0x400000, v24
	v_cmp_u_f32_e32 vcc_lo, v24, v24
	s_wait_alu 0xfffd
	s_delay_alu instid0(VALU_DEP_2) | instskip(SKIP_1) | instid1(VALU_DEP_2)
	v_dual_cndmask_b32 v24, v37, v38 :: v_dual_and_b32 v37, 0xffff0000, v20
	v_lshlrev_b32_e32 v20, 16, v20
	v_and_b32_e32 v24, 0xffff0000, v24
	s_delay_alu instid0(VALU_DEP_2) | instskip(NEXT) | instid1(VALU_DEP_1)
	v_dual_mul_f32 v20, v35, v20 :: v_dual_and_b32 v21, 0xffff0000, v21
	v_add_f32_e32 v21, v21, v25
	v_and_b32_e32 v25, 0xffff0000, v27
	v_and_b32_e32 v27, 0xffff0000, v18
	s_delay_alu instid0(VALU_DEP_3) | instskip(NEXT) | instid1(VALU_DEP_3)
	v_dual_add_f32 v21, v22, v21 :: v_dual_lshlrev_b32 v18, 16, v18
	v_add_f32_e32 v23, v23, v25
	v_dual_mul_f32 v22, v29, v26 :: v_dual_and_b32 v25, 0xffff0000, v28
	s_delay_alu instid0(VALU_DEP_3) | instskip(NEXT) | instid1(VALU_DEP_3)
	v_dual_mul_f32 v27, v30, v27 :: v_dual_mul_f32 v18, v36, v18
	v_add_f32_e32 v21, v23, v21
	s_delay_alu instid0(VALU_DEP_3) | instskip(NEXT) | instid1(VALU_DEP_4)
	v_add_f32_e32 v24, v24, v25
	v_bfe_u32 v26, v22, 16, 1
	v_cmp_u_f32_e32 vcc_lo, v22, v22
	s_delay_alu instid0(VALU_DEP_3) | instskip(NEXT) | instid1(VALU_DEP_3)
	v_add_f32_e32 v21, v24, v21
	v_add3_u32 v25, v26, v22, 0x7fff
	v_or_b32_e32 v26, 0x400000, v22
	v_and_b32_e32 v24, 0xffff0000, v12
	v_lshlrev_b32_e32 v12, 16, v12
	v_dual_add_f32 v62, v62, v21 :: v_dual_and_b32 v21, 0xffff0000, v10
	v_lshlrev_b32_e32 v10, 16, v10
	s_wait_alu 0xfffd
	v_dual_cndmask_b32 v22, v25, v26 :: v_dual_lshlrev_b32 v17, 16, v17
	v_bfe_u32 v25, v27, 16, 1
	v_or_b32_e32 v26, 0x400000, v27
	s_delay_alu instid0(VALU_DEP_3) | instskip(SKIP_1) | instid1(VALU_DEP_4)
	v_dual_mul_f32 v10, v36, v10 :: v_dual_mul_f32 v17, v33, v17
	v_mul_f32_e32 v12, v35, v12
	v_add3_u32 v25, v25, v27, 0x7fff
	v_dual_mul_f32 v21, v30, v21 :: v_dual_and_b32 v22, 0xffff0000, v22
	s_delay_alu instid0(VALU_DEP_4) | instskip(SKIP_2) | instid1(VALU_DEP_3)
	v_bfe_u32 v23, v17, 16, 1
	v_or_b32_e32 v28, 0x400000, v17
	v_cmp_u_f32_e32 vcc_lo, v17, v17
	v_add3_u32 v23, v23, v17, 0x7fff
	s_wait_alu 0xfffd
	s_delay_alu instid0(VALU_DEP_1)
	v_cndmask_b32_e32 v17, v23, v28, vcc_lo
	v_and_b32_e32 v23, 0xffff0000, v19
	v_lshlrev_b32_e32 v19, 16, v19
	v_bfe_u32 v28, v18, 16, 1
	v_cmp_u_f32_e32 vcc_lo, v27, v27
	v_or_b32_e32 v27, 0x400000, v18
	v_mul_f32_e32 v23, v31, v23
	v_mul_f32_e32 v19, v34, v19
	v_and_b32_e32 v17, 0xffff0000, v17
	s_wait_alu 0xfffd
	v_cndmask_b32_e32 v25, v25, v26, vcc_lo
	v_add3_u32 v26, v28, v18, 0x7fff
	v_bfe_u32 v28, v23, 16, 1
	v_cmp_u_f32_e32 vcc_lo, v18, v18
	v_bfe_u32 v38, v19, 16, 1
	v_and_b32_e32 v25, 0xffff0000, v25
	s_wait_alu 0xfffd
	v_dual_add_f32 v17, v17, v22 :: v_dual_cndmask_b32 v18, v26, v27
	v_add3_u32 v26, v28, v23, 0x7fff
	v_mul_f32_e32 v27, v32, v37
	v_or_b32_e32 v28, 0x400000, v23
	v_cmp_u_f32_e32 vcc_lo, v23, v23
	v_add3_u32 v37, v38, v19, 0x7fff
	v_or_b32_e32 v38, 0x400000, v19
	v_bfe_u32 v39, v27, 16, 1
	s_wait_alu 0xfffd
	v_dual_cndmask_b32 v23, v26, v28 :: v_dual_and_b32 v18, 0xffff0000, v18
	v_cmp_u_f32_e32 vcc_lo, v19, v19
	v_or_b32_e32 v28, 0x400000, v27
	v_add3_u32 v26, v39, v27, 0x7fff
	s_delay_alu instid0(VALU_DEP_4)
	v_add_f32_e32 v18, v18, v25
	s_wait_alu 0xfffd
	v_dual_cndmask_b32 v19, v37, v38 :: v_dual_and_b32 v22, 0xffff0000, v23
	v_bfe_u32 v37, v20, 16, 1
	v_cmp_u_f32_e32 vcc_lo, v27, v27
	v_add_f32_e32 v17, v18, v17
	v_and_b32_e32 v18, 0xffff0000, v9
	v_and_b32_e32 v19, 0xffff0000, v19
	v_add3_u32 v27, v37, v20, 0x7fff
	s_wait_alu 0xfffd
	v_cndmask_b32_e32 v26, v26, v28, vcc_lo
	v_or_b32_e32 v28, 0x400000, v20
	v_cmp_u_f32_e32 vcc_lo, v20, v20
	v_add_f32_e32 v19, v19, v22
	v_lshlrev_b32_e32 v9, 16, v9
	v_and_b32_e32 v22, 0xffff0000, v26
	v_mul_f32_e32 v18, v29, v18
	s_wait_alu 0xfffd
	s_delay_alu instid0(VALU_DEP_3) | instskip(SKIP_1) | instid1(VALU_DEP_3)
	v_dual_cndmask_b32 v20, v27, v28 :: v_dual_mul_f32 v23, v33, v9
	v_add_f32_e32 v9, v19, v17
	v_bfe_u32 v19, v18, 16, 1
	s_delay_alu instid0(VALU_DEP_3) | instskip(SKIP_1) | instid1(VALU_DEP_2)
	v_and_b32_e32 v20, 0xffff0000, v20
	v_cmp_u_f32_e32 vcc_lo, v18, v18
	v_add_f32_e32 v17, v20, v22
	v_bfe_u32 v20, v23, 16, 1
	v_or_b32_e32 v22, 0x400000, v23
	s_delay_alu instid0(VALU_DEP_3)
	v_add_f32_e32 v9, v17, v9
	v_add3_u32 v17, v19, v18, 0x7fff
	v_or_b32_e32 v19, 0x400000, v18
	v_add3_u32 v20, v20, v23, 0x7fff
	v_bfe_u32 v18, v21, 16, 1
	s_wait_alu 0xfffd
	s_delay_alu instid0(VALU_DEP_3) | instskip(SKIP_1) | instid1(VALU_DEP_3)
	v_cndmask_b32_e32 v17, v17, v19, vcc_lo
	v_cmp_u_f32_e32 vcc_lo, v23, v23
	v_add3_u32 v18, v18, v21, 0x7fff
	v_bfe_u32 v23, v10, 16, 1
	s_delay_alu instid0(VALU_DEP_4)
	v_and_b32_e32 v17, 0xffff0000, v17
	s_wait_alu 0xfffd
	v_dual_cndmask_b32 v19, v20, v22 :: v_dual_and_b32 v20, 0xffff0000, v11
	v_or_b32_e32 v22, 0x400000, v21
	v_lshlrev_b32_e32 v11, 16, v11
	v_cmp_u_f32_e32 vcc_lo, v21, v21
	v_add3_u32 v21, v23, v10, 0x7fff
	v_dual_mul_f32 v20, v31, v20 :: v_dual_and_b32 v19, 0xffff0000, v19
	s_delay_alu instid0(VALU_DEP_4)
	v_mul_f32_e32 v11, v34, v11
	s_wait_alu 0xfffd
	v_cndmask_b32_e32 v18, v18, v22, vcc_lo
	v_or_b32_e32 v22, 0x400000, v10
	v_bfe_u32 v23, v20, 16, 1
	v_cmp_u_f32_e32 vcc_lo, v10, v10
	v_bfe_u32 v25, v11, 16, 1
	v_dual_add_f32 v17, v19, v17 :: v_dual_and_b32 v18, 0xffff0000, v18
	s_wait_alu 0xfffd
	v_dual_cndmask_b32 v10, v21, v22 :: v_dual_and_b32 v19, 0xffff0000, v5
	v_add3_u32 v21, v23, v20, 0x7fff
	v_mul_f32_e32 v22, v32, v24
	v_or_b32_e32 v23, 0x400000, v20
	v_cmp_u_f32_e32 vcc_lo, v20, v20
	v_add3_u32 v24, v25, v11, 0x7fff
	v_or_b32_e32 v25, 0x400000, v11
	v_bfe_u32 v26, v22, 16, 1
	v_and_b32_e32 v10, 0xffff0000, v10
	s_wait_alu 0xfffd
	v_cndmask_b32_e32 v20, v21, v23, vcc_lo
	v_cmp_u_f32_e32 vcc_lo, v11, v11
	v_or_b32_e32 v23, 0x400000, v22
	v_add3_u32 v21, v26, v22, 0x7fff
	v_add_f32_e32 v10, v10, v18
	s_wait_alu 0xfffd
	v_dual_cndmask_b32 v11, v24, v25 :: v_dual_and_b32 v18, 0xffff0000, v20
	v_bfe_u32 v24, v12, 16, 1
	v_cmp_u_f32_e32 vcc_lo, v22, v22
	v_lshlrev_b32_e32 v5, 16, v5
	s_delay_alu instid0(VALU_DEP_4) | instskip(NEXT) | instid1(VALU_DEP_4)
	v_dual_add_f32 v10, v10, v17 :: v_dual_and_b32 v11, 0xffff0000, v11
	v_add3_u32 v22, v24, v12, 0x7fff
	s_wait_alu 0xfffd
	v_cndmask_b32_e32 v21, v21, v23, vcc_lo
	v_or_b32_e32 v23, 0x400000, v12
	v_cmp_u_f32_e32 vcc_lo, v12, v12
	v_mul_f32_e32 v17, v29, v19
	v_add_f32_e32 v11, v11, v18
	v_mul_f32_e32 v5, v33, v5
	v_and_b32_e32 v18, 0xffff0000, v21
	s_wait_alu 0xfffd
	v_dual_cndmask_b32 v12, v22, v23 :: v_dual_and_b32 v19, 0xffff0000, v6
	v_bfe_u32 v20, v17, 16, 1
	v_add_f32_e32 v10, v11, v10
	v_bfe_u32 v11, v5, 16, 1
	s_delay_alu instid0(VALU_DEP_4)
	v_and_b32_e32 v12, 0xffff0000, v12
	v_lshlrev_b32_e32 v6, 16, v6
	v_cmp_u_f32_e32 vcc_lo, v17, v17
	v_or_b32_e32 v21, 0x400000, v5
	v_add3_u32 v11, v11, v5, 0x7fff
	v_add_f32_e32 v12, v12, v18
	v_mul_f32_e32 v18, v30, v19
	v_add3_u32 v19, v20, v17, 0x7fff
	v_or_b32_e32 v20, 0x400000, v17
	v_dual_mul_f32 v6, v36, v6 :: v_dual_add_f32 v63, v63, v9
	s_delay_alu instid0(VALU_DEP_4) | instskip(SKIP_1) | instid1(VALU_DEP_3)
	v_bfe_u32 v22, v18, 16, 1
	s_wait_alu 0xfffd
	v_cndmask_b32_e32 v17, v19, v20, vcc_lo
	v_cmp_u_f32_e32 vcc_lo, v5, v5
	v_and_b32_e32 v20, 0xffff0000, v7
	v_or_b32_e32 v19, 0x400000, v18
	v_lshlrev_b32_e32 v7, 16, v7
	v_and_b32_e32 v17, 0xffff0000, v17
	s_wait_alu 0xfffd
	v_cndmask_b32_e32 v5, v11, v21, vcc_lo
	v_add3_u32 v11, v22, v18, 0x7fff
	v_bfe_u32 v21, v6, 16, 1
	v_cmp_u_f32_e32 vcc_lo, v18, v18
	v_dual_mul_f32 v18, v31, v20 :: v_dual_mul_f32 v7, v34, v7
	v_or_b32_e32 v20, 0x400000, v6
	v_and_b32_e32 v5, 0xffff0000, v5
	s_wait_alu 0xfffd
	v_cndmask_b32_e32 v11, v11, v19, vcc_lo
	v_add3_u32 v19, v21, v6, 0x7fff
	v_and_b32_e32 v21, 0xffff0000, v8
	v_bfe_u32 v22, v18, 16, 1
	v_cmp_u_f32_e32 vcc_lo, v6, v6
	v_bfe_u32 v23, v7, 16, 1
	v_lshlrev_b32_e32 v8, 16, v8
	v_and_b32_e32 v11, 0xffff0000, v11
	s_wait_alu 0xfffd
	v_dual_add_f32 v5, v5, v17 :: v_dual_cndmask_b32 v6, v19, v20
	v_mul_f32_e32 v19, v32, v21
	v_add3_u32 v20, v22, v18, 0x7fff
	v_or_b32_e32 v21, 0x400000, v18
	v_cmp_u_f32_e32 vcc_lo, v18, v18
	v_add3_u32 v22, v23, v7, 0x7fff
	v_or_b32_e32 v23, 0x400000, v7
	v_bfe_u32 v24, v19, 16, 1
	v_and_b32_e32 v6, 0xffff0000, v6
	s_wait_alu 0xfffd
	v_cndmask_b32_e32 v18, v20, v21, vcc_lo
	v_cmp_u_f32_e32 vcc_lo, v7, v7
	v_or_b32_e32 v21, 0x400000, v19
	v_add3_u32 v20, v24, v19, 0x7fff
	v_mul_f32_e32 v8, v35, v8
	v_add_f32_e32 v6, v6, v11
	s_wait_alu 0xfffd
	v_cndmask_b32_e32 v7, v22, v23, vcc_lo
	v_cmp_u_f32_e32 vcc_lo, v19, v19
	v_and_b32_e32 v11, 0xffff0000, v1
	v_and_b32_e32 v17, 0xffff0000, v18
	v_add_f32_e32 v5, v6, v5
	v_and_b32_e32 v7, 0xffff0000, v7
	s_wait_alu 0xfffd
	v_cndmask_b32_e32 v19, v20, v21, vcc_lo
	v_bfe_u32 v20, v8, 16, 1
	v_dual_mul_f32 v6, v29, v11 :: v_dual_lshlrev_b32 v1, 16, v1
	v_add_f32_e32 v7, v7, v17
	v_cmp_u_f32_e32 vcc_lo, v8, v8
	s_delay_alu instid0(VALU_DEP_4)
	v_add3_u32 v18, v20, v8, 0x7fff
	v_or_b32_e32 v20, 0x400000, v8
	v_bfe_u32 v11, v6, 16, 1
	v_add_f32_e32 v5, v7, v5
	v_and_b32_e32 v7, 0xffff0000, v2
	s_wait_alu 0xfffd
	v_dual_mul_f32 v1, v33, v1 :: v_dual_cndmask_b32 v8, v18, v20
	v_add3_u32 v11, v11, v6, 0x7fff
	v_or_b32_e32 v17, 0x400000, v6
	v_mul_f32_e32 v7, v30, v7
	v_and_b32_e32 v18, 0xffff0000, v19
	v_bfe_u32 v19, v1, 16, 1
	v_cmp_u_f32_e32 vcc_lo, v6, v6
	v_lshlrev_b32_e32 v2, 16, v2
	v_and_b32_e32 v8, 0xffff0000, v8
	v_or_b32_e32 v20, 0x400000, v1
	v_or_b32_e32 v21, 0x400000, v7
	s_wait_alu 0xfffd
	v_cndmask_b32_e32 v6, v11, v17, vcc_lo
	v_bfe_u32 v11, v7, 16, 1
	v_add3_u32 v17, v19, v1, 0x7fff
	v_dual_add_f32 v8, v8, v18 :: v_dual_and_b32 v19, 0xffff0000, v3
	v_mul_f32_e32 v2, v36, v2
	v_cmp_u_f32_e32 vcc_lo, v1, v1
	v_add3_u32 v11, v11, v7, 0x7fff
	s_delay_alu instid0(VALU_DEP_4)
	v_mul_f32_e32 v19, v31, v19
	v_lshlrev_b32_e32 v3, 16, v3
	s_wait_alu 0xfffd
	v_dual_cndmask_b32 v1, v17, v20 :: v_dual_and_b32 v6, 0xffff0000, v6
	v_bfe_u32 v17, v2, 16, 1
	v_cmp_u_f32_e32 vcc_lo, v7, v7
	v_dual_mul_f32 v3, v34, v3 :: v_dual_and_b32 v20, 0xffff0000, v4
	v_or_b32_e32 v22, 0x400000, v19
	s_delay_alu instid0(VALU_DEP_4)
	v_add3_u32 v17, v17, v2, 0x7fff
	s_wait_alu 0xfffd
	v_cndmask_b32_e32 v7, v11, v21, vcc_lo
	v_bfe_u32 v11, v19, 16, 1
	v_or_b32_e32 v21, 0x400000, v2
	v_cmp_u_f32_e32 vcc_lo, v2, v2
	v_mul_f32_e32 v20, v32, v20
	v_lshlrev_b32_e32 v4, 16, v4
	v_add3_u32 v11, v11, v19, 0x7fff
	v_and_b32_e32 v1, 0xffff0000, v1
	s_wait_alu 0xfffd
	v_cndmask_b32_e32 v2, v17, v21, vcc_lo
	v_bfe_u32 v17, v3, 16, 1
	v_cmp_u_f32_e32 vcc_lo, v19, v19
	v_bfe_u32 v21, v20, 16, 1
	v_or_b32_e32 v19, 0x400000, v3
	v_mul_f32_e32 v4, v35, v4
	v_add3_u32 v17, v17, v3, 0x7fff
	s_wait_alu 0xfffd
	v_cndmask_b32_e32 v11, v11, v22, vcc_lo
	v_cmp_u_f32_e32 vcc_lo, v3, v3
	v_add3_u32 v21, v21, v20, 0x7fff
	v_or_b32_e32 v22, 0x400000, v20
	v_and_b32_e32 v2, 0xffff0000, v2
	v_and_b32_e32 v7, 0xffff0000, v7
	s_wait_alu 0xfffd
	v_cndmask_b32_e32 v3, v17, v19, vcc_lo
	v_cmp_u_f32_e32 vcc_lo, v20, v20
	v_bfe_u32 v19, v4, 16, 1
	v_dual_add_f32 v1, v1, v6 :: v_dual_add_f32 v2, v2, v7
	s_delay_alu instid0(VALU_DEP_4)
	v_and_b32_e32 v3, 0xffff0000, v3
	s_wait_alu 0xfffd
	v_cndmask_b32_e32 v17, v21, v22, vcc_lo
	s_wait_loadcnt 0x0
	v_lshlrev_b32_e32 v21, 16, v13
	v_and_b32_e32 v6, 0xffff0000, v11
	v_and_b32_e32 v11, 0xffff0000, v13
	v_add3_u32 v19, v19, v4, 0x7fff
	v_or_b32_e32 v20, 0x400000, v4
	v_mul_f32_e32 v7, v33, v21
	v_cmp_u_f32_e32 vcc_lo, v4, v4
	v_add_f32_e32 v1, v2, v1
	v_dual_add_f32 v3, v3, v6 :: v_dual_mul_f32 v6, v29, v11
	s_delay_alu instid0(VALU_DEP_4)
	v_bfe_u32 v2, v7, 16, 1
	s_wait_alu 0xfffd
	v_dual_cndmask_b32 v4, v19, v20 :: v_dual_lshlrev_b32 v11, 16, v14
	v_or_b32_e32 v13, 0x400000, v7
	v_bfe_u32 v19, v6, 16, 1
	v_add3_u32 v2, v2, v7, 0x7fff
	s_delay_alu instid0(VALU_DEP_4) | instskip(SKIP_1) | instid1(VALU_DEP_4)
	v_dual_mul_f32 v11, v36, v11 :: v_dual_and_b32 v14, 0xffff0000, v14
	v_cmp_u_f32_e32 vcc_lo, v7, v7
	v_add3_u32 v7, v19, v6, 0x7fff
	v_lshlrev_b32_e32 v20, 16, v15
	s_delay_alu instid0(VALU_DEP_4)
	v_bfe_u32 v19, v11, 16, 1
	v_mul_f32_e32 v14, v30, v14
	s_wait_alu 0xfffd
	v_cndmask_b32_e32 v2, v2, v13, vcc_lo
	v_or_b32_e32 v13, 0x400000, v6
	v_cmp_u_f32_e32 vcc_lo, v6, v6
	v_dual_mul_f32 v20, v34, v20 :: v_dual_and_b32 v15, 0xffff0000, v15
	v_lshlrev_b32_e32 v21, 16, v16
	v_and_b32_e32 v16, 0xffff0000, v16
	s_wait_alu 0xfffd
	v_cndmask_b32_e32 v6, v7, v13, vcc_lo
	v_add3_u32 v7, v19, v11, 0x7fff
	v_or_b32_e32 v13, 0x400000, v11
	v_bfe_u32 v19, v14, 16, 1
	v_cmp_u_f32_e32 vcc_lo, v11, v11
	v_dual_mul_f32 v15, v31, v15 :: v_dual_mul_f32 v16, v32, v16
	v_and_b32_e32 v6, 0xffff0000, v6
	s_delay_alu instid0(VALU_DEP_4)
	v_add3_u32 v11, v19, v14, 0x7fff
	s_wait_alu 0xfffd
	v_cndmask_b32_e32 v7, v7, v13, vcc_lo
	v_or_b32_e32 v13, 0x400000, v14
	v_bfe_u32 v19, v20, 16, 1
	v_cmp_u_f32_e32 vcc_lo, v14, v14
	v_or_b32_e32 v22, 0x400000, v15
	v_bfe_u32 v24, v16, 16, 1
	v_and_b32_e32 v2, 0xffff0000, v2
	v_add3_u32 v14, v19, v20, 0x7fff
	s_wait_alu 0xfffd
	v_cndmask_b32_e32 v11, v11, v13, vcc_lo
	v_bfe_u32 v13, v15, 16, 1
	v_mul_f32_e32 v19, v35, v21
	v_or_b32_e32 v21, 0x400000, v20
	v_cmp_u_f32_e32 vcc_lo, v20, v20
	v_add3_u32 v20, v24, v16, 0x7fff
	v_add3_u32 v13, v13, v15, 0x7fff
	v_bfe_u32 v23, v19, 16, 1
	s_wait_alu 0xfffd
	v_dual_cndmask_b32 v14, v14, v21 :: v_dual_and_b32 v11, 0xffff0000, v11
	v_cmp_u_f32_e32 vcc_lo, v15, v15
	v_or_b32_e32 v21, 0x400000, v16
	v_add3_u32 v15, v23, v19, 0x7fff
	v_dual_add_f32 v2, v2, v6 :: v_dual_and_b32 v7, 0xffff0000, v7
	s_wait_alu 0xfffd
	v_cndmask_b32_e32 v13, v13, v22, vcc_lo
	v_cmp_u_f32_e32 vcc_lo, v16, v16
	v_or_b32_e32 v22, 0x400000, v19
	v_dual_add_f32 v6, v7, v11 :: v_dual_and_b32 v11, 0xffff0000, v14
	s_delay_alu instid0(VALU_DEP_4)
	v_and_b32_e32 v7, 0xffff0000, v13
	s_wait_alu 0xfffd
	v_cndmask_b32_e32 v16, v20, v21, vcc_lo
	v_cmp_u_f32_e32 vcc_lo, v19, v19
	v_and_b32_e32 v4, 0xffff0000, v4
	v_and_b32_e32 v14, 0xffff0000, v17
	v_add_f32_e32 v2, v6, v2
	v_add_f32_e32 v6, v11, v7
	s_wait_alu 0xfffd
	v_cndmask_b32_e32 v13, v15, v22, vcc_lo
	v_and_b32_e32 v7, 0xffff0000, v16
	v_add_f32_e32 v1, v3, v1
	v_add_f32_e32 v3, v4, v14
	s_delay_alu instid0(VALU_DEP_4) | instskip(SKIP_2) | instid1(VALU_DEP_4)
	v_dual_add_f32 v2, v6, v2 :: v_dual_and_b32 v11, 0xffff0000, v13
	v_add_f32_e32 v6, v12, v10
	v_add_f32_e32 v5, v8, v5
	;; [unrolled: 1-line block ×3, first 2 shown]
	v_cmp_le_i32_e32 vcc_lo, s13, v53
	s_delay_alu instid0(VALU_DEP_4) | instskip(NEXT) | instid1(VALU_DEP_4)
	v_dual_add_f32 v4, v11, v7 :: v_dual_add_f32 v65, v65, v6
	v_add_f32_e32 v66, v66, v5
	s_delay_alu instid0(VALU_DEP_4) | instskip(SKIP_1) | instid1(VALU_DEP_3)
	v_add_f32_e32 v64, v64, v1
	s_or_b32 s4, vcc_lo, s4
	v_add_f32_e32 v2, v4, v2
	s_delay_alu instid0(VALU_DEP_1)
	v_add_f32_e32 v57, v57, v2
	s_wait_alu 0xfffe
	s_and_not1_b32 exec_lo, exec_lo, s4
	s_cbranch_execz .LBB182_49
.LBB182_29:                             ; =>This Inner Loop Header: Depth=1
	global_load_b32 v1, v[49:50], off
	v_add_nc_u32_e32 v76, 1, v69
	v_or_b32_e32 v75, 3, v69
	v_or_b32_e32 v77, 2, v69
	;; [unrolled: 1-line block ×6, first 2 shown]
	s_wait_loadcnt 0x0
	s_wait_alu 0xfffe
	v_mad_co_i64_i32 v[1:2], null, v1, s2, 0
	s_delay_alu instid0(VALU_DEP_1) | instskip(NEXT) | instid1(VALU_DEP_1)
	v_lshlrev_b64_e32 v[1:2], 1, v[1:2]
	v_add_co_u32 v13, vcc_lo, v67, v1
	s_wait_alu 0xfffd
	s_delay_alu instid0(VALU_DEP_2)
	v_add_co_ci_u32_e64 v14, null, v68, v2, vcc_lo
	v_cmp_eq_u32_e32 vcc_lo, s3, v53
	global_load_b128 v[1:4], v[13:14], off
	ds_load_2addr_b64 v[33:36], v70 offset1:1
	ds_load_2addr_b64 v[29:32], v70 offset0:2 offset1:3
	s_and_saveexec_b32 s6, vcc_lo
	s_cbranch_execnz .LBB182_39
; %bb.30:                               ;   in Loop: Header=BB182_29 Depth=1
	s_or_b32 exec_lo, exec_lo, s6
	global_load_b128 v[5:8], v[13:14], off offset:512
	s_and_saveexec_b32 s6, vcc_lo
	s_cbranch_execnz .LBB182_40
.LBB182_31:                             ;   in Loop: Header=BB182_29 Depth=1
	s_or_b32 exec_lo, exec_lo, s6
	global_load_b128 v[9:12], v[13:14], off offset:1024
	s_and_saveexec_b32 s6, vcc_lo
	s_cbranch_execnz .LBB182_41
.LBB182_32:                             ;   in Loop: Header=BB182_29 Depth=1
	s_or_b32 exec_lo, exec_lo, s6
	global_load_b128 v[17:20], v[13:14], off offset:1536
	s_and_saveexec_b32 s6, vcc_lo
	s_cbranch_execnz .LBB182_42
.LBB182_33:                             ;   in Loop: Header=BB182_29 Depth=1
	s_or_b32 exec_lo, exec_lo, s6
	global_load_b128 v[21:24], v[13:14], off offset:2048
	s_and_saveexec_b32 s6, vcc_lo
	s_cbranch_execnz .LBB182_43
.LBB182_34:                             ;   in Loop: Header=BB182_29 Depth=1
	s_or_b32 exec_lo, exec_lo, s6
	global_load_b128 v[25:28], v[13:14], off offset:2560
	s_and_saveexec_b32 s6, vcc_lo
	s_cbranch_execnz .LBB182_44
.LBB182_35:                             ;   in Loop: Header=BB182_29 Depth=1
	s_or_b32 exec_lo, exec_lo, s6
	global_load_b128 v[37:40], v[13:14], off offset:3072
	s_and_saveexec_b32 s6, vcc_lo
	s_cbranch_execnz .LBB182_45
.LBB182_36:                             ;   in Loop: Header=BB182_29 Depth=1
	s_or_b32 exec_lo, exec_lo, s6
	global_load_b128 v[41:44], v[13:14], off offset:3584
	s_and_saveexec_b32 s6, vcc_lo
	s_cbranch_execnz .LBB182_46
.LBB182_37:                             ;   in Loop: Header=BB182_29 Depth=1
	s_or_b32 exec_lo, exec_lo, s6
	global_load_b128 v[45:48], v[13:14], off offset:4096
	s_and_saveexec_b32 s6, vcc_lo
	s_cbranch_execnz .LBB182_47
.LBB182_38:                             ;   in Loop: Header=BB182_29 Depth=1
	s_or_b32 exec_lo, exec_lo, s6
	global_load_b128 v[13:16], v[13:14], off offset:4608
	s_and_saveexec_b32 s0, vcc_lo
	s_cbranch_execz .LBB182_28
	s_branch .LBB182_48
.LBB182_39:                             ;   in Loop: Header=BB182_29 Depth=1
	v_cmp_gt_i32_e64 s0, s25, v69
	s_wait_loadcnt 0x0
	v_lshrrev_b32_e32 v5, 16, v1
	v_lshrrev_b32_e32 v6, 16, v2
	;; [unrolled: 1-line block ×4, first 2 shown]
	s_wait_alu 0xf1ff
	v_cndmask_b32_e64 v1, 0, v1, s0
	v_cmp_gt_i32_e64 s0, s5, v76
	s_wait_alu 0xf1ff
	s_delay_alu instid0(VALU_DEP_1) | instskip(SKIP_1) | instid1(VALU_DEP_2)
	v_cndmask_b32_e64 v5, 0, v5, s0
	v_cmp_gt_i32_e64 s0, s25, v77
	v_perm_b32 v1, v5, v1, 0x5040100
	s_wait_alu 0xf1ff
	s_delay_alu instid0(VALU_DEP_2) | instskip(SKIP_2) | instid1(VALU_DEP_1)
	v_cndmask_b32_e64 v2, 0, v2, s0
	v_cmp_gt_i32_e64 s0, s5, v75
	s_wait_alu 0xf1ff
	v_cndmask_b32_e64 v6, 0, v6, s0
	v_cmp_gt_i32_e64 s0, s25, v74
	s_delay_alu instid0(VALU_DEP_2) | instskip(SKIP_1) | instid1(VALU_DEP_2)
	v_perm_b32 v2, v6, v2, 0x5040100
	s_wait_alu 0xf1ff
	v_cndmask_b32_e64 v3, 0, v3, s0
	v_cmp_gt_i32_e64 s0, s5, v72
	s_wait_alu 0xf1ff
	s_delay_alu instid0(VALU_DEP_1) | instskip(SKIP_1) | instid1(VALU_DEP_2)
	v_cndmask_b32_e64 v7, 0, v7, s0
	v_cmp_gt_i32_e64 s0, s25, v73
	v_perm_b32 v3, v7, v3, 0x5040100
	s_wait_alu 0xf1ff
	s_delay_alu instid0(VALU_DEP_2) | instskip(SKIP_2) | instid1(VALU_DEP_1)
	v_cndmask_b32_e64 v4, 0, v4, s0
	v_cmp_gt_i32_e64 s0, s5, v71
	s_wait_alu 0xf1ff
	v_cndmask_b32_e64 v8, 0, v8, s0
	s_delay_alu instid0(VALU_DEP_1)
	v_perm_b32 v4, v8, v4, 0x5040100
	s_or_b32 exec_lo, exec_lo, s6
	global_load_b128 v[5:8], v[13:14], off offset:512
	s_and_saveexec_b32 s6, vcc_lo
	s_cbranch_execz .LBB182_31
.LBB182_40:                             ;   in Loop: Header=BB182_29 Depth=1
	v_cmp_gt_i32_e64 s0, s25, v69
	s_wait_loadcnt 0x0
	v_lshrrev_b32_e32 v9, 16, v5
	v_lshrrev_b32_e32 v10, 16, v6
	;; [unrolled: 1-line block ×4, first 2 shown]
	s_wait_alu 0xf1ff
	v_cndmask_b32_e64 v5, 0, v5, s0
	v_cmp_gt_i32_e64 s0, s5, v76
	s_wait_alu 0xf1ff
	s_delay_alu instid0(VALU_DEP_1) | instskip(SKIP_1) | instid1(VALU_DEP_2)
	v_cndmask_b32_e64 v9, 0, v9, s0
	v_cmp_gt_i32_e64 s0, s25, v77
	v_perm_b32 v5, v9, v5, 0x5040100
	s_wait_alu 0xf1ff
	s_delay_alu instid0(VALU_DEP_2) | instskip(SKIP_2) | instid1(VALU_DEP_1)
	v_cndmask_b32_e64 v6, 0, v6, s0
	v_cmp_gt_i32_e64 s0, s5, v75
	s_wait_alu 0xf1ff
	v_cndmask_b32_e64 v10, 0, v10, s0
	v_cmp_gt_i32_e64 s0, s25, v74
	s_delay_alu instid0(VALU_DEP_2) | instskip(SKIP_1) | instid1(VALU_DEP_2)
	v_perm_b32 v6, v10, v6, 0x5040100
	s_wait_alu 0xf1ff
	v_cndmask_b32_e64 v7, 0, v7, s0
	v_cmp_gt_i32_e64 s0, s5, v72
	s_wait_alu 0xf1ff
	s_delay_alu instid0(VALU_DEP_1) | instskip(SKIP_1) | instid1(VALU_DEP_2)
	v_cndmask_b32_e64 v11, 0, v11, s0
	v_cmp_gt_i32_e64 s0, s25, v73
	v_perm_b32 v7, v11, v7, 0x5040100
	s_wait_alu 0xf1ff
	s_delay_alu instid0(VALU_DEP_2) | instskip(SKIP_2) | instid1(VALU_DEP_1)
	v_cndmask_b32_e64 v8, 0, v8, s0
	v_cmp_gt_i32_e64 s0, s5, v71
	s_wait_alu 0xf1ff
	v_cndmask_b32_e64 v12, 0, v12, s0
	s_delay_alu instid0(VALU_DEP_1)
	v_perm_b32 v8, v12, v8, 0x5040100
	s_or_b32 exec_lo, exec_lo, s6
	global_load_b128 v[9:12], v[13:14], off offset:1024
	s_and_saveexec_b32 s6, vcc_lo
	s_cbranch_execz .LBB182_32
.LBB182_41:                             ;   in Loop: Header=BB182_29 Depth=1
	v_cmp_gt_i32_e64 s0, s25, v69
	s_wait_loadcnt 0x0
	v_lshrrev_b32_e32 v15, 16, v9
	v_lshrrev_b32_e32 v16, 16, v10
	;; [unrolled: 1-line block ×4, first 2 shown]
	s_wait_alu 0xf1ff
	v_cndmask_b32_e64 v9, 0, v9, s0
	v_cmp_gt_i32_e64 s0, s5, v76
	s_wait_alu 0xf1ff
	s_delay_alu instid0(VALU_DEP_1) | instskip(SKIP_1) | instid1(VALU_DEP_2)
	v_cndmask_b32_e64 v15, 0, v15, s0
	v_cmp_gt_i32_e64 s0, s25, v77
	v_perm_b32 v9, v15, v9, 0x5040100
	s_wait_alu 0xf1ff
	s_delay_alu instid0(VALU_DEP_2) | instskip(SKIP_2) | instid1(VALU_DEP_1)
	v_cndmask_b32_e64 v10, 0, v10, s0
	v_cmp_gt_i32_e64 s0, s5, v75
	s_wait_alu 0xf1ff
	v_cndmask_b32_e64 v16, 0, v16, s0
	v_cmp_gt_i32_e64 s0, s25, v74
	s_delay_alu instid0(VALU_DEP_2) | instskip(SKIP_1) | instid1(VALU_DEP_2)
	v_perm_b32 v10, v16, v10, 0x5040100
	s_wait_alu 0xf1ff
	v_cndmask_b32_e64 v11, 0, v11, s0
	v_cmp_gt_i32_e64 s0, s5, v72
	s_wait_alu 0xf1ff
	s_delay_alu instid0(VALU_DEP_1) | instskip(SKIP_1) | instid1(VALU_DEP_2)
	v_cndmask_b32_e64 v17, 0, v17, s0
	v_cmp_gt_i32_e64 s0, s25, v73
	v_perm_b32 v11, v17, v11, 0x5040100
	s_wait_alu 0xf1ff
	s_delay_alu instid0(VALU_DEP_2) | instskip(SKIP_2) | instid1(VALU_DEP_1)
	v_cndmask_b32_e64 v12, 0, v12, s0
	v_cmp_gt_i32_e64 s0, s5, v71
	s_wait_alu 0xf1ff
	v_cndmask_b32_e64 v18, 0, v18, s0
	s_delay_alu instid0(VALU_DEP_1)
	v_perm_b32 v12, v18, v12, 0x5040100
	s_or_b32 exec_lo, exec_lo, s6
	global_load_b128 v[17:20], v[13:14], off offset:1536
	s_and_saveexec_b32 s6, vcc_lo
	s_cbranch_execz .LBB182_33
.LBB182_42:                             ;   in Loop: Header=BB182_29 Depth=1
	v_cmp_gt_i32_e64 s0, s25, v69
	s_wait_loadcnt 0x0
	v_lshrrev_b32_e32 v15, 16, v17
	v_lshrrev_b32_e32 v22, 16, v20
	s_wait_alu 0xf1ff
	v_cndmask_b32_e64 v16, 0, v17, s0
	v_cmp_gt_i32_e64 s0, s5, v76
	v_lshrrev_b32_e32 v17, 16, v18
	s_wait_alu 0xf1ff
	s_delay_alu instid0(VALU_DEP_2) | instskip(SKIP_2) | instid1(VALU_DEP_1)
	v_cndmask_b32_e64 v15, 0, v15, s0
	v_cmp_gt_i32_e64 s0, s25, v77
	s_wait_alu 0xf1ff
	v_cndmask_b32_e64 v18, 0, v18, s0
	v_cmp_gt_i32_e64 s0, s5, v75
	s_wait_alu 0xf1ff
	s_delay_alu instid0(VALU_DEP_1) | instskip(SKIP_2) | instid1(VALU_DEP_3)
	v_cndmask_b32_e64 v21, 0, v17, s0
	v_cmp_gt_i32_e64 s0, s25, v74
	v_lshrrev_b32_e32 v17, 16, v19
	v_perm_b32 v18, v21, v18, 0x5040100
	s_wait_alu 0xf1ff
	s_delay_alu instid0(VALU_DEP_3) | instskip(SKIP_2) | instid1(VALU_DEP_1)
	v_cndmask_b32_e64 v19, 0, v19, s0
	v_cmp_gt_i32_e64 s0, s5, v72
	s_wait_alu 0xf1ff
	v_cndmask_b32_e64 v23, 0, v17, s0
	v_cmp_gt_i32_e64 s0, s25, v73
	v_perm_b32 v17, v15, v16, 0x5040100
	s_delay_alu instid0(VALU_DEP_3) | instskip(SKIP_1) | instid1(VALU_DEP_3)
	v_perm_b32 v19, v23, v19, 0x5040100
	s_wait_alu 0xf1ff
	v_cndmask_b32_e64 v20, 0, v20, s0
	v_cmp_gt_i32_e64 s0, s5, v71
	s_wait_alu 0xf1ff
	s_delay_alu instid0(VALU_DEP_1) | instskip(NEXT) | instid1(VALU_DEP_1)
	v_cndmask_b32_e64 v22, 0, v22, s0
	v_perm_b32 v20, v22, v20, 0x5040100
	s_or_b32 exec_lo, exec_lo, s6
	global_load_b128 v[21:24], v[13:14], off offset:2048
	s_and_saveexec_b32 s6, vcc_lo
	s_cbranch_execz .LBB182_34
.LBB182_43:                             ;   in Loop: Header=BB182_29 Depth=1
	v_cmp_gt_i32_e64 s0, s25, v69
	s_wait_loadcnt 0x0
	v_lshrrev_b32_e32 v15, 16, v21
	v_lshrrev_b32_e32 v26, 16, v24
	s_wait_alu 0xf1ff
	v_cndmask_b32_e64 v16, 0, v21, s0
	v_cmp_gt_i32_e64 s0, s5, v76
	v_lshrrev_b32_e32 v21, 16, v22
	s_wait_alu 0xf1ff
	s_delay_alu instid0(VALU_DEP_2) | instskip(SKIP_2) | instid1(VALU_DEP_1)
	v_cndmask_b32_e64 v15, 0, v15, s0
	v_cmp_gt_i32_e64 s0, s25, v77
	s_wait_alu 0xf1ff
	v_cndmask_b32_e64 v22, 0, v22, s0
	v_cmp_gt_i32_e64 s0, s5, v75
	s_wait_alu 0xf1ff
	s_delay_alu instid0(VALU_DEP_1) | instskip(SKIP_2) | instid1(VALU_DEP_3)
	v_cndmask_b32_e64 v25, 0, v21, s0
	v_cmp_gt_i32_e64 s0, s25, v74
	v_lshrrev_b32_e32 v21, 16, v23
	v_perm_b32 v22, v25, v22, 0x5040100
	s_wait_alu 0xf1ff
	s_delay_alu instid0(VALU_DEP_3) | instskip(SKIP_2) | instid1(VALU_DEP_1)
	v_cndmask_b32_e64 v23, 0, v23, s0
	v_cmp_gt_i32_e64 s0, s5, v72
	s_wait_alu 0xf1ff
	v_cndmask_b32_e64 v27, 0, v21, s0
	v_cmp_gt_i32_e64 s0, s25, v73
	v_perm_b32 v21, v15, v16, 0x5040100
	s_delay_alu instid0(VALU_DEP_3) | instskip(SKIP_1) | instid1(VALU_DEP_3)
	v_perm_b32 v23, v27, v23, 0x5040100
	s_wait_alu 0xf1ff
	v_cndmask_b32_e64 v24, 0, v24, s0
	v_cmp_gt_i32_e64 s0, s5, v71
	s_wait_alu 0xf1ff
	s_delay_alu instid0(VALU_DEP_1) | instskip(NEXT) | instid1(VALU_DEP_1)
	v_cndmask_b32_e64 v26, 0, v26, s0
	v_perm_b32 v24, v26, v24, 0x5040100
	s_or_b32 exec_lo, exec_lo, s6
	global_load_b128 v[25:28], v[13:14], off offset:2560
	s_and_saveexec_b32 s6, vcc_lo
	s_cbranch_execz .LBB182_35
.LBB182_44:                             ;   in Loop: Header=BB182_29 Depth=1
	v_cmp_gt_i32_e64 s0, s25, v69
	s_wait_loadcnt 0x0
	v_lshrrev_b32_e32 v15, 16, v25
	v_lshrrev_b32_e32 v38, 16, v28
	s_wait_alu 0xf1ff
	v_cndmask_b32_e64 v16, 0, v25, s0
	v_cmp_gt_i32_e64 s0, s5, v76
	v_lshrrev_b32_e32 v25, 16, v26
	s_wait_alu 0xf1ff
	s_delay_alu instid0(VALU_DEP_2) | instskip(SKIP_2) | instid1(VALU_DEP_1)
	v_cndmask_b32_e64 v15, 0, v15, s0
	v_cmp_gt_i32_e64 s0, s25, v77
	s_wait_alu 0xf1ff
	v_cndmask_b32_e64 v26, 0, v26, s0
	v_cmp_gt_i32_e64 s0, s5, v75
	s_wait_alu 0xf1ff
	s_delay_alu instid0(VALU_DEP_1) | instskip(SKIP_2) | instid1(VALU_DEP_3)
	v_cndmask_b32_e64 v37, 0, v25, s0
	v_cmp_gt_i32_e64 s0, s25, v74
	v_lshrrev_b32_e32 v25, 16, v27
	v_perm_b32 v26, v37, v26, 0x5040100
	s_wait_alu 0xf1ff
	s_delay_alu instid0(VALU_DEP_3) | instskip(SKIP_2) | instid1(VALU_DEP_1)
	v_cndmask_b32_e64 v27, 0, v27, s0
	v_cmp_gt_i32_e64 s0, s5, v72
	s_wait_alu 0xf1ff
	v_cndmask_b32_e64 v39, 0, v25, s0
	v_cmp_gt_i32_e64 s0, s25, v73
	v_perm_b32 v25, v15, v16, 0x5040100
	s_delay_alu instid0(VALU_DEP_3) | instskip(SKIP_1) | instid1(VALU_DEP_3)
	v_perm_b32 v27, v39, v27, 0x5040100
	s_wait_alu 0xf1ff
	v_cndmask_b32_e64 v28, 0, v28, s0
	v_cmp_gt_i32_e64 s0, s5, v71
	s_wait_alu 0xf1ff
	s_delay_alu instid0(VALU_DEP_1) | instskip(NEXT) | instid1(VALU_DEP_1)
	v_cndmask_b32_e64 v38, 0, v38, s0
	v_perm_b32 v28, v38, v28, 0x5040100
	s_or_b32 exec_lo, exec_lo, s6
	global_load_b128 v[37:40], v[13:14], off offset:3072
	s_and_saveexec_b32 s6, vcc_lo
	s_cbranch_execz .LBB182_36
.LBB182_45:                             ;   in Loop: Header=BB182_29 Depth=1
	v_cmp_gt_i32_e64 s0, s25, v69
	s_wait_loadcnt 0x0
	v_lshrrev_b32_e32 v15, 16, v37
	v_lshrrev_b32_e32 v42, 16, v40
	s_wait_alu 0xf1ff
	v_cndmask_b32_e64 v16, 0, v37, s0
	v_cmp_gt_i32_e64 s0, s5, v76
	v_lshrrev_b32_e32 v37, 16, v38
	s_wait_alu 0xf1ff
	s_delay_alu instid0(VALU_DEP_2) | instskip(SKIP_2) | instid1(VALU_DEP_1)
	v_cndmask_b32_e64 v15, 0, v15, s0
	v_cmp_gt_i32_e64 s0, s25, v77
	s_wait_alu 0xf1ff
	v_cndmask_b32_e64 v38, 0, v38, s0
	v_cmp_gt_i32_e64 s0, s5, v75
	s_wait_alu 0xf1ff
	s_delay_alu instid0(VALU_DEP_1) | instskip(SKIP_2) | instid1(VALU_DEP_3)
	v_cndmask_b32_e64 v41, 0, v37, s0
	v_cmp_gt_i32_e64 s0, s25, v74
	v_lshrrev_b32_e32 v37, 16, v39
	v_perm_b32 v38, v41, v38, 0x5040100
	s_wait_alu 0xf1ff
	s_delay_alu instid0(VALU_DEP_3) | instskip(SKIP_2) | instid1(VALU_DEP_1)
	v_cndmask_b32_e64 v39, 0, v39, s0
	v_cmp_gt_i32_e64 s0, s5, v72
	s_wait_alu 0xf1ff
	v_cndmask_b32_e64 v43, 0, v37, s0
	v_cmp_gt_i32_e64 s0, s25, v73
	v_perm_b32 v37, v15, v16, 0x5040100
	s_delay_alu instid0(VALU_DEP_3) | instskip(SKIP_1) | instid1(VALU_DEP_3)
	v_perm_b32 v39, v43, v39, 0x5040100
	s_wait_alu 0xf1ff
	v_cndmask_b32_e64 v40, 0, v40, s0
	v_cmp_gt_i32_e64 s0, s5, v71
	s_wait_alu 0xf1ff
	s_delay_alu instid0(VALU_DEP_1) | instskip(NEXT) | instid1(VALU_DEP_1)
	v_cndmask_b32_e64 v42, 0, v42, s0
	v_perm_b32 v40, v42, v40, 0x5040100
	s_or_b32 exec_lo, exec_lo, s6
	global_load_b128 v[41:44], v[13:14], off offset:3584
	s_and_saveexec_b32 s6, vcc_lo
	s_cbranch_execz .LBB182_37
.LBB182_46:                             ;   in Loop: Header=BB182_29 Depth=1
	v_cmp_gt_i32_e64 s0, s25, v69
	s_wait_loadcnt 0x0
	v_lshrrev_b32_e32 v15, 16, v41
	v_lshrrev_b32_e32 v46, 16, v44
	s_wait_alu 0xf1ff
	v_cndmask_b32_e64 v16, 0, v41, s0
	v_cmp_gt_i32_e64 s0, s5, v76
	v_lshrrev_b32_e32 v41, 16, v42
	s_wait_alu 0xf1ff
	s_delay_alu instid0(VALU_DEP_2) | instskip(SKIP_2) | instid1(VALU_DEP_1)
	v_cndmask_b32_e64 v15, 0, v15, s0
	v_cmp_gt_i32_e64 s0, s25, v77
	s_wait_alu 0xf1ff
	v_cndmask_b32_e64 v42, 0, v42, s0
	v_cmp_gt_i32_e64 s0, s5, v75
	s_wait_alu 0xf1ff
	s_delay_alu instid0(VALU_DEP_1) | instskip(SKIP_2) | instid1(VALU_DEP_3)
	v_cndmask_b32_e64 v45, 0, v41, s0
	v_cmp_gt_i32_e64 s0, s25, v74
	v_lshrrev_b32_e32 v41, 16, v43
	v_perm_b32 v42, v45, v42, 0x5040100
	s_wait_alu 0xf1ff
	s_delay_alu instid0(VALU_DEP_3) | instskip(SKIP_2) | instid1(VALU_DEP_1)
	v_cndmask_b32_e64 v43, 0, v43, s0
	v_cmp_gt_i32_e64 s0, s5, v72
	s_wait_alu 0xf1ff
	v_cndmask_b32_e64 v47, 0, v41, s0
	v_cmp_gt_i32_e64 s0, s25, v73
	v_perm_b32 v41, v15, v16, 0x5040100
	s_delay_alu instid0(VALU_DEP_3) | instskip(SKIP_1) | instid1(VALU_DEP_3)
	v_perm_b32 v43, v47, v43, 0x5040100
	s_wait_alu 0xf1ff
	v_cndmask_b32_e64 v44, 0, v44, s0
	v_cmp_gt_i32_e64 s0, s5, v71
	s_wait_alu 0xf1ff
	s_delay_alu instid0(VALU_DEP_1) | instskip(NEXT) | instid1(VALU_DEP_1)
	v_cndmask_b32_e64 v46, 0, v46, s0
	v_perm_b32 v44, v46, v44, 0x5040100
	s_or_b32 exec_lo, exec_lo, s6
	global_load_b128 v[45:48], v[13:14], off offset:4096
	s_and_saveexec_b32 s6, vcc_lo
	s_cbranch_execz .LBB182_38
.LBB182_47:                             ;   in Loop: Header=BB182_29 Depth=1
	v_cmp_gt_i32_e64 s0, s25, v69
	s_wait_loadcnt 0x0
	v_lshrrev_b32_e32 v15, 16, v45
	v_lshrrev_b32_e32 v79, 16, v48
	s_wait_alu 0xf1ff
	v_cndmask_b32_e64 v16, 0, v45, s0
	v_cmp_gt_i32_e64 s0, s5, v76
	v_lshrrev_b32_e32 v45, 16, v46
	s_wait_alu 0xf1ff
	s_delay_alu instid0(VALU_DEP_2) | instskip(SKIP_2) | instid1(VALU_DEP_1)
	v_cndmask_b32_e64 v15, 0, v15, s0
	v_cmp_gt_i32_e64 s0, s25, v77
	s_wait_alu 0xf1ff
	v_cndmask_b32_e64 v46, 0, v46, s0
	v_cmp_gt_i32_e64 s0, s5, v75
	s_wait_alu 0xf1ff
	s_delay_alu instid0(VALU_DEP_1) | instskip(SKIP_2) | instid1(VALU_DEP_3)
	v_cndmask_b32_e64 v78, 0, v45, s0
	v_cmp_gt_i32_e64 s0, s25, v74
	v_lshrrev_b32_e32 v45, 16, v47
	v_perm_b32 v46, v78, v46, 0x5040100
	s_wait_alu 0xf1ff
	s_delay_alu instid0(VALU_DEP_3) | instskip(SKIP_2) | instid1(VALU_DEP_1)
	v_cndmask_b32_e64 v47, 0, v47, s0
	v_cmp_gt_i32_e64 s0, s5, v72
	s_wait_alu 0xf1ff
	v_cndmask_b32_e64 v80, 0, v45, s0
	v_cmp_gt_i32_e64 s0, s25, v73
	v_perm_b32 v45, v15, v16, 0x5040100
	s_delay_alu instid0(VALU_DEP_3) | instskip(SKIP_1) | instid1(VALU_DEP_3)
	v_perm_b32 v47, v80, v47, 0x5040100
	s_wait_alu 0xf1ff
	v_cndmask_b32_e64 v48, 0, v48, s0
	v_cmp_gt_i32_e64 s0, s5, v71
	s_wait_alu 0xf1ff
	s_delay_alu instid0(VALU_DEP_1) | instskip(NEXT) | instid1(VALU_DEP_1)
	v_cndmask_b32_e64 v79, 0, v79, s0
	v_perm_b32 v48, v79, v48, 0x5040100
	s_or_b32 exec_lo, exec_lo, s6
	global_load_b128 v[13:16], v[13:14], off offset:4608
	s_and_saveexec_b32 s0, vcc_lo
	s_cbranch_execz .LBB182_28
.LBB182_48:                             ;   in Loop: Header=BB182_29 Depth=1
	v_cmp_gt_i32_e32 vcc_lo, s25, v69
	s_wait_loadcnt 0x0
	v_lshrrev_b32_e32 v78, 16, v13
	v_lshrrev_b32_e32 v79, 16, v14
	s_wait_alu 0xfffd
	v_cndmask_b32_e32 v13, 0, v13, vcc_lo
	v_cmp_gt_i32_e32 vcc_lo, s5, v76
	s_wait_alu 0xfffd
	v_cndmask_b32_e32 v76, 0, v78, vcc_lo
	v_cmp_gt_i32_e32 vcc_lo, s25, v77
	v_lshrrev_b32_e32 v77, 16, v15
	s_delay_alu instid0(VALU_DEP_3)
	v_perm_b32 v13, v76, v13, 0x5040100
	s_wait_alu 0xfffd
	v_cndmask_b32_e32 v14, 0, v14, vcc_lo
	v_cmp_gt_i32_e32 vcc_lo, s5, v75
	s_wait_alu 0xfffd
	v_cndmask_b32_e32 v75, 0, v79, vcc_lo
	v_cmp_gt_i32_e32 vcc_lo, s25, v74
	v_lshrrev_b32_e32 v74, 16, v16
	s_delay_alu instid0(VALU_DEP_3)
	v_perm_b32 v14, v75, v14, 0x5040100
	s_wait_alu 0xfffd
	v_cndmask_b32_e32 v15, 0, v15, vcc_lo
	v_cmp_gt_i32_e32 vcc_lo, s5, v72
	s_wait_alu 0xfffd
	v_cndmask_b32_e32 v72, 0, v77, vcc_lo
	v_cmp_gt_i32_e32 vcc_lo, s25, v73
	s_delay_alu instid0(VALU_DEP_2)
	v_perm_b32 v15, v72, v15, 0x5040100
	s_wait_alu 0xfffd
	v_cndmask_b32_e32 v16, 0, v16, vcc_lo
	v_cmp_gt_i32_e32 vcc_lo, s5, v71
	s_wait_alu 0xfffd
	v_cndmask_b32_e32 v71, 0, v74, vcc_lo
	s_delay_alu instid0(VALU_DEP_1)
	v_perm_b32 v16, v71, v16, 0x5040100
	s_branch .LBB182_28
.LBB182_49:
	s_or_b32 exec_lo, exec_lo, s4
.LBB182_50:
	s_wait_alu 0xfffe
	s_or_b32 exec_lo, exec_lo, s1
	ds_bpermute_b32 v1, v55, v64
	ds_bpermute_b32 v2, v55, v66
	;; [unrolled: 1-line block ×10, first 2 shown]
	v_lshrrev_b32_e32 v11, 2, v52
	v_mul_u32_u24_e32 v13, 0x140, v51
	s_mov_b32 s0, exec_lo
	s_wait_storecnt 0x0
	s_wait_loadcnt_dscnt 0x0
	s_barrier_signal -1
	s_barrier_wait -1
	global_inv scope:SCOPE_SE
	v_dual_add_f32 v1, v64, v1 :: v_dual_add_f32 v2, v66, v2
	v_dual_add_f32 v3, v65, v3 :: v_dual_add_f32 v4, v63, v4
	;; [unrolled: 1-line block ×5, first 2 shown]
	ds_bpermute_b32 v6, v54, v1
	ds_bpermute_b32 v7, v54, v2
	;; [unrolled: 1-line block ×10, first 2 shown]
	v_and_b32_e32 v9, 28, v52
	v_and_b32_e32 v26, 0x3c3, v0
	s_wait_dscnt 0x9
	v_add_f32_e32 v10, v1, v6
	s_wait_dscnt 0x8
	v_dual_add_f32 v9, v2, v7 :: v_dual_add_nc_u32 v12, 0xc0, v9
	s_wait_dscnt 0x6
	v_dual_add_f32 v8, v3, v8 :: v_dual_add_f32 v7, v4, v19
	s_wait_dscnt 0x4
	v_dual_add_f32 v6, v5, v20 :: v_dual_add_f32 v5, v14, v21
	s_wait_dscnt 0x2
	v_dual_add_f32 v4, v15, v22 :: v_dual_add_f32 v3, v16, v23
	s_wait_dscnt 0x0
	v_dual_add_f32 v2, v17, v24 :: v_dual_add_f32 v1, v18, v25
	v_cmpx_eq_u32_e32 64, v26
	s_cbranch_execz .LBB182_52
; %bb.51:
	v_add_nc_u32_e32 v14, v12, v13
	s_delay_alu instid0(VALU_DEP_1)
	v_add_nc_u32_e32 v15, 0xfffffd80, v14
	v_add_nc_u32_e32 v16, 0xfffffda0, v14
	;; [unrolled: 1-line block ×10, first 2 shown]
	ds_store_b32 v15, v10
	ds_store_b32 v16, v9
	;; [unrolled: 1-line block ×10, first 2 shown]
.LBB182_52:
	s_wait_alu 0xfffe
	s_or_b32 exec_lo, exec_lo, s0
	v_lshlrev_b32_e32 v11, 2, v11
	s_mov_b32 s1, exec_lo
	v_cmp_eq_u32_e32 vcc_lo, 0, v56
	s_wait_loadcnt_dscnt 0x0
	s_barrier_signal -1
	v_add3_u32 v11, 0xc0, v13, v11
	s_barrier_wait -1
	global_inv scope:SCOPE_SE
	v_cmpx_gt_u32_e32 64, v0
	s_cbranch_execz .LBB182_65
; %bb.53:
	s_and_saveexec_b32 s0, vcc_lo
	s_cbranch_execnz .LBB182_83
; %bb.54:
	s_wait_alu 0xfffe
	s_or_b32 exec_lo, exec_lo, s0
	s_and_saveexec_b32 s0, vcc_lo
	s_cbranch_execnz .LBB182_84
.LBB182_55:
	s_wait_alu 0xfffe
	s_or_b32 exec_lo, exec_lo, s0
	s_and_saveexec_b32 s0, vcc_lo
	s_cbranch_execnz .LBB182_85
.LBB182_56:
	s_wait_alu 0xfffe
	s_or_b32 exec_lo, exec_lo, s0
	s_and_saveexec_b32 s0, vcc_lo
	s_cbranch_execnz .LBB182_86
.LBB182_57:
	s_wait_alu 0xfffe
	s_or_b32 exec_lo, exec_lo, s0
	s_and_saveexec_b32 s0, vcc_lo
	s_cbranch_execnz .LBB182_87
.LBB182_58:
	s_wait_alu 0xfffe
	s_or_b32 exec_lo, exec_lo, s0
	s_and_saveexec_b32 s0, vcc_lo
	s_cbranch_execnz .LBB182_88
.LBB182_59:
	s_wait_alu 0xfffe
	s_or_b32 exec_lo, exec_lo, s0
	s_and_saveexec_b32 s0, vcc_lo
	s_cbranch_execnz .LBB182_89
.LBB182_60:
	s_wait_alu 0xfffe
	s_or_b32 exec_lo, exec_lo, s0
	s_and_saveexec_b32 s0, vcc_lo
	s_cbranch_execnz .LBB182_90
.LBB182_61:
	s_wait_alu 0xfffe
	s_or_b32 exec_lo, exec_lo, s0
	s_and_saveexec_b32 s0, vcc_lo
	s_cbranch_execnz .LBB182_91
.LBB182_62:
	s_wait_alu 0xfffe
	s_or_b32 exec_lo, exec_lo, s0
	s_and_saveexec_b32 s0, vcc_lo
	s_cbranch_execz .LBB182_64
.LBB182_63:
	ds_load_b32 v13, v11 offset:288
	s_wait_dscnt 0x0
	v_add_f32_e32 v1, v1, v13
.LBB182_64:
	s_wait_alu 0xfffe
	s_or_b32 exec_lo, exec_lo, s0
.LBB182_65:
	s_wait_alu 0xfffe
	s_or_b32 exec_lo, exec_lo, s1
	v_and_b32_e32 v13, 0x3e3, v0
	s_mov_b32 s1, exec_lo
	s_wait_loadcnt 0x0
	s_barrier_signal -1
	s_barrier_wait -1
	global_inv scope:SCOPE_SE
	v_cmpx_eq_u32_e32 32, v13
	s_cbranch_execz .LBB182_67
; %bb.66:
	ds_store_2addr_b32 v12, v10, v9 offset1:8
	ds_store_2addr_b32 v12, v8, v7 offset0:16 offset1:24
	ds_store_2addr_b32 v12, v6, v5 offset0:32 offset1:40
	;; [unrolled: 1-line block ×4, first 2 shown]
.LBB182_67:
	s_wait_alu 0xfffe
	s_or_b32 exec_lo, exec_lo, s1
	s_delay_alu instid0(SALU_CYCLE_1)
	s_mov_b32 s1, exec_lo
	s_wait_loadcnt_dscnt 0x0
	s_barrier_signal -1
	s_barrier_wait -1
	global_inv scope:SCOPE_SE
	v_cmpx_gt_u32_e32 32, v0
	s_cbranch_execz .LBB182_80
; %bb.68:
	s_and_saveexec_b32 s0, vcc_lo
	s_cbranch_execnz .LBB182_92
; %bb.69:
	s_wait_alu 0xfffe
	s_or_b32 exec_lo, exec_lo, s0
	s_and_saveexec_b32 s0, vcc_lo
	s_cbranch_execnz .LBB182_93
.LBB182_70:
	s_wait_alu 0xfffe
	s_or_b32 exec_lo, exec_lo, s0
	s_and_saveexec_b32 s0, vcc_lo
	s_cbranch_execnz .LBB182_94
.LBB182_71:
	s_wait_alu 0xfffe
	s_or_b32 exec_lo, exec_lo, s0
	s_and_saveexec_b32 s0, vcc_lo
	s_cbranch_execnz .LBB182_95
.LBB182_72:
	s_wait_alu 0xfffe
	s_or_b32 exec_lo, exec_lo, s0
	s_and_saveexec_b32 s0, vcc_lo
	s_cbranch_execnz .LBB182_96
.LBB182_73:
	s_wait_alu 0xfffe
	s_or_b32 exec_lo, exec_lo, s0
	s_and_saveexec_b32 s0, vcc_lo
	s_cbranch_execnz .LBB182_97
.LBB182_74:
	s_wait_alu 0xfffe
	s_or_b32 exec_lo, exec_lo, s0
	s_and_saveexec_b32 s0, vcc_lo
	s_cbranch_execnz .LBB182_98
.LBB182_75:
	s_wait_alu 0xfffe
	s_or_b32 exec_lo, exec_lo, s0
	s_and_saveexec_b32 s0, vcc_lo
	s_cbranch_execnz .LBB182_99
.LBB182_76:
	s_wait_alu 0xfffe
	s_or_b32 exec_lo, exec_lo, s0
	s_and_saveexec_b32 s0, vcc_lo
	s_cbranch_execnz .LBB182_100
.LBB182_77:
	s_wait_alu 0xfffe
	s_or_b32 exec_lo, exec_lo, s0
	s_and_saveexec_b32 s0, vcc_lo
	s_cbranch_execz .LBB182_79
.LBB182_78:
	ds_load_b32 v11, v11 offset:288
	s_wait_dscnt 0x0
	v_add_f32_e32 v1, v1, v11
.LBB182_79:
	s_wait_alu 0xfffe
	s_or_b32 exec_lo, exec_lo, s0
.LBB182_80:
	s_wait_alu 0xfffe
	s_or_b32 exec_lo, exec_lo, s1
	s_mov_b32 s1, 0
	s_wait_loadcnt 0x0
	s_barrier_signal -1
	s_barrier_wait -1
	global_inv scope:SCOPE_SE
	s_mov_b32 s0, exec_lo
	v_cmpx_eq_u32_e32 0, v13
	s_cbranch_execz .LBB182_82
; %bb.81:
	v_bfe_u32 v11, v10, 16, 1
	v_bfe_u32 v12, v9, 16, 1
	v_or_b32_e32 v13, 0x400000, v10
	v_cmp_u_f32_e32 vcc_lo, v10, v10
	v_or_b32_e32 v14, 0x400000, v9
	v_add3_u32 v11, v11, v10, 0x7fff
	v_add3_u32 v12, v12, v9, 0x7fff
	v_bfe_u32 v15, v8, 16, 1
	s_mul_i32 s2, s14, 0x50
	s_wait_kmcnt 0x0
	s_mul_i32 s4, s8, s12
	s_wait_alu 0xfffd
	v_cndmask_b32_e32 v10, v11, v13, vcc_lo
	v_cmp_u_f32_e32 vcc_lo, v9, v9
	v_bfe_u32 v11, v7, 16, 1
	v_or_b32_e32 v13, 0x400000, v8
	s_wait_alu 0xfffe
	s_ashr_i32 s3, s2, 31
	s_ashr_i32 s5, s4, 31
	s_wait_alu 0xfffd
	v_cndmask_b32_e32 v9, v12, v14, vcc_lo
	v_add3_u32 v12, v15, v8, 0x7fff
	v_cmp_u_f32_e32 vcc_lo, v8, v8
	v_add3_u32 v11, v11, v7, 0x7fff
	v_or_b32_e32 v14, 0x400000, v7
	v_bfe_u32 v15, v6, 16, 1
	s_wait_alu 0xfffe
	s_lshl_b64 s[2:3], s[2:3], 1
	s_wait_alu 0xfffd
	v_cndmask_b32_e32 v8, v12, v13, vcc_lo
	v_cmp_u_f32_e32 vcc_lo, v7, v7
	v_bfe_u32 v12, v5, 16, 1
	v_or_b32_e32 v13, 0x400000, v6
	s_lshl_b64 s[4:5], s[4:5], 1
	s_wait_alu 0xfffe
	s_add_nc_u64 s[2:3], s[10:11], s[2:3]
	s_wait_alu 0xfffd
	v_cndmask_b32_e32 v7, v11, v14, vcc_lo
	v_add3_u32 v11, v15, v6, 0x7fff
	v_cmp_u_f32_e32 vcc_lo, v6, v6
	v_bfe_u32 v14, v4, 16, 1
	v_add3_u32 v12, v12, v5, 0x7fff
	v_or_b32_e32 v15, 0x400000, v5
	v_lshrrev_b32_e32 v0, 1, v0
	s_wait_alu 0xfffd
	v_cndmask_b32_e32 v6, v11, v13, vcc_lo
	v_cmp_u_f32_e32 vcc_lo, v5, v5
	v_add3_u32 v11, v14, v4, 0x7fff
	v_or_b32_e32 v13, 0x400000, v4
	v_bfe_u32 v14, v2, 16, 1
	v_or_b32_e32 v16, 0x400000, v1
	s_wait_alu 0xfffd
	v_cndmask_b32_e32 v5, v12, v15, vcc_lo
	v_bfe_u32 v12, v3, 16, 1
	v_cmp_u_f32_e32 vcc_lo, v4, v4
	v_add3_u32 v14, v14, v2, 0x7fff
	v_or_b32_e32 v15, 0x400000, v2
	s_wait_alu 0xfffe
	s_add_nc_u64 s[2:3], s[2:3], s[4:5]
	v_add3_u32 v12, v12, v3, 0x7fff
	s_wait_alu 0xfffd
	v_cndmask_b32_e32 v4, v11, v13, vcc_lo
	v_or_b32_e32 v13, 0x400000, v3
	v_cmp_u_f32_e32 vcc_lo, v3, v3
	v_bfe_u32 v11, v1, 16, 1
	s_mul_i32 s0, s24, 0xa0
	s_wait_alu 0xfffe
	s_add_nc_u64 s[0:1], s[2:3], s[0:1]
	s_wait_alu 0xfffd
	v_cndmask_b32_e32 v3, v12, v13, vcc_lo
	v_cmp_u_f32_e32 vcc_lo, v2, v2
	v_add3_u32 v11, v11, v1, 0x7fff
	s_wait_alu 0xfffd
	v_cndmask_b32_e32 v2, v14, v15, vcc_lo
	v_cmp_u_f32_e32 vcc_lo, v1, v1
	s_wait_alu 0xfffd
	v_cndmask_b32_e32 v1, v11, v16, vcc_lo
	s_clause 0x9
	global_store_d16_hi_b16 v0, v10, s[0:1]
	global_store_d16_hi_b16 v0, v9, s[0:1] offset:16
	global_store_d16_hi_b16 v0, v8, s[0:1] offset:32
	;; [unrolled: 1-line block ×9, first 2 shown]
.LBB182_82:
	s_nop 0
	s_sendmsg sendmsg(MSG_DEALLOC_VGPRS)
	s_endpgm
.LBB182_83:
	ds_load_b32 v13, v11
	s_wait_dscnt 0x0
	v_add_f32_e32 v10, v10, v13
	s_wait_alu 0xfffe
	s_or_b32 exec_lo, exec_lo, s0
	s_and_saveexec_b32 s0, vcc_lo
	s_cbranch_execz .LBB182_55
.LBB182_84:
	ds_load_b32 v13, v11 offset:32
	s_wait_dscnt 0x0
	v_add_f32_e32 v9, v9, v13
	s_wait_alu 0xfffe
	s_or_b32 exec_lo, exec_lo, s0
	s_and_saveexec_b32 s0, vcc_lo
	s_cbranch_execz .LBB182_56
.LBB182_85:
	ds_load_b32 v13, v11 offset:64
	s_wait_dscnt 0x0
	v_add_f32_e32 v8, v8, v13
	s_wait_alu 0xfffe
	s_or_b32 exec_lo, exec_lo, s0
	s_and_saveexec_b32 s0, vcc_lo
	s_cbranch_execz .LBB182_57
.LBB182_86:
	ds_load_b32 v13, v11 offset:96
	s_wait_dscnt 0x0
	v_add_f32_e32 v7, v7, v13
	s_wait_alu 0xfffe
	s_or_b32 exec_lo, exec_lo, s0
	s_and_saveexec_b32 s0, vcc_lo
	s_cbranch_execz .LBB182_58
.LBB182_87:
	ds_load_b32 v13, v11 offset:128
	s_wait_dscnt 0x0
	v_add_f32_e32 v6, v6, v13
	s_wait_alu 0xfffe
	s_or_b32 exec_lo, exec_lo, s0
	s_and_saveexec_b32 s0, vcc_lo
	s_cbranch_execz .LBB182_59
.LBB182_88:
	ds_load_b32 v13, v11 offset:160
	s_wait_dscnt 0x0
	v_add_f32_e32 v5, v5, v13
	s_wait_alu 0xfffe
	s_or_b32 exec_lo, exec_lo, s0
	s_and_saveexec_b32 s0, vcc_lo
	s_cbranch_execz .LBB182_60
.LBB182_89:
	ds_load_b32 v13, v11 offset:192
	s_wait_dscnt 0x0
	v_add_f32_e32 v4, v4, v13
	s_wait_alu 0xfffe
	s_or_b32 exec_lo, exec_lo, s0
	s_and_saveexec_b32 s0, vcc_lo
	s_cbranch_execz .LBB182_61
.LBB182_90:
	ds_load_b32 v13, v11 offset:224
	s_wait_dscnt 0x0
	v_add_f32_e32 v3, v3, v13
	s_wait_alu 0xfffe
	s_or_b32 exec_lo, exec_lo, s0
	s_and_saveexec_b32 s0, vcc_lo
	s_cbranch_execz .LBB182_62
.LBB182_91:
	ds_load_b32 v13, v11 offset:256
	s_wait_dscnt 0x0
	v_add_f32_e32 v2, v2, v13
	s_wait_alu 0xfffe
	s_or_b32 exec_lo, exec_lo, s0
	s_and_saveexec_b32 s0, vcc_lo
	s_cbranch_execnz .LBB182_63
	s_branch .LBB182_64
.LBB182_92:
	ds_load_b32 v12, v11
	s_wait_dscnt 0x0
	v_add_f32_e32 v10, v10, v12
	s_wait_alu 0xfffe
	s_or_b32 exec_lo, exec_lo, s0
	s_and_saveexec_b32 s0, vcc_lo
	s_cbranch_execz .LBB182_70
.LBB182_93:
	ds_load_b32 v12, v11 offset:32
	s_wait_dscnt 0x0
	v_add_f32_e32 v9, v9, v12
	s_wait_alu 0xfffe
	s_or_b32 exec_lo, exec_lo, s0
	s_and_saveexec_b32 s0, vcc_lo
	s_cbranch_execz .LBB182_71
.LBB182_94:
	ds_load_b32 v12, v11 offset:64
	s_wait_dscnt 0x0
	v_add_f32_e32 v8, v8, v12
	s_wait_alu 0xfffe
	s_or_b32 exec_lo, exec_lo, s0
	s_and_saveexec_b32 s0, vcc_lo
	s_cbranch_execz .LBB182_72
.LBB182_95:
	ds_load_b32 v12, v11 offset:96
	s_wait_dscnt 0x0
	v_add_f32_e32 v7, v7, v12
	s_wait_alu 0xfffe
	s_or_b32 exec_lo, exec_lo, s0
	s_and_saveexec_b32 s0, vcc_lo
	s_cbranch_execz .LBB182_73
.LBB182_96:
	ds_load_b32 v12, v11 offset:128
	s_wait_dscnt 0x0
	v_add_f32_e32 v6, v6, v12
	s_wait_alu 0xfffe
	s_or_b32 exec_lo, exec_lo, s0
	s_and_saveexec_b32 s0, vcc_lo
	s_cbranch_execz .LBB182_74
.LBB182_97:
	ds_load_b32 v12, v11 offset:160
	s_wait_dscnt 0x0
	v_add_f32_e32 v5, v5, v12
	s_wait_alu 0xfffe
	s_or_b32 exec_lo, exec_lo, s0
	s_and_saveexec_b32 s0, vcc_lo
	s_cbranch_execz .LBB182_75
.LBB182_98:
	ds_load_b32 v12, v11 offset:192
	s_wait_dscnt 0x0
	v_add_f32_e32 v4, v4, v12
	s_wait_alu 0xfffe
	s_or_b32 exec_lo, exec_lo, s0
	s_and_saveexec_b32 s0, vcc_lo
	s_cbranch_execz .LBB182_76
.LBB182_99:
	ds_load_b32 v12, v11 offset:224
	s_wait_dscnt 0x0
	v_add_f32_e32 v3, v3, v12
	s_wait_alu 0xfffe
	s_or_b32 exec_lo, exec_lo, s0
	s_and_saveexec_b32 s0, vcc_lo
	s_cbranch_execz .LBB182_77
.LBB182_100:
	ds_load_b32 v12, v11 offset:256
	s_wait_dscnt 0x0
	v_add_f32_e32 v2, v2, v12
	s_wait_alu 0xfffe
	s_or_b32 exec_lo, exec_lo, s0
	s_and_saveexec_b32 s0, vcc_lo
	s_cbranch_execnz .LBB182_78
	s_branch .LBB182_79
	.section	.rodata,"a",@progbits
	.p2align	6, 0x0
	.amdhsa_kernel _ZN4vllm25paged_attention_v2_kernelI14__hip_bfloat16S1_Li80ELi32ELi128ELNS_18Fp8KVCacheDataTypeE0ELb0ELi512EEEvPfS3_PT_PKS4_PKT0_SA_ifPKiSC_iPKfiiiSE_SE_iiiii
		.amdhsa_group_segment_fixed_size 192
		.amdhsa_private_segment_fixed_size 0
		.amdhsa_kernarg_size 400
		.amdhsa_user_sgpr_count 2
		.amdhsa_user_sgpr_dispatch_ptr 0
		.amdhsa_user_sgpr_queue_ptr 0
		.amdhsa_user_sgpr_kernarg_segment_ptr 1
		.amdhsa_user_sgpr_dispatch_id 0
		.amdhsa_user_sgpr_private_segment_size 0
		.amdhsa_wavefront_size32 1
		.amdhsa_uses_dynamic_stack 0
		.amdhsa_enable_private_segment 0
		.amdhsa_system_sgpr_workgroup_id_x 1
		.amdhsa_system_sgpr_workgroup_id_y 1
		.amdhsa_system_sgpr_workgroup_id_z 1
		.amdhsa_system_sgpr_workgroup_info 0
		.amdhsa_system_vgpr_workitem_id 0
		.amdhsa_next_free_vgpr 178
		.amdhsa_next_free_sgpr 32
		.amdhsa_reserve_vcc 1
		.amdhsa_float_round_mode_32 0
		.amdhsa_float_round_mode_16_64 0
		.amdhsa_float_denorm_mode_32 3
		.amdhsa_float_denorm_mode_16_64 3
		.amdhsa_fp16_overflow 0
		.amdhsa_workgroup_processor_mode 1
		.amdhsa_memory_ordered 1
		.amdhsa_forward_progress 1
		.amdhsa_inst_pref_size 119
		.amdhsa_round_robin_scheduling 0
		.amdhsa_exception_fp_ieee_invalid_op 0
		.amdhsa_exception_fp_denorm_src 0
		.amdhsa_exception_fp_ieee_div_zero 0
		.amdhsa_exception_fp_ieee_overflow 0
		.amdhsa_exception_fp_ieee_underflow 0
		.amdhsa_exception_fp_ieee_inexact 0
		.amdhsa_exception_int_div_zero 0
	.end_amdhsa_kernel
	.section	.text._ZN4vllm25paged_attention_v2_kernelI14__hip_bfloat16S1_Li80ELi32ELi128ELNS_18Fp8KVCacheDataTypeE0ELb0ELi512EEEvPfS3_PT_PKS4_PKT0_SA_ifPKiSC_iPKfiiiSE_SE_iiiii,"axG",@progbits,_ZN4vllm25paged_attention_v2_kernelI14__hip_bfloat16S1_Li80ELi32ELi128ELNS_18Fp8KVCacheDataTypeE0ELb0ELi512EEEvPfS3_PT_PKS4_PKT0_SA_ifPKiSC_iPKfiiiSE_SE_iiiii,comdat
.Lfunc_end182:
	.size	_ZN4vllm25paged_attention_v2_kernelI14__hip_bfloat16S1_Li80ELi32ELi128ELNS_18Fp8KVCacheDataTypeE0ELb0ELi512EEEvPfS3_PT_PKS4_PKT0_SA_ifPKiSC_iPKfiiiSE_SE_iiiii, .Lfunc_end182-_ZN4vllm25paged_attention_v2_kernelI14__hip_bfloat16S1_Li80ELi32ELi128ELNS_18Fp8KVCacheDataTypeE0ELb0ELi512EEEvPfS3_PT_PKS4_PKT0_SA_ifPKiSC_iPKfiiiSE_SE_iiiii
                                        ; -- End function
	.set _ZN4vllm25paged_attention_v2_kernelI14__hip_bfloat16S1_Li80ELi32ELi128ELNS_18Fp8KVCacheDataTypeE0ELb0ELi512EEEvPfS3_PT_PKS4_PKT0_SA_ifPKiSC_iPKfiiiSE_SE_iiiii.num_vgpr, 178
	.set _ZN4vllm25paged_attention_v2_kernelI14__hip_bfloat16S1_Li80ELi32ELi128ELNS_18Fp8KVCacheDataTypeE0ELb0ELi512EEEvPfS3_PT_PKS4_PKT0_SA_ifPKiSC_iPKfiiiSE_SE_iiiii.num_agpr, 0
	.set _ZN4vllm25paged_attention_v2_kernelI14__hip_bfloat16S1_Li80ELi32ELi128ELNS_18Fp8KVCacheDataTypeE0ELb0ELi512EEEvPfS3_PT_PKS4_PKT0_SA_ifPKiSC_iPKfiiiSE_SE_iiiii.numbered_sgpr, 32
	.set _ZN4vllm25paged_attention_v2_kernelI14__hip_bfloat16S1_Li80ELi32ELi128ELNS_18Fp8KVCacheDataTypeE0ELb0ELi512EEEvPfS3_PT_PKS4_PKT0_SA_ifPKiSC_iPKfiiiSE_SE_iiiii.num_named_barrier, 0
	.set _ZN4vllm25paged_attention_v2_kernelI14__hip_bfloat16S1_Li80ELi32ELi128ELNS_18Fp8KVCacheDataTypeE0ELb0ELi512EEEvPfS3_PT_PKS4_PKT0_SA_ifPKiSC_iPKfiiiSE_SE_iiiii.private_seg_size, 0
	.set _ZN4vllm25paged_attention_v2_kernelI14__hip_bfloat16S1_Li80ELi32ELi128ELNS_18Fp8KVCacheDataTypeE0ELb0ELi512EEEvPfS3_PT_PKS4_PKT0_SA_ifPKiSC_iPKfiiiSE_SE_iiiii.uses_vcc, 1
	.set _ZN4vllm25paged_attention_v2_kernelI14__hip_bfloat16S1_Li80ELi32ELi128ELNS_18Fp8KVCacheDataTypeE0ELb0ELi512EEEvPfS3_PT_PKS4_PKT0_SA_ifPKiSC_iPKfiiiSE_SE_iiiii.uses_flat_scratch, 0
	.set _ZN4vllm25paged_attention_v2_kernelI14__hip_bfloat16S1_Li80ELi32ELi128ELNS_18Fp8KVCacheDataTypeE0ELb0ELi512EEEvPfS3_PT_PKS4_PKT0_SA_ifPKiSC_iPKfiiiSE_SE_iiiii.has_dyn_sized_stack, 0
	.set _ZN4vllm25paged_attention_v2_kernelI14__hip_bfloat16S1_Li80ELi32ELi128ELNS_18Fp8KVCacheDataTypeE0ELb0ELi512EEEvPfS3_PT_PKS4_PKT0_SA_ifPKiSC_iPKfiiiSE_SE_iiiii.has_recursion, 0
	.set _ZN4vllm25paged_attention_v2_kernelI14__hip_bfloat16S1_Li80ELi32ELi128ELNS_18Fp8KVCacheDataTypeE0ELb0ELi512EEEvPfS3_PT_PKS4_PKT0_SA_ifPKiSC_iPKfiiiSE_SE_iiiii.has_indirect_call, 0
	.section	.AMDGPU.csdata,"",@progbits
; Kernel info:
; codeLenInByte = 15216
; TotalNumSgprs: 34
; NumVgprs: 178
; ScratchSize: 0
; MemoryBound: 0
; FloatMode: 240
; IeeeMode: 1
; LDSByteSize: 192 bytes/workgroup (compile time only)
; SGPRBlocks: 0
; VGPRBlocks: 22
; NumSGPRsForWavesPerEU: 34
; NumVGPRsForWavesPerEU: 178
; Occupancy: 8
; WaveLimiterHint : 1
; COMPUTE_PGM_RSRC2:SCRATCH_EN: 0
; COMPUTE_PGM_RSRC2:USER_SGPR: 2
; COMPUTE_PGM_RSRC2:TRAP_HANDLER: 0
; COMPUTE_PGM_RSRC2:TGID_X_EN: 1
; COMPUTE_PGM_RSRC2:TGID_Y_EN: 1
; COMPUTE_PGM_RSRC2:TGID_Z_EN: 1
; COMPUTE_PGM_RSRC2:TIDIG_COMP_CNT: 0
	.section	.text._ZN4vllm25paged_attention_v2_kernelI14__hip_bfloat16S1_Li96ELi32ELi128ELNS_18Fp8KVCacheDataTypeE0ELb0ELi512EEEvPfS3_PT_PKS4_PKT0_SA_ifPKiSC_iPKfiiiSE_SE_iiiii,"axG",@progbits,_ZN4vllm25paged_attention_v2_kernelI14__hip_bfloat16S1_Li96ELi32ELi128ELNS_18Fp8KVCacheDataTypeE0ELb0ELi512EEEvPfS3_PT_PKS4_PKT0_SA_ifPKiSC_iPKfiiiSE_SE_iiiii,comdat
	.protected	_ZN4vllm25paged_attention_v2_kernelI14__hip_bfloat16S1_Li96ELi32ELi128ELNS_18Fp8KVCacheDataTypeE0ELb0ELi512EEEvPfS3_PT_PKS4_PKT0_SA_ifPKiSC_iPKfiiiSE_SE_iiiii ; -- Begin function _ZN4vllm25paged_attention_v2_kernelI14__hip_bfloat16S1_Li96ELi32ELi128ELNS_18Fp8KVCacheDataTypeE0ELb0ELi512EEEvPfS3_PT_PKS4_PKT0_SA_ifPKiSC_iPKfiiiSE_SE_iiiii
	.globl	_ZN4vllm25paged_attention_v2_kernelI14__hip_bfloat16S1_Li96ELi32ELi128ELNS_18Fp8KVCacheDataTypeE0ELb0ELi512EEEvPfS3_PT_PKS4_PKT0_SA_ifPKiSC_iPKfiiiSE_SE_iiiii
	.p2align	8
	.type	_ZN4vllm25paged_attention_v2_kernelI14__hip_bfloat16S1_Li96ELi32ELi128ELNS_18Fp8KVCacheDataTypeE0ELb0ELi512EEEvPfS3_PT_PKS4_PKT0_SA_ifPKiSC_iPKfiiiSE_SE_iiiii,@function
_ZN4vllm25paged_attention_v2_kernelI14__hip_bfloat16S1_Li96ELi32ELi128ELNS_18Fp8KVCacheDataTypeE0ELb0ELi512EEEvPfS3_PT_PKS4_PKT0_SA_ifPKiSC_iPKfiiiSE_SE_iiiii: ; @_ZN4vllm25paged_attention_v2_kernelI14__hip_bfloat16S1_Li96ELi32ELi128ELNS_18Fp8KVCacheDataTypeE0ELb0ELi512EEEvPfS3_PT_PKS4_PKT0_SA_ifPKiSC_iPKfiiiSE_SE_iiiii
; %bb.0:
	s_load_b64 s[2:3], s[0:1], 0x40
	s_and_b32 s14, ttmp7, 0xffff
	s_lshr_b32 s24, ttmp7, 16
	s_lshl_b32 s4, s14, 2
	s_lshl_b32 s26, s24, 9
	s_wait_kmcnt 0x0
	s_load_b32 s25, s[2:3], s4 offset:0x0
	s_wait_kmcnt 0x0
	s_cmp_ge_i32 s26, s25
	s_cbranch_scc1 .LBB183_90
; %bb.1:
	s_clause 0x1
	s_load_b32 s15, s[0:1], 0x90
	s_load_b64 s[4:5], s[0:1], 0x30
	s_wait_kmcnt 0x0
	s_abs_i32 s7, s15
	s_abs_i32 s2, s4
	s_xor_b32 s4, s15, s4
	s_cvt_f32_u32 s3, s2
	s_sub_co_i32 s6, 0, s2
	s_ashr_i32 s4, s4, 31
	s_delay_alu instid0(SALU_CYCLE_1) | instskip(NEXT) | instid1(TRANS32_DEP_1)
	v_rcp_iflag_f32_e32 v1, s3
	v_readfirstlane_b32 s3, v1
	s_mul_f32 s3, s3, 0x4f7ffffe
	s_wait_alu 0xfffe
	s_delay_alu instid0(SALU_CYCLE_2) | instskip(SKIP_1) | instid1(SALU_CYCLE_2)
	s_cvt_u32_f32 s3, s3
	s_wait_alu 0xfffe
	s_mul_i32 s6, s6, s3
	s_delay_alu instid0(SALU_CYCLE_1) | instskip(NEXT) | instid1(SALU_CYCLE_1)
	s_mul_hi_u32 s6, s3, s6
	s_add_co_i32 s3, s3, s6
	s_wait_alu 0xfffe
	s_mul_hi_u32 s3, s7, s3
	s_wait_alu 0xfffe
	s_mul_i32 s6, s3, s2
	s_delay_alu instid0(SALU_CYCLE_1)
	s_sub_co_i32 s6, s7, s6
	s_add_co_i32 s7, s3, 1
	s_sub_co_i32 s8, s6, s2
	s_cmp_ge_u32 s6, s2
	s_cselect_b32 s3, s7, s3
	s_cselect_b32 s6, s8, s6
	s_wait_alu 0xfffe
	s_add_co_i32 s7, s3, 1
	s_cmp_ge_u32 s6, s2
	s_load_b64 s[8:9], s[0:1], 0x50
	s_cselect_b32 s2, s7, s3
	s_mov_b32 s3, 0
	s_wait_alu 0xfffe
	s_xor_b32 s2, s2, s4
	s_mov_b32 s7, s3
	s_wait_alu 0xfffe
	s_sub_co_i32 s12, s2, s4
	s_delay_alu instid0(SALU_CYCLE_1) | instskip(NEXT) | instid1(SALU_CYCLE_1)
	s_abs_i32 s11, s12
	s_cvt_f32_u32 s2, s11
	s_wait_alu 0xfffe
	s_delay_alu instid0(SALU_CYCLE_2) | instskip(NEXT) | instid1(TRANS32_DEP_1)
	v_rcp_iflag_f32_e32 v1, s2
	v_readfirstlane_b32 s2, v1
	s_mul_f32 s2, s2, 0x4f7ffffe
	s_wait_alu 0xfffe
	s_delay_alu instid0(SALU_CYCLE_2) | instskip(SKIP_2) | instid1(SALU_CYCLE_1)
	s_cvt_u32_f32 s4, s2
	s_sub_co_i32 s2, 0, s11
	s_wait_alu 0xfffe
	s_mul_i32 s2, s2, s4
	s_wait_alu 0xfffe
	s_mul_hi_u32 s6, s4, s2
	s_abs_i32 s2, ttmp9
	s_add_co_i32 s6, s4, s6
	s_wait_kmcnt 0x0
	s_cmp_eq_u64 s[8:9], 0
	s_mov_b32 s4, s3
	s_cbranch_scc1 .LBB183_3
; %bb.2:
	s_mov_b32 s16, ttmp9
	s_ashr_i32 s17, ttmp9, 31
	s_delay_alu instid0(SALU_CYCLE_1) | instskip(NEXT) | instid1(SALU_CYCLE_1)
	s_lshl_b64 s[16:17], s[16:17], 2
	s_add_nc_u64 s[8:9], s[8:9], s[16:17]
	s_load_b32 s4, s[8:9], 0x0
.LBB183_3:
	s_load_b96 s[8:10], s[0:1], 0x58
	v_lshlrev_b32_e32 v43, 4, v0
	s_mul_u64 s[6:7], s[2:3], s[6:7]
	s_ashr_i32 s3, ttmp9, 31
	s_ashr_i32 s6, s12, 31
	s_mul_i32 s12, ttmp9, 0x60
	s_mov_b32 s16, exec_lo
	v_cmpx_gt_u32_e32 12, v0
	s_cbranch_execz .LBB183_5
; %bb.4:
	s_load_b64 s[18:19], s[0:1], 0x18
	s_wait_kmcnt 0x0
	s_mul_i32 s20, s8, s14
	s_ashr_i32 s13, s12, 31
	s_ashr_i32 s21, s20, 31
	s_delay_alu instid0(SALU_CYCLE_1) | instskip(NEXT) | instid1(SALU_CYCLE_1)
	s_lshl_b64 s[20:21], s[20:21], 1
	s_add_nc_u64 s[18:19], s[18:19], s[20:21]
	s_lshl_b64 s[20:21], s[12:13], 1
	s_delay_alu instid0(SALU_CYCLE_1)
	s_add_nc_u64 s[18:19], s[18:19], s[20:21]
	global_load_b128 v[1:4], v43, s[18:19]
	s_wait_loadcnt 0x0
	ds_store_b128 v43, v[1:4]
.LBB183_5:
	s_or_b32 exec_lo, exec_lo, s16
	s_wait_kmcnt 0x0
	s_add_co_i32 s8, s25, 31
	s_lshl_b32 s28, s24, 4
	s_ashr_i32 s13, s8, 31
	s_mul_i32 s19, s7, s11
	s_lshr_b32 s13, s13, 27
	s_sub_co_i32 s2, s2, s19
	s_add_co_i32 s8, s8, s13
	s_add_co_i32 s13, s28, 16
	s_ashr_i32 s27, s8, 5
	s_clause 0x2
	s_load_b64 s[16:17], s[0:1], 0x38
	s_load_b32 s8, s[0:1], 0x98
	s_load_b32 s18, s[0:1], 0x48
	s_min_i32 s13, s13, s27
	s_xor_b32 s3, s3, s6
	s_add_co_i32 s6, s7, 1
	s_sub_co_i32 s19, s2, s11
	s_cmp_ge_u32 s2, s11
	v_lshrrev_b32_e32 v59, 5, v0
	s_cselect_b32 s6, s6, s7
	s_cselect_b32 s2, s19, s2
	s_add_co_i32 s7, s6, 1
	s_wait_alu 0xfffe
	s_cmp_ge_u32 s2, s11
	v_and_b32_e32 v60, 31, v0
	v_dual_mov_b32 v138, 0xff7fffff :: v_dual_add_nc_u32 v61, s28, v59
	s_cselect_b32 s2, s7, s6
	v_lshlrev_b32_e32 v45, 5, v59
	s_wait_alu 0xfffe
	s_xor_b32 s2, s2, s3
	v_lshlrev_b32_e32 v46, 2, v60
	s_wait_alu 0xfffe
	s_sub_co_i32 s3, s2, s3
	v_cmp_gt_i32_e64 s2, s13, v61
	v_lshlrev_b32_e32 v44, 2, v61
	s_wait_kmcnt 0x0
	s_mul_i32 s18, s18, s14
	s_wait_alu 0xfffe
	s_mul_i32 s20, s3, s10
	s_ashr_i32 s19, s18, 31
	s_wait_dscnt 0x0
	s_barrier_signal -1
	s_barrier_wait -1
	global_inv scope:SCOPE_SE
	s_and_saveexec_b32 s6, s2
	s_cbranch_execz .LBB183_9
; %bb.6:
	v_mov_b32_e32 v41, 0
	s_load_b64 s[10:11], s[0:1], 0x20
	s_ashr_i32 s21, s20, 31
	v_add3_u32 v150, s26, v45, v60
	s_lshl_b64 s[22:23], s[20:21], 1
	ds_load_b128 v[1:4], v41
	ds_load_b128 v[5:8], v41 offset:16
	ds_load_b128 v[9:12], v41 offset:32
	;; [unrolled: 1-line block ×9, first 2 shown]
	s_cmp_neq_f32 s4, 0
	s_mov_b32 s7, 0
	v_dual_mov_b32 v151, v61 :: v_dual_mov_b32 v138, 0xff7fffff
	s_cselect_b32 vcc_lo, -1, 0
	s_wait_dscnt 0x9
	v_and_b32_e32 v47, 0xffff0000, v1
	v_lshlrev_b32_e32 v48, 16, v1
	v_and_b32_e32 v49, 0xffff0000, v2
	v_lshlrev_b32_e32 v50, 16, v2
	;; [unrolled: 2-line block ×4, first 2 shown]
	ds_load_b128 v[1:4], v41 offset:160
	s_wait_dscnt 0x9
	v_and_b32_e32 v55, 0xffff0000, v5
	v_lshlrev_b32_e32 v56, 16, v5
	v_and_b32_e32 v57, 0xffff0000, v6
	v_lshlrev_b32_e32 v58, 16, v6
	;; [unrolled: 2-line block ×4, first 2 shown]
	ds_load_b128 v[5:8], v41 offset:176
	s_wait_kmcnt 0x0
	s_add_nc_u64 s[10:11], s[10:11], s[22:23]
	s_lshl_b64 s[22:23], s[18:19], 2
	s_wait_dscnt 0x9
	v_and_b32_e32 v66, 0xffff0000, v9
	s_add_nc_u64 s[22:23], s[16:17], s[22:23]
	v_lshlrev_b32_e32 v67, 16, v9
	v_add_co_u32 v41, s3, s22, v44
	s_wait_alu 0xf1ff
	v_add_co_ci_u32_e64 v42, null, s23, 0, s3
	s_wait_dscnt 0x8
	v_and_b32_e32 v68, 0xffff0000, v13
	s_wait_dscnt 0x1
	v_and_b32_e32 v130, 0xffff0000, v1
	v_lshlrev_b32_e32 v131, 16, v1
	v_lshl_or_b32 v1, v59, 7, v46
	v_lshlrev_b32_e32 v69, 16, v13
	v_and_b32_e32 v70, 0xffff0000, v17
	v_lshlrev_b32_e32 v71, 16, v17
	v_and_b32_e32 v72, 0xffff0000, v21
	v_add_nc_u32_e32 v147, 0xe0, v1
	v_lshlrev_b32_e32 v1, 4, v60
	v_lshlrev_b32_e32 v73, 16, v21
	v_and_b32_e32 v74, 0xffff0000, v25
	v_lshlrev_b32_e32 v75, 16, v25
	v_and_b32_e32 v76, 0xffff0000, v29
	v_add_co_u32 v148, s3, s10, v1
	v_lshlrev_b32_e32 v77, 16, v29
	v_and_b32_e32 v78, 0xffff0000, v33
	v_lshlrev_b32_e32 v79, 16, v33
	v_and_b32_e32 v80, 0xffff0000, v37
	;; [unrolled: 2-line block ×29, first 2 shown]
	v_lshlrev_b32_e32 v137, 16, v4
	s_wait_dscnt 0x0
	v_and_b32_e32 v139, 0xffff0000, v5
	v_lshlrev_b32_e32 v140, 16, v5
	v_and_b32_e32 v141, 0xffff0000, v6
	v_lshlrev_b32_e32 v142, 16, v6
	;; [unrolled: 2-line block ×4, first 2 shown]
	s_wait_alu 0xf1ff
	v_add_co_ci_u32_e64 v149, null, s11, 0, s3
	s_mov_b32 s10, s9
	s_sub_co_i32 s11, 1, s25
.LBB183_7:                              ; =>This Inner Loop Header: Depth=1
	global_load_b32 v1, v[41:42], off
	v_add_nc_u32_e32 v151, 4, v151
	s_wait_loadcnt 0x0
	s_wait_alu 0xfffe
	v_mad_co_i64_i32 v[1:2], null, v1, s10, 0
	s_delay_alu instid0(VALU_DEP_1) | instskip(NEXT) | instid1(VALU_DEP_1)
	v_lshlrev_b64_e32 v[1:2], 1, v[1:2]
	v_add_co_u32 v153, s3, v148, v1
	v_add_nc_u32_e32 v1, s11, v150
	s_wait_alu 0xf1ff
	s_delay_alu instid0(VALU_DEP_3) | instskip(SKIP_3) | instid1(VALU_DEP_1)
	v_add_co_ci_u32_e64 v154, null, v149, v2, s3
	v_cmp_gt_i32_e64 s3, s25, v150
	v_add_nc_u32_e32 v150, 0x80, v150
	v_cvt_f32_i32_e32 v1, v1
	v_mul_f32_e32 v1, s4, v1
	s_delay_alu instid0(VALU_DEP_1)
	v_cndmask_b32_e32 v152, 0, v1, vcc_lo
	global_load_b128 v[1:4], v[153:154], off
	s_wait_loadcnt 0x0
	v_and_b32_e32 v160, 0xffff0000, v1
	v_lshlrev_b32_e32 v159, 16, v1
	v_lshlrev_b32_e32 v161, 16, v2
	v_and_b32_e32 v162, 0xffff0000, v2
	v_lshlrev_b32_e32 v163, 16, v3
	v_and_b32_e32 v164, 0xffff0000, v3
	v_lshlrev_b32_e32 v155, 16, v4
	v_and_b32_e32 v156, 0xffff0000, v4
	global_load_b128 v[1:4], v[153:154], off offset:512
	s_wait_loadcnt 0x0
	v_and_b32_e32 v167, 0xffff0000, v2
	v_lshlrev_b32_e32 v168, 16, v2
	v_lshlrev_b32_e32 v166, 16, v1
	v_and_b32_e32 v169, 0xffff0000, v3
	v_lshlrev_b32_e32 v170, 16, v3
	v_and_b32_e32 v165, 0xffff0000, v1
	v_and_b32_e32 v157, 0xffff0000, v4
	v_lshlrev_b32_e32 v158, 16, v4
	s_clause 0x9
	global_load_b128 v[37:40], v[153:154], off offset:1024
	global_load_b128 v[33:36], v[153:154], off offset:1536
	;; [unrolled: 1-line block ×10, first 2 shown]
	v_dual_mul_f32 v153, v56, v166 :: v_dual_mul_f32 v154, v55, v165
	s_delay_alu instid0(VALU_DEP_1) | instskip(SKIP_2) | instid1(VALU_DEP_1)
	v_dual_fmac_f32 v154, v47, v160 :: v_dual_fmac_f32 v153, v48, v159
	s_wait_loadcnt 0x9
	v_and_b32_e32 v159, 0xffff0000, v37
	v_dual_fmac_f32 v154, v66, v159 :: v_dual_lshlrev_b32 v37, 16, v37
	s_delay_alu instid0(VALU_DEP_1) | instskip(SKIP_3) | instid1(VALU_DEP_2)
	v_fmac_f32_e32 v153, v67, v37
	s_wait_loadcnt 0x8
	v_lshlrev_b32_e32 v37, 16, v33
	v_and_b32_e32 v33, 0xffff0000, v33
	v_fmac_f32_e32 v153, v69, v37
	s_delay_alu instid0(VALU_DEP_2) | instskip(SKIP_3) | instid1(VALU_DEP_2)
	v_fmac_f32_e32 v154, v68, v33
	s_wait_loadcnt 0x7
	v_and_b32_e32 v33, 0xffff0000, v29
	v_lshlrev_b32_e32 v29, 16, v29
	v_fmac_f32_e32 v154, v70, v33
	s_delay_alu instid0(VALU_DEP_2) | instskip(SKIP_3) | instid1(VALU_DEP_2)
	v_fmac_f32_e32 v153, v71, v29
	s_wait_loadcnt 0x6
	v_lshlrev_b32_e32 v29, 16, v25
	v_and_b32_e32 v25, 0xffff0000, v25
	v_fmac_f32_e32 v153, v73, v29
	s_delay_alu instid0(VALU_DEP_2) | instskip(SKIP_3) | instid1(VALU_DEP_2)
	v_fmac_f32_e32 v154, v72, v25
	s_wait_loadcnt 0x5
	v_and_b32_e32 v25, 0xffff0000, v21
	v_lshlrev_b32_e32 v21, 16, v21
	v_fmac_f32_e32 v154, v74, v25
	s_delay_alu instid0(VALU_DEP_2) | instskip(SKIP_3) | instid1(VALU_DEP_2)
	;; [unrolled: 12-line block ×3, first 2 shown]
	v_fmac_f32_e32 v153, v79, v13
	s_wait_loadcnt 0x2
	v_lshlrev_b32_e32 v13, 16, v9
	v_and_b32_e32 v9, 0xffff0000, v9
	v_fmac_f32_e32 v153, v81, v13
	s_delay_alu instid0(VALU_DEP_2) | instskip(SKIP_3) | instid1(VALU_DEP_2)
	v_fmac_f32_e32 v154, v80, v9
	s_wait_loadcnt 0x1
	v_and_b32_e32 v9, 0xffff0000, v5
	v_lshlrev_b32_e32 v5, 16, v5
	v_dual_fmac_f32 v154, v130, v9 :: v_dual_lshlrev_b32 v13, 16, v38
	s_delay_alu instid0(VALU_DEP_2) | instskip(SKIP_4) | instid1(VALU_DEP_3)
	v_fmac_f32_e32 v153, v131, v5
	s_wait_loadcnt 0x0
	v_lshlrev_b32_e32 v5, 16, v1
	v_and_b32_e32 v1, 0xffff0000, v1
	v_and_b32_e32 v9, 0xffff0000, v38
	v_fmac_f32_e32 v153, v140, v5
	s_delay_alu instid0(VALU_DEP_3) | instskip(SKIP_1) | instid1(VALU_DEP_2)
	v_dual_fmac_f32 v154, v139, v1 :: v_dual_mul_f32 v5, v58, v168
	v_mul_f32_e32 v1, v57, v167
	v_fmac_f32_e32 v5, v50, v161
	s_delay_alu instid0(VALU_DEP_2) | instskip(NEXT) | instid1(VALU_DEP_2)
	v_fmac_f32_e32 v1, v49, v162
	v_fmac_f32_e32 v5, v83, v13
	s_delay_alu instid0(VALU_DEP_2) | instskip(SKIP_2) | instid1(VALU_DEP_2)
	v_fmac_f32_e32 v1, v82, v9
	v_lshlrev_b32_e32 v9, 16, v34
	v_and_b32_e32 v13, 0xffff0000, v34
	v_fmac_f32_e32 v5, v85, v9
	s_delay_alu instid0(VALU_DEP_2) | instskip(SKIP_2) | instid1(VALU_DEP_2)
	v_fmac_f32_e32 v1, v84, v13
	v_and_b32_e32 v9, 0xffff0000, v30
	v_lshlrev_b32_e32 v13, 16, v30
	v_fmac_f32_e32 v1, v86, v9
	s_delay_alu instid0(VALU_DEP_2) | instskip(SKIP_2) | instid1(VALU_DEP_2)
	v_fmac_f32_e32 v5, v87, v13
	v_lshlrev_b32_e32 v9, 16, v26
	v_and_b32_e32 v13, 0xffff0000, v26
	v_fmac_f32_e32 v5, v89, v9
	s_delay_alu instid0(VALU_DEP_2) | instskip(SKIP_2) | instid1(VALU_DEP_2)
	v_fmac_f32_e32 v1, v88, v13
	v_and_b32_e32 v9, 0xffff0000, v22
	v_lshlrev_b32_e32 v13, 16, v22
	;; [unrolled: 10-line block ×3, first 2 shown]
	v_fmac_f32_e32 v1, v94, v9
	s_delay_alu instid0(VALU_DEP_2) | instskip(SKIP_1) | instid1(VALU_DEP_1)
	v_fmac_f32_e32 v5, v95, v13
	v_lshlrev_b32_e32 v9, 16, v10
	v_dual_fmac_f32 v5, v97, v9 :: v_dual_and_b32 v10, 0xffff0000, v10
	s_delay_alu instid0(VALU_DEP_1) | instskip(SKIP_2) | instid1(VALU_DEP_2)
	v_fmac_f32_e32 v1, v96, v10
	v_and_b32_e32 v9, 0xffff0000, v6
	v_lshlrev_b32_e32 v6, 16, v6
	v_dual_fmac_f32 v1, v132, v9 :: v_dual_lshlrev_b32 v10, 16, v39
	s_delay_alu instid0(VALU_DEP_2) | instskip(SKIP_3) | instid1(VALU_DEP_3)
	v_fmac_f32_e32 v5, v133, v6
	v_lshlrev_b32_e32 v6, 16, v2
	v_and_b32_e32 v2, 0xffff0000, v2
	v_and_b32_e32 v9, 0xffff0000, v39
	v_fmac_f32_e32 v5, v142, v6
	s_delay_alu instid0(VALU_DEP_3) | instskip(SKIP_2) | instid1(VALU_DEP_2)
	v_fmac_f32_e32 v1, v141, v2
	v_mul_f32_e32 v2, v63, v170
	v_mul_f32_e32 v6, v62, v169
	v_fmac_f32_e32 v2, v52, v163
	s_delay_alu instid0(VALU_DEP_2) | instskip(NEXT) | instid1(VALU_DEP_2)
	v_fmac_f32_e32 v6, v51, v164
	v_fmac_f32_e32 v2, v99, v10
	s_delay_alu instid0(VALU_DEP_2) | instskip(SKIP_1) | instid1(VALU_DEP_2)
	v_dual_fmac_f32 v6, v98, v9 :: v_dual_lshlrev_b32 v9, 16, v35
	v_and_b32_e32 v10, 0xffff0000, v35
	v_fmac_f32_e32 v2, v101, v9
	s_delay_alu instid0(VALU_DEP_2) | instskip(SKIP_1) | instid1(VALU_DEP_2)
	v_dual_fmac_f32 v6, v100, v10 :: v_dual_and_b32 v9, 0xffff0000, v31
	v_lshlrev_b32_e32 v10, 16, v31
	v_fmac_f32_e32 v6, v104, v9
	s_delay_alu instid0(VALU_DEP_2) | instskip(SKIP_1) | instid1(VALU_DEP_2)
	v_dual_fmac_f32 v2, v105, v10 :: v_dual_lshlrev_b32 v9, 16, v27
	v_and_b32_e32 v10, 0xffff0000, v27
	v_fmac_f32_e32 v2, v109, v9
	s_delay_alu instid0(VALU_DEP_2) | instskip(SKIP_1) | instid1(VALU_DEP_2)
	v_dual_fmac_f32 v6, v108, v10 :: v_dual_and_b32 v9, 0xffff0000, v23
	v_lshlrev_b32_e32 v10, 16, v23
	;; [unrolled: 8-line block ×3, first 2 shown]
	v_fmac_f32_e32 v6, v120, v9
	s_delay_alu instid0(VALU_DEP_2) | instskip(SKIP_1) | instid1(VALU_DEP_2)
	v_dual_fmac_f32 v2, v121, v10 :: v_dual_lshlrev_b32 v9, 16, v11
	v_and_b32_e32 v10, 0xffff0000, v11
	v_fmac_f32_e32 v2, v125, v9
	s_delay_alu instid0(VALU_DEP_2) | instskip(SKIP_2) | instid1(VALU_DEP_3)
	v_dual_fmac_f32 v6, v124, v10 :: v_dual_and_b32 v9, 0xffff0000, v7
	v_lshlrev_b32_e32 v7, 16, v7
	v_lshlrev_b32_e32 v10, 16, v40
	v_fmac_f32_e32 v6, v134, v9
	s_delay_alu instid0(VALU_DEP_3) | instskip(SKIP_2) | instid1(VALU_DEP_2)
	v_fmac_f32_e32 v2, v135, v7
	v_lshlrev_b32_e32 v7, 16, v3
	v_and_b32_e32 v3, 0xffff0000, v3
	v_dual_fmac_f32 v2, v144, v7 :: v_dual_and_b32 v9, 0xffff0000, v40
	s_delay_alu instid0(VALU_DEP_2) | instskip(SKIP_1) | instid1(VALU_DEP_2)
	v_dual_fmac_f32 v6, v143, v3 :: v_dual_mul_f32 v3, v65, v158
	v_mul_f32_e32 v7, v64, v157
	v_fmac_f32_e32 v3, v54, v155
	s_delay_alu instid0(VALU_DEP_2) | instskip(NEXT) | instid1(VALU_DEP_2)
	v_fmac_f32_e32 v7, v53, v156
	v_fmac_f32_e32 v3, v103, v10
	s_delay_alu instid0(VALU_DEP_2) | instskip(SKIP_1) | instid1(VALU_DEP_1)
	v_fmac_f32_e32 v7, v102, v9
	v_lshlrev_b32_e32 v9, 16, v36
	v_dual_fmac_f32 v3, v107, v9 :: v_dual_and_b32 v10, 0xffff0000, v36
	s_delay_alu instid0(VALU_DEP_1) | instskip(SKIP_1) | instid1(VALU_DEP_1)
	v_fmac_f32_e32 v7, v106, v10
	v_and_b32_e32 v9, 0xffff0000, v32
	v_dual_fmac_f32 v7, v110, v9 :: v_dual_lshlrev_b32 v10, 16, v32
	s_delay_alu instid0(VALU_DEP_1) | instskip(SKIP_1) | instid1(VALU_DEP_1)
	v_fmac_f32_e32 v3, v111, v10
	v_lshlrev_b32_e32 v9, 16, v28
	v_dual_fmac_f32 v3, v115, v9 :: v_dual_and_b32 v10, 0xffff0000, v28
	s_delay_alu instid0(VALU_DEP_1) | instskip(SKIP_1) | instid1(VALU_DEP_1)
	v_fmac_f32_e32 v7, v114, v10
	v_and_b32_e32 v9, 0xffff0000, v24
	v_dual_fmac_f32 v7, v118, v9 :: v_dual_lshlrev_b32 v10, 16, v24
	s_delay_alu instid0(VALU_DEP_1) | instskip(SKIP_1) | instid1(VALU_DEP_1)
	v_fmac_f32_e32 v3, v119, v10
	v_lshlrev_b32_e32 v9, 16, v20
	v_dual_fmac_f32 v3, v123, v9 :: v_dual_and_b32 v10, 0xffff0000, v20
	s_delay_alu instid0(VALU_DEP_1) | instskip(SKIP_1) | instid1(VALU_DEP_1)
	v_fmac_f32_e32 v7, v122, v10
	v_and_b32_e32 v9, 0xffff0000, v16
	v_dual_fmac_f32 v7, v126, v9 :: v_dual_lshlrev_b32 v10, 16, v16
	s_delay_alu instid0(VALU_DEP_1) | instskip(SKIP_1) | instid1(VALU_DEP_1)
	v_fmac_f32_e32 v3, v127, v10
	v_lshlrev_b32_e32 v9, 16, v12
	v_dual_fmac_f32 v3, v129, v9 :: v_dual_and_b32 v10, 0xffff0000, v12
	s_delay_alu instid0(VALU_DEP_1) | instskip(SKIP_1) | instid1(VALU_DEP_1)
	v_fmac_f32_e32 v7, v128, v10
	v_and_b32_e32 v9, 0xffff0000, v8
	v_dual_fmac_f32 v7, v136, v9 :: v_dual_lshlrev_b32 v8, 16, v8
	s_delay_alu instid0(VALU_DEP_1) | instskip(SKIP_2) | instid1(VALU_DEP_2)
	v_fmac_f32_e32 v3, v137, v8
	v_lshlrev_b32_e32 v8, 16, v4
	v_and_b32_e32 v4, 0xffff0000, v4
	v_fmac_f32_e32 v3, v146, v8
	s_delay_alu instid0(VALU_DEP_2) | instskip(SKIP_1) | instid1(VALU_DEP_1)
	v_fmac_f32_e32 v7, v145, v4
	v_add_f32_e32 v4, v153, v154
	v_add_f32_e32 v4, v4, v5
	s_delay_alu instid0(VALU_DEP_1) | instskip(NEXT) | instid1(VALU_DEP_1)
	v_add_f32_e32 v1, v1, v4
	v_add_f32_e32 v1, v2, v1
	v_max_num_f32_e32 v2, v138, v138
	s_delay_alu instid0(VALU_DEP_2) | instskip(NEXT) | instid1(VALU_DEP_1)
	v_add_f32_e32 v1, v6, v1
	v_add_f32_e32 v1, v3, v1
	s_delay_alu instid0(VALU_DEP_1) | instskip(NEXT) | instid1(VALU_DEP_1)
	v_add_f32_e32 v1, v7, v1
	v_fmac_f32_e32 v152, s5, v1
	s_delay_alu instid0(VALU_DEP_1) | instskip(SKIP_2) | instid1(VALU_DEP_2)
	v_max_num_f32_e32 v2, v2, v152
	s_wait_alu 0xf1ff
	v_cndmask_b32_e64 v1, 0, v152, s3
	v_cndmask_b32_e64 v138, v138, v2, s3
	v_add_co_u32 v41, s3, v41, 16
	s_wait_alu 0xf1ff
	v_add_co_ci_u32_e64 v42, null, 0, v42, s3
	v_cmp_le_i32_e64 s3, s13, v151
	ds_store_b32 v147, v1
	v_add_nc_u32_e32 v147, 0x200, v147
	s_or_b32 s7, s3, s7
	s_delay_alu instid0(SALU_CYCLE_1)
	s_and_not1_b32 exec_lo, exec_lo, s7
	s_cbranch_execnz .LBB183_7
; %bb.8:
	s_or_b32 exec_lo, exec_lo, s7
.LBB183_9:
	s_delay_alu instid0(SALU_CYCLE_1)
	s_or_b32 exec_lo, exec_lo, s6
	v_mbcnt_lo_u32_b32 v1, -1, 0
	s_clause 0x2
	s_load_b128 s[4:7], s[0:1], 0x0
	s_load_b64 s[10:11], s[0:1], 0x10
	s_load_b64 s[22:23], s[0:1], 0x28
	v_xor_b32_e32 v2, 16, v1
	v_xor_b32_e32 v4, 8, v1
	s_delay_alu instid0(VALU_DEP_2) | instskip(SKIP_2) | instid1(VALU_DEP_3)
	v_cmp_gt_i32_e32 vcc_lo, 32, v2
	s_wait_alu 0xfffd
	v_cndmask_b32_e32 v2, v1, v2, vcc_lo
	v_cmp_gt_i32_e32 vcc_lo, 32, v4
	v_max_num_f32_e32 v5, v138, v138
	s_delay_alu instid0(VALU_DEP_3)
	v_lshlrev_b32_e32 v2, 2, v2
	s_wait_alu 0xfffd
	v_cndmask_b32_e32 v4, v1, v4, vcc_lo
	ds_bpermute_b32 v3, v2, v138
	s_wait_dscnt 0x0
	v_dual_max_num_f32 v6, v3, v3 :: v_dual_lshlrev_b32 v3, 2, v4
	s_delay_alu instid0(VALU_DEP_1)
	v_max_num_f32_e32 v4, v5, v6
	v_xor_b32_e32 v6, 4, v1
	ds_bpermute_b32 v5, v3, v4
	v_cmp_gt_i32_e32 vcc_lo, 32, v6
	s_wait_alu 0xfffd
	v_cndmask_b32_e32 v6, v1, v6, vcc_lo
	s_wait_dscnt 0x0
	v_max_num_f32_e32 v7, v5, v5
	s_delay_alu instid0(VALU_DEP_1)
	v_dual_max_num_f32 v4, v4, v7 :: v_dual_lshlrev_b32 v5, 2, v6
	v_xor_b32_e32 v7, 2, v1
	ds_bpermute_b32 v6, v5, v4
	v_cmp_gt_i32_e32 vcc_lo, 32, v7
	s_wait_dscnt 0x0
	s_wait_alu 0xfffd
	v_dual_cndmask_b32 v7, v1, v7 :: v_dual_max_num_f32 v6, v6, v6
	s_delay_alu instid0(VALU_DEP_1) | instskip(SKIP_1) | instid1(VALU_DEP_1)
	v_lshlrev_b32_e32 v63, 2, v7
	v_xor_b32_e32 v7, 1, v1
	v_cmp_gt_i32_e32 vcc_lo, 32, v7
	s_wait_alu 0xfffd
	v_dual_max_num_f32 v4, v4, v6 :: v_dual_cndmask_b32 v7, v1, v7
	ds_bpermute_b32 v6, v63, v4
	v_cmp_eq_u32_e32 vcc_lo, 0, v60
	v_lshlrev_b32_e32 v62, 2, v7
	s_wait_dscnt 0x0
	v_max_num_f32_e32 v6, v6, v6
	s_delay_alu instid0(VALU_DEP_1)
	v_dual_max_num_f32 v1, v4, v6 :: v_dual_lshlrev_b32 v6, 2, v59
	ds_bpermute_b32 v4, v62, v1
	s_and_saveexec_b32 s0, vcc_lo
	s_cbranch_execz .LBB183_11
; %bb.10:
	s_wait_dscnt 0x0
	v_dual_max_num_f32 v4, v4, v4 :: v_dual_max_num_f32 v1, v1, v1
	s_delay_alu instid0(VALU_DEP_1)
	v_max_num_f32_e32 v1, v1, v4
	ds_store_b32 v6, v1 offset:192
.LBB183_11:
	s_or_b32 exec_lo, exec_lo, s0
	v_cmp_gt_u32_e64 s0, 4, v60
	v_mov_b32_e32 v1, 0xff7fffff
	s_wait_loadcnt_dscnt 0x0
	s_barrier_signal -1
	s_barrier_wait -1
	global_inv scope:SCOPE_SE
	s_and_saveexec_b32 s1, s0
; %bb.12:
	ds_load_b32 v1, v46 offset:192
; %bb.13:
	s_or_b32 exec_lo, exec_lo, s1
	s_wait_dscnt 0x0
	ds_bpermute_b32 v4, v63, v1
	v_max_num_f32_e32 v1, v1, v1
	s_sub_co_i32 s1, s13, s28
	v_mov_b32_e32 v7, 0
	s_lshl_b32 s1, s1, 5
	s_delay_alu instid0(SALU_CYCLE_1) | instskip(NEXT) | instid1(SALU_CYCLE_1)
	s_add_co_i32 s1, s1, s26
	s_min_i32 s1, s1, s25
	s_delay_alu instid0(SALU_CYCLE_1) | instskip(NEXT) | instid1(SALU_CYCLE_1)
	s_sub_co_i32 s21, s1, s26
	v_cmp_gt_i32_e64 s1, s21, v0
	s_wait_dscnt 0x0
	v_max_num_f32_e32 v4, v4, v4
	s_delay_alu instid0(VALU_DEP_1) | instskip(SKIP_3) | instid1(VALU_DEP_1)
	v_max_num_f32_e32 v1, v1, v4
	ds_bpermute_b32 v4, v62, v1
	s_wait_dscnt 0x0
	v_max_num_f32_e32 v4, v4, v4
	v_max_num_f32_e32 v1, v1, v4
	v_lshl_add_u32 v4, v0, 2, 0xe0
	ds_bpermute_b32 v1, v7, v1
	s_and_saveexec_b32 s28, s1
	s_cbranch_execz .LBB183_17
; %bb.14:
	v_lshl_add_u32 v8, v0, 2, 0xe0
	v_mov_b32_e32 v7, 0
	v_mov_b32_e32 v9, v0
	s_mov_b32 s29, 0
.LBB183_15:                             ; =>This Inner Loop Header: Depth=1
	ds_load_b32 v10, v8
	v_add_nc_u32_e32 v9, 0x80, v9
	s_delay_alu instid0(VALU_DEP_1) | instskip(SKIP_4) | instid1(VALU_DEP_1)
	v_cmp_le_i32_e64 s3, s21, v9
	s_wait_alu 0xfffe
	s_or_b32 s29, s3, s29
	s_wait_dscnt 0x0
	v_sub_f32_e32 v10, v10, v1
	v_mul_f32_e32 v10, 0x3fb8aa3b, v10
	s_delay_alu instid0(VALU_DEP_1)
	v_exp_f32_e32 v10, v10
	ds_store_b32 v8, v10
	v_dual_add_f32 v7, v7, v10 :: v_dual_add_nc_u32 v8, 0x200, v8
	s_wait_alu 0xfffe
	s_and_not1_b32 exec_lo, exec_lo, s29
	s_cbranch_execnz .LBB183_15
; %bb.16:
	s_or_b32 exec_lo, exec_lo, s29
.LBB183_17:
	s_wait_alu 0xfffe
	s_or_b32 exec_lo, exec_lo, s28
	ds_bpermute_b32 v2, v2, v7
	s_wait_dscnt 0x0
	v_add_f32_e32 v2, v7, v2
	ds_bpermute_b32 v3, v3, v2
	s_wait_dscnt 0x0
	v_add_f32_e32 v2, v2, v3
	;; [unrolled: 3-line block ×5, first 2 shown]
	s_and_saveexec_b32 s3, vcc_lo
; %bb.18:
	ds_store_b32 v6, v2 offset:208
; %bb.19:
	s_wait_alu 0xfffe
	s_or_b32 exec_lo, exec_lo, s3
	s_wait_loadcnt_dscnt 0x0
	s_barrier_signal -1
	s_barrier_wait -1
	global_inv scope:SCOPE_SE
	s_and_saveexec_b32 s3, s0
; %bb.20:
	ds_load_b32 v2, v46 offset:208
; %bb.21:
	s_wait_alu 0xfffe
	s_or_b32 exec_lo, exec_lo, s3
	s_wait_dscnt 0x0
	ds_bpermute_b32 v3, v63, v2
	s_wait_dscnt 0x0
	v_add_f32_e32 v2, v2, v3
	ds_bpermute_b32 v3, v62, v2
	s_wait_dscnt 0x0
	v_dual_add_f32 v2, v2, v3 :: v_dual_mov_b32 v3, 0
	ds_bpermute_b32 v2, v3, v2
	s_and_saveexec_b32 s0, s1
	s_cbranch_execz .LBB183_24
; %bb.22:
	s_wait_dscnt 0x0
	v_add_f32_e32 v3, 0x358637bd, v2
	s_mov_b32 s1, 0
	s_delay_alu instid0(VALU_DEP_1) | instskip(SKIP_1) | instid1(VALU_DEP_2)
	v_div_scale_f32 v5, null, v3, v3, 1.0
	v_div_scale_f32 v8, vcc_lo, 1.0, v3, 1.0
	v_rcp_f32_e32 v6, v5
	s_delay_alu instid0(TRANS32_DEP_1) | instskip(NEXT) | instid1(VALU_DEP_1)
	v_fma_f32 v7, -v5, v6, 1.0
	v_fmac_f32_e32 v6, v7, v6
	s_delay_alu instid0(VALU_DEP_1) | instskip(NEXT) | instid1(VALU_DEP_1)
	v_mul_f32_e32 v7, v8, v6
	v_fma_f32 v9, -v5, v7, v8
	s_delay_alu instid0(VALU_DEP_1) | instskip(NEXT) | instid1(VALU_DEP_1)
	v_fmac_f32_e32 v7, v9, v6
	v_fma_f32 v5, -v5, v7, v8
	s_wait_alu 0xfffd
	s_delay_alu instid0(VALU_DEP_1) | instskip(NEXT) | instid1(VALU_DEP_1)
	v_div_fmas_f32 v5, v5, v6, v7
	v_div_fixup_f32 v3, v5, v3, 1.0
	v_mov_b32_e32 v5, v0
.LBB183_23:                             ; =>This Inner Loop Header: Depth=1
	ds_load_b32 v6, v4
	s_wait_dscnt 0x0
	v_dual_mul_f32 v6, v3, v6 :: v_dual_add_nc_u32 v5, 0x80, v5
	s_delay_alu instid0(VALU_DEP_1) | instskip(SKIP_3) | instid1(SALU_CYCLE_1)
	v_cmp_le_i32_e32 vcc_lo, s21, v5
	ds_store_b32 v4, v6
	v_add_nc_u32_e32 v4, 0x200, v4
	s_or_b32 s1, vcc_lo, s1
	s_and_not1_b32 exec_lo, exec_lo, s1
	s_cbranch_execnz .LBB183_23
.LBB183_24:
	s_or_b32 exec_lo, exec_lo, s0
	s_mul_i32 s0, s8, s14
	s_wait_loadcnt_dscnt 0x0
	s_mul_i32 s14, s0, s15
	s_mov_b32 s0, exec_lo
	s_barrier_signal -1
	s_barrier_wait -1
	global_inv scope:SCOPE_SE
	v_cmpx_eq_u32_e32 0, v0
	s_cbranch_execz .LBB183_26
; %bb.25:
	s_ashr_i32 s15, s14, 31
	s_mul_i32 s28, s8, ttmp9
	s_lshl_b32 s1, s24, 2
	s_lshl_b64 s[30:31], s[14:15], 2
	s_wait_alu 0xfffe
	s_ashr_i32 s29, s28, 31
	v_mov_b32_e32 v3, s1
	s_wait_kmcnt 0x0
	s_add_nc_u64 s[6:7], s[6:7], s[30:31]
	s_wait_alu 0xfffe
	s_lshl_b64 s[28:29], s[28:29], 2
	s_add_nc_u64 s[4:5], s[4:5], s[30:31]
	s_wait_alu 0xfffe
	s_add_nc_u64 s[6:7], s[6:7], s[28:29]
	s_add_nc_u64 s[4:5], s[4:5], s[28:29]
	s_clause 0x1
	global_store_b32 v3, v1, s[6:7]
	global_store_b32 v3, v2, s[4:5]
.LBB183_26:
	s_or_b32 exec_lo, exec_lo, s0
	v_dual_mov_b32 v74, 0 :: v_dual_mov_b32 v75, 0
	v_dual_mov_b32 v73, 0 :: v_dual_and_b32 v64, 3, v0
	v_dual_mov_b32 v76, 0 :: v_dual_mov_b32 v71, 0
	v_dual_mov_b32 v72, 0 :: v_dual_mov_b32 v69, 0
	;; [unrolled: 1-line block ×4, first 2 shown]
	v_mov_b32_e32 v66, 0
	s_and_saveexec_b32 s1, s2
	s_cbranch_execz .LBB183_54
; %bb.27:
	s_ashr_i32 s21, s20, 31
	v_dual_mov_b32 v70, 0 :: v_dual_and_b32 v3, 0x1f0, v43
	s_wait_kmcnt 0x0
	s_wait_alu 0xfffe
	s_lshl_b64 s[4:5], s[20:21], 1
	v_dual_mov_b32 v66, 0 :: v_dual_lshlrev_b32 v1, 3, v0
	v_dual_mov_b32 v65, 0 :: v_dual_lshlrev_b32 v2, 5, v64
	s_wait_alu 0xfffe
	s_add_nc_u64 s[4:5], s[22:23], s[4:5]
	s_delay_alu instid0(VALU_DEP_2)
	v_dual_mov_b32 v68, 0 :: v_dual_and_b32 v1, 24, v1
	s_wait_alu 0xfffe
	v_add_co_u32 v77, s0, s4, v3
	s_wait_alu 0xf1ff
	v_add_co_ci_u32_e64 v78, null, s5, 0, s0
	s_lshl_b64 s[4:5], s[18:19], 2
	v_lshl_or_b32 v2, v59, 7, v2
	s_wait_alu 0xfffe
	s_add_nc_u64 s[4:5], s[16:17], s[4:5]
	v_add3_u32 v79, s26, v45, v1
	s_wait_alu 0xfffe
	v_add_co_u32 v57, s0, s4, v44
	v_dual_mov_b32 v67, 0 :: v_dual_add_nc_u32 v80, 0xe0, v2
	s_wait_alu 0xf1ff
	v_add_co_ci_u32_e64 v58, null, s5, 0, s0
	v_dual_mov_b32 v69, 0 :: v_dual_mov_b32 v72, 0
	v_dual_mov_b32 v71, 0 :: v_dual_mov_b32 v76, 0
	;; [unrolled: 1-line block ×3, first 2 shown]
	v_mov_b32_e32 v75, 0
	s_mov_b32 s2, s9
	s_add_co_i32 s3, s27, -1
	s_mov_b32 s5, s25
	s_mov_b32 s4, 0
	s_branch .LBB183_29
.LBB183_28:                             ;   in Loop: Header=BB183_29 Depth=1
	s_wait_alu 0xfffe
	s_or_b32 exec_lo, exec_lo, s0
	s_wait_dscnt 0x1
	v_bfe_u32 v81, v41, 16, 1
	v_bfe_u32 v82, v42, 16, 1
	v_or_b32_e32 v83, 0x400000, v41
	v_cmp_u_f32_e32 vcc_lo, v41, v41
	v_or_b32_e32 v84, 0x400000, v42
	v_add3_u32 v81, v81, v41, 0x7fff
	v_bfe_u32 v85, v43, 16, 1
	v_add3_u32 v82, v82, v42, 0x7fff
	v_bfe_u32 v86, v44, 16, 1
	v_add_nc_u32_e32 v61, 4, v61
	s_wait_alu 0xfffd
	v_cndmask_b32_e32 v41, v81, v83, vcc_lo
	v_cmp_u_f32_e32 vcc_lo, v42, v42
	v_add3_u32 v81, v85, v43, 0x7fff
	s_wait_dscnt 0x0
	v_bfe_u32 v83, v33, 16, 1
	v_or_b32_e32 v85, 0x400000, v44
	v_add_co_u32 v57, s0, v57, 16
	s_wait_alu 0xfffd
	v_cndmask_b32_e32 v42, v82, v84, vcc_lo
	v_or_b32_e32 v82, 0x400000, v43
	v_cmp_u_f32_e32 vcc_lo, v43, v43
	v_add3_u32 v84, v86, v44, 0x7fff
	v_add_nc_u32_e32 v79, 0x80, v79
	s_wait_alu 0xf1ff
	v_add_co_ci_u32_e64 v58, null, 0, v58, s0
	s_wait_alu 0xfffd
	v_cndmask_b32_e32 v43, v81, v82, vcc_lo
	v_cmp_u_f32_e32 vcc_lo, v44, v44
	v_add3_u32 v81, v83, v33, 0x7fff
	v_or_b32_e32 v82, 0x400000, v33
	v_bfe_u32 v83, v34, 16, 1
	v_and_b32_e32 v41, 0xffff0000, v41
	s_wait_alu 0xfffd
	v_cndmask_b32_e32 v44, v84, v85, vcc_lo
	v_cmp_u_f32_e32 vcc_lo, v33, v33
	v_or_b32_e32 v84, 0x400000, v34
	v_add3_u32 v83, v83, v34, 0x7fff
	v_or_b32_e32 v85, 0x400000, v35
	s_wait_alu 0xfffd
	v_dual_cndmask_b32 v81, v81, v82 :: v_dual_add_nc_u32 v80, 0x200, v80
	v_bfe_u32 v82, v35, 16, 1
	v_cmp_u_f32_e32 vcc_lo, v34, v34
	v_and_b32_e32 v33, 0xffff0000, v42
	s_wait_loadcnt 0x1
	v_and_b32_e32 v42, 0xffff0000, v53
	v_add3_u32 v82, v82, v35, 0x7fff
	s_wait_alu 0xfffd
	v_cndmask_b32_e32 v34, v83, v84, vcc_lo
	v_bfe_u32 v83, v36, 16, 1
	v_mul_f32_e32 v42, v33, v42
	v_cmp_u_f32_e32 vcc_lo, v35, v35
	v_or_b32_e32 v84, 0x400000, v36
	v_and_b32_e32 v34, 0xffff0000, v34
	v_add3_u32 v83, v83, v36, 0x7fff
	v_bfe_u32 v35, v42, 16, 1
	s_wait_alu 0xfffd
	v_cndmask_b32_e32 v82, v82, v85, vcc_lo
	v_cmp_u_f32_e32 vcc_lo, v36, v36
	v_lshlrev_b32_e32 v53, 16, v53
	v_or_b32_e32 v86, 0x400000, v42
	v_add3_u32 v85, v35, v42, 0x7fff
	v_and_b32_e32 v35, 0xffff0000, v44
	v_and_b32_e32 v44, 0xffff0000, v54
	s_wait_alu 0xfffd
	v_dual_cndmask_b32 v36, v83, v84 :: v_dual_mul_f32 v53, v41, v53
	v_cmp_u_f32_e32 vcc_lo, v42, v42
	v_and_b32_e32 v42, 0xffff0000, v43
	v_lshlrev_b32_e32 v43, 16, v54
	s_delay_alu instid0(VALU_DEP_4)
	v_and_b32_e32 v36, 0xffff0000, v36
	v_bfe_u32 v84, v53, 16, 1
	s_wait_alu 0xfffd
	v_cndmask_b32_e32 v83, v85, v86, vcc_lo
	v_mul_f32_e32 v85, v35, v44
	v_cmp_u_f32_e32 vcc_lo, v53, v53
	v_add3_u32 v54, v84, v53, 0x7fff
	v_or_b32_e32 v84, 0x400000, v53
	s_delay_alu instid0(VALU_DEP_4)
	v_bfe_u32 v86, v85, 16, 1
	v_and_b32_e32 v44, 0xffff0000, v55
	v_and_b32_e32 v83, 0xffff0000, v83
	s_wait_alu 0xfffd
	v_cndmask_b32_e32 v53, v54, v84, vcc_lo
	v_add3_u32 v54, v86, v85, 0x7fff
	v_or_b32_e32 v84, 0x400000, v85
	v_cmp_u_f32_e32 vcc_lo, v85, v85
	v_dual_mul_f32 v87, v34, v44 :: v_dual_and_b32 v44, 0xffff0000, v81
	s_wait_alu 0xfffd
	s_delay_alu instid0(VALU_DEP_3) | instskip(SKIP_1) | instid1(VALU_DEP_2)
	v_dual_cndmask_b32 v54, v54, v84 :: v_dual_and_b32 v53, 0xffff0000, v53
	v_mul_f32_e32 v43, v42, v43
	v_dual_add_f32 v53, v53, v83 :: v_dual_and_b32 v54, 0xffff0000, v54
	s_delay_alu instid0(VALU_DEP_2) | instskip(SKIP_2) | instid1(VALU_DEP_3)
	v_bfe_u32 v86, v43, 16, 1
	v_or_b32_e32 v84, 0x400000, v43
	v_cmp_u_f32_e32 vcc_lo, v43, v43
	v_add3_u32 v81, v86, v43, 0x7fff
	v_and_b32_e32 v86, 0xffff0000, v56
	v_and_b32_e32 v43, 0xffff0000, v82
	v_lshlrev_b32_e32 v56, 16, v56
	v_lshlrev_b32_e32 v55, 16, v55
	s_wait_alu 0xfffd
	v_dual_cndmask_b32 v81, v81, v84 :: v_dual_mul_f32 v84, v36, v86
	v_bfe_u32 v88, v87, 16, 1
	s_delay_alu instid0(VALU_DEP_3) | instskip(SKIP_1) | instid1(VALU_DEP_3)
	v_dual_mul_f32 v56, v43, v56 :: v_dual_mul_f32 v55, v44, v55
	v_cmp_u_f32_e32 vcc_lo, v87, v87
	v_add3_u32 v85, v88, v87, 0x7fff
	v_or_b32_e32 v88, 0x400000, v87
	s_delay_alu instid0(VALU_DEP_4) | instskip(SKIP_2) | instid1(VALU_DEP_3)
	v_bfe_u32 v89, v55, 16, 1
	v_or_b32_e32 v87, 0x400000, v55
	s_wait_alu 0xfffd
	v_cndmask_b32_e32 v85, v85, v88, vcc_lo
	s_delay_alu instid0(VALU_DEP_3) | instskip(SKIP_2) | instid1(VALU_DEP_4)
	v_add3_u32 v86, v89, v55, 0x7fff
	v_bfe_u32 v88, v84, 16, 1
	v_cmp_u_f32_e32 vcc_lo, v55, v55
	v_and_b32_e32 v83, 0xffff0000, v85
	v_or_b32_e32 v85, 0x400000, v56
	s_delay_alu instid0(VALU_DEP_4)
	v_add3_u32 v82, v88, v84, 0x7fff
	s_wait_alu 0xfffd
	v_cndmask_b32_e32 v55, v86, v87, vcc_lo
	v_or_b32_e32 v86, 0x400000, v84
	v_cmp_u_f32_e32 vcc_lo, v84, v84
	v_bfe_u32 v84, v56, 16, 1
	s_wait_alu 0xfffd
	s_delay_alu instid0(VALU_DEP_3) | instskip(NEXT) | instid1(VALU_DEP_2)
	v_cndmask_b32_e32 v82, v82, v86, vcc_lo
	v_add3_u32 v84, v84, v56, 0x7fff
	v_cmp_u_f32_e32 vcc_lo, v56, v56
	v_and_b32_e32 v81, 0xffff0000, v81
	v_and_b32_e32 v86, 0xffff0000, v52
	;; [unrolled: 1-line block ×3, first 2 shown]
	v_lshlrev_b32_e32 v52, 16, v52
	s_wait_alu 0xfffd
	v_dual_cndmask_b32 v56, v84, v85 :: v_dual_and_b32 v85, 0xffff0000, v51
	s_delay_alu instid0(VALU_DEP_3) | instskip(SKIP_1) | instid1(VALU_DEP_3)
	v_dual_add_f32 v54, v81, v54 :: v_dual_add_f32 v55, v55, v83
	v_and_b32_e32 v81, 0xffff0000, v49
	v_dual_mul_f32 v85, v34, v85 :: v_dual_and_b32 v56, 0xffff0000, v56
	s_delay_alu instid0(VALU_DEP_3) | instskip(NEXT) | instid1(VALU_DEP_3)
	v_add_f32_e32 v53, v54, v53
	v_mul_f32_e32 v54, v33, v81
	v_mul_f32_e32 v52, v43, v52
	s_delay_alu instid0(VALU_DEP_3) | instskip(SKIP_1) | instid1(VALU_DEP_4)
	v_add_f32_e32 v53, v55, v53
	v_and_b32_e32 v55, 0xffff0000, v50
	v_bfe_u32 v81, v54, 16, 1
	v_or_b32_e32 v83, 0x400000, v54
	v_cmp_u_f32_e32 vcc_lo, v54, v54
	s_delay_alu instid0(VALU_DEP_4) | instskip(NEXT) | instid1(VALU_DEP_4)
	v_dual_mul_f32 v55, v35, v55 :: v_dual_lshlrev_b32 v50, 16, v50
	v_add3_u32 v81, v81, v54, 0x7fff
	v_lshlrev_b32_e32 v49, 16, v49
	s_delay_alu instid0(VALU_DEP_3) | instskip(SKIP_4) | instid1(VALU_DEP_2)
	v_dual_mul_f32 v50, v42, v50 :: v_dual_lshlrev_b32 v51, 16, v51
	v_bfe_u32 v89, v52, 16, 1
	s_wait_alu 0xfffd
	v_cndmask_b32_e32 v54, v81, v83, vcc_lo
	v_mul_f32_e32 v49, v41, v49
	v_dual_mul_f32 v51, v44, v51 :: v_dual_and_b32 v54, 0xffff0000, v54
	s_delay_alu instid0(VALU_DEP_2) | instskip(SKIP_2) | instid1(VALU_DEP_4)
	v_bfe_u32 v84, v49, 16, 1
	v_or_b32_e32 v83, 0x400000, v49
	v_cmp_u_f32_e32 vcc_lo, v49, v49
	v_or_b32_e32 v87, 0x400000, v51
	s_delay_alu instid0(VALU_DEP_4) | instskip(SKIP_2) | instid1(VALU_DEP_2)
	v_add3_u32 v81, v84, v49, 0x7fff
	v_bfe_u32 v84, v55, 16, 1
	s_wait_alu 0xfffd
	v_cndmask_b32_e32 v49, v81, v83, vcc_lo
	s_delay_alu instid0(VALU_DEP_2)
	v_add3_u32 v81, v84, v55, 0x7fff
	v_or_b32_e32 v83, 0x400000, v55
	v_bfe_u32 v84, v50, 16, 1
	v_cmp_u_f32_e32 vcc_lo, v55, v55
	v_and_b32_e32 v49, 0xffff0000, v49
	s_wait_alu 0xfffd
	v_cndmask_b32_e32 v55, v81, v83, vcc_lo
	v_add3_u32 v81, v84, v50, 0x7fff
	v_or_b32_e32 v83, 0x400000, v50
	v_bfe_u32 v84, v85, 16, 1
	v_cmp_u_f32_e32 vcc_lo, v50, v50
	v_and_b32_e32 v55, 0xffff0000, v55
	s_wait_alu 0xfffd
	v_cndmask_b32_e32 v50, v81, v83, vcc_lo
	v_bfe_u32 v81, v51, 16, 1
	v_add3_u32 v83, v84, v85, 0x7fff
	v_mul_f32_e32 v84, v36, v86
	v_or_b32_e32 v86, 0x400000, v85
	v_cmp_u_f32_e32 vcc_lo, v85, v85
	v_add3_u32 v81, v81, v51, 0x7fff
	v_and_b32_e32 v50, 0xffff0000, v50
	v_bfe_u32 v88, v84, 16, 1
	v_add3_u32 v85, v89, v52, 0x7fff
	s_wait_alu 0xfffd
	v_cndmask_b32_e32 v83, v83, v86, vcc_lo
	v_cmp_u_f32_e32 vcc_lo, v51, v51
	v_or_b32_e32 v86, 0x400000, v52
	v_dual_add_f32 v50, v50, v55 :: v_dual_add_f32 v49, v49, v54
	s_delay_alu instid0(VALU_DEP_4)
	v_and_b32_e32 v54, 0xffff0000, v83
	s_wait_alu 0xfffd
	v_cndmask_b32_e32 v51, v81, v87, vcc_lo
	v_cmp_u_f32_e32 vcc_lo, v52, v52
	v_add3_u32 v81, v88, v84, 0x7fff
	v_or_b32_e32 v87, 0x400000, v84
	s_wait_alu 0xfffd
	v_dual_cndmask_b32 v52, v85, v86 :: v_dual_and_b32 v51, 0xffff0000, v51
	v_cmp_u_f32_e32 vcc_lo, v84, v84
	s_wait_alu 0xfffd
	v_cndmask_b32_e32 v55, v81, v87, vcc_lo
	v_and_b32_e32 v81, 0xffff0000, v82
	v_dual_add_f32 v49, v50, v49 :: v_dual_add_f32 v50, v51, v54
	v_and_b32_e32 v51, 0xffff0000, v52
	s_delay_alu instid0(VALU_DEP_4) | instskip(SKIP_3) | instid1(VALU_DEP_4)
	v_and_b32_e32 v52, 0xffff0000, v55
	v_and_b32_e32 v54, 0xffff0000, v45
	v_add_f32_e32 v55, v56, v81
	v_lshlrev_b32_e32 v45, 16, v45
	v_dual_add_f32 v49, v50, v49 :: v_dual_add_f32 v50, v51, v52
	s_delay_alu instid0(VALU_DEP_3) | instskip(NEXT) | instid1(VALU_DEP_3)
	v_dual_mul_f32 v51, v33, v54 :: v_dual_add_f32 v52, v55, v53
	v_mul_f32_e32 v45, v41, v45
	v_and_b32_e32 v55, 0xffff0000, v48
	s_delay_alu instid0(VALU_DEP_4) | instskip(NEXT) | instid1(VALU_DEP_4)
	v_add_f32_e32 v49, v50, v49
	v_bfe_u32 v50, v51, 16, 1
	v_add_f32_e32 v66, v66, v52
	v_bfe_u32 v52, v45, 16, 1
	v_cmp_u_f32_e32 vcc_lo, v51, v51
	v_add_f32_e32 v67, v67, v49
	v_add3_u32 v49, v50, v51, 0x7fff
	v_or_b32_e32 v50, 0x400000, v51
	v_add3_u32 v52, v52, v45, 0x7fff
	v_or_b32_e32 v54, 0x400000, v45
	v_and_b32_e32 v51, 0xffff0000, v47
	v_lshlrev_b32_e32 v47, 16, v47
	s_wait_alu 0xfffd
	v_cndmask_b32_e32 v49, v49, v50, vcc_lo
	v_cmp_u_f32_e32 vcc_lo, v45, v45
	v_dual_mul_f32 v51, v34, v51 :: v_dual_lshlrev_b32 v48, 16, v48
	v_mul_f32_e32 v47, v44, v47
	s_delay_alu instid0(VALU_DEP_4) | instskip(SKIP_1) | instid1(VALU_DEP_3)
	v_and_b32_e32 v49, 0xffff0000, v49
	s_wait_alu 0xfffd
	v_dual_cndmask_b32 v45, v52, v54 :: v_dual_mul_f32 v48, v43, v48
	s_delay_alu instid0(VALU_DEP_3) | instskip(NEXT) | instid1(VALU_DEP_2)
	v_bfe_u32 v56, v47, 16, 1
	v_and_b32_e32 v45, 0xffff0000, v45
	s_delay_alu instid0(VALU_DEP_1) | instskip(SKIP_4) | instid1(VALU_DEP_2)
	v_add_f32_e32 v45, v45, v49
	v_and_b32_e32 v49, 0xffff0000, v37
	v_and_b32_e32 v53, 0xffff0000, v46
	v_lshlrev_b32_e32 v46, 16, v46
	v_lshlrev_b32_e32 v37, 16, v37
	v_dual_mul_f32 v53, v35, v53 :: v_dual_mul_f32 v46, v42, v46
	s_delay_alu instid0(VALU_DEP_2) | instskip(NEXT) | instid1(VALU_DEP_2)
	v_mul_f32_e32 v37, v41, v37
	v_bfe_u32 v50, v53, 16, 1
	v_or_b32_e32 v52, 0x400000, v53
	s_delay_alu instid0(VALU_DEP_4) | instskip(SKIP_1) | instid1(VALU_DEP_4)
	v_bfe_u32 v54, v46, 16, 1
	v_cmp_u_f32_e32 vcc_lo, v53, v53
	v_add3_u32 v50, v50, v53, 0x7fff
	v_or_b32_e32 v53, 0x400000, v46
	s_wait_alu 0xfffd
	s_delay_alu instid0(VALU_DEP_2) | instskip(SKIP_3) | instid1(VALU_DEP_4)
	v_cndmask_b32_e32 v50, v50, v52, vcc_lo
	v_add3_u32 v52, v54, v46, 0x7fff
	v_bfe_u32 v54, v51, 16, 1
	v_cmp_u_f32_e32 vcc_lo, v46, v46
	v_and_b32_e32 v50, 0xffff0000, v50
	s_wait_alu 0xfffd
	v_cndmask_b32_e32 v46, v52, v53, vcc_lo
	v_add3_u32 v52, v54, v51, 0x7fff
	v_mul_f32_e32 v53, v36, v55
	v_or_b32_e32 v54, 0x400000, v51
	v_cmp_u_f32_e32 vcc_lo, v51, v51
	v_add3_u32 v55, v56, v47, 0x7fff
	v_or_b32_e32 v56, 0x400000, v47
	v_bfe_u32 v81, v53, 16, 1
	v_and_b32_e32 v46, 0xffff0000, v46
	s_wait_alu 0xfffd
	v_cndmask_b32_e32 v51, v52, v54, vcc_lo
	v_cmp_u_f32_e32 vcc_lo, v47, v47
	v_or_b32_e32 v54, 0x400000, v53
	v_add3_u32 v52, v81, v53, 0x7fff
	v_add_f32_e32 v46, v46, v50
	s_wait_alu 0xfffd
	v_dual_cndmask_b32 v47, v55, v56 :: v_dual_and_b32 v50, 0xffff0000, v51
	v_bfe_u32 v55, v48, 16, 1
	v_cmp_u_f32_e32 vcc_lo, v53, v53
	v_add_f32_e32 v45, v46, v45
	s_delay_alu instid0(VALU_DEP_4) | instskip(NEXT) | instid1(VALU_DEP_4)
	v_dual_mul_f32 v46, v33, v49 :: v_dual_and_b32 v47, 0xffff0000, v47
	v_add3_u32 v53, v55, v48, 0x7fff
	s_wait_alu 0xfffd
	v_cndmask_b32_e32 v52, v52, v54, vcc_lo
	v_or_b32_e32 v54, 0x400000, v48
	v_cmp_u_f32_e32 vcc_lo, v48, v48
	v_add_f32_e32 v47, v47, v50
	v_bfe_u32 v50, v46, 16, 1
	v_and_b32_e32 v49, 0xffff0000, v52
	v_bfe_u32 v51, v37, 16, 1
	s_wait_alu 0xfffd
	v_dual_cndmask_b32 v48, v53, v54 :: v_dual_add_f32 v45, v47, v45
	v_and_b32_e32 v47, 0xffff0000, v38
	v_lshlrev_b32_e32 v38, 16, v38
	v_cmp_u_f32_e32 vcc_lo, v46, v46
	s_delay_alu instid0(VALU_DEP_4) | instskip(SKIP_1) | instid1(VALU_DEP_4)
	v_and_b32_e32 v48, 0xffff0000, v48
	v_and_b32_e32 v52, 0xffff0000, v39
	v_dual_mul_f32 v47, v35, v47 :: v_dual_mul_f32 v38, v42, v38
	s_delay_alu instid0(VALU_DEP_3) | instskip(SKIP_2) | instid1(VALU_DEP_3)
	v_dual_add_f32 v48, v48, v49 :: v_dual_lshlrev_b32 v39, 16, v39
	v_add3_u32 v49, v50, v46, 0x7fff
	v_or_b32_e32 v50, 0x400000, v46
	v_dual_mul_f32 v52, v34, v52 :: v_dual_mul_f32 v39, v44, v39
	v_and_b32_e32 v53, 0xffff0000, v40
	v_lshlrev_b32_e32 v40, 16, v40
	s_wait_alu 0xfffd
	v_cndmask_b32_e32 v46, v49, v50, vcc_lo
	v_add3_u32 v49, v51, v37, 0x7fff
	v_or_b32_e32 v50, 0x400000, v37
	v_bfe_u32 v51, v47, 16, 1
	v_cmp_u_f32_e32 vcc_lo, v37, v37
	v_mul_f32_e32 v40, v43, v40
	v_or_b32_e32 v54, 0x400000, v39
	v_and_b32_e32 v46, 0xffff0000, v46
	s_wait_alu 0xfffd
	v_cndmask_b32_e32 v37, v49, v50, vcc_lo
	v_add3_u32 v49, v51, v47, 0x7fff
	v_or_b32_e32 v50, 0x400000, v47
	v_bfe_u32 v51, v38, 16, 1
	v_cmp_u_f32_e32 vcc_lo, v47, v47
	v_and_b32_e32 v37, 0xffff0000, v37
	s_wait_alu 0xfffd
	v_cndmask_b32_e32 v47, v49, v50, vcc_lo
	v_add3_u32 v49, v51, v38, 0x7fff
	v_or_b32_e32 v50, 0x400000, v38
	v_bfe_u32 v51, v52, 16, 1
	v_cmp_u_f32_e32 vcc_lo, v38, v38
	v_and_b32_e32 v47, 0xffff0000, v47
	v_add_f32_e32 v37, v37, v46
	s_wait_alu 0xfffd
	v_cndmask_b32_e32 v38, v49, v50, vcc_lo
	v_bfe_u32 v49, v39, 16, 1
	v_add3_u32 v50, v51, v52, 0x7fff
	v_mul_f32_e32 v51, v36, v53
	v_or_b32_e32 v53, 0x400000, v52
	v_cmp_u_f32_e32 vcc_lo, v52, v52
	v_add3_u32 v49, v49, v39, 0x7fff
	v_bfe_u32 v52, v40, 16, 1
	v_bfe_u32 v55, v51, 16, 1
	v_and_b32_e32 v38, 0xffff0000, v38
	s_wait_alu 0xfffd
	v_cndmask_b32_e32 v50, v50, v53, vcc_lo
	v_cmp_u_f32_e32 vcc_lo, v39, v39
	v_add3_u32 v52, v52, v40, 0x7fff
	v_or_b32_e32 v53, 0x400000, v51
	v_add_f32_e32 v38, v38, v47
	v_and_b32_e32 v46, 0xffff0000, v50
	s_wait_alu 0xfffd
	v_cndmask_b32_e32 v39, v49, v54, vcc_lo
	v_or_b32_e32 v54, 0x400000, v40
	v_cmp_u_f32_e32 vcc_lo, v40, v40
	v_add3_u32 v49, v55, v51, 0x7fff
	v_add_f32_e32 v37, v38, v37
	s_wait_alu 0xfffd
	v_dual_cndmask_b32 v40, v52, v54 :: v_dual_and_b32 v39, 0xffff0000, v39
	v_cmp_u_f32_e32 vcc_lo, v51, v51
	s_delay_alu instid0(VALU_DEP_2) | instskip(SKIP_1) | instid1(VALU_DEP_3)
	v_dual_add_f32 v38, v39, v46 :: v_dual_and_b32 v39, 0xffff0000, v29
	s_wait_alu 0xfffd
	v_dual_cndmask_b32 v47, v49, v53 :: v_dual_and_b32 v40, 0xffff0000, v40
	v_lshlrev_b32_e32 v29, 16, v29
	s_delay_alu instid0(VALU_DEP_3) | instskip(SKIP_1) | instid1(VALU_DEP_4)
	v_add_f32_e32 v37, v38, v37
	v_mul_f32_e32 v39, v33, v39
	v_dual_add_f32 v45, v48, v45 :: v_dual_and_b32 v46, 0xffff0000, v47
	s_delay_alu instid0(VALU_DEP_4) | instskip(NEXT) | instid1(VALU_DEP_3)
	v_mul_f32_e32 v29, v41, v29
	v_cmp_u_f32_e32 vcc_lo, v39, v39
	s_delay_alu instid0(VALU_DEP_3) | instskip(SKIP_4) | instid1(VALU_DEP_4)
	v_add_f32_e32 v38, v40, v46
	v_and_b32_e32 v40, 0xffff0000, v30
	v_bfe_u32 v46, v39, 16, 1
	v_add_f32_e32 v68, v68, v45
	v_bfe_u32 v45, v29, 16, 1
	v_dual_add_f32 v37, v38, v37 :: v_dual_mul_f32 v38, v35, v40
	s_delay_alu instid0(VALU_DEP_4) | instskip(SKIP_1) | instid1(VALU_DEP_4)
	v_add3_u32 v40, v46, v39, 0x7fff
	v_or_b32_e32 v46, 0x400000, v39
	v_add3_u32 v45, v45, v29, 0x7fff
	v_or_b32_e32 v47, 0x400000, v29
	v_bfe_u32 v48, v38, 16, 1
	v_lshlrev_b32_e32 v30, 16, v30
	s_wait_alu 0xfffd
	v_cndmask_b32_e32 v39, v40, v46, vcc_lo
	v_cmp_u_f32_e32 vcc_lo, v29, v29
	v_and_b32_e32 v46, 0xffff0000, v31
	v_add3_u32 v40, v48, v38, 0x7fff
	v_dual_mul_f32 v30, v42, v30 :: v_dual_lshlrev_b32 v31, 16, v31
	s_wait_alu 0xfffd
	v_cndmask_b32_e32 v29, v45, v47, vcc_lo
	v_or_b32_e32 v45, 0x400000, v38
	v_cmp_u_f32_e32 vcc_lo, v38, v38
	v_bfe_u32 v47, v30, 16, 1
	v_mul_f32_e32 v31, v44, v31
	v_and_b32_e32 v29, 0xffff0000, v29
	s_wait_alu 0xfffd
	v_cndmask_b32_e32 v38, v40, v45, vcc_lo
	v_mul_f32_e32 v40, v34, v46
	v_add3_u32 v45, v47, v30, 0x7fff
	v_or_b32_e32 v46, 0x400000, v30
	v_and_b32_e32 v47, 0xffff0000, v32
	v_cmp_u_f32_e32 vcc_lo, v30, v30
	v_bfe_u32 v48, v40, 16, 1
	v_bfe_u32 v49, v31, 16, 1
	v_lshlrev_b32_e32 v32, 16, v32
	v_and_b32_e32 v38, 0xffff0000, v38
	s_wait_alu 0xfffd
	v_dual_cndmask_b32 v30, v45, v46 :: v_dual_mul_f32 v45, v36, v47
	v_add3_u32 v46, v48, v40, 0x7fff
	v_or_b32_e32 v47, 0x400000, v40
	v_cmp_u_f32_e32 vcc_lo, v40, v40
	v_add3_u32 v48, v49, v31, 0x7fff
	v_or_b32_e32 v49, 0x400000, v31
	v_bfe_u32 v50, v45, 16, 1
	v_and_b32_e32 v30, 0xffff0000, v30
	s_wait_alu 0xfffd
	v_cndmask_b32_e32 v40, v46, v47, vcc_lo
	v_cmp_u_f32_e32 vcc_lo, v31, v31
	v_or_b32_e32 v47, 0x400000, v45
	v_add3_u32 v46, v50, v45, 0x7fff
	v_mul_f32_e32 v32, v43, v32
	s_wait_alu 0xfffd
	v_dual_add_f32 v30, v30, v38 :: v_dual_cndmask_b32 v31, v48, v49
	v_cmp_u_f32_e32 vcc_lo, v45, v45
	v_and_b32_e32 v38, 0xffff0000, v25
	v_lshlrev_b32_e32 v25, 16, v25
	s_delay_alu instid0(VALU_DEP_4)
	v_and_b32_e32 v31, 0xffff0000, v31
	s_wait_alu 0xfffd
	v_cndmask_b32_e32 v45, v46, v47, vcc_lo
	v_and_b32_e32 v47, 0xffff0000, v28
	v_lshlrev_b32_e32 v28, 16, v28
	v_bfe_u32 v46, v32, 16, 1
	v_cmp_u_f32_e32 vcc_lo, v32, v32
	s_delay_alu instid0(VALU_DEP_3) | instskip(SKIP_1) | instid1(VALU_DEP_2)
	v_dual_mul_f32 v25, v41, v25 :: v_dual_mul_f32 v28, v43, v28
	v_and_b32_e32 v39, 0xffff0000, v39
	v_bfe_u32 v50, v28, 16, 1
	s_delay_alu instid0(VALU_DEP_2) | instskip(SKIP_3) | instid1(VALU_DEP_4)
	v_add_f32_e32 v29, v29, v39
	v_and_b32_e32 v39, 0xffff0000, v40
	v_add3_u32 v40, v46, v32, 0x7fff
	v_or_b32_e32 v46, 0x400000, v32
	v_dual_add_f32 v29, v30, v29 :: v_dual_mul_f32 v30, v33, v38
	s_wait_alu 0xfffd
	s_delay_alu instid0(VALU_DEP_2) | instskip(SKIP_3) | instid1(VALU_DEP_4)
	v_dual_add_f32 v31, v31, v39 :: v_dual_cndmask_b32 v32, v40, v46
	v_bfe_u32 v40, v25, 16, 1
	v_and_b32_e32 v46, 0xffff0000, v27
	v_bfe_u32 v38, v30, 16, 1
	v_add_f32_e32 v29, v31, v29
	v_and_b32_e32 v31, 0xffff0000, v26
	v_or_b32_e32 v39, 0x400000, v30
	v_lshlrev_b32_e32 v26, 16, v26
	v_add3_u32 v38, v38, v30, 0x7fff
	v_cmp_u_f32_e32 vcc_lo, v30, v30
	v_dual_mul_f32 v31, v35, v31 :: v_dual_mul_f32 v46, v34, v46
	s_delay_alu instid0(VALU_DEP_4)
	v_dual_mul_f32 v26, v42, v26 :: v_dual_lshlrev_b32 v27, 16, v27
	s_wait_alu 0xfffd
	v_cndmask_b32_e32 v30, v38, v39, vcc_lo
	v_add3_u32 v38, v40, v25, 0x7fff
	v_or_b32_e32 v39, 0x400000, v25
	v_bfe_u32 v40, v31, 16, 1
	v_cmp_u_f32_e32 vcc_lo, v25, v25
	v_dual_mul_f32 v27, v44, v27 :: v_dual_and_b32 v30, 0xffff0000, v30
	s_wait_alu 0xfffd
	v_dual_cndmask_b32 v25, v38, v39 :: v_dual_and_b32 v32, 0xffff0000, v32
	v_add3_u32 v38, v40, v31, 0x7fff
	v_or_b32_e32 v39, 0x400000, v31
	v_bfe_u32 v40, v26, 16, 1
	v_cmp_u_f32_e32 vcc_lo, v31, v31
	v_or_b32_e32 v48, 0x400000, v27
	v_and_b32_e32 v25, 0xffff0000, v25
	s_wait_alu 0xfffd
	v_cndmask_b32_e32 v31, v38, v39, vcc_lo
	v_add3_u32 v38, v40, v26, 0x7fff
	v_or_b32_e32 v39, 0x400000, v26
	v_bfe_u32 v40, v46, 16, 1
	v_cmp_u_f32_e32 vcc_lo, v26, v26
	v_and_b32_e32 v31, 0xffff0000, v31
	s_wait_alu 0xfffd
	v_dual_add_f32 v25, v25, v30 :: v_dual_cndmask_b32 v26, v38, v39
	v_bfe_u32 v38, v27, 16, 1
	v_add3_u32 v39, v40, v46, 0x7fff
	v_mul_f32_e32 v40, v36, v47
	v_or_b32_e32 v47, 0x400000, v46
	v_cmp_u_f32_e32 vcc_lo, v46, v46
	v_add3_u32 v38, v38, v27, 0x7fff
	v_add3_u32 v46, v50, v28, 0x7fff
	v_bfe_u32 v49, v40, 16, 1
	s_wait_alu 0xfffd
	v_dual_cndmask_b32 v39, v39, v47 :: v_dual_and_b32 v26, 0xffff0000, v26
	v_cmp_u_f32_e32 vcc_lo, v27, v27
	v_or_b32_e32 v47, 0x400000, v28
	s_delay_alu instid0(VALU_DEP_3)
	v_dual_add_f32 v69, v69, v37 :: v_dual_add_f32 v26, v26, v31
	s_wait_alu 0xfffd
	v_dual_cndmask_b32 v27, v38, v48 :: v_dual_and_b32 v30, 0xffff0000, v39
	v_cmp_u_f32_e32 vcc_lo, v28, v28
	v_add3_u32 v38, v49, v40, 0x7fff
	v_or_b32_e32 v48, 0x400000, v40
	v_add_f32_e32 v25, v26, v25
	v_and_b32_e32 v27, 0xffff0000, v27
	s_wait_alu 0xfffd
	v_cndmask_b32_e32 v28, v46, v47, vcc_lo
	v_cmp_u_f32_e32 vcc_lo, v40, v40
	s_delay_alu instid0(VALU_DEP_2) | instskip(SKIP_4) | instid1(VALU_DEP_3)
	v_dual_add_f32 v26, v27, v30 :: v_dual_and_b32 v27, 0xffff0000, v28
	s_wait_alu 0xfffd
	v_dual_cndmask_b32 v31, v38, v48 :: v_dual_and_b32 v38, 0xffff0000, v45
	v_and_b32_e32 v30, 0xffff0000, v21
	v_lshlrev_b32_e32 v21, 16, v21
	v_dual_add_f32 v25, v26, v25 :: v_dual_and_b32 v28, 0xffff0000, v31
	s_delay_alu instid0(VALU_DEP_4) | instskip(NEXT) | instid1(VALU_DEP_2)
	v_add_f32_e32 v31, v32, v38
	v_dual_mul_f32 v21, v41, v21 :: v_dual_add_f32 v26, v27, v28
	s_delay_alu instid0(VALU_DEP_2) | instskip(SKIP_1) | instid1(VALU_DEP_3)
	v_dual_mul_f32 v27, v33, v30 :: v_dual_add_f32 v28, v31, v29
	v_and_b32_e32 v29, 0xffff0000, v22
	v_dual_add_f32 v25, v26, v25 :: v_dual_lshlrev_b32 v22, 16, v22
	s_delay_alu instid0(VALU_DEP_3) | instskip(NEXT) | instid1(VALU_DEP_4)
	v_bfe_u32 v26, v27, 16, 1
	v_add_f32_e32 v70, v70, v28
	v_bfe_u32 v28, v21, 16, 1
	v_mul_f32_e32 v29, v35, v29
	v_add_f32_e32 v71, v71, v25
	v_add3_u32 v25, v26, v27, 0x7fff
	v_or_b32_e32 v26, 0x400000, v27
	v_cmp_u_f32_e32 vcc_lo, v27, v27
	v_add3_u32 v28, v28, v21, 0x7fff
	v_or_b32_e32 v30, 0x400000, v21
	v_dual_mul_f32 v22, v42, v22 :: v_dual_and_b32 v27, 0xffff0000, v23
	s_wait_alu 0xfffd
	v_cndmask_b32_e32 v25, v25, v26, vcc_lo
	v_bfe_u32 v26, v29, 16, 1
	v_cmp_u_f32_e32 vcc_lo, v21, v21
	v_lshlrev_b32_e32 v23, 16, v23
	v_mul_f32_e32 v27, v34, v27
	v_and_b32_e32 v31, 0xffff0000, v24
	v_add3_u32 v26, v26, v29, 0x7fff
	s_wait_alu 0xfffd
	v_cndmask_b32_e32 v21, v28, v30, vcc_lo
	v_or_b32_e32 v28, 0x400000, v29
	v_bfe_u32 v30, v22, 16, 1
	v_cmp_u_f32_e32 vcc_lo, v29, v29
	v_mul_f32_e32 v23, v44, v23
	v_or_b32_e32 v29, 0x400000, v22
	v_lshlrev_b32_e32 v24, 16, v24
	s_wait_alu 0xfffd
	v_dual_cndmask_b32 v26, v26, v28 :: v_dual_and_b32 v21, 0xffff0000, v21
	v_add3_u32 v28, v30, v22, 0x7fff
	v_bfe_u32 v30, v27, 16, 1
	v_cmp_u_f32_e32 vcc_lo, v22, v22
	v_bfe_u32 v32, v23, 16, 1
	v_dual_mul_f32 v24, v43, v24 :: v_dual_and_b32 v25, 0xffff0000, v25
	v_and_b32_e32 v26, 0xffff0000, v26
	s_wait_alu 0xfffd
	v_cndmask_b32_e32 v22, v28, v29, vcc_lo
	v_add3_u32 v28, v30, v27, 0x7fff
	v_mul_f32_e32 v29, v36, v31
	v_or_b32_e32 v30, 0x400000, v27
	v_cmp_u_f32_e32 vcc_lo, v27, v27
	v_add3_u32 v31, v32, v23, 0x7fff
	v_or_b32_e32 v32, 0x400000, v23
	v_bfe_u32 v37, v29, 16, 1
	v_and_b32_e32 v22, 0xffff0000, v22
	s_wait_alu 0xfffd
	v_cndmask_b32_e32 v27, v28, v30, vcc_lo
	v_cmp_u_f32_e32 vcc_lo, v23, v23
	v_or_b32_e32 v30, 0x400000, v29
	v_add3_u32 v28, v37, v29, 0x7fff
	v_dual_add_f32 v21, v21, v25 :: v_dual_add_f32 v22, v22, v26
	s_wait_alu 0xfffd
	v_cndmask_b32_e32 v23, v31, v32, vcc_lo
	v_bfe_u32 v31, v24, 16, 1
	v_cmp_u_f32_e32 vcc_lo, v29, v29
	v_and_b32_e32 v26, 0xffff0000, v13
	v_and_b32_e32 v25, 0xffff0000, v27
	;; [unrolled: 1-line block ×3, first 2 shown]
	v_add3_u32 v29, v31, v24, 0x7fff
	s_wait_alu 0xfffd
	v_cndmask_b32_e32 v28, v28, v30, vcc_lo
	v_or_b32_e32 v30, 0x400000, v24
	v_cmp_u_f32_e32 vcc_lo, v24, v24
	v_lshlrev_b32_e32 v13, 16, v13
	v_dual_add_f32 v21, v22, v21 :: v_dual_mul_f32 v22, v33, v26
	s_wait_alu 0xfffd
	v_dual_add_f32 v23, v23, v25 :: v_dual_cndmask_b32 v24, v29, v30
	s_delay_alu instid0(VALU_DEP_3) | instskip(SKIP_2) | instid1(VALU_DEP_4)
	v_mul_f32_e32 v13, v41, v13
	v_and_b32_e32 v25, 0xffff0000, v28
	v_bfe_u32 v26, v22, 16, 1
	v_dual_add_f32 v21, v23, v21 :: v_dual_and_b32 v24, 0xffff0000, v24
	s_delay_alu instid0(VALU_DEP_4)
	v_bfe_u32 v23, v13, 16, 1
	v_and_b32_e32 v27, 0xffff0000, v14
	v_cmp_u_f32_e32 vcc_lo, v22, v22
	v_or_b32_e32 v28, 0x400000, v13
	v_add_f32_e32 v24, v24, v25
	v_add3_u32 v25, v26, v22, 0x7fff
	v_or_b32_e32 v26, 0x400000, v22
	v_add3_u32 v23, v23, v13, 0x7fff
	v_dual_mul_f32 v27, v35, v27 :: v_dual_lshlrev_b32 v14, 16, v14
	s_wait_alu 0xfffd
	s_delay_alu instid0(VALU_DEP_3) | instskip(SKIP_1) | instid1(VALU_DEP_3)
	v_dual_cndmask_b32 v22, v25, v26 :: v_dual_and_b32 v29, 0xffff0000, v16
	v_cmp_u_f32_e32 vcc_lo, v13, v13
	v_bfe_u32 v25, v27, 16, 1
	v_mul_f32_e32 v14, v42, v14
	v_or_b32_e32 v26, 0x400000, v27
	v_lshlrev_b32_e32 v16, 16, v16
	s_wait_alu 0xfffd
	v_cndmask_b32_e32 v13, v23, v28, vcc_lo
	v_and_b32_e32 v23, 0xffff0000, v15
	v_add3_u32 v25, v25, v27, 0x7fff
	v_lshlrev_b32_e32 v15, 16, v15
	v_bfe_u32 v28, v14, 16, 1
	v_cmp_u_f32_e32 vcc_lo, v27, v27
	v_mul_f32_e32 v23, v34, v23
	v_or_b32_e32 v27, 0x400000, v14
	v_dual_mul_f32 v15, v44, v15 :: v_dual_mul_f32 v16, v43, v16
	s_wait_alu 0xfffd
	v_cndmask_b32_e32 v25, v25, v26, vcc_lo
	v_add3_u32 v26, v28, v14, 0x7fff
	v_bfe_u32 v28, v23, 16, 1
	v_cmp_u_f32_e32 vcc_lo, v14, v14
	v_bfe_u32 v30, v15, 16, 1
	v_and_b32_e32 v13, 0xffff0000, v13
	v_and_b32_e32 v22, 0xffff0000, v22
	s_wait_alu 0xfffd
	v_dual_cndmask_b32 v14, v26, v27 :: v_dual_and_b32 v25, 0xffff0000, v25
	v_add3_u32 v26, v28, v23, 0x7fff
	v_mul_f32_e32 v27, v36, v29
	v_or_b32_e32 v28, 0x400000, v23
	v_cmp_u_f32_e32 vcc_lo, v23, v23
	v_add3_u32 v29, v30, v15, 0x7fff
	v_or_b32_e32 v30, 0x400000, v15
	v_bfe_u32 v31, v27, 16, 1
	s_wait_alu 0xfffd
	v_dual_cndmask_b32 v23, v26, v28 :: v_dual_and_b32 v14, 0xffff0000, v14
	v_cmp_u_f32_e32 vcc_lo, v15, v15
	v_or_b32_e32 v28, 0x400000, v27
	v_add3_u32 v26, v31, v27, 0x7fff
	s_delay_alu instid0(VALU_DEP_4)
	v_dual_add_f32 v13, v13, v22 :: v_dual_add_f32 v14, v14, v25
	s_wait_alu 0xfffd
	v_cndmask_b32_e32 v15, v29, v30, vcc_lo
	v_bfe_u32 v29, v16, 16, 1
	v_cmp_u_f32_e32 vcc_lo, v27, v27
	v_dual_add_f32 v13, v14, v13 :: v_dual_and_b32 v22, 0xffff0000, v23
	s_delay_alu instid0(VALU_DEP_4) | instskip(NEXT) | instid1(VALU_DEP_4)
	v_and_b32_e32 v15, 0xffff0000, v15
	v_add3_u32 v27, v29, v16, 0x7fff
	s_wait_alu 0xfffd
	v_cndmask_b32_e32 v26, v26, v28, vcc_lo
	v_or_b32_e32 v28, 0x400000, v16
	v_cmp_u_f32_e32 vcc_lo, v16, v16
	v_dual_add_f32 v15, v15, v22 :: v_dual_and_b32 v14, 0xffff0000, v9
	v_lshlrev_b32_e32 v9, 16, v9
	v_and_b32_e32 v22, 0xffff0000, v26
	s_wait_alu 0xfffd
	v_cndmask_b32_e32 v16, v27, v28, vcc_lo
	v_dual_mul_f32 v14, v33, v14 :: v_dual_add_f32 v21, v24, v21
	v_mul_f32_e32 v23, v41, v9
	s_delay_alu instid0(VALU_DEP_3) | instskip(NEXT) | instid1(VALU_DEP_3)
	v_dual_add_f32 v9, v15, v13 :: v_dual_and_b32 v16, 0xffff0000, v16
	v_bfe_u32 v15, v14, 16, 1
	s_delay_alu instid0(VALU_DEP_4) | instskip(SKIP_1) | instid1(VALU_DEP_4)
	v_dual_add_f32 v72, v72, v21 :: v_dual_and_b32 v21, 0xffff0000, v10
	v_cmp_u_f32_e32 vcc_lo, v14, v14
	v_add_f32_e32 v13, v16, v22
	v_bfe_u32 v16, v23, 16, 1
	v_or_b32_e32 v22, 0x400000, v23
	v_dual_mul_f32 v21, v35, v21 :: v_dual_lshlrev_b32 v10, 16, v10
	s_delay_alu instid0(VALU_DEP_4)
	v_add_f32_e32 v9, v13, v9
	v_add3_u32 v13, v15, v14, 0x7fff
	v_or_b32_e32 v15, 0x400000, v14
	v_add3_u32 v16, v16, v23, 0x7fff
	v_bfe_u32 v14, v21, 16, 1
	v_mul_f32_e32 v10, v42, v10
	s_wait_alu 0xfffd
	v_dual_cndmask_b32 v13, v13, v15 :: v_dual_and_b32 v24, 0xffff0000, v12
	v_cmp_u_f32_e32 vcc_lo, v23, v23
	v_add3_u32 v14, v14, v21, 0x7fff
	v_bfe_u32 v23, v10, 16, 1
	v_lshlrev_b32_e32 v12, 16, v12
	v_and_b32_e32 v13, 0xffff0000, v13
	s_wait_alu 0xfffd
	v_dual_cndmask_b32 v15, v16, v22 :: v_dual_and_b32 v16, 0xffff0000, v11
	v_or_b32_e32 v22, 0x400000, v21
	v_lshlrev_b32_e32 v11, 16, v11
	v_cmp_u_f32_e32 vcc_lo, v21, v21
	v_add3_u32 v21, v23, v10, 0x7fff
	v_mul_f32_e32 v16, v34, v16
	s_delay_alu instid0(VALU_DEP_4)
	v_dual_mul_f32 v12, v43, v12 :: v_dual_mul_f32 v11, v44, v11
	s_wait_alu 0xfffd
	v_cndmask_b32_e32 v14, v14, v22, vcc_lo
	v_or_b32_e32 v22, 0x400000, v10
	v_bfe_u32 v23, v16, 16, 1
	v_cmp_u_f32_e32 vcc_lo, v10, v10
	v_bfe_u32 v25, v11, 16, 1
	v_and_b32_e32 v15, 0xffff0000, v15
	v_and_b32_e32 v14, 0xffff0000, v14
	s_wait_alu 0xfffd
	v_cndmask_b32_e32 v10, v21, v22, vcc_lo
	v_add3_u32 v21, v23, v16, 0x7fff
	v_mul_f32_e32 v22, v36, v24
	v_or_b32_e32 v23, 0x400000, v16
	v_cmp_u_f32_e32 vcc_lo, v16, v16
	v_add3_u32 v24, v25, v11, 0x7fff
	v_or_b32_e32 v25, 0x400000, v11
	v_bfe_u32 v26, v22, 16, 1
	v_and_b32_e32 v10, 0xffff0000, v10
	s_wait_alu 0xfffd
	v_cndmask_b32_e32 v16, v21, v23, vcc_lo
	v_cmp_u_f32_e32 vcc_lo, v11, v11
	v_or_b32_e32 v23, 0x400000, v22
	v_add3_u32 v21, v26, v22, 0x7fff
	v_dual_add_f32 v13, v15, v13 :: v_dual_add_f32 v10, v10, v14
	s_wait_alu 0xfffd
	v_cndmask_b32_e32 v11, v24, v25, vcc_lo
	v_bfe_u32 v24, v12, 16, 1
	v_cmp_u_f32_e32 vcc_lo, v22, v22
	v_and_b32_e32 v15, 0xffff0000, v5
	v_and_b32_e32 v14, 0xffff0000, v16
	;; [unrolled: 1-line block ×3, first 2 shown]
	v_add3_u32 v22, v24, v12, 0x7fff
	s_wait_alu 0xfffd
	v_cndmask_b32_e32 v21, v21, v23, vcc_lo
	v_or_b32_e32 v23, 0x400000, v12
	v_cmp_u_f32_e32 vcc_lo, v12, v12
	v_lshlrev_b32_e32 v5, 16, v5
	v_dual_add_f32 v10, v10, v13 :: v_dual_mul_f32 v13, v33, v15
	s_wait_alu 0xfffd
	v_dual_add_f32 v11, v11, v14 :: v_dual_cndmask_b32 v12, v22, v23
	s_delay_alu instid0(VALU_DEP_3)
	v_mul_f32_e32 v5, v41, v5
	v_and_b32_e32 v14, 0xffff0000, v21
	v_and_b32_e32 v15, 0xffff0000, v6
	v_bfe_u32 v16, v13, 16, 1
	v_and_b32_e32 v12, 0xffff0000, v12
	v_add_f32_e32 v10, v11, v10
	v_bfe_u32 v11, v5, 16, 1
	v_lshlrev_b32_e32 v6, 16, v6
	v_cmp_u_f32_e32 vcc_lo, v13, v13
	v_add_f32_e32 v12, v12, v14
	v_mul_f32_e32 v14, v35, v15
	v_add3_u32 v15, v16, v13, 0x7fff
	v_or_b32_e32 v16, 0x400000, v13
	v_add3_u32 v11, v11, v5, 0x7fff
	v_or_b32_e32 v21, 0x400000, v5
	v_bfe_u32 v22, v14, 16, 1
	s_wait_alu 0xfffd
	v_dual_mul_f32 v6, v42, v6 :: v_dual_cndmask_b32 v13, v15, v16
	v_cmp_u_f32_e32 vcc_lo, v5, v5
	v_and_b32_e32 v16, 0xffff0000, v7
	v_or_b32_e32 v15, 0x400000, v14
	v_lshlrev_b32_e32 v7, 16, v7
	v_and_b32_e32 v13, 0xffff0000, v13
	s_wait_alu 0xfffd
	v_cndmask_b32_e32 v5, v11, v21, vcc_lo
	v_add3_u32 v11, v22, v14, 0x7fff
	v_bfe_u32 v21, v6, 16, 1
	v_cmp_u_f32_e32 vcc_lo, v14, v14
	v_dual_mul_f32 v14, v34, v16 :: v_dual_mul_f32 v7, v44, v7
	v_or_b32_e32 v16, 0x400000, v6
	v_and_b32_e32 v5, 0xffff0000, v5
	s_wait_alu 0xfffd
	v_cndmask_b32_e32 v11, v11, v15, vcc_lo
	v_add3_u32 v15, v21, v6, 0x7fff
	v_and_b32_e32 v21, 0xffff0000, v8
	v_bfe_u32 v22, v14, 16, 1
	v_cmp_u_f32_e32 vcc_lo, v6, v6
	v_bfe_u32 v23, v7, 16, 1
	v_lshlrev_b32_e32 v8, 16, v8
	v_and_b32_e32 v11, 0xffff0000, v11
	s_wait_alu 0xfffd
	v_dual_add_f32 v5, v5, v13 :: v_dual_cndmask_b32 v6, v15, v16
	v_mul_f32_e32 v15, v36, v21
	v_add3_u32 v16, v22, v14, 0x7fff
	v_or_b32_e32 v21, 0x400000, v14
	v_cmp_u_f32_e32 vcc_lo, v14, v14
	v_add3_u32 v22, v23, v7, 0x7fff
	v_or_b32_e32 v23, 0x400000, v7
	v_bfe_u32 v24, v15, 16, 1
	v_and_b32_e32 v6, 0xffff0000, v6
	s_wait_alu 0xfffd
	v_cndmask_b32_e32 v14, v16, v21, vcc_lo
	v_cmp_u_f32_e32 vcc_lo, v7, v7
	v_or_b32_e32 v21, 0x400000, v15
	v_add3_u32 v16, v24, v15, 0x7fff
	v_mul_f32_e32 v8, v43, v8
	v_add_f32_e32 v6, v6, v11
	s_wait_alu 0xfffd
	v_cndmask_b32_e32 v7, v22, v23, vcc_lo
	v_cmp_u_f32_e32 vcc_lo, v15, v15
	v_and_b32_e32 v11, 0xffff0000, v1
	v_and_b32_e32 v13, 0xffff0000, v14
	v_add_f32_e32 v5, v6, v5
	v_and_b32_e32 v7, 0xffff0000, v7
	s_wait_alu 0xfffd
	v_cndmask_b32_e32 v15, v16, v21, vcc_lo
	v_bfe_u32 v16, v8, 16, 1
	v_dual_mul_f32 v6, v33, v11 :: v_dual_lshlrev_b32 v1, 16, v1
	v_add_f32_e32 v7, v7, v13
	v_cmp_u_f32_e32 vcc_lo, v8, v8
	s_delay_alu instid0(VALU_DEP_4)
	v_add3_u32 v14, v16, v8, 0x7fff
	v_or_b32_e32 v16, 0x400000, v8
	v_bfe_u32 v11, v6, 16, 1
	v_add_f32_e32 v5, v7, v5
	v_and_b32_e32 v7, 0xffff0000, v2
	s_wait_alu 0xfffd
	v_dual_mul_f32 v1, v41, v1 :: v_dual_cndmask_b32 v8, v14, v16
	v_add3_u32 v11, v11, v6, 0x7fff
	v_or_b32_e32 v13, 0x400000, v6
	v_mul_f32_e32 v7, v35, v7
	v_and_b32_e32 v14, 0xffff0000, v15
	v_bfe_u32 v15, v1, 16, 1
	v_cmp_u_f32_e32 vcc_lo, v6, v6
	v_lshlrev_b32_e32 v2, 16, v2
	v_or_b32_e32 v16, 0x400000, v1
	v_or_b32_e32 v21, 0x400000, v7
	v_and_b32_e32 v8, 0xffff0000, v8
	s_wait_alu 0xfffd
	v_cndmask_b32_e32 v6, v11, v13, vcc_lo
	v_bfe_u32 v11, v7, 16, 1
	v_add3_u32 v13, v15, v1, 0x7fff
	v_dual_mul_f32 v2, v42, v2 :: v_dual_and_b32 v15, 0xffff0000, v3
	v_cmp_u_f32_e32 vcc_lo, v1, v1
	s_delay_alu instid0(VALU_DEP_4) | instskip(SKIP_1) | instid1(VALU_DEP_4)
	v_add3_u32 v11, v11, v7, 0x7fff
	v_lshlrev_b32_e32 v3, 16, v3
	v_dual_mul_f32 v15, v34, v15 :: v_dual_and_b32 v6, 0xffff0000, v6
	s_wait_alu 0xfffd
	v_cndmask_b32_e32 v1, v13, v16, vcc_lo
	v_bfe_u32 v13, v2, 16, 1
	v_cmp_u_f32_e32 vcc_lo, v7, v7
	v_dual_mul_f32 v3, v44, v3 :: v_dual_and_b32 v16, 0xffff0000, v4
	v_or_b32_e32 v22, 0x400000, v15
	s_delay_alu instid0(VALU_DEP_4)
	v_add3_u32 v13, v13, v2, 0x7fff
	s_wait_alu 0xfffd
	v_cndmask_b32_e32 v7, v11, v21, vcc_lo
	v_bfe_u32 v11, v15, 16, 1
	v_or_b32_e32 v21, 0x400000, v2
	v_cmp_u_f32_e32 vcc_lo, v2, v2
	v_mul_f32_e32 v16, v36, v16
	v_lshlrev_b32_e32 v4, 16, v4
	v_add3_u32 v11, v11, v15, 0x7fff
	v_and_b32_e32 v1, 0xffff0000, v1
	s_wait_alu 0xfffd
	v_cndmask_b32_e32 v2, v13, v21, vcc_lo
	v_bfe_u32 v13, v3, 16, 1
	v_cmp_u_f32_e32 vcc_lo, v15, v15
	v_bfe_u32 v21, v16, 16, 1
	v_or_b32_e32 v15, 0x400000, v3
	v_mul_f32_e32 v4, v43, v4
	v_add3_u32 v13, v13, v3, 0x7fff
	s_wait_alu 0xfffd
	v_cndmask_b32_e32 v11, v11, v22, vcc_lo
	v_cmp_u_f32_e32 vcc_lo, v3, v3
	v_add3_u32 v21, v21, v16, 0x7fff
	v_or_b32_e32 v22, 0x400000, v16
	v_and_b32_e32 v2, 0xffff0000, v2
	v_and_b32_e32 v7, 0xffff0000, v7
	s_wait_alu 0xfffd
	v_cndmask_b32_e32 v3, v13, v15, vcc_lo
	v_cmp_u_f32_e32 vcc_lo, v16, v16
	v_bfe_u32 v15, v4, 16, 1
	v_dual_add_f32 v1, v1, v6 :: v_dual_add_f32 v2, v2, v7
	s_delay_alu instid0(VALU_DEP_4)
	v_and_b32_e32 v3, 0xffff0000, v3
	s_wait_alu 0xfffd
	v_cndmask_b32_e32 v13, v21, v22, vcc_lo
	s_wait_loadcnt 0x0
	v_lshlrev_b32_e32 v21, 16, v17
	v_and_b32_e32 v6, 0xffff0000, v11
	v_and_b32_e32 v11, 0xffff0000, v17
	v_add3_u32 v15, v15, v4, 0x7fff
	v_or_b32_e32 v16, 0x400000, v4
	v_mul_f32_e32 v7, v41, v21
	v_cmp_u_f32_e32 vcc_lo, v4, v4
	v_add_f32_e32 v1, v2, v1
	v_dual_add_f32 v3, v3, v6 :: v_dual_mul_f32 v6, v33, v11
	s_delay_alu instid0(VALU_DEP_4)
	v_bfe_u32 v2, v7, 16, 1
	s_wait_alu 0xfffd
	v_dual_cndmask_b32 v4, v15, v16 :: v_dual_lshlrev_b32 v11, 16, v18
	v_or_b32_e32 v15, 0x400000, v7
	v_bfe_u32 v16, v6, 16, 1
	v_add3_u32 v2, v2, v7, 0x7fff
	s_delay_alu instid0(VALU_DEP_4)
	v_mul_f32_e32 v11, v42, v11
	v_and_b32_e32 v17, 0xffff0000, v18
	v_cmp_u_f32_e32 vcc_lo, v7, v7
	v_add3_u32 v7, v16, v6, 0x7fff
	v_lshlrev_b32_e32 v18, 16, v19
	v_bfe_u32 v16, v11, 16, 1
	s_wait_alu 0xfffd
	v_dual_mul_f32 v17, v35, v17 :: v_dual_cndmask_b32 v2, v2, v15
	v_or_b32_e32 v15, 0x400000, v6
	v_cmp_u_f32_e32 vcc_lo, v6, v6
	v_dual_mul_f32 v18, v44, v18 :: v_dual_and_b32 v19, 0xffff0000, v19
	v_lshlrev_b32_e32 v21, 16, v20
	v_and_b32_e32 v20, 0xffff0000, v20
	s_wait_alu 0xfffd
	v_cndmask_b32_e32 v6, v7, v15, vcc_lo
	v_add3_u32 v7, v16, v11, 0x7fff
	v_or_b32_e32 v15, 0x400000, v11
	v_bfe_u32 v16, v17, 16, 1
	v_cmp_u_f32_e32 vcc_lo, v11, v11
	v_dual_mul_f32 v19, v34, v19 :: v_dual_mul_f32 v20, v36, v20
	v_and_b32_e32 v6, 0xffff0000, v6
	s_delay_alu instid0(VALU_DEP_4)
	v_add3_u32 v11, v16, v17, 0x7fff
	s_wait_alu 0xfffd
	v_cndmask_b32_e32 v7, v7, v15, vcc_lo
	v_or_b32_e32 v15, 0x400000, v17
	v_bfe_u32 v16, v18, 16, 1
	v_cmp_u_f32_e32 vcc_lo, v17, v17
	v_mul_f32_e32 v17, v43, v21
	v_or_b32_e32 v21, 0x400000, v18
	v_or_b32_e32 v22, 0x400000, v19
	v_add3_u32 v16, v16, v18, 0x7fff
	s_wait_alu 0xfffd
	v_cndmask_b32_e32 v11, v11, v15, vcc_lo
	v_bfe_u32 v15, v19, 16, 1
	v_cmp_u_f32_e32 vcc_lo, v18, v18
	v_bfe_u32 v24, v20, 16, 1
	v_bfe_u32 v23, v17, 16, 1
	v_and_b32_e32 v2, 0xffff0000, v2
	v_add3_u32 v15, v15, v19, 0x7fff
	s_wait_alu 0xfffd
	v_cndmask_b32_e32 v16, v16, v21, vcc_lo
	v_cmp_u_f32_e32 vcc_lo, v19, v19
	v_add3_u32 v19, v24, v20, 0x7fff
	v_or_b32_e32 v21, 0x400000, v20
	v_add3_u32 v18, v23, v17, 0x7fff
	v_and_b32_e32 v11, 0xffff0000, v11
	s_wait_alu 0xfffd
	v_cndmask_b32_e32 v15, v15, v22, vcc_lo
	v_cmp_u_f32_e32 vcc_lo, v20, v20
	v_and_b32_e32 v7, 0xffff0000, v7
	v_or_b32_e32 v22, 0x400000, v17
	v_add_f32_e32 v2, v2, v6
	s_wait_alu 0xfffd
	v_dual_cndmask_b32 v19, v19, v21 :: v_dual_and_b32 v4, 0xffff0000, v4
	v_cmp_u_f32_e32 vcc_lo, v17, v17
	v_add_f32_e32 v6, v7, v11
	v_and_b32_e32 v7, 0xffff0000, v15
	v_and_b32_e32 v11, 0xffff0000, v16
	;; [unrolled: 1-line block ×3, first 2 shown]
	s_wait_alu 0xfffd
	v_cndmask_b32_e32 v15, v18, v22, vcc_lo
	v_add_f32_e32 v2, v6, v2
	v_add_f32_e32 v8, v8, v14
	;; [unrolled: 1-line block ×3, first 2 shown]
	v_and_b32_e32 v7, 0xffff0000, v19
	v_and_b32_e32 v11, 0xffff0000, v15
	v_add_f32_e32 v1, v3, v1
	s_delay_alu instid0(VALU_DEP_4) | instskip(SKIP_1) | instid1(VALU_DEP_4)
	v_dual_add_f32 v3, v4, v13 :: v_dual_add_f32 v2, v6, v2
	v_add_f32_e32 v6, v12, v10
	v_dual_add_f32 v4, v11, v7 :: v_dual_add_f32 v5, v8, v5
	s_delay_alu instid0(VALU_DEP_3) | instskip(SKIP_1) | instid1(VALU_DEP_3)
	v_add_f32_e32 v1, v3, v1
	v_cmp_le_i32_e32 vcc_lo, s13, v61
	v_dual_add_f32 v73, v73, v9 :: v_dual_add_f32 v2, v4, v2
	s_delay_alu instid0(VALU_DEP_4) | instskip(NEXT) | instid1(VALU_DEP_4)
	v_dual_add_f32 v75, v75, v6 :: v_dual_add_f32 v76, v76, v5
	v_add_f32_e32 v74, v74, v1
	s_or_b32 s4, vcc_lo, s4
	s_delay_alu instid0(VALU_DEP_3)
	v_add_f32_e32 v65, v65, v2
	s_wait_alu 0xfffe
	s_and_not1_b32 exec_lo, exec_lo, s4
	s_cbranch_execz .LBB183_53
.LBB183_29:                             ; =>This Inner Loop Header: Depth=1
	global_load_b32 v1, v[57:58], off
	v_add_nc_u32_e32 v86, 1, v79
	v_or_b32_e32 v85, 3, v79
	v_or_b32_e32 v87, 2, v79
	;; [unrolled: 1-line block ×6, first 2 shown]
	s_wait_loadcnt 0x0
	s_wait_alu 0xfffe
	v_mad_co_i64_i32 v[1:2], null, v1, s2, 0
	s_delay_alu instid0(VALU_DEP_1) | instskip(NEXT) | instid1(VALU_DEP_1)
	v_lshlrev_b64_e32 v[1:2], 1, v[1:2]
	v_add_co_u32 v17, vcc_lo, v77, v1
	s_wait_alu 0xfffd
	s_delay_alu instid0(VALU_DEP_2)
	v_add_co_ci_u32_e64 v18, null, v78, v2, vcc_lo
	v_cmp_eq_u32_e32 vcc_lo, s3, v61
	global_load_b128 v[1:4], v[17:18], off
	ds_load_2addr_b64 v[41:44], v80 offset1:1
	ds_load_2addr_b64 v[33:36], v80 offset0:2 offset1:3
	s_and_saveexec_b32 s6, vcc_lo
	s_cbranch_execnz .LBB183_41
; %bb.30:                               ;   in Loop: Header=BB183_29 Depth=1
	s_or_b32 exec_lo, exec_lo, s6
	global_load_b128 v[5:8], v[17:18], off offset:512
	s_and_saveexec_b32 s6, vcc_lo
	s_cbranch_execnz .LBB183_42
.LBB183_31:                             ;   in Loop: Header=BB183_29 Depth=1
	s_or_b32 exec_lo, exec_lo, s6
	global_load_b128 v[9:12], v[17:18], off offset:1024
	s_and_saveexec_b32 s6, vcc_lo
	s_cbranch_execnz .LBB183_43
.LBB183_32:                             ;   in Loop: Header=BB183_29 Depth=1
	s_or_b32 exec_lo, exec_lo, s6
	global_load_b128 v[13:16], v[17:18], off offset:1536
	s_and_saveexec_b32 s6, vcc_lo
	s_cbranch_execnz .LBB183_44
.LBB183_33:                             ;   in Loop: Header=BB183_29 Depth=1
	s_or_b32 exec_lo, exec_lo, s6
	global_load_b128 v[21:24], v[17:18], off offset:2048
	s_and_saveexec_b32 s6, vcc_lo
	s_cbranch_execnz .LBB183_45
.LBB183_34:                             ;   in Loop: Header=BB183_29 Depth=1
	s_or_b32 exec_lo, exec_lo, s6
	global_load_b128 v[25:28], v[17:18], off offset:2560
	s_and_saveexec_b32 s6, vcc_lo
	s_cbranch_execnz .LBB183_46
.LBB183_35:                             ;   in Loop: Header=BB183_29 Depth=1
	s_or_b32 exec_lo, exec_lo, s6
	global_load_b128 v[29:32], v[17:18], off offset:3072
	s_and_saveexec_b32 s6, vcc_lo
	s_cbranch_execnz .LBB183_47
.LBB183_36:                             ;   in Loop: Header=BB183_29 Depth=1
	s_or_b32 exec_lo, exec_lo, s6
	global_load_b128 v[37:40], v[17:18], off offset:3584
	s_and_saveexec_b32 s6, vcc_lo
	s_cbranch_execnz .LBB183_48
.LBB183_37:                             ;   in Loop: Header=BB183_29 Depth=1
	s_or_b32 exec_lo, exec_lo, s6
	global_load_b128 v[45:48], v[17:18], off offset:4096
	s_and_saveexec_b32 s6, vcc_lo
	s_cbranch_execnz .LBB183_49
.LBB183_38:                             ;   in Loop: Header=BB183_29 Depth=1
	s_or_b32 exec_lo, exec_lo, s6
	global_load_b128 v[49:52], v[17:18], off offset:4608
	s_and_saveexec_b32 s6, vcc_lo
	s_cbranch_execnz .LBB183_50
.LBB183_39:                             ;   in Loop: Header=BB183_29 Depth=1
	s_or_b32 exec_lo, exec_lo, s6
	global_load_b128 v[53:56], v[17:18], off offset:5120
	s_and_saveexec_b32 s6, vcc_lo
	s_cbranch_execnz .LBB183_51
.LBB183_40:                             ;   in Loop: Header=BB183_29 Depth=1
	s_or_b32 exec_lo, exec_lo, s6
	global_load_b128 v[17:20], v[17:18], off offset:5632
	s_and_saveexec_b32 s0, vcc_lo
	s_cbranch_execz .LBB183_28
	s_branch .LBB183_52
.LBB183_41:                             ;   in Loop: Header=BB183_29 Depth=1
	v_cmp_gt_i32_e64 s0, s25, v79
	s_wait_loadcnt 0x0
	v_lshrrev_b32_e32 v5, 16, v1
	v_lshrrev_b32_e32 v6, 16, v2
	;; [unrolled: 1-line block ×4, first 2 shown]
	s_wait_alu 0xf1ff
	v_cndmask_b32_e64 v1, 0, v1, s0
	v_cmp_gt_i32_e64 s0, s5, v86
	s_wait_alu 0xf1ff
	s_delay_alu instid0(VALU_DEP_1) | instskip(SKIP_1) | instid1(VALU_DEP_2)
	v_cndmask_b32_e64 v5, 0, v5, s0
	v_cmp_gt_i32_e64 s0, s25, v87
	v_perm_b32 v1, v5, v1, 0x5040100
	s_wait_alu 0xf1ff
	s_delay_alu instid0(VALU_DEP_2) | instskip(SKIP_2) | instid1(VALU_DEP_1)
	v_cndmask_b32_e64 v2, 0, v2, s0
	v_cmp_gt_i32_e64 s0, s5, v85
	s_wait_alu 0xf1ff
	v_cndmask_b32_e64 v6, 0, v6, s0
	v_cmp_gt_i32_e64 s0, s25, v84
	s_delay_alu instid0(VALU_DEP_2) | instskip(SKIP_1) | instid1(VALU_DEP_2)
	v_perm_b32 v2, v6, v2, 0x5040100
	s_wait_alu 0xf1ff
	v_cndmask_b32_e64 v3, 0, v3, s0
	v_cmp_gt_i32_e64 s0, s5, v82
	s_wait_alu 0xf1ff
	s_delay_alu instid0(VALU_DEP_1) | instskip(SKIP_1) | instid1(VALU_DEP_2)
	v_cndmask_b32_e64 v7, 0, v7, s0
	v_cmp_gt_i32_e64 s0, s25, v83
	v_perm_b32 v3, v7, v3, 0x5040100
	s_wait_alu 0xf1ff
	s_delay_alu instid0(VALU_DEP_2) | instskip(SKIP_2) | instid1(VALU_DEP_1)
	v_cndmask_b32_e64 v4, 0, v4, s0
	v_cmp_gt_i32_e64 s0, s5, v81
	s_wait_alu 0xf1ff
	v_cndmask_b32_e64 v8, 0, v8, s0
	s_delay_alu instid0(VALU_DEP_1)
	v_perm_b32 v4, v8, v4, 0x5040100
	s_or_b32 exec_lo, exec_lo, s6
	global_load_b128 v[5:8], v[17:18], off offset:512
	s_and_saveexec_b32 s6, vcc_lo
	s_cbranch_execz .LBB183_31
.LBB183_42:                             ;   in Loop: Header=BB183_29 Depth=1
	v_cmp_gt_i32_e64 s0, s25, v79
	s_wait_loadcnt 0x0
	v_lshrrev_b32_e32 v9, 16, v5
	v_lshrrev_b32_e32 v10, 16, v6
	;; [unrolled: 1-line block ×4, first 2 shown]
	s_wait_alu 0xf1ff
	v_cndmask_b32_e64 v5, 0, v5, s0
	v_cmp_gt_i32_e64 s0, s5, v86
	s_wait_alu 0xf1ff
	s_delay_alu instid0(VALU_DEP_1) | instskip(SKIP_1) | instid1(VALU_DEP_2)
	v_cndmask_b32_e64 v9, 0, v9, s0
	v_cmp_gt_i32_e64 s0, s25, v87
	v_perm_b32 v5, v9, v5, 0x5040100
	s_wait_alu 0xf1ff
	s_delay_alu instid0(VALU_DEP_2) | instskip(SKIP_2) | instid1(VALU_DEP_1)
	v_cndmask_b32_e64 v6, 0, v6, s0
	v_cmp_gt_i32_e64 s0, s5, v85
	s_wait_alu 0xf1ff
	v_cndmask_b32_e64 v10, 0, v10, s0
	v_cmp_gt_i32_e64 s0, s25, v84
	s_delay_alu instid0(VALU_DEP_2) | instskip(SKIP_1) | instid1(VALU_DEP_2)
	v_perm_b32 v6, v10, v6, 0x5040100
	s_wait_alu 0xf1ff
	v_cndmask_b32_e64 v7, 0, v7, s0
	v_cmp_gt_i32_e64 s0, s5, v82
	s_wait_alu 0xf1ff
	s_delay_alu instid0(VALU_DEP_1) | instskip(SKIP_1) | instid1(VALU_DEP_2)
	v_cndmask_b32_e64 v11, 0, v11, s0
	v_cmp_gt_i32_e64 s0, s25, v83
	v_perm_b32 v7, v11, v7, 0x5040100
	s_wait_alu 0xf1ff
	s_delay_alu instid0(VALU_DEP_2) | instskip(SKIP_2) | instid1(VALU_DEP_1)
	v_cndmask_b32_e64 v8, 0, v8, s0
	v_cmp_gt_i32_e64 s0, s5, v81
	s_wait_alu 0xf1ff
	v_cndmask_b32_e64 v12, 0, v12, s0
	s_delay_alu instid0(VALU_DEP_1)
	v_perm_b32 v8, v12, v8, 0x5040100
	s_or_b32 exec_lo, exec_lo, s6
	global_load_b128 v[9:12], v[17:18], off offset:1024
	s_and_saveexec_b32 s6, vcc_lo
	s_cbranch_execz .LBB183_32
.LBB183_43:                             ;   in Loop: Header=BB183_29 Depth=1
	v_cmp_gt_i32_e64 s0, s25, v79
	s_wait_loadcnt 0x0
	v_lshrrev_b32_e32 v13, 16, v9
	v_lshrrev_b32_e32 v14, 16, v10
	;; [unrolled: 1-line block ×4, first 2 shown]
	s_wait_alu 0xf1ff
	v_cndmask_b32_e64 v9, 0, v9, s0
	v_cmp_gt_i32_e64 s0, s5, v86
	s_wait_alu 0xf1ff
	s_delay_alu instid0(VALU_DEP_1) | instskip(SKIP_1) | instid1(VALU_DEP_2)
	v_cndmask_b32_e64 v13, 0, v13, s0
	v_cmp_gt_i32_e64 s0, s25, v87
	v_perm_b32 v9, v13, v9, 0x5040100
	s_wait_alu 0xf1ff
	s_delay_alu instid0(VALU_DEP_2) | instskip(SKIP_2) | instid1(VALU_DEP_1)
	v_cndmask_b32_e64 v10, 0, v10, s0
	v_cmp_gt_i32_e64 s0, s5, v85
	s_wait_alu 0xf1ff
	v_cndmask_b32_e64 v14, 0, v14, s0
	v_cmp_gt_i32_e64 s0, s25, v84
	s_delay_alu instid0(VALU_DEP_2) | instskip(SKIP_1) | instid1(VALU_DEP_2)
	v_perm_b32 v10, v14, v10, 0x5040100
	s_wait_alu 0xf1ff
	v_cndmask_b32_e64 v11, 0, v11, s0
	v_cmp_gt_i32_e64 s0, s5, v82
	s_wait_alu 0xf1ff
	s_delay_alu instid0(VALU_DEP_1) | instskip(SKIP_1) | instid1(VALU_DEP_2)
	v_cndmask_b32_e64 v15, 0, v15, s0
	v_cmp_gt_i32_e64 s0, s25, v83
	v_perm_b32 v11, v15, v11, 0x5040100
	s_wait_alu 0xf1ff
	s_delay_alu instid0(VALU_DEP_2) | instskip(SKIP_2) | instid1(VALU_DEP_1)
	v_cndmask_b32_e64 v12, 0, v12, s0
	v_cmp_gt_i32_e64 s0, s5, v81
	s_wait_alu 0xf1ff
	v_cndmask_b32_e64 v16, 0, v16, s0
	s_delay_alu instid0(VALU_DEP_1)
	v_perm_b32 v12, v16, v12, 0x5040100
	s_or_b32 exec_lo, exec_lo, s6
	global_load_b128 v[13:16], v[17:18], off offset:1536
	s_and_saveexec_b32 s6, vcc_lo
	s_cbranch_execz .LBB183_33
.LBB183_44:                             ;   in Loop: Header=BB183_29 Depth=1
	v_cmp_gt_i32_e64 s0, s25, v79
	s_wait_loadcnt 0x0
	v_lshrrev_b32_e32 v19, 16, v13
	v_lshrrev_b32_e32 v20, 16, v14
	;; [unrolled: 1-line block ×4, first 2 shown]
	s_wait_alu 0xf1ff
	v_cndmask_b32_e64 v13, 0, v13, s0
	v_cmp_gt_i32_e64 s0, s5, v86
	s_wait_alu 0xf1ff
	s_delay_alu instid0(VALU_DEP_1) | instskip(SKIP_1) | instid1(VALU_DEP_2)
	v_cndmask_b32_e64 v19, 0, v19, s0
	v_cmp_gt_i32_e64 s0, s25, v87
	v_perm_b32 v13, v19, v13, 0x5040100
	s_wait_alu 0xf1ff
	s_delay_alu instid0(VALU_DEP_2) | instskip(SKIP_2) | instid1(VALU_DEP_1)
	v_cndmask_b32_e64 v14, 0, v14, s0
	v_cmp_gt_i32_e64 s0, s5, v85
	s_wait_alu 0xf1ff
	v_cndmask_b32_e64 v20, 0, v20, s0
	v_cmp_gt_i32_e64 s0, s25, v84
	s_delay_alu instid0(VALU_DEP_2) | instskip(SKIP_1) | instid1(VALU_DEP_2)
	v_perm_b32 v14, v20, v14, 0x5040100
	s_wait_alu 0xf1ff
	v_cndmask_b32_e64 v15, 0, v15, s0
	v_cmp_gt_i32_e64 s0, s5, v82
	s_wait_alu 0xf1ff
	s_delay_alu instid0(VALU_DEP_1) | instskip(SKIP_1) | instid1(VALU_DEP_2)
	v_cndmask_b32_e64 v21, 0, v21, s0
	v_cmp_gt_i32_e64 s0, s25, v83
	v_perm_b32 v15, v21, v15, 0x5040100
	s_wait_alu 0xf1ff
	s_delay_alu instid0(VALU_DEP_2) | instskip(SKIP_2) | instid1(VALU_DEP_1)
	v_cndmask_b32_e64 v16, 0, v16, s0
	v_cmp_gt_i32_e64 s0, s5, v81
	s_wait_alu 0xf1ff
	v_cndmask_b32_e64 v22, 0, v22, s0
	s_delay_alu instid0(VALU_DEP_1)
	v_perm_b32 v16, v22, v16, 0x5040100
	s_or_b32 exec_lo, exec_lo, s6
	global_load_b128 v[21:24], v[17:18], off offset:2048
	s_and_saveexec_b32 s6, vcc_lo
	s_cbranch_execz .LBB183_34
.LBB183_45:                             ;   in Loop: Header=BB183_29 Depth=1
	v_cmp_gt_i32_e64 s0, s25, v79
	s_wait_loadcnt 0x0
	v_lshrrev_b32_e32 v19, 16, v21
	v_lshrrev_b32_e32 v26, 16, v24
	s_wait_alu 0xf1ff
	v_cndmask_b32_e64 v20, 0, v21, s0
	v_cmp_gt_i32_e64 s0, s5, v86
	v_lshrrev_b32_e32 v21, 16, v22
	s_wait_alu 0xf1ff
	s_delay_alu instid0(VALU_DEP_2) | instskip(SKIP_2) | instid1(VALU_DEP_1)
	v_cndmask_b32_e64 v19, 0, v19, s0
	v_cmp_gt_i32_e64 s0, s25, v87
	s_wait_alu 0xf1ff
	v_cndmask_b32_e64 v22, 0, v22, s0
	v_cmp_gt_i32_e64 s0, s5, v85
	s_wait_alu 0xf1ff
	s_delay_alu instid0(VALU_DEP_1) | instskip(SKIP_2) | instid1(VALU_DEP_3)
	v_cndmask_b32_e64 v25, 0, v21, s0
	v_cmp_gt_i32_e64 s0, s25, v84
	v_lshrrev_b32_e32 v21, 16, v23
	v_perm_b32 v22, v25, v22, 0x5040100
	s_wait_alu 0xf1ff
	s_delay_alu instid0(VALU_DEP_3) | instskip(SKIP_2) | instid1(VALU_DEP_1)
	v_cndmask_b32_e64 v23, 0, v23, s0
	v_cmp_gt_i32_e64 s0, s5, v82
	s_wait_alu 0xf1ff
	v_cndmask_b32_e64 v27, 0, v21, s0
	v_cmp_gt_i32_e64 s0, s25, v83
	v_perm_b32 v21, v19, v20, 0x5040100
	s_delay_alu instid0(VALU_DEP_3) | instskip(SKIP_1) | instid1(VALU_DEP_3)
	v_perm_b32 v23, v27, v23, 0x5040100
	s_wait_alu 0xf1ff
	v_cndmask_b32_e64 v24, 0, v24, s0
	v_cmp_gt_i32_e64 s0, s5, v81
	s_wait_alu 0xf1ff
	s_delay_alu instid0(VALU_DEP_1) | instskip(NEXT) | instid1(VALU_DEP_1)
	v_cndmask_b32_e64 v26, 0, v26, s0
	v_perm_b32 v24, v26, v24, 0x5040100
	s_or_b32 exec_lo, exec_lo, s6
	global_load_b128 v[25:28], v[17:18], off offset:2560
	s_and_saveexec_b32 s6, vcc_lo
	s_cbranch_execz .LBB183_35
.LBB183_46:                             ;   in Loop: Header=BB183_29 Depth=1
	v_cmp_gt_i32_e64 s0, s25, v79
	s_wait_loadcnt 0x0
	v_lshrrev_b32_e32 v19, 16, v25
	v_lshrrev_b32_e32 v30, 16, v28
	s_wait_alu 0xf1ff
	v_cndmask_b32_e64 v20, 0, v25, s0
	v_cmp_gt_i32_e64 s0, s5, v86
	v_lshrrev_b32_e32 v25, 16, v26
	s_wait_alu 0xf1ff
	s_delay_alu instid0(VALU_DEP_2) | instskip(SKIP_2) | instid1(VALU_DEP_1)
	v_cndmask_b32_e64 v19, 0, v19, s0
	v_cmp_gt_i32_e64 s0, s25, v87
	s_wait_alu 0xf1ff
	v_cndmask_b32_e64 v26, 0, v26, s0
	v_cmp_gt_i32_e64 s0, s5, v85
	s_wait_alu 0xf1ff
	s_delay_alu instid0(VALU_DEP_1) | instskip(SKIP_2) | instid1(VALU_DEP_3)
	v_cndmask_b32_e64 v29, 0, v25, s0
	v_cmp_gt_i32_e64 s0, s25, v84
	v_lshrrev_b32_e32 v25, 16, v27
	v_perm_b32 v26, v29, v26, 0x5040100
	s_wait_alu 0xf1ff
	s_delay_alu instid0(VALU_DEP_3) | instskip(SKIP_2) | instid1(VALU_DEP_1)
	v_cndmask_b32_e64 v27, 0, v27, s0
	v_cmp_gt_i32_e64 s0, s5, v82
	s_wait_alu 0xf1ff
	v_cndmask_b32_e64 v31, 0, v25, s0
	v_cmp_gt_i32_e64 s0, s25, v83
	v_perm_b32 v25, v19, v20, 0x5040100
	s_delay_alu instid0(VALU_DEP_3) | instskip(SKIP_1) | instid1(VALU_DEP_3)
	v_perm_b32 v27, v31, v27, 0x5040100
	s_wait_alu 0xf1ff
	v_cndmask_b32_e64 v28, 0, v28, s0
	v_cmp_gt_i32_e64 s0, s5, v81
	s_wait_alu 0xf1ff
	s_delay_alu instid0(VALU_DEP_1) | instskip(NEXT) | instid1(VALU_DEP_1)
	v_cndmask_b32_e64 v30, 0, v30, s0
	v_perm_b32 v28, v30, v28, 0x5040100
	s_or_b32 exec_lo, exec_lo, s6
	global_load_b128 v[29:32], v[17:18], off offset:3072
	s_and_saveexec_b32 s6, vcc_lo
	s_cbranch_execz .LBB183_36
.LBB183_47:                             ;   in Loop: Header=BB183_29 Depth=1
	v_cmp_gt_i32_e64 s0, s25, v79
	s_wait_loadcnt 0x0
	v_lshrrev_b32_e32 v19, 16, v29
	v_lshrrev_b32_e32 v38, 16, v32
	s_wait_alu 0xf1ff
	v_cndmask_b32_e64 v20, 0, v29, s0
	v_cmp_gt_i32_e64 s0, s5, v86
	v_lshrrev_b32_e32 v29, 16, v30
	s_wait_alu 0xf1ff
	s_delay_alu instid0(VALU_DEP_2) | instskip(SKIP_2) | instid1(VALU_DEP_1)
	v_cndmask_b32_e64 v19, 0, v19, s0
	v_cmp_gt_i32_e64 s0, s25, v87
	s_wait_alu 0xf1ff
	v_cndmask_b32_e64 v30, 0, v30, s0
	v_cmp_gt_i32_e64 s0, s5, v85
	s_wait_alu 0xf1ff
	s_delay_alu instid0(VALU_DEP_1) | instskip(SKIP_2) | instid1(VALU_DEP_3)
	v_cndmask_b32_e64 v37, 0, v29, s0
	v_cmp_gt_i32_e64 s0, s25, v84
	v_lshrrev_b32_e32 v29, 16, v31
	v_perm_b32 v30, v37, v30, 0x5040100
	s_wait_alu 0xf1ff
	s_delay_alu instid0(VALU_DEP_3) | instskip(SKIP_2) | instid1(VALU_DEP_1)
	v_cndmask_b32_e64 v31, 0, v31, s0
	v_cmp_gt_i32_e64 s0, s5, v82
	s_wait_alu 0xf1ff
	v_cndmask_b32_e64 v39, 0, v29, s0
	v_cmp_gt_i32_e64 s0, s25, v83
	v_perm_b32 v29, v19, v20, 0x5040100
	s_delay_alu instid0(VALU_DEP_3) | instskip(SKIP_1) | instid1(VALU_DEP_3)
	v_perm_b32 v31, v39, v31, 0x5040100
	s_wait_alu 0xf1ff
	v_cndmask_b32_e64 v32, 0, v32, s0
	v_cmp_gt_i32_e64 s0, s5, v81
	s_wait_alu 0xf1ff
	s_delay_alu instid0(VALU_DEP_1) | instskip(NEXT) | instid1(VALU_DEP_1)
	v_cndmask_b32_e64 v38, 0, v38, s0
	v_perm_b32 v32, v38, v32, 0x5040100
	s_or_b32 exec_lo, exec_lo, s6
	global_load_b128 v[37:40], v[17:18], off offset:3584
	s_and_saveexec_b32 s6, vcc_lo
	s_cbranch_execz .LBB183_37
.LBB183_48:                             ;   in Loop: Header=BB183_29 Depth=1
	v_cmp_gt_i32_e64 s0, s25, v79
	s_wait_loadcnt 0x0
	v_lshrrev_b32_e32 v19, 16, v37
	v_lshrrev_b32_e32 v46, 16, v40
	s_wait_alu 0xf1ff
	v_cndmask_b32_e64 v20, 0, v37, s0
	v_cmp_gt_i32_e64 s0, s5, v86
	v_lshrrev_b32_e32 v37, 16, v38
	s_wait_alu 0xf1ff
	s_delay_alu instid0(VALU_DEP_2) | instskip(SKIP_2) | instid1(VALU_DEP_1)
	v_cndmask_b32_e64 v19, 0, v19, s0
	v_cmp_gt_i32_e64 s0, s25, v87
	s_wait_alu 0xf1ff
	v_cndmask_b32_e64 v38, 0, v38, s0
	v_cmp_gt_i32_e64 s0, s5, v85
	s_wait_alu 0xf1ff
	s_delay_alu instid0(VALU_DEP_1) | instskip(SKIP_2) | instid1(VALU_DEP_3)
	v_cndmask_b32_e64 v45, 0, v37, s0
	v_cmp_gt_i32_e64 s0, s25, v84
	v_lshrrev_b32_e32 v37, 16, v39
	v_perm_b32 v38, v45, v38, 0x5040100
	s_wait_alu 0xf1ff
	s_delay_alu instid0(VALU_DEP_3) | instskip(SKIP_2) | instid1(VALU_DEP_1)
	v_cndmask_b32_e64 v39, 0, v39, s0
	v_cmp_gt_i32_e64 s0, s5, v82
	s_wait_alu 0xf1ff
	v_cndmask_b32_e64 v47, 0, v37, s0
	v_cmp_gt_i32_e64 s0, s25, v83
	v_perm_b32 v37, v19, v20, 0x5040100
	s_delay_alu instid0(VALU_DEP_3) | instskip(SKIP_1) | instid1(VALU_DEP_3)
	v_perm_b32 v39, v47, v39, 0x5040100
	s_wait_alu 0xf1ff
	v_cndmask_b32_e64 v40, 0, v40, s0
	v_cmp_gt_i32_e64 s0, s5, v81
	s_wait_alu 0xf1ff
	s_delay_alu instid0(VALU_DEP_1) | instskip(NEXT) | instid1(VALU_DEP_1)
	v_cndmask_b32_e64 v46, 0, v46, s0
	v_perm_b32 v40, v46, v40, 0x5040100
	s_or_b32 exec_lo, exec_lo, s6
	global_load_b128 v[45:48], v[17:18], off offset:4096
	s_and_saveexec_b32 s6, vcc_lo
	s_cbranch_execz .LBB183_38
.LBB183_49:                             ;   in Loop: Header=BB183_29 Depth=1
	v_cmp_gt_i32_e64 s0, s25, v79
	s_wait_loadcnt 0x0
	v_lshrrev_b32_e32 v19, 16, v45
	v_lshrrev_b32_e32 v50, 16, v48
	s_wait_alu 0xf1ff
	v_cndmask_b32_e64 v20, 0, v45, s0
	v_cmp_gt_i32_e64 s0, s5, v86
	v_lshrrev_b32_e32 v45, 16, v46
	s_wait_alu 0xf1ff
	s_delay_alu instid0(VALU_DEP_2) | instskip(SKIP_2) | instid1(VALU_DEP_1)
	v_cndmask_b32_e64 v19, 0, v19, s0
	v_cmp_gt_i32_e64 s0, s25, v87
	s_wait_alu 0xf1ff
	v_cndmask_b32_e64 v46, 0, v46, s0
	v_cmp_gt_i32_e64 s0, s5, v85
	s_wait_alu 0xf1ff
	s_delay_alu instid0(VALU_DEP_1) | instskip(SKIP_2) | instid1(VALU_DEP_3)
	v_cndmask_b32_e64 v49, 0, v45, s0
	v_cmp_gt_i32_e64 s0, s25, v84
	v_lshrrev_b32_e32 v45, 16, v47
	v_perm_b32 v46, v49, v46, 0x5040100
	s_wait_alu 0xf1ff
	s_delay_alu instid0(VALU_DEP_3) | instskip(SKIP_2) | instid1(VALU_DEP_1)
	v_cndmask_b32_e64 v47, 0, v47, s0
	v_cmp_gt_i32_e64 s0, s5, v82
	s_wait_alu 0xf1ff
	v_cndmask_b32_e64 v51, 0, v45, s0
	v_cmp_gt_i32_e64 s0, s25, v83
	v_perm_b32 v45, v19, v20, 0x5040100
	s_delay_alu instid0(VALU_DEP_3) | instskip(SKIP_1) | instid1(VALU_DEP_3)
	v_perm_b32 v47, v51, v47, 0x5040100
	s_wait_alu 0xf1ff
	v_cndmask_b32_e64 v48, 0, v48, s0
	v_cmp_gt_i32_e64 s0, s5, v81
	s_wait_alu 0xf1ff
	s_delay_alu instid0(VALU_DEP_1) | instskip(NEXT) | instid1(VALU_DEP_1)
	v_cndmask_b32_e64 v50, 0, v50, s0
	v_perm_b32 v48, v50, v48, 0x5040100
	s_or_b32 exec_lo, exec_lo, s6
	global_load_b128 v[49:52], v[17:18], off offset:4608
	s_and_saveexec_b32 s6, vcc_lo
	s_cbranch_execz .LBB183_39
.LBB183_50:                             ;   in Loop: Header=BB183_29 Depth=1
	v_cmp_gt_i32_e64 s0, s25, v79
	s_wait_loadcnt 0x0
	v_lshrrev_b32_e32 v19, 16, v49
	v_lshrrev_b32_e32 v54, 16, v52
	s_wait_alu 0xf1ff
	v_cndmask_b32_e64 v20, 0, v49, s0
	v_cmp_gt_i32_e64 s0, s5, v86
	v_lshrrev_b32_e32 v49, 16, v50
	s_wait_alu 0xf1ff
	s_delay_alu instid0(VALU_DEP_2) | instskip(SKIP_2) | instid1(VALU_DEP_1)
	v_cndmask_b32_e64 v19, 0, v19, s0
	v_cmp_gt_i32_e64 s0, s25, v87
	s_wait_alu 0xf1ff
	v_cndmask_b32_e64 v50, 0, v50, s0
	v_cmp_gt_i32_e64 s0, s5, v85
	s_wait_alu 0xf1ff
	s_delay_alu instid0(VALU_DEP_1) | instskip(SKIP_2) | instid1(VALU_DEP_3)
	v_cndmask_b32_e64 v53, 0, v49, s0
	v_cmp_gt_i32_e64 s0, s25, v84
	v_lshrrev_b32_e32 v49, 16, v51
	v_perm_b32 v50, v53, v50, 0x5040100
	s_wait_alu 0xf1ff
	s_delay_alu instid0(VALU_DEP_3) | instskip(SKIP_2) | instid1(VALU_DEP_1)
	v_cndmask_b32_e64 v51, 0, v51, s0
	v_cmp_gt_i32_e64 s0, s5, v82
	s_wait_alu 0xf1ff
	v_cndmask_b32_e64 v55, 0, v49, s0
	v_cmp_gt_i32_e64 s0, s25, v83
	v_perm_b32 v49, v19, v20, 0x5040100
	s_delay_alu instid0(VALU_DEP_3) | instskip(SKIP_1) | instid1(VALU_DEP_3)
	v_perm_b32 v51, v55, v51, 0x5040100
	s_wait_alu 0xf1ff
	v_cndmask_b32_e64 v52, 0, v52, s0
	v_cmp_gt_i32_e64 s0, s5, v81
	s_wait_alu 0xf1ff
	s_delay_alu instid0(VALU_DEP_1) | instskip(NEXT) | instid1(VALU_DEP_1)
	v_cndmask_b32_e64 v54, 0, v54, s0
	v_perm_b32 v52, v54, v52, 0x5040100
	s_or_b32 exec_lo, exec_lo, s6
	global_load_b128 v[53:56], v[17:18], off offset:5120
	s_and_saveexec_b32 s6, vcc_lo
	s_cbranch_execz .LBB183_40
.LBB183_51:                             ;   in Loop: Header=BB183_29 Depth=1
	v_cmp_gt_i32_e64 s0, s25, v79
	s_wait_loadcnt 0x0
	v_lshrrev_b32_e32 v19, 16, v53
	v_lshrrev_b32_e32 v89, 16, v56
	s_wait_alu 0xf1ff
	v_cndmask_b32_e64 v20, 0, v53, s0
	v_cmp_gt_i32_e64 s0, s5, v86
	v_lshrrev_b32_e32 v53, 16, v54
	s_wait_alu 0xf1ff
	s_delay_alu instid0(VALU_DEP_2) | instskip(SKIP_2) | instid1(VALU_DEP_1)
	v_cndmask_b32_e64 v19, 0, v19, s0
	v_cmp_gt_i32_e64 s0, s25, v87
	s_wait_alu 0xf1ff
	v_cndmask_b32_e64 v54, 0, v54, s0
	v_cmp_gt_i32_e64 s0, s5, v85
	s_wait_alu 0xf1ff
	s_delay_alu instid0(VALU_DEP_1) | instskip(SKIP_2) | instid1(VALU_DEP_3)
	v_cndmask_b32_e64 v88, 0, v53, s0
	v_cmp_gt_i32_e64 s0, s25, v84
	v_lshrrev_b32_e32 v53, 16, v55
	v_perm_b32 v54, v88, v54, 0x5040100
	s_wait_alu 0xf1ff
	s_delay_alu instid0(VALU_DEP_3) | instskip(SKIP_2) | instid1(VALU_DEP_1)
	v_cndmask_b32_e64 v55, 0, v55, s0
	v_cmp_gt_i32_e64 s0, s5, v82
	s_wait_alu 0xf1ff
	v_cndmask_b32_e64 v90, 0, v53, s0
	v_cmp_gt_i32_e64 s0, s25, v83
	v_perm_b32 v53, v19, v20, 0x5040100
	s_delay_alu instid0(VALU_DEP_3) | instskip(SKIP_1) | instid1(VALU_DEP_3)
	v_perm_b32 v55, v90, v55, 0x5040100
	s_wait_alu 0xf1ff
	v_cndmask_b32_e64 v56, 0, v56, s0
	v_cmp_gt_i32_e64 s0, s5, v81
	s_wait_alu 0xf1ff
	s_delay_alu instid0(VALU_DEP_1) | instskip(NEXT) | instid1(VALU_DEP_1)
	v_cndmask_b32_e64 v89, 0, v89, s0
	v_perm_b32 v56, v89, v56, 0x5040100
	s_or_b32 exec_lo, exec_lo, s6
	global_load_b128 v[17:20], v[17:18], off offset:5632
	s_and_saveexec_b32 s0, vcc_lo
	s_cbranch_execz .LBB183_28
.LBB183_52:                             ;   in Loop: Header=BB183_29 Depth=1
	v_cmp_gt_i32_e32 vcc_lo, s25, v79
	s_wait_loadcnt 0x0
	v_lshrrev_b32_e32 v88, 16, v17
	v_lshrrev_b32_e32 v89, 16, v18
	s_wait_alu 0xfffd
	v_cndmask_b32_e32 v17, 0, v17, vcc_lo
	v_cmp_gt_i32_e32 vcc_lo, s5, v86
	s_wait_alu 0xfffd
	v_cndmask_b32_e32 v86, 0, v88, vcc_lo
	v_cmp_gt_i32_e32 vcc_lo, s25, v87
	v_lshrrev_b32_e32 v87, 16, v19
	s_delay_alu instid0(VALU_DEP_3)
	v_perm_b32 v17, v86, v17, 0x5040100
	s_wait_alu 0xfffd
	v_cndmask_b32_e32 v18, 0, v18, vcc_lo
	v_cmp_gt_i32_e32 vcc_lo, s5, v85
	s_wait_alu 0xfffd
	v_cndmask_b32_e32 v85, 0, v89, vcc_lo
	v_cmp_gt_i32_e32 vcc_lo, s25, v84
	v_lshrrev_b32_e32 v84, 16, v20
	s_delay_alu instid0(VALU_DEP_3)
	v_perm_b32 v18, v85, v18, 0x5040100
	s_wait_alu 0xfffd
	v_cndmask_b32_e32 v19, 0, v19, vcc_lo
	v_cmp_gt_i32_e32 vcc_lo, s5, v82
	s_wait_alu 0xfffd
	v_cndmask_b32_e32 v82, 0, v87, vcc_lo
	v_cmp_gt_i32_e32 vcc_lo, s25, v83
	;; [unrolled: 3-line block ×3, first 2 shown]
	s_wait_alu 0xfffd
	v_cndmask_b32_e32 v81, 0, v84, vcc_lo
	v_perm_b32 v19, v82, v19, 0x5040100
	s_delay_alu instid0(VALU_DEP_2)
	v_perm_b32 v20, v81, v20, 0x5040100
	s_branch .LBB183_28
.LBB183_53:
	s_or_b32 exec_lo, exec_lo, s4
.LBB183_54:
	s_wait_alu 0xfffe
	s_or_b32 exec_lo, exec_lo, s1
	ds_bpermute_b32 v1, v63, v74
	ds_bpermute_b32 v2, v63, v76
	;; [unrolled: 1-line block ×12, first 2 shown]
	s_mov_b32 s0, exec_lo
	s_wait_storecnt 0x0
	s_wait_loadcnt_dscnt 0x0
	s_barrier_signal -1
	s_barrier_wait -1
	global_inv scope:SCOPE_SE
	v_dual_add_f32 v1, v74, v1 :: v_dual_add_f32 v2, v76, v2
	v_dual_add_f32 v5, v72, v5 :: v_dual_add_f32 v6, v71, v6
	;; [unrolled: 1-line block ×6, first 2 shown]
	ds_bpermute_b32 v7, v62, v1
	ds_bpermute_b32 v8, v62, v2
	ds_bpermute_b32 v20, v62, v5
	ds_bpermute_b32 v21, v62, v6
	ds_bpermute_b32 v22, v62, v13
	ds_bpermute_b32 v23, v62, v14
	ds_bpermute_b32 v9, v62, v3
	ds_bpermute_b32 v19, v62, v4
	ds_bpermute_b32 v24, v62, v15
	ds_bpermute_b32 v25, v62, v16
	ds_bpermute_b32 v26, v62, v17
	ds_bpermute_b32 v27, v62, v18
	s_wait_dscnt 0xa
	v_dual_add_f32 v12, v1, v7 :: v_dual_add_f32 v11, v2, v8
	s_wait_dscnt 0x8
	v_dual_add_f32 v8, v5, v20 :: v_dual_add_f32 v7, v6, v21
	;; [unrolled: 2-line block ×3, first 2 shown]
	v_and_b32_e32 v14, 28, v60
	s_wait_dscnt 0x4
	v_dual_add_f32 v10, v3, v9 :: v_dual_add_f32 v9, v4, v19
	s_wait_dscnt 0x2
	v_dual_add_f32 v4, v15, v24 :: v_dual_add_f32 v1, v16, v25
	s_wait_dscnt 0x1
	v_add_f32_e32 v2, v17, v26
	s_wait_dscnt 0x0
	v_dual_add_f32 v3, v18, v27 :: v_dual_and_b32 v16, 0x3c3, v0
	v_lshrrev_b32_e32 v13, 2, v60
	v_add_nc_u32_e32 v14, 0xe0, v14
	v_mul_u32_u24_e32 v15, 0x180, v59
	s_delay_alu instid0(VALU_DEP_4)
	v_cmpx_eq_u32_e32 64, v16
	s_cbranch_execz .LBB183_56
; %bb.55:
	s_delay_alu instid0(VALU_DEP_2) | instskip(NEXT) | instid1(VALU_DEP_1)
	v_add_nc_u32_e32 v16, v14, v15
	v_add_nc_u32_e32 v17, 0xfffffd00, v16
	;; [unrolled: 1-line block ×13, first 2 shown]
	ds_store_b32 v17, v12
	ds_store_b32 v18, v11
	;; [unrolled: 1-line block ×12, first 2 shown]
.LBB183_56:
	s_wait_alu 0xfffe
	s_or_b32 exec_lo, exec_lo, s0
	v_lshlrev_b32_e32 v13, 2, v13
	s_mov_b32 s1, exec_lo
	v_cmp_eq_u32_e32 vcc_lo, 0, v64
	s_wait_loadcnt_dscnt 0x0
	s_barrier_signal -1
	v_add3_u32 v13, 0xe0, v15, v13
	s_barrier_wait -1
	global_inv scope:SCOPE_SE
	v_cmpx_gt_u32_e32 64, v0
	s_cbranch_execz .LBB183_71
; %bb.57:
	s_and_saveexec_b32 s0, vcc_lo
	s_cbranch_execnz .LBB183_91
; %bb.58:
	s_wait_alu 0xfffe
	s_or_b32 exec_lo, exec_lo, s0
	s_and_saveexec_b32 s0, vcc_lo
	s_cbranch_execnz .LBB183_92
.LBB183_59:
	s_wait_alu 0xfffe
	s_or_b32 exec_lo, exec_lo, s0
	s_and_saveexec_b32 s0, vcc_lo
	s_cbranch_execnz .LBB183_93
.LBB183_60:
	s_wait_alu 0xfffe
	s_or_b32 exec_lo, exec_lo, s0
	s_and_saveexec_b32 s0, vcc_lo
	s_cbranch_execnz .LBB183_94
.LBB183_61:
	s_wait_alu 0xfffe
	s_or_b32 exec_lo, exec_lo, s0
	s_and_saveexec_b32 s0, vcc_lo
	s_cbranch_execnz .LBB183_95
.LBB183_62:
	s_wait_alu 0xfffe
	s_or_b32 exec_lo, exec_lo, s0
	s_and_saveexec_b32 s0, vcc_lo
	s_cbranch_execnz .LBB183_96
.LBB183_63:
	s_wait_alu 0xfffe
	s_or_b32 exec_lo, exec_lo, s0
	s_and_saveexec_b32 s0, vcc_lo
	s_cbranch_execnz .LBB183_97
.LBB183_64:
	s_wait_alu 0xfffe
	s_or_b32 exec_lo, exec_lo, s0
	s_and_saveexec_b32 s0, vcc_lo
	s_cbranch_execnz .LBB183_98
.LBB183_65:
	s_wait_alu 0xfffe
	s_or_b32 exec_lo, exec_lo, s0
	s_and_saveexec_b32 s0, vcc_lo
	s_cbranch_execnz .LBB183_99
.LBB183_66:
	s_wait_alu 0xfffe
	s_or_b32 exec_lo, exec_lo, s0
	s_and_saveexec_b32 s0, vcc_lo
	s_cbranch_execnz .LBB183_100
.LBB183_67:
	s_wait_alu 0xfffe
	s_or_b32 exec_lo, exec_lo, s0
	s_and_saveexec_b32 s0, vcc_lo
	s_cbranch_execnz .LBB183_101
.LBB183_68:
	s_wait_alu 0xfffe
	s_or_b32 exec_lo, exec_lo, s0
	s_and_saveexec_b32 s0, vcc_lo
	s_cbranch_execz .LBB183_70
.LBB183_69:
	ds_load_b32 v15, v13 offset:352
	s_wait_dscnt 0x0
	v_add_f32_e32 v3, v3, v15
.LBB183_70:
	s_wait_alu 0xfffe
	s_or_b32 exec_lo, exec_lo, s0
.LBB183_71:
	s_wait_alu 0xfffe
	s_or_b32 exec_lo, exec_lo, s1
	v_and_b32_e32 v15, 0x3e3, v0
	s_mov_b32 s1, exec_lo
	s_wait_loadcnt 0x0
	s_barrier_signal -1
	s_barrier_wait -1
	global_inv scope:SCOPE_SE
	v_cmpx_eq_u32_e32 32, v15
	s_cbranch_execz .LBB183_73
; %bb.72:
	ds_store_2addr_b32 v14, v12, v11 offset1:8
	ds_store_2addr_b32 v14, v10, v9 offset0:16 offset1:24
	ds_store_2addr_b32 v14, v8, v7 offset0:32 offset1:40
	;; [unrolled: 1-line block ×5, first 2 shown]
.LBB183_73:
	s_wait_alu 0xfffe
	s_or_b32 exec_lo, exec_lo, s1
	s_delay_alu instid0(SALU_CYCLE_1)
	s_mov_b32 s1, exec_lo
	s_wait_loadcnt_dscnt 0x0
	s_barrier_signal -1
	s_barrier_wait -1
	global_inv scope:SCOPE_SE
	v_cmpx_gt_u32_e32 32, v0
	s_cbranch_execz .LBB183_88
; %bb.74:
	s_and_saveexec_b32 s0, vcc_lo
	s_cbranch_execnz .LBB183_102
; %bb.75:
	s_wait_alu 0xfffe
	s_or_b32 exec_lo, exec_lo, s0
	s_and_saveexec_b32 s0, vcc_lo
	s_cbranch_execnz .LBB183_103
.LBB183_76:
	s_wait_alu 0xfffe
	s_or_b32 exec_lo, exec_lo, s0
	s_and_saveexec_b32 s0, vcc_lo
	s_cbranch_execnz .LBB183_104
.LBB183_77:
	s_wait_alu 0xfffe
	s_or_b32 exec_lo, exec_lo, s0
	s_and_saveexec_b32 s0, vcc_lo
	s_cbranch_execnz .LBB183_105
.LBB183_78:
	s_wait_alu 0xfffe
	s_or_b32 exec_lo, exec_lo, s0
	s_and_saveexec_b32 s0, vcc_lo
	s_cbranch_execnz .LBB183_106
.LBB183_79:
	s_wait_alu 0xfffe
	s_or_b32 exec_lo, exec_lo, s0
	s_and_saveexec_b32 s0, vcc_lo
	s_cbranch_execnz .LBB183_107
.LBB183_80:
	s_wait_alu 0xfffe
	s_or_b32 exec_lo, exec_lo, s0
	s_and_saveexec_b32 s0, vcc_lo
	s_cbranch_execnz .LBB183_108
.LBB183_81:
	s_wait_alu 0xfffe
	s_or_b32 exec_lo, exec_lo, s0
	s_and_saveexec_b32 s0, vcc_lo
	s_cbranch_execnz .LBB183_109
.LBB183_82:
	s_wait_alu 0xfffe
	s_or_b32 exec_lo, exec_lo, s0
	s_and_saveexec_b32 s0, vcc_lo
	s_cbranch_execnz .LBB183_110
.LBB183_83:
	s_wait_alu 0xfffe
	s_or_b32 exec_lo, exec_lo, s0
	s_and_saveexec_b32 s0, vcc_lo
	s_cbranch_execnz .LBB183_111
.LBB183_84:
	s_wait_alu 0xfffe
	s_or_b32 exec_lo, exec_lo, s0
	s_and_saveexec_b32 s0, vcc_lo
	s_cbranch_execnz .LBB183_112
.LBB183_85:
	s_wait_alu 0xfffe
	s_or_b32 exec_lo, exec_lo, s0
	s_and_saveexec_b32 s0, vcc_lo
	s_cbranch_execz .LBB183_87
.LBB183_86:
	ds_load_b32 v13, v13 offset:352
	s_wait_dscnt 0x0
	v_add_f32_e32 v3, v3, v13
.LBB183_87:
	s_wait_alu 0xfffe
	s_or_b32 exec_lo, exec_lo, s0
.LBB183_88:
	s_wait_alu 0xfffe
	s_or_b32 exec_lo, exec_lo, s1
	s_mov_b32 s1, 0
	s_wait_loadcnt 0x0
	s_barrier_signal -1
	s_barrier_wait -1
	global_inv scope:SCOPE_SE
	s_mov_b32 s0, exec_lo
	v_cmpx_eq_u32_e32 0, v15
	s_cbranch_execz .LBB183_90
; %bb.89:
	v_bfe_u32 v13, v12, 16, 1
	v_bfe_u32 v14, v11, 16, 1
	v_or_b32_e32 v15, 0x400000, v12
	v_cmp_u_f32_e32 vcc_lo, v12, v12
	v_or_b32_e32 v16, 0x400000, v11
	v_add3_u32 v13, v13, v12, 0x7fff
	v_add3_u32 v14, v14, v11, 0x7fff
	v_bfe_u32 v17, v10, 16, 1
	s_mul_i32 s2, s14, 0x60
	s_wait_kmcnt 0x0
	s_mul_i32 s4, s8, s12
	s_wait_alu 0xfffd
	v_cndmask_b32_e32 v12, v13, v15, vcc_lo
	v_cmp_u_f32_e32 vcc_lo, v11, v11
	v_bfe_u32 v13, v9, 16, 1
	v_or_b32_e32 v15, 0x400000, v10
	s_wait_alu 0xfffe
	s_ashr_i32 s3, s2, 31
	s_ashr_i32 s5, s4, 31
	s_wait_alu 0xfffd
	v_cndmask_b32_e32 v11, v14, v16, vcc_lo
	v_add3_u32 v14, v17, v10, 0x7fff
	v_cmp_u_f32_e32 vcc_lo, v10, v10
	v_add3_u32 v13, v13, v9, 0x7fff
	v_or_b32_e32 v16, 0x400000, v9
	v_bfe_u32 v17, v8, 16, 1
	s_wait_alu 0xfffe
	s_lshl_b64 s[2:3], s[2:3], 1
	s_wait_alu 0xfffd
	v_cndmask_b32_e32 v10, v14, v15, vcc_lo
	v_cmp_u_f32_e32 vcc_lo, v9, v9
	v_bfe_u32 v14, v7, 16, 1
	v_or_b32_e32 v15, 0x400000, v8
	s_lshl_b64 s[4:5], s[4:5], 1
	s_wait_alu 0xfffe
	s_add_nc_u64 s[2:3], s[10:11], s[2:3]
	s_wait_alu 0xfffd
	v_cndmask_b32_e32 v9, v13, v16, vcc_lo
	v_add3_u32 v13, v17, v8, 0x7fff
	v_cmp_u_f32_e32 vcc_lo, v8, v8
	v_add3_u32 v14, v14, v7, 0x7fff
	v_or_b32_e32 v16, 0x400000, v7
	v_bfe_u32 v17, v6, 16, 1
	v_lshrrev_b32_e32 v0, 1, v0
	s_wait_alu 0xfffd
	v_cndmask_b32_e32 v8, v13, v15, vcc_lo
	v_cmp_u_f32_e32 vcc_lo, v7, v7
	v_bfe_u32 v13, v5, 16, 1
	v_or_b32_e32 v15, 0x400000, v6
	v_or_b32_e32 v18, 0x400000, v3
	s_wait_alu 0xfffe
	s_add_nc_u64 s[2:3], s[2:3], s[4:5]
	s_wait_alu 0xfffd
	v_cndmask_b32_e32 v7, v14, v16, vcc_lo
	v_add3_u32 v14, v17, v6, 0x7fff
	v_cmp_u_f32_e32 vcc_lo, v6, v6
	v_bfe_u32 v16, v4, 16, 1
	v_add3_u32 v13, v13, v5, 0x7fff
	v_or_b32_e32 v17, 0x400000, v5
	s_mul_i32 s0, s24, 0xc0
	s_wait_alu 0xfffd
	v_cndmask_b32_e32 v6, v14, v15, vcc_lo
	v_cmp_u_f32_e32 vcc_lo, v5, v5
	v_add3_u32 v14, v16, v4, 0x7fff
	v_or_b32_e32 v15, 0x400000, v4
	v_bfe_u32 v16, v2, 16, 1
	s_wait_alu 0xfffe
	s_add_nc_u64 s[0:1], s[2:3], s[0:1]
	s_wait_alu 0xfffd
	v_cndmask_b32_e32 v5, v13, v17, vcc_lo
	v_bfe_u32 v13, v1, 16, 1
	v_cmp_u_f32_e32 vcc_lo, v4, v4
	v_add3_u32 v16, v16, v2, 0x7fff
	v_or_b32_e32 v17, 0x400000, v2
	s_delay_alu instid0(VALU_DEP_4)
	v_add3_u32 v13, v13, v1, 0x7fff
	s_wait_alu 0xfffd
	v_cndmask_b32_e32 v4, v14, v15, vcc_lo
	v_or_b32_e32 v15, 0x400000, v1
	v_cmp_u_f32_e32 vcc_lo, v1, v1
	v_bfe_u32 v14, v3, 16, 1
	s_wait_alu 0xfffd
	s_delay_alu instid0(VALU_DEP_3) | instskip(SKIP_1) | instid1(VALU_DEP_3)
	v_cndmask_b32_e32 v1, v13, v15, vcc_lo
	v_cmp_u_f32_e32 vcc_lo, v2, v2
	v_add3_u32 v14, v14, v3, 0x7fff
	s_wait_alu 0xfffd
	v_cndmask_b32_e32 v2, v16, v17, vcc_lo
	v_cmp_u_f32_e32 vcc_lo, v3, v3
	s_wait_alu 0xfffd
	v_cndmask_b32_e32 v3, v14, v18, vcc_lo
	s_clause 0xb
	global_store_d16_hi_b16 v0, v12, s[0:1]
	global_store_d16_hi_b16 v0, v11, s[0:1] offset:16
	global_store_d16_hi_b16 v0, v10, s[0:1] offset:32
	global_store_d16_hi_b16 v0, v9, s[0:1] offset:48
	global_store_d16_hi_b16 v0, v8, s[0:1] offset:64
	global_store_d16_hi_b16 v0, v7, s[0:1] offset:80
	global_store_d16_hi_b16 v0, v6, s[0:1] offset:96
	global_store_d16_hi_b16 v0, v5, s[0:1] offset:112
	global_store_d16_hi_b16 v0, v4, s[0:1] offset:128
	global_store_d16_hi_b16 v0, v1, s[0:1] offset:144
	global_store_d16_hi_b16 v0, v2, s[0:1] offset:160
	global_store_d16_hi_b16 v0, v3, s[0:1] offset:176
.LBB183_90:
	s_nop 0
	s_sendmsg sendmsg(MSG_DEALLOC_VGPRS)
	s_endpgm
.LBB183_91:
	ds_load_b32 v15, v13
	s_wait_dscnt 0x0
	v_add_f32_e32 v12, v12, v15
	s_wait_alu 0xfffe
	s_or_b32 exec_lo, exec_lo, s0
	s_and_saveexec_b32 s0, vcc_lo
	s_cbranch_execz .LBB183_59
.LBB183_92:
	ds_load_b32 v15, v13 offset:32
	s_wait_dscnt 0x0
	v_add_f32_e32 v11, v11, v15
	s_wait_alu 0xfffe
	s_or_b32 exec_lo, exec_lo, s0
	s_and_saveexec_b32 s0, vcc_lo
	s_cbranch_execz .LBB183_60
.LBB183_93:
	ds_load_b32 v15, v13 offset:64
	s_wait_dscnt 0x0
	v_add_f32_e32 v10, v10, v15
	s_wait_alu 0xfffe
	s_or_b32 exec_lo, exec_lo, s0
	s_and_saveexec_b32 s0, vcc_lo
	s_cbranch_execz .LBB183_61
.LBB183_94:
	ds_load_b32 v15, v13 offset:96
	s_wait_dscnt 0x0
	v_add_f32_e32 v9, v9, v15
	s_wait_alu 0xfffe
	s_or_b32 exec_lo, exec_lo, s0
	s_and_saveexec_b32 s0, vcc_lo
	s_cbranch_execz .LBB183_62
.LBB183_95:
	ds_load_b32 v15, v13 offset:128
	s_wait_dscnt 0x0
	v_add_f32_e32 v8, v8, v15
	s_wait_alu 0xfffe
	s_or_b32 exec_lo, exec_lo, s0
	s_and_saveexec_b32 s0, vcc_lo
	s_cbranch_execz .LBB183_63
.LBB183_96:
	ds_load_b32 v15, v13 offset:160
	s_wait_dscnt 0x0
	v_add_f32_e32 v7, v7, v15
	s_wait_alu 0xfffe
	s_or_b32 exec_lo, exec_lo, s0
	s_and_saveexec_b32 s0, vcc_lo
	s_cbranch_execz .LBB183_64
.LBB183_97:
	ds_load_b32 v15, v13 offset:192
	s_wait_dscnt 0x0
	v_add_f32_e32 v6, v6, v15
	s_wait_alu 0xfffe
	s_or_b32 exec_lo, exec_lo, s0
	s_and_saveexec_b32 s0, vcc_lo
	s_cbranch_execz .LBB183_65
.LBB183_98:
	ds_load_b32 v15, v13 offset:224
	s_wait_dscnt 0x0
	v_add_f32_e32 v5, v5, v15
	s_wait_alu 0xfffe
	s_or_b32 exec_lo, exec_lo, s0
	s_and_saveexec_b32 s0, vcc_lo
	s_cbranch_execz .LBB183_66
.LBB183_99:
	ds_load_b32 v15, v13 offset:256
	s_wait_dscnt 0x0
	v_add_f32_e32 v4, v4, v15
	s_wait_alu 0xfffe
	s_or_b32 exec_lo, exec_lo, s0
	s_and_saveexec_b32 s0, vcc_lo
	s_cbranch_execz .LBB183_67
.LBB183_100:
	ds_load_b32 v15, v13 offset:288
	s_wait_dscnt 0x0
	v_add_f32_e32 v1, v1, v15
	s_wait_alu 0xfffe
	s_or_b32 exec_lo, exec_lo, s0
	s_and_saveexec_b32 s0, vcc_lo
	s_cbranch_execz .LBB183_68
.LBB183_101:
	ds_load_b32 v15, v13 offset:320
	s_wait_dscnt 0x0
	v_add_f32_e32 v2, v2, v15
	s_wait_alu 0xfffe
	s_or_b32 exec_lo, exec_lo, s0
	s_and_saveexec_b32 s0, vcc_lo
	s_cbranch_execnz .LBB183_69
	s_branch .LBB183_70
.LBB183_102:
	ds_load_b32 v14, v13
	s_wait_dscnt 0x0
	v_add_f32_e32 v12, v12, v14
	s_wait_alu 0xfffe
	s_or_b32 exec_lo, exec_lo, s0
	s_and_saveexec_b32 s0, vcc_lo
	s_cbranch_execz .LBB183_76
.LBB183_103:
	ds_load_b32 v14, v13 offset:32
	s_wait_dscnt 0x0
	v_add_f32_e32 v11, v11, v14
	s_wait_alu 0xfffe
	s_or_b32 exec_lo, exec_lo, s0
	s_and_saveexec_b32 s0, vcc_lo
	s_cbranch_execz .LBB183_77
.LBB183_104:
	ds_load_b32 v14, v13 offset:64
	s_wait_dscnt 0x0
	v_add_f32_e32 v10, v10, v14
	s_wait_alu 0xfffe
	s_or_b32 exec_lo, exec_lo, s0
	s_and_saveexec_b32 s0, vcc_lo
	s_cbranch_execz .LBB183_78
.LBB183_105:
	ds_load_b32 v14, v13 offset:96
	s_wait_dscnt 0x0
	v_add_f32_e32 v9, v9, v14
	s_wait_alu 0xfffe
	s_or_b32 exec_lo, exec_lo, s0
	s_and_saveexec_b32 s0, vcc_lo
	s_cbranch_execz .LBB183_79
.LBB183_106:
	ds_load_b32 v14, v13 offset:128
	s_wait_dscnt 0x0
	v_add_f32_e32 v8, v8, v14
	s_wait_alu 0xfffe
	s_or_b32 exec_lo, exec_lo, s0
	s_and_saveexec_b32 s0, vcc_lo
	s_cbranch_execz .LBB183_80
.LBB183_107:
	ds_load_b32 v14, v13 offset:160
	s_wait_dscnt 0x0
	v_add_f32_e32 v7, v7, v14
	s_wait_alu 0xfffe
	s_or_b32 exec_lo, exec_lo, s0
	s_and_saveexec_b32 s0, vcc_lo
	s_cbranch_execz .LBB183_81
.LBB183_108:
	ds_load_b32 v14, v13 offset:192
	s_wait_dscnt 0x0
	v_add_f32_e32 v6, v6, v14
	s_wait_alu 0xfffe
	s_or_b32 exec_lo, exec_lo, s0
	s_and_saveexec_b32 s0, vcc_lo
	s_cbranch_execz .LBB183_82
.LBB183_109:
	ds_load_b32 v14, v13 offset:224
	s_wait_dscnt 0x0
	v_add_f32_e32 v5, v5, v14
	s_wait_alu 0xfffe
	s_or_b32 exec_lo, exec_lo, s0
	s_and_saveexec_b32 s0, vcc_lo
	s_cbranch_execz .LBB183_83
.LBB183_110:
	ds_load_b32 v14, v13 offset:256
	s_wait_dscnt 0x0
	v_add_f32_e32 v4, v4, v14
	s_wait_alu 0xfffe
	s_or_b32 exec_lo, exec_lo, s0
	s_and_saveexec_b32 s0, vcc_lo
	s_cbranch_execz .LBB183_84
.LBB183_111:
	ds_load_b32 v14, v13 offset:288
	s_wait_dscnt 0x0
	v_add_f32_e32 v1, v1, v14
	s_wait_alu 0xfffe
	s_or_b32 exec_lo, exec_lo, s0
	s_and_saveexec_b32 s0, vcc_lo
	s_cbranch_execz .LBB183_85
.LBB183_112:
	ds_load_b32 v14, v13 offset:320
	s_wait_dscnt 0x0
	v_add_f32_e32 v2, v2, v14
	s_wait_alu 0xfffe
	s_or_b32 exec_lo, exec_lo, s0
	s_and_saveexec_b32 s0, vcc_lo
	s_cbranch_execnz .LBB183_86
	s_branch .LBB183_87
	.section	.rodata,"a",@progbits
	.p2align	6, 0x0
	.amdhsa_kernel _ZN4vllm25paged_attention_v2_kernelI14__hip_bfloat16S1_Li96ELi32ELi128ELNS_18Fp8KVCacheDataTypeE0ELb0ELi512EEEvPfS3_PT_PKS4_PKT0_SA_ifPKiSC_iPKfiiiSE_SE_iiiii
		.amdhsa_group_segment_fixed_size 224
		.amdhsa_private_segment_fixed_size 0
		.amdhsa_kernarg_size 400
		.amdhsa_user_sgpr_count 2
		.amdhsa_user_sgpr_dispatch_ptr 0
		.amdhsa_user_sgpr_queue_ptr 0
		.amdhsa_user_sgpr_kernarg_segment_ptr 1
		.amdhsa_user_sgpr_dispatch_id 0
		.amdhsa_user_sgpr_private_segment_size 0
		.amdhsa_wavefront_size32 1
		.amdhsa_uses_dynamic_stack 0
		.amdhsa_enable_private_segment 0
		.amdhsa_system_sgpr_workgroup_id_x 1
		.amdhsa_system_sgpr_workgroup_id_y 1
		.amdhsa_system_sgpr_workgroup_id_z 1
		.amdhsa_system_sgpr_workgroup_info 0
		.amdhsa_system_vgpr_workitem_id 0
		.amdhsa_next_free_vgpr 171
		.amdhsa_next_free_sgpr 32
		.amdhsa_reserve_vcc 1
		.amdhsa_float_round_mode_32 0
		.amdhsa_float_round_mode_16_64 0
		.amdhsa_float_denorm_mode_32 3
		.amdhsa_float_denorm_mode_16_64 3
		.amdhsa_fp16_overflow 0
		.amdhsa_workgroup_processor_mode 1
		.amdhsa_memory_ordered 1
		.amdhsa_forward_progress 1
		.amdhsa_inst_pref_size 137
		.amdhsa_round_robin_scheduling 0
		.amdhsa_exception_fp_ieee_invalid_op 0
		.amdhsa_exception_fp_denorm_src 0
		.amdhsa_exception_fp_ieee_div_zero 0
		.amdhsa_exception_fp_ieee_overflow 0
		.amdhsa_exception_fp_ieee_underflow 0
		.amdhsa_exception_fp_ieee_inexact 0
		.amdhsa_exception_int_div_zero 0
	.end_amdhsa_kernel
	.section	.text._ZN4vllm25paged_attention_v2_kernelI14__hip_bfloat16S1_Li96ELi32ELi128ELNS_18Fp8KVCacheDataTypeE0ELb0ELi512EEEvPfS3_PT_PKS4_PKT0_SA_ifPKiSC_iPKfiiiSE_SE_iiiii,"axG",@progbits,_ZN4vllm25paged_attention_v2_kernelI14__hip_bfloat16S1_Li96ELi32ELi128ELNS_18Fp8KVCacheDataTypeE0ELb0ELi512EEEvPfS3_PT_PKS4_PKT0_SA_ifPKiSC_iPKfiiiSE_SE_iiiii,comdat
.Lfunc_end183:
	.size	_ZN4vllm25paged_attention_v2_kernelI14__hip_bfloat16S1_Li96ELi32ELi128ELNS_18Fp8KVCacheDataTypeE0ELb0ELi512EEEvPfS3_PT_PKS4_PKT0_SA_ifPKiSC_iPKfiiiSE_SE_iiiii, .Lfunc_end183-_ZN4vllm25paged_attention_v2_kernelI14__hip_bfloat16S1_Li96ELi32ELi128ELNS_18Fp8KVCacheDataTypeE0ELb0ELi512EEEvPfS3_PT_PKS4_PKT0_SA_ifPKiSC_iPKfiiiSE_SE_iiiii
                                        ; -- End function
	.set _ZN4vllm25paged_attention_v2_kernelI14__hip_bfloat16S1_Li96ELi32ELi128ELNS_18Fp8KVCacheDataTypeE0ELb0ELi512EEEvPfS3_PT_PKS4_PKT0_SA_ifPKiSC_iPKfiiiSE_SE_iiiii.num_vgpr, 171
	.set _ZN4vllm25paged_attention_v2_kernelI14__hip_bfloat16S1_Li96ELi32ELi128ELNS_18Fp8KVCacheDataTypeE0ELb0ELi512EEEvPfS3_PT_PKS4_PKT0_SA_ifPKiSC_iPKfiiiSE_SE_iiiii.num_agpr, 0
	.set _ZN4vllm25paged_attention_v2_kernelI14__hip_bfloat16S1_Li96ELi32ELi128ELNS_18Fp8KVCacheDataTypeE0ELb0ELi512EEEvPfS3_PT_PKS4_PKT0_SA_ifPKiSC_iPKfiiiSE_SE_iiiii.numbered_sgpr, 32
	.set _ZN4vllm25paged_attention_v2_kernelI14__hip_bfloat16S1_Li96ELi32ELi128ELNS_18Fp8KVCacheDataTypeE0ELb0ELi512EEEvPfS3_PT_PKS4_PKT0_SA_ifPKiSC_iPKfiiiSE_SE_iiiii.num_named_barrier, 0
	.set _ZN4vllm25paged_attention_v2_kernelI14__hip_bfloat16S1_Li96ELi32ELi128ELNS_18Fp8KVCacheDataTypeE0ELb0ELi512EEEvPfS3_PT_PKS4_PKT0_SA_ifPKiSC_iPKfiiiSE_SE_iiiii.private_seg_size, 0
	.set _ZN4vllm25paged_attention_v2_kernelI14__hip_bfloat16S1_Li96ELi32ELi128ELNS_18Fp8KVCacheDataTypeE0ELb0ELi512EEEvPfS3_PT_PKS4_PKT0_SA_ifPKiSC_iPKfiiiSE_SE_iiiii.uses_vcc, 1
	.set _ZN4vllm25paged_attention_v2_kernelI14__hip_bfloat16S1_Li96ELi32ELi128ELNS_18Fp8KVCacheDataTypeE0ELb0ELi512EEEvPfS3_PT_PKS4_PKT0_SA_ifPKiSC_iPKfiiiSE_SE_iiiii.uses_flat_scratch, 0
	.set _ZN4vllm25paged_attention_v2_kernelI14__hip_bfloat16S1_Li96ELi32ELi128ELNS_18Fp8KVCacheDataTypeE0ELb0ELi512EEEvPfS3_PT_PKS4_PKT0_SA_ifPKiSC_iPKfiiiSE_SE_iiiii.has_dyn_sized_stack, 0
	.set _ZN4vllm25paged_attention_v2_kernelI14__hip_bfloat16S1_Li96ELi32ELi128ELNS_18Fp8KVCacheDataTypeE0ELb0ELi512EEEvPfS3_PT_PKS4_PKT0_SA_ifPKiSC_iPKfiiiSE_SE_iiiii.has_recursion, 0
	.set _ZN4vllm25paged_attention_v2_kernelI14__hip_bfloat16S1_Li96ELi32ELi128ELNS_18Fp8KVCacheDataTypeE0ELb0ELi512EEEvPfS3_PT_PKS4_PKT0_SA_ifPKiSC_iPKfiiiSE_SE_iiiii.has_indirect_call, 0
	.section	.AMDGPU.csdata,"",@progbits
; Kernel info:
; codeLenInByte = 17480
; TotalNumSgprs: 34
; NumVgprs: 171
; ScratchSize: 0
; MemoryBound: 0
; FloatMode: 240
; IeeeMode: 1
; LDSByteSize: 224 bytes/workgroup (compile time only)
; SGPRBlocks: 0
; VGPRBlocks: 21
; NumSGPRsForWavesPerEU: 34
; NumVGPRsForWavesPerEU: 171
; Occupancy: 8
; WaveLimiterHint : 1
; COMPUTE_PGM_RSRC2:SCRATCH_EN: 0
; COMPUTE_PGM_RSRC2:USER_SGPR: 2
; COMPUTE_PGM_RSRC2:TRAP_HANDLER: 0
; COMPUTE_PGM_RSRC2:TGID_X_EN: 1
; COMPUTE_PGM_RSRC2:TGID_Y_EN: 1
; COMPUTE_PGM_RSRC2:TGID_Z_EN: 1
; COMPUTE_PGM_RSRC2:TIDIG_COMP_CNT: 0
	.section	.text._ZN4vllm25paged_attention_v2_kernelI14__hip_bfloat16S1_Li112ELi32ELi128ELNS_18Fp8KVCacheDataTypeE0ELb0ELi512EEEvPfS3_PT_PKS4_PKT0_SA_ifPKiSC_iPKfiiiSE_SE_iiiii,"axG",@progbits,_ZN4vllm25paged_attention_v2_kernelI14__hip_bfloat16S1_Li112ELi32ELi128ELNS_18Fp8KVCacheDataTypeE0ELb0ELi512EEEvPfS3_PT_PKS4_PKT0_SA_ifPKiSC_iPKfiiiSE_SE_iiiii,comdat
	.protected	_ZN4vllm25paged_attention_v2_kernelI14__hip_bfloat16S1_Li112ELi32ELi128ELNS_18Fp8KVCacheDataTypeE0ELb0ELi512EEEvPfS3_PT_PKS4_PKT0_SA_ifPKiSC_iPKfiiiSE_SE_iiiii ; -- Begin function _ZN4vllm25paged_attention_v2_kernelI14__hip_bfloat16S1_Li112ELi32ELi128ELNS_18Fp8KVCacheDataTypeE0ELb0ELi512EEEvPfS3_PT_PKS4_PKT0_SA_ifPKiSC_iPKfiiiSE_SE_iiiii
	.globl	_ZN4vllm25paged_attention_v2_kernelI14__hip_bfloat16S1_Li112ELi32ELi128ELNS_18Fp8KVCacheDataTypeE0ELb0ELi512EEEvPfS3_PT_PKS4_PKT0_SA_ifPKiSC_iPKfiiiSE_SE_iiiii
	.p2align	8
	.type	_ZN4vllm25paged_attention_v2_kernelI14__hip_bfloat16S1_Li112ELi32ELi128ELNS_18Fp8KVCacheDataTypeE0ELb0ELi512EEEvPfS3_PT_PKS4_PKT0_SA_ifPKiSC_iPKfiiiSE_SE_iiiii,@function
_ZN4vllm25paged_attention_v2_kernelI14__hip_bfloat16S1_Li112ELi32ELi128ELNS_18Fp8KVCacheDataTypeE0ELb0ELi512EEEvPfS3_PT_PKS4_PKT0_SA_ifPKiSC_iPKfiiiSE_SE_iiiii: ; @_ZN4vllm25paged_attention_v2_kernelI14__hip_bfloat16S1_Li112ELi32ELi128ELNS_18Fp8KVCacheDataTypeE0ELb0ELi512EEEvPfS3_PT_PKS4_PKT0_SA_ifPKiSC_iPKfiiiSE_SE_iiiii
; %bb.0:
	s_load_b64 s[2:3], s[0:1], 0x40
	s_and_b32 s14, ttmp7, 0xffff
	s_lshr_b32 s24, ttmp7, 16
	s_lshl_b32 s4, s14, 2
	s_lshl_b32 s26, s24, 9
	s_wait_kmcnt 0x0
	s_load_b32 s25, s[2:3], s4 offset:0x0
	s_wait_kmcnt 0x0
	s_cmp_ge_i32 s26, s25
	s_cbranch_scc1 .LBB184_98
; %bb.1:
	s_clause 0x1
	s_load_b32 s15, s[0:1], 0x90
	s_load_b64 s[4:5], s[0:1], 0x30
	s_wait_kmcnt 0x0
	s_abs_i32 s7, s15
	s_abs_i32 s2, s4
	s_xor_b32 s4, s15, s4
	s_cvt_f32_u32 s3, s2
	s_sub_co_i32 s6, 0, s2
	s_ashr_i32 s4, s4, 31
	s_delay_alu instid0(SALU_CYCLE_1) | instskip(NEXT) | instid1(TRANS32_DEP_1)
	v_rcp_iflag_f32_e32 v1, s3
	v_readfirstlane_b32 s3, v1
	s_mul_f32 s3, s3, 0x4f7ffffe
	s_wait_alu 0xfffe
	s_delay_alu instid0(SALU_CYCLE_2) | instskip(SKIP_1) | instid1(SALU_CYCLE_2)
	s_cvt_u32_f32 s3, s3
	s_wait_alu 0xfffe
	s_mul_i32 s6, s6, s3
	s_delay_alu instid0(SALU_CYCLE_1) | instskip(NEXT) | instid1(SALU_CYCLE_1)
	s_mul_hi_u32 s6, s3, s6
	s_add_co_i32 s3, s3, s6
	s_wait_alu 0xfffe
	s_mul_hi_u32 s3, s7, s3
	s_wait_alu 0xfffe
	s_mul_i32 s6, s3, s2
	s_delay_alu instid0(SALU_CYCLE_1)
	s_sub_co_i32 s6, s7, s6
	s_add_co_i32 s7, s3, 1
	s_sub_co_i32 s8, s6, s2
	s_cmp_ge_u32 s6, s2
	s_cselect_b32 s3, s7, s3
	s_cselect_b32 s6, s8, s6
	s_wait_alu 0xfffe
	s_add_co_i32 s7, s3, 1
	s_cmp_ge_u32 s6, s2
	s_load_b64 s[8:9], s[0:1], 0x50
	s_cselect_b32 s2, s7, s3
	s_mov_b32 s3, 0
	s_wait_alu 0xfffe
	s_xor_b32 s2, s2, s4
	s_mov_b32 s7, s3
	s_wait_alu 0xfffe
	s_sub_co_i32 s12, s2, s4
	s_delay_alu instid0(SALU_CYCLE_1) | instskip(NEXT) | instid1(SALU_CYCLE_1)
	s_abs_i32 s11, s12
	s_cvt_f32_u32 s2, s11
	s_wait_alu 0xfffe
	s_delay_alu instid0(SALU_CYCLE_2) | instskip(NEXT) | instid1(TRANS32_DEP_1)
	v_rcp_iflag_f32_e32 v1, s2
	v_readfirstlane_b32 s2, v1
	s_mul_f32 s2, s2, 0x4f7ffffe
	s_wait_alu 0xfffe
	s_delay_alu instid0(SALU_CYCLE_2) | instskip(SKIP_2) | instid1(SALU_CYCLE_1)
	s_cvt_u32_f32 s4, s2
	s_sub_co_i32 s2, 0, s11
	s_wait_alu 0xfffe
	s_mul_i32 s2, s2, s4
	s_wait_alu 0xfffe
	s_mul_hi_u32 s6, s4, s2
	s_abs_i32 s2, ttmp9
	s_add_co_i32 s6, s4, s6
	s_wait_kmcnt 0x0
	s_cmp_eq_u64 s[8:9], 0
	s_mov_b32 s4, s3
	s_cbranch_scc1 .LBB184_3
; %bb.2:
	s_mov_b32 s16, ttmp9
	s_ashr_i32 s17, ttmp9, 31
	s_delay_alu instid0(SALU_CYCLE_1) | instskip(NEXT) | instid1(SALU_CYCLE_1)
	s_lshl_b64 s[16:17], s[16:17], 2
	s_add_nc_u64 s[8:9], s[8:9], s[16:17]
	s_load_b32 s4, s[8:9], 0x0
.LBB184_3:
	s_load_b96 s[8:10], s[0:1], 0x58
	v_lshlrev_b32_e32 v11, 4, v0
	s_mul_u64 s[6:7], s[2:3], s[6:7]
	s_ashr_i32 s3, ttmp9, 31
	s_ashr_i32 s6, s12, 31
	s_mul_i32 s12, ttmp9, 0x70
	s_mov_b32 s16, exec_lo
	v_cmpx_gt_u32_e32 14, v0
	s_cbranch_execz .LBB184_5
; %bb.4:
	s_load_b64 s[18:19], s[0:1], 0x18
	s_wait_kmcnt 0x0
	s_mul_i32 s20, s8, s14
	s_ashr_i32 s13, s12, 31
	s_ashr_i32 s21, s20, 31
	s_delay_alu instid0(SALU_CYCLE_1) | instskip(NEXT) | instid1(SALU_CYCLE_1)
	s_lshl_b64 s[20:21], s[20:21], 1
	s_add_nc_u64 s[18:19], s[18:19], s[20:21]
	s_lshl_b64 s[20:21], s[12:13], 1
	s_delay_alu instid0(SALU_CYCLE_1)
	s_add_nc_u64 s[18:19], s[18:19], s[20:21]
	global_load_b128 v[1:4], v11, s[18:19]
	s_wait_loadcnt 0x0
	ds_store_b128 v11, v[1:4]
.LBB184_5:
	s_or_b32 exec_lo, exec_lo, s16
	s_wait_kmcnt 0x0
	s_add_co_i32 s8, s25, 31
	s_lshl_b32 s28, s24, 4
	s_ashr_i32 s13, s8, 31
	s_mul_i32 s19, s7, s11
	s_lshr_b32 s13, s13, 27
	s_sub_co_i32 s2, s2, s19
	s_add_co_i32 s8, s8, s13
	s_add_co_i32 s13, s28, 16
	s_ashr_i32 s27, s8, 5
	s_clause 0x2
	s_load_b64 s[16:17], s[0:1], 0x38
	s_load_b32 s8, s[0:1], 0x98
	s_load_b32 s18, s[0:1], 0x48
	s_min_i32 s13, s13, s27
	s_xor_b32 s3, s3, s6
	s_add_co_i32 s6, s7, 1
	s_sub_co_i32 s19, s2, s11
	s_cmp_ge_u32 s2, s11
	v_lshrrev_b32_e32 v67, 5, v0
	s_cselect_b32 s6, s6, s7
	s_cselect_b32 s2, s19, s2
	s_add_co_i32 s7, s6, 1
	s_wait_alu 0xfffe
	s_cmp_ge_u32 s2, s11
	v_dual_mov_b32 v153, 0xff7fffff :: v_dual_and_b32 v68, 31, v0
	v_add_nc_u32_e32 v69, s28, v67
	s_cselect_b32 s2, s7, s6
	v_lshlrev_b32_e32 v35, 5, v67
	s_wait_alu 0xfffe
	s_xor_b32 s2, s2, s3
	v_lshlrev_b32_e32 v46, 2, v68
	s_wait_alu 0xfffe
	s_sub_co_i32 s3, s2, s3
	v_cmp_gt_i32_e64 s2, s13, v69
	v_lshlrev_b32_e32 v34, 2, v69
	s_wait_kmcnt 0x0
	s_mul_i32 s18, s18, s14
	s_wait_alu 0xfffe
	s_mul_i32 s20, s3, s10
	s_ashr_i32 s19, s18, 31
	s_wait_dscnt 0x0
	s_barrier_signal -1
	s_barrier_wait -1
	global_inv scope:SCOPE_SE
	s_and_saveexec_b32 s6, s2
	s_cbranch_execz .LBB184_9
; %bb.6:
	v_mov_b32_e32 v33, 0
	s_load_b64 s[10:11], s[0:1], 0x20
	s_ashr_i32 s21, s20, 31
	v_add3_u32 v166, s26, v35, v68
	s_lshl_b64 s[22:23], s[20:21], 1
	ds_load_b128 v[1:4], v33
	ds_load_b128 v[5:8], v33 offset:16
	ds_load_b128 v[9:12], v33 offset:32
	;; [unrolled: 1-line block ×5, first 2 shown]
	s_cmp_neq_f32 s4, 0
	s_mov_b32 s7, 0
	v_mov_b32_e32 v153, 0xff7fffff
	v_mov_b32_e32 v167, v69
	s_cselect_b32 vcc_lo, -1, 0
	s_wait_dscnt 0x5
	v_and_b32_e32 v47, 0xffff0000, v1
	v_lshlrev_b32_e32 v48, 16, v1
	v_and_b32_e32 v49, 0xffff0000, v2
	v_lshlrev_b32_e32 v50, 16, v2
	v_and_b32_e32 v51, 0xffff0000, v3
	v_lshlrev_b32_e32 v52, 16, v3
	v_and_b32_e32 v53, 0xffff0000, v4
	v_lshlrev_b32_e32 v54, 16, v4
	ds_load_b128 v[1:4], v33 offset:96
	s_wait_dscnt 0x5
	v_and_b32_e32 v55, 0xffff0000, v5
	v_lshlrev_b32_e32 v56, 16, v5
	v_and_b32_e32 v57, 0xffff0000, v6
	v_lshlrev_b32_e32 v58, 16, v6
	v_and_b32_e32 v59, 0xffff0000, v7
	v_lshlrev_b32_e32 v60, 16, v7
	v_and_b32_e32 v61, 0xffff0000, v8
	v_lshlrev_b32_e32 v62, 16, v8
	ds_load_b128 v[5:8], v33 offset:112
	;; [unrolled: 10-line block ×3, first 2 shown]
	ds_load_b128 v[25:28], v33 offset:128
	ds_load_b128 v[29:32], v33 offset:144
	s_wait_dscnt 0x4
	v_and_b32_e32 v86, 0xffff0000, v1
	v_lshlrev_b32_e32 v87, 16, v1
	v_and_b32_e32 v98, 0xffff0000, v2
	v_lshlrev_b32_e32 v99, 16, v2
	v_and_b32_e32 v112, 0xffff0000, v3
	v_lshlrev_b32_e32 v113, 16, v3
	v_and_b32_e32 v118, 0xffff0000, v4
	v_lshlrev_b32_e32 v119, 16, v4
	ds_load_b128 v[1:4], v33 offset:176
	v_and_b32_e32 v74, 0xffff0000, v13
	v_lshlrev_b32_e32 v75, 16, v13
	v_and_b32_e32 v76, 0xffff0000, v14
	v_lshlrev_b32_e32 v77, 16, v14
	;; [unrolled: 2-line block ×4, first 2 shown]
	s_wait_dscnt 0x4
	v_and_b32_e32 v88, 0xffff0000, v5
	v_lshlrev_b32_e32 v89, 16, v5
	v_and_b32_e32 v100, 0xffff0000, v6
	v_lshlrev_b32_e32 v101, 16, v6
	;; [unrolled: 2-line block ×4, first 2 shown]
	ds_load_b128 v[5:8], v33 offset:192
	ds_load_b128 v[13:16], v33 offset:208
	s_wait_kmcnt 0x0
	s_add_nc_u64 s[10:11], s[10:11], s[22:23]
	s_wait_dscnt 0x2
	v_and_b32_e32 v138, 0xffff0000, v1
	v_lshlrev_b32_e32 v139, 16, v1
	v_lshl_or_b32 v1, v67, 7, v46
	s_lshl_b64 s[22:23], s[18:19], 2
	v_and_b32_e32 v82, 0xffff0000, v17
	s_add_nc_u64 s[22:23], s[16:17], s[22:23]
	v_lshlrev_b32_e32 v83, 16, v17
	v_add_nc_u32_e32 v163, 0x100, v1
	v_lshlrev_b32_e32 v1, 4, v68
	v_add_co_u32 v41, s3, s22, v34
	s_wait_alu 0xf1ff
	v_add_co_ci_u32_e64 v42, null, s23, 0, s3
	s_delay_alu instid0(VALU_DEP_3)
	v_add_co_u32 v164, s3, s10, v1
	v_and_b32_e32 v84, 0xffff0000, v21
	v_lshlrev_b32_e32 v85, 16, v21
	v_and_b32_e32 v90, 0xffff0000, v25
	v_lshlrev_b32_e32 v91, 16, v25
	;; [unrolled: 2-line block ×22, first 2 shown]
	s_wait_dscnt 0x1
	v_and_b32_e32 v146, 0xffff0000, v5
	v_lshlrev_b32_e32 v147, 16, v5
	v_and_b32_e32 v148, 0xffff0000, v6
	v_lshlrev_b32_e32 v149, 16, v6
	;; [unrolled: 2-line block ×4, first 2 shown]
	s_wait_dscnt 0x0
	v_and_b32_e32 v155, 0xffff0000, v13
	v_lshlrev_b32_e32 v156, 16, v13
	v_and_b32_e32 v157, 0xffff0000, v14
	v_lshlrev_b32_e32 v158, 16, v14
	;; [unrolled: 2-line block ×4, first 2 shown]
	s_wait_alu 0xf1ff
	v_add_co_ci_u32_e64 v165, null, s11, 0, s3
	s_mov_b32 s10, s9
	s_sub_co_i32 s11, 1, s25
.LBB184_7:                              ; =>This Inner Loop Header: Depth=1
	global_load_b32 v1, v[41:42], off
	v_add_nc_u32_e32 v167, 4, v167
	s_wait_loadcnt 0x0
	s_wait_alu 0xfffe
	v_mad_co_i64_i32 v[1:2], null, v1, s10, 0
	s_delay_alu instid0(VALU_DEP_1) | instskip(NEXT) | instid1(VALU_DEP_1)
	v_lshlrev_b64_e32 v[1:2], 1, v[1:2]
	v_add_co_u32 v181, s3, v164, v1
	v_add_nc_u32_e32 v1, s11, v166
	s_wait_alu 0xf1ff
	s_delay_alu instid0(VALU_DEP_3) | instskip(SKIP_3) | instid1(VALU_DEP_1)
	v_add_co_ci_u32_e64 v182, null, v165, v2, s3
	v_cmp_gt_i32_e64 s3, s25, v166
	v_add_nc_u32_e32 v166, 0x80, v166
	v_cvt_f32_i32_e32 v1, v1
	v_mul_f32_e32 v1, s4, v1
	s_delay_alu instid0(VALU_DEP_1)
	v_cndmask_b32_e32 v168, 0, v1, vcc_lo
	s_clause 0x1
	global_load_b128 v[1:4], v[181:182], off
	global_load_b128 v[5:8], v[181:182], off offset:512
	s_wait_loadcnt 0x0
	v_and_b32_e32 v10, 0xffff0000, v5
	v_lshlrev_b32_e32 v5, 16, v5
	s_delay_alu instid0(VALU_DEP_1) | instskip(SKIP_2) | instid1(VALU_DEP_2)
	v_mul_f32_e32 v169, v56, v5
	v_and_b32_e32 v5, 0xffff0000, v6
	v_lshlrev_b32_e32 v6, 16, v6
	v_mul_f32_e32 v172, v57, v5
	v_lshlrev_b32_e32 v9, 16, v1
	v_and_b32_e32 v1, 0xffff0000, v1
	s_delay_alu instid0(VALU_DEP_4) | instskip(SKIP_1) | instid1(VALU_DEP_1)
	v_mul_f32_e32 v171, v58, v6
	v_dual_mul_f32 v170, v55, v10 :: v_dual_lshlrev_b32 v5, 16, v7
	v_dual_fmac_f32 v170, v47, v1 :: v_dual_lshlrev_b32 v1, 16, v2
	s_delay_alu instid0(VALU_DEP_2) | instskip(NEXT) | instid1(VALU_DEP_1)
	v_dual_mul_f32 v173, v60, v5 :: v_dual_and_b32 v2, 0xffff0000, v2
	v_dual_fmac_f32 v171, v50, v1 :: v_dual_fmac_f32 v172, v49, v2
	v_dual_fmac_f32 v169, v48, v9 :: v_dual_and_b32 v2, 0xffff0000, v3
	v_lshlrev_b32_e32 v1, 16, v3
	v_and_b32_e32 v3, 0xffff0000, v7
	s_delay_alu instid0(VALU_DEP_1) | instskip(NEXT) | instid1(VALU_DEP_1)
	v_dual_mul_f32 v174, v59, v3 :: v_dual_and_b32 v3, 0xffff0000, v8
	v_fmac_f32_e32 v174, v51, v2
	s_delay_alu instid0(VALU_DEP_4) | instskip(SKIP_2) | instid1(VALU_DEP_1)
	v_dual_fmac_f32 v173, v52, v1 :: v_dual_and_b32 v2, 0xffff0000, v4
	v_lshlrev_b32_e32 v1, 16, v4
	v_lshlrev_b32_e32 v4, 16, v8
	v_dual_mul_f32 v176, v61, v3 :: v_dual_mul_f32 v175, v62, v4
	s_delay_alu instid0(VALU_DEP_1)
	v_dual_fmac_f32 v176, v53, v2 :: v_dual_fmac_f32 v175, v54, v1
	global_load_b128 v[1:4], v[181:182], off offset:1024
	s_wait_loadcnt 0x0
	v_lshlrev_b32_e32 v184, 16, v1
	v_and_b32_e32 v185, 0xffff0000, v2
	v_lshlrev_b32_e32 v186, 16, v2
	v_and_b32_e32 v187, 0xffff0000, v3
	s_delay_alu instid0(VALU_DEP_4)
	v_dual_fmac_f32 v169, v64, v184 :: v_dual_lshlrev_b32 v188, 16, v3
	v_and_b32_e32 v177, 0xffff0000, v4
	v_lshlrev_b32_e32 v178, 16, v4
	v_fmac_f32_e32 v172, v65, v185
	v_and_b32_e32 v183, 0xffff0000, v1
	global_load_b128 v[1:4], v[181:182], off offset:1536
	v_fmac_f32_e32 v171, v66, v186
	v_fmac_f32_e32 v173, v71, v188
	s_wait_loadcnt 0x0
	v_lshlrev_b32_e32 v189, 16, v1
	v_and_b32_e32 v190, 0xffff0000, v1
	v_lshlrev_b32_e32 v191, 16, v2
	v_lshlrev_b32_e32 v45, 16, v3
	v_and_b32_e32 v43, 0xffff0000, v3
	v_lshlrev_b32_e32 v179, 16, v4
	v_dual_fmac_f32 v169, v75, v189 :: v_dual_and_b32 v180, 0xffff0000, v4
	v_and_b32_e32 v44, 0xffff0000, v2
	s_clause 0x9
	global_load_b128 v[37:40], v[181:182], off offset:2048
	global_load_b128 v[33:36], v[181:182], off offset:2560
	;; [unrolled: 1-line block ×10, first 2 shown]
	v_fmac_f32_e32 v175, v73, v178
	s_wait_loadcnt 0x9
	v_and_b32_e32 v181, 0xffff0000, v37
	v_lshlrev_b32_e32 v37, 16, v37
	s_delay_alu instid0(VALU_DEP_1) | instskip(SKIP_2) | instid1(VALU_DEP_1)
	v_dual_fmac_f32 v169, v83, v37 :: v_dual_fmac_f32 v172, v76, v44
	s_wait_loadcnt 0x8
	v_dual_fmac_f32 v170, v63, v183 :: v_dual_lshlrev_b32 v37, 16, v33
	v_dual_fmac_f32 v170, v74, v190 :: v_dual_and_b32 v33, 0xffff0000, v33
	s_delay_alu instid0(VALU_DEP_2) | instskip(NEXT) | instid1(VALU_DEP_2)
	v_fmac_f32_e32 v169, v85, v37
	v_fmac_f32_e32 v170, v82, v181
	s_delay_alu instid0(VALU_DEP_1) | instskip(SKIP_3) | instid1(VALU_DEP_2)
	v_fmac_f32_e32 v170, v84, v33
	s_wait_loadcnt 0x7
	v_and_b32_e32 v33, 0xffff0000, v29
	v_lshlrev_b32_e32 v29, 16, v29
	v_fmac_f32_e32 v170, v86, v33
	s_delay_alu instid0(VALU_DEP_2) | instskip(SKIP_3) | instid1(VALU_DEP_2)
	v_fmac_f32_e32 v169, v87, v29
	s_wait_loadcnt 0x6
	v_lshlrev_b32_e32 v29, 16, v25
	v_dual_fmac_f32 v174, v70, v187 :: v_dual_and_b32 v25, 0xffff0000, v25
	v_fmac_f32_e32 v169, v89, v29
	s_delay_alu instid0(VALU_DEP_2) | instskip(SKIP_4) | instid1(VALU_DEP_3)
	v_fmac_f32_e32 v170, v88, v25
	s_wait_loadcnt 0x5
	v_and_b32_e32 v25, 0xffff0000, v21
	v_lshlrev_b32_e32 v21, 16, v21
	v_fmac_f32_e32 v176, v72, v177
	v_fmac_f32_e32 v170, v90, v25
	s_delay_alu instid0(VALU_DEP_3) | instskip(SKIP_4) | instid1(VALU_DEP_3)
	v_fmac_f32_e32 v169, v91, v21
	s_wait_loadcnt 0x4
	v_lshlrev_b32_e32 v21, 16, v17
	v_and_b32_e32 v17, 0xffff0000, v17
	v_dual_fmac_f32 v171, v77, v191 :: v_dual_fmac_f32 v176, v80, v180
	v_fmac_f32_e32 v169, v93, v21
	s_delay_alu instid0(VALU_DEP_3) | instskip(SKIP_4) | instid1(VALU_DEP_3)
	v_fmac_f32_e32 v170, v92, v17
	s_wait_loadcnt 0x3
	v_and_b32_e32 v17, 0xffff0000, v13
	v_lshlrev_b32_e32 v13, 16, v13
	v_fmac_f32_e32 v173, v79, v45
	v_fmac_f32_e32 v170, v130, v17
	s_delay_alu instid0(VALU_DEP_3) | instskip(SKIP_3) | instid1(VALU_DEP_2)
	v_fmac_f32_e32 v169, v131, v13
	s_wait_loadcnt 0x2
	v_lshlrev_b32_e32 v13, 16, v9
	v_dual_fmac_f32 v174, v78, v43 :: v_dual_and_b32 v9, 0xffff0000, v9
	v_fmac_f32_e32 v169, v139, v13
	s_delay_alu instid0(VALU_DEP_2) | instskip(SKIP_3) | instid1(VALU_DEP_2)
	v_fmac_f32_e32 v170, v138, v9
	s_wait_loadcnt 0x1
	v_and_b32_e32 v9, 0xffff0000, v5
	v_lshlrev_b32_e32 v5, 16, v5
	v_dual_fmac_f32 v175, v81, v179 :: v_dual_fmac_f32 v170, v146, v9
	s_delay_alu instid0(VALU_DEP_2) | instskip(SKIP_3) | instid1(VALU_DEP_2)
	v_fmac_f32_e32 v169, v147, v5
	s_wait_loadcnt 0x0
	v_lshlrev_b32_e32 v5, 16, v1
	v_and_b32_e32 v1, 0xffff0000, v1
	v_fmac_f32_e32 v169, v156, v5
	s_delay_alu instid0(VALU_DEP_2) | instskip(NEXT) | instid1(VALU_DEP_1)
	v_dual_fmac_f32 v170, v155, v1 :: v_dual_and_b32 v1, 0xffff0000, v38
	v_dual_fmac_f32 v172, v94, v1 :: v_dual_lshlrev_b32 v5, 16, v38
	v_lshlrev_b32_e32 v1, 16, v34
	s_delay_alu instid0(VALU_DEP_2) | instskip(NEXT) | instid1(VALU_DEP_1)
	v_fmac_f32_e32 v171, v95, v5
	v_fmac_f32_e32 v171, v97, v1
	v_and_b32_e32 v1, 0xffff0000, v30
	v_and_b32_e32 v5, 0xffff0000, v34
	s_delay_alu instid0(VALU_DEP_1) | instskip(NEXT) | instid1(VALU_DEP_1)
	v_dual_fmac_f32 v172, v96, v5 :: v_dual_lshlrev_b32 v5, 16, v30
	v_fmac_f32_e32 v172, v98, v1
	s_delay_alu instid0(VALU_DEP_2) | instskip(SKIP_1) | instid1(VALU_DEP_1)
	v_fmac_f32_e32 v171, v99, v5
	v_lshlrev_b32_e32 v1, 16, v26
	v_fmac_f32_e32 v171, v101, v1
	v_and_b32_e32 v1, 0xffff0000, v22
	v_and_b32_e32 v5, 0xffff0000, v26
	s_delay_alu instid0(VALU_DEP_1) | instskip(NEXT) | instid1(VALU_DEP_1)
	v_dual_fmac_f32 v172, v100, v5 :: v_dual_lshlrev_b32 v5, 16, v22
	v_fmac_f32_e32 v172, v102, v1
	s_delay_alu instid0(VALU_DEP_2) | instskip(SKIP_2) | instid1(VALU_DEP_2)
	v_fmac_f32_e32 v171, v103, v5
	v_lshlrev_b32_e32 v1, 16, v18
	v_and_b32_e32 v5, 0xffff0000, v18
	v_fmac_f32_e32 v171, v105, v1
	s_delay_alu instid0(VALU_DEP_2) | instskip(NEXT) | instid1(VALU_DEP_1)
	v_dual_fmac_f32 v172, v104, v5 :: v_dual_and_b32 v1, 0xffff0000, v14
	v_dual_fmac_f32 v172, v132, v1 :: v_dual_lshlrev_b32 v5, 16, v14
	s_delay_alu instid0(VALU_DEP_1) | instskip(SKIP_2) | instid1(VALU_DEP_2)
	v_fmac_f32_e32 v171, v133, v5
	v_lshlrev_b32_e32 v1, 16, v10
	v_and_b32_e32 v5, 0xffff0000, v10
	v_fmac_f32_e32 v171, v141, v1
	s_delay_alu instid0(VALU_DEP_2) | instskip(NEXT) | instid1(VALU_DEP_1)
	v_dual_fmac_f32 v172, v140, v5 :: v_dual_and_b32 v1, 0xffff0000, v6
	v_dual_fmac_f32 v172, v148, v1 :: v_dual_lshlrev_b32 v5, 16, v6
	s_delay_alu instid0(VALU_DEP_1) | instskip(SKIP_1) | instid1(VALU_DEP_1)
	v_fmac_f32_e32 v171, v149, v5
	v_lshlrev_b32_e32 v1, 16, v2
	v_dual_fmac_f32 v171, v158, v1 :: v_dual_and_b32 v2, 0xffff0000, v2
	s_delay_alu instid0(VALU_DEP_1) | instskip(SKIP_1) | instid1(VALU_DEP_1)
	v_dual_fmac_f32 v172, v157, v2 :: v_dual_and_b32 v1, 0xffff0000, v39
	v_lshlrev_b32_e32 v2, 16, v39
	v_dual_fmac_f32 v174, v106, v1 :: v_dual_fmac_f32 v173, v107, v2
	v_lshlrev_b32_e32 v1, 16, v35
	s_delay_alu instid0(VALU_DEP_1) | instskip(NEXT) | instid1(VALU_DEP_1)
	v_dual_fmac_f32 v173, v109, v1 :: v_dual_and_b32 v2, 0xffff0000, v35
	v_dual_fmac_f32 v174, v108, v2 :: v_dual_and_b32 v1, 0xffff0000, v31
	v_lshlrev_b32_e32 v2, 16, v31
	s_delay_alu instid0(VALU_DEP_1) | instskip(SKIP_1) | instid1(VALU_DEP_1)
	v_dual_fmac_f32 v174, v112, v1 :: v_dual_fmac_f32 v173, v113, v2
	v_lshlrev_b32_e32 v1, 16, v27
	v_dual_fmac_f32 v173, v117, v1 :: v_dual_and_b32 v2, 0xffff0000, v27
	s_delay_alu instid0(VALU_DEP_1) | instskip(SKIP_1) | instid1(VALU_DEP_1)
	v_dual_fmac_f32 v174, v116, v2 :: v_dual_and_b32 v1, 0xffff0000, v23
	v_lshlrev_b32_e32 v2, 16, v23
	v_dual_fmac_f32 v174, v120, v1 :: v_dual_fmac_f32 v173, v121, v2
	v_lshlrev_b32_e32 v1, 16, v19
	s_delay_alu instid0(VALU_DEP_1) | instskip(NEXT) | instid1(VALU_DEP_1)
	v_dual_fmac_f32 v173, v125, v1 :: v_dual_and_b32 v2, 0xffff0000, v19
	v_dual_fmac_f32 v174, v124, v2 :: v_dual_and_b32 v1, 0xffff0000, v15
	v_lshlrev_b32_e32 v2, 16, v15
	s_delay_alu instid0(VALU_DEP_1) | instskip(SKIP_1) | instid1(VALU_DEP_1)
	v_dual_fmac_f32 v174, v134, v1 :: v_dual_fmac_f32 v173, v135, v2
	;; [unrolled: 13-line block ×5, first 2 shown]
	v_lshlrev_b32_e32 v1, 16, v4
	v_dual_fmac_f32 v175, v162, v1 :: v_dual_and_b32 v2, 0xffff0000, v4
	v_add_f32_e32 v1, v169, v170
	s_delay_alu instid0(VALU_DEP_2) | instskip(SKIP_1) | instid1(VALU_DEP_3)
	v_fmac_f32_e32 v176, v161, v2
	v_max_num_f32_e32 v2, v153, v153
	v_add_f32_e32 v1, v1, v171
	s_delay_alu instid0(VALU_DEP_1) | instskip(NEXT) | instid1(VALU_DEP_1)
	v_add_f32_e32 v1, v172, v1
	v_add_f32_e32 v1, v173, v1
	s_delay_alu instid0(VALU_DEP_1) | instskip(NEXT) | instid1(VALU_DEP_1)
	v_add_f32_e32 v1, v174, v1
	;; [unrolled: 3-line block ×3, first 2 shown]
	v_fmac_f32_e32 v168, s5, v1
	s_delay_alu instid0(VALU_DEP_1) | instskip(SKIP_2) | instid1(VALU_DEP_2)
	v_max_num_f32_e32 v2, v2, v168
	s_wait_alu 0xf1ff
	v_cndmask_b32_e64 v1, 0, v168, s3
	v_cndmask_b32_e64 v153, v153, v2, s3
	v_add_co_u32 v41, s3, v41, 16
	s_wait_alu 0xf1ff
	v_add_co_ci_u32_e64 v42, null, 0, v42, s3
	v_cmp_le_i32_e64 s3, s13, v167
	ds_store_b32 v163, v1
	v_add_nc_u32_e32 v163, 0x200, v163
	s_or_b32 s7, s3, s7
	s_delay_alu instid0(SALU_CYCLE_1)
	s_and_not1_b32 exec_lo, exec_lo, s7
	s_cbranch_execnz .LBB184_7
; %bb.8:
	s_or_b32 exec_lo, exec_lo, s7
	v_lshlrev_b32_e32 v11, 4, v0
	v_lshlrev_b32_e32 v34, 2, v69
	;; [unrolled: 1-line block ×3, first 2 shown]
.LBB184_9:
	s_or_b32 exec_lo, exec_lo, s6
	v_mbcnt_lo_u32_b32 v1, -1, 0
	s_clause 0x2
	s_load_b128 s[4:7], s[0:1], 0x0
	s_load_b64 s[10:11], s[0:1], 0x10
	s_load_b64 s[22:23], s[0:1], 0x28
	v_max_num_f32_e32 v5, v153, v153
	v_xor_b32_e32 v2, 16, v1
	v_xor_b32_e32 v4, 8, v1
	s_delay_alu instid0(VALU_DEP_2) | instskip(SKIP_2) | instid1(VALU_DEP_3)
	v_cmp_gt_i32_e32 vcc_lo, 32, v2
	s_wait_alu 0xfffd
	v_cndmask_b32_e32 v2, v1, v2, vcc_lo
	v_cmp_gt_i32_e32 vcc_lo, 32, v4
	s_delay_alu instid0(VALU_DEP_2)
	v_lshlrev_b32_e32 v2, 2, v2
	s_wait_alu 0xfffd
	v_cndmask_b32_e32 v4, v1, v4, vcc_lo
	ds_bpermute_b32 v3, v2, v153
	s_wait_dscnt 0x0
	v_dual_max_num_f32 v6, v3, v3 :: v_dual_lshlrev_b32 v3, 2, v4
	s_delay_alu instid0(VALU_DEP_1)
	v_max_num_f32_e32 v4, v5, v6
	v_xor_b32_e32 v6, 4, v1
	ds_bpermute_b32 v5, v3, v4
	v_cmp_gt_i32_e32 vcc_lo, 32, v6
	s_wait_alu 0xfffd
	v_cndmask_b32_e32 v6, v1, v6, vcc_lo
	s_wait_dscnt 0x0
	v_max_num_f32_e32 v7, v5, v5
	s_delay_alu instid0(VALU_DEP_1)
	v_dual_max_num_f32 v4, v4, v7 :: v_dual_lshlrev_b32 v5, 2, v6
	v_xor_b32_e32 v7, 2, v1
	ds_bpermute_b32 v6, v5, v4
	v_cmp_gt_i32_e32 vcc_lo, 32, v7
	s_wait_dscnt 0x0
	s_wait_alu 0xfffd
	v_dual_cndmask_b32 v7, v1, v7 :: v_dual_max_num_f32 v6, v6, v6
	s_delay_alu instid0(VALU_DEP_1) | instskip(SKIP_1) | instid1(VALU_DEP_1)
	v_lshlrev_b32_e32 v71, 2, v7
	v_xor_b32_e32 v7, 1, v1
	v_cmp_gt_i32_e32 vcc_lo, 32, v7
	s_wait_alu 0xfffd
	v_dual_max_num_f32 v4, v4, v6 :: v_dual_cndmask_b32 v7, v1, v7
	ds_bpermute_b32 v6, v71, v4
	v_cmp_eq_u32_e32 vcc_lo, 0, v68
	v_lshlrev_b32_e32 v70, 2, v7
	s_wait_dscnt 0x0
	v_max_num_f32_e32 v6, v6, v6
	s_delay_alu instid0(VALU_DEP_1)
	v_dual_max_num_f32 v1, v4, v6 :: v_dual_lshlrev_b32 v6, 2, v67
	ds_bpermute_b32 v4, v70, v1
	s_and_saveexec_b32 s0, vcc_lo
	s_cbranch_execz .LBB184_11
; %bb.10:
	s_wait_dscnt 0x0
	v_dual_max_num_f32 v4, v4, v4 :: v_dual_max_num_f32 v1, v1, v1
	s_delay_alu instid0(VALU_DEP_1)
	v_max_num_f32_e32 v1, v1, v4
	ds_store_b32 v6, v1 offset:224
.LBB184_11:
	s_or_b32 exec_lo, exec_lo, s0
	v_cmp_gt_u32_e64 s0, 4, v68
	v_mov_b32_e32 v1, 0xff7fffff
	s_wait_loadcnt_dscnt 0x0
	s_barrier_signal -1
	s_barrier_wait -1
	global_inv scope:SCOPE_SE
	s_and_saveexec_b32 s1, s0
; %bb.12:
	ds_load_b32 v1, v46 offset:224
; %bb.13:
	s_or_b32 exec_lo, exec_lo, s1
	s_wait_dscnt 0x0
	ds_bpermute_b32 v4, v71, v1
	v_max_num_f32_e32 v1, v1, v1
	s_sub_co_i32 s1, s13, s28
	v_mov_b32_e32 v7, 0
	s_lshl_b32 s1, s1, 5
	s_delay_alu instid0(SALU_CYCLE_1) | instskip(NEXT) | instid1(SALU_CYCLE_1)
	s_add_co_i32 s1, s1, s26
	s_min_i32 s1, s1, s25
	s_delay_alu instid0(SALU_CYCLE_1) | instskip(NEXT) | instid1(SALU_CYCLE_1)
	s_sub_co_i32 s21, s1, s26
	v_cmp_gt_i32_e64 s1, s21, v0
	s_wait_dscnt 0x0
	v_max_num_f32_e32 v4, v4, v4
	s_delay_alu instid0(VALU_DEP_1) | instskip(SKIP_3) | instid1(VALU_DEP_1)
	v_max_num_f32_e32 v1, v1, v4
	ds_bpermute_b32 v4, v70, v1
	s_wait_dscnt 0x0
	v_max_num_f32_e32 v4, v4, v4
	v_max_num_f32_e32 v1, v1, v4
	v_lshl_add_u32 v4, v0, 2, 0x100
	ds_bpermute_b32 v1, v7, v1
	s_and_saveexec_b32 s28, s1
	s_cbranch_execz .LBB184_17
; %bb.14:
	v_lshl_add_u32 v8, v0, 2, 0x100
	v_mov_b32_e32 v7, 0
	v_mov_b32_e32 v9, v0
	s_mov_b32 s29, 0
.LBB184_15:                             ; =>This Inner Loop Header: Depth=1
	ds_load_b32 v10, v8
	v_add_nc_u32_e32 v9, 0x80, v9
	s_delay_alu instid0(VALU_DEP_1) | instskip(SKIP_4) | instid1(VALU_DEP_1)
	v_cmp_le_i32_e64 s3, s21, v9
	s_wait_alu 0xfffe
	s_or_b32 s29, s3, s29
	s_wait_dscnt 0x0
	v_sub_f32_e32 v10, v10, v1
	v_mul_f32_e32 v10, 0x3fb8aa3b, v10
	s_delay_alu instid0(VALU_DEP_1)
	v_exp_f32_e32 v10, v10
	ds_store_b32 v8, v10
	v_dual_add_f32 v7, v7, v10 :: v_dual_add_nc_u32 v8, 0x200, v8
	s_wait_alu 0xfffe
	s_and_not1_b32 exec_lo, exec_lo, s29
	s_cbranch_execnz .LBB184_15
; %bb.16:
	s_or_b32 exec_lo, exec_lo, s29
.LBB184_17:
	s_wait_alu 0xfffe
	s_or_b32 exec_lo, exec_lo, s28
	ds_bpermute_b32 v2, v2, v7
	s_wait_dscnt 0x0
	v_add_f32_e32 v2, v7, v2
	ds_bpermute_b32 v3, v3, v2
	s_wait_dscnt 0x0
	v_add_f32_e32 v2, v2, v3
	;; [unrolled: 3-line block ×5, first 2 shown]
	s_and_saveexec_b32 s3, vcc_lo
; %bb.18:
	ds_store_b32 v6, v2 offset:240
; %bb.19:
	s_wait_alu 0xfffe
	s_or_b32 exec_lo, exec_lo, s3
	s_wait_loadcnt_dscnt 0x0
	s_barrier_signal -1
	s_barrier_wait -1
	global_inv scope:SCOPE_SE
	s_and_saveexec_b32 s3, s0
; %bb.20:
	ds_load_b32 v2, v46 offset:240
; %bb.21:
	s_wait_alu 0xfffe
	s_or_b32 exec_lo, exec_lo, s3
	s_wait_dscnt 0x0
	ds_bpermute_b32 v3, v71, v2
	s_wait_dscnt 0x0
	v_add_f32_e32 v2, v2, v3
	ds_bpermute_b32 v3, v70, v2
	s_wait_dscnt 0x0
	v_dual_add_f32 v2, v2, v3 :: v_dual_mov_b32 v3, 0
	ds_bpermute_b32 v2, v3, v2
	s_and_saveexec_b32 s0, s1
	s_cbranch_execz .LBB184_24
; %bb.22:
	s_wait_dscnt 0x0
	v_add_f32_e32 v3, 0x358637bd, v2
	s_mov_b32 s1, 0
	s_delay_alu instid0(VALU_DEP_1) | instskip(SKIP_1) | instid1(VALU_DEP_2)
	v_div_scale_f32 v5, null, v3, v3, 1.0
	v_div_scale_f32 v8, vcc_lo, 1.0, v3, 1.0
	v_rcp_f32_e32 v6, v5
	s_delay_alu instid0(TRANS32_DEP_1) | instskip(NEXT) | instid1(VALU_DEP_1)
	v_fma_f32 v7, -v5, v6, 1.0
	v_fmac_f32_e32 v6, v7, v6
	s_delay_alu instid0(VALU_DEP_1) | instskip(NEXT) | instid1(VALU_DEP_1)
	v_mul_f32_e32 v7, v8, v6
	v_fma_f32 v9, -v5, v7, v8
	s_delay_alu instid0(VALU_DEP_1) | instskip(NEXT) | instid1(VALU_DEP_1)
	v_fmac_f32_e32 v7, v9, v6
	v_fma_f32 v5, -v5, v7, v8
	s_wait_alu 0xfffd
	s_delay_alu instid0(VALU_DEP_1) | instskip(NEXT) | instid1(VALU_DEP_1)
	v_div_fmas_f32 v5, v5, v6, v7
	v_div_fixup_f32 v3, v5, v3, 1.0
	v_mov_b32_e32 v5, v0
.LBB184_23:                             ; =>This Inner Loop Header: Depth=1
	ds_load_b32 v6, v4
	s_wait_dscnt 0x0
	v_dual_mul_f32 v6, v3, v6 :: v_dual_add_nc_u32 v5, 0x80, v5
	s_delay_alu instid0(VALU_DEP_1) | instskip(SKIP_3) | instid1(SALU_CYCLE_1)
	v_cmp_le_i32_e32 vcc_lo, s21, v5
	ds_store_b32 v4, v6
	v_add_nc_u32_e32 v4, 0x200, v4
	s_or_b32 s1, vcc_lo, s1
	s_and_not1_b32 exec_lo, exec_lo, s1
	s_cbranch_execnz .LBB184_23
.LBB184_24:
	s_or_b32 exec_lo, exec_lo, s0
	s_mul_i32 s0, s8, s14
	s_wait_loadcnt_dscnt 0x0
	s_mul_i32 s14, s0, s15
	s_mov_b32 s0, exec_lo
	s_barrier_signal -1
	s_barrier_wait -1
	global_inv scope:SCOPE_SE
	v_cmpx_eq_u32_e32 0, v0
	s_cbranch_execz .LBB184_26
; %bb.25:
	s_ashr_i32 s15, s14, 31
	s_mul_i32 s28, s8, ttmp9
	s_lshl_b32 s1, s24, 2
	s_lshl_b64 s[30:31], s[14:15], 2
	s_wait_alu 0xfffe
	s_ashr_i32 s29, s28, 31
	v_mov_b32_e32 v3, s1
	s_wait_kmcnt 0x0
	s_add_nc_u64 s[6:7], s[6:7], s[30:31]
	s_wait_alu 0xfffe
	s_lshl_b64 s[28:29], s[28:29], 2
	s_add_nc_u64 s[4:5], s[4:5], s[30:31]
	s_wait_alu 0xfffe
	s_add_nc_u64 s[6:7], s[6:7], s[28:29]
	s_add_nc_u64 s[4:5], s[4:5], s[28:29]
	s_clause 0x1
	global_store_b32 v3, v1, s[6:7]
	global_store_b32 v3, v2, s[4:5]
.LBB184_26:
	s_or_b32 exec_lo, exec_lo, s0
	v_dual_mov_b32 v84, 0 :: v_dual_mov_b32 v85, 0
	v_dual_mov_b32 v83, 0 :: v_dual_and_b32 v72, 3, v0
	v_dual_mov_b32 v86, 0 :: v_dual_mov_b32 v81, 0
	v_dual_mov_b32 v82, 0 :: v_dual_mov_b32 v79, 0
	;; [unrolled: 1-line block ×5, first 2 shown]
	v_mov_b32_e32 v74, 0
	s_and_saveexec_b32 s1, s2
	s_cbranch_execz .LBB184_58
; %bb.27:
	s_ashr_i32 s21, s20, 31
	v_dual_mov_b32 v78, 0 :: v_dual_and_b32 v3, 0x1f0, v11
	s_wait_kmcnt 0x0
	s_wait_alu 0xfffe
	s_lshl_b64 s[4:5], s[20:21], 1
	v_dual_mov_b32 v74, 0 :: v_dual_lshlrev_b32 v1, 3, v0
	v_dual_mov_b32 v73, 0 :: v_dual_lshlrev_b32 v2, 5, v72
	s_wait_alu 0xfffe
	s_add_nc_u64 s[4:5], s[22:23], s[4:5]
	s_delay_alu instid0(VALU_DEP_2)
	v_dual_mov_b32 v76, 0 :: v_dual_and_b32 v1, 24, v1
	s_wait_alu 0xfffe
	v_add_co_u32 v87, s0, s4, v3
	s_wait_alu 0xf1ff
	v_add_co_ci_u32_e64 v88, null, s5, 0, s0
	s_lshl_b64 s[4:5], s[18:19], 2
	v_lshl_or_b32 v2, v67, 7, v2
	s_wait_alu 0xfffe
	s_add_nc_u64 s[4:5], s[16:17], s[4:5]
	v_add3_u32 v89, s26, v35, v1
	s_wait_alu 0xfffe
	v_add_co_u32 v65, s0, s4, v34
	v_dual_mov_b32 v75, 0 :: v_dual_add_nc_u32 v90, 0x100, v2
	s_wait_alu 0xf1ff
	v_add_co_ci_u32_e64 v66, null, s5, 0, s0
	v_dual_mov_b32 v77, 0 :: v_dual_mov_b32 v80, 0
	v_dual_mov_b32 v79, 0 :: v_dual_mov_b32 v82, 0
	;; [unrolled: 1-line block ×4, first 2 shown]
	v_mov_b32_e32 v85, 0
	s_mov_b32 s2, s9
	s_add_co_i32 s3, s27, -1
	s_mov_b32 s5, s25
	s_mov_b32 s4, 0
	s_branch .LBB184_29
.LBB184_28:                             ;   in Loop: Header=BB184_29 Depth=1
	s_wait_alu 0xfffe
	s_or_b32 exec_lo, exec_lo, s0
	s_wait_dscnt 0x1
	v_bfe_u32 v91, v45, 16, 1
	v_bfe_u32 v92, v46, 16, 1
	v_or_b32_e32 v93, 0x400000, v45
	v_cmp_u_f32_e32 vcc_lo, v45, v45
	v_or_b32_e32 v94, 0x400000, v46
	v_add3_u32 v91, v91, v45, 0x7fff
	v_bfe_u32 v95, v47, 16, 1
	v_add3_u32 v92, v92, v46, 0x7fff
	v_bfe_u32 v96, v48, 16, 1
	s_wait_loadcnt 0x1
	s_wait_alu 0xfffd
	v_dual_cndmask_b32 v45, v91, v93 :: v_dual_and_b32 v98, 0xffff0000, v64
	v_cmp_u_f32_e32 vcc_lo, v46, v46
	v_add3_u32 v91, v95, v47, 0x7fff
	v_add3_u32 v93, v96, v48, 0x7fff
	s_wait_dscnt 0x0
	v_bfe_u32 v95, v41, 16, 1
	s_wait_alu 0xfffd
	v_dual_cndmask_b32 v46, v92, v94 :: v_dual_add_nc_u32 v69, 4, v69
	v_or_b32_e32 v92, 0x400000, v47
	v_cmp_u_f32_e32 vcc_lo, v47, v47
	v_or_b32_e32 v94, 0x400000, v48
	v_add_co_u32 v65, s0, v65, 16
	v_add_nc_u32_e32 v89, 0x80, v89
	s_wait_alu 0xfffd
	v_cndmask_b32_e32 v47, v91, v92, vcc_lo
	v_cmp_u_f32_e32 vcc_lo, v48, v48
	v_bfe_u32 v91, v42, 16, 1
	v_add3_u32 v92, v95, v41, 0x7fff
	v_bfe_u32 v95, v43, 16, 1
	s_wait_alu 0xf1ff
	v_add_co_ci_u32_e64 v66, null, 0, v66, s0
	s_wait_alu 0xfffd
	v_cndmask_b32_e32 v48, v93, v94, vcc_lo
	v_or_b32_e32 v93, 0x400000, v41
	v_cmp_u_f32_e32 vcc_lo, v41, v41
	v_add3_u32 v91, v91, v42, 0x7fff
	v_or_b32_e32 v94, 0x400000, v42
	v_add_nc_u32_e32 v90, 0x200, v90
	s_wait_alu 0xfffd
	v_cndmask_b32_e32 v92, v92, v93, vcc_lo
	v_cmp_u_f32_e32 vcc_lo, v42, v42
	v_add3_u32 v42, v95, v43, 0x7fff
	v_bfe_u32 v93, v44, 16, 1
	v_or_b32_e32 v95, 0x400000, v44
	s_wait_alu 0xfffd
	v_cndmask_b32_e32 v91, v91, v94, vcc_lo
	v_or_b32_e32 v94, 0x400000, v43
	v_cmp_u_f32_e32 vcc_lo, v43, v43
	v_add3_u32 v93, v93, v44, 0x7fff
	s_wait_alu 0xfffd
	s_delay_alu instid0(VALU_DEP_3)
	v_cndmask_b32_e32 v94, v42, v94, vcc_lo
	v_cmp_u_f32_e32 vcc_lo, v44, v44
	v_and_b32_e32 v41, 0xffff0000, v46
	v_and_b32_e32 v42, 0xffff0000, v48
	;; [unrolled: 1-line block ×4, first 2 shown]
	s_wait_alu 0xfffd
	s_delay_alu instid0(VALU_DEP_2) | instskip(NEXT) | instid1(VALU_DEP_2)
	v_dual_cndmask_b32 v44, v93, v95 :: v_dual_mul_f32 v97, v42, v48
	v_dual_mul_f32 v46, v41, v46 :: v_dual_and_b32 v45, 0xffff0000, v45
	v_and_b32_e32 v48, 0xffff0000, v47
	v_lshlrev_b32_e32 v47, 16, v62
	s_delay_alu instid0(VALU_DEP_3) | instskip(SKIP_2) | instid1(VALU_DEP_3)
	v_bfe_u32 v43, v46, 16, 1
	v_or_b32_e32 v95, 0x400000, v46
	v_cmp_u_f32_e32 vcc_lo, v46, v46
	v_add3_u32 v43, v43, v46, 0x7fff
	v_lshlrev_b32_e32 v61, 16, v61
	v_and_b32_e32 v46, 0xffff0000, v92
	s_wait_alu 0xfffd
	s_delay_alu instid0(VALU_DEP_2) | instskip(NEXT) | instid1(VALU_DEP_1)
	v_dual_cndmask_b32 v62, v43, v95 :: v_dual_mul_f32 v61, v45, v61
	v_and_b32_e32 v62, 0xffff0000, v62
	s_delay_alu instid0(VALU_DEP_2) | instskip(SKIP_2) | instid1(VALU_DEP_3)
	v_bfe_u32 v93, v61, 16, 1
	v_or_b32_e32 v96, 0x400000, v61
	v_cmp_u_f32_e32 vcc_lo, v61, v61
	v_add3_u32 v93, v93, v61, 0x7fff
	s_wait_alu 0xfffd
	s_delay_alu instid0(VALU_DEP_1) | instskip(SKIP_2) | instid1(VALU_DEP_3)
	v_cndmask_b32_e32 v61, v93, v96, vcc_lo
	v_bfe_u32 v93, v97, 16, 1
	v_cmp_u_f32_e32 vcc_lo, v97, v97
	v_and_b32_e32 v61, 0xffff0000, v61
	s_delay_alu instid0(VALU_DEP_3) | instskip(SKIP_1) | instid1(VALU_DEP_3)
	v_add3_u32 v92, v93, v97, 0x7fff
	v_or_b32_e32 v93, 0x400000, v97
	v_dual_add_f32 v61, v61, v62 :: v_dual_lshlrev_b32 v64, 16, v64
	s_wait_alu 0xfffd
	s_delay_alu instid0(VALU_DEP_2) | instskip(NEXT) | instid1(VALU_DEP_1)
	v_cndmask_b32_e32 v92, v92, v93, vcc_lo
	v_dual_mul_f32 v47, v48, v47 :: v_dual_and_b32 v92, 0xffff0000, v92
	s_delay_alu instid0(VALU_DEP_1) | instskip(SKIP_1) | instid1(VALU_DEP_2)
	v_bfe_u32 v95, v47, 16, 1
	v_cmp_u_f32_e32 vcc_lo, v47, v47
	v_add3_u32 v93, v95, v47, 0x7fff
	v_or_b32_e32 v95, 0x400000, v47
	v_and_b32_e32 v44, 0xffff0000, v44
	v_and_b32_e32 v47, 0xffff0000, v94
	s_wait_alu 0xfffd
	s_delay_alu instid0(VALU_DEP_3) | instskip(NEXT) | instid1(VALU_DEP_3)
	v_cndmask_b32_e32 v93, v93, v95, vcc_lo
	v_dual_mul_f32 v98, v44, v98 :: v_dual_and_b32 v43, 0xffff0000, v91
	s_delay_alu instid0(VALU_DEP_3) | instskip(NEXT) | instid1(VALU_DEP_3)
	v_dual_mul_f32 v64, v47, v64 :: v_dual_and_b32 v91, 0xffff0000, v63
	v_and_b32_e32 v93, 0xffff0000, v93
	v_lshlrev_b32_e32 v63, 16, v63
	s_delay_alu instid0(VALU_DEP_4) | instskip(NEXT) | instid1(VALU_DEP_3)
	v_bfe_u32 v99, v98, 16, 1
	v_dual_mul_f32 v91, v43, v91 :: v_dual_add_f32 v62, v93, v92
	s_delay_alu instid0(VALU_DEP_3) | instskip(NEXT) | instid1(VALU_DEP_2)
	v_dual_mul_f32 v63, v46, v63 :: v_dual_and_b32 v92, 0xffff0000, v57
	v_bfe_u32 v96, v91, 16, 1
	v_cmp_u_f32_e32 vcc_lo, v91, v91
	s_delay_alu instid0(VALU_DEP_4) | instskip(NEXT) | instid1(VALU_DEP_4)
	v_add_f32_e32 v61, v62, v61
	v_bfe_u32 v97, v63, 16, 1
	v_or_b32_e32 v94, 0x400000, v63
	v_add3_u32 v95, v96, v91, 0x7fff
	v_or_b32_e32 v96, 0x400000, v91
	v_mul_f32_e32 v62, v41, v92
	v_add3_u32 v97, v97, v63, 0x7fff
	s_wait_alu 0xfffd
	s_delay_alu instid0(VALU_DEP_3)
	v_cndmask_b32_e32 v91, v95, v96, vcc_lo
	v_cmp_u_f32_e32 vcc_lo, v63, v63
	v_or_b32_e32 v95, 0x400000, v98
	v_bfe_u32 v96, v64, 16, 1
	v_bfe_u32 v92, v62, 16, 1
	v_and_b32_e32 v91, 0xffff0000, v91
	s_wait_alu 0xfffd
	v_cndmask_b32_e32 v63, v97, v94, vcc_lo
	v_add3_u32 v94, v99, v98, 0x7fff
	v_cmp_u_f32_e32 vcc_lo, v98, v98
	s_wait_alu 0xfffd
	s_delay_alu instid0(VALU_DEP_2) | instskip(SKIP_4) | instid1(VALU_DEP_2)
	v_cndmask_b32_e32 v94, v94, v95, vcc_lo
	v_add3_u32 v95, v96, v64, 0x7fff
	v_or_b32_e32 v96, 0x400000, v64
	v_cmp_u_f32_e32 vcc_lo, v64, v64
	s_wait_alu 0xfffd
	v_cndmask_b32_e32 v64, v95, v96, vcc_lo
	v_cmp_u_f32_e32 vcc_lo, v62, v62
	v_and_b32_e32 v63, 0xffff0000, v63
	v_and_b32_e32 v95, 0xffff0000, v60
	s_delay_alu instid0(VALU_DEP_2) | instskip(SKIP_1) | instid1(VALU_DEP_2)
	v_dual_add_f32 v63, v63, v91 :: v_dual_lshlrev_b32 v60, 16, v60
	v_and_b32_e32 v64, 0xffff0000, v64
	v_dual_mul_f32 v60, v47, v60 :: v_dual_and_b32 v91, 0xffff0000, v94
	s_delay_alu instid0(VALU_DEP_3) | instskip(NEXT) | instid1(VALU_DEP_2)
	v_add_f32_e32 v61, v63, v61
	v_dual_add_f32 v64, v64, v91 :: v_dual_lshlrev_b32 v57, 16, v57
	v_and_b32_e32 v63, 0xffff0000, v58
	v_add3_u32 v91, v92, v62, 0x7fff
	v_or_b32_e32 v92, 0x400000, v62
	s_delay_alu instid0(VALU_DEP_4) | instskip(SKIP_1) | instid1(VALU_DEP_2)
	v_dual_mul_f32 v57, v45, v57 :: v_dual_lshlrev_b32 v58, 16, v58
	s_wait_alu 0xfffd
	v_dual_add_f32 v61, v64, v61 :: v_dual_cndmask_b32 v62, v91, v92
	s_delay_alu instid0(VALU_DEP_2)
	v_bfe_u32 v93, v57, 16, 1
	v_or_b32_e32 v92, 0x400000, v57
	v_cmp_u_f32_e32 vcc_lo, v57, v57
	v_mul_f32_e32 v58, v48, v58
	v_and_b32_e32 v62, 0xffff0000, v62
	v_add3_u32 v91, v93, v57, 0x7fff
	v_and_b32_e32 v94, 0xffff0000, v59
	s_wait_alu 0xfffd
	s_delay_alu instid0(VALU_DEP_2) | instskip(NEXT) | instid1(VALU_DEP_2)
	v_dual_add_f32 v74, v74, v61 :: v_dual_cndmask_b32 v57, v91, v92
	v_dual_mul_f32 v63, v42, v63 :: v_dual_mul_f32 v94, v43, v94
	s_delay_alu instid0(VALU_DEP_1) | instskip(SKIP_2) | instid1(VALU_DEP_3)
	v_bfe_u32 v93, v63, 16, 1
	v_or_b32_e32 v92, 0x400000, v63
	v_cmp_u_f32_e32 vcc_lo, v63, v63
	v_add3_u32 v91, v93, v63, 0x7fff
	v_bfe_u32 v93, v58, 16, 1
	s_wait_alu 0xfffd
	s_delay_alu instid0(VALU_DEP_2) | instskip(NEXT) | instid1(VALU_DEP_2)
	v_cndmask_b32_e32 v63, v91, v92, vcc_lo
	v_add3_u32 v91, v93, v58, 0x7fff
	v_or_b32_e32 v92, 0x400000, v58
	v_bfe_u32 v93, v94, 16, 1
	v_cmp_u_f32_e32 vcc_lo, v58, v58
	s_wait_alu 0xfffd
	s_delay_alu instid0(VALU_DEP_3) | instskip(NEXT) | instid1(VALU_DEP_3)
	v_cndmask_b32_e32 v58, v91, v92, vcc_lo
	v_add3_u32 v92, v93, v94, 0x7fff
	v_mul_f32_e32 v93, v44, v95
	v_or_b32_e32 v95, 0x400000, v94
	v_cmp_u_f32_e32 vcc_lo, v94, v94
	v_bfe_u32 v94, v60, 16, 1
	v_and_b32_e32 v58, 0xffff0000, v58
	v_bfe_u32 v97, v93, 16, 1
	s_wait_alu 0xfffd
	v_cndmask_b32_e32 v92, v92, v95, vcc_lo
	v_add3_u32 v94, v94, v60, 0x7fff
	v_lshlrev_b32_e32 v59, 16, v59
	v_or_b32_e32 v95, 0x400000, v93
	s_delay_alu instid0(VALU_DEP_2) | instskip(NEXT) | instid1(VALU_DEP_1)
	v_mul_f32_e32 v59, v46, v59
	v_bfe_u32 v91, v59, 16, 1
	v_or_b32_e32 v96, 0x400000, v59
	v_cmp_u_f32_e32 vcc_lo, v59, v59
	s_delay_alu instid0(VALU_DEP_3) | instskip(SKIP_1) | instid1(VALU_DEP_1)
	v_add3_u32 v91, v91, v59, 0x7fff
	s_wait_alu 0xfffd
	v_cndmask_b32_e32 v59, v91, v96, vcc_lo
	v_or_b32_e32 v96, 0x400000, v60
	v_cmp_u_f32_e32 vcc_lo, v60, v60
	v_add3_u32 v91, v97, v93, 0x7fff
	s_delay_alu instid0(VALU_DEP_4) | instskip(SKIP_3) | instid1(VALU_DEP_2)
	v_and_b32_e32 v59, 0xffff0000, v59
	s_wait_alu 0xfffd
	v_dual_cndmask_b32 v60, v94, v96 :: v_dual_and_b32 v57, 0xffff0000, v57
	v_cmp_u_f32_e32 vcc_lo, v93, v93
	v_dual_add_f32 v57, v57, v62 :: v_dual_and_b32 v60, 0xffff0000, v60
	v_and_b32_e32 v63, 0xffff0000, v63
	v_and_b32_e32 v62, 0xffff0000, v92
	s_delay_alu instid0(VALU_DEP_2) | instskip(SKIP_2) | instid1(VALU_DEP_2)
	v_add_f32_e32 v58, v58, v63
	s_wait_alu 0xfffd
	v_cndmask_b32_e32 v63, v91, v95, vcc_lo
	v_dual_add_f32 v57, v58, v57 :: v_dual_add_f32 v58, v59, v62
	s_delay_alu instid0(VALU_DEP_1) | instskip(NEXT) | instid1(VALU_DEP_1)
	v_dual_add_f32 v57, v58, v57 :: v_dual_and_b32 v62, 0xffff0000, v63
	v_add_f32_e32 v58, v60, v62
	v_and_b32_e32 v60, 0xffff0000, v54
	v_and_b32_e32 v59, 0xffff0000, v53
	v_lshlrev_b32_e32 v54, 16, v54
	v_lshlrev_b32_e32 v53, 16, v53
	v_add_f32_e32 v57, v58, v57
	s_delay_alu instid0(VALU_DEP_4) | instskip(NEXT) | instid1(VALU_DEP_4)
	v_dual_mul_f32 v58, v42, v60 :: v_dual_mul_f32 v59, v41, v59
	v_mul_f32_e32 v54, v48, v54
	s_delay_alu instid0(VALU_DEP_2) | instskip(NEXT) | instid1(VALU_DEP_3)
	v_bfe_u32 v64, v58, 16, 1
	v_bfe_u32 v62, v59, 16, 1
	v_cmp_u_f32_e32 vcc_lo, v59, v59
	s_delay_alu instid0(VALU_DEP_2) | instskip(SKIP_2) | instid1(VALU_DEP_1)
	v_add3_u32 v60, v62, v59, 0x7fff
	v_or_b32_e32 v62, 0x400000, v59
	s_wait_alu 0xfffd
	v_dual_cndmask_b32 v59, v60, v62 :: v_dual_and_b32 v62, 0xffff0000, v55
	v_mul_f32_e32 v53, v45, v53
	v_add3_u32 v60, v64, v58, 0x7fff
	s_delay_alu instid0(VALU_DEP_2) | instskip(SKIP_2) | instid1(VALU_DEP_3)
	v_bfe_u32 v61, v53, 16, 1
	v_or_b32_e32 v63, 0x400000, v53
	v_cmp_u_f32_e32 vcc_lo, v53, v53
	v_add3_u32 v61, v61, v53, 0x7fff
	s_wait_alu 0xfffd
	s_delay_alu instid0(VALU_DEP_1) | instskip(SKIP_4) | instid1(VALU_DEP_3)
	v_cndmask_b32_e32 v53, v61, v63, vcc_lo
	v_or_b32_e32 v61, 0x400000, v58
	v_bfe_u32 v63, v54, 16, 1
	v_cmp_u_f32_e32 vcc_lo, v58, v58
	s_wait_alu 0xfffd
	v_cndmask_b32_e32 v58, v60, v61, vcc_lo
	v_mul_f32_e32 v60, v43, v62
	v_add3_u32 v61, v63, v54, 0x7fff
	v_or_b32_e32 v62, 0x400000, v54
	v_cmp_u_f32_e32 vcc_lo, v54, v54
	v_and_b32_e32 v58, 0xffff0000, v58
	v_and_b32_e32 v63, 0xffff0000, v56
	v_lshlrev_b32_e32 v56, 16, v56
	s_wait_alu 0xfffd
	v_dual_cndmask_b32 v54, v61, v62 :: v_dual_lshlrev_b32 v55, 16, v55
	v_bfe_u32 v64, v60, 16, 1
	v_cmp_u_f32_e32 vcc_lo, v60, v60
	s_delay_alu instid0(VALU_DEP_3) | instskip(NEXT) | instid1(VALU_DEP_4)
	v_dual_mul_f32 v56, v47, v56 :: v_dual_mul_f32 v55, v46, v55
	v_and_b32_e32 v54, 0xffff0000, v54
	s_delay_alu instid0(VALU_DEP_4) | instskip(NEXT) | instid1(VALU_DEP_3)
	v_add3_u32 v62, v64, v60, 0x7fff
	v_bfe_u32 v91, v55, 16, 1
	s_delay_alu instid0(VALU_DEP_3) | instskip(SKIP_2) | instid1(VALU_DEP_4)
	v_dual_add_f32 v54, v54, v58 :: v_dual_mul_f32 v61, v44, v63
	v_and_b32_e32 v58, 0xffff0000, v49
	v_or_b32_e32 v63, 0x400000, v60
	v_add3_u32 v64, v91, v55, 0x7fff
	v_or_b32_e32 v91, 0x400000, v55
	v_bfe_u32 v92, v61, 16, 1
	s_wait_alu 0xfffd
	v_dual_cndmask_b32 v60, v62, v63 :: v_dual_and_b32 v53, 0xffff0000, v53
	v_cmp_u_f32_e32 vcc_lo, v55, v55
	v_or_b32_e32 v63, 0x400000, v61
	v_add3_u32 v62, v92, v61, 0x7fff
	s_wait_alu 0xfffd
	v_cndmask_b32_e32 v55, v64, v91, vcc_lo
	v_cmp_u_f32_e32 vcc_lo, v61, v61
	s_delay_alu instid0(VALU_DEP_2)
	v_and_b32_e32 v55, 0xffff0000, v55
	s_wait_alu 0xfffd
	v_cndmask_b32_e32 v61, v62, v63, vcc_lo
	v_bfe_u32 v62, v56, 16, 1
	v_cmp_u_f32_e32 vcc_lo, v56, v56
	v_and_b32_e32 v59, 0xffff0000, v59
	v_and_b32_e32 v63, 0xffff0000, v52
	s_delay_alu instid0(VALU_DEP_2) | instskip(SKIP_3) | instid1(VALU_DEP_4)
	v_dual_add_f32 v53, v53, v59 :: v_dual_lshlrev_b32 v52, 16, v52
	v_and_b32_e32 v59, 0xffff0000, v60
	v_add3_u32 v60, v62, v56, 0x7fff
	v_or_b32_e32 v62, 0x400000, v56
	v_mul_f32_e32 v52, v47, v52
	s_wait_alu 0xfffd
	s_delay_alu instid0(VALU_DEP_2) | instskip(SKIP_1) | instid1(VALU_DEP_3)
	v_cndmask_b32_e32 v56, v60, v62, vcc_lo
	v_and_b32_e32 v62, 0xffff0000, v51
	v_bfe_u32 v92, v52, 16, 1
	s_delay_alu instid0(VALU_DEP_3) | instskip(SKIP_1) | instid1(VALU_DEP_4)
	v_dual_add_f32 v53, v54, v53 :: v_dual_and_b32 v56, 0xffff0000, v56
	v_mul_f32_e32 v54, v41, v58
	v_mul_f32_e32 v62, v43, v62
	v_add_f32_e32 v55, v55, v59
	s_delay_alu instid0(VALU_DEP_3) | instskip(SKIP_2) | instid1(VALU_DEP_4)
	v_bfe_u32 v58, v54, 16, 1
	v_or_b32_e32 v59, 0x400000, v54
	v_cmp_u_f32_e32 vcc_lo, v54, v54
	v_add_f32_e32 v53, v55, v53
	v_and_b32_e32 v55, 0xffff0000, v50
	v_add3_u32 v58, v58, v54, 0x7fff
	v_lshlrev_b32_e32 v49, 16, v49
	v_lshlrev_b32_e32 v50, 16, v50
	s_wait_alu 0xfffd
	s_delay_alu instid0(VALU_DEP_2) | instskip(NEXT) | instid1(VALU_DEP_2)
	v_dual_cndmask_b32 v54, v58, v59 :: v_dual_mul_f32 v49, v45, v49
	v_dual_mul_f32 v55, v42, v55 :: v_dual_mul_f32 v50, v48, v50
	s_delay_alu instid0(VALU_DEP_2) | instskip(NEXT) | instid1(VALU_DEP_3)
	v_and_b32_e32 v54, 0xffff0000, v54
	v_bfe_u32 v60, v49, 16, 1
	v_or_b32_e32 v59, 0x400000, v49
	v_cmp_u_f32_e32 vcc_lo, v49, v49
	s_delay_alu instid0(VALU_DEP_3) | instskip(SKIP_2) | instid1(VALU_DEP_2)
	v_add3_u32 v58, v60, v49, 0x7fff
	v_bfe_u32 v60, v55, 16, 1
	s_wait_alu 0xfffd
	v_cndmask_b32_e32 v49, v58, v59, vcc_lo
	s_delay_alu instid0(VALU_DEP_2) | instskip(SKIP_4) | instid1(VALU_DEP_3)
	v_add3_u32 v58, v60, v55, 0x7fff
	v_or_b32_e32 v59, 0x400000, v55
	v_bfe_u32 v60, v50, 16, 1
	v_cmp_u_f32_e32 vcc_lo, v55, v55
	s_wait_alu 0xfffd
	v_cndmask_b32_e32 v55, v58, v59, vcc_lo
	s_delay_alu instid0(VALU_DEP_3)
	v_add3_u32 v58, v60, v50, 0x7fff
	v_or_b32_e32 v59, 0x400000, v50
	v_cmp_u_f32_e32 vcc_lo, v50, v50
	v_bfe_u32 v60, v62, 16, 1
	v_and_b32_e32 v55, 0xffff0000, v55
	s_wait_alu 0xfffd
	v_cndmask_b32_e32 v50, v58, v59, vcc_lo
	v_lshlrev_b32_e32 v51, 16, v51
	v_add3_u32 v59, v60, v62, 0x7fff
	v_cmp_u_f32_e32 vcc_lo, v62, v62
	s_delay_alu instid0(VALU_DEP_3) | instskip(NEXT) | instid1(VALU_DEP_1)
	v_dual_mul_f32 v51, v46, v51 :: v_dual_and_b32 v50, 0xffff0000, v50
	v_add_f32_e32 v50, v50, v55
	s_delay_alu instid0(VALU_DEP_2)
	v_bfe_u32 v58, v51, 16, 1
	v_mul_f32_e32 v60, v44, v63
	v_or_b32_e32 v63, 0x400000, v62
	v_or_b32_e32 v64, 0x400000, v51
	v_add3_u32 v62, v92, v52, 0x7fff
	v_add3_u32 v58, v58, v51, 0x7fff
	v_bfe_u32 v91, v60, 16, 1
	s_wait_alu 0xfffd
	v_cndmask_b32_e32 v59, v59, v63, vcc_lo
	v_cmp_u_f32_e32 vcc_lo, v51, v51
	v_or_b32_e32 v63, 0x400000, v52
	s_wait_alu 0xfffd
	v_cndmask_b32_e32 v51, v58, v64, vcc_lo
	v_cmp_u_f32_e32 vcc_lo, v52, v52
	v_add3_u32 v58, v91, v60, 0x7fff
	v_and_b32_e32 v49, 0xffff0000, v49
	v_or_b32_e32 v64, 0x400000, v60
	v_and_b32_e32 v51, 0xffff0000, v51
	s_wait_alu 0xfffd
	v_cndmask_b32_e32 v52, v62, v63, vcc_lo
	v_cmp_u_f32_e32 vcc_lo, v60, v60
	v_dual_add_f32 v49, v49, v54 :: v_dual_and_b32 v54, 0xffff0000, v59
	s_wait_alu 0xfffd
	v_dual_cndmask_b32 v55, v58, v64 :: v_dual_and_b32 v58, 0xffff0000, v61
	s_delay_alu instid0(VALU_DEP_2) | instskip(SKIP_1) | instid1(VALU_DEP_3)
	v_dual_add_f32 v49, v50, v49 :: v_dual_add_f32 v50, v51, v54
	v_and_b32_e32 v51, 0xffff0000, v52
	v_and_b32_e32 v52, 0xffff0000, v55
	s_delay_alu instid0(VALU_DEP_4) | instskip(NEXT) | instid1(VALU_DEP_2)
	v_dual_add_f32 v55, v56, v58 :: v_dual_and_b32 v54, 0xffff0000, v37
	v_dual_add_f32 v49, v50, v49 :: v_dual_add_f32 v50, v51, v52
	s_delay_alu instid0(VALU_DEP_2) | instskip(NEXT) | instid1(VALU_DEP_3)
	v_dual_add_f32 v52, v55, v53 :: v_dual_and_b32 v55, 0xffff0000, v40
	v_dual_mul_f32 v51, v41, v54 :: v_dual_lshlrev_b32 v40, 16, v40
	s_delay_alu instid0(VALU_DEP_3) | instskip(NEXT) | instid1(VALU_DEP_3)
	v_add_f32_e32 v49, v50, v49
	v_dual_add_f32 v76, v76, v52 :: v_dual_and_b32 v53, 0xffff0000, v38
	s_delay_alu instid0(VALU_DEP_3) | instskip(NEXT) | instid1(VALU_DEP_4)
	v_mul_f32_e32 v40, v47, v40
	v_bfe_u32 v50, v51, 16, 1
	s_delay_alu instid0(VALU_DEP_4) | instskip(NEXT) | instid1(VALU_DEP_4)
	v_add_f32_e32 v77, v77, v49
	v_mul_f32_e32 v53, v42, v53
	v_cmp_u_f32_e32 vcc_lo, v51, v51
	v_lshlrev_b32_e32 v38, 16, v38
	v_add3_u32 v49, v50, v51, 0x7fff
	v_or_b32_e32 v50, 0x400000, v51
	v_and_b32_e32 v51, 0xffff0000, v39
	s_delay_alu instid0(VALU_DEP_4) | instskip(SKIP_1) | instid1(VALU_DEP_3)
	v_dual_mul_f32 v38, v48, v38 :: v_dual_lshlrev_b32 v39, 16, v39
	s_wait_alu 0xfffd
	v_cndmask_b32_e32 v49, v49, v50, vcc_lo
	v_bfe_u32 v50, v53, 16, 1
	v_mul_f32_e32 v51, v43, v51
	v_mul_f32_e32 v39, v46, v39
	s_delay_alu instid0(VALU_DEP_3) | instskip(SKIP_1) | instid1(VALU_DEP_3)
	v_add3_u32 v50, v50, v53, 0x7fff
	v_lshlrev_b32_e32 v37, 16, v37
	v_bfe_u32 v56, v39, 16, 1
	s_delay_alu instid0(VALU_DEP_2) | instskip(NEXT) | instid1(VALU_DEP_1)
	v_mul_f32_e32 v37, v45, v37
	v_bfe_u32 v52, v37, 16, 1
	v_or_b32_e32 v54, 0x400000, v37
	v_cmp_u_f32_e32 vcc_lo, v37, v37
	s_delay_alu instid0(VALU_DEP_3) | instskip(SKIP_1) | instid1(VALU_DEP_1)
	v_add3_u32 v52, v52, v37, 0x7fff
	s_wait_alu 0xfffd
	v_cndmask_b32_e32 v37, v52, v54, vcc_lo
	v_or_b32_e32 v52, 0x400000, v53
	v_bfe_u32 v54, v38, 16, 1
	v_cmp_u_f32_e32 vcc_lo, v53, v53
	v_or_b32_e32 v53, 0x400000, v38
	s_wait_alu 0xfffd
	v_cndmask_b32_e32 v50, v50, v52, vcc_lo
	v_add3_u32 v52, v54, v38, 0x7fff
	v_bfe_u32 v54, v51, 16, 1
	v_cmp_u_f32_e32 vcc_lo, v38, v38
	s_delay_alu instid0(VALU_DEP_4)
	v_dual_add_f32 v75, v75, v57 :: v_dual_and_b32 v50, 0xffff0000, v50
	s_wait_alu 0xfffd
	v_cndmask_b32_e32 v38, v52, v53, vcc_lo
	v_add3_u32 v52, v54, v51, 0x7fff
	v_mul_f32_e32 v53, v44, v55
	v_or_b32_e32 v54, 0x400000, v51
	v_cmp_u_f32_e32 vcc_lo, v51, v51
	v_add3_u32 v55, v56, v39, 0x7fff
	v_or_b32_e32 v56, 0x400000, v39
	v_bfe_u32 v57, v53, 16, 1
	v_and_b32_e32 v38, 0xffff0000, v38
	s_wait_alu 0xfffd
	v_cndmask_b32_e32 v51, v52, v54, vcc_lo
	v_cmp_u_f32_e32 vcc_lo, v39, v39
	v_or_b32_e32 v54, 0x400000, v53
	v_add3_u32 v52, v57, v53, 0x7fff
	s_wait_alu 0xfffd
	v_dual_add_f32 v38, v38, v50 :: v_dual_cndmask_b32 v39, v55, v56
	v_bfe_u32 v55, v40, 16, 1
	v_cmp_u_f32_e32 vcc_lo, v53, v53
	s_delay_alu instid0(VALU_DEP_3) | instskip(NEXT) | instid1(VALU_DEP_3)
	v_and_b32_e32 v39, 0xffff0000, v39
	v_add3_u32 v53, v55, v40, 0x7fff
	s_wait_alu 0xfffd
	v_cndmask_b32_e32 v52, v52, v54, vcc_lo
	v_or_b32_e32 v54, 0x400000, v40
	v_cmp_u_f32_e32 vcc_lo, v40, v40
	s_wait_alu 0xfffd
	s_delay_alu instid0(VALU_DEP_2) | instskip(SKIP_3) | instid1(VALU_DEP_4)
	v_dual_cndmask_b32 v40, v53, v54 :: v_dual_and_b32 v53, 0xffff0000, v36
	v_lshlrev_b32_e32 v36, 16, v36
	v_and_b32_e32 v37, 0xffff0000, v37
	v_and_b32_e32 v50, 0xffff0000, v51
	;; [unrolled: 1-line block ×3, first 2 shown]
	s_delay_alu instid0(VALU_DEP_4) | instskip(NEXT) | instid1(VALU_DEP_3)
	v_dual_mul_f32 v36, v47, v36 :: v_dual_and_b32 v49, 0xffff0000, v49
	v_add_f32_e32 v39, v39, v50
	s_delay_alu instid0(VALU_DEP_2) | instskip(SKIP_2) | instid1(VALU_DEP_3)
	v_add_f32_e32 v37, v37, v49
	v_and_b32_e32 v49, 0xffff0000, v33
	v_lshlrev_b32_e32 v33, 16, v33
	v_add_f32_e32 v37, v38, v37
	s_delay_alu instid0(VALU_DEP_3) | instskip(NEXT) | instid1(VALU_DEP_3)
	v_dual_mul_f32 v38, v41, v49 :: v_dual_and_b32 v49, 0xffff0000, v52
	v_dual_mul_f32 v33, v45, v33 :: v_dual_and_b32 v52, 0xffff0000, v35
	s_delay_alu instid0(VALU_DEP_3) | instskip(NEXT) | instid1(VALU_DEP_3)
	v_add_f32_e32 v37, v39, v37
	v_bfe_u32 v50, v38, 16, 1
	s_delay_alu instid0(VALU_DEP_4) | instskip(NEXT) | instid1(VALU_DEP_4)
	v_dual_add_f32 v40, v40, v49 :: v_dual_and_b32 v39, 0xffff0000, v34
	v_bfe_u32 v51, v33, 16, 1
	v_lshlrev_b32_e32 v34, 16, v34
	s_delay_alu instid0(VALU_DEP_4)
	v_add3_u32 v49, v50, v38, 0x7fff
	v_or_b32_e32 v50, 0x400000, v38
	v_mul_f32_e32 v39, v42, v39
	v_cmp_u_f32_e32 vcc_lo, v38, v38
	v_mul_f32_e32 v34, v48, v34
	v_dual_mul_f32 v52, v43, v52 :: v_dual_lshlrev_b32 v35, 16, v35
	s_wait_alu 0xfffd
	v_cndmask_b32_e32 v38, v49, v50, vcc_lo
	v_add3_u32 v49, v51, v33, 0x7fff
	v_or_b32_e32 v50, 0x400000, v33
	v_bfe_u32 v51, v39, 16, 1
	v_cmp_u_f32_e32 vcc_lo, v33, v33
	v_dual_mul_f32 v35, v46, v35 :: v_dual_and_b32 v38, 0xffff0000, v38
	s_wait_alu 0xfffd
	v_cndmask_b32_e32 v33, v49, v50, vcc_lo
	v_add3_u32 v49, v51, v39, 0x7fff
	v_or_b32_e32 v50, 0x400000, v39
	v_bfe_u32 v51, v34, 16, 1
	v_cmp_u_f32_e32 vcc_lo, v39, v39
	v_or_b32_e32 v54, 0x400000, v35
	v_and_b32_e32 v33, 0xffff0000, v33
	s_wait_alu 0xfffd
	v_cndmask_b32_e32 v39, v49, v50, vcc_lo
	v_add3_u32 v49, v51, v34, 0x7fff
	v_or_b32_e32 v50, 0x400000, v34
	v_bfe_u32 v51, v52, 16, 1
	v_cmp_u_f32_e32 vcc_lo, v34, v34
	v_and_b32_e32 v39, 0xffff0000, v39
	v_add_f32_e32 v33, v33, v38
	s_wait_alu 0xfffd
	v_cndmask_b32_e32 v34, v49, v50, vcc_lo
	v_bfe_u32 v49, v35, 16, 1
	v_add3_u32 v50, v51, v52, 0x7fff
	v_mul_f32_e32 v51, v44, v53
	v_or_b32_e32 v53, 0x400000, v52
	v_cmp_u_f32_e32 vcc_lo, v52, v52
	v_add3_u32 v49, v49, v35, 0x7fff
	v_bfe_u32 v52, v36, 16, 1
	v_bfe_u32 v55, v51, 16, 1
	v_and_b32_e32 v34, 0xffff0000, v34
	s_wait_alu 0xfffd
	v_cndmask_b32_e32 v50, v50, v53, vcc_lo
	v_cmp_u_f32_e32 vcc_lo, v35, v35
	v_add3_u32 v52, v52, v36, 0x7fff
	v_or_b32_e32 v53, 0x400000, v51
	v_add_f32_e32 v34, v34, v39
	v_and_b32_e32 v38, 0xffff0000, v50
	s_wait_alu 0xfffd
	v_cndmask_b32_e32 v35, v49, v54, vcc_lo
	v_or_b32_e32 v54, 0x400000, v36
	v_cmp_u_f32_e32 vcc_lo, v36, v36
	v_add3_u32 v49, v55, v51, 0x7fff
	v_add_f32_e32 v33, v34, v33
	v_and_b32_e32 v35, 0xffff0000, v35
	v_add_f32_e32 v37, v40, v37
	s_wait_alu 0xfffd
	v_cndmask_b32_e32 v36, v52, v54, vcc_lo
	v_cmp_u_f32_e32 vcc_lo, v51, v51
	v_dual_add_f32 v34, v35, v38 :: v_dual_and_b32 v35, 0xffff0000, v29
	s_wait_alu 0xfffd
	s_delay_alu instid0(VALU_DEP_3) | instskip(SKIP_1) | instid1(VALU_DEP_3)
	v_dual_cndmask_b32 v39, v49, v53 :: v_dual_and_b32 v36, 0xffff0000, v36
	v_lshlrev_b32_e32 v29, 16, v29
	v_add_f32_e32 v33, v34, v33
	v_dual_mul_f32 v35, v41, v35 :: v_dual_add_f32 v78, v78, v37
	s_delay_alu instid0(VALU_DEP_3) | instskip(NEXT) | instid1(VALU_DEP_2)
	v_dual_mul_f32 v29, v45, v29 :: v_dual_and_b32 v38, 0xffff0000, v39
	v_cmp_u_f32_e32 vcc_lo, v35, v35
	s_delay_alu instid0(VALU_DEP_2)
	v_add_f32_e32 v34, v36, v38
	v_and_b32_e32 v36, 0xffff0000, v30
	v_bfe_u32 v38, v35, 16, 1
	v_bfe_u32 v37, v29, 16, 1
	v_or_b32_e32 v39, 0x400000, v29
	v_add_f32_e32 v33, v34, v33
	v_mul_f32_e32 v34, v42, v36
	v_add3_u32 v36, v38, v35, 0x7fff
	v_or_b32_e32 v38, 0x400000, v35
	v_add3_u32 v37, v37, v29, 0x7fff
	v_lshlrev_b32_e32 v30, 16, v30
	v_bfe_u32 v40, v34, 16, 1
	s_wait_alu 0xfffd
	v_cndmask_b32_e32 v35, v36, v38, vcc_lo
	v_cmp_u_f32_e32 vcc_lo, v29, v29
	v_mul_f32_e32 v30, v48, v30
	v_add3_u32 v36, v40, v34, 0x7fff
	v_and_b32_e32 v38, 0xffff0000, v31
	v_lshlrev_b32_e32 v31, 16, v31
	s_wait_alu 0xfffd
	v_cndmask_b32_e32 v29, v37, v39, vcc_lo
	v_or_b32_e32 v37, 0x400000, v34
	v_cmp_u_f32_e32 vcc_lo, v34, v34
	v_bfe_u32 v39, v30, 16, 1
	v_mul_f32_e32 v31, v46, v31
	s_wait_alu 0xfffd
	v_dual_cndmask_b32 v34, v36, v37 :: v_dual_and_b32 v35, 0xffff0000, v35
	v_mul_f32_e32 v36, v43, v38
	v_add3_u32 v37, v39, v30, 0x7fff
	v_or_b32_e32 v38, 0x400000, v30
	v_and_b32_e32 v39, 0xffff0000, v32
	v_cmp_u_f32_e32 vcc_lo, v30, v30
	v_bfe_u32 v40, v36, 16, 1
	v_bfe_u32 v49, v31, 16, 1
	v_lshlrev_b32_e32 v32, 16, v32
	v_and_b32_e32 v34, 0xffff0000, v34
	s_wait_alu 0xfffd
	v_dual_cndmask_b32 v30, v37, v38 :: v_dual_mul_f32 v37, v44, v39
	v_add3_u32 v38, v40, v36, 0x7fff
	v_or_b32_e32 v39, 0x400000, v36
	v_cmp_u_f32_e32 vcc_lo, v36, v36
	v_add3_u32 v40, v49, v31, 0x7fff
	v_or_b32_e32 v49, 0x400000, v31
	v_bfe_u32 v50, v37, 16, 1
	v_and_b32_e32 v30, 0xffff0000, v30
	s_wait_alu 0xfffd
	v_cndmask_b32_e32 v36, v38, v39, vcc_lo
	v_cmp_u_f32_e32 vcc_lo, v31, v31
	v_or_b32_e32 v39, 0x400000, v37
	v_add3_u32 v38, v50, v37, 0x7fff
	v_mul_f32_e32 v32, v47, v32
	s_wait_alu 0xfffd
	v_dual_add_f32 v30, v30, v34 :: v_dual_cndmask_b32 v31, v40, v49
	v_cmp_u_f32_e32 vcc_lo, v37, v37
	v_and_b32_e32 v34, 0xffff0000, v25
	v_lshlrev_b32_e32 v25, 16, v25
	s_delay_alu instid0(VALU_DEP_4)
	v_and_b32_e32 v31, 0xffff0000, v31
	s_wait_alu 0xfffd
	v_cndmask_b32_e32 v37, v38, v39, vcc_lo
	v_and_b32_e32 v39, 0xffff0000, v28
	v_and_b32_e32 v29, 0xffff0000, v29
	v_bfe_u32 v38, v32, 16, 1
	v_cmp_u_f32_e32 vcc_lo, v32, v32
	v_dual_mul_f32 v25, v45, v25 :: v_dual_lshlrev_b32 v28, 16, v28
	s_delay_alu instid0(VALU_DEP_4) | instskip(SKIP_3) | instid1(VALU_DEP_4)
	v_add_f32_e32 v29, v29, v35
	v_and_b32_e32 v35, 0xffff0000, v36
	v_add3_u32 v36, v38, v32, 0x7fff
	v_or_b32_e32 v38, 0x400000, v32
	v_dual_mul_f32 v28, v47, v28 :: v_dual_add_f32 v29, v30, v29
	s_delay_alu instid0(VALU_DEP_4) | instskip(SKIP_1) | instid1(VALU_DEP_3)
	v_dual_mul_f32 v30, v41, v34 :: v_dual_add_f32 v31, v31, v35
	s_wait_alu 0xfffd
	v_cndmask_b32_e32 v32, v36, v38, vcc_lo
	v_bfe_u32 v36, v25, 16, 1
	v_and_b32_e32 v38, 0xffff0000, v27
	v_bfe_u32 v34, v30, 16, 1
	v_add_f32_e32 v29, v31, v29
	v_and_b32_e32 v31, 0xffff0000, v26
	v_or_b32_e32 v35, 0x400000, v30
	v_lshlrev_b32_e32 v26, 16, v26
	v_add3_u32 v34, v34, v30, 0x7fff
	v_cmp_u_f32_e32 vcc_lo, v30, v30
	v_dual_mul_f32 v31, v42, v31 :: v_dual_mul_f32 v38, v43, v38
	s_delay_alu instid0(VALU_DEP_4)
	v_dual_mul_f32 v26, v48, v26 :: v_dual_lshlrev_b32 v27, 16, v27
	s_wait_alu 0xfffd
	v_cndmask_b32_e32 v30, v34, v35, vcc_lo
	v_add3_u32 v34, v36, v25, 0x7fff
	v_or_b32_e32 v35, 0x400000, v25
	v_bfe_u32 v36, v31, 16, 1
	v_cmp_u_f32_e32 vcc_lo, v25, v25
	v_mul_f32_e32 v27, v46, v27
	v_bfe_u32 v50, v28, 16, 1
	v_and_b32_e32 v30, 0xffff0000, v30
	s_wait_alu 0xfffd
	v_dual_cndmask_b32 v25, v34, v35 :: v_dual_and_b32 v32, 0xffff0000, v32
	v_add3_u32 v34, v36, v31, 0x7fff
	v_or_b32_e32 v35, 0x400000, v31
	v_bfe_u32 v36, v26, 16, 1
	v_cmp_u_f32_e32 vcc_lo, v31, v31
	v_or_b32_e32 v40, 0x400000, v27
	v_and_b32_e32 v25, 0xffff0000, v25
	v_add_f32_e32 v79, v79, v33
	s_wait_alu 0xfffd
	v_cndmask_b32_e32 v31, v34, v35, vcc_lo
	v_add3_u32 v34, v36, v26, 0x7fff
	v_or_b32_e32 v35, 0x400000, v26
	v_bfe_u32 v36, v38, 16, 1
	v_cmp_u_f32_e32 vcc_lo, v26, v26
	v_and_b32_e32 v31, 0xffff0000, v31
	s_wait_alu 0xfffd
	v_dual_add_f32 v25, v25, v30 :: v_dual_cndmask_b32 v26, v34, v35
	v_bfe_u32 v34, v27, 16, 1
	v_add3_u32 v35, v36, v38, 0x7fff
	v_mul_f32_e32 v36, v44, v39
	v_or_b32_e32 v39, 0x400000, v38
	v_cmp_u_f32_e32 vcc_lo, v38, v38
	v_add3_u32 v34, v34, v27, 0x7fff
	v_add3_u32 v38, v50, v28, 0x7fff
	v_bfe_u32 v49, v36, 16, 1
	s_wait_alu 0xfffd
	v_dual_cndmask_b32 v35, v35, v39 :: v_dual_and_b32 v26, 0xffff0000, v26
	v_cmp_u_f32_e32 vcc_lo, v27, v27
	v_or_b32_e32 v39, 0x400000, v28
	s_delay_alu instid0(VALU_DEP_3)
	v_add_f32_e32 v26, v26, v31
	s_wait_alu 0xfffd
	v_dual_cndmask_b32 v27, v34, v40 :: v_dual_and_b32 v30, 0xffff0000, v35
	v_cmp_u_f32_e32 vcc_lo, v28, v28
	v_add3_u32 v34, v49, v36, 0x7fff
	v_or_b32_e32 v40, 0x400000, v36
	v_add_f32_e32 v25, v26, v25
	v_and_b32_e32 v27, 0xffff0000, v27
	s_wait_alu 0xfffd
	v_cndmask_b32_e32 v28, v38, v39, vcc_lo
	v_cmp_u_f32_e32 vcc_lo, v36, v36
	s_delay_alu instid0(VALU_DEP_2) | instskip(SKIP_4) | instid1(VALU_DEP_3)
	v_dual_add_f32 v26, v27, v30 :: v_dual_and_b32 v27, 0xffff0000, v28
	s_wait_alu 0xfffd
	v_dual_cndmask_b32 v31, v34, v40 :: v_dual_and_b32 v30, 0xffff0000, v21
	v_and_b32_e32 v34, 0xffff0000, v37
	v_lshlrev_b32_e32 v21, 16, v21
	v_dual_add_f32 v25, v26, v25 :: v_dual_and_b32 v28, 0xffff0000, v31
	s_delay_alu instid0(VALU_DEP_3) | instskip(NEXT) | instid1(VALU_DEP_2)
	v_add_f32_e32 v31, v32, v34
	v_dual_mul_f32 v21, v45, v21 :: v_dual_add_f32 v26, v27, v28
	s_delay_alu instid0(VALU_DEP_2) | instskip(SKIP_1) | instid1(VALU_DEP_3)
	v_dual_mul_f32 v27, v41, v30 :: v_dual_add_f32 v28, v31, v29
	v_and_b32_e32 v29, 0xffff0000, v22
	v_dual_add_f32 v25, v26, v25 :: v_dual_lshlrev_b32 v22, 16, v22
	s_delay_alu instid0(VALU_DEP_3) | instskip(NEXT) | instid1(VALU_DEP_4)
	v_bfe_u32 v26, v27, 16, 1
	v_add_f32_e32 v80, v80, v28
	v_bfe_u32 v28, v21, 16, 1
	v_mul_f32_e32 v29, v42, v29
	v_add_f32_e32 v81, v81, v25
	v_add3_u32 v25, v26, v27, 0x7fff
	v_or_b32_e32 v26, 0x400000, v27
	v_cmp_u_f32_e32 vcc_lo, v27, v27
	v_add3_u32 v28, v28, v21, 0x7fff
	v_or_b32_e32 v30, 0x400000, v21
	v_dual_mul_f32 v22, v48, v22 :: v_dual_and_b32 v27, 0xffff0000, v23
	s_wait_alu 0xfffd
	v_cndmask_b32_e32 v25, v25, v26, vcc_lo
	v_bfe_u32 v26, v29, 16, 1
	v_cmp_u_f32_e32 vcc_lo, v21, v21
	v_lshlrev_b32_e32 v23, 16, v23
	v_mul_f32_e32 v27, v43, v27
	v_and_b32_e32 v31, 0xffff0000, v24
	v_add3_u32 v26, v26, v29, 0x7fff
	s_wait_alu 0xfffd
	v_cndmask_b32_e32 v21, v28, v30, vcc_lo
	v_or_b32_e32 v28, 0x400000, v29
	v_bfe_u32 v30, v22, 16, 1
	v_cmp_u_f32_e32 vcc_lo, v29, v29
	v_mul_f32_e32 v23, v46, v23
	v_or_b32_e32 v29, 0x400000, v22
	v_lshlrev_b32_e32 v24, 16, v24
	s_wait_alu 0xfffd
	v_dual_cndmask_b32 v26, v26, v28 :: v_dual_and_b32 v21, 0xffff0000, v21
	v_add3_u32 v28, v30, v22, 0x7fff
	v_bfe_u32 v30, v27, 16, 1
	v_cmp_u_f32_e32 vcc_lo, v22, v22
	v_bfe_u32 v32, v23, 16, 1
	v_dual_mul_f32 v24, v47, v24 :: v_dual_and_b32 v25, 0xffff0000, v25
	v_and_b32_e32 v26, 0xffff0000, v26
	s_wait_alu 0xfffd
	v_cndmask_b32_e32 v22, v28, v29, vcc_lo
	v_add3_u32 v28, v30, v27, 0x7fff
	v_mul_f32_e32 v29, v44, v31
	v_or_b32_e32 v30, 0x400000, v27
	v_cmp_u_f32_e32 vcc_lo, v27, v27
	v_add3_u32 v31, v32, v23, 0x7fff
	v_or_b32_e32 v32, 0x400000, v23
	v_bfe_u32 v33, v29, 16, 1
	v_and_b32_e32 v22, 0xffff0000, v22
	s_wait_alu 0xfffd
	v_cndmask_b32_e32 v27, v28, v30, vcc_lo
	v_cmp_u_f32_e32 vcc_lo, v23, v23
	v_or_b32_e32 v30, 0x400000, v29
	v_add3_u32 v28, v33, v29, 0x7fff
	v_dual_add_f32 v21, v21, v25 :: v_dual_add_f32 v22, v22, v26
	s_wait_alu 0xfffd
	v_cndmask_b32_e32 v23, v31, v32, vcc_lo
	v_bfe_u32 v31, v24, 16, 1
	v_cmp_u_f32_e32 vcc_lo, v29, v29
	v_and_b32_e32 v26, 0xffff0000, v13
	v_and_b32_e32 v25, 0xffff0000, v27
	;; [unrolled: 1-line block ×3, first 2 shown]
	v_add3_u32 v29, v31, v24, 0x7fff
	s_wait_alu 0xfffd
	v_cndmask_b32_e32 v28, v28, v30, vcc_lo
	v_or_b32_e32 v30, 0x400000, v24
	v_cmp_u_f32_e32 vcc_lo, v24, v24
	v_lshlrev_b32_e32 v13, 16, v13
	v_dual_add_f32 v21, v22, v21 :: v_dual_mul_f32 v22, v41, v26
	s_wait_alu 0xfffd
	v_dual_add_f32 v23, v23, v25 :: v_dual_cndmask_b32 v24, v29, v30
	s_delay_alu instid0(VALU_DEP_3) | instskip(SKIP_2) | instid1(VALU_DEP_4)
	v_mul_f32_e32 v13, v45, v13
	v_and_b32_e32 v25, 0xffff0000, v28
	v_bfe_u32 v26, v22, 16, 1
	v_dual_add_f32 v21, v23, v21 :: v_dual_and_b32 v24, 0xffff0000, v24
	s_delay_alu instid0(VALU_DEP_4)
	v_bfe_u32 v23, v13, 16, 1
	v_and_b32_e32 v27, 0xffff0000, v14
	v_cmp_u_f32_e32 vcc_lo, v22, v22
	v_or_b32_e32 v28, 0x400000, v13
	v_add_f32_e32 v24, v24, v25
	v_add3_u32 v25, v26, v22, 0x7fff
	v_or_b32_e32 v26, 0x400000, v22
	v_add3_u32 v23, v23, v13, 0x7fff
	v_dual_mul_f32 v27, v42, v27 :: v_dual_lshlrev_b32 v14, 16, v14
	s_wait_alu 0xfffd
	s_delay_alu instid0(VALU_DEP_3) | instskip(SKIP_1) | instid1(VALU_DEP_3)
	v_dual_cndmask_b32 v22, v25, v26 :: v_dual_and_b32 v29, 0xffff0000, v16
	v_cmp_u_f32_e32 vcc_lo, v13, v13
	v_bfe_u32 v25, v27, 16, 1
	v_mul_f32_e32 v14, v48, v14
	v_or_b32_e32 v26, 0x400000, v27
	v_lshlrev_b32_e32 v16, 16, v16
	s_wait_alu 0xfffd
	v_cndmask_b32_e32 v13, v23, v28, vcc_lo
	v_and_b32_e32 v23, 0xffff0000, v15
	v_add3_u32 v25, v25, v27, 0x7fff
	v_lshlrev_b32_e32 v15, 16, v15
	v_bfe_u32 v28, v14, 16, 1
	v_cmp_u_f32_e32 vcc_lo, v27, v27
	v_mul_f32_e32 v23, v43, v23
	v_or_b32_e32 v27, 0x400000, v14
	v_dual_mul_f32 v15, v46, v15 :: v_dual_mul_f32 v16, v47, v16
	s_wait_alu 0xfffd
	v_cndmask_b32_e32 v25, v25, v26, vcc_lo
	v_add3_u32 v26, v28, v14, 0x7fff
	v_bfe_u32 v28, v23, 16, 1
	v_cmp_u_f32_e32 vcc_lo, v14, v14
	v_bfe_u32 v30, v15, 16, 1
	v_and_b32_e32 v13, 0xffff0000, v13
	v_and_b32_e32 v22, 0xffff0000, v22
	s_wait_alu 0xfffd
	v_dual_cndmask_b32 v14, v26, v27 :: v_dual_and_b32 v25, 0xffff0000, v25
	v_add3_u32 v26, v28, v23, 0x7fff
	v_mul_f32_e32 v27, v44, v29
	v_or_b32_e32 v28, 0x400000, v23
	v_cmp_u_f32_e32 vcc_lo, v23, v23
	v_add3_u32 v29, v30, v15, 0x7fff
	v_or_b32_e32 v30, 0x400000, v15
	v_bfe_u32 v31, v27, 16, 1
	s_wait_alu 0xfffd
	v_dual_cndmask_b32 v23, v26, v28 :: v_dual_and_b32 v14, 0xffff0000, v14
	v_cmp_u_f32_e32 vcc_lo, v15, v15
	v_or_b32_e32 v28, 0x400000, v27
	v_add3_u32 v26, v31, v27, 0x7fff
	s_delay_alu instid0(VALU_DEP_4)
	v_dual_add_f32 v13, v13, v22 :: v_dual_add_f32 v14, v14, v25
	s_wait_alu 0xfffd
	v_cndmask_b32_e32 v15, v29, v30, vcc_lo
	v_bfe_u32 v29, v16, 16, 1
	v_cmp_u_f32_e32 vcc_lo, v27, v27
	v_dual_add_f32 v13, v14, v13 :: v_dual_and_b32 v22, 0xffff0000, v23
	s_delay_alu instid0(VALU_DEP_4) | instskip(NEXT) | instid1(VALU_DEP_4)
	v_and_b32_e32 v15, 0xffff0000, v15
	v_add3_u32 v27, v29, v16, 0x7fff
	s_wait_alu 0xfffd
	v_cndmask_b32_e32 v26, v26, v28, vcc_lo
	v_or_b32_e32 v28, 0x400000, v16
	v_cmp_u_f32_e32 vcc_lo, v16, v16
	v_dual_add_f32 v15, v15, v22 :: v_dual_and_b32 v14, 0xffff0000, v9
	v_lshlrev_b32_e32 v9, 16, v9
	v_and_b32_e32 v22, 0xffff0000, v26
	s_wait_alu 0xfffd
	v_cndmask_b32_e32 v16, v27, v28, vcc_lo
	v_dual_mul_f32 v14, v41, v14 :: v_dual_add_f32 v21, v24, v21
	v_mul_f32_e32 v23, v45, v9
	s_delay_alu instid0(VALU_DEP_3) | instskip(NEXT) | instid1(VALU_DEP_3)
	v_dual_add_f32 v9, v15, v13 :: v_dual_and_b32 v16, 0xffff0000, v16
	v_bfe_u32 v15, v14, 16, 1
	s_delay_alu instid0(VALU_DEP_4) | instskip(SKIP_1) | instid1(VALU_DEP_4)
	v_dual_add_f32 v82, v82, v21 :: v_dual_and_b32 v21, 0xffff0000, v10
	v_cmp_u_f32_e32 vcc_lo, v14, v14
	v_add_f32_e32 v13, v16, v22
	v_bfe_u32 v16, v23, 16, 1
	v_or_b32_e32 v22, 0x400000, v23
	v_dual_mul_f32 v21, v42, v21 :: v_dual_lshlrev_b32 v10, 16, v10
	s_delay_alu instid0(VALU_DEP_4)
	v_add_f32_e32 v9, v13, v9
	v_add3_u32 v13, v15, v14, 0x7fff
	v_or_b32_e32 v15, 0x400000, v14
	v_add3_u32 v16, v16, v23, 0x7fff
	v_bfe_u32 v14, v21, 16, 1
	v_mul_f32_e32 v10, v48, v10
	s_wait_alu 0xfffd
	v_dual_cndmask_b32 v13, v13, v15 :: v_dual_and_b32 v24, 0xffff0000, v12
	v_cmp_u_f32_e32 vcc_lo, v23, v23
	v_add3_u32 v14, v14, v21, 0x7fff
	v_bfe_u32 v23, v10, 16, 1
	v_lshlrev_b32_e32 v12, 16, v12
	v_and_b32_e32 v13, 0xffff0000, v13
	s_wait_alu 0xfffd
	v_dual_cndmask_b32 v15, v16, v22 :: v_dual_and_b32 v16, 0xffff0000, v11
	v_or_b32_e32 v22, 0x400000, v21
	v_lshlrev_b32_e32 v11, 16, v11
	v_cmp_u_f32_e32 vcc_lo, v21, v21
	v_add3_u32 v21, v23, v10, 0x7fff
	v_mul_f32_e32 v16, v43, v16
	s_delay_alu instid0(VALU_DEP_4)
	v_dual_mul_f32 v12, v47, v12 :: v_dual_mul_f32 v11, v46, v11
	s_wait_alu 0xfffd
	v_cndmask_b32_e32 v14, v14, v22, vcc_lo
	v_or_b32_e32 v22, 0x400000, v10
	v_bfe_u32 v23, v16, 16, 1
	v_cmp_u_f32_e32 vcc_lo, v10, v10
	v_bfe_u32 v25, v11, 16, 1
	v_and_b32_e32 v15, 0xffff0000, v15
	v_and_b32_e32 v14, 0xffff0000, v14
	s_wait_alu 0xfffd
	v_cndmask_b32_e32 v10, v21, v22, vcc_lo
	v_add3_u32 v21, v23, v16, 0x7fff
	v_mul_f32_e32 v22, v44, v24
	v_or_b32_e32 v23, 0x400000, v16
	v_cmp_u_f32_e32 vcc_lo, v16, v16
	v_add3_u32 v24, v25, v11, 0x7fff
	v_or_b32_e32 v25, 0x400000, v11
	v_bfe_u32 v26, v22, 16, 1
	v_and_b32_e32 v10, 0xffff0000, v10
	s_wait_alu 0xfffd
	v_cndmask_b32_e32 v16, v21, v23, vcc_lo
	v_cmp_u_f32_e32 vcc_lo, v11, v11
	v_or_b32_e32 v23, 0x400000, v22
	v_add3_u32 v21, v26, v22, 0x7fff
	v_dual_add_f32 v13, v15, v13 :: v_dual_add_f32 v10, v10, v14
	s_wait_alu 0xfffd
	v_cndmask_b32_e32 v11, v24, v25, vcc_lo
	v_bfe_u32 v24, v12, 16, 1
	v_cmp_u_f32_e32 vcc_lo, v22, v22
	v_and_b32_e32 v15, 0xffff0000, v5
	v_and_b32_e32 v14, 0xffff0000, v16
	;; [unrolled: 1-line block ×3, first 2 shown]
	v_add3_u32 v22, v24, v12, 0x7fff
	s_wait_alu 0xfffd
	v_cndmask_b32_e32 v21, v21, v23, vcc_lo
	v_or_b32_e32 v23, 0x400000, v12
	v_cmp_u_f32_e32 vcc_lo, v12, v12
	v_lshlrev_b32_e32 v5, 16, v5
	v_dual_add_f32 v10, v10, v13 :: v_dual_mul_f32 v13, v41, v15
	s_wait_alu 0xfffd
	v_dual_add_f32 v11, v11, v14 :: v_dual_cndmask_b32 v12, v22, v23
	s_delay_alu instid0(VALU_DEP_3)
	v_mul_f32_e32 v5, v45, v5
	v_and_b32_e32 v14, 0xffff0000, v21
	v_and_b32_e32 v15, 0xffff0000, v6
	v_bfe_u32 v16, v13, 16, 1
	v_and_b32_e32 v12, 0xffff0000, v12
	v_add_f32_e32 v10, v11, v10
	v_bfe_u32 v11, v5, 16, 1
	v_lshlrev_b32_e32 v6, 16, v6
	v_cmp_u_f32_e32 vcc_lo, v13, v13
	v_add_f32_e32 v12, v12, v14
	v_mul_f32_e32 v14, v42, v15
	v_add3_u32 v15, v16, v13, 0x7fff
	v_or_b32_e32 v16, 0x400000, v13
	v_add3_u32 v11, v11, v5, 0x7fff
	v_or_b32_e32 v21, 0x400000, v5
	v_bfe_u32 v22, v14, 16, 1
	s_wait_alu 0xfffd
	v_dual_mul_f32 v6, v48, v6 :: v_dual_cndmask_b32 v13, v15, v16
	v_cmp_u_f32_e32 vcc_lo, v5, v5
	v_and_b32_e32 v16, 0xffff0000, v7
	v_or_b32_e32 v15, 0x400000, v14
	v_lshlrev_b32_e32 v7, 16, v7
	v_and_b32_e32 v13, 0xffff0000, v13
	s_wait_alu 0xfffd
	v_cndmask_b32_e32 v5, v11, v21, vcc_lo
	v_add3_u32 v11, v22, v14, 0x7fff
	v_bfe_u32 v21, v6, 16, 1
	v_cmp_u_f32_e32 vcc_lo, v14, v14
	v_dual_mul_f32 v14, v43, v16 :: v_dual_mul_f32 v7, v46, v7
	v_or_b32_e32 v16, 0x400000, v6
	v_and_b32_e32 v5, 0xffff0000, v5
	s_wait_alu 0xfffd
	v_cndmask_b32_e32 v11, v11, v15, vcc_lo
	v_add3_u32 v15, v21, v6, 0x7fff
	v_and_b32_e32 v21, 0xffff0000, v8
	v_bfe_u32 v22, v14, 16, 1
	v_cmp_u_f32_e32 vcc_lo, v6, v6
	v_bfe_u32 v23, v7, 16, 1
	v_lshlrev_b32_e32 v8, 16, v8
	v_and_b32_e32 v11, 0xffff0000, v11
	s_wait_alu 0xfffd
	v_dual_add_f32 v5, v5, v13 :: v_dual_cndmask_b32 v6, v15, v16
	v_mul_f32_e32 v15, v44, v21
	v_add3_u32 v16, v22, v14, 0x7fff
	v_or_b32_e32 v21, 0x400000, v14
	v_cmp_u_f32_e32 vcc_lo, v14, v14
	v_add3_u32 v22, v23, v7, 0x7fff
	v_or_b32_e32 v23, 0x400000, v7
	v_bfe_u32 v24, v15, 16, 1
	v_and_b32_e32 v6, 0xffff0000, v6
	s_wait_alu 0xfffd
	v_cndmask_b32_e32 v14, v16, v21, vcc_lo
	v_cmp_u_f32_e32 vcc_lo, v7, v7
	v_or_b32_e32 v21, 0x400000, v15
	v_add3_u32 v16, v24, v15, 0x7fff
	v_mul_f32_e32 v8, v47, v8
	v_add_f32_e32 v6, v6, v11
	s_wait_alu 0xfffd
	v_cndmask_b32_e32 v7, v22, v23, vcc_lo
	v_cmp_u_f32_e32 vcc_lo, v15, v15
	v_and_b32_e32 v11, 0xffff0000, v1
	v_and_b32_e32 v13, 0xffff0000, v14
	v_add_f32_e32 v5, v6, v5
	v_and_b32_e32 v7, 0xffff0000, v7
	s_wait_alu 0xfffd
	v_cndmask_b32_e32 v15, v16, v21, vcc_lo
	v_bfe_u32 v16, v8, 16, 1
	v_dual_mul_f32 v6, v41, v11 :: v_dual_lshlrev_b32 v1, 16, v1
	v_add_f32_e32 v7, v7, v13
	v_cmp_u_f32_e32 vcc_lo, v8, v8
	s_delay_alu instid0(VALU_DEP_4)
	v_add3_u32 v14, v16, v8, 0x7fff
	v_or_b32_e32 v16, 0x400000, v8
	v_bfe_u32 v11, v6, 16, 1
	v_add_f32_e32 v5, v7, v5
	v_and_b32_e32 v7, 0xffff0000, v2
	s_wait_alu 0xfffd
	v_dual_mul_f32 v1, v45, v1 :: v_dual_cndmask_b32 v8, v14, v16
	v_add3_u32 v11, v11, v6, 0x7fff
	v_or_b32_e32 v13, 0x400000, v6
	v_mul_f32_e32 v7, v42, v7
	v_and_b32_e32 v14, 0xffff0000, v15
	v_bfe_u32 v15, v1, 16, 1
	v_cmp_u_f32_e32 vcc_lo, v6, v6
	v_lshlrev_b32_e32 v2, 16, v2
	v_or_b32_e32 v16, 0x400000, v1
	v_or_b32_e32 v21, 0x400000, v7
	v_and_b32_e32 v8, 0xffff0000, v8
	s_wait_alu 0xfffd
	v_cndmask_b32_e32 v6, v11, v13, vcc_lo
	v_bfe_u32 v11, v7, 16, 1
	v_add3_u32 v13, v15, v1, 0x7fff
	v_dual_mul_f32 v2, v48, v2 :: v_dual_and_b32 v15, 0xffff0000, v3
	v_cmp_u_f32_e32 vcc_lo, v1, v1
	s_delay_alu instid0(VALU_DEP_4) | instskip(SKIP_1) | instid1(VALU_DEP_4)
	v_add3_u32 v11, v11, v7, 0x7fff
	v_lshlrev_b32_e32 v3, 16, v3
	v_dual_mul_f32 v15, v43, v15 :: v_dual_and_b32 v6, 0xffff0000, v6
	s_wait_alu 0xfffd
	v_cndmask_b32_e32 v1, v13, v16, vcc_lo
	v_bfe_u32 v13, v2, 16, 1
	v_cmp_u_f32_e32 vcc_lo, v7, v7
	v_dual_mul_f32 v3, v46, v3 :: v_dual_and_b32 v16, 0xffff0000, v4
	v_or_b32_e32 v22, 0x400000, v15
	s_delay_alu instid0(VALU_DEP_4)
	v_add3_u32 v13, v13, v2, 0x7fff
	s_wait_alu 0xfffd
	v_cndmask_b32_e32 v7, v11, v21, vcc_lo
	v_bfe_u32 v11, v15, 16, 1
	v_or_b32_e32 v21, 0x400000, v2
	v_cmp_u_f32_e32 vcc_lo, v2, v2
	v_mul_f32_e32 v16, v44, v16
	v_lshlrev_b32_e32 v4, 16, v4
	v_add3_u32 v11, v11, v15, 0x7fff
	v_and_b32_e32 v1, 0xffff0000, v1
	s_wait_alu 0xfffd
	v_cndmask_b32_e32 v2, v13, v21, vcc_lo
	v_bfe_u32 v13, v3, 16, 1
	v_cmp_u_f32_e32 vcc_lo, v15, v15
	v_bfe_u32 v21, v16, 16, 1
	v_or_b32_e32 v15, 0x400000, v3
	v_mul_f32_e32 v4, v47, v4
	v_add3_u32 v13, v13, v3, 0x7fff
	s_wait_alu 0xfffd
	v_cndmask_b32_e32 v11, v11, v22, vcc_lo
	v_cmp_u_f32_e32 vcc_lo, v3, v3
	v_add3_u32 v21, v21, v16, 0x7fff
	v_or_b32_e32 v22, 0x400000, v16
	v_and_b32_e32 v2, 0xffff0000, v2
	v_and_b32_e32 v7, 0xffff0000, v7
	s_wait_alu 0xfffd
	v_cndmask_b32_e32 v3, v13, v15, vcc_lo
	v_cmp_u_f32_e32 vcc_lo, v16, v16
	v_bfe_u32 v15, v4, 16, 1
	v_dual_add_f32 v1, v1, v6 :: v_dual_add_f32 v2, v2, v7
	s_delay_alu instid0(VALU_DEP_4)
	v_and_b32_e32 v3, 0xffff0000, v3
	s_wait_alu 0xfffd
	v_cndmask_b32_e32 v13, v21, v22, vcc_lo
	s_wait_loadcnt 0x0
	v_lshlrev_b32_e32 v21, 16, v17
	v_and_b32_e32 v6, 0xffff0000, v11
	v_and_b32_e32 v11, 0xffff0000, v17
	v_add3_u32 v15, v15, v4, 0x7fff
	v_or_b32_e32 v16, 0x400000, v4
	v_mul_f32_e32 v7, v45, v21
	v_cmp_u_f32_e32 vcc_lo, v4, v4
	v_add_f32_e32 v1, v2, v1
	v_dual_add_f32 v3, v3, v6 :: v_dual_mul_f32 v6, v41, v11
	s_delay_alu instid0(VALU_DEP_4)
	v_bfe_u32 v2, v7, 16, 1
	s_wait_alu 0xfffd
	v_dual_cndmask_b32 v4, v15, v16 :: v_dual_lshlrev_b32 v11, 16, v18
	v_or_b32_e32 v15, 0x400000, v7
	v_bfe_u32 v16, v6, 16, 1
	v_add3_u32 v2, v2, v7, 0x7fff
	s_delay_alu instid0(VALU_DEP_4)
	v_mul_f32_e32 v11, v48, v11
	v_and_b32_e32 v17, 0xffff0000, v18
	v_cmp_u_f32_e32 vcc_lo, v7, v7
	v_add3_u32 v7, v16, v6, 0x7fff
	v_lshlrev_b32_e32 v18, 16, v19
	v_bfe_u32 v16, v11, 16, 1
	v_mul_f32_e32 v17, v42, v17
	s_wait_alu 0xfffd
	v_cndmask_b32_e32 v2, v2, v15, vcc_lo
	v_or_b32_e32 v15, 0x400000, v6
	v_cmp_u_f32_e32 vcc_lo, v6, v6
	v_dual_mul_f32 v18, v46, v18 :: v_dual_and_b32 v19, 0xffff0000, v19
	v_lshlrev_b32_e32 v21, 16, v20
	v_and_b32_e32 v20, 0xffff0000, v20
	s_wait_alu 0xfffd
	v_cndmask_b32_e32 v6, v7, v15, vcc_lo
	v_add3_u32 v7, v16, v11, 0x7fff
	v_or_b32_e32 v15, 0x400000, v11
	v_bfe_u32 v16, v17, 16, 1
	v_cmp_u_f32_e32 vcc_lo, v11, v11
	v_dual_mul_f32 v19, v43, v19 :: v_dual_mul_f32 v20, v44, v20
	v_and_b32_e32 v6, 0xffff0000, v6
	s_delay_alu instid0(VALU_DEP_4)
	v_add3_u32 v11, v16, v17, 0x7fff
	s_wait_alu 0xfffd
	v_cndmask_b32_e32 v7, v7, v15, vcc_lo
	v_or_b32_e32 v15, 0x400000, v17
	v_bfe_u32 v16, v18, 16, 1
	v_cmp_u_f32_e32 vcc_lo, v17, v17
	v_mul_f32_e32 v17, v47, v21
	v_or_b32_e32 v21, 0x400000, v18
	v_or_b32_e32 v22, 0x400000, v19
	v_add3_u32 v16, v16, v18, 0x7fff
	s_wait_alu 0xfffd
	v_cndmask_b32_e32 v11, v11, v15, vcc_lo
	v_bfe_u32 v15, v19, 16, 1
	v_cmp_u_f32_e32 vcc_lo, v18, v18
	v_bfe_u32 v24, v20, 16, 1
	v_bfe_u32 v23, v17, 16, 1
	v_and_b32_e32 v2, 0xffff0000, v2
	v_add3_u32 v15, v15, v19, 0x7fff
	s_wait_alu 0xfffd
	v_cndmask_b32_e32 v16, v16, v21, vcc_lo
	v_cmp_u_f32_e32 vcc_lo, v19, v19
	v_add3_u32 v19, v24, v20, 0x7fff
	v_or_b32_e32 v21, 0x400000, v20
	v_add3_u32 v18, v23, v17, 0x7fff
	v_and_b32_e32 v11, 0xffff0000, v11
	s_wait_alu 0xfffd
	v_cndmask_b32_e32 v15, v15, v22, vcc_lo
	v_cmp_u_f32_e32 vcc_lo, v20, v20
	v_and_b32_e32 v7, 0xffff0000, v7
	v_or_b32_e32 v22, 0x400000, v17
	v_add_f32_e32 v2, v2, v6
	s_wait_alu 0xfffd
	v_dual_cndmask_b32 v19, v19, v21 :: v_dual_and_b32 v4, 0xffff0000, v4
	v_cmp_u_f32_e32 vcc_lo, v17, v17
	v_add_f32_e32 v6, v7, v11
	v_and_b32_e32 v7, 0xffff0000, v15
	v_and_b32_e32 v11, 0xffff0000, v16
	;; [unrolled: 1-line block ×3, first 2 shown]
	s_wait_alu 0xfffd
	v_cndmask_b32_e32 v15, v18, v22, vcc_lo
	v_add_f32_e32 v2, v6, v2
	v_add_f32_e32 v8, v8, v14
	;; [unrolled: 1-line block ×3, first 2 shown]
	v_and_b32_e32 v7, 0xffff0000, v19
	v_and_b32_e32 v11, 0xffff0000, v15
	v_add_f32_e32 v1, v3, v1
	s_delay_alu instid0(VALU_DEP_4) | instskip(SKIP_1) | instid1(VALU_DEP_4)
	v_dual_add_f32 v3, v4, v13 :: v_dual_add_f32 v2, v6, v2
	v_add_f32_e32 v6, v12, v10
	v_dual_add_f32 v4, v11, v7 :: v_dual_add_f32 v5, v8, v5
	s_delay_alu instid0(VALU_DEP_3) | instskip(SKIP_1) | instid1(VALU_DEP_3)
	v_add_f32_e32 v1, v3, v1
	v_cmp_le_i32_e32 vcc_lo, s13, v69
	v_dual_add_f32 v83, v83, v9 :: v_dual_add_f32 v2, v4, v2
	s_delay_alu instid0(VALU_DEP_4) | instskip(NEXT) | instid1(VALU_DEP_4)
	v_dual_add_f32 v85, v85, v6 :: v_dual_add_f32 v86, v86, v5
	v_add_f32_e32 v84, v84, v1
	s_or_b32 s4, vcc_lo, s4
	s_delay_alu instid0(VALU_DEP_3)
	v_add_f32_e32 v73, v73, v2
	s_wait_alu 0xfffe
	s_and_not1_b32 exec_lo, exec_lo, s4
	s_cbranch_execz .LBB184_57
.LBB184_29:                             ; =>This Inner Loop Header: Depth=1
	global_load_b32 v1, v[65:66], off
	v_add_nc_u32_e32 v96, 1, v89
	v_or_b32_e32 v95, 3, v89
	v_or_b32_e32 v97, 2, v89
	;; [unrolled: 1-line block ×6, first 2 shown]
	s_wait_loadcnt 0x0
	s_wait_alu 0xfffe
	v_mad_co_i64_i32 v[1:2], null, v1, s2, 0
	s_delay_alu instid0(VALU_DEP_1) | instskip(NEXT) | instid1(VALU_DEP_1)
	v_lshlrev_b64_e32 v[1:2], 1, v[1:2]
	v_add_co_u32 v17, vcc_lo, v87, v1
	s_wait_alu 0xfffd
	s_delay_alu instid0(VALU_DEP_2)
	v_add_co_ci_u32_e64 v18, null, v88, v2, vcc_lo
	v_cmp_eq_u32_e32 vcc_lo, s3, v69
	global_load_b128 v[1:4], v[17:18], off
	ds_load_2addr_b64 v[45:48], v90 offset1:1
	ds_load_2addr_b64 v[41:44], v90 offset0:2 offset1:3
	s_and_saveexec_b32 s6, vcc_lo
	s_cbranch_execnz .LBB184_43
; %bb.30:                               ;   in Loop: Header=BB184_29 Depth=1
	s_or_b32 exec_lo, exec_lo, s6
	global_load_b128 v[5:8], v[17:18], off offset:512
	s_and_saveexec_b32 s6, vcc_lo
	s_cbranch_execnz .LBB184_44
.LBB184_31:                             ;   in Loop: Header=BB184_29 Depth=1
	s_or_b32 exec_lo, exec_lo, s6
	global_load_b128 v[9:12], v[17:18], off offset:1024
	s_and_saveexec_b32 s6, vcc_lo
	s_cbranch_execnz .LBB184_45
.LBB184_32:                             ;   in Loop: Header=BB184_29 Depth=1
	s_or_b32 exec_lo, exec_lo, s6
	global_load_b128 v[13:16], v[17:18], off offset:1536
	s_and_saveexec_b32 s6, vcc_lo
	s_cbranch_execnz .LBB184_46
.LBB184_33:                             ;   in Loop: Header=BB184_29 Depth=1
	s_or_b32 exec_lo, exec_lo, s6
	global_load_b128 v[21:24], v[17:18], off offset:2048
	s_and_saveexec_b32 s6, vcc_lo
	s_cbranch_execnz .LBB184_47
.LBB184_34:                             ;   in Loop: Header=BB184_29 Depth=1
	s_or_b32 exec_lo, exec_lo, s6
	global_load_b128 v[25:28], v[17:18], off offset:2560
	s_and_saveexec_b32 s6, vcc_lo
	s_cbranch_execnz .LBB184_48
.LBB184_35:                             ;   in Loop: Header=BB184_29 Depth=1
	s_or_b32 exec_lo, exec_lo, s6
	global_load_b128 v[29:32], v[17:18], off offset:3072
	s_and_saveexec_b32 s6, vcc_lo
	s_cbranch_execnz .LBB184_49
.LBB184_36:                             ;   in Loop: Header=BB184_29 Depth=1
	s_or_b32 exec_lo, exec_lo, s6
	global_load_b128 v[33:36], v[17:18], off offset:3584
	s_and_saveexec_b32 s6, vcc_lo
	s_cbranch_execnz .LBB184_50
.LBB184_37:                             ;   in Loop: Header=BB184_29 Depth=1
	s_or_b32 exec_lo, exec_lo, s6
	global_load_b128 v[37:40], v[17:18], off offset:4096
	s_and_saveexec_b32 s6, vcc_lo
	s_cbranch_execnz .LBB184_51
.LBB184_38:                             ;   in Loop: Header=BB184_29 Depth=1
	s_or_b32 exec_lo, exec_lo, s6
	global_load_b128 v[49:52], v[17:18], off offset:4608
	s_and_saveexec_b32 s6, vcc_lo
	s_cbranch_execnz .LBB184_52
.LBB184_39:                             ;   in Loop: Header=BB184_29 Depth=1
	s_or_b32 exec_lo, exec_lo, s6
	global_load_b128 v[53:56], v[17:18], off offset:5120
	s_and_saveexec_b32 s6, vcc_lo
	s_cbranch_execnz .LBB184_53
.LBB184_40:                             ;   in Loop: Header=BB184_29 Depth=1
	s_or_b32 exec_lo, exec_lo, s6
	global_load_b128 v[57:60], v[17:18], off offset:5632
	s_and_saveexec_b32 s6, vcc_lo
	s_cbranch_execnz .LBB184_54
.LBB184_41:                             ;   in Loop: Header=BB184_29 Depth=1
	s_or_b32 exec_lo, exec_lo, s6
	global_load_b128 v[61:64], v[17:18], off offset:6144
	s_and_saveexec_b32 s6, vcc_lo
	s_cbranch_execnz .LBB184_55
.LBB184_42:                             ;   in Loop: Header=BB184_29 Depth=1
	s_or_b32 exec_lo, exec_lo, s6
	global_load_b128 v[17:20], v[17:18], off offset:6656
	s_and_saveexec_b32 s0, vcc_lo
	s_cbranch_execz .LBB184_28
	s_branch .LBB184_56
.LBB184_43:                             ;   in Loop: Header=BB184_29 Depth=1
	v_cmp_gt_i32_e64 s0, s25, v89
	s_wait_loadcnt 0x0
	v_lshrrev_b32_e32 v5, 16, v1
	v_lshrrev_b32_e32 v6, 16, v2
	;; [unrolled: 1-line block ×4, first 2 shown]
	s_wait_alu 0xf1ff
	v_cndmask_b32_e64 v1, 0, v1, s0
	v_cmp_gt_i32_e64 s0, s5, v96
	s_wait_alu 0xf1ff
	s_delay_alu instid0(VALU_DEP_1) | instskip(SKIP_1) | instid1(VALU_DEP_2)
	v_cndmask_b32_e64 v5, 0, v5, s0
	v_cmp_gt_i32_e64 s0, s25, v97
	v_perm_b32 v1, v5, v1, 0x5040100
	s_wait_alu 0xf1ff
	s_delay_alu instid0(VALU_DEP_2) | instskip(SKIP_2) | instid1(VALU_DEP_1)
	v_cndmask_b32_e64 v2, 0, v2, s0
	v_cmp_gt_i32_e64 s0, s5, v95
	s_wait_alu 0xf1ff
	v_cndmask_b32_e64 v6, 0, v6, s0
	v_cmp_gt_i32_e64 s0, s25, v94
	s_delay_alu instid0(VALU_DEP_2) | instskip(SKIP_1) | instid1(VALU_DEP_2)
	v_perm_b32 v2, v6, v2, 0x5040100
	s_wait_alu 0xf1ff
	v_cndmask_b32_e64 v3, 0, v3, s0
	v_cmp_gt_i32_e64 s0, s5, v92
	s_wait_alu 0xf1ff
	s_delay_alu instid0(VALU_DEP_1) | instskip(SKIP_1) | instid1(VALU_DEP_2)
	v_cndmask_b32_e64 v7, 0, v7, s0
	v_cmp_gt_i32_e64 s0, s25, v93
	v_perm_b32 v3, v7, v3, 0x5040100
	s_wait_alu 0xf1ff
	s_delay_alu instid0(VALU_DEP_2) | instskip(SKIP_2) | instid1(VALU_DEP_1)
	v_cndmask_b32_e64 v4, 0, v4, s0
	v_cmp_gt_i32_e64 s0, s5, v91
	s_wait_alu 0xf1ff
	v_cndmask_b32_e64 v8, 0, v8, s0
	s_delay_alu instid0(VALU_DEP_1)
	v_perm_b32 v4, v8, v4, 0x5040100
	s_or_b32 exec_lo, exec_lo, s6
	global_load_b128 v[5:8], v[17:18], off offset:512
	s_and_saveexec_b32 s6, vcc_lo
	s_cbranch_execz .LBB184_31
.LBB184_44:                             ;   in Loop: Header=BB184_29 Depth=1
	v_cmp_gt_i32_e64 s0, s25, v89
	s_wait_loadcnt 0x0
	v_lshrrev_b32_e32 v9, 16, v5
	v_lshrrev_b32_e32 v10, 16, v6
	;; [unrolled: 1-line block ×4, first 2 shown]
	s_wait_alu 0xf1ff
	v_cndmask_b32_e64 v5, 0, v5, s0
	v_cmp_gt_i32_e64 s0, s5, v96
	s_wait_alu 0xf1ff
	s_delay_alu instid0(VALU_DEP_1) | instskip(SKIP_1) | instid1(VALU_DEP_2)
	v_cndmask_b32_e64 v9, 0, v9, s0
	v_cmp_gt_i32_e64 s0, s25, v97
	v_perm_b32 v5, v9, v5, 0x5040100
	s_wait_alu 0xf1ff
	s_delay_alu instid0(VALU_DEP_2) | instskip(SKIP_2) | instid1(VALU_DEP_1)
	v_cndmask_b32_e64 v6, 0, v6, s0
	v_cmp_gt_i32_e64 s0, s5, v95
	s_wait_alu 0xf1ff
	v_cndmask_b32_e64 v10, 0, v10, s0
	v_cmp_gt_i32_e64 s0, s25, v94
	s_delay_alu instid0(VALU_DEP_2) | instskip(SKIP_1) | instid1(VALU_DEP_2)
	v_perm_b32 v6, v10, v6, 0x5040100
	s_wait_alu 0xf1ff
	v_cndmask_b32_e64 v7, 0, v7, s0
	v_cmp_gt_i32_e64 s0, s5, v92
	s_wait_alu 0xf1ff
	s_delay_alu instid0(VALU_DEP_1) | instskip(SKIP_1) | instid1(VALU_DEP_2)
	v_cndmask_b32_e64 v11, 0, v11, s0
	v_cmp_gt_i32_e64 s0, s25, v93
	v_perm_b32 v7, v11, v7, 0x5040100
	s_wait_alu 0xf1ff
	s_delay_alu instid0(VALU_DEP_2) | instskip(SKIP_2) | instid1(VALU_DEP_1)
	v_cndmask_b32_e64 v8, 0, v8, s0
	v_cmp_gt_i32_e64 s0, s5, v91
	s_wait_alu 0xf1ff
	v_cndmask_b32_e64 v12, 0, v12, s0
	s_delay_alu instid0(VALU_DEP_1)
	v_perm_b32 v8, v12, v8, 0x5040100
	s_or_b32 exec_lo, exec_lo, s6
	global_load_b128 v[9:12], v[17:18], off offset:1024
	s_and_saveexec_b32 s6, vcc_lo
	s_cbranch_execz .LBB184_32
.LBB184_45:                             ;   in Loop: Header=BB184_29 Depth=1
	v_cmp_gt_i32_e64 s0, s25, v89
	s_wait_loadcnt 0x0
	v_lshrrev_b32_e32 v13, 16, v9
	v_lshrrev_b32_e32 v14, 16, v10
	;; [unrolled: 1-line block ×4, first 2 shown]
	s_wait_alu 0xf1ff
	v_cndmask_b32_e64 v9, 0, v9, s0
	v_cmp_gt_i32_e64 s0, s5, v96
	s_wait_alu 0xf1ff
	s_delay_alu instid0(VALU_DEP_1) | instskip(SKIP_1) | instid1(VALU_DEP_2)
	v_cndmask_b32_e64 v13, 0, v13, s0
	v_cmp_gt_i32_e64 s0, s25, v97
	v_perm_b32 v9, v13, v9, 0x5040100
	s_wait_alu 0xf1ff
	s_delay_alu instid0(VALU_DEP_2) | instskip(SKIP_2) | instid1(VALU_DEP_1)
	v_cndmask_b32_e64 v10, 0, v10, s0
	v_cmp_gt_i32_e64 s0, s5, v95
	s_wait_alu 0xf1ff
	v_cndmask_b32_e64 v14, 0, v14, s0
	v_cmp_gt_i32_e64 s0, s25, v94
	s_delay_alu instid0(VALU_DEP_2) | instskip(SKIP_1) | instid1(VALU_DEP_2)
	v_perm_b32 v10, v14, v10, 0x5040100
	s_wait_alu 0xf1ff
	v_cndmask_b32_e64 v11, 0, v11, s0
	v_cmp_gt_i32_e64 s0, s5, v92
	s_wait_alu 0xf1ff
	s_delay_alu instid0(VALU_DEP_1) | instskip(SKIP_1) | instid1(VALU_DEP_2)
	v_cndmask_b32_e64 v15, 0, v15, s0
	v_cmp_gt_i32_e64 s0, s25, v93
	v_perm_b32 v11, v15, v11, 0x5040100
	s_wait_alu 0xf1ff
	s_delay_alu instid0(VALU_DEP_2) | instskip(SKIP_2) | instid1(VALU_DEP_1)
	v_cndmask_b32_e64 v12, 0, v12, s0
	v_cmp_gt_i32_e64 s0, s5, v91
	s_wait_alu 0xf1ff
	v_cndmask_b32_e64 v16, 0, v16, s0
	s_delay_alu instid0(VALU_DEP_1)
	v_perm_b32 v12, v16, v12, 0x5040100
	s_or_b32 exec_lo, exec_lo, s6
	global_load_b128 v[13:16], v[17:18], off offset:1536
	s_and_saveexec_b32 s6, vcc_lo
	s_cbranch_execz .LBB184_33
.LBB184_46:                             ;   in Loop: Header=BB184_29 Depth=1
	v_cmp_gt_i32_e64 s0, s25, v89
	s_wait_loadcnt 0x0
	v_lshrrev_b32_e32 v19, 16, v13
	v_lshrrev_b32_e32 v20, 16, v14
	;; [unrolled: 1-line block ×4, first 2 shown]
	s_wait_alu 0xf1ff
	v_cndmask_b32_e64 v13, 0, v13, s0
	v_cmp_gt_i32_e64 s0, s5, v96
	s_wait_alu 0xf1ff
	s_delay_alu instid0(VALU_DEP_1) | instskip(SKIP_1) | instid1(VALU_DEP_2)
	v_cndmask_b32_e64 v19, 0, v19, s0
	v_cmp_gt_i32_e64 s0, s25, v97
	v_perm_b32 v13, v19, v13, 0x5040100
	s_wait_alu 0xf1ff
	s_delay_alu instid0(VALU_DEP_2) | instskip(SKIP_2) | instid1(VALU_DEP_1)
	v_cndmask_b32_e64 v14, 0, v14, s0
	v_cmp_gt_i32_e64 s0, s5, v95
	s_wait_alu 0xf1ff
	v_cndmask_b32_e64 v20, 0, v20, s0
	v_cmp_gt_i32_e64 s0, s25, v94
	s_delay_alu instid0(VALU_DEP_2) | instskip(SKIP_1) | instid1(VALU_DEP_2)
	v_perm_b32 v14, v20, v14, 0x5040100
	s_wait_alu 0xf1ff
	v_cndmask_b32_e64 v15, 0, v15, s0
	v_cmp_gt_i32_e64 s0, s5, v92
	s_wait_alu 0xf1ff
	s_delay_alu instid0(VALU_DEP_1) | instskip(SKIP_1) | instid1(VALU_DEP_2)
	v_cndmask_b32_e64 v21, 0, v21, s0
	v_cmp_gt_i32_e64 s0, s25, v93
	v_perm_b32 v15, v21, v15, 0x5040100
	s_wait_alu 0xf1ff
	s_delay_alu instid0(VALU_DEP_2) | instskip(SKIP_2) | instid1(VALU_DEP_1)
	v_cndmask_b32_e64 v16, 0, v16, s0
	v_cmp_gt_i32_e64 s0, s5, v91
	s_wait_alu 0xf1ff
	v_cndmask_b32_e64 v22, 0, v22, s0
	s_delay_alu instid0(VALU_DEP_1)
	v_perm_b32 v16, v22, v16, 0x5040100
	s_or_b32 exec_lo, exec_lo, s6
	global_load_b128 v[21:24], v[17:18], off offset:2048
	s_and_saveexec_b32 s6, vcc_lo
	s_cbranch_execz .LBB184_34
.LBB184_47:                             ;   in Loop: Header=BB184_29 Depth=1
	v_cmp_gt_i32_e64 s0, s25, v89
	s_wait_loadcnt 0x0
	v_lshrrev_b32_e32 v19, 16, v21
	v_lshrrev_b32_e32 v26, 16, v24
	s_wait_alu 0xf1ff
	v_cndmask_b32_e64 v20, 0, v21, s0
	v_cmp_gt_i32_e64 s0, s5, v96
	v_lshrrev_b32_e32 v21, 16, v22
	s_wait_alu 0xf1ff
	s_delay_alu instid0(VALU_DEP_2) | instskip(SKIP_2) | instid1(VALU_DEP_1)
	v_cndmask_b32_e64 v19, 0, v19, s0
	v_cmp_gt_i32_e64 s0, s25, v97
	s_wait_alu 0xf1ff
	v_cndmask_b32_e64 v22, 0, v22, s0
	v_cmp_gt_i32_e64 s0, s5, v95
	s_wait_alu 0xf1ff
	s_delay_alu instid0(VALU_DEP_1) | instskip(SKIP_2) | instid1(VALU_DEP_3)
	v_cndmask_b32_e64 v25, 0, v21, s0
	v_cmp_gt_i32_e64 s0, s25, v94
	v_lshrrev_b32_e32 v21, 16, v23
	v_perm_b32 v22, v25, v22, 0x5040100
	s_wait_alu 0xf1ff
	s_delay_alu instid0(VALU_DEP_3) | instskip(SKIP_2) | instid1(VALU_DEP_1)
	v_cndmask_b32_e64 v23, 0, v23, s0
	v_cmp_gt_i32_e64 s0, s5, v92
	s_wait_alu 0xf1ff
	v_cndmask_b32_e64 v27, 0, v21, s0
	v_cmp_gt_i32_e64 s0, s25, v93
	v_perm_b32 v21, v19, v20, 0x5040100
	s_delay_alu instid0(VALU_DEP_3) | instskip(SKIP_1) | instid1(VALU_DEP_3)
	v_perm_b32 v23, v27, v23, 0x5040100
	s_wait_alu 0xf1ff
	v_cndmask_b32_e64 v24, 0, v24, s0
	v_cmp_gt_i32_e64 s0, s5, v91
	s_wait_alu 0xf1ff
	s_delay_alu instid0(VALU_DEP_1) | instskip(NEXT) | instid1(VALU_DEP_1)
	v_cndmask_b32_e64 v26, 0, v26, s0
	v_perm_b32 v24, v26, v24, 0x5040100
	s_or_b32 exec_lo, exec_lo, s6
	global_load_b128 v[25:28], v[17:18], off offset:2560
	s_and_saveexec_b32 s6, vcc_lo
	s_cbranch_execz .LBB184_35
.LBB184_48:                             ;   in Loop: Header=BB184_29 Depth=1
	v_cmp_gt_i32_e64 s0, s25, v89
	s_wait_loadcnt 0x0
	v_lshrrev_b32_e32 v19, 16, v25
	v_lshrrev_b32_e32 v30, 16, v28
	s_wait_alu 0xf1ff
	v_cndmask_b32_e64 v20, 0, v25, s0
	v_cmp_gt_i32_e64 s0, s5, v96
	v_lshrrev_b32_e32 v25, 16, v26
	s_wait_alu 0xf1ff
	s_delay_alu instid0(VALU_DEP_2) | instskip(SKIP_2) | instid1(VALU_DEP_1)
	v_cndmask_b32_e64 v19, 0, v19, s0
	v_cmp_gt_i32_e64 s0, s25, v97
	s_wait_alu 0xf1ff
	v_cndmask_b32_e64 v26, 0, v26, s0
	v_cmp_gt_i32_e64 s0, s5, v95
	s_wait_alu 0xf1ff
	s_delay_alu instid0(VALU_DEP_1) | instskip(SKIP_2) | instid1(VALU_DEP_3)
	v_cndmask_b32_e64 v29, 0, v25, s0
	v_cmp_gt_i32_e64 s0, s25, v94
	v_lshrrev_b32_e32 v25, 16, v27
	v_perm_b32 v26, v29, v26, 0x5040100
	s_wait_alu 0xf1ff
	s_delay_alu instid0(VALU_DEP_3) | instskip(SKIP_2) | instid1(VALU_DEP_1)
	v_cndmask_b32_e64 v27, 0, v27, s0
	v_cmp_gt_i32_e64 s0, s5, v92
	s_wait_alu 0xf1ff
	v_cndmask_b32_e64 v31, 0, v25, s0
	v_cmp_gt_i32_e64 s0, s25, v93
	v_perm_b32 v25, v19, v20, 0x5040100
	s_delay_alu instid0(VALU_DEP_3) | instskip(SKIP_1) | instid1(VALU_DEP_3)
	v_perm_b32 v27, v31, v27, 0x5040100
	s_wait_alu 0xf1ff
	v_cndmask_b32_e64 v28, 0, v28, s0
	v_cmp_gt_i32_e64 s0, s5, v91
	s_wait_alu 0xf1ff
	s_delay_alu instid0(VALU_DEP_1) | instskip(NEXT) | instid1(VALU_DEP_1)
	v_cndmask_b32_e64 v30, 0, v30, s0
	v_perm_b32 v28, v30, v28, 0x5040100
	s_or_b32 exec_lo, exec_lo, s6
	global_load_b128 v[29:32], v[17:18], off offset:3072
	s_and_saveexec_b32 s6, vcc_lo
	s_cbranch_execz .LBB184_36
.LBB184_49:                             ;   in Loop: Header=BB184_29 Depth=1
	v_cmp_gt_i32_e64 s0, s25, v89
	s_wait_loadcnt 0x0
	v_lshrrev_b32_e32 v19, 16, v29
	v_lshrrev_b32_e32 v34, 16, v32
	s_wait_alu 0xf1ff
	v_cndmask_b32_e64 v20, 0, v29, s0
	v_cmp_gt_i32_e64 s0, s5, v96
	v_lshrrev_b32_e32 v29, 16, v30
	s_wait_alu 0xf1ff
	s_delay_alu instid0(VALU_DEP_2) | instskip(SKIP_2) | instid1(VALU_DEP_1)
	v_cndmask_b32_e64 v19, 0, v19, s0
	v_cmp_gt_i32_e64 s0, s25, v97
	s_wait_alu 0xf1ff
	v_cndmask_b32_e64 v30, 0, v30, s0
	v_cmp_gt_i32_e64 s0, s5, v95
	s_wait_alu 0xf1ff
	s_delay_alu instid0(VALU_DEP_1) | instskip(SKIP_2) | instid1(VALU_DEP_3)
	v_cndmask_b32_e64 v33, 0, v29, s0
	v_cmp_gt_i32_e64 s0, s25, v94
	v_lshrrev_b32_e32 v29, 16, v31
	v_perm_b32 v30, v33, v30, 0x5040100
	s_wait_alu 0xf1ff
	s_delay_alu instid0(VALU_DEP_3) | instskip(SKIP_2) | instid1(VALU_DEP_1)
	v_cndmask_b32_e64 v31, 0, v31, s0
	v_cmp_gt_i32_e64 s0, s5, v92
	s_wait_alu 0xf1ff
	v_cndmask_b32_e64 v35, 0, v29, s0
	v_cmp_gt_i32_e64 s0, s25, v93
	v_perm_b32 v29, v19, v20, 0x5040100
	s_delay_alu instid0(VALU_DEP_3) | instskip(SKIP_1) | instid1(VALU_DEP_3)
	v_perm_b32 v31, v35, v31, 0x5040100
	s_wait_alu 0xf1ff
	v_cndmask_b32_e64 v32, 0, v32, s0
	v_cmp_gt_i32_e64 s0, s5, v91
	s_wait_alu 0xf1ff
	s_delay_alu instid0(VALU_DEP_1) | instskip(NEXT) | instid1(VALU_DEP_1)
	v_cndmask_b32_e64 v34, 0, v34, s0
	v_perm_b32 v32, v34, v32, 0x5040100
	s_or_b32 exec_lo, exec_lo, s6
	global_load_b128 v[33:36], v[17:18], off offset:3584
	s_and_saveexec_b32 s6, vcc_lo
	s_cbranch_execz .LBB184_37
.LBB184_50:                             ;   in Loop: Header=BB184_29 Depth=1
	v_cmp_gt_i32_e64 s0, s25, v89
	s_wait_loadcnt 0x0
	v_lshrrev_b32_e32 v19, 16, v33
	v_lshrrev_b32_e32 v38, 16, v36
	s_wait_alu 0xf1ff
	v_cndmask_b32_e64 v20, 0, v33, s0
	v_cmp_gt_i32_e64 s0, s5, v96
	v_lshrrev_b32_e32 v33, 16, v34
	s_wait_alu 0xf1ff
	s_delay_alu instid0(VALU_DEP_2) | instskip(SKIP_2) | instid1(VALU_DEP_1)
	v_cndmask_b32_e64 v19, 0, v19, s0
	v_cmp_gt_i32_e64 s0, s25, v97
	s_wait_alu 0xf1ff
	v_cndmask_b32_e64 v34, 0, v34, s0
	v_cmp_gt_i32_e64 s0, s5, v95
	s_wait_alu 0xf1ff
	s_delay_alu instid0(VALU_DEP_1) | instskip(SKIP_2) | instid1(VALU_DEP_3)
	v_cndmask_b32_e64 v37, 0, v33, s0
	v_cmp_gt_i32_e64 s0, s25, v94
	v_lshrrev_b32_e32 v33, 16, v35
	v_perm_b32 v34, v37, v34, 0x5040100
	s_wait_alu 0xf1ff
	s_delay_alu instid0(VALU_DEP_3) | instskip(SKIP_2) | instid1(VALU_DEP_1)
	v_cndmask_b32_e64 v35, 0, v35, s0
	v_cmp_gt_i32_e64 s0, s5, v92
	s_wait_alu 0xf1ff
	v_cndmask_b32_e64 v39, 0, v33, s0
	v_cmp_gt_i32_e64 s0, s25, v93
	v_perm_b32 v33, v19, v20, 0x5040100
	s_delay_alu instid0(VALU_DEP_3) | instskip(SKIP_1) | instid1(VALU_DEP_3)
	v_perm_b32 v35, v39, v35, 0x5040100
	s_wait_alu 0xf1ff
	v_cndmask_b32_e64 v36, 0, v36, s0
	v_cmp_gt_i32_e64 s0, s5, v91
	s_wait_alu 0xf1ff
	s_delay_alu instid0(VALU_DEP_1) | instskip(NEXT) | instid1(VALU_DEP_1)
	v_cndmask_b32_e64 v38, 0, v38, s0
	v_perm_b32 v36, v38, v36, 0x5040100
	s_or_b32 exec_lo, exec_lo, s6
	global_load_b128 v[37:40], v[17:18], off offset:4096
	s_and_saveexec_b32 s6, vcc_lo
	s_cbranch_execz .LBB184_38
.LBB184_51:                             ;   in Loop: Header=BB184_29 Depth=1
	v_cmp_gt_i32_e64 s0, s25, v89
	s_wait_loadcnt 0x0
	v_lshrrev_b32_e32 v19, 16, v37
	v_lshrrev_b32_e32 v50, 16, v40
	s_wait_alu 0xf1ff
	v_cndmask_b32_e64 v20, 0, v37, s0
	v_cmp_gt_i32_e64 s0, s5, v96
	v_lshrrev_b32_e32 v37, 16, v38
	s_wait_alu 0xf1ff
	s_delay_alu instid0(VALU_DEP_2) | instskip(SKIP_2) | instid1(VALU_DEP_1)
	v_cndmask_b32_e64 v19, 0, v19, s0
	v_cmp_gt_i32_e64 s0, s25, v97
	s_wait_alu 0xf1ff
	v_cndmask_b32_e64 v38, 0, v38, s0
	v_cmp_gt_i32_e64 s0, s5, v95
	s_wait_alu 0xf1ff
	s_delay_alu instid0(VALU_DEP_1) | instskip(SKIP_2) | instid1(VALU_DEP_3)
	v_cndmask_b32_e64 v49, 0, v37, s0
	v_cmp_gt_i32_e64 s0, s25, v94
	v_lshrrev_b32_e32 v37, 16, v39
	v_perm_b32 v38, v49, v38, 0x5040100
	s_wait_alu 0xf1ff
	s_delay_alu instid0(VALU_DEP_3) | instskip(SKIP_2) | instid1(VALU_DEP_1)
	v_cndmask_b32_e64 v39, 0, v39, s0
	v_cmp_gt_i32_e64 s0, s5, v92
	s_wait_alu 0xf1ff
	v_cndmask_b32_e64 v51, 0, v37, s0
	v_cmp_gt_i32_e64 s0, s25, v93
	v_perm_b32 v37, v19, v20, 0x5040100
	s_delay_alu instid0(VALU_DEP_3) | instskip(SKIP_1) | instid1(VALU_DEP_3)
	v_perm_b32 v39, v51, v39, 0x5040100
	s_wait_alu 0xf1ff
	v_cndmask_b32_e64 v40, 0, v40, s0
	v_cmp_gt_i32_e64 s0, s5, v91
	s_wait_alu 0xf1ff
	s_delay_alu instid0(VALU_DEP_1) | instskip(NEXT) | instid1(VALU_DEP_1)
	v_cndmask_b32_e64 v50, 0, v50, s0
	v_perm_b32 v40, v50, v40, 0x5040100
	s_or_b32 exec_lo, exec_lo, s6
	global_load_b128 v[49:52], v[17:18], off offset:4608
	s_and_saveexec_b32 s6, vcc_lo
	s_cbranch_execz .LBB184_39
.LBB184_52:                             ;   in Loop: Header=BB184_29 Depth=1
	v_cmp_gt_i32_e64 s0, s25, v89
	s_wait_loadcnt 0x0
	v_lshrrev_b32_e32 v19, 16, v49
	v_lshrrev_b32_e32 v54, 16, v52
	s_wait_alu 0xf1ff
	v_cndmask_b32_e64 v20, 0, v49, s0
	v_cmp_gt_i32_e64 s0, s5, v96
	v_lshrrev_b32_e32 v49, 16, v50
	s_wait_alu 0xf1ff
	s_delay_alu instid0(VALU_DEP_2) | instskip(SKIP_2) | instid1(VALU_DEP_1)
	v_cndmask_b32_e64 v19, 0, v19, s0
	v_cmp_gt_i32_e64 s0, s25, v97
	s_wait_alu 0xf1ff
	v_cndmask_b32_e64 v50, 0, v50, s0
	v_cmp_gt_i32_e64 s0, s5, v95
	s_wait_alu 0xf1ff
	s_delay_alu instid0(VALU_DEP_1) | instskip(SKIP_2) | instid1(VALU_DEP_3)
	v_cndmask_b32_e64 v53, 0, v49, s0
	v_cmp_gt_i32_e64 s0, s25, v94
	v_lshrrev_b32_e32 v49, 16, v51
	v_perm_b32 v50, v53, v50, 0x5040100
	s_wait_alu 0xf1ff
	s_delay_alu instid0(VALU_DEP_3) | instskip(SKIP_2) | instid1(VALU_DEP_1)
	v_cndmask_b32_e64 v51, 0, v51, s0
	v_cmp_gt_i32_e64 s0, s5, v92
	s_wait_alu 0xf1ff
	v_cndmask_b32_e64 v55, 0, v49, s0
	v_cmp_gt_i32_e64 s0, s25, v93
	v_perm_b32 v49, v19, v20, 0x5040100
	s_delay_alu instid0(VALU_DEP_3) | instskip(SKIP_1) | instid1(VALU_DEP_3)
	v_perm_b32 v51, v55, v51, 0x5040100
	s_wait_alu 0xf1ff
	v_cndmask_b32_e64 v52, 0, v52, s0
	v_cmp_gt_i32_e64 s0, s5, v91
	s_wait_alu 0xf1ff
	s_delay_alu instid0(VALU_DEP_1) | instskip(NEXT) | instid1(VALU_DEP_1)
	v_cndmask_b32_e64 v54, 0, v54, s0
	v_perm_b32 v52, v54, v52, 0x5040100
	s_or_b32 exec_lo, exec_lo, s6
	global_load_b128 v[53:56], v[17:18], off offset:5120
	s_and_saveexec_b32 s6, vcc_lo
	s_cbranch_execz .LBB184_40
.LBB184_53:                             ;   in Loop: Header=BB184_29 Depth=1
	v_cmp_gt_i32_e64 s0, s25, v89
	s_wait_loadcnt 0x0
	v_lshrrev_b32_e32 v19, 16, v53
	v_lshrrev_b32_e32 v58, 16, v56
	s_wait_alu 0xf1ff
	v_cndmask_b32_e64 v20, 0, v53, s0
	v_cmp_gt_i32_e64 s0, s5, v96
	v_lshrrev_b32_e32 v53, 16, v54
	s_wait_alu 0xf1ff
	s_delay_alu instid0(VALU_DEP_2) | instskip(SKIP_2) | instid1(VALU_DEP_1)
	v_cndmask_b32_e64 v19, 0, v19, s0
	v_cmp_gt_i32_e64 s0, s25, v97
	s_wait_alu 0xf1ff
	v_cndmask_b32_e64 v54, 0, v54, s0
	v_cmp_gt_i32_e64 s0, s5, v95
	s_wait_alu 0xf1ff
	s_delay_alu instid0(VALU_DEP_1) | instskip(SKIP_2) | instid1(VALU_DEP_3)
	v_cndmask_b32_e64 v57, 0, v53, s0
	v_cmp_gt_i32_e64 s0, s25, v94
	v_lshrrev_b32_e32 v53, 16, v55
	v_perm_b32 v54, v57, v54, 0x5040100
	s_wait_alu 0xf1ff
	s_delay_alu instid0(VALU_DEP_3) | instskip(SKIP_2) | instid1(VALU_DEP_1)
	v_cndmask_b32_e64 v55, 0, v55, s0
	v_cmp_gt_i32_e64 s0, s5, v92
	s_wait_alu 0xf1ff
	v_cndmask_b32_e64 v59, 0, v53, s0
	v_cmp_gt_i32_e64 s0, s25, v93
	v_perm_b32 v53, v19, v20, 0x5040100
	s_delay_alu instid0(VALU_DEP_3) | instskip(SKIP_1) | instid1(VALU_DEP_3)
	v_perm_b32 v55, v59, v55, 0x5040100
	s_wait_alu 0xf1ff
	v_cndmask_b32_e64 v56, 0, v56, s0
	v_cmp_gt_i32_e64 s0, s5, v91
	s_wait_alu 0xf1ff
	s_delay_alu instid0(VALU_DEP_1) | instskip(NEXT) | instid1(VALU_DEP_1)
	v_cndmask_b32_e64 v58, 0, v58, s0
	v_perm_b32 v56, v58, v56, 0x5040100
	s_or_b32 exec_lo, exec_lo, s6
	global_load_b128 v[57:60], v[17:18], off offset:5632
	s_and_saveexec_b32 s6, vcc_lo
	s_cbranch_execz .LBB184_41
.LBB184_54:                             ;   in Loop: Header=BB184_29 Depth=1
	v_cmp_gt_i32_e64 s0, s25, v89
	s_wait_loadcnt 0x0
	v_lshrrev_b32_e32 v19, 16, v57
	v_lshrrev_b32_e32 v62, 16, v60
	s_wait_alu 0xf1ff
	v_cndmask_b32_e64 v20, 0, v57, s0
	v_cmp_gt_i32_e64 s0, s5, v96
	v_lshrrev_b32_e32 v57, 16, v58
	s_wait_alu 0xf1ff
	s_delay_alu instid0(VALU_DEP_2) | instskip(SKIP_2) | instid1(VALU_DEP_1)
	v_cndmask_b32_e64 v19, 0, v19, s0
	v_cmp_gt_i32_e64 s0, s25, v97
	s_wait_alu 0xf1ff
	v_cndmask_b32_e64 v58, 0, v58, s0
	v_cmp_gt_i32_e64 s0, s5, v95
	s_wait_alu 0xf1ff
	s_delay_alu instid0(VALU_DEP_1) | instskip(SKIP_2) | instid1(VALU_DEP_3)
	v_cndmask_b32_e64 v61, 0, v57, s0
	v_cmp_gt_i32_e64 s0, s25, v94
	v_lshrrev_b32_e32 v57, 16, v59
	v_perm_b32 v58, v61, v58, 0x5040100
	s_wait_alu 0xf1ff
	s_delay_alu instid0(VALU_DEP_3) | instskip(SKIP_2) | instid1(VALU_DEP_1)
	v_cndmask_b32_e64 v59, 0, v59, s0
	v_cmp_gt_i32_e64 s0, s5, v92
	s_wait_alu 0xf1ff
	v_cndmask_b32_e64 v63, 0, v57, s0
	v_cmp_gt_i32_e64 s0, s25, v93
	v_perm_b32 v57, v19, v20, 0x5040100
	s_delay_alu instid0(VALU_DEP_3) | instskip(SKIP_1) | instid1(VALU_DEP_3)
	v_perm_b32 v59, v63, v59, 0x5040100
	s_wait_alu 0xf1ff
	v_cndmask_b32_e64 v60, 0, v60, s0
	v_cmp_gt_i32_e64 s0, s5, v91
	s_wait_alu 0xf1ff
	s_delay_alu instid0(VALU_DEP_1) | instskip(NEXT) | instid1(VALU_DEP_1)
	v_cndmask_b32_e64 v62, 0, v62, s0
	v_perm_b32 v60, v62, v60, 0x5040100
	s_or_b32 exec_lo, exec_lo, s6
	global_load_b128 v[61:64], v[17:18], off offset:6144
	s_and_saveexec_b32 s6, vcc_lo
	s_cbranch_execz .LBB184_42
.LBB184_55:                             ;   in Loop: Header=BB184_29 Depth=1
	v_cmp_gt_i32_e64 s0, s25, v89
	s_wait_loadcnt 0x0
	v_lshrrev_b32_e32 v19, 16, v61
	v_lshrrev_b32_e32 v99, 16, v64
	s_wait_alu 0xf1ff
	v_cndmask_b32_e64 v20, 0, v61, s0
	v_cmp_gt_i32_e64 s0, s5, v96
	v_lshrrev_b32_e32 v61, 16, v62
	s_wait_alu 0xf1ff
	s_delay_alu instid0(VALU_DEP_2) | instskip(SKIP_2) | instid1(VALU_DEP_1)
	v_cndmask_b32_e64 v19, 0, v19, s0
	v_cmp_gt_i32_e64 s0, s25, v97
	s_wait_alu 0xf1ff
	v_cndmask_b32_e64 v62, 0, v62, s0
	v_cmp_gt_i32_e64 s0, s5, v95
	s_wait_alu 0xf1ff
	s_delay_alu instid0(VALU_DEP_1) | instskip(SKIP_2) | instid1(VALU_DEP_3)
	v_cndmask_b32_e64 v98, 0, v61, s0
	v_cmp_gt_i32_e64 s0, s25, v94
	v_lshrrev_b32_e32 v61, 16, v63
	v_perm_b32 v62, v98, v62, 0x5040100
	s_wait_alu 0xf1ff
	s_delay_alu instid0(VALU_DEP_3) | instskip(SKIP_2) | instid1(VALU_DEP_1)
	v_cndmask_b32_e64 v63, 0, v63, s0
	v_cmp_gt_i32_e64 s0, s5, v92
	s_wait_alu 0xf1ff
	v_cndmask_b32_e64 v100, 0, v61, s0
	v_cmp_gt_i32_e64 s0, s25, v93
	v_perm_b32 v61, v19, v20, 0x5040100
	s_delay_alu instid0(VALU_DEP_3) | instskip(SKIP_1) | instid1(VALU_DEP_3)
	v_perm_b32 v63, v100, v63, 0x5040100
	s_wait_alu 0xf1ff
	v_cndmask_b32_e64 v64, 0, v64, s0
	v_cmp_gt_i32_e64 s0, s5, v91
	s_wait_alu 0xf1ff
	s_delay_alu instid0(VALU_DEP_1) | instskip(NEXT) | instid1(VALU_DEP_1)
	v_cndmask_b32_e64 v99, 0, v99, s0
	v_perm_b32 v64, v99, v64, 0x5040100
	s_or_b32 exec_lo, exec_lo, s6
	global_load_b128 v[17:20], v[17:18], off offset:6656
	s_and_saveexec_b32 s0, vcc_lo
	s_cbranch_execz .LBB184_28
.LBB184_56:                             ;   in Loop: Header=BB184_29 Depth=1
	v_cmp_gt_i32_e32 vcc_lo, s25, v89
	s_wait_loadcnt 0x0
	v_lshrrev_b32_e32 v98, 16, v17
	v_lshrrev_b32_e32 v99, 16, v18
	s_wait_alu 0xfffd
	v_cndmask_b32_e32 v17, 0, v17, vcc_lo
	v_cmp_gt_i32_e32 vcc_lo, s5, v96
	s_wait_alu 0xfffd
	v_cndmask_b32_e32 v96, 0, v98, vcc_lo
	v_cmp_gt_i32_e32 vcc_lo, s25, v97
	v_lshrrev_b32_e32 v97, 16, v19
	s_delay_alu instid0(VALU_DEP_3)
	v_perm_b32 v17, v96, v17, 0x5040100
	s_wait_alu 0xfffd
	v_cndmask_b32_e32 v18, 0, v18, vcc_lo
	v_cmp_gt_i32_e32 vcc_lo, s5, v95
	s_wait_alu 0xfffd
	v_cndmask_b32_e32 v95, 0, v99, vcc_lo
	v_cmp_gt_i32_e32 vcc_lo, s25, v94
	v_lshrrev_b32_e32 v94, 16, v20
	s_delay_alu instid0(VALU_DEP_3)
	v_perm_b32 v18, v95, v18, 0x5040100
	s_wait_alu 0xfffd
	v_cndmask_b32_e32 v19, 0, v19, vcc_lo
	v_cmp_gt_i32_e32 vcc_lo, s5, v92
	s_wait_alu 0xfffd
	v_cndmask_b32_e32 v92, 0, v97, vcc_lo
	v_cmp_gt_i32_e32 vcc_lo, s25, v93
	s_delay_alu instid0(VALU_DEP_2)
	v_perm_b32 v19, v92, v19, 0x5040100
	s_wait_alu 0xfffd
	v_cndmask_b32_e32 v20, 0, v20, vcc_lo
	v_cmp_gt_i32_e32 vcc_lo, s5, v91
	s_wait_alu 0xfffd
	v_cndmask_b32_e32 v91, 0, v94, vcc_lo
	s_delay_alu instid0(VALU_DEP_1)
	v_perm_b32 v20, v91, v20, 0x5040100
	s_branch .LBB184_28
.LBB184_57:
	s_or_b32 exec_lo, exec_lo, s4
.LBB184_58:
	s_wait_alu 0xfffe
	s_or_b32 exec_lo, exec_lo, s1
	ds_bpermute_b32 v1, v71, v84
	ds_bpermute_b32 v2, v71, v86
	;; [unrolled: 1-line block ×14, first 2 shown]
	s_mov_b32 s0, exec_lo
	s_wait_storecnt 0x0
	s_wait_loadcnt_dscnt 0x0
	s_barrier_signal -1
	s_barrier_wait -1
	global_inv scope:SCOPE_SE
	v_dual_add_f32 v1, v84, v1 :: v_dual_add_f32 v2, v86, v2
	v_add_f32_e32 v3, v85, v3
	v_dual_add_f32 v5, v82, v5 :: v_dual_add_f32 v6, v81, v6
	ds_bpermute_b32 v15, v70, v1
	v_add_f32_e32 v7, v80, v7
	v_dual_add_f32 v21, v78, v9 :: v_dual_add_f32 v4, v83, v4
	ds_bpermute_b32 v16, v70, v2
	ds_bpermute_b32 v17, v70, v3
	;; [unrolled: 1-line block ×3, first 2 shown]
	v_add_f32_e32 v20, v79, v8
	ds_bpermute_b32 v8, v70, v6
	ds_bpermute_b32 v22, v70, v7
	v_add_f32_e32 v31, v73, v14
	v_add_f32_e32 v23, v77, v10
	;; [unrolled: 1-line block ×4, first 2 shown]
	ds_bpermute_b32 v18, v70, v4
	ds_bpermute_b32 v24, v70, v20
	s_wait_dscnt 0x7
	v_add_f32_e32 v14, v1, v15
	ds_bpermute_b32 v26, v70, v21
	v_add_f32_e32 v29, v74, v13
	v_lshrrev_b32_e32 v15, 2, v68
	s_wait_dscnt 0x6
	v_add_f32_e32 v12, v3, v17
	ds_bpermute_b32 v28, v70, v23
	s_wait_dscnt 0x6
	v_add_f32_e32 v10, v5, v19
	ds_bpermute_b32 v32, v70, v27
	s_wait_dscnt 0x5
	v_dual_add_f32 v9, v6, v8 :: v_dual_add_f32 v8, v7, v22
	ds_bpermute_b32 v30, v70, v25
	v_add_f32_e32 v13, v2, v16
	v_and_b32_e32 v16, 28, v68
	ds_bpermute_b32 v34, v70, v31
	s_wait_dscnt 0x5
	v_add_f32_e32 v7, v20, v24
	v_mul_u32_u24_e32 v17, 0x1c0, v67
	v_add_nc_u32_e32 v16, 0x100, v16
	s_wait_dscnt 0x4
	v_add_f32_e32 v6, v21, v26
	ds_bpermute_b32 v33, v70, v29
	v_dual_add_f32 v11, v4, v18 :: v_dual_and_b32 v18, 0x3c3, v0
	s_wait_dscnt 0x4
	v_add_f32_e32 v5, v23, v28
	s_wait_dscnt 0x2
	v_dual_add_f32 v1, v27, v32 :: v_dual_add_f32 v4, v25, v30
	s_wait_dscnt 0x0
	v_dual_add_f32 v3, v31, v34 :: v_dual_add_f32 v2, v29, v33
	v_cmpx_eq_u32_e32 64, v18
	s_cbranch_execz .LBB184_60
; %bb.59:
	v_add_nc_u32_e32 v18, v16, v17
	s_delay_alu instid0(VALU_DEP_1)
	v_add_nc_u32_e32 v19, 0xfffffc80, v18
	v_add_nc_u32_e32 v20, 0xfffffca0, v18
	;; [unrolled: 1-line block ×8, first 2 shown]
	ds_store_b32 v19, v14
	ds_store_b32 v20, v13
	;; [unrolled: 1-line block ×8, first 2 shown]
	v_add_nc_u32_e32 v19, 0xfffffd80, v18
	v_add_nc_u32_e32 v20, 0xfffffda0, v18
	;; [unrolled: 1-line block ×6, first 2 shown]
	ds_store_b32 v19, v6
	ds_store_b32 v20, v5
	;; [unrolled: 1-line block ×6, first 2 shown]
.LBB184_60:
	s_wait_alu 0xfffe
	s_or_b32 exec_lo, exec_lo, s0
	v_lshlrev_b32_e32 v15, 2, v15
	s_mov_b32 s1, exec_lo
	v_cmp_eq_u32_e32 vcc_lo, 0, v72
	s_wait_loadcnt_dscnt 0x0
	s_barrier_signal -1
	v_add3_u32 v15, 0x100, v17, v15
	s_barrier_wait -1
	global_inv scope:SCOPE_SE
	v_cmpx_gt_u32_e32 64, v0
	s_cbranch_execz .LBB184_77
; %bb.61:
	s_and_saveexec_b32 s0, vcc_lo
	s_cbranch_execnz .LBB184_99
; %bb.62:
	s_wait_alu 0xfffe
	s_or_b32 exec_lo, exec_lo, s0
	s_and_saveexec_b32 s0, vcc_lo
	s_cbranch_execnz .LBB184_100
.LBB184_63:
	s_wait_alu 0xfffe
	s_or_b32 exec_lo, exec_lo, s0
	s_and_saveexec_b32 s0, vcc_lo
	s_cbranch_execnz .LBB184_101
.LBB184_64:
	s_wait_alu 0xfffe
	s_or_b32 exec_lo, exec_lo, s0
	s_and_saveexec_b32 s0, vcc_lo
	s_cbranch_execnz .LBB184_102
.LBB184_65:
	s_wait_alu 0xfffe
	s_or_b32 exec_lo, exec_lo, s0
	s_and_saveexec_b32 s0, vcc_lo
	s_cbranch_execnz .LBB184_103
.LBB184_66:
	s_wait_alu 0xfffe
	s_or_b32 exec_lo, exec_lo, s0
	s_and_saveexec_b32 s0, vcc_lo
	s_cbranch_execnz .LBB184_104
.LBB184_67:
	s_wait_alu 0xfffe
	s_or_b32 exec_lo, exec_lo, s0
	s_and_saveexec_b32 s0, vcc_lo
	s_cbranch_execnz .LBB184_105
.LBB184_68:
	s_wait_alu 0xfffe
	s_or_b32 exec_lo, exec_lo, s0
	s_and_saveexec_b32 s0, vcc_lo
	s_cbranch_execnz .LBB184_106
.LBB184_69:
	s_wait_alu 0xfffe
	s_or_b32 exec_lo, exec_lo, s0
	s_and_saveexec_b32 s0, vcc_lo
	s_cbranch_execnz .LBB184_107
.LBB184_70:
	s_wait_alu 0xfffe
	s_or_b32 exec_lo, exec_lo, s0
	s_and_saveexec_b32 s0, vcc_lo
	s_cbranch_execnz .LBB184_108
.LBB184_71:
	s_wait_alu 0xfffe
	s_or_b32 exec_lo, exec_lo, s0
	s_and_saveexec_b32 s0, vcc_lo
	s_cbranch_execnz .LBB184_109
.LBB184_72:
	s_wait_alu 0xfffe
	s_or_b32 exec_lo, exec_lo, s0
	s_and_saveexec_b32 s0, vcc_lo
	s_cbranch_execnz .LBB184_110
.LBB184_73:
	s_wait_alu 0xfffe
	s_or_b32 exec_lo, exec_lo, s0
	s_and_saveexec_b32 s0, vcc_lo
	s_cbranch_execnz .LBB184_111
.LBB184_74:
	s_wait_alu 0xfffe
	s_or_b32 exec_lo, exec_lo, s0
	s_and_saveexec_b32 s0, vcc_lo
	s_cbranch_execz .LBB184_76
.LBB184_75:
	ds_load_b32 v17, v15 offset:416
	s_wait_dscnt 0x0
	v_add_f32_e32 v3, v3, v17
.LBB184_76:
	s_wait_alu 0xfffe
	s_or_b32 exec_lo, exec_lo, s0
.LBB184_77:
	s_wait_alu 0xfffe
	s_or_b32 exec_lo, exec_lo, s1
	v_and_b32_e32 v17, 0x3e3, v0
	s_mov_b32 s1, exec_lo
	s_wait_loadcnt 0x0
	s_barrier_signal -1
	s_barrier_wait -1
	global_inv scope:SCOPE_SE
	v_cmpx_eq_u32_e32 32, v17
	s_cbranch_execz .LBB184_79
; %bb.78:
	ds_store_2addr_b32 v16, v14, v13 offset1:8
	ds_store_2addr_b32 v16, v12, v11 offset0:16 offset1:24
	ds_store_2addr_b32 v16, v10, v9 offset0:32 offset1:40
	;; [unrolled: 1-line block ×6, first 2 shown]
.LBB184_79:
	s_wait_alu 0xfffe
	s_or_b32 exec_lo, exec_lo, s1
	s_delay_alu instid0(SALU_CYCLE_1)
	s_mov_b32 s1, exec_lo
	s_wait_loadcnt_dscnt 0x0
	s_barrier_signal -1
	s_barrier_wait -1
	global_inv scope:SCOPE_SE
	v_cmpx_gt_u32_e32 32, v0
	s_cbranch_execz .LBB184_96
; %bb.80:
	s_and_saveexec_b32 s0, vcc_lo
	s_cbranch_execnz .LBB184_112
; %bb.81:
	s_wait_alu 0xfffe
	s_or_b32 exec_lo, exec_lo, s0
	s_and_saveexec_b32 s0, vcc_lo
	s_cbranch_execnz .LBB184_113
.LBB184_82:
	s_wait_alu 0xfffe
	s_or_b32 exec_lo, exec_lo, s0
	s_and_saveexec_b32 s0, vcc_lo
	s_cbranch_execnz .LBB184_114
.LBB184_83:
	s_wait_alu 0xfffe
	s_or_b32 exec_lo, exec_lo, s0
	s_and_saveexec_b32 s0, vcc_lo
	s_cbranch_execnz .LBB184_115
.LBB184_84:
	s_wait_alu 0xfffe
	s_or_b32 exec_lo, exec_lo, s0
	s_and_saveexec_b32 s0, vcc_lo
	s_cbranch_execnz .LBB184_116
.LBB184_85:
	s_wait_alu 0xfffe
	s_or_b32 exec_lo, exec_lo, s0
	s_and_saveexec_b32 s0, vcc_lo
	s_cbranch_execnz .LBB184_117
.LBB184_86:
	s_wait_alu 0xfffe
	s_or_b32 exec_lo, exec_lo, s0
	s_and_saveexec_b32 s0, vcc_lo
	s_cbranch_execnz .LBB184_118
.LBB184_87:
	s_wait_alu 0xfffe
	s_or_b32 exec_lo, exec_lo, s0
	s_and_saveexec_b32 s0, vcc_lo
	s_cbranch_execnz .LBB184_119
.LBB184_88:
	s_wait_alu 0xfffe
	s_or_b32 exec_lo, exec_lo, s0
	s_and_saveexec_b32 s0, vcc_lo
	s_cbranch_execnz .LBB184_120
.LBB184_89:
	s_wait_alu 0xfffe
	s_or_b32 exec_lo, exec_lo, s0
	s_and_saveexec_b32 s0, vcc_lo
	s_cbranch_execnz .LBB184_121
.LBB184_90:
	s_wait_alu 0xfffe
	s_or_b32 exec_lo, exec_lo, s0
	s_and_saveexec_b32 s0, vcc_lo
	s_cbranch_execnz .LBB184_122
.LBB184_91:
	s_wait_alu 0xfffe
	s_or_b32 exec_lo, exec_lo, s0
	s_and_saveexec_b32 s0, vcc_lo
	s_cbranch_execnz .LBB184_123
.LBB184_92:
	s_wait_alu 0xfffe
	s_or_b32 exec_lo, exec_lo, s0
	s_and_saveexec_b32 s0, vcc_lo
	s_cbranch_execnz .LBB184_124
.LBB184_93:
	s_wait_alu 0xfffe
	s_or_b32 exec_lo, exec_lo, s0
	s_and_saveexec_b32 s0, vcc_lo
	s_cbranch_execz .LBB184_95
.LBB184_94:
	ds_load_b32 v15, v15 offset:416
	s_wait_dscnt 0x0
	v_add_f32_e32 v3, v3, v15
.LBB184_95:
	s_wait_alu 0xfffe
	s_or_b32 exec_lo, exec_lo, s0
.LBB184_96:
	s_wait_alu 0xfffe
	s_or_b32 exec_lo, exec_lo, s1
	s_mov_b32 s1, 0
	s_wait_loadcnt 0x0
	s_barrier_signal -1
	s_barrier_wait -1
	global_inv scope:SCOPE_SE
	s_mov_b32 s0, exec_lo
	v_cmpx_eq_u32_e32 0, v17
	s_cbranch_execz .LBB184_98
; %bb.97:
	v_bfe_u32 v15, v14, 16, 1
	v_bfe_u32 v16, v13, 16, 1
	v_or_b32_e32 v17, 0x400000, v14
	v_cmp_u_f32_e32 vcc_lo, v14, v14
	v_or_b32_e32 v18, 0x400000, v13
	v_add3_u32 v15, v15, v14, 0x7fff
	v_add3_u32 v16, v16, v13, 0x7fff
	v_bfe_u32 v19, v12, 16, 1
	s_mul_i32 s2, s14, 0x70
	s_wait_kmcnt 0x0
	s_mul_i32 s4, s8, s12
	s_wait_alu 0xfffd
	v_cndmask_b32_e32 v14, v15, v17, vcc_lo
	v_cmp_u_f32_e32 vcc_lo, v13, v13
	v_bfe_u32 v15, v11, 16, 1
	v_or_b32_e32 v17, 0x400000, v12
	s_wait_alu 0xfffe
	s_ashr_i32 s3, s2, 31
	s_ashr_i32 s5, s4, 31
	s_wait_alu 0xfffd
	v_cndmask_b32_e32 v13, v16, v18, vcc_lo
	v_add3_u32 v16, v19, v12, 0x7fff
	v_cmp_u_f32_e32 vcc_lo, v12, v12
	v_bfe_u32 v18, v10, 16, 1
	v_add3_u32 v15, v15, v11, 0x7fff
	v_or_b32_e32 v19, 0x400000, v11
	s_wait_alu 0xfffe
	s_lshl_b64 s[2:3], s[2:3], 1
	s_wait_alu 0xfffd
	v_cndmask_b32_e32 v12, v16, v17, vcc_lo
	v_cmp_u_f32_e32 vcc_lo, v11, v11
	v_add3_u32 v16, v18, v10, 0x7fff
	v_or_b32_e32 v17, 0x400000, v10
	v_bfe_u32 v18, v8, 16, 1
	s_lshl_b64 s[4:5], s[4:5], 1
	s_wait_alu 0xfffd
	v_cndmask_b32_e32 v11, v15, v19, vcc_lo
	v_bfe_u32 v15, v9, 16, 1
	v_cmp_u_f32_e32 vcc_lo, v10, v10
	v_add3_u32 v18, v18, v8, 0x7fff
	v_or_b32_e32 v19, 0x400000, v8
	s_wait_alu 0xfffe
	s_add_nc_u64 s[2:3], s[10:11], s[2:3]
	v_add3_u32 v15, v15, v9, 0x7fff
	s_wait_alu 0xfffd
	v_cndmask_b32_e32 v10, v16, v17, vcc_lo
	v_or_b32_e32 v17, 0x400000, v9
	v_cmp_u_f32_e32 vcc_lo, v9, v9
	v_bfe_u32 v16, v7, 16, 1
	v_or_b32_e32 v20, 0x400000, v7
	v_lshrrev_b32_e32 v0, 1, v0
	s_wait_alu 0xfffe
	s_add_nc_u64 s[2:3], s[2:3], s[4:5]
	s_wait_alu 0xfffd
	v_cndmask_b32_e32 v9, v15, v17, vcc_lo
	v_cmp_u_f32_e32 vcc_lo, v8, v8
	v_add3_u32 v16, v16, v7, 0x7fff
	v_bfe_u32 v15, v6, 16, 1
	s_mul_i32 s0, s24, 0xe0
	s_wait_alu 0xfffd
	v_cndmask_b32_e32 v8, v18, v19, vcc_lo
	v_cmp_u_f32_e32 vcc_lo, v7, v7
	s_wait_alu 0xfffe
	s_add_nc_u64 s[0:1], s[2:3], s[0:1]
	s_wait_alu 0xfffd
	v_cndmask_b32_e32 v7, v16, v20, vcc_lo
	v_bfe_u32 v16, v5, 16, 1
	s_clause 0x7
	global_store_d16_hi_b16 v0, v14, s[0:1]
	global_store_d16_hi_b16 v0, v13, s[0:1] offset:16
	global_store_d16_hi_b16 v0, v12, s[0:1] offset:32
	;; [unrolled: 1-line block ×7, first 2 shown]
	v_add3_u32 v7, v15, v6, 0x7fff
	v_or_b32_e32 v8, 0x400000, v6
	v_cmp_u_f32_e32 vcc_lo, v6, v6
	v_bfe_u32 v9, v4, 16, 1
	v_add3_u32 v10, v16, v5, 0x7fff
	v_or_b32_e32 v11, 0x400000, v5
	v_or_b32_e32 v12, 0x400000, v3
	s_wait_alu 0xfffd
	v_cndmask_b32_e32 v6, v7, v8, vcc_lo
	v_cmp_u_f32_e32 vcc_lo, v5, v5
	v_add3_u32 v7, v9, v4, 0x7fff
	v_or_b32_e32 v8, 0x400000, v4
	v_bfe_u32 v9, v1, 16, 1
	s_wait_alu 0xfffd
	v_cndmask_b32_e32 v5, v10, v11, vcc_lo
	v_cmp_u_f32_e32 vcc_lo, v4, v4
	v_bfe_u32 v10, v2, 16, 1
	v_or_b32_e32 v11, 0x400000, v2
	s_wait_alu 0xfffd
	v_cndmask_b32_e32 v4, v7, v8, vcc_lo
	v_add3_u32 v8, v9, v1, 0x7fff
	v_or_b32_e32 v9, 0x400000, v1
	v_cmp_u_f32_e32 vcc_lo, v1, v1
	v_bfe_u32 v7, v3, 16, 1
	v_add3_u32 v10, v10, v2, 0x7fff
	s_wait_alu 0xfffd
	v_cndmask_b32_e32 v1, v8, v9, vcc_lo
	v_cmp_u_f32_e32 vcc_lo, v2, v2
	v_add3_u32 v7, v7, v3, 0x7fff
	s_wait_alu 0xfffd
	v_cndmask_b32_e32 v2, v10, v11, vcc_lo
	v_cmp_u_f32_e32 vcc_lo, v3, v3
	s_wait_alu 0xfffd
	v_cndmask_b32_e32 v3, v7, v12, vcc_lo
	s_clause 0x5
	global_store_d16_hi_b16 v0, v6, s[0:1] offset:128
	global_store_d16_hi_b16 v0, v5, s[0:1] offset:144
	;; [unrolled: 1-line block ×6, first 2 shown]
.LBB184_98:
	s_nop 0
	s_sendmsg sendmsg(MSG_DEALLOC_VGPRS)
	s_endpgm
.LBB184_99:
	ds_load_b32 v17, v15
	s_wait_dscnt 0x0
	v_add_f32_e32 v14, v14, v17
	s_wait_alu 0xfffe
	s_or_b32 exec_lo, exec_lo, s0
	s_and_saveexec_b32 s0, vcc_lo
	s_cbranch_execz .LBB184_63
.LBB184_100:
	ds_load_b32 v17, v15 offset:32
	s_wait_dscnt 0x0
	v_add_f32_e32 v13, v13, v17
	s_wait_alu 0xfffe
	s_or_b32 exec_lo, exec_lo, s0
	s_and_saveexec_b32 s0, vcc_lo
	s_cbranch_execz .LBB184_64
.LBB184_101:
	ds_load_b32 v17, v15 offset:64
	s_wait_dscnt 0x0
	v_add_f32_e32 v12, v12, v17
	s_wait_alu 0xfffe
	s_or_b32 exec_lo, exec_lo, s0
	s_and_saveexec_b32 s0, vcc_lo
	s_cbranch_execz .LBB184_65
.LBB184_102:
	ds_load_b32 v17, v15 offset:96
	s_wait_dscnt 0x0
	v_add_f32_e32 v11, v11, v17
	s_wait_alu 0xfffe
	s_or_b32 exec_lo, exec_lo, s0
	s_and_saveexec_b32 s0, vcc_lo
	s_cbranch_execz .LBB184_66
.LBB184_103:
	ds_load_b32 v17, v15 offset:128
	s_wait_dscnt 0x0
	v_add_f32_e32 v10, v10, v17
	s_wait_alu 0xfffe
	s_or_b32 exec_lo, exec_lo, s0
	s_and_saveexec_b32 s0, vcc_lo
	s_cbranch_execz .LBB184_67
.LBB184_104:
	ds_load_b32 v17, v15 offset:160
	s_wait_dscnt 0x0
	v_add_f32_e32 v9, v9, v17
	s_wait_alu 0xfffe
	s_or_b32 exec_lo, exec_lo, s0
	s_and_saveexec_b32 s0, vcc_lo
	s_cbranch_execz .LBB184_68
.LBB184_105:
	ds_load_b32 v17, v15 offset:192
	s_wait_dscnt 0x0
	v_add_f32_e32 v8, v8, v17
	s_wait_alu 0xfffe
	s_or_b32 exec_lo, exec_lo, s0
	s_and_saveexec_b32 s0, vcc_lo
	s_cbranch_execz .LBB184_69
.LBB184_106:
	ds_load_b32 v17, v15 offset:224
	s_wait_dscnt 0x0
	v_add_f32_e32 v7, v7, v17
	s_wait_alu 0xfffe
	s_or_b32 exec_lo, exec_lo, s0
	s_and_saveexec_b32 s0, vcc_lo
	s_cbranch_execz .LBB184_70
.LBB184_107:
	ds_load_b32 v17, v15 offset:256
	s_wait_dscnt 0x0
	v_add_f32_e32 v6, v6, v17
	s_wait_alu 0xfffe
	s_or_b32 exec_lo, exec_lo, s0
	s_and_saveexec_b32 s0, vcc_lo
	s_cbranch_execz .LBB184_71
.LBB184_108:
	ds_load_b32 v17, v15 offset:288
	s_wait_dscnt 0x0
	v_add_f32_e32 v5, v5, v17
	s_wait_alu 0xfffe
	s_or_b32 exec_lo, exec_lo, s0
	s_and_saveexec_b32 s0, vcc_lo
	s_cbranch_execz .LBB184_72
.LBB184_109:
	ds_load_b32 v17, v15 offset:320
	s_wait_dscnt 0x0
	v_add_f32_e32 v4, v4, v17
	s_wait_alu 0xfffe
	s_or_b32 exec_lo, exec_lo, s0
	s_and_saveexec_b32 s0, vcc_lo
	s_cbranch_execz .LBB184_73
.LBB184_110:
	ds_load_b32 v17, v15 offset:352
	s_wait_dscnt 0x0
	v_add_f32_e32 v1, v1, v17
	s_wait_alu 0xfffe
	s_or_b32 exec_lo, exec_lo, s0
	s_and_saveexec_b32 s0, vcc_lo
	s_cbranch_execz .LBB184_74
.LBB184_111:
	ds_load_b32 v17, v15 offset:384
	s_wait_dscnt 0x0
	v_add_f32_e32 v2, v2, v17
	s_wait_alu 0xfffe
	s_or_b32 exec_lo, exec_lo, s0
	s_and_saveexec_b32 s0, vcc_lo
	s_cbranch_execnz .LBB184_75
	s_branch .LBB184_76
.LBB184_112:
	ds_load_b32 v16, v15
	s_wait_dscnt 0x0
	v_add_f32_e32 v14, v14, v16
	s_wait_alu 0xfffe
	s_or_b32 exec_lo, exec_lo, s0
	s_and_saveexec_b32 s0, vcc_lo
	s_cbranch_execz .LBB184_82
.LBB184_113:
	ds_load_b32 v16, v15 offset:32
	s_wait_dscnt 0x0
	v_add_f32_e32 v13, v13, v16
	s_wait_alu 0xfffe
	s_or_b32 exec_lo, exec_lo, s0
	s_and_saveexec_b32 s0, vcc_lo
	s_cbranch_execz .LBB184_83
.LBB184_114:
	ds_load_b32 v16, v15 offset:64
	s_wait_dscnt 0x0
	v_add_f32_e32 v12, v12, v16
	s_wait_alu 0xfffe
	s_or_b32 exec_lo, exec_lo, s0
	s_and_saveexec_b32 s0, vcc_lo
	s_cbranch_execz .LBB184_84
.LBB184_115:
	ds_load_b32 v16, v15 offset:96
	s_wait_dscnt 0x0
	v_add_f32_e32 v11, v11, v16
	s_wait_alu 0xfffe
	s_or_b32 exec_lo, exec_lo, s0
	s_and_saveexec_b32 s0, vcc_lo
	s_cbranch_execz .LBB184_85
.LBB184_116:
	ds_load_b32 v16, v15 offset:128
	s_wait_dscnt 0x0
	v_add_f32_e32 v10, v10, v16
	s_wait_alu 0xfffe
	s_or_b32 exec_lo, exec_lo, s0
	s_and_saveexec_b32 s0, vcc_lo
	s_cbranch_execz .LBB184_86
.LBB184_117:
	ds_load_b32 v16, v15 offset:160
	s_wait_dscnt 0x0
	v_add_f32_e32 v9, v9, v16
	s_wait_alu 0xfffe
	s_or_b32 exec_lo, exec_lo, s0
	s_and_saveexec_b32 s0, vcc_lo
	s_cbranch_execz .LBB184_87
.LBB184_118:
	ds_load_b32 v16, v15 offset:192
	s_wait_dscnt 0x0
	v_add_f32_e32 v8, v8, v16
	s_wait_alu 0xfffe
	s_or_b32 exec_lo, exec_lo, s0
	s_and_saveexec_b32 s0, vcc_lo
	s_cbranch_execz .LBB184_88
.LBB184_119:
	ds_load_b32 v16, v15 offset:224
	s_wait_dscnt 0x0
	v_add_f32_e32 v7, v7, v16
	s_wait_alu 0xfffe
	s_or_b32 exec_lo, exec_lo, s0
	s_and_saveexec_b32 s0, vcc_lo
	s_cbranch_execz .LBB184_89
.LBB184_120:
	ds_load_b32 v16, v15 offset:256
	s_wait_dscnt 0x0
	v_add_f32_e32 v6, v6, v16
	s_wait_alu 0xfffe
	s_or_b32 exec_lo, exec_lo, s0
	s_and_saveexec_b32 s0, vcc_lo
	s_cbranch_execz .LBB184_90
.LBB184_121:
	ds_load_b32 v16, v15 offset:288
	s_wait_dscnt 0x0
	v_add_f32_e32 v5, v5, v16
	s_wait_alu 0xfffe
	s_or_b32 exec_lo, exec_lo, s0
	s_and_saveexec_b32 s0, vcc_lo
	s_cbranch_execz .LBB184_91
.LBB184_122:
	ds_load_b32 v16, v15 offset:320
	s_wait_dscnt 0x0
	v_add_f32_e32 v4, v4, v16
	s_wait_alu 0xfffe
	s_or_b32 exec_lo, exec_lo, s0
	s_and_saveexec_b32 s0, vcc_lo
	s_cbranch_execz .LBB184_92
.LBB184_123:
	ds_load_b32 v16, v15 offset:352
	s_wait_dscnt 0x0
	v_add_f32_e32 v1, v1, v16
	s_wait_alu 0xfffe
	s_or_b32 exec_lo, exec_lo, s0
	s_and_saveexec_b32 s0, vcc_lo
	s_cbranch_execz .LBB184_93
.LBB184_124:
	ds_load_b32 v16, v15 offset:384
	s_wait_dscnt 0x0
	v_add_f32_e32 v2, v2, v16
	s_wait_alu 0xfffe
	s_or_b32 exec_lo, exec_lo, s0
	s_and_saveexec_b32 s0, vcc_lo
	s_cbranch_execnz .LBB184_94
	s_branch .LBB184_95
	.section	.rodata,"a",@progbits
	.p2align	6, 0x0
	.amdhsa_kernel _ZN4vllm25paged_attention_v2_kernelI14__hip_bfloat16S1_Li112ELi32ELi128ELNS_18Fp8KVCacheDataTypeE0ELb0ELi512EEEvPfS3_PT_PKS4_PKT0_SA_ifPKiSC_iPKfiiiSE_SE_iiiii
		.amdhsa_group_segment_fixed_size 256
		.amdhsa_private_segment_fixed_size 0
		.amdhsa_kernarg_size 400
		.amdhsa_user_sgpr_count 2
		.amdhsa_user_sgpr_dispatch_ptr 0
		.amdhsa_user_sgpr_queue_ptr 0
		.amdhsa_user_sgpr_kernarg_segment_ptr 1
		.amdhsa_user_sgpr_dispatch_id 0
		.amdhsa_user_sgpr_private_segment_size 0
		.amdhsa_wavefront_size32 1
		.amdhsa_uses_dynamic_stack 0
		.amdhsa_enable_private_segment 0
		.amdhsa_system_sgpr_workgroup_id_x 1
		.amdhsa_system_sgpr_workgroup_id_y 1
		.amdhsa_system_sgpr_workgroup_id_z 1
		.amdhsa_system_sgpr_workgroup_info 0
		.amdhsa_system_vgpr_workitem_id 0
		.amdhsa_next_free_vgpr 192
		.amdhsa_next_free_sgpr 32
		.amdhsa_reserve_vcc 1
		.amdhsa_float_round_mode_32 0
		.amdhsa_float_round_mode_16_64 0
		.amdhsa_float_denorm_mode_32 3
		.amdhsa_float_denorm_mode_16_64 3
		.amdhsa_fp16_overflow 0
		.amdhsa_workgroup_processor_mode 1
		.amdhsa_memory_ordered 1
		.amdhsa_forward_progress 1
		.amdhsa_inst_pref_size 156
		.amdhsa_round_robin_scheduling 0
		.amdhsa_exception_fp_ieee_invalid_op 0
		.amdhsa_exception_fp_denorm_src 0
		.amdhsa_exception_fp_ieee_div_zero 0
		.amdhsa_exception_fp_ieee_overflow 0
		.amdhsa_exception_fp_ieee_underflow 0
		.amdhsa_exception_fp_ieee_inexact 0
		.amdhsa_exception_int_div_zero 0
	.end_amdhsa_kernel
	.section	.text._ZN4vllm25paged_attention_v2_kernelI14__hip_bfloat16S1_Li112ELi32ELi128ELNS_18Fp8KVCacheDataTypeE0ELb0ELi512EEEvPfS3_PT_PKS4_PKT0_SA_ifPKiSC_iPKfiiiSE_SE_iiiii,"axG",@progbits,_ZN4vllm25paged_attention_v2_kernelI14__hip_bfloat16S1_Li112ELi32ELi128ELNS_18Fp8KVCacheDataTypeE0ELb0ELi512EEEvPfS3_PT_PKS4_PKT0_SA_ifPKiSC_iPKfiiiSE_SE_iiiii,comdat
.Lfunc_end184:
	.size	_ZN4vllm25paged_attention_v2_kernelI14__hip_bfloat16S1_Li112ELi32ELi128ELNS_18Fp8KVCacheDataTypeE0ELb0ELi512EEEvPfS3_PT_PKS4_PKT0_SA_ifPKiSC_iPKfiiiSE_SE_iiiii, .Lfunc_end184-_ZN4vllm25paged_attention_v2_kernelI14__hip_bfloat16S1_Li112ELi32ELi128ELNS_18Fp8KVCacheDataTypeE0ELb0ELi512EEEvPfS3_PT_PKS4_PKT0_SA_ifPKiSC_iPKfiiiSE_SE_iiiii
                                        ; -- End function
	.set _ZN4vllm25paged_attention_v2_kernelI14__hip_bfloat16S1_Li112ELi32ELi128ELNS_18Fp8KVCacheDataTypeE0ELb0ELi512EEEvPfS3_PT_PKS4_PKT0_SA_ifPKiSC_iPKfiiiSE_SE_iiiii.num_vgpr, 192
	.set _ZN4vllm25paged_attention_v2_kernelI14__hip_bfloat16S1_Li112ELi32ELi128ELNS_18Fp8KVCacheDataTypeE0ELb0ELi512EEEvPfS3_PT_PKS4_PKT0_SA_ifPKiSC_iPKfiiiSE_SE_iiiii.num_agpr, 0
	.set _ZN4vllm25paged_attention_v2_kernelI14__hip_bfloat16S1_Li112ELi32ELi128ELNS_18Fp8KVCacheDataTypeE0ELb0ELi512EEEvPfS3_PT_PKS4_PKT0_SA_ifPKiSC_iPKfiiiSE_SE_iiiii.numbered_sgpr, 32
	.set _ZN4vllm25paged_attention_v2_kernelI14__hip_bfloat16S1_Li112ELi32ELi128ELNS_18Fp8KVCacheDataTypeE0ELb0ELi512EEEvPfS3_PT_PKS4_PKT0_SA_ifPKiSC_iPKfiiiSE_SE_iiiii.num_named_barrier, 0
	.set _ZN4vllm25paged_attention_v2_kernelI14__hip_bfloat16S1_Li112ELi32ELi128ELNS_18Fp8KVCacheDataTypeE0ELb0ELi512EEEvPfS3_PT_PKS4_PKT0_SA_ifPKiSC_iPKfiiiSE_SE_iiiii.private_seg_size, 0
	.set _ZN4vllm25paged_attention_v2_kernelI14__hip_bfloat16S1_Li112ELi32ELi128ELNS_18Fp8KVCacheDataTypeE0ELb0ELi512EEEvPfS3_PT_PKS4_PKT0_SA_ifPKiSC_iPKfiiiSE_SE_iiiii.uses_vcc, 1
	.set _ZN4vllm25paged_attention_v2_kernelI14__hip_bfloat16S1_Li112ELi32ELi128ELNS_18Fp8KVCacheDataTypeE0ELb0ELi512EEEvPfS3_PT_PKS4_PKT0_SA_ifPKiSC_iPKfiiiSE_SE_iiiii.uses_flat_scratch, 0
	.set _ZN4vllm25paged_attention_v2_kernelI14__hip_bfloat16S1_Li112ELi32ELi128ELNS_18Fp8KVCacheDataTypeE0ELb0ELi512EEEvPfS3_PT_PKS4_PKT0_SA_ifPKiSC_iPKfiiiSE_SE_iiiii.has_dyn_sized_stack, 0
	.set _ZN4vllm25paged_attention_v2_kernelI14__hip_bfloat16S1_Li112ELi32ELi128ELNS_18Fp8KVCacheDataTypeE0ELb0ELi512EEEvPfS3_PT_PKS4_PKT0_SA_ifPKiSC_iPKfiiiSE_SE_iiiii.has_recursion, 0
	.set _ZN4vllm25paged_attention_v2_kernelI14__hip_bfloat16S1_Li112ELi32ELi128ELNS_18Fp8KVCacheDataTypeE0ELb0ELi512EEEvPfS3_PT_PKS4_PKT0_SA_ifPKiSC_iPKfiiiSE_SE_iiiii.has_indirect_call, 0
	.section	.AMDGPU.csdata,"",@progbits
; Kernel info:
; codeLenInByte = 19928
; TotalNumSgprs: 34
; NumVgprs: 192
; ScratchSize: 0
; MemoryBound: 0
; FloatMode: 240
; IeeeMode: 1
; LDSByteSize: 256 bytes/workgroup (compile time only)
; SGPRBlocks: 0
; VGPRBlocks: 23
; NumSGPRsForWavesPerEU: 34
; NumVGPRsForWavesPerEU: 192
; Occupancy: 8
; WaveLimiterHint : 1
; COMPUTE_PGM_RSRC2:SCRATCH_EN: 0
; COMPUTE_PGM_RSRC2:USER_SGPR: 2
; COMPUTE_PGM_RSRC2:TRAP_HANDLER: 0
; COMPUTE_PGM_RSRC2:TGID_X_EN: 1
; COMPUTE_PGM_RSRC2:TGID_Y_EN: 1
; COMPUTE_PGM_RSRC2:TGID_Z_EN: 1
; COMPUTE_PGM_RSRC2:TIDIG_COMP_CNT: 0
	.section	.text._ZN4vllm25paged_attention_v2_kernelI14__hip_bfloat16S1_Li120ELi32ELi128ELNS_18Fp8KVCacheDataTypeE0ELb0ELi512EEEvPfS3_PT_PKS4_PKT0_SA_ifPKiSC_iPKfiiiSE_SE_iiiii,"axG",@progbits,_ZN4vllm25paged_attention_v2_kernelI14__hip_bfloat16S1_Li120ELi32ELi128ELNS_18Fp8KVCacheDataTypeE0ELb0ELi512EEEvPfS3_PT_PKS4_PKT0_SA_ifPKiSC_iPKfiiiSE_SE_iiiii,comdat
	.protected	_ZN4vllm25paged_attention_v2_kernelI14__hip_bfloat16S1_Li120ELi32ELi128ELNS_18Fp8KVCacheDataTypeE0ELb0ELi512EEEvPfS3_PT_PKS4_PKT0_SA_ifPKiSC_iPKfiiiSE_SE_iiiii ; -- Begin function _ZN4vllm25paged_attention_v2_kernelI14__hip_bfloat16S1_Li120ELi32ELi128ELNS_18Fp8KVCacheDataTypeE0ELb0ELi512EEEvPfS3_PT_PKS4_PKT0_SA_ifPKiSC_iPKfiiiSE_SE_iiiii
	.globl	_ZN4vllm25paged_attention_v2_kernelI14__hip_bfloat16S1_Li120ELi32ELi128ELNS_18Fp8KVCacheDataTypeE0ELb0ELi512EEEvPfS3_PT_PKS4_PKT0_SA_ifPKiSC_iPKfiiiSE_SE_iiiii
	.p2align	8
	.type	_ZN4vllm25paged_attention_v2_kernelI14__hip_bfloat16S1_Li120ELi32ELi128ELNS_18Fp8KVCacheDataTypeE0ELb0ELi512EEEvPfS3_PT_PKS4_PKT0_SA_ifPKiSC_iPKfiiiSE_SE_iiiii,@function
_ZN4vllm25paged_attention_v2_kernelI14__hip_bfloat16S1_Li120ELi32ELi128ELNS_18Fp8KVCacheDataTypeE0ELb0ELi512EEEvPfS3_PT_PKS4_PKT0_SA_ifPKiSC_iPKfiiiSE_SE_iiiii: ; @_ZN4vllm25paged_attention_v2_kernelI14__hip_bfloat16S1_Li120ELi32ELi128ELNS_18Fp8KVCacheDataTypeE0ELb0ELi512EEEvPfS3_PT_PKS4_PKT0_SA_ifPKiSC_iPKfiiiSE_SE_iiiii
; %bb.0:
	s_load_b64 s[2:3], s[0:1], 0x40
	s_and_b32 s14, ttmp7, 0xffff
	s_lshr_b32 s24, ttmp7, 16
	s_lshl_b32 s4, s14, 2
	s_lshl_b32 s26, s24, 9
	s_wait_kmcnt 0x0
	s_load_b32 s25, s[2:3], s4 offset:0x0
	s_wait_kmcnt 0x0
	s_cmp_ge_i32 s26, s25
	s_cbranch_scc1 .LBB185_102
; %bb.1:
	s_clause 0x1
	s_load_b32 s15, s[0:1], 0x90
	s_load_b64 s[4:5], s[0:1], 0x30
	v_mov_b32_e32 v103, v0
	s_wait_kmcnt 0x0
	s_abs_i32 s7, s15
	s_abs_i32 s2, s4
	s_xor_b32 s4, s15, s4
	s_cvt_f32_u32 s3, s2
	s_sub_co_i32 s6, 0, s2
	s_ashr_i32 s4, s4, 31
	s_delay_alu instid0(SALU_CYCLE_1) | instskip(NEXT) | instid1(TRANS32_DEP_1)
	v_rcp_iflag_f32_e32 v1, s3
	v_readfirstlane_b32 s3, v1
	s_mul_f32 s3, s3, 0x4f7ffffe
	s_wait_alu 0xfffe
	s_delay_alu instid0(SALU_CYCLE_2) | instskip(SKIP_1) | instid1(SALU_CYCLE_2)
	s_cvt_u32_f32 s3, s3
	s_wait_alu 0xfffe
	s_mul_i32 s6, s6, s3
	s_delay_alu instid0(SALU_CYCLE_1) | instskip(NEXT) | instid1(SALU_CYCLE_1)
	s_mul_hi_u32 s6, s3, s6
	s_add_co_i32 s3, s3, s6
	s_wait_alu 0xfffe
	s_mul_hi_u32 s3, s7, s3
	s_wait_alu 0xfffe
	s_mul_i32 s6, s3, s2
	s_delay_alu instid0(SALU_CYCLE_1)
	s_sub_co_i32 s6, s7, s6
	s_add_co_i32 s7, s3, 1
	s_sub_co_i32 s8, s6, s2
	s_cmp_ge_u32 s6, s2
	s_cselect_b32 s3, s7, s3
	s_cselect_b32 s6, s8, s6
	s_wait_alu 0xfffe
	s_add_co_i32 s7, s3, 1
	s_cmp_ge_u32 s6, s2
	s_load_b64 s[8:9], s[0:1], 0x50
	s_cselect_b32 s2, s7, s3
	s_mov_b32 s3, 0
	s_wait_alu 0xfffe
	s_xor_b32 s2, s2, s4
	s_mov_b32 s7, s3
	s_wait_alu 0xfffe
	s_sub_co_i32 s12, s2, s4
	s_delay_alu instid0(SALU_CYCLE_1) | instskip(NEXT) | instid1(SALU_CYCLE_1)
	s_abs_i32 s11, s12
	s_cvt_f32_u32 s2, s11
	s_wait_alu 0xfffe
	s_delay_alu instid0(SALU_CYCLE_2) | instskip(NEXT) | instid1(TRANS32_DEP_1)
	v_rcp_iflag_f32_e32 v1, s2
	v_readfirstlane_b32 s2, v1
	s_mul_f32 s2, s2, 0x4f7ffffe
	s_wait_alu 0xfffe
	s_delay_alu instid0(SALU_CYCLE_2) | instskip(SKIP_2) | instid1(SALU_CYCLE_1)
	s_cvt_u32_f32 s4, s2
	s_sub_co_i32 s2, 0, s11
	s_wait_alu 0xfffe
	s_mul_i32 s2, s2, s4
	s_wait_alu 0xfffe
	s_mul_hi_u32 s6, s4, s2
	s_abs_i32 s2, ttmp9
	s_add_co_i32 s6, s4, s6
	s_wait_kmcnt 0x0
	s_cmp_eq_u64 s[8:9], 0
	s_mov_b32 s4, s3
	s_cbranch_scc1 .LBB185_3
; %bb.2:
	s_mov_b32 s16, ttmp9
	s_ashr_i32 s17, ttmp9, 31
	s_delay_alu instid0(SALU_CYCLE_1) | instskip(NEXT) | instid1(SALU_CYCLE_1)
	s_lshl_b64 s[16:17], s[16:17], 2
	s_add_nc_u64 s[8:9], s[8:9], s[16:17]
	s_load_b32 s4, s[8:9], 0x0
.LBB185_3:
	s_load_b96 s[8:10], s[0:1], 0x58
	v_lshlrev_b32_e32 v10, 4, v103
	s_mul_u64 s[6:7], s[2:3], s[6:7]
	s_ashr_i32 s3, ttmp9, 31
	s_ashr_i32 s6, s12, 31
	s_mul_i32 s12, ttmp9, 0x78
	s_mov_b32 s16, exec_lo
	v_cmpx_gt_u32_e32 15, v103
	s_cbranch_execz .LBB185_5
; %bb.4:
	s_load_b64 s[18:19], s[0:1], 0x18
	s_wait_kmcnt 0x0
	s_mul_i32 s20, s8, s14
	s_ashr_i32 s13, s12, 31
	s_ashr_i32 s21, s20, 31
	s_delay_alu instid0(SALU_CYCLE_1) | instskip(NEXT) | instid1(SALU_CYCLE_1)
	s_lshl_b64 s[20:21], s[20:21], 1
	s_add_nc_u64 s[18:19], s[18:19], s[20:21]
	s_lshl_b64 s[20:21], s[12:13], 1
	s_delay_alu instid0(SALU_CYCLE_1)
	s_add_nc_u64 s[18:19], s[18:19], s[20:21]
	global_load_b128 v[1:4], v10, s[18:19]
	s_wait_loadcnt 0x0
	ds_store_b128 v10, v[1:4]
.LBB185_5:
	s_or_b32 exec_lo, exec_lo, s16
	s_wait_kmcnt 0x0
	s_add_co_i32 s8, s25, 31
	s_lshl_b32 s28, s24, 4
	s_ashr_i32 s13, s8, 31
	s_mul_i32 s19, s7, s11
	s_lshr_b32 s13, s13, 27
	s_sub_co_i32 s2, s2, s19
	s_add_co_i32 s8, s8, s13
	s_add_co_i32 s13, s28, 16
	s_ashr_i32 s27, s8, 5
	s_clause 0x2
	s_load_b64 s[16:17], s[0:1], 0x38
	s_load_b32 s8, s[0:1], 0x98
	s_load_b32 s18, s[0:1], 0x48
	s_min_i32 s13, s13, s27
	s_xor_b32 s3, s3, s6
	s_add_co_i32 s6, s7, 1
	s_sub_co_i32 s19, s2, s11
	s_cmp_ge_u32 s2, s11
	v_lshrrev_b32_e32 v170, 5, v103
	s_cselect_b32 s6, s6, s7
	s_cselect_b32 s2, s19, s2
	s_add_co_i32 s7, s6, 1
	s_wait_alu 0xfffe
	s_cmp_ge_u32 s2, s11
	v_dual_mov_b32 v161, 0xff7fffff :: v_dual_and_b32 v174, 31, v103
	v_add_nc_u32_e32 v73, s28, v170
	s_cselect_b32 s2, s7, s6
	v_lshlrev_b32_e32 v31, 5, v170
	s_wait_alu 0xfffe
	s_xor_b32 s2, s2, s3
	v_lshlrev_b32_e32 v32, 2, v174
	s_wait_alu 0xfffe
	s_sub_co_i32 s3, s2, s3
	v_cmp_gt_i32_e64 s2, s13, v73
	v_lshlrev_b32_e32 v30, 2, v73
	s_wait_kmcnt 0x0
	s_mul_i32 s18, s18, s14
	s_wait_alu 0xfffe
	s_mul_i32 s20, s3, s10
	s_ashr_i32 s19, s18, 31
	s_wait_dscnt 0x0
	s_barrier_signal -1
	s_barrier_wait -1
	global_inv scope:SCOPE_SE
	s_and_saveexec_b32 s6, s2
	s_cbranch_execz .LBB185_9
; %bb.6:
	v_mov_b32_e32 v29, 0
	s_clause 0x1
	scratch_store_b32 off, v10, off offset:28
	scratch_store_b32 off, v103, off offset:16
	s_load_b64 s[10:11], s[0:1], 0x20
	s_ashr_i32 s21, s20, 31
	s_mov_b32 s7, 0
	ds_load_b128 v[1:4], v29
	ds_load_b128 v[5:8], v29 offset:16
	ds_load_b128 v[9:12], v29 offset:32
	;; [unrolled: 1-line block ×4, first 2 shown]
	s_lshl_b64 s[22:23], s[20:21], 1
	s_cmp_neq_f32 s4, 0
	v_mov_b32_e32 v161, 0xff7fffff
	v_mov_b32_e32 v175, v73
	s_cselect_b32 vcc_lo, -1, 0
	s_wait_dscnt 0x4
	v_and_b32_e32 v0, 0xffff0000, v1
	v_and_b32_e32 v51, 0xffff0000, v2
	v_lshlrev_b32_e32 v52, 16, v2
	v_and_b32_e32 v55, 0xffff0000, v3
	v_lshlrev_b32_e32 v56, 16, v3
	scratch_store_b32 off, v0, off          ; 4-byte Folded Spill
	v_lshlrev_b32_e32 v0, 16, v1
	v_and_b32_e32 v59, 0xffff0000, v4
	v_lshlrev_b32_e32 v60, 16, v4
	ds_load_b128 v[1:4], v29 offset:80
	s_wait_dscnt 0x4
	v_and_b32_e32 v53, 0xffff0000, v6
	scratch_store_b32 off, v0, off offset:4 ; 4-byte Folded Spill
	v_and_b32_e32 v0, 0xffff0000, v5
	v_lshlrev_b32_e32 v54, 16, v6
	v_and_b32_e32 v57, 0xffff0000, v7
	v_lshlrev_b32_e32 v58, 16, v7
	v_and_b32_e32 v61, 0xffff0000, v8
	scratch_store_b32 off, v0, off offset:8 ; 4-byte Folded Spill
	v_lshlrev_b32_e32 v0, 16, v5
	v_lshlrev_b32_e32 v62, 16, v8
	s_wait_dscnt 0x3
	v_and_b32_e32 v63, 0xffff0000, v9
	v_lshlrev_b32_e32 v64, 16, v9
	v_and_b32_e32 v65, 0xffff0000, v10
	v_lshlrev_b32_e32 v66, 16, v10
	;; [unrolled: 2-line block ×4, first 2 shown]
	s_wait_dscnt 0x2
	v_and_b32_e32 v74, 0xffff0000, v13
	v_lshlrev_b32_e32 v75, 16, v13
	ds_load_b128 v[5:8], v29 offset:96
	v_and_b32_e32 v76, 0xffff0000, v14
	ds_load_b128 v[9:12], v29 offset:112
	ds_load_b128 v[21:24], v29 offset:128
	v_lshlrev_b32_e32 v77, 16, v14
	v_and_b32_e32 v78, 0xffff0000, v15
	ds_load_b128 v[25:28], v29 offset:144
	v_lshlrev_b32_e32 v79, 16, v15
	v_and_b32_e32 v80, 0xffff0000, v16
	v_lshlrev_b32_e32 v81, 16, v16
	ds_load_b128 v[13:16], v29 offset:160
	s_wait_dscnt 0x5
	v_and_b32_e32 v90, 0xffff0000, v1
	v_lshlrev_b32_e32 v91, 16, v1
	v_and_b32_e32 v100, 0xffff0000, v2
	v_lshlrev_b32_e32 v101, 16, v2
	;; [unrolled: 2-line block ×4, first 2 shown]
	ds_load_b128 v[1:4], v29 offset:176
	s_wait_dscnt 0x5
	v_and_b32_e32 v92, 0xffff0000, v5
	v_lshlrev_b32_e32 v93, 16, v5
	s_wait_dscnt 0x4
	v_and_b32_e32 v94, 0xffff0000, v9
	v_lshlrev_b32_e32 v95, 16, v9
	v_and_b32_e32 v102, 0xffff0000, v6
	v_lshlrev_b32_e32 v103, 16, v6
	v_and_b32_e32 v104, 0xffff0000, v10
	v_lshlrev_b32_e32 v105, 16, v10
	v_and_b32_e32 v112, 0xffff0000, v7
	v_lshlrev_b32_e32 v113, 16, v7
	v_and_b32_e32 v116, 0xffff0000, v11
	v_lshlrev_b32_e32 v117, 16, v11
	v_and_b32_e32 v118, 0xffff0000, v8
	v_lshlrev_b32_e32 v119, 16, v8
	v_and_b32_e32 v122, 0xffff0000, v12
	v_lshlrev_b32_e32 v123, 16, v12
	ds_load_b128 v[5:8], v29 offset:192
	s_wait_dscnt 0x2
	v_and_b32_e32 v130, 0xffff0000, v13
	v_lshlrev_b32_e32 v131, 16, v13
	v_and_b32_e32 v132, 0xffff0000, v14
	v_lshlrev_b32_e32 v133, 16, v14
	v_and_b32_e32 v134, 0xffff0000, v15
	v_lshlrev_b32_e32 v135, 16, v15
	ds_load_b128 v[9:12], v29 offset:208
	v_and_b32_e32 v136, 0xffff0000, v16
	v_lshlrev_b32_e32 v137, 16, v16
	ds_load_b128 v[13:16], v29 offset:224
	s_wait_dscnt 0x3
	v_and_b32_e32 v138, 0xffff0000, v1
	v_lshlrev_b32_e32 v139, 16, v1
	v_lshl_or_b32 v1, v170, 7, v32
	s_wait_kmcnt 0x0
	s_add_nc_u64 s[10:11], s[10:11], s[22:23]
	s_lshl_b64 s[22:23], s[18:19], 2
	scratch_store_b32 off, v0, off offset:12 ; 4-byte Folded Spill
	s_add_nc_u64 s[22:23], s[16:17], s[22:23]
	v_add_nc_u32_e32 v171, 0x110, v1
	v_lshlrev_b32_e32 v1, 4, v174
	v_add_co_u32 v41, s3, s22, v30
	s_wait_alu 0xf1ff
	v_add_co_ci_u32_e64 v42, null, s23, 0, s3
	s_delay_alu instid0(VALU_DEP_3)
	v_add_co_u32 v172, s3, s10, v1
	v_and_b32_e32 v82, 0xffff0000, v17
	v_lshlrev_b32_e32 v83, 16, v17
	v_and_b32_e32 v84, 0xffff0000, v18
	v_lshlrev_b32_e32 v85, 16, v18
	;; [unrolled: 2-line block ×15, first 2 shown]
	s_wait_dscnt 0x2
	v_and_b32_e32 v146, 0xffff0000, v5
	v_lshlrev_b32_e32 v147, 16, v5
	v_and_b32_e32 v148, 0xffff0000, v6
	v_lshlrev_b32_e32 v149, 16, v6
	;; [unrolled: 2-line block ×4, first 2 shown]
	s_wait_dscnt 0x1
	v_and_b32_e32 v154, 0xffff0000, v9
	v_lshlrev_b32_e32 v155, 16, v9
	v_and_b32_e32 v156, 0xffff0000, v10
	v_lshlrev_b32_e32 v157, 16, v10
	;; [unrolled: 2-line block ×4, first 2 shown]
	s_wait_dscnt 0x0
	v_and_b32_e32 v163, 0xffff0000, v13
	v_lshlrev_b32_e32 v164, 16, v13
	v_and_b32_e32 v165, 0xffff0000, v14
	v_lshlrev_b32_e32 v166, 16, v14
	;; [unrolled: 2-line block ×3, first 2 shown]
	v_and_b32_e32 v169, 0xffff0000, v16
	s_clause 0x1
	scratch_store_b32 off, v170, off offset:20
	scratch_store_b32 off, v32, off offset:36
	v_lshlrev_b32_e32 v170, 16, v16
	s_wait_alu 0xf1ff
	v_add_co_ci_u32_e64 v173, null, s11, 0, s3
	s_clause 0x1
	scratch_store_b32 off, v174, off offset:24
	scratch_store_b32 off, v31, off offset:32
	v_add3_u32 v174, s26, v31, v174
	s_mov_b32 s10, s9
	s_sub_co_i32 s11, 1, s25
.LBB185_7:                              ; =>This Inner Loop Header: Depth=1
	global_load_b32 v1, v[41:42], off
	v_add_nc_u32_e32 v175, 4, v175
	s_wait_loadcnt 0x0
	s_wait_alu 0xfffe
	v_mad_co_i64_i32 v[1:2], null, v1, s10, 0
	s_delay_alu instid0(VALU_DEP_1) | instskip(NEXT) | instid1(VALU_DEP_1)
	v_lshlrev_b64_e32 v[1:2], 1, v[1:2]
	v_add_co_u32 v189, s3, v172, v1
	v_add_nc_u32_e32 v1, s11, v174
	s_wait_alu 0xf1ff
	s_delay_alu instid0(VALU_DEP_3) | instskip(SKIP_3) | instid1(VALU_DEP_1)
	v_add_co_ci_u32_e64 v190, null, v173, v2, s3
	v_cmp_gt_i32_e64 s3, s25, v174
	v_add_nc_u32_e32 v174, 0x80, v174
	v_cvt_f32_i32_e32 v1, v1
	v_mul_f32_e32 v1, s4, v1
	s_delay_alu instid0(VALU_DEP_1)
	v_cndmask_b32_e32 v176, 0, v1, vcc_lo
	s_clause 0x2
	global_load_b128 v[1:4], v[189:190], off
	global_load_b128 v[5:8], v[189:190], off offset:512
	global_load_b128 v[9:12], v[189:190], off offset:1024
	scratch_load_b32 v0, off, off offset:8  ; 4-byte Folded Reload
	s_wait_loadcnt 0x3
	v_and_b32_e32 v13, 0xffff0000, v1
	s_wait_loadcnt 0x2
	v_lshlrev_b32_e32 v14, 16, v5
	v_and_b32_e32 v5, 0xffff0000, v5
	v_lshlrev_b32_e32 v1, 16, v1
	s_wait_loadcnt 0x0
	s_delay_alu instid0(VALU_DEP_2)
	v_mul_f32_e32 v177, v0, v5
	scratch_load_b32 v0, off, off offset:12 ; 4-byte Folded Reload
	s_wait_loadcnt 0x0
	v_dual_mul_f32 v178, v0, v14 :: v_dual_and_b32 v5, 0xffff0000, v9
	scratch_load_b32 v0, off, off offset:4  ; 4-byte Folded Reload
	s_wait_loadcnt 0x0
	v_fmac_f32_e32 v178, v0, v1
	scratch_load_b32 v0, off, off           ; 4-byte Folded Reload
	v_lshlrev_b32_e32 v1, 16, v9
	s_delay_alu instid0(VALU_DEP_1) | instskip(SKIP_2) | instid1(VALU_DEP_1)
	v_dual_fmac_f32 v178, v64, v1 :: v_dual_and_b32 v1, 0xffff0000, v2
	s_wait_loadcnt 0x0
	v_dual_fmac_f32 v177, v0, v13 :: v_dual_lshlrev_b32 v2, 16, v2
	v_fmac_f32_e32 v177, v63, v5
	v_lshlrev_b32_e32 v5, 16, v6
	v_and_b32_e32 v6, 0xffff0000, v6
	s_delay_alu instid0(VALU_DEP_1) | instskip(NEXT) | instid1(VALU_DEP_1)
	v_dual_mul_f32 v180, v54, v5 :: v_dual_mul_f32 v179, v53, v6
	v_dual_fmac_f32 v180, v52, v2 :: v_dual_and_b32 v5, 0xffff0000, v7
	s_delay_alu instid0(VALU_DEP_2) | instskip(SKIP_1) | instid1(VALU_DEP_3)
	v_fmac_f32_e32 v179, v51, v1
	v_lshlrev_b32_e32 v1, 16, v10
	v_dual_mul_f32 v181, v57, v5 :: v_dual_and_b32 v2, 0xffff0000, v10
	s_delay_alu instid0(VALU_DEP_1) | instskip(SKIP_1) | instid1(VALU_DEP_1)
	v_dual_fmac_f32 v180, v66, v1 :: v_dual_fmac_f32 v179, v65, v2
	v_and_b32_e32 v1, 0xffff0000, v3
	v_dual_fmac_f32 v181, v55, v1 :: v_dual_lshlrev_b32 v2, 16, v3
	v_lshlrev_b32_e32 v1, 16, v11
	v_lshlrev_b32_e32 v3, 16, v7
	s_delay_alu instid0(VALU_DEP_1) | instskip(NEXT) | instid1(VALU_DEP_1)
	v_dual_mul_f32 v182, v58, v3 :: v_dual_lshlrev_b32 v3, 16, v8
	v_fmac_f32_e32 v182, v56, v2
	v_and_b32_e32 v2, 0xffff0000, v11
	s_delay_alu instid0(VALU_DEP_3) | instskip(NEXT) | instid1(VALU_DEP_2)
	v_mul_f32_e32 v184, v62, v3
	v_dual_fmac_f32 v182, v68, v1 :: v_dual_fmac_f32 v181, v67, v2
	v_and_b32_e32 v1, 0xffff0000, v4
	v_lshlrev_b32_e32 v2, 16, v4
	v_and_b32_e32 v4, 0xffff0000, v8
	s_delay_alu instid0(VALU_DEP_1) | instskip(NEXT) | instid1(VALU_DEP_1)
	v_dual_fmac_f32 v184, v60, v2 :: v_dual_mul_f32 v183, v61, v4
	v_dual_fmac_f32 v183, v59, v1 :: v_dual_and_b32 v2, 0xffff0000, v12
	v_lshlrev_b32_e32 v1, 16, v12
	s_delay_alu instid0(VALU_DEP_1)
	v_dual_fmac_f32 v183, v69, v2 :: v_dual_fmac_f32 v184, v70, v1
	global_load_b128 v[1:4], v[189:190], off offset:1536
	s_wait_loadcnt 0x0
	v_lshlrev_b32_e32 v43, 16, v2
	v_and_b32_e32 v191, 0xffff0000, v1
	v_lshlrev_b32_e32 v44, 16, v1
	v_and_b32_e32 v45, 0xffff0000, v2
	v_and_b32_e32 v71, 0xffff0000, v3
	v_lshlrev_b32_e32 v46, 16, v3
	v_dual_fmac_f32 v180, v77, v43 :: v_dual_and_b32 v185, 0xffff0000, v4
	v_dual_fmac_f32 v177, v74, v191 :: v_dual_lshlrev_b32 v186, 16, v4
	global_load_b128 v[1:4], v[189:190], off offset:2048
	v_fmac_f32_e32 v178, v75, v44
	v_fmac_f32_e32 v182, v79, v46
	;; [unrolled: 1-line block ×3, first 2 shown]
	s_wait_loadcnt 0x0
	v_lshlrev_b32_e32 v0, 16, v2
	v_and_b32_e32 v47, 0xffff0000, v1
	v_and_b32_e32 v48, 0xffff0000, v2
	v_lshlrev_b32_e32 v49, 16, v3
	v_and_b32_e32 v50, 0xffff0000, v3
	v_lshlrev_b32_e32 v187, 16, v4
	v_and_b32_e32 v188, 0xffff0000, v4
	v_fmac_f32_e32 v180, v85, v0
	v_dual_fmac_f32 v177, v82, v47 :: v_dual_lshlrev_b32 v72, 16, v1
	s_clause 0x9
	global_load_b128 v[37:40], v[189:190], off offset:2560
	global_load_b128 v[33:36], v[189:190], off offset:3072
	;; [unrolled: 1-line block ×10, first 2 shown]
	v_fmac_f32_e32 v178, v83, v72
	s_wait_loadcnt 0x9
	v_and_b32_e32 v44, 0xffff0000, v37
	v_lshlrev_b32_e32 v37, 16, v37
	s_delay_alu instid0(VALU_DEP_2) | instskip(NEXT) | instid1(VALU_DEP_2)
	v_dual_fmac_f32 v177, v90, v44 :: v_dual_and_b32 v0, 0xffff0000, v38
	v_fmac_f32_e32 v178, v91, v37
	s_wait_loadcnt 0x8
	v_lshlrev_b32_e32 v37, 16, v33
	v_and_b32_e32 v33, 0xffff0000, v33
	s_delay_alu instid0(VALU_DEP_2) | instskip(NEXT) | instid1(VALU_DEP_2)
	v_fmac_f32_e32 v178, v93, v37
	v_fmac_f32_e32 v177, v92, v33
	s_wait_loadcnt 0x7
	v_and_b32_e32 v33, 0xffff0000, v29
	v_lshlrev_b32_e32 v29, 16, v29
	s_delay_alu instid0(VALU_DEP_2) | instskip(NEXT) | instid1(VALU_DEP_2)
	v_fmac_f32_e32 v177, v94, v33
	v_fmac_f32_e32 v178, v95, v29
	s_wait_loadcnt 0x6
	v_lshlrev_b32_e32 v29, 16, v25
	v_and_b32_e32 v25, 0xffff0000, v25
	s_delay_alu instid0(VALU_DEP_2) | instskip(NEXT) | instid1(VALU_DEP_2)
	v_fmac_f32_e32 v178, v97, v29
	v_fmac_f32_e32 v177, v96, v25
	s_wait_loadcnt 0x5
	v_and_b32_e32 v25, 0xffff0000, v21
	v_lshlrev_b32_e32 v21, 16, v21
	v_fmac_f32_e32 v179, v76, v45
	s_delay_alu instid0(VALU_DEP_3) | instskip(NEXT) | instid1(VALU_DEP_3)
	v_fmac_f32_e32 v177, v98, v25
	v_fmac_f32_e32 v178, v99, v21
	s_wait_loadcnt 0x4
	v_lshlrev_b32_e32 v21, 16, v17
	v_and_b32_e32 v17, 0xffff0000, v17
	s_delay_alu instid0(VALU_DEP_2) | instskip(NEXT) | instid1(VALU_DEP_2)
	v_dual_fmac_f32 v179, v84, v48 :: v_dual_fmac_f32 v178, v131, v21
	v_fmac_f32_e32 v177, v130, v17
	s_wait_loadcnt 0x3
	v_and_b32_e32 v17, 0xffff0000, v13
	v_lshlrev_b32_e32 v13, 16, v13
	v_dual_fmac_f32 v179, v100, v0 :: v_dual_lshlrev_b32 v0, 16, v34
	v_fmac_f32_e32 v181, v78, v71
	s_delay_alu instid0(VALU_DEP_4) | instskip(NEXT) | instid1(VALU_DEP_4)
	v_fmac_f32_e32 v177, v138, v17
	v_fmac_f32_e32 v178, v139, v13
	s_wait_loadcnt 0x2
	v_lshlrev_b32_e32 v13, 16, v9
	v_and_b32_e32 v9, 0xffff0000, v9
	v_fmac_f32_e32 v181, v86, v50
	v_fmac_f32_e32 v183, v80, v185
	s_delay_alu instid0(VALU_DEP_4) | instskip(NEXT) | instid1(VALU_DEP_4)
	v_fmac_f32_e32 v178, v147, v13
	v_fmac_f32_e32 v177, v146, v9
	s_wait_loadcnt 0x1
	v_and_b32_e32 v9, 0xffff0000, v5
	v_lshlrev_b32_e32 v5, 16, v5
	v_fmac_f32_e32 v182, v87, v49
	s_delay_alu instid0(VALU_DEP_3) | instskip(NEXT) | instid1(VALU_DEP_3)
	v_fmac_f32_e32 v177, v154, v9
	v_fmac_f32_e32 v178, v155, v5
	s_wait_loadcnt 0x0
	v_lshlrev_b32_e32 v5, 16, v1
	v_dual_fmac_f32 v184, v89, v187 :: v_dual_and_b32 v1, 0xffff0000, v1
	s_delay_alu instid0(VALU_DEP_1) | instskip(SKIP_1) | instid1(VALU_DEP_1)
	v_fmac_f32_e32 v177, v163, v1
	v_lshlrev_b32_e32 v1, 16, v38
	v_dual_fmac_f32 v180, v101, v1 :: v_dual_and_b32 v1, 0xffff0000, v34
	s_delay_alu instid0(VALU_DEP_1) | instskip(SKIP_2) | instid1(VALU_DEP_1)
	v_dual_fmac_f32 v180, v103, v0 :: v_dual_fmac_f32 v179, v102, v1
	v_and_b32_e32 v0, 0xffff0000, v30
	v_lshlrev_b32_e32 v1, 16, v30
	v_dual_fmac_f32 v179, v104, v0 :: v_dual_fmac_f32 v180, v105, v1
	v_lshlrev_b32_e32 v0, 16, v26
	s_delay_alu instid0(VALU_DEP_1) | instskip(NEXT) | instid1(VALU_DEP_1)
	v_dual_fmac_f32 v180, v107, v0 :: v_dual_and_b32 v1, 0xffff0000, v26
	v_dual_fmac_f32 v179, v106, v1 :: v_dual_and_b32 v0, 0xffff0000, v22
	v_lshlrev_b32_e32 v1, 16, v22
	s_delay_alu instid0(VALU_DEP_1) | instskip(SKIP_1) | instid1(VALU_DEP_1)
	v_dual_fmac_f32 v179, v108, v0 :: v_dual_fmac_f32 v180, v109, v1
	v_lshlrev_b32_e32 v0, 16, v18
	v_dual_fmac_f32 v180, v133, v0 :: v_dual_and_b32 v1, 0xffff0000, v18
	s_delay_alu instid0(VALU_DEP_1) | instskip(SKIP_1) | instid1(VALU_DEP_1)
	v_dual_fmac_f32 v179, v132, v1 :: v_dual_and_b32 v0, 0xffff0000, v14
	v_lshlrev_b32_e32 v1, 16, v14
	v_dual_fmac_f32 v179, v140, v0 :: v_dual_fmac_f32 v180, v141, v1
	v_lshlrev_b32_e32 v0, 16, v10
	s_delay_alu instid0(VALU_DEP_1) | instskip(NEXT) | instid1(VALU_DEP_1)
	v_dual_fmac_f32 v180, v149, v0 :: v_dual_and_b32 v1, 0xffff0000, v10
	v_dual_fmac_f32 v179, v148, v1 :: v_dual_and_b32 v0, 0xffff0000, v6
	v_lshlrev_b32_e32 v1, 16, v6
	s_delay_alu instid0(VALU_DEP_1) | instskip(SKIP_1) | instid1(VALU_DEP_1)
	v_dual_fmac_f32 v179, v156, v0 :: v_dual_fmac_f32 v180, v157, v1
	v_lshlrev_b32_e32 v0, 16, v2
	v_dual_fmac_f32 v180, v166, v0 :: v_dual_and_b32 v1, 0xffff0000, v2
	s_delay_alu instid0(VALU_DEP_1) | instskip(SKIP_1) | instid1(VALU_DEP_1)
	v_dual_fmac_f32 v179, v165, v1 :: v_dual_and_b32 v0, 0xffff0000, v39
	;; [unrolled: 13-line block ×4, first 2 shown]
	v_lshlrev_b32_e32 v1, 16, v7
	v_dual_fmac_f32 v181, v158, v0 :: v_dual_fmac_f32 v182, v159, v1
	v_and_b32_e32 v1, 0xffff0000, v3
	s_delay_alu instid0(VALU_DEP_1) | instskip(NEXT) | instid1(VALU_DEP_1)
	v_dual_fmac_f32 v181, v167, v1 :: v_dual_lshlrev_b32 v0, 16, v3
	v_fmac_f32_e32 v182, v168, v0
	v_and_b32_e32 v0, 0xffff0000, v40
	v_lshlrev_b32_e32 v1, 16, v40
	s_delay_alu instid0(VALU_DEP_1) | instskip(NEXT) | instid1(VALU_DEP_1)
	v_dual_fmac_f32 v183, v88, v188 :: v_dual_fmac_f32 v184, v115, v1
	v_fmac_f32_e32 v183, v114, v0
	v_and_b32_e32 v1, 0xffff0000, v36
	s_delay_alu instid0(VALU_DEP_1) | instskip(NEXT) | instid1(VALU_DEP_1)
	v_dual_fmac_f32 v183, v118, v1 :: v_dual_lshlrev_b32 v0, 16, v36
	v_fmac_f32_e32 v184, v119, v0
	v_lshlrev_b32_e32 v1, 16, v32
	s_delay_alu instid0(VALU_DEP_1) | instskip(SKIP_1) | instid1(VALU_DEP_1)
	v_dual_fmac_f32 v184, v123, v1 :: v_dual_and_b32 v1, 0xffff0000, v28
	v_and_b32_e32 v0, 0xffff0000, v32
	v_fmac_f32_e32 v183, v122, v0
	s_delay_alu instid0(VALU_DEP_1) | instskip(NEXT) | instid1(VALU_DEP_1)
	v_dual_fmac_f32 v183, v126, v1 :: v_dual_lshlrev_b32 v0, 16, v28
	v_fmac_f32_e32 v184, v127, v0
	v_and_b32_e32 v0, 0xffff0000, v24
	v_lshlrev_b32_e32 v1, 16, v24
	s_delay_alu instid0(VALU_DEP_1) | instskip(SKIP_2) | instid1(VALU_DEP_1)
	v_dual_fmac_f32 v183, v128, v0 :: v_dual_fmac_f32 v184, v129, v1
	v_lshlrev_b32_e32 v0, 16, v20
	v_and_b32_e32 v1, 0xffff0000, v20
	v_dual_fmac_f32 v184, v137, v0 :: v_dual_fmac_f32 v183, v136, v1
	v_and_b32_e32 v0, 0xffff0000, v16
	v_lshlrev_b32_e32 v1, 16, v16
	s_delay_alu instid0(VALU_DEP_1) | instskip(SKIP_2) | instid1(VALU_DEP_1)
	v_dual_fmac_f32 v183, v144, v0 :: v_dual_fmac_f32 v184, v145, v1
	v_lshlrev_b32_e32 v0, 16, v12
	v_and_b32_e32 v1, 0xffff0000, v12
	v_dual_fmac_f32 v184, v153, v0 :: v_dual_fmac_f32 v183, v152, v1
	v_and_b32_e32 v0, 0xffff0000, v8
	v_lshlrev_b32_e32 v1, 16, v8
	s_delay_alu instid0(VALU_DEP_1) | instskip(SKIP_2) | instid1(VALU_DEP_2)
	v_dual_fmac_f32 v183, v160, v0 :: v_dual_fmac_f32 v184, v162, v1
	v_lshlrev_b32_e32 v0, 16, v4
	v_and_b32_e32 v1, 0xffff0000, v4
	v_fmac_f32_e32 v184, v170, v0
	v_fmac_f32_e32 v178, v164, v5
	s_delay_alu instid0(VALU_DEP_3) | instskip(NEXT) | instid1(VALU_DEP_2)
	v_fmac_f32_e32 v183, v169, v1
	v_add_f32_e32 v0, v178, v177
	s_delay_alu instid0(VALU_DEP_1) | instskip(NEXT) | instid1(VALU_DEP_1)
	v_add_f32_e32 v0, v0, v180
	v_add_f32_e32 v0, v179, v0
	s_delay_alu instid0(VALU_DEP_1) | instskip(NEXT) | instid1(VALU_DEP_1)
	v_add_f32_e32 v0, v182, v0
	;; [unrolled: 3-line block ×3, first 2 shown]
	v_add_f32_e32 v0, v183, v0
	s_delay_alu instid0(VALU_DEP_1) | instskip(SKIP_1) | instid1(VALU_DEP_1)
	v_fmac_f32_e32 v176, s5, v0
	s_wait_alu 0xf1ff
	v_cndmask_b32_e64 v0, 0, v176, s3
	ds_store_b32 v171, v0
	v_dual_max_num_f32 v0, v161, v161 :: v_dual_add_nc_u32 v171, 0x200, v171
	s_delay_alu instid0(VALU_DEP_1) | instskip(NEXT) | instid1(VALU_DEP_1)
	v_max_num_f32_e32 v0, v0, v176
	v_cndmask_b32_e64 v161, v161, v0, s3
	v_add_co_u32 v41, s3, v41, 16
	s_wait_alu 0xf1ff
	v_add_co_ci_u32_e64 v42, null, 0, v42, s3
	v_cmp_le_i32_e64 s3, s13, v175
	s_or_b32 s7, s3, s7
	s_delay_alu instid0(SALU_CYCLE_1)
	s_and_not1_b32 exec_lo, exec_lo, s7
	s_cbranch_execnz .LBB185_7
; %bb.8:
	s_or_b32 exec_lo, exec_lo, s7
	s_clause 0x5
	scratch_load_b32 v103, off, off offset:16
	scratch_load_b32 v170, off, off offset:20
	;; [unrolled: 1-line block ×6, first 2 shown]
	v_lshlrev_b32_e32 v30, 2, v73
.LBB185_9:
	s_or_b32 exec_lo, exec_lo, s6
	v_mbcnt_lo_u32_b32 v1, -1, 0
	s_clause 0x2
	s_load_b128 s[4:7], s[0:1], 0x0
	s_load_b64 s[10:11], s[0:1], 0x10
	s_load_b64 s[22:23], s[0:1], 0x28
	v_max_num_f32_e32 v5, v161, v161
	v_xor_b32_e32 v2, 16, v1
	v_xor_b32_e32 v4, 8, v1
	s_delay_alu instid0(VALU_DEP_2) | instskip(SKIP_2) | instid1(VALU_DEP_3)
	v_cmp_gt_i32_e32 vcc_lo, 32, v2
	s_wait_alu 0xfffd
	v_cndmask_b32_e32 v2, v1, v2, vcc_lo
	v_cmp_gt_i32_e32 vcc_lo, 32, v4
	s_delay_alu instid0(VALU_DEP_2)
	v_lshlrev_b32_e32 v2, 2, v2
	s_wait_alu 0xfffd
	v_cndmask_b32_e32 v4, v1, v4, vcc_lo
	ds_bpermute_b32 v3, v2, v161
	s_wait_dscnt 0x0
	v_dual_max_num_f32 v6, v3, v3 :: v_dual_lshlrev_b32 v3, 2, v4
	s_delay_alu instid0(VALU_DEP_1)
	v_max_num_f32_e32 v4, v5, v6
	v_xor_b32_e32 v6, 4, v1
	ds_bpermute_b32 v5, v3, v4
	v_cmp_gt_i32_e32 vcc_lo, 32, v6
	s_wait_alu 0xfffd
	v_cndmask_b32_e32 v6, v1, v6, vcc_lo
	s_wait_dscnt 0x0
	v_max_num_f32_e32 v7, v5, v5
	s_delay_alu instid0(VALU_DEP_1)
	v_dual_max_num_f32 v4, v4, v7 :: v_dual_lshlrev_b32 v5, 2, v6
	v_xor_b32_e32 v7, 2, v1
	ds_bpermute_b32 v6, v5, v4
	v_cmp_gt_i32_e32 vcc_lo, 32, v7
	s_wait_dscnt 0x0
	s_wait_alu 0xfffd
	v_dual_cndmask_b32 v7, v1, v7 :: v_dual_max_num_f32 v6, v6, v6
	s_delay_alu instid0(VALU_DEP_1) | instskip(SKIP_1) | instid1(VALU_DEP_1)
	v_lshlrev_b32_e32 v75, 2, v7
	v_xor_b32_e32 v7, 1, v1
	v_cmp_gt_i32_e32 vcc_lo, 32, v7
	s_wait_alu 0xfffd
	v_dual_max_num_f32 v4, v4, v6 :: v_dual_cndmask_b32 v7, v1, v7
	ds_bpermute_b32 v6, v75, v4
	s_wait_loadcnt 0x3
	v_cmp_eq_u32_e32 vcc_lo, 0, v174
	v_lshlrev_b32_e32 v74, 2, v7
	s_wait_dscnt 0x0
	v_max_num_f32_e32 v6, v6, v6
	s_delay_alu instid0(VALU_DEP_1)
	v_max_num_f32_e32 v1, v4, v6
	v_lshlrev_b32_e32 v6, 2, v170
	ds_bpermute_b32 v4, v74, v1
	s_and_saveexec_b32 s0, vcc_lo
	s_cbranch_execz .LBB185_11
; %bb.10:
	s_wait_dscnt 0x0
	v_dual_max_num_f32 v0, v4, v4 :: v_dual_max_num_f32 v1, v1, v1
	s_delay_alu instid0(VALU_DEP_1)
	v_max_num_f32_e32 v0, v1, v0
	ds_store_b32 v6, v0 offset:240
.LBB185_11:
	s_or_b32 exec_lo, exec_lo, s0
	v_cmp_gt_u32_e64 s0, 4, v174
	v_mov_b32_e32 v1, 0xff7fffff
	s_wait_storecnt 0x0
	s_wait_loadcnt_dscnt 0x0
	s_barrier_signal -1
	s_barrier_wait -1
	global_inv scope:SCOPE_SE
	s_and_saveexec_b32 s1, s0
; %bb.12:
	ds_load_b32 v1, v32 offset:240
; %bb.13:
	s_or_b32 exec_lo, exec_lo, s1
	s_wait_dscnt 0x0
	ds_bpermute_b32 v0, v75, v1
	v_max_num_f32_e32 v1, v1, v1
	s_sub_co_i32 s1, s13, s28
	v_lshl_add_u32 v4, v103, 2, 0x110
	s_lshl_b32 s1, s1, 5
	v_mov_b32_e32 v7, 0
	s_add_co_i32 s1, s1, s26
	s_delay_alu instid0(SALU_CYCLE_1) | instskip(NEXT) | instid1(SALU_CYCLE_1)
	s_min_i32 s1, s1, s25
	s_sub_co_i32 s21, s1, s26
	s_delay_alu instid0(SALU_CYCLE_1) | instskip(SKIP_2) | instid1(VALU_DEP_1)
	v_cmp_gt_i32_e64 s1, s21, v103
	s_wait_dscnt 0x0
	v_max_num_f32_e32 v0, v0, v0
	v_max_num_f32_e32 v0, v1, v0
	ds_bpermute_b32 v1, v74, v0
	s_wait_dscnt 0x0
	v_max_num_f32_e32 v1, v1, v1
	s_delay_alu instid0(VALU_DEP_1)
	v_max_num_f32_e32 v0, v0, v1
	ds_bpermute_b32 v1, v7, v0
	s_and_saveexec_b32 s28, s1
	s_cbranch_execz .LBB185_17
; %bb.14:
	v_lshl_add_u32 v8, v103, 2, 0x110
	v_mov_b32_e32 v7, 0
	v_mov_b32_e32 v9, v103
	s_mov_b32 s29, 0
.LBB185_15:                             ; =>This Inner Loop Header: Depth=1
	ds_load_b32 v0, v8
	v_add_nc_u32_e32 v9, 0x80, v9
	s_delay_alu instid0(VALU_DEP_1) | instskip(SKIP_4) | instid1(VALU_DEP_1)
	v_cmp_le_i32_e64 s3, s21, v9
	s_wait_alu 0xfffe
	s_or_b32 s29, s3, s29
	s_wait_dscnt 0x0
	v_sub_f32_e32 v0, v0, v1
	v_mul_f32_e32 v0, 0x3fb8aa3b, v0
	s_delay_alu instid0(VALU_DEP_1)
	v_exp_f32_e32 v0, v0
	ds_store_b32 v8, v0
	v_add_f32_e32 v7, v7, v0
	v_add_nc_u32_e32 v8, 0x200, v8
	s_wait_alu 0xfffe
	s_and_not1_b32 exec_lo, exec_lo, s29
	s_cbranch_execnz .LBB185_15
; %bb.16:
	s_or_b32 exec_lo, exec_lo, s29
.LBB185_17:
	s_wait_alu 0xfffe
	s_or_b32 exec_lo, exec_lo, s28
	ds_bpermute_b32 v0, v2, v7
	s_wait_dscnt 0x0
	v_add_f32_e32 v0, v7, v0
	ds_bpermute_b32 v2, v3, v0
	s_wait_dscnt 0x0
	v_add_f32_e32 v0, v0, v2
	ds_bpermute_b32 v2, v5, v0
	s_wait_dscnt 0x0
	v_add_f32_e32 v0, v0, v2
	ds_bpermute_b32 v2, v75, v0
	s_wait_dscnt 0x0
	v_add_f32_e32 v0, v0, v2
	ds_bpermute_b32 v2, v74, v0
	s_wait_dscnt 0x0
	v_add_f32_e32 v2, v0, v2
	s_and_saveexec_b32 s3, vcc_lo
; %bb.18:
	ds_store_b32 v6, v2 offset:256
; %bb.19:
	s_wait_alu 0xfffe
	s_or_b32 exec_lo, exec_lo, s3
	s_wait_loadcnt_dscnt 0x0
	s_barrier_signal -1
	s_barrier_wait -1
	global_inv scope:SCOPE_SE
	s_and_saveexec_b32 s3, s0
; %bb.20:
	ds_load_b32 v2, v32 offset:256
; %bb.21:
	s_wait_alu 0xfffe
	s_or_b32 exec_lo, exec_lo, s3
	s_wait_dscnt 0x0
	ds_bpermute_b32 v0, v75, v2
	s_wait_dscnt 0x0
	v_add_f32_e32 v0, v2, v0
	ds_bpermute_b32 v2, v74, v0
	s_wait_dscnt 0x0
	v_add_f32_e32 v0, v0, v2
	v_mov_b32_e32 v2, 0
	ds_bpermute_b32 v2, v2, v0
	s_and_saveexec_b32 s0, s1
	s_cbranch_execz .LBB185_24
; %bb.22:
	s_wait_dscnt 0x0
	v_add_f32_e32 v0, 0x358637bd, v2
	s_mov_b32 s1, 0
	s_delay_alu instid0(VALU_DEP_1) | instskip(NEXT) | instid1(VALU_DEP_1)
	v_div_scale_f32 v3, null, v0, v0, 1.0
	v_rcp_f32_e32 v5, v3
	s_delay_alu instid0(TRANS32_DEP_1) | instskip(NEXT) | instid1(VALU_DEP_1)
	v_fma_f32 v6, -v3, v5, 1.0
	v_fmac_f32_e32 v5, v6, v5
	v_div_scale_f32 v7, vcc_lo, 1.0, v0, 1.0
	s_delay_alu instid0(VALU_DEP_1) | instskip(NEXT) | instid1(VALU_DEP_1)
	v_mul_f32_e32 v6, v7, v5
	v_fma_f32 v8, -v3, v6, v7
	s_delay_alu instid0(VALU_DEP_1) | instskip(NEXT) | instid1(VALU_DEP_1)
	v_fmac_f32_e32 v6, v8, v5
	v_fma_f32 v3, -v3, v6, v7
	s_wait_alu 0xfffd
	s_delay_alu instid0(VALU_DEP_1) | instskip(SKIP_1) | instid1(VALU_DEP_2)
	v_div_fmas_f32 v3, v3, v5, v6
	v_mov_b32_e32 v5, v103
	v_div_fixup_f32 v3, v3, v0, 1.0
.LBB185_23:                             ; =>This Inner Loop Header: Depth=1
	ds_load_b32 v0, v4
	s_wait_dscnt 0x0
	v_dual_mul_f32 v0, v3, v0 :: v_dual_add_nc_u32 v5, 0x80, v5
	s_delay_alu instid0(VALU_DEP_1) | instskip(SKIP_3) | instid1(SALU_CYCLE_1)
	v_cmp_le_i32_e32 vcc_lo, s21, v5
	ds_store_b32 v4, v0
	v_add_nc_u32_e32 v4, 0x200, v4
	s_or_b32 s1, vcc_lo, s1
	s_and_not1_b32 exec_lo, exec_lo, s1
	s_cbranch_execnz .LBB185_23
.LBB185_24:
	s_or_b32 exec_lo, exec_lo, s0
	s_mul_i32 s0, s8, s14
	s_wait_loadcnt_dscnt 0x0
	s_mul_i32 s14, s0, s15
	s_mov_b32 s0, exec_lo
	s_barrier_signal -1
	s_barrier_wait -1
	global_inv scope:SCOPE_SE
	v_cmpx_eq_u32_e32 0, v103
	s_cbranch_execz .LBB185_26
; %bb.25:
	s_ashr_i32 s15, s14, 31
	s_mul_i32 s28, s8, ttmp9
	s_lshl_b32 s1, s24, 2
	s_lshl_b64 s[30:31], s[14:15], 2
	s_wait_alu 0xfffe
	s_ashr_i32 s29, s28, 31
	v_mov_b32_e32 v0, s1
	s_wait_kmcnt 0x0
	s_add_nc_u64 s[6:7], s[6:7], s[30:31]
	s_wait_alu 0xfffe
	s_lshl_b64 s[28:29], s[28:29], 2
	s_add_nc_u64 s[4:5], s[4:5], s[30:31]
	s_wait_alu 0xfffe
	s_add_nc_u64 s[6:7], s[6:7], s[28:29]
	s_add_nc_u64 s[4:5], s[4:5], s[28:29]
	s_clause 0x1
	global_store_b32 v0, v1, s[6:7]
	global_store_b32 v0, v2, s[4:5]
.LBB185_26:
	s_or_b32 exec_lo, exec_lo, s0
	v_dual_mov_b32 v89, 0 :: v_dual_and_b32 v76, 3, v103
	v_dual_mov_b32 v91, 0 :: v_dual_mov_b32 v90, 0
	v_dual_mov_b32 v88, 0 :: v_dual_mov_b32 v87, 0
	;; [unrolled: 1-line block ×7, first 2 shown]
	s_and_saveexec_b32 s1, s2
	s_cbranch_execz .LBB185_60
; %bb.27:
	s_ashr_i32 s21, s20, 31
	v_dual_mov_b32 v81, 0 :: v_dual_and_b32 v2, 0x1f0, v10
	s_wait_kmcnt 0x0
	s_wait_alu 0xfffe
	s_lshl_b64 s[4:5], s[20:21], 1
	v_dual_mov_b32 v77, 0 :: v_dual_lshlrev_b32 v0, 3, v103
	v_dual_mov_b32 v78, 0 :: v_dual_lshlrev_b32 v1, 5, v76
	s_wait_alu 0xfffe
	s_add_nc_u64 s[4:5], s[22:23], s[4:5]
	s_delay_alu instid0(VALU_DEP_2)
	v_dual_mov_b32 v79, 0 :: v_dual_and_b32 v0, 24, v0
	s_wait_alu 0xfffe
	v_add_co_u32 v92, s0, s4, v2
	s_wait_alu 0xf1ff
	v_add_co_ci_u32_e64 v93, null, s5, 0, s0
	s_lshl_b64 s[4:5], s[18:19], 2
	v_lshl_or_b32 v1, v170, 7, v1
	s_wait_alu 0xfffe
	s_add_nc_u64 s[4:5], s[16:17], s[4:5]
	v_add3_u32 v94, s26, v31, v0
	s_wait_alu 0xfffe
	v_add_co_u32 v69, s0, s4, v30
	v_dual_mov_b32 v80, 0 :: v_dual_add_nc_u32 v95, 0x110, v1
	s_wait_alu 0xf1ff
	v_add_co_ci_u32_e64 v70, null, s5, 0, s0
	v_dual_mov_b32 v82, 0 :: v_dual_mov_b32 v83, 0
	v_dual_mov_b32 v84, 0 :: v_dual_mov_b32 v85, 0
	;; [unrolled: 1-line block ×5, first 2 shown]
	s_mov_b32 s2, s9
	s_add_co_i32 s3, s27, -1
	s_mov_b32 s5, s25
	s_mov_b32 s4, 0
	s_branch .LBB185_29
.LBB185_28:                             ;   in Loop: Header=BB185_29 Depth=1
	s_wait_alu 0xfffe
	s_or_b32 exec_lo, exec_lo, s0
	s_wait_dscnt 0x1
	v_bfe_u32 v0, v45, 16, 1
	v_or_b32_e32 v71, 0x400000, v45
	v_bfe_u32 v72, v46, 16, 1
	v_cmp_u_f32_e32 vcc_lo, v45, v45
	v_bfe_u32 v96, v47, 16, 1
	v_add3_u32 v0, v0, v45, 0x7fff
	v_bfe_u32 v45, v48, 16, 1
	v_or_b32_e32 v97, 0x400000, v46
	v_add3_u32 v72, v72, v46, 0x7fff
	v_or_b32_e32 v98, 0x400000, v47
	v_add3_u32 v96, v96, v47, 0x7fff
	v_add3_u32 v45, v45, v48, 0x7fff
	s_wait_alu 0xfffd
	v_cndmask_b32_e32 v0, v0, v71, vcc_lo
	v_cmp_u_f32_e32 vcc_lo, v46, v46
	s_wait_dscnt 0x0
	v_bfe_u32 v71, v41, 16, 1
	v_add_co_u32 v69, s0, v69, 16
	v_add_nc_u32_e32 v94, 0x80, v94
	s_wait_alu 0xfffd
	v_cndmask_b32_e32 v46, v72, v97, vcc_lo
	v_cmp_u_f32_e32 vcc_lo, v47, v47
	v_or_b32_e32 v72, 0x400000, v48
	v_add3_u32 v71, v71, v41, 0x7fff
	v_bfe_u32 v97, v42, 16, 1
	s_wait_alu 0xf1ff
	v_add_co_ci_u32_e64 v70, null, 0, v70, s0
	s_wait_alu 0xfffd
	v_cndmask_b32_e32 v47, v96, v98, vcc_lo
	v_cmp_u_f32_e32 vcc_lo, v48, v48
	v_or_b32_e32 v96, 0x400000, v41
	v_add_nc_u32_e32 v73, 4, v73
	v_add_nc_u32_e32 v95, 0x200, v95
	s_wait_alu 0xfffd
	v_cndmask_b32_e32 v45, v45, v72, vcc_lo
	v_cmp_u_f32_e32 vcc_lo, v41, v41
	v_or_b32_e32 v72, 0x400000, v42
	s_wait_alu 0xfffd
	v_cndmask_b32_e32 v48, v71, v96, vcc_lo
	v_add3_u32 v71, v97, v42, 0x7fff
	v_bfe_u32 v96, v43, 16, 1
	v_cmp_u_f32_e32 vcc_lo, v42, v42
	s_delay_alu instid0(VALU_DEP_4) | instskip(NEXT) | instid1(VALU_DEP_3)
	v_and_b32_e32 v48, 0xffff0000, v48
	v_add3_u32 v42, v96, v43, 0x7fff
	s_wait_alu 0xfffd
	v_cndmask_b32_e32 v71, v71, v72, vcc_lo
	v_and_b32_e32 v41, 0xffff0000, v46
	v_or_b32_e32 v72, 0x400000, v43
	v_cmp_u_f32_e32 vcc_lo, v43, v43
	s_wait_loadcnt 0x1
	v_and_b32_e32 v46, 0xffff0000, v65
	v_bfe_u32 v96, v44, 16, 1
	s_delay_alu instid0(VALU_DEP_2) | instskip(SKIP_2) | instid1(VALU_DEP_3)
	v_dual_mul_f32 v97, v41, v46 :: v_dual_and_b32 v46, 0xffff0000, v0
	s_wait_alu 0xfffd
	v_dual_cndmask_b32 v65, v42, v72 :: v_dual_lshlrev_b32 v0, 16, v65
	v_add3_u32 v43, v96, v44, 0x7fff
	v_or_b32_e32 v72, 0x400000, v44
	v_bfe_u32 v96, v97, 16, 1
	v_cmp_u_f32_e32 vcc_lo, v44, v44
	v_and_b32_e32 v100, 0xffff0000, v68
	s_wait_alu 0xfffd
	v_cndmask_b32_e32 v44, v43, v72, vcc_lo
	v_add3_u32 v43, v96, v97, 0x7fff
	v_or_b32_e32 v72, 0x400000, v97
	v_cmp_u_f32_e32 vcc_lo, v97, v97
	s_wait_alu 0xfffd
	s_delay_alu instid0(VALU_DEP_2) | instskip(SKIP_4) | instid1(VALU_DEP_3)
	v_dual_cndmask_b32 v72, v43, v72 :: v_dual_and_b32 v47, 0xffff0000, v47
	v_and_b32_e32 v43, 0xffff0000, v71
	v_and_b32_e32 v71, 0xffff0000, v67
	v_lshlrev_b32_e32 v67, 16, v67
	v_and_b32_e32 v42, 0xffff0000, v45
	v_dual_mul_f32 v71, v43, v71 :: v_dual_and_b32 v72, 0xffff0000, v72
	s_delay_alu instid0(VALU_DEP_3) | instskip(NEXT) | instid1(VALU_DEP_2)
	v_dual_mul_f32 v0, v46, v0 :: v_dual_mul_f32 v67, v48, v67
	v_bfe_u32 v99, v71, 16, 1
	s_delay_alu instid0(VALU_DEP_2) | instskip(SKIP_2) | instid1(VALU_DEP_3)
	v_bfe_u32 v96, v0, 16, 1
	v_or_b32_e32 v97, 0x400000, v0
	v_cmp_u_f32_e32 vcc_lo, v0, v0
	v_add3_u32 v96, v96, v0, 0x7fff
	s_wait_alu 0xfffd
	s_delay_alu instid0(VALU_DEP_1) | instskip(NEXT) | instid1(VALU_DEP_1)
	v_dual_cndmask_b32 v0, v96, v97 :: v_dual_and_b32 v45, 0xffff0000, v66
	v_dual_mul_f32 v45, v42, v45 :: v_dual_and_b32 v44, 0xffff0000, v44
	s_delay_alu instid0(VALU_DEP_2) | instskip(NEXT) | instid1(VALU_DEP_2)
	v_and_b32_e32 v0, 0xffff0000, v0
	v_bfe_u32 v98, v45, 16, 1
	v_or_b32_e32 v97, 0x400000, v45
	v_cmp_u_f32_e32 vcc_lo, v45, v45
	s_delay_alu instid0(VALU_DEP_4) | instskip(NEXT) | instid1(VALU_DEP_4)
	v_add_f32_e32 v0, v0, v72
	v_add3_u32 v96, v98, v45, 0x7fff
	v_and_b32_e32 v45, 0xffff0000, v65
	v_lshlrev_b32_e32 v65, 16, v68
	v_lshlrev_b32_e32 v66, 16, v66
	v_bfe_u32 v68, v67, 16, 1
	s_wait_alu 0xfffd
	v_cndmask_b32_e32 v96, v96, v97, vcc_lo
	v_dual_mul_f32 v65, v45, v65 :: v_dual_and_b32 v72, 0xffff0000, v64
	v_mul_f32_e32 v66, v47, v66
	v_add3_u32 v68, v68, v67, 0x7fff
	v_lshlrev_b32_e32 v64, 16, v64
	s_delay_alu instid0(VALU_DEP_4) | instskip(NEXT) | instid1(VALU_DEP_4)
	v_bfe_u32 v102, v65, 16, 1
	v_bfe_u32 v98, v66, 16, 1
	v_cmp_u_f32_e32 vcc_lo, v66, v66
	s_delay_alu instid0(VALU_DEP_4) | instskip(NEXT) | instid1(VALU_DEP_3)
	v_mul_f32_e32 v64, v45, v64
	v_add3_u32 v97, v98, v66, 0x7fff
	v_or_b32_e32 v98, 0x400000, v66
	s_wait_alu 0xfffd
	s_delay_alu instid0(VALU_DEP_1)
	v_cndmask_b32_e32 v66, v97, v98, vcc_lo
	v_add3_u32 v97, v99, v71, 0x7fff
	v_or_b32_e32 v99, 0x400000, v71
	v_cmp_u_f32_e32 vcc_lo, v71, v71
	v_mul_f32_e32 v98, v44, v100
	v_or_b32_e32 v100, 0x400000, v67
	s_wait_alu 0xfffd
	v_dual_cndmask_b32 v71, v97, v99 :: v_dual_and_b32 v66, 0xffff0000, v66
	v_cmp_u_f32_e32 vcc_lo, v67, v67
	v_bfe_u32 v101, v98, 16, 1
	v_add3_u32 v97, v102, v65, 0x7fff
	v_or_b32_e32 v99, 0x400000, v65
	s_wait_alu 0xfffd
	v_cndmask_b32_e32 v67, v68, v100, vcc_lo
	v_cmp_u_f32_e32 vcc_lo, v65, v65
	v_add3_u32 v68, v101, v98, 0x7fff
	v_or_b32_e32 v100, 0x400000, v98
	s_delay_alu instid0(VALU_DEP_4) | instskip(SKIP_4) | instid1(VALU_DEP_3)
	v_and_b32_e32 v67, 0xffff0000, v67
	s_wait_alu 0xfffd
	v_dual_cndmask_b32 v65, v97, v99 :: v_dual_and_b32 v96, 0xffff0000, v96
	v_cmp_u_f32_e32 vcc_lo, v98, v98
	v_and_b32_e32 v71, 0xffff0000, v71
	v_dual_add_f32 v66, v66, v96 :: v_dual_and_b32 v65, 0xffff0000, v65
	s_wait_alu 0xfffd
	v_cndmask_b32_e32 v68, v68, v100, vcc_lo
	s_delay_alu instid0(VALU_DEP_2) | instskip(NEXT) | instid1(VALU_DEP_2)
	v_add_f32_e32 v0, v66, v0
	v_dual_add_f32 v66, v67, v71 :: v_dual_and_b32 v67, 0xffff0000, v68
	v_and_b32_e32 v68, 0xffff0000, v61
	s_delay_alu instid0(VALU_DEP_2) | instskip(NEXT) | instid1(VALU_DEP_3)
	v_dual_add_f32 v0, v66, v0 :: v_dual_lshlrev_b32 v61, 16, v61
	v_add_f32_e32 v65, v65, v67
	s_delay_alu instid0(VALU_DEP_2) | instskip(SKIP_2) | instid1(VALU_DEP_4)
	v_dual_mul_f32 v66, v41, v68 :: v_dual_mul_f32 v61, v46, v61
	v_and_b32_e32 v68, 0xffff0000, v62
	v_lshlrev_b32_e32 v62, 16, v62
	v_add_f32_e32 v0, v65, v0
	s_delay_alu instid0(VALU_DEP_4)
	v_bfe_u32 v65, v66, 16, 1
	v_bfe_u32 v67, v61, 16, 1
	v_mul_f32_e32 v68, v42, v68
	v_cmp_u_f32_e32 vcc_lo, v66, v66
	v_add_f32_e32 v78, v78, v0
	v_add3_u32 v0, v65, v66, 0x7fff
	v_or_b32_e32 v65, 0x400000, v66
	v_add3_u32 v67, v67, v61, 0x7fff
	v_or_b32_e32 v71, 0x400000, v61
	v_mul_f32_e32 v62, v47, v62
	s_wait_alu 0xfffd
	v_cndmask_b32_e32 v0, v0, v65, vcc_lo
	v_bfe_u32 v65, v68, 16, 1
	v_cmp_u_f32_e32 vcc_lo, v61, v61
	s_delay_alu instid0(VALU_DEP_3) | instskip(NEXT) | instid1(VALU_DEP_3)
	v_and_b32_e32 v0, 0xffff0000, v0
	v_add3_u32 v65, v65, v68, 0x7fff
	s_wait_alu 0xfffd
	v_cndmask_b32_e32 v61, v67, v71, vcc_lo
	v_or_b32_e32 v67, 0x400000, v68
	v_bfe_u32 v71, v62, 16, 1
	v_cmp_u_f32_e32 vcc_lo, v68, v68
	v_or_b32_e32 v68, 0x400000, v62
	v_and_b32_e32 v61, 0xffff0000, v61
	s_wait_alu 0xfffd
	v_cndmask_b32_e32 v65, v65, v67, vcc_lo
	v_add3_u32 v67, v71, v62, 0x7fff
	v_cmp_u_f32_e32 vcc_lo, v62, v62
	s_delay_alu instid0(VALU_DEP_3) | instskip(SKIP_1) | instid1(VALU_DEP_3)
	v_dual_add_f32 v0, v61, v0 :: v_dual_and_b32 v65, 0xffff0000, v65
	s_wait_alu 0xfffd
	v_cndmask_b32_e32 v62, v67, v68, vcc_lo
	v_mul_f32_e32 v68, v44, v72
	s_delay_alu instid0(VALU_DEP_2) | instskip(SKIP_2) | instid1(VALU_DEP_4)
	v_and_b32_e32 v62, 0xffff0000, v62
	v_and_b32_e32 v66, 0xffff0000, v63
	v_lshlrev_b32_e32 v63, 16, v63
	v_bfe_u32 v97, v68, 16, 1
	s_delay_alu instid0(VALU_DEP_3) | instskip(NEXT) | instid1(VALU_DEP_1)
	v_dual_add_f32 v61, v62, v65 :: v_dual_mul_f32 v66, v43, v66
	v_dual_mul_f32 v63, v48, v63 :: v_dual_add_f32 v0, v61, v0
	s_delay_alu instid0(VALU_DEP_2) | instskip(NEXT) | instid1(VALU_DEP_2)
	v_bfe_u32 v71, v66, 16, 1
	v_bfe_u32 v96, v63, 16, 1
	v_cmp_u_f32_e32 vcc_lo, v66, v66
	s_delay_alu instid0(VALU_DEP_3) | instskip(SKIP_1) | instid1(VALU_DEP_4)
	v_add3_u32 v67, v71, v66, 0x7fff
	v_or_b32_e32 v71, 0x400000, v66
	v_add3_u32 v72, v96, v63, 0x7fff
	v_or_b32_e32 v96, 0x400000, v63
	s_wait_alu 0xfffd
	s_delay_alu instid0(VALU_DEP_3) | instskip(SKIP_3) | instid1(VALU_DEP_4)
	v_cndmask_b32_e32 v66, v67, v71, vcc_lo
	v_cmp_u_f32_e32 vcc_lo, v63, v63
	v_add3_u32 v67, v97, v68, 0x7fff
	v_or_b32_e32 v71, 0x400000, v68
	v_and_b32_e32 v65, 0xffff0000, v66
	s_wait_alu 0xfffd
	v_cndmask_b32_e32 v63, v72, v96, vcc_lo
	v_bfe_u32 v72, v64, 16, 1
	v_cmp_u_f32_e32 vcc_lo, v68, v68
	s_delay_alu instid0(VALU_DEP_3) | instskip(NEXT) | instid1(VALU_DEP_3)
	v_and_b32_e32 v62, 0xffff0000, v63
	v_add3_u32 v68, v72, v64, 0x7fff
	s_wait_alu 0xfffd
	v_cndmask_b32_e32 v67, v67, v71, vcc_lo
	v_or_b32_e32 v71, 0x400000, v64
	v_and_b32_e32 v63, 0xffff0000, v57
	v_cmp_u_f32_e32 vcc_lo, v64, v64
	v_lshlrev_b32_e32 v57, 16, v57
	s_delay_alu instid0(VALU_DEP_3) | instskip(SKIP_1) | instid1(VALU_DEP_2)
	v_dual_add_f32 v62, v62, v65 :: v_dual_mul_f32 v61, v41, v63
	s_wait_alu 0xfffd
	v_dual_cndmask_b32 v64, v68, v71 :: v_dual_mul_f32 v57, v46, v57
	s_delay_alu instid0(VALU_DEP_2) | instskip(NEXT) | instid1(VALU_DEP_2)
	v_bfe_u32 v65, v61, 16, 1
	v_and_b32_e32 v63, 0xffff0000, v64
	v_and_b32_e32 v64, 0xffff0000, v67
	s_delay_alu instid0(VALU_DEP_4)
	v_bfe_u32 v66, v57, 16, 1
	v_cmp_u_f32_e32 vcc_lo, v61, v61
	v_and_b32_e32 v67, 0xffff0000, v59
	v_lshlrev_b32_e32 v59, 16, v59
	v_add_f32_e32 v63, v63, v64
	v_add3_u32 v64, v65, v61, 0x7fff
	v_or_b32_e32 v65, 0x400000, v61
	v_mul_f32_e32 v67, v43, v67
	v_mul_f32_e32 v59, v48, v59
	s_wait_alu 0xfffd
	s_delay_alu instid0(VALU_DEP_3) | instskip(SKIP_3) | instid1(VALU_DEP_4)
	v_cndmask_b32_e32 v61, v64, v65, vcc_lo
	v_add3_u32 v64, v66, v57, 0x7fff
	v_or_b32_e32 v65, 0x400000, v57
	v_cmp_u_f32_e32 vcc_lo, v57, v57
	v_dual_add_f32 v0, v62, v0 :: v_dual_and_b32 v61, 0xffff0000, v61
	v_or_b32_e32 v71, 0x400000, v59
	s_wait_alu 0xfffd
	s_delay_alu instid0(VALU_DEP_2) | instskip(NEXT) | instid1(VALU_DEP_1)
	v_dual_cndmask_b32 v57, v64, v65 :: v_dual_add_f32 v0, v63, v0
	v_and_b32_e32 v57, 0xffff0000, v57
	s_delay_alu instid0(VALU_DEP_2) | instskip(NEXT) | instid1(VALU_DEP_2)
	v_add_f32_e32 v79, v79, v0
	v_dual_add_f32 v57, v57, v61 :: v_dual_and_b32 v62, 0xffff0000, v58
	v_lshlrev_b32_e32 v58, 16, v58
	s_delay_alu instid0(VALU_DEP_2) | instskip(NEXT) | instid1(VALU_DEP_2)
	v_mul_f32_e32 v62, v42, v62
	v_mul_f32_e32 v58, v47, v58
	s_delay_alu instid0(VALU_DEP_2) | instskip(SKIP_2) | instid1(VALU_DEP_3)
	v_bfe_u32 v66, v62, 16, 1
	v_or_b32_e32 v65, 0x400000, v62
	v_cmp_u_f32_e32 vcc_lo, v62, v62
	v_add3_u32 v64, v66, v62, 0x7fff
	v_bfe_u32 v66, v58, 16, 1
	s_wait_alu 0xfffd
	s_delay_alu instid0(VALU_DEP_2) | instskip(NEXT) | instid1(VALU_DEP_2)
	v_cndmask_b32_e32 v62, v64, v65, vcc_lo
	v_add3_u32 v64, v66, v58, 0x7fff
	v_or_b32_e32 v65, 0x400000, v58
	v_cmp_u_f32_e32 vcc_lo, v58, v58
	v_bfe_u32 v66, v67, 16, 1
	v_and_b32_e32 v62, 0xffff0000, v62
	s_wait_alu 0xfffd
	v_cndmask_b32_e32 v58, v64, v65, vcc_lo
	v_bfe_u32 v64, v59, 16, 1
	v_add3_u32 v65, v66, v67, 0x7fff
	v_cmp_u_f32_e32 vcc_lo, v67, v67
	s_delay_alu instid0(VALU_DEP_4) | instskip(NEXT) | instid1(VALU_DEP_4)
	v_and_b32_e32 v58, 0xffff0000, v58
	v_add3_u32 v64, v64, v59, 0x7fff
	s_delay_alu instid0(VALU_DEP_2) | instskip(NEXT) | instid1(VALU_DEP_1)
	v_add_f32_e32 v58, v58, v62
	v_dual_add_f32 v57, v58, v57 :: v_dual_and_b32 v68, 0xffff0000, v60
	s_delay_alu instid0(VALU_DEP_1) | instskip(SKIP_2) | instid1(VALU_DEP_1)
	v_mul_f32_e32 v66, v44, v68
	v_or_b32_e32 v68, 0x400000, v67
	s_wait_alu 0xfffd
	v_cndmask_b32_e32 v65, v65, v68, vcc_lo
	v_cmp_u_f32_e32 vcc_lo, v59, v59
	s_delay_alu instid0(VALU_DEP_2) | instskip(SKIP_2) | instid1(VALU_DEP_1)
	v_and_b32_e32 v61, 0xffff0000, v65
	s_wait_alu 0xfffd
	v_cndmask_b32_e32 v59, v64, v71, vcc_lo
	v_and_b32_e32 v59, 0xffff0000, v59
	s_delay_alu instid0(VALU_DEP_1)
	v_add_f32_e32 v58, v59, v61
	v_and_b32_e32 v59, 0xffff0000, v53
	v_lshlrev_b32_e32 v53, 16, v53
	v_lshlrev_b32_e32 v60, 16, v60
	v_bfe_u32 v72, v66, 16, 1
	v_add_f32_e32 v57, v58, v57
	v_or_b32_e32 v68, 0x400000, v66
	s_delay_alu instid0(VALU_DEP_4) | instskip(NEXT) | instid1(VALU_DEP_4)
	v_dual_mul_f32 v53, v46, v53 :: v_dual_mul_f32 v60, v45, v60
	v_add3_u32 v64, v72, v66, 0x7fff
	v_mul_f32_e32 v59, v41, v59
	s_delay_alu instid0(VALU_DEP_3) | instskip(NEXT) | instid1(VALU_DEP_4)
	v_bfe_u32 v0, v53, 16, 1
	v_bfe_u32 v67, v60, 16, 1
	v_or_b32_e32 v71, 0x400000, v60
	v_cmp_u_f32_e32 vcc_lo, v60, v60
	s_delay_alu instid0(VALU_DEP_4) | instskip(NEXT) | instid1(VALU_DEP_4)
	v_add3_u32 v0, v0, v53, 0x7fff
	v_add3_u32 v67, v67, v60, 0x7fff
	s_wait_alu 0xfffd
	s_delay_alu instid0(VALU_DEP_1) | instskip(SKIP_1) | instid1(VALU_DEP_2)
	v_cndmask_b32_e32 v60, v67, v71, vcc_lo
	v_cmp_u_f32_e32 vcc_lo, v66, v66
	v_and_b32_e32 v60, 0xffff0000, v60
	s_wait_alu 0xfffd
	v_cndmask_b32_e32 v62, v64, v68, vcc_lo
	v_cmp_u_f32_e32 vcc_lo, v59, v59
	s_delay_alu instid0(VALU_DEP_2) | instskip(SKIP_1) | instid1(VALU_DEP_2)
	v_and_b32_e32 v61, 0xffff0000, v62
	v_or_b32_e32 v62, 0x400000, v53
	v_add_f32_e32 v58, v60, v61
	v_and_b32_e32 v60, 0xffff0000, v54
	v_bfe_u32 v61, v59, 16, 1
	s_delay_alu instid0(VALU_DEP_3) | instskip(NEXT) | instid1(VALU_DEP_3)
	v_dual_add_f32 v57, v58, v57 :: v_dual_lshlrev_b32 v54, 16, v54
	v_mul_f32_e32 v58, v42, v60
	s_delay_alu instid0(VALU_DEP_3) | instskip(SKIP_2) | instid1(VALU_DEP_1)
	v_add3_u32 v60, v61, v59, 0x7fff
	v_or_b32_e32 v61, 0x400000, v59
	s_wait_alu 0xfffd
	v_cndmask_b32_e32 v59, v60, v61, vcc_lo
	v_cmp_u_f32_e32 vcc_lo, v53, v53
	v_mul_f32_e32 v53, v47, v54
	v_and_b32_e32 v61, 0xffff0000, v55
	v_lshlrev_b32_e32 v55, 16, v55
	v_and_b32_e32 v59, 0xffff0000, v59
	v_bfe_u32 v63, v58, 16, 1
	s_wait_alu 0xfffd
	v_cndmask_b32_e32 v0, v0, v62, vcc_lo
	v_or_b32_e32 v60, 0x400000, v58
	v_bfe_u32 v62, v53, 16, 1
	v_cmp_u_f32_e32 vcc_lo, v58, v58
	v_add3_u32 v54, v63, v58, 0x7fff
	v_dual_mul_f32 v58, v43, v61 :: v_dual_mul_f32 v55, v48, v55
	v_or_b32_e32 v61, 0x400000, v53
	s_wait_alu 0xfffd
	s_delay_alu instid0(VALU_DEP_3)
	v_cndmask_b32_e32 v54, v54, v60, vcc_lo
	v_add3_u32 v60, v62, v53, 0x7fff
	v_and_b32_e32 v62, 0xffff0000, v56
	v_bfe_u32 v63, v58, 16, 1
	v_cmp_u_f32_e32 vcc_lo, v53, v53
	v_bfe_u32 v64, v55, 16, 1
	v_lshlrev_b32_e32 v56, 16, v56
	s_wait_alu 0xfffd
	v_dual_cndmask_b32 v53, v60, v61 :: v_dual_and_b32 v54, 0xffff0000, v54
	v_mul_f32_e32 v60, v44, v62
	v_add3_u32 v61, v63, v58, 0x7fff
	v_or_b32_e32 v62, 0x400000, v58
	v_cmp_u_f32_e32 vcc_lo, v58, v58
	v_add3_u32 v63, v64, v55, 0x7fff
	v_or_b32_e32 v64, 0x400000, v55
	v_bfe_u32 v65, v60, 16, 1
	v_mul_f32_e32 v56, v45, v56
	s_wait_alu 0xfffd
	v_cndmask_b32_e32 v58, v61, v62, vcc_lo
	v_cmp_u_f32_e32 vcc_lo, v55, v55
	v_or_b32_e32 v62, 0x400000, v60
	v_add3_u32 v61, v65, v60, 0x7fff
	v_and_b32_e32 v53, 0xffff0000, v53
	s_wait_alu 0xfffd
	v_cndmask_b32_e32 v55, v63, v64, vcc_lo
	v_cmp_u_f32_e32 vcc_lo, v60, v60
	s_delay_alu instid0(VALU_DEP_2)
	v_dual_add_f32 v53, v53, v54 :: v_dual_and_b32 v54, 0xffff0000, v55
	s_wait_alu 0xfffd
	v_cndmask_b32_e32 v60, v61, v62, vcc_lo
	v_bfe_u32 v61, v56, 16, 1
	v_and_b32_e32 v55, 0xffff0000, v49
	v_and_b32_e32 v0, 0xffff0000, v0
	v_cmp_u_f32_e32 vcc_lo, v56, v56
	v_lshlrev_b32_e32 v49, 16, v49
	v_and_b32_e32 v62, 0xffff0000, v52
	s_delay_alu instid0(VALU_DEP_4) | instskip(SKIP_2) | instid1(VALU_DEP_3)
	v_add_f32_e32 v0, v0, v59
	v_add3_u32 v59, v61, v56, 0x7fff
	v_or_b32_e32 v61, 0x400000, v56
	v_dual_mul_f32 v49, v46, v49 :: v_dual_add_f32 v0, v53, v0
	v_mul_f32_e32 v53, v41, v55
	s_wait_alu 0xfffd
	s_delay_alu instid0(VALU_DEP_3)
	v_cndmask_b32_e32 v55, v59, v61, vcc_lo
	v_and_b32_e32 v61, 0xffff0000, v51
	v_bfe_u32 v59, v49, 16, 1
	v_lshlrev_b32_e32 v51, 16, v51
	v_bfe_u32 v56, v53, 16, 1
	v_cmp_u_f32_e32 vcc_lo, v53, v53
	v_dual_mul_f32 v61, v43, v61 :: v_dual_and_b32 v58, 0xffff0000, v58
	s_delay_alu instid0(VALU_DEP_4) | instskip(NEXT) | instid1(VALU_DEP_4)
	v_mul_f32_e32 v51, v48, v51
	v_add3_u32 v56, v56, v53, 0x7fff
	s_delay_alu instid0(VALU_DEP_3) | instskip(SKIP_1) | instid1(VALU_DEP_4)
	v_dual_add_f32 v54, v54, v58 :: v_dual_and_b32 v55, 0xffff0000, v55
	v_or_b32_e32 v58, 0x400000, v53
	v_or_b32_e32 v63, 0x400000, v51
	s_wait_alu 0xfffd
	s_delay_alu instid0(VALU_DEP_2) | instskip(SKIP_3) | instid1(VALU_DEP_4)
	v_dual_add_f32 v0, v54, v0 :: v_dual_cndmask_b32 v53, v56, v58
	v_add3_u32 v56, v59, v49, 0x7fff
	v_or_b32_e32 v58, 0x400000, v49
	v_cmp_u_f32_e32 vcc_lo, v49, v49
	v_and_b32_e32 v53, 0xffff0000, v53
	s_wait_alu 0xfffd
	s_delay_alu instid0(VALU_DEP_3) | instskip(NEXT) | instid1(VALU_DEP_1)
	v_cndmask_b32_e32 v49, v56, v58, vcc_lo
	v_and_b32_e32 v49, 0xffff0000, v49
	s_delay_alu instid0(VALU_DEP_1) | instskip(SKIP_1) | instid1(VALU_DEP_2)
	v_dual_add_f32 v49, v49, v53 :: v_dual_and_b32 v54, 0xffff0000, v50
	v_lshlrev_b32_e32 v50, 16, v50
	v_mul_f32_e32 v54, v42, v54
	s_delay_alu instid0(VALU_DEP_2) | instskip(NEXT) | instid1(VALU_DEP_2)
	v_mul_f32_e32 v50, v47, v50
	v_bfe_u32 v59, v54, 16, 1
	v_or_b32_e32 v58, 0x400000, v54
	v_cmp_u_f32_e32 vcc_lo, v54, v54
	s_delay_alu instid0(VALU_DEP_3) | instskip(SKIP_2) | instid1(VALU_DEP_2)
	v_add3_u32 v56, v59, v54, 0x7fff
	v_bfe_u32 v59, v50, 16, 1
	s_wait_alu 0xfffd
	v_cndmask_b32_e32 v54, v56, v58, vcc_lo
	s_delay_alu instid0(VALU_DEP_2)
	v_add3_u32 v56, v59, v50, 0x7fff
	v_or_b32_e32 v58, 0x400000, v50
	v_bfe_u32 v59, v61, 16, 1
	v_cmp_u_f32_e32 vcc_lo, v50, v50
	v_and_b32_e32 v54, 0xffff0000, v54
	s_wait_alu 0xfffd
	v_cndmask_b32_e32 v50, v56, v58, vcc_lo
	v_bfe_u32 v56, v51, 16, 1
	v_add3_u32 v58, v59, v61, 0x7fff
	v_mul_f32_e32 v59, v44, v62
	v_or_b32_e32 v62, 0x400000, v61
	v_cmp_u_f32_e32 vcc_lo, v61, v61
	v_add3_u32 v56, v56, v51, 0x7fff
	v_and_b32_e32 v50, 0xffff0000, v50
	v_bfe_u32 v64, v59, 16, 1
	s_wait_alu 0xfffd
	v_cndmask_b32_e32 v58, v58, v62, vcc_lo
	v_cmp_u_f32_e32 vcc_lo, v51, v51
	v_add_f32_e32 v50, v50, v54
	s_delay_alu instid0(VALU_DEP_3) | instskip(SKIP_2) | instid1(VALU_DEP_3)
	v_and_b32_e32 v53, 0xffff0000, v58
	s_wait_alu 0xfffd
	v_cndmask_b32_e32 v51, v56, v63, vcc_lo
	v_add_f32_e32 v49, v50, v49
	v_add3_u32 v56, v64, v59, 0x7fff
	v_or_b32_e32 v63, 0x400000, v59
	s_delay_alu instid0(VALU_DEP_4) | instskip(NEXT) | instid1(VALU_DEP_1)
	v_and_b32_e32 v51, 0xffff0000, v51
	v_add_f32_e32 v50, v51, v53
	v_and_b32_e32 v53, 0xffff0000, v37
	v_lshlrev_b32_e32 v37, 16, v37
	s_delay_alu instid0(VALU_DEP_3) | instskip(NEXT) | instid1(VALU_DEP_1)
	v_dual_add_f32 v49, v50, v49 :: v_dual_lshlrev_b32 v52, 16, v52
	v_dual_mul_f32 v37, v46, v37 :: v_dual_mul_f32 v52, v45, v52
	s_delay_alu instid0(VALU_DEP_1) | instskip(SKIP_2) | instid1(VALU_DEP_3)
	v_bfe_u32 v65, v52, 16, 1
	v_or_b32_e32 v62, 0x400000, v52
	v_cmp_u_f32_e32 vcc_lo, v52, v52
	v_add3_u32 v61, v65, v52, 0x7fff
	s_wait_alu 0xfffd
	s_delay_alu instid0(VALU_DEP_1) | instskip(SKIP_2) | instid1(VALU_DEP_2)
	v_cndmask_b32_e32 v52, v61, v62, vcc_lo
	v_cmp_u_f32_e32 vcc_lo, v59, v59
	s_wait_alu 0xfffd
	v_dual_cndmask_b32 v54, v56, v63 :: v_dual_and_b32 v51, 0xffff0000, v52
	s_delay_alu instid0(VALU_DEP_1) | instskip(NEXT) | instid1(VALU_DEP_1)
	v_and_b32_e32 v52, 0xffff0000, v54
	v_add_f32_e32 v50, v51, v52
	v_and_b32_e32 v52, 0xffff0000, v38
	v_lshlrev_b32_e32 v38, 16, v38
	v_dual_mul_f32 v51, v41, v53 :: v_dual_and_b32 v56, 0xffff0000, v60
	s_delay_alu instid0(VALU_DEP_4) | instskip(SKIP_2) | instid1(VALU_DEP_4)
	v_add_f32_e32 v49, v50, v49
	v_or_b32_e32 v53, 0x400000, v37
	v_mul_f32_e32 v52, v42, v52
	v_add_f32_e32 v54, v55, v56
	v_bfe_u32 v50, v51, 16, 1
	v_add_f32_e32 v82, v82, v49
	v_cmp_u_f32_e32 vcc_lo, v51, v51
	s_delay_alu instid0(VALU_DEP_4) | instskip(NEXT) | instid1(VALU_DEP_4)
	v_add_f32_e32 v0, v54, v0
	v_add3_u32 v49, v50, v51, 0x7fff
	v_or_b32_e32 v50, 0x400000, v51
	v_and_b32_e32 v54, 0xffff0000, v40
	v_lshlrev_b32_e32 v40, 16, v40
	v_add_f32_e32 v81, v81, v0
	v_bfe_u32 v0, v37, 16, 1
	s_wait_alu 0xfffd
	v_cndmask_b32_e32 v49, v49, v50, vcc_lo
	v_cmp_u_f32_e32 vcc_lo, v37, v37
	v_mul_f32_e32 v40, v45, v40
	v_add3_u32 v0, v0, v37, 0x7fff
	s_delay_alu instid0(VALU_DEP_4) | instskip(SKIP_1) | instid1(VALU_DEP_2)
	v_and_b32_e32 v49, 0xffff0000, v49
	s_wait_alu 0xfffd
	v_cndmask_b32_e32 v0, v0, v53, vcc_lo
	s_delay_alu instid0(VALU_DEP_1) | instskip(NEXT) | instid1(VALU_DEP_1)
	v_and_b32_e32 v0, 0xffff0000, v0
	v_add_f32_e32 v0, v0, v49
	v_and_b32_e32 v49, 0xffff0000, v33
	v_lshlrev_b32_e32 v33, 16, v33
	v_bfe_u32 v50, v52, 16, 1
	v_or_b32_e32 v51, 0x400000, v52
	v_cmp_u_f32_e32 vcc_lo, v52, v52
	s_delay_alu instid0(VALU_DEP_4) | instskip(SKIP_3) | instid1(VALU_DEP_3)
	v_mul_f32_e32 v33, v46, v33
	v_dual_mul_f32 v37, v47, v38 :: v_dual_and_b32 v38, 0xffff0000, v39
	v_add3_u32 v50, v50, v52, 0x7fff
	v_lshlrev_b32_e32 v39, 16, v39
	v_bfe_u32 v53, v37, 16, 1
	s_delay_alu instid0(VALU_DEP_4)
	v_mul_f32_e32 v38, v43, v38
	s_wait_alu 0xfffd
	v_cndmask_b32_e32 v50, v50, v51, vcc_lo
	v_mul_f32_e32 v39, v48, v39
	v_or_b32_e32 v52, 0x400000, v37
	v_add3_u32 v51, v53, v37, 0x7fff
	v_bfe_u32 v53, v38, 16, 1
	v_cmp_u_f32_e32 vcc_lo, v37, v37
	v_bfe_u32 v55, v39, 16, 1
	s_wait_alu 0xfffd
	v_dual_cndmask_b32 v37, v51, v52 :: v_dual_and_b32 v50, 0xffff0000, v50
	v_add3_u32 v51, v53, v38, 0x7fff
	v_mul_f32_e32 v52, v44, v54
	v_or_b32_e32 v53, 0x400000, v38
	v_cmp_u_f32_e32 vcc_lo, v38, v38
	v_add3_u32 v54, v55, v39, 0x7fff
	v_or_b32_e32 v55, 0x400000, v39
	v_bfe_u32 v56, v52, 16, 1
	v_and_b32_e32 v37, 0xffff0000, v37
	s_wait_alu 0xfffd
	v_cndmask_b32_e32 v38, v51, v53, vcc_lo
	v_cmp_u_f32_e32 vcc_lo, v39, v39
	v_or_b32_e32 v53, 0x400000, v52
	v_add3_u32 v51, v56, v52, 0x7fff
	v_add_f32_e32 v37, v37, v50
	s_wait_alu 0xfffd
	v_dual_cndmask_b32 v39, v54, v55 :: v_dual_and_b32 v38, 0xffff0000, v38
	v_bfe_u32 v54, v40, 16, 1
	v_cmp_u_f32_e32 vcc_lo, v52, v52
	v_add_f32_e32 v0, v37, v0
	v_mul_f32_e32 v37, v41, v49
	v_and_b32_e32 v39, 0xffff0000, v39
	v_add3_u32 v52, v54, v40, 0x7fff
	s_wait_alu 0xfffd
	v_cndmask_b32_e32 v51, v51, v53, vcc_lo
	v_or_b32_e32 v53, 0x400000, v40
	v_cmp_u_f32_e32 vcc_lo, v40, v40
	v_add_f32_e32 v38, v39, v38
	v_bfe_u32 v49, v37, 16, 1
	v_bfe_u32 v50, v33, 16, 1
	s_wait_alu 0xfffd
	v_cndmask_b32_e32 v40, v52, v53, vcc_lo
	v_add_f32_e32 v80, v80, v57
	v_cmp_u_f32_e32 vcc_lo, v37, v37
	v_and_b32_e32 v52, 0xffff0000, v36
	v_lshlrev_b32_e32 v36, 16, v36
	v_and_b32_e32 v39, 0xffff0000, v40
	v_and_b32_e32 v40, 0xffff0000, v51
	;; [unrolled: 1-line block ×3, first 2 shown]
	s_delay_alu instid0(VALU_DEP_4) | instskip(NEXT) | instid1(VALU_DEP_3)
	v_dual_mul_f32 v36, v45, v36 :: v_dual_lshlrev_b32 v35, 16, v35
	v_add_f32_e32 v39, v39, v40
	v_add3_u32 v40, v49, v37, 0x7fff
	v_or_b32_e32 v49, 0x400000, v37
	v_mul_f32_e32 v51, v43, v51
	v_mul_f32_e32 v35, v48, v35
	s_wait_alu 0xfffd
	s_delay_alu instid0(VALU_DEP_3)
	v_cndmask_b32_e32 v37, v40, v49, vcc_lo
	v_add3_u32 v40, v50, v33, 0x7fff
	v_or_b32_e32 v49, 0x400000, v33
	v_cmp_u_f32_e32 vcc_lo, v33, v33
	v_or_b32_e32 v53, 0x400000, v35
	v_dual_add_f32 v0, v38, v0 :: v_dual_and_b32 v37, 0xffff0000, v37
	v_and_b32_e32 v38, 0xffff0000, v34
	s_wait_alu 0xfffd
	v_dual_cndmask_b32 v33, v40, v49 :: v_dual_lshlrev_b32 v34, 16, v34
	s_delay_alu instid0(VALU_DEP_2) | instskip(NEXT) | instid1(VALU_DEP_2)
	v_mul_f32_e32 v38, v42, v38
	v_dual_mul_f32 v34, v47, v34 :: v_dual_and_b32 v33, 0xffff0000, v33
	s_delay_alu instid0(VALU_DEP_2) | instskip(SKIP_2) | instid1(VALU_DEP_4)
	v_bfe_u32 v50, v38, 16, 1
	v_or_b32_e32 v49, 0x400000, v38
	v_cmp_u_f32_e32 vcc_lo, v38, v38
	v_add_f32_e32 v33, v33, v37
	s_delay_alu instid0(VALU_DEP_4) | instskip(SKIP_2) | instid1(VALU_DEP_2)
	v_add3_u32 v40, v50, v38, 0x7fff
	v_bfe_u32 v50, v34, 16, 1
	s_wait_alu 0xfffd
	v_cndmask_b32_e32 v38, v40, v49, vcc_lo
	s_delay_alu instid0(VALU_DEP_2)
	v_add3_u32 v40, v50, v34, 0x7fff
	v_or_b32_e32 v49, 0x400000, v34
	v_bfe_u32 v50, v51, 16, 1
	v_cmp_u_f32_e32 vcc_lo, v34, v34
	v_and_b32_e32 v38, 0xffff0000, v38
	s_wait_alu 0xfffd
	v_cndmask_b32_e32 v34, v40, v49, vcc_lo
	v_bfe_u32 v40, v35, 16, 1
	v_add3_u32 v49, v50, v51, 0x7fff
	v_mul_f32_e32 v50, v44, v52
	v_or_b32_e32 v52, 0x400000, v51
	v_cmp_u_f32_e32 vcc_lo, v51, v51
	v_add3_u32 v40, v40, v35, 0x7fff
	v_bfe_u32 v51, v36, 16, 1
	v_bfe_u32 v54, v50, 16, 1
	s_wait_alu 0xfffd
	v_dual_cndmask_b32 v49, v49, v52 :: v_dual_and_b32 v34, 0xffff0000, v34
	v_cmp_u_f32_e32 vcc_lo, v35, v35
	v_add3_u32 v51, v51, v36, 0x7fff
	v_or_b32_e32 v52, 0x400000, v50
	s_delay_alu instid0(VALU_DEP_4)
	v_dual_add_f32 v34, v34, v38 :: v_dual_and_b32 v37, 0xffff0000, v49
	s_wait_alu 0xfffd
	v_cndmask_b32_e32 v35, v40, v53, vcc_lo
	v_or_b32_e32 v53, 0x400000, v36
	v_cmp_u_f32_e32 vcc_lo, v36, v36
	v_add3_u32 v40, v54, v50, 0x7fff
	v_add_f32_e32 v33, v34, v33
	s_wait_alu 0xfffd
	v_dual_cndmask_b32 v36, v51, v53 :: v_dual_and_b32 v35, 0xffff0000, v35
	v_cmp_u_f32_e32 vcc_lo, v50, v50
	s_delay_alu instid0(VALU_DEP_2) | instskip(SKIP_1) | instid1(VALU_DEP_4)
	v_add_f32_e32 v34, v35, v37
	v_and_b32_e32 v35, 0xffff0000, v29
	v_and_b32_e32 v36, 0xffff0000, v36
	s_wait_alu 0xfffd
	v_dual_cndmask_b32 v38, v40, v52 :: v_dual_lshlrev_b32 v29, 16, v29
	s_delay_alu instid0(VALU_DEP_3) | instskip(SKIP_1) | instid1(VALU_DEP_3)
	v_dual_add_f32 v0, v39, v0 :: v_dual_mul_f32 v35, v41, v35
	v_add_f32_e32 v33, v34, v33
	v_and_b32_e32 v37, 0xffff0000, v38
	s_delay_alu instid0(VALU_DEP_4) | instskip(NEXT) | instid1(VALU_DEP_4)
	v_mul_f32_e32 v29, v46, v29
	v_add_f32_e32 v83, v83, v0
	v_cmp_u_f32_e32 vcc_lo, v35, v35
	s_delay_alu instid0(VALU_DEP_4) | instskip(SKIP_3) | instid1(VALU_DEP_4)
	v_add_f32_e32 v34, v36, v37
	v_and_b32_e32 v36, 0xffff0000, v30
	v_bfe_u32 v37, v35, 16, 1
	v_bfe_u32 v0, v29, 16, 1
	v_dual_add_f32 v33, v34, v33 :: v_dual_lshlrev_b32 v30, 16, v30
	s_delay_alu instid0(VALU_DEP_4) | instskip(NEXT) | instid1(VALU_DEP_4)
	v_mul_f32_e32 v34, v42, v36
	v_add3_u32 v36, v37, v35, 0x7fff
	v_or_b32_e32 v37, 0x400000, v35
	v_add3_u32 v0, v0, v29, 0x7fff
	v_or_b32_e32 v38, 0x400000, v29
	v_bfe_u32 v39, v34, 16, 1
	s_wait_alu 0xfffd
	v_cndmask_b32_e32 v35, v36, v37, vcc_lo
	v_cmp_u_f32_e32 vcc_lo, v29, v29
	v_mul_f32_e32 v29, v47, v30
	v_and_b32_e32 v37, 0xffff0000, v31
	v_add3_u32 v30, v39, v34, 0x7fff
	v_or_b32_e32 v36, 0x400000, v34
	s_wait_alu 0xfffd
	v_dual_cndmask_b32 v0, v0, v38 :: v_dual_lshlrev_b32 v31, 16, v31
	v_bfe_u32 v38, v29, 16, 1
	v_cmp_u_f32_e32 vcc_lo, v34, v34
	v_mul_f32_e32 v34, v43, v37
	v_or_b32_e32 v37, 0x400000, v29
	v_dual_mul_f32 v31, v48, v31 :: v_dual_and_b32 v0, 0xffff0000, v0
	s_wait_alu 0xfffd
	v_cndmask_b32_e32 v30, v30, v36, vcc_lo
	v_add3_u32 v36, v38, v29, 0x7fff
	v_and_b32_e32 v38, 0xffff0000, v32
	v_bfe_u32 v39, v34, 16, 1
	v_cmp_u_f32_e32 vcc_lo, v29, v29
	v_bfe_u32 v40, v31, 16, 1
	v_and_b32_e32 v35, 0xffff0000, v35
	s_wait_alu 0xfffd
	v_dual_cndmask_b32 v29, v36, v37 :: v_dual_and_b32 v30, 0xffff0000, v30
	v_mul_f32_e32 v36, v44, v38
	v_add3_u32 v37, v39, v34, 0x7fff
	v_or_b32_e32 v38, 0x400000, v34
	v_cmp_u_f32_e32 vcc_lo, v34, v34
	v_add3_u32 v39, v40, v31, 0x7fff
	v_or_b32_e32 v40, 0x400000, v31
	v_bfe_u32 v49, v36, 16, 1
	s_wait_alu 0xfffd
	v_dual_cndmask_b32 v34, v37, v38 :: v_dual_and_b32 v29, 0xffff0000, v29
	v_cmp_u_f32_e32 vcc_lo, v31, v31
	v_or_b32_e32 v38, 0x400000, v36
	v_add3_u32 v37, v49, v36, 0x7fff
	s_delay_alu instid0(VALU_DEP_4)
	v_dual_add_f32 v0, v0, v35 :: v_dual_add_f32 v29, v29, v30
	s_wait_alu 0xfffd
	v_cndmask_b32_e32 v31, v39, v40, vcc_lo
	v_cmp_u_f32_e32 vcc_lo, v36, v36
	v_and_b32_e32 v34, 0xffff0000, v34
	v_add_f32_e32 v0, v29, v0
	s_delay_alu instid0(VALU_DEP_4)
	v_and_b32_e32 v30, 0xffff0000, v31
	s_wait_alu 0xfffd
	v_cndmask_b32_e32 v36, v37, v38, vcc_lo
	v_and_b32_e32 v38, 0xffff0000, v28
	v_lshlrev_b32_e32 v32, 16, v32
	v_dual_add_f32 v30, v30, v34 :: v_dual_and_b32 v31, 0xffff0000, v25
	v_lshlrev_b32_e32 v25, 16, v25
	v_lshlrev_b32_e32 v28, 16, v28
	s_delay_alu instid0(VALU_DEP_4) | instskip(NEXT) | instid1(VALU_DEP_4)
	v_mul_f32_e32 v32, v45, v32
	v_dual_mul_f32 v29, v41, v31 :: v_dual_add_f32 v0, v30, v0
	s_delay_alu instid0(VALU_DEP_4) | instskip(NEXT) | instid1(VALU_DEP_3)
	v_dual_mul_f32 v25, v46, v25 :: v_dual_and_b32 v30, 0xffff0000, v26
	v_bfe_u32 v37, v32, 16, 1
	v_cmp_u_f32_e32 vcc_lo, v32, v32
	s_delay_alu instid0(VALU_DEP_4)
	v_or_b32_e32 v34, 0x400000, v29
	v_lshlrev_b32_e32 v26, 16, v26
	v_mul_f32_e32 v30, v42, v30
	v_add3_u32 v35, v37, v32, 0x7fff
	v_or_b32_e32 v37, 0x400000, v32
	v_bfe_u32 v32, v29, 16, 1
	v_mul_f32_e32 v26, v47, v26
	s_wait_alu 0xfffd
	s_delay_alu instid0(VALU_DEP_3) | instskip(NEXT) | instid1(VALU_DEP_3)
	v_dual_mul_f32 v28, v45, v28 :: v_dual_cndmask_b32 v31, v35, v37
	v_add3_u32 v32, v32, v29, 0x7fff
	v_bfe_u32 v35, v25, 16, 1
	v_cmp_u_f32_e32 vcc_lo, v29, v29
	v_and_b32_e32 v37, 0xffff0000, v27
	v_lshlrev_b32_e32 v27, 16, v27
	v_bfe_u32 v49, v28, 16, 1
	v_and_b32_e32 v31, 0xffff0000, v31
	s_wait_alu 0xfffd
	v_cndmask_b32_e32 v29, v32, v34, vcc_lo
	v_add3_u32 v32, v35, v25, 0x7fff
	v_or_b32_e32 v34, 0x400000, v25
	v_bfe_u32 v35, v30, 16, 1
	v_cmp_u_f32_e32 vcc_lo, v25, v25
	v_mul_f32_e32 v37, v43, v37
	v_mul_f32_e32 v27, v48, v27
	v_and_b32_e32 v29, 0xffff0000, v29
	s_wait_alu 0xfffd
	v_cndmask_b32_e32 v25, v32, v34, vcc_lo
	v_add3_u32 v32, v35, v30, 0x7fff
	v_or_b32_e32 v34, 0x400000, v30
	v_bfe_u32 v35, v26, 16, 1
	v_cmp_u_f32_e32 vcc_lo, v30, v30
	v_or_b32_e32 v39, 0x400000, v27
	s_wait_alu 0xfffd
	v_dual_cndmask_b32 v30, v32, v34 :: v_dual_and_b32 v25, 0xffff0000, v25
	v_add3_u32 v32, v35, v26, 0x7fff
	v_or_b32_e32 v34, 0x400000, v26
	v_bfe_u32 v35, v37, 16, 1
	v_cmp_u_f32_e32 vcc_lo, v26, v26
	v_dual_add_f32 v25, v25, v29 :: v_dual_and_b32 v30, 0xffff0000, v30
	s_wait_alu 0xfffd
	v_cndmask_b32_e32 v26, v32, v34, vcc_lo
	v_bfe_u32 v32, v27, 16, 1
	v_add3_u32 v34, v35, v37, 0x7fff
	v_mul_f32_e32 v35, v44, v38
	v_or_b32_e32 v38, 0x400000, v37
	v_cmp_u_f32_e32 vcc_lo, v37, v37
	v_add3_u32 v32, v32, v27, 0x7fff
	v_add3_u32 v37, v49, v28, 0x7fff
	v_bfe_u32 v40, v35, 16, 1
	v_and_b32_e32 v26, 0xffff0000, v26
	s_wait_alu 0xfffd
	v_cndmask_b32_e32 v34, v34, v38, vcc_lo
	v_cmp_u_f32_e32 vcc_lo, v27, v27
	v_or_b32_e32 v38, 0x400000, v28
	v_add_f32_e32 v26, v26, v30
	s_delay_alu instid0(VALU_DEP_4)
	v_and_b32_e32 v29, 0xffff0000, v34
	s_wait_alu 0xfffd
	v_cndmask_b32_e32 v27, v32, v39, vcc_lo
	v_cmp_u_f32_e32 vcc_lo, v28, v28
	v_add3_u32 v32, v40, v35, 0x7fff
	v_or_b32_e32 v39, 0x400000, v35
	v_add_f32_e32 v25, v26, v25
	s_wait_alu 0xfffd
	v_dual_cndmask_b32 v28, v37, v38 :: v_dual_and_b32 v27, 0xffff0000, v27
	v_cmp_u_f32_e32 vcc_lo, v35, v35
	s_delay_alu instid0(VALU_DEP_2)
	v_dual_add_f32 v26, v27, v29 :: v_dual_and_b32 v27, 0xffff0000, v28
	s_wait_alu 0xfffd
	v_cndmask_b32_e32 v30, v32, v39, vcc_lo
	v_and_b32_e32 v32, 0xffff0000, v36
	v_and_b32_e32 v29, 0xffff0000, v17
	v_lshlrev_b32_e32 v17, 16, v17
	s_delay_alu instid0(VALU_DEP_4) | instskip(NEXT) | instid1(VALU_DEP_2)
	v_dual_add_f32 v25, v26, v25 :: v_dual_and_b32 v28, 0xffff0000, v30
	v_dual_add_f32 v30, v31, v32 :: v_dual_mul_f32 v17, v46, v17
	s_delay_alu instid0(VALU_DEP_2) | instskip(NEXT) | instid1(VALU_DEP_2)
	v_dual_add_f32 v26, v27, v28 :: v_dual_mul_f32 v27, v41, v29
	v_add_f32_e32 v0, v30, v0
	v_and_b32_e32 v28, 0xffff0000, v18
	s_delay_alu instid0(VALU_DEP_3) | instskip(NEXT) | instid1(VALU_DEP_4)
	v_dual_add_f32 v25, v26, v25 :: v_dual_lshlrev_b32 v18, 16, v18
	v_bfe_u32 v26, v27, 16, 1
	s_delay_alu instid0(VALU_DEP_4)
	v_add_f32_e32 v85, v85, v0
	v_bfe_u32 v0, v17, 16, 1
	v_mul_f32_e32 v28, v42, v28
	v_add_f32_e32 v86, v86, v25
	v_add3_u32 v25, v26, v27, 0x7fff
	v_or_b32_e32 v26, 0x400000, v27
	v_cmp_u_f32_e32 vcc_lo, v27, v27
	v_add3_u32 v0, v0, v17, 0x7fff
	v_or_b32_e32 v29, 0x400000, v17
	v_or_b32_e32 v27, 0x400000, v28
	s_wait_alu 0xfffd
	v_dual_cndmask_b32 v25, v25, v26 :: v_dual_and_b32 v30, 0xffff0000, v20
	v_bfe_u32 v26, v28, 16, 1
	v_cmp_u_f32_e32 vcc_lo, v17, v17
	v_dual_mul_f32 v17, v47, v18 :: v_dual_and_b32 v18, 0xffff0000, v19
	v_lshlrev_b32_e32 v19, 16, v19
	s_delay_alu instid0(VALU_DEP_4)
	v_add3_u32 v26, v26, v28, 0x7fff
	s_wait_alu 0xfffd
	v_cndmask_b32_e32 v0, v0, v29, vcc_lo
	v_bfe_u32 v29, v17, 16, 1
	v_mul_f32_e32 v18, v43, v18
	v_cmp_u_f32_e32 vcc_lo, v28, v28
	v_mul_f32_e32 v19, v48, v19
	v_or_b32_e32 v28, 0x400000, v17
	v_lshlrev_b32_e32 v20, 16, v20
	v_and_b32_e32 v0, 0xffff0000, v0
	s_wait_alu 0xfffd
	v_cndmask_b32_e32 v26, v26, v27, vcc_lo
	v_add3_u32 v27, v29, v17, 0x7fff
	v_bfe_u32 v29, v18, 16, 1
	v_cmp_u_f32_e32 vcc_lo, v17, v17
	v_bfe_u32 v31, v19, 16, 1
	v_dual_mul_f32 v20, v45, v20 :: v_dual_and_b32 v25, 0xffff0000, v25
	s_wait_alu 0xfffd
	v_dual_cndmask_b32 v17, v27, v28 :: v_dual_and_b32 v26, 0xffff0000, v26
	v_add3_u32 v27, v29, v18, 0x7fff
	v_mul_f32_e32 v28, v44, v30
	v_or_b32_e32 v29, 0x400000, v18
	v_cmp_u_f32_e32 vcc_lo, v18, v18
	v_add3_u32 v30, v31, v19, 0x7fff
	v_or_b32_e32 v31, 0x400000, v19
	v_bfe_u32 v32, v28, 16, 1
	v_and_b32_e32 v17, 0xffff0000, v17
	s_wait_alu 0xfffd
	v_cndmask_b32_e32 v18, v27, v29, vcc_lo
	v_cmp_u_f32_e32 vcc_lo, v19, v19
	v_or_b32_e32 v29, 0x400000, v28
	v_add3_u32 v27, v32, v28, 0x7fff
	v_dual_add_f32 v0, v0, v25 :: v_dual_add_f32 v17, v17, v26
	s_wait_alu 0xfffd
	v_cndmask_b32_e32 v19, v30, v31, vcc_lo
	v_bfe_u32 v30, v20, 16, 1
	v_cmp_u_f32_e32 vcc_lo, v28, v28
	v_and_b32_e32 v25, 0xffff0000, v13
	v_and_b32_e32 v18, 0xffff0000, v18
	;; [unrolled: 1-line block ×3, first 2 shown]
	v_add3_u32 v28, v30, v20, 0x7fff
	s_wait_alu 0xfffd
	v_cndmask_b32_e32 v27, v27, v29, vcc_lo
	v_or_b32_e32 v29, 0x400000, v20
	v_cmp_u_f32_e32 vcc_lo, v20, v20
	v_dual_add_f32 v0, v17, v0 :: v_dual_lshlrev_b32 v13, 16, v13
	v_dual_mul_f32 v17, v41, v25 :: v_dual_add_f32 v18, v19, v18
	s_wait_alu 0xfffd
	v_cndmask_b32_e32 v20, v28, v29, vcc_lo
	s_delay_alu instid0(VALU_DEP_3) | instskip(NEXT) | instid1(VALU_DEP_3)
	v_dual_mul_f32 v13, v46, v13 :: v_dual_and_b32 v26, 0xffff0000, v14
	v_bfe_u32 v25, v17, 16, 1
	v_add_f32_e32 v0, v18, v0
	s_delay_alu instid0(VALU_DEP_4)
	v_and_b32_e32 v19, 0xffff0000, v20
	v_and_b32_e32 v20, 0xffff0000, v27
	v_bfe_u32 v18, v13, 16, 1
	v_cmp_u_f32_e32 vcc_lo, v17, v17
	v_mul_f32_e32 v26, v42, v26
	v_or_b32_e32 v27, 0x400000, v13
	v_add_f32_e32 v19, v19, v20
	v_add3_u32 v20, v25, v17, 0x7fff
	v_or_b32_e32 v25, 0x400000, v17
	v_add3_u32 v18, v18, v13, 0x7fff
	v_lshlrev_b32_e32 v14, 16, v14
	v_and_b32_e32 v28, 0xffff0000, v16
	s_wait_alu 0xfffd
	v_dual_cndmask_b32 v17, v20, v25 :: v_dual_lshlrev_b32 v16, 16, v16
	v_cmp_u_f32_e32 vcc_lo, v13, v13
	v_add_f32_e32 v84, v84, v33
	v_bfe_u32 v20, v26, 16, 1
	v_mul_f32_e32 v14, v47, v14
	v_or_b32_e32 v25, 0x400000, v26
	s_wait_alu 0xfffd
	v_cndmask_b32_e32 v13, v18, v27, vcc_lo
	v_and_b32_e32 v18, 0xffff0000, v15
	v_add3_u32 v20, v20, v26, 0x7fff
	v_lshlrev_b32_e32 v15, 16, v15
	v_bfe_u32 v27, v14, 16, 1
	v_cmp_u_f32_e32 vcc_lo, v26, v26
	v_mul_f32_e32 v18, v43, v18
	v_or_b32_e32 v26, 0x400000, v14
	v_dual_mul_f32 v15, v48, v15 :: v_dual_mul_f32 v16, v45, v16
	s_wait_alu 0xfffd
	v_cndmask_b32_e32 v20, v20, v25, vcc_lo
	v_add3_u32 v25, v27, v14, 0x7fff
	v_bfe_u32 v27, v18, 16, 1
	v_cmp_u_f32_e32 vcc_lo, v14, v14
	v_bfe_u32 v29, v15, 16, 1
	v_and_b32_e32 v13, 0xffff0000, v13
	v_and_b32_e32 v17, 0xffff0000, v17
	;; [unrolled: 1-line block ×3, first 2 shown]
	s_wait_alu 0xfffd
	v_cndmask_b32_e32 v14, v25, v26, vcc_lo
	v_add3_u32 v25, v27, v18, 0x7fff
	v_mul_f32_e32 v26, v44, v28
	v_or_b32_e32 v27, 0x400000, v18
	v_cmp_u_f32_e32 vcc_lo, v18, v18
	v_add3_u32 v28, v29, v15, 0x7fff
	v_or_b32_e32 v29, 0x400000, v15
	v_bfe_u32 v30, v26, 16, 1
	v_and_b32_e32 v14, 0xffff0000, v14
	s_wait_alu 0xfffd
	v_cndmask_b32_e32 v18, v25, v27, vcc_lo
	v_cmp_u_f32_e32 vcc_lo, v15, v15
	v_or_b32_e32 v27, 0x400000, v26
	v_add3_u32 v25, v30, v26, 0x7fff
	v_dual_add_f32 v13, v13, v17 :: v_dual_add_f32 v14, v14, v20
	s_wait_alu 0xfffd
	v_cndmask_b32_e32 v15, v28, v29, vcc_lo
	v_bfe_u32 v28, v16, 16, 1
	v_cmp_u_f32_e32 vcc_lo, v26, v26
	v_and_b32_e32 v17, 0xffff0000, v18
	v_add_f32_e32 v13, v14, v13
	v_and_b32_e32 v15, 0xffff0000, v15
	v_add3_u32 v26, v28, v16, 0x7fff
	s_wait_alu 0xfffd
	v_cndmask_b32_e32 v25, v25, v27, vcc_lo
	v_or_b32_e32 v27, 0x400000, v16
	v_cmp_u_f32_e32 vcc_lo, v16, v16
	v_and_b32_e32 v14, 0xffff0000, v9
	v_add_f32_e32 v15, v15, v17
	v_lshlrev_b32_e32 v9, 16, v9
	s_wait_alu 0xfffd
	v_dual_cndmask_b32 v16, v26, v27 :: v_dual_and_b32 v17, 0xffff0000, v25
	v_mul_f32_e32 v14, v41, v14
	s_delay_alu instid0(VALU_DEP_3) | instskip(NEXT) | instid1(VALU_DEP_3)
	v_mul_f32_e32 v18, v46, v9
	v_dual_add_f32 v9, v15, v13 :: v_dual_and_b32 v16, 0xffff0000, v16
	s_delay_alu instid0(VALU_DEP_3) | instskip(SKIP_1) | instid1(VALU_DEP_3)
	v_bfe_u32 v15, v14, 16, 1
	v_cmp_u_f32_e32 vcc_lo, v14, v14
	v_dual_add_f32 v13, v16, v17 :: v_dual_and_b32 v16, 0xffff0000, v10
	v_lshlrev_b32_e32 v10, 16, v10
	v_or_b32_e32 v17, 0x400000, v18
	s_delay_alu instid0(VALU_DEP_3)
	v_add_f32_e32 v9, v13, v9
	v_add3_u32 v13, v15, v14, 0x7fff
	v_or_b32_e32 v15, 0x400000, v14
	v_mul_f32_e32 v16, v42, v16
	v_mul_f32_e32 v10, v47, v10
	s_wait_alu 0xfffd
	s_delay_alu instid0(VALU_DEP_3)
	v_dual_add_f32 v88, v88, v9 :: v_dual_cndmask_b32 v13, v13, v15
	v_and_b32_e32 v15, 0xffff0000, v11
	v_bfe_u32 v14, v16, 16, 1
	v_cmp_u_f32_e32 vcc_lo, v18, v18
	v_lshlrev_b32_e32 v11, 16, v11
	v_and_b32_e32 v13, 0xffff0000, v13
	v_mul_f32_e32 v15, v43, v15
	v_add_f32_e32 v0, v19, v0
	v_add3_u32 v14, v14, v16, 0x7fff
	v_mul_f32_e32 v11, v48, v11
	v_and_b32_e32 v19, 0xffff0000, v12
	v_lshlrev_b32_e32 v12, 16, v12
	v_add_f32_e32 v87, v87, v0
	v_bfe_u32 v0, v18, 16, 1
	v_bfe_u32 v20, v11, 16, 1
	s_delay_alu instid0(VALU_DEP_4) | instskip(NEXT) | instid1(VALU_DEP_3)
	v_mul_f32_e32 v12, v45, v12
	v_add3_u32 v0, v0, v18, 0x7fff
	v_bfe_u32 v18, v10, 16, 1
	s_wait_alu 0xfffd
	s_delay_alu instid0(VALU_DEP_2)
	v_cndmask_b32_e32 v0, v0, v17, vcc_lo
	v_or_b32_e32 v17, 0x400000, v16
	v_cmp_u_f32_e32 vcc_lo, v16, v16
	v_add3_u32 v16, v18, v10, 0x7fff
	v_bfe_u32 v18, v15, 16, 1
	v_and_b32_e32 v0, 0xffff0000, v0
	s_wait_alu 0xfffd
	v_cndmask_b32_e32 v14, v14, v17, vcc_lo
	v_or_b32_e32 v17, 0x400000, v10
	v_cmp_u_f32_e32 vcc_lo, v10, v10
	v_add_f32_e32 v0, v0, v13
	s_delay_alu instid0(VALU_DEP_4)
	v_and_b32_e32 v14, 0xffff0000, v14
	s_wait_alu 0xfffd
	v_cndmask_b32_e32 v10, v16, v17, vcc_lo
	v_add3_u32 v16, v18, v15, 0x7fff
	v_mul_f32_e32 v17, v44, v19
	v_or_b32_e32 v18, 0x400000, v15
	v_cmp_u_f32_e32 vcc_lo, v15, v15
	v_add3_u32 v19, v20, v11, 0x7fff
	v_or_b32_e32 v20, 0x400000, v11
	v_bfe_u32 v25, v17, 16, 1
	v_and_b32_e32 v10, 0xffff0000, v10
	s_wait_alu 0xfffd
	v_cndmask_b32_e32 v15, v16, v18, vcc_lo
	v_cmp_u_f32_e32 vcc_lo, v11, v11
	v_or_b32_e32 v18, 0x400000, v17
	v_add3_u32 v16, v25, v17, 0x7fff
	s_delay_alu instid0(VALU_DEP_4)
	v_dual_add_f32 v10, v10, v14 :: v_dual_and_b32 v13, 0xffff0000, v15
	s_wait_alu 0xfffd
	v_cndmask_b32_e32 v11, v19, v20, vcc_lo
	v_bfe_u32 v19, v12, 16, 1
	v_cmp_u_f32_e32 vcc_lo, v17, v17
	v_and_b32_e32 v14, 0xffff0000, v5
	v_lshlrev_b32_e32 v5, 16, v5
	v_and_b32_e32 v11, 0xffff0000, v11
	v_add3_u32 v17, v19, v12, 0x7fff
	s_wait_alu 0xfffd
	v_cndmask_b32_e32 v16, v16, v18, vcc_lo
	v_or_b32_e32 v18, 0x400000, v12
	v_cmp_u_f32_e32 vcc_lo, v12, v12
	v_add_f32_e32 v0, v10, v0
	v_dual_add_f32 v10, v11, v13 :: v_dual_mul_f32 v11, v41, v14
	s_wait_alu 0xfffd
	v_dual_mul_f32 v5, v46, v5 :: v_dual_cndmask_b32 v12, v17, v18
	v_and_b32_e32 v13, 0xffff0000, v16
	v_and_b32_e32 v14, 0xffff0000, v6
	v_bfe_u32 v15, v11, 16, 1
	v_add_f32_e32 v0, v10, v0
	v_and_b32_e32 v12, 0xffff0000, v12
	v_bfe_u32 v10, v5, 16, 1
	v_lshlrev_b32_e32 v6, 16, v6
	v_cmp_u_f32_e32 vcc_lo, v11, v11
	v_or_b32_e32 v16, 0x400000, v5
	v_dual_add_f32 v12, v12, v13 :: v_dual_mul_f32 v13, v42, v14
	v_add3_u32 v14, v15, v11, 0x7fff
	v_or_b32_e32 v15, 0x400000, v11
	v_add3_u32 v10, v10, v5, 0x7fff
	v_mul_f32_e32 v6, v47, v6
	v_bfe_u32 v17, v13, 16, 1
	s_wait_loadcnt 0x0
	s_wait_alu 0xfffd
	v_dual_cndmask_b32 v11, v14, v15 :: v_dual_and_b32 v20, 0xffff0000, v24
	v_cmp_u_f32_e32 vcc_lo, v5, v5
	v_and_b32_e32 v15, 0xffff0000, v7
	v_or_b32_e32 v14, 0x400000, v13
	v_lshlrev_b32_e32 v7, 16, v7
	v_and_b32_e32 v11, 0xffff0000, v11
	s_wait_alu 0xfffd
	v_cndmask_b32_e32 v5, v10, v16, vcc_lo
	v_add3_u32 v10, v17, v13, 0x7fff
	v_bfe_u32 v16, v6, 16, 1
	v_cmp_u_f32_e32 vcc_lo, v13, v13
	v_mul_f32_e32 v13, v43, v15
	v_mul_f32_e32 v7, v48, v7
	v_or_b32_e32 v15, 0x400000, v6
	s_wait_alu 0xfffd
	v_dual_cndmask_b32 v10, v10, v14 :: v_dual_and_b32 v5, 0xffff0000, v5
	v_add3_u32 v14, v16, v6, 0x7fff
	v_and_b32_e32 v16, 0xffff0000, v8
	v_bfe_u32 v17, v13, 16, 1
	v_cmp_u_f32_e32 vcc_lo, v6, v6
	v_bfe_u32 v18, v7, 16, 1
	v_lshlrev_b32_e32 v8, 16, v8
	v_dual_add_f32 v5, v5, v11 :: v_dual_and_b32 v10, 0xffff0000, v10
	s_wait_alu 0xfffd
	v_cndmask_b32_e32 v6, v14, v15, vcc_lo
	v_mul_f32_e32 v14, v44, v16
	v_add3_u32 v15, v17, v13, 0x7fff
	v_or_b32_e32 v16, 0x400000, v13
	v_cmp_u_f32_e32 vcc_lo, v13, v13
	v_add3_u32 v17, v18, v7, 0x7fff
	v_or_b32_e32 v18, 0x400000, v7
	v_bfe_u32 v19, v14, 16, 1
	s_wait_alu 0xfffd
	v_dual_cndmask_b32 v13, v15, v16 :: v_dual_and_b32 v6, 0xffff0000, v6
	v_cmp_u_f32_e32 vcc_lo, v7, v7
	v_or_b32_e32 v16, 0x400000, v14
	v_add3_u32 v15, v19, v14, 0x7fff
	v_mul_f32_e32 v8, v45, v8
	v_dual_add_f32 v6, v6, v10 :: v_dual_lshlrev_b32 v19, 16, v24
	s_wait_alu 0xfffd
	v_cndmask_b32_e32 v7, v17, v18, vcc_lo
	v_cmp_u_f32_e32 vcc_lo, v14, v14
	v_and_b32_e32 v10, 0xffff0000, v1
	v_and_b32_e32 v11, 0xffff0000, v13
	v_add_f32_e32 v5, v6, v5
	s_wait_alu 0xfffd
	v_dual_cndmask_b32 v14, v15, v16 :: v_dual_and_b32 v7, 0xffff0000, v7
	v_bfe_u32 v15, v8, 16, 1
	v_dual_mul_f32 v6, v41, v10 :: v_dual_lshlrev_b32 v1, 16, v1
	s_delay_alu instid0(VALU_DEP_3) | instskip(SKIP_1) | instid1(VALU_DEP_4)
	v_add_f32_e32 v7, v7, v11
	v_cmp_u_f32_e32 vcc_lo, v8, v8
	v_add3_u32 v13, v15, v8, 0x7fff
	v_or_b32_e32 v15, 0x400000, v8
	v_bfe_u32 v10, v6, 16, 1
	v_add_f32_e32 v5, v7, v5
	v_and_b32_e32 v7, 0xffff0000, v2
	s_wait_alu 0xfffd
	v_dual_mul_f32 v1, v46, v1 :: v_dual_cndmask_b32 v8, v13, v15
	v_add3_u32 v10, v10, v6, 0x7fff
	v_or_b32_e32 v11, 0x400000, v6
	v_mul_f32_e32 v7, v42, v7
	v_and_b32_e32 v13, 0xffff0000, v14
	v_bfe_u32 v14, v1, 16, 1
	v_cmp_u_f32_e32 vcc_lo, v6, v6
	v_lshlrev_b32_e32 v2, 16, v2
	v_or_b32_e32 v15, 0x400000, v1
	v_or_b32_e32 v16, 0x400000, v7
	v_and_b32_e32 v18, 0xffff0000, v23
	s_wait_alu 0xfffd
	v_cndmask_b32_e32 v6, v10, v11, vcc_lo
	v_bfe_u32 v10, v7, 16, 1
	v_add3_u32 v11, v14, v1, 0x7fff
	v_and_b32_e32 v14, 0xffff0000, v3
	v_mul_f32_e32 v2, v47, v2
	v_cmp_u_f32_e32 vcc_lo, v1, v1
	v_add3_u32 v10, v10, v7, 0x7fff
	s_delay_alu instid0(VALU_DEP_4)
	v_dual_mul_f32 v14, v43, v14 :: v_dual_lshlrev_b32 v3, 16, v3
	s_wait_alu 0xfffd
	v_dual_cndmask_b32 v1, v11, v15 :: v_dual_and_b32 v6, 0xffff0000, v6
	v_bfe_u32 v11, v2, 16, 1
	v_cmp_u_f32_e32 vcc_lo, v7, v7
	v_and_b32_e32 v15, 0xffff0000, v4
	v_mul_f32_e32 v3, v48, v3
	v_or_b32_e32 v17, 0x400000, v14
	v_add3_u32 v11, v11, v2, 0x7fff
	s_wait_alu 0xfffd
	v_cndmask_b32_e32 v7, v10, v16, vcc_lo
	v_bfe_u32 v10, v14, 16, 1
	v_or_b32_e32 v16, 0x400000, v2
	v_cmp_u_f32_e32 vcc_lo, v2, v2
	v_dual_mul_f32 v15, v44, v15 :: v_dual_lshlrev_b32 v4, 16, v4
	s_delay_alu instid0(VALU_DEP_4)
	v_add3_u32 v10, v10, v14, 0x7fff
	s_wait_alu 0xfffd
	v_dual_cndmask_b32 v2, v11, v16 :: v_dual_and_b32 v1, 0xffff0000, v1
	v_bfe_u32 v11, v3, 16, 1
	v_cmp_u_f32_e32 vcc_lo, v14, v14
	v_bfe_u32 v16, v15, 16, 1
	v_or_b32_e32 v14, 0x400000, v3
	v_mul_f32_e32 v4, v45, v4
	v_add3_u32 v11, v11, v3, 0x7fff
	s_wait_alu 0xfffd
	v_cndmask_b32_e32 v10, v10, v17, vcc_lo
	v_cmp_u_f32_e32 vcc_lo, v3, v3
	v_add3_u32 v16, v16, v15, 0x7fff
	v_or_b32_e32 v17, 0x400000, v15
	v_and_b32_e32 v2, 0xffff0000, v2
	v_and_b32_e32 v7, 0xffff0000, v7
	s_wait_alu 0xfffd
	v_cndmask_b32_e32 v3, v11, v14, vcc_lo
	v_cmp_u_f32_e32 vcc_lo, v15, v15
	v_bfe_u32 v14, v4, 16, 1
	v_dual_add_f32 v1, v1, v6 :: v_dual_add_f32 v2, v2, v7
	s_delay_alu instid0(VALU_DEP_4)
	v_and_b32_e32 v3, 0xffff0000, v3
	s_wait_alu 0xfffd
	v_cndmask_b32_e32 v11, v16, v17, vcc_lo
	v_lshlrev_b32_e32 v16, 16, v21
	v_and_b32_e32 v6, 0xffff0000, v10
	v_and_b32_e32 v10, 0xffff0000, v21
	v_add3_u32 v14, v14, v4, 0x7fff
	v_or_b32_e32 v15, 0x400000, v4
	v_mul_f32_e32 v7, v46, v16
	v_cmp_u_f32_e32 vcc_lo, v4, v4
	v_add_f32_e32 v1, v2, v1
	v_add_f32_e32 v3, v3, v6
	v_mul_f32_e32 v6, v41, v10
	v_bfe_u32 v2, v7, 16, 1
	v_lshlrev_b32_e32 v10, 16, v22
	s_wait_alu 0xfffd
	v_cndmask_b32_e32 v4, v14, v15, vcc_lo
	v_or_b32_e32 v14, 0x400000, v7
	v_bfe_u32 v15, v6, 16, 1
	v_add3_u32 v2, v2, v7, 0x7fff
	v_mul_f32_e32 v10, v47, v10
	v_and_b32_e32 v16, 0xffff0000, v22
	v_cmp_u_f32_e32 vcc_lo, v7, v7
	v_add3_u32 v7, v15, v6, 0x7fff
	v_lshlrev_b32_e32 v17, 16, v23
	v_bfe_u32 v15, v10, 16, 1
	v_mul_f32_e32 v16, v42, v16
	s_wait_alu 0xfffd
	v_cndmask_b32_e32 v2, v2, v14, vcc_lo
	v_or_b32_e32 v14, 0x400000, v6
	v_cmp_u_f32_e32 vcc_lo, v6, v6
	v_dual_mul_f32 v17, v48, v17 :: v_dual_mul_f32 v18, v43, v18
	s_delay_alu instid0(VALU_DEP_4)
	v_and_b32_e32 v2, 0xffff0000, v2
	v_and_b32_e32 v4, 0xffff0000, v4
	s_wait_alu 0xfffd
	v_cndmask_b32_e32 v6, v7, v14, vcc_lo
	v_add3_u32 v7, v15, v10, 0x7fff
	v_or_b32_e32 v14, 0x400000, v10
	v_bfe_u32 v15, v16, 16, 1
	v_cmp_u_f32_e32 vcc_lo, v10, v10
	v_or_b32_e32 v21, 0x400000, v18
	v_and_b32_e32 v6, 0xffff0000, v6
	v_and_b32_e32 v11, 0xffff0000, v11
	v_add3_u32 v10, v15, v16, 0x7fff
	s_wait_alu 0xfffd
	v_cndmask_b32_e32 v7, v7, v14, vcc_lo
	v_or_b32_e32 v14, 0x400000, v16
	v_bfe_u32 v15, v17, 16, 1
	v_cmp_u_f32_e32 vcc_lo, v16, v16
	v_dual_mul_f32 v16, v45, v19 :: v_dual_mul_f32 v19, v44, v20
	v_or_b32_e32 v20, 0x400000, v17
	s_delay_alu instid0(VALU_DEP_4)
	v_add3_u32 v15, v15, v17, 0x7fff
	s_wait_alu 0xfffd
	v_cndmask_b32_e32 v10, v10, v14, vcc_lo
	v_bfe_u32 v14, v18, 16, 1
	v_cmp_u_f32_e32 vcc_lo, v17, v17
	v_bfe_u32 v23, v19, 16, 1
	v_bfe_u32 v22, v16, 16, 1
	v_and_b32_e32 v10, 0xffff0000, v10
	v_add3_u32 v14, v14, v18, 0x7fff
	s_wait_alu 0xfffd
	v_cndmask_b32_e32 v15, v15, v20, vcc_lo
	v_cmp_u_f32_e32 vcc_lo, v18, v18
	v_add3_u32 v18, v23, v19, 0x7fff
	v_or_b32_e32 v20, 0x400000, v19
	v_add3_u32 v17, v22, v16, 0x7fff
	s_wait_alu 0xfffd
	v_dual_cndmask_b32 v14, v14, v21 :: v_dual_and_b32 v7, 0xffff0000, v7
	v_cmp_u_f32_e32 vcc_lo, v19, v19
	v_or_b32_e32 v21, 0x400000, v16
	v_add_f32_e32 v2, v2, v6
	s_delay_alu instid0(VALU_DEP_4)
	v_add_f32_e32 v6, v7, v10
	s_wait_alu 0xfffd
	v_dual_cndmask_b32 v18, v18, v20 :: v_dual_and_b32 v7, 0xffff0000, v14
	v_cmp_u_f32_e32 vcc_lo, v16, v16
	v_and_b32_e32 v10, 0xffff0000, v15
	v_dual_add_f32 v2, v6, v2 :: v_dual_add_f32 v1, v3, v1
	s_wait_alu 0xfffd
	v_dual_add_f32 v3, v4, v11 :: v_dual_cndmask_b32 v14, v17, v21
	s_delay_alu instid0(VALU_DEP_3) | instskip(NEXT) | instid1(VALU_DEP_2)
	v_dual_add_f32 v6, v10, v7 :: v_dual_and_b32 v7, 0xffff0000, v18
	v_dual_add_f32 v1, v3, v1 :: v_dual_and_b32 v8, 0xffff0000, v8
	s_delay_alu instid0(VALU_DEP_3) | instskip(NEXT) | instid1(VALU_DEP_3)
	v_and_b32_e32 v10, 0xffff0000, v14
	v_add_f32_e32 v2, v6, v2
	v_add_f32_e32 v0, v12, v0
	s_delay_alu instid0(VALU_DEP_4) | instskip(SKIP_2) | instid1(VALU_DEP_3)
	v_add_f32_e32 v8, v8, v13
	v_cmp_le_i32_e32 vcc_lo, s13, v73
	v_dual_add_f32 v4, v10, v7 :: v_dual_add_f32 v89, v89, v1
	v_dual_add_f32 v90, v90, v0 :: v_dual_add_f32 v5, v8, v5
	s_or_b32 s4, vcc_lo, s4
	s_delay_alu instid0(VALU_DEP_1) | instskip(NEXT) | instid1(VALU_DEP_1)
	v_dual_add_f32 v2, v4, v2 :: v_dual_add_f32 v91, v91, v5
	v_add_f32_e32 v77, v77, v2
	s_wait_alu 0xfffe
	s_and_not1_b32 exec_lo, exec_lo, s4
	s_cbranch_execz .LBB185_59
.LBB185_29:                             ; =>This Inner Loop Header: Depth=1
	global_load_b32 v0, v[69:70], off
	v_add_nc_u32_e32 v101, 1, v94
	v_or_b32_e32 v100, 3, v94
	v_or_b32_e32 v102, 2, v94
	;; [unrolled: 1-line block ×6, first 2 shown]
	s_wait_loadcnt 0x0
	s_wait_alu 0xfffe
	v_mad_co_i64_i32 v[1:2], null, v0, s2, 0
	s_delay_alu instid0(VALU_DEP_1) | instskip(NEXT) | instid1(VALU_DEP_1)
	v_lshlrev_b64_e32 v[1:2], 1, v[1:2]
	v_add_co_u32 v21, vcc_lo, v92, v1
	s_wait_alu 0xfffd
	s_delay_alu instid0(VALU_DEP_2)
	v_add_co_ci_u32_e64 v22, null, v93, v2, vcc_lo
	v_cmp_eq_u32_e32 vcc_lo, s3, v73
	global_load_b128 v[1:4], v[21:22], off
	ds_load_2addr_b64 v[45:48], v95 offset1:1
	ds_load_2addr_b64 v[41:44], v95 offset0:2 offset1:3
	s_and_saveexec_b32 s6, vcc_lo
	s_cbranch_execnz .LBB185_44
; %bb.30:                               ;   in Loop: Header=BB185_29 Depth=1
	s_or_b32 exec_lo, exec_lo, s6
	global_load_b128 v[5:8], v[21:22], off offset:512
	s_and_saveexec_b32 s6, vcc_lo
	s_cbranch_execnz .LBB185_45
.LBB185_31:                             ;   in Loop: Header=BB185_29 Depth=1
	s_or_b32 exec_lo, exec_lo, s6
	global_load_b128 v[9:12], v[21:22], off offset:1024
	s_and_saveexec_b32 s6, vcc_lo
	s_cbranch_execnz .LBB185_46
.LBB185_32:                             ;   in Loop: Header=BB185_29 Depth=1
	s_or_b32 exec_lo, exec_lo, s6
	global_load_b128 v[13:16], v[21:22], off offset:1536
	s_and_saveexec_b32 s6, vcc_lo
	s_cbranch_execnz .LBB185_47
.LBB185_33:                             ;   in Loop: Header=BB185_29 Depth=1
	s_or_b32 exec_lo, exec_lo, s6
	global_load_b128 v[17:20], v[21:22], off offset:2048
	s_and_saveexec_b32 s6, vcc_lo
	s_cbranch_execnz .LBB185_48
.LBB185_34:                             ;   in Loop: Header=BB185_29 Depth=1
	s_or_b32 exec_lo, exec_lo, s6
	global_load_b128 v[25:28], v[21:22], off offset:2560
	s_and_saveexec_b32 s6, vcc_lo
	s_cbranch_execnz .LBB185_49
.LBB185_35:                             ;   in Loop: Header=BB185_29 Depth=1
	s_or_b32 exec_lo, exec_lo, s6
	global_load_b128 v[29:32], v[21:22], off offset:3072
	s_and_saveexec_b32 s6, vcc_lo
	s_cbranch_execnz .LBB185_50
.LBB185_36:                             ;   in Loop: Header=BB185_29 Depth=1
	s_or_b32 exec_lo, exec_lo, s6
	global_load_b128 v[33:36], v[21:22], off offset:3584
	s_and_saveexec_b32 s6, vcc_lo
	s_cbranch_execnz .LBB185_51
.LBB185_37:                             ;   in Loop: Header=BB185_29 Depth=1
	s_or_b32 exec_lo, exec_lo, s6
	global_load_b128 v[37:40], v[21:22], off offset:4096
	s_and_saveexec_b32 s6, vcc_lo
	s_cbranch_execnz .LBB185_52
.LBB185_38:                             ;   in Loop: Header=BB185_29 Depth=1
	s_or_b32 exec_lo, exec_lo, s6
	global_load_b128 v[49:52], v[21:22], off offset:4608
	s_and_saveexec_b32 s6, vcc_lo
	s_cbranch_execnz .LBB185_53
.LBB185_39:                             ;   in Loop: Header=BB185_29 Depth=1
	s_or_b32 exec_lo, exec_lo, s6
	global_load_b128 v[53:56], v[21:22], off offset:5120
	s_and_saveexec_b32 s6, vcc_lo
	s_cbranch_execnz .LBB185_54
.LBB185_40:                             ;   in Loop: Header=BB185_29 Depth=1
	s_or_b32 exec_lo, exec_lo, s6
	global_load_b128 v[57:60], v[21:22], off offset:5632
	s_and_saveexec_b32 s6, vcc_lo
	s_cbranch_execnz .LBB185_55
.LBB185_41:                             ;   in Loop: Header=BB185_29 Depth=1
	s_or_b32 exec_lo, exec_lo, s6
	global_load_b128 v[61:64], v[21:22], off offset:6144
	s_and_saveexec_b32 s6, vcc_lo
	s_cbranch_execnz .LBB185_56
.LBB185_42:                             ;   in Loop: Header=BB185_29 Depth=1
	s_or_b32 exec_lo, exec_lo, s6
	global_load_b128 v[65:68], v[21:22], off offset:6656
	s_and_saveexec_b32 s6, vcc_lo
	s_cbranch_execnz .LBB185_57
.LBB185_43:                             ;   in Loop: Header=BB185_29 Depth=1
	s_or_b32 exec_lo, exec_lo, s6
	global_load_b128 v[21:24], v[21:22], off offset:7168
	s_and_saveexec_b32 s0, vcc_lo
	s_cbranch_execz .LBB185_28
	s_branch .LBB185_58
.LBB185_44:                             ;   in Loop: Header=BB185_29 Depth=1
	v_cmp_gt_i32_e64 s0, s25, v94
	s_wait_loadcnt 0x0
	v_lshrrev_b32_e32 v0, 16, v1
	v_lshrrev_b32_e32 v5, 16, v2
	v_lshrrev_b32_e32 v6, 16, v3
	v_lshrrev_b32_e32 v7, 16, v4
	s_wait_alu 0xf1ff
	v_cndmask_b32_e64 v1, 0, v1, s0
	v_cmp_gt_i32_e64 s0, s5, v101
	s_wait_alu 0xf1ff
	s_delay_alu instid0(VALU_DEP_1) | instskip(SKIP_1) | instid1(VALU_DEP_2)
	v_cndmask_b32_e64 v0, 0, v0, s0
	v_cmp_gt_i32_e64 s0, s25, v102
	v_perm_b32 v1, v0, v1, 0x5040100
	s_wait_alu 0xf1ff
	s_delay_alu instid0(VALU_DEP_2) | instskip(SKIP_2) | instid1(VALU_DEP_1)
	v_cndmask_b32_e64 v2, 0, v2, s0
	v_cmp_gt_i32_e64 s0, s5, v100
	s_wait_alu 0xf1ff
	v_cndmask_b32_e64 v5, 0, v5, s0
	v_cmp_gt_i32_e64 s0, s25, v99
	s_delay_alu instid0(VALU_DEP_2) | instskip(SKIP_1) | instid1(VALU_DEP_2)
	v_perm_b32 v2, v5, v2, 0x5040100
	s_wait_alu 0xf1ff
	v_cndmask_b32_e64 v3, 0, v3, s0
	v_cmp_gt_i32_e64 s0, s5, v97
	s_wait_alu 0xf1ff
	s_delay_alu instid0(VALU_DEP_1) | instskip(SKIP_1) | instid1(VALU_DEP_2)
	v_cndmask_b32_e64 v6, 0, v6, s0
	v_cmp_gt_i32_e64 s0, s25, v98
	v_perm_b32 v3, v6, v3, 0x5040100
	s_wait_alu 0xf1ff
	s_delay_alu instid0(VALU_DEP_2) | instskip(SKIP_2) | instid1(VALU_DEP_1)
	v_cndmask_b32_e64 v4, 0, v4, s0
	v_cmp_gt_i32_e64 s0, s5, v96
	s_wait_alu 0xf1ff
	v_cndmask_b32_e64 v7, 0, v7, s0
	s_delay_alu instid0(VALU_DEP_1)
	v_perm_b32 v4, v7, v4, 0x5040100
	s_or_b32 exec_lo, exec_lo, s6
	global_load_b128 v[5:8], v[21:22], off offset:512
	s_and_saveexec_b32 s6, vcc_lo
	s_cbranch_execz .LBB185_31
.LBB185_45:                             ;   in Loop: Header=BB185_29 Depth=1
	v_cmp_gt_i32_e64 s0, s25, v94
	s_wait_loadcnt 0x0
	v_lshrrev_b32_e32 v0, 16, v5
	v_lshrrev_b32_e32 v9, 16, v6
	;; [unrolled: 1-line block ×4, first 2 shown]
	s_wait_alu 0xf1ff
	v_cndmask_b32_e64 v5, 0, v5, s0
	v_cmp_gt_i32_e64 s0, s5, v101
	s_wait_alu 0xf1ff
	s_delay_alu instid0(VALU_DEP_1) | instskip(SKIP_1) | instid1(VALU_DEP_2)
	v_cndmask_b32_e64 v0, 0, v0, s0
	v_cmp_gt_i32_e64 s0, s25, v102
	v_perm_b32 v5, v0, v5, 0x5040100
	s_wait_alu 0xf1ff
	s_delay_alu instid0(VALU_DEP_2) | instskip(SKIP_2) | instid1(VALU_DEP_1)
	v_cndmask_b32_e64 v6, 0, v6, s0
	v_cmp_gt_i32_e64 s0, s5, v100
	s_wait_alu 0xf1ff
	v_cndmask_b32_e64 v9, 0, v9, s0
	v_cmp_gt_i32_e64 s0, s25, v99
	s_delay_alu instid0(VALU_DEP_2) | instskip(SKIP_1) | instid1(VALU_DEP_2)
	v_perm_b32 v6, v9, v6, 0x5040100
	s_wait_alu 0xf1ff
	v_cndmask_b32_e64 v7, 0, v7, s0
	v_cmp_gt_i32_e64 s0, s5, v97
	s_wait_alu 0xf1ff
	s_delay_alu instid0(VALU_DEP_1) | instskip(SKIP_1) | instid1(VALU_DEP_2)
	v_cndmask_b32_e64 v10, 0, v10, s0
	v_cmp_gt_i32_e64 s0, s25, v98
	v_perm_b32 v7, v10, v7, 0x5040100
	s_wait_alu 0xf1ff
	s_delay_alu instid0(VALU_DEP_2) | instskip(SKIP_2) | instid1(VALU_DEP_1)
	v_cndmask_b32_e64 v8, 0, v8, s0
	v_cmp_gt_i32_e64 s0, s5, v96
	s_wait_alu 0xf1ff
	v_cndmask_b32_e64 v11, 0, v11, s0
	s_delay_alu instid0(VALU_DEP_1)
	v_perm_b32 v8, v11, v8, 0x5040100
	s_or_b32 exec_lo, exec_lo, s6
	global_load_b128 v[9:12], v[21:22], off offset:1024
	s_and_saveexec_b32 s6, vcc_lo
	s_cbranch_execz .LBB185_32
.LBB185_46:                             ;   in Loop: Header=BB185_29 Depth=1
	v_cmp_gt_i32_e64 s0, s25, v94
	s_wait_loadcnt 0x0
	v_lshrrev_b32_e32 v0, 16, v9
	v_lshrrev_b32_e32 v13, 16, v10
	;; [unrolled: 1-line block ×4, first 2 shown]
	s_wait_alu 0xf1ff
	v_cndmask_b32_e64 v9, 0, v9, s0
	v_cmp_gt_i32_e64 s0, s5, v101
	s_wait_alu 0xf1ff
	s_delay_alu instid0(VALU_DEP_1) | instskip(SKIP_1) | instid1(VALU_DEP_2)
	v_cndmask_b32_e64 v0, 0, v0, s0
	v_cmp_gt_i32_e64 s0, s25, v102
	v_perm_b32 v9, v0, v9, 0x5040100
	s_wait_alu 0xf1ff
	s_delay_alu instid0(VALU_DEP_2) | instskip(SKIP_2) | instid1(VALU_DEP_1)
	v_cndmask_b32_e64 v10, 0, v10, s0
	v_cmp_gt_i32_e64 s0, s5, v100
	s_wait_alu 0xf1ff
	v_cndmask_b32_e64 v13, 0, v13, s0
	v_cmp_gt_i32_e64 s0, s25, v99
	s_delay_alu instid0(VALU_DEP_2) | instskip(SKIP_1) | instid1(VALU_DEP_2)
	v_perm_b32 v10, v13, v10, 0x5040100
	s_wait_alu 0xf1ff
	v_cndmask_b32_e64 v11, 0, v11, s0
	v_cmp_gt_i32_e64 s0, s5, v97
	s_wait_alu 0xf1ff
	s_delay_alu instid0(VALU_DEP_1) | instskip(SKIP_1) | instid1(VALU_DEP_2)
	v_cndmask_b32_e64 v14, 0, v14, s0
	v_cmp_gt_i32_e64 s0, s25, v98
	v_perm_b32 v11, v14, v11, 0x5040100
	s_wait_alu 0xf1ff
	s_delay_alu instid0(VALU_DEP_2) | instskip(SKIP_2) | instid1(VALU_DEP_1)
	v_cndmask_b32_e64 v12, 0, v12, s0
	v_cmp_gt_i32_e64 s0, s5, v96
	s_wait_alu 0xf1ff
	v_cndmask_b32_e64 v15, 0, v15, s0
	s_delay_alu instid0(VALU_DEP_1)
	v_perm_b32 v12, v15, v12, 0x5040100
	s_or_b32 exec_lo, exec_lo, s6
	global_load_b128 v[13:16], v[21:22], off offset:1536
	s_and_saveexec_b32 s6, vcc_lo
	s_cbranch_execz .LBB185_33
.LBB185_47:                             ;   in Loop: Header=BB185_29 Depth=1
	v_cmp_gt_i32_e64 s0, s25, v94
	s_wait_loadcnt 0x0
	v_lshrrev_b32_e32 v0, 16, v13
	v_lshrrev_b32_e32 v17, 16, v14
	;; [unrolled: 1-line block ×4, first 2 shown]
	s_wait_alu 0xf1ff
	v_cndmask_b32_e64 v13, 0, v13, s0
	v_cmp_gt_i32_e64 s0, s5, v101
	s_wait_alu 0xf1ff
	s_delay_alu instid0(VALU_DEP_1) | instskip(SKIP_1) | instid1(VALU_DEP_2)
	v_cndmask_b32_e64 v0, 0, v0, s0
	v_cmp_gt_i32_e64 s0, s25, v102
	v_perm_b32 v13, v0, v13, 0x5040100
	s_wait_alu 0xf1ff
	s_delay_alu instid0(VALU_DEP_2) | instskip(SKIP_2) | instid1(VALU_DEP_1)
	v_cndmask_b32_e64 v14, 0, v14, s0
	v_cmp_gt_i32_e64 s0, s5, v100
	s_wait_alu 0xf1ff
	v_cndmask_b32_e64 v17, 0, v17, s0
	v_cmp_gt_i32_e64 s0, s25, v99
	s_delay_alu instid0(VALU_DEP_2) | instskip(SKIP_1) | instid1(VALU_DEP_2)
	v_perm_b32 v14, v17, v14, 0x5040100
	s_wait_alu 0xf1ff
	v_cndmask_b32_e64 v15, 0, v15, s0
	v_cmp_gt_i32_e64 s0, s5, v97
	s_wait_alu 0xf1ff
	s_delay_alu instid0(VALU_DEP_1) | instskip(SKIP_1) | instid1(VALU_DEP_2)
	v_cndmask_b32_e64 v18, 0, v18, s0
	v_cmp_gt_i32_e64 s0, s25, v98
	v_perm_b32 v15, v18, v15, 0x5040100
	s_wait_alu 0xf1ff
	s_delay_alu instid0(VALU_DEP_2) | instskip(SKIP_2) | instid1(VALU_DEP_1)
	v_cndmask_b32_e64 v16, 0, v16, s0
	v_cmp_gt_i32_e64 s0, s5, v96
	s_wait_alu 0xf1ff
	v_cndmask_b32_e64 v19, 0, v19, s0
	s_delay_alu instid0(VALU_DEP_1)
	v_perm_b32 v16, v19, v16, 0x5040100
	s_or_b32 exec_lo, exec_lo, s6
	global_load_b128 v[17:20], v[21:22], off offset:2048
	s_and_saveexec_b32 s6, vcc_lo
	s_cbranch_execz .LBB185_34
.LBB185_48:                             ;   in Loop: Header=BB185_29 Depth=1
	v_cmp_gt_i32_e64 s0, s25, v94
	s_wait_loadcnt 0x0
	v_lshrrev_b32_e32 v0, 16, v17
	v_lshrrev_b32_e32 v23, 16, v18
	;; [unrolled: 1-line block ×4, first 2 shown]
	s_wait_alu 0xf1ff
	v_cndmask_b32_e64 v17, 0, v17, s0
	v_cmp_gt_i32_e64 s0, s5, v101
	s_wait_alu 0xf1ff
	s_delay_alu instid0(VALU_DEP_1) | instskip(SKIP_1) | instid1(VALU_DEP_2)
	v_cndmask_b32_e64 v0, 0, v0, s0
	v_cmp_gt_i32_e64 s0, s25, v102
	v_perm_b32 v17, v0, v17, 0x5040100
	s_wait_alu 0xf1ff
	s_delay_alu instid0(VALU_DEP_2) | instskip(SKIP_2) | instid1(VALU_DEP_1)
	v_cndmask_b32_e64 v18, 0, v18, s0
	v_cmp_gt_i32_e64 s0, s5, v100
	s_wait_alu 0xf1ff
	v_cndmask_b32_e64 v23, 0, v23, s0
	v_cmp_gt_i32_e64 s0, s25, v99
	s_delay_alu instid0(VALU_DEP_2) | instskip(SKIP_1) | instid1(VALU_DEP_2)
	v_perm_b32 v18, v23, v18, 0x5040100
	s_wait_alu 0xf1ff
	v_cndmask_b32_e64 v19, 0, v19, s0
	v_cmp_gt_i32_e64 s0, s5, v97
	s_wait_alu 0xf1ff
	s_delay_alu instid0(VALU_DEP_1) | instskip(SKIP_1) | instid1(VALU_DEP_2)
	v_cndmask_b32_e64 v24, 0, v24, s0
	v_cmp_gt_i32_e64 s0, s25, v98
	v_perm_b32 v19, v24, v19, 0x5040100
	s_wait_alu 0xf1ff
	s_delay_alu instid0(VALU_DEP_2) | instskip(SKIP_2) | instid1(VALU_DEP_1)
	v_cndmask_b32_e64 v20, 0, v20, s0
	v_cmp_gt_i32_e64 s0, s5, v96
	s_wait_alu 0xf1ff
	v_cndmask_b32_e64 v25, 0, v25, s0
	s_delay_alu instid0(VALU_DEP_1)
	v_perm_b32 v20, v25, v20, 0x5040100
	s_or_b32 exec_lo, exec_lo, s6
	global_load_b128 v[25:28], v[21:22], off offset:2560
	s_and_saveexec_b32 s6, vcc_lo
	s_cbranch_execz .LBB185_35
.LBB185_49:                             ;   in Loop: Header=BB185_29 Depth=1
	v_cmp_gt_i32_e64 s0, s25, v94
	s_wait_loadcnt 0x0
	v_lshrrev_b32_e32 v0, 16, v25
	v_lshrrev_b32_e32 v24, 16, v26
	v_lshrrev_b32_e32 v29, 16, v28
	s_wait_alu 0xf1ff
	v_cndmask_b32_e64 v23, 0, v25, s0
	v_cmp_gt_i32_e64 s0, s5, v101
	v_lshrrev_b32_e32 v25, 16, v27
	s_wait_alu 0xf1ff
	s_delay_alu instid0(VALU_DEP_2) | instskip(SKIP_2) | instid1(VALU_DEP_1)
	v_cndmask_b32_e64 v0, 0, v0, s0
	v_cmp_gt_i32_e64 s0, s25, v102
	s_wait_alu 0xf1ff
	v_cndmask_b32_e64 v26, 0, v26, s0
	v_cmp_gt_i32_e64 s0, s5, v100
	s_wait_alu 0xf1ff
	s_delay_alu instid0(VALU_DEP_1) | instskip(SKIP_1) | instid1(VALU_DEP_2)
	v_cndmask_b32_e64 v24, 0, v24, s0
	v_cmp_gt_i32_e64 s0, s25, v99
	v_perm_b32 v26, v24, v26, 0x5040100
	s_wait_alu 0xf1ff
	s_delay_alu instid0(VALU_DEP_2) | instskip(SKIP_2) | instid1(VALU_DEP_1)
	v_cndmask_b32_e64 v27, 0, v27, s0
	v_cmp_gt_i32_e64 s0, s5, v97
	s_wait_alu 0xf1ff
	v_cndmask_b32_e64 v30, 0, v25, s0
	v_cmp_gt_i32_e64 s0, s25, v98
	v_perm_b32 v25, v0, v23, 0x5040100
	s_delay_alu instid0(VALU_DEP_3) | instskip(SKIP_1) | instid1(VALU_DEP_3)
	v_perm_b32 v27, v30, v27, 0x5040100
	s_wait_alu 0xf1ff
	v_cndmask_b32_e64 v28, 0, v28, s0
	v_cmp_gt_i32_e64 s0, s5, v96
	s_wait_alu 0xf1ff
	s_delay_alu instid0(VALU_DEP_1) | instskip(NEXT) | instid1(VALU_DEP_1)
	v_cndmask_b32_e64 v29, 0, v29, s0
	v_perm_b32 v28, v29, v28, 0x5040100
	s_or_b32 exec_lo, exec_lo, s6
	global_load_b128 v[29:32], v[21:22], off offset:3072
	s_and_saveexec_b32 s6, vcc_lo
	s_cbranch_execz .LBB185_36
.LBB185_50:                             ;   in Loop: Header=BB185_29 Depth=1
	v_cmp_gt_i32_e64 s0, s25, v94
	s_wait_loadcnt 0x0
	v_lshrrev_b32_e32 v0, 16, v29
	v_lshrrev_b32_e32 v24, 16, v30
	;; [unrolled: 1-line block ×3, first 2 shown]
	s_wait_alu 0xf1ff
	v_cndmask_b32_e64 v23, 0, v29, s0
	v_cmp_gt_i32_e64 s0, s5, v101
	v_lshrrev_b32_e32 v29, 16, v31
	s_wait_alu 0xf1ff
	s_delay_alu instid0(VALU_DEP_2) | instskip(SKIP_2) | instid1(VALU_DEP_1)
	v_cndmask_b32_e64 v0, 0, v0, s0
	v_cmp_gt_i32_e64 s0, s25, v102
	s_wait_alu 0xf1ff
	v_cndmask_b32_e64 v30, 0, v30, s0
	v_cmp_gt_i32_e64 s0, s5, v100
	s_wait_alu 0xf1ff
	s_delay_alu instid0(VALU_DEP_1) | instskip(SKIP_1) | instid1(VALU_DEP_2)
	v_cndmask_b32_e64 v24, 0, v24, s0
	v_cmp_gt_i32_e64 s0, s25, v99
	v_perm_b32 v30, v24, v30, 0x5040100
	s_wait_alu 0xf1ff
	s_delay_alu instid0(VALU_DEP_2) | instskip(SKIP_2) | instid1(VALU_DEP_1)
	v_cndmask_b32_e64 v31, 0, v31, s0
	v_cmp_gt_i32_e64 s0, s5, v97
	s_wait_alu 0xf1ff
	v_cndmask_b32_e64 v34, 0, v29, s0
	v_cmp_gt_i32_e64 s0, s25, v98
	v_perm_b32 v29, v0, v23, 0x5040100
	s_delay_alu instid0(VALU_DEP_3) | instskip(SKIP_1) | instid1(VALU_DEP_3)
	v_perm_b32 v31, v34, v31, 0x5040100
	s_wait_alu 0xf1ff
	v_cndmask_b32_e64 v32, 0, v32, s0
	v_cmp_gt_i32_e64 s0, s5, v96
	s_wait_alu 0xf1ff
	s_delay_alu instid0(VALU_DEP_1) | instskip(NEXT) | instid1(VALU_DEP_1)
	v_cndmask_b32_e64 v33, 0, v33, s0
	v_perm_b32 v32, v33, v32, 0x5040100
	s_or_b32 exec_lo, exec_lo, s6
	global_load_b128 v[33:36], v[21:22], off offset:3584
	s_and_saveexec_b32 s6, vcc_lo
	s_cbranch_execz .LBB185_37
.LBB185_51:                             ;   in Loop: Header=BB185_29 Depth=1
	v_cmp_gt_i32_e64 s0, s25, v94
	s_wait_loadcnt 0x0
	v_lshrrev_b32_e32 v0, 16, v33
	v_lshrrev_b32_e32 v24, 16, v34
	;; [unrolled: 1-line block ×3, first 2 shown]
	s_wait_alu 0xf1ff
	v_cndmask_b32_e64 v23, 0, v33, s0
	v_cmp_gt_i32_e64 s0, s5, v101
	v_lshrrev_b32_e32 v33, 16, v35
	s_wait_alu 0xf1ff
	s_delay_alu instid0(VALU_DEP_2) | instskip(SKIP_2) | instid1(VALU_DEP_1)
	v_cndmask_b32_e64 v0, 0, v0, s0
	v_cmp_gt_i32_e64 s0, s25, v102
	s_wait_alu 0xf1ff
	v_cndmask_b32_e64 v34, 0, v34, s0
	v_cmp_gt_i32_e64 s0, s5, v100
	s_wait_alu 0xf1ff
	s_delay_alu instid0(VALU_DEP_1) | instskip(SKIP_1) | instid1(VALU_DEP_2)
	v_cndmask_b32_e64 v24, 0, v24, s0
	v_cmp_gt_i32_e64 s0, s25, v99
	v_perm_b32 v34, v24, v34, 0x5040100
	s_wait_alu 0xf1ff
	s_delay_alu instid0(VALU_DEP_2) | instskip(SKIP_2) | instid1(VALU_DEP_1)
	v_cndmask_b32_e64 v35, 0, v35, s0
	v_cmp_gt_i32_e64 s0, s5, v97
	s_wait_alu 0xf1ff
	v_cndmask_b32_e64 v38, 0, v33, s0
	v_cmp_gt_i32_e64 s0, s25, v98
	v_perm_b32 v33, v0, v23, 0x5040100
	s_delay_alu instid0(VALU_DEP_3) | instskip(SKIP_1) | instid1(VALU_DEP_3)
	v_perm_b32 v35, v38, v35, 0x5040100
	s_wait_alu 0xf1ff
	v_cndmask_b32_e64 v36, 0, v36, s0
	v_cmp_gt_i32_e64 s0, s5, v96
	s_wait_alu 0xf1ff
	s_delay_alu instid0(VALU_DEP_1) | instskip(NEXT) | instid1(VALU_DEP_1)
	v_cndmask_b32_e64 v37, 0, v37, s0
	v_perm_b32 v36, v37, v36, 0x5040100
	s_or_b32 exec_lo, exec_lo, s6
	global_load_b128 v[37:40], v[21:22], off offset:4096
	s_and_saveexec_b32 s6, vcc_lo
	s_cbranch_execz .LBB185_38
.LBB185_52:                             ;   in Loop: Header=BB185_29 Depth=1
	v_cmp_gt_i32_e64 s0, s25, v94
	s_wait_loadcnt 0x0
	v_lshrrev_b32_e32 v0, 16, v37
	v_lshrrev_b32_e32 v24, 16, v38
	;; [unrolled: 1-line block ×3, first 2 shown]
	s_wait_alu 0xf1ff
	v_cndmask_b32_e64 v23, 0, v37, s0
	v_cmp_gt_i32_e64 s0, s5, v101
	v_lshrrev_b32_e32 v37, 16, v39
	s_wait_alu 0xf1ff
	s_delay_alu instid0(VALU_DEP_2) | instskip(SKIP_2) | instid1(VALU_DEP_1)
	v_cndmask_b32_e64 v0, 0, v0, s0
	v_cmp_gt_i32_e64 s0, s25, v102
	s_wait_alu 0xf1ff
	v_cndmask_b32_e64 v38, 0, v38, s0
	v_cmp_gt_i32_e64 s0, s5, v100
	s_wait_alu 0xf1ff
	s_delay_alu instid0(VALU_DEP_1) | instskip(SKIP_1) | instid1(VALU_DEP_2)
	v_cndmask_b32_e64 v24, 0, v24, s0
	v_cmp_gt_i32_e64 s0, s25, v99
	v_perm_b32 v38, v24, v38, 0x5040100
	s_wait_alu 0xf1ff
	s_delay_alu instid0(VALU_DEP_2) | instskip(SKIP_2) | instid1(VALU_DEP_1)
	v_cndmask_b32_e64 v39, 0, v39, s0
	v_cmp_gt_i32_e64 s0, s5, v97
	s_wait_alu 0xf1ff
	v_cndmask_b32_e64 v50, 0, v37, s0
	v_cmp_gt_i32_e64 s0, s25, v98
	v_perm_b32 v37, v0, v23, 0x5040100
	s_delay_alu instid0(VALU_DEP_3) | instskip(SKIP_1) | instid1(VALU_DEP_3)
	v_perm_b32 v39, v50, v39, 0x5040100
	s_wait_alu 0xf1ff
	v_cndmask_b32_e64 v40, 0, v40, s0
	v_cmp_gt_i32_e64 s0, s5, v96
	s_wait_alu 0xf1ff
	s_delay_alu instid0(VALU_DEP_1) | instskip(NEXT) | instid1(VALU_DEP_1)
	v_cndmask_b32_e64 v49, 0, v49, s0
	v_perm_b32 v40, v49, v40, 0x5040100
	s_or_b32 exec_lo, exec_lo, s6
	global_load_b128 v[49:52], v[21:22], off offset:4608
	s_and_saveexec_b32 s6, vcc_lo
	s_cbranch_execz .LBB185_39
.LBB185_53:                             ;   in Loop: Header=BB185_29 Depth=1
	v_cmp_gt_i32_e64 s0, s25, v94
	s_wait_loadcnt 0x0
	v_lshrrev_b32_e32 v0, 16, v49
	v_lshrrev_b32_e32 v24, 16, v50
	;; [unrolled: 1-line block ×3, first 2 shown]
	s_wait_alu 0xf1ff
	v_cndmask_b32_e64 v23, 0, v49, s0
	v_cmp_gt_i32_e64 s0, s5, v101
	v_lshrrev_b32_e32 v49, 16, v51
	s_wait_alu 0xf1ff
	s_delay_alu instid0(VALU_DEP_2) | instskip(SKIP_2) | instid1(VALU_DEP_1)
	v_cndmask_b32_e64 v0, 0, v0, s0
	v_cmp_gt_i32_e64 s0, s25, v102
	s_wait_alu 0xf1ff
	v_cndmask_b32_e64 v50, 0, v50, s0
	v_cmp_gt_i32_e64 s0, s5, v100
	s_wait_alu 0xf1ff
	s_delay_alu instid0(VALU_DEP_1) | instskip(SKIP_1) | instid1(VALU_DEP_2)
	v_cndmask_b32_e64 v24, 0, v24, s0
	v_cmp_gt_i32_e64 s0, s25, v99
	v_perm_b32 v50, v24, v50, 0x5040100
	s_wait_alu 0xf1ff
	s_delay_alu instid0(VALU_DEP_2) | instskip(SKIP_2) | instid1(VALU_DEP_1)
	v_cndmask_b32_e64 v51, 0, v51, s0
	v_cmp_gt_i32_e64 s0, s5, v97
	s_wait_alu 0xf1ff
	v_cndmask_b32_e64 v54, 0, v49, s0
	v_cmp_gt_i32_e64 s0, s25, v98
	v_perm_b32 v49, v0, v23, 0x5040100
	s_delay_alu instid0(VALU_DEP_3) | instskip(SKIP_1) | instid1(VALU_DEP_3)
	v_perm_b32 v51, v54, v51, 0x5040100
	s_wait_alu 0xf1ff
	v_cndmask_b32_e64 v52, 0, v52, s0
	v_cmp_gt_i32_e64 s0, s5, v96
	s_wait_alu 0xf1ff
	s_delay_alu instid0(VALU_DEP_1) | instskip(NEXT) | instid1(VALU_DEP_1)
	v_cndmask_b32_e64 v53, 0, v53, s0
	v_perm_b32 v52, v53, v52, 0x5040100
	s_or_b32 exec_lo, exec_lo, s6
	global_load_b128 v[53:56], v[21:22], off offset:5120
	s_and_saveexec_b32 s6, vcc_lo
	s_cbranch_execz .LBB185_40
.LBB185_54:                             ;   in Loop: Header=BB185_29 Depth=1
	v_cmp_gt_i32_e64 s0, s25, v94
	s_wait_loadcnt 0x0
	v_lshrrev_b32_e32 v0, 16, v53
	v_lshrrev_b32_e32 v24, 16, v54
	;; [unrolled: 1-line block ×3, first 2 shown]
	s_wait_alu 0xf1ff
	v_cndmask_b32_e64 v23, 0, v53, s0
	v_cmp_gt_i32_e64 s0, s5, v101
	v_lshrrev_b32_e32 v53, 16, v55
	s_wait_alu 0xf1ff
	s_delay_alu instid0(VALU_DEP_2) | instskip(SKIP_2) | instid1(VALU_DEP_1)
	v_cndmask_b32_e64 v0, 0, v0, s0
	v_cmp_gt_i32_e64 s0, s25, v102
	s_wait_alu 0xf1ff
	v_cndmask_b32_e64 v54, 0, v54, s0
	v_cmp_gt_i32_e64 s0, s5, v100
	s_wait_alu 0xf1ff
	s_delay_alu instid0(VALU_DEP_1) | instskip(SKIP_1) | instid1(VALU_DEP_2)
	v_cndmask_b32_e64 v24, 0, v24, s0
	v_cmp_gt_i32_e64 s0, s25, v99
	v_perm_b32 v54, v24, v54, 0x5040100
	s_wait_alu 0xf1ff
	s_delay_alu instid0(VALU_DEP_2) | instskip(SKIP_2) | instid1(VALU_DEP_1)
	v_cndmask_b32_e64 v55, 0, v55, s0
	v_cmp_gt_i32_e64 s0, s5, v97
	s_wait_alu 0xf1ff
	v_cndmask_b32_e64 v58, 0, v53, s0
	v_cmp_gt_i32_e64 s0, s25, v98
	v_perm_b32 v53, v0, v23, 0x5040100
	s_delay_alu instid0(VALU_DEP_3) | instskip(SKIP_1) | instid1(VALU_DEP_3)
	v_perm_b32 v55, v58, v55, 0x5040100
	s_wait_alu 0xf1ff
	v_cndmask_b32_e64 v56, 0, v56, s0
	v_cmp_gt_i32_e64 s0, s5, v96
	s_wait_alu 0xf1ff
	s_delay_alu instid0(VALU_DEP_1) | instskip(NEXT) | instid1(VALU_DEP_1)
	v_cndmask_b32_e64 v57, 0, v57, s0
	v_perm_b32 v56, v57, v56, 0x5040100
	s_or_b32 exec_lo, exec_lo, s6
	global_load_b128 v[57:60], v[21:22], off offset:5632
	s_and_saveexec_b32 s6, vcc_lo
	s_cbranch_execz .LBB185_41
.LBB185_55:                             ;   in Loop: Header=BB185_29 Depth=1
	v_cmp_gt_i32_e64 s0, s25, v94
	s_wait_loadcnt 0x0
	v_lshrrev_b32_e32 v0, 16, v57
	v_lshrrev_b32_e32 v24, 16, v58
	;; [unrolled: 1-line block ×3, first 2 shown]
	s_wait_alu 0xf1ff
	v_cndmask_b32_e64 v23, 0, v57, s0
	v_cmp_gt_i32_e64 s0, s5, v101
	v_lshrrev_b32_e32 v57, 16, v59
	s_wait_alu 0xf1ff
	s_delay_alu instid0(VALU_DEP_2) | instskip(SKIP_2) | instid1(VALU_DEP_1)
	v_cndmask_b32_e64 v0, 0, v0, s0
	v_cmp_gt_i32_e64 s0, s25, v102
	s_wait_alu 0xf1ff
	v_cndmask_b32_e64 v58, 0, v58, s0
	v_cmp_gt_i32_e64 s0, s5, v100
	s_wait_alu 0xf1ff
	s_delay_alu instid0(VALU_DEP_1) | instskip(SKIP_1) | instid1(VALU_DEP_2)
	v_cndmask_b32_e64 v24, 0, v24, s0
	v_cmp_gt_i32_e64 s0, s25, v99
	v_perm_b32 v58, v24, v58, 0x5040100
	s_wait_alu 0xf1ff
	s_delay_alu instid0(VALU_DEP_2) | instskip(SKIP_2) | instid1(VALU_DEP_1)
	v_cndmask_b32_e64 v59, 0, v59, s0
	v_cmp_gt_i32_e64 s0, s5, v97
	s_wait_alu 0xf1ff
	v_cndmask_b32_e64 v62, 0, v57, s0
	v_cmp_gt_i32_e64 s0, s25, v98
	v_perm_b32 v57, v0, v23, 0x5040100
	s_delay_alu instid0(VALU_DEP_3) | instskip(SKIP_1) | instid1(VALU_DEP_3)
	v_perm_b32 v59, v62, v59, 0x5040100
	s_wait_alu 0xf1ff
	v_cndmask_b32_e64 v60, 0, v60, s0
	v_cmp_gt_i32_e64 s0, s5, v96
	s_wait_alu 0xf1ff
	s_delay_alu instid0(VALU_DEP_1) | instskip(NEXT) | instid1(VALU_DEP_1)
	v_cndmask_b32_e64 v61, 0, v61, s0
	v_perm_b32 v60, v61, v60, 0x5040100
	s_or_b32 exec_lo, exec_lo, s6
	global_load_b128 v[61:64], v[21:22], off offset:6144
	s_and_saveexec_b32 s6, vcc_lo
	s_cbranch_execz .LBB185_42
.LBB185_56:                             ;   in Loop: Header=BB185_29 Depth=1
	v_cmp_gt_i32_e64 s0, s25, v94
	s_wait_loadcnt 0x0
	v_lshrrev_b32_e32 v0, 16, v61
	v_lshrrev_b32_e32 v24, 16, v62
	;; [unrolled: 1-line block ×3, first 2 shown]
	s_wait_alu 0xf1ff
	v_cndmask_b32_e64 v23, 0, v61, s0
	v_cmp_gt_i32_e64 s0, s5, v101
	v_lshrrev_b32_e32 v61, 16, v63
	s_wait_alu 0xf1ff
	s_delay_alu instid0(VALU_DEP_2) | instskip(SKIP_2) | instid1(VALU_DEP_1)
	v_cndmask_b32_e64 v0, 0, v0, s0
	v_cmp_gt_i32_e64 s0, s25, v102
	s_wait_alu 0xf1ff
	v_cndmask_b32_e64 v62, 0, v62, s0
	v_cmp_gt_i32_e64 s0, s5, v100
	s_wait_alu 0xf1ff
	s_delay_alu instid0(VALU_DEP_1) | instskip(SKIP_1) | instid1(VALU_DEP_2)
	v_cndmask_b32_e64 v24, 0, v24, s0
	v_cmp_gt_i32_e64 s0, s25, v99
	v_perm_b32 v62, v24, v62, 0x5040100
	s_wait_alu 0xf1ff
	s_delay_alu instid0(VALU_DEP_2) | instskip(SKIP_2) | instid1(VALU_DEP_1)
	v_cndmask_b32_e64 v63, 0, v63, s0
	v_cmp_gt_i32_e64 s0, s5, v97
	s_wait_alu 0xf1ff
	v_cndmask_b32_e64 v66, 0, v61, s0
	v_cmp_gt_i32_e64 s0, s25, v98
	v_perm_b32 v61, v0, v23, 0x5040100
	s_delay_alu instid0(VALU_DEP_3) | instskip(SKIP_1) | instid1(VALU_DEP_3)
	v_perm_b32 v63, v66, v63, 0x5040100
	s_wait_alu 0xf1ff
	v_cndmask_b32_e64 v64, 0, v64, s0
	v_cmp_gt_i32_e64 s0, s5, v96
	s_wait_alu 0xf1ff
	s_delay_alu instid0(VALU_DEP_1) | instskip(NEXT) | instid1(VALU_DEP_1)
	v_cndmask_b32_e64 v65, 0, v65, s0
	v_perm_b32 v64, v65, v64, 0x5040100
	s_or_b32 exec_lo, exec_lo, s6
	global_load_b128 v[65:68], v[21:22], off offset:6656
	s_and_saveexec_b32 s6, vcc_lo
	s_cbranch_execz .LBB185_43
.LBB185_57:                             ;   in Loop: Header=BB185_29 Depth=1
	v_cmp_gt_i32_e64 s0, s25, v94
	s_wait_loadcnt 0x0
	v_lshrrev_b32_e32 v0, 16, v65
	v_lshrrev_b32_e32 v24, 16, v66
	;; [unrolled: 1-line block ×3, first 2 shown]
	s_wait_alu 0xf1ff
	v_cndmask_b32_e64 v23, 0, v65, s0
	v_cmp_gt_i32_e64 s0, s5, v101
	v_lshrrev_b32_e32 v65, 16, v67
	s_wait_alu 0xf1ff
	s_delay_alu instid0(VALU_DEP_2) | instskip(SKIP_2) | instid1(VALU_DEP_1)
	v_cndmask_b32_e64 v0, 0, v0, s0
	v_cmp_gt_i32_e64 s0, s25, v102
	s_wait_alu 0xf1ff
	v_cndmask_b32_e64 v66, 0, v66, s0
	v_cmp_gt_i32_e64 s0, s5, v100
	s_wait_alu 0xf1ff
	s_delay_alu instid0(VALU_DEP_1) | instskip(SKIP_1) | instid1(VALU_DEP_2)
	v_cndmask_b32_e64 v24, 0, v24, s0
	v_cmp_gt_i32_e64 s0, s25, v99
	v_perm_b32 v66, v24, v66, 0x5040100
	s_wait_alu 0xf1ff
	s_delay_alu instid0(VALU_DEP_2) | instskip(SKIP_2) | instid1(VALU_DEP_1)
	v_cndmask_b32_e64 v67, 0, v67, s0
	v_cmp_gt_i32_e64 s0, s5, v97
	s_wait_alu 0xf1ff
	v_cndmask_b32_e64 v72, 0, v65, s0
	v_cmp_gt_i32_e64 s0, s25, v98
	v_perm_b32 v65, v0, v23, 0x5040100
	s_delay_alu instid0(VALU_DEP_3) | instskip(SKIP_1) | instid1(VALU_DEP_3)
	v_perm_b32 v67, v72, v67, 0x5040100
	s_wait_alu 0xf1ff
	v_cndmask_b32_e64 v68, 0, v68, s0
	v_cmp_gt_i32_e64 s0, s5, v96
	s_wait_alu 0xf1ff
	s_delay_alu instid0(VALU_DEP_1) | instskip(NEXT) | instid1(VALU_DEP_1)
	v_cndmask_b32_e64 v71, 0, v71, s0
	v_perm_b32 v68, v71, v68, 0x5040100
	s_or_b32 exec_lo, exec_lo, s6
	global_load_b128 v[21:24], v[21:22], off offset:7168
	s_and_saveexec_b32 s0, vcc_lo
	s_cbranch_execz .LBB185_28
.LBB185_58:                             ;   in Loop: Header=BB185_29 Depth=1
	v_cmp_gt_i32_e32 vcc_lo, s25, v94
	s_wait_loadcnt 0x0
	v_lshrrev_b32_e32 v0, 16, v21
	v_lshrrev_b32_e32 v71, 16, v22
	;; [unrolled: 1-line block ×3, first 2 shown]
	s_wait_alu 0xfffd
	v_cndmask_b32_e32 v21, 0, v21, vcc_lo
	v_cmp_gt_i32_e32 vcc_lo, s5, v101
	s_wait_alu 0xfffd
	v_cndmask_b32_e32 v0, 0, v0, vcc_lo
	v_cmp_gt_i32_e32 vcc_lo, s25, v102
	s_delay_alu instid0(VALU_DEP_2)
	v_perm_b32 v21, v0, v21, 0x5040100
	s_wait_alu 0xfffd
	v_cndmask_b32_e32 v22, 0, v22, vcc_lo
	v_cmp_gt_i32_e32 vcc_lo, s5, v100
	s_wait_alu 0xfffd
	v_cndmask_b32_e32 v71, 0, v71, vcc_lo
	v_cmp_gt_i32_e32 vcc_lo, s25, v99
	v_lshrrev_b32_e32 v99, 16, v24
	s_delay_alu instid0(VALU_DEP_3)
	v_perm_b32 v22, v71, v22, 0x5040100
	s_wait_alu 0xfffd
	v_cndmask_b32_e32 v23, 0, v23, vcc_lo
	v_cmp_gt_i32_e32 vcc_lo, s5, v97
	s_wait_alu 0xfffd
	v_cndmask_b32_e32 v72, 0, v72, vcc_lo
	v_cmp_gt_i32_e32 vcc_lo, s25, v98
	s_delay_alu instid0(VALU_DEP_2)
	v_perm_b32 v23, v72, v23, 0x5040100
	s_wait_alu 0xfffd
	v_cndmask_b32_e32 v24, 0, v24, vcc_lo
	v_cmp_gt_i32_e32 vcc_lo, s5, v96
	s_wait_alu 0xfffd
	v_cndmask_b32_e32 v96, 0, v99, vcc_lo
	s_delay_alu instid0(VALU_DEP_1)
	v_perm_b32 v24, v96, v24, 0x5040100
	s_branch .LBB185_28
.LBB185_59:
	s_or_b32 exec_lo, exec_lo, s4
.LBB185_60:
	s_wait_alu 0xfffe
	s_or_b32 exec_lo, exec_lo, s1
	ds_bpermute_b32 v0, v75, v89
	ds_bpermute_b32 v2, v75, v90
	;; [unrolled: 1-line block ×15, first 2 shown]
	s_mov_b32 s0, exec_lo
	s_wait_storecnt 0x0
	s_wait_loadcnt_dscnt 0x0
	s_barrier_signal -1
	s_barrier_wait -1
	global_inv scope:SCOPE_SE
	v_add_f32_e32 v0, v89, v0
	v_add_f32_e32 v2, v90, v2
	;; [unrolled: 1-line block ×3, first 2 shown]
	v_dual_add_f32 v6, v85, v6 :: v_dual_add_f32 v1, v91, v1
	v_add_f32_e32 v3, v88, v3
	v_add_f32_e32 v5, v86, v5
	ds_bpermute_b32 v15, v74, v0
	ds_bpermute_b32 v17, v74, v2
	;; [unrolled: 1-line block ×3, first 2 shown]
	v_add_f32_e32 v7, v84, v7
	v_dual_add_f32 v21, v83, v8 :: v_dual_add_f32 v22, v82, v9
	ds_bpermute_b32 v8, v74, v6
	v_add_f32_e32 v24, v81, v10
	v_add_f32_e32 v26, v80, v11
	v_add_f32_e32 v28, v79, v12
	v_add_f32_e32 v30, v78, v13
	v_add_f32_e32 v32, v77, v14
	ds_bpermute_b32 v16, v74, v1
	ds_bpermute_b32 v18, v74, v3
	;; [unrolled: 1-line block ×6, first 2 shown]
	s_wait_dscnt 0x9
	v_add_f32_e32 v15, v0, v15
	ds_bpermute_b32 v29, v74, v24
	s_wait_dscnt 0x9
	v_add_f32_e32 v13, v2, v17
	ds_bpermute_b32 v31, v74, v26
	;; [unrolled: 3-line block ×4, first 2 shown]
	v_and_b32_e32 v19, 0x3c3, v103
	ds_bpermute_b32 v34, v74, v30
	v_and_b32_e32 v0, 28, v174
	s_wait_dscnt 0xa
	v_add_f32_e32 v14, v1, v16
	s_wait_dscnt 0x9
	v_add_f32_e32 v12, v3, v18
	;; [unrolled: 2-line block ×3, first 2 shown]
	v_lshrrev_b32_e32 v16, 2, v174
	v_mul_u32_u24_e32 v18, 0x1e0, v170
	s_wait_dscnt 0x4
	v_dual_add_f32 v6, v22, v27 :: v_dual_add_f32 v5, v24, v29
	s_wait_dscnt 0x2
	v_dual_add_f32 v4, v26, v31 :: v_dual_add_f32 v1, v28, v33
	s_wait_dscnt 0x1
	v_add_f32_e32 v3, v32, v35
	v_dual_add_f32 v8, v7, v23 :: v_dual_add_nc_u32 v17, 0x110, v0
	s_wait_dscnt 0x0
	v_dual_add_f32 v7, v21, v25 :: v_dual_add_f32 v2, v30, v34
	v_cmpx_eq_u32_e32 64, v19
	s_cbranch_execz .LBB185_62
; %bb.61:
	v_add_nc_u32_e32 v0, v17, v18
	s_delay_alu instid0(VALU_DEP_1)
	v_add_nc_u32_e32 v19, 0xfffffc40, v0
	v_add_nc_u32_e32 v20, 0xfffffc60, v0
	;; [unrolled: 1-line block ×8, first 2 shown]
	ds_store_b32 v19, v15
	ds_store_b32 v20, v14
	;; [unrolled: 1-line block ×8, first 2 shown]
	v_add_nc_u32_e32 v19, 0xfffffd40, v0
	v_add_nc_u32_e32 v20, 0xfffffd60, v0
	;; [unrolled: 1-line block ×7, first 2 shown]
	ds_store_b32 v19, v7
	ds_store_b32 v20, v6
	;; [unrolled: 1-line block ×7, first 2 shown]
.LBB185_62:
	s_wait_alu 0xfffe
	s_or_b32 exec_lo, exec_lo, s0
	v_lshlrev_b32_e32 v0, 2, v16
	s_mov_b32 s1, exec_lo
	v_cmp_eq_u32_e32 vcc_lo, 0, v76
	s_wait_loadcnt_dscnt 0x0
	s_barrier_signal -1
	v_add3_u32 v16, 0x110, v18, v0
	s_barrier_wait -1
	global_inv scope:SCOPE_SE
	v_cmpx_gt_u32_e32 64, v103
	s_cbranch_execz .LBB185_80
; %bb.63:
	s_and_saveexec_b32 s0, vcc_lo
	s_cbranch_execnz .LBB185_103
; %bb.64:
	s_wait_alu 0xfffe
	s_or_b32 exec_lo, exec_lo, s0
	s_and_saveexec_b32 s0, vcc_lo
	s_cbranch_execnz .LBB185_104
.LBB185_65:
	s_wait_alu 0xfffe
	s_or_b32 exec_lo, exec_lo, s0
	s_and_saveexec_b32 s0, vcc_lo
	s_cbranch_execnz .LBB185_105
.LBB185_66:
	s_wait_alu 0xfffe
	s_or_b32 exec_lo, exec_lo, s0
	s_and_saveexec_b32 s0, vcc_lo
	s_cbranch_execnz .LBB185_106
.LBB185_67:
	s_wait_alu 0xfffe
	s_or_b32 exec_lo, exec_lo, s0
	s_and_saveexec_b32 s0, vcc_lo
	s_cbranch_execnz .LBB185_107
.LBB185_68:
	s_wait_alu 0xfffe
	s_or_b32 exec_lo, exec_lo, s0
	s_and_saveexec_b32 s0, vcc_lo
	s_cbranch_execnz .LBB185_108
.LBB185_69:
	s_wait_alu 0xfffe
	s_or_b32 exec_lo, exec_lo, s0
	s_and_saveexec_b32 s0, vcc_lo
	s_cbranch_execnz .LBB185_109
.LBB185_70:
	s_wait_alu 0xfffe
	s_or_b32 exec_lo, exec_lo, s0
	s_and_saveexec_b32 s0, vcc_lo
	s_cbranch_execnz .LBB185_110
.LBB185_71:
	s_wait_alu 0xfffe
	s_or_b32 exec_lo, exec_lo, s0
	s_and_saveexec_b32 s0, vcc_lo
	s_cbranch_execnz .LBB185_111
.LBB185_72:
	s_wait_alu 0xfffe
	s_or_b32 exec_lo, exec_lo, s0
	s_and_saveexec_b32 s0, vcc_lo
	s_cbranch_execnz .LBB185_112
.LBB185_73:
	s_wait_alu 0xfffe
	s_or_b32 exec_lo, exec_lo, s0
	s_and_saveexec_b32 s0, vcc_lo
	s_cbranch_execnz .LBB185_113
.LBB185_74:
	s_wait_alu 0xfffe
	s_or_b32 exec_lo, exec_lo, s0
	s_and_saveexec_b32 s0, vcc_lo
	s_cbranch_execnz .LBB185_114
.LBB185_75:
	s_wait_alu 0xfffe
	s_or_b32 exec_lo, exec_lo, s0
	s_and_saveexec_b32 s0, vcc_lo
	s_cbranch_execnz .LBB185_115
.LBB185_76:
	s_wait_alu 0xfffe
	s_or_b32 exec_lo, exec_lo, s0
	s_and_saveexec_b32 s0, vcc_lo
	s_cbranch_execnz .LBB185_116
.LBB185_77:
	s_wait_alu 0xfffe
	s_or_b32 exec_lo, exec_lo, s0
	s_and_saveexec_b32 s0, vcc_lo
	s_cbranch_execz .LBB185_79
.LBB185_78:
	ds_load_b32 v0, v16 offset:448
	s_wait_dscnt 0x0
	v_add_f32_e32 v3, v3, v0
.LBB185_79:
	s_wait_alu 0xfffe
	s_or_b32 exec_lo, exec_lo, s0
.LBB185_80:
	s_wait_alu 0xfffe
	s_or_b32 exec_lo, exec_lo, s1
	v_and_b32_e32 v18, 0x3e3, v103
	s_mov_b32 s1, exec_lo
	s_wait_loadcnt 0x0
	s_barrier_signal -1
	s_barrier_wait -1
	global_inv scope:SCOPE_SE
	v_cmpx_eq_u32_e32 32, v18
	s_cbranch_execz .LBB185_82
; %bb.81:
	ds_store_2addr_b32 v17, v15, v14 offset1:8
	ds_store_2addr_b32 v17, v13, v12 offset0:16 offset1:24
	ds_store_2addr_b32 v17, v11, v10 offset0:32 offset1:40
	;; [unrolled: 1-line block ×6, first 2 shown]
	ds_store_b32 v17, v3 offset:448
.LBB185_82:
	s_wait_alu 0xfffe
	s_or_b32 exec_lo, exec_lo, s1
	s_delay_alu instid0(SALU_CYCLE_1)
	s_mov_b32 s1, exec_lo
	s_wait_loadcnt_dscnt 0x0
	s_barrier_signal -1
	s_barrier_wait -1
	global_inv scope:SCOPE_SE
	v_cmpx_gt_u32_e32 32, v103
	s_cbranch_execz .LBB185_100
; %bb.83:
	s_and_saveexec_b32 s0, vcc_lo
	s_cbranch_execnz .LBB185_117
; %bb.84:
	s_wait_alu 0xfffe
	s_or_b32 exec_lo, exec_lo, s0
	s_and_saveexec_b32 s0, vcc_lo
	s_cbranch_execnz .LBB185_118
.LBB185_85:
	s_wait_alu 0xfffe
	s_or_b32 exec_lo, exec_lo, s0
	s_and_saveexec_b32 s0, vcc_lo
	s_cbranch_execnz .LBB185_119
.LBB185_86:
	s_wait_alu 0xfffe
	s_or_b32 exec_lo, exec_lo, s0
	s_and_saveexec_b32 s0, vcc_lo
	s_cbranch_execnz .LBB185_120
.LBB185_87:
	s_wait_alu 0xfffe
	s_or_b32 exec_lo, exec_lo, s0
	s_and_saveexec_b32 s0, vcc_lo
	s_cbranch_execnz .LBB185_121
.LBB185_88:
	s_wait_alu 0xfffe
	s_or_b32 exec_lo, exec_lo, s0
	s_and_saveexec_b32 s0, vcc_lo
	s_cbranch_execnz .LBB185_122
.LBB185_89:
	s_wait_alu 0xfffe
	s_or_b32 exec_lo, exec_lo, s0
	s_and_saveexec_b32 s0, vcc_lo
	s_cbranch_execnz .LBB185_123
.LBB185_90:
	s_wait_alu 0xfffe
	s_or_b32 exec_lo, exec_lo, s0
	s_and_saveexec_b32 s0, vcc_lo
	s_cbranch_execnz .LBB185_124
.LBB185_91:
	s_wait_alu 0xfffe
	s_or_b32 exec_lo, exec_lo, s0
	s_and_saveexec_b32 s0, vcc_lo
	s_cbranch_execnz .LBB185_125
.LBB185_92:
	s_wait_alu 0xfffe
	s_or_b32 exec_lo, exec_lo, s0
	s_and_saveexec_b32 s0, vcc_lo
	s_cbranch_execnz .LBB185_126
.LBB185_93:
	s_wait_alu 0xfffe
	s_or_b32 exec_lo, exec_lo, s0
	s_and_saveexec_b32 s0, vcc_lo
	s_cbranch_execnz .LBB185_127
.LBB185_94:
	s_wait_alu 0xfffe
	s_or_b32 exec_lo, exec_lo, s0
	s_and_saveexec_b32 s0, vcc_lo
	s_cbranch_execnz .LBB185_128
.LBB185_95:
	s_wait_alu 0xfffe
	s_or_b32 exec_lo, exec_lo, s0
	s_and_saveexec_b32 s0, vcc_lo
	s_cbranch_execnz .LBB185_129
.LBB185_96:
	s_wait_alu 0xfffe
	s_or_b32 exec_lo, exec_lo, s0
	s_and_saveexec_b32 s0, vcc_lo
	s_cbranch_execnz .LBB185_130
.LBB185_97:
	s_wait_alu 0xfffe
	s_or_b32 exec_lo, exec_lo, s0
	s_and_saveexec_b32 s0, vcc_lo
	s_cbranch_execz .LBB185_99
.LBB185_98:
	ds_load_b32 v0, v16 offset:448
	s_wait_dscnt 0x0
	v_add_f32_e32 v3, v3, v0
.LBB185_99:
	s_wait_alu 0xfffe
	s_or_b32 exec_lo, exec_lo, s0
.LBB185_100:
	s_wait_alu 0xfffe
	s_or_b32 exec_lo, exec_lo, s1
	s_mov_b32 s1, 0
	s_wait_loadcnt 0x0
	s_barrier_signal -1
	s_barrier_wait -1
	global_inv scope:SCOPE_SE
	s_mov_b32 s0, exec_lo
	v_cmpx_eq_u32_e32 0, v18
	s_cbranch_execz .LBB185_102
; %bb.101:
	v_bfe_u32 v0, v15, 16, 1
	v_bfe_u32 v16, v14, 16, 1
	v_or_b32_e32 v18, 0x400000, v15
	v_cmp_u_f32_e32 vcc_lo, v15, v15
	v_or_b32_e32 v19, 0x400000, v14
	v_add3_u32 v0, v0, v15, 0x7fff
	v_add3_u32 v16, v16, v14, 0x7fff
	v_bfe_u32 v20, v13, 16, 1
	v_bfe_u32 v15, v12, 16, 1
	s_mul_i32 s2, s14, 0x78
	s_wait_alu 0xfffd
	v_cndmask_b32_e32 v0, v0, v18, vcc_lo
	v_cmp_u_f32_e32 vcc_lo, v14, v14
	v_or_b32_e32 v18, 0x400000, v13
	v_add3_u32 v15, v15, v12, 0x7fff
	s_wait_kmcnt 0x0
	s_mul_i32 s4, s8, s12
	s_wait_alu 0xfffe
	s_ashr_i32 s3, s2, 31
	s_wait_alu 0xfffd
	v_cndmask_b32_e32 v14, v16, v19, vcc_lo
	v_add3_u32 v16, v20, v13, 0x7fff
	v_cmp_u_f32_e32 vcc_lo, v13, v13
	v_or_b32_e32 v19, 0x400000, v12
	v_bfe_u32 v20, v11, 16, 1
	s_ashr_i32 s5, s4, 31
	s_wait_alu 0xfffe
	s_lshl_b64 s[2:3], s[2:3], 1
	s_wait_alu 0xfffd
	v_cndmask_b32_e32 v13, v16, v18, vcc_lo
	v_cmp_u_f32_e32 vcc_lo, v12, v12
	v_bfe_u32 v16, v10, 16, 1
	v_or_b32_e32 v18, 0x400000, v11
	s_lshl_b64 s[4:5], s[4:5], 1
	s_wait_alu 0xfffe
	s_add_nc_u64 s[2:3], s[10:11], s[2:3]
	s_wait_alu 0xfffd
	v_cndmask_b32_e32 v12, v15, v19, vcc_lo
	v_add3_u32 v15, v20, v11, 0x7fff
	v_cmp_u_f32_e32 vcc_lo, v11, v11
	v_add3_u32 v16, v16, v10, 0x7fff
	v_or_b32_e32 v19, 0x400000, v10
	v_bfe_u32 v20, v9, 16, 1
	v_lshrrev_b32_e32 v17, 1, v103
	s_wait_alu 0xfffd
	v_cndmask_b32_e32 v11, v15, v18, vcc_lo
	v_cmp_u_f32_e32 vcc_lo, v10, v10
	v_bfe_u32 v15, v8, 16, 1
	v_or_b32_e32 v18, 0x400000, v9
	s_wait_alu 0xfffe
	s_add_nc_u64 s[2:3], s[2:3], s[4:5]
	s_mul_i32 s0, s24, 0xf0
	s_wait_alu 0xfffd
	v_cndmask_b32_e32 v10, v16, v19, vcc_lo
	v_add3_u32 v16, v20, v9, 0x7fff
	v_cmp_u_f32_e32 vcc_lo, v9, v9
	v_add3_u32 v15, v15, v8, 0x7fff
	v_or_b32_e32 v19, 0x400000, v8
	v_bfe_u32 v20, v7, 16, 1
	s_wait_alu 0xfffe
	s_add_nc_u64 s[0:1], s[2:3], s[0:1]
	s_wait_alu 0xfffd
	v_cndmask_b32_e32 v9, v16, v18, vcc_lo
	v_cmp_u_f32_e32 vcc_lo, v8, v8
	v_or_b32_e32 v16, 0x400000, v7
	v_bfe_u32 v18, v6, 16, 1
	s_wait_alu 0xfffd
	v_cndmask_b32_e32 v8, v15, v19, vcc_lo
	v_add3_u32 v15, v20, v7, 0x7fff
	v_cmp_u_f32_e32 vcc_lo, v7, v7
	s_wait_alu 0xfffd
	s_delay_alu instid0(VALU_DEP_2)
	v_cndmask_b32_e32 v7, v15, v16, vcc_lo
	s_clause 0x7
	global_store_d16_hi_b16 v17, v0, s[0:1]
	global_store_d16_hi_b16 v17, v14, s[0:1] offset:16
	global_store_d16_hi_b16 v17, v13, s[0:1] offset:32
	;; [unrolled: 1-line block ×7, first 2 shown]
	v_bfe_u32 v0, v5, 16, 1
	v_add3_u32 v8, v18, v6, 0x7fff
	v_or_b32_e32 v9, 0x400000, v6
	v_cmp_u_f32_e32 vcc_lo, v6, v6
	v_bfe_u32 v10, v4, 16, 1
	v_add3_u32 v0, v0, v5, 0x7fff
	v_or_b32_e32 v11, 0x400000, v5
	v_or_b32_e32 v12, 0x400000, v3
	s_wait_alu 0xfffd
	v_cndmask_b32_e32 v6, v8, v9, vcc_lo
	v_cmp_u_f32_e32 vcc_lo, v5, v5
	v_add3_u32 v8, v10, v4, 0x7fff
	v_or_b32_e32 v9, 0x400000, v4
	v_bfe_u32 v5, v1, 16, 1
	v_bfe_u32 v10, v2, 16, 1
	s_wait_alu 0xfffd
	v_cndmask_b32_e32 v0, v0, v11, vcc_lo
	v_cmp_u_f32_e32 vcc_lo, v4, v4
	v_or_b32_e32 v11, 0x400000, v2
	v_add3_u32 v5, v5, v1, 0x7fff
	v_add3_u32 v10, v10, v2, 0x7fff
	s_wait_alu 0xfffd
	v_cndmask_b32_e32 v4, v8, v9, vcc_lo
	v_or_b32_e32 v9, 0x400000, v1
	v_cmp_u_f32_e32 vcc_lo, v1, v1
	v_bfe_u32 v8, v3, 16, 1
	s_wait_alu 0xfffd
	s_delay_alu instid0(VALU_DEP_3) | instskip(SKIP_1) | instid1(VALU_DEP_3)
	v_cndmask_b32_e32 v1, v5, v9, vcc_lo
	v_cmp_u_f32_e32 vcc_lo, v2, v2
	v_add3_u32 v8, v8, v3, 0x7fff
	s_wait_alu 0xfffd
	v_cndmask_b32_e32 v2, v10, v11, vcc_lo
	v_cmp_u_f32_e32 vcc_lo, v3, v3
	s_wait_alu 0xfffd
	v_cndmask_b32_e32 v3, v8, v12, vcc_lo
	s_clause 0x6
	global_store_d16_hi_b16 v17, v7, s[0:1] offset:128
	global_store_d16_hi_b16 v17, v6, s[0:1] offset:144
	;; [unrolled: 1-line block ×7, first 2 shown]
.LBB185_102:
	s_nop 0
	s_sendmsg sendmsg(MSG_DEALLOC_VGPRS)
	s_endpgm
.LBB185_103:
	ds_load_b32 v0, v16
	s_wait_dscnt 0x0
	v_add_f32_e32 v15, v15, v0
	s_wait_alu 0xfffe
	s_or_b32 exec_lo, exec_lo, s0
	s_and_saveexec_b32 s0, vcc_lo
	s_cbranch_execz .LBB185_65
.LBB185_104:
	ds_load_b32 v0, v16 offset:32
	s_wait_dscnt 0x0
	v_add_f32_e32 v14, v14, v0
	s_wait_alu 0xfffe
	s_or_b32 exec_lo, exec_lo, s0
	s_and_saveexec_b32 s0, vcc_lo
	s_cbranch_execz .LBB185_66
.LBB185_105:
	ds_load_b32 v0, v16 offset:64
	s_wait_dscnt 0x0
	v_add_f32_e32 v13, v13, v0
	s_wait_alu 0xfffe
	s_or_b32 exec_lo, exec_lo, s0
	s_and_saveexec_b32 s0, vcc_lo
	s_cbranch_execz .LBB185_67
.LBB185_106:
	ds_load_b32 v0, v16 offset:96
	s_wait_dscnt 0x0
	v_add_f32_e32 v12, v12, v0
	s_wait_alu 0xfffe
	s_or_b32 exec_lo, exec_lo, s0
	s_and_saveexec_b32 s0, vcc_lo
	s_cbranch_execz .LBB185_68
.LBB185_107:
	ds_load_b32 v0, v16 offset:128
	s_wait_dscnt 0x0
	v_add_f32_e32 v11, v11, v0
	s_wait_alu 0xfffe
	s_or_b32 exec_lo, exec_lo, s0
	s_and_saveexec_b32 s0, vcc_lo
	s_cbranch_execz .LBB185_69
.LBB185_108:
	ds_load_b32 v0, v16 offset:160
	s_wait_dscnt 0x0
	v_add_f32_e32 v10, v10, v0
	s_wait_alu 0xfffe
	s_or_b32 exec_lo, exec_lo, s0
	s_and_saveexec_b32 s0, vcc_lo
	s_cbranch_execz .LBB185_70
.LBB185_109:
	ds_load_b32 v0, v16 offset:192
	s_wait_dscnt 0x0
	v_add_f32_e32 v9, v9, v0
	s_wait_alu 0xfffe
	s_or_b32 exec_lo, exec_lo, s0
	s_and_saveexec_b32 s0, vcc_lo
	s_cbranch_execz .LBB185_71
.LBB185_110:
	ds_load_b32 v0, v16 offset:224
	s_wait_dscnt 0x0
	v_add_f32_e32 v8, v8, v0
	s_wait_alu 0xfffe
	s_or_b32 exec_lo, exec_lo, s0
	s_and_saveexec_b32 s0, vcc_lo
	s_cbranch_execz .LBB185_72
.LBB185_111:
	ds_load_b32 v0, v16 offset:256
	s_wait_dscnt 0x0
	v_add_f32_e32 v7, v7, v0
	s_wait_alu 0xfffe
	s_or_b32 exec_lo, exec_lo, s0
	s_and_saveexec_b32 s0, vcc_lo
	s_cbranch_execz .LBB185_73
.LBB185_112:
	ds_load_b32 v0, v16 offset:288
	s_wait_dscnt 0x0
	v_add_f32_e32 v6, v6, v0
	s_wait_alu 0xfffe
	s_or_b32 exec_lo, exec_lo, s0
	s_and_saveexec_b32 s0, vcc_lo
	s_cbranch_execz .LBB185_74
.LBB185_113:
	ds_load_b32 v0, v16 offset:320
	s_wait_dscnt 0x0
	v_add_f32_e32 v5, v5, v0
	s_wait_alu 0xfffe
	s_or_b32 exec_lo, exec_lo, s0
	s_and_saveexec_b32 s0, vcc_lo
	s_cbranch_execz .LBB185_75
.LBB185_114:
	ds_load_b32 v0, v16 offset:352
	s_wait_dscnt 0x0
	v_add_f32_e32 v4, v4, v0
	s_wait_alu 0xfffe
	s_or_b32 exec_lo, exec_lo, s0
	s_and_saveexec_b32 s0, vcc_lo
	s_cbranch_execz .LBB185_76
.LBB185_115:
	ds_load_b32 v0, v16 offset:384
	s_wait_dscnt 0x0
	v_add_f32_e32 v1, v1, v0
	s_wait_alu 0xfffe
	s_or_b32 exec_lo, exec_lo, s0
	s_and_saveexec_b32 s0, vcc_lo
	s_cbranch_execz .LBB185_77
.LBB185_116:
	ds_load_b32 v0, v16 offset:416
	s_wait_dscnt 0x0
	v_add_f32_e32 v2, v2, v0
	s_wait_alu 0xfffe
	s_or_b32 exec_lo, exec_lo, s0
	s_and_saveexec_b32 s0, vcc_lo
	s_cbranch_execnz .LBB185_78
	s_branch .LBB185_79
.LBB185_117:
	ds_load_b32 v0, v16
	s_wait_dscnt 0x0
	v_add_f32_e32 v15, v15, v0
	s_wait_alu 0xfffe
	s_or_b32 exec_lo, exec_lo, s0
	s_and_saveexec_b32 s0, vcc_lo
	s_cbranch_execz .LBB185_85
.LBB185_118:
	ds_load_b32 v0, v16 offset:32
	s_wait_dscnt 0x0
	v_add_f32_e32 v14, v14, v0
	s_wait_alu 0xfffe
	s_or_b32 exec_lo, exec_lo, s0
	s_and_saveexec_b32 s0, vcc_lo
	s_cbranch_execz .LBB185_86
.LBB185_119:
	ds_load_b32 v0, v16 offset:64
	s_wait_dscnt 0x0
	v_add_f32_e32 v13, v13, v0
	s_wait_alu 0xfffe
	s_or_b32 exec_lo, exec_lo, s0
	s_and_saveexec_b32 s0, vcc_lo
	s_cbranch_execz .LBB185_87
.LBB185_120:
	ds_load_b32 v0, v16 offset:96
	s_wait_dscnt 0x0
	v_add_f32_e32 v12, v12, v0
	s_wait_alu 0xfffe
	s_or_b32 exec_lo, exec_lo, s0
	s_and_saveexec_b32 s0, vcc_lo
	s_cbranch_execz .LBB185_88
.LBB185_121:
	ds_load_b32 v0, v16 offset:128
	s_wait_dscnt 0x0
	v_add_f32_e32 v11, v11, v0
	s_wait_alu 0xfffe
	s_or_b32 exec_lo, exec_lo, s0
	s_and_saveexec_b32 s0, vcc_lo
	s_cbranch_execz .LBB185_89
.LBB185_122:
	ds_load_b32 v0, v16 offset:160
	s_wait_dscnt 0x0
	v_add_f32_e32 v10, v10, v0
	s_wait_alu 0xfffe
	s_or_b32 exec_lo, exec_lo, s0
	s_and_saveexec_b32 s0, vcc_lo
	s_cbranch_execz .LBB185_90
.LBB185_123:
	ds_load_b32 v0, v16 offset:192
	s_wait_dscnt 0x0
	v_add_f32_e32 v9, v9, v0
	s_wait_alu 0xfffe
	s_or_b32 exec_lo, exec_lo, s0
	s_and_saveexec_b32 s0, vcc_lo
	s_cbranch_execz .LBB185_91
.LBB185_124:
	ds_load_b32 v0, v16 offset:224
	s_wait_dscnt 0x0
	v_add_f32_e32 v8, v8, v0
	s_wait_alu 0xfffe
	s_or_b32 exec_lo, exec_lo, s0
	s_and_saveexec_b32 s0, vcc_lo
	s_cbranch_execz .LBB185_92
.LBB185_125:
	ds_load_b32 v0, v16 offset:256
	s_wait_dscnt 0x0
	v_add_f32_e32 v7, v7, v0
	s_wait_alu 0xfffe
	s_or_b32 exec_lo, exec_lo, s0
	s_and_saveexec_b32 s0, vcc_lo
	s_cbranch_execz .LBB185_93
.LBB185_126:
	ds_load_b32 v0, v16 offset:288
	s_wait_dscnt 0x0
	v_add_f32_e32 v6, v6, v0
	s_wait_alu 0xfffe
	s_or_b32 exec_lo, exec_lo, s0
	s_and_saveexec_b32 s0, vcc_lo
	s_cbranch_execz .LBB185_94
.LBB185_127:
	ds_load_b32 v0, v16 offset:320
	s_wait_dscnt 0x0
	v_add_f32_e32 v5, v5, v0
	s_wait_alu 0xfffe
	s_or_b32 exec_lo, exec_lo, s0
	s_and_saveexec_b32 s0, vcc_lo
	s_cbranch_execz .LBB185_95
.LBB185_128:
	ds_load_b32 v0, v16 offset:352
	s_wait_dscnt 0x0
	v_add_f32_e32 v4, v4, v0
	s_wait_alu 0xfffe
	s_or_b32 exec_lo, exec_lo, s0
	s_and_saveexec_b32 s0, vcc_lo
	s_cbranch_execz .LBB185_96
.LBB185_129:
	ds_load_b32 v0, v16 offset:384
	s_wait_dscnt 0x0
	v_add_f32_e32 v1, v1, v0
	s_wait_alu 0xfffe
	s_or_b32 exec_lo, exec_lo, s0
	s_and_saveexec_b32 s0, vcc_lo
	s_cbranch_execz .LBB185_97
.LBB185_130:
	ds_load_b32 v0, v16 offset:416
	s_wait_dscnt 0x0
	v_add_f32_e32 v2, v2, v0
	s_wait_alu 0xfffe
	s_or_b32 exec_lo, exec_lo, s0
	s_and_saveexec_b32 s0, vcc_lo
	s_cbranch_execnz .LBB185_98
	s_branch .LBB185_99
	.section	.rodata,"a",@progbits
	.p2align	6, 0x0
	.amdhsa_kernel _ZN4vllm25paged_attention_v2_kernelI14__hip_bfloat16S1_Li120ELi32ELi128ELNS_18Fp8KVCacheDataTypeE0ELb0ELi512EEEvPfS3_PT_PKS4_PKT0_SA_ifPKiSC_iPKfiiiSE_SE_iiiii
		.amdhsa_group_segment_fixed_size 272
		.amdhsa_private_segment_fixed_size 44
		.amdhsa_kernarg_size 400
		.amdhsa_user_sgpr_count 2
		.amdhsa_user_sgpr_dispatch_ptr 0
		.amdhsa_user_sgpr_queue_ptr 0
		.amdhsa_user_sgpr_kernarg_segment_ptr 1
		.amdhsa_user_sgpr_dispatch_id 0
		.amdhsa_user_sgpr_private_segment_size 0
		.amdhsa_wavefront_size32 1
		.amdhsa_uses_dynamic_stack 0
		.amdhsa_enable_private_segment 1
		.amdhsa_system_sgpr_workgroup_id_x 1
		.amdhsa_system_sgpr_workgroup_id_y 1
		.amdhsa_system_sgpr_workgroup_id_z 1
		.amdhsa_system_sgpr_workgroup_info 0
		.amdhsa_system_vgpr_workitem_id 0
		.amdhsa_next_free_vgpr 192
		.amdhsa_next_free_sgpr 32
		.amdhsa_reserve_vcc 1
		.amdhsa_float_round_mode_32 0
		.amdhsa_float_round_mode_16_64 0
		.amdhsa_float_denorm_mode_32 3
		.amdhsa_float_denorm_mode_16_64 3
		.amdhsa_fp16_overflow 0
		.amdhsa_workgroup_processor_mode 1
		.amdhsa_memory_ordered 1
		.amdhsa_forward_progress 1
		.amdhsa_inst_pref_size 168
		.amdhsa_round_robin_scheduling 0
		.amdhsa_exception_fp_ieee_invalid_op 0
		.amdhsa_exception_fp_denorm_src 0
		.amdhsa_exception_fp_ieee_div_zero 0
		.amdhsa_exception_fp_ieee_overflow 0
		.amdhsa_exception_fp_ieee_underflow 0
		.amdhsa_exception_fp_ieee_inexact 0
		.amdhsa_exception_int_div_zero 0
	.end_amdhsa_kernel
	.section	.text._ZN4vllm25paged_attention_v2_kernelI14__hip_bfloat16S1_Li120ELi32ELi128ELNS_18Fp8KVCacheDataTypeE0ELb0ELi512EEEvPfS3_PT_PKS4_PKT0_SA_ifPKiSC_iPKfiiiSE_SE_iiiii,"axG",@progbits,_ZN4vllm25paged_attention_v2_kernelI14__hip_bfloat16S1_Li120ELi32ELi128ELNS_18Fp8KVCacheDataTypeE0ELb0ELi512EEEvPfS3_PT_PKS4_PKT0_SA_ifPKiSC_iPKfiiiSE_SE_iiiii,comdat
.Lfunc_end185:
	.size	_ZN4vllm25paged_attention_v2_kernelI14__hip_bfloat16S1_Li120ELi32ELi128ELNS_18Fp8KVCacheDataTypeE0ELb0ELi512EEEvPfS3_PT_PKS4_PKT0_SA_ifPKiSC_iPKfiiiSE_SE_iiiii, .Lfunc_end185-_ZN4vllm25paged_attention_v2_kernelI14__hip_bfloat16S1_Li120ELi32ELi128ELNS_18Fp8KVCacheDataTypeE0ELb0ELi512EEEvPfS3_PT_PKS4_PKT0_SA_ifPKiSC_iPKfiiiSE_SE_iiiii
                                        ; -- End function
	.set _ZN4vllm25paged_attention_v2_kernelI14__hip_bfloat16S1_Li120ELi32ELi128ELNS_18Fp8KVCacheDataTypeE0ELb0ELi512EEEvPfS3_PT_PKS4_PKT0_SA_ifPKiSC_iPKfiiiSE_SE_iiiii.num_vgpr, 192
	.set _ZN4vllm25paged_attention_v2_kernelI14__hip_bfloat16S1_Li120ELi32ELi128ELNS_18Fp8KVCacheDataTypeE0ELb0ELi512EEEvPfS3_PT_PKS4_PKT0_SA_ifPKiSC_iPKfiiiSE_SE_iiiii.num_agpr, 0
	.set _ZN4vllm25paged_attention_v2_kernelI14__hip_bfloat16S1_Li120ELi32ELi128ELNS_18Fp8KVCacheDataTypeE0ELb0ELi512EEEvPfS3_PT_PKS4_PKT0_SA_ifPKiSC_iPKfiiiSE_SE_iiiii.numbered_sgpr, 32
	.set _ZN4vllm25paged_attention_v2_kernelI14__hip_bfloat16S1_Li120ELi32ELi128ELNS_18Fp8KVCacheDataTypeE0ELb0ELi512EEEvPfS3_PT_PKS4_PKT0_SA_ifPKiSC_iPKfiiiSE_SE_iiiii.num_named_barrier, 0
	.set _ZN4vllm25paged_attention_v2_kernelI14__hip_bfloat16S1_Li120ELi32ELi128ELNS_18Fp8KVCacheDataTypeE0ELb0ELi512EEEvPfS3_PT_PKS4_PKT0_SA_ifPKiSC_iPKfiiiSE_SE_iiiii.private_seg_size, 44
	.set _ZN4vllm25paged_attention_v2_kernelI14__hip_bfloat16S1_Li120ELi32ELi128ELNS_18Fp8KVCacheDataTypeE0ELb0ELi512EEEvPfS3_PT_PKS4_PKT0_SA_ifPKiSC_iPKfiiiSE_SE_iiiii.uses_vcc, 1
	.set _ZN4vllm25paged_attention_v2_kernelI14__hip_bfloat16S1_Li120ELi32ELi128ELNS_18Fp8KVCacheDataTypeE0ELb0ELi512EEEvPfS3_PT_PKS4_PKT0_SA_ifPKiSC_iPKfiiiSE_SE_iiiii.uses_flat_scratch, 1
	.set _ZN4vllm25paged_attention_v2_kernelI14__hip_bfloat16S1_Li120ELi32ELi128ELNS_18Fp8KVCacheDataTypeE0ELb0ELi512EEEvPfS3_PT_PKS4_PKT0_SA_ifPKiSC_iPKfiiiSE_SE_iiiii.has_dyn_sized_stack, 0
	.set _ZN4vllm25paged_attention_v2_kernelI14__hip_bfloat16S1_Li120ELi32ELi128ELNS_18Fp8KVCacheDataTypeE0ELb0ELi512EEEvPfS3_PT_PKS4_PKT0_SA_ifPKiSC_iPKfiiiSE_SE_iiiii.has_recursion, 0
	.set _ZN4vllm25paged_attention_v2_kernelI14__hip_bfloat16S1_Li120ELi32ELi128ELNS_18Fp8KVCacheDataTypeE0ELb0ELi512EEEvPfS3_PT_PKS4_PKT0_SA_ifPKiSC_iPKfiiiSE_SE_iiiii.has_indirect_call, 0
	.section	.AMDGPU.csdata,"",@progbits
; Kernel info:
; codeLenInByte = 21440
; TotalNumSgprs: 34
; NumVgprs: 192
; ScratchSize: 44
; MemoryBound: 0
; FloatMode: 240
; IeeeMode: 1
; LDSByteSize: 272 bytes/workgroup (compile time only)
; SGPRBlocks: 0
; VGPRBlocks: 23
; NumSGPRsForWavesPerEU: 34
; NumVGPRsForWavesPerEU: 192
; Occupancy: 8
; WaveLimiterHint : 1
; COMPUTE_PGM_RSRC2:SCRATCH_EN: 1
; COMPUTE_PGM_RSRC2:USER_SGPR: 2
; COMPUTE_PGM_RSRC2:TRAP_HANDLER: 0
; COMPUTE_PGM_RSRC2:TGID_X_EN: 1
; COMPUTE_PGM_RSRC2:TGID_Y_EN: 1
; COMPUTE_PGM_RSRC2:TGID_Z_EN: 1
; COMPUTE_PGM_RSRC2:TIDIG_COMP_CNT: 0
	.section	.text._ZN4vllm25paged_attention_v2_kernelI14__hip_bfloat16S1_Li128ELi32ELi128ELNS_18Fp8KVCacheDataTypeE0ELb0ELi512EEEvPfS3_PT_PKS4_PKT0_SA_ifPKiSC_iPKfiiiSE_SE_iiiii,"axG",@progbits,_ZN4vllm25paged_attention_v2_kernelI14__hip_bfloat16S1_Li128ELi32ELi128ELNS_18Fp8KVCacheDataTypeE0ELb0ELi512EEEvPfS3_PT_PKS4_PKT0_SA_ifPKiSC_iPKfiiiSE_SE_iiiii,comdat
	.protected	_ZN4vllm25paged_attention_v2_kernelI14__hip_bfloat16S1_Li128ELi32ELi128ELNS_18Fp8KVCacheDataTypeE0ELb0ELi512EEEvPfS3_PT_PKS4_PKT0_SA_ifPKiSC_iPKfiiiSE_SE_iiiii ; -- Begin function _ZN4vllm25paged_attention_v2_kernelI14__hip_bfloat16S1_Li128ELi32ELi128ELNS_18Fp8KVCacheDataTypeE0ELb0ELi512EEEvPfS3_PT_PKS4_PKT0_SA_ifPKiSC_iPKfiiiSE_SE_iiiii
	.globl	_ZN4vllm25paged_attention_v2_kernelI14__hip_bfloat16S1_Li128ELi32ELi128ELNS_18Fp8KVCacheDataTypeE0ELb0ELi512EEEvPfS3_PT_PKS4_PKT0_SA_ifPKiSC_iPKfiiiSE_SE_iiiii
	.p2align	8
	.type	_ZN4vllm25paged_attention_v2_kernelI14__hip_bfloat16S1_Li128ELi32ELi128ELNS_18Fp8KVCacheDataTypeE0ELb0ELi512EEEvPfS3_PT_PKS4_PKT0_SA_ifPKiSC_iPKfiiiSE_SE_iiiii,@function
_ZN4vllm25paged_attention_v2_kernelI14__hip_bfloat16S1_Li128ELi32ELi128ELNS_18Fp8KVCacheDataTypeE0ELb0ELi512EEEvPfS3_PT_PKS4_PKT0_SA_ifPKiSC_iPKfiiiSE_SE_iiiii: ; @_ZN4vllm25paged_attention_v2_kernelI14__hip_bfloat16S1_Li128ELi32ELi128ELNS_18Fp8KVCacheDataTypeE0ELb0ELi512EEEvPfS3_PT_PKS4_PKT0_SA_ifPKiSC_iPKfiiiSE_SE_iiiii
; %bb.0:
	s_load_b64 s[2:3], s[0:1], 0x40
	s_and_b32 s14, ttmp7, 0xffff
	s_lshr_b32 s24, ttmp7, 16
	s_lshl_b32 s4, s14, 2
	s_lshl_b32 s26, s24, 9
	s_wait_kmcnt 0x0
	s_load_b32 s25, s[2:3], s4 offset:0x0
	s_wait_kmcnt 0x0
	s_cmp_ge_i32 s26, s25
	s_cbranch_scc1 .LBB186_106
; %bb.1:
	s_clause 0x1
	s_load_b32 s15, s[0:1], 0x90
	s_load_b64 s[4:5], s[0:1], 0x30
	v_mov_b32_e32 v108, v0
	s_wait_kmcnt 0x0
	s_abs_i32 s7, s15
	s_abs_i32 s2, s4
	s_xor_b32 s4, s15, s4
	s_cvt_f32_u32 s3, s2
	s_sub_co_i32 s6, 0, s2
	s_ashr_i32 s4, s4, 31
	s_delay_alu instid0(SALU_CYCLE_1) | instskip(NEXT) | instid1(TRANS32_DEP_1)
	v_rcp_iflag_f32_e32 v1, s3
	v_readfirstlane_b32 s3, v1
	s_mul_f32 s3, s3, 0x4f7ffffe
	s_wait_alu 0xfffe
	s_delay_alu instid0(SALU_CYCLE_2) | instskip(SKIP_1) | instid1(SALU_CYCLE_2)
	s_cvt_u32_f32 s3, s3
	s_wait_alu 0xfffe
	s_mul_i32 s6, s6, s3
	s_delay_alu instid0(SALU_CYCLE_1) | instskip(NEXT) | instid1(SALU_CYCLE_1)
	s_mul_hi_u32 s6, s3, s6
	s_add_co_i32 s3, s3, s6
	s_wait_alu 0xfffe
	s_mul_hi_u32 s3, s7, s3
	s_wait_alu 0xfffe
	s_mul_i32 s6, s3, s2
	s_delay_alu instid0(SALU_CYCLE_1)
	s_sub_co_i32 s6, s7, s6
	s_add_co_i32 s7, s3, 1
	s_sub_co_i32 s8, s6, s2
	s_cmp_ge_u32 s6, s2
	s_cselect_b32 s3, s7, s3
	s_cselect_b32 s6, s8, s6
	s_wait_alu 0xfffe
	s_add_co_i32 s7, s3, 1
	s_cmp_ge_u32 s6, s2
	s_load_b64 s[8:9], s[0:1], 0x50
	s_cselect_b32 s2, s7, s3
	s_mov_b32 s3, 0
	s_wait_alu 0xfffe
	s_xor_b32 s2, s2, s4
	s_mov_b32 s7, s3
	s_wait_alu 0xfffe
	s_sub_co_i32 s12, s2, s4
	s_delay_alu instid0(SALU_CYCLE_1) | instskip(NEXT) | instid1(SALU_CYCLE_1)
	s_abs_i32 s11, s12
	s_cvt_f32_u32 s2, s11
	s_wait_alu 0xfffe
	s_delay_alu instid0(SALU_CYCLE_2) | instskip(NEXT) | instid1(TRANS32_DEP_1)
	v_rcp_iflag_f32_e32 v1, s2
	v_readfirstlane_b32 s2, v1
	s_mul_f32 s2, s2, 0x4f7ffffe
	s_wait_alu 0xfffe
	s_delay_alu instid0(SALU_CYCLE_2) | instskip(SKIP_2) | instid1(SALU_CYCLE_1)
	s_cvt_u32_f32 s4, s2
	s_sub_co_i32 s2, 0, s11
	s_wait_alu 0xfffe
	s_mul_i32 s2, s2, s4
	s_wait_alu 0xfffe
	s_mul_hi_u32 s6, s4, s2
	s_abs_i32 s2, ttmp9
	s_add_co_i32 s6, s4, s6
	s_wait_kmcnt 0x0
	s_cmp_eq_u64 s[8:9], 0
	s_mov_b32 s4, s3
	s_cbranch_scc1 .LBB186_3
; %bb.2:
	s_mov_b32 s16, ttmp9
	s_ashr_i32 s17, ttmp9, 31
	s_delay_alu instid0(SALU_CYCLE_1) | instskip(NEXT) | instid1(SALU_CYCLE_1)
	s_lshl_b64 s[16:17], s[16:17], 2
	s_add_nc_u64 s[8:9], s[8:9], s[16:17]
	s_load_b32 s4, s[8:9], 0x0
.LBB186_3:
	s_load_b96 s[8:10], s[0:1], 0x58
	v_lshlrev_b32_e32 v10, 4, v108
	s_mul_u64 s[6:7], s[2:3], s[6:7]
	s_ashr_i32 s3, ttmp9, 31
	s_ashr_i32 s6, s12, 31
	s_lshl_b32 s12, ttmp9, 7
	s_mov_b32 s16, exec_lo
	v_cmpx_gt_u32_e32 16, v108
	s_cbranch_execz .LBB186_5
; %bb.4:
	s_load_b64 s[18:19], s[0:1], 0x18
	s_wait_kmcnt 0x0
	s_mul_i32 s20, s8, s14
	s_ashr_i32 s13, s12, 31
	s_ashr_i32 s21, s20, 31
	s_delay_alu instid0(SALU_CYCLE_1) | instskip(NEXT) | instid1(SALU_CYCLE_1)
	s_lshl_b64 s[20:21], s[20:21], 1
	s_add_nc_u64 s[18:19], s[18:19], s[20:21]
	s_lshl_b64 s[20:21], s[12:13], 1
	s_delay_alu instid0(SALU_CYCLE_1)
	s_add_nc_u64 s[18:19], s[18:19], s[20:21]
	global_load_b128 v[1:4], v10, s[18:19]
	s_wait_loadcnt 0x0
	ds_store_b128 v10, v[1:4]
.LBB186_5:
	s_or_b32 exec_lo, exec_lo, s16
	s_wait_kmcnt 0x0
	s_add_co_i32 s8, s25, 31
	s_lshl_b32 s28, s24, 4
	s_ashr_i32 s13, s8, 31
	s_mul_i32 s19, s7, s11
	s_lshr_b32 s13, s13, 27
	s_sub_co_i32 s2, s2, s19
	s_add_co_i32 s8, s8, s13
	s_add_co_i32 s13, s28, 16
	s_ashr_i32 s27, s8, 5
	s_clause 0x2
	s_load_b64 s[16:17], s[0:1], 0x38
	s_load_b32 s8, s[0:1], 0x98
	s_load_b32 s18, s[0:1], 0x48
	s_min_i32 s13, s13, s27
	s_xor_b32 s3, s3, s6
	s_add_co_i32 s6, s7, 1
	s_sub_co_i32 s19, s2, s11
	s_cmp_ge_u32 s2, s11
	v_lshrrev_b32_e32 v178, 5, v108
	s_cselect_b32 s6, s6, s7
	s_cselect_b32 s2, s19, s2
	s_add_co_i32 s7, s6, 1
	s_wait_alu 0xfffe
	s_cmp_ge_u32 s2, s11
	v_dual_mov_b32 v169, 0xff7fffff :: v_dual_and_b32 v182, 31, v108
	v_add_nc_u32_e32 v77, s28, v178
	s_cselect_b32 s2, s7, s6
	v_lshlrev_b32_e32 v27, 5, v178
	s_wait_alu 0xfffe
	s_xor_b32 s2, s2, s3
	v_lshlrev_b32_e32 v28, 2, v182
	s_wait_alu 0xfffe
	s_sub_co_i32 s3, s2, s3
	v_cmp_gt_i32_e64 s2, s13, v77
	v_lshlrev_b32_e32 v26, 2, v77
	s_wait_kmcnt 0x0
	s_mul_i32 s18, s18, s14
	s_wait_alu 0xfffe
	s_mul_i32 s20, s3, s10
	s_ashr_i32 s19, s18, 31
	s_wait_dscnt 0x0
	s_barrier_signal -1
	s_barrier_wait -1
	global_inv scope:SCOPE_SE
	s_and_saveexec_b32 s6, s2
	s_cbranch_execz .LBB186_9
; %bb.6:
	v_mov_b32_e32 v25, 0
	s_clause 0x1
	scratch_store_b32 off, v10, off offset:52
	scratch_store_b32 off, v108, off offset:40
	s_load_b64 s[10:11], s[0:1], 0x20
	s_ashr_i32 s21, s20, 31
	s_mov_b32 s7, 0
	ds_load_b128 v[1:4], v25
	ds_load_b128 v[5:8], v25 offset:16
	ds_load_b128 v[9:12], v25 offset:32
	ds_load_b128 v[13:16], v25 offset:48
	ds_load_b128 v[17:20], v25 offset:64
	s_lshl_b64 s[22:23], s[20:21], 1
	s_cmp_neq_f32 s4, 0
	v_mov_b32_e32 v169, 0xff7fffff
	v_mov_b32_e32 v183, v77
	s_cselect_b32 vcc_lo, -1, 0
	s_wait_dscnt 0x4
	v_and_b32_e32 v0, 0xffff0000, v1
	v_and_b32_e32 v59, 0xffff0000, v3
	v_lshlrev_b32_e32 v60, 16, v3
	v_and_b32_e32 v65, 0xffff0000, v4
	v_lshlrev_b32_e32 v66, 16, v4
	scratch_store_b32 off, v0, off          ; 4-byte Folded Spill
	v_lshlrev_b32_e32 v0, 16, v1
	s_wait_dscnt 0x3
	v_and_b32_e32 v61, 0xffff0000, v7
	v_lshlrev_b32_e32 v62, 16, v7
	v_and_b32_e32 v67, 0xffff0000, v8
	v_lshlrev_b32_e32 v68, 16, v8
	scratch_store_b32 off, v0, off offset:4 ; 4-byte Folded Spill
	v_and_b32_e32 v0, 0xffff0000, v5
	s_wait_dscnt 0x2
	v_and_b32_e32 v57, 0xffff0000, v10
	v_lshlrev_b32_e32 v58, 16, v10
	v_and_b32_e32 v63, 0xffff0000, v11
	v_lshlrev_b32_e32 v64, 16, v11
	scratch_store_b32 off, v0, off offset:8 ; 4-byte Folded Spill
	v_lshlrev_b32_e32 v0, 16, v5
	v_and_b32_e32 v69, 0xffff0000, v12
	v_lshlrev_b32_e32 v70, 16, v12
	s_wait_dscnt 0x1
	v_and_b32_e32 v71, 0xffff0000, v13
	v_lshlrev_b32_e32 v72, 16, v13
	scratch_store_b32 off, v0, off offset:12 ; 4-byte Folded Spill
	v_and_b32_e32 v0, 0xffff0000, v9
	v_and_b32_e32 v73, 0xffff0000, v14
	v_lshlrev_b32_e32 v74, 16, v14
	v_and_b32_e32 v78, 0xffff0000, v15
	v_lshlrev_b32_e32 v79, 16, v15
	scratch_store_b32 off, v0, off offset:16 ; 4-byte Folded Spill
	v_lshlrev_b32_e32 v0, 16, v9
	v_and_b32_e32 v80, 0xffff0000, v16
	v_lshlrev_b32_e32 v81, 16, v16
	ds_load_b128 v[9:12], v25 offset:112
	ds_load_b128 v[13:16], v25 offset:128
	scratch_store_b32 off, v0, off offset:20 ; 4-byte Folded Spill
	v_and_b32_e32 v0, 0xffff0000, v2
	ds_load_b128 v[21:24], v25 offset:144
	s_wait_kmcnt 0x0
	s_add_nc_u64 s[10:11], s[10:11], s[22:23]
	s_lshl_b64 s[22:23], s[18:19], 2
	s_wait_dscnt 0x3
	v_and_b32_e32 v82, 0xffff0000, v17
	scratch_store_b32 off, v0, off offset:24 ; 4-byte Folded Spill
	v_lshlrev_b32_e32 v0, 16, v2
	ds_load_b128 v[1:4], v25 offset:80
	s_add_nc_u64 s[22:23], s[16:17], s[22:23]
	v_lshlrev_b32_e32 v83, 16, v17
	v_add_co_u32 v41, s3, s22, v26
	scratch_store_b32 off, v0, off offset:28 ; 4-byte Folded Spill
	v_and_b32_e32 v0, 0xffff0000, v6
	s_wait_alu 0xf1ff
	v_add_co_ci_u32_e64 v42, null, s23, 0, s3
	v_and_b32_e32 v84, 0xffff0000, v18
	s_wait_dscnt 0x3
	v_and_b32_e32 v100, 0xffff0000, v9
	scratch_store_b32 off, v0, off offset:32 ; 4-byte Folded Spill
	v_lshlrev_b32_e32 v0, 16, v6
	ds_load_b128 v[5:8], v25 offset:96
	s_wait_dscnt 0x3
	v_and_b32_e32 v102, 0xffff0000, v13
	v_lshlrev_b32_e32 v103, 16, v13
	v_and_b32_e32 v110, 0xffff0000, v14
	v_lshlrev_b32_e32 v111, 16, v14
	;; [unrolled: 2-line block ×3, first 2 shown]
	s_wait_dscnt 0x1
	v_and_b32_e32 v90, 0xffff0000, v1
	v_lshlrev_b32_e32 v91, 16, v1
	v_and_b32_e32 v92, 0xffff0000, v2
	v_lshlrev_b32_e32 v93, 16, v2
	;; [unrolled: 2-line block ×4, first 2 shown]
	ds_load_b128 v[1:4], v25 offset:160
	v_and_b32_e32 v126, 0xffff0000, v16
	v_lshlrev_b32_e32 v127, 16, v16
	ds_load_b128 v[13:16], v25 offset:208
	v_lshlrev_b32_e32 v101, 16, v9
	s_wait_dscnt 0x2
	v_and_b32_e32 v98, 0xffff0000, v5
	v_lshlrev_b32_e32 v99, 16, v5
	v_and_b32_e32 v106, 0xffff0000, v6
	v_lshlrev_b32_e32 v107, 16, v6
	;; [unrolled: 2-line block ×4, first 2 shown]
	ds_load_b128 v[5:8], v25 offset:176
	v_and_b32_e32 v108, 0xffff0000, v10
	v_lshlrev_b32_e32 v109, 16, v10
	v_and_b32_e32 v116, 0xffff0000, v11
	v_lshlrev_b32_e32 v117, 16, v11
	;; [unrolled: 2-line block ×3, first 2 shown]
	s_wait_dscnt 0x2
	v_and_b32_e32 v130, 0xffff0000, v1
	v_lshlrev_b32_e32 v131, 16, v1
	v_and_b32_e32 v132, 0xffff0000, v2
	v_lshlrev_b32_e32 v133, 16, v2
	;; [unrolled: 2-line block ×4, first 2 shown]
	ds_load_b128 v[1:4], v25 offset:224
	ds_load_b128 v[9:12], v25 offset:192
	scratch_store_b32 off, v0, off offset:36 ; 4-byte Folded Spill
	v_lshlrev_b32_e32 v85, 16, v18
	v_and_b32_e32 v86, 0xffff0000, v19
	s_wait_dscnt 0x2
	v_and_b32_e32 v138, 0xffff0000, v5
	v_lshlrev_b32_e32 v139, 16, v5
	v_and_b32_e32 v140, 0xffff0000, v6
	v_lshlrev_b32_e32 v141, 16, v6
	;; [unrolled: 2-line block ×4, first 2 shown]
	ds_load_b128 v[5:8], v25 offset:240
	v_lshlrev_b32_e32 v87, 16, v19
	v_and_b32_e32 v88, 0xffff0000, v20
	v_lshlrev_b32_e32 v89, 16, v20
	v_and_b32_e32 v104, 0xffff0000, v21
	;; [unrolled: 2-line block ×3, first 2 shown]
	s_wait_dscnt 0x2
	v_and_b32_e32 v162, 0xffff0000, v1
	v_lshlrev_b32_e32 v163, 16, v1
	v_lshl_or_b32 v1, v178, 7, v28
	v_lshlrev_b32_e32 v113, 16, v22
	v_and_b32_e32 v124, 0xffff0000, v23
	v_lshlrev_b32_e32 v125, 16, v23
	v_and_b32_e32 v128, 0xffff0000, v24
	v_add_nc_u32_e32 v179, 0x120, v1
	v_lshlrev_b32_e32 v1, 4, v182
	v_lshlrev_b32_e32 v129, 16, v24
	s_wait_dscnt 0x1
	v_and_b32_e32 v146, 0xffff0000, v9
	v_lshlrev_b32_e32 v147, 16, v9
	v_and_b32_e32 v148, 0xffff0000, v10
	v_add_co_u32 v180, s3, s10, v1
	v_lshlrev_b32_e32 v149, 16, v10
	v_and_b32_e32 v150, 0xffff0000, v11
	v_lshlrev_b32_e32 v151, 16, v11
	v_and_b32_e32 v152, 0xffff0000, v12
	v_lshlrev_b32_e32 v153, 16, v12
	v_and_b32_e32 v154, 0xffff0000, v13
	v_lshlrev_b32_e32 v155, 16, v13
	v_and_b32_e32 v156, 0xffff0000, v14
	v_lshlrev_b32_e32 v157, 16, v14
	v_and_b32_e32 v158, 0xffff0000, v15
	v_lshlrev_b32_e32 v159, 16, v15
	v_and_b32_e32 v160, 0xffff0000, v16
	v_lshlrev_b32_e32 v161, 16, v16
	v_and_b32_e32 v164, 0xffff0000, v2
	v_lshlrev_b32_e32 v165, 16, v2
	v_and_b32_e32 v166, 0xffff0000, v3
	v_lshlrev_b32_e32 v167, 16, v3
	v_and_b32_e32 v168, 0xffff0000, v4
	v_lshlrev_b32_e32 v170, 16, v4
	s_wait_dscnt 0x0
	v_and_b32_e32 v171, 0xffff0000, v5
	v_lshlrev_b32_e32 v172, 16, v5
	v_and_b32_e32 v173, 0xffff0000, v6
	v_lshlrev_b32_e32 v174, 16, v6
	;; [unrolled: 2-line block ×3, first 2 shown]
	v_and_b32_e32 v177, 0xffff0000, v8
	s_clause 0x1
	scratch_store_b32 off, v178, off offset:44
	scratch_store_b32 off, v28, off offset:60
	v_lshlrev_b32_e32 v178, 16, v8
	s_wait_alu 0xf1ff
	v_add_co_ci_u32_e64 v181, null, s11, 0, s3
	s_clause 0x1
	scratch_store_b32 off, v182, off offset:48
	scratch_store_b32 off, v27, off offset:56
	v_add3_u32 v182, s26, v27, v182
	s_mov_b32 s10, s9
	s_sub_co_i32 s11, 1, s25
.LBB186_7:                              ; =>This Inner Loop Header: Depth=1
	global_load_b32 v1, v[41:42], off
	s_wait_alu 0xfffe
	v_add_nc_u32_e32 v3, s11, v182
	v_add_nc_u32_e32 v183, 4, v183
	s_delay_alu instid0(VALU_DEP_2) | instskip(NEXT) | instid1(VALU_DEP_1)
	v_cvt_f32_i32_e32 v3, v3
	v_mul_f32_e32 v3, s4, v3
	s_delay_alu instid0(VALU_DEP_1) | instskip(SKIP_2) | instid1(VALU_DEP_1)
	v_cndmask_b32_e32 v184, 0, v3, vcc_lo
	s_wait_loadcnt 0x0
	v_mad_co_i64_i32 v[1:2], null, v1, s10, 0
	v_lshlrev_b64_e32 v[1:2], 1, v[1:2]
	s_delay_alu instid0(VALU_DEP_1) | instskip(SKIP_1) | instid1(VALU_DEP_2)
	v_add_co_u32 v1, s3, v180, v1
	s_wait_alu 0xf1ff
	v_add_co_ci_u32_e64 v2, null, v181, v2, s3
	v_cmp_gt_i32_e64 s3, s25, v182
	v_add_nc_u32_e32 v182, 0x80, v182
	s_clause 0x3
	global_load_b128 v[3:6], v[1:2], off
	global_load_b128 v[7:10], v[1:2], off offset:512
	global_load_b128 v[11:14], v[1:2], off offset:1024
	;; [unrolled: 1-line block ×3, first 2 shown]
	scratch_load_b32 v0, off, off offset:12 ; 4-byte Folded Reload
	s_wait_loadcnt 0x4
	v_lshlrev_b32_e32 v19, 16, v3
	s_wait_loadcnt 0x3
	v_and_b32_e32 v20, 0xffff0000, v7
	v_lshlrev_b32_e32 v7, 16, v7
	v_and_b32_e32 v3, 0xffff0000, v3
	s_wait_loadcnt 0x0
	s_delay_alu instid0(VALU_DEP_2)
	v_mul_f32_e32 v185, v0, v7
	scratch_load_b32 v0, off, off offset:8  ; 4-byte Folded Reload
	s_wait_loadcnt 0x0
	v_dual_mul_f32 v186, v0, v20 :: v_dual_lshlrev_b32 v7, 16, v11
	scratch_load_b32 v0, off, off           ; 4-byte Folded Reload
	s_wait_loadcnt 0x0
	v_fmac_f32_e32 v186, v0, v3
	scratch_load_b32 v0, off, off offset:4  ; 4-byte Folded Reload
	v_and_b32_e32 v3, 0xffff0000, v11
	s_wait_loadcnt 0x0
	v_fmac_f32_e32 v185, v0, v19
	scratch_load_b32 v0, off, off offset:20 ; 4-byte Folded Reload
	s_wait_loadcnt 0x0
	v_fmac_f32_e32 v185, v0, v7
	scratch_load_b32 v0, off, off offset:16 ; 4-byte Folded Reload
	v_and_b32_e32 v7, 0xffff0000, v15
	s_wait_loadcnt 0x0
	v_fmac_f32_e32 v186, v0, v3
	scratch_load_b32 v0, off, off offset:36 ; 4-byte Folded Reload
	v_lshlrev_b32_e32 v3, 16, v15
	v_dual_fmac_f32 v186, v71, v7 :: v_dual_and_b32 v7, 0xffff0000, v8
	s_delay_alu instid0(VALU_DEP_2) | instskip(SKIP_3) | instid1(VALU_DEP_3)
	v_dual_fmac_f32 v185, v72, v3 :: v_dual_lshlrev_b32 v8, 16, v8
	v_lshlrev_b32_e32 v3, 16, v4
	v_and_b32_e32 v4, 0xffff0000, v4
	s_wait_loadcnt 0x0
	v_mul_f32_e32 v187, v0, v8
	scratch_load_b32 v0, off, off offset:32 ; 4-byte Folded Reload
	s_wait_loadcnt 0x0
	v_mul_f32_e32 v188, v0, v7
	scratch_load_b32 v0, off, off offset:24 ; 4-byte Folded Reload
	v_lshlrev_b32_e32 v7, 16, v9
	s_wait_loadcnt 0x0
	s_delay_alu instid0(VALU_DEP_1) | instskip(SKIP_4) | instid1(VALU_DEP_1)
	v_dual_mul_f32 v189, v62, v7 :: v_dual_fmac_f32 v188, v0, v4
	scratch_load_b32 v0, off, off offset:28 ; 4-byte Folded Reload
	s_wait_loadcnt 0x0
	v_dual_fmac_f32 v187, v0, v3 :: v_dual_lshlrev_b32 v4, 16, v12
	v_and_b32_e32 v3, 0xffff0000, v12
	v_dual_fmac_f32 v187, v58, v4 :: v_dual_fmac_f32 v188, v57, v3
	v_lshlrev_b32_e32 v3, 16, v16
	s_delay_alu instid0(VALU_DEP_1) | instskip(NEXT) | instid1(VALU_DEP_1)
	v_dual_fmac_f32 v187, v74, v3 :: v_dual_and_b32 v4, 0xffff0000, v16
	v_dual_fmac_f32 v188, v73, v4 :: v_dual_lshlrev_b32 v3, 16, v5
	s_delay_alu instid0(VALU_DEP_1) | instskip(SKIP_2) | instid1(VALU_DEP_1)
	v_dual_fmac_f32 v189, v60, v3 :: v_dual_and_b32 v4, 0xffff0000, v5
	v_and_b32_e32 v3, 0xffff0000, v13
	v_and_b32_e32 v5, 0xffff0000, v9
	v_dual_mul_f32 v190, v61, v5 :: v_dual_and_b32 v5, 0xffff0000, v10
	s_delay_alu instid0(VALU_DEP_1) | instskip(SKIP_1) | instid1(VALU_DEP_3)
	v_fmac_f32_e32 v190, v59, v4
	v_lshlrev_b32_e32 v4, 16, v13
	v_mul_f32_e32 v44, v67, v5
	s_delay_alu instid0(VALU_DEP_2) | instskip(SKIP_1) | instid1(VALU_DEP_1)
	v_dual_fmac_f32 v190, v63, v3 :: v_dual_fmac_f32 v189, v64, v4
	v_and_b32_e32 v4, 0xffff0000, v17
	v_dual_fmac_f32 v190, v78, v4 :: v_dual_lshlrev_b32 v3, 16, v17
	v_and_b32_e32 v4, 0xffff0000, v6
	s_delay_alu instid0(VALU_DEP_1) | instskip(NEXT) | instid1(VALU_DEP_3)
	v_fmac_f32_e32 v44, v65, v4
	v_dual_fmac_f32 v189, v79, v3 :: v_dual_lshlrev_b32 v4, 16, v14
	v_lshlrev_b32_e32 v3, 16, v6
	v_lshlrev_b32_e32 v6, 16, v10
	s_delay_alu instid0(VALU_DEP_1) | instskip(NEXT) | instid1(VALU_DEP_1)
	v_mul_f32_e32 v191, v68, v6
	v_fmac_f32_e32 v191, v66, v3
	v_and_b32_e32 v3, 0xffff0000, v14
	s_delay_alu instid0(VALU_DEP_1) | instskip(SKIP_1) | instid1(VALU_DEP_1)
	v_dual_fmac_f32 v191, v70, v4 :: v_dual_fmac_f32 v44, v69, v3
	v_lshlrev_b32_e32 v3, 16, v18
	v_dual_fmac_f32 v191, v81, v3 :: v_dual_and_b32 v4, 0xffff0000, v18
	s_delay_alu instid0(VALU_DEP_1)
	v_fmac_f32_e32 v44, v80, v4
	global_load_b128 v[3:6], v[1:2], off offset:2048
	s_wait_loadcnt 0x0
	v_and_b32_e32 v76, 0xffff0000, v3
	v_lshlrev_b32_e32 v47, 16, v3
	v_and_b32_e32 v0, 0xffff0000, v4
	v_lshlrev_b32_e32 v48, 16, v4
	;; [unrolled: 2-line block ×4, first 2 shown]
	global_load_b128 v[3:6], v[1:2], off offset:2560
	v_fmac_f32_e32 v188, v84, v0
	v_dual_fmac_f32 v186, v82, v76 :: v_dual_fmac_f32 v189, v87, v50
	v_dual_fmac_f32 v190, v86, v49 :: v_dual_fmac_f32 v185, v83, v47
	v_fmac_f32_e32 v187, v85, v48
	s_wait_loadcnt 0x0
	v_lshlrev_b32_e32 v51, 16, v3
	v_and_b32_e32 v54, 0xffff0000, v4
	v_lshlrev_b32_e32 v53, 16, v4
	v_lshlrev_b32_e32 v55, 16, v5
	s_delay_alu instid0(VALU_DEP_4)
	v_dual_fmac_f32 v185, v91, v51 :: v_dual_and_b32 v56, 0xffff0000, v5
	v_and_b32_e32 v52, 0xffff0000, v3
	v_lshlrev_b32_e32 v75, 16, v6
	v_and_b32_e32 v46, 0xffff0000, v6
	s_clause 0x9
	global_load_b128 v[37:40], v[1:2], off offset:3072
	global_load_b128 v[33:36], v[1:2], off offset:3584
	global_load_b128 v[29:32], v[1:2], off offset:4096
	global_load_b128 v[25:28], v[1:2], off offset:4608
	global_load_b128 v[21:24], v[1:2], off offset:5120
	global_load_b128 v[17:20], v[1:2], off offset:5632
	global_load_b128 v[13:16], v[1:2], off offset:6144
	global_load_b128 v[9:12], v[1:2], off offset:6656
	global_load_b128 v[5:8], v[1:2], off offset:7168
	global_load_b128 v[1:4], v[1:2], off offset:7680
	v_fmac_f32_e32 v188, v92, v54
	v_fmac_f32_e32 v190, v94, v56
	s_wait_loadcnt 0x9
	v_and_b32_e32 v0, 0xffff0000, v38
	v_and_b32_e32 v47, 0xffff0000, v37
	s_delay_alu instid0(VALU_DEP_2) | instskip(SKIP_1) | instid1(VALU_DEP_1)
	v_dual_fmac_f32 v188, v106, v0 :: v_dual_lshlrev_b32 v37, 16, v37
	s_wait_loadcnt 0x8
	v_dual_fmac_f32 v185, v99, v37 :: v_dual_lshlrev_b32 v0, 16, v34
	v_dual_fmac_f32 v186, v90, v52 :: v_dual_lshlrev_b32 v37, 16, v33
	s_delay_alu instid0(VALU_DEP_1) | instskip(NEXT) | instid1(VALU_DEP_2)
	v_dual_fmac_f32 v186, v98, v47 :: v_dual_and_b32 v33, 0xffff0000, v33
	v_fmac_f32_e32 v185, v101, v37
	s_delay_alu instid0(VALU_DEP_2) | instskip(SKIP_3) | instid1(VALU_DEP_2)
	v_fmac_f32_e32 v186, v100, v33
	s_wait_loadcnt 0x7
	v_and_b32_e32 v33, 0xffff0000, v29
	v_lshlrev_b32_e32 v29, 16, v29
	v_fmac_f32_e32 v186, v102, v33
	s_delay_alu instid0(VALU_DEP_2) | instskip(SKIP_3) | instid1(VALU_DEP_2)
	v_fmac_f32_e32 v185, v103, v29
	s_wait_loadcnt 0x6
	v_lshlrev_b32_e32 v29, 16, v25
	v_and_b32_e32 v25, 0xffff0000, v25
	v_fmac_f32_e32 v185, v105, v29
	s_delay_alu instid0(VALU_DEP_2) | instskip(SKIP_3) | instid1(VALU_DEP_2)
	v_fmac_f32_e32 v186, v104, v25
	s_wait_loadcnt 0x5
	v_and_b32_e32 v25, 0xffff0000, v21
	v_lshlrev_b32_e32 v21, 16, v21
	v_fmac_f32_e32 v186, v130, v25
	s_delay_alu instid0(VALU_DEP_2) | instskip(SKIP_4) | instid1(VALU_DEP_2)
	v_fmac_f32_e32 v185, v131, v21
	s_wait_loadcnt 0x4
	v_lshlrev_b32_e32 v21, 16, v17
	v_fmac_f32_e32 v44, v88, v45
	v_and_b32_e32 v17, 0xffff0000, v17
	v_dual_fmac_f32 v185, v139, v21 :: v_dual_fmac_f32 v44, v96, v46
	s_delay_alu instid0(VALU_DEP_2) | instskip(SKIP_3) | instid1(VALU_DEP_2)
	v_fmac_f32_e32 v186, v138, v17
	s_wait_loadcnt 0x3
	v_and_b32_e32 v17, 0xffff0000, v13
	v_lshlrev_b32_e32 v13, 16, v13
	v_dual_fmac_f32 v191, v89, v43 :: v_dual_fmac_f32 v186, v146, v17
	s_delay_alu instid0(VALU_DEP_2) | instskip(SKIP_3) | instid1(VALU_DEP_2)
	v_fmac_f32_e32 v185, v147, v13
	s_wait_loadcnt 0x2
	v_lshlrev_b32_e32 v13, 16, v9
	v_and_b32_e32 v9, 0xffff0000, v9
	v_fmac_f32_e32 v185, v155, v13
	s_delay_alu instid0(VALU_DEP_2) | instskip(SKIP_4) | instid1(VALU_DEP_3)
	v_fmac_f32_e32 v186, v154, v9
	s_wait_loadcnt 0x1
	v_and_b32_e32 v9, 0xffff0000, v5
	v_lshlrev_b32_e32 v5, 16, v5
	v_fmac_f32_e32 v187, v93, v53
	v_fmac_f32_e32 v186, v162, v9
	s_delay_alu instid0(VALU_DEP_3) | instskip(SKIP_3) | instid1(VALU_DEP_1)
	v_fmac_f32_e32 v185, v163, v5
	s_wait_loadcnt 0x0
	v_lshlrev_b32_e32 v5, 16, v1
	v_and_b32_e32 v1, 0xffff0000, v1
	v_dual_fmac_f32 v186, v171, v1 :: v_dual_lshlrev_b32 v1, 16, v38
	s_delay_alu instid0(VALU_DEP_1) | instskip(SKIP_1) | instid1(VALU_DEP_1)
	v_fmac_f32_e32 v187, v107, v1
	v_and_b32_e32 v1, 0xffff0000, v34
	v_dual_fmac_f32 v187, v109, v0 :: v_dual_fmac_f32 v188, v108, v1
	v_and_b32_e32 v0, 0xffff0000, v30
	s_delay_alu instid0(VALU_DEP_1) | instskip(NEXT) | instid1(VALU_DEP_1)
	v_dual_fmac_f32 v188, v110, v0 :: v_dual_lshlrev_b32 v1, 16, v30
	v_dual_fmac_f32 v187, v111, v1 :: v_dual_lshlrev_b32 v0, 16, v26
	v_and_b32_e32 v1, 0xffff0000, v26
	s_delay_alu instid0(VALU_DEP_1) | instskip(SKIP_1) | instid1(VALU_DEP_1)
	v_dual_fmac_f32 v187, v113, v0 :: v_dual_fmac_f32 v188, v112, v1
	v_and_b32_e32 v0, 0xffff0000, v22
	v_dual_fmac_f32 v188, v132, v0 :: v_dual_lshlrev_b32 v1, 16, v22
	s_delay_alu instid0(VALU_DEP_1) | instskip(SKIP_1) | instid1(VALU_DEP_1)
	v_dual_fmac_f32 v187, v133, v1 :: v_dual_lshlrev_b32 v0, 16, v18
	v_and_b32_e32 v1, 0xffff0000, v18
	v_dual_fmac_f32 v187, v141, v0 :: v_dual_fmac_f32 v188, v140, v1
	v_and_b32_e32 v0, 0xffff0000, v14
	s_delay_alu instid0(VALU_DEP_1) | instskip(NEXT) | instid1(VALU_DEP_1)
	v_dual_fmac_f32 v188, v148, v0 :: v_dual_lshlrev_b32 v1, 16, v14
	v_dual_fmac_f32 v187, v149, v1 :: v_dual_lshlrev_b32 v0, 16, v10
	v_and_b32_e32 v1, 0xffff0000, v10
	v_fmac_f32_e32 v185, v172, v5
	s_delay_alu instid0(VALU_DEP_2) | instskip(SKIP_1) | instid1(VALU_DEP_1)
	v_dual_fmac_f32 v187, v157, v0 :: v_dual_fmac_f32 v188, v156, v1
	v_and_b32_e32 v0, 0xffff0000, v6
	v_dual_fmac_f32 v188, v164, v0 :: v_dual_lshlrev_b32 v1, 16, v6
	s_delay_alu instid0(VALU_DEP_1) | instskip(SKIP_1) | instid1(VALU_DEP_1)
	v_dual_fmac_f32 v187, v165, v1 :: v_dual_lshlrev_b32 v0, 16, v2
	v_and_b32_e32 v1, 0xffff0000, v2
	v_dual_fmac_f32 v187, v174, v0 :: v_dual_fmac_f32 v188, v173, v1
	v_and_b32_e32 v0, 0xffff0000, v39
	s_delay_alu instid0(VALU_DEP_1) | instskip(SKIP_1) | instid1(VALU_DEP_1)
	v_dual_fmac_f32 v190, v114, v0 :: v_dual_lshlrev_b32 v1, 16, v39
	v_fmac_f32_e32 v189, v95, v55
	v_dual_fmac_f32 v189, v115, v1 :: v_dual_lshlrev_b32 v0, 16, v35
	v_and_b32_e32 v1, 0xffff0000, v35
	s_delay_alu instid0(VALU_DEP_1) | instskip(SKIP_1) | instid1(VALU_DEP_1)
	v_dual_fmac_f32 v189, v117, v0 :: v_dual_fmac_f32 v190, v116, v1
	v_and_b32_e32 v0, 0xffff0000, v31
	v_dual_fmac_f32 v190, v120, v0 :: v_dual_lshlrev_b32 v1, 16, v31
	s_delay_alu instid0(VALU_DEP_1) | instskip(SKIP_1) | instid1(VALU_DEP_1)
	v_dual_fmac_f32 v189, v121, v1 :: v_dual_lshlrev_b32 v0, 16, v27
	v_and_b32_e32 v1, 0xffff0000, v27
	v_dual_fmac_f32 v189, v125, v0 :: v_dual_fmac_f32 v190, v124, v1
	v_and_b32_e32 v0, 0xffff0000, v23
	s_delay_alu instid0(VALU_DEP_1) | instskip(NEXT) | instid1(VALU_DEP_1)
	v_dual_fmac_f32 v190, v134, v0 :: v_dual_lshlrev_b32 v1, 16, v23
	v_dual_fmac_f32 v189, v135, v1 :: v_dual_lshlrev_b32 v0, 16, v19
	v_and_b32_e32 v1, 0xffff0000, v19
	s_delay_alu instid0(VALU_DEP_1) | instskip(SKIP_1) | instid1(VALU_DEP_1)
	v_dual_fmac_f32 v189, v143, v0 :: v_dual_fmac_f32 v190, v142, v1
	v_and_b32_e32 v0, 0xffff0000, v15
	v_dual_fmac_f32 v190, v150, v0 :: v_dual_lshlrev_b32 v1, 16, v15
	s_delay_alu instid0(VALU_DEP_1) | instskip(SKIP_1) | instid1(VALU_DEP_1)
	v_dual_fmac_f32 v189, v151, v1 :: v_dual_lshlrev_b32 v0, 16, v11
	v_and_b32_e32 v1, 0xffff0000, v11
	v_dual_fmac_f32 v189, v159, v0 :: v_dual_fmac_f32 v190, v158, v1
	v_and_b32_e32 v0, 0xffff0000, v7
	s_delay_alu instid0(VALU_DEP_1) | instskip(NEXT) | instid1(VALU_DEP_1)
	v_dual_fmac_f32 v190, v166, v0 :: v_dual_lshlrev_b32 v1, 16, v7
	v_dual_fmac_f32 v189, v167, v1 :: v_dual_lshlrev_b32 v0, 16, v3
	v_and_b32_e32 v1, 0xffff0000, v3
	s_delay_alu instid0(VALU_DEP_1) | instskip(SKIP_2) | instid1(VALU_DEP_2)
	v_dual_fmac_f32 v189, v176, v0 :: v_dual_fmac_f32 v190, v175, v1
	v_dual_fmac_f32 v191, v97, v75 :: v_dual_and_b32 v0, 0xffff0000, v40
	v_lshlrev_b32_e32 v1, 16, v40
	v_fmac_f32_e32 v44, v118, v0
	s_delay_alu instid0(VALU_DEP_2) | instskip(SKIP_1) | instid1(VALU_DEP_1)
	v_dual_fmac_f32 v191, v119, v1 :: v_dual_lshlrev_b32 v0, 16, v36
	v_and_b32_e32 v1, 0xffff0000, v36
	v_dual_fmac_f32 v191, v123, v0 :: v_dual_fmac_f32 v44, v122, v1
	v_lshlrev_b32_e32 v1, 16, v32
	s_delay_alu instid0(VALU_DEP_1) | instskip(NEXT) | instid1(VALU_DEP_1)
	v_dual_fmac_f32 v191, v127, v1 :: v_dual_and_b32 v0, 0xffff0000, v32
	v_fmac_f32_e32 v44, v126, v0
	v_and_b32_e32 v1, 0xffff0000, v28
	s_delay_alu instid0(VALU_DEP_1) | instskip(SKIP_1) | instid1(VALU_DEP_1)
	v_dual_fmac_f32 v44, v128, v1 :: v_dual_lshlrev_b32 v1, 16, v24
	v_lshlrev_b32_e32 v0, 16, v28
	v_fmac_f32_e32 v191, v129, v0
	s_delay_alu instid0(VALU_DEP_1) | instskip(NEXT) | instid1(VALU_DEP_1)
	v_dual_fmac_f32 v191, v137, v1 :: v_dual_and_b32 v0, 0xffff0000, v24
	v_fmac_f32_e32 v44, v136, v0
	v_lshlrev_b32_e32 v0, 16, v20
	v_and_b32_e32 v1, 0xffff0000, v20
	s_delay_alu instid0(VALU_DEP_1) | instskip(SKIP_2) | instid1(VALU_DEP_1)
	v_dual_fmac_f32 v191, v145, v0 :: v_dual_fmac_f32 v44, v144, v1
	v_and_b32_e32 v0, 0xffff0000, v16
	v_lshlrev_b32_e32 v1, 16, v16
	v_dual_fmac_f32 v44, v152, v0 :: v_dual_fmac_f32 v191, v153, v1
	v_lshlrev_b32_e32 v0, 16, v12
	v_and_b32_e32 v1, 0xffff0000, v12
	s_delay_alu instid0(VALU_DEP_1) | instskip(SKIP_2) | instid1(VALU_DEP_1)
	v_dual_fmac_f32 v191, v161, v0 :: v_dual_fmac_f32 v44, v160, v1
	v_and_b32_e32 v0, 0xffff0000, v8
	v_lshlrev_b32_e32 v1, 16, v8
	v_dual_fmac_f32 v44, v168, v0 :: v_dual_fmac_f32 v191, v170, v1
	v_lshlrev_b32_e32 v0, 16, v4
	v_and_b32_e32 v1, 0xffff0000, v4
	s_delay_alu instid0(VALU_DEP_1) | instskip(SKIP_1) | instid1(VALU_DEP_1)
	v_dual_fmac_f32 v191, v178, v0 :: v_dual_fmac_f32 v44, v177, v1
	v_add_f32_e32 v0, v185, v186
	v_add_f32_e32 v0, v0, v187
	s_delay_alu instid0(VALU_DEP_1) | instskip(NEXT) | instid1(VALU_DEP_1)
	v_add_f32_e32 v0, v188, v0
	v_add_f32_e32 v0, v189, v0
	s_delay_alu instid0(VALU_DEP_1) | instskip(NEXT) | instid1(VALU_DEP_1)
	;; [unrolled: 3-line block ×3, first 2 shown]
	v_add_f32_e32 v0, v44, v0
	v_fmac_f32_e32 v184, s5, v0
	s_wait_alu 0xf1ff
	s_delay_alu instid0(VALU_DEP_1) | instskip(SKIP_2) | instid1(VALU_DEP_1)
	v_cndmask_b32_e64 v0, 0, v184, s3
	ds_store_b32 v179, v0
	v_dual_max_num_f32 v0, v169, v169 :: v_dual_add_nc_u32 v179, 0x200, v179
	v_max_num_f32_e32 v0, v0, v184
	s_delay_alu instid0(VALU_DEP_1)
	v_cndmask_b32_e64 v169, v169, v0, s3
	v_add_co_u32 v41, s3, v41, 16
	s_wait_alu 0xf1ff
	v_add_co_ci_u32_e64 v42, null, 0, v42, s3
	v_cmp_le_i32_e64 s3, s13, v183
	s_or_b32 s7, s3, s7
	s_delay_alu instid0(SALU_CYCLE_1)
	s_and_not1_b32 exec_lo, exec_lo, s7
	s_cbranch_execnz .LBB186_7
; %bb.8:
	s_or_b32 exec_lo, exec_lo, s7
	s_clause 0x5
	scratch_load_b32 v108, off, off offset:40
	scratch_load_b32 v178, off, off offset:44
	scratch_load_b32 v182, off, off offset:48
	scratch_load_b32 v10, off, off offset:52
	scratch_load_b32 v27, off, off offset:56
	scratch_load_b32 v28, off, off offset:60
	v_lshlrev_b32_e32 v26, 2, v77
.LBB186_9:
	s_or_b32 exec_lo, exec_lo, s6
	v_mbcnt_lo_u32_b32 v1, -1, 0
	s_clause 0x2
	s_load_b128 s[4:7], s[0:1], 0x0
	s_load_b64 s[10:11], s[0:1], 0x10
	s_load_b64 s[22:23], s[0:1], 0x28
	v_max_num_f32_e32 v5, v169, v169
	v_xor_b32_e32 v2, 16, v1
	v_xor_b32_e32 v4, 8, v1
	s_delay_alu instid0(VALU_DEP_2) | instskip(SKIP_2) | instid1(VALU_DEP_3)
	v_cmp_gt_i32_e32 vcc_lo, 32, v2
	s_wait_alu 0xfffd
	v_cndmask_b32_e32 v2, v1, v2, vcc_lo
	v_cmp_gt_i32_e32 vcc_lo, 32, v4
	s_delay_alu instid0(VALU_DEP_2)
	v_lshlrev_b32_e32 v2, 2, v2
	s_wait_alu 0xfffd
	v_cndmask_b32_e32 v4, v1, v4, vcc_lo
	ds_bpermute_b32 v3, v2, v169
	s_wait_dscnt 0x0
	v_dual_max_num_f32 v6, v3, v3 :: v_dual_lshlrev_b32 v3, 2, v4
	s_delay_alu instid0(VALU_DEP_1)
	v_max_num_f32_e32 v4, v5, v6
	v_xor_b32_e32 v6, 4, v1
	ds_bpermute_b32 v5, v3, v4
	v_cmp_gt_i32_e32 vcc_lo, 32, v6
	s_wait_alu 0xfffd
	v_cndmask_b32_e32 v6, v1, v6, vcc_lo
	s_wait_dscnt 0x0
	v_max_num_f32_e32 v7, v5, v5
	s_delay_alu instid0(VALU_DEP_1)
	v_dual_max_num_f32 v4, v4, v7 :: v_dual_lshlrev_b32 v5, 2, v6
	v_xor_b32_e32 v7, 2, v1
	ds_bpermute_b32 v6, v5, v4
	v_cmp_gt_i32_e32 vcc_lo, 32, v7
	s_wait_dscnt 0x0
	s_wait_alu 0xfffd
	v_dual_cndmask_b32 v7, v1, v7 :: v_dual_max_num_f32 v6, v6, v6
	s_delay_alu instid0(VALU_DEP_1) | instskip(SKIP_1) | instid1(VALU_DEP_1)
	v_lshlrev_b32_e32 v79, 2, v7
	v_xor_b32_e32 v7, 1, v1
	v_cmp_gt_i32_e32 vcc_lo, 32, v7
	s_wait_alu 0xfffd
	v_dual_max_num_f32 v4, v4, v6 :: v_dual_cndmask_b32 v7, v1, v7
	ds_bpermute_b32 v6, v79, v4
	s_wait_loadcnt 0x3
	v_cmp_eq_u32_e32 vcc_lo, 0, v182
	v_lshlrev_b32_e32 v78, 2, v7
	s_wait_dscnt 0x0
	v_max_num_f32_e32 v6, v6, v6
	s_delay_alu instid0(VALU_DEP_1)
	v_max_num_f32_e32 v1, v4, v6
	v_lshlrev_b32_e32 v6, 2, v178
	ds_bpermute_b32 v4, v78, v1
	s_and_saveexec_b32 s0, vcc_lo
	s_cbranch_execz .LBB186_11
; %bb.10:
	s_wait_dscnt 0x0
	v_dual_max_num_f32 v0, v4, v4 :: v_dual_max_num_f32 v1, v1, v1
	s_delay_alu instid0(VALU_DEP_1)
	v_max_num_f32_e32 v0, v1, v0
	ds_store_b32 v6, v0 offset:256
.LBB186_11:
	s_or_b32 exec_lo, exec_lo, s0
	v_cmp_gt_u32_e64 s0, 4, v182
	v_mov_b32_e32 v1, 0xff7fffff
	s_wait_storecnt 0x0
	s_wait_loadcnt_dscnt 0x0
	s_barrier_signal -1
	s_barrier_wait -1
	global_inv scope:SCOPE_SE
	s_and_saveexec_b32 s1, s0
; %bb.12:
	ds_load_b32 v1, v28 offset:256
; %bb.13:
	s_or_b32 exec_lo, exec_lo, s1
	s_wait_dscnt 0x0
	ds_bpermute_b32 v0, v79, v1
	v_max_num_f32_e32 v1, v1, v1
	s_sub_co_i32 s1, s13, s28
	v_lshl_add_u32 v4, v108, 2, 0x120
	s_lshl_b32 s1, s1, 5
	v_mov_b32_e32 v7, 0
	s_add_co_i32 s1, s1, s26
	s_delay_alu instid0(SALU_CYCLE_1) | instskip(NEXT) | instid1(SALU_CYCLE_1)
	s_min_i32 s1, s1, s25
	s_sub_co_i32 s21, s1, s26
	s_delay_alu instid0(SALU_CYCLE_1) | instskip(SKIP_2) | instid1(VALU_DEP_1)
	v_cmp_gt_i32_e64 s1, s21, v108
	s_wait_dscnt 0x0
	v_max_num_f32_e32 v0, v0, v0
	v_max_num_f32_e32 v0, v1, v0
	ds_bpermute_b32 v1, v78, v0
	s_wait_dscnt 0x0
	v_max_num_f32_e32 v1, v1, v1
	s_delay_alu instid0(VALU_DEP_1)
	v_max_num_f32_e32 v0, v0, v1
	ds_bpermute_b32 v1, v7, v0
	s_and_saveexec_b32 s28, s1
	s_cbranch_execz .LBB186_17
; %bb.14:
	v_lshl_add_u32 v8, v108, 2, 0x120
	v_mov_b32_e32 v7, 0
	v_mov_b32_e32 v9, v108
	s_mov_b32 s29, 0
.LBB186_15:                             ; =>This Inner Loop Header: Depth=1
	ds_load_b32 v0, v8
	v_add_nc_u32_e32 v9, 0x80, v9
	s_delay_alu instid0(VALU_DEP_1) | instskip(SKIP_4) | instid1(VALU_DEP_1)
	v_cmp_le_i32_e64 s3, s21, v9
	s_wait_alu 0xfffe
	s_or_b32 s29, s3, s29
	s_wait_dscnt 0x0
	v_sub_f32_e32 v0, v0, v1
	v_mul_f32_e32 v0, 0x3fb8aa3b, v0
	s_delay_alu instid0(VALU_DEP_1)
	v_exp_f32_e32 v0, v0
	ds_store_b32 v8, v0
	v_add_f32_e32 v7, v7, v0
	v_add_nc_u32_e32 v8, 0x200, v8
	s_wait_alu 0xfffe
	s_and_not1_b32 exec_lo, exec_lo, s29
	s_cbranch_execnz .LBB186_15
; %bb.16:
	s_or_b32 exec_lo, exec_lo, s29
.LBB186_17:
	s_wait_alu 0xfffe
	s_or_b32 exec_lo, exec_lo, s28
	ds_bpermute_b32 v0, v2, v7
	s_wait_dscnt 0x0
	v_add_f32_e32 v0, v7, v0
	ds_bpermute_b32 v2, v3, v0
	s_wait_dscnt 0x0
	v_add_f32_e32 v0, v0, v2
	;; [unrolled: 3-line block ×5, first 2 shown]
	s_and_saveexec_b32 s3, vcc_lo
; %bb.18:
	ds_store_b32 v6, v2 offset:272
; %bb.19:
	s_wait_alu 0xfffe
	s_or_b32 exec_lo, exec_lo, s3
	s_wait_loadcnt_dscnt 0x0
	s_barrier_signal -1
	s_barrier_wait -1
	global_inv scope:SCOPE_SE
	s_and_saveexec_b32 s3, s0
; %bb.20:
	ds_load_b32 v2, v28 offset:272
; %bb.21:
	s_wait_alu 0xfffe
	s_or_b32 exec_lo, exec_lo, s3
	s_wait_dscnt 0x0
	ds_bpermute_b32 v0, v79, v2
	s_wait_dscnt 0x0
	v_add_f32_e32 v0, v2, v0
	ds_bpermute_b32 v2, v78, v0
	s_wait_dscnt 0x0
	v_add_f32_e32 v0, v0, v2
	v_mov_b32_e32 v2, 0
	ds_bpermute_b32 v2, v2, v0
	s_and_saveexec_b32 s0, s1
	s_cbranch_execz .LBB186_24
; %bb.22:
	s_wait_dscnt 0x0
	v_add_f32_e32 v0, 0x358637bd, v2
	s_mov_b32 s1, 0
	s_delay_alu instid0(VALU_DEP_1) | instskip(NEXT) | instid1(VALU_DEP_1)
	v_div_scale_f32 v3, null, v0, v0, 1.0
	v_rcp_f32_e32 v5, v3
	s_delay_alu instid0(TRANS32_DEP_1) | instskip(NEXT) | instid1(VALU_DEP_1)
	v_fma_f32 v6, -v3, v5, 1.0
	v_fmac_f32_e32 v5, v6, v5
	v_div_scale_f32 v7, vcc_lo, 1.0, v0, 1.0
	s_delay_alu instid0(VALU_DEP_1) | instskip(NEXT) | instid1(VALU_DEP_1)
	v_mul_f32_e32 v6, v7, v5
	v_fma_f32 v8, -v3, v6, v7
	s_delay_alu instid0(VALU_DEP_1) | instskip(NEXT) | instid1(VALU_DEP_1)
	v_fmac_f32_e32 v6, v8, v5
	v_fma_f32 v3, -v3, v6, v7
	s_wait_alu 0xfffd
	s_delay_alu instid0(VALU_DEP_1) | instskip(SKIP_1) | instid1(VALU_DEP_2)
	v_div_fmas_f32 v3, v3, v5, v6
	v_mov_b32_e32 v5, v108
	v_div_fixup_f32 v3, v3, v0, 1.0
.LBB186_23:                             ; =>This Inner Loop Header: Depth=1
	ds_load_b32 v0, v4
	s_wait_dscnt 0x0
	v_dual_mul_f32 v0, v3, v0 :: v_dual_add_nc_u32 v5, 0x80, v5
	s_delay_alu instid0(VALU_DEP_1) | instskip(SKIP_3) | instid1(SALU_CYCLE_1)
	v_cmp_le_i32_e32 vcc_lo, s21, v5
	ds_store_b32 v4, v0
	v_add_nc_u32_e32 v4, 0x200, v4
	s_or_b32 s1, vcc_lo, s1
	s_and_not1_b32 exec_lo, exec_lo, s1
	s_cbranch_execnz .LBB186_23
.LBB186_24:
	s_or_b32 exec_lo, exec_lo, s0
	s_mul_i32 s0, s8, s14
	s_wait_loadcnt_dscnt 0x0
	s_mul_i32 s14, s0, s15
	s_mov_b32 s0, exec_lo
	s_barrier_signal -1
	s_barrier_wait -1
	global_inv scope:SCOPE_SE
	v_cmpx_eq_u32_e32 0, v108
	s_cbranch_execz .LBB186_26
; %bb.25:
	s_ashr_i32 s15, s14, 31
	s_mul_i32 s28, s8, ttmp9
	s_lshl_b32 s1, s24, 2
	s_lshl_b64 s[30:31], s[14:15], 2
	s_wait_alu 0xfffe
	s_ashr_i32 s29, s28, 31
	v_mov_b32_e32 v0, s1
	s_wait_kmcnt 0x0
	s_add_nc_u64 s[6:7], s[6:7], s[30:31]
	s_wait_alu 0xfffe
	s_lshl_b64 s[28:29], s[28:29], 2
	s_add_nc_u64 s[4:5], s[4:5], s[30:31]
	s_wait_alu 0xfffe
	s_add_nc_u64 s[6:7], s[6:7], s[28:29]
	s_add_nc_u64 s[4:5], s[4:5], s[28:29]
	s_clause 0x1
	global_store_b32 v0, v1, s[6:7]
	global_store_b32 v0, v2, s[4:5]
.LBB186_26:
	s_or_b32 exec_lo, exec_lo, s0
	v_dual_mov_b32 v94, 0 :: v_dual_mov_b32 v95, 0
	v_dual_mov_b32 v93, 0 :: v_dual_and_b32 v80, 3, v108
	v_dual_mov_b32 v96, 0 :: v_dual_mov_b32 v91, 0
	v_dual_mov_b32 v92, 0 :: v_dual_mov_b32 v89, 0
	;; [unrolled: 1-line block ×6, first 2 shown]
	v_mov_b32_e32 v82, 0
	s_and_saveexec_b32 s1, s2
	s_cbranch_execz .LBB186_62
; %bb.27:
	s_ashr_i32 s21, s20, 31
	v_dual_mov_b32 v85, 0 :: v_dual_and_b32 v2, 0x1f0, v10
	s_wait_kmcnt 0x0
	s_wait_alu 0xfffe
	s_lshl_b64 s[4:5], s[20:21], 1
	v_dual_mov_b32 v81, 0 :: v_dual_lshlrev_b32 v0, 3, v108
	v_dual_mov_b32 v82, 0 :: v_dual_lshlrev_b32 v1, 5, v80
	s_wait_alu 0xfffe
	s_add_nc_u64 s[4:5], s[22:23], s[4:5]
	s_delay_alu instid0(VALU_DEP_2)
	v_dual_mov_b32 v83, 0 :: v_dual_and_b32 v0, 24, v0
	s_wait_alu 0xfffe
	v_add_co_u32 v97, s0, s4, v2
	s_wait_alu 0xf1ff
	v_add_co_ci_u32_e64 v98, null, s5, 0, s0
	s_lshl_b64 s[4:5], s[18:19], 2
	v_lshl_or_b32 v1, v178, 7, v1
	s_wait_alu 0xfffe
	s_add_nc_u64 s[4:5], s[16:17], s[4:5]
	v_add3_u32 v99, s26, v27, v0
	s_wait_alu 0xfffe
	v_add_co_u32 v73, s0, s4, v26
	v_dual_mov_b32 v87, 0 :: v_dual_add_nc_u32 v100, 0x120, v1
	s_wait_alu 0xf1ff
	v_add_co_ci_u32_e64 v74, null, s5, 0, s0
	v_dual_mov_b32 v84, 0 :: v_dual_mov_b32 v89, 0
	v_dual_mov_b32 v86, 0 :: v_dual_mov_b32 v91, 0
	;; [unrolled: 1-line block ×4, first 2 shown]
	v_mov_b32_e32 v92, 0
	v_mov_b32_e32 v96, 0
	;; [unrolled: 1-line block ×3, first 2 shown]
	s_mov_b32 s2, s9
	s_add_co_i32 s3, s27, -1
	s_mov_b32 s5, s25
	s_mov_b32 s4, 0
	s_branch .LBB186_29
.LBB186_28:                             ;   in Loop: Header=BB186_29 Depth=1
	s_wait_alu 0xfffe
	s_or_b32 exec_lo, exec_lo, s0
	s_wait_dscnt 0x1
	v_bfe_u32 v0, v49, 16, 1
	v_bfe_u32 v75, v50, 16, 1
	v_or_b32_e32 v76, 0x400000, v49
	v_cmp_u_f32_e32 vcc_lo, v49, v49
	v_or_b32_e32 v101, 0x400000, v50
	v_add3_u32 v0, v0, v49, 0x7fff
	v_bfe_u32 v102, v51, 16, 1
	v_add3_u32 v75, v75, v50, 0x7fff
	v_bfe_u32 v103, v52, 16, 1
	v_add_co_u32 v73, s0, v73, 16
	s_wait_alu 0xfffd
	v_cndmask_b32_e32 v0, v0, v76, vcc_lo
	v_cmp_u_f32_e32 vcc_lo, v50, v50
	v_add3_u32 v50, v102, v51, 0x7fff
	s_wait_dscnt 0x0
	v_bfe_u32 v76, v45, 16, 1
	v_or_b32_e32 v102, 0x400000, v52
	s_wait_alu 0xfffd
	v_dual_cndmask_b32 v49, v75, v101 :: v_dual_add_nc_u32 v100, 0x200, v100
	v_or_b32_e32 v75, 0x400000, v51
	v_cmp_u_f32_e32 vcc_lo, v51, v51
	v_add3_u32 v101, v103, v52, 0x7fff
	v_add3_u32 v51, v76, v45, 0x7fff
	v_bfe_u32 v76, v46, 16, 1
	s_wait_alu 0xf1ff
	v_add_co_ci_u32_e64 v74, null, 0, v74, s0
	s_wait_alu 0xfffd
	v_cndmask_b32_e32 v50, v50, v75, vcc_lo
	v_cmp_u_f32_e32 vcc_lo, v52, v52
	v_or_b32_e32 v75, 0x400000, v45
	v_add3_u32 v76, v76, v46, 0x7fff
	v_add_nc_u32_e32 v99, 0x80, v99
	s_wait_alu 0xfffd
	v_dual_cndmask_b32 v52, v101, v102 :: v_dual_add_nc_u32 v77, 4, v77
	v_cmp_u_f32_e32 vcc_lo, v45, v45
	v_or_b32_e32 v101, 0x400000, v46
	v_or_b32_e32 v102, 0x400000, v47
	v_and_b32_e32 v45, 0xffff0000, v49
	s_wait_alu 0xfffd
	v_dual_cndmask_b32 v51, v51, v75 :: v_dual_and_b32 v50, 0xffff0000, v50
	v_bfe_u32 v75, v47, 16, 1
	v_cmp_u_f32_e32 vcc_lo, v46, v46
	s_delay_alu instid0(VALU_DEP_2)
	v_add3_u32 v75, v75, v47, 0x7fff
	s_wait_alu 0xfffd
	v_cndmask_b32_e32 v46, v76, v101, vcc_lo
	v_cmp_u_f32_e32 vcc_lo, v47, v47
	v_bfe_u32 v76, v48, 16, 1
	s_wait_alu 0xfffd
	v_cndmask_b32_e32 v75, v75, v102, vcc_lo
	v_cmp_u_f32_e32 vcc_lo, v48, v48
	s_wait_loadcnt 0x1
	v_and_b32_e32 v49, 0xffff0000, v69
	s_delay_alu instid0(VALU_DEP_1) | instskip(SKIP_1) | instid1(VALU_DEP_2)
	v_dual_mul_f32 v103, v45, v49 :: v_dual_and_b32 v46, 0xffff0000, v46
	v_and_b32_e32 v49, 0xffff0000, v0
	v_bfe_u32 v47, v103, 16, 1
	s_delay_alu instid0(VALU_DEP_1)
	v_add3_u32 v101, v47, v103, 0x7fff
	v_and_b32_e32 v47, 0xffff0000, v52
	v_and_b32_e32 v52, 0xffff0000, v70
	v_or_b32_e32 v102, 0x400000, v103
	v_lshlrev_b32_e32 v0, 16, v69
	v_add3_u32 v69, v76, v48, 0x7fff
	v_or_b32_e32 v76, 0x400000, v48
	s_wait_alu 0xfffd
	s_delay_alu instid0(VALU_DEP_1) | instskip(SKIP_2) | instid1(VALU_DEP_2)
	v_cndmask_b32_e32 v48, v69, v76, vcc_lo
	v_cmp_u_f32_e32 vcc_lo, v103, v103
	s_wait_alu 0xfffd
	v_dual_cndmask_b32 v69, v101, v102 :: v_dual_and_b32 v48, 0xffff0000, v48
	v_dual_mul_f32 v101, v47, v52 :: v_dual_lshlrev_b32 v52, 16, v70
	v_and_b32_e32 v70, 0xffff0000, v71
	s_delay_alu instid0(VALU_DEP_3) | instskip(NEXT) | instid1(VALU_DEP_3)
	v_and_b32_e32 v69, 0xffff0000, v69
	v_bfe_u32 v103, v101, 16, 1
	s_delay_alu instid0(VALU_DEP_4) | instskip(NEXT) | instid1(VALU_DEP_4)
	v_mul_f32_e32 v104, v50, v52
	v_mul_f32_e32 v70, v46, v70
	v_mul_f32_e32 v0, v49, v0
	v_and_b32_e32 v52, 0xffff0000, v51
	v_lshlrev_b32_e32 v51, 16, v71
	s_delay_alu instid0(VALU_DEP_4) | instskip(NEXT) | instid1(VALU_DEP_4)
	v_bfe_u32 v105, v70, 16, 1
	v_bfe_u32 v76, v0, 16, 1
	v_or_b32_e32 v102, 0x400000, v0
	v_cmp_u_f32_e32 vcc_lo, v0, v0
	s_delay_alu instid0(VALU_DEP_3) | instskip(SKIP_1) | instid1(VALU_DEP_1)
	v_add3_u32 v76, v76, v0, 0x7fff
	s_wait_alu 0xfffd
	v_cndmask_b32_e32 v0, v76, v102, vcc_lo
	v_add3_u32 v76, v103, v101, 0x7fff
	v_or_b32_e32 v102, 0x400000, v101
	v_bfe_u32 v103, v104, 16, 1
	v_cmp_u_f32_e32 vcc_lo, v101, v101
	v_or_b32_e32 v101, 0x400000, v104
	s_wait_alu 0xfffd
	v_dual_cndmask_b32 v71, v76, v102 :: v_dual_and_b32 v0, 0xffff0000, v0
	v_add3_u32 v76, v103, v104, 0x7fff
	v_dual_mul_f32 v102, v52, v51 :: v_dual_and_b32 v103, 0xffff0000, v72
	v_cmp_u_f32_e32 vcc_lo, v104, v104
	v_add3_u32 v51, v105, v70, 0x7fff
	v_or_b32_e32 v105, 0x400000, v70
	s_delay_alu instid0(VALU_DEP_4)
	v_bfe_u32 v106, v102, 16, 1
	v_or_b32_e32 v104, 0x400000, v102
	s_wait_alu 0xfffd
	v_dual_cndmask_b32 v76, v76, v101 :: v_dual_and_b32 v71, 0xffff0000, v71
	v_cmp_u_f32_e32 vcc_lo, v70, v70
	v_mul_f32_e32 v101, v48, v103
	v_add3_u32 v103, v106, v102, 0x7fff
	s_delay_alu instid0(VALU_DEP_4)
	v_and_b32_e32 v76, 0xffff0000, v76
	s_wait_alu 0xfffd
	v_cndmask_b32_e32 v70, v51, v105, vcc_lo
	v_cmp_u_f32_e32 vcc_lo, v102, v102
	v_and_b32_e32 v51, 0xffff0000, v75
	v_bfe_u32 v105, v101, 16, 1
	s_wait_alu 0xfffd
	v_dual_cndmask_b32 v75, v103, v104 :: v_dual_add_f32 v0, v0, v69
	v_add_f32_e32 v69, v76, v71
	s_delay_alu instid0(VALU_DEP_3) | instskip(SKIP_1) | instid1(VALU_DEP_4)
	v_add3_u32 v102, v105, v101, 0x7fff
	v_or_b32_e32 v103, 0x400000, v101
	v_and_b32_e32 v71, 0xffff0000, v75
	s_delay_alu instid0(VALU_DEP_4) | instskip(SKIP_3) | instid1(VALU_DEP_4)
	v_dual_add_f32 v0, v69, v0 :: v_dual_and_b32 v75, 0xffff0000, v65
	v_lshlrev_b32_e32 v72, 16, v72
	v_cmp_u_f32_e32 vcc_lo, v101, v101
	v_lshlrev_b32_e32 v65, 16, v65
	v_dual_mul_f32 v69, v45, v75 :: v_dual_and_b32 v70, 0xffff0000, v70
	s_wait_alu 0xfffd
	v_dual_mul_f32 v72, v51, v72 :: v_dual_cndmask_b32 v101, v102, v103
	s_delay_alu instid0(VALU_DEP_3) | instskip(NEXT) | instid1(VALU_DEP_3)
	v_mul_f32_e32 v65, v49, v65
	v_or_b32_e32 v75, 0x400000, v69
	v_add_f32_e32 v70, v71, v70
	s_delay_alu instid0(VALU_DEP_4) | instskip(SKIP_2) | instid1(VALU_DEP_3)
	v_bfe_u32 v102, v72, 16, 1
	v_cmp_u_f32_e32 vcc_lo, v72, v72
	v_and_b32_e32 v103, 0xffff0000, v68
	v_add3_u32 v76, v102, v72, 0x7fff
	v_or_b32_e32 v102, 0x400000, v72
	v_bfe_u32 v72, v69, 16, 1
	s_wait_alu 0xfffd
	s_delay_alu instid0(VALU_DEP_2) | instskip(NEXT) | instid1(VALU_DEP_2)
	v_cndmask_b32_e32 v71, v76, v102, vcc_lo
	v_add3_u32 v72, v72, v69, 0x7fff
	v_bfe_u32 v76, v65, 16, 1
	v_cmp_u_f32_e32 vcc_lo, v69, v69
	s_delay_alu instid0(VALU_DEP_4)
	v_dual_add_f32 v0, v70, v0 :: v_dual_and_b32 v71, 0xffff0000, v71
	s_wait_alu 0xfffd
	v_cndmask_b32_e32 v69, v72, v75, vcc_lo
	v_add3_u32 v72, v76, v65, 0x7fff
	v_or_b32_e32 v75, 0x400000, v65
	v_cmp_u_f32_e32 vcc_lo, v65, v65
	s_delay_alu instid0(VALU_DEP_4) | instskip(SKIP_1) | instid1(VALU_DEP_3)
	v_and_b32_e32 v69, 0xffff0000, v69
	s_wait_alu 0xfffd
	v_cndmask_b32_e32 v65, v72, v75, vcc_lo
	s_delay_alu instid0(VALU_DEP_1) | instskip(SKIP_3) | instid1(VALU_DEP_4)
	v_and_b32_e32 v65, 0xffff0000, v65
	v_and_b32_e32 v102, 0xffff0000, v67
	v_lshlrev_b32_e32 v67, 16, v67
	v_and_b32_e32 v70, 0xffff0000, v66
	v_dual_add_f32 v65, v65, v69 :: v_dual_lshlrev_b32 v66, 16, v66
	s_delay_alu instid0(VALU_DEP_3) | instskip(NEXT) | instid1(VALU_DEP_3)
	v_dual_mul_f32 v102, v46, v102 :: v_dual_mul_f32 v67, v52, v67
	v_mul_f32_e32 v70, v47, v70
	s_delay_alu instid0(VALU_DEP_2) | instskip(NEXT) | instid1(VALU_DEP_2)
	v_or_b32_e32 v104, 0x400000, v67
	v_bfe_u32 v76, v70, 16, 1
	v_mul_f32_e32 v66, v50, v66
	v_or_b32_e32 v75, 0x400000, v70
	v_cmp_u_f32_e32 vcc_lo, v70, v70
	s_delay_alu instid0(VALU_DEP_4) | instskip(NEXT) | instid1(VALU_DEP_4)
	v_add3_u32 v72, v76, v70, 0x7fff
	v_bfe_u32 v76, v66, 16, 1
	s_wait_alu 0xfffd
	s_delay_alu instid0(VALU_DEP_2) | instskip(NEXT) | instid1(VALU_DEP_2)
	v_cndmask_b32_e32 v70, v72, v75, vcc_lo
	v_add3_u32 v72, v76, v66, 0x7fff
	v_or_b32_e32 v75, 0x400000, v66
	v_bfe_u32 v76, v102, 16, 1
	v_cmp_u_f32_e32 vcc_lo, v66, v66
	v_and_b32_e32 v70, 0xffff0000, v70
	s_wait_alu 0xfffd
	v_cndmask_b32_e32 v66, v72, v75, vcc_lo
	v_bfe_u32 v72, v67, 16, 1
	v_add3_u32 v75, v76, v102, 0x7fff
	v_mul_f32_e32 v76, v48, v103
	v_or_b32_e32 v103, 0x400000, v102
	v_cmp_u_f32_e32 vcc_lo, v102, v102
	v_add3_u32 v72, v72, v67, 0x7fff
	s_wait_alu 0xfffd
	s_delay_alu instid0(VALU_DEP_3) | instskip(SKIP_1) | instid1(VALU_DEP_2)
	v_dual_cndmask_b32 v75, v75, v103 :: v_dual_and_b32 v66, 0xffff0000, v66
	v_cmp_u_f32_e32 vcc_lo, v67, v67
	v_dual_add_f32 v66, v66, v70 :: v_dual_and_b32 v69, 0xffff0000, v75
	s_wait_alu 0xfffd
	v_cndmask_b32_e32 v67, v72, v104, vcc_lo
	s_delay_alu instid0(VALU_DEP_2) | instskip(NEXT) | instid1(VALU_DEP_2)
	v_add_f32_e32 v65, v66, v65
	v_and_b32_e32 v67, 0xffff0000, v67
	s_delay_alu instid0(VALU_DEP_1) | instskip(SKIP_4) | instid1(VALU_DEP_4)
	v_add_f32_e32 v66, v67, v69
	v_lshlrev_b32_e32 v68, 16, v68
	v_and_b32_e32 v69, 0xffff0000, v61
	v_lshlrev_b32_e32 v61, 16, v61
	v_bfe_u32 v105, v76, 16, 1
	v_dual_add_f32 v65, v66, v65 :: v_dual_mul_f32 v68, v51, v68
	v_or_b32_e32 v104, 0x400000, v76
	s_delay_alu instid0(VALU_DEP_4) | instskip(NEXT) | instid1(VALU_DEP_4)
	v_mul_f32_e32 v61, v49, v61
	v_add3_u32 v72, v105, v76, 0x7fff
	s_delay_alu instid0(VALU_DEP_4) | instskip(SKIP_2) | instid1(VALU_DEP_3)
	v_bfe_u32 v106, v68, 16, 1
	v_or_b32_e32 v103, 0x400000, v68
	v_cmp_u_f32_e32 vcc_lo, v68, v68
	v_add3_u32 v102, v106, v68, 0x7fff
	s_wait_alu 0xfffd
	s_delay_alu instid0(VALU_DEP_1) | instskip(SKIP_1) | instid1(VALU_DEP_2)
	v_cndmask_b32_e32 v68, v102, v103, vcc_lo
	v_cmp_u_f32_e32 vcc_lo, v76, v76
	v_and_b32_e32 v67, 0xffff0000, v68
	s_wait_alu 0xfffd
	v_cndmask_b32_e32 v70, v72, v104, vcc_lo
	s_delay_alu instid0(VALU_DEP_1) | instskip(NEXT) | instid1(VALU_DEP_1)
	v_and_b32_e32 v68, 0xffff0000, v70
	v_dual_add_f32 v66, v67, v68 :: v_dual_mul_f32 v67, v45, v69
	v_or_b32_e32 v69, 0x400000, v61
	s_delay_alu instid0(VALU_DEP_2) | instskip(NEXT) | instid1(VALU_DEP_3)
	v_add_f32_e32 v65, v66, v65
	v_bfe_u32 v66, v67, 16, 1
	v_and_b32_e32 v68, 0xffff0000, v62
	v_cmp_u_f32_e32 vcc_lo, v67, v67
	s_delay_alu instid0(VALU_DEP_4) | instskip(NEXT) | instid1(VALU_DEP_4)
	v_dual_add_f32 v83, v83, v65 :: v_dual_lshlrev_b32 v62, 16, v62
	v_add3_u32 v65, v66, v67, 0x7fff
	v_or_b32_e32 v66, 0x400000, v67
	v_and_b32_e32 v72, 0xffff0000, v101
	s_wait_alu 0xfffd
	s_delay_alu instid0(VALU_DEP_2) | instskip(NEXT) | instid1(VALU_DEP_2)
	v_dual_mul_f32 v68, v47, v68 :: v_dual_cndmask_b32 v65, v65, v66
	v_add_f32_e32 v70, v71, v72
	s_delay_alu instid0(VALU_DEP_2) | instskip(SKIP_2) | instid1(VALU_DEP_4)
	v_bfe_u32 v66, v68, 16, 1
	v_cmp_u_f32_e32 vcc_lo, v61, v61
	v_or_b32_e32 v67, 0x400000, v68
	v_dual_add_f32 v0, v70, v0 :: v_dual_and_b32 v65, 0xffff0000, v65
	s_delay_alu instid0(VALU_DEP_4) | instskip(NEXT) | instid1(VALU_DEP_2)
	v_add3_u32 v66, v66, v68, 0x7fff
	v_add_f32_e32 v82, v82, v0
	v_bfe_u32 v0, v61, 16, 1
	s_delay_alu instid0(VALU_DEP_1) | instskip(SKIP_2) | instid1(VALU_DEP_2)
	v_add3_u32 v0, v0, v61, 0x7fff
	v_dual_mul_f32 v61, v50, v62 :: v_dual_and_b32 v62, 0xffff0000, v63
	s_wait_alu 0xfffd
	v_dual_cndmask_b32 v0, v0, v69 :: v_dual_lshlrev_b32 v63, 16, v63
	s_delay_alu instid0(VALU_DEP_2) | instskip(SKIP_2) | instid1(VALU_DEP_4)
	v_bfe_u32 v69, v61, 16, 1
	v_cmp_u_f32_e32 vcc_lo, v68, v68
	v_or_b32_e32 v68, 0x400000, v61
	v_mul_f32_e32 v63, v52, v63
	s_wait_alu 0xfffd
	v_cndmask_b32_e32 v66, v66, v67, vcc_lo
	v_add3_u32 v67, v69, v61, 0x7fff
	v_cmp_u_f32_e32 vcc_lo, v61, v61
	v_bfe_u32 v71, v63, 16, 1
	s_wait_alu 0xfffd
	s_delay_alu instid0(VALU_DEP_3) | instskip(NEXT) | instid1(VALU_DEP_1)
	v_dual_cndmask_b32 v61, v67, v68 :: v_dual_and_b32 v66, 0xffff0000, v66
	v_dual_mul_f32 v62, v46, v62 :: v_dual_and_b32 v61, 0xffff0000, v61
	s_delay_alu instid0(VALU_DEP_1) | instskip(SKIP_1) | instid1(VALU_DEP_3)
	v_bfe_u32 v69, v62, 16, 1
	v_cmp_u_f32_e32 vcc_lo, v62, v62
	v_dual_add_f32 v61, v61, v66 :: v_dual_and_b32 v0, 0xffff0000, v0
	s_delay_alu instid0(VALU_DEP_3) | instskip(SKIP_1) | instid1(VALU_DEP_3)
	v_add3_u32 v67, v69, v62, 0x7fff
	v_or_b32_e32 v69, 0x400000, v62
	v_add_f32_e32 v0, v0, v65
	v_and_b32_e32 v65, 0xffff0000, v57
	v_and_b32_e32 v70, 0xffff0000, v64
	s_wait_alu 0xfffd
	v_cndmask_b32_e32 v62, v67, v69, vcc_lo
	v_cmp_u_f32_e32 vcc_lo, v63, v63
	v_dual_add_f32 v0, v61, v0 :: v_dual_lshlrev_b32 v57, 16, v57
	v_dual_mul_f32 v61, v45, v65 :: v_dual_mul_f32 v68, v48, v70
	v_add3_u32 v70, v71, v63, 0x7fff
	v_or_b32_e32 v71, 0x400000, v63
	s_delay_alu instid0(VALU_DEP_4) | instskip(SKIP_3) | instid1(VALU_DEP_3)
	v_dual_mul_f32 v57, v49, v57 :: v_dual_lshlrev_b32 v64, 16, v64
	v_and_b32_e32 v62, 0xffff0000, v62
	v_bfe_u32 v65, v61, 16, 1
	s_wait_alu 0xfffd
	v_dual_cndmask_b32 v63, v70, v71 :: v_dual_mul_f32 v64, v51, v64
	v_bfe_u32 v66, v57, 16, 1
	s_delay_alu instid0(VALU_DEP_2)
	v_and_b32_e32 v63, 0xffff0000, v63
	v_bfe_u32 v72, v68, 16, 1
	v_or_b32_e32 v69, 0x400000, v68
	v_bfe_u32 v70, v64, 16, 1
	v_cmp_u_f32_e32 vcc_lo, v68, v68
	v_add_f32_e32 v62, v63, v62
	v_add3_u32 v67, v72, v68, 0x7fff
	s_delay_alu instid0(VALU_DEP_4) | instskip(SKIP_1) | instid1(VALU_DEP_2)
	v_add3_u32 v68, v70, v64, 0x7fff
	s_wait_alu 0xfffd
	v_cndmask_b32_e32 v67, v67, v69, vcc_lo
	v_or_b32_e32 v69, 0x400000, v64
	v_cmp_u_f32_e32 vcc_lo, v64, v64
	s_wait_alu 0xfffd
	s_delay_alu instid0(VALU_DEP_2) | instskip(SKIP_1) | instid1(VALU_DEP_2)
	v_cndmask_b32_e32 v64, v68, v69, vcc_lo
	v_cmp_u_f32_e32 vcc_lo, v61, v61
	v_and_b32_e32 v63, 0xffff0000, v64
	v_and_b32_e32 v64, 0xffff0000, v67
	;; [unrolled: 1-line block ×3, first 2 shown]
	v_lshlrev_b32_e32 v59, 16, v59
	s_delay_alu instid0(VALU_DEP_3) | instskip(SKIP_2) | instid1(VALU_DEP_4)
	v_add_f32_e32 v63, v63, v64
	v_add3_u32 v64, v65, v61, 0x7fff
	v_or_b32_e32 v65, 0x400000, v61
	v_mul_f32_e32 v59, v52, v59
	v_mul_f32_e32 v67, v46, v67
	s_wait_alu 0xfffd
	s_delay_alu instid0(VALU_DEP_3)
	v_cndmask_b32_e32 v61, v64, v65, vcc_lo
	v_add3_u32 v64, v66, v57, 0x7fff
	v_or_b32_e32 v65, 0x400000, v57
	v_cmp_u_f32_e32 vcc_lo, v57, v57
	v_or_b32_e32 v69, 0x400000, v59
	v_dual_add_f32 v0, v62, v0 :: v_dual_and_b32 v61, 0xffff0000, v61
	s_wait_alu 0xfffd
	v_cndmask_b32_e32 v57, v64, v65, vcc_lo
	s_delay_alu instid0(VALU_DEP_1) | instskip(SKIP_1) | instid1(VALU_DEP_2)
	v_and_b32_e32 v57, 0xffff0000, v57
	v_and_b32_e32 v62, 0xffff0000, v58
	v_dual_add_f32 v57, v57, v61 :: v_dual_lshlrev_b32 v58, 16, v58
	s_delay_alu instid0(VALU_DEP_2) | instskip(NEXT) | instid1(VALU_DEP_2)
	v_mul_f32_e32 v62, v47, v62
	v_mul_f32_e32 v58, v50, v58
	s_delay_alu instid0(VALU_DEP_2) | instskip(SKIP_2) | instid1(VALU_DEP_3)
	v_bfe_u32 v66, v62, 16, 1
	v_or_b32_e32 v65, 0x400000, v62
	v_cmp_u_f32_e32 vcc_lo, v62, v62
	v_add3_u32 v64, v66, v62, 0x7fff
	v_bfe_u32 v66, v58, 16, 1
	s_wait_alu 0xfffd
	s_delay_alu instid0(VALU_DEP_2) | instskip(NEXT) | instid1(VALU_DEP_2)
	v_cndmask_b32_e32 v62, v64, v65, vcc_lo
	v_add3_u32 v64, v66, v58, 0x7fff
	v_or_b32_e32 v65, 0x400000, v58
	v_cmp_u_f32_e32 vcc_lo, v58, v58
	v_bfe_u32 v66, v67, 16, 1
	v_and_b32_e32 v62, 0xffff0000, v62
	s_wait_alu 0xfffd
	v_cndmask_b32_e32 v58, v64, v65, vcc_lo
	v_bfe_u32 v64, v59, 16, 1
	v_add3_u32 v65, v66, v67, 0x7fff
	v_cmp_u_f32_e32 vcc_lo, v67, v67
	s_delay_alu instid0(VALU_DEP_4) | instskip(NEXT) | instid1(VALU_DEP_4)
	v_and_b32_e32 v58, 0xffff0000, v58
	v_add3_u32 v64, v64, v59, 0x7fff
	s_delay_alu instid0(VALU_DEP_2) | instskip(NEXT) | instid1(VALU_DEP_1)
	v_add_f32_e32 v58, v58, v62
	v_dual_add_f32 v57, v58, v57 :: v_dual_and_b32 v68, 0xffff0000, v60
	s_delay_alu instid0(VALU_DEP_1) | instskip(SKIP_2) | instid1(VALU_DEP_1)
	v_mul_f32_e32 v66, v48, v68
	v_or_b32_e32 v68, 0x400000, v67
	s_wait_alu 0xfffd
	v_cndmask_b32_e32 v65, v65, v68, vcc_lo
	v_cmp_u_f32_e32 vcc_lo, v59, v59
	s_delay_alu instid0(VALU_DEP_2) | instskip(SKIP_2) | instid1(VALU_DEP_1)
	v_and_b32_e32 v61, 0xffff0000, v65
	s_wait_alu 0xfffd
	v_cndmask_b32_e32 v59, v64, v69, vcc_lo
	v_and_b32_e32 v59, 0xffff0000, v59
	s_delay_alu instid0(VALU_DEP_1) | instskip(SKIP_4) | instid1(VALU_DEP_4)
	v_add_f32_e32 v58, v59, v61
	v_lshlrev_b32_e32 v60, 16, v60
	v_and_b32_e32 v59, 0xffff0000, v53
	v_lshlrev_b32_e32 v53, 16, v53
	v_bfe_u32 v70, v66, 16, 1
	v_dual_add_f32 v57, v58, v57 :: v_dual_mul_f32 v60, v51, v60
	v_or_b32_e32 v68, 0x400000, v66
	v_mul_f32_e32 v59, v45, v59
	s_delay_alu instid0(VALU_DEP_4) | instskip(SKIP_4) | instid1(VALU_DEP_3)
	v_add3_u32 v64, v70, v66, 0x7fff
	v_mul_f32_e32 v53, v49, v53
	v_bfe_u32 v67, v60, 16, 1
	v_or_b32_e32 v69, 0x400000, v60
	v_cmp_u_f32_e32 vcc_lo, v60, v60
	v_add3_u32 v67, v67, v60, 0x7fff
	s_wait_alu 0xfffd
	s_delay_alu instid0(VALU_DEP_1) | instskip(SKIP_1) | instid1(VALU_DEP_2)
	v_cndmask_b32_e32 v60, v67, v69, vcc_lo
	v_cmp_u_f32_e32 vcc_lo, v66, v66
	v_and_b32_e32 v60, 0xffff0000, v60
	s_wait_alu 0xfffd
	v_cndmask_b32_e32 v62, v64, v68, vcc_lo
	v_cmp_u_f32_e32 vcc_lo, v59, v59
	s_delay_alu instid0(VALU_DEP_2) | instskip(SKIP_1) | instid1(VALU_DEP_2)
	v_and_b32_e32 v61, 0xffff0000, v62
	v_or_b32_e32 v62, 0x400000, v53
	v_add_f32_e32 v58, v60, v61
	v_and_b32_e32 v60, 0xffff0000, v54
	v_bfe_u32 v61, v59, 16, 1
	s_delay_alu instid0(VALU_DEP_3) | instskip(NEXT) | instid1(VALU_DEP_3)
	v_dual_add_f32 v57, v58, v57 :: v_dual_lshlrev_b32 v54, 16, v54
	v_mul_f32_e32 v58, v47, v60
	s_delay_alu instid0(VALU_DEP_3) | instskip(SKIP_1) | instid1(VALU_DEP_4)
	v_add3_u32 v60, v61, v59, 0x7fff
	v_or_b32_e32 v61, 0x400000, v59
	v_dual_add_f32 v0, v63, v0 :: v_dual_add_f32 v85, v85, v57
	s_delay_alu instid0(VALU_DEP_4) | instskip(SKIP_1) | instid1(VALU_DEP_3)
	v_bfe_u32 v63, v58, 16, 1
	s_wait_alu 0xfffd
	v_cndmask_b32_e32 v59, v60, v61, vcc_lo
	s_delay_alu instid0(VALU_DEP_3)
	v_add_f32_e32 v84, v84, v0
	v_bfe_u32 v0, v53, 16, 1
	v_cmp_u_f32_e32 vcc_lo, v53, v53
	v_or_b32_e32 v60, 0x400000, v58
	v_and_b32_e32 v61, 0xffff0000, v55
	v_lshlrev_b32_e32 v55, 16, v55
	v_add3_u32 v0, v0, v53, 0x7fff
	v_mul_f32_e32 v53, v50, v54
	v_add3_u32 v54, v63, v58, 0x7fff
	v_and_b32_e32 v59, 0xffff0000, v59
	v_mul_f32_e32 v55, v52, v55
	s_wait_alu 0xfffd
	v_cndmask_b32_e32 v0, v0, v62, vcc_lo
	v_cmp_u_f32_e32 vcc_lo, v58, v58
	v_bfe_u32 v62, v53, 16, 1
	v_bfe_u32 v64, v55, 16, 1
	s_wait_alu 0xfffd
	v_cndmask_b32_e32 v54, v54, v60, vcc_lo
	s_delay_alu instid0(VALU_DEP_3)
	v_add3_u32 v60, v62, v53, 0x7fff
	v_cmp_u_f32_e32 vcc_lo, v53, v53
	v_and_b32_e32 v62, 0xffff0000, v56
	v_lshlrev_b32_e32 v56, 16, v56
	v_and_b32_e32 v54, 0xffff0000, v54
	v_mul_f32_e32 v58, v46, v61
	v_or_b32_e32 v61, 0x400000, v53
	s_wait_alu 0xfffd
	s_delay_alu instid0(VALU_DEP_1) | instskip(NEXT) | instid1(VALU_DEP_1)
	v_dual_mul_f32 v56, v51, v56 :: v_dual_cndmask_b32 v53, v60, v61
	v_dual_mul_f32 v60, v48, v62 :: v_dual_and_b32 v53, 0xffff0000, v53
	s_delay_alu instid0(VALU_DEP_1) | instskip(SKIP_3) | instid1(VALU_DEP_4)
	v_dual_add_f32 v53, v53, v54 :: v_dual_and_b32 v0, 0xffff0000, v0
	v_bfe_u32 v63, v58, 16, 1
	v_or_b32_e32 v62, 0x400000, v58
	v_cmp_u_f32_e32 vcc_lo, v58, v58
	v_add_f32_e32 v0, v0, v59
	s_delay_alu instid0(VALU_DEP_4) | instskip(SKIP_3) | instid1(VALU_DEP_3)
	v_add3_u32 v61, v63, v58, 0x7fff
	v_add3_u32 v63, v64, v55, 0x7fff
	v_or_b32_e32 v64, 0x400000, v55
	s_wait_alu 0xfffd
	v_cndmask_b32_e32 v58, v61, v62, vcc_lo
	v_cmp_u_f32_e32 vcc_lo, v55, v55
	s_wait_alu 0xfffd
	v_cndmask_b32_e32 v55, v63, v64, vcc_lo
	s_delay_alu instid0(VALU_DEP_1)
	v_and_b32_e32 v54, 0xffff0000, v55
	v_and_b32_e32 v55, 0xffff0000, v41
	v_lshlrev_b32_e32 v41, 16, v41
	v_bfe_u32 v65, v60, 16, 1
	v_or_b32_e32 v62, 0x400000, v60
	v_cmp_u_f32_e32 vcc_lo, v60, v60
	s_delay_alu instid0(VALU_DEP_4) | instskip(NEXT) | instid1(VALU_DEP_4)
	v_mul_f32_e32 v41, v49, v41
	v_add3_u32 v61, v65, v60, 0x7fff
	s_wait_alu 0xfffd
	s_delay_alu instid0(VALU_DEP_1)
	v_cndmask_b32_e32 v60, v61, v62, vcc_lo
	v_bfe_u32 v61, v56, 16, 1
	v_cmp_u_f32_e32 vcc_lo, v56, v56
	v_and_b32_e32 v62, 0xffff0000, v44
	v_add_f32_e32 v0, v53, v0
	v_mul_f32_e32 v53, v45, v55
	v_add3_u32 v59, v61, v56, 0x7fff
	v_or_b32_e32 v61, 0x400000, v56
	s_delay_alu instid0(VALU_DEP_3) | instskip(SKIP_1) | instid1(VALU_DEP_2)
	v_bfe_u32 v56, v53, 16, 1
	s_wait_alu 0xfffd
	v_cndmask_b32_e32 v55, v59, v61, vcc_lo
	v_and_b32_e32 v61, 0xffff0000, v43
	v_lshlrev_b32_e32 v43, 16, v43
	v_add3_u32 v56, v56, v53, 0x7fff
	v_bfe_u32 v59, v41, 16, 1
	v_and_b32_e32 v55, 0xffff0000, v55
	v_cmp_u_f32_e32 vcc_lo, v53, v53
	v_mul_f32_e32 v43, v52, v43
	v_mul_f32_e32 v61, v46, v61
	s_delay_alu instid0(VALU_DEP_2) | instskip(SKIP_1) | instid1(VALU_DEP_1)
	v_or_b32_e32 v63, 0x400000, v43
	v_and_b32_e32 v58, 0xffff0000, v58
	v_add_f32_e32 v54, v54, v58
	v_or_b32_e32 v58, 0x400000, v53
	s_wait_alu 0xfffd
	s_delay_alu instid0(VALU_DEP_1) | instskip(SKIP_3) | instid1(VALU_DEP_4)
	v_cndmask_b32_e32 v53, v56, v58, vcc_lo
	v_add3_u32 v56, v59, v41, 0x7fff
	v_or_b32_e32 v58, 0x400000, v41
	v_cmp_u_f32_e32 vcc_lo, v41, v41
	v_and_b32_e32 v53, 0xffff0000, v53
	s_wait_alu 0xfffd
	s_delay_alu instid0(VALU_DEP_3) | instskip(NEXT) | instid1(VALU_DEP_1)
	v_cndmask_b32_e32 v41, v56, v58, vcc_lo
	v_dual_add_f32 v0, v54, v0 :: v_dual_and_b32 v41, 0xffff0000, v41
	s_delay_alu instid0(VALU_DEP_1) | instskip(SKIP_1) | instid1(VALU_DEP_2)
	v_dual_add_f32 v41, v41, v53 :: v_dual_and_b32 v54, 0xffff0000, v42
	v_lshlrev_b32_e32 v42, 16, v42
	v_mul_f32_e32 v54, v47, v54
	s_delay_alu instid0(VALU_DEP_2) | instskip(NEXT) | instid1(VALU_DEP_2)
	v_mul_f32_e32 v42, v50, v42
	v_bfe_u32 v59, v54, 16, 1
	v_or_b32_e32 v58, 0x400000, v54
	v_cmp_u_f32_e32 vcc_lo, v54, v54
	s_delay_alu instid0(VALU_DEP_3) | instskip(SKIP_2) | instid1(VALU_DEP_2)
	v_add3_u32 v56, v59, v54, 0x7fff
	v_bfe_u32 v59, v42, 16, 1
	s_wait_alu 0xfffd
	v_cndmask_b32_e32 v54, v56, v58, vcc_lo
	s_delay_alu instid0(VALU_DEP_2)
	v_add3_u32 v56, v59, v42, 0x7fff
	v_or_b32_e32 v58, 0x400000, v42
	v_bfe_u32 v59, v61, 16, 1
	v_cmp_u_f32_e32 vcc_lo, v42, v42
	v_and_b32_e32 v54, 0xffff0000, v54
	s_wait_alu 0xfffd
	v_cndmask_b32_e32 v42, v56, v58, vcc_lo
	v_bfe_u32 v56, v43, 16, 1
	v_add3_u32 v58, v59, v61, 0x7fff
	v_mul_f32_e32 v59, v48, v62
	v_or_b32_e32 v62, 0x400000, v61
	v_cmp_u_f32_e32 vcc_lo, v61, v61
	v_add3_u32 v56, v56, v43, 0x7fff
	v_and_b32_e32 v42, 0xffff0000, v42
	v_bfe_u32 v64, v59, 16, 1
	s_wait_alu 0xfffd
	v_cndmask_b32_e32 v58, v58, v62, vcc_lo
	v_cmp_u_f32_e32 vcc_lo, v43, v43
	s_wait_alu 0xfffd
	v_dual_add_f32 v42, v42, v54 :: v_dual_cndmask_b32 v43, v56, v63
	v_add3_u32 v56, v64, v59, 0x7fff
	v_or_b32_e32 v63, 0x400000, v59
	v_and_b32_e32 v53, 0xffff0000, v58
	s_delay_alu instid0(VALU_DEP_4) | instskip(SKIP_1) | instid1(VALU_DEP_1)
	v_add_f32_e32 v41, v42, v41
	v_and_b32_e32 v43, 0xffff0000, v43
	v_add_f32_e32 v42, v43, v53
	v_and_b32_e32 v53, 0xffff0000, v37
	v_lshlrev_b32_e32 v37, 16, v37
	s_delay_alu instid0(VALU_DEP_3) | instskip(NEXT) | instid1(VALU_DEP_1)
	v_dual_add_f32 v41, v42, v41 :: v_dual_lshlrev_b32 v44, 16, v44
	v_dual_mul_f32 v37, v49, v37 :: v_dual_mul_f32 v44, v51, v44
	s_delay_alu instid0(VALU_DEP_1) | instskip(SKIP_2) | instid1(VALU_DEP_3)
	v_bfe_u32 v65, v44, 16, 1
	v_or_b32_e32 v62, 0x400000, v44
	v_cmp_u_f32_e32 vcc_lo, v44, v44
	v_add3_u32 v61, v65, v44, 0x7fff
	s_wait_alu 0xfffd
	s_delay_alu instid0(VALU_DEP_1) | instskip(SKIP_2) | instid1(VALU_DEP_2)
	v_cndmask_b32_e32 v44, v61, v62, vcc_lo
	v_cmp_u_f32_e32 vcc_lo, v59, v59
	s_wait_alu 0xfffd
	v_dual_cndmask_b32 v54, v56, v63 :: v_dual_and_b32 v43, 0xffff0000, v44
	s_delay_alu instid0(VALU_DEP_1) | instskip(NEXT) | instid1(VALU_DEP_1)
	v_and_b32_e32 v44, 0xffff0000, v54
	v_dual_add_f32 v42, v43, v44 :: v_dual_mul_f32 v43, v45, v53
	v_or_b32_e32 v53, 0x400000, v37
	s_delay_alu instid0(VALU_DEP_2) | instskip(NEXT) | instid1(VALU_DEP_3)
	v_add_f32_e32 v41, v42, v41
	v_bfe_u32 v42, v43, 16, 1
	v_cmp_u_f32_e32 vcc_lo, v43, v43
	s_delay_alu instid0(VALU_DEP_3) | instskip(NEXT) | instid1(VALU_DEP_3)
	v_add_f32_e32 v87, v87, v41
	v_add3_u32 v41, v42, v43, 0x7fff
	v_or_b32_e32 v42, 0x400000, v43
	s_wait_alu 0xfffd
	s_delay_alu instid0(VALU_DEP_1) | instskip(NEXT) | instid1(VALU_DEP_1)
	v_dual_cndmask_b32 v41, v41, v42 :: v_dual_and_b32 v56, 0xffff0000, v60
	v_add_f32_e32 v54, v55, v56
	v_cmp_u_f32_e32 vcc_lo, v37, v37
	s_delay_alu instid0(VALU_DEP_2) | instskip(SKIP_2) | instid1(VALU_DEP_3)
	v_dual_add_f32 v0, v54, v0 :: v_dual_and_b32 v41, 0xffff0000, v41
	v_and_b32_e32 v54, 0xffff0000, v40
	v_lshlrev_b32_e32 v40, 16, v40
	v_add_f32_e32 v86, v86, v0
	v_bfe_u32 v0, v37, 16, 1
	s_delay_alu instid0(VALU_DEP_3) | instskip(NEXT) | instid1(VALU_DEP_2)
	v_mul_f32_e32 v40, v51, v40
	v_add3_u32 v0, v0, v37, 0x7fff
	s_wait_alu 0xfffd
	s_delay_alu instid0(VALU_DEP_1) | instskip(NEXT) | instid1(VALU_DEP_1)
	v_cndmask_b32_e32 v0, v0, v53, vcc_lo
	v_and_b32_e32 v0, 0xffff0000, v0
	s_delay_alu instid0(VALU_DEP_1) | instskip(SKIP_4) | instid1(VALU_DEP_2)
	v_add_f32_e32 v0, v0, v41
	v_and_b32_e32 v41, 0xffff0000, v33
	v_and_b32_e32 v44, 0xffff0000, v38
	v_lshlrev_b32_e32 v33, 16, v33
	v_lshlrev_b32_e32 v38, 16, v38
	v_dual_mul_f32 v44, v47, v44 :: v_dual_mul_f32 v33, v49, v33
	s_delay_alu instid0(VALU_DEP_2) | instskip(SKIP_1) | instid1(VALU_DEP_3)
	v_dual_mul_f32 v37, v50, v38 :: v_dual_and_b32 v38, 0xffff0000, v39
	v_lshlrev_b32_e32 v39, 16, v39
	v_bfe_u32 v42, v44, 16, 1
	v_or_b32_e32 v43, 0x400000, v44
	v_cmp_u_f32_e32 vcc_lo, v44, v44
	v_bfe_u32 v53, v37, 16, 1
	v_mul_f32_e32 v38, v46, v38
	v_add3_u32 v42, v42, v44, 0x7fff
	v_mul_f32_e32 v39, v52, v39
	v_or_b32_e32 v44, 0x400000, v37
	s_wait_alu 0xfffd
	s_delay_alu instid0(VALU_DEP_3)
	v_cndmask_b32_e32 v42, v42, v43, vcc_lo
	v_add3_u32 v43, v53, v37, 0x7fff
	v_bfe_u32 v53, v38, 16, 1
	v_cmp_u_f32_e32 vcc_lo, v37, v37
	v_bfe_u32 v55, v39, 16, 1
	s_wait_alu 0xfffd
	v_dual_cndmask_b32 v37, v43, v44 :: v_dual_and_b32 v42, 0xffff0000, v42
	v_add3_u32 v43, v53, v38, 0x7fff
	v_mul_f32_e32 v44, v48, v54
	v_or_b32_e32 v53, 0x400000, v38
	v_cmp_u_f32_e32 vcc_lo, v38, v38
	v_add3_u32 v54, v55, v39, 0x7fff
	v_or_b32_e32 v55, 0x400000, v39
	v_bfe_u32 v56, v44, 16, 1
	v_and_b32_e32 v37, 0xffff0000, v37
	s_wait_alu 0xfffd
	v_cndmask_b32_e32 v38, v43, v53, vcc_lo
	v_cmp_u_f32_e32 vcc_lo, v39, v39
	v_or_b32_e32 v53, 0x400000, v44
	v_add3_u32 v43, v56, v44, 0x7fff
	v_add_f32_e32 v37, v37, v42
	s_wait_alu 0xfffd
	v_dual_cndmask_b32 v39, v54, v55 :: v_dual_and_b32 v38, 0xffff0000, v38
	v_bfe_u32 v54, v40, 16, 1
	v_cmp_u_f32_e32 vcc_lo, v44, v44
	v_add_f32_e32 v0, v37, v0
	v_mul_f32_e32 v37, v45, v41
	v_and_b32_e32 v39, 0xffff0000, v39
	v_add3_u32 v44, v54, v40, 0x7fff
	s_wait_alu 0xfffd
	v_cndmask_b32_e32 v43, v43, v53, vcc_lo
	v_or_b32_e32 v53, 0x400000, v40
	v_cmp_u_f32_e32 vcc_lo, v40, v40
	v_add_f32_e32 v38, v39, v38
	v_bfe_u32 v41, v37, 16, 1
	v_bfe_u32 v42, v33, 16, 1
	s_wait_alu 0xfffd
	v_cndmask_b32_e32 v40, v44, v53, vcc_lo
	v_cmp_u_f32_e32 vcc_lo, v37, v37
	s_delay_alu instid0(VALU_DEP_2) | instskip(SKIP_3) | instid1(VALU_DEP_3)
	v_and_b32_e32 v39, 0xffff0000, v40
	v_and_b32_e32 v40, 0xffff0000, v43
	;; [unrolled: 1-line block ×3, first 2 shown]
	v_lshlrev_b32_e32 v35, 16, v35
	v_add_f32_e32 v39, v39, v40
	v_add3_u32 v40, v41, v37, 0x7fff
	v_or_b32_e32 v41, 0x400000, v37
	v_mul_f32_e32 v43, v46, v43
	v_mul_f32_e32 v35, v52, v35
	s_wait_alu 0xfffd
	s_delay_alu instid0(VALU_DEP_3)
	v_cndmask_b32_e32 v37, v40, v41, vcc_lo
	v_add3_u32 v40, v42, v33, 0x7fff
	v_or_b32_e32 v41, 0x400000, v33
	v_cmp_u_f32_e32 vcc_lo, v33, v33
	v_or_b32_e32 v53, 0x400000, v35
	v_and_b32_e32 v37, 0xffff0000, v37
	s_wait_alu 0xfffd
	v_cndmask_b32_e32 v33, v40, v41, vcc_lo
	s_delay_alu instid0(VALU_DEP_1) | instskip(NEXT) | instid1(VALU_DEP_1)
	v_dual_add_f32 v0, v38, v0 :: v_dual_and_b32 v33, 0xffff0000, v33
	v_dual_add_f32 v33, v33, v37 :: v_dual_and_b32 v38, 0xffff0000, v34
	v_lshlrev_b32_e32 v34, 16, v34
	s_delay_alu instid0(VALU_DEP_2) | instskip(NEXT) | instid1(VALU_DEP_2)
	v_mul_f32_e32 v38, v47, v38
	v_mul_f32_e32 v34, v50, v34
	s_delay_alu instid0(VALU_DEP_2) | instskip(SKIP_2) | instid1(VALU_DEP_3)
	v_bfe_u32 v42, v38, 16, 1
	v_or_b32_e32 v41, 0x400000, v38
	v_cmp_u_f32_e32 vcc_lo, v38, v38
	v_add3_u32 v40, v42, v38, 0x7fff
	v_bfe_u32 v42, v34, 16, 1
	s_wait_alu 0xfffd
	s_delay_alu instid0(VALU_DEP_2) | instskip(NEXT) | instid1(VALU_DEP_2)
	v_cndmask_b32_e32 v38, v40, v41, vcc_lo
	v_add3_u32 v40, v42, v34, 0x7fff
	v_or_b32_e32 v41, 0x400000, v34
	v_cmp_u_f32_e32 vcc_lo, v34, v34
	v_bfe_u32 v42, v43, 16, 1
	v_and_b32_e32 v38, 0xffff0000, v38
	s_wait_alu 0xfffd
	v_cndmask_b32_e32 v34, v40, v41, vcc_lo
	v_bfe_u32 v40, v35, 16, 1
	v_add3_u32 v41, v42, v43, 0x7fff
	v_cmp_u_f32_e32 vcc_lo, v43, v43
	s_delay_alu instid0(VALU_DEP_4) | instskip(NEXT) | instid1(VALU_DEP_4)
	v_and_b32_e32 v34, 0xffff0000, v34
	v_add3_u32 v40, v40, v35, 0x7fff
	s_delay_alu instid0(VALU_DEP_2) | instskip(NEXT) | instid1(VALU_DEP_1)
	v_add_f32_e32 v34, v34, v38
	v_dual_add_f32 v33, v34, v33 :: v_dual_and_b32 v44, 0xffff0000, v36
	s_delay_alu instid0(VALU_DEP_1) | instskip(SKIP_2) | instid1(VALU_DEP_1)
	v_mul_f32_e32 v42, v48, v44
	v_or_b32_e32 v44, 0x400000, v43
	s_wait_alu 0xfffd
	v_cndmask_b32_e32 v41, v41, v44, vcc_lo
	v_cmp_u_f32_e32 vcc_lo, v35, v35
	s_delay_alu instid0(VALU_DEP_2) | instskip(SKIP_2) | instid1(VALU_DEP_1)
	v_and_b32_e32 v37, 0xffff0000, v41
	s_wait_alu 0xfffd
	v_dual_cndmask_b32 v35, v40, v53 :: v_dual_add_f32 v0, v39, v0
	v_dual_add_f32 v88, v88, v0 :: v_dual_and_b32 v35, 0xffff0000, v35
	s_delay_alu instid0(VALU_DEP_1) | instskip(SKIP_2) | instid1(VALU_DEP_3)
	v_add_f32_e32 v34, v35, v37
	v_and_b32_e32 v35, 0xffff0000, v29
	v_lshlrev_b32_e32 v29, 16, v29
	v_dual_add_f32 v33, v34, v33 :: v_dual_lshlrev_b32 v36, 16, v36
	s_delay_alu instid0(VALU_DEP_2) | instskip(SKIP_2) | instid1(VALU_DEP_4)
	v_mul_f32_e32 v29, v49, v29
	v_bfe_u32 v54, v42, 16, 1
	v_or_b32_e32 v44, 0x400000, v42
	v_dual_mul_f32 v35, v45, v35 :: v_dual_mul_f32 v36, v51, v36
	s_delay_alu instid0(VALU_DEP_4) | instskip(NEXT) | instid1(VALU_DEP_4)
	v_bfe_u32 v0, v29, 16, 1
	v_add3_u32 v40, v54, v42, 0x7fff
	s_delay_alu instid0(VALU_DEP_3) | instskip(SKIP_3) | instid1(VALU_DEP_4)
	v_bfe_u32 v43, v36, 16, 1
	v_or_b32_e32 v53, 0x400000, v36
	v_cmp_u_f32_e32 vcc_lo, v36, v36
	v_add3_u32 v0, v0, v29, 0x7fff
	v_add3_u32 v43, v43, v36, 0x7fff
	s_wait_alu 0xfffd
	s_delay_alu instid0(VALU_DEP_1) | instskip(SKIP_1) | instid1(VALU_DEP_2)
	v_cndmask_b32_e32 v36, v43, v53, vcc_lo
	v_cmp_u_f32_e32 vcc_lo, v42, v42
	v_and_b32_e32 v36, 0xffff0000, v36
	s_wait_alu 0xfffd
	v_cndmask_b32_e32 v38, v40, v44, vcc_lo
	v_cmp_u_f32_e32 vcc_lo, v35, v35
	s_delay_alu instid0(VALU_DEP_2) | instskip(SKIP_1) | instid1(VALU_DEP_2)
	v_and_b32_e32 v37, 0xffff0000, v38
	v_or_b32_e32 v38, 0x400000, v29
	v_add_f32_e32 v34, v36, v37
	v_and_b32_e32 v36, 0xffff0000, v30
	v_bfe_u32 v37, v35, 16, 1
	s_delay_alu instid0(VALU_DEP_3) | instskip(NEXT) | instid1(VALU_DEP_3)
	v_dual_add_f32 v33, v34, v33 :: v_dual_lshlrev_b32 v30, 16, v30
	v_mul_f32_e32 v34, v47, v36
	s_delay_alu instid0(VALU_DEP_3) | instskip(SKIP_1) | instid1(VALU_DEP_4)
	v_add3_u32 v36, v37, v35, 0x7fff
	v_or_b32_e32 v37, 0x400000, v35
	v_add_f32_e32 v89, v89, v33
	s_delay_alu instid0(VALU_DEP_4) | instskip(SKIP_1) | instid1(VALU_DEP_3)
	v_bfe_u32 v39, v34, 16, 1
	s_wait_alu 0xfffd
	v_cndmask_b32_e32 v35, v36, v37, vcc_lo
	v_cmp_u_f32_e32 vcc_lo, v29, v29
	v_mul_f32_e32 v29, v50, v30
	v_and_b32_e32 v37, 0xffff0000, v31
	v_add3_u32 v30, v39, v34, 0x7fff
	v_or_b32_e32 v36, 0x400000, v34
	s_wait_alu 0xfffd
	v_dual_cndmask_b32 v0, v0, v38 :: v_dual_lshlrev_b32 v31, 16, v31
	v_bfe_u32 v38, v29, 16, 1
	v_cmp_u_f32_e32 vcc_lo, v34, v34
	v_mul_f32_e32 v34, v46, v37
	v_or_b32_e32 v37, 0x400000, v29
	v_dual_mul_f32 v31, v52, v31 :: v_dual_and_b32 v0, 0xffff0000, v0
	s_wait_alu 0xfffd
	v_cndmask_b32_e32 v30, v30, v36, vcc_lo
	v_add3_u32 v36, v38, v29, 0x7fff
	v_and_b32_e32 v38, 0xffff0000, v32
	v_bfe_u32 v39, v34, 16, 1
	v_cmp_u_f32_e32 vcc_lo, v29, v29
	v_bfe_u32 v40, v31, 16, 1
	v_and_b32_e32 v35, 0xffff0000, v35
	s_wait_alu 0xfffd
	v_dual_cndmask_b32 v29, v36, v37 :: v_dual_and_b32 v30, 0xffff0000, v30
	v_mul_f32_e32 v36, v48, v38
	v_add3_u32 v37, v39, v34, 0x7fff
	v_or_b32_e32 v38, 0x400000, v34
	v_cmp_u_f32_e32 vcc_lo, v34, v34
	v_add3_u32 v39, v40, v31, 0x7fff
	v_or_b32_e32 v40, 0x400000, v31
	v_bfe_u32 v41, v36, 16, 1
	s_wait_alu 0xfffd
	v_dual_cndmask_b32 v34, v37, v38 :: v_dual_and_b32 v29, 0xffff0000, v29
	v_cmp_u_f32_e32 vcc_lo, v31, v31
	v_or_b32_e32 v38, 0x400000, v36
	v_add3_u32 v37, v41, v36, 0x7fff
	s_delay_alu instid0(VALU_DEP_4) | instskip(SKIP_3) | instid1(VALU_DEP_3)
	v_dual_add_f32 v0, v0, v35 :: v_dual_add_f32 v29, v29, v30
	s_wait_alu 0xfffd
	v_cndmask_b32_e32 v31, v39, v40, vcc_lo
	v_cmp_u_f32_e32 vcc_lo, v36, v36
	v_add_f32_e32 v0, v29, v0
	s_delay_alu instid0(VALU_DEP_3)
	v_and_b32_e32 v30, 0xffff0000, v31
	s_wait_alu 0xfffd
	v_cndmask_b32_e32 v36, v37, v38, vcc_lo
	v_and_b32_e32 v38, 0xffff0000, v28
	v_lshlrev_b32_e32 v32, 16, v32
	v_and_b32_e32 v31, 0xffff0000, v25
	v_lshlrev_b32_e32 v25, 16, v25
	v_lshlrev_b32_e32 v28, 16, v28
	s_delay_alu instid0(VALU_DEP_3) | instskip(NEXT) | instid1(VALU_DEP_2)
	v_dual_mul_f32 v32, v51, v32 :: v_dual_mul_f32 v29, v45, v31
	v_dual_mul_f32 v25, v49, v25 :: v_dual_mul_f32 v28, v51, v28
	s_delay_alu instid0(VALU_DEP_2) | instskip(SKIP_1) | instid1(VALU_DEP_3)
	v_bfe_u32 v37, v32, 16, 1
	v_cmp_u_f32_e32 vcc_lo, v32, v32
	v_bfe_u32 v41, v28, 16, 1
	s_delay_alu instid0(VALU_DEP_3) | instskip(SKIP_3) | instid1(VALU_DEP_2)
	v_add3_u32 v35, v37, v32, 0x7fff
	v_or_b32_e32 v37, 0x400000, v32
	v_bfe_u32 v32, v29, 16, 1
	s_wait_alu 0xfffd
	v_cndmask_b32_e32 v31, v35, v37, vcc_lo
	v_and_b32_e32 v37, 0xffff0000, v27
	v_lshlrev_b32_e32 v27, 16, v27
	v_add3_u32 v32, v32, v29, 0x7fff
	v_bfe_u32 v35, v25, 16, 1
	v_cmp_u_f32_e32 vcc_lo, v29, v29
	v_mul_f32_e32 v37, v46, v37
	v_dual_mul_f32 v27, v52, v27 :: v_dual_and_b32 v34, 0xffff0000, v34
	v_and_b32_e32 v31, 0xffff0000, v31
	s_delay_alu instid0(VALU_DEP_2) | instskip(NEXT) | instid1(VALU_DEP_3)
	v_or_b32_e32 v39, 0x400000, v27
	v_add_f32_e32 v30, v30, v34
	v_or_b32_e32 v34, 0x400000, v29
	s_delay_alu instid0(VALU_DEP_2)
	v_add_f32_e32 v0, v30, v0
	v_and_b32_e32 v30, 0xffff0000, v26
	v_lshlrev_b32_e32 v26, 16, v26
	s_wait_alu 0xfffd
	v_cndmask_b32_e32 v29, v32, v34, vcc_lo
	v_add3_u32 v32, v35, v25, 0x7fff
	v_or_b32_e32 v34, 0x400000, v25
	v_mul_f32_e32 v30, v47, v30
	v_mul_f32_e32 v26, v50, v26
	v_cmp_u_f32_e32 vcc_lo, v25, v25
	v_and_b32_e32 v29, 0xffff0000, v29
	s_delay_alu instid0(VALU_DEP_4)
	v_bfe_u32 v35, v30, 16, 1
	s_wait_alu 0xfffd
	v_cndmask_b32_e32 v25, v32, v34, vcc_lo
	v_or_b32_e32 v34, 0x400000, v30
	v_cmp_u_f32_e32 vcc_lo, v30, v30
	v_add3_u32 v32, v35, v30, 0x7fff
	v_bfe_u32 v35, v26, 16, 1
	s_wait_alu 0xfffd
	s_delay_alu instid0(VALU_DEP_2) | instskip(NEXT) | instid1(VALU_DEP_2)
	v_dual_cndmask_b32 v30, v32, v34 :: v_dual_and_b32 v25, 0xffff0000, v25
	v_add3_u32 v32, v35, v26, 0x7fff
	v_or_b32_e32 v34, 0x400000, v26
	v_bfe_u32 v35, v37, 16, 1
	v_cmp_u_f32_e32 vcc_lo, v26, v26
	v_dual_add_f32 v25, v25, v29 :: v_dual_and_b32 v30, 0xffff0000, v30
	s_wait_alu 0xfffd
	v_cndmask_b32_e32 v26, v32, v34, vcc_lo
	v_bfe_u32 v32, v27, 16, 1
	v_add3_u32 v34, v35, v37, 0x7fff
	v_mul_f32_e32 v35, v48, v38
	v_or_b32_e32 v38, 0x400000, v37
	v_cmp_u_f32_e32 vcc_lo, v37, v37
	v_add3_u32 v32, v32, v27, 0x7fff
	v_add3_u32 v37, v41, v28, 0x7fff
	v_bfe_u32 v40, v35, 16, 1
	v_and_b32_e32 v26, 0xffff0000, v26
	s_wait_alu 0xfffd
	v_cndmask_b32_e32 v34, v34, v38, vcc_lo
	v_cmp_u_f32_e32 vcc_lo, v27, v27
	v_or_b32_e32 v38, 0x400000, v28
	v_add_f32_e32 v26, v26, v30
	s_delay_alu instid0(VALU_DEP_4)
	v_and_b32_e32 v29, 0xffff0000, v34
	s_wait_alu 0xfffd
	v_cndmask_b32_e32 v27, v32, v39, vcc_lo
	v_cmp_u_f32_e32 vcc_lo, v28, v28
	v_add3_u32 v32, v40, v35, 0x7fff
	v_or_b32_e32 v39, 0x400000, v35
	v_add_f32_e32 v25, v26, v25
	s_wait_alu 0xfffd
	v_dual_cndmask_b32 v28, v37, v38 :: v_dual_and_b32 v27, 0xffff0000, v27
	v_cmp_u_f32_e32 vcc_lo, v35, v35
	s_delay_alu instid0(VALU_DEP_2)
	v_dual_add_f32 v26, v27, v29 :: v_dual_and_b32 v27, 0xffff0000, v28
	s_wait_alu 0xfffd
	v_cndmask_b32_e32 v30, v32, v39, vcc_lo
	v_and_b32_e32 v32, 0xffff0000, v36
	v_and_b32_e32 v29, 0xffff0000, v17
	v_lshlrev_b32_e32 v17, 16, v17
	s_delay_alu instid0(VALU_DEP_4) | instskip(NEXT) | instid1(VALU_DEP_2)
	v_dual_add_f32 v25, v26, v25 :: v_dual_and_b32 v28, 0xffff0000, v30
	v_dual_add_f32 v30, v31, v32 :: v_dual_mul_f32 v17, v49, v17
	s_delay_alu instid0(VALU_DEP_2) | instskip(NEXT) | instid1(VALU_DEP_2)
	v_dual_add_f32 v26, v27, v28 :: v_dual_mul_f32 v27, v45, v29
	v_add_f32_e32 v0, v30, v0
	v_and_b32_e32 v28, 0xffff0000, v18
	s_delay_alu instid0(VALU_DEP_3) | instskip(NEXT) | instid1(VALU_DEP_4)
	v_dual_add_f32 v25, v26, v25 :: v_dual_lshlrev_b32 v18, 16, v18
	v_bfe_u32 v26, v27, 16, 1
	s_delay_alu instid0(VALU_DEP_4)
	v_add_f32_e32 v90, v90, v0
	v_bfe_u32 v0, v17, 16, 1
	v_mul_f32_e32 v28, v47, v28
	v_add_f32_e32 v91, v91, v25
	v_add3_u32 v25, v26, v27, 0x7fff
	v_or_b32_e32 v26, 0x400000, v27
	v_cmp_u_f32_e32 vcc_lo, v27, v27
	v_add3_u32 v0, v0, v17, 0x7fff
	v_or_b32_e32 v29, 0x400000, v17
	v_or_b32_e32 v27, 0x400000, v28
	s_wait_alu 0xfffd
	v_dual_cndmask_b32 v25, v25, v26 :: v_dual_and_b32 v30, 0xffff0000, v20
	v_bfe_u32 v26, v28, 16, 1
	v_cmp_u_f32_e32 vcc_lo, v17, v17
	v_dual_mul_f32 v17, v50, v18 :: v_dual_and_b32 v18, 0xffff0000, v19
	v_lshlrev_b32_e32 v19, 16, v19
	s_delay_alu instid0(VALU_DEP_4)
	v_add3_u32 v26, v26, v28, 0x7fff
	s_wait_alu 0xfffd
	v_cndmask_b32_e32 v0, v0, v29, vcc_lo
	v_bfe_u32 v29, v17, 16, 1
	v_mul_f32_e32 v18, v46, v18
	v_cmp_u_f32_e32 vcc_lo, v28, v28
	v_mul_f32_e32 v19, v52, v19
	v_or_b32_e32 v28, 0x400000, v17
	v_lshlrev_b32_e32 v20, 16, v20
	s_wait_alu 0xfffd
	v_dual_cndmask_b32 v26, v26, v27 :: v_dual_and_b32 v25, 0xffff0000, v25
	v_add3_u32 v27, v29, v17, 0x7fff
	v_bfe_u32 v29, v18, 16, 1
	v_cmp_u_f32_e32 vcc_lo, v17, v17
	v_bfe_u32 v31, v19, 16, 1
	v_mul_f32_e32 v20, v51, v20
	s_wait_alu 0xfffd
	v_dual_cndmask_b32 v17, v27, v28 :: v_dual_and_b32 v26, 0xffff0000, v26
	v_add3_u32 v27, v29, v18, 0x7fff
	v_mul_f32_e32 v28, v48, v30
	v_or_b32_e32 v29, 0x400000, v18
	v_cmp_u_f32_e32 vcc_lo, v18, v18
	v_add3_u32 v30, v31, v19, 0x7fff
	v_or_b32_e32 v31, 0x400000, v19
	v_bfe_u32 v32, v28, 16, 1
	v_and_b32_e32 v17, 0xffff0000, v17
	s_wait_alu 0xfffd
	v_cndmask_b32_e32 v18, v27, v29, vcc_lo
	v_cmp_u_f32_e32 vcc_lo, v19, v19
	v_or_b32_e32 v29, 0x400000, v28
	v_add3_u32 v27, v32, v28, 0x7fff
	v_add_f32_e32 v17, v17, v26
	s_wait_alu 0xfffd
	v_dual_cndmask_b32 v19, v30, v31 :: v_dual_and_b32 v18, 0xffff0000, v18
	v_bfe_u32 v30, v20, 16, 1
	v_cmp_u_f32_e32 vcc_lo, v28, v28
	v_and_b32_e32 v26, 0xffff0000, v14
	v_lshlrev_b32_e32 v14, 16, v14
	v_and_b32_e32 v19, 0xffff0000, v19
	v_add3_u32 v28, v30, v20, 0x7fff
	s_wait_alu 0xfffd
	v_cndmask_b32_e32 v27, v27, v29, vcc_lo
	v_or_b32_e32 v29, 0x400000, v20
	v_cmp_u_f32_e32 vcc_lo, v20, v20
	v_add_f32_e32 v18, v19, v18
	v_mul_f32_e32 v26, v47, v26
	v_mul_f32_e32 v14, v50, v14
	s_wait_alu 0xfffd
	v_cndmask_b32_e32 v20, v28, v29, vcc_lo
	v_and_b32_e32 v28, 0xffff0000, v16
	v_lshlrev_b32_e32 v16, 16, v16
	s_delay_alu instid0(VALU_DEP_3) | instskip(SKIP_2) | instid1(VALU_DEP_4)
	v_and_b32_e32 v19, 0xffff0000, v20
	v_and_b32_e32 v0, 0xffff0000, v0
	;; [unrolled: 1-line block ×3, first 2 shown]
	v_mul_f32_e32 v16, v51, v16
	s_delay_alu instid0(VALU_DEP_3) | instskip(SKIP_3) | instid1(VALU_DEP_4)
	v_add_f32_e32 v0, v0, v25
	v_and_b32_e32 v25, 0xffff0000, v13
	v_lshlrev_b32_e32 v13, 16, v13
	v_add_f32_e32 v19, v19, v20
	v_add_f32_e32 v0, v17, v0
	s_delay_alu instid0(VALU_DEP_4) | instskip(NEXT) | instid1(VALU_DEP_2)
	v_mul_f32_e32 v17, v45, v25
	v_dual_mul_f32 v13, v49, v13 :: v_dual_add_f32 v0, v18, v0
	s_delay_alu instid0(VALU_DEP_2) | instskip(NEXT) | instid1(VALU_DEP_2)
	v_bfe_u32 v25, v17, 16, 1
	v_bfe_u32 v18, v13, 16, 1
	v_cmp_u_f32_e32 vcc_lo, v17, v17
	v_or_b32_e32 v27, 0x400000, v13
	s_delay_alu instid0(VALU_DEP_4) | instskip(SKIP_3) | instid1(VALU_DEP_2)
	v_add3_u32 v20, v25, v17, 0x7fff
	v_or_b32_e32 v25, 0x400000, v17
	v_add3_u32 v18, v18, v13, 0x7fff
	s_wait_alu 0xfffd
	v_cndmask_b32_e32 v17, v20, v25, vcc_lo
	v_cmp_u_f32_e32 vcc_lo, v13, v13
	v_bfe_u32 v20, v26, 16, 1
	v_or_b32_e32 v25, 0x400000, v26
	s_delay_alu instid0(VALU_DEP_4)
	v_and_b32_e32 v17, 0xffff0000, v17
	s_wait_alu 0xfffd
	v_cndmask_b32_e32 v13, v18, v27, vcc_lo
	v_and_b32_e32 v18, 0xffff0000, v15
	v_add3_u32 v20, v20, v26, 0x7fff
	v_lshlrev_b32_e32 v15, 16, v15
	v_bfe_u32 v27, v14, 16, 1
	v_cmp_u_f32_e32 vcc_lo, v26, v26
	v_mul_f32_e32 v18, v46, v18
	v_or_b32_e32 v26, 0x400000, v14
	v_mul_f32_e32 v15, v52, v15
	v_and_b32_e32 v13, 0xffff0000, v13
	s_wait_alu 0xfffd
	v_cndmask_b32_e32 v20, v20, v25, vcc_lo
	v_add3_u32 v25, v27, v14, 0x7fff
	v_bfe_u32 v27, v18, 16, 1
	v_cmp_u_f32_e32 vcc_lo, v14, v14
	v_bfe_u32 v29, v15, 16, 1
	v_dual_add_f32 v13, v13, v17 :: v_dual_and_b32 v20, 0xffff0000, v20
	s_wait_alu 0xfffd
	v_cndmask_b32_e32 v14, v25, v26, vcc_lo
	v_add3_u32 v25, v27, v18, 0x7fff
	v_mul_f32_e32 v26, v48, v28
	v_or_b32_e32 v27, 0x400000, v18
	v_cmp_u_f32_e32 vcc_lo, v18, v18
	v_add3_u32 v28, v29, v15, 0x7fff
	v_or_b32_e32 v29, 0x400000, v15
	v_bfe_u32 v30, v26, 16, 1
	v_and_b32_e32 v14, 0xffff0000, v14
	s_wait_alu 0xfffd
	v_cndmask_b32_e32 v18, v25, v27, vcc_lo
	v_cmp_u_f32_e32 vcc_lo, v15, v15
	v_or_b32_e32 v27, 0x400000, v26
	v_add3_u32 v25, v30, v26, 0x7fff
	s_delay_alu instid0(VALU_DEP_4)
	v_dual_add_f32 v14, v14, v20 :: v_dual_and_b32 v17, 0xffff0000, v18
	s_wait_alu 0xfffd
	v_cndmask_b32_e32 v15, v28, v29, vcc_lo
	v_bfe_u32 v28, v16, 16, 1
	v_cmp_u_f32_e32 vcc_lo, v26, v26
	v_add_f32_e32 v13, v14, v13
	v_and_b32_e32 v14, 0xffff0000, v9
	v_and_b32_e32 v15, 0xffff0000, v15
	v_add3_u32 v26, v28, v16, 0x7fff
	s_wait_alu 0xfffd
	v_cndmask_b32_e32 v25, v25, v27, vcc_lo
	v_or_b32_e32 v27, 0x400000, v16
	v_cmp_u_f32_e32 vcc_lo, v16, v16
	v_add_f32_e32 v15, v15, v17
	v_lshlrev_b32_e32 v9, 16, v9
	v_dual_mul_f32 v14, v45, v14 :: v_dual_and_b32 v17, 0xffff0000, v25
	s_wait_alu 0xfffd
	v_cndmask_b32_e32 v16, v26, v27, vcc_lo
	s_delay_alu instid0(VALU_DEP_3) | instskip(SKIP_2) | instid1(VALU_DEP_4)
	v_mul_f32_e32 v18, v49, v9
	v_add_f32_e32 v9, v15, v13
	v_bfe_u32 v15, v14, 16, 1
	v_and_b32_e32 v16, 0xffff0000, v16
	v_cmp_u_f32_e32 vcc_lo, v14, v14
	s_delay_alu instid0(VALU_DEP_2) | instskip(SKIP_2) | instid1(VALU_DEP_3)
	v_dual_add_f32 v13, v16, v17 :: v_dual_and_b32 v16, 0xffff0000, v10
	v_lshlrev_b32_e32 v10, 16, v10
	v_or_b32_e32 v17, 0x400000, v18
	v_dual_add_f32 v9, v13, v9 :: v_dual_add_f32 v0, v19, v0
	v_add3_u32 v13, v15, v14, 0x7fff
	v_or_b32_e32 v15, 0x400000, v14
	v_mul_f32_e32 v16, v47, v16
	v_mul_f32_e32 v10, v50, v10
	v_add_f32_e32 v92, v92, v0
	v_bfe_u32 v0, v18, 16, 1
	s_wait_alu 0xfffd
	v_cndmask_b32_e32 v13, v13, v15, vcc_lo
	v_bfe_u32 v14, v16, 16, 1
	v_cmp_u_f32_e32 vcc_lo, v18, v18
	v_and_b32_e32 v15, 0xffff0000, v11
	v_add3_u32 v0, v0, v18, 0x7fff
	v_lshlrev_b32_e32 v11, 16, v11
	v_add3_u32 v14, v14, v16, 0x7fff
	v_bfe_u32 v18, v10, 16, 1
	s_wait_alu 0xfffd
	v_dual_mul_f32 v15, v46, v15 :: v_dual_cndmask_b32 v0, v0, v17
	v_or_b32_e32 v17, 0x400000, v16
	v_cmp_u_f32_e32 vcc_lo, v16, v16
	v_mul_f32_e32 v11, v52, v11
	v_add3_u32 v16, v18, v10, 0x7fff
	v_bfe_u32 v18, v15, 16, 1
	s_wait_alu 0xfffd
	v_dual_cndmask_b32 v14, v14, v17 :: v_dual_and_b32 v19, 0xffff0000, v12
	v_or_b32_e32 v17, 0x400000, v10
	v_cmp_u_f32_e32 vcc_lo, v10, v10
	v_bfe_u32 v20, v11, 16, 1
	v_lshlrev_b32_e32 v12, 16, v12
	v_and_b32_e32 v0, 0xffff0000, v0
	v_and_b32_e32 v13, 0xffff0000, v13
	s_wait_alu 0xfffd
	v_cndmask_b32_e32 v10, v16, v17, vcc_lo
	v_add3_u32 v16, v18, v15, 0x7fff
	v_mul_f32_e32 v17, v48, v19
	v_or_b32_e32 v18, 0x400000, v15
	v_cmp_u_f32_e32 vcc_lo, v15, v15
	v_add3_u32 v19, v20, v11, 0x7fff
	v_or_b32_e32 v20, 0x400000, v11
	v_bfe_u32 v25, v17, 16, 1
	s_wait_alu 0xfffd
	v_dual_mul_f32 v12, v51, v12 :: v_dual_cndmask_b32 v15, v16, v18
	v_cmp_u_f32_e32 vcc_lo, v11, v11
	v_or_b32_e32 v18, 0x400000, v17
	v_add3_u32 v16, v25, v17, 0x7fff
	v_and_b32_e32 v10, 0xffff0000, v10
	s_wait_alu 0xfffd
	v_dual_cndmask_b32 v11, v19, v20 :: v_dual_and_b32 v14, 0xffff0000, v14
	v_bfe_u32 v19, v12, 16, 1
	v_cmp_u_f32_e32 vcc_lo, v17, v17
	v_add_f32_e32 v0, v0, v13
	s_delay_alu instid0(VALU_DEP_4) | instskip(NEXT) | instid1(VALU_DEP_4)
	v_dual_add_f32 v10, v10, v14 :: v_dual_and_b32 v11, 0xffff0000, v11
	v_add3_u32 v17, v19, v12, 0x7fff
	s_wait_alu 0xfffd
	v_cndmask_b32_e32 v16, v16, v18, vcc_lo
	v_or_b32_e32 v18, 0x400000, v12
	v_and_b32_e32 v13, 0xffff0000, v15
	v_and_b32_e32 v14, 0xffff0000, v5
	v_cmp_u_f32_e32 vcc_lo, v12, v12
	v_dual_add_f32 v0, v10, v0 :: v_dual_lshlrev_b32 v5, 16, v5
	s_delay_alu instid0(VALU_DEP_3) | instskip(SKIP_2) | instid1(VALU_DEP_3)
	v_dual_add_f32 v10, v11, v13 :: v_dual_mul_f32 v11, v45, v14
	s_wait_alu 0xfffd
	v_cndmask_b32_e32 v12, v17, v18, vcc_lo
	v_mul_f32_e32 v5, v49, v5
	v_and_b32_e32 v13, 0xffff0000, v16
	v_and_b32_e32 v14, 0xffff0000, v6
	v_bfe_u32 v15, v11, 16, 1
	v_and_b32_e32 v12, 0xffff0000, v12
	v_add_f32_e32 v0, v10, v0
	v_bfe_u32 v10, v5, 16, 1
	v_lshlrev_b32_e32 v6, 16, v6
	v_cmp_u_f32_e32 vcc_lo, v11, v11
	v_dual_add_f32 v12, v12, v13 :: v_dual_mul_f32 v13, v47, v14
	v_add3_u32 v14, v15, v11, 0x7fff
	v_or_b32_e32 v15, 0x400000, v11
	v_add3_u32 v10, v10, v5, 0x7fff
	v_or_b32_e32 v16, 0x400000, v5
	v_bfe_u32 v17, v13, 16, 1
	v_mul_f32_e32 v6, v50, v6
	s_wait_alu 0xfffd
	v_cndmask_b32_e32 v11, v14, v15, vcc_lo
	v_cmp_u_f32_e32 vcc_lo, v5, v5
	v_and_b32_e32 v15, 0xffff0000, v7
	v_or_b32_e32 v14, 0x400000, v13
	v_lshlrev_b32_e32 v7, 16, v7
	v_and_b32_e32 v11, 0xffff0000, v11
	s_wait_alu 0xfffd
	v_cndmask_b32_e32 v5, v10, v16, vcc_lo
	v_add3_u32 v10, v17, v13, 0x7fff
	v_bfe_u32 v16, v6, 16, 1
	v_cmp_u_f32_e32 vcc_lo, v13, v13
	v_mul_f32_e32 v13, v46, v15
	v_mul_f32_e32 v7, v52, v7
	v_or_b32_e32 v15, 0x400000, v6
	s_wait_alu 0xfffd
	v_dual_cndmask_b32 v10, v10, v14 :: v_dual_and_b32 v5, 0xffff0000, v5
	v_add3_u32 v14, v16, v6, 0x7fff
	v_and_b32_e32 v16, 0xffff0000, v8
	v_bfe_u32 v17, v13, 16, 1
	v_cmp_u_f32_e32 vcc_lo, v6, v6
	v_bfe_u32 v18, v7, 16, 1
	v_lshlrev_b32_e32 v8, 16, v8
	v_and_b32_e32 v10, 0xffff0000, v10
	s_wait_loadcnt 0x0
	v_and_b32_e32 v20, 0xffff0000, v24
	s_wait_alu 0xfffd
	v_cndmask_b32_e32 v6, v14, v15, vcc_lo
	v_mul_f32_e32 v14, v48, v16
	v_add3_u32 v15, v17, v13, 0x7fff
	v_or_b32_e32 v16, 0x400000, v13
	v_cmp_u_f32_e32 vcc_lo, v13, v13
	v_add3_u32 v17, v18, v7, 0x7fff
	v_or_b32_e32 v18, 0x400000, v7
	v_bfe_u32 v19, v14, 16, 1
	s_wait_alu 0xfffd
	v_dual_cndmask_b32 v13, v15, v16 :: v_dual_and_b32 v6, 0xffff0000, v6
	v_cmp_u_f32_e32 vcc_lo, v7, v7
	v_or_b32_e32 v16, 0x400000, v14
	v_add3_u32 v15, v19, v14, 0x7fff
	v_dual_mul_f32 v8, v51, v8 :: v_dual_add_f32 v5, v5, v11
	s_wait_alu 0xfffd
	v_cndmask_b32_e32 v7, v17, v18, vcc_lo
	v_cmp_u_f32_e32 vcc_lo, v14, v14
	v_dual_add_f32 v6, v6, v10 :: v_dual_lshlrev_b32 v19, 16, v24
	v_and_b32_e32 v10, 0xffff0000, v1
	s_delay_alu instid0(VALU_DEP_4) | instskip(SKIP_4) | instid1(VALU_DEP_3)
	v_and_b32_e32 v7, 0xffff0000, v7
	s_wait_alu 0xfffd
	v_dual_cndmask_b32 v14, v15, v16 :: v_dual_and_b32 v11, 0xffff0000, v13
	v_bfe_u32 v15, v8, 16, 1
	v_dual_add_f32 v5, v6, v5 :: v_dual_mul_f32 v6, v45, v10
	v_add_f32_e32 v7, v7, v11
	v_lshlrev_b32_e32 v1, 16, v1
	s_delay_alu instid0(VALU_DEP_4)
	v_add3_u32 v13, v15, v8, 0x7fff
	v_or_b32_e32 v15, 0x400000, v8
	v_cmp_u_f32_e32 vcc_lo, v8, v8
	v_bfe_u32 v10, v6, 16, 1
	v_add_f32_e32 v5, v7, v5
	v_and_b32_e32 v7, 0xffff0000, v2
	v_mul_f32_e32 v1, v49, v1
	s_wait_alu 0xfffd
	v_cndmask_b32_e32 v8, v13, v15, vcc_lo
	v_add3_u32 v10, v10, v6, 0x7fff
	v_or_b32_e32 v11, 0x400000, v6
	v_mul_f32_e32 v7, v47, v7
	v_and_b32_e32 v13, 0xffff0000, v14
	v_bfe_u32 v14, v1, 16, 1
	v_cmp_u_f32_e32 vcc_lo, v6, v6
	v_or_b32_e32 v15, 0x400000, v1
	v_lshlrev_b32_e32 v2, 16, v2
	v_or_b32_e32 v16, 0x400000, v7
	s_wait_alu 0xfffd
	v_dual_add_f32 v93, v93, v9 :: v_dual_cndmask_b32 v6, v10, v11
	v_bfe_u32 v10, v7, 16, 1
	v_add3_u32 v11, v14, v1, 0x7fff
	v_cmp_u_f32_e32 vcc_lo, v1, v1
	v_and_b32_e32 v14, 0xffff0000, v3
	v_mul_f32_e32 v2, v50, v2
	v_add3_u32 v10, v10, v7, 0x7fff
	v_lshlrev_b32_e32 v3, 16, v3
	s_wait_alu 0xfffd
	v_cndmask_b32_e32 v1, v11, v15, vcc_lo
	v_cmp_u_f32_e32 vcc_lo, v7, v7
	v_bfe_u32 v11, v2, 16, 1
	v_and_b32_e32 v15, 0xffff0000, v4
	v_mul_f32_e32 v3, v52, v3
	v_and_b32_e32 v1, 0xffff0000, v1
	s_wait_alu 0xfffd
	v_cndmask_b32_e32 v7, v10, v16, vcc_lo
	v_add3_u32 v11, v11, v2, 0x7fff
	v_or_b32_e32 v16, 0x400000, v2
	v_cmp_u_f32_e32 vcc_lo, v2, v2
	v_mul_f32_e32 v15, v48, v15
	v_dual_add_f32 v0, v12, v0 :: v_dual_and_b32 v7, 0xffff0000, v7
	v_mul_f32_e32 v14, v46, v14
	s_wait_alu 0xfffd
	v_cndmask_b32_e32 v2, v11, v16, vcc_lo
	v_bfe_u32 v11, v3, 16, 1
	v_bfe_u32 v16, v15, 16, 1
	v_add_f32_e32 v95, v95, v0
	v_bfe_u32 v10, v14, 16, 1
	v_or_b32_e32 v17, 0x400000, v14
	v_cmp_u_f32_e32 vcc_lo, v14, v14
	v_add3_u32 v11, v11, v3, 0x7fff
	v_lshlrev_b32_e32 v4, 16, v4
	v_add3_u32 v10, v10, v14, 0x7fff
	v_or_b32_e32 v14, 0x400000, v3
	v_add3_u32 v16, v16, v15, 0x7fff
	v_and_b32_e32 v6, 0xffff0000, v6
	v_mul_f32_e32 v4, v51, v4
	s_wait_alu 0xfffd
	v_cndmask_b32_e32 v10, v10, v17, vcc_lo
	v_cmp_u_f32_e32 vcc_lo, v3, v3
	v_or_b32_e32 v17, 0x400000, v15
	v_and_b32_e32 v2, 0xffff0000, v2
	v_add_f32_e32 v1, v1, v6
	v_and_b32_e32 v6, 0xffff0000, v10
	s_wait_alu 0xfffd
	v_cndmask_b32_e32 v3, v11, v14, vcc_lo
	v_cmp_u_f32_e32 vcc_lo, v15, v15
	v_bfe_u32 v14, v4, 16, 1
	v_add_f32_e32 v2, v2, v7
	v_and_b32_e32 v10, 0xffff0000, v21
	v_and_b32_e32 v3, 0xffff0000, v3
	s_wait_alu 0xfffd
	v_cndmask_b32_e32 v11, v16, v17, vcc_lo
	v_lshlrev_b32_e32 v16, 16, v21
	v_add3_u32 v14, v14, v4, 0x7fff
	v_or_b32_e32 v15, 0x400000, v4
	v_cmp_u_f32_e32 vcc_lo, v4, v4
	v_add_f32_e32 v1, v2, v1
	v_mul_f32_e32 v7, v49, v16
	v_add_f32_e32 v3, v3, v6
	v_mul_f32_e32 v6, v45, v10
	v_lshlrev_b32_e32 v10, 16, v22
	s_wait_alu 0xfffd
	v_cndmask_b32_e32 v4, v14, v15, vcc_lo
	v_bfe_u32 v2, v7, 16, 1
	v_or_b32_e32 v14, 0x400000, v7
	v_bfe_u32 v15, v6, 16, 1
	v_mul_f32_e32 v10, v50, v10
	v_and_b32_e32 v16, 0xffff0000, v22
	v_add3_u32 v2, v2, v7, 0x7fff
	v_cmp_u_f32_e32 vcc_lo, v7, v7
	v_add3_u32 v7, v15, v6, 0x7fff
	v_bfe_u32 v15, v10, 16, 1
	v_dual_mul_f32 v16, v47, v16 :: v_dual_lshlrev_b32 v17, 16, v23
	s_wait_alu 0xfffd
	v_cndmask_b32_e32 v2, v2, v14, vcc_lo
	v_or_b32_e32 v14, 0x400000, v6
	v_cmp_u_f32_e32 vcc_lo, v6, v6
	v_dual_mul_f32 v17, v52, v17 :: v_dual_and_b32 v18, 0xffff0000, v23
	s_delay_alu instid0(VALU_DEP_4)
	v_and_b32_e32 v2, 0xffff0000, v2
	v_and_b32_e32 v4, 0xffff0000, v4
	s_wait_alu 0xfffd
	v_cndmask_b32_e32 v6, v7, v14, vcc_lo
	v_add3_u32 v7, v15, v10, 0x7fff
	v_or_b32_e32 v14, 0x400000, v10
	v_bfe_u32 v15, v16, 16, 1
	v_cmp_u_f32_e32 vcc_lo, v10, v10
	v_mul_f32_e32 v18, v46, v18
	v_and_b32_e32 v6, 0xffff0000, v6
	v_and_b32_e32 v11, 0xffff0000, v11
	v_add3_u32 v10, v15, v16, 0x7fff
	s_wait_alu 0xfffd
	v_cndmask_b32_e32 v7, v7, v14, vcc_lo
	v_or_b32_e32 v14, 0x400000, v16
	v_bfe_u32 v15, v17, 16, 1
	v_cmp_u_f32_e32 vcc_lo, v16, v16
	v_dual_mul_f32 v16, v51, v19 :: v_dual_mul_f32 v19, v48, v20
	v_or_b32_e32 v20, 0x400000, v17
	s_delay_alu instid0(VALU_DEP_4)
	v_add3_u32 v15, v15, v17, 0x7fff
	s_wait_alu 0xfffd
	v_cndmask_b32_e32 v10, v10, v14, vcc_lo
	v_bfe_u32 v14, v18, 16, 1
	v_cmp_u_f32_e32 vcc_lo, v17, v17
	v_or_b32_e32 v21, 0x400000, v18
	v_bfe_u32 v23, v19, 16, 1
	v_bfe_u32 v22, v16, 16, 1
	v_add3_u32 v14, v14, v18, 0x7fff
	s_wait_alu 0xfffd
	v_cndmask_b32_e32 v15, v15, v20, vcc_lo
	v_cmp_u_f32_e32 vcc_lo, v18, v18
	v_add3_u32 v18, v23, v19, 0x7fff
	v_or_b32_e32 v20, 0x400000, v19
	v_add3_u32 v17, v22, v16, 0x7fff
	v_and_b32_e32 v10, 0xffff0000, v10
	s_wait_alu 0xfffd
	v_cndmask_b32_e32 v14, v14, v21, vcc_lo
	v_cmp_u_f32_e32 vcc_lo, v19, v19
	v_and_b32_e32 v7, 0xffff0000, v7
	v_or_b32_e32 v21, 0x400000, v16
	v_dual_add_f32 v2, v2, v6 :: v_dual_add_f32 v1, v3, v1
	s_wait_alu 0xfffd
	v_cndmask_b32_e32 v18, v18, v20, vcc_lo
	v_cmp_u_f32_e32 vcc_lo, v16, v16
	v_add_f32_e32 v6, v7, v10
	v_and_b32_e32 v7, 0xffff0000, v14
	v_and_b32_e32 v10, 0xffff0000, v15
	v_dual_add_f32 v3, v4, v11 :: v_dual_and_b32 v8, 0xffff0000, v8
	s_wait_alu 0xfffd
	v_cndmask_b32_e32 v14, v17, v21, vcc_lo
	v_add_f32_e32 v2, v6, v2
	v_dual_add_f32 v6, v10, v7 :: v_dual_and_b32 v7, 0xffff0000, v18
	v_add_f32_e32 v8, v8, v13
	s_delay_alu instid0(VALU_DEP_4) | instskip(NEXT) | instid1(VALU_DEP_3)
	v_dual_add_f32 v1, v3, v1 :: v_dual_and_b32 v10, 0xffff0000, v14
	v_add_f32_e32 v2, v6, v2
	v_cmp_le_i32_e32 vcc_lo, s13, v77
	s_delay_alu instid0(VALU_DEP_3) | instskip(NEXT) | instid1(VALU_DEP_4)
	v_dual_add_f32 v5, v8, v5 :: v_dual_add_f32 v4, v10, v7
	v_add_f32_e32 v94, v94, v1
	s_or_b32 s4, vcc_lo, s4
	s_delay_alu instid0(VALU_DEP_2) | instskip(NEXT) | instid1(VALU_DEP_3)
	v_add_f32_e32 v96, v96, v5
	v_add_f32_e32 v2, v4, v2
	s_delay_alu instid0(VALU_DEP_1)
	v_add_f32_e32 v81, v81, v2
	s_wait_alu 0xfffe
	s_and_not1_b32 exec_lo, exec_lo, s4
	s_cbranch_execz .LBB186_61
.LBB186_29:                             ; =>This Inner Loop Header: Depth=1
	global_load_b32 v0, v[73:74], off
	v_add_nc_u32_e32 v106, 1, v99
	v_or_b32_e32 v105, 3, v99
	v_or_b32_e32 v107, 2, v99
	;; [unrolled: 1-line block ×6, first 2 shown]
	s_wait_loadcnt 0x0
	s_wait_alu 0xfffe
	v_mad_co_i64_i32 v[1:2], null, v0, s2, 0
	s_delay_alu instid0(VALU_DEP_1) | instskip(NEXT) | instid1(VALU_DEP_1)
	v_lshlrev_b64_e32 v[1:2], 1, v[1:2]
	v_add_co_u32 v21, vcc_lo, v97, v1
	s_wait_alu 0xfffd
	s_delay_alu instid0(VALU_DEP_2)
	v_add_co_ci_u32_e64 v22, null, v98, v2, vcc_lo
	v_cmp_eq_u32_e32 vcc_lo, s3, v77
	global_load_b128 v[1:4], v[21:22], off
	ds_load_2addr_b64 v[49:52], v100 offset1:1
	ds_load_2addr_b64 v[45:48], v100 offset0:2 offset1:3
	s_and_saveexec_b32 s6, vcc_lo
	s_cbranch_execnz .LBB186_45
; %bb.30:                               ;   in Loop: Header=BB186_29 Depth=1
	s_or_b32 exec_lo, exec_lo, s6
	global_load_b128 v[5:8], v[21:22], off offset:512
	s_and_saveexec_b32 s6, vcc_lo
	s_cbranch_execnz .LBB186_46
.LBB186_31:                             ;   in Loop: Header=BB186_29 Depth=1
	s_or_b32 exec_lo, exec_lo, s6
	global_load_b128 v[9:12], v[21:22], off offset:1024
	s_and_saveexec_b32 s6, vcc_lo
	s_cbranch_execnz .LBB186_47
.LBB186_32:                             ;   in Loop: Header=BB186_29 Depth=1
	s_or_b32 exec_lo, exec_lo, s6
	global_load_b128 v[13:16], v[21:22], off offset:1536
	s_and_saveexec_b32 s6, vcc_lo
	s_cbranch_execnz .LBB186_48
.LBB186_33:                             ;   in Loop: Header=BB186_29 Depth=1
	s_or_b32 exec_lo, exec_lo, s6
	global_load_b128 v[17:20], v[21:22], off offset:2048
	s_and_saveexec_b32 s6, vcc_lo
	s_cbranch_execnz .LBB186_49
.LBB186_34:                             ;   in Loop: Header=BB186_29 Depth=1
	s_or_b32 exec_lo, exec_lo, s6
	global_load_b128 v[25:28], v[21:22], off offset:2560
	s_and_saveexec_b32 s6, vcc_lo
	s_cbranch_execnz .LBB186_50
.LBB186_35:                             ;   in Loop: Header=BB186_29 Depth=1
	s_or_b32 exec_lo, exec_lo, s6
	global_load_b128 v[29:32], v[21:22], off offset:3072
	s_and_saveexec_b32 s6, vcc_lo
	s_cbranch_execnz .LBB186_51
.LBB186_36:                             ;   in Loop: Header=BB186_29 Depth=1
	s_or_b32 exec_lo, exec_lo, s6
	global_load_b128 v[33:36], v[21:22], off offset:3584
	s_and_saveexec_b32 s6, vcc_lo
	s_cbranch_execnz .LBB186_52
.LBB186_37:                             ;   in Loop: Header=BB186_29 Depth=1
	s_or_b32 exec_lo, exec_lo, s6
	global_load_b128 v[37:40], v[21:22], off offset:4096
	s_and_saveexec_b32 s6, vcc_lo
	s_cbranch_execnz .LBB186_53
.LBB186_38:                             ;   in Loop: Header=BB186_29 Depth=1
	s_or_b32 exec_lo, exec_lo, s6
	global_load_b128 v[41:44], v[21:22], off offset:4608
	s_and_saveexec_b32 s6, vcc_lo
	s_cbranch_execnz .LBB186_54
.LBB186_39:                             ;   in Loop: Header=BB186_29 Depth=1
	s_or_b32 exec_lo, exec_lo, s6
	global_load_b128 v[53:56], v[21:22], off offset:5120
	s_and_saveexec_b32 s6, vcc_lo
	s_cbranch_execnz .LBB186_55
.LBB186_40:                             ;   in Loop: Header=BB186_29 Depth=1
	s_or_b32 exec_lo, exec_lo, s6
	global_load_b128 v[57:60], v[21:22], off offset:5632
	s_and_saveexec_b32 s6, vcc_lo
	s_cbranch_execnz .LBB186_56
.LBB186_41:                             ;   in Loop: Header=BB186_29 Depth=1
	s_or_b32 exec_lo, exec_lo, s6
	global_load_b128 v[61:64], v[21:22], off offset:6144
	s_and_saveexec_b32 s6, vcc_lo
	s_cbranch_execnz .LBB186_57
.LBB186_42:                             ;   in Loop: Header=BB186_29 Depth=1
	s_or_b32 exec_lo, exec_lo, s6
	global_load_b128 v[65:68], v[21:22], off offset:6656
	s_and_saveexec_b32 s6, vcc_lo
	s_cbranch_execnz .LBB186_58
.LBB186_43:                             ;   in Loop: Header=BB186_29 Depth=1
	s_or_b32 exec_lo, exec_lo, s6
	global_load_b128 v[69:72], v[21:22], off offset:7168
	s_and_saveexec_b32 s6, vcc_lo
	s_cbranch_execnz .LBB186_59
.LBB186_44:                             ;   in Loop: Header=BB186_29 Depth=1
	s_or_b32 exec_lo, exec_lo, s6
	global_load_b128 v[21:24], v[21:22], off offset:7680
	s_and_saveexec_b32 s0, vcc_lo
	s_cbranch_execz .LBB186_28
	s_branch .LBB186_60
.LBB186_45:                             ;   in Loop: Header=BB186_29 Depth=1
	v_cmp_gt_i32_e64 s0, s25, v99
	s_wait_loadcnt 0x0
	v_lshrrev_b32_e32 v0, 16, v1
	v_lshrrev_b32_e32 v5, 16, v2
	;; [unrolled: 1-line block ×4, first 2 shown]
	s_wait_alu 0xf1ff
	v_cndmask_b32_e64 v1, 0, v1, s0
	v_cmp_gt_i32_e64 s0, s5, v106
	s_wait_alu 0xf1ff
	s_delay_alu instid0(VALU_DEP_1) | instskip(SKIP_1) | instid1(VALU_DEP_2)
	v_cndmask_b32_e64 v0, 0, v0, s0
	v_cmp_gt_i32_e64 s0, s25, v107
	v_perm_b32 v1, v0, v1, 0x5040100
	s_wait_alu 0xf1ff
	s_delay_alu instid0(VALU_DEP_2) | instskip(SKIP_2) | instid1(VALU_DEP_1)
	v_cndmask_b32_e64 v2, 0, v2, s0
	v_cmp_gt_i32_e64 s0, s5, v105
	s_wait_alu 0xf1ff
	v_cndmask_b32_e64 v5, 0, v5, s0
	v_cmp_gt_i32_e64 s0, s25, v104
	s_delay_alu instid0(VALU_DEP_2) | instskip(SKIP_1) | instid1(VALU_DEP_2)
	v_perm_b32 v2, v5, v2, 0x5040100
	s_wait_alu 0xf1ff
	v_cndmask_b32_e64 v3, 0, v3, s0
	v_cmp_gt_i32_e64 s0, s5, v102
	s_wait_alu 0xf1ff
	s_delay_alu instid0(VALU_DEP_1) | instskip(SKIP_1) | instid1(VALU_DEP_2)
	v_cndmask_b32_e64 v6, 0, v6, s0
	v_cmp_gt_i32_e64 s0, s25, v103
	v_perm_b32 v3, v6, v3, 0x5040100
	s_wait_alu 0xf1ff
	s_delay_alu instid0(VALU_DEP_2) | instskip(SKIP_2) | instid1(VALU_DEP_1)
	v_cndmask_b32_e64 v4, 0, v4, s0
	v_cmp_gt_i32_e64 s0, s5, v101
	s_wait_alu 0xf1ff
	v_cndmask_b32_e64 v7, 0, v7, s0
	s_delay_alu instid0(VALU_DEP_1)
	v_perm_b32 v4, v7, v4, 0x5040100
	s_or_b32 exec_lo, exec_lo, s6
	global_load_b128 v[5:8], v[21:22], off offset:512
	s_and_saveexec_b32 s6, vcc_lo
	s_cbranch_execz .LBB186_31
.LBB186_46:                             ;   in Loop: Header=BB186_29 Depth=1
	v_cmp_gt_i32_e64 s0, s25, v99
	s_wait_loadcnt 0x0
	v_lshrrev_b32_e32 v0, 16, v5
	v_lshrrev_b32_e32 v9, 16, v6
	;; [unrolled: 1-line block ×4, first 2 shown]
	s_wait_alu 0xf1ff
	v_cndmask_b32_e64 v5, 0, v5, s0
	v_cmp_gt_i32_e64 s0, s5, v106
	s_wait_alu 0xf1ff
	s_delay_alu instid0(VALU_DEP_1) | instskip(SKIP_1) | instid1(VALU_DEP_2)
	v_cndmask_b32_e64 v0, 0, v0, s0
	v_cmp_gt_i32_e64 s0, s25, v107
	v_perm_b32 v5, v0, v5, 0x5040100
	s_wait_alu 0xf1ff
	s_delay_alu instid0(VALU_DEP_2) | instskip(SKIP_2) | instid1(VALU_DEP_1)
	v_cndmask_b32_e64 v6, 0, v6, s0
	v_cmp_gt_i32_e64 s0, s5, v105
	s_wait_alu 0xf1ff
	v_cndmask_b32_e64 v9, 0, v9, s0
	v_cmp_gt_i32_e64 s0, s25, v104
	s_delay_alu instid0(VALU_DEP_2) | instskip(SKIP_1) | instid1(VALU_DEP_2)
	v_perm_b32 v6, v9, v6, 0x5040100
	s_wait_alu 0xf1ff
	v_cndmask_b32_e64 v7, 0, v7, s0
	v_cmp_gt_i32_e64 s0, s5, v102
	s_wait_alu 0xf1ff
	s_delay_alu instid0(VALU_DEP_1) | instskip(SKIP_1) | instid1(VALU_DEP_2)
	v_cndmask_b32_e64 v10, 0, v10, s0
	v_cmp_gt_i32_e64 s0, s25, v103
	v_perm_b32 v7, v10, v7, 0x5040100
	s_wait_alu 0xf1ff
	s_delay_alu instid0(VALU_DEP_2) | instskip(SKIP_2) | instid1(VALU_DEP_1)
	v_cndmask_b32_e64 v8, 0, v8, s0
	v_cmp_gt_i32_e64 s0, s5, v101
	s_wait_alu 0xf1ff
	v_cndmask_b32_e64 v11, 0, v11, s0
	s_delay_alu instid0(VALU_DEP_1)
	v_perm_b32 v8, v11, v8, 0x5040100
	s_or_b32 exec_lo, exec_lo, s6
	global_load_b128 v[9:12], v[21:22], off offset:1024
	s_and_saveexec_b32 s6, vcc_lo
	s_cbranch_execz .LBB186_32
.LBB186_47:                             ;   in Loop: Header=BB186_29 Depth=1
	v_cmp_gt_i32_e64 s0, s25, v99
	s_wait_loadcnt 0x0
	v_lshrrev_b32_e32 v0, 16, v9
	v_lshrrev_b32_e32 v13, 16, v10
	;; [unrolled: 1-line block ×4, first 2 shown]
	s_wait_alu 0xf1ff
	v_cndmask_b32_e64 v9, 0, v9, s0
	v_cmp_gt_i32_e64 s0, s5, v106
	s_wait_alu 0xf1ff
	s_delay_alu instid0(VALU_DEP_1) | instskip(SKIP_1) | instid1(VALU_DEP_2)
	v_cndmask_b32_e64 v0, 0, v0, s0
	v_cmp_gt_i32_e64 s0, s25, v107
	v_perm_b32 v9, v0, v9, 0x5040100
	s_wait_alu 0xf1ff
	s_delay_alu instid0(VALU_DEP_2) | instskip(SKIP_2) | instid1(VALU_DEP_1)
	v_cndmask_b32_e64 v10, 0, v10, s0
	v_cmp_gt_i32_e64 s0, s5, v105
	s_wait_alu 0xf1ff
	v_cndmask_b32_e64 v13, 0, v13, s0
	v_cmp_gt_i32_e64 s0, s25, v104
	s_delay_alu instid0(VALU_DEP_2) | instskip(SKIP_1) | instid1(VALU_DEP_2)
	v_perm_b32 v10, v13, v10, 0x5040100
	s_wait_alu 0xf1ff
	v_cndmask_b32_e64 v11, 0, v11, s0
	v_cmp_gt_i32_e64 s0, s5, v102
	s_wait_alu 0xf1ff
	s_delay_alu instid0(VALU_DEP_1) | instskip(SKIP_1) | instid1(VALU_DEP_2)
	v_cndmask_b32_e64 v14, 0, v14, s0
	v_cmp_gt_i32_e64 s0, s25, v103
	v_perm_b32 v11, v14, v11, 0x5040100
	s_wait_alu 0xf1ff
	s_delay_alu instid0(VALU_DEP_2) | instskip(SKIP_2) | instid1(VALU_DEP_1)
	v_cndmask_b32_e64 v12, 0, v12, s0
	v_cmp_gt_i32_e64 s0, s5, v101
	s_wait_alu 0xf1ff
	v_cndmask_b32_e64 v15, 0, v15, s0
	s_delay_alu instid0(VALU_DEP_1)
	v_perm_b32 v12, v15, v12, 0x5040100
	s_or_b32 exec_lo, exec_lo, s6
	global_load_b128 v[13:16], v[21:22], off offset:1536
	s_and_saveexec_b32 s6, vcc_lo
	s_cbranch_execz .LBB186_33
.LBB186_48:                             ;   in Loop: Header=BB186_29 Depth=1
	v_cmp_gt_i32_e64 s0, s25, v99
	s_wait_loadcnt 0x0
	v_lshrrev_b32_e32 v0, 16, v13
	v_lshrrev_b32_e32 v17, 16, v14
	;; [unrolled: 1-line block ×4, first 2 shown]
	s_wait_alu 0xf1ff
	v_cndmask_b32_e64 v13, 0, v13, s0
	v_cmp_gt_i32_e64 s0, s5, v106
	s_wait_alu 0xf1ff
	s_delay_alu instid0(VALU_DEP_1) | instskip(SKIP_1) | instid1(VALU_DEP_2)
	v_cndmask_b32_e64 v0, 0, v0, s0
	v_cmp_gt_i32_e64 s0, s25, v107
	v_perm_b32 v13, v0, v13, 0x5040100
	s_wait_alu 0xf1ff
	s_delay_alu instid0(VALU_DEP_2) | instskip(SKIP_2) | instid1(VALU_DEP_1)
	v_cndmask_b32_e64 v14, 0, v14, s0
	v_cmp_gt_i32_e64 s0, s5, v105
	s_wait_alu 0xf1ff
	v_cndmask_b32_e64 v17, 0, v17, s0
	v_cmp_gt_i32_e64 s0, s25, v104
	s_delay_alu instid0(VALU_DEP_2) | instskip(SKIP_1) | instid1(VALU_DEP_2)
	v_perm_b32 v14, v17, v14, 0x5040100
	s_wait_alu 0xf1ff
	v_cndmask_b32_e64 v15, 0, v15, s0
	v_cmp_gt_i32_e64 s0, s5, v102
	s_wait_alu 0xf1ff
	s_delay_alu instid0(VALU_DEP_1) | instskip(SKIP_1) | instid1(VALU_DEP_2)
	v_cndmask_b32_e64 v18, 0, v18, s0
	v_cmp_gt_i32_e64 s0, s25, v103
	v_perm_b32 v15, v18, v15, 0x5040100
	s_wait_alu 0xf1ff
	s_delay_alu instid0(VALU_DEP_2) | instskip(SKIP_2) | instid1(VALU_DEP_1)
	v_cndmask_b32_e64 v16, 0, v16, s0
	v_cmp_gt_i32_e64 s0, s5, v101
	s_wait_alu 0xf1ff
	v_cndmask_b32_e64 v19, 0, v19, s0
	s_delay_alu instid0(VALU_DEP_1)
	v_perm_b32 v16, v19, v16, 0x5040100
	s_or_b32 exec_lo, exec_lo, s6
	global_load_b128 v[17:20], v[21:22], off offset:2048
	s_and_saveexec_b32 s6, vcc_lo
	s_cbranch_execz .LBB186_34
.LBB186_49:                             ;   in Loop: Header=BB186_29 Depth=1
	v_cmp_gt_i32_e64 s0, s25, v99
	s_wait_loadcnt 0x0
	v_lshrrev_b32_e32 v0, 16, v17
	v_lshrrev_b32_e32 v23, 16, v18
	;; [unrolled: 1-line block ×4, first 2 shown]
	s_wait_alu 0xf1ff
	v_cndmask_b32_e64 v17, 0, v17, s0
	v_cmp_gt_i32_e64 s0, s5, v106
	s_wait_alu 0xf1ff
	s_delay_alu instid0(VALU_DEP_1) | instskip(SKIP_1) | instid1(VALU_DEP_2)
	v_cndmask_b32_e64 v0, 0, v0, s0
	v_cmp_gt_i32_e64 s0, s25, v107
	v_perm_b32 v17, v0, v17, 0x5040100
	s_wait_alu 0xf1ff
	s_delay_alu instid0(VALU_DEP_2) | instskip(SKIP_2) | instid1(VALU_DEP_1)
	v_cndmask_b32_e64 v18, 0, v18, s0
	v_cmp_gt_i32_e64 s0, s5, v105
	s_wait_alu 0xf1ff
	v_cndmask_b32_e64 v23, 0, v23, s0
	v_cmp_gt_i32_e64 s0, s25, v104
	s_delay_alu instid0(VALU_DEP_2) | instskip(SKIP_1) | instid1(VALU_DEP_2)
	v_perm_b32 v18, v23, v18, 0x5040100
	s_wait_alu 0xf1ff
	v_cndmask_b32_e64 v19, 0, v19, s0
	v_cmp_gt_i32_e64 s0, s5, v102
	s_wait_alu 0xf1ff
	s_delay_alu instid0(VALU_DEP_1) | instskip(SKIP_1) | instid1(VALU_DEP_2)
	v_cndmask_b32_e64 v24, 0, v24, s0
	v_cmp_gt_i32_e64 s0, s25, v103
	v_perm_b32 v19, v24, v19, 0x5040100
	s_wait_alu 0xf1ff
	s_delay_alu instid0(VALU_DEP_2) | instskip(SKIP_2) | instid1(VALU_DEP_1)
	v_cndmask_b32_e64 v20, 0, v20, s0
	v_cmp_gt_i32_e64 s0, s5, v101
	s_wait_alu 0xf1ff
	v_cndmask_b32_e64 v25, 0, v25, s0
	s_delay_alu instid0(VALU_DEP_1)
	v_perm_b32 v20, v25, v20, 0x5040100
	s_or_b32 exec_lo, exec_lo, s6
	global_load_b128 v[25:28], v[21:22], off offset:2560
	s_and_saveexec_b32 s6, vcc_lo
	s_cbranch_execz .LBB186_35
.LBB186_50:                             ;   in Loop: Header=BB186_29 Depth=1
	v_cmp_gt_i32_e64 s0, s25, v99
	s_wait_loadcnt 0x0
	v_lshrrev_b32_e32 v0, 16, v25
	v_lshrrev_b32_e32 v24, 16, v26
	;; [unrolled: 1-line block ×3, first 2 shown]
	s_wait_alu 0xf1ff
	v_cndmask_b32_e64 v23, 0, v25, s0
	v_cmp_gt_i32_e64 s0, s5, v106
	v_lshrrev_b32_e32 v25, 16, v27
	s_wait_alu 0xf1ff
	s_delay_alu instid0(VALU_DEP_2) | instskip(SKIP_2) | instid1(VALU_DEP_1)
	v_cndmask_b32_e64 v0, 0, v0, s0
	v_cmp_gt_i32_e64 s0, s25, v107
	s_wait_alu 0xf1ff
	v_cndmask_b32_e64 v26, 0, v26, s0
	v_cmp_gt_i32_e64 s0, s5, v105
	s_wait_alu 0xf1ff
	s_delay_alu instid0(VALU_DEP_1) | instskip(SKIP_1) | instid1(VALU_DEP_2)
	v_cndmask_b32_e64 v24, 0, v24, s0
	v_cmp_gt_i32_e64 s0, s25, v104
	v_perm_b32 v26, v24, v26, 0x5040100
	s_wait_alu 0xf1ff
	s_delay_alu instid0(VALU_DEP_2) | instskip(SKIP_2) | instid1(VALU_DEP_1)
	v_cndmask_b32_e64 v27, 0, v27, s0
	v_cmp_gt_i32_e64 s0, s5, v102
	s_wait_alu 0xf1ff
	v_cndmask_b32_e64 v30, 0, v25, s0
	v_cmp_gt_i32_e64 s0, s25, v103
	v_perm_b32 v25, v0, v23, 0x5040100
	s_delay_alu instid0(VALU_DEP_3) | instskip(SKIP_1) | instid1(VALU_DEP_3)
	v_perm_b32 v27, v30, v27, 0x5040100
	s_wait_alu 0xf1ff
	v_cndmask_b32_e64 v28, 0, v28, s0
	v_cmp_gt_i32_e64 s0, s5, v101
	s_wait_alu 0xf1ff
	s_delay_alu instid0(VALU_DEP_1) | instskip(NEXT) | instid1(VALU_DEP_1)
	v_cndmask_b32_e64 v29, 0, v29, s0
	v_perm_b32 v28, v29, v28, 0x5040100
	s_or_b32 exec_lo, exec_lo, s6
	global_load_b128 v[29:32], v[21:22], off offset:3072
	s_and_saveexec_b32 s6, vcc_lo
	s_cbranch_execz .LBB186_36
.LBB186_51:                             ;   in Loop: Header=BB186_29 Depth=1
	v_cmp_gt_i32_e64 s0, s25, v99
	s_wait_loadcnt 0x0
	v_lshrrev_b32_e32 v0, 16, v29
	v_lshrrev_b32_e32 v24, 16, v30
	;; [unrolled: 1-line block ×3, first 2 shown]
	s_wait_alu 0xf1ff
	v_cndmask_b32_e64 v23, 0, v29, s0
	v_cmp_gt_i32_e64 s0, s5, v106
	v_lshrrev_b32_e32 v29, 16, v31
	s_wait_alu 0xf1ff
	s_delay_alu instid0(VALU_DEP_2) | instskip(SKIP_2) | instid1(VALU_DEP_1)
	v_cndmask_b32_e64 v0, 0, v0, s0
	v_cmp_gt_i32_e64 s0, s25, v107
	s_wait_alu 0xf1ff
	v_cndmask_b32_e64 v30, 0, v30, s0
	v_cmp_gt_i32_e64 s0, s5, v105
	s_wait_alu 0xf1ff
	s_delay_alu instid0(VALU_DEP_1) | instskip(SKIP_1) | instid1(VALU_DEP_2)
	v_cndmask_b32_e64 v24, 0, v24, s0
	v_cmp_gt_i32_e64 s0, s25, v104
	v_perm_b32 v30, v24, v30, 0x5040100
	s_wait_alu 0xf1ff
	s_delay_alu instid0(VALU_DEP_2) | instskip(SKIP_2) | instid1(VALU_DEP_1)
	v_cndmask_b32_e64 v31, 0, v31, s0
	v_cmp_gt_i32_e64 s0, s5, v102
	s_wait_alu 0xf1ff
	v_cndmask_b32_e64 v34, 0, v29, s0
	v_cmp_gt_i32_e64 s0, s25, v103
	v_perm_b32 v29, v0, v23, 0x5040100
	s_delay_alu instid0(VALU_DEP_3) | instskip(SKIP_1) | instid1(VALU_DEP_3)
	v_perm_b32 v31, v34, v31, 0x5040100
	s_wait_alu 0xf1ff
	v_cndmask_b32_e64 v32, 0, v32, s0
	v_cmp_gt_i32_e64 s0, s5, v101
	s_wait_alu 0xf1ff
	s_delay_alu instid0(VALU_DEP_1) | instskip(NEXT) | instid1(VALU_DEP_1)
	v_cndmask_b32_e64 v33, 0, v33, s0
	v_perm_b32 v32, v33, v32, 0x5040100
	s_or_b32 exec_lo, exec_lo, s6
	global_load_b128 v[33:36], v[21:22], off offset:3584
	s_and_saveexec_b32 s6, vcc_lo
	s_cbranch_execz .LBB186_37
.LBB186_52:                             ;   in Loop: Header=BB186_29 Depth=1
	v_cmp_gt_i32_e64 s0, s25, v99
	s_wait_loadcnt 0x0
	v_lshrrev_b32_e32 v0, 16, v33
	v_lshrrev_b32_e32 v24, 16, v34
	;; [unrolled: 1-line block ×3, first 2 shown]
	s_wait_alu 0xf1ff
	v_cndmask_b32_e64 v23, 0, v33, s0
	v_cmp_gt_i32_e64 s0, s5, v106
	v_lshrrev_b32_e32 v33, 16, v35
	s_wait_alu 0xf1ff
	s_delay_alu instid0(VALU_DEP_2) | instskip(SKIP_2) | instid1(VALU_DEP_1)
	v_cndmask_b32_e64 v0, 0, v0, s0
	v_cmp_gt_i32_e64 s0, s25, v107
	s_wait_alu 0xf1ff
	v_cndmask_b32_e64 v34, 0, v34, s0
	v_cmp_gt_i32_e64 s0, s5, v105
	s_wait_alu 0xf1ff
	s_delay_alu instid0(VALU_DEP_1) | instskip(SKIP_1) | instid1(VALU_DEP_2)
	v_cndmask_b32_e64 v24, 0, v24, s0
	v_cmp_gt_i32_e64 s0, s25, v104
	v_perm_b32 v34, v24, v34, 0x5040100
	s_wait_alu 0xf1ff
	s_delay_alu instid0(VALU_DEP_2) | instskip(SKIP_2) | instid1(VALU_DEP_1)
	v_cndmask_b32_e64 v35, 0, v35, s0
	v_cmp_gt_i32_e64 s0, s5, v102
	s_wait_alu 0xf1ff
	v_cndmask_b32_e64 v38, 0, v33, s0
	v_cmp_gt_i32_e64 s0, s25, v103
	v_perm_b32 v33, v0, v23, 0x5040100
	s_delay_alu instid0(VALU_DEP_3) | instskip(SKIP_1) | instid1(VALU_DEP_3)
	v_perm_b32 v35, v38, v35, 0x5040100
	s_wait_alu 0xf1ff
	v_cndmask_b32_e64 v36, 0, v36, s0
	v_cmp_gt_i32_e64 s0, s5, v101
	s_wait_alu 0xf1ff
	s_delay_alu instid0(VALU_DEP_1) | instskip(NEXT) | instid1(VALU_DEP_1)
	v_cndmask_b32_e64 v37, 0, v37, s0
	v_perm_b32 v36, v37, v36, 0x5040100
	s_or_b32 exec_lo, exec_lo, s6
	global_load_b128 v[37:40], v[21:22], off offset:4096
	s_and_saveexec_b32 s6, vcc_lo
	s_cbranch_execz .LBB186_38
.LBB186_53:                             ;   in Loop: Header=BB186_29 Depth=1
	v_cmp_gt_i32_e64 s0, s25, v99
	s_wait_loadcnt 0x0
	v_lshrrev_b32_e32 v0, 16, v37
	v_lshrrev_b32_e32 v24, 16, v38
	;; [unrolled: 1-line block ×3, first 2 shown]
	s_wait_alu 0xf1ff
	v_cndmask_b32_e64 v23, 0, v37, s0
	v_cmp_gt_i32_e64 s0, s5, v106
	v_lshrrev_b32_e32 v37, 16, v39
	s_wait_alu 0xf1ff
	s_delay_alu instid0(VALU_DEP_2) | instskip(SKIP_2) | instid1(VALU_DEP_1)
	v_cndmask_b32_e64 v0, 0, v0, s0
	v_cmp_gt_i32_e64 s0, s25, v107
	s_wait_alu 0xf1ff
	v_cndmask_b32_e64 v38, 0, v38, s0
	v_cmp_gt_i32_e64 s0, s5, v105
	s_wait_alu 0xf1ff
	s_delay_alu instid0(VALU_DEP_1) | instskip(SKIP_1) | instid1(VALU_DEP_2)
	v_cndmask_b32_e64 v24, 0, v24, s0
	v_cmp_gt_i32_e64 s0, s25, v104
	v_perm_b32 v38, v24, v38, 0x5040100
	s_wait_alu 0xf1ff
	s_delay_alu instid0(VALU_DEP_2) | instskip(SKIP_2) | instid1(VALU_DEP_1)
	v_cndmask_b32_e64 v39, 0, v39, s0
	v_cmp_gt_i32_e64 s0, s5, v102
	s_wait_alu 0xf1ff
	v_cndmask_b32_e64 v42, 0, v37, s0
	v_cmp_gt_i32_e64 s0, s25, v103
	v_perm_b32 v37, v0, v23, 0x5040100
	s_delay_alu instid0(VALU_DEP_3) | instskip(SKIP_1) | instid1(VALU_DEP_3)
	v_perm_b32 v39, v42, v39, 0x5040100
	s_wait_alu 0xf1ff
	v_cndmask_b32_e64 v40, 0, v40, s0
	v_cmp_gt_i32_e64 s0, s5, v101
	s_wait_alu 0xf1ff
	s_delay_alu instid0(VALU_DEP_1) | instskip(NEXT) | instid1(VALU_DEP_1)
	v_cndmask_b32_e64 v41, 0, v41, s0
	v_perm_b32 v40, v41, v40, 0x5040100
	s_or_b32 exec_lo, exec_lo, s6
	global_load_b128 v[41:44], v[21:22], off offset:4608
	s_and_saveexec_b32 s6, vcc_lo
	s_cbranch_execz .LBB186_39
.LBB186_54:                             ;   in Loop: Header=BB186_29 Depth=1
	v_cmp_gt_i32_e64 s0, s25, v99
	s_wait_loadcnt 0x0
	v_lshrrev_b32_e32 v0, 16, v41
	v_lshrrev_b32_e32 v24, 16, v42
	;; [unrolled: 1-line block ×3, first 2 shown]
	s_wait_alu 0xf1ff
	v_cndmask_b32_e64 v23, 0, v41, s0
	v_cmp_gt_i32_e64 s0, s5, v106
	v_lshrrev_b32_e32 v41, 16, v43
	s_wait_alu 0xf1ff
	s_delay_alu instid0(VALU_DEP_2) | instskip(SKIP_2) | instid1(VALU_DEP_1)
	v_cndmask_b32_e64 v0, 0, v0, s0
	v_cmp_gt_i32_e64 s0, s25, v107
	s_wait_alu 0xf1ff
	v_cndmask_b32_e64 v42, 0, v42, s0
	v_cmp_gt_i32_e64 s0, s5, v105
	s_wait_alu 0xf1ff
	s_delay_alu instid0(VALU_DEP_1) | instskip(SKIP_1) | instid1(VALU_DEP_2)
	v_cndmask_b32_e64 v24, 0, v24, s0
	v_cmp_gt_i32_e64 s0, s25, v104
	v_perm_b32 v42, v24, v42, 0x5040100
	s_wait_alu 0xf1ff
	s_delay_alu instid0(VALU_DEP_2) | instskip(SKIP_2) | instid1(VALU_DEP_1)
	v_cndmask_b32_e64 v43, 0, v43, s0
	v_cmp_gt_i32_e64 s0, s5, v102
	s_wait_alu 0xf1ff
	v_cndmask_b32_e64 v54, 0, v41, s0
	v_cmp_gt_i32_e64 s0, s25, v103
	v_perm_b32 v41, v0, v23, 0x5040100
	s_delay_alu instid0(VALU_DEP_3) | instskip(SKIP_1) | instid1(VALU_DEP_3)
	v_perm_b32 v43, v54, v43, 0x5040100
	s_wait_alu 0xf1ff
	v_cndmask_b32_e64 v44, 0, v44, s0
	v_cmp_gt_i32_e64 s0, s5, v101
	s_wait_alu 0xf1ff
	s_delay_alu instid0(VALU_DEP_1) | instskip(NEXT) | instid1(VALU_DEP_1)
	v_cndmask_b32_e64 v53, 0, v53, s0
	v_perm_b32 v44, v53, v44, 0x5040100
	s_or_b32 exec_lo, exec_lo, s6
	global_load_b128 v[53:56], v[21:22], off offset:5120
	s_and_saveexec_b32 s6, vcc_lo
	s_cbranch_execz .LBB186_40
.LBB186_55:                             ;   in Loop: Header=BB186_29 Depth=1
	v_cmp_gt_i32_e64 s0, s25, v99
	s_wait_loadcnt 0x0
	v_lshrrev_b32_e32 v0, 16, v53
	v_lshrrev_b32_e32 v24, 16, v54
	;; [unrolled: 1-line block ×3, first 2 shown]
	s_wait_alu 0xf1ff
	v_cndmask_b32_e64 v23, 0, v53, s0
	v_cmp_gt_i32_e64 s0, s5, v106
	v_lshrrev_b32_e32 v53, 16, v55
	s_wait_alu 0xf1ff
	s_delay_alu instid0(VALU_DEP_2) | instskip(SKIP_2) | instid1(VALU_DEP_1)
	v_cndmask_b32_e64 v0, 0, v0, s0
	v_cmp_gt_i32_e64 s0, s25, v107
	s_wait_alu 0xf1ff
	v_cndmask_b32_e64 v54, 0, v54, s0
	v_cmp_gt_i32_e64 s0, s5, v105
	s_wait_alu 0xf1ff
	s_delay_alu instid0(VALU_DEP_1) | instskip(SKIP_1) | instid1(VALU_DEP_2)
	v_cndmask_b32_e64 v24, 0, v24, s0
	v_cmp_gt_i32_e64 s0, s25, v104
	v_perm_b32 v54, v24, v54, 0x5040100
	s_wait_alu 0xf1ff
	s_delay_alu instid0(VALU_DEP_2) | instskip(SKIP_2) | instid1(VALU_DEP_1)
	v_cndmask_b32_e64 v55, 0, v55, s0
	v_cmp_gt_i32_e64 s0, s5, v102
	s_wait_alu 0xf1ff
	v_cndmask_b32_e64 v58, 0, v53, s0
	v_cmp_gt_i32_e64 s0, s25, v103
	v_perm_b32 v53, v0, v23, 0x5040100
	s_delay_alu instid0(VALU_DEP_3) | instskip(SKIP_1) | instid1(VALU_DEP_3)
	v_perm_b32 v55, v58, v55, 0x5040100
	s_wait_alu 0xf1ff
	v_cndmask_b32_e64 v56, 0, v56, s0
	v_cmp_gt_i32_e64 s0, s5, v101
	s_wait_alu 0xf1ff
	s_delay_alu instid0(VALU_DEP_1) | instskip(NEXT) | instid1(VALU_DEP_1)
	v_cndmask_b32_e64 v57, 0, v57, s0
	v_perm_b32 v56, v57, v56, 0x5040100
	s_or_b32 exec_lo, exec_lo, s6
	global_load_b128 v[57:60], v[21:22], off offset:5632
	s_and_saveexec_b32 s6, vcc_lo
	s_cbranch_execz .LBB186_41
.LBB186_56:                             ;   in Loop: Header=BB186_29 Depth=1
	v_cmp_gt_i32_e64 s0, s25, v99
	s_wait_loadcnt 0x0
	v_lshrrev_b32_e32 v0, 16, v57
	v_lshrrev_b32_e32 v24, 16, v58
	;; [unrolled: 1-line block ×3, first 2 shown]
	s_wait_alu 0xf1ff
	v_cndmask_b32_e64 v23, 0, v57, s0
	v_cmp_gt_i32_e64 s0, s5, v106
	v_lshrrev_b32_e32 v57, 16, v59
	s_wait_alu 0xf1ff
	s_delay_alu instid0(VALU_DEP_2) | instskip(SKIP_2) | instid1(VALU_DEP_1)
	v_cndmask_b32_e64 v0, 0, v0, s0
	v_cmp_gt_i32_e64 s0, s25, v107
	s_wait_alu 0xf1ff
	v_cndmask_b32_e64 v58, 0, v58, s0
	v_cmp_gt_i32_e64 s0, s5, v105
	s_wait_alu 0xf1ff
	s_delay_alu instid0(VALU_DEP_1) | instskip(SKIP_1) | instid1(VALU_DEP_2)
	v_cndmask_b32_e64 v24, 0, v24, s0
	v_cmp_gt_i32_e64 s0, s25, v104
	v_perm_b32 v58, v24, v58, 0x5040100
	s_wait_alu 0xf1ff
	s_delay_alu instid0(VALU_DEP_2) | instskip(SKIP_2) | instid1(VALU_DEP_1)
	v_cndmask_b32_e64 v59, 0, v59, s0
	v_cmp_gt_i32_e64 s0, s5, v102
	s_wait_alu 0xf1ff
	v_cndmask_b32_e64 v62, 0, v57, s0
	v_cmp_gt_i32_e64 s0, s25, v103
	v_perm_b32 v57, v0, v23, 0x5040100
	s_delay_alu instid0(VALU_DEP_3) | instskip(SKIP_1) | instid1(VALU_DEP_3)
	v_perm_b32 v59, v62, v59, 0x5040100
	s_wait_alu 0xf1ff
	v_cndmask_b32_e64 v60, 0, v60, s0
	v_cmp_gt_i32_e64 s0, s5, v101
	s_wait_alu 0xf1ff
	s_delay_alu instid0(VALU_DEP_1) | instskip(NEXT) | instid1(VALU_DEP_1)
	v_cndmask_b32_e64 v61, 0, v61, s0
	v_perm_b32 v60, v61, v60, 0x5040100
	s_or_b32 exec_lo, exec_lo, s6
	global_load_b128 v[61:64], v[21:22], off offset:6144
	s_and_saveexec_b32 s6, vcc_lo
	s_cbranch_execz .LBB186_42
.LBB186_57:                             ;   in Loop: Header=BB186_29 Depth=1
	v_cmp_gt_i32_e64 s0, s25, v99
	s_wait_loadcnt 0x0
	v_lshrrev_b32_e32 v0, 16, v61
	v_lshrrev_b32_e32 v24, 16, v62
	;; [unrolled: 1-line block ×3, first 2 shown]
	s_wait_alu 0xf1ff
	v_cndmask_b32_e64 v23, 0, v61, s0
	v_cmp_gt_i32_e64 s0, s5, v106
	v_lshrrev_b32_e32 v61, 16, v63
	s_wait_alu 0xf1ff
	s_delay_alu instid0(VALU_DEP_2) | instskip(SKIP_2) | instid1(VALU_DEP_1)
	v_cndmask_b32_e64 v0, 0, v0, s0
	v_cmp_gt_i32_e64 s0, s25, v107
	s_wait_alu 0xf1ff
	v_cndmask_b32_e64 v62, 0, v62, s0
	v_cmp_gt_i32_e64 s0, s5, v105
	s_wait_alu 0xf1ff
	s_delay_alu instid0(VALU_DEP_1) | instskip(SKIP_1) | instid1(VALU_DEP_2)
	v_cndmask_b32_e64 v24, 0, v24, s0
	v_cmp_gt_i32_e64 s0, s25, v104
	v_perm_b32 v62, v24, v62, 0x5040100
	s_wait_alu 0xf1ff
	s_delay_alu instid0(VALU_DEP_2) | instskip(SKIP_2) | instid1(VALU_DEP_1)
	v_cndmask_b32_e64 v63, 0, v63, s0
	v_cmp_gt_i32_e64 s0, s5, v102
	s_wait_alu 0xf1ff
	v_cndmask_b32_e64 v66, 0, v61, s0
	v_cmp_gt_i32_e64 s0, s25, v103
	v_perm_b32 v61, v0, v23, 0x5040100
	s_delay_alu instid0(VALU_DEP_3) | instskip(SKIP_1) | instid1(VALU_DEP_3)
	v_perm_b32 v63, v66, v63, 0x5040100
	s_wait_alu 0xf1ff
	v_cndmask_b32_e64 v64, 0, v64, s0
	v_cmp_gt_i32_e64 s0, s5, v101
	s_wait_alu 0xf1ff
	s_delay_alu instid0(VALU_DEP_1) | instskip(NEXT) | instid1(VALU_DEP_1)
	v_cndmask_b32_e64 v65, 0, v65, s0
	v_perm_b32 v64, v65, v64, 0x5040100
	s_or_b32 exec_lo, exec_lo, s6
	global_load_b128 v[65:68], v[21:22], off offset:6656
	s_and_saveexec_b32 s6, vcc_lo
	s_cbranch_execz .LBB186_43
.LBB186_58:                             ;   in Loop: Header=BB186_29 Depth=1
	v_cmp_gt_i32_e64 s0, s25, v99
	s_wait_loadcnt 0x0
	v_lshrrev_b32_e32 v0, 16, v65
	v_lshrrev_b32_e32 v24, 16, v66
	;; [unrolled: 1-line block ×3, first 2 shown]
	s_wait_alu 0xf1ff
	v_cndmask_b32_e64 v23, 0, v65, s0
	v_cmp_gt_i32_e64 s0, s5, v106
	v_lshrrev_b32_e32 v65, 16, v67
	s_wait_alu 0xf1ff
	s_delay_alu instid0(VALU_DEP_2) | instskip(SKIP_2) | instid1(VALU_DEP_1)
	v_cndmask_b32_e64 v0, 0, v0, s0
	v_cmp_gt_i32_e64 s0, s25, v107
	s_wait_alu 0xf1ff
	v_cndmask_b32_e64 v66, 0, v66, s0
	v_cmp_gt_i32_e64 s0, s5, v105
	s_wait_alu 0xf1ff
	s_delay_alu instid0(VALU_DEP_1) | instskip(SKIP_1) | instid1(VALU_DEP_2)
	v_cndmask_b32_e64 v24, 0, v24, s0
	v_cmp_gt_i32_e64 s0, s25, v104
	v_perm_b32 v66, v24, v66, 0x5040100
	s_wait_alu 0xf1ff
	s_delay_alu instid0(VALU_DEP_2) | instskip(SKIP_2) | instid1(VALU_DEP_1)
	v_cndmask_b32_e64 v67, 0, v67, s0
	v_cmp_gt_i32_e64 s0, s5, v102
	s_wait_alu 0xf1ff
	v_cndmask_b32_e64 v70, 0, v65, s0
	v_cmp_gt_i32_e64 s0, s25, v103
	v_perm_b32 v65, v0, v23, 0x5040100
	s_delay_alu instid0(VALU_DEP_3) | instskip(SKIP_1) | instid1(VALU_DEP_3)
	v_perm_b32 v67, v70, v67, 0x5040100
	s_wait_alu 0xf1ff
	v_cndmask_b32_e64 v68, 0, v68, s0
	v_cmp_gt_i32_e64 s0, s5, v101
	s_wait_alu 0xf1ff
	s_delay_alu instid0(VALU_DEP_1) | instskip(NEXT) | instid1(VALU_DEP_1)
	v_cndmask_b32_e64 v69, 0, v69, s0
	v_perm_b32 v68, v69, v68, 0x5040100
	s_or_b32 exec_lo, exec_lo, s6
	global_load_b128 v[69:72], v[21:22], off offset:7168
	s_and_saveexec_b32 s6, vcc_lo
	s_cbranch_execz .LBB186_44
.LBB186_59:                             ;   in Loop: Header=BB186_29 Depth=1
	v_cmp_gt_i32_e64 s0, s25, v99
	s_wait_loadcnt 0x0
	v_lshrrev_b32_e32 v0, 16, v69
	v_lshrrev_b32_e32 v24, 16, v70
	;; [unrolled: 1-line block ×3, first 2 shown]
	s_wait_alu 0xf1ff
	v_cndmask_b32_e64 v23, 0, v69, s0
	v_cmp_gt_i32_e64 s0, s5, v106
	v_lshrrev_b32_e32 v69, 16, v71
	s_wait_alu 0xf1ff
	s_delay_alu instid0(VALU_DEP_2) | instskip(SKIP_2) | instid1(VALU_DEP_1)
	v_cndmask_b32_e64 v0, 0, v0, s0
	v_cmp_gt_i32_e64 s0, s25, v107
	s_wait_alu 0xf1ff
	v_cndmask_b32_e64 v70, 0, v70, s0
	v_cmp_gt_i32_e64 s0, s5, v105
	s_wait_alu 0xf1ff
	s_delay_alu instid0(VALU_DEP_1) | instskip(SKIP_1) | instid1(VALU_DEP_2)
	v_cndmask_b32_e64 v24, 0, v24, s0
	v_cmp_gt_i32_e64 s0, s25, v104
	v_perm_b32 v70, v24, v70, 0x5040100
	s_wait_alu 0xf1ff
	s_delay_alu instid0(VALU_DEP_2) | instskip(SKIP_2) | instid1(VALU_DEP_1)
	v_cndmask_b32_e64 v71, 0, v71, s0
	v_cmp_gt_i32_e64 s0, s5, v102
	s_wait_alu 0xf1ff
	v_cndmask_b32_e64 v76, 0, v69, s0
	v_cmp_gt_i32_e64 s0, s25, v103
	v_perm_b32 v69, v0, v23, 0x5040100
	s_delay_alu instid0(VALU_DEP_3) | instskip(SKIP_1) | instid1(VALU_DEP_3)
	v_perm_b32 v71, v76, v71, 0x5040100
	s_wait_alu 0xf1ff
	v_cndmask_b32_e64 v72, 0, v72, s0
	v_cmp_gt_i32_e64 s0, s5, v101
	s_wait_alu 0xf1ff
	s_delay_alu instid0(VALU_DEP_1) | instskip(NEXT) | instid1(VALU_DEP_1)
	v_cndmask_b32_e64 v75, 0, v75, s0
	v_perm_b32 v72, v75, v72, 0x5040100
	s_or_b32 exec_lo, exec_lo, s6
	global_load_b128 v[21:24], v[21:22], off offset:7680
	s_and_saveexec_b32 s0, vcc_lo
	s_cbranch_execz .LBB186_28
.LBB186_60:                             ;   in Loop: Header=BB186_29 Depth=1
	v_cmp_gt_i32_e32 vcc_lo, s25, v99
	s_wait_loadcnt 0x0
	v_lshrrev_b32_e32 v0, 16, v21
	v_lshrrev_b32_e32 v75, 16, v22
	;; [unrolled: 1-line block ×3, first 2 shown]
	s_wait_alu 0xfffd
	v_cndmask_b32_e32 v21, 0, v21, vcc_lo
	v_cmp_gt_i32_e32 vcc_lo, s5, v106
	s_wait_alu 0xfffd
	v_cndmask_b32_e32 v0, 0, v0, vcc_lo
	v_cmp_gt_i32_e32 vcc_lo, s25, v107
	s_delay_alu instid0(VALU_DEP_2)
	v_perm_b32 v21, v0, v21, 0x5040100
	s_wait_alu 0xfffd
	v_cndmask_b32_e32 v22, 0, v22, vcc_lo
	v_cmp_gt_i32_e32 vcc_lo, s5, v105
	s_wait_alu 0xfffd
	v_cndmask_b32_e32 v75, 0, v75, vcc_lo
	v_cmp_gt_i32_e32 vcc_lo, s25, v104
	v_lshrrev_b32_e32 v104, 16, v24
	s_delay_alu instid0(VALU_DEP_3)
	v_perm_b32 v22, v75, v22, 0x5040100
	s_wait_alu 0xfffd
	v_cndmask_b32_e32 v23, 0, v23, vcc_lo
	v_cmp_gt_i32_e32 vcc_lo, s5, v102
	s_wait_alu 0xfffd
	v_cndmask_b32_e32 v76, 0, v76, vcc_lo
	v_cmp_gt_i32_e32 vcc_lo, s25, v103
	s_delay_alu instid0(VALU_DEP_2)
	v_perm_b32 v23, v76, v23, 0x5040100
	s_wait_alu 0xfffd
	v_cndmask_b32_e32 v24, 0, v24, vcc_lo
	v_cmp_gt_i32_e32 vcc_lo, s5, v101
	s_wait_alu 0xfffd
	v_cndmask_b32_e32 v101, 0, v104, vcc_lo
	s_delay_alu instid0(VALU_DEP_1)
	v_perm_b32 v24, v101, v24, 0x5040100
	s_branch .LBB186_28
.LBB186_61:
	s_or_b32 exec_lo, exec_lo, s4
.LBB186_62:
	s_wait_alu 0xfffe
	s_or_b32 exec_lo, exec_lo, s1
	ds_bpermute_b32 v6, v79, v90
	ds_bpermute_b32 v7, v79, v89
	;; [unrolled: 1-line block ×16, first 2 shown]
	s_mov_b32 s0, exec_lo
	s_wait_storecnt 0x0
	s_wait_loadcnt_dscnt 0x0
	s_barrier_signal -1
	s_barrier_wait -1
	v_dual_add_f32 v6, v90, v6 :: v_dual_add_f32 v7, v89, v7
	v_dual_add_f32 v8, v88, v8 :: v_dual_add_f32 v23, v87, v9
	;; [unrolled: 1-line block ×3, first 2 shown]
	ds_bpermute_b32 v9, v78, v7
	v_dual_add_f32 v2, v95, v2 :: v_dual_add_f32 v3, v93, v3
	v_dual_add_f32 v4, v92, v4 :: v_dual_add_f32 v5, v91, v5
	v_add_f32_e32 v26, v85, v11
	ds_bpermute_b32 v17, v78, v1
	ds_bpermute_b32 v19, v78, v3
	;; [unrolled: 1-line block ×4, first 2 shown]
	v_add_f32_e32 v24, v86, v10
	v_add_f32_e32 v28, v84, v12
	;; [unrolled: 1-line block ×4, first 2 shown]
	ds_bpermute_b32 v18, v78, v2
	ds_bpermute_b32 v20, v78, v4
	;; [unrolled: 1-line block ×5, first 2 shown]
	s_wait_dscnt 0x0
	global_inv scope:SCOPE_SE
	v_add_f32_e32 v9, v7, v9
	ds_bpermute_b32 v31, v78, v26
	v_add_f32_e32 v30, v83, v13
	v_add_f32_e32 v15, v1, v17
	ds_bpermute_b32 v29, v78, v24
	v_add_f32_e32 v13, v3, v19
	ds_bpermute_b32 v33, v78, v28
	;; [unrolled: 2-line block ×3, first 2 shown]
	v_lshlrev_b32_e32 v19, 9, v178
	ds_bpermute_b32 v37, v78, v34
	v_add_f32_e32 v16, v0, v16
	v_and_b32_e32 v0, 28, v182
	v_add_f32_e32 v14, v2, v18
	v_add_f32_e32 v10, v6, v22
	v_dual_add_f32 v8, v8, v25 :: v_dual_add_f32 v7, v23, v27
	v_lshrrev_b32_e32 v17, 2, v182
	s_wait_dscnt 0x4
	v_add_f32_e32 v5, v26, v31
	ds_bpermute_b32 v35, v78, v30
	v_add_f32_e32 v12, v4, v20
	v_and_b32_e32 v20, 0x3c3, v108
	s_wait_dscnt 0x4
	v_add_f32_e32 v6, v24, v29
	s_wait_dscnt 0x3
	v_add_f32_e32 v4, v28, v33
	s_wait_dscnt 0x1
	v_dual_add_f32 v2, v32, v36 :: v_dual_add_f32 v3, v34, v37
	s_wait_dscnt 0x0
	v_dual_add_f32 v1, v30, v35 :: v_dual_add_nc_u32 v18, 0x120, v0
	v_cmpx_eq_u32_e32 64, v20
	s_cbranch_execz .LBB186_64
; %bb.63:
	s_delay_alu instid0(VALU_DEP_2) | instskip(NEXT) | instid1(VALU_DEP_1)
	v_add_nc_u32_e32 v0, v18, v19
	v_add_nc_u32_e32 v20, 0xfffffc00, v0
	;; [unrolled: 1-line block ×9, first 2 shown]
	ds_store_b32 v20, v16
	ds_store_b32 v21, v15
	;; [unrolled: 1-line block ×8, first 2 shown]
	v_add_nc_u32_e32 v20, 0xfffffd00, v0
	v_add_nc_u32_e32 v21, 0xfffffd20, v0
	;; [unrolled: 1-line block ×8, first 2 shown]
	ds_store_b32 v20, v8
	ds_store_b32 v21, v7
	;; [unrolled: 1-line block ×8, first 2 shown]
.LBB186_64:
	s_wait_alu 0xfffe
	s_or_b32 exec_lo, exec_lo, s0
	v_lshlrev_b32_e32 v0, 2, v17
	s_mov_b32 s1, exec_lo
	v_cmp_eq_u32_e32 vcc_lo, 0, v80
	s_wait_loadcnt_dscnt 0x0
	s_barrier_signal -1
	v_add3_u32 v17, 0x120, v19, v0
	s_barrier_wait -1
	global_inv scope:SCOPE_SE
	v_cmpx_gt_u32_e32 64, v108
	s_cbranch_execz .LBB186_83
; %bb.65:
	s_and_saveexec_b32 s0, vcc_lo
	s_cbranch_execnz .LBB186_107
; %bb.66:
	s_wait_alu 0xfffe
	s_or_b32 exec_lo, exec_lo, s0
	s_and_saveexec_b32 s0, vcc_lo
	s_cbranch_execnz .LBB186_108
.LBB186_67:
	s_wait_alu 0xfffe
	s_or_b32 exec_lo, exec_lo, s0
	s_and_saveexec_b32 s0, vcc_lo
	s_cbranch_execnz .LBB186_109
.LBB186_68:
	s_wait_alu 0xfffe
	s_or_b32 exec_lo, exec_lo, s0
	s_and_saveexec_b32 s0, vcc_lo
	s_cbranch_execnz .LBB186_110
.LBB186_69:
	s_wait_alu 0xfffe
	s_or_b32 exec_lo, exec_lo, s0
	s_and_saveexec_b32 s0, vcc_lo
	s_cbranch_execnz .LBB186_111
.LBB186_70:
	s_wait_alu 0xfffe
	s_or_b32 exec_lo, exec_lo, s0
	s_and_saveexec_b32 s0, vcc_lo
	s_cbranch_execnz .LBB186_112
.LBB186_71:
	s_wait_alu 0xfffe
	s_or_b32 exec_lo, exec_lo, s0
	s_and_saveexec_b32 s0, vcc_lo
	s_cbranch_execnz .LBB186_113
.LBB186_72:
	s_wait_alu 0xfffe
	s_or_b32 exec_lo, exec_lo, s0
	s_and_saveexec_b32 s0, vcc_lo
	s_cbranch_execnz .LBB186_114
.LBB186_73:
	s_wait_alu 0xfffe
	s_or_b32 exec_lo, exec_lo, s0
	s_and_saveexec_b32 s0, vcc_lo
	s_cbranch_execnz .LBB186_115
.LBB186_74:
	s_wait_alu 0xfffe
	s_or_b32 exec_lo, exec_lo, s0
	s_and_saveexec_b32 s0, vcc_lo
	s_cbranch_execnz .LBB186_116
.LBB186_75:
	s_wait_alu 0xfffe
	s_or_b32 exec_lo, exec_lo, s0
	s_and_saveexec_b32 s0, vcc_lo
	s_cbranch_execnz .LBB186_117
.LBB186_76:
	s_wait_alu 0xfffe
	s_or_b32 exec_lo, exec_lo, s0
	s_and_saveexec_b32 s0, vcc_lo
	s_cbranch_execnz .LBB186_118
.LBB186_77:
	s_wait_alu 0xfffe
	s_or_b32 exec_lo, exec_lo, s0
	s_and_saveexec_b32 s0, vcc_lo
	s_cbranch_execnz .LBB186_119
.LBB186_78:
	s_wait_alu 0xfffe
	s_or_b32 exec_lo, exec_lo, s0
	s_and_saveexec_b32 s0, vcc_lo
	s_cbranch_execnz .LBB186_120
.LBB186_79:
	s_wait_alu 0xfffe
	s_or_b32 exec_lo, exec_lo, s0
	s_and_saveexec_b32 s0, vcc_lo
	s_cbranch_execnz .LBB186_121
.LBB186_80:
	s_wait_alu 0xfffe
	s_or_b32 exec_lo, exec_lo, s0
	s_and_saveexec_b32 s0, vcc_lo
	s_cbranch_execz .LBB186_82
.LBB186_81:
	ds_load_b32 v0, v17 offset:480
	s_wait_dscnt 0x0
	v_add_f32_e32 v3, v3, v0
.LBB186_82:
	s_wait_alu 0xfffe
	s_or_b32 exec_lo, exec_lo, s0
.LBB186_83:
	s_wait_alu 0xfffe
	s_or_b32 exec_lo, exec_lo, s1
	v_and_b32_e32 v19, 0x3e3, v108
	s_mov_b32 s1, exec_lo
	s_wait_loadcnt 0x0
	s_barrier_signal -1
	s_barrier_wait -1
	global_inv scope:SCOPE_SE
	v_cmpx_eq_u32_e32 32, v19
	s_cbranch_execz .LBB186_85
; %bb.84:
	ds_store_2addr_b32 v18, v16, v15 offset1:8
	ds_store_2addr_b32 v18, v14, v13 offset0:16 offset1:24
	ds_store_2addr_b32 v18, v12, v11 offset0:32 offset1:40
	;; [unrolled: 1-line block ×7, first 2 shown]
.LBB186_85:
	s_wait_alu 0xfffe
	s_or_b32 exec_lo, exec_lo, s1
	s_delay_alu instid0(SALU_CYCLE_1)
	s_mov_b32 s1, exec_lo
	s_wait_loadcnt_dscnt 0x0
	s_barrier_signal -1
	s_barrier_wait -1
	global_inv scope:SCOPE_SE
	v_cmpx_gt_u32_e32 32, v108
	s_cbranch_execz .LBB186_104
; %bb.86:
	s_and_saveexec_b32 s0, vcc_lo
	s_cbranch_execnz .LBB186_122
; %bb.87:
	s_wait_alu 0xfffe
	s_or_b32 exec_lo, exec_lo, s0
	s_and_saveexec_b32 s0, vcc_lo
	s_cbranch_execnz .LBB186_123
.LBB186_88:
	s_wait_alu 0xfffe
	s_or_b32 exec_lo, exec_lo, s0
	s_and_saveexec_b32 s0, vcc_lo
	s_cbranch_execnz .LBB186_124
.LBB186_89:
	s_wait_alu 0xfffe
	s_or_b32 exec_lo, exec_lo, s0
	s_and_saveexec_b32 s0, vcc_lo
	s_cbranch_execnz .LBB186_125
.LBB186_90:
	s_wait_alu 0xfffe
	s_or_b32 exec_lo, exec_lo, s0
	s_and_saveexec_b32 s0, vcc_lo
	s_cbranch_execnz .LBB186_126
.LBB186_91:
	s_wait_alu 0xfffe
	s_or_b32 exec_lo, exec_lo, s0
	s_and_saveexec_b32 s0, vcc_lo
	s_cbranch_execnz .LBB186_127
.LBB186_92:
	s_wait_alu 0xfffe
	s_or_b32 exec_lo, exec_lo, s0
	s_and_saveexec_b32 s0, vcc_lo
	s_cbranch_execnz .LBB186_128
.LBB186_93:
	s_wait_alu 0xfffe
	s_or_b32 exec_lo, exec_lo, s0
	s_and_saveexec_b32 s0, vcc_lo
	s_cbranch_execnz .LBB186_129
.LBB186_94:
	s_wait_alu 0xfffe
	s_or_b32 exec_lo, exec_lo, s0
	s_and_saveexec_b32 s0, vcc_lo
	s_cbranch_execnz .LBB186_130
.LBB186_95:
	s_wait_alu 0xfffe
	s_or_b32 exec_lo, exec_lo, s0
	s_and_saveexec_b32 s0, vcc_lo
	s_cbranch_execnz .LBB186_131
.LBB186_96:
	s_wait_alu 0xfffe
	s_or_b32 exec_lo, exec_lo, s0
	s_and_saveexec_b32 s0, vcc_lo
	s_cbranch_execnz .LBB186_132
.LBB186_97:
	s_wait_alu 0xfffe
	s_or_b32 exec_lo, exec_lo, s0
	s_and_saveexec_b32 s0, vcc_lo
	s_cbranch_execnz .LBB186_133
.LBB186_98:
	s_wait_alu 0xfffe
	s_or_b32 exec_lo, exec_lo, s0
	s_and_saveexec_b32 s0, vcc_lo
	s_cbranch_execnz .LBB186_134
.LBB186_99:
	s_wait_alu 0xfffe
	s_or_b32 exec_lo, exec_lo, s0
	s_and_saveexec_b32 s0, vcc_lo
	s_cbranch_execnz .LBB186_135
.LBB186_100:
	s_wait_alu 0xfffe
	s_or_b32 exec_lo, exec_lo, s0
	s_and_saveexec_b32 s0, vcc_lo
	s_cbranch_execnz .LBB186_136
.LBB186_101:
	s_wait_alu 0xfffe
	s_or_b32 exec_lo, exec_lo, s0
	s_and_saveexec_b32 s0, vcc_lo
	s_cbranch_execz .LBB186_103
.LBB186_102:
	ds_load_b32 v0, v17 offset:480
	s_wait_dscnt 0x0
	v_add_f32_e32 v3, v3, v0
.LBB186_103:
	s_wait_alu 0xfffe
	s_or_b32 exec_lo, exec_lo, s0
.LBB186_104:
	s_wait_alu 0xfffe
	s_or_b32 exec_lo, exec_lo, s1
	s_mov_b32 s1, 0
	s_wait_loadcnt 0x0
	s_barrier_signal -1
	s_barrier_wait -1
	global_inv scope:SCOPE_SE
	s_mov_b32 s0, exec_lo
	v_cmpx_eq_u32_e32 0, v19
	s_cbranch_execz .LBB186_106
; %bb.105:
	v_bfe_u32 v0, v16, 16, 1
	v_bfe_u32 v17, v15, 16, 1
	v_or_b32_e32 v19, 0x400000, v16
	v_cmp_u_f32_e32 vcc_lo, v16, v16
	v_or_b32_e32 v20, 0x400000, v15
	v_add3_u32 v0, v0, v16, 0x7fff
	v_add3_u32 v17, v17, v15, 0x7fff
	v_bfe_u32 v21, v14, 16, 1
	v_bfe_u32 v16, v13, 16, 1
	s_lshl_b32 s2, s14, 7
	s_wait_alu 0xfffd
	v_cndmask_b32_e32 v0, v0, v19, vcc_lo
	v_cmp_u_f32_e32 vcc_lo, v15, v15
	v_or_b32_e32 v19, 0x400000, v14
	v_add3_u32 v16, v16, v13, 0x7fff
	s_wait_kmcnt 0x0
	s_mul_i32 s4, s8, s12
	s_wait_alu 0xfffe
	s_ashr_i32 s3, s2, 31
	s_wait_alu 0xfffd
	v_cndmask_b32_e32 v15, v17, v20, vcc_lo
	v_add3_u32 v17, v21, v14, 0x7fff
	v_cmp_u_f32_e32 vcc_lo, v14, v14
	v_bfe_u32 v20, v12, 16, 1
	v_or_b32_e32 v21, 0x400000, v13
	s_ashr_i32 s5, s4, 31
	s_wait_alu 0xfffe
	s_lshl_b64 s[2:3], s[2:3], 1
	s_wait_alu 0xfffd
	v_cndmask_b32_e32 v14, v17, v19, vcc_lo
	v_cmp_u_f32_e32 vcc_lo, v13, v13
	v_add3_u32 v17, v20, v12, 0x7fff
	v_or_b32_e32 v19, 0x400000, v12
	v_bfe_u32 v20, v10, 16, 1
	s_lshl_b64 s[4:5], s[4:5], 1
	s_wait_alu 0xfffd
	v_cndmask_b32_e32 v13, v16, v21, vcc_lo
	v_bfe_u32 v16, v11, 16, 1
	v_cmp_u_f32_e32 vcc_lo, v12, v12
	v_add3_u32 v20, v20, v10, 0x7fff
	v_or_b32_e32 v21, 0x400000, v10
	s_wait_alu 0xfffe
	s_add_nc_u64 s[2:3], s[10:11], s[2:3]
	v_add3_u32 v16, v16, v11, 0x7fff
	s_wait_alu 0xfffd
	v_cndmask_b32_e32 v12, v17, v19, vcc_lo
	v_or_b32_e32 v19, 0x400000, v11
	v_cmp_u_f32_e32 vcc_lo, v11, v11
	v_bfe_u32 v17, v9, 16, 1
	v_or_b32_e32 v22, 0x400000, v9
	v_lshrrev_b32_e32 v18, 1, v108
	s_wait_alu 0xfffe
	s_add_nc_u64 s[2:3], s[2:3], s[4:5]
	s_wait_alu 0xfffd
	v_cndmask_b32_e32 v11, v16, v19, vcc_lo
	v_cmp_u_f32_e32 vcc_lo, v10, v10
	v_add3_u32 v17, v17, v9, 0x7fff
	v_bfe_u32 v16, v8, 16, 1
	s_lshl_b32 s0, s24, 8
	s_wait_alu 0xfffd
	v_cndmask_b32_e32 v10, v20, v21, vcc_lo
	v_cmp_u_f32_e32 vcc_lo, v9, v9
	s_wait_alu 0xfffe
	s_add_nc_u64 s[0:1], s[2:3], s[0:1]
	s_wait_alu 0xfffd
	v_cndmask_b32_e32 v9, v17, v22, vcc_lo
	v_bfe_u32 v17, v7, 16, 1
	s_clause 0x7
	global_store_d16_hi_b16 v18, v0, s[0:1]
	global_store_d16_hi_b16 v18, v15, s[0:1] offset:16
	global_store_d16_hi_b16 v18, v14, s[0:1] offset:32
	;; [unrolled: 1-line block ×7, first 2 shown]
	v_add3_u32 v0, v16, v8, 0x7fff
	v_or_b32_e32 v9, 0x400000, v8
	v_cmp_u_f32_e32 vcc_lo, v8, v8
	v_add3_u32 v10, v17, v7, 0x7fff
	v_or_b32_e32 v11, 0x400000, v7
	v_bfe_u32 v12, v6, 16, 1
	v_bfe_u32 v8, v5, 16, 1
	s_wait_alu 0xfffd
	v_cndmask_b32_e32 v0, v0, v9, vcc_lo
	v_cmp_u_f32_e32 vcc_lo, v7, v7
	v_or_b32_e32 v13, 0x400000, v3
	v_add3_u32 v9, v12, v6, 0x7fff
	v_add3_u32 v8, v8, v5, 0x7fff
	v_or_b32_e32 v12, 0x400000, v5
	s_wait_alu 0xfffd
	v_cndmask_b32_e32 v7, v10, v11, vcc_lo
	v_or_b32_e32 v10, 0x400000, v6
	v_cmp_u_f32_e32 vcc_lo, v6, v6
	v_bfe_u32 v11, v4, 16, 1
	s_wait_alu 0xfffd
	s_delay_alu instid0(VALU_DEP_3) | instskip(SKIP_1) | instid1(VALU_DEP_3)
	v_cndmask_b32_e32 v6, v9, v10, vcc_lo
	v_cmp_u_f32_e32 vcc_lo, v5, v5
	v_add3_u32 v9, v11, v4, 0x7fff
	v_or_b32_e32 v10, 0x400000, v4
	v_bfe_u32 v11, v2, 16, 1
	s_wait_alu 0xfffd
	v_cndmask_b32_e32 v5, v8, v12, vcc_lo
	v_bfe_u32 v8, v1, 16, 1
	v_cmp_u_f32_e32 vcc_lo, v4, v4
	v_add3_u32 v11, v11, v2, 0x7fff
	v_or_b32_e32 v12, 0x400000, v2
	s_delay_alu instid0(VALU_DEP_4)
	v_add3_u32 v8, v8, v1, 0x7fff
	s_wait_alu 0xfffd
	v_cndmask_b32_e32 v4, v9, v10, vcc_lo
	v_or_b32_e32 v10, 0x400000, v1
	v_cmp_u_f32_e32 vcc_lo, v1, v1
	v_bfe_u32 v9, v3, 16, 1
	s_wait_alu 0xfffd
	s_delay_alu instid0(VALU_DEP_3) | instskip(SKIP_1) | instid1(VALU_DEP_3)
	v_cndmask_b32_e32 v1, v8, v10, vcc_lo
	v_cmp_u_f32_e32 vcc_lo, v2, v2
	v_add3_u32 v9, v9, v3, 0x7fff
	s_wait_alu 0xfffd
	v_cndmask_b32_e32 v2, v11, v12, vcc_lo
	v_cmp_u_f32_e32 vcc_lo, v3, v3
	s_wait_alu 0xfffd
	v_cndmask_b32_e32 v3, v9, v13, vcc_lo
	s_clause 0x7
	global_store_d16_hi_b16 v18, v0, s[0:1] offset:128
	global_store_d16_hi_b16 v18, v7, s[0:1] offset:144
	;; [unrolled: 1-line block ×8, first 2 shown]
.LBB186_106:
	s_nop 0
	s_sendmsg sendmsg(MSG_DEALLOC_VGPRS)
	s_endpgm
.LBB186_107:
	ds_load_b32 v0, v17
	s_wait_dscnt 0x0
	v_add_f32_e32 v16, v16, v0
	s_wait_alu 0xfffe
	s_or_b32 exec_lo, exec_lo, s0
	s_and_saveexec_b32 s0, vcc_lo
	s_cbranch_execz .LBB186_67
.LBB186_108:
	ds_load_b32 v0, v17 offset:32
	s_wait_dscnt 0x0
	v_add_f32_e32 v15, v15, v0
	s_wait_alu 0xfffe
	s_or_b32 exec_lo, exec_lo, s0
	s_and_saveexec_b32 s0, vcc_lo
	s_cbranch_execz .LBB186_68
.LBB186_109:
	ds_load_b32 v0, v17 offset:64
	s_wait_dscnt 0x0
	v_add_f32_e32 v14, v14, v0
	s_wait_alu 0xfffe
	s_or_b32 exec_lo, exec_lo, s0
	s_and_saveexec_b32 s0, vcc_lo
	s_cbranch_execz .LBB186_69
.LBB186_110:
	ds_load_b32 v0, v17 offset:96
	s_wait_dscnt 0x0
	v_add_f32_e32 v13, v13, v0
	s_wait_alu 0xfffe
	s_or_b32 exec_lo, exec_lo, s0
	s_and_saveexec_b32 s0, vcc_lo
	s_cbranch_execz .LBB186_70
.LBB186_111:
	ds_load_b32 v0, v17 offset:128
	s_wait_dscnt 0x0
	v_add_f32_e32 v12, v12, v0
	s_wait_alu 0xfffe
	s_or_b32 exec_lo, exec_lo, s0
	s_and_saveexec_b32 s0, vcc_lo
	s_cbranch_execz .LBB186_71
.LBB186_112:
	ds_load_b32 v0, v17 offset:160
	s_wait_dscnt 0x0
	v_add_f32_e32 v11, v11, v0
	s_wait_alu 0xfffe
	s_or_b32 exec_lo, exec_lo, s0
	s_and_saveexec_b32 s0, vcc_lo
	s_cbranch_execz .LBB186_72
.LBB186_113:
	ds_load_b32 v0, v17 offset:192
	s_wait_dscnt 0x0
	v_add_f32_e32 v10, v10, v0
	s_wait_alu 0xfffe
	s_or_b32 exec_lo, exec_lo, s0
	s_and_saveexec_b32 s0, vcc_lo
	s_cbranch_execz .LBB186_73
.LBB186_114:
	ds_load_b32 v0, v17 offset:224
	s_wait_dscnt 0x0
	v_add_f32_e32 v9, v9, v0
	s_wait_alu 0xfffe
	s_or_b32 exec_lo, exec_lo, s0
	s_and_saveexec_b32 s0, vcc_lo
	s_cbranch_execz .LBB186_74
.LBB186_115:
	ds_load_b32 v0, v17 offset:256
	s_wait_dscnt 0x0
	v_add_f32_e32 v8, v8, v0
	s_wait_alu 0xfffe
	s_or_b32 exec_lo, exec_lo, s0
	s_and_saveexec_b32 s0, vcc_lo
	s_cbranch_execz .LBB186_75
.LBB186_116:
	ds_load_b32 v0, v17 offset:288
	s_wait_dscnt 0x0
	v_add_f32_e32 v7, v7, v0
	s_wait_alu 0xfffe
	s_or_b32 exec_lo, exec_lo, s0
	s_and_saveexec_b32 s0, vcc_lo
	s_cbranch_execz .LBB186_76
.LBB186_117:
	ds_load_b32 v0, v17 offset:320
	s_wait_dscnt 0x0
	v_add_f32_e32 v6, v6, v0
	s_wait_alu 0xfffe
	s_or_b32 exec_lo, exec_lo, s0
	s_and_saveexec_b32 s0, vcc_lo
	s_cbranch_execz .LBB186_77
.LBB186_118:
	ds_load_b32 v0, v17 offset:352
	s_wait_dscnt 0x0
	v_add_f32_e32 v5, v5, v0
	s_wait_alu 0xfffe
	s_or_b32 exec_lo, exec_lo, s0
	s_and_saveexec_b32 s0, vcc_lo
	s_cbranch_execz .LBB186_78
.LBB186_119:
	ds_load_b32 v0, v17 offset:384
	s_wait_dscnt 0x0
	v_add_f32_e32 v4, v4, v0
	s_wait_alu 0xfffe
	s_or_b32 exec_lo, exec_lo, s0
	s_and_saveexec_b32 s0, vcc_lo
	s_cbranch_execz .LBB186_79
.LBB186_120:
	ds_load_b32 v0, v17 offset:416
	s_wait_dscnt 0x0
	v_add_f32_e32 v1, v1, v0
	s_wait_alu 0xfffe
	s_or_b32 exec_lo, exec_lo, s0
	s_and_saveexec_b32 s0, vcc_lo
	s_cbranch_execz .LBB186_80
.LBB186_121:
	ds_load_b32 v0, v17 offset:448
	s_wait_dscnt 0x0
	v_add_f32_e32 v2, v2, v0
	s_wait_alu 0xfffe
	s_or_b32 exec_lo, exec_lo, s0
	s_and_saveexec_b32 s0, vcc_lo
	s_cbranch_execnz .LBB186_81
	s_branch .LBB186_82
.LBB186_122:
	ds_load_b32 v0, v17
	s_wait_dscnt 0x0
	v_add_f32_e32 v16, v16, v0
	s_wait_alu 0xfffe
	s_or_b32 exec_lo, exec_lo, s0
	s_and_saveexec_b32 s0, vcc_lo
	s_cbranch_execz .LBB186_88
.LBB186_123:
	ds_load_b32 v0, v17 offset:32
	s_wait_dscnt 0x0
	v_add_f32_e32 v15, v15, v0
	s_wait_alu 0xfffe
	s_or_b32 exec_lo, exec_lo, s0
	s_and_saveexec_b32 s0, vcc_lo
	s_cbranch_execz .LBB186_89
.LBB186_124:
	ds_load_b32 v0, v17 offset:64
	s_wait_dscnt 0x0
	v_add_f32_e32 v14, v14, v0
	s_wait_alu 0xfffe
	s_or_b32 exec_lo, exec_lo, s0
	s_and_saveexec_b32 s0, vcc_lo
	s_cbranch_execz .LBB186_90
.LBB186_125:
	ds_load_b32 v0, v17 offset:96
	s_wait_dscnt 0x0
	v_add_f32_e32 v13, v13, v0
	s_wait_alu 0xfffe
	s_or_b32 exec_lo, exec_lo, s0
	s_and_saveexec_b32 s0, vcc_lo
	s_cbranch_execz .LBB186_91
.LBB186_126:
	ds_load_b32 v0, v17 offset:128
	s_wait_dscnt 0x0
	v_add_f32_e32 v12, v12, v0
	s_wait_alu 0xfffe
	s_or_b32 exec_lo, exec_lo, s0
	s_and_saveexec_b32 s0, vcc_lo
	s_cbranch_execz .LBB186_92
.LBB186_127:
	ds_load_b32 v0, v17 offset:160
	s_wait_dscnt 0x0
	v_add_f32_e32 v11, v11, v0
	s_wait_alu 0xfffe
	s_or_b32 exec_lo, exec_lo, s0
	s_and_saveexec_b32 s0, vcc_lo
	s_cbranch_execz .LBB186_93
.LBB186_128:
	ds_load_b32 v0, v17 offset:192
	s_wait_dscnt 0x0
	v_add_f32_e32 v10, v10, v0
	s_wait_alu 0xfffe
	s_or_b32 exec_lo, exec_lo, s0
	s_and_saveexec_b32 s0, vcc_lo
	s_cbranch_execz .LBB186_94
.LBB186_129:
	ds_load_b32 v0, v17 offset:224
	s_wait_dscnt 0x0
	v_add_f32_e32 v9, v9, v0
	s_wait_alu 0xfffe
	s_or_b32 exec_lo, exec_lo, s0
	s_and_saveexec_b32 s0, vcc_lo
	s_cbranch_execz .LBB186_95
.LBB186_130:
	ds_load_b32 v0, v17 offset:256
	s_wait_dscnt 0x0
	v_add_f32_e32 v8, v8, v0
	s_wait_alu 0xfffe
	s_or_b32 exec_lo, exec_lo, s0
	s_and_saveexec_b32 s0, vcc_lo
	s_cbranch_execz .LBB186_96
.LBB186_131:
	ds_load_b32 v0, v17 offset:288
	s_wait_dscnt 0x0
	v_add_f32_e32 v7, v7, v0
	s_wait_alu 0xfffe
	s_or_b32 exec_lo, exec_lo, s0
	s_and_saveexec_b32 s0, vcc_lo
	s_cbranch_execz .LBB186_97
.LBB186_132:
	ds_load_b32 v0, v17 offset:320
	s_wait_dscnt 0x0
	v_add_f32_e32 v6, v6, v0
	s_wait_alu 0xfffe
	s_or_b32 exec_lo, exec_lo, s0
	s_and_saveexec_b32 s0, vcc_lo
	s_cbranch_execz .LBB186_98
.LBB186_133:
	ds_load_b32 v0, v17 offset:352
	s_wait_dscnt 0x0
	v_add_f32_e32 v5, v5, v0
	s_wait_alu 0xfffe
	s_or_b32 exec_lo, exec_lo, s0
	s_and_saveexec_b32 s0, vcc_lo
	s_cbranch_execz .LBB186_99
.LBB186_134:
	ds_load_b32 v0, v17 offset:384
	s_wait_dscnt 0x0
	v_add_f32_e32 v4, v4, v0
	s_wait_alu 0xfffe
	s_or_b32 exec_lo, exec_lo, s0
	s_and_saveexec_b32 s0, vcc_lo
	s_cbranch_execz .LBB186_100
.LBB186_135:
	ds_load_b32 v0, v17 offset:416
	s_wait_dscnt 0x0
	v_add_f32_e32 v1, v1, v0
	s_wait_alu 0xfffe
	s_or_b32 exec_lo, exec_lo, s0
	s_and_saveexec_b32 s0, vcc_lo
	s_cbranch_execz .LBB186_101
.LBB186_136:
	ds_load_b32 v0, v17 offset:448
	s_wait_dscnt 0x0
	v_add_f32_e32 v2, v2, v0
	s_wait_alu 0xfffe
	s_or_b32 exec_lo, exec_lo, s0
	s_and_saveexec_b32 s0, vcc_lo
	s_cbranch_execnz .LBB186_102
	s_branch .LBB186_103
	.section	.rodata,"a",@progbits
	.p2align	6, 0x0
	.amdhsa_kernel _ZN4vllm25paged_attention_v2_kernelI14__hip_bfloat16S1_Li128ELi32ELi128ELNS_18Fp8KVCacheDataTypeE0ELb0ELi512EEEvPfS3_PT_PKS4_PKT0_SA_ifPKiSC_iPKfiiiSE_SE_iiiii
		.amdhsa_group_segment_fixed_size 288
		.amdhsa_private_segment_fixed_size 68
		.amdhsa_kernarg_size 400
		.amdhsa_user_sgpr_count 2
		.amdhsa_user_sgpr_dispatch_ptr 0
		.amdhsa_user_sgpr_queue_ptr 0
		.amdhsa_user_sgpr_kernarg_segment_ptr 1
		.amdhsa_user_sgpr_dispatch_id 0
		.amdhsa_user_sgpr_private_segment_size 0
		.amdhsa_wavefront_size32 1
		.amdhsa_uses_dynamic_stack 0
		.amdhsa_enable_private_segment 1
		.amdhsa_system_sgpr_workgroup_id_x 1
		.amdhsa_system_sgpr_workgroup_id_y 1
		.amdhsa_system_sgpr_workgroup_id_z 1
		.amdhsa_system_sgpr_workgroup_info 0
		.amdhsa_system_vgpr_workitem_id 0
		.amdhsa_next_free_vgpr 192
		.amdhsa_next_free_sgpr 32
		.amdhsa_reserve_vcc 1
		.amdhsa_float_round_mode_32 0
		.amdhsa_float_round_mode_16_64 0
		.amdhsa_float_denorm_mode_32 3
		.amdhsa_float_denorm_mode_16_64 3
		.amdhsa_fp16_overflow 0
		.amdhsa_workgroup_processor_mode 1
		.amdhsa_memory_ordered 1
		.amdhsa_forward_progress 1
		.amdhsa_inst_pref_size 179
		.amdhsa_round_robin_scheduling 0
		.amdhsa_exception_fp_ieee_invalid_op 0
		.amdhsa_exception_fp_denorm_src 0
		.amdhsa_exception_fp_ieee_div_zero 0
		.amdhsa_exception_fp_ieee_overflow 0
		.amdhsa_exception_fp_ieee_underflow 0
		.amdhsa_exception_fp_ieee_inexact 0
		.amdhsa_exception_int_div_zero 0
	.end_amdhsa_kernel
	.section	.text._ZN4vllm25paged_attention_v2_kernelI14__hip_bfloat16S1_Li128ELi32ELi128ELNS_18Fp8KVCacheDataTypeE0ELb0ELi512EEEvPfS3_PT_PKS4_PKT0_SA_ifPKiSC_iPKfiiiSE_SE_iiiii,"axG",@progbits,_ZN4vllm25paged_attention_v2_kernelI14__hip_bfloat16S1_Li128ELi32ELi128ELNS_18Fp8KVCacheDataTypeE0ELb0ELi512EEEvPfS3_PT_PKS4_PKT0_SA_ifPKiSC_iPKfiiiSE_SE_iiiii,comdat
.Lfunc_end186:
	.size	_ZN4vllm25paged_attention_v2_kernelI14__hip_bfloat16S1_Li128ELi32ELi128ELNS_18Fp8KVCacheDataTypeE0ELb0ELi512EEEvPfS3_PT_PKS4_PKT0_SA_ifPKiSC_iPKfiiiSE_SE_iiiii, .Lfunc_end186-_ZN4vllm25paged_attention_v2_kernelI14__hip_bfloat16S1_Li128ELi32ELi128ELNS_18Fp8KVCacheDataTypeE0ELb0ELi512EEEvPfS3_PT_PKS4_PKT0_SA_ifPKiSC_iPKfiiiSE_SE_iiiii
                                        ; -- End function
	.set _ZN4vllm25paged_attention_v2_kernelI14__hip_bfloat16S1_Li128ELi32ELi128ELNS_18Fp8KVCacheDataTypeE0ELb0ELi512EEEvPfS3_PT_PKS4_PKT0_SA_ifPKiSC_iPKfiiiSE_SE_iiiii.num_vgpr, 192
	.set _ZN4vllm25paged_attention_v2_kernelI14__hip_bfloat16S1_Li128ELi32ELi128ELNS_18Fp8KVCacheDataTypeE0ELb0ELi512EEEvPfS3_PT_PKS4_PKT0_SA_ifPKiSC_iPKfiiiSE_SE_iiiii.num_agpr, 0
	.set _ZN4vllm25paged_attention_v2_kernelI14__hip_bfloat16S1_Li128ELi32ELi128ELNS_18Fp8KVCacheDataTypeE0ELb0ELi512EEEvPfS3_PT_PKS4_PKT0_SA_ifPKiSC_iPKfiiiSE_SE_iiiii.numbered_sgpr, 32
	.set _ZN4vllm25paged_attention_v2_kernelI14__hip_bfloat16S1_Li128ELi32ELi128ELNS_18Fp8KVCacheDataTypeE0ELb0ELi512EEEvPfS3_PT_PKS4_PKT0_SA_ifPKiSC_iPKfiiiSE_SE_iiiii.num_named_barrier, 0
	.set _ZN4vllm25paged_attention_v2_kernelI14__hip_bfloat16S1_Li128ELi32ELi128ELNS_18Fp8KVCacheDataTypeE0ELb0ELi512EEEvPfS3_PT_PKS4_PKT0_SA_ifPKiSC_iPKfiiiSE_SE_iiiii.private_seg_size, 68
	.set _ZN4vllm25paged_attention_v2_kernelI14__hip_bfloat16S1_Li128ELi32ELi128ELNS_18Fp8KVCacheDataTypeE0ELb0ELi512EEEvPfS3_PT_PKS4_PKT0_SA_ifPKiSC_iPKfiiiSE_SE_iiiii.uses_vcc, 1
	.set _ZN4vllm25paged_attention_v2_kernelI14__hip_bfloat16S1_Li128ELi32ELi128ELNS_18Fp8KVCacheDataTypeE0ELb0ELi512EEEvPfS3_PT_PKS4_PKT0_SA_ifPKiSC_iPKfiiiSE_SE_iiiii.uses_flat_scratch, 1
	.set _ZN4vllm25paged_attention_v2_kernelI14__hip_bfloat16S1_Li128ELi32ELi128ELNS_18Fp8KVCacheDataTypeE0ELb0ELi512EEEvPfS3_PT_PKS4_PKT0_SA_ifPKiSC_iPKfiiiSE_SE_iiiii.has_dyn_sized_stack, 0
	.set _ZN4vllm25paged_attention_v2_kernelI14__hip_bfloat16S1_Li128ELi32ELi128ELNS_18Fp8KVCacheDataTypeE0ELb0ELi512EEEvPfS3_PT_PKS4_PKT0_SA_ifPKiSC_iPKfiiiSE_SE_iiiii.has_recursion, 0
	.set _ZN4vllm25paged_attention_v2_kernelI14__hip_bfloat16S1_Li128ELi32ELi128ELNS_18Fp8KVCacheDataTypeE0ELb0ELi512EEEvPfS3_PT_PKS4_PKT0_SA_ifPKiSC_iPKfiiiSE_SE_iiiii.has_indirect_call, 0
	.section	.AMDGPU.csdata,"",@progbits
; Kernel info:
; codeLenInByte = 22844
; TotalNumSgprs: 34
; NumVgprs: 192
; ScratchSize: 68
; MemoryBound: 0
; FloatMode: 240
; IeeeMode: 1
; LDSByteSize: 288 bytes/workgroup (compile time only)
; SGPRBlocks: 0
; VGPRBlocks: 23
; NumSGPRsForWavesPerEU: 34
; NumVGPRsForWavesPerEU: 192
; Occupancy: 8
; WaveLimiterHint : 1
; COMPUTE_PGM_RSRC2:SCRATCH_EN: 1
; COMPUTE_PGM_RSRC2:USER_SGPR: 2
; COMPUTE_PGM_RSRC2:TRAP_HANDLER: 0
; COMPUTE_PGM_RSRC2:TGID_X_EN: 1
; COMPUTE_PGM_RSRC2:TGID_Y_EN: 1
; COMPUTE_PGM_RSRC2:TGID_Z_EN: 1
; COMPUTE_PGM_RSRC2:TIDIG_COMP_CNT: 0
	.section	.text._ZN4vllm25paged_attention_v2_kernelI14__hip_bfloat16S1_Li192ELi32ELi128ELNS_18Fp8KVCacheDataTypeE0ELb0ELi512EEEvPfS3_PT_PKS4_PKT0_SA_ifPKiSC_iPKfiiiSE_SE_iiiii,"axG",@progbits,_ZN4vllm25paged_attention_v2_kernelI14__hip_bfloat16S1_Li192ELi32ELi128ELNS_18Fp8KVCacheDataTypeE0ELb0ELi512EEEvPfS3_PT_PKS4_PKT0_SA_ifPKiSC_iPKfiiiSE_SE_iiiii,comdat
	.protected	_ZN4vllm25paged_attention_v2_kernelI14__hip_bfloat16S1_Li192ELi32ELi128ELNS_18Fp8KVCacheDataTypeE0ELb0ELi512EEEvPfS3_PT_PKS4_PKT0_SA_ifPKiSC_iPKfiiiSE_SE_iiiii ; -- Begin function _ZN4vllm25paged_attention_v2_kernelI14__hip_bfloat16S1_Li192ELi32ELi128ELNS_18Fp8KVCacheDataTypeE0ELb0ELi512EEEvPfS3_PT_PKS4_PKT0_SA_ifPKiSC_iPKfiiiSE_SE_iiiii
	.globl	_ZN4vllm25paged_attention_v2_kernelI14__hip_bfloat16S1_Li192ELi32ELi128ELNS_18Fp8KVCacheDataTypeE0ELb0ELi512EEEvPfS3_PT_PKS4_PKT0_SA_ifPKiSC_iPKfiiiSE_SE_iiiii
	.p2align	8
	.type	_ZN4vllm25paged_attention_v2_kernelI14__hip_bfloat16S1_Li192ELi32ELi128ELNS_18Fp8KVCacheDataTypeE0ELb0ELi512EEEvPfS3_PT_PKS4_PKT0_SA_ifPKiSC_iPKfiiiSE_SE_iiiii,@function
_ZN4vllm25paged_attention_v2_kernelI14__hip_bfloat16S1_Li192ELi32ELi128ELNS_18Fp8KVCacheDataTypeE0ELb0ELi512EEEvPfS3_PT_PKS4_PKT0_SA_ifPKiSC_iPKfiiiSE_SE_iiiii: ; @_ZN4vllm25paged_attention_v2_kernelI14__hip_bfloat16S1_Li192ELi32ELi128ELNS_18Fp8KVCacheDataTypeE0ELb0ELi512EEEvPfS3_PT_PKS4_PKT0_SA_ifPKiSC_iPKfiiiSE_SE_iiiii
; %bb.0:
	s_load_b64 s[2:3], s[0:1], 0x40
	s_and_b32 s14, ttmp7, 0xffff
	s_lshr_b32 s24, ttmp7, 16
	s_lshl_b32 s4, s14, 2
	s_lshl_b32 s26, s24, 9
	s_wait_kmcnt 0x0
	s_load_b32 s25, s[2:3], s4 offset:0x0
	s_wait_kmcnt 0x0
	s_cmp_ge_i32 s26, s25
	s_cbranch_scc1 .LBB187_138
; %bb.1:
	s_clause 0x1
	s_load_b32 s15, s[0:1], 0x90
	s_load_b64 s[4:5], s[0:1], 0x30
	v_mov_b32_e32 v148, v0
	s_wait_kmcnt 0x0
	s_abs_i32 s7, s15
	s_abs_i32 s2, s4
	s_xor_b32 s4, s15, s4
	s_cvt_f32_u32 s3, s2
	s_sub_co_i32 s6, 0, s2
	s_ashr_i32 s4, s4, 31
	s_delay_alu instid0(SALU_CYCLE_1) | instskip(NEXT) | instid1(TRANS32_DEP_1)
	v_rcp_iflag_f32_e32 v0, s3
	v_readfirstlane_b32 s3, v0
	s_mul_f32 s3, s3, 0x4f7ffffe
	s_wait_alu 0xfffe
	s_delay_alu instid0(SALU_CYCLE_2) | instskip(SKIP_1) | instid1(SALU_CYCLE_2)
	s_cvt_u32_f32 s3, s3
	s_wait_alu 0xfffe
	s_mul_i32 s6, s6, s3
	s_delay_alu instid0(SALU_CYCLE_1) | instskip(NEXT) | instid1(SALU_CYCLE_1)
	s_mul_hi_u32 s6, s3, s6
	s_add_co_i32 s3, s3, s6
	s_wait_alu 0xfffe
	s_mul_hi_u32 s3, s7, s3
	s_wait_alu 0xfffe
	s_mul_i32 s6, s3, s2
	s_delay_alu instid0(SALU_CYCLE_1)
	s_sub_co_i32 s6, s7, s6
	s_add_co_i32 s7, s3, 1
	s_sub_co_i32 s8, s6, s2
	s_cmp_ge_u32 s6, s2
	s_cselect_b32 s3, s7, s3
	s_cselect_b32 s6, s8, s6
	s_wait_alu 0xfffe
	s_add_co_i32 s7, s3, 1
	s_cmp_ge_u32 s6, s2
	s_load_b64 s[8:9], s[0:1], 0x50
	s_cselect_b32 s2, s7, s3
	s_mov_b32 s3, 0
	s_wait_alu 0xfffe
	s_xor_b32 s2, s2, s4
	s_mov_b32 s7, s3
	s_wait_alu 0xfffe
	s_sub_co_i32 s12, s2, s4
	s_delay_alu instid0(SALU_CYCLE_1) | instskip(NEXT) | instid1(SALU_CYCLE_1)
	s_abs_i32 s11, s12
	s_cvt_f32_u32 s2, s11
	s_wait_alu 0xfffe
	s_delay_alu instid0(SALU_CYCLE_2) | instskip(NEXT) | instid1(TRANS32_DEP_1)
	v_rcp_iflag_f32_e32 v0, s2
	v_readfirstlane_b32 s2, v0
	s_mul_f32 s2, s2, 0x4f7ffffe
	s_wait_alu 0xfffe
	s_delay_alu instid0(SALU_CYCLE_2) | instskip(SKIP_2) | instid1(SALU_CYCLE_1)
	s_cvt_u32_f32 s4, s2
	s_sub_co_i32 s2, 0, s11
	s_wait_alu 0xfffe
	s_mul_i32 s2, s2, s4
	s_wait_alu 0xfffe
	s_mul_hi_u32 s6, s4, s2
	s_abs_i32 s2, ttmp9
	s_add_co_i32 s6, s4, s6
	s_wait_kmcnt 0x0
	s_cmp_eq_u64 s[8:9], 0
	s_mov_b32 s4, s3
	s_cbranch_scc1 .LBB187_3
; %bb.2:
	s_mov_b32 s16, ttmp9
	s_ashr_i32 s17, ttmp9, 31
	s_delay_alu instid0(SALU_CYCLE_1) | instskip(NEXT) | instid1(SALU_CYCLE_1)
	s_lshl_b64 s[16:17], s[16:17], 2
	s_add_nc_u64 s[8:9], s[8:9], s[16:17]
	s_load_b32 s4, s[8:9], 0x0
.LBB187_3:
	s_load_b96 s[8:10], s[0:1], 0x58
	v_lshlrev_b32_e32 v10, 4, v148
	s_mul_u64 s[6:7], s[2:3], s[6:7]
	s_ashr_i32 s3, ttmp9, 31
	s_ashr_i32 s6, s12, 31
	s_mul_i32 s12, ttmp9, 0xc0
	s_mov_b32 s16, exec_lo
	v_cmpx_gt_u32_e32 24, v148
	s_cbranch_execz .LBB187_5
; %bb.4:
	s_load_b64 s[18:19], s[0:1], 0x18
	s_wait_kmcnt 0x0
	s_mul_i32 s20, s8, s14
	s_ashr_i32 s13, s12, 31
	s_ashr_i32 s21, s20, 31
	s_delay_alu instid0(SALU_CYCLE_1) | instskip(NEXT) | instid1(SALU_CYCLE_1)
	s_lshl_b64 s[20:21], s[20:21], 1
	s_add_nc_u64 s[18:19], s[18:19], s[20:21]
	s_lshl_b64 s[20:21], s[12:13], 1
	s_delay_alu instid0(SALU_CYCLE_1)
	s_add_nc_u64 s[18:19], s[18:19], s[20:21]
	global_load_b128 v[0:3], v10, s[18:19]
	s_wait_loadcnt 0x0
	ds_store_b128 v10, v[0:3]
.LBB187_5:
	s_or_b32 exec_lo, exec_lo, s16
	s_wait_kmcnt 0x0
	s_add_co_i32 s8, s25, 31
	s_lshl_b32 s28, s24, 4
	s_ashr_i32 s13, s8, 31
	s_mul_i32 s19, s7, s11
	s_lshr_b32 s13, s13, 27
	s_sub_co_i32 s2, s2, s19
	s_add_co_i32 s8, s8, s13
	s_add_co_i32 s13, s28, 16
	s_ashr_i32 s27, s8, 5
	s_clause 0x2
	s_load_b64 s[16:17], s[0:1], 0x38
	s_load_b32 s8, s[0:1], 0x98
	s_load_b32 s18, s[0:1], 0x48
	s_min_i32 s13, s13, s27
	s_xor_b32 s3, s3, s6
	s_add_co_i32 s6, s7, 1
	s_sub_co_i32 s19, s2, s11
	s_cmp_ge_u32 s2, s11
	v_lshrrev_b32_e32 v95, 5, v148
	s_cselect_b32 s6, s6, s7
	s_cselect_b32 s2, s19, s2
	s_add_co_i32 s7, s6, 1
	s_wait_alu 0xfffe
	s_cmp_ge_u32 s2, s11
	v_and_b32_e32 v98, 31, v148
	v_add_nc_u32_e32 v112, s28, v95
	s_cselect_b32 s2, s7, s6
	v_mov_b32_e32 v86, 0xff7fffff
	s_wait_alu 0xfffe
	s_xor_b32 s2, s2, s3
	v_lshlrev_b32_e32 v12, 5, v95
	s_wait_alu 0xfffe
	s_sub_co_i32 s3, s2, s3
	v_cmp_gt_i32_e64 s2, s13, v112
	v_lshlrev_b32_e32 v13, 2, v98
	v_lshlrev_b32_e32 v11, 2, v112
	s_wait_kmcnt 0x0
	s_mul_i32 s18, s18, s14
	s_wait_alu 0xfffe
	s_mul_i32 s20, s3, s10
	s_ashr_i32 s19, s18, 31
	s_wait_dscnt 0x0
	s_barrier_signal -1
	s_barrier_wait -1
	global_inv scope:SCOPE_SE
	s_and_saveexec_b32 s6, s2
	s_cbranch_execz .LBB187_9
; %bb.6:
	v_mov_b32_e32 v1, 0
	s_clause 0x1
	scratch_store_b32 off, v10, off offset:316
	scratch_store_b32 off, v148, off offset:304
	s_load_b64 s[10:11], s[0:1], 0x20
	s_ashr_i32 s21, s20, 31
	s_mov_b32 s7, s9
	ds_load_b128 v[2:5], v1
	s_lshl_b64 s[22:23], s[20:21], 1
	s_cmp_neq_f32 s4, 0
	v_dual_mov_b32 v109, v112 :: v_dual_mov_b32 v86, 0xff7fffff
	s_cselect_b32 vcc_lo, -1, 0
	s_lshl_b64 s[30:31], s[18:19], 2
	s_delay_alu instid0(SALU_CYCLE_1) | instskip(NEXT) | instid1(SALU_CYCLE_1)
	s_add_nc_u64 s[30:31], s[16:17], s[30:31]
	v_add_co_u32 v41, s3, s30, v11
	s_wait_alu 0xf1ff
	v_add_co_ci_u32_e64 v42, null, s31, 0, s3
	s_wait_kmcnt 0x0
	s_add_nc_u64 s[22:23], s[10:11], s[22:23]
	s_mov_b32 s10, 0
	s_sub_co_i32 s11, 1, s25
	s_wait_dscnt 0x0
	v_and_b32_e32 v0, 0xffff0000, v2
	scratch_store_b32 off, v0, off          ; 4-byte Folded Spill
	v_lshlrev_b32_e32 v0, 16, v2
	scratch_store_b32 off, v0, off offset:4 ; 4-byte Folded Spill
	v_and_b32_e32 v0, 0xffff0000, v3
	scratch_store_b32 off, v0, off offset:8 ; 4-byte Folded Spill
	v_lshlrev_b32_e32 v0, 16, v3
	scratch_store_b32 off, v0, off offset:12 ; 4-byte Folded Spill
	v_and_b32_e32 v0, 0xffff0000, v4
	scratch_store_b32 off, v0, off offset:16 ; 4-byte Folded Spill
	v_lshlrev_b32_e32 v0, 16, v4
	scratch_store_b32 off, v0, off offset:20 ; 4-byte Folded Spill
	v_and_b32_e32 v0, 0xffff0000, v5
	scratch_store_b32 off, v0, off offset:24 ; 4-byte Folded Spill
	v_lshlrev_b32_e32 v0, 16, v5
	ds_load_b128 v[2:5], v1 offset:16
	scratch_store_b32 off, v0, off offset:28 ; 4-byte Folded Spill
	s_wait_dscnt 0x0
	v_and_b32_e32 v0, 0xffff0000, v2
	scratch_store_b32 off, v0, off offset:32 ; 4-byte Folded Spill
	v_lshlrev_b32_e32 v0, 16, v2
	scratch_store_b32 off, v0, off offset:36 ; 4-byte Folded Spill
	v_and_b32_e32 v0, 0xffff0000, v3
	scratch_store_b32 off, v0, off offset:40 ; 4-byte Folded Spill
	v_lshlrev_b32_e32 v0, 16, v3
	scratch_store_b32 off, v0, off offset:44 ; 4-byte Folded Spill
	v_and_b32_e32 v0, 0xffff0000, v4
	scratch_store_b32 off, v0, off offset:48 ; 4-byte Folded Spill
	v_lshlrev_b32_e32 v0, 16, v4
	scratch_store_b32 off, v0, off offset:52 ; 4-byte Folded Spill
	v_and_b32_e32 v0, 0xffff0000, v5
	scratch_store_b32 off, v0, off offset:56 ; 4-byte Folded Spill
	v_lshlrev_b32_e32 v0, 16, v5
	ds_load_b128 v[2:5], v1 offset:32
	scratch_store_b32 off, v0, off offset:60 ; 4-byte Folded Spill
	s_wait_dscnt 0x0
	v_and_b32_e32 v0, 0xffff0000, v2
	scratch_store_b32 off, v0, off offset:64 ; 4-byte Folded Spill
	;; [unrolled: 18-line block ×8, first 2 shown]
	v_lshlrev_b32_e32 v0, 16, v2
	scratch_store_b32 off, v0, off offset:260 ; 4-byte Folded Spill
	v_and_b32_e32 v0, 0xffff0000, v3
	scratch_store_b32 off, v0, off offset:264 ; 4-byte Folded Spill
	v_lshlrev_b32_e32 v0, 16, v3
	scratch_store_b32 off, v0, off offset:268 ; 4-byte Folded Spill
	v_and_b32_e32 v0, 0xffff0000, v4
	scratch_store_b32 off, v0, off offset:272 ; 4-byte Folded Spill
	;; [unrolled: 4-line block ×3, first 2 shown]
	v_lshlrev_b32_e32 v0, 16, v5
	ds_load_b128 v[2:5], v1 offset:144
	scratch_store_b32 off, v0, off offset:284 ; 4-byte Folded Spill
	s_wait_dscnt 0x0
	v_and_b32_e32 v0, 0xffff0000, v2
	v_and_b32_e32 v128, 0xffff0000, v4
	v_lshlrev_b32_e32 v129, 16, v4
	v_and_b32_e32 v130, 0xffff0000, v5
	v_lshlrev_b32_e32 v131, 16, v5
	scratch_store_b32 off, v0, off offset:288 ; 4-byte Folded Spill
	v_lshlrev_b32_e32 v0, 16, v2
	scratch_store_b32 off, v0, off offset:292 ; 4-byte Folded Spill
	v_and_b32_e32 v0, 0xffff0000, v3
	scratch_store_b32 off, v0, off offset:296 ; 4-byte Folded Spill
	v_lshlrev_b32_e32 v0, 16, v3
	ds_load_b128 v[2:5], v1 offset:160
	scratch_store_b32 off, v0, off offset:300 ; 4-byte Folded Spill
	s_wait_dscnt 0x0
	v_and_b32_e32 v132, 0xffff0000, v2
	v_lshlrev_b32_e32 v133, 16, v2
	v_and_b32_e32 v134, 0xffff0000, v3
	v_lshlrev_b32_e32 v135, 16, v3
	v_and_b32_e32 v136, 0xffff0000, v4
	v_lshlrev_b32_e32 v137, 16, v4
	v_and_b32_e32 v138, 0xffff0000, v5
	v_lshlrev_b32_e32 v139, 16, v5
	ds_load_b128 v[2:5], v1 offset:176
	s_wait_dscnt 0x0
	v_and_b32_e32 v140, 0xffff0000, v2
	v_lshlrev_b32_e32 v141, 16, v2
	v_and_b32_e32 v142, 0xffff0000, v3
	v_lshlrev_b32_e32 v143, 16, v3
	v_and_b32_e32 v144, 0xffff0000, v4
	v_lshlrev_b32_e32 v145, 16, v4
	v_and_b32_e32 v146, 0xffff0000, v5
	v_lshlrev_b32_e32 v147, 16, v5
	ds_load_b128 v[2:5], v1 offset:192
	;; [unrolled: 10-line block ×12, first 2 shown]
	s_wait_dscnt 0x0
	v_and_b32_e32 v78, 0xffff0000, v2
	v_lshlrev_b32_e32 v79, 16, v2
	v_and_b32_e32 v80, 0xffff0000, v3
	v_lshlrev_b32_e32 v81, 16, v3
	;; [unrolled: 2-line block ×3, first 2 shown]
	ds_load_b128 v[1:4], v1 offset:368
	s_clause 0x1
	scratch_store_b32 off, v95, off offset:308
	scratch_store_b32 off, v13, off offset:324
	v_and_b32_e32 v84, 0xffff0000, v5
	v_lshlrev_b32_e32 v85, 16, v5
	s_clause 0x1
	scratch_store_b32 off, v98, off offset:312
	scratch_store_b32 off, v12, off offset:320
	s_wait_dscnt 0x0
	v_and_b32_e32 v87, 0xffff0000, v1
	v_lshlrev_b32_e32 v88, 16, v1
	v_lshl_or_b32 v1, v95, 7, v13
	v_and_b32_e32 v89, 0xffff0000, v2
	v_lshlrev_b32_e32 v90, 16, v2
	v_and_b32_e32 v91, 0xffff0000, v3
	v_lshlrev_b32_e32 v92, 16, v3
	v_add_nc_u32_e32 v95, 0x1a0, v1
	v_lshlrev_b32_e32 v1, 4, v98
	v_and_b32_e32 v93, 0xffff0000, v4
	v_lshlrev_b32_e32 v94, 16, v4
	v_add3_u32 v98, s26, v12, v98
	s_delay_alu instid0(VALU_DEP_4)
	v_add_co_u32 v96, s3, s22, v1
	s_wait_alu 0xf1ff
	v_add_co_ci_u32_e64 v97, null, s23, 0, s3
.LBB187_7:                              ; =>This Inner Loop Header: Depth=1
	global_load_b32 v1, v[41:42], off
	scratch_load_b32 v6, off, off offset:36 ; 4-byte Folded Reload
	v_add_nc_u32_e32 v109, 4, v109
	s_wait_loadcnt 0x1
	v_mad_co_i64_i32 v[1:2], null, v1, s7, 0
	s_delay_alu instid0(VALU_DEP_1) | instskip(NEXT) | instid1(VALU_DEP_1)
	v_lshlrev_b64_e32 v[1:2], 1, v[1:2]
	v_add_co_u32 v43, s3, v96, v1
	v_add_nc_u32_e32 v1, s11, v98
	s_wait_alu 0xf1ff
	s_delay_alu instid0(VALU_DEP_3) | instskip(SKIP_3) | instid1(VALU_DEP_1)
	v_add_co_ci_u32_e64 v44, null, v97, v2, s3
	v_cmp_gt_i32_e64 s3, s25, v98
	v_add_nc_u32_e32 v98, 0x80, v98
	v_cvt_f32_i32_e32 v1, v1
	v_mul_f32_e32 v1, s4, v1
	s_delay_alu instid0(VALU_DEP_1)
	v_cndmask_b32_e32 v100, 0, v1, vcc_lo
	global_load_b128 v[1:4], v[43:44], off
	s_wait_loadcnt 0x0
	v_lshlrev_b32_e32 v99, 16, v1
	v_and_b32_e32 v113, 0xffff0000, v1
	v_lshlrev_b32_e32 v114, 16, v2
	v_and_b32_e32 v115, 0xffff0000, v2
	;; [unrolled: 2-line block ×4, first 2 shown]
	global_load_b128 v[1:4], v[43:44], off offset:512
	s_wait_loadcnt 0x0
	v_and_b32_e32 v5, 0xffff0000, v1
	v_lshlrev_b32_e32 v1, 16, v1
	s_delay_alu instid0(VALU_DEP_1)
	v_mul_f32_e32 v101, v6, v1
	scratch_load_b32 v1, off, off offset:32 ; 4-byte Folded Reload
	s_wait_loadcnt 0x0
	v_mul_f32_e32 v102, v1, v5
	scratch_load_b32 v5, off, off offset:44 ; 4-byte Folded Reload
	v_and_b32_e32 v1, 0xffff0000, v2
	v_lshlrev_b32_e32 v2, 16, v2
	s_wait_loadcnt 0x0
	s_delay_alu instid0(VALU_DEP_1)
	v_mul_f32_e32 v103, v5, v2
	scratch_load_b32 v2, off, off offset:40 ; 4-byte Folded Reload
	s_wait_loadcnt 0x0
	v_dual_mul_f32 v104, v2, v1 :: v_dual_and_b32 v1, 0xffff0000, v3
	v_lshlrev_b32_e32 v2, 16, v3
	scratch_load_b32 v3, off, off offset:52 ; 4-byte Folded Reload
	s_wait_loadcnt 0x0
	v_mul_f32_e32 v105, v3, v2
	s_clause 0x1
	scratch_load_b32 v2, off, off offset:48
	scratch_load_b32 v3, off, off offset:60
	s_wait_loadcnt 0x1
	v_mul_f32_e32 v106, v2, v1
	v_lshlrev_b32_e32 v2, 16, v4
	s_wait_loadcnt 0x0
	s_delay_alu instid0(VALU_DEP_1)
	v_dual_mul_f32 v110, v3, v2 :: v_dual_and_b32 v1, 0xffff0000, v4
	scratch_load_b32 v2, off, off offset:56 ; 4-byte Folded Reload
	s_wait_loadcnt 0x0
	v_mul_f32_e32 v111, v2, v1
	global_load_b128 v[1:4], v[43:44], off offset:1024
	s_wait_loadcnt 0x0
	v_and_b32_e32 v118, 0xffff0000, v1
	v_and_b32_e32 v120, 0xffff0000, v2
	v_lshlrev_b32_e32 v119, 16, v1
	v_lshlrev_b32_e32 v121, 16, v2
	v_and_b32_e32 v122, 0xffff0000, v3
	v_lshlrev_b32_e32 v123, 16, v3
	v_and_b32_e32 v39, 0xffff0000, v4
	v_lshlrev_b32_e32 v40, 16, v4
	s_clause 0x8
	global_load_b128 v[33:36], v[43:44], off offset:1536
	global_load_b128 v[29:32], v[43:44], off offset:2048
	;; [unrolled: 1-line block ×9, first 2 shown]
	scratch_load_b32 v124, off, off         ; 4-byte Folded Reload
	s_wait_loadcnt 0x0
	v_fmac_f32_e32 v102, v124, v113
	scratch_load_b32 v113, off, off offset:4 ; 4-byte Folded Reload
	s_wait_loadcnt 0x0
	v_fmac_f32_e32 v101, v113, v99
	s_clause 0x1
	scratch_load_b32 v99, off, off offset:68
	scratch_load_b32 v113, off, off offset:96
	s_wait_loadcnt 0x1
	v_fmac_f32_e32 v101, v99, v119
	scratch_load_b32 v99, off, off offset:64 ; 4-byte Folded Reload
	s_wait_loadcnt 0x0
	v_dual_fmac_f32 v102, v99, v118 :: v_dual_lshlrev_b32 v99, 16, v33
	v_and_b32_e32 v33, 0xffff0000, v33
	s_delay_alu instid0(VALU_DEP_1)
	v_fmac_f32_e32 v102, v113, v33
	scratch_load_b32 v33, off, off offset:100 ; 4-byte Folded Reload
	s_wait_loadcnt 0x0
	v_fmac_f32_e32 v101, v33, v99
	scratch_load_b32 v99, off, off offset:132 ; 4-byte Folded Reload
	v_and_b32_e32 v33, 0xffff0000, v29
	v_lshlrev_b32_e32 v29, 16, v29
	s_wait_loadcnt 0x0
	s_delay_alu instid0(VALU_DEP_1)
	v_fmac_f32_e32 v101, v99, v29
	scratch_load_b32 v29, off, off offset:128 ; 4-byte Folded Reload
	s_wait_loadcnt 0x0
	v_fmac_f32_e32 v102, v29, v33
	scratch_load_b32 v33, off, off offset:160 ; 4-byte Folded Reload
	v_lshlrev_b32_e32 v29, 16, v25
	v_and_b32_e32 v25, 0xffff0000, v25
	s_wait_loadcnt 0x0
	s_delay_alu instid0(VALU_DEP_1)
	v_fmac_f32_e32 v102, v33, v25
	scratch_load_b32 v25, off, off offset:164 ; 4-byte Folded Reload
	s_wait_loadcnt 0x0
	v_fmac_f32_e32 v101, v25, v29
	scratch_load_b32 v29, off, off offset:196 ; 4-byte Folded Reload
	v_and_b32_e32 v25, 0xffff0000, v21
	v_lshlrev_b32_e32 v21, 16, v21
	s_wait_loadcnt 0x0
	s_delay_alu instid0(VALU_DEP_1)
	v_fmac_f32_e32 v101, v29, v21
	scratch_load_b32 v21, off, off offset:192 ; 4-byte Folded Reload
	s_wait_loadcnt 0x0
	v_fmac_f32_e32 v102, v21, v25
	scratch_load_b32 v25, off, off offset:224 ; 4-byte Folded Reload
	v_lshlrev_b32_e32 v21, 16, v17
	v_and_b32_e32 v17, 0xffff0000, v17
	s_wait_loadcnt 0x0
	;; [unrolled: 18-line block ×3, first 2 shown]
	s_delay_alu instid0(VALU_DEP_1)
	v_fmac_f32_e32 v102, v17, v9
	scratch_load_b32 v9, off, off offset:292 ; 4-byte Folded Reload
	s_wait_loadcnt 0x0
	v_fmac_f32_e32 v101, v9, v13
	v_and_b32_e32 v9, 0xffff0000, v5
	v_lshlrev_b32_e32 v5, 16, v5
	s_delay_alu instid0(VALU_DEP_2) | instskip(NEXT) | instid1(VALU_DEP_2)
	v_fmac_f32_e32 v102, v132, v9
	v_fmac_f32_e32 v101, v133, v5
	v_lshlrev_b32_e32 v5, 16, v1
	v_and_b32_e32 v1, 0xffff0000, v1
	scratch_load_b32 v9, off, off offset:104 ; 4-byte Folded Reload
	v_fmac_f32_e32 v101, v141, v5
	v_dual_fmac_f32 v102, v140, v1 :: v_dual_and_b32 v5, 0xffff0000, v34
	scratch_load_b32 v1, off, off offset:8  ; 4-byte Folded Reload
	s_wait_loadcnt 0x0
	v_fmac_f32_e32 v104, v1, v115
	scratch_load_b32 v1, off, off offset:12 ; 4-byte Folded Reload
	s_wait_loadcnt 0x0
	v_fmac_f32_e32 v103, v1, v114
	scratch_load_b32 v1, off, off offset:76 ; 4-byte Folded Reload
	;; [unrolled: 3-line block ×3, first 2 shown]
	s_wait_loadcnt 0x0
	v_dual_fmac_f32 v104, v1, v120 :: v_dual_lshlrev_b32 v1, 16, v34
	s_delay_alu instid0(VALU_DEP_1)
	v_fmac_f32_e32 v104, v9, v5
	s_clause 0x1
	scratch_load_b32 v5, off, off offset:108
	scratch_load_b32 v9, off, off offset:140
	s_wait_loadcnt 0x1
	v_fmac_f32_e32 v103, v5, v1
	v_lshlrev_b32_e32 v5, 16, v30
	v_and_b32_e32 v1, 0xffff0000, v30
	s_wait_loadcnt 0x0
	s_delay_alu instid0(VALU_DEP_2)
	v_fmac_f32_e32 v103, v9, v5
	s_clause 0x1
	scratch_load_b32 v5, off, off offset:136
	scratch_load_b32 v9, off, off offset:168
	s_wait_loadcnt 0x1
	v_dual_fmac_f32 v104, v5, v1 :: v_dual_lshlrev_b32 v1, 16, v26
	v_and_b32_e32 v5, 0xffff0000, v26
	s_wait_loadcnt 0x0
	s_delay_alu instid0(VALU_DEP_1)
	v_fmac_f32_e32 v104, v9, v5
	s_clause 0x1
	scratch_load_b32 v5, off, off offset:172
	scratch_load_b32 v9, off, off offset:204
	s_wait_loadcnt 0x1
	v_fmac_f32_e32 v103, v5, v1
	v_lshlrev_b32_e32 v5, 16, v22
	v_and_b32_e32 v1, 0xffff0000, v22
	s_wait_loadcnt 0x0
	s_delay_alu instid0(VALU_DEP_2)
	v_fmac_f32_e32 v103, v9, v5
	s_clause 0x1
	scratch_load_b32 v5, off, off offset:200
	scratch_load_b32 v9, off, off offset:232
	s_wait_loadcnt 0x1
	v_dual_fmac_f32 v104, v5, v1 :: v_dual_lshlrev_b32 v1, 16, v18
	v_and_b32_e32 v5, 0xffff0000, v18
	s_wait_loadcnt 0x0
	;; [unrolled: 19-line block ×3, first 2 shown]
	s_delay_alu instid0(VALU_DEP_1) | instskip(SKIP_4) | instid1(VALU_DEP_1)
	v_fmac_f32_e32 v104, v9, v5
	scratch_load_b32 v5, off, off offset:300 ; 4-byte Folded Reload
	s_wait_loadcnt 0x0
	v_fmac_f32_e32 v103, v5, v1
	v_and_b32_e32 v1, 0xffff0000, v6
	v_dual_fmac_f32 v104, v134, v1 :: v_dual_lshlrev_b32 v5, 16, v6
	s_delay_alu instid0(VALU_DEP_1)
	v_fmac_f32_e32 v103, v135, v5
	v_lshlrev_b32_e32 v1, 16, v2
	scratch_load_b32 v5, off, off offset:112 ; 4-byte Folded Reload
	v_dual_fmac_f32 v103, v143, v1 :: v_dual_and_b32 v2, 0xffff0000, v2
	scratch_load_b32 v1, off, off offset:16 ; 4-byte Folded Reload
	v_fmac_f32_e32 v104, v142, v2
	v_and_b32_e32 v2, 0xffff0000, v35
	s_wait_loadcnt 0x0
	v_fmac_f32_e32 v106, v1, v117
	scratch_load_b32 v1, off, off offset:20 ; 4-byte Folded Reload
	s_wait_loadcnt 0x0
	v_fmac_f32_e32 v105, v1, v116
	scratch_load_b32 v1, off, off offset:84 ; 4-byte Folded Reload
	;; [unrolled: 3-line block ×3, first 2 shown]
	s_wait_loadcnt 0x0
	v_dual_fmac_f32 v106, v1, v122 :: v_dual_lshlrev_b32 v1, 16, v35
	s_delay_alu instid0(VALU_DEP_1)
	v_fmac_f32_e32 v106, v5, v2
	s_clause 0x1
	scratch_load_b32 v2, off, off offset:116
	scratch_load_b32 v5, off, off offset:148
	s_wait_loadcnt 0x1
	v_dual_fmac_f32 v105, v2, v1 :: v_dual_lshlrev_b32 v2, 16, v31
	v_and_b32_e32 v1, 0xffff0000, v31
	s_wait_loadcnt 0x0
	s_delay_alu instid0(VALU_DEP_2)
	v_fmac_f32_e32 v105, v5, v2
	s_clause 0x1
	scratch_load_b32 v2, off, off offset:144
	scratch_load_b32 v5, off, off offset:176
	s_wait_loadcnt 0x1
	v_fmac_f32_e32 v106, v2, v1
	v_and_b32_e32 v2, 0xffff0000, v27
	s_wait_loadcnt 0x0
	s_delay_alu instid0(VALU_DEP_1)
	v_dual_fmac_f32 v106, v5, v2 :: v_dual_lshlrev_b32 v1, 16, v27
	s_clause 0x1
	scratch_load_b32 v2, off, off offset:180
	scratch_load_b32 v5, off, off offset:212
	s_wait_loadcnt 0x1
	v_dual_fmac_f32 v105, v2, v1 :: v_dual_lshlrev_b32 v2, 16, v23
	v_and_b32_e32 v1, 0xffff0000, v23
	s_wait_loadcnt 0x0
	s_delay_alu instid0(VALU_DEP_2)
	v_fmac_f32_e32 v105, v5, v2
	s_clause 0x1
	scratch_load_b32 v2, off, off offset:208
	scratch_load_b32 v5, off, off offset:240
	s_wait_loadcnt 0x1
	v_fmac_f32_e32 v106, v2, v1
	v_and_b32_e32 v2, 0xffff0000, v19
	s_wait_loadcnt 0x0
	s_delay_alu instid0(VALU_DEP_1)
	v_dual_fmac_f32 v106, v5, v2 :: v_dual_lshlrev_b32 v1, 16, v19
	s_clause 0x1
	scratch_load_b32 v2, off, off offset:244
	scratch_load_b32 v5, off, off offset:276
	s_wait_loadcnt 0x1
	v_dual_fmac_f32 v105, v2, v1 :: v_dual_lshlrev_b32 v2, 16, v15
	v_and_b32_e32 v1, 0xffff0000, v15
	s_wait_loadcnt 0x0
	s_delay_alu instid0(VALU_DEP_2) | instskip(SKIP_3) | instid1(VALU_DEP_1)
	v_fmac_f32_e32 v105, v5, v2
	scratch_load_b32 v2, off, off offset:272 ; 4-byte Folded Reload
	s_wait_loadcnt 0x0
	v_dual_fmac_f32 v106, v2, v1 :: v_dual_lshlrev_b32 v1, 16, v11
	v_dual_fmac_f32 v105, v129, v1 :: v_dual_and_b32 v2, 0xffff0000, v11
	s_delay_alu instid0(VALU_DEP_1) | instskip(SKIP_1) | instid1(VALU_DEP_1)
	v_dual_fmac_f32 v106, v128, v2 :: v_dual_and_b32 v1, 0xffff0000, v7
	v_lshlrev_b32_e32 v2, 16, v7
	v_dual_fmac_f32 v106, v136, v1 :: v_dual_fmac_f32 v105, v137, v2
	v_lshlrev_b32_e32 v1, 16, v3
	v_and_b32_e32 v2, 0xffff0000, v3
	scratch_load_b32 v3, off, off offset:120 ; 4-byte Folded Reload
	v_fmac_f32_e32 v105, v145, v1
	scratch_load_b32 v1, off, off offset:24 ; 4-byte Folded Reload
	v_fmac_f32_e32 v106, v144, v2
	s_wait_loadcnt 0x0
	v_dual_fmac_f32 v111, v1, v38 :: v_dual_and_b32 v2, 0xffff0000, v36
	scratch_load_b32 v1, off, off offset:28 ; 4-byte Folded Reload
	s_wait_loadcnt 0x0
	v_fmac_f32_e32 v110, v1, v37
	scratch_load_b32 v1, off, off offset:92 ; 4-byte Folded Reload
	s_wait_loadcnt 0x0
	v_fmac_f32_e32 v110, v1, v40
	scratch_load_b32 v1, off, off offset:88 ; 4-byte Folded Reload
	s_wait_loadcnt 0x0
	v_fmac_f32_e32 v111, v1, v39
	v_lshlrev_b32_e32 v1, 16, v36
	s_delay_alu instid0(VALU_DEP_2)
	v_fmac_f32_e32 v111, v3, v2
	s_clause 0x1
	scratch_load_b32 v2, off, off offset:124
	scratch_load_b32 v3, off, off offset:156
	s_wait_loadcnt 0x1
	v_fmac_f32_e32 v110, v2, v1
	v_lshlrev_b32_e32 v2, 16, v32
	s_wait_loadcnt 0x0
	s_delay_alu instid0(VALU_DEP_1)
	v_dual_fmac_f32 v110, v3, v2 :: v_dual_and_b32 v1, 0xffff0000, v32
	s_clause 0x1
	scratch_load_b32 v2, off, off offset:152
	scratch_load_b32 v3, off, off offset:184
	s_wait_loadcnt 0x1
	v_dual_fmac_f32 v111, v2, v1 :: v_dual_and_b32 v2, 0xffff0000, v28
	v_lshlrev_b32_e32 v1, 16, v28
	s_wait_loadcnt 0x0
	s_delay_alu instid0(VALU_DEP_2)
	v_fmac_f32_e32 v111, v3, v2
	s_clause 0x1
	scratch_load_b32 v2, off, off offset:188
	scratch_load_b32 v3, off, off offset:220
	s_wait_loadcnt 0x1
	v_fmac_f32_e32 v110, v2, v1
	v_lshlrev_b32_e32 v2, 16, v24
	s_wait_loadcnt 0x0
	s_delay_alu instid0(VALU_DEP_1)
	v_dual_fmac_f32 v110, v3, v2 :: v_dual_and_b32 v1, 0xffff0000, v24
	s_clause 0x1
	scratch_load_b32 v2, off, off offset:216
	scratch_load_b32 v3, off, off offset:248
	s_wait_loadcnt 0x1
	v_dual_fmac_f32 v111, v2, v1 :: v_dual_and_b32 v2, 0xffff0000, v20
	v_lshlrev_b32_e32 v1, 16, v20
	s_wait_loadcnt 0x0
	s_delay_alu instid0(VALU_DEP_2)
	v_fmac_f32_e32 v111, v3, v2
	s_clause 0x1
	scratch_load_b32 v2, off, off offset:252
	scratch_load_b32 v3, off, off offset:284
	s_wait_loadcnt 0x1
	v_fmac_f32_e32 v110, v2, v1
	v_lshlrev_b32_e32 v2, 16, v16
	s_wait_loadcnt 0x0
	s_delay_alu instid0(VALU_DEP_1)
	v_dual_fmac_f32 v110, v3, v2 :: v_dual_and_b32 v1, 0xffff0000, v16
	scratch_load_b32 v2, off, off offset:280 ; 4-byte Folded Reload
	s_wait_loadcnt 0x0
	v_fmac_f32_e32 v111, v2, v1
	v_lshlrev_b32_e32 v1, 16, v12
	v_and_b32_e32 v2, 0xffff0000, v12
	s_delay_alu instid0(VALU_DEP_1) | instskip(SKIP_1) | instid1(VALU_DEP_1)
	v_dual_fmac_f32 v110, v131, v1 :: v_dual_fmac_f32 v111, v130, v2
	v_and_b32_e32 v1, 0xffff0000, v8
	v_dual_fmac_f32 v111, v138, v1 :: v_dual_lshlrev_b32 v2, 16, v8
	s_delay_alu instid0(VALU_DEP_1) | instskip(SKIP_1) | instid1(VALU_DEP_1)
	v_dual_fmac_f32 v110, v139, v2 :: v_dual_lshlrev_b32 v1, 16, v4
	v_and_b32_e32 v2, 0xffff0000, v4
	v_dual_fmac_f32 v110, v147, v1 :: v_dual_fmac_f32 v111, v146, v2
	global_load_b128 v[1:4], v[43:44], off offset:6144
	s_wait_loadcnt 0x0
	v_lshlrev_b32_e32 v113, 16, v4
	v_and_b32_e32 v116, 0xffff0000, v1
	v_and_b32_e32 v118, 0xffff0000, v2
	v_lshlrev_b32_e32 v119, 16, v2
	v_and_b32_e32 v120, 0xffff0000, v3
	v_lshlrev_b32_e32 v121, 16, v3
	v_dual_fmac_f32 v110, v155, v113 :: v_dual_and_b32 v99, 0xffff0000, v4
	v_lshlrev_b32_e32 v117, 16, v1
	global_load_b128 v[1:4], v[43:44], off offset:6656
	v_dual_fmac_f32 v102, v148, v116 :: v_dual_fmac_f32 v103, v151, v119
	v_fmac_f32_e32 v104, v150, v118
	v_fmac_f32_e32 v106, v152, v120
	s_wait_loadcnt 0x0
	v_lshlrev_b32_e32 v114, 16, v4
	v_lshlrev_b32_e32 v122, 16, v1
	;; [unrolled: 1-line block ×3, first 2 shown]
	v_and_b32_e32 v125, 0xffff0000, v2
	v_lshlrev_b32_e32 v126, 16, v3
	v_and_b32_e32 v127, 0xffff0000, v3
	v_dual_fmac_f32 v110, v163, v114 :: v_dual_and_b32 v115, 0xffff0000, v4
	v_and_b32_e32 v123, 0xffff0000, v1
	s_clause 0x9
	global_load_b128 v[37:40], v[43:44], off offset:7168
	global_load_b128 v[33:36], v[43:44], off offset:7680
	;; [unrolled: 1-line block ×10, first 2 shown]
	v_fmac_f32_e32 v101, v149, v117
	v_dual_fmac_f32 v104, v158, v125 :: v_dual_fmac_f32 v103, v159, v124
	v_fmac_f32_e32 v102, v156, v123
	s_delay_alu instid0(VALU_DEP_3) | instskip(SKIP_2) | instid1(VALU_DEP_1)
	v_dual_fmac_f32 v106, v160, v127 :: v_dual_fmac_f32 v101, v157, v122
	s_wait_loadcnt 0x9
	v_and_b32_e32 v43, 0xffff0000, v37
	v_dual_fmac_f32 v102, v164, v43 :: v_dual_lshlrev_b32 v37, 16, v37
	s_delay_alu instid0(VALU_DEP_1) | instskip(SKIP_3) | instid1(VALU_DEP_2)
	v_fmac_f32_e32 v101, v165, v37
	s_wait_loadcnt 0x8
	v_lshlrev_b32_e32 v37, 16, v33
	v_and_b32_e32 v33, 0xffff0000, v33
	v_fmac_f32_e32 v101, v173, v37
	s_delay_alu instid0(VALU_DEP_2) | instskip(SKIP_3) | instid1(VALU_DEP_2)
	v_fmac_f32_e32 v102, v172, v33
	s_wait_loadcnt 0x7
	v_and_b32_e32 v33, 0xffff0000, v29
	v_lshlrev_b32_e32 v29, 16, v29
	v_fmac_f32_e32 v102, v180, v33
	s_delay_alu instid0(VALU_DEP_2) | instskip(SKIP_3) | instid1(VALU_DEP_2)
	v_fmac_f32_e32 v101, v181, v29
	s_wait_loadcnt 0x6
	v_lshlrev_b32_e32 v29, 16, v25
	v_and_b32_e32 v25, 0xffff0000, v25
	v_fmac_f32_e32 v101, v189, v29
	s_delay_alu instid0(VALU_DEP_2) | instskip(SKIP_3) | instid1(VALU_DEP_2)
	v_fmac_f32_e32 v102, v188, v25
	s_wait_loadcnt 0x5
	v_and_b32_e32 v25, 0xffff0000, v21
	v_lshlrev_b32_e32 v21, 16, v21
	v_fmac_f32_e32 v102, v48, v25
	s_delay_alu instid0(VALU_DEP_2) | instskip(SKIP_3) | instid1(VALU_DEP_2)
	v_fmac_f32_e32 v101, v108, v21
	s_wait_loadcnt 0x4
	v_lshlrev_b32_e32 v21, 16, v17
	v_and_b32_e32 v17, 0xffff0000, v17
	v_fmac_f32_e32 v101, v55, v21
	s_delay_alu instid0(VALU_DEP_2) | instskip(SKIP_3) | instid1(VALU_DEP_2)
	v_fmac_f32_e32 v102, v54, v17
	s_wait_loadcnt 0x3
	v_and_b32_e32 v17, 0xffff0000, v13
	v_lshlrev_b32_e32 v13, 16, v13
	v_fmac_f32_e32 v102, v62, v17
	s_delay_alu instid0(VALU_DEP_2) | instskip(SKIP_3) | instid1(VALU_DEP_2)
	v_fmac_f32_e32 v101, v63, v13
	s_wait_loadcnt 0x2
	v_lshlrev_b32_e32 v13, 16, v9
	v_and_b32_e32 v9, 0xffff0000, v9
	v_fmac_f32_e32 v101, v71, v13
	s_delay_alu instid0(VALU_DEP_2) | instskip(SKIP_3) | instid1(VALU_DEP_2)
	v_fmac_f32_e32 v102, v70, v9
	s_wait_loadcnt 0x1
	v_and_b32_e32 v9, 0xffff0000, v5
	v_lshlrev_b32_e32 v5, 16, v5
	v_fmac_f32_e32 v102, v78, v9
	s_delay_alu instid0(VALU_DEP_2) | instskip(SKIP_3) | instid1(VALU_DEP_2)
	v_fmac_f32_e32 v101, v79, v5
	s_wait_loadcnt 0x0
	v_lshlrev_b32_e32 v5, 16, v1
	v_and_b32_e32 v1, 0xffff0000, v1
	v_fmac_f32_e32 v101, v88, v5
	s_delay_alu instid0(VALU_DEP_2) | instskip(NEXT) | instid1(VALU_DEP_1)
	v_dual_fmac_f32 v102, v87, v1 :: v_dual_and_b32 v1, 0xffff0000, v38
	v_dual_fmac_f32 v104, v166, v1 :: v_dual_lshlrev_b32 v5, 16, v38
	s_delay_alu instid0(VALU_DEP_1) | instskip(SKIP_2) | instid1(VALU_DEP_2)
	v_fmac_f32_e32 v103, v167, v5
	v_lshlrev_b32_e32 v1, 16, v34
	v_and_b32_e32 v5, 0xffff0000, v34
	v_fmac_f32_e32 v103, v175, v1
	s_delay_alu instid0(VALU_DEP_2) | instskip(NEXT) | instid1(VALU_DEP_1)
	v_dual_fmac_f32 v104, v174, v5 :: v_dual_and_b32 v1, 0xffff0000, v30
	v_dual_fmac_f32 v104, v182, v1 :: v_dual_lshlrev_b32 v5, 16, v30
	s_delay_alu instid0(VALU_DEP_1) | instskip(SKIP_2) | instid1(VALU_DEP_2)
	v_fmac_f32_e32 v103, v183, v5
	;; [unrolled: 8-line block ×3, first 2 shown]
	v_lshlrev_b32_e32 v1, 16, v18
	v_and_b32_e32 v5, 0xffff0000, v18
	v_fmac_f32_e32 v103, v57, v1
	s_delay_alu instid0(VALU_DEP_2) | instskip(NEXT) | instid1(VALU_DEP_1)
	v_dual_fmac_f32 v104, v56, v5 :: v_dual_and_b32 v1, 0xffff0000, v14
	v_dual_fmac_f32 v104, v64, v1 :: v_dual_lshlrev_b32 v5, 16, v14
	s_delay_alu instid0(VALU_DEP_1) | instskip(SKIP_3) | instid1(VALU_DEP_3)
	v_fmac_f32_e32 v103, v65, v5
	v_lshlrev_b32_e32 v1, 16, v10
	v_and_b32_e32 v5, 0xffff0000, v10
	v_fmac_f32_e32 v105, v153, v121
	v_fmac_f32_e32 v103, v73, v1
	s_delay_alu instid0(VALU_DEP_3) | instskip(SKIP_1) | instid1(VALU_DEP_2)
	v_dual_fmac_f32 v104, v72, v5 :: v_dual_and_b32 v1, 0xffff0000, v6
	v_lshlrev_b32_e32 v5, 16, v6
	v_dual_fmac_f32 v105, v161, v126 :: v_dual_fmac_f32 v104, v80, v1
	s_delay_alu instid0(VALU_DEP_2) | instskip(SKIP_2) | instid1(VALU_DEP_1)
	v_fmac_f32_e32 v103, v81, v5
	v_lshlrev_b32_e32 v1, 16, v2
	v_dual_fmac_f32 v111, v154, v99 :: v_dual_and_b32 v2, 0xffff0000, v2
	v_dual_fmac_f32 v103, v90, v1 :: v_dual_fmac_f32 v104, v89, v2
	v_and_b32_e32 v1, 0xffff0000, v39
	v_lshlrev_b32_e32 v2, 16, v39
	s_delay_alu instid0(VALU_DEP_1) | instskip(SKIP_1) | instid1(VALU_DEP_1)
	v_dual_fmac_f32 v106, v168, v1 :: v_dual_fmac_f32 v105, v169, v2
	v_lshlrev_b32_e32 v1, 16, v35
	v_dual_fmac_f32 v105, v177, v1 :: v_dual_and_b32 v2, 0xffff0000, v35
	s_delay_alu instid0(VALU_DEP_1) | instskip(SKIP_1) | instid1(VALU_DEP_1)
	v_dual_fmac_f32 v106, v176, v2 :: v_dual_and_b32 v1, 0xffff0000, v31
	v_lshlrev_b32_e32 v2, 16, v31
	v_dual_fmac_f32 v106, v184, v1 :: v_dual_fmac_f32 v105, v185, v2
	v_lshlrev_b32_e32 v1, 16, v27
	s_delay_alu instid0(VALU_DEP_1) | instskip(NEXT) | instid1(VALU_DEP_1)
	v_dual_fmac_f32 v105, v47, v1 :: v_dual_and_b32 v2, 0xffff0000, v27
	v_dual_fmac_f32 v106, v46, v2 :: v_dual_and_b32 v1, 0xffff0000, v23
	v_lshlrev_b32_e32 v2, 16, v23
	s_delay_alu instid0(VALU_DEP_1) | instskip(SKIP_1) | instid1(VALU_DEP_1)
	v_dual_fmac_f32 v106, v50, v1 :: v_dual_fmac_f32 v105, v51, v2
	v_lshlrev_b32_e32 v1, 16, v19
	v_dual_fmac_f32 v105, v59, v1 :: v_dual_and_b32 v2, 0xffff0000, v19
	s_delay_alu instid0(VALU_DEP_1) | instskip(SKIP_1) | instid1(VALU_DEP_1)
	v_dual_fmac_f32 v106, v58, v2 :: v_dual_and_b32 v1, 0xffff0000, v15
	v_lshlrev_b32_e32 v2, 16, v15
	v_dual_fmac_f32 v106, v66, v1 :: v_dual_fmac_f32 v105, v67, v2
	v_lshlrev_b32_e32 v1, 16, v11
	v_and_b32_e32 v2, 0xffff0000, v11
	v_fmac_f32_e32 v111, v162, v115
	s_delay_alu instid0(VALU_DEP_2) | instskip(SKIP_2) | instid1(VALU_DEP_1)
	v_dual_fmac_f32 v105, v75, v1 :: v_dual_fmac_f32 v106, v74, v2
	v_and_b32_e32 v1, 0xffff0000, v7
	v_lshlrev_b32_e32 v2, 16, v7
	v_dual_fmac_f32 v106, v82, v1 :: v_dual_fmac_f32 v105, v83, v2
	v_lshlrev_b32_e32 v1, 16, v3
	s_delay_alu instid0(VALU_DEP_1) | instskip(NEXT) | instid1(VALU_DEP_1)
	v_dual_fmac_f32 v105, v92, v1 :: v_dual_and_b32 v2, 0xffff0000, v3
	v_dual_fmac_f32 v106, v91, v2 :: v_dual_and_b32 v1, 0xffff0000, v40
	s_delay_alu instid0(VALU_DEP_1) | instskip(NEXT) | instid1(VALU_DEP_1)
	v_dual_fmac_f32 v111, v170, v1 :: v_dual_lshlrev_b32 v2, 16, v40
	v_dual_fmac_f32 v110, v171, v2 :: v_dual_lshlrev_b32 v1, 16, v36
	v_and_b32_e32 v2, 0xffff0000, v36
	s_delay_alu instid0(VALU_DEP_1) | instskip(SKIP_1) | instid1(VALU_DEP_1)
	v_dual_fmac_f32 v110, v179, v1 :: v_dual_fmac_f32 v111, v178, v2
	v_and_b32_e32 v1, 0xffff0000, v32
	v_dual_fmac_f32 v111, v186, v1 :: v_dual_lshlrev_b32 v2, 16, v32
	s_delay_alu instid0(VALU_DEP_1) | instskip(SKIP_1) | instid1(VALU_DEP_1)
	v_dual_fmac_f32 v110, v187, v2 :: v_dual_lshlrev_b32 v1, 16, v28
	v_and_b32_e32 v2, 0xffff0000, v28
	v_dual_fmac_f32 v110, v107, v1 :: v_dual_fmac_f32 v111, v45, v2
	v_and_b32_e32 v1, 0xffff0000, v24
	s_delay_alu instid0(VALU_DEP_1) | instskip(NEXT) | instid1(VALU_DEP_1)
	v_dual_fmac_f32 v111, v52, v1 :: v_dual_lshlrev_b32 v2, 16, v24
	v_dual_fmac_f32 v110, v53, v2 :: v_dual_lshlrev_b32 v1, 16, v20
	v_and_b32_e32 v2, 0xffff0000, v20
	s_delay_alu instid0(VALU_DEP_1) | instskip(SKIP_1) | instid1(VALU_DEP_1)
	v_dual_fmac_f32 v110, v61, v1 :: v_dual_fmac_f32 v111, v60, v2
	v_and_b32_e32 v1, 0xffff0000, v16
	v_dual_fmac_f32 v111, v68, v1 :: v_dual_lshlrev_b32 v2, 16, v16
	s_delay_alu instid0(VALU_DEP_1) | instskip(SKIP_1) | instid1(VALU_DEP_1)
	v_dual_fmac_f32 v110, v69, v2 :: v_dual_lshlrev_b32 v1, 16, v12
	v_and_b32_e32 v2, 0xffff0000, v12
	v_dual_fmac_f32 v110, v77, v1 :: v_dual_fmac_f32 v111, v76, v2
	v_and_b32_e32 v1, 0xffff0000, v8
	s_delay_alu instid0(VALU_DEP_1) | instskip(NEXT) | instid1(VALU_DEP_1)
	v_dual_fmac_f32 v111, v84, v1 :: v_dual_lshlrev_b32 v2, 16, v8
	v_dual_fmac_f32 v110, v85, v2 :: v_dual_lshlrev_b32 v1, 16, v4
	v_and_b32_e32 v2, 0xffff0000, v4
	s_delay_alu instid0(VALU_DEP_2) | instskip(NEXT) | instid1(VALU_DEP_2)
	v_dual_fmac_f32 v110, v94, v1 :: v_dual_add_f32 v1, v101, v102
	v_fmac_f32_e32 v111, v93, v2
	s_delay_alu instid0(VALU_DEP_2) | instskip(NEXT) | instid1(VALU_DEP_1)
	v_add_f32_e32 v1, v1, v103
	v_add_f32_e32 v1, v104, v1
	s_delay_alu instid0(VALU_DEP_1) | instskip(NEXT) | instid1(VALU_DEP_1)
	v_add_f32_e32 v1, v105, v1
	v_add_f32_e32 v1, v106, v1
	s_delay_alu instid0(VALU_DEP_1) | instskip(NEXT) | instid1(VALU_DEP_1)
	v_add_f32_e32 v1, v110, v1
	v_add_f32_e32 v1, v111, v1
	s_delay_alu instid0(VALU_DEP_1) | instskip(SKIP_1) | instid1(VALU_DEP_1)
	v_fmac_f32_e32 v100, s5, v1
	s_wait_alu 0xf1ff
	v_cndmask_b32_e64 v1, 0, v100, s3
	ds_store_b32 v95, v1
	v_max_num_f32_e32 v1, v86, v86
	v_add_nc_u32_e32 v95, 0x200, v95
	s_delay_alu instid0(VALU_DEP_2) | instskip(NEXT) | instid1(VALU_DEP_1)
	v_max_num_f32_e32 v1, v1, v100
	v_cndmask_b32_e64 v86, v86, v1, s3
	v_add_co_u32 v41, s3, v41, 16
	s_wait_alu 0xf1ff
	v_add_co_ci_u32_e64 v42, null, 0, v42, s3
	v_cmp_le_i32_e64 s3, s13, v109
	s_or_b32 s10, s3, s10
	s_wait_alu 0xfffe
	s_and_not1_b32 exec_lo, exec_lo, s10
	s_cbranch_execnz .LBB187_7
; %bb.8:
	s_or_b32 exec_lo, exec_lo, s10
	s_clause 0x5
	scratch_load_b32 v148, off, off offset:304
	scratch_load_b32 v95, off, off offset:308
	;; [unrolled: 1-line block ×6, first 2 shown]
	v_lshlrev_b32_e32 v11, 2, v112
.LBB187_9:
	s_or_b32 exec_lo, exec_lo, s6
	v_mbcnt_lo_u32_b32 v0, -1, 0
	s_clause 0x2
	s_load_b128 s[4:7], s[0:1], 0x0
	s_load_b64 s[10:11], s[0:1], 0x10
	s_load_b64 s[22:23], s[0:1], 0x28
	v_max_num_f32_e32 v4, v86, v86
	v_xor_b32_e32 v1, 16, v0
	v_xor_b32_e32 v3, 8, v0
	s_delay_alu instid0(VALU_DEP_2) | instskip(SKIP_2) | instid1(VALU_DEP_3)
	v_cmp_gt_i32_e32 vcc_lo, 32, v1
	s_wait_alu 0xfffd
	v_cndmask_b32_e32 v1, v0, v1, vcc_lo
	v_cmp_gt_i32_e32 vcc_lo, 32, v3
	s_delay_alu instid0(VALU_DEP_2)
	v_lshlrev_b32_e32 v1, 2, v1
	s_wait_alu 0xfffd
	v_cndmask_b32_e32 v3, v0, v3, vcc_lo
	ds_bpermute_b32 v2, v1, v86
	s_wait_dscnt 0x0
	v_dual_max_num_f32 v5, v2, v2 :: v_dual_lshlrev_b32 v2, 2, v3
	s_delay_alu instid0(VALU_DEP_1)
	v_max_num_f32_e32 v3, v4, v5
	v_xor_b32_e32 v5, 4, v0
	ds_bpermute_b32 v4, v2, v3
	v_cmp_gt_i32_e32 vcc_lo, 32, v5
	s_wait_alu 0xfffd
	v_cndmask_b32_e32 v5, v0, v5, vcc_lo
	s_wait_dscnt 0x0
	v_max_num_f32_e32 v6, v4, v4
	s_delay_alu instid0(VALU_DEP_1)
	v_dual_max_num_f32 v3, v3, v6 :: v_dual_lshlrev_b32 v4, 2, v5
	v_xor_b32_e32 v6, 2, v0
	ds_bpermute_b32 v5, v4, v3
	v_cmp_gt_i32_e32 vcc_lo, 32, v6
	s_wait_dscnt 0x0
	s_wait_alu 0xfffd
	v_dual_cndmask_b32 v6, v0, v6 :: v_dual_max_num_f32 v5, v5, v5
	s_delay_alu instid0(VALU_DEP_1) | instskip(NEXT) | instid1(VALU_DEP_2)
	v_max_num_f32_e32 v3, v3, v5
	v_lshlrev_b32_e32 v111, 2, v6
	v_xor_b32_e32 v6, 1, v0
	s_delay_alu instid0(VALU_DEP_1)
	v_cmp_gt_i32_e32 vcc_lo, 32, v6
	s_wait_alu 0xfffd
	v_cndmask_b32_e32 v6, v0, v6, vcc_lo
	ds_bpermute_b32 v5, v111, v3
	s_wait_loadcnt 0x3
	v_cmp_eq_u32_e32 vcc_lo, 0, v98
	s_wait_dscnt 0x0
	v_dual_max_num_f32 v5, v5, v5 :: v_dual_lshlrev_b32 v110, 2, v6
	s_delay_alu instid0(VALU_DEP_1)
	v_dual_max_num_f32 v0, v3, v5 :: v_dual_lshlrev_b32 v5, 2, v95
	ds_bpermute_b32 v3, v110, v0
	s_and_saveexec_b32 s0, vcc_lo
	s_cbranch_execz .LBB187_11
; %bb.10:
	s_wait_dscnt 0x0
	v_dual_max_num_f32 v3, v3, v3 :: v_dual_max_num_f32 v0, v0, v0
	s_delay_alu instid0(VALU_DEP_1)
	v_max_num_f32_e32 v0, v0, v3
	ds_store_b32 v5, v0 offset:384
.LBB187_11:
	s_or_b32 exec_lo, exec_lo, s0
	v_cmp_gt_u32_e64 s0, 4, v98
	v_mov_b32_e32 v0, 0xff7fffff
	s_wait_storecnt 0x0
	s_wait_loadcnt_dscnt 0x0
	s_barrier_signal -1
	s_barrier_wait -1
	global_inv scope:SCOPE_SE
	s_and_saveexec_b32 s1, s0
; %bb.12:
	ds_load_b32 v0, v13 offset:384
; %bb.13:
	s_or_b32 exec_lo, exec_lo, s1
	s_wait_dscnt 0x0
	ds_bpermute_b32 v3, v111, v0
	v_max_num_f32_e32 v0, v0, v0
	s_sub_co_i32 s1, s13, s28
	v_mov_b32_e32 v6, 0
	s_lshl_b32 s1, s1, 5
	s_delay_alu instid0(SALU_CYCLE_1) | instskip(NEXT) | instid1(SALU_CYCLE_1)
	s_add_co_i32 s1, s1, s26
	s_min_i32 s1, s1, s25
	s_delay_alu instid0(SALU_CYCLE_1) | instskip(NEXT) | instid1(SALU_CYCLE_1)
	s_sub_co_i32 s21, s1, s26
	v_cmp_gt_i32_e64 s1, s21, v148
	s_wait_dscnt 0x0
	v_max_num_f32_e32 v3, v3, v3
	s_delay_alu instid0(VALU_DEP_1) | instskip(SKIP_3) | instid1(VALU_DEP_1)
	v_max_num_f32_e32 v0, v0, v3
	ds_bpermute_b32 v3, v110, v0
	s_wait_dscnt 0x0
	v_max_num_f32_e32 v3, v3, v3
	v_max_num_f32_e32 v0, v0, v3
	v_lshl_add_u32 v3, v148, 2, 0x1a0
	ds_bpermute_b32 v0, v6, v0
	s_and_saveexec_b32 s28, s1
	s_cbranch_execz .LBB187_17
; %bb.14:
	v_lshl_add_u32 v7, v148, 2, 0x1a0
	v_mov_b32_e32 v6, 0
	v_mov_b32_e32 v8, v148
	s_mov_b32 s29, 0
.LBB187_15:                             ; =>This Inner Loop Header: Depth=1
	ds_load_b32 v9, v7
	v_add_nc_u32_e32 v8, 0x80, v8
	s_delay_alu instid0(VALU_DEP_1) | instskip(SKIP_4) | instid1(VALU_DEP_1)
	v_cmp_le_i32_e64 s3, s21, v8
	s_wait_alu 0xfffe
	s_or_b32 s29, s3, s29
	s_wait_dscnt 0x0
	v_sub_f32_e32 v9, v9, v0
	v_mul_f32_e32 v9, 0x3fb8aa3b, v9
	s_delay_alu instid0(VALU_DEP_1)
	v_exp_f32_e32 v9, v9
	ds_store_b32 v7, v9
	v_dual_add_f32 v6, v6, v9 :: v_dual_add_nc_u32 v7, 0x200, v7
	s_wait_alu 0xfffe
	s_and_not1_b32 exec_lo, exec_lo, s29
	s_cbranch_execnz .LBB187_15
; %bb.16:
	s_or_b32 exec_lo, exec_lo, s29
.LBB187_17:
	s_wait_alu 0xfffe
	s_or_b32 exec_lo, exec_lo, s28
	ds_bpermute_b32 v1, v1, v6
	s_wait_dscnt 0x0
	v_add_f32_e32 v1, v6, v1
	ds_bpermute_b32 v2, v2, v1
	s_wait_dscnt 0x0
	v_add_f32_e32 v1, v1, v2
	;; [unrolled: 3-line block ×5, first 2 shown]
	s_and_saveexec_b32 s3, vcc_lo
; %bb.18:
	ds_store_b32 v5, v1 offset:400
; %bb.19:
	s_wait_alu 0xfffe
	s_or_b32 exec_lo, exec_lo, s3
	s_wait_loadcnt_dscnt 0x0
	s_barrier_signal -1
	s_barrier_wait -1
	global_inv scope:SCOPE_SE
	s_and_saveexec_b32 s3, s0
; %bb.20:
	ds_load_b32 v1, v13 offset:400
; %bb.21:
	s_wait_alu 0xfffe
	s_or_b32 exec_lo, exec_lo, s3
	s_wait_dscnt 0x0
	ds_bpermute_b32 v2, v111, v1
	s_wait_dscnt 0x0
	v_add_f32_e32 v1, v1, v2
	ds_bpermute_b32 v2, v110, v1
	s_wait_dscnt 0x0
	v_dual_add_f32 v1, v1, v2 :: v_dual_mov_b32 v2, 0
	ds_bpermute_b32 v1, v2, v1
	s_and_saveexec_b32 s0, s1
	s_cbranch_execz .LBB187_24
; %bb.22:
	s_wait_dscnt 0x0
	v_add_f32_e32 v2, 0x358637bd, v1
	s_mov_b32 s1, 0
	s_delay_alu instid0(VALU_DEP_1) | instskip(SKIP_1) | instid1(VALU_DEP_2)
	v_div_scale_f32 v4, null, v2, v2, 1.0
	v_div_scale_f32 v7, vcc_lo, 1.0, v2, 1.0
	v_rcp_f32_e32 v5, v4
	s_delay_alu instid0(TRANS32_DEP_1) | instskip(NEXT) | instid1(VALU_DEP_1)
	v_fma_f32 v6, -v4, v5, 1.0
	v_fmac_f32_e32 v5, v6, v5
	s_delay_alu instid0(VALU_DEP_1) | instskip(NEXT) | instid1(VALU_DEP_1)
	v_mul_f32_e32 v6, v7, v5
	v_fma_f32 v8, -v4, v6, v7
	s_delay_alu instid0(VALU_DEP_1) | instskip(NEXT) | instid1(VALU_DEP_1)
	v_fmac_f32_e32 v6, v8, v5
	v_fma_f32 v4, -v4, v6, v7
	s_wait_alu 0xfffd
	s_delay_alu instid0(VALU_DEP_1) | instskip(NEXT) | instid1(VALU_DEP_1)
	v_div_fmas_f32 v4, v4, v5, v6
	v_div_fixup_f32 v2, v4, v2, 1.0
	v_mov_b32_e32 v4, v148
.LBB187_23:                             ; =>This Inner Loop Header: Depth=1
	ds_load_b32 v5, v3
	s_wait_dscnt 0x0
	v_dual_mul_f32 v5, v2, v5 :: v_dual_add_nc_u32 v4, 0x80, v4
	s_delay_alu instid0(VALU_DEP_1) | instskip(SKIP_3) | instid1(SALU_CYCLE_1)
	v_cmp_le_i32_e32 vcc_lo, s21, v4
	ds_store_b32 v3, v5
	v_add_nc_u32_e32 v3, 0x200, v3
	s_or_b32 s1, vcc_lo, s1
	s_and_not1_b32 exec_lo, exec_lo, s1
	s_cbranch_execnz .LBB187_23
.LBB187_24:
	s_or_b32 exec_lo, exec_lo, s0
	s_mul_i32 s0, s8, s14
	s_wait_loadcnt_dscnt 0x0
	s_mul_i32 s14, s0, s15
	s_mov_b32 s0, exec_lo
	s_barrier_signal -1
	s_barrier_wait -1
	global_inv scope:SCOPE_SE
	v_cmpx_eq_u32_e32 0, v148
	s_cbranch_execz .LBB187_26
; %bb.25:
	s_ashr_i32 s15, s14, 31
	s_mul_i32 s28, s8, ttmp9
	s_lshl_b32 s1, s24, 2
	s_lshl_b64 s[30:31], s[14:15], 2
	s_wait_alu 0xfffe
	s_ashr_i32 s29, s28, 31
	v_mov_b32_e32 v2, s1
	s_wait_kmcnt 0x0
	s_add_nc_u64 s[6:7], s[6:7], s[30:31]
	s_wait_alu 0xfffe
	s_lshl_b64 s[28:29], s[28:29], 2
	s_add_nc_u64 s[4:5], s[4:5], s[30:31]
	s_wait_alu 0xfffe
	s_add_nc_u64 s[6:7], s[6:7], s[28:29]
	s_add_nc_u64 s[4:5], s[4:5], s[28:29]
	s_clause 0x1
	global_store_b32 v2, v0, s[6:7]
	global_store_b32 v2, v1, s[4:5]
.LBB187_26:
	s_or_b32 exec_lo, exec_lo, s0
	v_dual_mov_b32 v134, 0 :: v_dual_and_b32 v107, 3, v148
	v_dual_mov_b32 v136, 0 :: v_dual_mov_b32 v135, 0
	v_dual_mov_b32 v133, 0 :: v_dual_mov_b32 v132, 0
	;; [unrolled: 1-line block ×11, first 2 shown]
	v_mov_b32_e32 v113, 0
	s_and_saveexec_b32 s1, s2
	s_cbranch_execz .LBB187_78
; %bb.27:
	s_ashr_i32 s21, s20, 31
	v_dual_mov_b32 v115, 0 :: v_dual_and_b32 v2, 0x1f0, v10
	s_wait_kmcnt 0x0
	s_wait_alu 0xfffe
	s_lshl_b64 s[4:5], s[20:21], 1
	v_dual_mov_b32 v150, v98 :: v_dual_lshlrev_b32 v1, 5, v107
	v_dual_mov_b32 v113, 0 :: v_dual_lshlrev_b32 v0, 3, v148
	s_wait_alu 0xfffe
	s_add_nc_u64 s[4:5], s[22:23], s[4:5]
	v_mov_b32_e32 v149, v95
	s_wait_alu 0xfffe
	v_add_co_u32 v137, s0, s4, v2
	s_wait_alu 0xf1ff
	v_add_co_ci_u32_e64 v138, null, s5, 0, s0
	s_lshl_b64 s[4:5], s[18:19], 2
	v_and_b32_e32 v0, 24, v0
	v_lshl_or_b32 v1, v95, 7, v1
	s_wait_alu 0xfffe
	s_add_nc_u64 s[4:5], s[16:17], s[4:5]
	v_dual_mov_b32 v114, 0 :: v_dual_mov_b32 v119, 0
	s_wait_alu 0xfffe
	v_add_co_u32 v105, s0, s4, v11
	v_add3_u32 v139, s26, v12, v0
	v_dual_mov_b32 v117, 0 :: v_dual_add_nc_u32 v140, 0x1a0, v1
	s_wait_alu 0xf1ff
	v_add_co_ci_u32_e64 v106, null, s5, 0, s0
	v_dual_mov_b32 v116, 0 :: v_dual_mov_b32 v121, 0
	v_dual_mov_b32 v118, 0 :: v_dual_mov_b32 v123, 0
	;; [unrolled: 1-line block ×8, first 2 shown]
	v_mov_b32_e32 v132, 0
	v_mov_b32_e32 v136, 0
	;; [unrolled: 1-line block ×3, first 2 shown]
	s_mov_b32 s2, s9
	s_add_co_i32 s3, s27, -1
	s_mov_b32 s5, s25
	s_mov_b32 s4, 0
	s_branch .LBB187_29
.LBB187_28:                             ;   in Loop: Header=BB187_29 Depth=1
	s_wait_alu 0xfffe
	s_or_b32 exec_lo, exec_lo, s0
	s_wait_dscnt 0x1
	v_bfe_u32 v0, v69, 16, 1
	v_bfe_u32 v108, v70, 16, 1
	v_or_b32_e32 v109, 0x400000, v69
	v_cmp_u_f32_e32 vcc_lo, v69, v69
	v_or_b32_e32 v141, 0x400000, v70
	v_add3_u32 v0, v0, v69, 0x7fff
	v_bfe_u32 v142, v71, 16, 1
	v_add3_u32 v108, v108, v70, 0x7fff
	v_bfe_u32 v143, v72, 16, 1
	v_add_co_u32 v105, s0, v105, 16
	s_wait_alu 0xfffd
	v_cndmask_b32_e32 v69, v0, v109, vcc_lo
	v_cmp_u_f32_e32 vcc_lo, v70, v70
	v_add3_u32 v70, v142, v71, 0x7fff
	s_wait_dscnt 0x0
	v_bfe_u32 v109, v65, 16, 1
	v_or_b32_e32 v142, 0x400000, v72
	s_wait_alu 0xfffd
	v_dual_cndmask_b32 v0, v108, v141 :: v_dual_add_nc_u32 v139, 0x80, v139
	v_or_b32_e32 v108, 0x400000, v71
	v_cmp_u_f32_e32 vcc_lo, v71, v71
	v_add3_u32 v141, v143, v72, 0x7fff
	v_add3_u32 v71, v109, v65, 0x7fff
	v_bfe_u32 v109, v66, 16, 1
	s_wait_alu 0xf1ff
	v_add_co_ci_u32_e64 v106, null, 0, v106, s0
	s_wait_alu 0xfffd
	v_cndmask_b32_e32 v70, v70, v108, vcc_lo
	v_cmp_u_f32_e32 vcc_lo, v72, v72
	v_or_b32_e32 v108, 0x400000, v65
	v_add3_u32 v109, v109, v66, 0x7fff
	v_and_b32_e32 v69, 0xffff0000, v69
	v_add_nc_u32_e32 v140, 0x200, v140
	s_wait_alu 0xfffd
	v_cndmask_b32_e32 v72, v141, v142, vcc_lo
	v_cmp_u_f32_e32 vcc_lo, v65, v65
	v_bfe_u32 v65, v67, 16, 1
	v_or_b32_e32 v141, 0x400000, v66
	v_or_b32_e32 v142, 0x400000, v67
	v_add_nc_u32_e32 v112, 4, v112
	s_wait_alu 0xfffd
	v_cndmask_b32_e32 v71, v71, v108, vcc_lo
	v_cmp_u_f32_e32 vcc_lo, v66, v66
	v_and_b32_e32 v0, 0xffff0000, v0
	v_add3_u32 v65, v65, v67, 0x7fff
	v_bfe_u32 v66, v68, 16, 1
	v_and_b32_e32 v71, 0xffff0000, v71
	s_wait_alu 0xfffd
	v_cndmask_b32_e32 v109, v109, v141, vcc_lo
	v_cmp_u_f32_e32 vcc_lo, v67, v67
	s_wait_loadcnt 0x1
	v_and_b32_e32 v108, 0xffff0000, v101
	v_lshlrev_b32_e32 v67, 16, v101
	v_add3_u32 v101, v66, v68, 0x7fff
	s_wait_alu 0xfffd
	v_dual_cndmask_b32 v141, v65, v142 :: v_dual_and_b32 v66, 0xffff0000, v72
	v_mul_f32_e32 v108, v0, v108
	v_or_b32_e32 v142, 0x400000, v68
	v_dual_mul_f32 v67, v69, v67 :: v_dual_and_b32 v72, 0xffff0000, v102
	v_cmp_u_f32_e32 vcc_lo, v68, v68
	s_delay_alu instid0(VALU_DEP_4)
	v_bfe_u32 v65, v108, 16, 1
	v_and_b32_e32 v68, 0xffff0000, v70
	v_lshlrev_b32_e32 v70, 16, v102
	v_and_b32_e32 v102, 0xffff0000, v103
	v_lshlrev_b32_e32 v103, 16, v103
	v_add3_u32 v65, v65, v108, 0x7fff
	v_or_b32_e32 v143, 0x400000, v108
	s_delay_alu instid0(VALU_DEP_3)
	v_mul_f32_e32 v103, v71, v103
	s_wait_alu 0xfffd
	v_dual_cndmask_b32 v101, v101, v142 :: v_dual_mul_f32 v72, v66, v72
	v_cmp_u_f32_e32 vcc_lo, v108, v108
	v_bfe_u32 v142, v67, 16, 1
	v_bfe_u32 v146, v103, 16, 1
	s_wait_alu 0xfffd
	v_dual_cndmask_b32 v108, v65, v143 :: v_dual_and_b32 v65, 0xffff0000, v109
	s_delay_alu instid0(VALU_DEP_3) | instskip(SKIP_4) | instid1(VALU_DEP_3)
	v_add3_u32 v109, v142, v67, 0x7fff
	v_or_b32_e32 v142, 0x400000, v67
	v_bfe_u32 v143, v72, 16, 1
	v_cmp_u_f32_e32 vcc_lo, v67, v67
	v_and_b32_e32 v108, 0xffff0000, v108
	v_add3_u32 v67, v143, v72, 0x7fff
	s_wait_alu 0xfffd
	v_cndmask_b32_e32 v109, v109, v142, vcc_lo
	v_or_b32_e32 v142, 0x400000, v72
	v_cmp_u_f32_e32 vcc_lo, v72, v72
	s_delay_alu instid0(VALU_DEP_3) | instskip(SKIP_1) | instid1(VALU_DEP_3)
	v_dual_mul_f32 v102, v65, v102 :: v_dual_and_b32 v109, 0xffff0000, v109
	s_wait_alu 0xfffd
	v_dual_cndmask_b32 v72, v67, v142 :: v_dual_and_b32 v67, 0xffff0000, v101
	v_and_b32_e32 v101, 0xffff0000, v104
	s_delay_alu instid0(VALU_DEP_3) | instskip(SKIP_2) | instid1(VALU_DEP_4)
	v_bfe_u32 v144, v102, 16, 1
	v_or_b32_e32 v145, 0x400000, v102
	v_lshlrev_b32_e32 v104, 16, v104
	v_dual_mul_f32 v101, v67, v101 :: v_dual_and_b32 v72, 0xffff0000, v72
	v_mul_f32_e32 v70, v68, v70
	v_add3_u32 v144, v144, v102, 0x7fff
	v_dual_add_f32 v108, v109, v108 :: v_dual_and_b32 v109, 0xffff0000, v97
	v_lshlrev_b32_e32 v97, 16, v97
	s_delay_alu instid0(VALU_DEP_4) | instskip(SKIP_1) | instid1(VALU_DEP_3)
	v_bfe_u32 v143, v70, 16, 1
	v_cmp_u_f32_e32 vcc_lo, v70, v70
	v_mul_f32_e32 v97, v69, v97
	s_delay_alu instid0(VALU_DEP_3) | instskip(SKIP_2) | instid1(VALU_DEP_1)
	v_add3_u32 v142, v143, v70, 0x7fff
	v_or_b32_e32 v143, 0x400000, v70
	s_wait_alu 0xfffd
	v_cndmask_b32_e32 v142, v142, v143, vcc_lo
	v_cmp_u_f32_e32 vcc_lo, v102, v102
	v_add3_u32 v143, v146, v103, 0x7fff
	s_delay_alu instid0(VALU_DEP_3)
	v_and_b32_e32 v142, 0xffff0000, v142
	s_wait_alu 0xfffd
	v_cndmask_b32_e32 v102, v144, v145, vcc_lo
	v_or_b32_e32 v144, 0x400000, v103
	v_bfe_u32 v145, v101, 16, 1
	v_cmp_u_f32_e32 vcc_lo, v103, v103
	v_add_f32_e32 v72, v142, v72
	s_wait_alu 0xfffd
	v_cndmask_b32_e32 v103, v143, v144, vcc_lo
	v_or_b32_e32 v143, 0x400000, v101
	v_cmp_u_f32_e32 vcc_lo, v101, v101
	v_and_b32_e32 v70, 0xffff0000, v141
	v_add3_u32 v141, v145, v101, 0x7fff
	v_and_b32_e32 v103, 0xffff0000, v103
	s_wait_alu 0xfffd
	s_delay_alu instid0(VALU_DEP_2) | instskip(SKIP_2) | instid1(VALU_DEP_3)
	v_dual_cndmask_b32 v101, v141, v143 :: v_dual_mul_f32 v104, v70, v104
	v_and_b32_e32 v143, 0xffff0000, v100
	v_and_b32_e32 v102, 0xffff0000, v102
	;; [unrolled: 1-line block ×3, first 2 shown]
	s_delay_alu instid0(VALU_DEP_4) | instskip(SKIP_3) | instid1(VALU_DEP_4)
	v_bfe_u32 v141, v104, 16, 1
	v_or_b32_e32 v142, 0x400000, v104
	v_cmp_u_f32_e32 vcc_lo, v104, v104
	v_add_f32_e32 v102, v103, v102
	v_add3_u32 v141, v141, v104, 0x7fff
	s_wait_alu 0xfffd
	s_delay_alu instid0(VALU_DEP_1)
	v_dual_cndmask_b32 v103, v141, v142 :: v_dual_add_f32 v72, v72, v108
	v_mul_f32_e32 v108, v0, v109
	v_and_b32_e32 v142, 0xffff0000, v99
	v_lshlrev_b32_e32 v99, 16, v99
	v_bfe_u32 v141, v97, 16, 1
	v_and_b32_e32 v103, 0xffff0000, v103
	v_bfe_u32 v104, v108, 16, 1
	v_or_b32_e32 v109, 0x400000, v108
	v_cmp_u_f32_e32 vcc_lo, v108, v108
	v_mul_f32_e32 v99, v71, v99
	v_add_f32_e32 v101, v103, v101
	v_add3_u32 v104, v104, v108, 0x7fff
	v_add3_u32 v108, v141, v97, 0x7fff
	s_delay_alu instid0(VALU_DEP_4) | instskip(SKIP_1) | instid1(VALU_DEP_3)
	v_or_b32_e32 v144, 0x400000, v99
	s_wait_alu 0xfffd
	v_cndmask_b32_e32 v104, v104, v109, vcc_lo
	v_or_b32_e32 v109, 0x400000, v97
	v_cmp_u_f32_e32 vcc_lo, v97, v97
	s_wait_alu 0xfffd
	s_delay_alu instid0(VALU_DEP_2) | instskip(SKIP_3) | instid1(VALU_DEP_3)
	v_dual_cndmask_b32 v97, v108, v109 :: v_dual_and_b32 v104, 0xffff0000, v104
	v_add_f32_e32 v72, v102, v72
	v_and_b32_e32 v102, 0xffff0000, v98
	v_lshlrev_b32_e32 v98, 16, v98
	v_dual_add_f32 v72, v101, v72 :: v_dual_and_b32 v97, 0xffff0000, v97
	s_delay_alu instid0(VALU_DEP_3) | instskip(NEXT) | instid1(VALU_DEP_2)
	v_mul_f32_e32 v102, v66, v102
	v_dual_mul_f32 v98, v68, v98 :: v_dual_add_f32 v97, v97, v104
	s_delay_alu instid0(VALU_DEP_3) | instskip(NEXT) | instid1(VALU_DEP_3)
	v_add_f32_e32 v114, v114, v72
	v_bfe_u32 v141, v102, 16, 1
	v_or_b32_e32 v109, 0x400000, v102
	v_cmp_u_f32_e32 vcc_lo, v102, v102
	s_delay_alu instid0(VALU_DEP_3) | instskip(SKIP_2) | instid1(VALU_DEP_2)
	v_add3_u32 v108, v141, v102, 0x7fff
	v_bfe_u32 v141, v98, 16, 1
	s_wait_alu 0xfffd
	v_cndmask_b32_e32 v102, v108, v109, vcc_lo
	s_delay_alu instid0(VALU_DEP_2) | instskip(SKIP_2) | instid1(VALU_DEP_4)
	v_add3_u32 v108, v141, v98, 0x7fff
	v_or_b32_e32 v109, 0x400000, v98
	v_cmp_u_f32_e32 vcc_lo, v98, v98
	v_and_b32_e32 v102, 0xffff0000, v102
	s_wait_alu 0xfffd
	s_delay_alu instid0(VALU_DEP_3) | instskip(SKIP_1) | instid1(VALU_DEP_2)
	v_cndmask_b32_e32 v98, v108, v109, vcc_lo
	v_bfe_u32 v108, v99, 16, 1
	v_and_b32_e32 v98, 0xffff0000, v98
	s_delay_alu instid0(VALU_DEP_2) | instskip(NEXT) | instid1(VALU_DEP_2)
	v_add3_u32 v108, v108, v99, 0x7fff
	v_add_f32_e32 v98, v98, v102
	s_delay_alu instid0(VALU_DEP_1) | instskip(NEXT) | instid1(VALU_DEP_1)
	v_dual_add_f32 v97, v98, v97 :: v_dual_mul_f32 v142, v65, v142
	v_bfe_u32 v141, v142, 16, 1
	v_cmp_u_f32_e32 vcc_lo, v142, v142
	s_delay_alu instid0(VALU_DEP_2) | instskip(SKIP_2) | instid1(VALU_DEP_2)
	v_add3_u32 v109, v141, v142, 0x7fff
	v_mul_f32_e32 v141, v67, v143
	v_or_b32_e32 v143, 0x400000, v142
	v_bfe_u32 v145, v141, 16, 1
	s_wait_alu 0xfffd
	s_delay_alu instid0(VALU_DEP_2) | instskip(SKIP_2) | instid1(VALU_DEP_2)
	v_cndmask_b32_e32 v109, v109, v143, vcc_lo
	v_cmp_u_f32_e32 vcc_lo, v99, v99
	s_wait_alu 0xfffd
	v_dual_cndmask_b32 v99, v108, v144 :: v_dual_and_b32 v102, 0xffff0000, v109
	v_add3_u32 v108, v145, v141, 0x7fff
	v_or_b32_e32 v144, 0x400000, v141
	s_delay_alu instid0(VALU_DEP_3) | instskip(NEXT) | instid1(VALU_DEP_1)
	v_and_b32_e32 v99, 0xffff0000, v99
	v_add_f32_e32 v98, v99, v102
	v_lshlrev_b32_e32 v100, 16, v100
	v_and_b32_e32 v102, 0xffff0000, v93
	v_lshlrev_b32_e32 v93, 16, v93
	s_delay_alu instid0(VALU_DEP_4) | instskip(NEXT) | instid1(VALU_DEP_2)
	v_add_f32_e32 v97, v98, v97
	v_dual_mul_f32 v100, v70, v100 :: v_dual_mul_f32 v93, v69, v93
	s_delay_alu instid0(VALU_DEP_1) | instskip(SKIP_2) | instid1(VALU_DEP_4)
	v_bfe_u32 v146, v100, 16, 1
	v_or_b32_e32 v143, 0x400000, v100
	v_cmp_u_f32_e32 vcc_lo, v100, v100
	v_bfe_u32 v72, v93, 16, 1
	v_or_b32_e32 v101, 0x400000, v93
	v_add3_u32 v142, v146, v100, 0x7fff
	s_delay_alu instid0(VALU_DEP_3) | instskip(SKIP_1) | instid1(VALU_DEP_2)
	v_add3_u32 v72, v72, v93, 0x7fff
	s_wait_alu 0xfffd
	v_cndmask_b32_e32 v100, v142, v143, vcc_lo
	v_cmp_u_f32_e32 vcc_lo, v141, v141
	s_delay_alu instid0(VALU_DEP_2) | instskip(SKIP_2) | instid1(VALU_DEP_1)
	v_and_b32_e32 v99, 0xffff0000, v100
	s_wait_alu 0xfffd
	v_cndmask_b32_e32 v104, v108, v144, vcc_lo
	v_and_b32_e32 v100, 0xffff0000, v104
	s_delay_alu instid0(VALU_DEP_1) | instskip(SKIP_1) | instid1(VALU_DEP_2)
	v_dual_add_f32 v98, v99, v100 :: v_dual_mul_f32 v99, v0, v102
	v_and_b32_e32 v102, 0xffff0000, v96
	v_dual_add_f32 v97, v98, v97 :: v_dual_lshlrev_b32 v96, 16, v96
	s_delay_alu instid0(VALU_DEP_3) | instskip(SKIP_1) | instid1(VALU_DEP_3)
	v_bfe_u32 v98, v99, 16, 1
	v_cmp_u_f32_e32 vcc_lo, v99, v99
	v_dual_mul_f32 v96, v70, v96 :: v_dual_add_f32 v115, v115, v97
	s_delay_alu instid0(VALU_DEP_3) | instskip(SKIP_2) | instid1(VALU_DEP_1)
	v_add3_u32 v97, v98, v99, 0x7fff
	v_or_b32_e32 v98, 0x400000, v99
	s_wait_alu 0xfffd
	v_cndmask_b32_e32 v97, v97, v98, vcc_lo
	v_cmp_u_f32_e32 vcc_lo, v93, v93
	s_delay_alu instid0(VALU_DEP_2) | instskip(SKIP_2) | instid1(VALU_DEP_1)
	v_and_b32_e32 v97, 0xffff0000, v97
	s_wait_alu 0xfffd
	v_cndmask_b32_e32 v72, v72, v101, vcc_lo
	v_and_b32_e32 v72, 0xffff0000, v72
	s_delay_alu instid0(VALU_DEP_1) | instskip(SKIP_4) | instid1(VALU_DEP_2)
	v_add_f32_e32 v72, v72, v97
	v_and_b32_e32 v97, 0xffff0000, v89
	v_and_b32_e32 v100, 0xffff0000, v94
	v_lshlrev_b32_e32 v89, 16, v89
	v_lshlrev_b32_e32 v94, 16, v94
	v_dual_mul_f32 v100, v66, v100 :: v_dual_mul_f32 v89, v69, v89
	s_delay_alu instid0(VALU_DEP_2) | instskip(SKIP_1) | instid1(VALU_DEP_3)
	v_dual_mul_f32 v93, v68, v94 :: v_dual_and_b32 v94, 0xffff0000, v95
	v_lshlrev_b32_e32 v95, 16, v95
	v_bfe_u32 v98, v100, 16, 1
	v_or_b32_e32 v99, 0x400000, v100
	v_cmp_u_f32_e32 vcc_lo, v100, v100
	v_bfe_u32 v101, v93, 16, 1
	v_mul_f32_e32 v94, v65, v94
	v_add3_u32 v98, v98, v100, 0x7fff
	v_mul_f32_e32 v95, v71, v95
	v_or_b32_e32 v100, 0x400000, v93
	s_wait_alu 0xfffd
	s_delay_alu instid0(VALU_DEP_3)
	v_cndmask_b32_e32 v98, v98, v99, vcc_lo
	v_add3_u32 v99, v101, v93, 0x7fff
	v_bfe_u32 v101, v94, 16, 1
	v_cmp_u_f32_e32 vcc_lo, v93, v93
	v_bfe_u32 v103, v95, 16, 1
	s_wait_alu 0xfffd
	v_dual_cndmask_b32 v93, v99, v100 :: v_dual_and_b32 v98, 0xffff0000, v98
	v_add3_u32 v99, v101, v94, 0x7fff
	v_mul_f32_e32 v100, v67, v102
	v_or_b32_e32 v101, 0x400000, v94
	v_cmp_u_f32_e32 vcc_lo, v94, v94
	v_add3_u32 v102, v103, v95, 0x7fff
	v_or_b32_e32 v103, 0x400000, v95
	v_bfe_u32 v104, v100, 16, 1
	v_and_b32_e32 v93, 0xffff0000, v93
	s_wait_alu 0xfffd
	v_cndmask_b32_e32 v94, v99, v101, vcc_lo
	v_cmp_u_f32_e32 vcc_lo, v95, v95
	v_or_b32_e32 v101, 0x400000, v100
	v_add3_u32 v99, v104, v100, 0x7fff
	v_add_f32_e32 v93, v93, v98
	s_wait_alu 0xfffd
	v_dual_cndmask_b32 v95, v102, v103 :: v_dual_and_b32 v94, 0xffff0000, v94
	v_bfe_u32 v102, v96, 16, 1
	v_cmp_u_f32_e32 vcc_lo, v100, v100
	v_dual_add_f32 v72, v93, v72 :: v_dual_mul_f32 v93, v0, v97
	s_delay_alu instid0(VALU_DEP_4) | instskip(NEXT) | instid1(VALU_DEP_4)
	v_and_b32_e32 v95, 0xffff0000, v95
	v_add3_u32 v100, v102, v96, 0x7fff
	s_wait_alu 0xfffd
	v_cndmask_b32_e32 v99, v99, v101, vcc_lo
	v_or_b32_e32 v101, 0x400000, v96
	v_cmp_u_f32_e32 vcc_lo, v96, v96
	v_add_f32_e32 v94, v95, v94
	v_bfe_u32 v97, v93, 16, 1
	v_bfe_u32 v98, v89, 16, 1
	s_wait_alu 0xfffd
	v_cndmask_b32_e32 v96, v100, v101, vcc_lo
	v_cmp_u_f32_e32 vcc_lo, v93, v93
	s_delay_alu instid0(VALU_DEP_2) | instskip(SKIP_3) | instid1(VALU_DEP_3)
	v_and_b32_e32 v95, 0xffff0000, v96
	v_and_b32_e32 v96, 0xffff0000, v99
	;; [unrolled: 1-line block ×3, first 2 shown]
	v_lshlrev_b32_e32 v91, 16, v91
	v_add_f32_e32 v95, v95, v96
	v_add3_u32 v96, v97, v93, 0x7fff
	v_or_b32_e32 v97, 0x400000, v93
	v_mul_f32_e32 v99, v65, v99
	v_mul_f32_e32 v91, v71, v91
	s_wait_alu 0xfffd
	s_delay_alu instid0(VALU_DEP_3)
	v_cndmask_b32_e32 v93, v96, v97, vcc_lo
	v_add3_u32 v96, v98, v89, 0x7fff
	v_or_b32_e32 v97, 0x400000, v89
	v_cmp_u_f32_e32 vcc_lo, v89, v89
	v_or_b32_e32 v101, 0x400000, v91
	v_and_b32_e32 v93, 0xffff0000, v93
	s_wait_alu 0xfffd
	v_cndmask_b32_e32 v89, v96, v97, vcc_lo
	s_delay_alu instid0(VALU_DEP_1) | instskip(NEXT) | instid1(VALU_DEP_1)
	v_dual_add_f32 v72, v94, v72 :: v_dual_and_b32 v89, 0xffff0000, v89
	v_dual_add_f32 v89, v89, v93 :: v_dual_and_b32 v94, 0xffff0000, v90
	v_lshlrev_b32_e32 v90, 16, v90
	s_delay_alu instid0(VALU_DEP_2) | instskip(NEXT) | instid1(VALU_DEP_2)
	v_mul_f32_e32 v94, v66, v94
	v_mul_f32_e32 v90, v68, v90
	s_delay_alu instid0(VALU_DEP_2) | instskip(SKIP_2) | instid1(VALU_DEP_3)
	v_bfe_u32 v98, v94, 16, 1
	v_or_b32_e32 v97, 0x400000, v94
	v_cmp_u_f32_e32 vcc_lo, v94, v94
	v_add3_u32 v96, v98, v94, 0x7fff
	v_bfe_u32 v98, v90, 16, 1
	s_wait_alu 0xfffd
	s_delay_alu instid0(VALU_DEP_2) | instskip(NEXT) | instid1(VALU_DEP_2)
	v_cndmask_b32_e32 v94, v96, v97, vcc_lo
	v_add3_u32 v96, v98, v90, 0x7fff
	v_or_b32_e32 v97, 0x400000, v90
	v_cmp_u_f32_e32 vcc_lo, v90, v90
	v_bfe_u32 v98, v99, 16, 1
	v_and_b32_e32 v94, 0xffff0000, v94
	s_wait_alu 0xfffd
	v_cndmask_b32_e32 v90, v96, v97, vcc_lo
	v_bfe_u32 v96, v91, 16, 1
	v_add3_u32 v97, v98, v99, 0x7fff
	v_cmp_u_f32_e32 vcc_lo, v99, v99
	s_delay_alu instid0(VALU_DEP_4) | instskip(NEXT) | instid1(VALU_DEP_4)
	v_and_b32_e32 v90, 0xffff0000, v90
	v_add3_u32 v96, v96, v91, 0x7fff
	s_delay_alu instid0(VALU_DEP_2) | instskip(NEXT) | instid1(VALU_DEP_1)
	v_add_f32_e32 v90, v90, v94
	v_dual_add_f32 v89, v90, v89 :: v_dual_and_b32 v100, 0xffff0000, v92
	s_delay_alu instid0(VALU_DEP_1) | instskip(SKIP_2) | instid1(VALU_DEP_1)
	v_mul_f32_e32 v98, v67, v100
	v_or_b32_e32 v100, 0x400000, v99
	s_wait_alu 0xfffd
	v_cndmask_b32_e32 v97, v97, v100, vcc_lo
	v_cmp_u_f32_e32 vcc_lo, v91, v91
	s_delay_alu instid0(VALU_DEP_2) | instskip(SKIP_2) | instid1(VALU_DEP_1)
	v_and_b32_e32 v93, 0xffff0000, v97
	s_wait_alu 0xfffd
	v_dual_cndmask_b32 v91, v96, v101 :: v_dual_add_f32 v72, v95, v72
	v_dual_add_f32 v116, v116, v72 :: v_dual_and_b32 v91, 0xffff0000, v91
	s_delay_alu instid0(VALU_DEP_1) | instskip(SKIP_2) | instid1(VALU_DEP_3)
	v_add_f32_e32 v90, v91, v93
	v_and_b32_e32 v91, 0xffff0000, v85
	v_lshlrev_b32_e32 v85, 16, v85
	v_dual_add_f32 v89, v90, v89 :: v_dual_lshlrev_b32 v92, 16, v92
	s_delay_alu instid0(VALU_DEP_2) | instskip(SKIP_2) | instid1(VALU_DEP_4)
	v_mul_f32_e32 v85, v69, v85
	v_bfe_u32 v102, v98, 16, 1
	v_or_b32_e32 v100, 0x400000, v98
	v_dual_mul_f32 v91, v0, v91 :: v_dual_mul_f32 v92, v70, v92
	s_delay_alu instid0(VALU_DEP_4) | instskip(NEXT) | instid1(VALU_DEP_4)
	v_bfe_u32 v72, v85, 16, 1
	v_add3_u32 v96, v102, v98, 0x7fff
	s_delay_alu instid0(VALU_DEP_3) | instskip(SKIP_3) | instid1(VALU_DEP_4)
	v_bfe_u32 v99, v92, 16, 1
	v_or_b32_e32 v101, 0x400000, v92
	v_cmp_u_f32_e32 vcc_lo, v92, v92
	v_add3_u32 v72, v72, v85, 0x7fff
	v_add3_u32 v99, v99, v92, 0x7fff
	s_wait_alu 0xfffd
	s_delay_alu instid0(VALU_DEP_1) | instskip(SKIP_1) | instid1(VALU_DEP_2)
	v_cndmask_b32_e32 v92, v99, v101, vcc_lo
	v_cmp_u_f32_e32 vcc_lo, v98, v98
	v_and_b32_e32 v92, 0xffff0000, v92
	s_wait_alu 0xfffd
	v_cndmask_b32_e32 v94, v96, v100, vcc_lo
	v_cmp_u_f32_e32 vcc_lo, v91, v91
	s_delay_alu instid0(VALU_DEP_2) | instskip(SKIP_1) | instid1(VALU_DEP_2)
	v_and_b32_e32 v93, 0xffff0000, v94
	v_or_b32_e32 v94, 0x400000, v85
	v_add_f32_e32 v90, v92, v93
	v_and_b32_e32 v92, 0xffff0000, v86
	v_bfe_u32 v93, v91, 16, 1
	s_delay_alu instid0(VALU_DEP_3) | instskip(NEXT) | instid1(VALU_DEP_3)
	v_dual_add_f32 v89, v90, v89 :: v_dual_lshlrev_b32 v86, 16, v86
	v_mul_f32_e32 v90, v66, v92
	s_delay_alu instid0(VALU_DEP_3) | instskip(SKIP_1) | instid1(VALU_DEP_4)
	v_add3_u32 v92, v93, v91, 0x7fff
	v_or_b32_e32 v93, 0x400000, v91
	v_add_f32_e32 v117, v117, v89
	s_delay_alu instid0(VALU_DEP_4) | instskip(SKIP_1) | instid1(VALU_DEP_3)
	v_bfe_u32 v95, v90, 16, 1
	s_wait_alu 0xfffd
	v_cndmask_b32_e32 v91, v92, v93, vcc_lo
	v_cmp_u_f32_e32 vcc_lo, v85, v85
	v_mul_f32_e32 v85, v68, v86
	v_and_b32_e32 v93, 0xffff0000, v87
	v_add3_u32 v86, v95, v90, 0x7fff
	v_or_b32_e32 v92, 0x400000, v90
	s_wait_alu 0xfffd
	v_dual_cndmask_b32 v72, v72, v94 :: v_dual_lshlrev_b32 v87, 16, v87
	v_bfe_u32 v94, v85, 16, 1
	v_cmp_u_f32_e32 vcc_lo, v90, v90
	v_mul_f32_e32 v90, v65, v93
	v_or_b32_e32 v93, 0x400000, v85
	v_dual_mul_f32 v87, v71, v87 :: v_dual_and_b32 v72, 0xffff0000, v72
	s_wait_alu 0xfffd
	v_cndmask_b32_e32 v86, v86, v92, vcc_lo
	v_add3_u32 v92, v94, v85, 0x7fff
	v_and_b32_e32 v94, 0xffff0000, v88
	v_bfe_u32 v95, v90, 16, 1
	v_cmp_u_f32_e32 vcc_lo, v85, v85
	v_bfe_u32 v96, v87, 16, 1
	v_and_b32_e32 v91, 0xffff0000, v91
	s_wait_alu 0xfffd
	v_dual_cndmask_b32 v85, v92, v93 :: v_dual_and_b32 v86, 0xffff0000, v86
	v_mul_f32_e32 v92, v67, v94
	v_add3_u32 v93, v95, v90, 0x7fff
	v_or_b32_e32 v94, 0x400000, v90
	v_cmp_u_f32_e32 vcc_lo, v90, v90
	v_add3_u32 v95, v96, v87, 0x7fff
	v_or_b32_e32 v96, 0x400000, v87
	v_bfe_u32 v97, v92, 16, 1
	s_wait_alu 0xfffd
	v_dual_cndmask_b32 v90, v93, v94 :: v_dual_and_b32 v85, 0xffff0000, v85
	v_cmp_u_f32_e32 vcc_lo, v87, v87
	v_or_b32_e32 v94, 0x400000, v92
	v_add3_u32 v93, v97, v92, 0x7fff
	s_delay_alu instid0(VALU_DEP_4) | instskip(SKIP_3) | instid1(VALU_DEP_3)
	v_dual_add_f32 v72, v72, v91 :: v_dual_add_f32 v85, v85, v86
	s_wait_alu 0xfffd
	v_cndmask_b32_e32 v87, v95, v96, vcc_lo
	v_cmp_u_f32_e32 vcc_lo, v92, v92
	v_add_f32_e32 v72, v85, v72
	s_delay_alu instid0(VALU_DEP_3)
	v_and_b32_e32 v86, 0xffff0000, v87
	s_wait_alu 0xfffd
	v_cndmask_b32_e32 v92, v93, v94, vcc_lo
	v_and_b32_e32 v94, 0xffff0000, v84
	v_lshlrev_b32_e32 v88, 16, v88
	v_and_b32_e32 v87, 0xffff0000, v81
	v_lshlrev_b32_e32 v81, 16, v81
	v_lshlrev_b32_e32 v84, 16, v84
	s_delay_alu instid0(VALU_DEP_3) | instskip(NEXT) | instid1(VALU_DEP_2)
	v_dual_mul_f32 v88, v70, v88 :: v_dual_mul_f32 v85, v0, v87
	v_dual_mul_f32 v81, v69, v81 :: v_dual_mul_f32 v84, v70, v84
	s_delay_alu instid0(VALU_DEP_2) | instskip(SKIP_1) | instid1(VALU_DEP_3)
	v_bfe_u32 v93, v88, 16, 1
	v_cmp_u_f32_e32 vcc_lo, v88, v88
	v_bfe_u32 v97, v84, 16, 1
	s_delay_alu instid0(VALU_DEP_3) | instskip(SKIP_3) | instid1(VALU_DEP_2)
	v_add3_u32 v91, v93, v88, 0x7fff
	v_or_b32_e32 v93, 0x400000, v88
	v_bfe_u32 v88, v85, 16, 1
	s_wait_alu 0xfffd
	v_cndmask_b32_e32 v87, v91, v93, vcc_lo
	v_and_b32_e32 v93, 0xffff0000, v83
	v_lshlrev_b32_e32 v83, 16, v83
	v_add3_u32 v88, v88, v85, 0x7fff
	v_bfe_u32 v91, v81, 16, 1
	v_cmp_u_f32_e32 vcc_lo, v85, v85
	v_mul_f32_e32 v93, v65, v93
	v_dual_mul_f32 v83, v71, v83 :: v_dual_and_b32 v90, 0xffff0000, v90
	v_and_b32_e32 v87, 0xffff0000, v87
	s_delay_alu instid0(VALU_DEP_2) | instskip(NEXT) | instid1(VALU_DEP_3)
	v_or_b32_e32 v95, 0x400000, v83
	v_add_f32_e32 v86, v86, v90
	v_or_b32_e32 v90, 0x400000, v85
	s_delay_alu instid0(VALU_DEP_2)
	v_add_f32_e32 v72, v86, v72
	v_and_b32_e32 v86, 0xffff0000, v82
	v_lshlrev_b32_e32 v82, 16, v82
	s_wait_alu 0xfffd
	v_cndmask_b32_e32 v85, v88, v90, vcc_lo
	v_add3_u32 v88, v91, v81, 0x7fff
	v_or_b32_e32 v90, 0x400000, v81
	v_mul_f32_e32 v86, v66, v86
	v_mul_f32_e32 v82, v68, v82
	v_cmp_u_f32_e32 vcc_lo, v81, v81
	v_and_b32_e32 v85, 0xffff0000, v85
	s_delay_alu instid0(VALU_DEP_4)
	v_bfe_u32 v91, v86, 16, 1
	s_wait_alu 0xfffd
	v_cndmask_b32_e32 v81, v88, v90, vcc_lo
	v_or_b32_e32 v90, 0x400000, v86
	v_cmp_u_f32_e32 vcc_lo, v86, v86
	v_add3_u32 v88, v91, v86, 0x7fff
	v_bfe_u32 v91, v82, 16, 1
	s_wait_alu 0xfffd
	s_delay_alu instid0(VALU_DEP_2) | instskip(NEXT) | instid1(VALU_DEP_2)
	v_dual_cndmask_b32 v86, v88, v90 :: v_dual_and_b32 v81, 0xffff0000, v81
	v_add3_u32 v88, v91, v82, 0x7fff
	v_or_b32_e32 v90, 0x400000, v82
	v_bfe_u32 v91, v93, 16, 1
	v_cmp_u_f32_e32 vcc_lo, v82, v82
	v_dual_add_f32 v81, v81, v85 :: v_dual_and_b32 v86, 0xffff0000, v86
	s_wait_alu 0xfffd
	v_cndmask_b32_e32 v82, v88, v90, vcc_lo
	v_bfe_u32 v88, v83, 16, 1
	v_add3_u32 v90, v91, v93, 0x7fff
	v_mul_f32_e32 v91, v67, v94
	v_or_b32_e32 v94, 0x400000, v93
	v_cmp_u_f32_e32 vcc_lo, v93, v93
	v_add3_u32 v88, v88, v83, 0x7fff
	v_add3_u32 v93, v97, v84, 0x7fff
	v_bfe_u32 v96, v91, 16, 1
	v_and_b32_e32 v82, 0xffff0000, v82
	s_wait_alu 0xfffd
	v_cndmask_b32_e32 v90, v90, v94, vcc_lo
	v_cmp_u_f32_e32 vcc_lo, v83, v83
	v_or_b32_e32 v94, 0x400000, v84
	v_add_f32_e32 v82, v82, v86
	s_delay_alu instid0(VALU_DEP_4)
	v_and_b32_e32 v85, 0xffff0000, v90
	s_wait_alu 0xfffd
	v_cndmask_b32_e32 v83, v88, v95, vcc_lo
	v_cmp_u_f32_e32 vcc_lo, v84, v84
	v_add3_u32 v88, v96, v91, 0x7fff
	v_or_b32_e32 v95, 0x400000, v91
	v_add_f32_e32 v81, v82, v81
	s_wait_alu 0xfffd
	v_dual_cndmask_b32 v84, v93, v94 :: v_dual_and_b32 v83, 0xffff0000, v83
	v_cmp_u_f32_e32 vcc_lo, v91, v91
	s_delay_alu instid0(VALU_DEP_2)
	v_dual_add_f32 v82, v83, v85 :: v_dual_and_b32 v83, 0xffff0000, v84
	s_wait_alu 0xfffd
	v_cndmask_b32_e32 v86, v88, v95, vcc_lo
	v_and_b32_e32 v88, 0xffff0000, v92
	v_and_b32_e32 v85, 0xffff0000, v77
	v_lshlrev_b32_e32 v77, 16, v77
	s_delay_alu instid0(VALU_DEP_4) | instskip(NEXT) | instid1(VALU_DEP_2)
	v_dual_add_f32 v81, v82, v81 :: v_dual_and_b32 v84, 0xffff0000, v86
	v_dual_add_f32 v86, v87, v88 :: v_dual_mul_f32 v77, v69, v77
	s_delay_alu instid0(VALU_DEP_2) | instskip(NEXT) | instid1(VALU_DEP_2)
	v_dual_add_f32 v82, v83, v84 :: v_dual_mul_f32 v83, v0, v85
	v_add_f32_e32 v72, v86, v72
	v_and_b32_e32 v84, 0xffff0000, v78
	s_delay_alu instid0(VALU_DEP_3) | instskip(NEXT) | instid1(VALU_DEP_4)
	v_dual_add_f32 v81, v82, v81 :: v_dual_lshlrev_b32 v78, 16, v78
	v_bfe_u32 v82, v83, 16, 1
	s_delay_alu instid0(VALU_DEP_4) | instskip(SKIP_1) | instid1(VALU_DEP_4)
	v_add_f32_e32 v118, v118, v72
	v_bfe_u32 v72, v77, 16, 1
	v_dual_mul_f32 v84, v66, v84 :: v_dual_add_f32 v119, v119, v81
	s_delay_alu instid0(VALU_DEP_4)
	v_add3_u32 v81, v82, v83, 0x7fff
	v_or_b32_e32 v82, 0x400000, v83
	v_cmp_u_f32_e32 vcc_lo, v83, v83
	v_add3_u32 v72, v72, v77, 0x7fff
	v_or_b32_e32 v85, 0x400000, v77
	v_or_b32_e32 v83, 0x400000, v84
	s_wait_alu 0xfffd
	v_dual_cndmask_b32 v81, v81, v82 :: v_dual_and_b32 v86, 0xffff0000, v80
	v_bfe_u32 v82, v84, 16, 1
	v_cmp_u_f32_e32 vcc_lo, v77, v77
	v_dual_mul_f32 v77, v68, v78 :: v_dual_and_b32 v78, 0xffff0000, v79
	v_lshlrev_b32_e32 v79, 16, v79
	s_delay_alu instid0(VALU_DEP_4)
	v_add3_u32 v82, v82, v84, 0x7fff
	s_wait_alu 0xfffd
	v_cndmask_b32_e32 v72, v72, v85, vcc_lo
	v_bfe_u32 v85, v77, 16, 1
	v_mul_f32_e32 v78, v65, v78
	v_cmp_u_f32_e32 vcc_lo, v84, v84
	v_mul_f32_e32 v79, v71, v79
	v_or_b32_e32 v84, 0x400000, v77
	v_lshlrev_b32_e32 v80, 16, v80
	s_wait_alu 0xfffd
	v_dual_cndmask_b32 v82, v82, v83 :: v_dual_and_b32 v81, 0xffff0000, v81
	v_add3_u32 v83, v85, v77, 0x7fff
	v_bfe_u32 v85, v78, 16, 1
	v_cmp_u_f32_e32 vcc_lo, v77, v77
	v_bfe_u32 v87, v79, 16, 1
	v_mul_f32_e32 v80, v70, v80
	s_wait_alu 0xfffd
	v_dual_cndmask_b32 v77, v83, v84 :: v_dual_and_b32 v82, 0xffff0000, v82
	v_add3_u32 v83, v85, v78, 0x7fff
	v_mul_f32_e32 v84, v67, v86
	v_or_b32_e32 v85, 0x400000, v78
	v_cmp_u_f32_e32 vcc_lo, v78, v78
	v_add3_u32 v86, v87, v79, 0x7fff
	v_or_b32_e32 v87, 0x400000, v79
	v_bfe_u32 v88, v84, 16, 1
	v_and_b32_e32 v77, 0xffff0000, v77
	s_wait_alu 0xfffd
	v_cndmask_b32_e32 v78, v83, v85, vcc_lo
	v_cmp_u_f32_e32 vcc_lo, v79, v79
	v_or_b32_e32 v85, 0x400000, v84
	v_add3_u32 v83, v88, v84, 0x7fff
	v_add_f32_e32 v77, v77, v82
	s_wait_alu 0xfffd
	v_dual_cndmask_b32 v79, v86, v87 :: v_dual_and_b32 v78, 0xffff0000, v78
	v_bfe_u32 v86, v80, 16, 1
	v_cmp_u_f32_e32 vcc_lo, v84, v84
	s_delay_alu instid0(VALU_DEP_3) | instskip(NEXT) | instid1(VALU_DEP_3)
	v_and_b32_e32 v79, 0xffff0000, v79
	v_add3_u32 v84, v86, v80, 0x7fff
	s_wait_alu 0xfffd
	v_cndmask_b32_e32 v83, v83, v85, vcc_lo
	v_or_b32_e32 v85, 0x400000, v80
	v_cmp_u_f32_e32 vcc_lo, v80, v80
	v_add_f32_e32 v78, v79, v78
	s_wait_alu 0xfffd
	s_delay_alu instid0(VALU_DEP_3) | instskip(SKIP_2) | instid1(VALU_DEP_3)
	v_cndmask_b32_e32 v80, v84, v85, vcc_lo
	v_and_b32_e32 v84, 0xffff0000, v76
	v_lshlrev_b32_e32 v76, 16, v76
	v_and_b32_e32 v79, 0xffff0000, v80
	v_and_b32_e32 v72, 0xffff0000, v72
	;; [unrolled: 1-line block ×4, first 2 shown]
	v_dual_mul_f32 v76, v70, v76 :: v_dual_lshlrev_b32 v75, 16, v75
	s_delay_alu instid0(VALU_DEP_4) | instskip(SKIP_4) | instid1(VALU_DEP_4)
	v_add_f32_e32 v72, v72, v81
	v_and_b32_e32 v81, 0xffff0000, v73
	v_lshlrev_b32_e32 v73, 16, v73
	v_add_f32_e32 v79, v79, v80
	v_mul_f32_e32 v83, v65, v83
	v_dual_add_f32 v72, v77, v72 :: v_dual_mul_f32 v77, v0, v81
	s_delay_alu instid0(VALU_DEP_4) | instskip(NEXT) | instid1(VALU_DEP_2)
	v_mul_f32_e32 v73, v69, v73
	v_dual_mul_f32 v75, v71, v75 :: v_dual_add_f32 v72, v78, v72
	s_delay_alu instid0(VALU_DEP_3) | instskip(SKIP_1) | instid1(VALU_DEP_4)
	v_bfe_u32 v81, v77, 16, 1
	v_and_b32_e32 v78, 0xffff0000, v74
	v_bfe_u32 v82, v73, 16, 1
	v_lshlrev_b32_e32 v74, 16, v74
	v_cmp_u_f32_e32 vcc_lo, v77, v77
	v_add3_u32 v80, v81, v77, 0x7fff
	v_or_b32_e32 v81, 0x400000, v77
	v_mul_f32_e32 v78, v66, v78
	v_mul_f32_e32 v74, v68, v74
	v_or_b32_e32 v85, 0x400000, v75
	s_wait_alu 0xfffd
	v_cndmask_b32_e32 v77, v80, v81, vcc_lo
	v_add3_u32 v80, v82, v73, 0x7fff
	v_or_b32_e32 v81, 0x400000, v73
	v_bfe_u32 v82, v78, 16, 1
	v_cmp_u_f32_e32 vcc_lo, v73, v73
	v_and_b32_e32 v77, 0xffff0000, v77
	s_wait_alu 0xfffd
	v_cndmask_b32_e32 v73, v80, v81, vcc_lo
	v_add3_u32 v80, v82, v78, 0x7fff
	v_or_b32_e32 v81, 0x400000, v78
	v_bfe_u32 v82, v74, 16, 1
	v_cmp_u_f32_e32 vcc_lo, v78, v78
	v_and_b32_e32 v73, 0xffff0000, v73
	s_wait_alu 0xfffd
	v_cndmask_b32_e32 v78, v80, v81, vcc_lo
	v_add3_u32 v80, v82, v74, 0x7fff
	v_or_b32_e32 v81, 0x400000, v74
	v_bfe_u32 v82, v83, 16, 1
	v_cmp_u_f32_e32 vcc_lo, v74, v74
	v_dual_add_f32 v73, v73, v77 :: v_dual_and_b32 v78, 0xffff0000, v78
	s_wait_alu 0xfffd
	v_cndmask_b32_e32 v74, v80, v81, vcc_lo
	v_bfe_u32 v80, v75, 16, 1
	v_add3_u32 v81, v82, v83, 0x7fff
	v_mul_f32_e32 v82, v67, v84
	v_or_b32_e32 v84, 0x400000, v83
	v_cmp_u_f32_e32 vcc_lo, v83, v83
	v_add3_u32 v80, v80, v75, 0x7fff
	v_bfe_u32 v83, v76, 16, 1
	v_bfe_u32 v86, v82, 16, 1
	s_wait_alu 0xfffd
	v_dual_cndmask_b32 v81, v81, v84 :: v_dual_and_b32 v74, 0xffff0000, v74
	v_cmp_u_f32_e32 vcc_lo, v75, v75
	v_add3_u32 v83, v83, v76, 0x7fff
	v_or_b32_e32 v84, 0x400000, v82
	s_delay_alu instid0(VALU_DEP_4)
	v_dual_add_f32 v74, v74, v78 :: v_dual_and_b32 v77, 0xffff0000, v81
	s_wait_alu 0xfffd
	v_cndmask_b32_e32 v75, v80, v85, vcc_lo
	v_or_b32_e32 v85, 0x400000, v76
	v_cmp_u_f32_e32 vcc_lo, v76, v76
	v_add3_u32 v80, v86, v82, 0x7fff
	v_add_f32_e32 v73, v74, v73
	s_wait_alu 0xfffd
	v_dual_cndmask_b32 v76, v83, v85 :: v_dual_and_b32 v75, 0xffff0000, v75
	v_cmp_u_f32_e32 vcc_lo, v82, v82
	s_delay_alu instid0(VALU_DEP_2) | instskip(SKIP_1) | instid1(VALU_DEP_4)
	v_add_f32_e32 v74, v75, v77
	v_and_b32_e32 v75, 0xffff0000, v61
	v_and_b32_e32 v76, 0xffff0000, v76
	s_wait_alu 0xfffd
	v_dual_cndmask_b32 v78, v80, v84 :: v_dual_lshlrev_b32 v61, 16, v61
	s_delay_alu instid0(VALU_DEP_3) | instskip(SKIP_1) | instid1(VALU_DEP_3)
	v_dual_add_f32 v72, v79, v72 :: v_dual_mul_f32 v75, v0, v75
	v_add_f32_e32 v73, v74, v73
	v_and_b32_e32 v77, 0xffff0000, v78
	s_delay_alu instid0(VALU_DEP_3) | instskip(NEXT) | instid1(VALU_DEP_4)
	v_dual_mul_f32 v61, v69, v61 :: v_dual_add_f32 v120, v120, v72
	v_cmp_u_f32_e32 vcc_lo, v75, v75
	s_delay_alu instid0(VALU_DEP_3) | instskip(SKIP_3) | instid1(VALU_DEP_4)
	v_add_f32_e32 v74, v76, v77
	v_and_b32_e32 v76, 0xffff0000, v62
	v_bfe_u32 v77, v75, 16, 1
	v_bfe_u32 v72, v61, 16, 1
	v_dual_add_f32 v73, v74, v73 :: v_dual_lshlrev_b32 v62, 16, v62
	s_delay_alu instid0(VALU_DEP_4) | instskip(NEXT) | instid1(VALU_DEP_4)
	v_mul_f32_e32 v74, v66, v76
	v_add3_u32 v76, v77, v75, 0x7fff
	v_or_b32_e32 v77, 0x400000, v75
	v_add3_u32 v72, v72, v61, 0x7fff
	v_or_b32_e32 v78, 0x400000, v61
	v_bfe_u32 v79, v74, 16, 1
	v_mul_f32_e32 v62, v68, v62
	s_wait_alu 0xfffd
	v_cndmask_b32_e32 v75, v76, v77, vcc_lo
	v_cmp_u_f32_e32 vcc_lo, v61, v61
	v_and_b32_e32 v77, 0xffff0000, v63
	v_or_b32_e32 v76, 0x400000, v74
	v_lshlrev_b32_e32 v63, 16, v63
	v_and_b32_e32 v75, 0xffff0000, v75
	s_wait_alu 0xfffd
	v_cndmask_b32_e32 v61, v72, v78, vcc_lo
	v_add3_u32 v72, v79, v74, 0x7fff
	v_bfe_u32 v78, v62, 16, 1
	v_cmp_u_f32_e32 vcc_lo, v74, v74
	v_dual_mul_f32 v74, v65, v77 :: v_dual_mul_f32 v63, v71, v63
	v_or_b32_e32 v77, 0x400000, v62
	s_wait_alu 0xfffd
	v_dual_cndmask_b32 v72, v72, v76 :: v_dual_and_b32 v61, 0xffff0000, v61
	v_add3_u32 v76, v78, v62, 0x7fff
	v_and_b32_e32 v78, 0xffff0000, v64
	v_bfe_u32 v79, v74, 16, 1
	v_cmp_u_f32_e32 vcc_lo, v62, v62
	v_bfe_u32 v80, v63, 16, 1
	v_dual_add_f32 v61, v61, v75 :: v_dual_lshlrev_b32 v64, 16, v64
	v_and_b32_e32 v72, 0xffff0000, v72
	s_wait_alu 0xfffd
	v_cndmask_b32_e32 v62, v76, v77, vcc_lo
	v_mul_f32_e32 v76, v67, v78
	v_add3_u32 v77, v79, v74, 0x7fff
	v_or_b32_e32 v78, 0x400000, v74
	v_cmp_u_f32_e32 vcc_lo, v74, v74
	v_add3_u32 v79, v80, v63, 0x7fff
	v_or_b32_e32 v80, 0x400000, v63
	v_bfe_u32 v81, v76, 16, 1
	v_mul_f32_e32 v64, v70, v64
	s_wait_alu 0xfffd
	v_cndmask_b32_e32 v74, v77, v78, vcc_lo
	v_cmp_u_f32_e32 vcc_lo, v63, v63
	v_or_b32_e32 v78, 0x400000, v76
	v_add3_u32 v77, v81, v76, 0x7fff
	s_delay_alu instid0(VALU_DEP_4) | instskip(SKIP_4) | instid1(VALU_DEP_2)
	v_dual_add_f32 v121, v121, v73 :: v_dual_and_b32 v74, 0xffff0000, v74
	s_wait_alu 0xfffd
	v_cndmask_b32_e32 v63, v79, v80, vcc_lo
	v_cmp_u_f32_e32 vcc_lo, v76, v76
	s_wait_alu 0xfffd
	v_dual_cndmask_b32 v76, v77, v78 :: v_dual_and_b32 v63, 0xffff0000, v63
	v_bfe_u32 v77, v64, 16, 1
	v_cmp_u_f32_e32 vcc_lo, v64, v64
	s_delay_alu instid0(VALU_DEP_3) | instskip(SKIP_1) | instid1(VALU_DEP_4)
	v_dual_add_f32 v63, v63, v74 :: v_dual_and_b32 v78, 0xffff0000, v60
	v_lshlrev_b32_e32 v60, 16, v60
	v_add3_u32 v75, v77, v64, 0x7fff
	v_or_b32_e32 v77, 0x400000, v64
	s_delay_alu instid0(VALU_DEP_3) | instskip(SKIP_1) | instid1(VALU_DEP_2)
	v_mul_f32_e32 v60, v70, v60
	s_wait_alu 0xfffd
	v_dual_cndmask_b32 v64, v75, v77 :: v_dual_and_b32 v77, 0xffff0000, v59
	v_lshlrev_b32_e32 v59, 16, v59
	s_delay_alu instid0(VALU_DEP_3) | instskip(NEXT) | instid1(VALU_DEP_3)
	v_bfe_u32 v81, v60, 16, 1
	v_and_b32_e32 v64, 0xffff0000, v64
	s_delay_alu instid0(VALU_DEP_4) | instskip(NEXT) | instid1(VALU_DEP_1)
	v_dual_mul_f32 v77, v65, v77 :: v_dual_and_b32 v62, 0xffff0000, v62
	v_dual_mul_f32 v59, v71, v59 :: v_dual_add_f32 v62, v62, v72
	v_and_b32_e32 v72, 0xffff0000, v57
	v_lshlrev_b32_e32 v57, 16, v57
	s_delay_alu instid0(VALU_DEP_3) | instskip(NEXT) | instid1(VALU_DEP_3)
	v_or_b32_e32 v79, 0x400000, v59
	v_dual_add_f32 v61, v62, v61 :: v_dual_mul_f32 v62, v0, v72
	s_delay_alu instid0(VALU_DEP_3) | instskip(NEXT) | instid1(VALU_DEP_2)
	v_mul_f32_e32 v57, v69, v57
	v_add_f32_e32 v61, v63, v61
	s_delay_alu instid0(VALU_DEP_3)
	v_bfe_u32 v72, v62, 16, 1
	v_and_b32_e32 v63, 0xffff0000, v58
	v_or_b32_e32 v74, 0x400000, v62
	v_bfe_u32 v75, v57, 16, 1
	v_lshlrev_b32_e32 v58, 16, v58
	v_add3_u32 v72, v72, v62, 0x7fff
	v_mul_f32_e32 v63, v66, v63
	v_cmp_u_f32_e32 vcc_lo, v62, v62
	s_delay_alu instid0(VALU_DEP_4)
	v_mul_f32_e32 v58, v68, v58
	s_wait_alu 0xfffd
	v_cndmask_b32_e32 v62, v72, v74, vcc_lo
	v_add3_u32 v72, v75, v57, 0x7fff
	v_or_b32_e32 v74, 0x400000, v57
	v_bfe_u32 v75, v63, 16, 1
	v_cmp_u_f32_e32 vcc_lo, v57, v57
	v_and_b32_e32 v62, 0xffff0000, v62
	s_wait_alu 0xfffd
	v_cndmask_b32_e32 v57, v72, v74, vcc_lo
	v_add3_u32 v72, v75, v63, 0x7fff
	v_or_b32_e32 v74, 0x400000, v63
	v_bfe_u32 v75, v58, 16, 1
	v_cmp_u_f32_e32 vcc_lo, v63, v63
	v_and_b32_e32 v57, 0xffff0000, v57
	;; [unrolled: 7-line block ×3, first 2 shown]
	v_add_f32_e32 v57, v57, v62
	s_wait_alu 0xfffd
	v_cndmask_b32_e32 v58, v72, v74, vcc_lo
	v_bfe_u32 v72, v59, 16, 1
	v_add3_u32 v74, v75, v77, 0x7fff
	v_mul_f32_e32 v75, v67, v78
	v_or_b32_e32 v78, 0x400000, v77
	v_cmp_u_f32_e32 vcc_lo, v77, v77
	v_add3_u32 v72, v72, v59, 0x7fff
	v_add3_u32 v77, v81, v60, 0x7fff
	v_bfe_u32 v80, v75, 16, 1
	v_and_b32_e32 v58, 0xffff0000, v58
	s_wait_alu 0xfffd
	v_cndmask_b32_e32 v74, v74, v78, vcc_lo
	v_cmp_u_f32_e32 vcc_lo, v59, v59
	v_or_b32_e32 v78, 0x400000, v60
	v_add_f32_e32 v58, v58, v63
	s_wait_alu 0xfffd
	v_dual_cndmask_b32 v59, v72, v79 :: v_dual_and_b32 v62, 0xffff0000, v74
	v_cmp_u_f32_e32 vcc_lo, v60, v60
	v_add3_u32 v72, v80, v75, 0x7fff
	v_or_b32_e32 v79, 0x400000, v75
	v_add_f32_e32 v57, v58, v57
	s_wait_alu 0xfffd
	v_dual_cndmask_b32 v60, v77, v78 :: v_dual_and_b32 v59, 0xffff0000, v59
	v_cmp_u_f32_e32 vcc_lo, v75, v75
	s_delay_alu instid0(VALU_DEP_2) | instskip(SKIP_3) | instid1(VALU_DEP_3)
	v_dual_add_f32 v58, v59, v62 :: v_dual_and_b32 v59, 0xffff0000, v60
	s_wait_alu 0xfffd
	v_dual_cndmask_b32 v63, v72, v79 :: v_dual_and_b32 v72, 0xffff0000, v76
	v_and_b32_e32 v62, 0xffff0000, v53
	v_add_f32_e32 v57, v58, v57
	v_lshlrev_b32_e32 v53, 16, v53
	s_delay_alu instid0(VALU_DEP_1) | instskip(NEXT) | instid1(VALU_DEP_1)
	v_dual_mul_f32 v53, v69, v53 :: v_dual_and_b32 v60, 0xffff0000, v63
	v_dual_add_f32 v58, v59, v60 :: v_dual_mul_f32 v59, v0, v62
	s_delay_alu instid0(VALU_DEP_2) | instskip(NEXT) | instid1(VALU_DEP_2)
	v_or_b32_e32 v62, 0x400000, v53
	v_add_f32_e32 v57, v58, v57
	v_add_f32_e32 v63, v64, v72
	s_delay_alu instid0(VALU_DEP_4) | instskip(SKIP_1) | instid1(VALU_DEP_4)
	v_bfe_u32 v58, v59, 16, 1
	v_cmp_u_f32_e32 vcc_lo, v59, v59
	v_add_f32_e32 v123, v123, v57
	s_delay_alu instid0(VALU_DEP_4) | instskip(NEXT) | instid1(VALU_DEP_4)
	v_add_f32_e32 v60, v63, v61
	v_add3_u32 v57, v58, v59, 0x7fff
	v_or_b32_e32 v58, 0x400000, v59
	v_and_b32_e32 v61, 0xffff0000, v54
	v_lshlrev_b32_e32 v54, 16, v54
	v_add_f32_e32 v122, v122, v60
	v_bfe_u32 v60, v53, 16, 1
	s_wait_alu 0xfffd
	v_cndmask_b32_e32 v57, v57, v58, vcc_lo
	v_cmp_u_f32_e32 vcc_lo, v53, v53
	v_dual_mul_f32 v61, v66, v61 :: v_dual_mul_f32 v54, v68, v54
	v_add3_u32 v60, v60, v53, 0x7fff
	v_and_b32_e32 v59, 0xffff0000, v55
	v_and_b32_e32 v57, 0xffff0000, v57
	s_delay_alu instid0(VALU_DEP_4)
	v_bfe_u32 v58, v61, 16, 1
	v_lshlrev_b32_e32 v55, 16, v55
	s_wait_alu 0xfffd
	v_cndmask_b32_e32 v53, v60, v62, vcc_lo
	v_or_b32_e32 v60, 0x400000, v61
	v_mul_f32_e32 v59, v65, v59
	v_add3_u32 v58, v58, v61, 0x7fff
	v_cmp_u_f32_e32 vcc_lo, v61, v61
	v_and_b32_e32 v53, 0xffff0000, v53
	v_mul_f32_e32 v55, v71, v55
	v_and_b32_e32 v63, 0xffff0000, v56
	s_delay_alu instid0(VALU_DEP_3)
	v_add_f32_e32 v53, v53, v57
	v_and_b32_e32 v57, 0xffff0000, v49
	v_lshlrev_b32_e32 v49, 16, v49
	v_bfe_u32 v62, v54, 16, 1
	s_wait_alu 0xfffd
	v_cndmask_b32_e32 v58, v58, v60, vcc_lo
	v_or_b32_e32 v61, 0x400000, v54
	v_cmp_u_f32_e32 vcc_lo, v54, v54
	v_bfe_u32 v64, v55, 16, 1
	v_add3_u32 v60, v62, v54, 0x7fff
	v_bfe_u32 v62, v59, 16, 1
	v_dual_mul_f32 v49, v69, v49 :: v_dual_and_b32 v58, 0xffff0000, v58
	s_wait_alu 0xfffd
	s_delay_alu instid0(VALU_DEP_3) | instskip(NEXT) | instid1(VALU_DEP_3)
	v_cndmask_b32_e32 v54, v60, v61, vcc_lo
	v_add3_u32 v60, v62, v59, 0x7fff
	v_or_b32_e32 v62, 0x400000, v59
	v_cmp_u_f32_e32 vcc_lo, v59, v59
	v_mul_f32_e32 v61, v67, v63
	v_add3_u32 v63, v64, v55, 0x7fff
	v_or_b32_e32 v64, 0x400000, v55
	v_and_b32_e32 v54, 0xffff0000, v54
	s_wait_alu 0xfffd
	v_cndmask_b32_e32 v59, v60, v62, vcc_lo
	v_cmp_u_f32_e32 vcc_lo, v55, v55
	v_bfe_u32 v72, v61, 16, 1
	v_or_b32_e32 v62, 0x400000, v61
	v_add_f32_e32 v54, v54, v58
	s_wait_alu 0xfffd
	v_dual_cndmask_b32 v55, v63, v64 :: v_dual_and_b32 v58, 0xffff0000, v59
	v_add3_u32 v60, v72, v61, 0x7fff
	v_cmp_u_f32_e32 vcc_lo, v61, v61
	v_add_f32_e32 v53, v54, v53
	s_delay_alu instid0(VALU_DEP_4) | instskip(SKIP_3) | instid1(VALU_DEP_3)
	v_dual_mul_f32 v54, v0, v57 :: v_dual_and_b32 v55, 0xffff0000, v55
	v_bfe_u32 v59, v49, 16, 1
	s_wait_alu 0xfffd
	v_cndmask_b32_e32 v60, v60, v62, vcc_lo
	v_add_f32_e32 v55, v55, v58
	v_bfe_u32 v58, v54, 16, 1
	s_delay_alu instid0(VALU_DEP_3) | instskip(NEXT) | instid1(VALU_DEP_3)
	v_and_b32_e32 v57, 0xffff0000, v60
	v_add_f32_e32 v53, v55, v53
	v_and_b32_e32 v55, 0xffff0000, v50
	v_lshlrev_b32_e32 v56, 16, v56
	s_delay_alu instid0(VALU_DEP_2) | instskip(NEXT) | instid1(VALU_DEP_2)
	v_dual_mul_f32 v55, v66, v55 :: v_dual_lshlrev_b32 v50, 16, v50
	v_mul_f32_e32 v56, v70, v56
	s_delay_alu instid0(VALU_DEP_2) | instskip(NEXT) | instid1(VALU_DEP_2)
	v_mul_f32_e32 v50, v68, v50
	v_bfe_u32 v63, v56, 16, 1
	v_or_b32_e32 v62, 0x400000, v56
	v_cmp_u_f32_e32 vcc_lo, v56, v56
	s_delay_alu instid0(VALU_DEP_3) | instskip(SKIP_1) | instid1(VALU_DEP_1)
	v_add3_u32 v61, v63, v56, 0x7fff
	s_wait_alu 0xfffd
	v_cndmask_b32_e32 v56, v61, v62, vcc_lo
	v_cmp_u_f32_e32 vcc_lo, v54, v54
	v_and_b32_e32 v61, 0xffff0000, v52
	s_delay_alu instid0(VALU_DEP_3) | instskip(NEXT) | instid1(VALU_DEP_1)
	v_and_b32_e32 v56, 0xffff0000, v56
	v_add_f32_e32 v56, v56, v57
	v_add3_u32 v57, v58, v54, 0x7fff
	v_or_b32_e32 v58, 0x400000, v54
	s_wait_alu 0xfffd
	s_delay_alu instid0(VALU_DEP_1)
	v_cndmask_b32_e32 v54, v57, v58, vcc_lo
	v_add3_u32 v57, v59, v49, 0x7fff
	v_or_b32_e32 v58, 0x400000, v49
	v_bfe_u32 v59, v55, 16, 1
	v_cmp_u_f32_e32 vcc_lo, v49, v49
	s_wait_alu 0xfffd
	s_delay_alu instid0(VALU_DEP_3) | instskip(NEXT) | instid1(VALU_DEP_3)
	v_cndmask_b32_e32 v49, v57, v58, vcc_lo
	v_add3_u32 v57, v59, v55, 0x7fff
	v_or_b32_e32 v58, 0x400000, v55
	v_bfe_u32 v59, v50, 16, 1
	v_cmp_u_f32_e32 vcc_lo, v55, v55
	v_and_b32_e32 v49, 0xffff0000, v49
	s_wait_alu 0xfffd
	v_cndmask_b32_e32 v55, v57, v58, vcc_lo
	v_add3_u32 v57, v59, v50, 0x7fff
	v_or_b32_e32 v58, 0x400000, v50
	v_cmp_u_f32_e32 vcc_lo, v50, v50
	s_delay_alu instid0(VALU_DEP_4) | instskip(SKIP_1) | instid1(VALU_DEP_3)
	v_and_b32_e32 v55, 0xffff0000, v55
	s_wait_alu 0xfffd
	v_dual_add_f32 v53, v56, v53 :: v_dual_cndmask_b32 v50, v57, v58
	s_delay_alu instid0(VALU_DEP_1) | instskip(NEXT) | instid1(VALU_DEP_1)
	v_and_b32_e32 v50, 0xffff0000, v50
	v_add_f32_e32 v50, v50, v55
	v_and_b32_e32 v60, 0xffff0000, v51
	s_delay_alu instid0(VALU_DEP_1) | instskip(NEXT) | instid1(VALU_DEP_1)
	v_dual_mul_f32 v60, v65, v60 :: v_dual_lshlrev_b32 v51, 16, v51
	v_mul_f32_e32 v51, v71, v51
	s_delay_alu instid0(VALU_DEP_2) | instskip(NEXT) | instid1(VALU_DEP_2)
	v_bfe_u32 v59, v60, 16, 1
	v_bfe_u32 v57, v51, 16, 1
	v_cmp_u_f32_e32 vcc_lo, v60, v60
	v_or_b32_e32 v62, 0x400000, v51
	s_delay_alu instid0(VALU_DEP_4) | instskip(SKIP_3) | instid1(VALU_DEP_3)
	v_add3_u32 v58, v59, v60, 0x7fff
	v_mul_f32_e32 v59, v67, v61
	v_or_b32_e32 v61, 0x400000, v60
	v_add3_u32 v57, v57, v51, 0x7fff
	v_bfe_u32 v63, v59, 16, 1
	s_wait_alu 0xfffd
	s_delay_alu instid0(VALU_DEP_3)
	v_cndmask_b32_e32 v58, v58, v61, vcc_lo
	v_cmp_u_f32_e32 vcc_lo, v51, v51
	v_or_b32_e32 v61, 0x400000, v59
	s_wait_alu 0xfffd
	v_cndmask_b32_e32 v51, v57, v62, vcc_lo
	v_add3_u32 v57, v63, v59, 0x7fff
	s_delay_alu instid0(VALU_DEP_2) | instskip(SKIP_1) | instid1(VALU_DEP_1)
	v_and_b32_e32 v51, 0xffff0000, v51
	v_and_b32_e32 v54, 0xffff0000, v54
	v_add_f32_e32 v49, v49, v54
	s_delay_alu instid0(VALU_DEP_1) | instskip(NEXT) | instid1(VALU_DEP_1)
	v_dual_add_f32 v49, v50, v49 :: v_dual_and_b32 v54, 0xffff0000, v58
	v_dual_add_f32 v50, v51, v54 :: v_dual_and_b32 v51, 0xffff0000, v45
	v_lshlrev_b32_e32 v52, 16, v52
	v_lshlrev_b32_e32 v45, 16, v45
	s_delay_alu instid0(VALU_DEP_3) | instskip(NEXT) | instid1(VALU_DEP_3)
	v_add_f32_e32 v49, v50, v49
	v_dual_mul_f32 v51, v0, v51 :: v_dual_mul_f32 v52, v70, v52
	s_delay_alu instid0(VALU_DEP_3) | instskip(NEXT) | instid1(VALU_DEP_2)
	v_mul_f32_e32 v45, v69, v45
	v_bfe_u32 v60, v52, 16, 1
	v_or_b32_e32 v62, 0x400000, v52
	v_cmp_u_f32_e32 vcc_lo, v52, v52
	s_delay_alu instid0(VALU_DEP_3) | instskip(SKIP_1) | instid1(VALU_DEP_1)
	v_add3_u32 v60, v60, v52, 0x7fff
	s_wait_alu 0xfffd
	v_cndmask_b32_e32 v52, v60, v62, vcc_lo
	v_cmp_u_f32_e32 vcc_lo, v59, v59
	s_wait_alu 0xfffd
	s_delay_alu instid0(VALU_DEP_2) | instskip(SKIP_1) | instid1(VALU_DEP_2)
	v_dual_cndmask_b32 v55, v57, v61 :: v_dual_and_b32 v52, 0xffff0000, v52
	v_cmp_u_f32_e32 vcc_lo, v51, v51
	v_and_b32_e32 v54, 0xffff0000, v55
	v_or_b32_e32 v55, 0x400000, v45
	s_delay_alu instid0(VALU_DEP_2) | instskip(SKIP_2) | instid1(VALU_DEP_3)
	v_add_f32_e32 v50, v52, v54
	v_and_b32_e32 v52, 0xffff0000, v46
	v_bfe_u32 v54, v51, 16, 1
	v_add_f32_e32 v49, v50, v49
	s_delay_alu instid0(VALU_DEP_3) | instskip(NEXT) | instid1(VALU_DEP_3)
	v_mul_f32_e32 v50, v66, v52
	v_add3_u32 v52, v54, v51, 0x7fff
	v_or_b32_e32 v54, 0x400000, v51
	s_delay_alu instid0(VALU_DEP_4) | instskip(SKIP_1) | instid1(VALU_DEP_2)
	v_add_f32_e32 v125, v125, v49
	s_wait_alu 0xfffd
	v_cndmask_b32_e32 v51, v52, v54, vcc_lo
	v_add_f32_e32 v124, v124, v53
	v_bfe_u32 v53, v45, 16, 1
	v_cmp_u_f32_e32 vcc_lo, v45, v45
	v_and_b32_e32 v54, 0xffff0000, v47
	v_and_b32_e32 v51, 0xffff0000, v51
	v_lshlrev_b32_e32 v47, 16, v47
	v_add3_u32 v53, v53, v45, 0x7fff
	s_delay_alu instid0(VALU_DEP_2) | instskip(SKIP_1) | instid1(VALU_DEP_2)
	v_mul_f32_e32 v47, v71, v47
	s_wait_alu 0xfffd
	v_cndmask_b32_e32 v45, v53, v55, vcc_lo
	s_delay_alu instid0(VALU_DEP_2) | instskip(NEXT) | instid1(VALU_DEP_2)
	v_bfe_u32 v57, v47, 16, 1
	v_and_b32_e32 v45, 0xffff0000, v45
	v_bfe_u32 v56, v50, 16, 1
	v_lshlrev_b32_e32 v46, 16, v46
	v_or_b32_e32 v53, 0x400000, v50
	v_cmp_u_f32_e32 vcc_lo, v50, v50
	v_add_f32_e32 v45, v45, v51
	v_add3_u32 v52, v56, v50, 0x7fff
	v_mul_f32_e32 v46, v68, v46
	s_wait_alu 0xfffd
	s_delay_alu instid0(VALU_DEP_2) | instskip(NEXT) | instid1(VALU_DEP_2)
	v_cndmask_b32_e32 v50, v52, v53, vcc_lo
	v_bfe_u32 v55, v46, 16, 1
	v_mul_f32_e32 v52, v65, v54
	v_or_b32_e32 v54, 0x400000, v46
	v_cmp_u_f32_e32 vcc_lo, v46, v46
	s_delay_alu instid0(VALU_DEP_4) | instskip(SKIP_3) | instid1(VALU_DEP_2)
	v_add3_u32 v53, v55, v46, 0x7fff
	v_and_b32_e32 v55, 0xffff0000, v48
	v_bfe_u32 v56, v52, 16, 1
	s_wait_alu 0xfffd
	v_dual_cndmask_b32 v46, v53, v54 :: v_dual_mul_f32 v53, v67, v55
	s_delay_alu instid0(VALU_DEP_2)
	v_add3_u32 v54, v56, v52, 0x7fff
	v_or_b32_e32 v55, 0x400000, v52
	v_cmp_u_f32_e32 vcc_lo, v52, v52
	v_add3_u32 v56, v57, v47, 0x7fff
	v_or_b32_e32 v57, 0x400000, v47
	v_bfe_u32 v58, v53, 16, 1
	v_and_b32_e32 v46, 0xffff0000, v46
	s_wait_alu 0xfffd
	v_cndmask_b32_e32 v52, v54, v55, vcc_lo
	v_cmp_u_f32_e32 vcc_lo, v47, v47
	v_or_b32_e32 v55, 0x400000, v53
	v_add3_u32 v54, v58, v53, 0x7fff
	s_delay_alu instid0(VALU_DEP_4) | instskip(SKIP_3) | instid1(VALU_DEP_2)
	v_and_b32_e32 v51, 0xffff0000, v52
	s_wait_alu 0xfffd
	v_dual_cndmask_b32 v47, v56, v57 :: v_dual_and_b32 v50, 0xffff0000, v50
	v_cmp_u_f32_e32 vcc_lo, v53, v53
	v_add_f32_e32 v46, v46, v50
	s_wait_alu 0xfffd
	v_dual_cndmask_b32 v53, v54, v55 :: v_dual_and_b32 v50, 0xffff0000, v41
	v_and_b32_e32 v47, 0xffff0000, v47
	v_and_b32_e32 v55, 0xffff0000, v44
	s_delay_alu instid0(VALU_DEP_3) | instskip(SKIP_1) | instid1(VALU_DEP_4)
	v_dual_add_f32 v45, v46, v45 :: v_dual_mul_f32 v46, v0, v50
	v_lshlrev_b32_e32 v41, 16, v41
	v_add_f32_e32 v47, v47, v51
	s_delay_alu instid0(VALU_DEP_3) | instskip(SKIP_1) | instid1(VALU_DEP_3)
	v_bfe_u32 v50, v46, 16, 1
	v_or_b32_e32 v51, 0x400000, v46
	v_add_f32_e32 v45, v47, v45
	v_mul_f32_e32 v41, v69, v41
	s_delay_alu instid0(VALU_DEP_4) | instskip(SKIP_2) | instid1(VALU_DEP_2)
	v_add3_u32 v50, v50, v46, 0x7fff
	v_and_b32_e32 v47, 0xffff0000, v42
	v_lshlrev_b32_e32 v48, 16, v48
	v_dual_mul_f32 v47, v66, v47 :: v_dual_lshlrev_b32 v42, 16, v42
	s_delay_alu instid0(VALU_DEP_2) | instskip(NEXT) | instid1(VALU_DEP_1)
	v_mul_f32_e32 v48, v70, v48
	v_bfe_u32 v54, v48, 16, 1
	v_cmp_u_f32_e32 vcc_lo, v48, v48
	s_delay_alu instid0(VALU_DEP_2) | instskip(SKIP_2) | instid1(VALU_DEP_1)
	v_add3_u32 v52, v54, v48, 0x7fff
	v_or_b32_e32 v54, 0x400000, v48
	s_wait_alu 0xfffd
	v_cndmask_b32_e32 v48, v52, v54, vcc_lo
	v_bfe_u32 v52, v41, 16, 1
	v_cmp_u_f32_e32 vcc_lo, v46, v46
	s_wait_alu 0xfffd
	v_cndmask_b32_e32 v46, v50, v51, vcc_lo
	s_delay_alu instid0(VALU_DEP_3) | instskip(SKIP_4) | instid1(VALU_DEP_3)
	v_add3_u32 v50, v52, v41, 0x7fff
	v_or_b32_e32 v51, 0x400000, v41
	v_cmp_u_f32_e32 vcc_lo, v41, v41
	v_bfe_u32 v52, v47, 16, 1
	s_wait_alu 0xfffd
	v_dual_cndmask_b32 v41, v50, v51 :: v_dual_and_b32 v46, 0xffff0000, v46
	v_mul_f32_e32 v42, v68, v42
	s_delay_alu instid0(VALU_DEP_3)
	v_add3_u32 v50, v52, v47, 0x7fff
	v_or_b32_e32 v51, 0x400000, v47
	v_cmp_u_f32_e32 vcc_lo, v47, v47
	v_and_b32_e32 v41, 0xffff0000, v41
	v_bfe_u32 v52, v42, 16, 1
	s_wait_alu 0xfffd
	v_cndmask_b32_e32 v47, v50, v51, vcc_lo
	v_or_b32_e32 v51, 0x400000, v42
	s_delay_alu instid0(VALU_DEP_3)
	v_add3_u32 v50, v52, v42, 0x7fff
	v_cmp_u_f32_e32 vcc_lo, v42, v42
	v_add_f32_e32 v41, v41, v46
	v_and_b32_e32 v47, 0xffff0000, v47
	s_wait_alu 0xfffd
	v_cndmask_b32_e32 v42, v50, v51, vcc_lo
	s_delay_alu instid0(VALU_DEP_1) | instskip(NEXT) | instid1(VALU_DEP_1)
	v_and_b32_e32 v42, 0xffff0000, v42
	v_add_f32_e32 v42, v42, v47
	v_and_b32_e32 v54, 0xffff0000, v43
	v_lshlrev_b32_e32 v43, 16, v43
	s_delay_alu instid0(VALU_DEP_2) | instskip(NEXT) | instid1(VALU_DEP_2)
	v_dual_add_f32 v41, v42, v41 :: v_dual_mul_f32 v54, v65, v54
	v_mul_f32_e32 v43, v71, v43
	s_delay_alu instid0(VALU_DEP_2) | instskip(NEXT) | instid1(VALU_DEP_2)
	v_bfe_u32 v52, v54, 16, 1
	v_bfe_u32 v50, v43, 16, 1
	v_cmp_u_f32_e32 vcc_lo, v54, v54
	v_or_b32_e32 v56, 0x400000, v43
	s_delay_alu instid0(VALU_DEP_4) | instskip(SKIP_4) | instid1(VALU_DEP_2)
	v_add3_u32 v51, v52, v54, 0x7fff
	v_mul_f32_e32 v52, v67, v55
	v_or_b32_e32 v55, 0x400000, v54
	v_add3_u32 v50, v50, v43, 0x7fff
	s_wait_alu 0xfffd
	v_cndmask_b32_e32 v51, v51, v55, vcc_lo
	v_cmp_u_f32_e32 vcc_lo, v43, v43
	s_wait_alu 0xfffd
	s_delay_alu instid0(VALU_DEP_2) | instskip(SKIP_2) | instid1(VALU_DEP_3)
	v_dual_cndmask_b32 v43, v50, v56 :: v_dual_and_b32 v46, 0xffff0000, v51
	v_and_b32_e32 v48, 0xffff0000, v48
	v_lshlrev_b32_e32 v44, 16, v44
	v_and_b32_e32 v43, 0xffff0000, v43
	s_delay_alu instid0(VALU_DEP_1) | instskip(SKIP_1) | instid1(VALU_DEP_4)
	v_add_f32_e32 v42, v43, v46
	v_and_b32_e32 v46, 0xffff0000, v37
	v_dual_mul_f32 v44, v70, v44 :: v_dual_lshlrev_b32 v37, 16, v37
	v_bfe_u32 v57, v52, 16, 1
	v_or_b32_e32 v56, 0x400000, v52
	v_add_f32_e32 v41, v42, v41
	s_delay_alu instid0(VALU_DEP_4)
	v_bfe_u32 v58, v44, 16, 1
	v_or_b32_e32 v55, 0x400000, v44
	v_cmp_u_f32_e32 vcc_lo, v44, v44
	v_add3_u32 v50, v57, v52, 0x7fff
	v_mul_f32_e32 v37, v69, v37
	v_add3_u32 v54, v58, v44, 0x7fff
	s_wait_alu 0xfffd
	s_delay_alu instid0(VALU_DEP_1) | instskip(SKIP_1) | instid1(VALU_DEP_2)
	v_cndmask_b32_e32 v44, v54, v55, vcc_lo
	v_cmp_u_f32_e32 vcc_lo, v52, v52
	v_and_b32_e32 v43, 0xffff0000, v44
	s_wait_alu 0xfffd
	v_cndmask_b32_e32 v47, v50, v56, vcc_lo
	s_delay_alu instid0(VALU_DEP_1) | instskip(NEXT) | instid1(VALU_DEP_1)
	v_and_b32_e32 v44, 0xffff0000, v47
	v_dual_add_f32 v42, v43, v44 :: v_dual_mul_f32 v43, v0, v46
	v_or_b32_e32 v46, 0x400000, v37
	s_delay_alu instid0(VALU_DEP_2) | instskip(NEXT) | instid1(VALU_DEP_3)
	v_add_f32_e32 v41, v42, v41
	v_bfe_u32 v42, v43, 16, 1
	v_cmp_u_f32_e32 vcc_lo, v43, v43
	s_delay_alu instid0(VALU_DEP_3) | instskip(NEXT) | instid1(VALU_DEP_3)
	v_add_f32_e32 v127, v127, v41
	v_add3_u32 v41, v42, v43, 0x7fff
	v_or_b32_e32 v42, 0x400000, v43
	v_and_b32_e32 v50, 0xffff0000, v53
	v_and_b32_e32 v43, 0xffff0000, v39
	s_wait_alu 0xfffd
	s_delay_alu instid0(VALU_DEP_3) | instskip(NEXT) | instid1(VALU_DEP_3)
	v_cndmask_b32_e32 v41, v41, v42, vcc_lo
	v_add_f32_e32 v47, v48, v50
	v_cmp_u_f32_e32 vcc_lo, v37, v37
	s_delay_alu instid0(VALU_DEP_2) | instskip(SKIP_2) | instid1(VALU_DEP_3)
	v_dual_mul_f32 v43, v65, v43 :: v_dual_add_f32 v44, v47, v45
	v_and_b32_e32 v45, 0xffff0000, v38
	v_and_b32_e32 v47, 0xffff0000, v40
	v_add_f32_e32 v126, v126, v44
	v_bfe_u32 v44, v37, 16, 1
	s_delay_alu instid0(VALU_DEP_4) | instskip(NEXT) | instid1(VALU_DEP_2)
	v_mul_f32_e32 v45, v66, v45
	v_add3_u32 v44, v44, v37, 0x7fff
	s_delay_alu instid0(VALU_DEP_2) | instskip(SKIP_1) | instid1(VALU_DEP_2)
	v_bfe_u32 v42, v45, 16, 1
	s_wait_alu 0xfffd
	v_cndmask_b32_e32 v37, v44, v46, vcc_lo
	s_delay_alu instid0(VALU_DEP_2) | instskip(SKIP_4) | instid1(VALU_DEP_3)
	v_add3_u32 v42, v42, v45, 0x7fff
	v_or_b32_e32 v44, 0x400000, v45
	v_cmp_u_f32_e32 vcc_lo, v45, v45
	v_lshlrev_b32_e32 v39, 16, v39
	s_wait_alu 0xfffd
	v_dual_cndmask_b32 v42, v42, v44 :: v_dual_and_b32 v37, 0xffff0000, v37
	s_delay_alu instid0(VALU_DEP_2) | instskip(NEXT) | instid1(VALU_DEP_1)
	v_dual_mul_f32 v39, v71, v39 :: v_dual_lshlrev_b32 v38, 16, v38
	v_mul_f32_e32 v38, v68, v38
	s_delay_alu instid0(VALU_DEP_2) | instskip(NEXT) | instid1(VALU_DEP_2)
	v_bfe_u32 v48, v39, 16, 1
	v_bfe_u32 v46, v38, 16, 1
	v_or_b32_e32 v45, 0x400000, v38
	v_cmp_u_f32_e32 vcc_lo, v38, v38
	s_delay_alu instid0(VALU_DEP_3) | instskip(SKIP_2) | instid1(VALU_DEP_2)
	v_add3_u32 v44, v46, v38, 0x7fff
	v_bfe_u32 v46, v43, 16, 1
	s_wait_alu 0xfffd
	v_dual_cndmask_b32 v38, v44, v45 :: v_dual_mul_f32 v45, v67, v47
	s_delay_alu instid0(VALU_DEP_2)
	v_add3_u32 v44, v46, v43, 0x7fff
	v_or_b32_e32 v46, 0x400000, v43
	v_cmp_u_f32_e32 vcc_lo, v43, v43
	v_add3_u32 v47, v48, v39, 0x7fff
	v_lshlrev_b32_e32 v40, 16, v40
	v_or_b32_e32 v48, 0x400000, v39
	v_bfe_u32 v49, v45, 16, 1
	s_wait_alu 0xfffd
	v_cndmask_b32_e32 v43, v44, v46, vcc_lo
	v_cmp_u_f32_e32 vcc_lo, v39, v39
	v_mul_f32_e32 v40, v70, v40
	v_or_b32_e32 v46, 0x400000, v45
	v_add3_u32 v44, v49, v45, 0x7fff
	s_wait_alu 0xfffd
	v_dual_cndmask_b32 v39, v47, v48 :: v_dual_and_b32 v38, 0xffff0000, v38
	v_cmp_u_f32_e32 vcc_lo, v45, v45
	v_bfe_u32 v47, v40, 16, 1
	v_and_b32_e32 v41, 0xffff0000, v41
	s_wait_alu 0xfffd
	v_dual_cndmask_b32 v44, v44, v46 :: v_dual_and_b32 v39, 0xffff0000, v39
	s_delay_alu instid0(VALU_DEP_2) | instskip(SKIP_3) | instid1(VALU_DEP_4)
	v_dual_add_f32 v37, v37, v41 :: v_dual_and_b32 v42, 0xffff0000, v42
	v_add3_u32 v45, v47, v40, 0x7fff
	v_or_b32_e32 v46, 0x400000, v40
	v_cmp_u_f32_e32 vcc_lo, v40, v40
	v_dual_add_f32 v38, v38, v42 :: v_dual_and_b32 v41, 0xffff0000, v29
	v_and_b32_e32 v42, 0xffff0000, v43
	s_wait_alu 0xfffd
	s_delay_alu instid0(VALU_DEP_2) | instskip(NEXT) | instid1(VALU_DEP_2)
	v_dual_cndmask_b32 v40, v45, v46 :: v_dual_add_f32 v37, v38, v37
	v_dual_mul_f32 v38, v0, v41 :: v_dual_add_f32 v39, v39, v42
	v_and_b32_e32 v45, 0xffff0000, v32
	s_delay_alu instid0(VALU_DEP_3) | instskip(SKIP_1) | instid1(VALU_DEP_4)
	v_and_b32_e32 v40, 0xffff0000, v40
	v_lshlrev_b32_e32 v32, 16, v32
	v_bfe_u32 v42, v38, 16, 1
	v_add_f32_e32 v37, v39, v37
	v_and_b32_e32 v39, 0xffff0000, v30
	v_lshlrev_b32_e32 v30, 16, v30
	v_and_b32_e32 v41, 0xffff0000, v44
	v_cmp_u_f32_e32 vcc_lo, v38, v38
	v_and_b32_e32 v44, 0xffff0000, v31
	v_mul_f32_e32 v32, v70, v32
	v_mul_f32_e32 v30, v68, v30
	v_add_f32_e32 v40, v40, v41
	v_add3_u32 v41, v42, v38, 0x7fff
	v_or_b32_e32 v42, 0x400000, v38
	v_lshlrev_b32_e32 v29, 16, v29
	v_dual_mul_f32 v39, v66, v39 :: v_dual_mul_f32 v44, v65, v44
	s_wait_alu 0xfffd
	s_delay_alu instid0(VALU_DEP_3) | instskip(NEXT) | instid1(VALU_DEP_1)
	v_dual_add_f32 v37, v40, v37 :: v_dual_cndmask_b32 v38, v41, v42
	v_dual_mul_f32 v29, v69, v29 :: v_dual_and_b32 v38, 0xffff0000, v38
	s_delay_alu instid0(VALU_DEP_1) | instskip(SKIP_2) | instid1(VALU_DEP_3)
	v_bfe_u32 v43, v29, 16, 1
	v_or_b32_e32 v42, 0x400000, v29
	v_cmp_u_f32_e32 vcc_lo, v29, v29
	v_add3_u32 v41, v43, v29, 0x7fff
	v_bfe_u32 v43, v39, 16, 1
	s_wait_alu 0xfffd
	s_delay_alu instid0(VALU_DEP_2) | instskip(NEXT) | instid1(VALU_DEP_2)
	v_cndmask_b32_e32 v29, v41, v42, vcc_lo
	v_add3_u32 v41, v43, v39, 0x7fff
	v_or_b32_e32 v42, 0x400000, v39
	v_bfe_u32 v43, v30, 16, 1
	v_cmp_u_f32_e32 vcc_lo, v39, v39
	s_wait_alu 0xfffd
	s_delay_alu instid0(VALU_DEP_3) | instskip(NEXT) | instid1(VALU_DEP_3)
	v_cndmask_b32_e32 v39, v41, v42, vcc_lo
	v_add3_u32 v41, v43, v30, 0x7fff
	v_or_b32_e32 v42, 0x400000, v30
	v_cmp_u_f32_e32 vcc_lo, v30, v30
	v_lshlrev_b32_e32 v31, 16, v31
	v_bfe_u32 v43, v44, 16, 1
	s_wait_alu 0xfffd
	v_dual_cndmask_b32 v30, v41, v42 :: v_dual_and_b32 v39, 0xffff0000, v39
	s_delay_alu instid0(VALU_DEP_3) | instskip(NEXT) | instid1(VALU_DEP_3)
	v_mul_f32_e32 v31, v71, v31
	v_add3_u32 v42, v43, v44, 0x7fff
	v_cmp_u_f32_e32 vcc_lo, v44, v44
	s_delay_alu instid0(VALU_DEP_4) | instskip(NEXT) | instid1(VALU_DEP_4)
	v_and_b32_e32 v30, 0xffff0000, v30
	v_bfe_u32 v41, v31, 16, 1
	v_or_b32_e32 v46, 0x400000, v31
	s_delay_alu instid0(VALU_DEP_3) | instskip(SKIP_1) | instid1(VALU_DEP_4)
	v_dual_add_f32 v30, v30, v39 :: v_dual_mul_f32 v43, v67, v45
	v_or_b32_e32 v45, 0x400000, v44
	v_add3_u32 v41, v41, v31, 0x7fff
	v_bfe_u32 v44, v32, 16, 1
	s_delay_alu instid0(VALU_DEP_4)
	v_bfe_u32 v47, v43, 16, 1
	s_wait_alu 0xfffd
	v_cndmask_b32_e32 v42, v42, v45, vcc_lo
	v_cmp_u_f32_e32 vcc_lo, v31, v31
	v_add3_u32 v44, v44, v32, 0x7fff
	v_or_b32_e32 v45, 0x400000, v43
	s_wait_alu 0xfffd
	v_cndmask_b32_e32 v31, v41, v46, vcc_lo
	v_or_b32_e32 v46, 0x400000, v32
	v_cmp_u_f32_e32 vcc_lo, v32, v32
	v_add3_u32 v41, v47, v43, 0x7fff
	s_wait_alu 0xfffd
	s_delay_alu instid0(VALU_DEP_3) | instskip(SKIP_1) | instid1(VALU_DEP_2)
	v_dual_cndmask_b32 v32, v44, v46 :: v_dual_and_b32 v29, 0xffff0000, v29
	v_cmp_u_f32_e32 vcc_lo, v43, v43
	v_dual_add_f32 v29, v29, v38 :: v_dual_and_b32 v32, 0xffff0000, v32
	v_and_b32_e32 v31, 0xffff0000, v31
	s_delay_alu instid0(VALU_DEP_2) | instskip(SKIP_1) | instid1(VALU_DEP_1)
	v_dual_add_f32 v29, v30, v29 :: v_dual_and_b32 v38, 0xffff0000, v42
	s_wait_alu 0xfffd
	v_dual_cndmask_b32 v39, v41, v45 :: v_dual_add_f32 v30, v31, v38
	s_delay_alu instid0(VALU_DEP_1) | instskip(NEXT) | instid1(VALU_DEP_1)
	v_dual_add_f32 v29, v30, v29 :: v_dual_and_b32 v38, 0xffff0000, v39
	v_add_f32_e32 v30, v32, v38
	v_and_b32_e32 v32, 0xffff0000, v26
	v_and_b32_e32 v31, 0xffff0000, v25
	v_lshlrev_b32_e32 v26, 16, v26
	v_lshlrev_b32_e32 v25, 16, v25
	v_add_f32_e32 v29, v30, v29
	s_delay_alu instid0(VALU_DEP_4) | instskip(NEXT) | instid1(VALU_DEP_3)
	v_dual_mul_f32 v30, v66, v32 :: v_dual_mul_f32 v31, v0, v31
	v_dual_mul_f32 v26, v68, v26 :: v_dual_mul_f32 v25, v69, v25
	s_delay_alu instid0(VALU_DEP_2) | instskip(NEXT) | instid1(VALU_DEP_3)
	v_bfe_u32 v40, v30, 16, 1
	v_bfe_u32 v38, v31, 16, 1
	v_cmp_u_f32_e32 vcc_lo, v31, v31
	s_delay_alu instid0(VALU_DEP_2) | instskip(SKIP_2) | instid1(VALU_DEP_1)
	v_add3_u32 v32, v38, v31, 0x7fff
	v_or_b32_e32 v38, 0x400000, v31
	s_wait_alu 0xfffd
	v_dual_cndmask_b32 v31, v32, v38 :: v_dual_and_b32 v38, 0xffff0000, v27
	v_or_b32_e32 v39, 0x400000, v25
	v_cmp_u_f32_e32 vcc_lo, v25, v25
	v_add_f32_e32 v128, v128, v37
	v_bfe_u32 v37, v25, 16, 1
	v_add3_u32 v32, v40, v30, 0x7fff
	s_delay_alu instid0(VALU_DEP_2) | instskip(SKIP_1) | instid1(VALU_DEP_1)
	v_add3_u32 v37, v37, v25, 0x7fff
	s_wait_alu 0xfffd
	v_cndmask_b32_e32 v25, v37, v39, vcc_lo
	v_or_b32_e32 v37, 0x400000, v30
	v_bfe_u32 v39, v26, 16, 1
	v_cmp_u_f32_e32 vcc_lo, v30, v30
	s_wait_alu 0xfffd
	s_delay_alu instid0(VALU_DEP_3)
	v_dual_cndmask_b32 v30, v32, v37 :: v_dual_lshlrev_b32 v27, 16, v27
	v_mul_f32_e32 v32, v65, v38
	v_add3_u32 v37, v39, v26, 0x7fff
	v_or_b32_e32 v38, 0x400000, v26
	v_cmp_u_f32_e32 vcc_lo, v26, v26
	v_mul_f32_e32 v27, v71, v27
	v_bfe_u32 v40, v32, 16, 1
	v_and_b32_e32 v30, 0xffff0000, v30
	s_wait_alu 0xfffd
	v_cndmask_b32_e32 v26, v37, v38, vcc_lo
	v_bfe_u32 v41, v27, 16, 1
	v_add3_u32 v38, v40, v32, 0x7fff
	v_cmp_u_f32_e32 vcc_lo, v32, v32
	s_delay_alu instid0(VALU_DEP_4) | instskip(SKIP_4) | instid1(VALU_DEP_4)
	v_and_b32_e32 v26, 0xffff0000, v26
	v_and_b32_e32 v39, 0xffff0000, v28
	v_add3_u32 v40, v41, v27, 0x7fff
	v_or_b32_e32 v41, 0x400000, v27
	v_lshlrev_b32_e32 v28, 16, v28
	v_dual_add_f32 v26, v26, v30 :: v_dual_mul_f32 v37, v67, v39
	v_or_b32_e32 v39, 0x400000, v32
	s_delay_alu instid0(VALU_DEP_3) | instskip(NEXT) | instid1(VALU_DEP_3)
	v_mul_f32_e32 v28, v70, v28
	v_bfe_u32 v42, v37, 16, 1
	s_wait_alu 0xfffd
	s_delay_alu instid0(VALU_DEP_3)
	v_cndmask_b32_e32 v32, v38, v39, vcc_lo
	v_cmp_u_f32_e32 vcc_lo, v27, v27
	v_or_b32_e32 v39, 0x400000, v37
	v_add3_u32 v38, v42, v37, 0x7fff
	s_wait_alu 0xfffd
	v_cndmask_b32_e32 v27, v40, v41, vcc_lo
	v_cmp_u_f32_e32 vcc_lo, v37, v37
	s_delay_alu instid0(VALU_DEP_2)
	v_and_b32_e32 v27, 0xffff0000, v27
	s_wait_alu 0xfffd
	v_cndmask_b32_e32 v37, v38, v39, vcc_lo
	v_bfe_u32 v38, v28, 16, 1
	v_and_b32_e32 v30, 0xffff0000, v21
	v_and_b32_e32 v25, 0xffff0000, v25
	v_cmp_u_f32_e32 vcc_lo, v28, v28
	v_and_b32_e32 v31, 0xffff0000, v31
	v_and_b32_e32 v39, 0xffff0000, v24
	s_delay_alu instid0(VALU_DEP_2) | instskip(SKIP_3) | instid1(VALU_DEP_4)
	v_dual_add_f32 v25, v25, v31 :: v_dual_lshlrev_b32 v24, 16, v24
	v_and_b32_e32 v31, 0xffff0000, v32
	v_add3_u32 v32, v38, v28, 0x7fff
	v_or_b32_e32 v38, 0x400000, v28
	v_mul_f32_e32 v24, v70, v24
	s_wait_alu 0xfffd
	s_delay_alu instid0(VALU_DEP_2) | instskip(SKIP_3) | instid1(VALU_DEP_4)
	v_cndmask_b32_e32 v28, v32, v38, vcc_lo
	v_dual_add_f32 v25, v26, v25 :: v_dual_and_b32 v38, 0xffff0000, v23
	v_lshlrev_b32_e32 v23, 16, v23
	v_bfe_u32 v42, v24, 16, 1
	v_and_b32_e32 v28, 0xffff0000, v28
	s_delay_alu instid0(VALU_DEP_4) | instskip(NEXT) | instid1(VALU_DEP_4)
	v_dual_mul_f32 v38, v65, v38 :: v_dual_add_f32 v27, v27, v31
	v_dual_mul_f32 v26, v0, v30 :: v_dual_mul_f32 v23, v71, v23
	s_delay_alu instid0(VALU_DEP_2) | instskip(NEXT) | instid1(VALU_DEP_2)
	v_add_f32_e32 v25, v27, v25
	v_bfe_u32 v30, v26, 16, 1
	v_or_b32_e32 v31, 0x400000, v26
	v_cmp_u_f32_e32 vcc_lo, v26, v26
	v_and_b32_e32 v27, 0xffff0000, v22
	v_lshlrev_b32_e32 v22, 16, v22
	v_add3_u32 v30, v30, v26, 0x7fff
	v_lshlrev_b32_e32 v21, 16, v21
	v_or_b32_e32 v40, 0x400000, v23
	s_delay_alu instid0(VALU_DEP_4) | instskip(SKIP_1) | instid1(VALU_DEP_3)
	v_mul_f32_e32 v22, v68, v22
	s_wait_alu 0xfffd
	v_dual_cndmask_b32 v26, v30, v31 :: v_dual_mul_f32 v21, v69, v21
	s_delay_alu instid0(VALU_DEP_1) | instskip(NEXT) | instid1(VALU_DEP_2)
	v_dual_mul_f32 v27, v66, v27 :: v_dual_and_b32 v26, 0xffff0000, v26
	v_bfe_u32 v32, v21, 16, 1
	v_or_b32_e32 v31, 0x400000, v21
	v_cmp_u_f32_e32 vcc_lo, v21, v21
	s_delay_alu instid0(VALU_DEP_3) | instskip(SKIP_2) | instid1(VALU_DEP_2)
	v_add3_u32 v30, v32, v21, 0x7fff
	v_bfe_u32 v32, v27, 16, 1
	s_wait_alu 0xfffd
	v_cndmask_b32_e32 v21, v30, v31, vcc_lo
	s_delay_alu instid0(VALU_DEP_2) | instskip(SKIP_4) | instid1(VALU_DEP_3)
	v_add3_u32 v30, v32, v27, 0x7fff
	v_or_b32_e32 v31, 0x400000, v27
	v_bfe_u32 v32, v22, 16, 1
	v_cmp_u_f32_e32 vcc_lo, v27, v27
	s_wait_alu 0xfffd
	v_cndmask_b32_e32 v27, v30, v31, vcc_lo
	s_delay_alu instid0(VALU_DEP_3)
	v_add3_u32 v30, v32, v22, 0x7fff
	v_or_b32_e32 v31, 0x400000, v22
	v_cmp_u_f32_e32 vcc_lo, v22, v22
	v_bfe_u32 v32, v38, 16, 1
	v_and_b32_e32 v27, 0xffff0000, v27
	s_wait_alu 0xfffd
	v_cndmask_b32_e32 v22, v30, v31, vcc_lo
	v_bfe_u32 v30, v23, 16, 1
	v_add3_u32 v31, v32, v38, 0x7fff
	v_cmp_u_f32_e32 vcc_lo, v38, v38
	s_delay_alu instid0(VALU_DEP_4) | instskip(NEXT) | instid1(VALU_DEP_4)
	v_and_b32_e32 v22, 0xffff0000, v22
	v_add3_u32 v30, v30, v23, 0x7fff
	s_delay_alu instid0(VALU_DEP_2) | instskip(SKIP_3) | instid1(VALU_DEP_4)
	v_dual_add_f32 v22, v22, v27 :: v_dual_and_b32 v21, 0xffff0000, v21
	v_mul_f32_e32 v32, v67, v39
	v_or_b32_e32 v39, 0x400000, v38
	v_add3_u32 v38, v42, v24, 0x7fff
	v_add_f32_e32 v21, v21, v26
	s_delay_alu instid0(VALU_DEP_4)
	v_bfe_u32 v41, v32, 16, 1
	s_wait_alu 0xfffd
	v_cndmask_b32_e32 v31, v31, v39, vcc_lo
	v_cmp_u_f32_e32 vcc_lo, v23, v23
	v_or_b32_e32 v39, 0x400000, v24
	s_wait_alu 0xfffd
	v_cndmask_b32_e32 v23, v30, v40, vcc_lo
	v_cmp_u_f32_e32 vcc_lo, v24, v24
	v_add3_u32 v30, v41, v32, 0x7fff
	v_or_b32_e32 v40, 0x400000, v32
	s_delay_alu instid0(VALU_DEP_4)
	v_and_b32_e32 v23, 0xffff0000, v23
	s_wait_alu 0xfffd
	v_cndmask_b32_e32 v24, v38, v39, vcc_lo
	v_cmp_u_f32_e32 vcc_lo, v32, v32
	s_wait_alu 0xfffd
	v_dual_cndmask_b32 v27, v30, v40 :: v_dual_and_b32 v26, 0xffff0000, v31
	v_and_b32_e32 v30, 0xffff0000, v37
	s_delay_alu instid0(VALU_DEP_2) | instskip(SKIP_1) | instid1(VALU_DEP_4)
	v_dual_add_f32 v21, v22, v21 :: v_dual_add_f32 v22, v23, v26
	v_and_b32_e32 v23, 0xffff0000, v24
	v_and_b32_e32 v24, 0xffff0000, v27
	s_delay_alu instid0(VALU_DEP_4) | instskip(NEXT) | instid1(VALU_DEP_2)
	v_dual_add_f32 v27, v28, v30 :: v_dual_and_b32 v26, 0xffff0000, v17
	v_dual_add_f32 v21, v22, v21 :: v_dual_add_f32 v22, v23, v24
	s_delay_alu instid0(VALU_DEP_2) | instskip(SKIP_1) | instid1(VALU_DEP_3)
	v_dual_mul_f32 v23, v0, v26 :: v_dual_add_f32 v24, v27, v25
	v_and_b32_e32 v25, 0xffff0000, v18
	v_dual_add_f32 v21, v22, v21 :: v_dual_lshlrev_b32 v18, 16, v18
	v_and_b32_e32 v27, 0xffff0000, v20
	v_lshlrev_b32_e32 v20, 16, v20
	v_bfe_u32 v22, v23, 16, 1
	v_mul_f32_e32 v25, v66, v25
	v_add_f32_e32 v131, v131, v21
	v_cmp_u_f32_e32 vcc_lo, v23, v23
	v_add_f32_e32 v130, v130, v24
	v_add3_u32 v21, v22, v23, 0x7fff
	v_or_b32_e32 v22, 0x400000, v23
	v_mul_f32_e32 v20, v70, v20
	v_mul_f32_e32 v18, v68, v18
	s_wait_alu 0xfffd
	s_delay_alu instid0(VALU_DEP_3) | instskip(SKIP_1) | instid1(VALU_DEP_1)
	v_cndmask_b32_e32 v21, v21, v22, vcc_lo
	v_bfe_u32 v22, v25, 16, 1
	v_add3_u32 v22, v22, v25, 0x7fff
	v_lshlrev_b32_e32 v17, 16, v17
	s_delay_alu instid0(VALU_DEP_1) | instskip(NEXT) | instid1(VALU_DEP_1)
	v_mul_f32_e32 v17, v69, v17
	v_bfe_u32 v24, v17, 16, 1
	v_or_b32_e32 v26, 0x400000, v17
	v_cmp_u_f32_e32 vcc_lo, v17, v17
	s_delay_alu instid0(VALU_DEP_3) | instskip(SKIP_1) | instid1(VALU_DEP_1)
	v_add3_u32 v24, v24, v17, 0x7fff
	s_wait_alu 0xfffd
	v_cndmask_b32_e32 v17, v24, v26, vcc_lo
	v_or_b32_e32 v24, 0x400000, v25
	v_bfe_u32 v26, v18, 16, 1
	v_cmp_u_f32_e32 vcc_lo, v25, v25
	v_or_b32_e32 v25, 0x400000, v18
	s_wait_alu 0xfffd
	v_cndmask_b32_e32 v22, v22, v24, vcc_lo
	v_add3_u32 v24, v26, v18, 0x7fff
	v_cmp_u_f32_e32 vcc_lo, v18, v18
	s_delay_alu instid0(VALU_DEP_3) | instskip(SKIP_1) | instid1(VALU_DEP_3)
	v_and_b32_e32 v22, 0xffff0000, v22
	s_wait_alu 0xfffd
	v_cndmask_b32_e32 v18, v24, v25, vcc_lo
	v_add_f32_e32 v129, v129, v29
	v_and_b32_e32 v21, 0xffff0000, v21
	s_delay_alu instid0(VALU_DEP_3) | instskip(SKIP_1) | instid1(VALU_DEP_2)
	v_and_b32_e32 v18, 0xffff0000, v18
	v_and_b32_e32 v23, 0xffff0000, v19
	v_dual_add_f32 v18, v18, v22 :: v_dual_lshlrev_b32 v19, 16, v19
	s_delay_alu instid0(VALU_DEP_2) | instskip(NEXT) | instid1(VALU_DEP_2)
	v_mul_f32_e32 v23, v65, v23
	v_dual_mul_f32 v19, v71, v19 :: v_dual_and_b32 v22, 0xffff0000, v13
	v_and_b32_e32 v17, 0xffff0000, v17
	v_lshlrev_b32_e32 v13, 16, v13
	s_delay_alu instid0(VALU_DEP_4) | instskip(SKIP_1) | instid1(VALU_DEP_4)
	v_bfe_u32 v26, v23, 16, 1
	v_cmp_u_f32_e32 vcc_lo, v23, v23
	v_add_f32_e32 v17, v17, v21
	s_delay_alu instid0(VALU_DEP_4) | instskip(NEXT) | instid1(VALU_DEP_4)
	v_mul_f32_e32 v13, v69, v13
	v_add3_u32 v24, v26, v23, 0x7fff
	v_or_b32_e32 v26, 0x400000, v23
	s_delay_alu instid0(VALU_DEP_4) | instskip(SKIP_1) | instid1(VALU_DEP_2)
	v_dual_add_f32 v17, v18, v17 :: v_dual_mul_f32 v18, v0, v22
	s_wait_alu 0xfffd
	v_cndmask_b32_e32 v23, v24, v26, vcc_lo
	s_delay_alu instid0(VALU_DEP_2) | instskip(NEXT) | instid1(VALU_DEP_2)
	v_bfe_u32 v22, v18, 16, 1
	v_and_b32_e32 v21, 0xffff0000, v23
	v_and_b32_e32 v23, 0xffff0000, v14
	v_lshlrev_b32_e32 v14, 16, v14
	v_bfe_u32 v28, v19, 16, 1
	v_mul_f32_e32 v25, v67, v27
	v_cmp_u_f32_e32 vcc_lo, v19, v19
	s_delay_alu instid0(VALU_DEP_4) | instskip(NEXT) | instid1(VALU_DEP_4)
	v_dual_mul_f32 v23, v66, v23 :: v_dual_mul_f32 v14, v68, v14
	v_add3_u32 v27, v28, v19, 0x7fff
	v_or_b32_e32 v28, 0x400000, v19
	v_bfe_u32 v29, v25, 16, 1
	v_or_b32_e32 v26, 0x400000, v25
	s_wait_alu 0xfffd
	s_delay_alu instid0(VALU_DEP_3) | instskip(NEXT) | instid1(VALU_DEP_3)
	v_cndmask_b32_e32 v19, v27, v28, vcc_lo
	v_add3_u32 v24, v29, v25, 0x7fff
	v_bfe_u32 v27, v20, 16, 1
	v_cmp_u_f32_e32 vcc_lo, v25, v25
	s_delay_alu instid0(VALU_DEP_4) | instskip(NEXT) | instid1(VALU_DEP_3)
	v_and_b32_e32 v19, 0xffff0000, v19
	v_add3_u32 v25, v27, v20, 0x7fff
	s_wait_alu 0xfffd
	v_cndmask_b32_e32 v24, v24, v26, vcc_lo
	v_or_b32_e32 v26, 0x400000, v20
	v_cmp_u_f32_e32 vcc_lo, v20, v20
	v_add_f32_e32 v19, v19, v21
	s_delay_alu instid0(VALU_DEP_4) | instskip(SKIP_2) | instid1(VALU_DEP_3)
	v_and_b32_e32 v21, 0xffff0000, v24
	v_or_b32_e32 v24, 0x400000, v13
	s_wait_alu 0xfffd
	v_dual_cndmask_b32 v20, v25, v26 :: v_dual_add_f32 v17, v19, v17
	v_bfe_u32 v19, v13, 16, 1
	v_cmp_u_f32_e32 vcc_lo, v18, v18
	v_and_b32_e32 v25, 0xffff0000, v16
	s_delay_alu instid0(VALU_DEP_4) | instskip(SKIP_2) | instid1(VALU_DEP_3)
	v_and_b32_e32 v20, 0xffff0000, v20
	v_lshlrev_b32_e32 v16, 16, v16
	v_add3_u32 v19, v19, v13, 0x7fff
	v_add_f32_e32 v20, v20, v21
	v_add3_u32 v21, v22, v18, 0x7fff
	v_or_b32_e32 v22, 0x400000, v18
	v_mul_f32_e32 v16, v70, v16
	s_wait_alu 0xfffd
	s_delay_alu instid0(VALU_DEP_2)
	v_cndmask_b32_e32 v18, v21, v22, vcc_lo
	v_cmp_u_f32_e32 vcc_lo, v13, v13
	v_bfe_u32 v21, v23, 16, 1
	v_or_b32_e32 v22, 0x400000, v23
	s_wait_alu 0xfffd
	v_dual_cndmask_b32 v13, v19, v24 :: v_dual_and_b32 v18, 0xffff0000, v18
	v_and_b32_e32 v19, 0xffff0000, v15
	v_add3_u32 v21, v21, v23, 0x7fff
	v_lshlrev_b32_e32 v15, 16, v15
	v_bfe_u32 v24, v14, 16, 1
	v_cmp_u_f32_e32 vcc_lo, v23, v23
	v_mul_f32_e32 v19, v65, v19
	v_or_b32_e32 v23, 0x400000, v14
	v_mul_f32_e32 v15, v71, v15
	v_and_b32_e32 v13, 0xffff0000, v13
	s_wait_alu 0xfffd
	v_cndmask_b32_e32 v21, v21, v22, vcc_lo
	v_add3_u32 v22, v24, v14, 0x7fff
	v_bfe_u32 v24, v19, 16, 1
	v_cmp_u_f32_e32 vcc_lo, v14, v14
	v_bfe_u32 v26, v15, 16, 1
	v_and_b32_e32 v21, 0xffff0000, v21
	s_wait_alu 0xfffd
	v_dual_add_f32 v13, v13, v18 :: v_dual_cndmask_b32 v14, v22, v23
	v_add3_u32 v22, v24, v19, 0x7fff
	v_mul_f32_e32 v23, v67, v25
	v_or_b32_e32 v24, 0x400000, v19
	v_cmp_u_f32_e32 vcc_lo, v19, v19
	v_add3_u32 v25, v26, v15, 0x7fff
	v_or_b32_e32 v26, 0x400000, v15
	v_bfe_u32 v27, v23, 16, 1
	s_wait_alu 0xfffd
	v_dual_cndmask_b32 v19, v22, v24 :: v_dual_and_b32 v14, 0xffff0000, v14
	v_cmp_u_f32_e32 vcc_lo, v15, v15
	v_or_b32_e32 v24, 0x400000, v23
	v_add3_u32 v22, v27, v23, 0x7fff
	s_delay_alu instid0(VALU_DEP_4)
	v_add_f32_e32 v14, v14, v21
	s_wait_alu 0xfffd
	v_dual_cndmask_b32 v15, v25, v26 :: v_dual_and_b32 v18, 0xffff0000, v19
	v_bfe_u32 v25, v16, 16, 1
	v_cmp_u_f32_e32 vcc_lo, v23, v23
	v_add_f32_e32 v13, v14, v13
	v_and_b32_e32 v14, 0xffff0000, v9
	v_and_b32_e32 v15, 0xffff0000, v15
	v_add3_u32 v23, v25, v16, 0x7fff
	s_wait_alu 0xfffd
	v_cndmask_b32_e32 v22, v22, v24, vcc_lo
	v_or_b32_e32 v24, 0x400000, v16
	v_cmp_u_f32_e32 vcc_lo, v16, v16
	v_add_f32_e32 v15, v15, v18
	v_lshlrev_b32_e32 v9, 16, v9
	v_and_b32_e32 v18, 0xffff0000, v22
	v_mul_f32_e32 v14, v0, v14
	s_wait_alu 0xfffd
	v_dual_cndmask_b32 v16, v23, v24 :: v_dual_add_f32 v17, v20, v17
	v_mul_f32_e32 v19, v69, v9
	v_add_f32_e32 v9, v15, v13
	v_bfe_u32 v15, v14, 16, 1
	s_delay_alu instid0(VALU_DEP_4) | instskip(SKIP_3) | instid1(VALU_DEP_4)
	v_and_b32_e32 v16, 0xffff0000, v16
	v_dual_add_f32 v132, v132, v17 :: v_dual_and_b32 v17, 0xffff0000, v10
	v_cmp_u_f32_e32 vcc_lo, v14, v14
	v_lshlrev_b32_e32 v10, 16, v10
	v_add_f32_e32 v13, v16, v18
	v_bfe_u32 v16, v19, 16, 1
	v_mul_f32_e32 v17, v66, v17
	v_or_b32_e32 v18, 0x400000, v19
	s_delay_alu instid0(VALU_DEP_4)
	v_dual_mul_f32 v10, v68, v10 :: v_dual_add_f32 v9, v13, v9
	v_add3_u32 v13, v15, v14, 0x7fff
	v_or_b32_e32 v15, 0x400000, v14
	v_add3_u32 v16, v16, v19, 0x7fff
	v_bfe_u32 v14, v17, 16, 1
	v_and_b32_e32 v20, 0xffff0000, v12
	s_wait_alu 0xfffd
	v_dual_cndmask_b32 v13, v13, v15 :: v_dual_lshlrev_b32 v12, 16, v12
	v_cmp_u_f32_e32 vcc_lo, v19, v19
	v_add3_u32 v14, v14, v17, 0x7fff
	v_bfe_u32 v19, v10, 16, 1
	s_delay_alu instid0(VALU_DEP_4)
	v_dual_mul_f32 v12, v70, v12 :: v_dual_and_b32 v13, 0xffff0000, v13
	s_wait_alu 0xfffd
	v_dual_cndmask_b32 v15, v16, v18 :: v_dual_and_b32 v16, 0xffff0000, v11
	v_or_b32_e32 v18, 0x400000, v17
	v_lshlrev_b32_e32 v11, 16, v11
	v_cmp_u_f32_e32 vcc_lo, v17, v17
	v_add3_u32 v17, v19, v10, 0x7fff
	v_dual_mul_f32 v16, v65, v16 :: v_dual_and_b32 v15, 0xffff0000, v15
	s_wait_alu 0xfffd
	v_dual_mul_f32 v11, v71, v11 :: v_dual_cndmask_b32 v14, v14, v18
	v_or_b32_e32 v18, 0x400000, v10
	s_delay_alu instid0(VALU_DEP_3) | instskip(SKIP_1) | instid1(VALU_DEP_4)
	v_bfe_u32 v19, v16, 16, 1
	v_cmp_u_f32_e32 vcc_lo, v10, v10
	v_bfe_u32 v21, v11, 16, 1
	v_dual_add_f32 v13, v15, v13 :: v_dual_and_b32 v14, 0xffff0000, v14
	s_wait_alu 0xfffd
	v_dual_cndmask_b32 v10, v17, v18 :: v_dual_and_b32 v15, 0xffff0000, v5
	v_add3_u32 v17, v19, v16, 0x7fff
	v_mul_f32_e32 v18, v67, v20
	v_or_b32_e32 v19, 0x400000, v16
	v_cmp_u_f32_e32 vcc_lo, v16, v16
	v_add3_u32 v20, v21, v11, 0x7fff
	v_or_b32_e32 v21, 0x400000, v11
	v_bfe_u32 v22, v18, 16, 1
	v_and_b32_e32 v10, 0xffff0000, v10
	s_wait_alu 0xfffd
	v_cndmask_b32_e32 v16, v17, v19, vcc_lo
	v_cmp_u_f32_e32 vcc_lo, v11, v11
	v_or_b32_e32 v19, 0x400000, v18
	v_add3_u32 v17, v22, v18, 0x7fff
	v_add_f32_e32 v10, v10, v14
	s_wait_alu 0xfffd
	v_dual_cndmask_b32 v11, v20, v21 :: v_dual_and_b32 v14, 0xffff0000, v16
	v_bfe_u32 v20, v12, 16, 1
	v_cmp_u_f32_e32 vcc_lo, v18, v18
	v_lshlrev_b32_e32 v5, 16, v5
	s_delay_alu instid0(VALU_DEP_4) | instskip(NEXT) | instid1(VALU_DEP_4)
	v_dual_add_f32 v10, v10, v13 :: v_dual_and_b32 v11, 0xffff0000, v11
	v_add3_u32 v18, v20, v12, 0x7fff
	s_wait_alu 0xfffd
	v_cndmask_b32_e32 v17, v17, v19, vcc_lo
	v_or_b32_e32 v19, 0x400000, v12
	v_cmp_u_f32_e32 vcc_lo, v12, v12
	v_mul_f32_e32 v13, v0, v15
	v_add_f32_e32 v11, v11, v14
	v_mul_f32_e32 v5, v69, v5
	v_and_b32_e32 v14, 0xffff0000, v17
	s_wait_alu 0xfffd
	v_dual_cndmask_b32 v12, v18, v19 :: v_dual_and_b32 v15, 0xffff0000, v6
	v_bfe_u32 v16, v13, 16, 1
	v_add_f32_e32 v10, v11, v10
	v_bfe_u32 v11, v5, 16, 1
	s_delay_alu instid0(VALU_DEP_4)
	v_and_b32_e32 v12, 0xffff0000, v12
	v_lshlrev_b32_e32 v6, 16, v6
	v_cmp_u_f32_e32 vcc_lo, v13, v13
	v_or_b32_e32 v17, 0x400000, v5
	v_add3_u32 v11, v11, v5, 0x7fff
	v_add_f32_e32 v12, v12, v14
	v_mul_f32_e32 v14, v66, v15
	v_add3_u32 v15, v16, v13, 0x7fff
	v_or_b32_e32 v16, 0x400000, v13
	v_dual_mul_f32 v6, v68, v6 :: v_dual_add_f32 v133, v133, v9
	s_delay_alu instid0(VALU_DEP_4) | instskip(SKIP_1) | instid1(VALU_DEP_3)
	v_bfe_u32 v18, v14, 16, 1
	s_wait_alu 0xfffd
	v_cndmask_b32_e32 v13, v15, v16, vcc_lo
	v_cmp_u_f32_e32 vcc_lo, v5, v5
	v_and_b32_e32 v16, 0xffff0000, v7
	v_or_b32_e32 v15, 0x400000, v14
	v_lshlrev_b32_e32 v7, 16, v7
	v_and_b32_e32 v13, 0xffff0000, v13
	s_wait_alu 0xfffd
	v_cndmask_b32_e32 v5, v11, v17, vcc_lo
	v_add3_u32 v11, v18, v14, 0x7fff
	v_bfe_u32 v17, v6, 16, 1
	v_cmp_u_f32_e32 vcc_lo, v14, v14
	v_dual_mul_f32 v14, v65, v16 :: v_dual_mul_f32 v7, v71, v7
	v_or_b32_e32 v16, 0x400000, v6
	v_and_b32_e32 v5, 0xffff0000, v5
	s_wait_alu 0xfffd
	v_cndmask_b32_e32 v11, v11, v15, vcc_lo
	v_add3_u32 v15, v17, v6, 0x7fff
	v_and_b32_e32 v17, 0xffff0000, v8
	v_bfe_u32 v18, v14, 16, 1
	v_cmp_u_f32_e32 vcc_lo, v6, v6
	v_bfe_u32 v19, v7, 16, 1
	v_lshlrev_b32_e32 v8, 16, v8
	v_and_b32_e32 v11, 0xffff0000, v11
	s_wait_alu 0xfffd
	v_dual_add_f32 v5, v5, v13 :: v_dual_cndmask_b32 v6, v15, v16
	v_mul_f32_e32 v15, v67, v17
	v_add3_u32 v16, v18, v14, 0x7fff
	v_or_b32_e32 v17, 0x400000, v14
	v_cmp_u_f32_e32 vcc_lo, v14, v14
	v_add3_u32 v18, v19, v7, 0x7fff
	v_or_b32_e32 v19, 0x400000, v7
	v_bfe_u32 v20, v15, 16, 1
	v_and_b32_e32 v6, 0xffff0000, v6
	s_wait_alu 0xfffd
	v_cndmask_b32_e32 v14, v16, v17, vcc_lo
	v_cmp_u_f32_e32 vcc_lo, v7, v7
	v_or_b32_e32 v17, 0x400000, v15
	v_add3_u32 v16, v20, v15, 0x7fff
	v_mul_f32_e32 v8, v70, v8
	v_add_f32_e32 v6, v6, v11
	s_wait_alu 0xfffd
	v_cndmask_b32_e32 v7, v18, v19, vcc_lo
	v_cmp_u_f32_e32 vcc_lo, v15, v15
	v_and_b32_e32 v13, 0xffff0000, v14
	s_wait_loadcnt 0x0
	v_lshlrev_b32_e32 v19, 16, v36
	v_and_b32_e32 v11, 0xffff0000, v1
	v_and_b32_e32 v7, 0xffff0000, v7
	s_wait_alu 0xfffd
	v_cndmask_b32_e32 v15, v16, v17, vcc_lo
	v_bfe_u32 v16, v8, 16, 1
	v_dual_add_f32 v5, v6, v5 :: v_dual_mul_f32 v6, v0, v11
	v_add_f32_e32 v7, v7, v13
	v_lshlrev_b32_e32 v1, 16, v1
	s_delay_alu instid0(VALU_DEP_4)
	v_add3_u32 v14, v16, v8, 0x7fff
	v_or_b32_e32 v16, 0x400000, v8
	v_cmp_u_f32_e32 vcc_lo, v8, v8
	v_bfe_u32 v11, v6, 16, 1
	v_dual_add_f32 v5, v7, v5 :: v_dual_and_b32 v20, 0xffff0000, v36
	v_and_b32_e32 v7, 0xffff0000, v2
	s_wait_alu 0xfffd
	v_dual_mul_f32 v1, v69, v1 :: v_dual_cndmask_b32 v8, v14, v16
	v_add3_u32 v11, v11, v6, 0x7fff
	v_or_b32_e32 v13, 0x400000, v6
	v_mul_f32_e32 v7, v66, v7
	v_and_b32_e32 v14, 0xffff0000, v15
	v_bfe_u32 v15, v1, 16, 1
	v_cmp_u_f32_e32 vcc_lo, v6, v6
	v_lshlrev_b32_e32 v2, 16, v2
	v_or_b32_e32 v16, 0x400000, v1
	v_or_b32_e32 v17, 0x400000, v7
	v_and_b32_e32 v8, 0xffff0000, v8
	s_wait_alu 0xfffd
	v_cndmask_b32_e32 v6, v11, v13, vcc_lo
	v_bfe_u32 v11, v7, 16, 1
	v_add3_u32 v13, v15, v1, 0x7fff
	v_dual_mul_f32 v2, v68, v2 :: v_dual_and_b32 v15, 0xffff0000, v3
	v_cmp_u_f32_e32 vcc_lo, v1, v1
	s_delay_alu instid0(VALU_DEP_4) | instskip(SKIP_1) | instid1(VALU_DEP_4)
	v_add3_u32 v11, v11, v7, 0x7fff
	v_lshlrev_b32_e32 v3, 16, v3
	v_dual_mul_f32 v15, v65, v15 :: v_dual_and_b32 v6, 0xffff0000, v6
	s_wait_alu 0xfffd
	v_cndmask_b32_e32 v1, v13, v16, vcc_lo
	v_bfe_u32 v13, v2, 16, 1
	v_cmp_u_f32_e32 vcc_lo, v7, v7
	v_dual_mul_f32 v3, v71, v3 :: v_dual_and_b32 v16, 0xffff0000, v4
	v_or_b32_e32 v18, 0x400000, v15
	s_delay_alu instid0(VALU_DEP_4)
	v_add3_u32 v13, v13, v2, 0x7fff
	s_wait_alu 0xfffd
	v_cndmask_b32_e32 v7, v11, v17, vcc_lo
	v_bfe_u32 v11, v15, 16, 1
	v_or_b32_e32 v17, 0x400000, v2
	v_cmp_u_f32_e32 vcc_lo, v2, v2
	v_mul_f32_e32 v16, v67, v16
	v_lshlrev_b32_e32 v4, 16, v4
	v_add3_u32 v11, v11, v15, 0x7fff
	v_dual_add_f32 v8, v8, v14 :: v_dual_and_b32 v1, 0xffff0000, v1
	s_wait_alu 0xfffd
	v_cndmask_b32_e32 v2, v13, v17, vcc_lo
	v_bfe_u32 v13, v3, 16, 1
	v_cmp_u_f32_e32 vcc_lo, v15, v15
	v_bfe_u32 v17, v16, 16, 1
	v_or_b32_e32 v15, 0x400000, v3
	v_mul_f32_e32 v4, v70, v4
	v_add3_u32 v13, v13, v3, 0x7fff
	s_wait_alu 0xfffd
	v_cndmask_b32_e32 v11, v11, v18, vcc_lo
	v_cmp_u_f32_e32 vcc_lo, v3, v3
	v_add3_u32 v17, v17, v16, 0x7fff
	v_or_b32_e32 v18, 0x400000, v16
	v_and_b32_e32 v2, 0xffff0000, v2
	v_and_b32_e32 v7, 0xffff0000, v7
	s_wait_alu 0xfffd
	v_cndmask_b32_e32 v3, v13, v15, vcc_lo
	v_cmp_u_f32_e32 vcc_lo, v16, v16
	v_bfe_u32 v15, v4, 16, 1
	v_dual_add_f32 v1, v1, v6 :: v_dual_add_f32 v2, v2, v7
	s_wait_alu 0xfffd
	v_dual_cndmask_b32 v13, v17, v18 :: v_dual_and_b32 v6, 0xffff0000, v11
	v_lshlrev_b32_e32 v17, 16, v33
	v_and_b32_e32 v11, 0xffff0000, v33
	v_add_f32_e32 v5, v8, v5
	v_and_b32_e32 v3, 0xffff0000, v3
	v_add3_u32 v15, v15, v4, 0x7fff
	v_mul_f32_e32 v7, v69, v17
	v_or_b32_e32 v16, 0x400000, v4
	v_cmp_u_f32_e32 vcc_lo, v4, v4
	v_dual_add_f32 v1, v2, v1 :: v_dual_mul_f32 v0, v0, v11
	s_delay_alu instid0(VALU_DEP_4)
	v_bfe_u32 v2, v7, 16, 1
	v_dual_add_f32 v136, v136, v5 :: v_dual_add_f32 v3, v3, v6
	v_lshlrev_b32_e32 v6, 16, v34
	s_wait_alu 0xfffd
	v_cndmask_b32_e32 v4, v15, v16, vcc_lo
	v_add3_u32 v2, v2, v7, 0x7fff
	v_or_b32_e32 v11, 0x400000, v7
	v_bfe_u32 v15, v0, 16, 1
	v_mul_f32_e32 v6, v68, v6
	v_and_b32_e32 v16, 0xffff0000, v34
	v_cmp_u_f32_e32 vcc_lo, v7, v7
	v_lshlrev_b32_e32 v17, 16, v35
	v_add3_u32 v7, v15, v0, 0x7fff
	v_bfe_u32 v15, v6, 16, 1
	v_mul_f32_e32 v16, v66, v16
	s_wait_alu 0xfffd
	v_cndmask_b32_e32 v2, v2, v11, vcc_lo
	v_or_b32_e32 v11, 0x400000, v0
	v_cmp_u_f32_e32 vcc_lo, v0, v0
	v_dual_mul_f32 v17, v71, v17 :: v_dual_and_b32 v18, 0xffff0000, v35
	s_delay_alu instid0(VALU_DEP_4)
	v_and_b32_e32 v2, 0xffff0000, v2
	v_and_b32_e32 v4, 0xffff0000, v4
	s_wait_alu 0xfffd
	v_cndmask_b32_e32 v0, v7, v11, vcc_lo
	v_add3_u32 v7, v15, v6, 0x7fff
	v_or_b32_e32 v11, 0x400000, v6
	v_bfe_u32 v15, v16, 16, 1
	v_cmp_u_f32_e32 vcc_lo, v6, v6
	v_mul_f32_e32 v18, v65, v18
	v_dual_add_f32 v1, v3, v1 :: v_dual_and_b32 v0, 0xffff0000, v0
	s_wait_alu 0xfffd
	v_cndmask_b32_e32 v6, v7, v11, vcc_lo
	v_add3_u32 v7, v15, v16, 0x7fff
	v_or_b32_e32 v11, 0x400000, v16
	v_bfe_u32 v15, v17, 16, 1
	v_cmp_u_f32_e32 vcc_lo, v16, v16
	v_dual_mul_f32 v16, v70, v19 :: v_dual_mul_f32 v19, v67, v20
	v_or_b32_e32 v20, 0x400000, v17
	s_delay_alu instid0(VALU_DEP_4)
	v_add3_u32 v15, v15, v17, 0x7fff
	s_wait_alu 0xfffd
	v_cndmask_b32_e32 v7, v7, v11, vcc_lo
	v_bfe_u32 v11, v18, 16, 1
	v_cmp_u_f32_e32 vcc_lo, v17, v17
	v_or_b32_e32 v21, 0x400000, v18
	v_bfe_u32 v23, v19, 16, 1
	v_bfe_u32 v22, v16, 16, 1
	v_add3_u32 v11, v11, v18, 0x7fff
	s_wait_alu 0xfffd
	v_cndmask_b32_e32 v15, v15, v20, vcc_lo
	v_cmp_u_f32_e32 vcc_lo, v18, v18
	v_add3_u32 v18, v23, v19, 0x7fff
	v_or_b32_e32 v20, 0x400000, v19
	v_and_b32_e32 v7, 0xffff0000, v7
	s_wait_alu 0xfffd
	v_dual_cndmask_b32 v11, v11, v21 :: v_dual_and_b32 v6, 0xffff0000, v6
	v_cmp_u_f32_e32 vcc_lo, v19, v19
	v_add3_u32 v17, v22, v16, 0x7fff
	v_or_b32_e32 v21, 0x400000, v16
	v_add_f32_e32 v0, v2, v0
	v_add_f32_e32 v2, v6, v7
	s_wait_alu 0xfffd
	v_cndmask_b32_e32 v18, v18, v20, vcc_lo
	v_and_b32_e32 v6, 0xffff0000, v11
	v_and_b32_e32 v7, 0xffff0000, v15
	v_cmp_u_f32_e32 vcc_lo, v16, v16
	v_add_f32_e32 v0, v2, v0
	s_wait_alu 0xfffd
	s_delay_alu instid0(VALU_DEP_3) | instskip(SKIP_2) | instid1(VALU_DEP_3)
	v_dual_add_f32 v2, v7, v6 :: v_dual_cndmask_b32 v11, v17, v21
	v_and_b32_e32 v6, 0xffff0000, v18
	v_cmp_le_i32_e32 vcc_lo, s13, v112
	v_dual_add_f32 v0, v2, v0 :: v_dual_and_b32 v13, 0xffff0000, v13
	s_delay_alu instid0(VALU_DEP_4) | instskip(SKIP_1) | instid1(VALU_DEP_1)
	v_and_b32_e32 v7, 0xffff0000, v11
	s_or_b32 s4, vcc_lo, s4
	v_dual_add_f32 v3, v4, v13 :: v_dual_add_f32 v2, v7, v6
	s_delay_alu instid0(VALU_DEP_1) | instskip(NEXT) | instid1(VALU_DEP_2)
	v_dual_add_f32 v4, v12, v10 :: v_dual_add_f32 v1, v3, v1
	v_add_f32_e32 v0, v2, v0
	s_delay_alu instid0(VALU_DEP_2) | instskip(NEXT) | instid1(VALU_DEP_2)
	v_dual_add_f32 v135, v135, v4 :: v_dual_add_f32 v134, v134, v1
	v_add_f32_e32 v113, v113, v0
	s_wait_alu 0xfffe
	s_and_not1_b32 exec_lo, exec_lo, s4
	s_cbranch_execz .LBB187_77
.LBB187_29:                             ; =>This Inner Loop Header: Depth=1
	global_load_b32 v0, v[105:106], off
	v_add_nc_u32_e32 v143, 1, v139
	v_or_b32_e32 v142, 3, v139
	v_or_b32_e32 v144, 2, v139
	;; [unrolled: 1-line block ×5, first 2 shown]
	s_wait_loadcnt 0x0
	s_wait_alu 0xfffe
	v_mad_co_i64_i32 v[0:1], null, v0, s2, 0
	s_delay_alu instid0(VALU_DEP_1) | instskip(NEXT) | instid1(VALU_DEP_1)
	v_lshlrev_b64_e32 v[0:1], 1, v[0:1]
	v_add_co_u32 v33, vcc_lo, v137, v0
	s_wait_alu 0xfffd
	s_delay_alu instid0(VALU_DEP_2)
	v_add_co_ci_u32_e64 v34, null, v138, v1, vcc_lo
	v_cmp_eq_u32_e32 vcc_lo, s3, v112
	v_or_b32_e32 v0, 7, v139
	global_load_b128 v[1:4], v[33:34], off
	ds_load_2addr_b64 v[69:72], v140 offset1:1
	ds_load_2addr_b64 v[65:68], v140 offset0:2 offset1:3
	s_and_saveexec_b32 s6, vcc_lo
	s_cbranch_execnz .LBB187_53
; %bb.30:                               ;   in Loop: Header=BB187_29 Depth=1
	s_wait_alu 0xfffe
	s_or_b32 exec_lo, exec_lo, s6
	global_load_b128 v[5:8], v[33:34], off offset:512
	s_and_saveexec_b32 s6, vcc_lo
	s_cbranch_execnz .LBB187_54
.LBB187_31:                             ;   in Loop: Header=BB187_29 Depth=1
	s_wait_alu 0xfffe
	s_or_b32 exec_lo, exec_lo, s6
	global_load_b128 v[9:12], v[33:34], off offset:1024
	s_and_saveexec_b32 s6, vcc_lo
	s_cbranch_execnz .LBB187_55
.LBB187_32:                             ;   in Loop: Header=BB187_29 Depth=1
	s_wait_alu 0xfffe
	s_or_b32 exec_lo, exec_lo, s6
	global_load_b128 v[13:16], v[33:34], off offset:1536
	s_and_saveexec_b32 s6, vcc_lo
	s_cbranch_execnz .LBB187_56
.LBB187_33:                             ;   in Loop: Header=BB187_29 Depth=1
	s_wait_alu 0xfffe
	s_or_b32 exec_lo, exec_lo, s6
	global_load_b128 v[17:20], v[33:34], off offset:2048
	s_and_saveexec_b32 s6, vcc_lo
	s_cbranch_execnz .LBB187_57
.LBB187_34:                             ;   in Loop: Header=BB187_29 Depth=1
	s_wait_alu 0xfffe
	s_or_b32 exec_lo, exec_lo, s6
	global_load_b128 v[21:24], v[33:34], off offset:2560
	s_and_saveexec_b32 s6, vcc_lo
	s_cbranch_execnz .LBB187_58
.LBB187_35:                             ;   in Loop: Header=BB187_29 Depth=1
	s_wait_alu 0xfffe
	s_or_b32 exec_lo, exec_lo, s6
	global_load_b128 v[25:28], v[33:34], off offset:3072
	s_and_saveexec_b32 s6, vcc_lo
	s_cbranch_execnz .LBB187_59
.LBB187_36:                             ;   in Loop: Header=BB187_29 Depth=1
	s_wait_alu 0xfffe
	s_or_b32 exec_lo, exec_lo, s6
	global_load_b128 v[29:32], v[33:34], off offset:3584
	s_and_saveexec_b32 s6, vcc_lo
	s_cbranch_execnz .LBB187_60
.LBB187_37:                             ;   in Loop: Header=BB187_29 Depth=1
	s_wait_alu 0xfffe
	s_or_b32 exec_lo, exec_lo, s6
	global_load_b128 v[37:40], v[33:34], off offset:4096
	s_and_saveexec_b32 s6, vcc_lo
	s_cbranch_execnz .LBB187_61
.LBB187_38:                             ;   in Loop: Header=BB187_29 Depth=1
	s_wait_alu 0xfffe
	s_or_b32 exec_lo, exec_lo, s6
	global_load_b128 v[41:44], v[33:34], off offset:4608
	s_and_saveexec_b32 s6, vcc_lo
	s_cbranch_execnz .LBB187_62
.LBB187_39:                             ;   in Loop: Header=BB187_29 Depth=1
	s_wait_alu 0xfffe
	s_or_b32 exec_lo, exec_lo, s6
	global_load_b128 v[45:48], v[33:34], off offset:5120
	s_and_saveexec_b32 s6, vcc_lo
	s_cbranch_execnz .LBB187_63
.LBB187_40:                             ;   in Loop: Header=BB187_29 Depth=1
	s_wait_alu 0xfffe
	s_or_b32 exec_lo, exec_lo, s6
	global_load_b128 v[49:52], v[33:34], off offset:5632
	s_and_saveexec_b32 s6, vcc_lo
	s_cbranch_execnz .LBB187_64
.LBB187_41:                             ;   in Loop: Header=BB187_29 Depth=1
	s_wait_alu 0xfffe
	s_or_b32 exec_lo, exec_lo, s6
	global_load_b128 v[53:56], v[33:34], off offset:6144
	s_and_saveexec_b32 s6, vcc_lo
	s_cbranch_execnz .LBB187_65
.LBB187_42:                             ;   in Loop: Header=BB187_29 Depth=1
	s_wait_alu 0xfffe
	s_or_b32 exec_lo, exec_lo, s6
	global_load_b128 v[57:60], v[33:34], off offset:6656
	s_and_saveexec_b32 s6, vcc_lo
	s_cbranch_execnz .LBB187_66
.LBB187_43:                             ;   in Loop: Header=BB187_29 Depth=1
	s_wait_alu 0xfffe
	s_or_b32 exec_lo, exec_lo, s6
	global_load_b128 v[61:64], v[33:34], off offset:7168
	s_and_saveexec_b32 s6, vcc_lo
	s_cbranch_execnz .LBB187_67
.LBB187_44:                             ;   in Loop: Header=BB187_29 Depth=1
	s_wait_alu 0xfffe
	s_or_b32 exec_lo, exec_lo, s6
	global_load_b128 v[73:76], v[33:34], off offset:7680
	s_and_saveexec_b32 s6, vcc_lo
	s_cbranch_execnz .LBB187_68
.LBB187_45:                             ;   in Loop: Header=BB187_29 Depth=1
	s_wait_alu 0xfffe
	s_or_b32 exec_lo, exec_lo, s6
	global_load_b128 v[77:80], v[33:34], off offset:8192
	s_and_saveexec_b32 s6, vcc_lo
	s_cbranch_execnz .LBB187_69
.LBB187_46:                             ;   in Loop: Header=BB187_29 Depth=1
	s_wait_alu 0xfffe
	s_or_b32 exec_lo, exec_lo, s6
	global_load_b128 v[81:84], v[33:34], off offset:8704
	s_and_saveexec_b32 s6, vcc_lo
	s_cbranch_execnz .LBB187_70
.LBB187_47:                             ;   in Loop: Header=BB187_29 Depth=1
	s_wait_alu 0xfffe
	s_or_b32 exec_lo, exec_lo, s6
	global_load_b128 v[85:88], v[33:34], off offset:9216
	s_and_saveexec_b32 s6, vcc_lo
	s_cbranch_execnz .LBB187_71
.LBB187_48:                             ;   in Loop: Header=BB187_29 Depth=1
	s_wait_alu 0xfffe
	s_or_b32 exec_lo, exec_lo, s6
	global_load_b128 v[89:92], v[33:34], off offset:9728
	s_and_saveexec_b32 s6, vcc_lo
	s_cbranch_execnz .LBB187_72
.LBB187_49:                             ;   in Loop: Header=BB187_29 Depth=1
	s_wait_alu 0xfffe
	s_or_b32 exec_lo, exec_lo, s6
	global_load_b128 v[93:96], v[33:34], off offset:10240
	s_and_saveexec_b32 s6, vcc_lo
	s_cbranch_execnz .LBB187_73
.LBB187_50:                             ;   in Loop: Header=BB187_29 Depth=1
	s_wait_alu 0xfffe
	s_or_b32 exec_lo, exec_lo, s6
	global_load_b128 v[97:100], v[33:34], off offset:10752
	s_and_saveexec_b32 s6, vcc_lo
	s_cbranch_execnz .LBB187_74
.LBB187_51:                             ;   in Loop: Header=BB187_29 Depth=1
	s_wait_alu 0xfffe
	s_or_b32 exec_lo, exec_lo, s6
	global_load_b128 v[101:104], v[33:34], off offset:11264
	s_and_saveexec_b32 s6, vcc_lo
	s_cbranch_execnz .LBB187_75
.LBB187_52:                             ;   in Loop: Header=BB187_29 Depth=1
	s_wait_alu 0xfffe
	s_or_b32 exec_lo, exec_lo, s6
	global_load_b128 v[33:36], v[33:34], off offset:11776
	s_and_saveexec_b32 s0, vcc_lo
	s_cbranch_execz .LBB187_28
	s_branch .LBB187_76
.LBB187_53:                             ;   in Loop: Header=BB187_29 Depth=1
	v_cmp_gt_i32_e64 s0, s25, v139
	s_wait_loadcnt 0x0
	v_lshrrev_b32_e32 v5, 16, v1
	v_lshrrev_b32_e32 v6, 16, v2
	;; [unrolled: 1-line block ×4, first 2 shown]
	s_wait_alu 0xf1ff
	v_cndmask_b32_e64 v1, 0, v1, s0
	v_cmp_gt_i32_e64 s0, s5, v143
	s_wait_alu 0xf1ff
	s_delay_alu instid0(VALU_DEP_1) | instskip(SKIP_1) | instid1(VALU_DEP_2)
	v_cndmask_b32_e64 v5, 0, v5, s0
	v_cmp_gt_i32_e64 s0, s25, v144
	v_perm_b32 v1, v5, v1, 0x5040100
	s_wait_alu 0xf1ff
	s_delay_alu instid0(VALU_DEP_2) | instskip(SKIP_2) | instid1(VALU_DEP_1)
	v_cndmask_b32_e64 v2, 0, v2, s0
	v_cmp_gt_i32_e64 s0, s5, v142
	s_wait_alu 0xf1ff
	v_cndmask_b32_e64 v6, 0, v6, s0
	v_cmp_gt_i32_e64 s0, s25, v141
	s_delay_alu instid0(VALU_DEP_2) | instskip(SKIP_1) | instid1(VALU_DEP_2)
	v_perm_b32 v2, v6, v2, 0x5040100
	s_wait_alu 0xf1ff
	v_cndmask_b32_e64 v3, 0, v3, s0
	v_cmp_gt_i32_e64 s0, s5, v108
	s_wait_alu 0xf1ff
	s_delay_alu instid0(VALU_DEP_1) | instskip(SKIP_1) | instid1(VALU_DEP_2)
	v_cndmask_b32_e64 v7, 0, v7, s0
	v_cmp_gt_i32_e64 s0, s25, v109
	v_perm_b32 v3, v7, v3, 0x5040100
	s_wait_alu 0xf1ff
	s_delay_alu instid0(VALU_DEP_2) | instskip(SKIP_2) | instid1(VALU_DEP_1)
	v_cndmask_b32_e64 v4, 0, v4, s0
	v_cmp_gt_i32_e64 s0, s5, v0
	s_wait_alu 0xf1ff
	v_cndmask_b32_e64 v8, 0, v8, s0
	s_delay_alu instid0(VALU_DEP_1)
	v_perm_b32 v4, v8, v4, 0x5040100
	s_wait_alu 0xfffe
	s_or_b32 exec_lo, exec_lo, s6
	global_load_b128 v[5:8], v[33:34], off offset:512
	s_and_saveexec_b32 s6, vcc_lo
	s_cbranch_execz .LBB187_31
.LBB187_54:                             ;   in Loop: Header=BB187_29 Depth=1
	v_cmp_gt_i32_e64 s0, s25, v139
	s_wait_loadcnt 0x0
	v_lshrrev_b32_e32 v9, 16, v5
	v_lshrrev_b32_e32 v10, 16, v6
	;; [unrolled: 1-line block ×4, first 2 shown]
	s_wait_alu 0xf1ff
	v_cndmask_b32_e64 v5, 0, v5, s0
	v_cmp_gt_i32_e64 s0, s5, v143
	s_wait_alu 0xf1ff
	s_delay_alu instid0(VALU_DEP_1) | instskip(SKIP_1) | instid1(VALU_DEP_2)
	v_cndmask_b32_e64 v9, 0, v9, s0
	v_cmp_gt_i32_e64 s0, s25, v144
	v_perm_b32 v5, v9, v5, 0x5040100
	s_wait_alu 0xf1ff
	s_delay_alu instid0(VALU_DEP_2) | instskip(SKIP_2) | instid1(VALU_DEP_1)
	v_cndmask_b32_e64 v6, 0, v6, s0
	v_cmp_gt_i32_e64 s0, s5, v142
	s_wait_alu 0xf1ff
	v_cndmask_b32_e64 v10, 0, v10, s0
	v_cmp_gt_i32_e64 s0, s25, v141
	s_delay_alu instid0(VALU_DEP_2) | instskip(SKIP_1) | instid1(VALU_DEP_2)
	v_perm_b32 v6, v10, v6, 0x5040100
	s_wait_alu 0xf1ff
	v_cndmask_b32_e64 v7, 0, v7, s0
	v_cmp_gt_i32_e64 s0, s5, v108
	s_wait_alu 0xf1ff
	s_delay_alu instid0(VALU_DEP_1) | instskip(SKIP_1) | instid1(VALU_DEP_2)
	v_cndmask_b32_e64 v11, 0, v11, s0
	v_cmp_gt_i32_e64 s0, s25, v109
	v_perm_b32 v7, v11, v7, 0x5040100
	s_wait_alu 0xf1ff
	s_delay_alu instid0(VALU_DEP_2) | instskip(SKIP_2) | instid1(VALU_DEP_1)
	v_cndmask_b32_e64 v8, 0, v8, s0
	v_cmp_gt_i32_e64 s0, s5, v0
	s_wait_alu 0xf1ff
	v_cndmask_b32_e64 v12, 0, v12, s0
	s_delay_alu instid0(VALU_DEP_1)
	v_perm_b32 v8, v12, v8, 0x5040100
	s_wait_alu 0xfffe
	s_or_b32 exec_lo, exec_lo, s6
	global_load_b128 v[9:12], v[33:34], off offset:1024
	s_and_saveexec_b32 s6, vcc_lo
	s_cbranch_execz .LBB187_32
.LBB187_55:                             ;   in Loop: Header=BB187_29 Depth=1
	v_cmp_gt_i32_e64 s0, s25, v139
	s_wait_loadcnt 0x0
	v_lshrrev_b32_e32 v13, 16, v9
	v_lshrrev_b32_e32 v14, 16, v10
	;; [unrolled: 1-line block ×4, first 2 shown]
	s_wait_alu 0xf1ff
	v_cndmask_b32_e64 v9, 0, v9, s0
	v_cmp_gt_i32_e64 s0, s5, v143
	s_wait_alu 0xf1ff
	s_delay_alu instid0(VALU_DEP_1) | instskip(SKIP_1) | instid1(VALU_DEP_2)
	v_cndmask_b32_e64 v13, 0, v13, s0
	v_cmp_gt_i32_e64 s0, s25, v144
	v_perm_b32 v9, v13, v9, 0x5040100
	s_wait_alu 0xf1ff
	s_delay_alu instid0(VALU_DEP_2) | instskip(SKIP_2) | instid1(VALU_DEP_1)
	v_cndmask_b32_e64 v10, 0, v10, s0
	v_cmp_gt_i32_e64 s0, s5, v142
	s_wait_alu 0xf1ff
	v_cndmask_b32_e64 v14, 0, v14, s0
	v_cmp_gt_i32_e64 s0, s25, v141
	s_delay_alu instid0(VALU_DEP_2) | instskip(SKIP_1) | instid1(VALU_DEP_2)
	v_perm_b32 v10, v14, v10, 0x5040100
	s_wait_alu 0xf1ff
	v_cndmask_b32_e64 v11, 0, v11, s0
	v_cmp_gt_i32_e64 s0, s5, v108
	s_wait_alu 0xf1ff
	s_delay_alu instid0(VALU_DEP_1) | instskip(SKIP_1) | instid1(VALU_DEP_2)
	v_cndmask_b32_e64 v15, 0, v15, s0
	v_cmp_gt_i32_e64 s0, s25, v109
	v_perm_b32 v11, v15, v11, 0x5040100
	s_wait_alu 0xf1ff
	s_delay_alu instid0(VALU_DEP_2) | instskip(SKIP_2) | instid1(VALU_DEP_1)
	v_cndmask_b32_e64 v12, 0, v12, s0
	v_cmp_gt_i32_e64 s0, s5, v0
	s_wait_alu 0xf1ff
	v_cndmask_b32_e64 v16, 0, v16, s0
	s_delay_alu instid0(VALU_DEP_1)
	v_perm_b32 v12, v16, v12, 0x5040100
	s_wait_alu 0xfffe
	s_or_b32 exec_lo, exec_lo, s6
	global_load_b128 v[13:16], v[33:34], off offset:1536
	s_and_saveexec_b32 s6, vcc_lo
	s_cbranch_execz .LBB187_33
.LBB187_56:                             ;   in Loop: Header=BB187_29 Depth=1
	v_cmp_gt_i32_e64 s0, s25, v139
	s_wait_loadcnt 0x0
	v_lshrrev_b32_e32 v17, 16, v13
	v_lshrrev_b32_e32 v18, 16, v14
	;; [unrolled: 1-line block ×4, first 2 shown]
	s_wait_alu 0xf1ff
	v_cndmask_b32_e64 v13, 0, v13, s0
	v_cmp_gt_i32_e64 s0, s5, v143
	s_wait_alu 0xf1ff
	s_delay_alu instid0(VALU_DEP_1) | instskip(SKIP_1) | instid1(VALU_DEP_2)
	v_cndmask_b32_e64 v17, 0, v17, s0
	v_cmp_gt_i32_e64 s0, s25, v144
	v_perm_b32 v13, v17, v13, 0x5040100
	s_wait_alu 0xf1ff
	s_delay_alu instid0(VALU_DEP_2) | instskip(SKIP_2) | instid1(VALU_DEP_1)
	v_cndmask_b32_e64 v14, 0, v14, s0
	v_cmp_gt_i32_e64 s0, s5, v142
	s_wait_alu 0xf1ff
	v_cndmask_b32_e64 v18, 0, v18, s0
	v_cmp_gt_i32_e64 s0, s25, v141
	s_delay_alu instid0(VALU_DEP_2) | instskip(SKIP_1) | instid1(VALU_DEP_2)
	v_perm_b32 v14, v18, v14, 0x5040100
	s_wait_alu 0xf1ff
	v_cndmask_b32_e64 v15, 0, v15, s0
	v_cmp_gt_i32_e64 s0, s5, v108
	s_wait_alu 0xf1ff
	s_delay_alu instid0(VALU_DEP_1) | instskip(SKIP_1) | instid1(VALU_DEP_2)
	v_cndmask_b32_e64 v19, 0, v19, s0
	v_cmp_gt_i32_e64 s0, s25, v109
	v_perm_b32 v15, v19, v15, 0x5040100
	s_wait_alu 0xf1ff
	s_delay_alu instid0(VALU_DEP_2) | instskip(SKIP_2) | instid1(VALU_DEP_1)
	v_cndmask_b32_e64 v16, 0, v16, s0
	v_cmp_gt_i32_e64 s0, s5, v0
	s_wait_alu 0xf1ff
	v_cndmask_b32_e64 v20, 0, v20, s0
	s_delay_alu instid0(VALU_DEP_1)
	v_perm_b32 v16, v20, v16, 0x5040100
	s_wait_alu 0xfffe
	s_or_b32 exec_lo, exec_lo, s6
	global_load_b128 v[17:20], v[33:34], off offset:2048
	s_and_saveexec_b32 s6, vcc_lo
	s_cbranch_execz .LBB187_34
.LBB187_57:                             ;   in Loop: Header=BB187_29 Depth=1
	v_cmp_gt_i32_e64 s0, s25, v139
	s_wait_loadcnt 0x0
	v_lshrrev_b32_e32 v21, 16, v17
	v_lshrrev_b32_e32 v22, 16, v18
	;; [unrolled: 1-line block ×4, first 2 shown]
	s_wait_alu 0xf1ff
	v_cndmask_b32_e64 v17, 0, v17, s0
	v_cmp_gt_i32_e64 s0, s5, v143
	s_wait_alu 0xf1ff
	s_delay_alu instid0(VALU_DEP_1) | instskip(SKIP_1) | instid1(VALU_DEP_2)
	v_cndmask_b32_e64 v21, 0, v21, s0
	v_cmp_gt_i32_e64 s0, s25, v144
	v_perm_b32 v17, v21, v17, 0x5040100
	s_wait_alu 0xf1ff
	s_delay_alu instid0(VALU_DEP_2) | instskip(SKIP_2) | instid1(VALU_DEP_1)
	v_cndmask_b32_e64 v18, 0, v18, s0
	v_cmp_gt_i32_e64 s0, s5, v142
	s_wait_alu 0xf1ff
	v_cndmask_b32_e64 v22, 0, v22, s0
	v_cmp_gt_i32_e64 s0, s25, v141
	s_delay_alu instid0(VALU_DEP_2) | instskip(SKIP_1) | instid1(VALU_DEP_2)
	v_perm_b32 v18, v22, v18, 0x5040100
	s_wait_alu 0xf1ff
	v_cndmask_b32_e64 v19, 0, v19, s0
	v_cmp_gt_i32_e64 s0, s5, v108
	s_wait_alu 0xf1ff
	s_delay_alu instid0(VALU_DEP_1) | instskip(SKIP_1) | instid1(VALU_DEP_2)
	v_cndmask_b32_e64 v23, 0, v23, s0
	v_cmp_gt_i32_e64 s0, s25, v109
	v_perm_b32 v19, v23, v19, 0x5040100
	s_wait_alu 0xf1ff
	s_delay_alu instid0(VALU_DEP_2) | instskip(SKIP_2) | instid1(VALU_DEP_1)
	v_cndmask_b32_e64 v20, 0, v20, s0
	v_cmp_gt_i32_e64 s0, s5, v0
	s_wait_alu 0xf1ff
	v_cndmask_b32_e64 v24, 0, v24, s0
	s_delay_alu instid0(VALU_DEP_1)
	v_perm_b32 v20, v24, v20, 0x5040100
	s_wait_alu 0xfffe
	s_or_b32 exec_lo, exec_lo, s6
	global_load_b128 v[21:24], v[33:34], off offset:2560
	s_and_saveexec_b32 s6, vcc_lo
	s_cbranch_execz .LBB187_35
.LBB187_58:                             ;   in Loop: Header=BB187_29 Depth=1
	v_cmp_gt_i32_e64 s0, s25, v139
	s_wait_loadcnt 0x0
	v_lshrrev_b32_e32 v25, 16, v21
	v_lshrrev_b32_e32 v26, 16, v22
	;; [unrolled: 1-line block ×4, first 2 shown]
	s_wait_alu 0xf1ff
	v_cndmask_b32_e64 v21, 0, v21, s0
	v_cmp_gt_i32_e64 s0, s5, v143
	s_wait_alu 0xf1ff
	s_delay_alu instid0(VALU_DEP_1) | instskip(SKIP_1) | instid1(VALU_DEP_2)
	v_cndmask_b32_e64 v25, 0, v25, s0
	v_cmp_gt_i32_e64 s0, s25, v144
	v_perm_b32 v21, v25, v21, 0x5040100
	s_wait_alu 0xf1ff
	s_delay_alu instid0(VALU_DEP_2) | instskip(SKIP_2) | instid1(VALU_DEP_1)
	v_cndmask_b32_e64 v22, 0, v22, s0
	v_cmp_gt_i32_e64 s0, s5, v142
	s_wait_alu 0xf1ff
	v_cndmask_b32_e64 v26, 0, v26, s0
	v_cmp_gt_i32_e64 s0, s25, v141
	s_delay_alu instid0(VALU_DEP_2) | instskip(SKIP_1) | instid1(VALU_DEP_2)
	v_perm_b32 v22, v26, v22, 0x5040100
	s_wait_alu 0xf1ff
	v_cndmask_b32_e64 v23, 0, v23, s0
	v_cmp_gt_i32_e64 s0, s5, v108
	s_wait_alu 0xf1ff
	s_delay_alu instid0(VALU_DEP_1) | instskip(SKIP_1) | instid1(VALU_DEP_2)
	v_cndmask_b32_e64 v27, 0, v27, s0
	v_cmp_gt_i32_e64 s0, s25, v109
	v_perm_b32 v23, v27, v23, 0x5040100
	s_wait_alu 0xf1ff
	s_delay_alu instid0(VALU_DEP_2) | instskip(SKIP_2) | instid1(VALU_DEP_1)
	v_cndmask_b32_e64 v24, 0, v24, s0
	v_cmp_gt_i32_e64 s0, s5, v0
	s_wait_alu 0xf1ff
	v_cndmask_b32_e64 v28, 0, v28, s0
	s_delay_alu instid0(VALU_DEP_1)
	v_perm_b32 v24, v28, v24, 0x5040100
	s_wait_alu 0xfffe
	s_or_b32 exec_lo, exec_lo, s6
	global_load_b128 v[25:28], v[33:34], off offset:3072
	s_and_saveexec_b32 s6, vcc_lo
	s_cbranch_execz .LBB187_36
.LBB187_59:                             ;   in Loop: Header=BB187_29 Depth=1
	v_cmp_gt_i32_e64 s0, s25, v139
	s_wait_loadcnt 0x0
	v_lshrrev_b32_e32 v29, 16, v25
	v_lshrrev_b32_e32 v30, 16, v26
	;; [unrolled: 1-line block ×4, first 2 shown]
	s_wait_alu 0xf1ff
	v_cndmask_b32_e64 v25, 0, v25, s0
	v_cmp_gt_i32_e64 s0, s5, v143
	s_wait_alu 0xf1ff
	s_delay_alu instid0(VALU_DEP_1) | instskip(SKIP_1) | instid1(VALU_DEP_2)
	v_cndmask_b32_e64 v29, 0, v29, s0
	v_cmp_gt_i32_e64 s0, s25, v144
	v_perm_b32 v25, v29, v25, 0x5040100
	s_wait_alu 0xf1ff
	s_delay_alu instid0(VALU_DEP_2) | instskip(SKIP_2) | instid1(VALU_DEP_1)
	v_cndmask_b32_e64 v26, 0, v26, s0
	v_cmp_gt_i32_e64 s0, s5, v142
	s_wait_alu 0xf1ff
	v_cndmask_b32_e64 v30, 0, v30, s0
	v_cmp_gt_i32_e64 s0, s25, v141
	s_delay_alu instid0(VALU_DEP_2) | instskip(SKIP_1) | instid1(VALU_DEP_2)
	v_perm_b32 v26, v30, v26, 0x5040100
	s_wait_alu 0xf1ff
	v_cndmask_b32_e64 v27, 0, v27, s0
	v_cmp_gt_i32_e64 s0, s5, v108
	s_wait_alu 0xf1ff
	s_delay_alu instid0(VALU_DEP_1) | instskip(SKIP_1) | instid1(VALU_DEP_2)
	v_cndmask_b32_e64 v31, 0, v31, s0
	v_cmp_gt_i32_e64 s0, s25, v109
	v_perm_b32 v27, v31, v27, 0x5040100
	s_wait_alu 0xf1ff
	s_delay_alu instid0(VALU_DEP_2) | instskip(SKIP_2) | instid1(VALU_DEP_1)
	v_cndmask_b32_e64 v28, 0, v28, s0
	v_cmp_gt_i32_e64 s0, s5, v0
	s_wait_alu 0xf1ff
	v_cndmask_b32_e64 v32, 0, v32, s0
	s_delay_alu instid0(VALU_DEP_1)
	v_perm_b32 v28, v32, v28, 0x5040100
	s_wait_alu 0xfffe
	s_or_b32 exec_lo, exec_lo, s6
	global_load_b128 v[29:32], v[33:34], off offset:3584
	s_and_saveexec_b32 s6, vcc_lo
	s_cbranch_execz .LBB187_37
.LBB187_60:                             ;   in Loop: Header=BB187_29 Depth=1
	v_cmp_gt_i32_e64 s0, s25, v139
	s_wait_loadcnt 0x0
	v_lshrrev_b32_e32 v35, 16, v29
	v_lshrrev_b32_e32 v36, 16, v30
	;; [unrolled: 1-line block ×4, first 2 shown]
	s_wait_alu 0xf1ff
	v_cndmask_b32_e64 v29, 0, v29, s0
	v_cmp_gt_i32_e64 s0, s5, v143
	s_wait_alu 0xf1ff
	s_delay_alu instid0(VALU_DEP_1) | instskip(SKIP_1) | instid1(VALU_DEP_2)
	v_cndmask_b32_e64 v35, 0, v35, s0
	v_cmp_gt_i32_e64 s0, s25, v144
	v_perm_b32 v29, v35, v29, 0x5040100
	s_wait_alu 0xf1ff
	s_delay_alu instid0(VALU_DEP_2) | instskip(SKIP_2) | instid1(VALU_DEP_1)
	v_cndmask_b32_e64 v30, 0, v30, s0
	v_cmp_gt_i32_e64 s0, s5, v142
	s_wait_alu 0xf1ff
	v_cndmask_b32_e64 v36, 0, v36, s0
	v_cmp_gt_i32_e64 s0, s25, v141
	s_delay_alu instid0(VALU_DEP_2) | instskip(SKIP_1) | instid1(VALU_DEP_2)
	v_perm_b32 v30, v36, v30, 0x5040100
	s_wait_alu 0xf1ff
	v_cndmask_b32_e64 v31, 0, v31, s0
	v_cmp_gt_i32_e64 s0, s5, v108
	s_wait_alu 0xf1ff
	s_delay_alu instid0(VALU_DEP_1) | instskip(SKIP_1) | instid1(VALU_DEP_2)
	v_cndmask_b32_e64 v37, 0, v37, s0
	v_cmp_gt_i32_e64 s0, s25, v109
	v_perm_b32 v31, v37, v31, 0x5040100
	s_wait_alu 0xf1ff
	s_delay_alu instid0(VALU_DEP_2) | instskip(SKIP_2) | instid1(VALU_DEP_1)
	v_cndmask_b32_e64 v32, 0, v32, s0
	v_cmp_gt_i32_e64 s0, s5, v0
	s_wait_alu 0xf1ff
	v_cndmask_b32_e64 v38, 0, v38, s0
	s_delay_alu instid0(VALU_DEP_1)
	v_perm_b32 v32, v38, v32, 0x5040100
	s_wait_alu 0xfffe
	s_or_b32 exec_lo, exec_lo, s6
	global_load_b128 v[37:40], v[33:34], off offset:4096
	s_and_saveexec_b32 s6, vcc_lo
	s_cbranch_execz .LBB187_38
.LBB187_61:                             ;   in Loop: Header=BB187_29 Depth=1
	v_cmp_gt_i32_e64 s0, s25, v139
	s_wait_loadcnt 0x0
	v_lshrrev_b32_e32 v35, 16, v37
	v_lshrrev_b32_e32 v42, 16, v40
	s_wait_alu 0xf1ff
	v_cndmask_b32_e64 v36, 0, v37, s0
	v_cmp_gt_i32_e64 s0, s5, v143
	v_lshrrev_b32_e32 v37, 16, v38
	s_wait_alu 0xf1ff
	s_delay_alu instid0(VALU_DEP_2) | instskip(SKIP_2) | instid1(VALU_DEP_1)
	v_cndmask_b32_e64 v35, 0, v35, s0
	v_cmp_gt_i32_e64 s0, s25, v144
	s_wait_alu 0xf1ff
	v_cndmask_b32_e64 v38, 0, v38, s0
	v_cmp_gt_i32_e64 s0, s5, v142
	s_wait_alu 0xf1ff
	s_delay_alu instid0(VALU_DEP_1) | instskip(SKIP_2) | instid1(VALU_DEP_3)
	v_cndmask_b32_e64 v41, 0, v37, s0
	v_cmp_gt_i32_e64 s0, s25, v141
	v_lshrrev_b32_e32 v37, 16, v39
	v_perm_b32 v38, v41, v38, 0x5040100
	s_wait_alu 0xf1ff
	s_delay_alu instid0(VALU_DEP_3) | instskip(SKIP_2) | instid1(VALU_DEP_1)
	v_cndmask_b32_e64 v39, 0, v39, s0
	v_cmp_gt_i32_e64 s0, s5, v108
	s_wait_alu 0xf1ff
	v_cndmask_b32_e64 v43, 0, v37, s0
	v_cmp_gt_i32_e64 s0, s25, v109
	v_perm_b32 v37, v35, v36, 0x5040100
	s_delay_alu instid0(VALU_DEP_3) | instskip(SKIP_1) | instid1(VALU_DEP_3)
	v_perm_b32 v39, v43, v39, 0x5040100
	s_wait_alu 0xf1ff
	v_cndmask_b32_e64 v40, 0, v40, s0
	v_cmp_gt_i32_e64 s0, s5, v0
	s_wait_alu 0xf1ff
	s_delay_alu instid0(VALU_DEP_1) | instskip(NEXT) | instid1(VALU_DEP_1)
	v_cndmask_b32_e64 v42, 0, v42, s0
	v_perm_b32 v40, v42, v40, 0x5040100
	s_wait_alu 0xfffe
	s_or_b32 exec_lo, exec_lo, s6
	global_load_b128 v[41:44], v[33:34], off offset:4608
	s_and_saveexec_b32 s6, vcc_lo
	s_cbranch_execz .LBB187_39
.LBB187_62:                             ;   in Loop: Header=BB187_29 Depth=1
	v_cmp_gt_i32_e64 s0, s25, v139
	s_wait_loadcnt 0x0
	v_lshrrev_b32_e32 v35, 16, v41
	v_lshrrev_b32_e32 v46, 16, v44
	s_wait_alu 0xf1ff
	v_cndmask_b32_e64 v36, 0, v41, s0
	v_cmp_gt_i32_e64 s0, s5, v143
	v_lshrrev_b32_e32 v41, 16, v42
	s_wait_alu 0xf1ff
	s_delay_alu instid0(VALU_DEP_2) | instskip(SKIP_2) | instid1(VALU_DEP_1)
	v_cndmask_b32_e64 v35, 0, v35, s0
	v_cmp_gt_i32_e64 s0, s25, v144
	s_wait_alu 0xf1ff
	v_cndmask_b32_e64 v42, 0, v42, s0
	v_cmp_gt_i32_e64 s0, s5, v142
	s_wait_alu 0xf1ff
	s_delay_alu instid0(VALU_DEP_1) | instskip(SKIP_2) | instid1(VALU_DEP_3)
	v_cndmask_b32_e64 v45, 0, v41, s0
	v_cmp_gt_i32_e64 s0, s25, v141
	v_lshrrev_b32_e32 v41, 16, v43
	v_perm_b32 v42, v45, v42, 0x5040100
	s_wait_alu 0xf1ff
	s_delay_alu instid0(VALU_DEP_3) | instskip(SKIP_2) | instid1(VALU_DEP_1)
	v_cndmask_b32_e64 v43, 0, v43, s0
	v_cmp_gt_i32_e64 s0, s5, v108
	s_wait_alu 0xf1ff
	v_cndmask_b32_e64 v47, 0, v41, s0
	v_cmp_gt_i32_e64 s0, s25, v109
	v_perm_b32 v41, v35, v36, 0x5040100
	s_delay_alu instid0(VALU_DEP_3) | instskip(SKIP_1) | instid1(VALU_DEP_3)
	v_perm_b32 v43, v47, v43, 0x5040100
	s_wait_alu 0xf1ff
	v_cndmask_b32_e64 v44, 0, v44, s0
	v_cmp_gt_i32_e64 s0, s5, v0
	s_wait_alu 0xf1ff
	s_delay_alu instid0(VALU_DEP_1) | instskip(NEXT) | instid1(VALU_DEP_1)
	v_cndmask_b32_e64 v46, 0, v46, s0
	v_perm_b32 v44, v46, v44, 0x5040100
	s_wait_alu 0xfffe
	s_or_b32 exec_lo, exec_lo, s6
	global_load_b128 v[45:48], v[33:34], off offset:5120
	s_and_saveexec_b32 s6, vcc_lo
	s_cbranch_execz .LBB187_40
.LBB187_63:                             ;   in Loop: Header=BB187_29 Depth=1
	v_cmp_gt_i32_e64 s0, s25, v139
	s_wait_loadcnt 0x0
	v_lshrrev_b32_e32 v35, 16, v45
	v_lshrrev_b32_e32 v50, 16, v48
	s_wait_alu 0xf1ff
	v_cndmask_b32_e64 v36, 0, v45, s0
	v_cmp_gt_i32_e64 s0, s5, v143
	v_lshrrev_b32_e32 v45, 16, v46
	s_wait_alu 0xf1ff
	s_delay_alu instid0(VALU_DEP_2) | instskip(SKIP_2) | instid1(VALU_DEP_1)
	v_cndmask_b32_e64 v35, 0, v35, s0
	v_cmp_gt_i32_e64 s0, s25, v144
	s_wait_alu 0xf1ff
	v_cndmask_b32_e64 v46, 0, v46, s0
	v_cmp_gt_i32_e64 s0, s5, v142
	s_wait_alu 0xf1ff
	s_delay_alu instid0(VALU_DEP_1) | instskip(SKIP_2) | instid1(VALU_DEP_3)
	v_cndmask_b32_e64 v49, 0, v45, s0
	v_cmp_gt_i32_e64 s0, s25, v141
	v_lshrrev_b32_e32 v45, 16, v47
	v_perm_b32 v46, v49, v46, 0x5040100
	s_wait_alu 0xf1ff
	s_delay_alu instid0(VALU_DEP_3) | instskip(SKIP_2) | instid1(VALU_DEP_1)
	v_cndmask_b32_e64 v47, 0, v47, s0
	v_cmp_gt_i32_e64 s0, s5, v108
	s_wait_alu 0xf1ff
	v_cndmask_b32_e64 v51, 0, v45, s0
	v_cmp_gt_i32_e64 s0, s25, v109
	v_perm_b32 v45, v35, v36, 0x5040100
	s_delay_alu instid0(VALU_DEP_3) | instskip(SKIP_1) | instid1(VALU_DEP_3)
	v_perm_b32 v47, v51, v47, 0x5040100
	s_wait_alu 0xf1ff
	v_cndmask_b32_e64 v48, 0, v48, s0
	v_cmp_gt_i32_e64 s0, s5, v0
	s_wait_alu 0xf1ff
	s_delay_alu instid0(VALU_DEP_1) | instskip(NEXT) | instid1(VALU_DEP_1)
	v_cndmask_b32_e64 v50, 0, v50, s0
	v_perm_b32 v48, v50, v48, 0x5040100
	s_wait_alu 0xfffe
	s_or_b32 exec_lo, exec_lo, s6
	global_load_b128 v[49:52], v[33:34], off offset:5632
	s_and_saveexec_b32 s6, vcc_lo
	s_cbranch_execz .LBB187_41
.LBB187_64:                             ;   in Loop: Header=BB187_29 Depth=1
	v_cmp_gt_i32_e64 s0, s25, v139
	s_wait_loadcnt 0x0
	v_lshrrev_b32_e32 v35, 16, v49
	v_lshrrev_b32_e32 v54, 16, v52
	s_wait_alu 0xf1ff
	v_cndmask_b32_e64 v36, 0, v49, s0
	v_cmp_gt_i32_e64 s0, s5, v143
	v_lshrrev_b32_e32 v49, 16, v50
	s_wait_alu 0xf1ff
	s_delay_alu instid0(VALU_DEP_2) | instskip(SKIP_2) | instid1(VALU_DEP_1)
	v_cndmask_b32_e64 v35, 0, v35, s0
	v_cmp_gt_i32_e64 s0, s25, v144
	s_wait_alu 0xf1ff
	v_cndmask_b32_e64 v50, 0, v50, s0
	v_cmp_gt_i32_e64 s0, s5, v142
	s_wait_alu 0xf1ff
	s_delay_alu instid0(VALU_DEP_1) | instskip(SKIP_2) | instid1(VALU_DEP_3)
	v_cndmask_b32_e64 v53, 0, v49, s0
	v_cmp_gt_i32_e64 s0, s25, v141
	v_lshrrev_b32_e32 v49, 16, v51
	v_perm_b32 v50, v53, v50, 0x5040100
	s_wait_alu 0xf1ff
	s_delay_alu instid0(VALU_DEP_3) | instskip(SKIP_2) | instid1(VALU_DEP_1)
	v_cndmask_b32_e64 v51, 0, v51, s0
	v_cmp_gt_i32_e64 s0, s5, v108
	s_wait_alu 0xf1ff
	v_cndmask_b32_e64 v55, 0, v49, s0
	v_cmp_gt_i32_e64 s0, s25, v109
	v_perm_b32 v49, v35, v36, 0x5040100
	s_delay_alu instid0(VALU_DEP_3) | instskip(SKIP_1) | instid1(VALU_DEP_3)
	v_perm_b32 v51, v55, v51, 0x5040100
	s_wait_alu 0xf1ff
	v_cndmask_b32_e64 v52, 0, v52, s0
	v_cmp_gt_i32_e64 s0, s5, v0
	s_wait_alu 0xf1ff
	s_delay_alu instid0(VALU_DEP_1) | instskip(NEXT) | instid1(VALU_DEP_1)
	v_cndmask_b32_e64 v54, 0, v54, s0
	v_perm_b32 v52, v54, v52, 0x5040100
	s_wait_alu 0xfffe
	s_or_b32 exec_lo, exec_lo, s6
	global_load_b128 v[53:56], v[33:34], off offset:6144
	s_and_saveexec_b32 s6, vcc_lo
	s_cbranch_execz .LBB187_42
.LBB187_65:                             ;   in Loop: Header=BB187_29 Depth=1
	v_cmp_gt_i32_e64 s0, s25, v139
	s_wait_loadcnt 0x0
	v_lshrrev_b32_e32 v35, 16, v53
	v_lshrrev_b32_e32 v58, 16, v56
	s_wait_alu 0xf1ff
	v_cndmask_b32_e64 v36, 0, v53, s0
	v_cmp_gt_i32_e64 s0, s5, v143
	v_lshrrev_b32_e32 v53, 16, v54
	s_wait_alu 0xf1ff
	s_delay_alu instid0(VALU_DEP_2) | instskip(SKIP_2) | instid1(VALU_DEP_1)
	v_cndmask_b32_e64 v35, 0, v35, s0
	v_cmp_gt_i32_e64 s0, s25, v144
	s_wait_alu 0xf1ff
	v_cndmask_b32_e64 v54, 0, v54, s0
	v_cmp_gt_i32_e64 s0, s5, v142
	s_wait_alu 0xf1ff
	s_delay_alu instid0(VALU_DEP_1) | instskip(SKIP_2) | instid1(VALU_DEP_3)
	v_cndmask_b32_e64 v57, 0, v53, s0
	v_cmp_gt_i32_e64 s0, s25, v141
	v_lshrrev_b32_e32 v53, 16, v55
	v_perm_b32 v54, v57, v54, 0x5040100
	s_wait_alu 0xf1ff
	s_delay_alu instid0(VALU_DEP_3) | instskip(SKIP_2) | instid1(VALU_DEP_1)
	v_cndmask_b32_e64 v55, 0, v55, s0
	v_cmp_gt_i32_e64 s0, s5, v108
	s_wait_alu 0xf1ff
	v_cndmask_b32_e64 v59, 0, v53, s0
	v_cmp_gt_i32_e64 s0, s25, v109
	v_perm_b32 v53, v35, v36, 0x5040100
	s_delay_alu instid0(VALU_DEP_3) | instskip(SKIP_1) | instid1(VALU_DEP_3)
	v_perm_b32 v55, v59, v55, 0x5040100
	s_wait_alu 0xf1ff
	v_cndmask_b32_e64 v56, 0, v56, s0
	v_cmp_gt_i32_e64 s0, s5, v0
	s_wait_alu 0xf1ff
	s_delay_alu instid0(VALU_DEP_1) | instskip(NEXT) | instid1(VALU_DEP_1)
	v_cndmask_b32_e64 v58, 0, v58, s0
	v_perm_b32 v56, v58, v56, 0x5040100
	s_wait_alu 0xfffe
	s_or_b32 exec_lo, exec_lo, s6
	global_load_b128 v[57:60], v[33:34], off offset:6656
	s_and_saveexec_b32 s6, vcc_lo
	s_cbranch_execz .LBB187_43
.LBB187_66:                             ;   in Loop: Header=BB187_29 Depth=1
	v_cmp_gt_i32_e64 s0, s25, v139
	s_wait_loadcnt 0x0
	v_lshrrev_b32_e32 v35, 16, v57
	v_lshrrev_b32_e32 v62, 16, v60
	s_wait_alu 0xf1ff
	v_cndmask_b32_e64 v36, 0, v57, s0
	v_cmp_gt_i32_e64 s0, s5, v143
	v_lshrrev_b32_e32 v57, 16, v58
	s_wait_alu 0xf1ff
	s_delay_alu instid0(VALU_DEP_2) | instskip(SKIP_2) | instid1(VALU_DEP_1)
	v_cndmask_b32_e64 v35, 0, v35, s0
	v_cmp_gt_i32_e64 s0, s25, v144
	s_wait_alu 0xf1ff
	v_cndmask_b32_e64 v58, 0, v58, s0
	v_cmp_gt_i32_e64 s0, s5, v142
	s_wait_alu 0xf1ff
	s_delay_alu instid0(VALU_DEP_1) | instskip(SKIP_2) | instid1(VALU_DEP_3)
	v_cndmask_b32_e64 v61, 0, v57, s0
	v_cmp_gt_i32_e64 s0, s25, v141
	v_lshrrev_b32_e32 v57, 16, v59
	v_perm_b32 v58, v61, v58, 0x5040100
	s_wait_alu 0xf1ff
	s_delay_alu instid0(VALU_DEP_3) | instskip(SKIP_2) | instid1(VALU_DEP_1)
	v_cndmask_b32_e64 v59, 0, v59, s0
	v_cmp_gt_i32_e64 s0, s5, v108
	s_wait_alu 0xf1ff
	v_cndmask_b32_e64 v63, 0, v57, s0
	v_cmp_gt_i32_e64 s0, s25, v109
	v_perm_b32 v57, v35, v36, 0x5040100
	s_delay_alu instid0(VALU_DEP_3) | instskip(SKIP_1) | instid1(VALU_DEP_3)
	v_perm_b32 v59, v63, v59, 0x5040100
	s_wait_alu 0xf1ff
	v_cndmask_b32_e64 v60, 0, v60, s0
	v_cmp_gt_i32_e64 s0, s5, v0
	s_wait_alu 0xf1ff
	s_delay_alu instid0(VALU_DEP_1) | instskip(NEXT) | instid1(VALU_DEP_1)
	v_cndmask_b32_e64 v62, 0, v62, s0
	v_perm_b32 v60, v62, v60, 0x5040100
	s_wait_alu 0xfffe
	s_or_b32 exec_lo, exec_lo, s6
	global_load_b128 v[61:64], v[33:34], off offset:7168
	s_and_saveexec_b32 s6, vcc_lo
	s_cbranch_execz .LBB187_44
.LBB187_67:                             ;   in Loop: Header=BB187_29 Depth=1
	v_cmp_gt_i32_e64 s0, s25, v139
	s_wait_loadcnt 0x0
	v_lshrrev_b32_e32 v35, 16, v61
	v_lshrrev_b32_e32 v74, 16, v64
	s_wait_alu 0xf1ff
	v_cndmask_b32_e64 v36, 0, v61, s0
	v_cmp_gt_i32_e64 s0, s5, v143
	v_lshrrev_b32_e32 v61, 16, v62
	s_wait_alu 0xf1ff
	s_delay_alu instid0(VALU_DEP_2) | instskip(SKIP_2) | instid1(VALU_DEP_1)
	v_cndmask_b32_e64 v35, 0, v35, s0
	v_cmp_gt_i32_e64 s0, s25, v144
	s_wait_alu 0xf1ff
	v_cndmask_b32_e64 v62, 0, v62, s0
	v_cmp_gt_i32_e64 s0, s5, v142
	s_wait_alu 0xf1ff
	s_delay_alu instid0(VALU_DEP_1) | instskip(SKIP_2) | instid1(VALU_DEP_3)
	v_cndmask_b32_e64 v73, 0, v61, s0
	v_cmp_gt_i32_e64 s0, s25, v141
	v_lshrrev_b32_e32 v61, 16, v63
	v_perm_b32 v62, v73, v62, 0x5040100
	s_wait_alu 0xf1ff
	s_delay_alu instid0(VALU_DEP_3) | instskip(SKIP_2) | instid1(VALU_DEP_1)
	v_cndmask_b32_e64 v63, 0, v63, s0
	v_cmp_gt_i32_e64 s0, s5, v108
	s_wait_alu 0xf1ff
	v_cndmask_b32_e64 v75, 0, v61, s0
	v_cmp_gt_i32_e64 s0, s25, v109
	v_perm_b32 v61, v35, v36, 0x5040100
	s_delay_alu instid0(VALU_DEP_3) | instskip(SKIP_1) | instid1(VALU_DEP_3)
	v_perm_b32 v63, v75, v63, 0x5040100
	s_wait_alu 0xf1ff
	v_cndmask_b32_e64 v64, 0, v64, s0
	v_cmp_gt_i32_e64 s0, s5, v0
	s_wait_alu 0xf1ff
	s_delay_alu instid0(VALU_DEP_1) | instskip(NEXT) | instid1(VALU_DEP_1)
	v_cndmask_b32_e64 v74, 0, v74, s0
	v_perm_b32 v64, v74, v64, 0x5040100
	s_wait_alu 0xfffe
	s_or_b32 exec_lo, exec_lo, s6
	global_load_b128 v[73:76], v[33:34], off offset:7680
	s_and_saveexec_b32 s6, vcc_lo
	s_cbranch_execz .LBB187_45
.LBB187_68:                             ;   in Loop: Header=BB187_29 Depth=1
	v_cmp_gt_i32_e64 s0, s25, v139
	s_wait_loadcnt 0x0
	v_lshrrev_b32_e32 v35, 16, v73
	v_lshrrev_b32_e32 v78, 16, v76
	s_wait_alu 0xf1ff
	v_cndmask_b32_e64 v36, 0, v73, s0
	v_cmp_gt_i32_e64 s0, s5, v143
	v_lshrrev_b32_e32 v73, 16, v74
	s_wait_alu 0xf1ff
	s_delay_alu instid0(VALU_DEP_2) | instskip(SKIP_2) | instid1(VALU_DEP_1)
	v_cndmask_b32_e64 v35, 0, v35, s0
	v_cmp_gt_i32_e64 s0, s25, v144
	s_wait_alu 0xf1ff
	v_cndmask_b32_e64 v74, 0, v74, s0
	v_cmp_gt_i32_e64 s0, s5, v142
	s_wait_alu 0xf1ff
	s_delay_alu instid0(VALU_DEP_1) | instskip(SKIP_2) | instid1(VALU_DEP_3)
	v_cndmask_b32_e64 v77, 0, v73, s0
	v_cmp_gt_i32_e64 s0, s25, v141
	v_lshrrev_b32_e32 v73, 16, v75
	v_perm_b32 v74, v77, v74, 0x5040100
	s_wait_alu 0xf1ff
	s_delay_alu instid0(VALU_DEP_3) | instskip(SKIP_2) | instid1(VALU_DEP_1)
	v_cndmask_b32_e64 v75, 0, v75, s0
	v_cmp_gt_i32_e64 s0, s5, v108
	s_wait_alu 0xf1ff
	v_cndmask_b32_e64 v79, 0, v73, s0
	v_cmp_gt_i32_e64 s0, s25, v109
	v_perm_b32 v73, v35, v36, 0x5040100
	s_delay_alu instid0(VALU_DEP_3) | instskip(SKIP_1) | instid1(VALU_DEP_3)
	v_perm_b32 v75, v79, v75, 0x5040100
	s_wait_alu 0xf1ff
	v_cndmask_b32_e64 v76, 0, v76, s0
	v_cmp_gt_i32_e64 s0, s5, v0
	s_wait_alu 0xf1ff
	s_delay_alu instid0(VALU_DEP_1) | instskip(NEXT) | instid1(VALU_DEP_1)
	v_cndmask_b32_e64 v78, 0, v78, s0
	v_perm_b32 v76, v78, v76, 0x5040100
	s_wait_alu 0xfffe
	s_or_b32 exec_lo, exec_lo, s6
	global_load_b128 v[77:80], v[33:34], off offset:8192
	s_and_saveexec_b32 s6, vcc_lo
	s_cbranch_execz .LBB187_46
.LBB187_69:                             ;   in Loop: Header=BB187_29 Depth=1
	v_cmp_gt_i32_e64 s0, s25, v139
	s_wait_loadcnt 0x0
	v_lshrrev_b32_e32 v35, 16, v77
	v_lshrrev_b32_e32 v82, 16, v80
	s_wait_alu 0xf1ff
	v_cndmask_b32_e64 v36, 0, v77, s0
	v_cmp_gt_i32_e64 s0, s5, v143
	v_lshrrev_b32_e32 v77, 16, v78
	s_wait_alu 0xf1ff
	s_delay_alu instid0(VALU_DEP_2) | instskip(SKIP_2) | instid1(VALU_DEP_1)
	v_cndmask_b32_e64 v35, 0, v35, s0
	v_cmp_gt_i32_e64 s0, s25, v144
	s_wait_alu 0xf1ff
	v_cndmask_b32_e64 v78, 0, v78, s0
	v_cmp_gt_i32_e64 s0, s5, v142
	s_wait_alu 0xf1ff
	s_delay_alu instid0(VALU_DEP_1) | instskip(SKIP_2) | instid1(VALU_DEP_3)
	v_cndmask_b32_e64 v81, 0, v77, s0
	v_cmp_gt_i32_e64 s0, s25, v141
	v_lshrrev_b32_e32 v77, 16, v79
	v_perm_b32 v78, v81, v78, 0x5040100
	s_wait_alu 0xf1ff
	s_delay_alu instid0(VALU_DEP_3) | instskip(SKIP_2) | instid1(VALU_DEP_1)
	v_cndmask_b32_e64 v79, 0, v79, s0
	v_cmp_gt_i32_e64 s0, s5, v108
	s_wait_alu 0xf1ff
	v_cndmask_b32_e64 v83, 0, v77, s0
	v_cmp_gt_i32_e64 s0, s25, v109
	v_perm_b32 v77, v35, v36, 0x5040100
	s_delay_alu instid0(VALU_DEP_3) | instskip(SKIP_1) | instid1(VALU_DEP_3)
	v_perm_b32 v79, v83, v79, 0x5040100
	s_wait_alu 0xf1ff
	v_cndmask_b32_e64 v80, 0, v80, s0
	v_cmp_gt_i32_e64 s0, s5, v0
	s_wait_alu 0xf1ff
	s_delay_alu instid0(VALU_DEP_1) | instskip(NEXT) | instid1(VALU_DEP_1)
	v_cndmask_b32_e64 v82, 0, v82, s0
	v_perm_b32 v80, v82, v80, 0x5040100
	s_wait_alu 0xfffe
	s_or_b32 exec_lo, exec_lo, s6
	global_load_b128 v[81:84], v[33:34], off offset:8704
	s_and_saveexec_b32 s6, vcc_lo
	s_cbranch_execz .LBB187_47
.LBB187_70:                             ;   in Loop: Header=BB187_29 Depth=1
	v_cmp_gt_i32_e64 s0, s25, v139
	s_wait_loadcnt 0x0
	v_lshrrev_b32_e32 v35, 16, v81
	v_lshrrev_b32_e32 v86, 16, v84
	s_wait_alu 0xf1ff
	v_cndmask_b32_e64 v36, 0, v81, s0
	v_cmp_gt_i32_e64 s0, s5, v143
	v_lshrrev_b32_e32 v81, 16, v82
	s_wait_alu 0xf1ff
	s_delay_alu instid0(VALU_DEP_2) | instskip(SKIP_2) | instid1(VALU_DEP_1)
	v_cndmask_b32_e64 v35, 0, v35, s0
	v_cmp_gt_i32_e64 s0, s25, v144
	s_wait_alu 0xf1ff
	v_cndmask_b32_e64 v82, 0, v82, s0
	v_cmp_gt_i32_e64 s0, s5, v142
	s_wait_alu 0xf1ff
	s_delay_alu instid0(VALU_DEP_1) | instskip(SKIP_2) | instid1(VALU_DEP_3)
	v_cndmask_b32_e64 v85, 0, v81, s0
	v_cmp_gt_i32_e64 s0, s25, v141
	v_lshrrev_b32_e32 v81, 16, v83
	v_perm_b32 v82, v85, v82, 0x5040100
	s_wait_alu 0xf1ff
	s_delay_alu instid0(VALU_DEP_3) | instskip(SKIP_2) | instid1(VALU_DEP_1)
	v_cndmask_b32_e64 v83, 0, v83, s0
	v_cmp_gt_i32_e64 s0, s5, v108
	s_wait_alu 0xf1ff
	v_cndmask_b32_e64 v87, 0, v81, s0
	v_cmp_gt_i32_e64 s0, s25, v109
	v_perm_b32 v81, v35, v36, 0x5040100
	s_delay_alu instid0(VALU_DEP_3) | instskip(SKIP_1) | instid1(VALU_DEP_3)
	v_perm_b32 v83, v87, v83, 0x5040100
	s_wait_alu 0xf1ff
	v_cndmask_b32_e64 v84, 0, v84, s0
	v_cmp_gt_i32_e64 s0, s5, v0
	s_wait_alu 0xf1ff
	s_delay_alu instid0(VALU_DEP_1) | instskip(NEXT) | instid1(VALU_DEP_1)
	v_cndmask_b32_e64 v86, 0, v86, s0
	v_perm_b32 v84, v86, v84, 0x5040100
	s_wait_alu 0xfffe
	s_or_b32 exec_lo, exec_lo, s6
	global_load_b128 v[85:88], v[33:34], off offset:9216
	s_and_saveexec_b32 s6, vcc_lo
	s_cbranch_execz .LBB187_48
.LBB187_71:                             ;   in Loop: Header=BB187_29 Depth=1
	v_cmp_gt_i32_e64 s0, s25, v139
	s_wait_loadcnt 0x0
	v_lshrrev_b32_e32 v35, 16, v85
	v_lshrrev_b32_e32 v90, 16, v88
	s_wait_alu 0xf1ff
	v_cndmask_b32_e64 v36, 0, v85, s0
	v_cmp_gt_i32_e64 s0, s5, v143
	v_lshrrev_b32_e32 v85, 16, v86
	s_wait_alu 0xf1ff
	s_delay_alu instid0(VALU_DEP_2) | instskip(SKIP_2) | instid1(VALU_DEP_1)
	v_cndmask_b32_e64 v35, 0, v35, s0
	v_cmp_gt_i32_e64 s0, s25, v144
	s_wait_alu 0xf1ff
	v_cndmask_b32_e64 v86, 0, v86, s0
	v_cmp_gt_i32_e64 s0, s5, v142
	s_wait_alu 0xf1ff
	s_delay_alu instid0(VALU_DEP_1) | instskip(SKIP_2) | instid1(VALU_DEP_3)
	v_cndmask_b32_e64 v89, 0, v85, s0
	v_cmp_gt_i32_e64 s0, s25, v141
	v_lshrrev_b32_e32 v85, 16, v87
	v_perm_b32 v86, v89, v86, 0x5040100
	s_wait_alu 0xf1ff
	s_delay_alu instid0(VALU_DEP_3) | instskip(SKIP_2) | instid1(VALU_DEP_1)
	v_cndmask_b32_e64 v87, 0, v87, s0
	v_cmp_gt_i32_e64 s0, s5, v108
	s_wait_alu 0xf1ff
	v_cndmask_b32_e64 v91, 0, v85, s0
	v_cmp_gt_i32_e64 s0, s25, v109
	v_perm_b32 v85, v35, v36, 0x5040100
	s_delay_alu instid0(VALU_DEP_3) | instskip(SKIP_1) | instid1(VALU_DEP_3)
	v_perm_b32 v87, v91, v87, 0x5040100
	s_wait_alu 0xf1ff
	v_cndmask_b32_e64 v88, 0, v88, s0
	v_cmp_gt_i32_e64 s0, s5, v0
	s_wait_alu 0xf1ff
	s_delay_alu instid0(VALU_DEP_1) | instskip(NEXT) | instid1(VALU_DEP_1)
	v_cndmask_b32_e64 v90, 0, v90, s0
	v_perm_b32 v88, v90, v88, 0x5040100
	s_wait_alu 0xfffe
	s_or_b32 exec_lo, exec_lo, s6
	global_load_b128 v[89:92], v[33:34], off offset:9728
	s_and_saveexec_b32 s6, vcc_lo
	s_cbranch_execz .LBB187_49
.LBB187_72:                             ;   in Loop: Header=BB187_29 Depth=1
	v_cmp_gt_i32_e64 s0, s25, v139
	s_wait_loadcnt 0x0
	v_lshrrev_b32_e32 v35, 16, v89
	v_lshrrev_b32_e32 v94, 16, v92
	s_wait_alu 0xf1ff
	v_cndmask_b32_e64 v36, 0, v89, s0
	v_cmp_gt_i32_e64 s0, s5, v143
	v_lshrrev_b32_e32 v89, 16, v90
	s_wait_alu 0xf1ff
	s_delay_alu instid0(VALU_DEP_2) | instskip(SKIP_2) | instid1(VALU_DEP_1)
	v_cndmask_b32_e64 v35, 0, v35, s0
	v_cmp_gt_i32_e64 s0, s25, v144
	s_wait_alu 0xf1ff
	v_cndmask_b32_e64 v90, 0, v90, s0
	v_cmp_gt_i32_e64 s0, s5, v142
	s_wait_alu 0xf1ff
	s_delay_alu instid0(VALU_DEP_1) | instskip(SKIP_2) | instid1(VALU_DEP_3)
	v_cndmask_b32_e64 v93, 0, v89, s0
	v_cmp_gt_i32_e64 s0, s25, v141
	v_lshrrev_b32_e32 v89, 16, v91
	v_perm_b32 v90, v93, v90, 0x5040100
	s_wait_alu 0xf1ff
	s_delay_alu instid0(VALU_DEP_3) | instskip(SKIP_2) | instid1(VALU_DEP_1)
	v_cndmask_b32_e64 v91, 0, v91, s0
	v_cmp_gt_i32_e64 s0, s5, v108
	s_wait_alu 0xf1ff
	v_cndmask_b32_e64 v95, 0, v89, s0
	v_cmp_gt_i32_e64 s0, s25, v109
	v_perm_b32 v89, v35, v36, 0x5040100
	s_delay_alu instid0(VALU_DEP_3) | instskip(SKIP_1) | instid1(VALU_DEP_3)
	v_perm_b32 v91, v95, v91, 0x5040100
	s_wait_alu 0xf1ff
	v_cndmask_b32_e64 v92, 0, v92, s0
	v_cmp_gt_i32_e64 s0, s5, v0
	s_wait_alu 0xf1ff
	s_delay_alu instid0(VALU_DEP_1) | instskip(NEXT) | instid1(VALU_DEP_1)
	v_cndmask_b32_e64 v94, 0, v94, s0
	v_perm_b32 v92, v94, v92, 0x5040100
	s_wait_alu 0xfffe
	s_or_b32 exec_lo, exec_lo, s6
	global_load_b128 v[93:96], v[33:34], off offset:10240
	s_and_saveexec_b32 s6, vcc_lo
	s_cbranch_execz .LBB187_50
.LBB187_73:                             ;   in Loop: Header=BB187_29 Depth=1
	v_cmp_gt_i32_e64 s0, s25, v139
	s_wait_loadcnt 0x0
	v_lshrrev_b32_e32 v35, 16, v93
	v_lshrrev_b32_e32 v98, 16, v96
	s_wait_alu 0xf1ff
	v_cndmask_b32_e64 v36, 0, v93, s0
	v_cmp_gt_i32_e64 s0, s5, v143
	v_lshrrev_b32_e32 v93, 16, v94
	s_wait_alu 0xf1ff
	s_delay_alu instid0(VALU_DEP_2) | instskip(SKIP_2) | instid1(VALU_DEP_1)
	v_cndmask_b32_e64 v35, 0, v35, s0
	v_cmp_gt_i32_e64 s0, s25, v144
	s_wait_alu 0xf1ff
	v_cndmask_b32_e64 v94, 0, v94, s0
	v_cmp_gt_i32_e64 s0, s5, v142
	s_wait_alu 0xf1ff
	s_delay_alu instid0(VALU_DEP_1) | instskip(SKIP_2) | instid1(VALU_DEP_3)
	v_cndmask_b32_e64 v97, 0, v93, s0
	v_cmp_gt_i32_e64 s0, s25, v141
	v_lshrrev_b32_e32 v93, 16, v95
	v_perm_b32 v94, v97, v94, 0x5040100
	s_wait_alu 0xf1ff
	s_delay_alu instid0(VALU_DEP_3) | instskip(SKIP_2) | instid1(VALU_DEP_1)
	v_cndmask_b32_e64 v95, 0, v95, s0
	v_cmp_gt_i32_e64 s0, s5, v108
	s_wait_alu 0xf1ff
	v_cndmask_b32_e64 v99, 0, v93, s0
	v_cmp_gt_i32_e64 s0, s25, v109
	v_perm_b32 v93, v35, v36, 0x5040100
	s_delay_alu instid0(VALU_DEP_3) | instskip(SKIP_1) | instid1(VALU_DEP_3)
	v_perm_b32 v95, v99, v95, 0x5040100
	s_wait_alu 0xf1ff
	v_cndmask_b32_e64 v96, 0, v96, s0
	v_cmp_gt_i32_e64 s0, s5, v0
	s_wait_alu 0xf1ff
	s_delay_alu instid0(VALU_DEP_1) | instskip(NEXT) | instid1(VALU_DEP_1)
	v_cndmask_b32_e64 v98, 0, v98, s0
	v_perm_b32 v96, v98, v96, 0x5040100
	s_wait_alu 0xfffe
	s_or_b32 exec_lo, exec_lo, s6
	global_load_b128 v[97:100], v[33:34], off offset:10752
	s_and_saveexec_b32 s6, vcc_lo
	s_cbranch_execz .LBB187_51
.LBB187_74:                             ;   in Loop: Header=BB187_29 Depth=1
	v_cmp_gt_i32_e64 s0, s25, v139
	s_wait_loadcnt 0x0
	v_lshrrev_b32_e32 v35, 16, v97
	v_lshrrev_b32_e32 v102, 16, v100
	s_wait_alu 0xf1ff
	v_cndmask_b32_e64 v36, 0, v97, s0
	v_cmp_gt_i32_e64 s0, s5, v143
	v_lshrrev_b32_e32 v97, 16, v98
	s_wait_alu 0xf1ff
	s_delay_alu instid0(VALU_DEP_2) | instskip(SKIP_2) | instid1(VALU_DEP_1)
	v_cndmask_b32_e64 v35, 0, v35, s0
	v_cmp_gt_i32_e64 s0, s25, v144
	s_wait_alu 0xf1ff
	v_cndmask_b32_e64 v98, 0, v98, s0
	v_cmp_gt_i32_e64 s0, s5, v142
	s_wait_alu 0xf1ff
	s_delay_alu instid0(VALU_DEP_1) | instskip(SKIP_2) | instid1(VALU_DEP_3)
	v_cndmask_b32_e64 v101, 0, v97, s0
	v_cmp_gt_i32_e64 s0, s25, v141
	v_lshrrev_b32_e32 v97, 16, v99
	v_perm_b32 v98, v101, v98, 0x5040100
	s_wait_alu 0xf1ff
	s_delay_alu instid0(VALU_DEP_3) | instskip(SKIP_2) | instid1(VALU_DEP_1)
	v_cndmask_b32_e64 v99, 0, v99, s0
	v_cmp_gt_i32_e64 s0, s5, v108
	s_wait_alu 0xf1ff
	v_cndmask_b32_e64 v103, 0, v97, s0
	v_cmp_gt_i32_e64 s0, s25, v109
	v_perm_b32 v97, v35, v36, 0x5040100
	s_delay_alu instid0(VALU_DEP_3) | instskip(SKIP_1) | instid1(VALU_DEP_3)
	v_perm_b32 v99, v103, v99, 0x5040100
	s_wait_alu 0xf1ff
	v_cndmask_b32_e64 v100, 0, v100, s0
	v_cmp_gt_i32_e64 s0, s5, v0
	s_wait_alu 0xf1ff
	s_delay_alu instid0(VALU_DEP_1) | instskip(NEXT) | instid1(VALU_DEP_1)
	v_cndmask_b32_e64 v102, 0, v102, s0
	v_perm_b32 v100, v102, v100, 0x5040100
	s_wait_alu 0xfffe
	s_or_b32 exec_lo, exec_lo, s6
	global_load_b128 v[101:104], v[33:34], off offset:11264
	s_and_saveexec_b32 s6, vcc_lo
	s_cbranch_execz .LBB187_52
.LBB187_75:                             ;   in Loop: Header=BB187_29 Depth=1
	v_cmp_gt_i32_e64 s0, s25, v139
	s_wait_loadcnt 0x0
	v_lshrrev_b32_e32 v35, 16, v101
	v_lshrrev_b32_e32 v146, 16, v104
	s_wait_alu 0xf1ff
	v_cndmask_b32_e64 v36, 0, v101, s0
	v_cmp_gt_i32_e64 s0, s5, v143
	v_lshrrev_b32_e32 v101, 16, v102
	s_wait_alu 0xf1ff
	s_delay_alu instid0(VALU_DEP_2) | instskip(SKIP_2) | instid1(VALU_DEP_1)
	v_cndmask_b32_e64 v35, 0, v35, s0
	v_cmp_gt_i32_e64 s0, s25, v144
	s_wait_alu 0xf1ff
	v_cndmask_b32_e64 v102, 0, v102, s0
	v_cmp_gt_i32_e64 s0, s5, v142
	s_wait_alu 0xf1ff
	s_delay_alu instid0(VALU_DEP_1) | instskip(SKIP_2) | instid1(VALU_DEP_3)
	v_cndmask_b32_e64 v145, 0, v101, s0
	v_cmp_gt_i32_e64 s0, s25, v141
	v_lshrrev_b32_e32 v101, 16, v103
	v_perm_b32 v102, v145, v102, 0x5040100
	s_wait_alu 0xf1ff
	s_delay_alu instid0(VALU_DEP_3) | instskip(SKIP_2) | instid1(VALU_DEP_1)
	v_cndmask_b32_e64 v103, 0, v103, s0
	v_cmp_gt_i32_e64 s0, s5, v108
	s_wait_alu 0xf1ff
	v_cndmask_b32_e64 v147, 0, v101, s0
	v_cmp_gt_i32_e64 s0, s25, v109
	v_perm_b32 v101, v35, v36, 0x5040100
	s_delay_alu instid0(VALU_DEP_3) | instskip(SKIP_1) | instid1(VALU_DEP_3)
	v_perm_b32 v103, v147, v103, 0x5040100
	s_wait_alu 0xf1ff
	v_cndmask_b32_e64 v104, 0, v104, s0
	v_cmp_gt_i32_e64 s0, s5, v0
	s_wait_alu 0xf1ff
	s_delay_alu instid0(VALU_DEP_1) | instskip(NEXT) | instid1(VALU_DEP_1)
	v_cndmask_b32_e64 v146, 0, v146, s0
	v_perm_b32 v104, v146, v104, 0x5040100
	s_wait_alu 0xfffe
	s_or_b32 exec_lo, exec_lo, s6
	global_load_b128 v[33:36], v[33:34], off offset:11776
	s_and_saveexec_b32 s0, vcc_lo
	s_cbranch_execz .LBB187_28
.LBB187_76:                             ;   in Loop: Header=BB187_29 Depth=1
	v_cmp_gt_i32_e32 vcc_lo, s25, v139
	s_wait_loadcnt 0x0
	v_lshrrev_b32_e32 v145, 16, v33
	v_lshrrev_b32_e32 v146, 16, v34
	s_wait_alu 0xfffd
	v_cndmask_b32_e32 v33, 0, v33, vcc_lo
	v_cmp_gt_i32_e32 vcc_lo, s5, v143
	s_wait_alu 0xfffd
	v_cndmask_b32_e32 v143, 0, v145, vcc_lo
	v_cmp_gt_i32_e32 vcc_lo, s25, v144
	v_lshrrev_b32_e32 v144, 16, v35
	s_wait_alu 0xfffd
	v_cndmask_b32_e32 v34, 0, v34, vcc_lo
	v_cmp_gt_i32_e32 vcc_lo, s5, v142
	s_wait_alu 0xfffd
	v_cndmask_b32_e32 v142, 0, v146, vcc_lo
	v_cmp_gt_i32_e32 vcc_lo, s25, v141
	v_lshrrev_b32_e32 v141, 16, v36
	v_perm_b32 v33, v143, v33, 0x5040100
	s_delay_alu instid0(VALU_DEP_4)
	v_perm_b32 v34, v142, v34, 0x5040100
	s_wait_alu 0xfffd
	v_cndmask_b32_e32 v35, 0, v35, vcc_lo
	v_cmp_gt_i32_e32 vcc_lo, s5, v108
	s_wait_alu 0xfffd
	v_cndmask_b32_e32 v108, 0, v144, vcc_lo
	v_cmp_gt_i32_e32 vcc_lo, s25, v109
	s_delay_alu instid0(VALU_DEP_2)
	v_perm_b32 v35, v108, v35, 0x5040100
	s_wait_alu 0xfffd
	v_cndmask_b32_e32 v36, 0, v36, vcc_lo
	v_cmp_gt_i32_e32 vcc_lo, s5, v0
	s_wait_alu 0xfffd
	v_cndmask_b32_e32 v0, 0, v141, vcc_lo
	s_delay_alu instid0(VALU_DEP_1)
	v_perm_b32 v36, v0, v36, 0x5040100
	s_branch .LBB187_28
.LBB187_77:
	s_or_b32 exec_lo, exec_lo, s4
	v_dual_mov_b32 v95, v149 :: v_dual_mov_b32 v98, v150
.LBB187_78:
	s_wait_alu 0xfffe
	s_or_b32 exec_lo, exec_lo, s1
	ds_bpermute_b32 v0, v111, v134
	ds_bpermute_b32 v1, v111, v136
	;; [unrolled: 1-line block ×20, first 2 shown]
	s_wait_dscnt 0x12
	v_dual_add_f32 v0, v134, v0 :: v_dual_add_f32 v1, v136, v1
	s_wait_dscnt 0x10
	v_dual_add_f32 v2, v135, v2 :: v_dual_add_f32 v3, v133, v3
	;; [unrolled: 2-line block ×3, first 2 shown]
	ds_bpermute_b32 v16, v110, v0
	ds_bpermute_b32 v17, v110, v1
	;; [unrolled: 1-line block ×4, first 2 shown]
	s_wait_dscnt 0xe
	v_add_f32_e32 v10, v126, v10
	ds_bpermute_b32 v27, v110, v5
	ds_bpermute_b32 v26, v110, v4
	s_wait_dscnt 0xb
	v_dual_add_f32 v6, v130, v6 :: v_dual_add_f32 v7, v129, v7
	s_wait_dscnt 0x9
	v_dual_add_f32 v8, v128, v8 :: v_dual_add_f32 v9, v127, v9
	s_wait_dscnt 0x8
	v_add_f32_e32 v33, v123, v13
	s_wait_dscnt 0x7
	v_add_f32_e32 v41, v119, v20
	;; [unrolled: 2-line block ×3, first 2 shown]
	ds_bpermute_b32 v28, v110, v6
	ds_bpermute_b32 v29, v110, v7
	;; [unrolled: 1-line block ×5, first 2 shown]
	s_wait_dscnt 0xa
	v_dual_add_f32 v35, v122, v14 :: v_dual_add_f32 v22, v0, v16
	s_wait_dscnt 0x9
	v_add_f32_e32 v18, v1, v17
	s_wait_dscnt 0x8
	v_add_f32_e32 v17, v2, v21
	ds_bpermute_b32 v0, v111, v116
	ds_bpermute_b32 v2, v111, v115
	s_wait_dscnt 0x9
	v_dual_add_f32 v16, v3, v23 :: v_dual_add_f32 v3, v124, v12
	ds_bpermute_b32 v12, v111, v113
	v_add_f32_e32 v37, v121, v15
	v_add_f32_e32 v39, v120, v19
	;; [unrolled: 1-line block ×3, first 2 shown]
	ds_bpermute_b32 v11, v111, v114
	ds_bpermute_b32 v36, v110, v3
	;; [unrolled: 1-line block ×3, first 2 shown]
	s_wait_dscnt 0xc
	v_add_f32_e32 v20, v5, v27
	ds_bpermute_b32 v34, v110, v1
	ds_bpermute_b32 v40, v110, v35
	ds_bpermute_b32 v44, v110, v41
	ds_bpermute_b32 v45, v110, v24
	s_wait_dscnt 0xb
	v_dual_add_f32 v23, v4, v26 :: v_dual_add_f32 v14, v9, v31
	v_add_f32_e32 v21, v6, v28
	v_add_f32_e32 v15, v8, v30
	s_wait_dscnt 0x9
	v_add_f32_e32 v0, v116, v0
	s_wait_dscnt 0x8
	v_add_f32_e32 v2, v115, v2
	ds_bpermute_b32 v42, v110, v37
	ds_bpermute_b32 v43, v110, v39
	s_wait_dscnt 0x9
	v_add_f32_e32 v49, v113, v12
	ds_bpermute_b32 v48, v110, v0
	ds_bpermute_b32 v50, v110, v2
	v_add_f32_e32 v25, v117, v25
	s_wait_dscnt 0xa
	v_add_f32_e32 v47, v114, v11
	ds_bpermute_b32 v27, v110, v49
	s_wait_dscnt 0xa
	v_add_f32_e32 v11, v3, v36
	s_wait_dscnt 0x8
	v_dual_add_f32 v19, v7, v29 :: v_dual_add_f32 v12, v1, v34
	ds_bpermute_b32 v26, v110, v47
	s_wait_dscnt 0x8
	v_add_f32_e32 v9, v35, v40
	s_wait_dscnt 0x6
	v_dual_add_f32 v6, v41, v44 :: v_dual_add_f32 v5, v24, v45
	v_and_b32_e32 v28, 0x3c3, v148
	v_lshrrev_b32_e32 v24, 2, v98
	s_mov_b32 s0, exec_lo
	s_wait_storecnt 0x0
	s_wait_loadcnt_dscnt 0x0
	s_barrier_signal -1
	v_dual_add_f32 v8, v37, v42 :: v_dual_add_f32 v7, v39, v43
	s_barrier_wait -1
	v_dual_add_f32 v3, v0, v48 :: v_dual_add_f32 v0, v2, v50
	ds_bpermute_b32 v46, v110, v25
	v_dual_add_f32 v13, v10, v32 :: v_dual_add_f32 v10, v33, v38
	v_add_f32_e32 v2, v49, v27
	s_wait_dscnt 0x0
	global_inv scope:SCOPE_SE
	v_add_f32_e32 v1, v47, v26
	v_mul_u32_u24_e32 v26, 0x300, v95
	v_add_f32_e32 v4, v25, v46
	v_and_b32_e32 v25, 28, v98
	s_delay_alu instid0(VALU_DEP_1)
	v_add_nc_u32_e32 v25, 0x1a0, v25
	v_cmpx_eq_u32_e32 64, v28
	s_cbranch_execz .LBB187_80
; %bb.79:
	s_delay_alu instid0(VALU_DEP_2) | instskip(NEXT) | instid1(VALU_DEP_1)
	v_add_nc_u32_e32 v27, v25, v26
	v_add_nc_u32_e32 v28, 0xfffffa00, v27
	;; [unrolled: 1-line block ×9, first 2 shown]
	ds_store_b32 v28, v22
	ds_store_b32 v29, v18
	;; [unrolled: 1-line block ×8, first 2 shown]
	v_add_nc_u32_e32 v28, 0xfffffb00, v27
	v_add_nc_u32_e32 v29, 0xfffffb20, v27
	;; [unrolled: 1-line block ×8, first 2 shown]
	ds_store_b32 v28, v15
	ds_store_b32 v29, v14
	;; [unrolled: 1-line block ×8, first 2 shown]
	v_add_nc_u32_e32 v28, 0xfffffc00, v27
	v_add_nc_u32_e32 v29, 0xfffffc20, v27
	;; [unrolled: 1-line block ×8, first 2 shown]
	ds_store_b32 v28, v7
	ds_store_b32 v29, v6
	;; [unrolled: 1-line block ×8, first 2 shown]
.LBB187_80:
	s_wait_alu 0xfffe
	s_or_b32 exec_lo, exec_lo, s0
	v_lshlrev_b32_e32 v24, 2, v24
	s_mov_b32 s1, exec_lo
	v_cmp_eq_u32_e32 vcc_lo, 0, v107
	s_wait_loadcnt_dscnt 0x0
	s_barrier_signal -1
	v_add3_u32 v24, 0x1a0, v26, v24
	s_barrier_wait -1
	global_inv scope:SCOPE_SE
	v_cmpx_gt_u32_e32 64, v148
	s_cbranch_execz .LBB187_107
; %bb.81:
	s_and_saveexec_b32 s0, vcc_lo
	s_cbranch_execnz .LBB187_139
; %bb.82:
	s_wait_alu 0xfffe
	s_or_b32 exec_lo, exec_lo, s0
	s_and_saveexec_b32 s0, vcc_lo
	s_cbranch_execnz .LBB187_140
.LBB187_83:
	s_wait_alu 0xfffe
	s_or_b32 exec_lo, exec_lo, s0
	s_and_saveexec_b32 s0, vcc_lo
	s_cbranch_execnz .LBB187_141
.LBB187_84:
	s_wait_alu 0xfffe
	s_or_b32 exec_lo, exec_lo, s0
	s_and_saveexec_b32 s0, vcc_lo
	s_cbranch_execnz .LBB187_142
.LBB187_85:
	s_wait_alu 0xfffe
	s_or_b32 exec_lo, exec_lo, s0
	s_and_saveexec_b32 s0, vcc_lo
	s_cbranch_execnz .LBB187_143
.LBB187_86:
	s_wait_alu 0xfffe
	s_or_b32 exec_lo, exec_lo, s0
	s_and_saveexec_b32 s0, vcc_lo
	s_cbranch_execnz .LBB187_144
.LBB187_87:
	s_wait_alu 0xfffe
	s_or_b32 exec_lo, exec_lo, s0
	s_and_saveexec_b32 s0, vcc_lo
	s_cbranch_execnz .LBB187_145
.LBB187_88:
	s_wait_alu 0xfffe
	s_or_b32 exec_lo, exec_lo, s0
	s_and_saveexec_b32 s0, vcc_lo
	s_cbranch_execnz .LBB187_146
.LBB187_89:
	s_wait_alu 0xfffe
	s_or_b32 exec_lo, exec_lo, s0
	s_and_saveexec_b32 s0, vcc_lo
	s_cbranch_execnz .LBB187_147
.LBB187_90:
	s_wait_alu 0xfffe
	s_or_b32 exec_lo, exec_lo, s0
	s_and_saveexec_b32 s0, vcc_lo
	s_cbranch_execnz .LBB187_148
.LBB187_91:
	s_wait_alu 0xfffe
	s_or_b32 exec_lo, exec_lo, s0
	s_and_saveexec_b32 s0, vcc_lo
	s_cbranch_execnz .LBB187_149
.LBB187_92:
	s_wait_alu 0xfffe
	s_or_b32 exec_lo, exec_lo, s0
	s_and_saveexec_b32 s0, vcc_lo
	s_cbranch_execnz .LBB187_150
.LBB187_93:
	s_wait_alu 0xfffe
	s_or_b32 exec_lo, exec_lo, s0
	s_and_saveexec_b32 s0, vcc_lo
	s_cbranch_execnz .LBB187_151
.LBB187_94:
	s_wait_alu 0xfffe
	s_or_b32 exec_lo, exec_lo, s0
	s_and_saveexec_b32 s0, vcc_lo
	s_cbranch_execnz .LBB187_152
.LBB187_95:
	s_wait_alu 0xfffe
	s_or_b32 exec_lo, exec_lo, s0
	s_and_saveexec_b32 s0, vcc_lo
	s_cbranch_execnz .LBB187_153
.LBB187_96:
	s_wait_alu 0xfffe
	s_or_b32 exec_lo, exec_lo, s0
	s_and_saveexec_b32 s0, vcc_lo
	s_cbranch_execnz .LBB187_154
.LBB187_97:
	s_wait_alu 0xfffe
	s_or_b32 exec_lo, exec_lo, s0
	s_and_saveexec_b32 s0, vcc_lo
	s_cbranch_execnz .LBB187_155
.LBB187_98:
	s_wait_alu 0xfffe
	s_or_b32 exec_lo, exec_lo, s0
	s_and_saveexec_b32 s0, vcc_lo
	s_cbranch_execnz .LBB187_156
.LBB187_99:
	s_wait_alu 0xfffe
	s_or_b32 exec_lo, exec_lo, s0
	s_and_saveexec_b32 s0, vcc_lo
	s_cbranch_execnz .LBB187_157
.LBB187_100:
	s_wait_alu 0xfffe
	s_or_b32 exec_lo, exec_lo, s0
	s_and_saveexec_b32 s0, vcc_lo
	s_cbranch_execnz .LBB187_158
.LBB187_101:
	s_wait_alu 0xfffe
	s_or_b32 exec_lo, exec_lo, s0
	s_and_saveexec_b32 s0, vcc_lo
	s_cbranch_execnz .LBB187_159
.LBB187_102:
	s_wait_alu 0xfffe
	s_or_b32 exec_lo, exec_lo, s0
	s_and_saveexec_b32 s0, vcc_lo
	s_cbranch_execnz .LBB187_160
.LBB187_103:
	s_wait_alu 0xfffe
	s_or_b32 exec_lo, exec_lo, s0
	s_and_saveexec_b32 s0, vcc_lo
	s_cbranch_execnz .LBB187_161
.LBB187_104:
	s_wait_alu 0xfffe
	s_or_b32 exec_lo, exec_lo, s0
	s_and_saveexec_b32 s0, vcc_lo
	s_cbranch_execz .LBB187_106
.LBB187_105:
	ds_load_b32 v26, v24 offset:736
	s_wait_dscnt 0x0
	v_add_f32_e32 v2, v2, v26
.LBB187_106:
	s_wait_alu 0xfffe
	s_or_b32 exec_lo, exec_lo, s0
.LBB187_107:
	s_wait_alu 0xfffe
	s_or_b32 exec_lo, exec_lo, s1
	v_and_b32_e32 v26, 0x3e3, v148
	s_mov_b32 s1, exec_lo
	s_wait_loadcnt 0x0
	s_barrier_signal -1
	s_barrier_wait -1
	global_inv scope:SCOPE_SE
	v_cmpx_eq_u32_e32 32, v26
	s_cbranch_execz .LBB187_109
; %bb.108:
	ds_store_2addr_b32 v25, v22, v18 offset1:8
	ds_store_2addr_b32 v25, v17, v16 offset0:16 offset1:24
	ds_store_2addr_b32 v25, v23, v20 offset0:32 offset1:40
	;; [unrolled: 1-line block ×11, first 2 shown]
.LBB187_109:
	s_wait_alu 0xfffe
	s_or_b32 exec_lo, exec_lo, s1
	s_delay_alu instid0(SALU_CYCLE_1)
	s_mov_b32 s1, exec_lo
	s_wait_loadcnt_dscnt 0x0
	s_barrier_signal -1
	s_barrier_wait -1
	global_inv scope:SCOPE_SE
	v_cmpx_gt_u32_e32 32, v148
	s_cbranch_execz .LBB187_136
; %bb.110:
	s_and_saveexec_b32 s0, vcc_lo
	s_cbranch_execnz .LBB187_162
; %bb.111:
	s_wait_alu 0xfffe
	s_or_b32 exec_lo, exec_lo, s0
	s_and_saveexec_b32 s0, vcc_lo
	s_cbranch_execnz .LBB187_163
.LBB187_112:
	s_wait_alu 0xfffe
	s_or_b32 exec_lo, exec_lo, s0
	s_and_saveexec_b32 s0, vcc_lo
	s_cbranch_execnz .LBB187_164
.LBB187_113:
	s_wait_alu 0xfffe
	s_or_b32 exec_lo, exec_lo, s0
	s_and_saveexec_b32 s0, vcc_lo
	s_cbranch_execnz .LBB187_165
.LBB187_114:
	s_wait_alu 0xfffe
	s_or_b32 exec_lo, exec_lo, s0
	s_and_saveexec_b32 s0, vcc_lo
	s_cbranch_execnz .LBB187_166
.LBB187_115:
	s_wait_alu 0xfffe
	s_or_b32 exec_lo, exec_lo, s0
	s_and_saveexec_b32 s0, vcc_lo
	s_cbranch_execnz .LBB187_167
.LBB187_116:
	s_wait_alu 0xfffe
	s_or_b32 exec_lo, exec_lo, s0
	s_and_saveexec_b32 s0, vcc_lo
	s_cbranch_execnz .LBB187_168
.LBB187_117:
	s_wait_alu 0xfffe
	s_or_b32 exec_lo, exec_lo, s0
	s_and_saveexec_b32 s0, vcc_lo
	s_cbranch_execnz .LBB187_169
.LBB187_118:
	s_wait_alu 0xfffe
	s_or_b32 exec_lo, exec_lo, s0
	s_and_saveexec_b32 s0, vcc_lo
	s_cbranch_execnz .LBB187_170
.LBB187_119:
	s_wait_alu 0xfffe
	s_or_b32 exec_lo, exec_lo, s0
	s_and_saveexec_b32 s0, vcc_lo
	s_cbranch_execnz .LBB187_171
.LBB187_120:
	s_wait_alu 0xfffe
	s_or_b32 exec_lo, exec_lo, s0
	s_and_saveexec_b32 s0, vcc_lo
	s_cbranch_execnz .LBB187_172
.LBB187_121:
	s_wait_alu 0xfffe
	s_or_b32 exec_lo, exec_lo, s0
	s_and_saveexec_b32 s0, vcc_lo
	s_cbranch_execnz .LBB187_173
.LBB187_122:
	s_wait_alu 0xfffe
	s_or_b32 exec_lo, exec_lo, s0
	s_and_saveexec_b32 s0, vcc_lo
	s_cbranch_execnz .LBB187_174
.LBB187_123:
	s_wait_alu 0xfffe
	s_or_b32 exec_lo, exec_lo, s0
	s_and_saveexec_b32 s0, vcc_lo
	s_cbranch_execnz .LBB187_175
.LBB187_124:
	s_wait_alu 0xfffe
	s_or_b32 exec_lo, exec_lo, s0
	s_and_saveexec_b32 s0, vcc_lo
	s_cbranch_execnz .LBB187_176
.LBB187_125:
	s_wait_alu 0xfffe
	s_or_b32 exec_lo, exec_lo, s0
	s_and_saveexec_b32 s0, vcc_lo
	s_cbranch_execnz .LBB187_177
.LBB187_126:
	s_wait_alu 0xfffe
	s_or_b32 exec_lo, exec_lo, s0
	s_and_saveexec_b32 s0, vcc_lo
	s_cbranch_execnz .LBB187_178
.LBB187_127:
	s_wait_alu 0xfffe
	s_or_b32 exec_lo, exec_lo, s0
	s_and_saveexec_b32 s0, vcc_lo
	s_cbranch_execnz .LBB187_179
.LBB187_128:
	s_wait_alu 0xfffe
	s_or_b32 exec_lo, exec_lo, s0
	s_and_saveexec_b32 s0, vcc_lo
	s_cbranch_execnz .LBB187_180
.LBB187_129:
	s_wait_alu 0xfffe
	s_or_b32 exec_lo, exec_lo, s0
	s_and_saveexec_b32 s0, vcc_lo
	s_cbranch_execnz .LBB187_181
.LBB187_130:
	s_wait_alu 0xfffe
	s_or_b32 exec_lo, exec_lo, s0
	s_and_saveexec_b32 s0, vcc_lo
	s_cbranch_execnz .LBB187_182
.LBB187_131:
	s_wait_alu 0xfffe
	s_or_b32 exec_lo, exec_lo, s0
	s_and_saveexec_b32 s0, vcc_lo
	s_cbranch_execnz .LBB187_183
.LBB187_132:
	s_wait_alu 0xfffe
	s_or_b32 exec_lo, exec_lo, s0
	s_and_saveexec_b32 s0, vcc_lo
	s_cbranch_execnz .LBB187_184
.LBB187_133:
	s_wait_alu 0xfffe
	s_or_b32 exec_lo, exec_lo, s0
	s_and_saveexec_b32 s0, vcc_lo
	s_cbranch_execz .LBB187_135
.LBB187_134:
	ds_load_b32 v24, v24 offset:736
	s_wait_dscnt 0x0
	v_add_f32_e32 v2, v2, v24
.LBB187_135:
	s_wait_alu 0xfffe
	s_or_b32 exec_lo, exec_lo, s0
.LBB187_136:
	s_wait_alu 0xfffe
	s_or_b32 exec_lo, exec_lo, s1
	s_mov_b32 s1, 0
	s_wait_loadcnt 0x0
	s_barrier_signal -1
	s_barrier_wait -1
	global_inv scope:SCOPE_SE
	s_mov_b32 s0, exec_lo
	v_cmpx_eq_u32_e32 0, v26
	s_cbranch_execz .LBB187_138
; %bb.137:
	v_bfe_u32 v24, v22, 16, 1
	v_bfe_u32 v25, v18, 16, 1
	v_or_b32_e32 v27, 0x400000, v22
	v_cmp_u_f32_e32 vcc_lo, v22, v22
	v_or_b32_e32 v28, 0x400000, v18
	v_add3_u32 v24, v24, v22, 0x7fff
	v_add3_u32 v25, v25, v18, 0x7fff
	v_bfe_u32 v29, v17, 16, 1
	v_or_b32_e32 v30, 0x400000, v19
	s_mul_i32 s2, s14, 0xc0
	s_wait_alu 0xfffd
	v_cndmask_b32_e32 v22, v24, v27, vcc_lo
	v_cmp_u_f32_e32 vcc_lo, v18, v18
	v_bfe_u32 v24, v16, 16, 1
	v_or_b32_e32 v27, 0x400000, v17
	s_wait_kmcnt 0x0
	s_mul_i32 s4, s8, s12
	s_wait_alu 0xfffe
	s_ashr_i32 s3, s2, 31
	s_wait_alu 0xfffd
	v_cndmask_b32_e32 v18, v25, v28, vcc_lo
	v_add3_u32 v25, v29, v17, 0x7fff
	v_cmp_u_f32_e32 vcc_lo, v17, v17
	v_bfe_u32 v28, v23, 16, 1
	v_add3_u32 v24, v24, v16, 0x7fff
	v_or_b32_e32 v29, 0x400000, v16
	s_ashr_i32 s5, s4, 31
	s_wait_alu 0xfffd
	v_cndmask_b32_e32 v17, v25, v27, vcc_lo
	v_cmp_u_f32_e32 vcc_lo, v16, v16
	v_add3_u32 v25, v28, v23, 0x7fff
	v_or_b32_e32 v27, 0x400000, v23
	v_bfe_u32 v28, v21, 16, 1
	s_wait_alu 0xfffe
	s_lshl_b64 s[2:3], s[2:3], 1
	s_wait_alu 0xfffd
	v_cndmask_b32_e32 v16, v24, v29, vcc_lo
	v_bfe_u32 v24, v20, 16, 1
	v_cmp_u_f32_e32 vcc_lo, v23, v23
	v_add3_u32 v28, v28, v21, 0x7fff
	v_or_b32_e32 v29, 0x400000, v21
	s_lshl_b64 s[4:5], s[4:5], 1
	v_add3_u32 v24, v24, v20, 0x7fff
	s_wait_alu 0xfffd
	v_cndmask_b32_e32 v23, v25, v27, vcc_lo
	v_or_b32_e32 v27, 0x400000, v20
	v_cmp_u_f32_e32 vcc_lo, v20, v20
	v_bfe_u32 v25, v19, 16, 1
	s_wait_alu 0xfffe
	s_add_nc_u64 s[2:3], s[10:11], s[2:3]
	v_lshrrev_b32_e32 v26, 1, v148
	s_wait_alu 0xfffe
	s_add_nc_u64 s[2:3], s[2:3], s[4:5]
	s_wait_alu 0xfffd
	v_cndmask_b32_e32 v20, v24, v27, vcc_lo
	v_cmp_u_f32_e32 vcc_lo, v21, v21
	v_add3_u32 v25, v25, v19, 0x7fff
	v_bfe_u32 v24, v15, 16, 1
	s_mul_i32 s0, s24, 0x180
	s_wait_alu 0xfffd
	v_cndmask_b32_e32 v21, v28, v29, vcc_lo
	v_cmp_u_f32_e32 vcc_lo, v19, v19
	s_wait_alu 0xfffe
	s_add_nc_u64 s[0:1], s[2:3], s[0:1]
	s_wait_alu 0xfffd
	v_cndmask_b32_e32 v19, v25, v30, vcc_lo
	v_bfe_u32 v25, v14, 16, 1
	s_clause 0x7
	global_store_d16_hi_b16 v26, v22, s[0:1]
	global_store_d16_hi_b16 v26, v18, s[0:1] offset:16
	global_store_d16_hi_b16 v26, v17, s[0:1] offset:32
	;; [unrolled: 1-line block ×7, first 2 shown]
	v_add3_u32 v16, v24, v15, 0x7fff
	v_or_b32_e32 v17, 0x400000, v15
	v_cmp_u_f32_e32 vcc_lo, v15, v15
	v_add3_u32 v18, v25, v14, 0x7fff
	v_or_b32_e32 v19, 0x400000, v14
	v_bfe_u32 v20, v13, 16, 1
	v_or_b32_e32 v21, 0x400000, v8
	s_wait_alu 0xfffd
	v_cndmask_b32_e32 v15, v16, v17, vcc_lo
	v_cmp_u_f32_e32 vcc_lo, v14, v14
	v_bfe_u32 v16, v12, 16, 1
	v_add3_u32 v17, v20, v13, 0x7fff
	v_or_b32_e32 v20, 0x400000, v12
	s_wait_alu 0xfffd
	v_cndmask_b32_e32 v14, v18, v19, vcc_lo
	v_or_b32_e32 v18, 0x400000, v13
	v_cmp_u_f32_e32 vcc_lo, v13, v13
	v_bfe_u32 v19, v11, 16, 1
	v_add3_u32 v16, v16, v12, 0x7fff
	s_wait_alu 0xfffd
	v_cndmask_b32_e32 v13, v17, v18, vcc_lo
	v_cmp_u_f32_e32 vcc_lo, v12, v12
	v_add3_u32 v17, v19, v11, 0x7fff
	v_or_b32_e32 v18, 0x400000, v11
	v_bfe_u32 v19, v9, 16, 1
	s_wait_alu 0xfffd
	v_cndmask_b32_e32 v12, v16, v20, vcc_lo
	v_bfe_u32 v16, v10, 16, 1
	v_cmp_u_f32_e32 vcc_lo, v11, v11
	v_add3_u32 v19, v19, v9, 0x7fff
	v_or_b32_e32 v20, 0x400000, v9
	s_delay_alu instid0(VALU_DEP_4)
	v_add3_u32 v16, v16, v10, 0x7fff
	s_wait_alu 0xfffd
	v_cndmask_b32_e32 v11, v17, v18, vcc_lo
	v_or_b32_e32 v18, 0x400000, v10
	v_cmp_u_f32_e32 vcc_lo, v10, v10
	v_bfe_u32 v17, v8, 16, 1
	s_wait_alu 0xfffd
	s_delay_alu instid0(VALU_DEP_3) | instskip(SKIP_1) | instid1(VALU_DEP_3)
	v_cndmask_b32_e32 v10, v16, v18, vcc_lo
	v_cmp_u_f32_e32 vcc_lo, v9, v9
	v_add3_u32 v17, v17, v8, 0x7fff
	v_bfe_u32 v16, v7, 16, 1
	s_wait_alu 0xfffd
	v_cndmask_b32_e32 v9, v19, v20, vcc_lo
	v_cmp_u_f32_e32 vcc_lo, v8, v8
	s_wait_alu 0xfffd
	v_cndmask_b32_e32 v8, v17, v21, vcc_lo
	v_bfe_u32 v17, v6, 16, 1
	s_clause 0x7
	global_store_d16_hi_b16 v26, v15, s[0:1] offset:128
	global_store_d16_hi_b16 v26, v14, s[0:1] offset:144
	;; [unrolled: 1-line block ×8, first 2 shown]
	v_add3_u32 v8, v16, v7, 0x7fff
	v_or_b32_e32 v9, 0x400000, v7
	v_cmp_u_f32_e32 vcc_lo, v7, v7
	v_add3_u32 v10, v17, v6, 0x7fff
	v_or_b32_e32 v11, 0x400000, v6
	v_bfe_u32 v12, v5, 16, 1
	v_or_b32_e32 v13, 0x400000, v2
	s_wait_alu 0xfffd
	v_cndmask_b32_e32 v7, v8, v9, vcc_lo
	v_cmp_u_f32_e32 vcc_lo, v6, v6
	v_bfe_u32 v8, v4, 16, 1
	v_add3_u32 v9, v12, v5, 0x7fff
	v_or_b32_e32 v12, 0x400000, v4
	s_wait_alu 0xfffd
	v_cndmask_b32_e32 v6, v10, v11, vcc_lo
	v_or_b32_e32 v10, 0x400000, v5
	v_cmp_u_f32_e32 vcc_lo, v5, v5
	v_bfe_u32 v11, v3, 16, 1
	v_add3_u32 v8, v8, v4, 0x7fff
	s_wait_alu 0xfffd
	v_cndmask_b32_e32 v5, v9, v10, vcc_lo
	v_cmp_u_f32_e32 vcc_lo, v4, v4
	v_add3_u32 v9, v11, v3, 0x7fff
	v_or_b32_e32 v10, 0x400000, v3
	v_bfe_u32 v11, v1, 16, 1
	s_wait_alu 0xfffd
	v_cndmask_b32_e32 v4, v8, v12, vcc_lo
	v_bfe_u32 v8, v0, 16, 1
	v_cmp_u_f32_e32 vcc_lo, v3, v3
	v_add3_u32 v11, v11, v1, 0x7fff
	v_or_b32_e32 v12, 0x400000, v1
	s_delay_alu instid0(VALU_DEP_4)
	v_add3_u32 v8, v8, v0, 0x7fff
	s_wait_alu 0xfffd
	v_cndmask_b32_e32 v3, v9, v10, vcc_lo
	v_or_b32_e32 v10, 0x400000, v0
	v_cmp_u_f32_e32 vcc_lo, v0, v0
	v_bfe_u32 v9, v2, 16, 1
	s_wait_alu 0xfffd
	s_delay_alu instid0(VALU_DEP_3) | instskip(SKIP_1) | instid1(VALU_DEP_3)
	v_cndmask_b32_e32 v0, v8, v10, vcc_lo
	v_cmp_u_f32_e32 vcc_lo, v1, v1
	v_add3_u32 v9, v9, v2, 0x7fff
	s_wait_alu 0xfffd
	v_cndmask_b32_e32 v1, v11, v12, vcc_lo
	v_cmp_u_f32_e32 vcc_lo, v2, v2
	s_wait_alu 0xfffd
	v_cndmask_b32_e32 v2, v9, v13, vcc_lo
	s_clause 0x7
	global_store_d16_hi_b16 v26, v7, s[0:1] offset:256
	global_store_d16_hi_b16 v26, v6, s[0:1] offset:272
	;; [unrolled: 1-line block ×8, first 2 shown]
.LBB187_138:
	s_nop 0
	s_sendmsg sendmsg(MSG_DEALLOC_VGPRS)
	s_endpgm
.LBB187_139:
	ds_load_b32 v26, v24
	s_wait_dscnt 0x0
	v_add_f32_e32 v22, v22, v26
	s_wait_alu 0xfffe
	s_or_b32 exec_lo, exec_lo, s0
	s_and_saveexec_b32 s0, vcc_lo
	s_cbranch_execz .LBB187_83
.LBB187_140:
	ds_load_b32 v26, v24 offset:32
	s_wait_dscnt 0x0
	v_add_f32_e32 v18, v18, v26
	s_wait_alu 0xfffe
	s_or_b32 exec_lo, exec_lo, s0
	s_and_saveexec_b32 s0, vcc_lo
	s_cbranch_execz .LBB187_84
.LBB187_141:
	ds_load_b32 v26, v24 offset:64
	s_wait_dscnt 0x0
	v_add_f32_e32 v17, v17, v26
	s_wait_alu 0xfffe
	s_or_b32 exec_lo, exec_lo, s0
	s_and_saveexec_b32 s0, vcc_lo
	s_cbranch_execz .LBB187_85
.LBB187_142:
	ds_load_b32 v26, v24 offset:96
	s_wait_dscnt 0x0
	v_add_f32_e32 v16, v16, v26
	s_wait_alu 0xfffe
	s_or_b32 exec_lo, exec_lo, s0
	s_and_saveexec_b32 s0, vcc_lo
	s_cbranch_execz .LBB187_86
.LBB187_143:
	ds_load_b32 v26, v24 offset:128
	s_wait_dscnt 0x0
	v_add_f32_e32 v23, v23, v26
	s_wait_alu 0xfffe
	s_or_b32 exec_lo, exec_lo, s0
	s_and_saveexec_b32 s0, vcc_lo
	s_cbranch_execz .LBB187_87
.LBB187_144:
	ds_load_b32 v26, v24 offset:160
	s_wait_dscnt 0x0
	v_add_f32_e32 v20, v20, v26
	s_wait_alu 0xfffe
	s_or_b32 exec_lo, exec_lo, s0
	s_and_saveexec_b32 s0, vcc_lo
	s_cbranch_execz .LBB187_88
.LBB187_145:
	ds_load_b32 v26, v24 offset:192
	s_wait_dscnt 0x0
	v_add_f32_e32 v21, v21, v26
	s_wait_alu 0xfffe
	s_or_b32 exec_lo, exec_lo, s0
	s_and_saveexec_b32 s0, vcc_lo
	s_cbranch_execz .LBB187_89
.LBB187_146:
	ds_load_b32 v26, v24 offset:224
	s_wait_dscnt 0x0
	v_add_f32_e32 v19, v19, v26
	s_wait_alu 0xfffe
	s_or_b32 exec_lo, exec_lo, s0
	s_and_saveexec_b32 s0, vcc_lo
	s_cbranch_execz .LBB187_90
.LBB187_147:
	ds_load_b32 v26, v24 offset:256
	s_wait_dscnt 0x0
	v_add_f32_e32 v15, v15, v26
	s_wait_alu 0xfffe
	s_or_b32 exec_lo, exec_lo, s0
	s_and_saveexec_b32 s0, vcc_lo
	s_cbranch_execz .LBB187_91
.LBB187_148:
	ds_load_b32 v26, v24 offset:288
	s_wait_dscnt 0x0
	v_add_f32_e32 v14, v14, v26
	s_wait_alu 0xfffe
	s_or_b32 exec_lo, exec_lo, s0
	s_and_saveexec_b32 s0, vcc_lo
	s_cbranch_execz .LBB187_92
.LBB187_149:
	ds_load_b32 v26, v24 offset:320
	s_wait_dscnt 0x0
	v_add_f32_e32 v13, v13, v26
	s_wait_alu 0xfffe
	s_or_b32 exec_lo, exec_lo, s0
	s_and_saveexec_b32 s0, vcc_lo
	s_cbranch_execz .LBB187_93
.LBB187_150:
	ds_load_b32 v26, v24 offset:352
	s_wait_dscnt 0x0
	v_add_f32_e32 v12, v12, v26
	s_wait_alu 0xfffe
	s_or_b32 exec_lo, exec_lo, s0
	s_and_saveexec_b32 s0, vcc_lo
	s_cbranch_execz .LBB187_94
.LBB187_151:
	ds_load_b32 v26, v24 offset:384
	s_wait_dscnt 0x0
	v_add_f32_e32 v11, v11, v26
	s_wait_alu 0xfffe
	s_or_b32 exec_lo, exec_lo, s0
	s_and_saveexec_b32 s0, vcc_lo
	s_cbranch_execz .LBB187_95
.LBB187_152:
	ds_load_b32 v26, v24 offset:416
	s_wait_dscnt 0x0
	v_add_f32_e32 v10, v10, v26
	s_wait_alu 0xfffe
	s_or_b32 exec_lo, exec_lo, s0
	s_and_saveexec_b32 s0, vcc_lo
	s_cbranch_execz .LBB187_96
.LBB187_153:
	ds_load_b32 v26, v24 offset:448
	s_wait_dscnt 0x0
	v_add_f32_e32 v9, v9, v26
	s_wait_alu 0xfffe
	s_or_b32 exec_lo, exec_lo, s0
	s_and_saveexec_b32 s0, vcc_lo
	s_cbranch_execz .LBB187_97
.LBB187_154:
	ds_load_b32 v26, v24 offset:480
	s_wait_dscnt 0x0
	v_add_f32_e32 v8, v8, v26
	s_wait_alu 0xfffe
	s_or_b32 exec_lo, exec_lo, s0
	s_and_saveexec_b32 s0, vcc_lo
	s_cbranch_execz .LBB187_98
.LBB187_155:
	ds_load_b32 v26, v24 offset:512
	s_wait_dscnt 0x0
	v_add_f32_e32 v7, v7, v26
	s_wait_alu 0xfffe
	s_or_b32 exec_lo, exec_lo, s0
	s_and_saveexec_b32 s0, vcc_lo
	s_cbranch_execz .LBB187_99
.LBB187_156:
	ds_load_b32 v26, v24 offset:544
	s_wait_dscnt 0x0
	v_add_f32_e32 v6, v6, v26
	s_wait_alu 0xfffe
	s_or_b32 exec_lo, exec_lo, s0
	s_and_saveexec_b32 s0, vcc_lo
	s_cbranch_execz .LBB187_100
.LBB187_157:
	ds_load_b32 v26, v24 offset:576
	s_wait_dscnt 0x0
	v_add_f32_e32 v5, v5, v26
	s_wait_alu 0xfffe
	s_or_b32 exec_lo, exec_lo, s0
	s_and_saveexec_b32 s0, vcc_lo
	s_cbranch_execz .LBB187_101
.LBB187_158:
	ds_load_b32 v26, v24 offset:608
	s_wait_dscnt 0x0
	v_add_f32_e32 v4, v4, v26
	s_wait_alu 0xfffe
	s_or_b32 exec_lo, exec_lo, s0
	s_and_saveexec_b32 s0, vcc_lo
	s_cbranch_execz .LBB187_102
.LBB187_159:
	ds_load_b32 v26, v24 offset:640
	s_wait_dscnt 0x0
	v_add_f32_e32 v3, v3, v26
	s_wait_alu 0xfffe
	s_or_b32 exec_lo, exec_lo, s0
	s_and_saveexec_b32 s0, vcc_lo
	s_cbranch_execz .LBB187_103
.LBB187_160:
	ds_load_b32 v26, v24 offset:672
	s_wait_dscnt 0x0
	v_add_f32_e32 v0, v0, v26
	s_wait_alu 0xfffe
	s_or_b32 exec_lo, exec_lo, s0
	s_and_saveexec_b32 s0, vcc_lo
	s_cbranch_execz .LBB187_104
.LBB187_161:
	ds_load_b32 v26, v24 offset:704
	s_wait_dscnt 0x0
	v_add_f32_e32 v1, v1, v26
	s_wait_alu 0xfffe
	s_or_b32 exec_lo, exec_lo, s0
	s_and_saveexec_b32 s0, vcc_lo
	s_cbranch_execnz .LBB187_105
	s_branch .LBB187_106
.LBB187_162:
	ds_load_b32 v25, v24
	s_wait_dscnt 0x0
	v_add_f32_e32 v22, v22, v25
	s_wait_alu 0xfffe
	s_or_b32 exec_lo, exec_lo, s0
	s_and_saveexec_b32 s0, vcc_lo
	s_cbranch_execz .LBB187_112
.LBB187_163:
	ds_load_b32 v25, v24 offset:32
	s_wait_dscnt 0x0
	v_add_f32_e32 v18, v18, v25
	s_wait_alu 0xfffe
	s_or_b32 exec_lo, exec_lo, s0
	s_and_saveexec_b32 s0, vcc_lo
	s_cbranch_execz .LBB187_113
.LBB187_164:
	ds_load_b32 v25, v24 offset:64
	s_wait_dscnt 0x0
	v_add_f32_e32 v17, v17, v25
	s_wait_alu 0xfffe
	s_or_b32 exec_lo, exec_lo, s0
	s_and_saveexec_b32 s0, vcc_lo
	s_cbranch_execz .LBB187_114
.LBB187_165:
	ds_load_b32 v25, v24 offset:96
	s_wait_dscnt 0x0
	v_add_f32_e32 v16, v16, v25
	s_wait_alu 0xfffe
	s_or_b32 exec_lo, exec_lo, s0
	s_and_saveexec_b32 s0, vcc_lo
	s_cbranch_execz .LBB187_115
.LBB187_166:
	ds_load_b32 v25, v24 offset:128
	s_wait_dscnt 0x0
	v_add_f32_e32 v23, v23, v25
	s_wait_alu 0xfffe
	s_or_b32 exec_lo, exec_lo, s0
	s_and_saveexec_b32 s0, vcc_lo
	s_cbranch_execz .LBB187_116
.LBB187_167:
	ds_load_b32 v25, v24 offset:160
	s_wait_dscnt 0x0
	v_add_f32_e32 v20, v20, v25
	s_wait_alu 0xfffe
	s_or_b32 exec_lo, exec_lo, s0
	s_and_saveexec_b32 s0, vcc_lo
	s_cbranch_execz .LBB187_117
.LBB187_168:
	ds_load_b32 v25, v24 offset:192
	s_wait_dscnt 0x0
	v_add_f32_e32 v21, v21, v25
	s_wait_alu 0xfffe
	s_or_b32 exec_lo, exec_lo, s0
	s_and_saveexec_b32 s0, vcc_lo
	s_cbranch_execz .LBB187_118
.LBB187_169:
	ds_load_b32 v25, v24 offset:224
	s_wait_dscnt 0x0
	v_add_f32_e32 v19, v19, v25
	s_wait_alu 0xfffe
	s_or_b32 exec_lo, exec_lo, s0
	s_and_saveexec_b32 s0, vcc_lo
	s_cbranch_execz .LBB187_119
.LBB187_170:
	ds_load_b32 v25, v24 offset:256
	s_wait_dscnt 0x0
	v_add_f32_e32 v15, v15, v25
	s_wait_alu 0xfffe
	s_or_b32 exec_lo, exec_lo, s0
	s_and_saveexec_b32 s0, vcc_lo
	s_cbranch_execz .LBB187_120
.LBB187_171:
	ds_load_b32 v25, v24 offset:288
	s_wait_dscnt 0x0
	v_add_f32_e32 v14, v14, v25
	s_wait_alu 0xfffe
	s_or_b32 exec_lo, exec_lo, s0
	s_and_saveexec_b32 s0, vcc_lo
	s_cbranch_execz .LBB187_121
.LBB187_172:
	ds_load_b32 v25, v24 offset:320
	s_wait_dscnt 0x0
	v_add_f32_e32 v13, v13, v25
	s_wait_alu 0xfffe
	s_or_b32 exec_lo, exec_lo, s0
	s_and_saveexec_b32 s0, vcc_lo
	s_cbranch_execz .LBB187_122
.LBB187_173:
	ds_load_b32 v25, v24 offset:352
	s_wait_dscnt 0x0
	v_add_f32_e32 v12, v12, v25
	s_wait_alu 0xfffe
	s_or_b32 exec_lo, exec_lo, s0
	s_and_saveexec_b32 s0, vcc_lo
	s_cbranch_execz .LBB187_123
.LBB187_174:
	ds_load_b32 v25, v24 offset:384
	s_wait_dscnt 0x0
	v_add_f32_e32 v11, v11, v25
	s_wait_alu 0xfffe
	s_or_b32 exec_lo, exec_lo, s0
	s_and_saveexec_b32 s0, vcc_lo
	s_cbranch_execz .LBB187_124
.LBB187_175:
	ds_load_b32 v25, v24 offset:416
	s_wait_dscnt 0x0
	v_add_f32_e32 v10, v10, v25
	s_wait_alu 0xfffe
	s_or_b32 exec_lo, exec_lo, s0
	s_and_saveexec_b32 s0, vcc_lo
	s_cbranch_execz .LBB187_125
.LBB187_176:
	ds_load_b32 v25, v24 offset:448
	s_wait_dscnt 0x0
	v_add_f32_e32 v9, v9, v25
	s_wait_alu 0xfffe
	s_or_b32 exec_lo, exec_lo, s0
	s_and_saveexec_b32 s0, vcc_lo
	s_cbranch_execz .LBB187_126
.LBB187_177:
	ds_load_b32 v25, v24 offset:480
	s_wait_dscnt 0x0
	v_add_f32_e32 v8, v8, v25
	s_wait_alu 0xfffe
	s_or_b32 exec_lo, exec_lo, s0
	s_and_saveexec_b32 s0, vcc_lo
	s_cbranch_execz .LBB187_127
.LBB187_178:
	ds_load_b32 v25, v24 offset:512
	s_wait_dscnt 0x0
	v_add_f32_e32 v7, v7, v25
	s_wait_alu 0xfffe
	s_or_b32 exec_lo, exec_lo, s0
	s_and_saveexec_b32 s0, vcc_lo
	s_cbranch_execz .LBB187_128
.LBB187_179:
	ds_load_b32 v25, v24 offset:544
	s_wait_dscnt 0x0
	v_add_f32_e32 v6, v6, v25
	s_wait_alu 0xfffe
	s_or_b32 exec_lo, exec_lo, s0
	s_and_saveexec_b32 s0, vcc_lo
	s_cbranch_execz .LBB187_129
.LBB187_180:
	ds_load_b32 v25, v24 offset:576
	s_wait_dscnt 0x0
	v_add_f32_e32 v5, v5, v25
	s_wait_alu 0xfffe
	s_or_b32 exec_lo, exec_lo, s0
	s_and_saveexec_b32 s0, vcc_lo
	s_cbranch_execz .LBB187_130
.LBB187_181:
	ds_load_b32 v25, v24 offset:608
	s_wait_dscnt 0x0
	v_add_f32_e32 v4, v4, v25
	s_wait_alu 0xfffe
	s_or_b32 exec_lo, exec_lo, s0
	s_and_saveexec_b32 s0, vcc_lo
	s_cbranch_execz .LBB187_131
.LBB187_182:
	ds_load_b32 v25, v24 offset:640
	s_wait_dscnt 0x0
	v_add_f32_e32 v3, v3, v25
	s_wait_alu 0xfffe
	s_or_b32 exec_lo, exec_lo, s0
	s_and_saveexec_b32 s0, vcc_lo
	s_cbranch_execz .LBB187_132
.LBB187_183:
	ds_load_b32 v25, v24 offset:672
	s_wait_dscnt 0x0
	v_add_f32_e32 v0, v0, v25
	s_wait_alu 0xfffe
	s_or_b32 exec_lo, exec_lo, s0
	s_and_saveexec_b32 s0, vcc_lo
	s_cbranch_execz .LBB187_133
.LBB187_184:
	ds_load_b32 v25, v24 offset:704
	s_wait_dscnt 0x0
	v_add_f32_e32 v1, v1, v25
	s_wait_alu 0xfffe
	s_or_b32 exec_lo, exec_lo, s0
	s_and_saveexec_b32 s0, vcc_lo
	s_cbranch_execnz .LBB187_134
	s_branch .LBB187_135
	.section	.rodata,"a",@progbits
	.p2align	6, 0x0
	.amdhsa_kernel _ZN4vllm25paged_attention_v2_kernelI14__hip_bfloat16S1_Li192ELi32ELi128ELNS_18Fp8KVCacheDataTypeE0ELb0ELi512EEEvPfS3_PT_PKS4_PKT0_SA_ifPKiSC_iPKfiiiSE_SE_iiiii
		.amdhsa_group_segment_fixed_size 416
		.amdhsa_private_segment_fixed_size 332
		.amdhsa_kernarg_size 400
		.amdhsa_user_sgpr_count 2
		.amdhsa_user_sgpr_dispatch_ptr 0
		.amdhsa_user_sgpr_queue_ptr 0
		.amdhsa_user_sgpr_kernarg_segment_ptr 1
		.amdhsa_user_sgpr_dispatch_id 0
		.amdhsa_user_sgpr_private_segment_size 0
		.amdhsa_wavefront_size32 1
		.amdhsa_uses_dynamic_stack 0
		.amdhsa_enable_private_segment 1
		.amdhsa_system_sgpr_workgroup_id_x 1
		.amdhsa_system_sgpr_workgroup_id_y 1
		.amdhsa_system_sgpr_workgroup_id_z 1
		.amdhsa_system_sgpr_workgroup_info 0
		.amdhsa_system_vgpr_workitem_id 0
		.amdhsa_next_free_vgpr 192
		.amdhsa_next_free_sgpr 32
		.amdhsa_reserve_vcc 1
		.amdhsa_float_round_mode_32 0
		.amdhsa_float_round_mode_16_64 0
		.amdhsa_float_denorm_mode_32 3
		.amdhsa_float_denorm_mode_16_64 3
		.amdhsa_fp16_overflow 0
		.amdhsa_workgroup_processor_mode 1
		.amdhsa_memory_ordered 1
		.amdhsa_forward_progress 1
		.amdhsa_inst_pref_size 255
		.amdhsa_round_robin_scheduling 0
		.amdhsa_exception_fp_ieee_invalid_op 0
		.amdhsa_exception_fp_denorm_src 0
		.amdhsa_exception_fp_ieee_div_zero 0
		.amdhsa_exception_fp_ieee_overflow 0
		.amdhsa_exception_fp_ieee_underflow 0
		.amdhsa_exception_fp_ieee_inexact 0
		.amdhsa_exception_int_div_zero 0
	.end_amdhsa_kernel
	.section	.text._ZN4vllm25paged_attention_v2_kernelI14__hip_bfloat16S1_Li192ELi32ELi128ELNS_18Fp8KVCacheDataTypeE0ELb0ELi512EEEvPfS3_PT_PKS4_PKT0_SA_ifPKiSC_iPKfiiiSE_SE_iiiii,"axG",@progbits,_ZN4vllm25paged_attention_v2_kernelI14__hip_bfloat16S1_Li192ELi32ELi128ELNS_18Fp8KVCacheDataTypeE0ELb0ELi512EEEvPfS3_PT_PKS4_PKT0_SA_ifPKiSC_iPKfiiiSE_SE_iiiii,comdat
.Lfunc_end187:
	.size	_ZN4vllm25paged_attention_v2_kernelI14__hip_bfloat16S1_Li192ELi32ELi128ELNS_18Fp8KVCacheDataTypeE0ELb0ELi512EEEvPfS3_PT_PKS4_PKT0_SA_ifPKiSC_iPKfiiiSE_SE_iiiii, .Lfunc_end187-_ZN4vllm25paged_attention_v2_kernelI14__hip_bfloat16S1_Li192ELi32ELi128ELNS_18Fp8KVCacheDataTypeE0ELb0ELi512EEEvPfS3_PT_PKS4_PKT0_SA_ifPKiSC_iPKfiiiSE_SE_iiiii
                                        ; -- End function
	.set _ZN4vllm25paged_attention_v2_kernelI14__hip_bfloat16S1_Li192ELi32ELi128ELNS_18Fp8KVCacheDataTypeE0ELb0ELi512EEEvPfS3_PT_PKS4_PKT0_SA_ifPKiSC_iPKfiiiSE_SE_iiiii.num_vgpr, 192
	.set _ZN4vllm25paged_attention_v2_kernelI14__hip_bfloat16S1_Li192ELi32ELi128ELNS_18Fp8KVCacheDataTypeE0ELb0ELi512EEEvPfS3_PT_PKS4_PKT0_SA_ifPKiSC_iPKfiiiSE_SE_iiiii.num_agpr, 0
	.set _ZN4vllm25paged_attention_v2_kernelI14__hip_bfloat16S1_Li192ELi32ELi128ELNS_18Fp8KVCacheDataTypeE0ELb0ELi512EEEvPfS3_PT_PKS4_PKT0_SA_ifPKiSC_iPKfiiiSE_SE_iiiii.numbered_sgpr, 32
	.set _ZN4vllm25paged_attention_v2_kernelI14__hip_bfloat16S1_Li192ELi32ELi128ELNS_18Fp8KVCacheDataTypeE0ELb0ELi512EEEvPfS3_PT_PKS4_PKT0_SA_ifPKiSC_iPKfiiiSE_SE_iiiii.num_named_barrier, 0
	.set _ZN4vllm25paged_attention_v2_kernelI14__hip_bfloat16S1_Li192ELi32ELi128ELNS_18Fp8KVCacheDataTypeE0ELb0ELi512EEEvPfS3_PT_PKS4_PKT0_SA_ifPKiSC_iPKfiiiSE_SE_iiiii.private_seg_size, 332
	.set _ZN4vllm25paged_attention_v2_kernelI14__hip_bfloat16S1_Li192ELi32ELi128ELNS_18Fp8KVCacheDataTypeE0ELb0ELi512EEEvPfS3_PT_PKS4_PKT0_SA_ifPKiSC_iPKfiiiSE_SE_iiiii.uses_vcc, 1
	.set _ZN4vllm25paged_attention_v2_kernelI14__hip_bfloat16S1_Li192ELi32ELi128ELNS_18Fp8KVCacheDataTypeE0ELb0ELi512EEEvPfS3_PT_PKS4_PKT0_SA_ifPKiSC_iPKfiiiSE_SE_iiiii.uses_flat_scratch, 1
	.set _ZN4vllm25paged_attention_v2_kernelI14__hip_bfloat16S1_Li192ELi32ELi128ELNS_18Fp8KVCacheDataTypeE0ELb0ELi512EEEvPfS3_PT_PKS4_PKT0_SA_ifPKiSC_iPKfiiiSE_SE_iiiii.has_dyn_sized_stack, 0
	.set _ZN4vllm25paged_attention_v2_kernelI14__hip_bfloat16S1_Li192ELi32ELi128ELNS_18Fp8KVCacheDataTypeE0ELb0ELi512EEEvPfS3_PT_PKS4_PKT0_SA_ifPKiSC_iPKfiiiSE_SE_iiiii.has_recursion, 0
	.set _ZN4vllm25paged_attention_v2_kernelI14__hip_bfloat16S1_Li192ELi32ELi128ELNS_18Fp8KVCacheDataTypeE0ELb0ELi512EEEvPfS3_PT_PKS4_PKT0_SA_ifPKiSC_iPKfiiiSE_SE_iiiii.has_indirect_call, 0
	.section	.AMDGPU.csdata,"",@progbits
; Kernel info:
; codeLenInByte = 34660
; TotalNumSgprs: 34
; NumVgprs: 192
; ScratchSize: 332
; MemoryBound: 0
; FloatMode: 240
; IeeeMode: 1
; LDSByteSize: 416 bytes/workgroup (compile time only)
; SGPRBlocks: 0
; VGPRBlocks: 23
; NumSGPRsForWavesPerEU: 34
; NumVGPRsForWavesPerEU: 192
; Occupancy: 8
; WaveLimiterHint : 1
; COMPUTE_PGM_RSRC2:SCRATCH_EN: 1
; COMPUTE_PGM_RSRC2:USER_SGPR: 2
; COMPUTE_PGM_RSRC2:TRAP_HANDLER: 0
; COMPUTE_PGM_RSRC2:TGID_X_EN: 1
; COMPUTE_PGM_RSRC2:TGID_Y_EN: 1
; COMPUTE_PGM_RSRC2:TGID_Z_EN: 1
; COMPUTE_PGM_RSRC2:TIDIG_COMP_CNT: 0
	.section	.text._ZN4vllm25paged_attention_v2_kernelI14__hip_bfloat16S1_Li256ELi32ELi128ELNS_18Fp8KVCacheDataTypeE0ELb0ELi512EEEvPfS3_PT_PKS4_PKT0_SA_ifPKiSC_iPKfiiiSE_SE_iiiii,"axG",@progbits,_ZN4vllm25paged_attention_v2_kernelI14__hip_bfloat16S1_Li256ELi32ELi128ELNS_18Fp8KVCacheDataTypeE0ELb0ELi512EEEvPfS3_PT_PKS4_PKT0_SA_ifPKiSC_iPKfiiiSE_SE_iiiii,comdat
	.protected	_ZN4vllm25paged_attention_v2_kernelI14__hip_bfloat16S1_Li256ELi32ELi128ELNS_18Fp8KVCacheDataTypeE0ELb0ELi512EEEvPfS3_PT_PKS4_PKT0_SA_ifPKiSC_iPKfiiiSE_SE_iiiii ; -- Begin function _ZN4vllm25paged_attention_v2_kernelI14__hip_bfloat16S1_Li256ELi32ELi128ELNS_18Fp8KVCacheDataTypeE0ELb0ELi512EEEvPfS3_PT_PKS4_PKT0_SA_ifPKiSC_iPKfiiiSE_SE_iiiii
	.globl	_ZN4vllm25paged_attention_v2_kernelI14__hip_bfloat16S1_Li256ELi32ELi128ELNS_18Fp8KVCacheDataTypeE0ELb0ELi512EEEvPfS3_PT_PKS4_PKT0_SA_ifPKiSC_iPKfiiiSE_SE_iiiii
	.p2align	8
	.type	_ZN4vllm25paged_attention_v2_kernelI14__hip_bfloat16S1_Li256ELi32ELi128ELNS_18Fp8KVCacheDataTypeE0ELb0ELi512EEEvPfS3_PT_PKS4_PKT0_SA_ifPKiSC_iPKfiiiSE_SE_iiiii,@function
_ZN4vllm25paged_attention_v2_kernelI14__hip_bfloat16S1_Li256ELi32ELi128ELNS_18Fp8KVCacheDataTypeE0ELb0ELi512EEEvPfS3_PT_PKS4_PKT0_SA_ifPKiSC_iPKfiiiSE_SE_iiiii: ; @_ZN4vllm25paged_attention_v2_kernelI14__hip_bfloat16S1_Li256ELi32ELi128ELNS_18Fp8KVCacheDataTypeE0ELb0ELi512EEEvPfS3_PT_PKS4_PKT0_SA_ifPKiSC_iPKfiiiSE_SE_iiiii
; %bb.0:
	s_load_b64 s[2:3], s[0:1], 0x40
	s_and_b32 s16, ttmp7, 0xffff
	s_lshr_b32 s28, ttmp7, 16
	s_lshl_b32 s4, s16, 2
	s_lshl_b32 s12, s28, 9
	s_wait_kmcnt 0x0
	s_load_b32 s13, s[2:3], s4 offset:0x0
	s_wait_kmcnt 0x0
	s_cmp_ge_i32 s12, s13
	s_cbranch_scc1 .LBB188_170
; %bb.1:
	s_clause 0x1
	s_load_b32 s17, s[0:1], 0x90
	s_load_b64 s[6:7], s[0:1], 0x30
	v_mov_b32_e32 v188, v0
	s_mov_b32 s9, 0
	s_delay_alu instid0(SALU_CYCLE_1) | instskip(SKIP_3) | instid1(SALU_CYCLE_1)
	s_mov_b32 s10, s9
	s_wait_kmcnt 0x0
	s_abs_i32 s5, s17
	s_abs_i32 s2, s6
	s_cvt_f32_u32 s3, s2
	s_sub_co_i32 s4, 0, s2
	s_delay_alu instid0(SALU_CYCLE_2) | instskip(NEXT) | instid1(TRANS32_DEP_1)
	v_rcp_iflag_f32_e32 v0, s3
	v_readfirstlane_b32 s3, v0
	s_mul_f32 s3, s3, 0x4f7ffffe
	s_wait_alu 0xfffe
	s_delay_alu instid0(SALU_CYCLE_2) | instskip(SKIP_1) | instid1(SALU_CYCLE_2)
	s_cvt_u32_f32 s3, s3
	s_wait_alu 0xfffe
	s_mul_i32 s4, s4, s3
	s_delay_alu instid0(SALU_CYCLE_1) | instskip(NEXT) | instid1(SALU_CYCLE_1)
	s_mul_hi_u32 s4, s3, s4
	s_add_co_i32 s3, s3, s4
	s_xor_b32 s4, s17, s6
	s_wait_alu 0xfffe
	s_mul_hi_u32 s3, s5, s3
	s_ashr_i32 s4, s4, 31
	s_wait_alu 0xfffe
	s_mul_i32 s6, s3, s2
	s_delay_alu instid0(SALU_CYCLE_1)
	s_sub_co_i32 s5, s5, s6
	s_add_co_i32 s6, s3, 1
	s_sub_co_i32 s8, s5, s2
	s_cmp_ge_u32 s5, s2
	s_cselect_b32 s3, s6, s3
	s_cselect_b32 s5, s8, s5
	s_wait_alu 0xfffe
	s_add_co_i32 s6, s3, 1
	s_cmp_ge_u32 s5, s2
	s_cselect_b32 s2, s6, s3
	s_abs_i32 s8, ttmp9
	s_wait_alu 0xfffe
	s_xor_b32 s2, s2, s4
	s_wait_alu 0xfffe
	s_sub_co_i32 s14, s2, s4
	s_load_b64 s[4:5], s[0:1], 0x50
	s_abs_i32 s11, s14
	s_delay_alu instid0(SALU_CYCLE_1) | instskip(SKIP_2) | instid1(SALU_CYCLE_1)
	s_cvt_f32_u32 s2, s11
	s_sub_co_i32 s3, 0, s11
	s_wait_alu 0xfffe
	v_rcp_iflag_f32_e32 v0, s2
	s_delay_alu instid0(TRANS32_DEP_1) | instskip(SKIP_2) | instid1(SALU_CYCLE_2)
	v_readfirstlane_b32 s2, v0
	s_mul_f32 s2, s2, 0x4f7ffffe
	s_wait_alu 0xfffe
	s_cvt_u32_f32 s2, s2
	s_wait_alu 0xfffe
	s_delay_alu instid0(SALU_CYCLE_2)
	s_mul_i32 s3, s3, s2
	s_wait_alu 0xfffe
	s_mul_hi_u32 s3, s2, s3
	s_wait_alu 0xfffe
	s_add_co_i32 s2, s2, s3
	s_mov_b32 s3, s9
	s_wait_kmcnt 0x0
	s_cmp_eq_u64 s[4:5], 0
	s_cbranch_scc1 .LBB188_3
; %bb.2:
	s_mov_b32 s18, ttmp9
	s_ashr_i32 s19, ttmp9, 31
	s_delay_alu instid0(SALU_CYCLE_1) | instskip(NEXT) | instid1(SALU_CYCLE_1)
	s_lshl_b64 s[18:19], s[18:19], 2
	s_add_nc_u64 s[4:5], s[4:5], s[18:19]
	s_load_b32 s10, s[4:5], 0x0
.LBB188_3:
	s_load_b96 s[4:6], s[0:1], 0x58
	s_mul_u64 s[2:3], s[8:9], s[2:3]
	v_cmp_gt_u32_e64 s2, 32, v188
	s_ashr_i32 s9, ttmp9, 31
	s_ashr_i32 s20, s14, 31
	s_lshl_b32 s14, ttmp9, 8
	s_wait_alu 0xfffe
	s_and_saveexec_b32 s18, s2
	s_cbranch_execz .LBB188_5
; %bb.4:
	s_load_b64 s[22:23], s[0:1], 0x18
	s_wait_kmcnt 0x0
	s_mul_i32 s24, s4, s16
	s_ashr_i32 s15, s14, 31
	s_ashr_i32 s25, s24, 31
	v_lshlrev_b32_e32 v4, 4, v188
	s_lshl_b64 s[24:25], s[24:25], 1
	s_delay_alu instid0(SALU_CYCLE_1) | instskip(SKIP_1) | instid1(SALU_CYCLE_1)
	s_add_nc_u64 s[22:23], s[22:23], s[24:25]
	s_lshl_b64 s[24:25], s[14:15], 1
	s_add_nc_u64 s[22:23], s[22:23], s[24:25]
	global_load_b128 v[0:3], v4, s[22:23]
	s_wait_loadcnt 0x0
	ds_store_b128 v4, v[0:3]
.LBB188_5:
	s_or_b32 exec_lo, exec_lo, s18
	s_wait_kmcnt 0x0
	s_add_co_i32 s4, s13, 31
	s_lshl_b32 s29, s28, 4
	s_ashr_i32 s15, s4, 31
	s_add_co_i32 s21, s29, 16
	s_lshr_b32 s15, s15, 27
	s_xor_b32 s9, s9, s20
	s_add_co_i32 s4, s4, s15
	s_add_co_i32 s20, s3, 1
	s_ashr_i32 s27, s4, 5
	s_clause 0x2
	s_load_b64 s[18:19], s[0:1], 0x38
	s_load_b32 s15, s[0:1], 0x98
	s_load_b32 s4, s[0:1], 0x48
	s_min_i32 s26, s21, s27
	s_mul_i32 s21, s3, s11
	v_lshrrev_b32_e32 v189, 5, v188
	s_sub_co_i32 s8, s8, s21
	v_and_b32_e32 v190, 31, v188
	s_sub_co_i32 s21, s8, s11
	s_cmp_ge_u32 s8, s11
	v_dual_mov_b32 v152, 0xff7fffff :: v_dual_add_nc_u32 v179, s29, v189
	s_cselect_b32 s3, s20, s3
	s_cselect_b32 s8, s21, s8
	s_wait_alu 0xfffe
	s_add_co_i32 s20, s3, 1
	s_cmp_ge_u32 s8, s11
	v_lshlrev_b32_e32 v15, 5, v189
	s_cselect_b32 s3, s20, s3
	v_lshlrev_b32_e32 v16, 2, v190
	s_wait_alu 0xfffe
	s_xor_b32 s3, s3, s9
	v_lshlrev_b32_e32 v14, 2, v179
	s_wait_alu 0xfffe
	s_sub_co_i32 s8, s3, s9
	v_cmp_gt_i32_e64 s3, s26, v179
	s_wait_kmcnt 0x0
	s_mul_i32 s20, s4, s16
	s_mul_i32 s22, s8, s6
	s_ashr_i32 s21, s20, 31
	s_wait_dscnt 0x0
	s_barrier_signal -1
	s_barrier_wait -1
	global_inv scope:SCOPE_SE
	s_and_saveexec_b32 s6, s3
	s_cbranch_execz .LBB188_9
; %bb.6:
	v_mov_b32_e32 v1, 0
	scratch_store_b32 off, v188, off offset:560 ; 4-byte Folded Spill
	s_load_b64 s[24:25], s[0:1], 0x20
	s_ashr_i32 s23, s22, 31
	v_add3_u32 v164, s12, v15, v190
	ds_load_b128 v[2:5], v1
	ds_load_b128 v[6:9], v1 offset:16
	ds_load_b128 v[10:13], v1 offset:32
	s_lshl_b64 s[30:31], s[22:23], 1
	s_cmp_neq_f32 s10, 0
	s_mov_b32 s8, s5
	s_mov_b32 s9, 0
	v_mov_b32_e32 v141, v179
	s_cselect_b32 vcc_lo, -1, 0
	s_sub_co_i32 s11, 1, s13
	v_mov_b32_e32 v152, 0xff7fffff
	s_wait_kmcnt 0x0
	s_add_nc_u64 s[24:25], s[24:25], s[30:31]
	s_wait_dscnt 0x2
	v_and_b32_e32 v0, 0xffff0000, v2
	s_lshl_b64 s[30:31], s[20:21], 2
	s_delay_alu instid0(SALU_CYCLE_1) | instskip(SKIP_3) | instid1(VALU_DEP_1)
	s_add_nc_u64 s[30:31], s[18:19], s[30:31]
	scratch_store_b32 off, v0, off          ; 4-byte Folded Spill
	v_lshlrev_b32_e32 v0, 16, v2
	v_add_co_u32 v41, s4, s30, v14
	v_add_co_ci_u32_e64 v42, null, s31, 0, s4
	scratch_store_b32 off, v0, off offset:4 ; 4-byte Folded Spill
	s_wait_dscnt 0x1
	v_and_b32_e32 v0, 0xffff0000, v6
	scratch_store_b32 off, v0, off offset:8 ; 4-byte Folded Spill
	v_lshlrev_b32_e32 v0, 16, v6
	scratch_store_b32 off, v0, off offset:12 ; 4-byte Folded Spill
	s_wait_dscnt 0x0
	v_and_b32_e32 v0, 0xffff0000, v10
	scratch_store_b32 off, v0, off offset:16 ; 4-byte Folded Spill
	v_lshlrev_b32_e32 v0, 16, v10
	scratch_store_b32 off, v0, off offset:20 ; 4-byte Folded Spill
	v_and_b32_e32 v0, 0xffff0000, v3
	scratch_store_b32 off, v0, off offset:24 ; 4-byte Folded Spill
	v_lshlrev_b32_e32 v0, 16, v3
	scratch_store_b32 off, v0, off offset:28 ; 4-byte Folded Spill
	;; [unrolled: 4-line block ×6, first 2 shown]
	v_and_b32_e32 v0, 0xffff0000, v12
	scratch_store_b32 off, v0, off offset:64 ; 4-byte Folded Spill
	v_and_b32_e32 v0, 0xffff0000, v5
	scratch_store_b32 off, v0, off offset:68 ; 4-byte Folded Spill
	v_lshlrev_b32_e32 v0, 16, v5
	ds_load_b128 v[2:5], v1 offset:48
	scratch_store_b32 off, v0, off offset:72 ; 4-byte Folded Spill
	v_lshlrev_b32_e32 v0, 16, v12
	scratch_store_b32 off, v0, off offset:76 ; 4-byte Folded Spill
	v_and_b32_e32 v0, 0xffff0000, v9
	scratch_store_b32 off, v0, off offset:80 ; 4-byte Folded Spill
	v_lshlrev_b32_e32 v0, 16, v9
	scratch_store_b32 off, v0, off offset:84 ; 4-byte Folded Spill
	v_and_b32_e32 v0, 0xffff0000, v13
	scratch_store_b32 off, v0, off offset:88 ; 4-byte Folded Spill
	v_lshlrev_b32_e32 v0, 16, v13
	scratch_store_b32 off, v0, off offset:92 ; 4-byte Folded Spill
	s_wait_dscnt 0x0
	v_and_b32_e32 v0, 0xffff0000, v2
	scratch_store_b32 off, v0, off offset:96 ; 4-byte Folded Spill
	v_lshlrev_b32_e32 v0, 16, v2
	scratch_store_b32 off, v0, off offset:100 ; 4-byte Folded Spill
	v_and_b32_e32 v0, 0xffff0000, v3
	scratch_store_b32 off, v0, off offset:104 ; 4-byte Folded Spill
	v_lshlrev_b32_e32 v0, 16, v3
	scratch_store_b32 off, v0, off offset:108 ; 4-byte Folded Spill
	v_and_b32_e32 v0, 0xffff0000, v4
	scratch_store_b32 off, v0, off offset:112 ; 4-byte Folded Spill
	v_lshlrev_b32_e32 v0, 16, v4
	scratch_store_b32 off, v0, off offset:116 ; 4-byte Folded Spill
	v_and_b32_e32 v0, 0xffff0000, v5
	scratch_store_b32 off, v0, off offset:120 ; 4-byte Folded Spill
	v_lshlrev_b32_e32 v0, 16, v5
	ds_load_b128 v[2:5], v1 offset:64
	scratch_store_b32 off, v0, off offset:124 ; 4-byte Folded Spill
	s_wait_dscnt 0x0
	v_and_b32_e32 v0, 0xffff0000, v2
	scratch_store_b32 off, v0, off offset:128 ; 4-byte Folded Spill
	v_lshlrev_b32_e32 v0, 16, v2
	scratch_store_b32 off, v0, off offset:132 ; 4-byte Folded Spill
	v_and_b32_e32 v0, 0xffff0000, v3
	scratch_store_b32 off, v0, off offset:136 ; 4-byte Folded Spill
	v_lshlrev_b32_e32 v0, 16, v3
	scratch_store_b32 off, v0, off offset:140 ; 4-byte Folded Spill
	v_and_b32_e32 v0, 0xffff0000, v4
	scratch_store_b32 off, v0, off offset:144 ; 4-byte Folded Spill
	v_lshlrev_b32_e32 v0, 16, v4
	scratch_store_b32 off, v0, off offset:148 ; 4-byte Folded Spill
	v_and_b32_e32 v0, 0xffff0000, v5
	scratch_store_b32 off, v0, off offset:152 ; 4-byte Folded Spill
	v_lshlrev_b32_e32 v0, 16, v5
	ds_load_b128 v[2:5], v1 offset:80
	;; [unrolled: 18-line block ×14, first 2 shown]
	scratch_store_b32 off, v0, off offset:540 ; 4-byte Folded Spill
	s_wait_dscnt 0x0
	v_and_b32_e32 v0, 0xffff0000, v2
	v_and_b32_e32 v191, 0xffff0000, v4
	v_lshlrev_b32_e32 v45, 16, v4
	v_and_b32_e32 v46, 0xffff0000, v5
	v_lshlrev_b32_e32 v139, 16, v5
	scratch_store_b32 off, v0, off offset:544 ; 4-byte Folded Spill
	v_lshlrev_b32_e32 v0, 16, v2
	scratch_store_b32 off, v0, off offset:548 ; 4-byte Folded Spill
	v_and_b32_e32 v0, 0xffff0000, v3
	scratch_store_b32 off, v0, off offset:552 ; 4-byte Folded Spill
	v_lshlrev_b32_e32 v0, 16, v3
	ds_load_b128 v[2:5], v1 offset:288
	scratch_store_b32 off, v0, off offset:556 ; 4-byte Folded Spill
	s_wait_dscnt 0x0
	v_and_b32_e32 v47, 0xffff0000, v2
	v_lshlrev_b32_e32 v140, 16, v2
	v_and_b32_e32 v48, 0xffff0000, v3
	v_lshlrev_b32_e32 v0, 16, v3
	v_and_b32_e32 v49, 0xffff0000, v4
	v_lshlrev_b32_e32 v50, 16, v4
	v_and_b32_e32 v51, 0xffff0000, v5
	v_lshlrev_b32_e32 v52, 16, v5
	ds_load_b128 v[2:5], v1 offset:304
	s_wait_dscnt 0x0
	v_and_b32_e32 v53, 0xffff0000, v2
	v_lshlrev_b32_e32 v54, 16, v2
	v_and_b32_e32 v55, 0xffff0000, v3
	v_lshlrev_b32_e32 v56, 16, v3
	v_and_b32_e32 v57, 0xffff0000, v4
	v_lshlrev_b32_e32 v58, 16, v4
	v_and_b32_e32 v59, 0xffff0000, v5
	v_lshlrev_b32_e32 v60, 16, v5
	ds_load_b128 v[2:5], v1 offset:320
	;; [unrolled: 10-line block ×12, first 2 shown]
	s_wait_dscnt 0x0
	v_and_b32_e32 v144, 0xffff0000, v2
	v_lshlrev_b32_e32 v145, 16, v2
	v_and_b32_e32 v146, 0xffff0000, v3
	v_lshlrev_b32_e32 v147, 16, v3
	;; [unrolled: 2-line block ×3, first 2 shown]
	ds_load_b128 v[1:4], v1 offset:496
	v_and_b32_e32 v150, 0xffff0000, v5
	v_lshlrev_b32_e32 v151, 16, v5
	s_clause 0x3
	scratch_store_b32 off, v189, off offset:564
	scratch_store_b32 off, v16, off offset:576
	;; [unrolled: 1-line block ×4, first 2 shown]
	s_wait_dscnt 0x0
	v_and_b32_e32 v153, 0xffff0000, v1
	v_lshlrev_b32_e32 v154, 16, v1
	v_lshlrev_b32_e32 v1, 4, v190
	v_and_b32_e32 v155, 0xffff0000, v2
	v_lshlrev_b32_e32 v156, 16, v2
	v_lshl_or_b32 v2, v189, 7, v16
	v_and_b32_e32 v157, 0xffff0000, v3
	v_add_co_u32 v162, s4, s24, v1
	v_lshlrev_b32_e32 v158, 16, v3
	v_and_b32_e32 v159, 0xffff0000, v4
	v_lshlrev_b32_e32 v160, 16, v4
	v_add_nc_u32_e32 v161, 0x220, v2
	s_wait_alu 0xf1ff
	v_add_co_ci_u32_e64 v163, null, s25, 0, s4
.LBB188_7:                              ; =>This Inner Loop Header: Depth=1
	global_load_b32 v1, v[41:42], off
	v_add_nc_u32_e32 v141, 4, v141
	s_wait_loadcnt 0x0
	v_mad_co_i64_i32 v[1:2], null, v1, s8, 0
	s_delay_alu instid0(VALU_DEP_1) | instskip(NEXT) | instid1(VALU_DEP_1)
	v_lshlrev_b64_e32 v[1:2], 1, v[1:2]
	v_add_co_u32 v43, s4, v162, v1
	v_add_nc_u32_e32 v1, s11, v164
	s_wait_alu 0xf1ff
	s_delay_alu instid0(VALU_DEP_3) | instskip(SKIP_3) | instid1(VALU_DEP_1)
	v_add_co_ci_u32_e64 v44, null, v163, v2, s4
	v_cmp_gt_i32_e64 s4, s13, v164
	v_add_nc_u32_e32 v164, 0x80, v164
	v_cvt_f32_i32_e32 v1, v1
	v_mul_f32_e32 v1, s10, v1
	s_delay_alu instid0(VALU_DEP_1)
	v_cndmask_b32_e32 v166, 0, v1, vcc_lo
	s_clause 0x8
	global_load_b128 v[33:36], v[43:44], off
	global_load_b128 v[29:32], v[43:44], off offset:512
	global_load_b128 v[25:28], v[43:44], off offset:1024
	global_load_b128 v[21:24], v[43:44], off offset:1536
	global_load_b128 v[17:20], v[43:44], off offset:2048
	global_load_b128 v[13:16], v[43:44], off offset:2560
	global_load_b128 v[9:12], v[43:44], off offset:3072
	global_load_b128 v[5:8], v[43:44], off offset:3584
	global_load_b128 v[1:4], v[43:44], off offset:4096
	scratch_load_b32 v39, off, off offset:12 ; 4-byte Folded Reload
	s_wait_loadcnt 0x9
	v_lshlrev_b32_e32 v37, 16, v33
	s_wait_loadcnt 0x8
	v_and_b32_e32 v38, 0xffff0000, v29
	v_lshlrev_b32_e32 v29, 16, v29
	v_and_b32_e32 v33, 0xffff0000, v33
	s_wait_loadcnt 0x0
	s_delay_alu instid0(VALU_DEP_2)
	v_mul_f32_e32 v167, v39, v29
	scratch_load_b32 v29, off, off offset:8 ; 4-byte Folded Reload
	s_wait_loadcnt 0x0
	v_mul_f32_e32 v168, v29, v38
	scratch_load_b32 v29, off, off          ; 4-byte Folded Reload
	s_wait_loadcnt 0x0
	v_fmac_f32_e32 v168, v29, v33
	s_clause 0x1
	scratch_load_b32 v29, off, off offset:4
	scratch_load_b32 v33, off, off offset:20
	s_wait_loadcnt 0x1
	v_fmac_f32_e32 v167, v29, v37
	v_and_b32_e32 v29, 0xffff0000, v25
	v_lshlrev_b32_e32 v25, 16, v25
	s_wait_loadcnt 0x0
	s_delay_alu instid0(VALU_DEP_1)
	v_fmac_f32_e32 v167, v33, v25
	scratch_load_b32 v25, off, off offset:16 ; 4-byte Folded Reload
	s_wait_loadcnt 0x0
	v_fmac_f32_e32 v168, v25, v29
	scratch_load_b32 v29, off, off offset:96 ; 4-byte Folded Reload
	v_lshlrev_b32_e32 v25, 16, v21
	v_and_b32_e32 v21, 0xffff0000, v21
	s_wait_loadcnt 0x0
	s_delay_alu instid0(VALU_DEP_1)
	v_fmac_f32_e32 v168, v29, v21
	scratch_load_b32 v21, off, off offset:100 ; 4-byte Folded Reload
	s_wait_loadcnt 0x0
	v_fmac_f32_e32 v167, v21, v25
	scratch_load_b32 v25, off, off offset:132 ; 4-byte Folded Reload
	v_and_b32_e32 v21, 0xffff0000, v17
	v_lshlrev_b32_e32 v17, 16, v17
	s_wait_loadcnt 0x0
	s_delay_alu instid0(VALU_DEP_1)
	v_fmac_f32_e32 v167, v25, v17
	scratch_load_b32 v17, off, off offset:128 ; 4-byte Folded Reload
	s_wait_loadcnt 0x0
	v_fmac_f32_e32 v168, v17, v21
	scratch_load_b32 v21, off, off offset:160 ; 4-byte Folded Reload
	v_lshlrev_b32_e32 v17, 16, v13
	v_and_b32_e32 v13, 0xffff0000, v13
	s_wait_loadcnt 0x0
	s_delay_alu instid0(VALU_DEP_1)
	v_fmac_f32_e32 v168, v21, v13
	scratch_load_b32 v13, off, off offset:164 ; 4-byte Folded Reload
	s_wait_loadcnt 0x0
	v_fmac_f32_e32 v167, v13, v17
	scratch_load_b32 v17, off, off offset:196 ; 4-byte Folded Reload
	v_and_b32_e32 v13, 0xffff0000, v9
	v_lshlrev_b32_e32 v9, 16, v9
	s_wait_loadcnt 0x0
	s_delay_alu instid0(VALU_DEP_1)
	v_fmac_f32_e32 v167, v17, v9
	s_clause 0x1
	scratch_load_b32 v9, off, off offset:192
	scratch_load_b32 v17, off, off offset:36
	s_wait_loadcnt 0x1
	v_fmac_f32_e32 v168, v9, v13
	scratch_load_b32 v13, off, off offset:224 ; 4-byte Folded Reload
	v_lshlrev_b32_e32 v9, 16, v5
	v_and_b32_e32 v5, 0xffff0000, v5
	s_wait_loadcnt 0x0
	s_delay_alu instid0(VALU_DEP_1) | instskip(SKIP_2) | instid1(VALU_DEP_1)
	v_fmac_f32_e32 v168, v13, v5
	scratch_load_b32 v5, off, off offset:228 ; 4-byte Folded Reload
	v_lshlrev_b32_e32 v13, 16, v30
	v_mul_f32_e32 v169, v17, v13
	scratch_load_b32 v13, off, off offset:32 ; 4-byte Folded Reload
	s_wait_loadcnt 0x1
	v_fmac_f32_e32 v167, v5, v9
	scratch_load_b32 v9, off, off offset:260 ; 4-byte Folded Reload
	v_and_b32_e32 v5, 0xffff0000, v1
	v_lshlrev_b32_e32 v1, 16, v1
	s_wait_loadcnt 0x0
	s_delay_alu instid0(VALU_DEP_1) | instskip(SKIP_2) | instid1(VALU_DEP_1)
	v_fmac_f32_e32 v167, v9, v1
	scratch_load_b32 v1, off, off offset:256 ; 4-byte Folded Reload
	v_and_b32_e32 v9, 0xffff0000, v30
	v_mul_f32_e32 v170, v13, v9
	scratch_load_b32 v9, off, off offset:24 ; 4-byte Folded Reload
	s_wait_loadcnt 0x1
	v_dual_fmac_f32 v168, v1, v5 :: v_dual_and_b32 v5, 0xffff0000, v34
	s_wait_loadcnt 0x0
	s_delay_alu instid0(VALU_DEP_1)
	v_dual_fmac_f32 v170, v9, v5 :: v_dual_lshlrev_b32 v1, 16, v34
	s_clause 0x1
	scratch_load_b32 v5, off, off offset:28
	scratch_load_b32 v9, off, off offset:44
	s_wait_loadcnt 0x1
	v_fmac_f32_e32 v169, v5, v1
	v_lshlrev_b32_e32 v5, 16, v26
	v_and_b32_e32 v1, 0xffff0000, v26
	s_wait_loadcnt 0x0
	s_delay_alu instid0(VALU_DEP_2)
	v_fmac_f32_e32 v169, v9, v5
	s_clause 0x1
	scratch_load_b32 v5, off, off offset:40
	scratch_load_b32 v9, off, off offset:104
	s_wait_loadcnt 0x1
	v_dual_fmac_f32 v170, v5, v1 :: v_dual_and_b32 v5, 0xffff0000, v22
	s_wait_loadcnt 0x0
	s_delay_alu instid0(VALU_DEP_1)
	v_dual_fmac_f32 v170, v9, v5 :: v_dual_lshlrev_b32 v1, 16, v22
	s_clause 0x1
	scratch_load_b32 v5, off, off offset:108
	scratch_load_b32 v9, off, off offset:140
	s_wait_loadcnt 0x1
	v_fmac_f32_e32 v169, v5, v1
	v_lshlrev_b32_e32 v5, 16, v18
	v_and_b32_e32 v1, 0xffff0000, v18
	s_wait_loadcnt 0x0
	s_delay_alu instid0(VALU_DEP_2)
	v_fmac_f32_e32 v169, v9, v5
	s_clause 0x1
	scratch_load_b32 v5, off, off offset:136
	scratch_load_b32 v9, off, off offset:168
	;; [unrolled: 18-line block ×3, first 2 shown]
	s_wait_loadcnt 0x1
	v_dual_fmac_f32 v170, v5, v1 :: v_dual_and_b32 v5, 0xffff0000, v6
	v_lshlrev_b32_e32 v1, 16, v6
	scratch_load_b32 v6, off, off offset:232 ; 4-byte Folded Reload
	s_wait_loadcnt 0x0
	v_fmac_f32_e32 v170, v6, v5
	scratch_load_b32 v5, off, off offset:236 ; 4-byte Folded Reload
	v_lshlrev_b32_e32 v6, 16, v31
	s_delay_alu instid0(VALU_DEP_1)
	v_mul_f32_e32 v171, v9, v6
	scratch_load_b32 v6, off, off offset:56 ; 4-byte Folded Reload
	s_wait_loadcnt 0x1
	v_fmac_f32_e32 v169, v5, v1
	scratch_load_b32 v5, off, off offset:268 ; 4-byte Folded Reload
	v_and_b32_e32 v1, 0xffff0000, v2
	v_lshlrev_b32_e32 v2, 16, v2
	s_wait_loadcnt 0x0
	s_delay_alu instid0(VALU_DEP_1) | instskip(SKIP_2) | instid1(VALU_DEP_1)
	v_fmac_f32_e32 v169, v5, v2
	scratch_load_b32 v2, off, off offset:264 ; 4-byte Folded Reload
	v_and_b32_e32 v5, 0xffff0000, v31
	v_mul_f32_e32 v172, v6, v5
	s_clause 0x1
	scratch_load_b32 v5, off, off offset:48
	scratch_load_b32 v6, off, off offset:84
	s_wait_loadcnt 0x2
	v_dual_fmac_f32 v170, v2, v1 :: v_dual_lshlrev_b32 v1, 16, v35
	v_and_b32_e32 v2, 0xffff0000, v35
	s_wait_loadcnt 0x1
	s_delay_alu instid0(VALU_DEP_1)
	v_fmac_f32_e32 v172, v5, v2
	s_clause 0x1
	scratch_load_b32 v2, off, off offset:52
	scratch_load_b32 v5, off, off offset:76
	s_wait_loadcnt 0x1
	v_dual_fmac_f32 v171, v2, v1 :: v_dual_lshlrev_b32 v2, 16, v27
	v_and_b32_e32 v1, 0xffff0000, v27
	s_wait_loadcnt 0x0
	s_delay_alu instid0(VALU_DEP_2)
	v_fmac_f32_e32 v171, v5, v2
	s_clause 0x1
	scratch_load_b32 v2, off, off offset:64
	scratch_load_b32 v5, off, off offset:112
	s_wait_loadcnt 0x1
	v_fmac_f32_e32 v172, v2, v1
	v_and_b32_e32 v2, 0xffff0000, v23
	s_wait_loadcnt 0x0
	s_delay_alu instid0(VALU_DEP_1)
	v_dual_fmac_f32 v172, v5, v2 :: v_dual_lshlrev_b32 v1, 16, v23
	s_clause 0x1
	scratch_load_b32 v2, off, off offset:116
	scratch_load_b32 v5, off, off offset:148
	s_wait_loadcnt 0x1
	v_dual_fmac_f32 v171, v2, v1 :: v_dual_lshlrev_b32 v2, 16, v19
	v_and_b32_e32 v1, 0xffff0000, v19
	s_wait_loadcnt 0x0
	s_delay_alu instid0(VALU_DEP_2)
	v_fmac_f32_e32 v171, v5, v2
	s_clause 0x1
	scratch_load_b32 v2, off, off offset:144
	scratch_load_b32 v5, off, off offset:176
	s_wait_loadcnt 0x1
	v_fmac_f32_e32 v172, v2, v1
	v_and_b32_e32 v2, 0xffff0000, v15
	s_wait_loadcnt 0x0
	s_delay_alu instid0(VALU_DEP_1)
	v_dual_fmac_f32 v172, v5, v2 :: v_dual_lshlrev_b32 v1, 16, v15
	s_clause 0x1
	scratch_load_b32 v2, off, off offset:180
	scratch_load_b32 v5, off, off offset:212
	s_wait_loadcnt 0x1
	v_dual_fmac_f32 v171, v2, v1 :: v_dual_lshlrev_b32 v2, 16, v11
	v_and_b32_e32 v1, 0xffff0000, v11
	s_wait_loadcnt 0x0
	s_delay_alu instid0(VALU_DEP_2)
	v_fmac_f32_e32 v171, v5, v2
	s_clause 0x1
	scratch_load_b32 v2, off, off offset:208
	scratch_load_b32 v5, off, off offset:240
	s_wait_loadcnt 0x1
	v_fmac_f32_e32 v172, v2, v1
	v_and_b32_e32 v2, 0xffff0000, v7
	s_wait_loadcnt 0x0
	s_delay_alu instid0(VALU_DEP_1) | instskip(SKIP_2) | instid1(VALU_DEP_1)
	v_dual_fmac_f32 v172, v5, v2 :: v_dual_lshlrev_b32 v1, 16, v7
	scratch_load_b32 v2, off, off offset:244 ; 4-byte Folded Reload
	v_lshlrev_b32_e32 v5, 16, v32
	v_mul_f32_e32 v173, v6, v5
	scratch_load_b32 v5, off, off offset:80 ; 4-byte Folded Reload
	s_wait_loadcnt 0x1
	v_fmac_f32_e32 v171, v2, v1
	v_and_b32_e32 v1, 0xffff0000, v3
	v_lshlrev_b32_e32 v2, 16, v3
	scratch_load_b32 v3, off, off offset:276 ; 4-byte Folded Reload
	s_wait_loadcnt 0x0
	v_fmac_f32_e32 v171, v3, v2
	scratch_load_b32 v2, off, off offset:272 ; 4-byte Folded Reload
	v_and_b32_e32 v3, 0xffff0000, v32
	s_delay_alu instid0(VALU_DEP_1)
	v_mul_f32_e32 v174, v5, v3
	scratch_load_b32 v3, off, off offset:68 ; 4-byte Folded Reload
	s_wait_loadcnt 0x1
	v_fmac_f32_e32 v172, v2, v1
	v_and_b32_e32 v2, 0xffff0000, v36
	s_wait_loadcnt 0x0
	s_delay_alu instid0(VALU_DEP_1)
	v_dual_fmac_f32 v174, v3, v2 :: v_dual_lshlrev_b32 v1, 16, v36
	s_clause 0x1
	scratch_load_b32 v2, off, off offset:72
	scratch_load_b32 v3, off, off offset:92
	s_wait_loadcnt 0x1
	v_dual_fmac_f32 v173, v2, v1 :: v_dual_lshlrev_b32 v2, 16, v28
	v_and_b32_e32 v1, 0xffff0000, v28
	s_wait_loadcnt 0x0
	s_delay_alu instid0(VALU_DEP_2)
	v_fmac_f32_e32 v173, v3, v2
	s_clause 0x1
	scratch_load_b32 v2, off, off offset:88
	scratch_load_b32 v3, off, off offset:120
	s_wait_loadcnt 0x1
	v_fmac_f32_e32 v174, v2, v1
	v_and_b32_e32 v2, 0xffff0000, v24
	s_wait_loadcnt 0x0
	s_delay_alu instid0(VALU_DEP_1)
	v_dual_fmac_f32 v174, v3, v2 :: v_dual_lshlrev_b32 v1, 16, v24
	s_clause 0x1
	scratch_load_b32 v2, off, off offset:124
	scratch_load_b32 v3, off, off offset:156
	s_wait_loadcnt 0x1
	v_dual_fmac_f32 v173, v2, v1 :: v_dual_lshlrev_b32 v2, 16, v20
	v_and_b32_e32 v1, 0xffff0000, v20
	s_wait_loadcnt 0x0
	s_delay_alu instid0(VALU_DEP_2)
	v_fmac_f32_e32 v173, v3, v2
	s_clause 0x1
	scratch_load_b32 v2, off, off offset:152
	scratch_load_b32 v3, off, off offset:184
	;; [unrolled: 18-line block ×3, first 2 shown]
	s_wait_loadcnt 0x1
	v_fmac_f32_e32 v174, v2, v1
	v_and_b32_e32 v2, 0xffff0000, v8
	s_wait_loadcnt 0x0
	s_delay_alu instid0(VALU_DEP_1)
	v_dual_fmac_f32 v174, v3, v2 :: v_dual_lshlrev_b32 v1, 16, v8
	s_clause 0x1
	scratch_load_b32 v2, off, off offset:252
	scratch_load_b32 v3, off, off offset:284
	s_wait_loadcnt 0x1
	v_dual_fmac_f32 v173, v2, v1 :: v_dual_lshlrev_b32 v2, 16, v4
	v_and_b32_e32 v1, 0xffff0000, v4
	s_wait_loadcnt 0x0
	s_delay_alu instid0(VALU_DEP_2)
	v_fmac_f32_e32 v173, v3, v2
	scratch_load_b32 v2, off, off offset:280 ; 4-byte Folded Reload
	s_wait_loadcnt 0x0
	v_fmac_f32_e32 v174, v2, v1
	global_load_b128 v[1:4], v[43:44], off offset:4608
	s_wait_loadcnt 0x0
	v_and_b32_e32 v176, 0xffff0000, v1
	v_lshlrev_b32_e32 v177, 16, v2
	v_and_b32_e32 v178, 0xffff0000, v2
	v_lshlrev_b32_e32 v165, 16, v3
	;; [unrolled: 2-line block ×4, first 2 shown]
	global_load_b128 v[1:4], v[43:44], off offset:5120
	s_wait_loadcnt 0x0
	v_lshlrev_b32_e32 v182, 16, v1
	v_and_b32_e32 v183, 0xffff0000, v2
	v_lshlrev_b32_e32 v184, 16, v2
	v_and_b32_e32 v185, 0xffff0000, v3
	;; [unrolled: 2-line block ×3, first 2 shown]
	v_and_b32_e32 v181, 0xffff0000, v1
	v_lshlrev_b32_e32 v40, 16, v4
	s_clause 0x8
	global_load_b128 v[33:36], v[43:44], off offset:5632
	global_load_b128 v[29:32], v[43:44], off offset:6144
	;; [unrolled: 1-line block ×9, first 2 shown]
	scratch_load_b32 v187, off, off offset:288 ; 4-byte Folded Reload
	s_wait_loadcnt 0x0
	v_fmac_f32_e32 v168, v187, v176
	scratch_load_b32 v176, off, off offset:292 ; 4-byte Folded Reload
	s_wait_loadcnt 0x0
	v_fmac_f32_e32 v167, v176, v175
	s_clause 0x1
	scratch_load_b32 v175, off, off offset:324
	scratch_load_b32 v176, off, off offset:352
	s_wait_loadcnt 0x1
	v_fmac_f32_e32 v167, v175, v182
	scratch_load_b32 v175, off, off offset:320 ; 4-byte Folded Reload
	s_wait_loadcnt 0x0
	v_fmac_f32_e32 v168, v175, v181
	v_lshlrev_b32_e32 v175, 16, v33
	v_and_b32_e32 v33, 0xffff0000, v33
	s_delay_alu instid0(VALU_DEP_1)
	v_fmac_f32_e32 v168, v176, v33
	scratch_load_b32 v33, off, off offset:356 ; 4-byte Folded Reload
	s_wait_loadcnt 0x0
	v_fmac_f32_e32 v167, v33, v175
	scratch_load_b32 v175, off, off offset:388 ; 4-byte Folded Reload
	v_and_b32_e32 v33, 0xffff0000, v29
	v_lshlrev_b32_e32 v29, 16, v29
	s_wait_loadcnt 0x0
	s_delay_alu instid0(VALU_DEP_1)
	v_fmac_f32_e32 v167, v175, v29
	scratch_load_b32 v29, off, off offset:384 ; 4-byte Folded Reload
	s_wait_loadcnt 0x0
	v_fmac_f32_e32 v168, v29, v33
	scratch_load_b32 v33, off, off offset:416 ; 4-byte Folded Reload
	v_lshlrev_b32_e32 v29, 16, v25
	v_and_b32_e32 v25, 0xffff0000, v25
	s_wait_loadcnt 0x0
	s_delay_alu instid0(VALU_DEP_1)
	v_fmac_f32_e32 v168, v33, v25
	scratch_load_b32 v25, off, off offset:420 ; 4-byte Folded Reload
	s_wait_loadcnt 0x0
	v_fmac_f32_e32 v167, v25, v29
	scratch_load_b32 v29, off, off offset:452 ; 4-byte Folded Reload
	v_and_b32_e32 v25, 0xffff0000, v21
	v_lshlrev_b32_e32 v21, 16, v21
	s_wait_loadcnt 0x0
	s_delay_alu instid0(VALU_DEP_1)
	v_fmac_f32_e32 v167, v29, v21
	scratch_load_b32 v21, off, off offset:448 ; 4-byte Folded Reload
	s_wait_loadcnt 0x0
	v_fmac_f32_e32 v168, v21, v25
	scratch_load_b32 v25, off, off offset:480 ; 4-byte Folded Reload
	v_lshlrev_b32_e32 v21, 16, v17
	v_and_b32_e32 v17, 0xffff0000, v17
	s_wait_loadcnt 0x0
	;; [unrolled: 18-line block ×3, first 2 shown]
	s_delay_alu instid0(VALU_DEP_1)
	v_fmac_f32_e32 v168, v17, v9
	scratch_load_b32 v9, off, off offset:548 ; 4-byte Folded Reload
	s_wait_loadcnt 0x0
	v_fmac_f32_e32 v167, v9, v13
	v_and_b32_e32 v9, 0xffff0000, v5
	v_lshlrev_b32_e32 v5, 16, v5
	s_delay_alu instid0(VALU_DEP_2) | instskip(NEXT) | instid1(VALU_DEP_2)
	v_fmac_f32_e32 v168, v47, v9
	v_fmac_f32_e32 v167, v140, v5
	v_lshlrev_b32_e32 v5, 16, v1
	v_and_b32_e32 v1, 0xffff0000, v1
	scratch_load_b32 v9, off, off offset:360 ; 4-byte Folded Reload
	v_fmac_f32_e32 v167, v54, v5
	v_fmac_f32_e32 v168, v53, v1
	scratch_load_b32 v1, off, off offset:296 ; 4-byte Folded Reload
	v_and_b32_e32 v5, 0xffff0000, v34
	s_wait_loadcnt 0x0
	v_fmac_f32_e32 v170, v1, v178
	scratch_load_b32 v1, off, off offset:300 ; 4-byte Folded Reload
	s_wait_loadcnt 0x0
	v_fmac_f32_e32 v169, v1, v177
	scratch_load_b32 v1, off, off offset:332 ; 4-byte Folded Reload
	;; [unrolled: 3-line block ×3, first 2 shown]
	s_wait_loadcnt 0x0
	v_dual_fmac_f32 v170, v1, v183 :: v_dual_lshlrev_b32 v1, 16, v34
	s_delay_alu instid0(VALU_DEP_1)
	v_fmac_f32_e32 v170, v9, v5
	s_clause 0x1
	scratch_load_b32 v5, off, off offset:364
	scratch_load_b32 v9, off, off offset:396
	s_wait_loadcnt 0x1
	v_fmac_f32_e32 v169, v5, v1
	v_lshlrev_b32_e32 v5, 16, v30
	v_and_b32_e32 v1, 0xffff0000, v30
	s_wait_loadcnt 0x0
	s_delay_alu instid0(VALU_DEP_2)
	v_fmac_f32_e32 v169, v9, v5
	s_clause 0x1
	scratch_load_b32 v5, off, off offset:392
	scratch_load_b32 v9, off, off offset:424
	s_wait_loadcnt 0x1
	v_dual_fmac_f32 v170, v5, v1 :: v_dual_and_b32 v5, 0xffff0000, v26
	s_wait_loadcnt 0x0
	s_delay_alu instid0(VALU_DEP_1)
	v_dual_fmac_f32 v170, v9, v5 :: v_dual_lshlrev_b32 v1, 16, v26
	s_clause 0x1
	scratch_load_b32 v5, off, off offset:428
	scratch_load_b32 v9, off, off offset:460
	s_wait_loadcnt 0x1
	v_fmac_f32_e32 v169, v5, v1
	v_lshlrev_b32_e32 v5, 16, v22
	v_and_b32_e32 v1, 0xffff0000, v22
	s_wait_loadcnt 0x0
	s_delay_alu instid0(VALU_DEP_2)
	v_fmac_f32_e32 v169, v9, v5
	s_clause 0x1
	scratch_load_b32 v5, off, off offset:456
	scratch_load_b32 v9, off, off offset:488
	s_wait_loadcnt 0x1
	v_dual_fmac_f32 v170, v5, v1 :: v_dual_and_b32 v5, 0xffff0000, v18
	s_wait_loadcnt 0x0
	s_delay_alu instid0(VALU_DEP_1)
	v_dual_fmac_f32 v170, v9, v5 :: v_dual_lshlrev_b32 v1, 16, v18
	s_clause 0x1
	scratch_load_b32 v5, off, off offset:492
	scratch_load_b32 v9, off, off offset:524
	s_wait_loadcnt 0x1
	v_fmac_f32_e32 v169, v5, v1
	v_lshlrev_b32_e32 v5, 16, v14
	v_and_b32_e32 v1, 0xffff0000, v14
	s_wait_loadcnt 0x0
	s_delay_alu instid0(VALU_DEP_2)
	v_fmac_f32_e32 v169, v9, v5
	s_clause 0x1
	scratch_load_b32 v5, off, off offset:520
	scratch_load_b32 v9, off, off offset:552
	s_wait_loadcnt 0x1
	v_dual_fmac_f32 v170, v5, v1 :: v_dual_and_b32 v5, 0xffff0000, v10
	s_wait_loadcnt 0x0
	s_delay_alu instid0(VALU_DEP_1) | instskip(SKIP_4) | instid1(VALU_DEP_1)
	v_dual_fmac_f32 v170, v9, v5 :: v_dual_lshlrev_b32 v1, 16, v10
	scratch_load_b32 v5, off, off offset:556 ; 4-byte Folded Reload
	s_wait_loadcnt 0x0
	v_fmac_f32_e32 v169, v5, v1
	v_and_b32_e32 v1, 0xffff0000, v6
	v_dual_fmac_f32 v170, v48, v1 :: v_dual_lshlrev_b32 v5, 16, v6
	s_delay_alu instid0(VALU_DEP_1)
	v_fmac_f32_e32 v169, v0, v5
	v_lshlrev_b32_e32 v1, 16, v2
	scratch_load_b32 v5, off, off offset:368 ; 4-byte Folded Reload
	v_dual_fmac_f32 v169, v56, v1 :: v_dual_and_b32 v2, 0xffff0000, v2
	scratch_load_b32 v1, off, off offset:304 ; 4-byte Folded Reload
	v_fmac_f32_e32 v170, v55, v2
	v_and_b32_e32 v2, 0xffff0000, v35
	s_wait_loadcnt 0x0
	v_fmac_f32_e32 v172, v1, v180
	scratch_load_b32 v1, off, off offset:308 ; 4-byte Folded Reload
	s_wait_loadcnt 0x0
	v_fmac_f32_e32 v171, v1, v165
	scratch_load_b32 v1, off, off offset:340 ; 4-byte Folded Reload
	;; [unrolled: 3-line block ×3, first 2 shown]
	s_wait_loadcnt 0x0
	v_dual_fmac_f32 v172, v1, v185 :: v_dual_lshlrev_b32 v1, 16, v35
	s_delay_alu instid0(VALU_DEP_1)
	v_fmac_f32_e32 v172, v5, v2
	s_clause 0x1
	scratch_load_b32 v2, off, off offset:372
	scratch_load_b32 v5, off, off offset:404
	s_wait_loadcnt 0x1
	v_dual_fmac_f32 v171, v2, v1 :: v_dual_lshlrev_b32 v2, 16, v31
	v_and_b32_e32 v1, 0xffff0000, v31
	s_wait_loadcnt 0x0
	s_delay_alu instid0(VALU_DEP_2)
	v_fmac_f32_e32 v171, v5, v2
	s_clause 0x1
	scratch_load_b32 v2, off, off offset:400
	scratch_load_b32 v5, off, off offset:432
	s_wait_loadcnt 0x1
	v_fmac_f32_e32 v172, v2, v1
	v_and_b32_e32 v2, 0xffff0000, v27
	s_wait_loadcnt 0x0
	s_delay_alu instid0(VALU_DEP_1)
	v_dual_fmac_f32 v172, v5, v2 :: v_dual_lshlrev_b32 v1, 16, v27
	s_clause 0x1
	scratch_load_b32 v2, off, off offset:436
	scratch_load_b32 v5, off, off offset:468
	s_wait_loadcnt 0x1
	v_dual_fmac_f32 v171, v2, v1 :: v_dual_lshlrev_b32 v2, 16, v23
	v_and_b32_e32 v1, 0xffff0000, v23
	s_wait_loadcnt 0x0
	s_delay_alu instid0(VALU_DEP_2)
	v_fmac_f32_e32 v171, v5, v2
	s_clause 0x1
	scratch_load_b32 v2, off, off offset:464
	scratch_load_b32 v5, off, off offset:496
	s_wait_loadcnt 0x1
	v_fmac_f32_e32 v172, v2, v1
	v_and_b32_e32 v2, 0xffff0000, v19
	s_wait_loadcnt 0x0
	s_delay_alu instid0(VALU_DEP_1)
	v_dual_fmac_f32 v172, v5, v2 :: v_dual_lshlrev_b32 v1, 16, v19
	s_clause 0x1
	scratch_load_b32 v2, off, off offset:500
	scratch_load_b32 v5, off, off offset:532
	s_wait_loadcnt 0x1
	v_dual_fmac_f32 v171, v2, v1 :: v_dual_lshlrev_b32 v2, 16, v15
	v_and_b32_e32 v1, 0xffff0000, v15
	s_wait_loadcnt 0x0
	s_delay_alu instid0(VALU_DEP_2) | instskip(SKIP_3) | instid1(VALU_DEP_1)
	v_fmac_f32_e32 v171, v5, v2
	scratch_load_b32 v2, off, off offset:528 ; 4-byte Folded Reload
	s_wait_loadcnt 0x0
	v_dual_fmac_f32 v172, v2, v1 :: v_dual_lshlrev_b32 v1, 16, v11
	v_dual_fmac_f32 v171, v45, v1 :: v_dual_and_b32 v2, 0xffff0000, v11
	s_delay_alu instid0(VALU_DEP_1) | instskip(SKIP_1) | instid1(VALU_DEP_1)
	v_dual_fmac_f32 v172, v191, v2 :: v_dual_and_b32 v1, 0xffff0000, v7
	v_lshlrev_b32_e32 v2, 16, v7
	v_dual_fmac_f32 v172, v49, v1 :: v_dual_fmac_f32 v171, v50, v2
	v_lshlrev_b32_e32 v1, 16, v3
	v_and_b32_e32 v2, 0xffff0000, v3
	scratch_load_b32 v3, off, off offset:376 ; 4-byte Folded Reload
	v_fmac_f32_e32 v171, v58, v1
	scratch_load_b32 v1, off, off offset:312 ; 4-byte Folded Reload
	v_fmac_f32_e32 v172, v57, v2
	v_and_b32_e32 v2, 0xffff0000, v36
	s_wait_loadcnt 0x0
	v_fmac_f32_e32 v174, v1, v38
	scratch_load_b32 v1, off, off offset:316 ; 4-byte Folded Reload
	s_wait_loadcnt 0x0
	v_fmac_f32_e32 v173, v1, v37
	scratch_load_b32 v1, off, off offset:348 ; 4-byte Folded Reload
	;; [unrolled: 3-line block ×3, first 2 shown]
	s_wait_loadcnt 0x0
	v_dual_fmac_f32 v174, v1, v39 :: v_dual_lshlrev_b32 v1, 16, v36
	s_delay_alu instid0(VALU_DEP_1)
	v_fmac_f32_e32 v174, v3, v2
	s_clause 0x1
	scratch_load_b32 v2, off, off offset:380
	scratch_load_b32 v3, off, off offset:412
	s_wait_loadcnt 0x1
	v_dual_fmac_f32 v173, v2, v1 :: v_dual_lshlrev_b32 v2, 16, v32
	v_and_b32_e32 v1, 0xffff0000, v32
	s_wait_loadcnt 0x0
	s_delay_alu instid0(VALU_DEP_2)
	v_fmac_f32_e32 v173, v3, v2
	s_clause 0x1
	scratch_load_b32 v2, off, off offset:408
	scratch_load_b32 v3, off, off offset:440
	s_wait_loadcnt 0x1
	v_fmac_f32_e32 v174, v2, v1
	v_and_b32_e32 v2, 0xffff0000, v28
	s_wait_loadcnt 0x0
	s_delay_alu instid0(VALU_DEP_1)
	v_dual_fmac_f32 v174, v3, v2 :: v_dual_lshlrev_b32 v1, 16, v28
	s_clause 0x1
	scratch_load_b32 v2, off, off offset:444
	scratch_load_b32 v3, off, off offset:476
	s_wait_loadcnt 0x1
	v_dual_fmac_f32 v173, v2, v1 :: v_dual_lshlrev_b32 v2, 16, v24
	v_and_b32_e32 v1, 0xffff0000, v24
	s_wait_loadcnt 0x0
	s_delay_alu instid0(VALU_DEP_2)
	v_fmac_f32_e32 v173, v3, v2
	s_clause 0x1
	scratch_load_b32 v2, off, off offset:472
	scratch_load_b32 v3, off, off offset:504
	s_wait_loadcnt 0x1
	v_fmac_f32_e32 v174, v2, v1
	v_and_b32_e32 v2, 0xffff0000, v20
	s_wait_loadcnt 0x0
	s_delay_alu instid0(VALU_DEP_1)
	v_dual_fmac_f32 v174, v3, v2 :: v_dual_lshlrev_b32 v1, 16, v20
	s_clause 0x1
	scratch_load_b32 v2, off, off offset:508
	scratch_load_b32 v3, off, off offset:540
	s_wait_loadcnt 0x1
	v_dual_fmac_f32 v173, v2, v1 :: v_dual_lshlrev_b32 v2, 16, v16
	v_and_b32_e32 v1, 0xffff0000, v16
	s_wait_loadcnt 0x0
	s_delay_alu instid0(VALU_DEP_2) | instskip(SKIP_3) | instid1(VALU_DEP_1)
	v_fmac_f32_e32 v173, v3, v2
	scratch_load_b32 v2, off, off offset:536 ; 4-byte Folded Reload
	s_wait_loadcnt 0x0
	v_dual_fmac_f32 v174, v2, v1 :: v_dual_lshlrev_b32 v1, 16, v12
	v_dual_fmac_f32 v173, v139, v1 :: v_dual_and_b32 v2, 0xffff0000, v12
	s_delay_alu instid0(VALU_DEP_1) | instskip(SKIP_1) | instid1(VALU_DEP_1)
	v_dual_fmac_f32 v174, v46, v2 :: v_dual_and_b32 v1, 0xffff0000, v8
	v_lshlrev_b32_e32 v2, 16, v8
	v_dual_fmac_f32 v174, v51, v1 :: v_dual_fmac_f32 v173, v52, v2
	v_lshlrev_b32_e32 v1, 16, v4
	s_delay_alu instid0(VALU_DEP_1) | instskip(NEXT) | instid1(VALU_DEP_1)
	v_dual_fmac_f32 v173, v60, v1 :: v_dual_and_b32 v2, 0xffff0000, v4
	v_fmac_f32_e32 v174, v59, v2
	global_load_b128 v[1:4], v[43:44], off offset:10240
	s_wait_loadcnt 0x0
	v_and_b32_e32 v165, 0xffff0000, v1
	v_lshlrev_b32_e32 v180, 16, v1
	v_and_b32_e32 v181, 0xffff0000, v2
	v_lshlrev_b32_e32 v182, 16, v2
	;; [unrolled: 2-line block ×4, first 2 shown]
	global_load_b128 v[1:4], v[43:44], off offset:10752
	v_dual_fmac_f32 v167, v62, v180 :: v_dual_fmac_f32 v168, v61, v165
	v_dual_fmac_f32 v169, v64, v182 :: v_dual_fmac_f32 v170, v63, v181
	;; [unrolled: 1-line block ×3, first 2 shown]
	s_wait_loadcnt 0x0
	v_dual_fmac_f32 v174, v67, v175 :: v_dual_lshlrev_b32 v185, 16, v1
	v_and_b32_e32 v186, 0xffff0000, v1
	v_lshlrev_b32_e32 v187, 16, v2
	v_and_b32_e32 v188, 0xffff0000, v2
	v_lshlrev_b32_e32 v189, 16, v3
	;; [unrolled: 2-line block ×3, first 2 shown]
	v_and_b32_e32 v178, 0xffff0000, v4
	s_clause 0x9
	global_load_b128 v[37:40], v[43:44], off offset:11264
	global_load_b128 v[33:36], v[43:44], off offset:11776
	;; [unrolled: 1-line block ×10, first 2 shown]
	v_dual_fmac_f32 v168, v69, v186 :: v_dual_fmac_f32 v167, v70, v185
	v_dual_fmac_f32 v170, v71, v188 :: v_dual_fmac_f32 v169, v72, v187
	;; [unrolled: 1-line block ×3, first 2 shown]
	s_wait_loadcnt 0x9
	v_dual_fmac_f32 v174, v75, v178 :: v_dual_and_b32 v43, 0xffff0000, v37
	s_delay_alu instid0(VALU_DEP_1) | instskip(NEXT) | instid1(VALU_DEP_1)
	v_dual_fmac_f32 v168, v77, v43 :: v_dual_lshlrev_b32 v37, 16, v37
	v_fmac_f32_e32 v167, v78, v37
	s_wait_loadcnt 0x8
	v_lshlrev_b32_e32 v37, 16, v33
	v_and_b32_e32 v33, 0xffff0000, v33
	s_delay_alu instid0(VALU_DEP_2) | instskip(NEXT) | instid1(VALU_DEP_2)
	v_fmac_f32_e32 v167, v86, v37
	v_fmac_f32_e32 v168, v85, v33
	s_wait_loadcnt 0x7
	v_and_b32_e32 v33, 0xffff0000, v29
	v_lshlrev_b32_e32 v29, 16, v29
	s_delay_alu instid0(VALU_DEP_2) | instskip(NEXT) | instid1(VALU_DEP_2)
	v_fmac_f32_e32 v168, v93, v33
	v_fmac_f32_e32 v167, v94, v29
	s_wait_loadcnt 0x6
	v_lshlrev_b32_e32 v29, 16, v25
	v_and_b32_e32 v25, 0xffff0000, v25
	s_delay_alu instid0(VALU_DEP_2) | instskip(NEXT) | instid1(VALU_DEP_2)
	v_fmac_f32_e32 v167, v29, v102
	v_fmac_f32_e32 v168, v25, v101
	s_wait_loadcnt 0x5
	v_and_b32_e32 v25, 0xffff0000, v21
	v_lshlrev_b32_e32 v21, 16, v21
	s_delay_alu instid0(VALU_DEP_2) | instskip(NEXT) | instid1(VALU_DEP_2)
	v_fmac_f32_e32 v168, v25, v109
	;; [unrolled: 12-line block ×3, first 2 shown]
	v_fmac_f32_e32 v167, v13, v126
	s_wait_loadcnt 0x2
	v_lshlrev_b32_e32 v13, 16, v9
	v_and_b32_e32 v9, 0xffff0000, v9
	s_delay_alu instid0(VALU_DEP_2) | instskip(NEXT) | instid1(VALU_DEP_2)
	v_fmac_f32_e32 v167, v13, v134
	v_fmac_f32_e32 v168, v9, v133
	s_wait_loadcnt 0x1
	v_and_b32_e32 v9, 0xffff0000, v5
	s_delay_alu instid0(VALU_DEP_1) | instskip(NEXT) | instid1(VALU_DEP_1)
	v_dual_fmac_f32 v168, v9, v144 :: v_dual_lshlrev_b32 v5, 16, v5
	v_fmac_f32_e32 v167, v5, v145
	s_wait_loadcnt 0x0
	v_lshlrev_b32_e32 v5, 16, v1
	v_and_b32_e32 v1, 0xffff0000, v1
	s_delay_alu instid0(VALU_DEP_2) | instskip(NEXT) | instid1(VALU_DEP_2)
	v_fmac_f32_e32 v167, v5, v154
	v_dual_fmac_f32 v168, v1, v153 :: v_dual_and_b32 v1, 0xffff0000, v38
	s_delay_alu instid0(VALU_DEP_1) | instskip(NEXT) | instid1(VALU_DEP_1)
	v_dual_fmac_f32 v170, v79, v1 :: v_dual_lshlrev_b32 v5, 16, v38
	v_fmac_f32_e32 v169, v80, v5
	v_lshlrev_b32_e32 v1, 16, v34
	v_and_b32_e32 v5, 0xffff0000, v34
	s_delay_alu instid0(VALU_DEP_2) | instskip(NEXT) | instid1(VALU_DEP_2)
	v_fmac_f32_e32 v169, v88, v1
	v_dual_fmac_f32 v170, v87, v5 :: v_dual_and_b32 v1, 0xffff0000, v30
	s_delay_alu instid0(VALU_DEP_1) | instskip(NEXT) | instid1(VALU_DEP_1)
	v_dual_fmac_f32 v170, v95, v1 :: v_dual_lshlrev_b32 v5, 16, v30
	v_fmac_f32_e32 v169, v96, v5
	;; [unrolled: 8-line block ×4, first 2 shown]
	v_lshlrev_b32_e32 v1, 16, v10
	v_and_b32_e32 v5, 0xffff0000, v10
	s_delay_alu instid0(VALU_DEP_2) | instskip(NEXT) | instid1(VALU_DEP_2)
	v_fmac_f32_e32 v169, v1, v136
	v_dual_fmac_f32 v170, v5, v135 :: v_dual_and_b32 v1, 0xffff0000, v6
	v_lshlrev_b32_e32 v5, 16, v6
	s_delay_alu instid0(VALU_DEP_2) | instskip(NEXT) | instid1(VALU_DEP_2)
	v_fmac_f32_e32 v170, v1, v146
	v_fmac_f32_e32 v169, v5, v147
	v_lshlrev_b32_e32 v1, 16, v2
	s_delay_alu instid0(VALU_DEP_1) | instskip(NEXT) | instid1(VALU_DEP_1)
	v_dual_fmac_f32 v169, v1, v156 :: v_dual_and_b32 v2, 0xffff0000, v2
	v_fmac_f32_e32 v170, v2, v155
	v_and_b32_e32 v1, 0xffff0000, v39
	v_lshlrev_b32_e32 v2, 16, v39
	s_delay_alu instid0(VALU_DEP_1) | instskip(SKIP_1) | instid1(VALU_DEP_1)
	v_dual_fmac_f32 v172, v81, v1 :: v_dual_fmac_f32 v171, v82, v2
	v_lshlrev_b32_e32 v1, 16, v35
	v_dual_fmac_f32 v171, v90, v1 :: v_dual_and_b32 v2, 0xffff0000, v35
	s_delay_alu instid0(VALU_DEP_1) | instskip(SKIP_1) | instid1(VALU_DEP_1)
	v_dual_fmac_f32 v172, v89, v2 :: v_dual_and_b32 v1, 0xffff0000, v31
	v_lshlrev_b32_e32 v2, 16, v31
	v_dual_fmac_f32 v172, v97, v1 :: v_dual_fmac_f32 v171, v98, v2
	v_lshlrev_b32_e32 v1, 16, v27
	s_delay_alu instid0(VALU_DEP_1) | instskip(NEXT) | instid1(VALU_DEP_1)
	v_dual_fmac_f32 v171, v1, v106 :: v_dual_and_b32 v2, 0xffff0000, v27
	v_dual_fmac_f32 v172, v2, v105 :: v_dual_and_b32 v1, 0xffff0000, v23
	v_lshlrev_b32_e32 v2, 16, v23
	s_delay_alu instid0(VALU_DEP_1) | instskip(SKIP_1) | instid1(VALU_DEP_1)
	v_dual_fmac_f32 v172, v1, v113 :: v_dual_fmac_f32 v171, v2, v114
	v_lshlrev_b32_e32 v1, 16, v19
	v_dual_fmac_f32 v171, v1, v122 :: v_dual_and_b32 v2, 0xffff0000, v19
	s_delay_alu instid0(VALU_DEP_1) | instskip(SKIP_1) | instid1(VALU_DEP_1)
	v_dual_fmac_f32 v172, v2, v121 :: v_dual_and_b32 v1, 0xffff0000, v15
	v_lshlrev_b32_e32 v2, 16, v15
	v_dual_fmac_f32 v172, v1, v129 :: v_dual_fmac_f32 v171, v2, v130
	v_lshlrev_b32_e32 v1, 16, v11
	s_delay_alu instid0(VALU_DEP_1) | instskip(NEXT) | instid1(VALU_DEP_1)
	v_dual_fmac_f32 v171, v1, v138 :: v_dual_and_b32 v2, 0xffff0000, v11
	v_dual_fmac_f32 v172, v2, v137 :: v_dual_and_b32 v1, 0xffff0000, v7
	v_lshlrev_b32_e32 v2, 16, v7
	s_delay_alu instid0(VALU_DEP_1) | instskip(SKIP_2) | instid1(VALU_DEP_1)
	v_dual_fmac_f32 v172, v1, v148 :: v_dual_fmac_f32 v171, v2, v149
	v_lshlrev_b32_e32 v1, 16, v3
	v_dual_fmac_f32 v173, v68, v176 :: v_dual_and_b32 v2, 0xffff0000, v3
	v_dual_fmac_f32 v171, v1, v158 :: v_dual_fmac_f32 v172, v2, v157
	s_delay_alu instid0(VALU_DEP_2) | instskip(SKIP_2) | instid1(VALU_DEP_1)
	v_fmac_f32_e32 v173, v76, v177
	v_and_b32_e32 v1, 0xffff0000, v40
	v_lshlrev_b32_e32 v2, 16, v40
	v_dual_fmac_f32 v174, v83, v1 :: v_dual_fmac_f32 v173, v84, v2
	v_lshlrev_b32_e32 v1, 16, v36
	s_delay_alu instid0(VALU_DEP_1) | instskip(NEXT) | instid1(VALU_DEP_1)
	v_dual_fmac_f32 v173, v92, v1 :: v_dual_and_b32 v2, 0xffff0000, v36
	v_dual_fmac_f32 v174, v91, v2 :: v_dual_and_b32 v1, 0xffff0000, v32
	v_lshlrev_b32_e32 v2, 16, v32
	s_delay_alu instid0(VALU_DEP_1) | instskip(SKIP_2) | instid1(VALU_DEP_1)
	v_dual_fmac_f32 v174, v99, v1 :: v_dual_fmac_f32 v173, v100, v2
	v_lshlrev_b32_e32 v1, 16, v28
	v_and_b32_e32 v2, 0xffff0000, v28
	v_dual_fmac_f32 v173, v1, v108 :: v_dual_fmac_f32 v174, v2, v107
	v_and_b32_e32 v1, 0xffff0000, v24
	v_lshlrev_b32_e32 v2, 16, v24
	s_delay_alu instid0(VALU_DEP_1) | instskip(SKIP_2) | instid1(VALU_DEP_1)
	v_dual_fmac_f32 v174, v1, v115 :: v_dual_fmac_f32 v173, v2, v116
	v_lshlrev_b32_e32 v1, 16, v20
	v_and_b32_e32 v2, 0xffff0000, v20
	v_dual_fmac_f32 v173, v1, v124 :: v_dual_fmac_f32 v174, v2, v123
	v_and_b32_e32 v1, 0xffff0000, v16
	v_lshlrev_b32_e32 v2, 16, v16
	s_delay_alu instid0(VALU_DEP_1) | instskip(SKIP_1) | instid1(VALU_DEP_1)
	v_dual_fmac_f32 v174, v1, v131 :: v_dual_fmac_f32 v173, v2, v132
	v_lshlrev_b32_e32 v1, 16, v12
	v_dual_fmac_f32 v173, v1, v143 :: v_dual_and_b32 v2, 0xffff0000, v12
	s_delay_alu instid0(VALU_DEP_1) | instskip(SKIP_1) | instid1(VALU_DEP_1)
	v_dual_fmac_f32 v174, v2, v142 :: v_dual_and_b32 v1, 0xffff0000, v8
	v_lshlrev_b32_e32 v2, 16, v8
	v_dual_fmac_f32 v174, v1, v150 :: v_dual_fmac_f32 v173, v2, v151
	v_lshlrev_b32_e32 v1, 16, v4
	v_and_b32_e32 v2, 0xffff0000, v4
	s_delay_alu instid0(VALU_DEP_2) | instskip(NEXT) | instid1(VALU_DEP_2)
	v_fmac_f32_e32 v173, v1, v160
	v_dual_add_f32 v1, v167, v168 :: v_dual_fmac_f32 v174, v2, v159
	s_delay_alu instid0(VALU_DEP_1) | instskip(NEXT) | instid1(VALU_DEP_1)
	v_add_f32_e32 v1, v1, v169
	v_add_f32_e32 v1, v170, v1
	s_delay_alu instid0(VALU_DEP_1) | instskip(NEXT) | instid1(VALU_DEP_1)
	v_add_f32_e32 v1, v171, v1
	v_add_f32_e32 v1, v172, v1
	;; [unrolled: 3-line block ×3, first 2 shown]
	s_delay_alu instid0(VALU_DEP_1) | instskip(SKIP_1) | instid1(VALU_DEP_1)
	v_fmac_f32_e32 v166, s7, v1
	s_wait_alu 0xf1ff
	v_cndmask_b32_e64 v1, 0, v166, s4
	ds_store_b32 v161, v1
	v_max_num_f32_e32 v1, v152, v152
	v_add_nc_u32_e32 v161, 0x200, v161
	s_delay_alu instid0(VALU_DEP_2) | instskip(NEXT) | instid1(VALU_DEP_1)
	v_max_num_f32_e32 v1, v1, v166
	v_cndmask_b32_e64 v152, v152, v1, s4
	v_add_co_u32 v41, s4, v41, 16
	s_wait_alu 0xf1ff
	v_add_co_ci_u32_e64 v42, null, 0, v42, s4
	v_cmp_le_i32_e64 s4, s26, v141
	s_or_b32 s9, s4, s9
	s_wait_alu 0xfffe
	s_and_not1_b32 exec_lo, exec_lo, s9
	s_cbranch_execnz .LBB188_7
; %bb.8:
	s_or_b32 exec_lo, exec_lo, s9
	s_clause 0x4
	scratch_load_b32 v188, off, off offset:560
	scratch_load_b32 v189, off, off offset:564
	scratch_load_b32 v190, off, off offset:568
	scratch_load_b32 v15, off, off offset:572
	scratch_load_b32 v16, off, off offset:576
	v_lshlrev_b32_e32 v14, 2, v179
.LBB188_9:
	s_or_b32 exec_lo, exec_lo, s6
	v_mbcnt_lo_u32_b32 v0, -1, 0
	s_clause 0x2
	s_load_b128 s[8:11], s[0:1], 0x0
	s_load_b64 s[6:7], s[0:1], 0x10
	s_load_b64 s[24:25], s[0:1], 0x28
	v_max_num_f32_e32 v4, v152, v152
	v_xor_b32_e32 v1, 16, v0
	v_xor_b32_e32 v3, 8, v0
	s_delay_alu instid0(VALU_DEP_2) | instskip(SKIP_2) | instid1(VALU_DEP_3)
	v_cmp_gt_i32_e32 vcc_lo, 32, v1
	s_wait_alu 0xfffd
	v_cndmask_b32_e32 v1, v0, v1, vcc_lo
	v_cmp_gt_i32_e32 vcc_lo, 32, v3
	s_delay_alu instid0(VALU_DEP_2)
	v_lshlrev_b32_e32 v1, 2, v1
	s_wait_alu 0xfffd
	v_cndmask_b32_e32 v3, v0, v3, vcc_lo
	ds_bpermute_b32 v2, v1, v152
	s_wait_dscnt 0x0
	v_dual_max_num_f32 v5, v2, v2 :: v_dual_lshlrev_b32 v2, 2, v3
	s_delay_alu instid0(VALU_DEP_1)
	v_max_num_f32_e32 v3, v4, v5
	v_xor_b32_e32 v5, 4, v0
	ds_bpermute_b32 v4, v2, v3
	v_cmp_gt_i32_e32 vcc_lo, 32, v5
	s_wait_alu 0xfffd
	v_cndmask_b32_e32 v5, v0, v5, vcc_lo
	s_wait_dscnt 0x0
	v_max_num_f32_e32 v6, v4, v4
	s_delay_alu instid0(VALU_DEP_1)
	v_dual_max_num_f32 v3, v3, v6 :: v_dual_lshlrev_b32 v4, 2, v5
	v_xor_b32_e32 v6, 2, v0
	ds_bpermute_b32 v5, v4, v3
	v_cmp_gt_i32_e32 vcc_lo, 32, v6
	s_wait_dscnt 0x0
	s_wait_alu 0xfffd
	v_dual_cndmask_b32 v6, v0, v6 :: v_dual_max_num_f32 v5, v5, v5
	s_delay_alu instid0(VALU_DEP_1) | instskip(NEXT) | instid1(VALU_DEP_2)
	v_max_num_f32_e32 v3, v3, v5
	v_lshlrev_b32_e32 v143, 2, v6
	v_xor_b32_e32 v6, 1, v0
	s_delay_alu instid0(VALU_DEP_1)
	v_cmp_gt_i32_e32 vcc_lo, 32, v6
	s_wait_alu 0xfffd
	v_cndmask_b32_e32 v6, v0, v6, vcc_lo
	ds_bpermute_b32 v5, v143, v3
	s_wait_loadcnt 0x2
	v_cmp_eq_u32_e32 vcc_lo, 0, v190
	s_wait_dscnt 0x0
	v_dual_max_num_f32 v5, v5, v5 :: v_dual_lshlrev_b32 v142, 2, v6
	s_delay_alu instid0(VALU_DEP_1)
	v_max_num_f32_e32 v0, v3, v5
	v_lshlrev_b32_e32 v5, 2, v189
	ds_bpermute_b32 v3, v142, v0
	s_and_saveexec_b32 s0, vcc_lo
	s_cbranch_execz .LBB188_11
; %bb.10:
	s_wait_dscnt 0x0
	v_dual_max_num_f32 v3, v3, v3 :: v_dual_max_num_f32 v0, v0, v0
	s_delay_alu instid0(VALU_DEP_1)
	v_max_num_f32_e32 v0, v0, v3
	ds_store_b32 v5, v0 offset:512
.LBB188_11:
	s_or_b32 exec_lo, exec_lo, s0
	v_cmp_gt_u32_e64 s0, 4, v190
	v_mov_b32_e32 v0, 0xff7fffff
	s_wait_storecnt 0x0
	s_wait_loadcnt_dscnt 0x0
	s_barrier_signal -1
	s_barrier_wait -1
	global_inv scope:SCOPE_SE
	s_and_saveexec_b32 s1, s0
; %bb.12:
	ds_load_b32 v0, v16 offset:512
; %bb.13:
	s_or_b32 exec_lo, exec_lo, s1
	s_wait_dscnt 0x0
	ds_bpermute_b32 v3, v143, v0
	v_max_num_f32_e32 v0, v0, v0
	s_sub_co_i32 s1, s26, s29
	v_mov_b32_e32 v6, 0
	s_lshl_b32 s1, s1, 5
	s_delay_alu instid0(SALU_CYCLE_1) | instskip(NEXT) | instid1(SALU_CYCLE_1)
	s_add_co_i32 s1, s1, s12
	s_min_i32 s1, s1, s13
	s_delay_alu instid0(SALU_CYCLE_1) | instskip(NEXT) | instid1(SALU_CYCLE_1)
	s_sub_co_i32 s23, s1, s12
	v_cmp_gt_i32_e64 s1, s23, v188
	s_wait_dscnt 0x0
	v_max_num_f32_e32 v3, v3, v3
	s_delay_alu instid0(VALU_DEP_1) | instskip(SKIP_3) | instid1(VALU_DEP_1)
	v_max_num_f32_e32 v0, v0, v3
	ds_bpermute_b32 v3, v142, v0
	s_wait_dscnt 0x0
	v_max_num_f32_e32 v3, v3, v3
	v_max_num_f32_e32 v0, v0, v3
	v_lshl_add_u32 v3, v188, 2, 0x220
	ds_bpermute_b32 v0, v6, v0
	s_and_saveexec_b32 s29, s1
	s_cbranch_execz .LBB188_17
; %bb.14:
	v_lshl_add_u32 v7, v188, 2, 0x220
	v_mov_b32_e32 v6, 0
	v_mov_b32_e32 v8, v188
	s_mov_b32 s30, 0
.LBB188_15:                             ; =>This Inner Loop Header: Depth=1
	ds_load_b32 v9, v7
	v_add_nc_u32_e32 v8, 0x80, v8
	s_delay_alu instid0(VALU_DEP_1) | instskip(SKIP_4) | instid1(VALU_DEP_1)
	v_cmp_le_i32_e64 s4, s23, v8
	s_wait_alu 0xfffe
	s_or_b32 s30, s4, s30
	s_wait_dscnt 0x0
	v_sub_f32_e32 v9, v9, v0
	v_mul_f32_e32 v9, 0x3fb8aa3b, v9
	s_delay_alu instid0(VALU_DEP_1)
	v_exp_f32_e32 v9, v9
	ds_store_b32 v7, v9
	v_dual_add_f32 v6, v6, v9 :: v_dual_add_nc_u32 v7, 0x200, v7
	s_wait_alu 0xfffe
	s_and_not1_b32 exec_lo, exec_lo, s30
	s_cbranch_execnz .LBB188_15
; %bb.16:
	s_or_b32 exec_lo, exec_lo, s30
.LBB188_17:
	s_wait_alu 0xfffe
	s_or_b32 exec_lo, exec_lo, s29
	ds_bpermute_b32 v1, v1, v6
	s_wait_dscnt 0x0
	v_add_f32_e32 v1, v6, v1
	ds_bpermute_b32 v2, v2, v1
	s_wait_dscnt 0x0
	v_add_f32_e32 v1, v1, v2
	ds_bpermute_b32 v2, v4, v1
	s_wait_dscnt 0x0
	v_add_f32_e32 v1, v1, v2
	ds_bpermute_b32 v2, v143, v1
	s_wait_dscnt 0x0
	v_add_f32_e32 v1, v1, v2
	ds_bpermute_b32 v2, v142, v1
	s_wait_dscnt 0x0
	v_add_f32_e32 v1, v1, v2
	s_and_saveexec_b32 s4, vcc_lo
; %bb.18:
	ds_store_b32 v5, v1 offset:528
; %bb.19:
	s_wait_alu 0xfffe
	s_or_b32 exec_lo, exec_lo, s4
	s_wait_loadcnt_dscnt 0x0
	s_barrier_signal -1
	s_barrier_wait -1
	global_inv scope:SCOPE_SE
	s_and_saveexec_b32 s4, s0
; %bb.20:
	ds_load_b32 v1, v16 offset:528
; %bb.21:
	s_wait_alu 0xfffe
	s_or_b32 exec_lo, exec_lo, s4
	s_wait_dscnt 0x0
	ds_bpermute_b32 v2, v143, v1
	s_wait_dscnt 0x0
	v_add_f32_e32 v1, v1, v2
	ds_bpermute_b32 v2, v142, v1
	s_wait_dscnt 0x0
	v_dual_add_f32 v1, v1, v2 :: v_dual_mov_b32 v2, 0
	ds_bpermute_b32 v1, v2, v1
	s_and_saveexec_b32 s0, s1
	s_cbranch_execz .LBB188_24
; %bb.22:
	s_wait_dscnt 0x0
	v_add_f32_e32 v2, 0x358637bd, v1
	s_mov_b32 s1, 0
	s_delay_alu instid0(VALU_DEP_1) | instskip(SKIP_1) | instid1(VALU_DEP_2)
	v_div_scale_f32 v4, null, v2, v2, 1.0
	v_div_scale_f32 v7, vcc_lo, 1.0, v2, 1.0
	v_rcp_f32_e32 v5, v4
	s_delay_alu instid0(TRANS32_DEP_1) | instskip(NEXT) | instid1(VALU_DEP_1)
	v_fma_f32 v6, -v4, v5, 1.0
	v_fmac_f32_e32 v5, v6, v5
	s_delay_alu instid0(VALU_DEP_1) | instskip(NEXT) | instid1(VALU_DEP_1)
	v_mul_f32_e32 v6, v7, v5
	v_fma_f32 v8, -v4, v6, v7
	s_delay_alu instid0(VALU_DEP_1) | instskip(NEXT) | instid1(VALU_DEP_1)
	v_fmac_f32_e32 v6, v8, v5
	v_fma_f32 v4, -v4, v6, v7
	s_wait_alu 0xfffd
	s_delay_alu instid0(VALU_DEP_1) | instskip(NEXT) | instid1(VALU_DEP_1)
	v_div_fmas_f32 v4, v4, v5, v6
	v_div_fixup_f32 v2, v4, v2, 1.0
	v_mov_b32_e32 v4, v188
.LBB188_23:                             ; =>This Inner Loop Header: Depth=1
	ds_load_b32 v5, v3
	s_wait_dscnt 0x0
	v_dual_mul_f32 v5, v2, v5 :: v_dual_add_nc_u32 v4, 0x80, v4
	s_delay_alu instid0(VALU_DEP_1) | instskip(SKIP_3) | instid1(SALU_CYCLE_1)
	v_cmp_le_i32_e32 vcc_lo, s23, v4
	ds_store_b32 v3, v5
	v_add_nc_u32_e32 v3, 0x200, v3
	s_or_b32 s1, vcc_lo, s1
	s_and_not1_b32 exec_lo, exec_lo, s1
	s_cbranch_execnz .LBB188_23
.LBB188_24:
	s_or_b32 exec_lo, exec_lo, s0
	s_mul_i32 s0, s15, s16
	s_wait_loadcnt_dscnt 0x0
	s_mul_i32 s16, s0, s17
	s_mov_b32 s0, exec_lo
	s_barrier_signal -1
	s_barrier_wait -1
	global_inv scope:SCOPE_SE
	v_cmpx_eq_u32_e32 0, v188
	s_cbranch_execz .LBB188_26
; %bb.25:
	s_ashr_i32 s17, s16, 31
	s_mul_i32 s30, s15, ttmp9
	s_lshl_b32 s1, s28, 2
	s_lshl_b64 s[34:35], s[16:17], 2
	s_wait_alu 0xfffe
	s_ashr_i32 s31, s30, 31
	v_mov_b32_e32 v2, s1
	s_wait_kmcnt 0x0
	s_add_nc_u64 s[10:11], s[10:11], s[34:35]
	s_wait_alu 0xfffe
	s_lshl_b64 s[28:29], s[30:31], 2
	s_add_nc_u64 s[8:9], s[8:9], s[34:35]
	s_wait_alu 0xfffe
	s_add_nc_u64 s[10:11], s[10:11], s[28:29]
	s_add_nc_u64 s[8:9], s[8:9], s[28:29]
	s_clause 0x1
	global_store_b32 v2, v0, s[10:11]
	global_store_b32 v2, v1, s[8:9]
.LBB188_26:
	s_or_b32 exec_lo, exec_lo, s0
	v_dual_mov_b32 v174, 0 :: v_dual_mov_b32 v175, 0
	v_dual_mov_b32 v173, 0 :: v_dual_and_b32 v144, 3, v188
	v_dual_mov_b32 v176, 0 :: v_dual_mov_b32 v171, 0
	v_dual_mov_b32 v172, 0 :: v_dual_mov_b32 v169, 0
	;; [unrolled: 1-line block ×14, first 2 shown]
	v_mov_b32_e32 v146, 0
	s_and_saveexec_b32 s1, s3
	s_cbranch_execz .LBB188_94
; %bb.27:
	v_dual_mov_b32 v145, 0 :: v_dual_lshlrev_b32 v0, 3, v188
	v_dual_mov_b32 v146, 0 :: v_dual_lshlrev_b32 v1, 5, v144
	s_wait_kmcnt 0x0
	s_lshl_b64 s[8:9], s[20:21], 2
	s_delay_alu instid0(VALU_DEP_2)
	v_dual_mov_b32 v147, 0 :: v_dual_and_b32 v2, 24, v0
	v_dual_mov_b32 v148, 0 :: v_dual_and_b32 v3, 0xf8, v0
	v_lshl_or_b32 v1, v189, 7, v1
	v_or_b32_e32 v0, 0x1f00, v0
	s_wait_alu 0xfffe
	s_add_nc_u64 s[8:9], s[18:19], s[8:9]
	s_ashr_i32 s23, s22, 31
	s_wait_alu 0xfffe
	v_add_co_u32 v137, s0, s8, v14
	v_add3_u32 v177, s12, v15, v2
	v_dual_mov_b32 v149, 0 :: v_dual_add_nc_u32 v178, 0x220, v1
	s_wait_alu 0xf1ff
	v_add_co_ci_u32_e64 v138, null, s9, 0, s0
	v_dual_mov_b32 v150, 0 :: v_dual_lshlrev_b32 v139, 1, v3
	v_dual_mov_b32 v151, 0 :: v_dual_lshlrev_b32 v180, 1, v0
	v_dual_mov_b32 v152, 0 :: v_dual_mov_b32 v153, 0
	v_dual_mov_b32 v154, 0 :: v_dual_mov_b32 v155, 0
	;; [unrolled: 1-line block ×12, first 2 shown]
	v_mov_b32_e32 v174, 0
	s_mov_b32 s3, s5
	s_lshl_b64 s[4:5], s[22:23], 1
	s_add_co_i32 s8, s27, -1
	s_wait_alu 0xfffe
	s_add_nc_u64 s[4:5], s[24:25], s[4:5]
	s_mov_b32 s10, s13
	s_mov_b32 s9, 0
	s_branch .LBB188_29
.LBB188_28:                             ;   in Loop: Header=BB188_29 Depth=1
	s_wait_alu 0xfffe
	s_or_b32 exec_lo, exec_lo, s0
	s_wait_dscnt 0x1
	v_bfe_u32 v0, v93, 16, 1
	v_bfe_u32 v140, v94, 16, 1
	v_or_b32_e32 v141, 0x400000, v93
	v_cmp_u_f32_e32 vcc_lo, v93, v93
	v_or_b32_e32 v181, 0x400000, v94
	v_add3_u32 v0, v0, v93, 0x7fff
	v_bfe_u32 v182, v95, 16, 1
	v_add3_u32 v140, v140, v94, 0x7fff
	v_bfe_u32 v183, v96, 16, 1
	v_add_nc_u32_e32 v179, 4, v179
	s_wait_alu 0xfffd
	v_cndmask_b32_e32 v93, v0, v141, vcc_lo
	v_cmp_u_f32_e32 vcc_lo, v94, v94
	v_add3_u32 v94, v182, v95, 0x7fff
	s_wait_dscnt 0x0
	v_bfe_u32 v141, v85, 16, 1
	v_or_b32_e32 v182, 0x400000, v96
	v_add_co_u32 v137, s0, v137, 16
	s_wait_alu 0xfffd
	v_cndmask_b32_e32 v0, v140, v181, vcc_lo
	v_or_b32_e32 v140, 0x400000, v95
	v_cmp_u_f32_e32 vcc_lo, v95, v95
	v_add3_u32 v181, v183, v96, 0x7fff
	v_add3_u32 v95, v141, v85, 0x7fff
	v_bfe_u32 v141, v86, 16, 1
	s_wait_alu 0xfffd
	v_dual_cndmask_b32 v94, v94, v140 :: v_dual_add_nc_u32 v177, 0x80, v177
	v_cmp_u_f32_e32 vcc_lo, v96, v96
	v_or_b32_e32 v140, 0x400000, v85
	v_add3_u32 v141, v141, v86, 0x7fff
	v_and_b32_e32 v93, 0xffff0000, v93
	s_wait_alu 0xf1ff
	v_add_co_ci_u32_e64 v138, null, 0, v138, s0
	s_wait_alu 0xfffd
	v_cndmask_b32_e32 v96, v181, v182, vcc_lo
	v_cmp_u_f32_e32 vcc_lo, v85, v85
	v_bfe_u32 v85, v87, 16, 1
	v_or_b32_e32 v181, 0x400000, v86
	v_or_b32_e32 v182, 0x400000, v87
	s_wait_alu 0xfffd
	v_dual_cndmask_b32 v95, v95, v140 :: v_dual_add_nc_u32 v178, 0x200, v178
	v_cmp_u_f32_e32 vcc_lo, v86, v86
	v_and_b32_e32 v0, 0xffff0000, v0
	v_add3_u32 v85, v85, v87, 0x7fff
	v_bfe_u32 v86, v88, 16, 1
	v_and_b32_e32 v95, 0xffff0000, v95
	s_wait_alu 0xfffd
	v_cndmask_b32_e32 v141, v141, v181, vcc_lo
	v_cmp_u_f32_e32 vcc_lo, v87, v87
	s_wait_loadcnt 0x1
	v_and_b32_e32 v140, 0xffff0000, v133
	v_lshlrev_b32_e32 v87, 16, v133
	v_add3_u32 v133, v86, v88, 0x7fff
	s_wait_alu 0xfffd
	v_dual_cndmask_b32 v181, v85, v182 :: v_dual_and_b32 v86, 0xffff0000, v96
	v_mul_f32_e32 v140, v0, v140
	v_or_b32_e32 v182, 0x400000, v88
	v_dual_mul_f32 v87, v93, v87 :: v_dual_and_b32 v96, 0xffff0000, v134
	v_cmp_u_f32_e32 vcc_lo, v88, v88
	s_delay_alu instid0(VALU_DEP_4)
	v_bfe_u32 v85, v140, 16, 1
	v_and_b32_e32 v88, 0xffff0000, v94
	v_lshlrev_b32_e32 v94, 16, v134
	v_and_b32_e32 v134, 0xffff0000, v135
	v_lshlrev_b32_e32 v135, 16, v135
	v_add3_u32 v85, v85, v140, 0x7fff
	v_or_b32_e32 v183, 0x400000, v140
	s_delay_alu instid0(VALU_DEP_3)
	v_mul_f32_e32 v135, v95, v135
	s_wait_alu 0xfffd
	v_dual_cndmask_b32 v133, v133, v182 :: v_dual_mul_f32 v96, v86, v96
	v_cmp_u_f32_e32 vcc_lo, v140, v140
	v_bfe_u32 v182, v87, 16, 1
	v_bfe_u32 v186, v135, 16, 1
	s_wait_alu 0xfffd
	v_dual_cndmask_b32 v140, v85, v183 :: v_dual_and_b32 v85, 0xffff0000, v141
	s_delay_alu instid0(VALU_DEP_3) | instskip(SKIP_4) | instid1(VALU_DEP_3)
	v_add3_u32 v141, v182, v87, 0x7fff
	v_or_b32_e32 v182, 0x400000, v87
	v_bfe_u32 v183, v96, 16, 1
	v_cmp_u_f32_e32 vcc_lo, v87, v87
	v_and_b32_e32 v140, 0xffff0000, v140
	v_add3_u32 v87, v183, v96, 0x7fff
	s_wait_alu 0xfffd
	v_cndmask_b32_e32 v141, v141, v182, vcc_lo
	v_or_b32_e32 v182, 0x400000, v96
	v_cmp_u_f32_e32 vcc_lo, v96, v96
	s_delay_alu instid0(VALU_DEP_3) | instskip(SKIP_1) | instid1(VALU_DEP_3)
	v_dual_mul_f32 v134, v85, v134 :: v_dual_and_b32 v141, 0xffff0000, v141
	s_wait_alu 0xfffd
	v_dual_cndmask_b32 v96, v87, v182 :: v_dual_and_b32 v87, 0xffff0000, v133
	v_and_b32_e32 v133, 0xffff0000, v136
	s_delay_alu instid0(VALU_DEP_3) | instskip(SKIP_2) | instid1(VALU_DEP_4)
	v_bfe_u32 v184, v134, 16, 1
	v_or_b32_e32 v185, 0x400000, v134
	v_lshlrev_b32_e32 v136, 16, v136
	v_dual_mul_f32 v133, v87, v133 :: v_dual_and_b32 v96, 0xffff0000, v96
	v_mul_f32_e32 v94, v88, v94
	v_add3_u32 v184, v184, v134, 0x7fff
	v_dual_add_f32 v140, v141, v140 :: v_dual_and_b32 v141, 0xffff0000, v129
	v_lshlrev_b32_e32 v129, 16, v129
	s_delay_alu instid0(VALU_DEP_4) | instskip(SKIP_1) | instid1(VALU_DEP_3)
	v_bfe_u32 v183, v94, 16, 1
	v_cmp_u_f32_e32 vcc_lo, v94, v94
	v_mul_f32_e32 v129, v93, v129
	s_delay_alu instid0(VALU_DEP_3) | instskip(SKIP_2) | instid1(VALU_DEP_1)
	v_add3_u32 v182, v183, v94, 0x7fff
	v_or_b32_e32 v183, 0x400000, v94
	s_wait_alu 0xfffd
	v_cndmask_b32_e32 v182, v182, v183, vcc_lo
	v_cmp_u_f32_e32 vcc_lo, v134, v134
	v_add3_u32 v183, v186, v135, 0x7fff
	s_delay_alu instid0(VALU_DEP_3)
	v_and_b32_e32 v182, 0xffff0000, v182
	s_wait_alu 0xfffd
	v_cndmask_b32_e32 v134, v184, v185, vcc_lo
	v_or_b32_e32 v184, 0x400000, v135
	v_bfe_u32 v185, v133, 16, 1
	v_cmp_u_f32_e32 vcc_lo, v135, v135
	v_add_f32_e32 v96, v182, v96
	s_wait_alu 0xfffd
	v_cndmask_b32_e32 v135, v183, v184, vcc_lo
	v_or_b32_e32 v183, 0x400000, v133
	v_cmp_u_f32_e32 vcc_lo, v133, v133
	v_and_b32_e32 v94, 0xffff0000, v181
	v_add3_u32 v181, v185, v133, 0x7fff
	v_and_b32_e32 v135, 0xffff0000, v135
	s_wait_alu 0xfffd
	s_delay_alu instid0(VALU_DEP_2) | instskip(SKIP_2) | instid1(VALU_DEP_3)
	v_dual_cndmask_b32 v133, v181, v183 :: v_dual_mul_f32 v136, v94, v136
	v_and_b32_e32 v183, 0xffff0000, v132
	v_and_b32_e32 v134, 0xffff0000, v134
	v_and_b32_e32 v133, 0xffff0000, v133
	s_delay_alu instid0(VALU_DEP_4) | instskip(SKIP_3) | instid1(VALU_DEP_4)
	v_bfe_u32 v181, v136, 16, 1
	v_or_b32_e32 v182, 0x400000, v136
	v_cmp_u_f32_e32 vcc_lo, v136, v136
	v_add_f32_e32 v134, v135, v134
	v_add3_u32 v181, v181, v136, 0x7fff
	s_wait_alu 0xfffd
	s_delay_alu instid0(VALU_DEP_1)
	v_dual_cndmask_b32 v135, v181, v182 :: v_dual_add_f32 v96, v96, v140
	v_mul_f32_e32 v140, v0, v141
	v_and_b32_e32 v182, 0xffff0000, v131
	v_lshlrev_b32_e32 v131, 16, v131
	v_bfe_u32 v181, v129, 16, 1
	v_and_b32_e32 v135, 0xffff0000, v135
	v_bfe_u32 v136, v140, 16, 1
	v_or_b32_e32 v141, 0x400000, v140
	v_cmp_u_f32_e32 vcc_lo, v140, v140
	v_mul_f32_e32 v131, v95, v131
	v_add_f32_e32 v133, v135, v133
	v_add3_u32 v136, v136, v140, 0x7fff
	v_add3_u32 v140, v181, v129, 0x7fff
	s_delay_alu instid0(VALU_DEP_4) | instskip(SKIP_1) | instid1(VALU_DEP_3)
	v_or_b32_e32 v184, 0x400000, v131
	s_wait_alu 0xfffd
	v_cndmask_b32_e32 v136, v136, v141, vcc_lo
	v_or_b32_e32 v141, 0x400000, v129
	v_cmp_u_f32_e32 vcc_lo, v129, v129
	s_wait_alu 0xfffd
	s_delay_alu instid0(VALU_DEP_2) | instskip(SKIP_3) | instid1(VALU_DEP_3)
	v_dual_cndmask_b32 v129, v140, v141 :: v_dual_and_b32 v136, 0xffff0000, v136
	v_add_f32_e32 v96, v134, v96
	v_and_b32_e32 v134, 0xffff0000, v130
	v_lshlrev_b32_e32 v130, 16, v130
	v_dual_add_f32 v96, v133, v96 :: v_dual_and_b32 v129, 0xffff0000, v129
	s_delay_alu instid0(VALU_DEP_3) | instskip(NEXT) | instid1(VALU_DEP_2)
	v_mul_f32_e32 v134, v86, v134
	v_dual_mul_f32 v130, v88, v130 :: v_dual_add_f32 v129, v129, v136
	s_delay_alu instid0(VALU_DEP_3) | instskip(NEXT) | instid1(VALU_DEP_3)
	v_add_f32_e32 v146, v146, v96
	v_bfe_u32 v181, v134, 16, 1
	v_or_b32_e32 v141, 0x400000, v134
	v_cmp_u_f32_e32 vcc_lo, v134, v134
	s_delay_alu instid0(VALU_DEP_3) | instskip(SKIP_2) | instid1(VALU_DEP_2)
	v_add3_u32 v140, v181, v134, 0x7fff
	v_bfe_u32 v181, v130, 16, 1
	s_wait_alu 0xfffd
	v_cndmask_b32_e32 v134, v140, v141, vcc_lo
	s_delay_alu instid0(VALU_DEP_2) | instskip(SKIP_2) | instid1(VALU_DEP_4)
	v_add3_u32 v140, v181, v130, 0x7fff
	v_or_b32_e32 v141, 0x400000, v130
	v_cmp_u_f32_e32 vcc_lo, v130, v130
	v_and_b32_e32 v134, 0xffff0000, v134
	s_wait_alu 0xfffd
	s_delay_alu instid0(VALU_DEP_3) | instskip(SKIP_1) | instid1(VALU_DEP_2)
	v_cndmask_b32_e32 v130, v140, v141, vcc_lo
	v_bfe_u32 v140, v131, 16, 1
	v_and_b32_e32 v130, 0xffff0000, v130
	s_delay_alu instid0(VALU_DEP_2) | instskip(NEXT) | instid1(VALU_DEP_2)
	v_add3_u32 v140, v140, v131, 0x7fff
	v_add_f32_e32 v130, v130, v134
	s_delay_alu instid0(VALU_DEP_1) | instskip(NEXT) | instid1(VALU_DEP_1)
	v_dual_add_f32 v129, v130, v129 :: v_dual_mul_f32 v182, v85, v182
	v_bfe_u32 v181, v182, 16, 1
	v_cmp_u_f32_e32 vcc_lo, v182, v182
	s_delay_alu instid0(VALU_DEP_2) | instskip(SKIP_2) | instid1(VALU_DEP_2)
	v_add3_u32 v141, v181, v182, 0x7fff
	v_mul_f32_e32 v181, v87, v183
	v_or_b32_e32 v183, 0x400000, v182
	v_bfe_u32 v185, v181, 16, 1
	s_wait_alu 0xfffd
	s_delay_alu instid0(VALU_DEP_2) | instskip(SKIP_2) | instid1(VALU_DEP_2)
	v_cndmask_b32_e32 v141, v141, v183, vcc_lo
	v_cmp_u_f32_e32 vcc_lo, v131, v131
	s_wait_alu 0xfffd
	v_dual_cndmask_b32 v131, v140, v184 :: v_dual_and_b32 v134, 0xffff0000, v141
	v_add3_u32 v140, v185, v181, 0x7fff
	v_or_b32_e32 v184, 0x400000, v181
	s_delay_alu instid0(VALU_DEP_3) | instskip(NEXT) | instid1(VALU_DEP_1)
	v_and_b32_e32 v131, 0xffff0000, v131
	v_add_f32_e32 v130, v131, v134
	v_lshlrev_b32_e32 v132, 16, v132
	v_and_b32_e32 v134, 0xffff0000, v125
	v_lshlrev_b32_e32 v125, 16, v125
	s_delay_alu instid0(VALU_DEP_4) | instskip(NEXT) | instid1(VALU_DEP_2)
	v_add_f32_e32 v129, v130, v129
	v_dual_mul_f32 v132, v94, v132 :: v_dual_mul_f32 v125, v93, v125
	s_delay_alu instid0(VALU_DEP_1) | instskip(SKIP_2) | instid1(VALU_DEP_4)
	v_bfe_u32 v186, v132, 16, 1
	v_or_b32_e32 v183, 0x400000, v132
	v_cmp_u_f32_e32 vcc_lo, v132, v132
	v_bfe_u32 v96, v125, 16, 1
	v_or_b32_e32 v133, 0x400000, v125
	v_add3_u32 v182, v186, v132, 0x7fff
	s_delay_alu instid0(VALU_DEP_3) | instskip(SKIP_1) | instid1(VALU_DEP_2)
	v_add3_u32 v96, v96, v125, 0x7fff
	s_wait_alu 0xfffd
	v_cndmask_b32_e32 v132, v182, v183, vcc_lo
	v_cmp_u_f32_e32 vcc_lo, v181, v181
	s_delay_alu instid0(VALU_DEP_2) | instskip(SKIP_2) | instid1(VALU_DEP_1)
	v_and_b32_e32 v131, 0xffff0000, v132
	s_wait_alu 0xfffd
	v_cndmask_b32_e32 v136, v140, v184, vcc_lo
	v_and_b32_e32 v132, 0xffff0000, v136
	s_delay_alu instid0(VALU_DEP_1) | instskip(SKIP_1) | instid1(VALU_DEP_2)
	v_dual_add_f32 v130, v131, v132 :: v_dual_mul_f32 v131, v0, v134
	v_and_b32_e32 v134, 0xffff0000, v128
	v_dual_add_f32 v129, v130, v129 :: v_dual_lshlrev_b32 v128, 16, v128
	s_delay_alu instid0(VALU_DEP_3) | instskip(SKIP_1) | instid1(VALU_DEP_3)
	v_bfe_u32 v130, v131, 16, 1
	v_cmp_u_f32_e32 vcc_lo, v131, v131
	v_dual_mul_f32 v128, v94, v128 :: v_dual_add_f32 v147, v147, v129
	s_delay_alu instid0(VALU_DEP_3) | instskip(SKIP_2) | instid1(VALU_DEP_1)
	v_add3_u32 v129, v130, v131, 0x7fff
	v_or_b32_e32 v130, 0x400000, v131
	s_wait_alu 0xfffd
	v_cndmask_b32_e32 v129, v129, v130, vcc_lo
	v_cmp_u_f32_e32 vcc_lo, v125, v125
	s_delay_alu instid0(VALU_DEP_2) | instskip(SKIP_2) | instid1(VALU_DEP_1)
	v_and_b32_e32 v129, 0xffff0000, v129
	s_wait_alu 0xfffd
	v_cndmask_b32_e32 v96, v96, v133, vcc_lo
	v_and_b32_e32 v96, 0xffff0000, v96
	s_delay_alu instid0(VALU_DEP_1) | instskip(SKIP_4) | instid1(VALU_DEP_2)
	v_add_f32_e32 v96, v96, v129
	v_and_b32_e32 v129, 0xffff0000, v121
	v_and_b32_e32 v132, 0xffff0000, v126
	v_lshlrev_b32_e32 v121, 16, v121
	v_lshlrev_b32_e32 v126, 16, v126
	v_dual_mul_f32 v132, v86, v132 :: v_dual_mul_f32 v121, v93, v121
	s_delay_alu instid0(VALU_DEP_2) | instskip(SKIP_1) | instid1(VALU_DEP_3)
	v_dual_mul_f32 v125, v88, v126 :: v_dual_and_b32 v126, 0xffff0000, v127
	v_lshlrev_b32_e32 v127, 16, v127
	v_bfe_u32 v130, v132, 16, 1
	v_or_b32_e32 v131, 0x400000, v132
	v_cmp_u_f32_e32 vcc_lo, v132, v132
	v_bfe_u32 v133, v125, 16, 1
	v_mul_f32_e32 v126, v85, v126
	v_add3_u32 v130, v130, v132, 0x7fff
	v_mul_f32_e32 v127, v95, v127
	v_or_b32_e32 v132, 0x400000, v125
	s_wait_alu 0xfffd
	s_delay_alu instid0(VALU_DEP_3)
	v_cndmask_b32_e32 v130, v130, v131, vcc_lo
	v_add3_u32 v131, v133, v125, 0x7fff
	v_bfe_u32 v133, v126, 16, 1
	v_cmp_u_f32_e32 vcc_lo, v125, v125
	v_bfe_u32 v135, v127, 16, 1
	s_wait_alu 0xfffd
	v_dual_cndmask_b32 v125, v131, v132 :: v_dual_and_b32 v130, 0xffff0000, v130
	v_add3_u32 v131, v133, v126, 0x7fff
	v_mul_f32_e32 v132, v87, v134
	v_or_b32_e32 v133, 0x400000, v126
	v_cmp_u_f32_e32 vcc_lo, v126, v126
	v_add3_u32 v134, v135, v127, 0x7fff
	v_or_b32_e32 v135, 0x400000, v127
	v_bfe_u32 v136, v132, 16, 1
	v_and_b32_e32 v125, 0xffff0000, v125
	s_wait_alu 0xfffd
	v_cndmask_b32_e32 v126, v131, v133, vcc_lo
	v_cmp_u_f32_e32 vcc_lo, v127, v127
	v_or_b32_e32 v133, 0x400000, v132
	v_add3_u32 v131, v136, v132, 0x7fff
	v_add_f32_e32 v125, v125, v130
	s_wait_alu 0xfffd
	v_dual_cndmask_b32 v127, v134, v135 :: v_dual_and_b32 v126, 0xffff0000, v126
	v_bfe_u32 v134, v128, 16, 1
	v_cmp_u_f32_e32 vcc_lo, v132, v132
	v_dual_add_f32 v96, v125, v96 :: v_dual_mul_f32 v125, v0, v129
	s_delay_alu instid0(VALU_DEP_4) | instskip(NEXT) | instid1(VALU_DEP_4)
	v_and_b32_e32 v127, 0xffff0000, v127
	v_add3_u32 v132, v134, v128, 0x7fff
	s_wait_alu 0xfffd
	v_cndmask_b32_e32 v131, v131, v133, vcc_lo
	v_or_b32_e32 v133, 0x400000, v128
	v_cmp_u_f32_e32 vcc_lo, v128, v128
	v_add_f32_e32 v126, v127, v126
	v_bfe_u32 v129, v125, 16, 1
	v_bfe_u32 v130, v121, 16, 1
	s_wait_alu 0xfffd
	v_cndmask_b32_e32 v128, v132, v133, vcc_lo
	v_cmp_u_f32_e32 vcc_lo, v125, v125
	s_delay_alu instid0(VALU_DEP_2) | instskip(SKIP_3) | instid1(VALU_DEP_3)
	v_and_b32_e32 v127, 0xffff0000, v128
	v_and_b32_e32 v128, 0xffff0000, v131
	;; [unrolled: 1-line block ×3, first 2 shown]
	v_lshlrev_b32_e32 v123, 16, v123
	v_add_f32_e32 v127, v127, v128
	v_add3_u32 v128, v129, v125, 0x7fff
	v_or_b32_e32 v129, 0x400000, v125
	v_mul_f32_e32 v131, v85, v131
	v_mul_f32_e32 v123, v95, v123
	s_wait_alu 0xfffd
	s_delay_alu instid0(VALU_DEP_3)
	v_cndmask_b32_e32 v125, v128, v129, vcc_lo
	v_add3_u32 v128, v130, v121, 0x7fff
	v_or_b32_e32 v129, 0x400000, v121
	v_cmp_u_f32_e32 vcc_lo, v121, v121
	v_or_b32_e32 v133, 0x400000, v123
	v_and_b32_e32 v125, 0xffff0000, v125
	s_wait_alu 0xfffd
	v_cndmask_b32_e32 v121, v128, v129, vcc_lo
	s_delay_alu instid0(VALU_DEP_1) | instskip(NEXT) | instid1(VALU_DEP_1)
	v_dual_add_f32 v96, v126, v96 :: v_dual_and_b32 v121, 0xffff0000, v121
	v_dual_add_f32 v121, v121, v125 :: v_dual_and_b32 v126, 0xffff0000, v122
	v_lshlrev_b32_e32 v122, 16, v122
	s_delay_alu instid0(VALU_DEP_2) | instskip(NEXT) | instid1(VALU_DEP_2)
	v_mul_f32_e32 v126, v86, v126
	v_mul_f32_e32 v122, v88, v122
	s_delay_alu instid0(VALU_DEP_2) | instskip(SKIP_2) | instid1(VALU_DEP_3)
	v_bfe_u32 v130, v126, 16, 1
	v_or_b32_e32 v129, 0x400000, v126
	v_cmp_u_f32_e32 vcc_lo, v126, v126
	v_add3_u32 v128, v130, v126, 0x7fff
	v_bfe_u32 v130, v122, 16, 1
	s_wait_alu 0xfffd
	s_delay_alu instid0(VALU_DEP_2) | instskip(NEXT) | instid1(VALU_DEP_2)
	v_cndmask_b32_e32 v126, v128, v129, vcc_lo
	v_add3_u32 v128, v130, v122, 0x7fff
	v_or_b32_e32 v129, 0x400000, v122
	v_cmp_u_f32_e32 vcc_lo, v122, v122
	v_bfe_u32 v130, v131, 16, 1
	v_and_b32_e32 v126, 0xffff0000, v126
	s_wait_alu 0xfffd
	v_cndmask_b32_e32 v122, v128, v129, vcc_lo
	v_bfe_u32 v128, v123, 16, 1
	v_add3_u32 v129, v130, v131, 0x7fff
	v_cmp_u_f32_e32 vcc_lo, v131, v131
	s_delay_alu instid0(VALU_DEP_4) | instskip(NEXT) | instid1(VALU_DEP_4)
	v_and_b32_e32 v122, 0xffff0000, v122
	v_add3_u32 v128, v128, v123, 0x7fff
	s_delay_alu instid0(VALU_DEP_2) | instskip(NEXT) | instid1(VALU_DEP_1)
	v_add_f32_e32 v122, v122, v126
	v_dual_add_f32 v121, v122, v121 :: v_dual_and_b32 v132, 0xffff0000, v124
	s_delay_alu instid0(VALU_DEP_1) | instskip(SKIP_2) | instid1(VALU_DEP_1)
	v_mul_f32_e32 v130, v87, v132
	v_or_b32_e32 v132, 0x400000, v131
	s_wait_alu 0xfffd
	v_cndmask_b32_e32 v129, v129, v132, vcc_lo
	v_cmp_u_f32_e32 vcc_lo, v123, v123
	s_delay_alu instid0(VALU_DEP_2) | instskip(SKIP_2) | instid1(VALU_DEP_1)
	v_and_b32_e32 v125, 0xffff0000, v129
	s_wait_alu 0xfffd
	v_dual_cndmask_b32 v123, v128, v133 :: v_dual_add_f32 v96, v127, v96
	v_dual_add_f32 v148, v148, v96 :: v_dual_and_b32 v123, 0xffff0000, v123
	s_delay_alu instid0(VALU_DEP_1) | instskip(SKIP_2) | instid1(VALU_DEP_3)
	v_add_f32_e32 v122, v123, v125
	v_and_b32_e32 v123, 0xffff0000, v117
	v_lshlrev_b32_e32 v117, 16, v117
	v_dual_add_f32 v121, v122, v121 :: v_dual_lshlrev_b32 v124, 16, v124
	s_delay_alu instid0(VALU_DEP_2) | instskip(SKIP_2) | instid1(VALU_DEP_4)
	v_mul_f32_e32 v117, v93, v117
	v_bfe_u32 v134, v130, 16, 1
	v_or_b32_e32 v132, 0x400000, v130
	v_dual_mul_f32 v123, v0, v123 :: v_dual_mul_f32 v124, v94, v124
	s_delay_alu instid0(VALU_DEP_4) | instskip(NEXT) | instid1(VALU_DEP_4)
	v_bfe_u32 v96, v117, 16, 1
	v_add3_u32 v128, v134, v130, 0x7fff
	s_delay_alu instid0(VALU_DEP_3) | instskip(SKIP_3) | instid1(VALU_DEP_4)
	v_bfe_u32 v131, v124, 16, 1
	v_or_b32_e32 v133, 0x400000, v124
	v_cmp_u_f32_e32 vcc_lo, v124, v124
	v_add3_u32 v96, v96, v117, 0x7fff
	v_add3_u32 v131, v131, v124, 0x7fff
	s_wait_alu 0xfffd
	s_delay_alu instid0(VALU_DEP_1) | instskip(SKIP_1) | instid1(VALU_DEP_2)
	v_cndmask_b32_e32 v124, v131, v133, vcc_lo
	v_cmp_u_f32_e32 vcc_lo, v130, v130
	v_and_b32_e32 v124, 0xffff0000, v124
	s_wait_alu 0xfffd
	v_cndmask_b32_e32 v126, v128, v132, vcc_lo
	v_cmp_u_f32_e32 vcc_lo, v123, v123
	s_delay_alu instid0(VALU_DEP_2) | instskip(SKIP_1) | instid1(VALU_DEP_2)
	v_and_b32_e32 v125, 0xffff0000, v126
	v_or_b32_e32 v126, 0x400000, v117
	v_add_f32_e32 v122, v124, v125
	v_and_b32_e32 v124, 0xffff0000, v118
	v_bfe_u32 v125, v123, 16, 1
	s_delay_alu instid0(VALU_DEP_3) | instskip(NEXT) | instid1(VALU_DEP_3)
	v_dual_add_f32 v121, v122, v121 :: v_dual_lshlrev_b32 v118, 16, v118
	v_mul_f32_e32 v122, v86, v124
	s_delay_alu instid0(VALU_DEP_3) | instskip(SKIP_1) | instid1(VALU_DEP_4)
	v_add3_u32 v124, v125, v123, 0x7fff
	v_or_b32_e32 v125, 0x400000, v123
	v_add_f32_e32 v149, v149, v121
	s_delay_alu instid0(VALU_DEP_4) | instskip(SKIP_1) | instid1(VALU_DEP_3)
	v_bfe_u32 v127, v122, 16, 1
	s_wait_alu 0xfffd
	v_cndmask_b32_e32 v123, v124, v125, vcc_lo
	v_cmp_u_f32_e32 vcc_lo, v117, v117
	v_mul_f32_e32 v117, v88, v118
	v_and_b32_e32 v125, 0xffff0000, v119
	v_add3_u32 v118, v127, v122, 0x7fff
	v_or_b32_e32 v124, 0x400000, v122
	s_wait_alu 0xfffd
	v_dual_cndmask_b32 v96, v96, v126 :: v_dual_lshlrev_b32 v119, 16, v119
	v_bfe_u32 v126, v117, 16, 1
	v_cmp_u_f32_e32 vcc_lo, v122, v122
	v_mul_f32_e32 v122, v85, v125
	v_or_b32_e32 v125, 0x400000, v117
	v_dual_mul_f32 v119, v95, v119 :: v_dual_and_b32 v96, 0xffff0000, v96
	s_wait_alu 0xfffd
	v_cndmask_b32_e32 v118, v118, v124, vcc_lo
	v_add3_u32 v124, v126, v117, 0x7fff
	v_and_b32_e32 v126, 0xffff0000, v120
	v_bfe_u32 v127, v122, 16, 1
	v_cmp_u_f32_e32 vcc_lo, v117, v117
	v_bfe_u32 v128, v119, 16, 1
	v_and_b32_e32 v123, 0xffff0000, v123
	s_wait_alu 0xfffd
	v_dual_cndmask_b32 v117, v124, v125 :: v_dual_and_b32 v118, 0xffff0000, v118
	v_mul_f32_e32 v124, v87, v126
	v_add3_u32 v125, v127, v122, 0x7fff
	v_or_b32_e32 v126, 0x400000, v122
	v_cmp_u_f32_e32 vcc_lo, v122, v122
	v_add3_u32 v127, v128, v119, 0x7fff
	v_or_b32_e32 v128, 0x400000, v119
	v_bfe_u32 v129, v124, 16, 1
	s_wait_alu 0xfffd
	v_dual_cndmask_b32 v122, v125, v126 :: v_dual_and_b32 v117, 0xffff0000, v117
	v_cmp_u_f32_e32 vcc_lo, v119, v119
	v_or_b32_e32 v126, 0x400000, v124
	v_add3_u32 v125, v129, v124, 0x7fff
	s_delay_alu instid0(VALU_DEP_4) | instskip(SKIP_3) | instid1(VALU_DEP_3)
	v_dual_add_f32 v96, v96, v123 :: v_dual_add_f32 v117, v117, v118
	s_wait_alu 0xfffd
	v_cndmask_b32_e32 v119, v127, v128, vcc_lo
	v_cmp_u_f32_e32 vcc_lo, v124, v124
	v_add_f32_e32 v96, v117, v96
	s_delay_alu instid0(VALU_DEP_3)
	v_and_b32_e32 v118, 0xffff0000, v119
	s_wait_alu 0xfffd
	v_cndmask_b32_e32 v124, v125, v126, vcc_lo
	v_and_b32_e32 v126, 0xffff0000, v116
	v_lshlrev_b32_e32 v120, 16, v120
	v_and_b32_e32 v119, 0xffff0000, v113
	v_lshlrev_b32_e32 v113, 16, v113
	v_lshlrev_b32_e32 v116, 16, v116
	s_delay_alu instid0(VALU_DEP_3) | instskip(NEXT) | instid1(VALU_DEP_2)
	v_dual_mul_f32 v120, v94, v120 :: v_dual_mul_f32 v117, v0, v119
	v_dual_mul_f32 v113, v93, v113 :: v_dual_mul_f32 v116, v94, v116
	s_delay_alu instid0(VALU_DEP_2) | instskip(SKIP_1) | instid1(VALU_DEP_3)
	v_bfe_u32 v125, v120, 16, 1
	v_cmp_u_f32_e32 vcc_lo, v120, v120
	v_bfe_u32 v129, v116, 16, 1
	s_delay_alu instid0(VALU_DEP_3) | instskip(SKIP_3) | instid1(VALU_DEP_2)
	v_add3_u32 v123, v125, v120, 0x7fff
	v_or_b32_e32 v125, 0x400000, v120
	v_bfe_u32 v120, v117, 16, 1
	s_wait_alu 0xfffd
	v_cndmask_b32_e32 v119, v123, v125, vcc_lo
	v_and_b32_e32 v125, 0xffff0000, v115
	v_lshlrev_b32_e32 v115, 16, v115
	v_add3_u32 v120, v120, v117, 0x7fff
	v_bfe_u32 v123, v113, 16, 1
	v_cmp_u_f32_e32 vcc_lo, v117, v117
	v_mul_f32_e32 v125, v85, v125
	v_dual_mul_f32 v115, v95, v115 :: v_dual_and_b32 v122, 0xffff0000, v122
	v_and_b32_e32 v119, 0xffff0000, v119
	s_delay_alu instid0(VALU_DEP_2) | instskip(NEXT) | instid1(VALU_DEP_3)
	v_or_b32_e32 v127, 0x400000, v115
	v_add_f32_e32 v118, v118, v122
	v_or_b32_e32 v122, 0x400000, v117
	s_delay_alu instid0(VALU_DEP_2)
	v_add_f32_e32 v96, v118, v96
	v_and_b32_e32 v118, 0xffff0000, v114
	v_lshlrev_b32_e32 v114, 16, v114
	s_wait_alu 0xfffd
	v_cndmask_b32_e32 v117, v120, v122, vcc_lo
	v_add3_u32 v120, v123, v113, 0x7fff
	v_or_b32_e32 v122, 0x400000, v113
	v_mul_f32_e32 v118, v86, v118
	v_mul_f32_e32 v114, v88, v114
	v_cmp_u_f32_e32 vcc_lo, v113, v113
	v_and_b32_e32 v117, 0xffff0000, v117
	s_delay_alu instid0(VALU_DEP_4)
	v_bfe_u32 v123, v118, 16, 1
	s_wait_alu 0xfffd
	v_cndmask_b32_e32 v113, v120, v122, vcc_lo
	v_or_b32_e32 v122, 0x400000, v118
	v_cmp_u_f32_e32 vcc_lo, v118, v118
	v_add3_u32 v120, v123, v118, 0x7fff
	v_bfe_u32 v123, v114, 16, 1
	s_wait_alu 0xfffd
	s_delay_alu instid0(VALU_DEP_2) | instskip(NEXT) | instid1(VALU_DEP_2)
	v_dual_cndmask_b32 v118, v120, v122 :: v_dual_and_b32 v113, 0xffff0000, v113
	v_add3_u32 v120, v123, v114, 0x7fff
	v_or_b32_e32 v122, 0x400000, v114
	v_bfe_u32 v123, v125, 16, 1
	v_cmp_u_f32_e32 vcc_lo, v114, v114
	v_dual_add_f32 v113, v113, v117 :: v_dual_and_b32 v118, 0xffff0000, v118
	s_wait_alu 0xfffd
	v_cndmask_b32_e32 v114, v120, v122, vcc_lo
	v_bfe_u32 v120, v115, 16, 1
	v_add3_u32 v122, v123, v125, 0x7fff
	v_mul_f32_e32 v123, v87, v126
	v_or_b32_e32 v126, 0x400000, v125
	v_cmp_u_f32_e32 vcc_lo, v125, v125
	v_add3_u32 v120, v120, v115, 0x7fff
	v_add3_u32 v125, v129, v116, 0x7fff
	v_bfe_u32 v128, v123, 16, 1
	v_and_b32_e32 v114, 0xffff0000, v114
	s_wait_alu 0xfffd
	v_cndmask_b32_e32 v122, v122, v126, vcc_lo
	v_cmp_u_f32_e32 vcc_lo, v115, v115
	v_or_b32_e32 v126, 0x400000, v116
	v_add_f32_e32 v114, v114, v118
	s_delay_alu instid0(VALU_DEP_4)
	v_and_b32_e32 v117, 0xffff0000, v122
	s_wait_alu 0xfffd
	v_cndmask_b32_e32 v115, v120, v127, vcc_lo
	v_cmp_u_f32_e32 vcc_lo, v116, v116
	v_add3_u32 v120, v128, v123, 0x7fff
	v_or_b32_e32 v127, 0x400000, v123
	v_add_f32_e32 v113, v114, v113
	s_wait_alu 0xfffd
	v_dual_cndmask_b32 v116, v125, v126 :: v_dual_and_b32 v115, 0xffff0000, v115
	v_cmp_u_f32_e32 vcc_lo, v123, v123
	s_delay_alu instid0(VALU_DEP_2)
	v_dual_add_f32 v114, v115, v117 :: v_dual_and_b32 v115, 0xffff0000, v116
	s_wait_alu 0xfffd
	v_cndmask_b32_e32 v118, v120, v127, vcc_lo
	v_and_b32_e32 v120, 0xffff0000, v124
	v_and_b32_e32 v117, 0xffff0000, v109
	v_lshlrev_b32_e32 v109, 16, v109
	s_delay_alu instid0(VALU_DEP_4) | instskip(NEXT) | instid1(VALU_DEP_2)
	v_dual_add_f32 v113, v114, v113 :: v_dual_and_b32 v116, 0xffff0000, v118
	v_dual_add_f32 v118, v119, v120 :: v_dual_mul_f32 v109, v93, v109
	s_delay_alu instid0(VALU_DEP_2) | instskip(NEXT) | instid1(VALU_DEP_2)
	v_dual_add_f32 v114, v115, v116 :: v_dual_mul_f32 v115, v0, v117
	v_add_f32_e32 v96, v118, v96
	v_and_b32_e32 v116, 0xffff0000, v110
	s_delay_alu instid0(VALU_DEP_3) | instskip(NEXT) | instid1(VALU_DEP_4)
	v_dual_add_f32 v113, v114, v113 :: v_dual_lshlrev_b32 v110, 16, v110
	v_bfe_u32 v114, v115, 16, 1
	s_delay_alu instid0(VALU_DEP_4) | instskip(SKIP_1) | instid1(VALU_DEP_4)
	v_add_f32_e32 v150, v150, v96
	v_bfe_u32 v96, v109, 16, 1
	v_dual_mul_f32 v116, v86, v116 :: v_dual_add_f32 v151, v151, v113
	s_delay_alu instid0(VALU_DEP_4)
	v_add3_u32 v113, v114, v115, 0x7fff
	v_or_b32_e32 v114, 0x400000, v115
	v_cmp_u_f32_e32 vcc_lo, v115, v115
	v_add3_u32 v96, v96, v109, 0x7fff
	v_or_b32_e32 v117, 0x400000, v109
	v_or_b32_e32 v115, 0x400000, v116
	s_wait_alu 0xfffd
	v_dual_cndmask_b32 v113, v113, v114 :: v_dual_and_b32 v118, 0xffff0000, v112
	v_bfe_u32 v114, v116, 16, 1
	v_cmp_u_f32_e32 vcc_lo, v109, v109
	v_dual_mul_f32 v109, v88, v110 :: v_dual_and_b32 v110, 0xffff0000, v111
	v_lshlrev_b32_e32 v111, 16, v111
	s_delay_alu instid0(VALU_DEP_4)
	v_add3_u32 v114, v114, v116, 0x7fff
	s_wait_alu 0xfffd
	v_cndmask_b32_e32 v96, v96, v117, vcc_lo
	v_bfe_u32 v117, v109, 16, 1
	v_mul_f32_e32 v110, v85, v110
	v_cmp_u_f32_e32 vcc_lo, v116, v116
	v_mul_f32_e32 v111, v95, v111
	v_or_b32_e32 v116, 0x400000, v109
	v_lshlrev_b32_e32 v112, 16, v112
	s_wait_alu 0xfffd
	v_dual_cndmask_b32 v114, v114, v115 :: v_dual_and_b32 v113, 0xffff0000, v113
	v_add3_u32 v115, v117, v109, 0x7fff
	v_bfe_u32 v117, v110, 16, 1
	v_cmp_u_f32_e32 vcc_lo, v109, v109
	v_bfe_u32 v119, v111, 16, 1
	v_mul_f32_e32 v112, v94, v112
	s_wait_alu 0xfffd
	v_dual_cndmask_b32 v109, v115, v116 :: v_dual_and_b32 v114, 0xffff0000, v114
	v_add3_u32 v115, v117, v110, 0x7fff
	v_mul_f32_e32 v116, v87, v118
	v_or_b32_e32 v117, 0x400000, v110
	v_cmp_u_f32_e32 vcc_lo, v110, v110
	v_add3_u32 v118, v119, v111, 0x7fff
	v_or_b32_e32 v119, 0x400000, v111
	v_bfe_u32 v120, v116, 16, 1
	v_and_b32_e32 v109, 0xffff0000, v109
	s_wait_alu 0xfffd
	v_cndmask_b32_e32 v110, v115, v117, vcc_lo
	v_cmp_u_f32_e32 vcc_lo, v111, v111
	v_or_b32_e32 v117, 0x400000, v116
	v_add3_u32 v115, v120, v116, 0x7fff
	v_add_f32_e32 v109, v109, v114
	s_wait_alu 0xfffd
	v_dual_cndmask_b32 v111, v118, v119 :: v_dual_and_b32 v110, 0xffff0000, v110
	v_bfe_u32 v118, v112, 16, 1
	v_cmp_u_f32_e32 vcc_lo, v116, v116
	s_delay_alu instid0(VALU_DEP_3) | instskip(NEXT) | instid1(VALU_DEP_3)
	v_and_b32_e32 v111, 0xffff0000, v111
	v_add3_u32 v116, v118, v112, 0x7fff
	s_wait_alu 0xfffd
	v_cndmask_b32_e32 v115, v115, v117, vcc_lo
	v_or_b32_e32 v117, 0x400000, v112
	v_cmp_u_f32_e32 vcc_lo, v112, v112
	v_add_f32_e32 v110, v111, v110
	s_wait_alu 0xfffd
	s_delay_alu instid0(VALU_DEP_3) | instskip(SKIP_2) | instid1(VALU_DEP_3)
	v_cndmask_b32_e32 v112, v116, v117, vcc_lo
	v_and_b32_e32 v116, 0xffff0000, v108
	v_lshlrev_b32_e32 v108, 16, v108
	v_and_b32_e32 v111, 0xffff0000, v112
	v_and_b32_e32 v96, 0xffff0000, v96
	v_and_b32_e32 v112, 0xffff0000, v115
	v_and_b32_e32 v115, 0xffff0000, v107
	v_dual_mul_f32 v108, v94, v108 :: v_dual_lshlrev_b32 v107, 16, v107
	s_delay_alu instid0(VALU_DEP_4) | instskip(SKIP_4) | instid1(VALU_DEP_4)
	v_add_f32_e32 v96, v96, v113
	v_and_b32_e32 v113, 0xffff0000, v105
	v_lshlrev_b32_e32 v105, 16, v105
	v_add_f32_e32 v111, v111, v112
	v_mul_f32_e32 v115, v85, v115
	v_dual_add_f32 v96, v109, v96 :: v_dual_mul_f32 v109, v0, v113
	s_delay_alu instid0(VALU_DEP_4) | instskip(NEXT) | instid1(VALU_DEP_2)
	v_mul_f32_e32 v105, v93, v105
	v_dual_mul_f32 v107, v95, v107 :: v_dual_add_f32 v96, v110, v96
	s_delay_alu instid0(VALU_DEP_3) | instskip(SKIP_1) | instid1(VALU_DEP_4)
	v_bfe_u32 v113, v109, 16, 1
	v_and_b32_e32 v110, 0xffff0000, v106
	v_bfe_u32 v114, v105, 16, 1
	v_lshlrev_b32_e32 v106, 16, v106
	v_cmp_u_f32_e32 vcc_lo, v109, v109
	v_add3_u32 v112, v113, v109, 0x7fff
	v_or_b32_e32 v113, 0x400000, v109
	v_mul_f32_e32 v110, v86, v110
	v_mul_f32_e32 v106, v88, v106
	v_or_b32_e32 v117, 0x400000, v107
	s_wait_alu 0xfffd
	v_cndmask_b32_e32 v109, v112, v113, vcc_lo
	v_add3_u32 v112, v114, v105, 0x7fff
	v_or_b32_e32 v113, 0x400000, v105
	v_bfe_u32 v114, v110, 16, 1
	v_cmp_u_f32_e32 vcc_lo, v105, v105
	v_and_b32_e32 v109, 0xffff0000, v109
	s_wait_alu 0xfffd
	v_cndmask_b32_e32 v105, v112, v113, vcc_lo
	v_add3_u32 v112, v114, v110, 0x7fff
	v_or_b32_e32 v113, 0x400000, v110
	v_bfe_u32 v114, v106, 16, 1
	v_cmp_u_f32_e32 vcc_lo, v110, v110
	v_and_b32_e32 v105, 0xffff0000, v105
	s_wait_alu 0xfffd
	v_cndmask_b32_e32 v110, v112, v113, vcc_lo
	v_add3_u32 v112, v114, v106, 0x7fff
	v_or_b32_e32 v113, 0x400000, v106
	v_bfe_u32 v114, v115, 16, 1
	v_cmp_u_f32_e32 vcc_lo, v106, v106
	v_dual_add_f32 v105, v105, v109 :: v_dual_and_b32 v110, 0xffff0000, v110
	s_wait_alu 0xfffd
	v_cndmask_b32_e32 v106, v112, v113, vcc_lo
	v_bfe_u32 v112, v107, 16, 1
	v_add3_u32 v113, v114, v115, 0x7fff
	v_mul_f32_e32 v114, v87, v116
	v_or_b32_e32 v116, 0x400000, v115
	v_cmp_u_f32_e32 vcc_lo, v115, v115
	v_add3_u32 v112, v112, v107, 0x7fff
	v_bfe_u32 v115, v108, 16, 1
	v_bfe_u32 v118, v114, 16, 1
	s_wait_alu 0xfffd
	v_dual_cndmask_b32 v113, v113, v116 :: v_dual_and_b32 v106, 0xffff0000, v106
	v_cmp_u_f32_e32 vcc_lo, v107, v107
	v_add3_u32 v115, v115, v108, 0x7fff
	v_or_b32_e32 v116, 0x400000, v114
	s_delay_alu instid0(VALU_DEP_4)
	v_dual_add_f32 v106, v106, v110 :: v_dual_and_b32 v109, 0xffff0000, v113
	s_wait_alu 0xfffd
	v_cndmask_b32_e32 v107, v112, v117, vcc_lo
	v_or_b32_e32 v117, 0x400000, v108
	v_cmp_u_f32_e32 vcc_lo, v108, v108
	v_add3_u32 v112, v118, v114, 0x7fff
	v_add_f32_e32 v105, v106, v105
	s_wait_alu 0xfffd
	v_dual_cndmask_b32 v108, v115, v117 :: v_dual_and_b32 v107, 0xffff0000, v107
	v_cmp_u_f32_e32 vcc_lo, v114, v114
	s_delay_alu instid0(VALU_DEP_2) | instskip(SKIP_1) | instid1(VALU_DEP_4)
	v_add_f32_e32 v106, v107, v109
	v_and_b32_e32 v107, 0xffff0000, v101
	v_and_b32_e32 v108, 0xffff0000, v108
	s_wait_alu 0xfffd
	v_dual_cndmask_b32 v110, v112, v116 :: v_dual_lshlrev_b32 v101, 16, v101
	s_delay_alu instid0(VALU_DEP_3) | instskip(SKIP_1) | instid1(VALU_DEP_3)
	v_dual_add_f32 v96, v111, v96 :: v_dual_mul_f32 v107, v0, v107
	v_add_f32_e32 v105, v106, v105
	v_and_b32_e32 v109, 0xffff0000, v110
	s_delay_alu instid0(VALU_DEP_3) | instskip(NEXT) | instid1(VALU_DEP_4)
	v_dual_mul_f32 v101, v93, v101 :: v_dual_add_f32 v152, v152, v96
	v_cmp_u_f32_e32 vcc_lo, v107, v107
	s_delay_alu instid0(VALU_DEP_3) | instskip(SKIP_3) | instid1(VALU_DEP_4)
	v_add_f32_e32 v106, v108, v109
	v_and_b32_e32 v108, 0xffff0000, v102
	v_bfe_u32 v109, v107, 16, 1
	v_bfe_u32 v96, v101, 16, 1
	v_dual_add_f32 v105, v106, v105 :: v_dual_lshlrev_b32 v102, 16, v102
	s_delay_alu instid0(VALU_DEP_4) | instskip(NEXT) | instid1(VALU_DEP_4)
	v_mul_f32_e32 v106, v86, v108
	v_add3_u32 v108, v109, v107, 0x7fff
	v_or_b32_e32 v109, 0x400000, v107
	v_add3_u32 v96, v96, v101, 0x7fff
	v_or_b32_e32 v110, 0x400000, v101
	v_bfe_u32 v111, v106, 16, 1
	v_add_f32_e32 v153, v153, v105
	s_wait_alu 0xfffd
	v_cndmask_b32_e32 v107, v108, v109, vcc_lo
	v_cmp_u_f32_e32 vcc_lo, v101, v101
	v_mul_f32_e32 v101, v88, v102
	v_and_b32_e32 v109, 0xffff0000, v103
	v_add3_u32 v102, v111, v106, 0x7fff
	v_or_b32_e32 v108, 0x400000, v106
	s_wait_alu 0xfffd
	v_dual_cndmask_b32 v96, v96, v110 :: v_dual_lshlrev_b32 v103, 16, v103
	v_bfe_u32 v110, v101, 16, 1
	v_cmp_u_f32_e32 vcc_lo, v106, v106
	v_mul_f32_e32 v106, v85, v109
	v_or_b32_e32 v109, 0x400000, v101
	v_dual_mul_f32 v103, v95, v103 :: v_dual_and_b32 v96, 0xffff0000, v96
	s_wait_alu 0xfffd
	v_cndmask_b32_e32 v102, v102, v108, vcc_lo
	v_add3_u32 v108, v110, v101, 0x7fff
	v_and_b32_e32 v110, 0xffff0000, v104
	v_bfe_u32 v111, v106, 16, 1
	v_cmp_u_f32_e32 vcc_lo, v101, v101
	v_bfe_u32 v112, v103, 16, 1
	v_lshlrev_b32_e32 v104, 16, v104
	v_and_b32_e32 v107, 0xffff0000, v107
	s_wait_alu 0xfffd
	v_dual_cndmask_b32 v101, v108, v109 :: v_dual_and_b32 v102, 0xffff0000, v102
	v_mul_f32_e32 v108, v87, v110
	v_add3_u32 v109, v111, v106, 0x7fff
	v_or_b32_e32 v110, 0x400000, v106
	v_cmp_u_f32_e32 vcc_lo, v106, v106
	v_add3_u32 v111, v112, v103, 0x7fff
	v_or_b32_e32 v112, 0x400000, v103
	v_bfe_u32 v113, v108, 16, 1
	s_wait_alu 0xfffd
	v_dual_cndmask_b32 v106, v109, v110 :: v_dual_and_b32 v101, 0xffff0000, v101
	v_cmp_u_f32_e32 vcc_lo, v103, v103
	v_or_b32_e32 v110, 0x400000, v108
	v_add3_u32 v109, v113, v108, 0x7fff
	v_mul_f32_e32 v104, v94, v104
	s_wait_alu 0xfffd
	v_dual_add_f32 v96, v96, v107 :: v_dual_cndmask_b32 v103, v111, v112
	v_cmp_u_f32_e32 vcc_lo, v108, v108
	v_add_f32_e32 v101, v101, v102
	v_and_b32_e32 v106, 0xffff0000, v106
	s_delay_alu instid0(VALU_DEP_4) | instskip(SKIP_4) | instid1(VALU_DEP_3)
	v_and_b32_e32 v102, 0xffff0000, v103
	s_wait_alu 0xfffd
	v_dual_cndmask_b32 v108, v109, v110 :: v_dual_and_b32 v103, 0xffff0000, v97
	v_bfe_u32 v109, v104, 16, 1
	v_add_f32_e32 v96, v101, v96
	v_dual_add_f32 v102, v102, v106 :: v_dual_mul_f32 v101, v0, v103
	v_lshlrev_b32_e32 v97, 16, v97
	s_delay_alu instid0(VALU_DEP_4)
	v_add3_u32 v107, v109, v104, 0x7fff
	v_or_b32_e32 v109, 0x400000, v104
	v_cmp_u_f32_e32 vcc_lo, v104, v104
	v_bfe_u32 v104, v101, 16, 1
	v_dual_add_f32 v96, v102, v96 :: v_dual_mul_f32 v97, v93, v97
	s_wait_alu 0xfffd
	v_dual_cndmask_b32 v103, v107, v109 :: v_dual_and_b32 v102, 0xffff0000, v98
	s_delay_alu instid0(VALU_DEP_3) | instskip(SKIP_2) | instid1(VALU_DEP_4)
	v_add3_u32 v104, v104, v101, 0x7fff
	v_or_b32_e32 v106, 0x400000, v101
	v_bfe_u32 v107, v97, 16, 1
	v_mul_f32_e32 v102, v86, v102
	v_lshlrev_b32_e32 v98, 16, v98
	v_cmp_u_f32_e32 vcc_lo, v101, v101
	v_and_b32_e32 v109, 0xffff0000, v99
	v_lshlrev_b32_e32 v99, 16, v99
	v_and_b32_e32 v110, 0xffff0000, v100
	v_mul_f32_e32 v98, v88, v98
	s_wait_alu 0xfffd
	v_cndmask_b32_e32 v101, v104, v106, vcc_lo
	v_add3_u32 v104, v107, v97, 0x7fff
	v_or_b32_e32 v106, 0x400000, v97
	v_bfe_u32 v107, v102, 16, 1
	v_cmp_u_f32_e32 vcc_lo, v97, v97
	v_mul_f32_e32 v109, v85, v109
	v_dual_mul_f32 v99, v95, v99 :: v_dual_lshlrev_b32 v100, 16, v100
	v_and_b32_e32 v101, 0xffff0000, v101
	s_wait_alu 0xfffd
	v_cndmask_b32_e32 v97, v104, v106, vcc_lo
	v_add3_u32 v104, v107, v102, 0x7fff
	v_or_b32_e32 v106, 0x400000, v102
	v_bfe_u32 v107, v98, 16, 1
	v_cmp_u_f32_e32 vcc_lo, v102, v102
	v_mul_f32_e32 v100, v94, v100
	v_or_b32_e32 v111, 0x400000, v99
	v_and_b32_e32 v97, 0xffff0000, v97
	s_wait_alu 0xfffd
	v_dual_cndmask_b32 v102, v104, v106 :: v_dual_and_b32 v103, 0xffff0000, v103
	v_add3_u32 v104, v107, v98, 0x7fff
	v_or_b32_e32 v106, 0x400000, v98
	v_bfe_u32 v107, v109, 16, 1
	v_cmp_u_f32_e32 vcc_lo, v98, v98
	v_bfe_u32 v113, v100, 16, 1
	v_dual_add_f32 v97, v97, v101 :: v_dual_and_b32 v102, 0xffff0000, v102
	s_wait_alu 0xfffd
	v_cndmask_b32_e32 v98, v104, v106, vcc_lo
	v_bfe_u32 v104, v99, 16, 1
	v_add3_u32 v106, v107, v109, 0x7fff
	v_mul_f32_e32 v107, v87, v110
	v_or_b32_e32 v110, 0x400000, v109
	v_cmp_u_f32_e32 vcc_lo, v109, v109
	v_add3_u32 v104, v104, v99, 0x7fff
	v_add3_u32 v109, v113, v100, 0x7fff
	v_bfe_u32 v112, v107, 16, 1
	v_and_b32_e32 v98, 0xffff0000, v98
	s_wait_alu 0xfffd
	v_cndmask_b32_e32 v106, v106, v110, vcc_lo
	v_cmp_u_f32_e32 vcc_lo, v99, v99
	v_or_b32_e32 v110, 0x400000, v100
	v_add_f32_e32 v98, v98, v102
	s_delay_alu instid0(VALU_DEP_4)
	v_and_b32_e32 v101, 0xffff0000, v106
	s_wait_alu 0xfffd
	v_cndmask_b32_e32 v99, v104, v111, vcc_lo
	v_cmp_u_f32_e32 vcc_lo, v100, v100
	v_add3_u32 v104, v112, v107, 0x7fff
	v_or_b32_e32 v111, 0x400000, v107
	v_add_f32_e32 v97, v98, v97
	s_wait_alu 0xfffd
	v_dual_cndmask_b32 v100, v109, v110 :: v_dual_and_b32 v99, 0xffff0000, v99
	v_cmp_u_f32_e32 vcc_lo, v107, v107
	s_delay_alu instid0(VALU_DEP_2) | instskip(SKIP_2) | instid1(VALU_DEP_2)
	v_dual_add_f32 v98, v99, v101 :: v_dual_and_b32 v99, 0xffff0000, v100
	s_wait_alu 0xfffd
	v_dual_cndmask_b32 v102, v104, v111 :: v_dual_and_b32 v101, 0xffff0000, v89
	v_dual_add_f32 v97, v98, v97 :: v_dual_and_b32 v104, 0xffff0000, v108
	v_lshlrev_b32_e32 v89, 16, v89
	s_delay_alu instid0(VALU_DEP_3) | instskip(NEXT) | instid1(VALU_DEP_2)
	v_and_b32_e32 v100, 0xffff0000, v102
	v_dual_add_f32 v102, v103, v104 :: v_dual_mul_f32 v89, v93, v89
	s_delay_alu instid0(VALU_DEP_2) | instskip(SKIP_2) | instid1(VALU_DEP_4)
	v_dual_add_f32 v98, v99, v100 :: v_dual_mul_f32 v99, v0, v101
	v_and_b32_e32 v100, 0xffff0000, v90
	v_lshlrev_b32_e32 v90, 16, v90
	v_or_b32_e32 v101, 0x400000, v89
	s_delay_alu instid0(VALU_DEP_4) | instskip(SKIP_3) | instid1(VALU_DEP_4)
	v_add_f32_e32 v97, v98, v97
	v_bfe_u32 v98, v99, 16, 1
	v_cmp_u_f32_e32 vcc_lo, v99, v99
	v_mul_f32_e32 v100, v86, v100
	v_dual_mul_f32 v90, v88, v90 :: v_dual_add_f32 v155, v155, v97
	s_delay_alu instid0(VALU_DEP_4) | instskip(SKIP_1) | instid1(VALU_DEP_4)
	v_add3_u32 v97, v98, v99, 0x7fff
	v_or_b32_e32 v98, 0x400000, v99
	v_or_b32_e32 v99, 0x400000, v100
	s_wait_alu 0xfffd
	s_delay_alu instid0(VALU_DEP_2)
	v_dual_cndmask_b32 v97, v97, v98 :: v_dual_add_f32 v96, v102, v96
	v_cmp_u_f32_e32 vcc_lo, v89, v89
	v_bfe_u32 v98, v100, 16, 1
	v_and_b32_e32 v102, 0xffff0000, v92
	v_lshlrev_b32_e32 v92, 16, v92
	v_add_f32_e32 v154, v154, v96
	v_bfe_u32 v96, v89, 16, 1
	v_add3_u32 v98, v98, v100, 0x7fff
	s_delay_alu instid0(VALU_DEP_4) | instskip(NEXT) | instid1(VALU_DEP_3)
	v_dual_mul_f32 v92, v94, v92 :: v_dual_and_b32 v97, 0xffff0000, v97
	v_add3_u32 v96, v96, v89, 0x7fff
	s_wait_alu 0xfffd
	s_delay_alu instid0(VALU_DEP_1) | instskip(SKIP_4) | instid1(VALU_DEP_4)
	v_dual_cndmask_b32 v89, v96, v101 :: v_dual_and_b32 v96, 0xffff0000, v91
	v_lshlrev_b32_e32 v91, 16, v91
	v_bfe_u32 v101, v90, 16, 1
	v_cmp_u_f32_e32 vcc_lo, v100, v100
	v_or_b32_e32 v100, 0x400000, v90
	v_dual_mul_f32 v96, v85, v96 :: v_dual_mul_f32 v91, v95, v91
	s_wait_alu 0xfffd
	v_dual_cndmask_b32 v98, v98, v99 :: v_dual_and_b32 v89, 0xffff0000, v89
	v_add3_u32 v99, v101, v90, 0x7fff
	s_delay_alu instid0(VALU_DEP_3)
	v_bfe_u32 v101, v96, 16, 1
	v_cmp_u_f32_e32 vcc_lo, v90, v90
	v_bfe_u32 v103, v91, 16, 1
	v_add_f32_e32 v89, v89, v97
	v_and_b32_e32 v97, 0xffff0000, v81
	s_wait_alu 0xfffd
	v_dual_cndmask_b32 v90, v99, v100 :: v_dual_lshlrev_b32 v81, 16, v81
	v_add3_u32 v99, v101, v96, 0x7fff
	v_mul_f32_e32 v100, v87, v102
	v_or_b32_e32 v101, 0x400000, v96
	v_cmp_u_f32_e32 vcc_lo, v96, v96
	v_add3_u32 v102, v103, v91, 0x7fff
	v_or_b32_e32 v103, 0x400000, v91
	v_bfe_u32 v104, v100, 16, 1
	v_and_b32_e32 v90, 0xffff0000, v90
	s_wait_alu 0xfffd
	v_cndmask_b32_e32 v96, v99, v101, vcc_lo
	v_cmp_u_f32_e32 vcc_lo, v91, v91
	v_or_b32_e32 v101, 0x400000, v100
	v_add3_u32 v99, v104, v100, 0x7fff
	s_delay_alu instid0(VALU_DEP_4) | instskip(SKIP_4) | instid1(VALU_DEP_3)
	v_dual_mul_f32 v81, v93, v81 :: v_dual_and_b32 v96, 0xffff0000, v96
	s_wait_alu 0xfffd
	v_cndmask_b32_e32 v91, v102, v103, vcc_lo
	v_bfe_u32 v102, v92, 16, 1
	v_cmp_u_f32_e32 vcc_lo, v100, v100
	v_and_b32_e32 v91, 0xffff0000, v91
	s_delay_alu instid0(VALU_DEP_3) | instskip(SKIP_4) | instid1(VALU_DEP_3)
	v_add3_u32 v100, v102, v92, 0x7fff
	s_wait_alu 0xfffd
	v_cndmask_b32_e32 v99, v99, v101, vcc_lo
	v_or_b32_e32 v101, 0x400000, v92
	v_cmp_u_f32_e32 vcc_lo, v92, v92
	v_dual_add_f32 v91, v91, v96 :: v_dual_and_b32 v96, 0xffff0000, v99
	s_wait_alu 0xfffd
	s_delay_alu instid0(VALU_DEP_3) | instskip(SKIP_2) | instid1(VALU_DEP_3)
	v_dual_cndmask_b32 v92, v100, v101 :: v_dual_and_b32 v99, 0xffff0000, v83
	v_lshlrev_b32_e32 v83, 16, v83
	v_and_b32_e32 v100, 0xffff0000, v84
	v_dual_mul_f32 v99, v85, v99 :: v_dual_lshlrev_b32 v84, 16, v84
	s_delay_alu instid0(VALU_DEP_3) | instskip(NEXT) | instid1(VALU_DEP_2)
	v_dual_mul_f32 v83, v95, v83 :: v_dual_and_b32 v92, 0xffff0000, v92
	v_mul_f32_e32 v84, v94, v84
	s_delay_alu instid0(VALU_DEP_2) | instskip(SKIP_1) | instid1(VALU_DEP_4)
	v_add_f32_e32 v92, v92, v96
	v_and_b32_e32 v98, 0xffff0000, v98
	v_or_b32_e32 v101, 0x400000, v83
	s_delay_alu instid0(VALU_DEP_2) | instskip(SKIP_1) | instid1(VALU_DEP_2)
	v_add_f32_e32 v90, v90, v98
	v_bfe_u32 v98, v81, 16, 1
	v_add_f32_e32 v89, v90, v89
	v_mul_f32_e32 v90, v0, v97
	s_delay_alu instid0(VALU_DEP_2) | instskip(NEXT) | instid1(VALU_DEP_2)
	v_add_f32_e32 v89, v91, v89
	v_bfe_u32 v97, v90, 16, 1
	v_and_b32_e32 v91, 0xffff0000, v82
	v_lshlrev_b32_e32 v82, 16, v82
	v_cmp_u_f32_e32 vcc_lo, v90, v90
	s_delay_alu instid0(VALU_DEP_4) | instskip(SKIP_1) | instid1(VALU_DEP_4)
	v_add3_u32 v96, v97, v90, 0x7fff
	v_or_b32_e32 v97, 0x400000, v90
	v_dual_mul_f32 v91, v86, v91 :: v_dual_mul_f32 v82, v88, v82
	s_wait_alu 0xfffd
	s_delay_alu instid0(VALU_DEP_2)
	v_cndmask_b32_e32 v90, v96, v97, vcc_lo
	v_add3_u32 v96, v98, v81, 0x7fff
	v_or_b32_e32 v97, 0x400000, v81
	v_bfe_u32 v98, v91, 16, 1
	v_cmp_u_f32_e32 vcc_lo, v81, v81
	s_wait_alu 0xfffd
	s_delay_alu instid0(VALU_DEP_3) | instskip(NEXT) | instid1(VALU_DEP_3)
	v_dual_cndmask_b32 v81, v96, v97 :: v_dual_and_b32 v90, 0xffff0000, v90
	v_add3_u32 v96, v98, v91, 0x7fff
	v_or_b32_e32 v97, 0x400000, v91
	v_bfe_u32 v98, v82, 16, 1
	v_cmp_u_f32_e32 vcc_lo, v91, v91
	v_and_b32_e32 v81, 0xffff0000, v81
	s_wait_alu 0xfffd
	v_cndmask_b32_e32 v91, v96, v97, vcc_lo
	v_add3_u32 v96, v98, v82, 0x7fff
	v_or_b32_e32 v97, 0x400000, v82
	v_bfe_u32 v98, v99, 16, 1
	v_cmp_u_f32_e32 vcc_lo, v82, v82
	v_and_b32_e32 v91, 0xffff0000, v91
	s_wait_alu 0xfffd
	v_dual_add_f32 v81, v81, v90 :: v_dual_cndmask_b32 v82, v96, v97
	v_bfe_u32 v96, v83, 16, 1
	v_add3_u32 v97, v98, v99, 0x7fff
	v_mul_f32_e32 v98, v87, v100
	v_or_b32_e32 v100, 0x400000, v99
	v_cmp_u_f32_e32 vcc_lo, v99, v99
	v_add3_u32 v96, v96, v83, 0x7fff
	v_bfe_u32 v99, v84, 16, 1
	v_bfe_u32 v102, v98, 16, 1
	s_wait_alu 0xfffd
	v_dual_cndmask_b32 v97, v97, v100 :: v_dual_and_b32 v82, 0xffff0000, v82
	v_cmp_u_f32_e32 vcc_lo, v83, v83
	v_add3_u32 v99, v99, v84, 0x7fff
	v_or_b32_e32 v100, 0x400000, v98
	s_delay_alu instid0(VALU_DEP_4)
	v_add_f32_e32 v82, v82, v91
	v_and_b32_e32 v90, 0xffff0000, v97
	s_wait_alu 0xfffd
	v_cndmask_b32_e32 v83, v96, v101, vcc_lo
	v_or_b32_e32 v101, 0x400000, v84
	v_cmp_u_f32_e32 vcc_lo, v84, v84
	v_add3_u32 v96, v102, v98, 0x7fff
	v_add_f32_e32 v81, v82, v81
	s_wait_alu 0xfffd
	v_dual_cndmask_b32 v84, v99, v101 :: v_dual_and_b32 v83, 0xffff0000, v83
	v_cmp_u_f32_e32 vcc_lo, v98, v98
	s_delay_alu instid0(VALU_DEP_2) | instskip(NEXT) | instid1(VALU_DEP_3)
	v_dual_add_f32 v82, v83, v90 :: v_dual_and_b32 v83, 0xffff0000, v77
	v_and_b32_e32 v84, 0xffff0000, v84
	s_wait_alu 0xfffd
	v_cndmask_b32_e32 v91, v96, v100, vcc_lo
	v_lshlrev_b32_e32 v77, 16, v77
	v_add_f32_e32 v81, v82, v81
	v_mul_f32_e32 v83, v0, v83
	s_delay_alu instid0(VALU_DEP_3) | instskip(NEXT) | instid1(VALU_DEP_2)
	v_dual_mul_f32 v77, v93, v77 :: v_dual_and_b32 v90, 0xffff0000, v91
	v_cmp_u_f32_e32 vcc_lo, v83, v83
	s_delay_alu instid0(VALU_DEP_2) | instskip(SKIP_3) | instid1(VALU_DEP_4)
	v_add_f32_e32 v82, v84, v90
	v_and_b32_e32 v84, 0xffff0000, v78
	v_bfe_u32 v90, v83, 16, 1
	v_or_b32_e32 v91, 0x400000, v77
	v_dual_add_f32 v81, v82, v81 :: v_dual_lshlrev_b32 v78, 16, v78
	s_delay_alu instid0(VALU_DEP_4) | instskip(NEXT) | instid1(VALU_DEP_4)
	v_mul_f32_e32 v82, v86, v84
	v_add3_u32 v84, v90, v83, 0x7fff
	v_or_b32_e32 v90, 0x400000, v83
	s_delay_alu instid0(VALU_DEP_4) | instskip(SKIP_1) | instid1(VALU_DEP_2)
	v_dual_mul_f32 v78, v88, v78 :: v_dual_add_f32 v157, v157, v81
	s_wait_alu 0xfffd
	v_dual_cndmask_b32 v83, v84, v90 :: v_dual_and_b32 v90, 0xffff0000, v79
	v_lshlrev_b32_e32 v79, 16, v79
	v_cmp_u_f32_e32 vcc_lo, v77, v77
	s_delay_alu instid0(VALU_DEP_3) | instskip(NEXT) | instid1(VALU_DEP_3)
	v_and_b32_e32 v83, 0xffff0000, v83
	v_mul_f32_e32 v79, v95, v79
	v_add_f32_e32 v89, v92, v89
	v_bfe_u32 v92, v82, 16, 1
	s_delay_alu instid0(VALU_DEP_3) | instskip(NEXT) | instid1(VALU_DEP_3)
	v_bfe_u32 v96, v79, 16, 1
	v_add_f32_e32 v156, v156, v89
	v_bfe_u32 v89, v77, 16, 1
	s_delay_alu instid0(VALU_DEP_4) | instskip(NEXT) | instid1(VALU_DEP_2)
	v_add3_u32 v84, v92, v82, 0x7fff
	v_add3_u32 v89, v89, v77, 0x7fff
	s_wait_alu 0xfffd
	s_delay_alu instid0(VALU_DEP_1) | instskip(SKIP_3) | instid1(VALU_DEP_4)
	v_cndmask_b32_e32 v77, v89, v91, vcc_lo
	v_or_b32_e32 v89, 0x400000, v82
	v_cmp_u_f32_e32 vcc_lo, v82, v82
	v_bfe_u32 v91, v78, 16, 1
	v_and_b32_e32 v77, 0xffff0000, v77
	s_wait_alu 0xfffd
	v_cndmask_b32_e32 v82, v84, v89, vcc_lo
	v_mul_f32_e32 v84, v85, v90
	v_add3_u32 v89, v91, v78, 0x7fff
	v_or_b32_e32 v90, 0x400000, v78
	v_and_b32_e32 v91, 0xffff0000, v80
	v_cmp_u_f32_e32 vcc_lo, v78, v78
	v_bfe_u32 v92, v84, 16, 1
	v_lshlrev_b32_e32 v80, 16, v80
	v_dual_add_f32 v77, v77, v83 :: v_dual_and_b32 v82, 0xffff0000, v82
	s_wait_alu 0xfffd
	v_dual_cndmask_b32 v78, v89, v90 :: v_dual_mul_f32 v89, v87, v91
	v_add3_u32 v90, v92, v84, 0x7fff
	v_or_b32_e32 v91, 0x400000, v84
	v_cmp_u_f32_e32 vcc_lo, v84, v84
	v_add3_u32 v92, v96, v79, 0x7fff
	v_or_b32_e32 v96, 0x400000, v79
	v_bfe_u32 v97, v89, 16, 1
	v_and_b32_e32 v78, 0xffff0000, v78
	s_wait_alu 0xfffd
	v_cndmask_b32_e32 v84, v90, v91, vcc_lo
	v_cmp_u_f32_e32 vcc_lo, v79, v79
	v_or_b32_e32 v91, 0x400000, v89
	v_add3_u32 v90, v97, v89, 0x7fff
	v_mul_f32_e32 v80, v94, v80
	s_wait_alu 0xfffd
	v_dual_add_f32 v78, v78, v82 :: v_dual_cndmask_b32 v79, v92, v96
	v_cmp_u_f32_e32 vcc_lo, v89, v89
	v_and_b32_e32 v82, 0xffff0000, v73
	v_and_b32_e32 v83, 0xffff0000, v84
	s_delay_alu instid0(VALU_DEP_4)
	v_add_f32_e32 v77, v78, v77
	v_and_b32_e32 v79, 0xffff0000, v79
	s_wait_alu 0xfffd
	v_cndmask_b32_e32 v89, v90, v91, vcc_lo
	v_bfe_u32 v90, v80, 16, 1
	v_dual_mul_f32 v78, v0, v82 :: v_dual_lshlrev_b32 v73, 16, v73
	v_add_f32_e32 v79, v79, v83
	v_cmp_u_f32_e32 vcc_lo, v80, v80
	s_delay_alu instid0(VALU_DEP_4)
	v_add3_u32 v84, v90, v80, 0x7fff
	v_or_b32_e32 v90, 0x400000, v80
	v_bfe_u32 v82, v78, 16, 1
	v_add_f32_e32 v77, v79, v77
	v_mul_f32_e32 v73, v93, v73
	v_and_b32_e32 v79, 0xffff0000, v74
	s_wait_alu 0xfffd
	v_cndmask_b32_e32 v80, v84, v90, vcc_lo
	v_add3_u32 v82, v82, v78, 0x7fff
	v_or_b32_e32 v83, 0x400000, v78
	v_bfe_u32 v84, v73, 16, 1
	v_dual_mul_f32 v79, v86, v79 :: v_dual_lshlrev_b32 v74, 16, v74
	v_cmp_u_f32_e32 vcc_lo, v78, v78
	v_and_b32_e32 v90, 0xffff0000, v75
	v_lshlrev_b32_e32 v75, 16, v75
	s_delay_alu instid0(VALU_DEP_4)
	v_dual_mul_f32 v74, v88, v74 :: v_dual_and_b32 v91, 0xffff0000, v76
	s_wait_alu 0xfffd
	v_cndmask_b32_e32 v78, v82, v83, vcc_lo
	v_add3_u32 v82, v84, v73, 0x7fff
	v_or_b32_e32 v83, 0x400000, v73
	v_bfe_u32 v84, v79, 16, 1
	v_cmp_u_f32_e32 vcc_lo, v73, v73
	v_dual_mul_f32 v90, v85, v90 :: v_dual_mul_f32 v75, v95, v75
	v_lshlrev_b32_e32 v76, 16, v76
	s_wait_alu 0xfffd
	v_dual_cndmask_b32 v73, v82, v83 :: v_dual_and_b32 v78, 0xffff0000, v78
	v_add3_u32 v82, v84, v79, 0x7fff
	v_or_b32_e32 v83, 0x400000, v79
	v_bfe_u32 v84, v74, 16, 1
	v_cmp_u_f32_e32 vcc_lo, v79, v79
	v_mul_f32_e32 v76, v94, v76
	v_or_b32_e32 v92, 0x400000, v75
	v_and_b32_e32 v73, 0xffff0000, v73
	s_wait_alu 0xfffd
	v_cndmask_b32_e32 v79, v82, v83, vcc_lo
	v_add3_u32 v82, v84, v74, 0x7fff
	v_or_b32_e32 v83, 0x400000, v74
	v_bfe_u32 v84, v90, 16, 1
	v_cmp_u_f32_e32 vcc_lo, v74, v74
	v_bfe_u32 v97, v76, 16, 1
	v_and_b32_e32 v79, 0xffff0000, v79
	s_wait_alu 0xfffd
	v_dual_add_f32 v73, v73, v78 :: v_dual_cndmask_b32 v74, v82, v83
	v_bfe_u32 v82, v75, 16, 1
	v_add3_u32 v83, v84, v90, 0x7fff
	v_mul_f32_e32 v84, v87, v91
	v_or_b32_e32 v91, 0x400000, v90
	v_cmp_u_f32_e32 vcc_lo, v90, v90
	v_add3_u32 v82, v82, v75, 0x7fff
	v_add3_u32 v90, v97, v76, 0x7fff
	v_bfe_u32 v96, v84, 16, 1
	s_wait_alu 0xfffd
	v_dual_cndmask_b32 v83, v83, v91 :: v_dual_and_b32 v74, 0xffff0000, v74
	v_cmp_u_f32_e32 vcc_lo, v75, v75
	v_or_b32_e32 v91, 0x400000, v76
	s_delay_alu instid0(VALU_DEP_3)
	v_add_f32_e32 v74, v74, v79
	s_wait_alu 0xfffd
	v_dual_cndmask_b32 v75, v82, v92 :: v_dual_and_b32 v78, 0xffff0000, v83
	v_cmp_u_f32_e32 vcc_lo, v76, v76
	v_add3_u32 v82, v96, v84, 0x7fff
	v_or_b32_e32 v92, 0x400000, v84
	v_add_f32_e32 v73, v74, v73
	v_and_b32_e32 v75, 0xffff0000, v75
	s_wait_alu 0xfffd
	v_cndmask_b32_e32 v76, v90, v91, vcc_lo
	v_cmp_u_f32_e32 vcc_lo, v84, v84
	s_delay_alu instid0(VALU_DEP_2) | instskip(SKIP_3) | instid1(VALU_DEP_3)
	v_dual_add_f32 v74, v75, v78 :: v_dual_and_b32 v75, 0xffff0000, v76
	s_wait_alu 0xfffd
	v_dual_cndmask_b32 v79, v82, v92 :: v_dual_and_b32 v82, 0xffff0000, v89
	v_and_b32_e32 v78, 0xffff0000, v69
	v_add_f32_e32 v73, v74, v73
	v_lshlrev_b32_e32 v69, 16, v69
	s_delay_alu instid0(VALU_DEP_1) | instskip(NEXT) | instid1(VALU_DEP_1)
	v_dual_mul_f32 v69, v93, v69 :: v_dual_and_b32 v76, 0xffff0000, v79
	v_dual_add_f32 v74, v75, v76 :: v_dual_mul_f32 v75, v0, v78
	s_delay_alu instid0(VALU_DEP_2) | instskip(NEXT) | instid1(VALU_DEP_2)
	v_or_b32_e32 v78, 0x400000, v69
	v_dual_add_f32 v73, v74, v73 :: v_dual_and_b32 v80, 0xffff0000, v80
	s_delay_alu instid0(VALU_DEP_3) | instskip(SKIP_1) | instid1(VALU_DEP_3)
	v_bfe_u32 v74, v75, 16, 1
	v_cmp_u_f32_e32 vcc_lo, v75, v75
	v_add_f32_e32 v159, v159, v73
	s_delay_alu instid0(VALU_DEP_4) | instskip(NEXT) | instid1(VALU_DEP_4)
	v_add_f32_e32 v79, v80, v82
	v_add3_u32 v73, v74, v75, 0x7fff
	v_or_b32_e32 v74, 0x400000, v75
	v_and_b32_e32 v75, 0xffff0000, v71
	s_delay_alu instid0(VALU_DEP_4)
	v_dual_add_f32 v76, v79, v77 :: v_dual_lshlrev_b32 v71, 16, v71
	v_and_b32_e32 v77, 0xffff0000, v70
	s_wait_alu 0xfffd
	v_cndmask_b32_e32 v73, v73, v74, vcc_lo
	v_cmp_u_f32_e32 vcc_lo, v69, v69
	v_lshlrev_b32_e32 v70, 16, v70
	v_add_f32_e32 v158, v158, v76
	v_bfe_u32 v76, v69, 16, 1
	v_mul_f32_e32 v77, v86, v77
	s_delay_alu instid0(VALU_DEP_4) | instskip(SKIP_1) | instid1(VALU_DEP_4)
	v_dual_mul_f32 v70, v88, v70 :: v_dual_and_b32 v73, 0xffff0000, v73
	v_mul_f32_e32 v75, v85, v75
	v_add3_u32 v76, v76, v69, 0x7fff
	s_delay_alu instid0(VALU_DEP_4)
	v_bfe_u32 v74, v77, 16, 1
	v_mul_f32_e32 v71, v95, v71
	v_and_b32_e32 v79, 0xffff0000, v72
	s_wait_alu 0xfffd
	v_dual_cndmask_b32 v69, v76, v78 :: v_dual_lshlrev_b32 v72, 16, v72
	v_add3_u32 v74, v74, v77, 0x7fff
	v_or_b32_e32 v76, 0x400000, v77
	v_cmp_u_f32_e32 vcc_lo, v77, v77
	v_bfe_u32 v80, v71, 16, 1
	v_dual_mul_f32 v72, v94, v72 :: v_dual_and_b32 v69, 0xffff0000, v69
	s_delay_alu instid0(VALU_DEP_1)
	v_add_f32_e32 v69, v69, v73
	v_and_b32_e32 v73, 0xffff0000, v65
	v_lshlrev_b32_e32 v65, 16, v65
	v_bfe_u32 v78, v70, 16, 1
	s_wait_alu 0xfffd
	v_cndmask_b32_e32 v74, v74, v76, vcc_lo
	v_or_b32_e32 v77, 0x400000, v70
	v_cmp_u_f32_e32 vcc_lo, v70, v70
	v_mul_f32_e32 v65, v93, v65
	v_add3_u32 v76, v78, v70, 0x7fff
	v_bfe_u32 v78, v75, 16, 1
	v_and_b32_e32 v74, 0xffff0000, v74
	s_wait_alu 0xfffd
	s_delay_alu instid0(VALU_DEP_3) | instskip(NEXT) | instid1(VALU_DEP_3)
	v_cndmask_b32_e32 v70, v76, v77, vcc_lo
	v_add3_u32 v76, v78, v75, 0x7fff
	v_or_b32_e32 v78, 0x400000, v75
	v_cmp_u_f32_e32 vcc_lo, v75, v75
	v_mul_f32_e32 v77, v87, v79
	v_add3_u32 v79, v80, v71, 0x7fff
	v_or_b32_e32 v80, 0x400000, v71
	v_and_b32_e32 v70, 0xffff0000, v70
	s_wait_alu 0xfffd
	v_cndmask_b32_e32 v75, v76, v78, vcc_lo
	v_cmp_u_f32_e32 vcc_lo, v71, v71
	v_bfe_u32 v81, v77, 16, 1
	v_or_b32_e32 v78, 0x400000, v77
	v_add_f32_e32 v70, v70, v74
	s_wait_alu 0xfffd
	v_dual_cndmask_b32 v71, v79, v80 :: v_dual_and_b32 v74, 0xffff0000, v75
	v_add3_u32 v76, v81, v77, 0x7fff
	v_cmp_u_f32_e32 vcc_lo, v77, v77
	v_add_f32_e32 v69, v70, v69
	s_delay_alu instid0(VALU_DEP_4) | instskip(SKIP_3) | instid1(VALU_DEP_3)
	v_dual_mul_f32 v70, v0, v73 :: v_dual_and_b32 v71, 0xffff0000, v71
	v_bfe_u32 v75, v65, 16, 1
	s_wait_alu 0xfffd
	v_cndmask_b32_e32 v76, v76, v78, vcc_lo
	v_add_f32_e32 v71, v71, v74
	v_bfe_u32 v74, v70, 16, 1
	s_delay_alu instid0(VALU_DEP_3) | instskip(NEXT) | instid1(VALU_DEP_3)
	v_and_b32_e32 v73, 0xffff0000, v76
	v_add_f32_e32 v69, v71, v69
	v_and_b32_e32 v71, 0xffff0000, v66
	v_bfe_u32 v79, v72, 16, 1
	v_or_b32_e32 v78, 0x400000, v72
	v_cmp_u_f32_e32 vcc_lo, v72, v72
	s_delay_alu instid0(VALU_DEP_4) | instskip(NEXT) | instid1(VALU_DEP_4)
	v_dual_mul_f32 v71, v86, v71 :: v_dual_lshlrev_b32 v66, 16, v66
	v_add3_u32 v77, v79, v72, 0x7fff
	s_delay_alu instid0(VALU_DEP_2) | instskip(SKIP_1) | instid1(VALU_DEP_2)
	v_mul_f32_e32 v66, v88, v66
	s_wait_alu 0xfffd
	v_cndmask_b32_e32 v72, v77, v78, vcc_lo
	v_cmp_u_f32_e32 vcc_lo, v70, v70
	v_and_b32_e32 v77, 0xffff0000, v68
	s_delay_alu instid0(VALU_DEP_3) | instskip(NEXT) | instid1(VALU_DEP_1)
	v_and_b32_e32 v72, 0xffff0000, v72
	v_add_f32_e32 v72, v72, v73
	v_add3_u32 v73, v74, v70, 0x7fff
	v_or_b32_e32 v74, 0x400000, v70
	s_wait_alu 0xfffd
	s_delay_alu instid0(VALU_DEP_1)
	v_cndmask_b32_e32 v70, v73, v74, vcc_lo
	v_add3_u32 v73, v75, v65, 0x7fff
	v_or_b32_e32 v74, 0x400000, v65
	v_bfe_u32 v75, v71, 16, 1
	v_cmp_u_f32_e32 vcc_lo, v65, v65
	s_wait_alu 0xfffd
	s_delay_alu instid0(VALU_DEP_3) | instskip(NEXT) | instid1(VALU_DEP_3)
	v_cndmask_b32_e32 v65, v73, v74, vcc_lo
	v_add3_u32 v73, v75, v71, 0x7fff
	v_or_b32_e32 v74, 0x400000, v71
	v_bfe_u32 v75, v66, 16, 1
	v_cmp_u_f32_e32 vcc_lo, v71, v71
	v_and_b32_e32 v65, 0xffff0000, v65
	s_wait_alu 0xfffd
	v_cndmask_b32_e32 v71, v73, v74, vcc_lo
	v_add3_u32 v73, v75, v66, 0x7fff
	v_or_b32_e32 v74, 0x400000, v66
	v_cmp_u_f32_e32 vcc_lo, v66, v66
	s_delay_alu instid0(VALU_DEP_4) | instskip(SKIP_1) | instid1(VALU_DEP_3)
	v_and_b32_e32 v71, 0xffff0000, v71
	s_wait_alu 0xfffd
	v_dual_add_f32 v69, v72, v69 :: v_dual_cndmask_b32 v66, v73, v74
	s_delay_alu instid0(VALU_DEP_1) | instskip(NEXT) | instid1(VALU_DEP_1)
	v_and_b32_e32 v66, 0xffff0000, v66
	v_add_f32_e32 v66, v66, v71
	v_and_b32_e32 v76, 0xffff0000, v67
	s_delay_alu instid0(VALU_DEP_1) | instskip(NEXT) | instid1(VALU_DEP_1)
	v_dual_mul_f32 v76, v85, v76 :: v_dual_lshlrev_b32 v67, 16, v67
	v_mul_f32_e32 v67, v95, v67
	s_delay_alu instid0(VALU_DEP_2) | instskip(NEXT) | instid1(VALU_DEP_2)
	v_bfe_u32 v75, v76, 16, 1
	v_bfe_u32 v73, v67, 16, 1
	v_cmp_u_f32_e32 vcc_lo, v76, v76
	v_or_b32_e32 v78, 0x400000, v67
	s_delay_alu instid0(VALU_DEP_4) | instskip(SKIP_3) | instid1(VALU_DEP_3)
	v_add3_u32 v74, v75, v76, 0x7fff
	v_mul_f32_e32 v75, v87, v77
	v_or_b32_e32 v77, 0x400000, v76
	v_add3_u32 v73, v73, v67, 0x7fff
	v_bfe_u32 v79, v75, 16, 1
	s_wait_alu 0xfffd
	s_delay_alu instid0(VALU_DEP_3)
	v_cndmask_b32_e32 v74, v74, v77, vcc_lo
	v_cmp_u_f32_e32 vcc_lo, v67, v67
	v_or_b32_e32 v77, 0x400000, v75
	s_wait_alu 0xfffd
	v_cndmask_b32_e32 v67, v73, v78, vcc_lo
	v_add3_u32 v73, v79, v75, 0x7fff
	s_delay_alu instid0(VALU_DEP_2) | instskip(SKIP_1) | instid1(VALU_DEP_1)
	v_and_b32_e32 v67, 0xffff0000, v67
	v_and_b32_e32 v70, 0xffff0000, v70
	v_add_f32_e32 v65, v65, v70
	s_delay_alu instid0(VALU_DEP_1) | instskip(NEXT) | instid1(VALU_DEP_1)
	v_dual_add_f32 v65, v66, v65 :: v_dual_and_b32 v70, 0xffff0000, v74
	v_dual_add_f32 v66, v67, v70 :: v_dual_and_b32 v67, 0xffff0000, v61
	v_lshlrev_b32_e32 v68, 16, v68
	v_lshlrev_b32_e32 v61, 16, v61
	s_delay_alu instid0(VALU_DEP_3) | instskip(NEXT) | instid1(VALU_DEP_3)
	v_add_f32_e32 v65, v66, v65
	v_dual_mul_f32 v67, v0, v67 :: v_dual_mul_f32 v68, v94, v68
	s_delay_alu instid0(VALU_DEP_3) | instskip(NEXT) | instid1(VALU_DEP_2)
	v_mul_f32_e32 v61, v93, v61
	v_bfe_u32 v76, v68, 16, 1
	v_or_b32_e32 v78, 0x400000, v68
	v_cmp_u_f32_e32 vcc_lo, v68, v68
	s_delay_alu instid0(VALU_DEP_3) | instskip(SKIP_1) | instid1(VALU_DEP_1)
	v_add3_u32 v76, v76, v68, 0x7fff
	s_wait_alu 0xfffd
	v_cndmask_b32_e32 v68, v76, v78, vcc_lo
	v_cmp_u_f32_e32 vcc_lo, v75, v75
	s_wait_alu 0xfffd
	s_delay_alu instid0(VALU_DEP_2) | instskip(SKIP_1) | instid1(VALU_DEP_2)
	v_dual_cndmask_b32 v71, v73, v77 :: v_dual_and_b32 v68, 0xffff0000, v68
	v_cmp_u_f32_e32 vcc_lo, v67, v67
	v_and_b32_e32 v70, 0xffff0000, v71
	v_or_b32_e32 v71, 0x400000, v61
	s_delay_alu instid0(VALU_DEP_2) | instskip(SKIP_2) | instid1(VALU_DEP_3)
	v_add_f32_e32 v66, v68, v70
	v_and_b32_e32 v68, 0xffff0000, v62
	v_bfe_u32 v70, v67, 16, 1
	v_add_f32_e32 v65, v66, v65
	s_delay_alu instid0(VALU_DEP_3) | instskip(NEXT) | instid1(VALU_DEP_3)
	v_mul_f32_e32 v66, v86, v68
	v_add3_u32 v68, v70, v67, 0x7fff
	v_or_b32_e32 v70, 0x400000, v67
	s_delay_alu instid0(VALU_DEP_4) | instskip(SKIP_1) | instid1(VALU_DEP_2)
	v_add_f32_e32 v161, v161, v65
	s_wait_alu 0xfffd
	v_cndmask_b32_e32 v67, v68, v70, vcc_lo
	v_add_f32_e32 v160, v160, v69
	v_bfe_u32 v69, v61, 16, 1
	v_cmp_u_f32_e32 vcc_lo, v61, v61
	v_and_b32_e32 v70, 0xffff0000, v63
	v_and_b32_e32 v67, 0xffff0000, v67
	v_lshlrev_b32_e32 v63, 16, v63
	v_add3_u32 v69, v69, v61, 0x7fff
	s_delay_alu instid0(VALU_DEP_2) | instskip(SKIP_1) | instid1(VALU_DEP_2)
	v_mul_f32_e32 v63, v95, v63
	s_wait_alu 0xfffd
	v_cndmask_b32_e32 v61, v69, v71, vcc_lo
	s_delay_alu instid0(VALU_DEP_2) | instskip(NEXT) | instid1(VALU_DEP_2)
	v_bfe_u32 v73, v63, 16, 1
	v_and_b32_e32 v61, 0xffff0000, v61
	v_bfe_u32 v72, v66, 16, 1
	v_lshlrev_b32_e32 v62, 16, v62
	v_or_b32_e32 v69, 0x400000, v66
	v_cmp_u_f32_e32 vcc_lo, v66, v66
	v_add_f32_e32 v61, v61, v67
	v_add3_u32 v68, v72, v66, 0x7fff
	v_mul_f32_e32 v62, v88, v62
	s_wait_alu 0xfffd
	s_delay_alu instid0(VALU_DEP_2) | instskip(NEXT) | instid1(VALU_DEP_2)
	v_cndmask_b32_e32 v66, v68, v69, vcc_lo
	v_bfe_u32 v71, v62, 16, 1
	v_mul_f32_e32 v68, v85, v70
	v_or_b32_e32 v70, 0x400000, v62
	v_cmp_u_f32_e32 vcc_lo, v62, v62
	s_delay_alu instid0(VALU_DEP_4) | instskip(SKIP_3) | instid1(VALU_DEP_2)
	v_add3_u32 v69, v71, v62, 0x7fff
	v_and_b32_e32 v71, 0xffff0000, v64
	v_bfe_u32 v72, v68, 16, 1
	s_wait_alu 0xfffd
	v_dual_cndmask_b32 v62, v69, v70 :: v_dual_mul_f32 v69, v87, v71
	s_delay_alu instid0(VALU_DEP_2)
	v_add3_u32 v70, v72, v68, 0x7fff
	v_or_b32_e32 v71, 0x400000, v68
	v_cmp_u_f32_e32 vcc_lo, v68, v68
	v_add3_u32 v72, v73, v63, 0x7fff
	v_or_b32_e32 v73, 0x400000, v63
	v_bfe_u32 v74, v69, 16, 1
	v_and_b32_e32 v62, 0xffff0000, v62
	s_wait_alu 0xfffd
	v_cndmask_b32_e32 v68, v70, v71, vcc_lo
	v_cmp_u_f32_e32 vcc_lo, v63, v63
	v_or_b32_e32 v71, 0x400000, v69
	v_add3_u32 v70, v74, v69, 0x7fff
	s_delay_alu instid0(VALU_DEP_4) | instskip(SKIP_3) | instid1(VALU_DEP_2)
	v_and_b32_e32 v67, 0xffff0000, v68
	s_wait_alu 0xfffd
	v_dual_cndmask_b32 v63, v72, v73 :: v_dual_and_b32 v66, 0xffff0000, v66
	v_cmp_u_f32_e32 vcc_lo, v69, v69
	v_add_f32_e32 v62, v62, v66
	s_wait_alu 0xfffd
	v_dual_cndmask_b32 v69, v70, v71 :: v_dual_and_b32 v66, 0xffff0000, v57
	v_and_b32_e32 v63, 0xffff0000, v63
	v_and_b32_e32 v71, 0xffff0000, v60
	s_delay_alu instid0(VALU_DEP_3) | instskip(SKIP_1) | instid1(VALU_DEP_4)
	v_dual_add_f32 v61, v62, v61 :: v_dual_mul_f32 v62, v0, v66
	v_lshlrev_b32_e32 v57, 16, v57
	v_add_f32_e32 v63, v63, v67
	s_delay_alu instid0(VALU_DEP_3) | instskip(SKIP_1) | instid1(VALU_DEP_3)
	v_bfe_u32 v66, v62, 16, 1
	v_or_b32_e32 v67, 0x400000, v62
	v_add_f32_e32 v61, v63, v61
	v_mul_f32_e32 v57, v93, v57
	s_delay_alu instid0(VALU_DEP_4) | instskip(SKIP_2) | instid1(VALU_DEP_2)
	v_add3_u32 v66, v66, v62, 0x7fff
	v_and_b32_e32 v63, 0xffff0000, v58
	v_lshlrev_b32_e32 v64, 16, v64
	v_dual_mul_f32 v63, v86, v63 :: v_dual_lshlrev_b32 v58, 16, v58
	s_delay_alu instid0(VALU_DEP_2) | instskip(NEXT) | instid1(VALU_DEP_1)
	v_mul_f32_e32 v64, v94, v64
	v_bfe_u32 v70, v64, 16, 1
	v_cmp_u_f32_e32 vcc_lo, v64, v64
	s_delay_alu instid0(VALU_DEP_2) | instskip(SKIP_2) | instid1(VALU_DEP_1)
	v_add3_u32 v68, v70, v64, 0x7fff
	v_or_b32_e32 v70, 0x400000, v64
	s_wait_alu 0xfffd
	v_cndmask_b32_e32 v64, v68, v70, vcc_lo
	v_bfe_u32 v68, v57, 16, 1
	v_cmp_u_f32_e32 vcc_lo, v62, v62
	s_wait_alu 0xfffd
	v_cndmask_b32_e32 v62, v66, v67, vcc_lo
	s_delay_alu instid0(VALU_DEP_3) | instskip(SKIP_4) | instid1(VALU_DEP_3)
	v_add3_u32 v66, v68, v57, 0x7fff
	v_or_b32_e32 v67, 0x400000, v57
	v_cmp_u_f32_e32 vcc_lo, v57, v57
	v_bfe_u32 v68, v63, 16, 1
	s_wait_alu 0xfffd
	v_dual_cndmask_b32 v57, v66, v67 :: v_dual_and_b32 v62, 0xffff0000, v62
	v_mul_f32_e32 v58, v88, v58
	s_delay_alu instid0(VALU_DEP_3)
	v_add3_u32 v66, v68, v63, 0x7fff
	v_or_b32_e32 v67, 0x400000, v63
	v_cmp_u_f32_e32 vcc_lo, v63, v63
	v_and_b32_e32 v57, 0xffff0000, v57
	v_bfe_u32 v68, v58, 16, 1
	s_wait_alu 0xfffd
	v_cndmask_b32_e32 v63, v66, v67, vcc_lo
	v_or_b32_e32 v67, 0x400000, v58
	s_delay_alu instid0(VALU_DEP_3)
	v_add3_u32 v66, v68, v58, 0x7fff
	v_cmp_u_f32_e32 vcc_lo, v58, v58
	v_add_f32_e32 v57, v57, v62
	v_and_b32_e32 v63, 0xffff0000, v63
	s_wait_alu 0xfffd
	v_cndmask_b32_e32 v58, v66, v67, vcc_lo
	s_delay_alu instid0(VALU_DEP_1) | instskip(NEXT) | instid1(VALU_DEP_1)
	v_and_b32_e32 v58, 0xffff0000, v58
	v_add_f32_e32 v58, v58, v63
	v_and_b32_e32 v70, 0xffff0000, v59
	v_lshlrev_b32_e32 v59, 16, v59
	s_delay_alu instid0(VALU_DEP_2) | instskip(NEXT) | instid1(VALU_DEP_2)
	v_dual_add_f32 v57, v58, v57 :: v_dual_mul_f32 v70, v85, v70
	v_mul_f32_e32 v59, v95, v59
	s_delay_alu instid0(VALU_DEP_2) | instskip(NEXT) | instid1(VALU_DEP_2)
	v_bfe_u32 v68, v70, 16, 1
	v_bfe_u32 v66, v59, 16, 1
	v_cmp_u_f32_e32 vcc_lo, v70, v70
	v_or_b32_e32 v72, 0x400000, v59
	s_delay_alu instid0(VALU_DEP_4) | instskip(SKIP_4) | instid1(VALU_DEP_2)
	v_add3_u32 v67, v68, v70, 0x7fff
	v_mul_f32_e32 v68, v87, v71
	v_or_b32_e32 v71, 0x400000, v70
	v_add3_u32 v66, v66, v59, 0x7fff
	s_wait_alu 0xfffd
	v_cndmask_b32_e32 v67, v67, v71, vcc_lo
	v_cmp_u_f32_e32 vcc_lo, v59, v59
	s_wait_alu 0xfffd
	s_delay_alu instid0(VALU_DEP_2) | instskip(SKIP_2) | instid1(VALU_DEP_3)
	v_dual_cndmask_b32 v59, v66, v72 :: v_dual_and_b32 v62, 0xffff0000, v67
	v_and_b32_e32 v64, 0xffff0000, v64
	v_lshlrev_b32_e32 v60, 16, v60
	v_and_b32_e32 v59, 0xffff0000, v59
	s_delay_alu instid0(VALU_DEP_1) | instskip(SKIP_1) | instid1(VALU_DEP_4)
	v_add_f32_e32 v58, v59, v62
	v_and_b32_e32 v62, 0xffff0000, v53
	v_dual_mul_f32 v60, v94, v60 :: v_dual_lshlrev_b32 v53, 16, v53
	v_bfe_u32 v73, v68, 16, 1
	v_or_b32_e32 v72, 0x400000, v68
	v_add_f32_e32 v57, v58, v57
	s_delay_alu instid0(VALU_DEP_4)
	v_bfe_u32 v74, v60, 16, 1
	v_or_b32_e32 v71, 0x400000, v60
	v_cmp_u_f32_e32 vcc_lo, v60, v60
	v_add3_u32 v66, v73, v68, 0x7fff
	v_mul_f32_e32 v53, v93, v53
	v_add3_u32 v70, v74, v60, 0x7fff
	s_wait_alu 0xfffd
	s_delay_alu instid0(VALU_DEP_1) | instskip(SKIP_1) | instid1(VALU_DEP_2)
	v_cndmask_b32_e32 v60, v70, v71, vcc_lo
	v_cmp_u_f32_e32 vcc_lo, v68, v68
	v_and_b32_e32 v59, 0xffff0000, v60
	s_wait_alu 0xfffd
	v_cndmask_b32_e32 v63, v66, v72, vcc_lo
	s_delay_alu instid0(VALU_DEP_1) | instskip(NEXT) | instid1(VALU_DEP_1)
	v_and_b32_e32 v60, 0xffff0000, v63
	v_dual_add_f32 v58, v59, v60 :: v_dual_mul_f32 v59, v0, v62
	v_or_b32_e32 v62, 0x400000, v53
	s_delay_alu instid0(VALU_DEP_2) | instskip(NEXT) | instid1(VALU_DEP_3)
	v_add_f32_e32 v57, v58, v57
	v_bfe_u32 v58, v59, 16, 1
	v_cmp_u_f32_e32 vcc_lo, v59, v59
	s_delay_alu instid0(VALU_DEP_3) | instskip(NEXT) | instid1(VALU_DEP_3)
	v_add_f32_e32 v163, v163, v57
	v_add3_u32 v57, v58, v59, 0x7fff
	v_or_b32_e32 v58, 0x400000, v59
	v_and_b32_e32 v66, 0xffff0000, v69
	v_and_b32_e32 v59, 0xffff0000, v55
	s_wait_alu 0xfffd
	s_delay_alu instid0(VALU_DEP_3) | instskip(NEXT) | instid1(VALU_DEP_3)
	v_cndmask_b32_e32 v57, v57, v58, vcc_lo
	v_add_f32_e32 v63, v64, v66
	v_cmp_u_f32_e32 vcc_lo, v53, v53
	s_delay_alu instid0(VALU_DEP_2) | instskip(SKIP_2) | instid1(VALU_DEP_3)
	v_dual_mul_f32 v59, v85, v59 :: v_dual_add_f32 v60, v63, v61
	v_and_b32_e32 v61, 0xffff0000, v54
	v_and_b32_e32 v63, 0xffff0000, v56
	v_add_f32_e32 v162, v162, v60
	v_bfe_u32 v60, v53, 16, 1
	s_delay_alu instid0(VALU_DEP_4) | instskip(NEXT) | instid1(VALU_DEP_2)
	v_mul_f32_e32 v61, v86, v61
	v_add3_u32 v60, v60, v53, 0x7fff
	s_delay_alu instid0(VALU_DEP_2) | instskip(SKIP_1) | instid1(VALU_DEP_2)
	v_bfe_u32 v58, v61, 16, 1
	s_wait_alu 0xfffd
	v_cndmask_b32_e32 v53, v60, v62, vcc_lo
	s_delay_alu instid0(VALU_DEP_2) | instskip(SKIP_4) | instid1(VALU_DEP_3)
	v_add3_u32 v58, v58, v61, 0x7fff
	v_or_b32_e32 v60, 0x400000, v61
	v_cmp_u_f32_e32 vcc_lo, v61, v61
	v_lshlrev_b32_e32 v55, 16, v55
	s_wait_alu 0xfffd
	v_dual_cndmask_b32 v58, v58, v60 :: v_dual_and_b32 v53, 0xffff0000, v53
	s_delay_alu instid0(VALU_DEP_2) | instskip(NEXT) | instid1(VALU_DEP_1)
	v_dual_mul_f32 v55, v95, v55 :: v_dual_lshlrev_b32 v54, 16, v54
	v_mul_f32_e32 v54, v88, v54
	s_delay_alu instid0(VALU_DEP_2) | instskip(NEXT) | instid1(VALU_DEP_2)
	v_bfe_u32 v64, v55, 16, 1
	v_bfe_u32 v62, v54, 16, 1
	v_or_b32_e32 v61, 0x400000, v54
	v_cmp_u_f32_e32 vcc_lo, v54, v54
	s_delay_alu instid0(VALU_DEP_3) | instskip(SKIP_2) | instid1(VALU_DEP_2)
	v_add3_u32 v60, v62, v54, 0x7fff
	v_bfe_u32 v62, v59, 16, 1
	s_wait_alu 0xfffd
	v_dual_cndmask_b32 v54, v60, v61 :: v_dual_mul_f32 v61, v87, v63
	s_delay_alu instid0(VALU_DEP_2)
	v_add3_u32 v60, v62, v59, 0x7fff
	v_or_b32_e32 v62, 0x400000, v59
	v_cmp_u_f32_e32 vcc_lo, v59, v59
	v_add3_u32 v63, v64, v55, 0x7fff
	v_lshlrev_b32_e32 v56, 16, v56
	v_or_b32_e32 v64, 0x400000, v55
	v_bfe_u32 v65, v61, 16, 1
	s_wait_alu 0xfffd
	v_cndmask_b32_e32 v59, v60, v62, vcc_lo
	v_cmp_u_f32_e32 vcc_lo, v55, v55
	v_mul_f32_e32 v56, v94, v56
	v_or_b32_e32 v62, 0x400000, v61
	v_add3_u32 v60, v65, v61, 0x7fff
	s_wait_alu 0xfffd
	v_dual_cndmask_b32 v55, v63, v64 :: v_dual_and_b32 v54, 0xffff0000, v54
	v_cmp_u_f32_e32 vcc_lo, v61, v61
	v_bfe_u32 v63, v56, 16, 1
	v_and_b32_e32 v57, 0xffff0000, v57
	s_wait_alu 0xfffd
	v_dual_cndmask_b32 v60, v60, v62 :: v_dual_and_b32 v55, 0xffff0000, v55
	s_delay_alu instid0(VALU_DEP_2) | instskip(SKIP_3) | instid1(VALU_DEP_4)
	v_dual_add_f32 v53, v53, v57 :: v_dual_and_b32 v58, 0xffff0000, v58
	v_add3_u32 v61, v63, v56, 0x7fff
	v_or_b32_e32 v62, 0x400000, v56
	v_cmp_u_f32_e32 vcc_lo, v56, v56
	v_dual_add_f32 v54, v54, v58 :: v_dual_and_b32 v57, 0xffff0000, v49
	v_and_b32_e32 v58, 0xffff0000, v59
	s_wait_alu 0xfffd
	s_delay_alu instid0(VALU_DEP_2) | instskip(NEXT) | instid1(VALU_DEP_2)
	v_dual_cndmask_b32 v56, v61, v62 :: v_dual_add_f32 v53, v54, v53
	v_dual_mul_f32 v54, v0, v57 :: v_dual_add_f32 v55, v55, v58
	v_and_b32_e32 v61, 0xffff0000, v52
	s_delay_alu instid0(VALU_DEP_3) | instskip(SKIP_1) | instid1(VALU_DEP_4)
	v_and_b32_e32 v56, 0xffff0000, v56
	v_lshlrev_b32_e32 v52, 16, v52
	v_bfe_u32 v58, v54, 16, 1
	v_add_f32_e32 v53, v55, v53
	v_and_b32_e32 v55, 0xffff0000, v50
	v_lshlrev_b32_e32 v50, 16, v50
	v_and_b32_e32 v57, 0xffff0000, v60
	v_cmp_u_f32_e32 vcc_lo, v54, v54
	v_and_b32_e32 v60, 0xffff0000, v51
	v_mul_f32_e32 v52, v94, v52
	v_mul_f32_e32 v50, v88, v50
	v_add_f32_e32 v56, v56, v57
	v_add3_u32 v57, v58, v54, 0x7fff
	v_or_b32_e32 v58, 0x400000, v54
	v_lshlrev_b32_e32 v49, 16, v49
	v_dual_mul_f32 v55, v86, v55 :: v_dual_mul_f32 v60, v85, v60
	s_wait_alu 0xfffd
	s_delay_alu instid0(VALU_DEP_3) | instskip(NEXT) | instid1(VALU_DEP_1)
	v_dual_add_f32 v53, v56, v53 :: v_dual_cndmask_b32 v54, v57, v58
	v_dual_mul_f32 v49, v93, v49 :: v_dual_and_b32 v54, 0xffff0000, v54
	s_delay_alu instid0(VALU_DEP_1) | instskip(SKIP_2) | instid1(VALU_DEP_3)
	v_bfe_u32 v59, v49, 16, 1
	v_or_b32_e32 v58, 0x400000, v49
	v_cmp_u_f32_e32 vcc_lo, v49, v49
	v_add3_u32 v57, v59, v49, 0x7fff
	v_bfe_u32 v59, v55, 16, 1
	s_wait_alu 0xfffd
	s_delay_alu instid0(VALU_DEP_2) | instskip(NEXT) | instid1(VALU_DEP_2)
	v_cndmask_b32_e32 v49, v57, v58, vcc_lo
	v_add3_u32 v57, v59, v55, 0x7fff
	v_or_b32_e32 v58, 0x400000, v55
	v_bfe_u32 v59, v50, 16, 1
	v_cmp_u_f32_e32 vcc_lo, v55, v55
	s_wait_alu 0xfffd
	s_delay_alu instid0(VALU_DEP_3) | instskip(NEXT) | instid1(VALU_DEP_3)
	v_cndmask_b32_e32 v55, v57, v58, vcc_lo
	v_add3_u32 v57, v59, v50, 0x7fff
	v_or_b32_e32 v58, 0x400000, v50
	v_cmp_u_f32_e32 vcc_lo, v50, v50
	v_lshlrev_b32_e32 v51, 16, v51
	v_bfe_u32 v59, v60, 16, 1
	s_wait_alu 0xfffd
	v_dual_cndmask_b32 v50, v57, v58 :: v_dual_and_b32 v55, 0xffff0000, v55
	s_delay_alu instid0(VALU_DEP_3) | instskip(NEXT) | instid1(VALU_DEP_3)
	v_mul_f32_e32 v51, v95, v51
	v_add3_u32 v58, v59, v60, 0x7fff
	v_cmp_u_f32_e32 vcc_lo, v60, v60
	s_delay_alu instid0(VALU_DEP_4) | instskip(NEXT) | instid1(VALU_DEP_4)
	v_and_b32_e32 v50, 0xffff0000, v50
	v_bfe_u32 v57, v51, 16, 1
	v_or_b32_e32 v62, 0x400000, v51
	s_delay_alu instid0(VALU_DEP_3) | instskip(SKIP_1) | instid1(VALU_DEP_4)
	v_dual_add_f32 v50, v50, v55 :: v_dual_mul_f32 v59, v87, v61
	v_or_b32_e32 v61, 0x400000, v60
	v_add3_u32 v57, v57, v51, 0x7fff
	v_bfe_u32 v60, v52, 16, 1
	s_delay_alu instid0(VALU_DEP_4)
	v_bfe_u32 v63, v59, 16, 1
	s_wait_alu 0xfffd
	v_cndmask_b32_e32 v58, v58, v61, vcc_lo
	v_cmp_u_f32_e32 vcc_lo, v51, v51
	v_add3_u32 v60, v60, v52, 0x7fff
	v_or_b32_e32 v61, 0x400000, v59
	s_wait_alu 0xfffd
	v_cndmask_b32_e32 v51, v57, v62, vcc_lo
	v_or_b32_e32 v62, 0x400000, v52
	v_cmp_u_f32_e32 vcc_lo, v52, v52
	v_add3_u32 v57, v63, v59, 0x7fff
	s_wait_alu 0xfffd
	s_delay_alu instid0(VALU_DEP_3) | instskip(SKIP_1) | instid1(VALU_DEP_2)
	v_dual_cndmask_b32 v52, v60, v62 :: v_dual_and_b32 v49, 0xffff0000, v49
	v_cmp_u_f32_e32 vcc_lo, v59, v59
	v_dual_add_f32 v49, v49, v54 :: v_dual_and_b32 v52, 0xffff0000, v52
	v_and_b32_e32 v51, 0xffff0000, v51
	s_delay_alu instid0(VALU_DEP_2) | instskip(SKIP_1) | instid1(VALU_DEP_1)
	v_dual_add_f32 v49, v50, v49 :: v_dual_and_b32 v54, 0xffff0000, v58
	s_wait_alu 0xfffd
	v_dual_cndmask_b32 v55, v57, v61 :: v_dual_add_f32 v50, v51, v54
	s_delay_alu instid0(VALU_DEP_1) | instskip(NEXT) | instid1(VALU_DEP_1)
	v_dual_add_f32 v49, v50, v49 :: v_dual_and_b32 v54, 0xffff0000, v55
	v_add_f32_e32 v50, v52, v54
	v_and_b32_e32 v52, 0xffff0000, v42
	v_and_b32_e32 v51, 0xffff0000, v41
	v_lshlrev_b32_e32 v42, 16, v42
	v_lshlrev_b32_e32 v41, 16, v41
	v_add_f32_e32 v49, v50, v49
	s_delay_alu instid0(VALU_DEP_4) | instskip(NEXT) | instid1(VALU_DEP_3)
	v_dual_mul_f32 v50, v86, v52 :: v_dual_mul_f32 v51, v0, v51
	v_dual_mul_f32 v42, v88, v42 :: v_dual_mul_f32 v41, v93, v41
	s_delay_alu instid0(VALU_DEP_2) | instskip(NEXT) | instid1(VALU_DEP_3)
	v_bfe_u32 v56, v50, 16, 1
	v_bfe_u32 v54, v51, 16, 1
	v_cmp_u_f32_e32 vcc_lo, v51, v51
	s_delay_alu instid0(VALU_DEP_2) | instskip(SKIP_2) | instid1(VALU_DEP_1)
	v_add3_u32 v52, v54, v51, 0x7fff
	v_or_b32_e32 v54, 0x400000, v51
	s_wait_alu 0xfffd
	v_dual_cndmask_b32 v51, v52, v54 :: v_dual_and_b32 v54, 0xffff0000, v43
	v_or_b32_e32 v55, 0x400000, v41
	v_cmp_u_f32_e32 vcc_lo, v41, v41
	v_add_f32_e32 v164, v164, v53
	v_bfe_u32 v53, v41, 16, 1
	v_add3_u32 v52, v56, v50, 0x7fff
	s_delay_alu instid0(VALU_DEP_2) | instskip(SKIP_1) | instid1(VALU_DEP_1)
	v_add3_u32 v53, v53, v41, 0x7fff
	s_wait_alu 0xfffd
	v_cndmask_b32_e32 v41, v53, v55, vcc_lo
	v_or_b32_e32 v53, 0x400000, v50
	v_bfe_u32 v55, v42, 16, 1
	v_cmp_u_f32_e32 vcc_lo, v50, v50
	s_wait_alu 0xfffd
	s_delay_alu instid0(VALU_DEP_3)
	v_dual_cndmask_b32 v50, v52, v53 :: v_dual_lshlrev_b32 v43, 16, v43
	v_mul_f32_e32 v52, v85, v54
	v_add3_u32 v53, v55, v42, 0x7fff
	v_or_b32_e32 v54, 0x400000, v42
	v_cmp_u_f32_e32 vcc_lo, v42, v42
	v_mul_f32_e32 v43, v95, v43
	v_bfe_u32 v56, v52, 16, 1
	v_and_b32_e32 v50, 0xffff0000, v50
	s_wait_alu 0xfffd
	v_cndmask_b32_e32 v42, v53, v54, vcc_lo
	v_bfe_u32 v57, v43, 16, 1
	v_add3_u32 v54, v56, v52, 0x7fff
	v_cmp_u_f32_e32 vcc_lo, v52, v52
	s_delay_alu instid0(VALU_DEP_4) | instskip(SKIP_4) | instid1(VALU_DEP_4)
	v_and_b32_e32 v42, 0xffff0000, v42
	v_and_b32_e32 v55, 0xffff0000, v44
	v_add3_u32 v56, v57, v43, 0x7fff
	v_or_b32_e32 v57, 0x400000, v43
	v_lshlrev_b32_e32 v44, 16, v44
	v_dual_add_f32 v42, v42, v50 :: v_dual_mul_f32 v53, v87, v55
	v_or_b32_e32 v55, 0x400000, v52
	s_delay_alu instid0(VALU_DEP_3) | instskip(NEXT) | instid1(VALU_DEP_3)
	v_mul_f32_e32 v44, v94, v44
	v_bfe_u32 v58, v53, 16, 1
	s_wait_alu 0xfffd
	s_delay_alu instid0(VALU_DEP_3)
	v_cndmask_b32_e32 v52, v54, v55, vcc_lo
	v_cmp_u_f32_e32 vcc_lo, v43, v43
	v_or_b32_e32 v55, 0x400000, v53
	v_add3_u32 v54, v58, v53, 0x7fff
	s_wait_alu 0xfffd
	v_cndmask_b32_e32 v43, v56, v57, vcc_lo
	v_cmp_u_f32_e32 vcc_lo, v53, v53
	s_delay_alu instid0(VALU_DEP_2)
	v_and_b32_e32 v43, 0xffff0000, v43
	s_wait_alu 0xfffd
	v_cndmask_b32_e32 v53, v54, v55, vcc_lo
	v_bfe_u32 v54, v44, 16, 1
	v_and_b32_e32 v50, 0xffff0000, v37
	v_and_b32_e32 v41, 0xffff0000, v41
	v_cmp_u_f32_e32 vcc_lo, v44, v44
	v_and_b32_e32 v51, 0xffff0000, v51
	v_and_b32_e32 v55, 0xffff0000, v40
	s_delay_alu instid0(VALU_DEP_2) | instskip(SKIP_3) | instid1(VALU_DEP_4)
	v_dual_add_f32 v41, v41, v51 :: v_dual_lshlrev_b32 v40, 16, v40
	v_and_b32_e32 v51, 0xffff0000, v52
	v_add3_u32 v52, v54, v44, 0x7fff
	v_or_b32_e32 v54, 0x400000, v44
	v_mul_f32_e32 v40, v94, v40
	s_wait_alu 0xfffd
	s_delay_alu instid0(VALU_DEP_2) | instskip(SKIP_3) | instid1(VALU_DEP_4)
	v_cndmask_b32_e32 v44, v52, v54, vcc_lo
	v_dual_add_f32 v41, v42, v41 :: v_dual_and_b32 v54, 0xffff0000, v39
	v_lshlrev_b32_e32 v39, 16, v39
	v_bfe_u32 v58, v40, 16, 1
	v_and_b32_e32 v44, 0xffff0000, v44
	s_delay_alu instid0(VALU_DEP_4) | instskip(NEXT) | instid1(VALU_DEP_4)
	v_dual_mul_f32 v54, v85, v54 :: v_dual_add_f32 v43, v43, v51
	v_dual_mul_f32 v42, v0, v50 :: v_dual_mul_f32 v39, v95, v39
	s_delay_alu instid0(VALU_DEP_2) | instskip(NEXT) | instid1(VALU_DEP_2)
	v_add_f32_e32 v41, v43, v41
	v_bfe_u32 v50, v42, 16, 1
	v_or_b32_e32 v51, 0x400000, v42
	v_cmp_u_f32_e32 vcc_lo, v42, v42
	v_and_b32_e32 v43, 0xffff0000, v38
	v_lshlrev_b32_e32 v38, 16, v38
	v_add3_u32 v50, v50, v42, 0x7fff
	v_lshlrev_b32_e32 v37, 16, v37
	v_or_b32_e32 v56, 0x400000, v39
	s_delay_alu instid0(VALU_DEP_4) | instskip(SKIP_1) | instid1(VALU_DEP_3)
	v_mul_f32_e32 v38, v88, v38
	s_wait_alu 0xfffd
	v_dual_cndmask_b32 v42, v50, v51 :: v_dual_mul_f32 v37, v93, v37
	s_delay_alu instid0(VALU_DEP_1) | instskip(NEXT) | instid1(VALU_DEP_2)
	v_dual_mul_f32 v43, v86, v43 :: v_dual_and_b32 v42, 0xffff0000, v42
	v_bfe_u32 v52, v37, 16, 1
	v_or_b32_e32 v51, 0x400000, v37
	v_cmp_u_f32_e32 vcc_lo, v37, v37
	s_delay_alu instid0(VALU_DEP_3) | instskip(SKIP_2) | instid1(VALU_DEP_2)
	v_add3_u32 v50, v52, v37, 0x7fff
	v_bfe_u32 v52, v43, 16, 1
	s_wait_alu 0xfffd
	v_cndmask_b32_e32 v37, v50, v51, vcc_lo
	s_delay_alu instid0(VALU_DEP_2) | instskip(SKIP_4) | instid1(VALU_DEP_3)
	v_add3_u32 v50, v52, v43, 0x7fff
	v_or_b32_e32 v51, 0x400000, v43
	v_bfe_u32 v52, v38, 16, 1
	v_cmp_u_f32_e32 vcc_lo, v43, v43
	s_wait_alu 0xfffd
	v_cndmask_b32_e32 v43, v50, v51, vcc_lo
	s_delay_alu instid0(VALU_DEP_3)
	v_add3_u32 v50, v52, v38, 0x7fff
	v_or_b32_e32 v51, 0x400000, v38
	v_cmp_u_f32_e32 vcc_lo, v38, v38
	v_bfe_u32 v52, v54, 16, 1
	v_and_b32_e32 v43, 0xffff0000, v43
	s_wait_alu 0xfffd
	v_cndmask_b32_e32 v38, v50, v51, vcc_lo
	v_bfe_u32 v50, v39, 16, 1
	v_add3_u32 v51, v52, v54, 0x7fff
	v_cmp_u_f32_e32 vcc_lo, v54, v54
	s_delay_alu instid0(VALU_DEP_4) | instskip(NEXT) | instid1(VALU_DEP_4)
	v_and_b32_e32 v38, 0xffff0000, v38
	v_add3_u32 v50, v50, v39, 0x7fff
	s_delay_alu instid0(VALU_DEP_2) | instskip(SKIP_3) | instid1(VALU_DEP_4)
	v_dual_add_f32 v38, v38, v43 :: v_dual_and_b32 v37, 0xffff0000, v37
	v_mul_f32_e32 v52, v87, v55
	v_or_b32_e32 v55, 0x400000, v54
	v_add3_u32 v54, v58, v40, 0x7fff
	v_add_f32_e32 v37, v37, v42
	s_delay_alu instid0(VALU_DEP_4)
	v_bfe_u32 v57, v52, 16, 1
	s_wait_alu 0xfffd
	v_cndmask_b32_e32 v51, v51, v55, vcc_lo
	v_cmp_u_f32_e32 vcc_lo, v39, v39
	v_or_b32_e32 v55, 0x400000, v40
	s_wait_alu 0xfffd
	v_cndmask_b32_e32 v39, v50, v56, vcc_lo
	v_cmp_u_f32_e32 vcc_lo, v40, v40
	v_add3_u32 v50, v57, v52, 0x7fff
	v_or_b32_e32 v56, 0x400000, v52
	s_delay_alu instid0(VALU_DEP_4)
	v_and_b32_e32 v39, 0xffff0000, v39
	s_wait_alu 0xfffd
	v_cndmask_b32_e32 v40, v54, v55, vcc_lo
	v_cmp_u_f32_e32 vcc_lo, v52, v52
	s_wait_alu 0xfffd
	v_dual_cndmask_b32 v43, v50, v56 :: v_dual_and_b32 v42, 0xffff0000, v51
	v_and_b32_e32 v50, 0xffff0000, v53
	s_delay_alu instid0(VALU_DEP_2) | instskip(SKIP_1) | instid1(VALU_DEP_4)
	v_dual_add_f32 v37, v38, v37 :: v_dual_add_f32 v38, v39, v42
	v_and_b32_e32 v39, 0xffff0000, v40
	v_and_b32_e32 v40, 0xffff0000, v43
	s_delay_alu instid0(VALU_DEP_4) | instskip(NEXT) | instid1(VALU_DEP_2)
	v_dual_add_f32 v43, v44, v50 :: v_dual_and_b32 v42, 0xffff0000, v33
	v_dual_add_f32 v37, v38, v37 :: v_dual_add_f32 v38, v39, v40
	s_delay_alu instid0(VALU_DEP_2) | instskip(SKIP_1) | instid1(VALU_DEP_3)
	v_dual_mul_f32 v39, v0, v42 :: v_dual_add_f32 v40, v43, v41
	v_and_b32_e32 v41, 0xffff0000, v34
	v_dual_add_f32 v37, v38, v37 :: v_dual_lshlrev_b32 v34, 16, v34
	v_and_b32_e32 v43, 0xffff0000, v36
	v_lshlrev_b32_e32 v36, 16, v36
	v_bfe_u32 v38, v39, 16, 1
	v_mul_f32_e32 v41, v86, v41
	v_add_f32_e32 v167, v167, v37
	v_cmp_u_f32_e32 vcc_lo, v39, v39
	v_add_f32_e32 v166, v166, v40
	v_add3_u32 v37, v38, v39, 0x7fff
	v_or_b32_e32 v38, 0x400000, v39
	v_mul_f32_e32 v36, v94, v36
	v_mul_f32_e32 v34, v88, v34
	s_wait_alu 0xfffd
	s_delay_alu instid0(VALU_DEP_3) | instskip(SKIP_1) | instid1(VALU_DEP_1)
	v_cndmask_b32_e32 v37, v37, v38, vcc_lo
	v_bfe_u32 v38, v41, 16, 1
	v_add3_u32 v38, v38, v41, 0x7fff
	v_lshlrev_b32_e32 v33, 16, v33
	s_delay_alu instid0(VALU_DEP_1) | instskip(NEXT) | instid1(VALU_DEP_1)
	v_mul_f32_e32 v33, v93, v33
	v_bfe_u32 v40, v33, 16, 1
	v_or_b32_e32 v42, 0x400000, v33
	v_cmp_u_f32_e32 vcc_lo, v33, v33
	s_delay_alu instid0(VALU_DEP_3) | instskip(SKIP_1) | instid1(VALU_DEP_1)
	v_add3_u32 v40, v40, v33, 0x7fff
	s_wait_alu 0xfffd
	v_cndmask_b32_e32 v33, v40, v42, vcc_lo
	v_or_b32_e32 v40, 0x400000, v41
	v_bfe_u32 v42, v34, 16, 1
	v_cmp_u_f32_e32 vcc_lo, v41, v41
	v_or_b32_e32 v41, 0x400000, v34
	s_wait_alu 0xfffd
	v_cndmask_b32_e32 v38, v38, v40, vcc_lo
	v_add3_u32 v40, v42, v34, 0x7fff
	v_cmp_u_f32_e32 vcc_lo, v34, v34
	s_delay_alu instid0(VALU_DEP_3) | instskip(SKIP_1) | instid1(VALU_DEP_3)
	v_and_b32_e32 v38, 0xffff0000, v38
	s_wait_alu 0xfffd
	v_cndmask_b32_e32 v34, v40, v41, vcc_lo
	v_add_f32_e32 v165, v165, v49
	s_delay_alu instid0(VALU_DEP_2) | instskip(SKIP_2) | instid1(VALU_DEP_3)
	v_dual_mul_f32 v41, v87, v43 :: v_dual_and_b32 v34, 0xffff0000, v34
	v_and_b32_e32 v39, 0xffff0000, v35
	v_lshlrev_b32_e32 v35, 16, v35
	v_bfe_u32 v49, v41, 16, 1
	s_delay_alu instid0(VALU_DEP_3) | instskip(NEXT) | instid1(VALU_DEP_3)
	v_dual_add_f32 v34, v34, v38 :: v_dual_mul_f32 v39, v85, v39
	v_mul_f32_e32 v35, v95, v35
	s_delay_alu instid0(VALU_DEP_2) | instskip(NEXT) | instid1(VALU_DEP_2)
	v_bfe_u32 v42, v39, 16, 1
	v_bfe_u32 v44, v35, 16, 1
	v_cmp_u_f32_e32 vcc_lo, v39, v39
	s_delay_alu instid0(VALU_DEP_3) | instskip(SKIP_1) | instid1(VALU_DEP_4)
	v_add3_u32 v40, v42, v39, 0x7fff
	v_or_b32_e32 v42, 0x400000, v39
	v_add3_u32 v43, v44, v35, 0x7fff
	v_or_b32_e32 v44, 0x400000, v35
	s_wait_alu 0xfffd
	s_delay_alu instid0(VALU_DEP_3)
	v_cndmask_b32_e32 v39, v40, v42, vcc_lo
	v_cmp_u_f32_e32 vcc_lo, v35, v35
	v_add3_u32 v40, v49, v41, 0x7fff
	v_or_b32_e32 v42, 0x400000, v41
	s_wait_alu 0xfffd
	v_cndmask_b32_e32 v35, v43, v44, vcc_lo
	v_bfe_u32 v43, v36, 16, 1
	v_cmp_u_f32_e32 vcc_lo, v41, v41
	s_delay_alu instid0(VALU_DEP_3) | instskip(NEXT) | instid1(VALU_DEP_3)
	v_and_b32_e32 v35, 0xffff0000, v35
	v_add3_u32 v41, v43, v36, 0x7fff
	s_wait_alu 0xfffd
	v_cndmask_b32_e32 v40, v40, v42, vcc_lo
	v_or_b32_e32 v42, 0x400000, v36
	v_cmp_u_f32_e32 vcc_lo, v36, v36
	s_wait_alu 0xfffd
	s_delay_alu instid0(VALU_DEP_2) | instskip(SKIP_2) | instid1(VALU_DEP_3)
	v_dual_cndmask_b32 v36, v41, v42 :: v_dual_and_b32 v41, 0xffff0000, v32
	v_lshlrev_b32_e32 v32, 16, v32
	v_and_b32_e32 v37, 0xffff0000, v37
	v_and_b32_e32 v36, 0xffff0000, v36
	s_delay_alu instid0(VALU_DEP_3) | instskip(NEXT) | instid1(VALU_DEP_1)
	v_dual_mul_f32 v32, v94, v32 :: v_dual_and_b32 v33, 0xffff0000, v33
	v_add_f32_e32 v33, v33, v37
	v_and_b32_e32 v37, 0xffff0000, v29
	v_lshlrev_b32_e32 v29, 16, v29
	s_delay_alu instid0(VALU_DEP_3) | instskip(NEXT) | instid1(VALU_DEP_3)
	v_add_f32_e32 v33, v34, v33
	v_dual_mul_f32 v34, v0, v37 :: v_dual_and_b32 v37, 0xffff0000, v40
	v_and_b32_e32 v40, 0xffff0000, v31
	s_delay_alu instid0(VALU_DEP_4) | instskip(NEXT) | instid1(VALU_DEP_3)
	v_dual_mul_f32 v29, v93, v29 :: v_dual_and_b32 v38, 0xffff0000, v39
	v_cmp_u_f32_e32 vcc_lo, v34, v34
	s_delay_alu instid0(VALU_DEP_4) | instskip(NEXT) | instid1(VALU_DEP_3)
	v_add_f32_e32 v36, v36, v37
	v_dual_mul_f32 v40, v85, v40 :: v_dual_add_f32 v35, v35, v38
	v_bfe_u32 v38, v34, 16, 1
	v_bfe_u32 v39, v29, 16, 1
	v_lshlrev_b32_e32 v31, 16, v31
	s_delay_alu instid0(VALU_DEP_4)
	v_add_f32_e32 v33, v35, v33
	v_and_b32_e32 v35, 0xffff0000, v30
	v_add3_u32 v37, v38, v34, 0x7fff
	v_or_b32_e32 v38, 0x400000, v34
	v_dual_mul_f32 v31, v95, v31 :: v_dual_lshlrev_b32 v30, 16, v30
	s_wait_alu 0xfffd
	s_delay_alu instid0(VALU_DEP_2) | instskip(SKIP_2) | instid1(VALU_DEP_3)
	v_dual_mul_f32 v35, v86, v35 :: v_dual_cndmask_b32 v34, v37, v38
	v_add3_u32 v37, v39, v29, 0x7fff
	v_or_b32_e32 v38, 0x400000, v29
	v_bfe_u32 v39, v35, 16, 1
	v_mul_f32_e32 v30, v88, v30
	v_cmp_u_f32_e32 vcc_lo, v29, v29
	v_or_b32_e32 v42, 0x400000, v31
	v_and_b32_e32 v34, 0xffff0000, v34
	s_wait_alu 0xfffd
	v_cndmask_b32_e32 v29, v37, v38, vcc_lo
	v_add3_u32 v37, v39, v35, 0x7fff
	v_or_b32_e32 v38, 0x400000, v35
	v_bfe_u32 v39, v30, 16, 1
	v_cmp_u_f32_e32 vcc_lo, v35, v35
	v_and_b32_e32 v29, 0xffff0000, v29
	s_wait_alu 0xfffd
	v_cndmask_b32_e32 v35, v37, v38, vcc_lo
	v_add3_u32 v37, v39, v30, 0x7fff
	v_or_b32_e32 v38, 0x400000, v30
	v_bfe_u32 v39, v40, 16, 1
	v_cmp_u_f32_e32 vcc_lo, v30, v30
	v_and_b32_e32 v35, 0xffff0000, v35
	v_add_f32_e32 v29, v29, v34
	s_wait_alu 0xfffd
	v_cndmask_b32_e32 v30, v37, v38, vcc_lo
	v_bfe_u32 v37, v31, 16, 1
	v_add3_u32 v38, v39, v40, 0x7fff
	v_mul_f32_e32 v39, v87, v41
	v_or_b32_e32 v41, 0x400000, v40
	v_cmp_u_f32_e32 vcc_lo, v40, v40
	v_add3_u32 v37, v37, v31, 0x7fff
	v_bfe_u32 v40, v32, 16, 1
	v_bfe_u32 v43, v39, 16, 1
	v_and_b32_e32 v30, 0xffff0000, v30
	s_wait_alu 0xfffd
	v_cndmask_b32_e32 v38, v38, v41, vcc_lo
	v_cmp_u_f32_e32 vcc_lo, v31, v31
	v_add3_u32 v40, v40, v32, 0x7fff
	v_or_b32_e32 v41, 0x400000, v39
	v_add_f32_e32 v30, v30, v35
	v_and_b32_e32 v34, 0xffff0000, v38
	s_wait_alu 0xfffd
	v_cndmask_b32_e32 v31, v37, v42, vcc_lo
	v_or_b32_e32 v42, 0x400000, v32
	v_cmp_u_f32_e32 vcc_lo, v32, v32
	v_add3_u32 v37, v43, v39, 0x7fff
	v_add_f32_e32 v29, v30, v29
	v_and_b32_e32 v31, 0xffff0000, v31
	v_add_f32_e32 v33, v36, v33
	s_wait_alu 0xfffd
	v_cndmask_b32_e32 v32, v40, v42, vcc_lo
	v_cmp_u_f32_e32 vcc_lo, v39, v39
	v_dual_add_f32 v30, v31, v34 :: v_dual_and_b32 v31, 0xffff0000, v25
	s_wait_alu 0xfffd
	s_delay_alu instid0(VALU_DEP_3) | instskip(SKIP_1) | instid1(VALU_DEP_3)
	v_dual_cndmask_b32 v35, v37, v41 :: v_dual_and_b32 v32, 0xffff0000, v32
	v_lshlrev_b32_e32 v25, 16, v25
	v_add_f32_e32 v29, v30, v29
	v_mul_f32_e32 v31, v0, v31
	v_add_f32_e32 v168, v168, v33
	s_delay_alu instid0(VALU_DEP_4) | instskip(NEXT) | instid1(VALU_DEP_3)
	v_dual_mul_f32 v25, v93, v25 :: v_dual_and_b32 v34, 0xffff0000, v35
	v_cmp_u_f32_e32 vcc_lo, v31, v31
	s_delay_alu instid0(VALU_DEP_2) | instskip(SKIP_3) | instid1(VALU_DEP_4)
	v_add_f32_e32 v30, v32, v34
	v_and_b32_e32 v32, 0xffff0000, v26
	v_bfe_u32 v34, v31, 16, 1
	v_bfe_u32 v33, v25, 16, 1
	v_dual_add_f32 v29, v30, v29 :: v_dual_lshlrev_b32 v26, 16, v26
	s_delay_alu instid0(VALU_DEP_4) | instskip(NEXT) | instid1(VALU_DEP_4)
	v_mul_f32_e32 v30, v86, v32
	v_add3_u32 v32, v34, v31, 0x7fff
	v_or_b32_e32 v34, 0x400000, v31
	v_add3_u32 v33, v33, v25, 0x7fff
	v_or_b32_e32 v35, 0x400000, v25
	v_bfe_u32 v36, v30, 16, 1
	v_mul_f32_e32 v26, v88, v26
	s_wait_alu 0xfffd
	v_cndmask_b32_e32 v31, v32, v34, vcc_lo
	v_cmp_u_f32_e32 vcc_lo, v25, v25
	v_and_b32_e32 v34, 0xffff0000, v27
	v_add3_u32 v32, v36, v30, 0x7fff
	v_lshlrev_b32_e32 v27, 16, v27
	v_and_b32_e32 v31, 0xffff0000, v31
	s_wait_alu 0xfffd
	v_cndmask_b32_e32 v25, v33, v35, vcc_lo
	v_or_b32_e32 v33, 0x400000, v30
	v_bfe_u32 v35, v26, 16, 1
	v_cmp_u_f32_e32 vcc_lo, v30, v30
	v_mul_f32_e32 v27, v95, v27
	v_and_b32_e32 v25, 0xffff0000, v25
	s_wait_alu 0xfffd
	v_cndmask_b32_e32 v30, v32, v33, vcc_lo
	v_mul_f32_e32 v32, v85, v34
	v_add3_u32 v33, v35, v26, 0x7fff
	v_or_b32_e32 v34, 0x400000, v26
	v_cmp_u_f32_e32 vcc_lo, v26, v26
	v_dual_add_f32 v25, v25, v31 :: v_dual_and_b32 v30, 0xffff0000, v30
	v_bfe_u32 v36, v32, 16, 1
	v_bfe_u32 v37, v27, 16, 1
	s_wait_alu 0xfffd
	v_cndmask_b32_e32 v26, v33, v34, vcc_lo
	v_cmp_u_f32_e32 vcc_lo, v32, v32
	v_add3_u32 v34, v36, v32, 0x7fff
	v_add3_u32 v36, v37, v27, 0x7fff
	s_delay_alu instid0(VALU_DEP_4) | instskip(SKIP_1) | instid1(VALU_DEP_2)
	v_and_b32_e32 v26, 0xffff0000, v26
	v_or_b32_e32 v37, 0x400000, v27
	v_add_f32_e32 v26, v26, v30
	v_and_b32_e32 v30, 0xffff0000, v21
	v_lshlrev_b32_e32 v21, 16, v21
	s_delay_alu instid0(VALU_DEP_2) | instskip(NEXT) | instid1(VALU_DEP_2)
	v_dual_add_f32 v25, v26, v25 :: v_dual_mul_f32 v26, v0, v30
	v_mul_f32_e32 v21, v93, v21
	s_delay_alu instid0(VALU_DEP_2) | instskip(NEXT) | instid1(VALU_DEP_1)
	v_bfe_u32 v30, v26, 16, 1
	v_add3_u32 v30, v30, v26, 0x7fff
	v_and_b32_e32 v35, 0xffff0000, v28
	s_delay_alu instid0(VALU_DEP_1) | instskip(SKIP_1) | instid1(VALU_DEP_2)
	v_dual_mul_f32 v33, v87, v35 :: v_dual_lshlrev_b32 v28, 16, v28
	v_or_b32_e32 v35, 0x400000, v32
	v_mul_f32_e32 v28, v94, v28
	s_delay_alu instid0(VALU_DEP_3) | instskip(SKIP_1) | instid1(VALU_DEP_3)
	v_bfe_u32 v38, v33, 16, 1
	s_wait_alu 0xfffd
	v_cndmask_b32_e32 v32, v34, v35, vcc_lo
	v_cmp_u_f32_e32 vcc_lo, v27, v27
	v_or_b32_e32 v35, 0x400000, v33
	v_add3_u32 v34, v38, v33, 0x7fff
	s_delay_alu instid0(VALU_DEP_4) | instskip(SKIP_3) | instid1(VALU_DEP_2)
	v_and_b32_e32 v31, 0xffff0000, v32
	s_wait_alu 0xfffd
	v_cndmask_b32_e32 v27, v36, v37, vcc_lo
	v_cmp_u_f32_e32 vcc_lo, v33, v33
	v_and_b32_e32 v27, 0xffff0000, v27
	s_wait_alu 0xfffd
	v_cndmask_b32_e32 v33, v34, v35, vcc_lo
	v_bfe_u32 v34, v28, 16, 1
	v_cmp_u_f32_e32 vcc_lo, v28, v28
	v_and_b32_e32 v35, 0xffff0000, v24
	v_add_f32_e32 v27, v27, v31
	v_or_b32_e32 v31, 0x400000, v26
	v_add3_u32 v32, v34, v28, 0x7fff
	v_or_b32_e32 v34, 0x400000, v28
	s_delay_alu instid0(VALU_DEP_4)
	v_dual_add_f32 v25, v27, v25 :: v_dual_lshlrev_b32 v24, 16, v24
	v_and_b32_e32 v27, 0xffff0000, v22
	v_lshlrev_b32_e32 v22, 16, v22
	s_wait_alu 0xfffd
	v_cndmask_b32_e32 v28, v32, v34, vcc_lo
	v_bfe_u32 v32, v21, 16, 1
	v_cmp_u_f32_e32 vcc_lo, v26, v26
	v_dual_mul_f32 v27, v86, v27 :: v_dual_mul_f32 v22, v88, v22
	v_and_b32_e32 v34, 0xffff0000, v23
	v_lshlrev_b32_e32 v23, 16, v23
	s_wait_alu 0xfffd
	v_cndmask_b32_e32 v26, v30, v31, vcc_lo
	v_add3_u32 v30, v32, v21, 0x7fff
	v_or_b32_e32 v31, 0x400000, v21
	v_bfe_u32 v32, v27, 16, 1
	v_cmp_u_f32_e32 vcc_lo, v21, v21
	v_dual_mul_f32 v34, v85, v34 :: v_dual_mul_f32 v23, v95, v23
	v_mul_f32_e32 v24, v94, v24
	s_wait_alu 0xfffd
	v_dual_cndmask_b32 v21, v30, v31 :: v_dual_and_b32 v26, 0xffff0000, v26
	v_add3_u32 v30, v32, v27, 0x7fff
	v_or_b32_e32 v31, 0x400000, v27
	v_bfe_u32 v32, v22, 16, 1
	v_cmp_u_f32_e32 vcc_lo, v27, v27
	v_or_b32_e32 v36, 0x400000, v23
	v_bfe_u32 v38, v24, 16, 1
	v_and_b32_e32 v21, 0xffff0000, v21
	s_wait_alu 0xfffd
	v_dual_cndmask_b32 v27, v30, v31 :: v_dual_and_b32 v28, 0xffff0000, v28
	v_add3_u32 v30, v32, v22, 0x7fff
	v_or_b32_e32 v31, 0x400000, v22
	v_bfe_u32 v32, v34, 16, 1
	v_cmp_u_f32_e32 vcc_lo, v22, v22
	v_and_b32_e32 v27, 0xffff0000, v27
	v_add_f32_e32 v21, v21, v26
	s_wait_alu 0xfffd
	v_dual_add_f32 v169, v169, v29 :: v_dual_cndmask_b32 v22, v30, v31
	v_bfe_u32 v30, v23, 16, 1
	v_add3_u32 v31, v32, v34, 0x7fff
	v_mul_f32_e32 v32, v87, v35
	v_or_b32_e32 v35, 0x400000, v34
	v_cmp_u_f32_e32 vcc_lo, v34, v34
	v_add3_u32 v30, v30, v23, 0x7fff
	v_add3_u32 v34, v38, v24, 0x7fff
	v_bfe_u32 v37, v32, 16, 1
	s_wait_alu 0xfffd
	v_dual_cndmask_b32 v31, v31, v35 :: v_dual_and_b32 v22, 0xffff0000, v22
	v_cmp_u_f32_e32 vcc_lo, v23, v23
	v_or_b32_e32 v35, 0x400000, v24
	s_delay_alu instid0(VALU_DEP_3)
	v_add_f32_e32 v22, v22, v27
	s_wait_alu 0xfffd
	v_dual_cndmask_b32 v23, v30, v36 :: v_dual_and_b32 v26, 0xffff0000, v31
	v_cmp_u_f32_e32 vcc_lo, v24, v24
	v_add3_u32 v30, v37, v32, 0x7fff
	v_or_b32_e32 v36, 0x400000, v32
	v_add_f32_e32 v21, v22, v21
	v_and_b32_e32 v23, 0xffff0000, v23
	s_wait_alu 0xfffd
	v_cndmask_b32_e32 v24, v34, v35, vcc_lo
	v_cmp_u_f32_e32 vcc_lo, v32, v32
	s_delay_alu instid0(VALU_DEP_2) | instskip(SKIP_4) | instid1(VALU_DEP_3)
	v_dual_add_f32 v22, v23, v26 :: v_dual_and_b32 v23, 0xffff0000, v24
	s_wait_alu 0xfffd
	v_dual_cndmask_b32 v27, v30, v36 :: v_dual_and_b32 v30, 0xffff0000, v33
	v_and_b32_e32 v26, 0xffff0000, v17
	v_lshlrev_b32_e32 v17, 16, v17
	v_dual_add_f32 v21, v22, v21 :: v_dual_and_b32 v24, 0xffff0000, v27
	s_delay_alu instid0(VALU_DEP_4) | instskip(NEXT) | instid1(VALU_DEP_2)
	v_add_f32_e32 v27, v28, v30
	v_dual_mul_f32 v17, v93, v17 :: v_dual_add_f32 v22, v23, v24
	s_delay_alu instid0(VALU_DEP_2) | instskip(SKIP_1) | instid1(VALU_DEP_3)
	v_dual_mul_f32 v23, v0, v26 :: v_dual_add_f32 v24, v27, v25
	v_and_b32_e32 v25, 0xffff0000, v18
	v_dual_add_f32 v21, v22, v21 :: v_dual_lshlrev_b32 v18, 16, v18
	s_delay_alu instid0(VALU_DEP_3) | instskip(NEXT) | instid1(VALU_DEP_4)
	v_bfe_u32 v22, v23, 16, 1
	v_add_f32_e32 v170, v170, v24
	v_bfe_u32 v24, v17, 16, 1
	v_mul_f32_e32 v25, v86, v25
	v_add_f32_e32 v171, v171, v21
	v_add3_u32 v21, v22, v23, 0x7fff
	v_or_b32_e32 v22, 0x400000, v23
	v_cmp_u_f32_e32 vcc_lo, v23, v23
	v_add3_u32 v24, v24, v17, 0x7fff
	v_or_b32_e32 v26, 0x400000, v17
	v_dual_mul_f32 v18, v88, v18 :: v_dual_and_b32 v23, 0xffff0000, v19
	s_wait_alu 0xfffd
	v_cndmask_b32_e32 v21, v21, v22, vcc_lo
	v_bfe_u32 v22, v25, 16, 1
	v_cmp_u_f32_e32 vcc_lo, v17, v17
	v_lshlrev_b32_e32 v19, 16, v19
	v_mul_f32_e32 v23, v85, v23
	v_and_b32_e32 v27, 0xffff0000, v20
	v_add3_u32 v22, v22, v25, 0x7fff
	s_wait_alu 0xfffd
	v_cndmask_b32_e32 v17, v24, v26, vcc_lo
	v_or_b32_e32 v24, 0x400000, v25
	v_bfe_u32 v26, v18, 16, 1
	v_cmp_u_f32_e32 vcc_lo, v25, v25
	v_mul_f32_e32 v19, v95, v19
	v_or_b32_e32 v25, 0x400000, v18
	v_lshlrev_b32_e32 v20, 16, v20
	s_wait_alu 0xfffd
	v_dual_cndmask_b32 v22, v22, v24 :: v_dual_and_b32 v17, 0xffff0000, v17
	v_add3_u32 v24, v26, v18, 0x7fff
	v_bfe_u32 v26, v23, 16, 1
	v_cmp_u_f32_e32 vcc_lo, v18, v18
	v_bfe_u32 v28, v19, 16, 1
	v_dual_mul_f32 v20, v94, v20 :: v_dual_and_b32 v21, 0xffff0000, v21
	v_and_b32_e32 v22, 0xffff0000, v22
	s_wait_alu 0xfffd
	v_cndmask_b32_e32 v18, v24, v25, vcc_lo
	v_add3_u32 v24, v26, v23, 0x7fff
	v_mul_f32_e32 v25, v87, v27
	v_or_b32_e32 v26, 0x400000, v23
	v_cmp_u_f32_e32 vcc_lo, v23, v23
	v_add3_u32 v27, v28, v19, 0x7fff
	v_or_b32_e32 v28, 0x400000, v19
	v_bfe_u32 v29, v25, 16, 1
	v_and_b32_e32 v18, 0xffff0000, v18
	s_wait_alu 0xfffd
	v_cndmask_b32_e32 v23, v24, v26, vcc_lo
	v_cmp_u_f32_e32 vcc_lo, v19, v19
	v_or_b32_e32 v26, 0x400000, v25
	v_add3_u32 v24, v29, v25, 0x7fff
	v_dual_add_f32 v17, v17, v21 :: v_dual_add_f32 v18, v18, v22
	s_wait_alu 0xfffd
	v_cndmask_b32_e32 v19, v27, v28, vcc_lo
	v_bfe_u32 v27, v20, 16, 1
	v_cmp_u_f32_e32 vcc_lo, v25, v25
	v_and_b32_e32 v21, 0xffff0000, v23
	v_and_b32_e32 v22, 0xffff0000, v13
	;; [unrolled: 1-line block ×3, first 2 shown]
	v_add3_u32 v25, v27, v20, 0x7fff
	s_wait_alu 0xfffd
	v_cndmask_b32_e32 v24, v24, v26, vcc_lo
	v_or_b32_e32 v26, 0x400000, v20
	v_cmp_u_f32_e32 vcc_lo, v20, v20
	v_add_f32_e32 v17, v18, v17
	v_add_f32_e32 v19, v19, v21
	v_and_b32_e32 v21, 0xffff0000, v24
	s_wait_alu 0xfffd
	v_dual_cndmask_b32 v20, v25, v26 :: v_dual_lshlrev_b32 v13, 16, v13
	s_delay_alu instid0(VALU_DEP_3) | instskip(SKIP_2) | instid1(VALU_DEP_4)
	v_dual_mul_f32 v18, v0, v22 :: v_dual_add_f32 v17, v19, v17
	v_and_b32_e32 v23, 0xffff0000, v14
	v_lshlrev_b32_e32 v14, 16, v14
	v_and_b32_e32 v20, 0xffff0000, v20
	s_delay_alu instid0(VALU_DEP_4) | instskip(SKIP_1) | instid1(VALU_DEP_4)
	v_bfe_u32 v22, v18, 16, 1
	v_cmp_u_f32_e32 vcc_lo, v18, v18
	v_dual_mul_f32 v23, v86, v23 :: v_dual_mul_f32 v14, v88, v14
	s_delay_alu instid0(VALU_DEP_4) | instskip(NEXT) | instid1(VALU_DEP_4)
	v_add_f32_e32 v20, v20, v21
	v_add3_u32 v21, v22, v18, 0x7fff
	v_or_b32_e32 v22, 0x400000, v18
	v_and_b32_e32 v25, 0xffff0000, v16
	s_delay_alu instid0(VALU_DEP_4)
	v_dual_add_f32 v17, v20, v17 :: v_dual_lshlrev_b32 v16, 16, v16
	v_and_b32_e32 v20, 0xffff0000, v12
	v_dual_mul_f32 v13, v93, v13 :: v_dual_lshlrev_b32 v12, 16, v12
	s_wait_alu 0xfffd
	v_cndmask_b32_e32 v18, v21, v22, vcc_lo
	v_bfe_u32 v21, v23, 16, 1
	v_or_b32_e32 v22, 0x400000, v23
	v_mul_f32_e32 v12, v94, v12
	v_bfe_u32 v19, v13, 16, 1
	v_or_b32_e32 v24, 0x400000, v13
	v_cmp_u_f32_e32 vcc_lo, v13, v13
	v_add3_u32 v21, v21, v23, 0x7fff
	v_mul_f32_e32 v16, v94, v16
	v_add3_u32 v19, v19, v13, 0x7fff
	v_and_b32_e32 v18, 0xffff0000, v18
	v_dual_add_f32 v172, v172, v17 :: v_dual_and_b32 v17, 0xffff0000, v10
	s_wait_alu 0xfffd
	s_delay_alu instid0(VALU_DEP_3)
	v_dual_cndmask_b32 v13, v19, v24 :: v_dual_lshlrev_b32 v10, 16, v10
	v_and_b32_e32 v19, 0xffff0000, v15
	v_lshlrev_b32_e32 v15, 16, v15
	v_bfe_u32 v24, v14, 16, 1
	v_cmp_u_f32_e32 vcc_lo, v23, v23
	v_or_b32_e32 v23, 0x400000, v14
	v_mul_f32_e32 v19, v85, v19
	v_mul_f32_e32 v15, v95, v15
	v_and_b32_e32 v13, 0xffff0000, v13
	s_wait_alu 0xfffd
	v_cndmask_b32_e32 v21, v21, v22, vcc_lo
	v_add3_u32 v22, v24, v14, 0x7fff
	v_bfe_u32 v24, v19, 16, 1
	v_cmp_u_f32_e32 vcc_lo, v14, v14
	v_bfe_u32 v26, v15, 16, 1
	v_and_b32_e32 v21, 0xffff0000, v21
	v_add_f32_e32 v13, v13, v18
	v_mul_f32_e32 v17, v86, v17
	s_wait_alu 0xfffd
	v_cndmask_b32_e32 v14, v22, v23, vcc_lo
	v_add3_u32 v22, v24, v19, 0x7fff
	v_mul_f32_e32 v23, v87, v25
	v_or_b32_e32 v24, 0x400000, v19
	v_cmp_u_f32_e32 vcc_lo, v19, v19
	v_add3_u32 v25, v26, v15, 0x7fff
	v_or_b32_e32 v26, 0x400000, v15
	v_bfe_u32 v27, v23, 16, 1
	s_wait_alu 0xfffd
	v_dual_cndmask_b32 v19, v22, v24 :: v_dual_and_b32 v14, 0xffff0000, v14
	v_cmp_u_f32_e32 vcc_lo, v15, v15
	v_or_b32_e32 v24, 0x400000, v23
	v_add3_u32 v22, v27, v23, 0x7fff
	s_delay_alu instid0(VALU_DEP_4)
	v_add_f32_e32 v14, v14, v21
	s_wait_alu 0xfffd
	v_dual_cndmask_b32 v15, v25, v26 :: v_dual_and_b32 v18, 0xffff0000, v19
	v_bfe_u32 v25, v16, 16, 1
	v_cmp_u_f32_e32 vcc_lo, v23, v23
	v_add_f32_e32 v13, v14, v13
	v_and_b32_e32 v14, 0xffff0000, v9
	v_and_b32_e32 v15, 0xffff0000, v15
	v_add3_u32 v23, v25, v16, 0x7fff
	s_wait_alu 0xfffd
	v_cndmask_b32_e32 v22, v22, v24, vcc_lo
	v_or_b32_e32 v24, 0x400000, v16
	v_cmp_u_f32_e32 vcc_lo, v16, v16
	v_add_f32_e32 v15, v15, v18
	v_lshlrev_b32_e32 v9, 16, v9
	v_and_b32_e32 v18, 0xffff0000, v22
	v_mul_f32_e32 v14, v0, v14
	s_wait_alu 0xfffd
	v_cndmask_b32_e32 v16, v23, v24, vcc_lo
	v_dual_mul_f32 v10, v88, v10 :: v_dual_mul_f32 v19, v93, v9
	v_add_f32_e32 v9, v15, v13
	v_bfe_u32 v15, v14, 16, 1
	s_delay_alu instid0(VALU_DEP_4) | instskip(SKIP_1) | instid1(VALU_DEP_2)
	v_and_b32_e32 v16, 0xffff0000, v16
	v_cmp_u_f32_e32 vcc_lo, v14, v14
	v_add_f32_e32 v13, v16, v18
	v_bfe_u32 v16, v19, 16, 1
	v_or_b32_e32 v18, 0x400000, v19
	s_delay_alu instid0(VALU_DEP_3)
	v_add_f32_e32 v9, v13, v9
	v_add3_u32 v13, v15, v14, 0x7fff
	v_or_b32_e32 v15, 0x400000, v14
	v_add3_u32 v16, v16, v19, 0x7fff
	v_bfe_u32 v14, v17, 16, 1
	s_wait_alu 0xfffd
	s_delay_alu instid0(VALU_DEP_3) | instskip(SKIP_1) | instid1(VALU_DEP_3)
	v_cndmask_b32_e32 v13, v13, v15, vcc_lo
	v_cmp_u_f32_e32 vcc_lo, v19, v19
	v_add3_u32 v14, v14, v17, 0x7fff
	v_bfe_u32 v19, v10, 16, 1
	s_delay_alu instid0(VALU_DEP_4)
	v_and_b32_e32 v13, 0xffff0000, v13
	s_wait_alu 0xfffd
	v_dual_cndmask_b32 v15, v16, v18 :: v_dual_and_b32 v16, 0xffff0000, v11
	v_or_b32_e32 v18, 0x400000, v17
	v_lshlrev_b32_e32 v11, 16, v11
	v_cmp_u_f32_e32 vcc_lo, v17, v17
	v_add3_u32 v17, v19, v10, 0x7fff
	v_dual_mul_f32 v16, v85, v16 :: v_dual_and_b32 v15, 0xffff0000, v15
	s_wait_alu 0xfffd
	v_dual_mul_f32 v11, v95, v11 :: v_dual_cndmask_b32 v14, v14, v18
	v_or_b32_e32 v18, 0x400000, v10
	s_delay_alu instid0(VALU_DEP_3) | instskip(SKIP_1) | instid1(VALU_DEP_4)
	v_bfe_u32 v19, v16, 16, 1
	v_cmp_u_f32_e32 vcc_lo, v10, v10
	v_bfe_u32 v21, v11, 16, 1
	v_dual_add_f32 v13, v15, v13 :: v_dual_and_b32 v14, 0xffff0000, v14
	s_wait_alu 0xfffd
	v_dual_cndmask_b32 v10, v17, v18 :: v_dual_and_b32 v15, 0xffff0000, v5
	v_add3_u32 v17, v19, v16, 0x7fff
	v_mul_f32_e32 v18, v87, v20
	v_or_b32_e32 v19, 0x400000, v16
	v_cmp_u_f32_e32 vcc_lo, v16, v16
	v_add3_u32 v20, v21, v11, 0x7fff
	v_or_b32_e32 v21, 0x400000, v11
	v_bfe_u32 v22, v18, 16, 1
	v_and_b32_e32 v10, 0xffff0000, v10
	s_wait_alu 0xfffd
	v_cndmask_b32_e32 v16, v17, v19, vcc_lo
	v_cmp_u_f32_e32 vcc_lo, v11, v11
	v_or_b32_e32 v19, 0x400000, v18
	v_add3_u32 v17, v22, v18, 0x7fff
	v_add_f32_e32 v10, v10, v14
	s_wait_alu 0xfffd
	v_dual_cndmask_b32 v11, v20, v21 :: v_dual_and_b32 v14, 0xffff0000, v16
	v_bfe_u32 v20, v12, 16, 1
	v_cmp_u_f32_e32 vcc_lo, v18, v18
	v_lshlrev_b32_e32 v5, 16, v5
	s_delay_alu instid0(VALU_DEP_4) | instskip(NEXT) | instid1(VALU_DEP_4)
	v_dual_add_f32 v10, v10, v13 :: v_dual_and_b32 v11, 0xffff0000, v11
	v_add3_u32 v18, v20, v12, 0x7fff
	s_wait_alu 0xfffd
	v_cndmask_b32_e32 v17, v17, v19, vcc_lo
	v_or_b32_e32 v19, 0x400000, v12
	v_cmp_u_f32_e32 vcc_lo, v12, v12
	v_mul_f32_e32 v13, v0, v15
	v_add_f32_e32 v11, v11, v14
	v_mul_f32_e32 v5, v93, v5
	v_and_b32_e32 v14, 0xffff0000, v17
	s_wait_alu 0xfffd
	v_dual_cndmask_b32 v12, v18, v19 :: v_dual_and_b32 v15, 0xffff0000, v6
	v_bfe_u32 v16, v13, 16, 1
	v_add_f32_e32 v10, v11, v10
	v_bfe_u32 v11, v5, 16, 1
	s_delay_alu instid0(VALU_DEP_4)
	v_and_b32_e32 v12, 0xffff0000, v12
	v_lshlrev_b32_e32 v6, 16, v6
	v_cmp_u_f32_e32 vcc_lo, v13, v13
	v_or_b32_e32 v17, 0x400000, v5
	v_add3_u32 v11, v11, v5, 0x7fff
	v_add_f32_e32 v12, v12, v14
	v_mul_f32_e32 v14, v86, v15
	v_add3_u32 v15, v16, v13, 0x7fff
	v_or_b32_e32 v16, 0x400000, v13
	v_mul_f32_e32 v6, v88, v6
	s_delay_alu instid0(VALU_DEP_4) | instskip(SKIP_1) | instid1(VALU_DEP_3)
	v_bfe_u32 v18, v14, 16, 1
	s_wait_alu 0xfffd
	v_cndmask_b32_e32 v13, v15, v16, vcc_lo
	v_cmp_u_f32_e32 vcc_lo, v5, v5
	v_and_b32_e32 v16, 0xffff0000, v7
	v_or_b32_e32 v15, 0x400000, v14
	v_lshlrev_b32_e32 v7, 16, v7
	v_and_b32_e32 v13, 0xffff0000, v13
	s_wait_alu 0xfffd
	v_cndmask_b32_e32 v5, v11, v17, vcc_lo
	v_add3_u32 v11, v18, v14, 0x7fff
	v_bfe_u32 v17, v6, 16, 1
	v_cmp_u_f32_e32 vcc_lo, v14, v14
	v_dual_mul_f32 v14, v85, v16 :: v_dual_mul_f32 v7, v95, v7
	v_or_b32_e32 v16, 0x400000, v6
	v_and_b32_e32 v5, 0xffff0000, v5
	s_wait_alu 0xfffd
	v_cndmask_b32_e32 v11, v11, v15, vcc_lo
	v_add3_u32 v15, v17, v6, 0x7fff
	v_and_b32_e32 v17, 0xffff0000, v8
	v_bfe_u32 v18, v14, 16, 1
	v_cmp_u_f32_e32 vcc_lo, v6, v6
	v_bfe_u32 v19, v7, 16, 1
	v_dual_add_f32 v5, v5, v13 :: v_dual_lshlrev_b32 v8, 16, v8
	s_wait_alu 0xfffd
	v_cndmask_b32_e32 v6, v15, v16, vcc_lo
	v_mul_f32_e32 v15, v87, v17
	v_add3_u32 v16, v18, v14, 0x7fff
	v_or_b32_e32 v17, 0x400000, v14
	v_cmp_u_f32_e32 vcc_lo, v14, v14
	v_add3_u32 v18, v19, v7, 0x7fff
	v_or_b32_e32 v19, 0x400000, v7
	v_bfe_u32 v20, v15, 16, 1
	v_mul_f32_e32 v8, v94, v8
	s_wait_alu 0xfffd
	v_cndmask_b32_e32 v14, v16, v17, vcc_lo
	v_cmp_u_f32_e32 vcc_lo, v7, v7
	v_or_b32_e32 v17, 0x400000, v15
	v_add3_u32 v16, v20, v15, 0x7fff
	v_and_b32_e32 v6, 0xffff0000, v6
	v_and_b32_e32 v13, 0xffff0000, v14
	s_wait_alu 0xfffd
	v_cndmask_b32_e32 v7, v18, v19, vcc_lo
	v_cmp_u_f32_e32 vcc_lo, v15, v15
	s_wait_loadcnt 0x0
	v_and_b32_e32 v20, 0xffff0000, v48
	v_and_b32_e32 v11, 0xffff0000, v11
	v_lshlrev_b32_e32 v19, 16, v48
	v_and_b32_e32 v7, 0xffff0000, v7
	s_wait_alu 0xfffd
	v_cndmask_b32_e32 v15, v16, v17, vcc_lo
	v_bfe_u32 v16, v8, 16, 1
	v_cmp_u_f32_e32 vcc_lo, v8, v8
	v_dual_add_f32 v6, v6, v11 :: v_dual_and_b32 v11, 0xffff0000, v1
	v_add_f32_e32 v7, v7, v13
	s_delay_alu instid0(VALU_DEP_4) | instskip(SKIP_1) | instid1(VALU_DEP_4)
	v_add3_u32 v14, v16, v8, 0x7fff
	v_or_b32_e32 v16, 0x400000, v8
	v_dual_add_f32 v5, v6, v5 :: v_dual_mul_f32 v6, v0, v11
	s_wait_alu 0xfffd
	s_delay_alu instid0(VALU_DEP_2) | instskip(SKIP_1) | instid1(VALU_DEP_3)
	v_cndmask_b32_e32 v8, v14, v16, vcc_lo
	v_and_b32_e32 v14, 0xffff0000, v15
	v_bfe_u32 v11, v6, 16, 1
	v_add_f32_e32 v5, v7, v5
	v_and_b32_e32 v7, 0xffff0000, v2
	v_and_b32_e32 v8, 0xffff0000, v8
	v_lshlrev_b32_e32 v1, 16, v1
	v_add3_u32 v11, v11, v6, 0x7fff
	v_or_b32_e32 v13, 0x400000, v6
	s_delay_alu instid0(VALU_DEP_4) | instskip(NEXT) | instid1(VALU_DEP_4)
	v_dual_mul_f32 v7, v86, v7 :: v_dual_add_f32 v8, v8, v14
	v_mul_f32_e32 v1, v93, v1
	v_cmp_u_f32_e32 vcc_lo, v6, v6
	v_lshlrev_b32_e32 v2, 16, v2
	s_delay_alu instid0(VALU_DEP_4)
	v_or_b32_e32 v17, 0x400000, v7
	v_add_f32_e32 v173, v173, v9
	v_bfe_u32 v15, v1, 16, 1
	s_wait_alu 0xfffd
	v_cndmask_b32_e32 v6, v11, v13, vcc_lo
	v_bfe_u32 v11, v7, 16, 1
	v_or_b32_e32 v16, 0x400000, v1
	v_mul_f32_e32 v2, v88, v2
	v_add3_u32 v13, v15, v1, 0x7fff
	v_and_b32_e32 v15, 0xffff0000, v3
	v_cmp_u_f32_e32 vcc_lo, v1, v1
	v_add3_u32 v11, v11, v7, 0x7fff
	v_lshlrev_b32_e32 v3, 16, v3
	s_delay_alu instid0(VALU_DEP_4)
	v_dual_mul_f32 v15, v85, v15 :: v_dual_and_b32 v6, 0xffff0000, v6
	s_wait_alu 0xfffd
	v_cndmask_b32_e32 v1, v13, v16, vcc_lo
	v_bfe_u32 v13, v2, 16, 1
	v_cmp_u_f32_e32 vcc_lo, v7, v7
	v_dual_mul_f32 v3, v95, v3 :: v_dual_and_b32 v16, 0xffff0000, v4
	v_or_b32_e32 v18, 0x400000, v15
	s_delay_alu instid0(VALU_DEP_4)
	v_add3_u32 v13, v13, v2, 0x7fff
	s_wait_alu 0xfffd
	v_cndmask_b32_e32 v7, v11, v17, vcc_lo
	v_bfe_u32 v11, v15, 16, 1
	v_or_b32_e32 v17, 0x400000, v2
	v_cmp_u_f32_e32 vcc_lo, v2, v2
	v_mul_f32_e32 v16, v87, v16
	v_lshlrev_b32_e32 v4, 16, v4
	v_add3_u32 v11, v11, v15, 0x7fff
	v_and_b32_e32 v1, 0xffff0000, v1
	s_wait_alu 0xfffd
	v_cndmask_b32_e32 v2, v13, v17, vcc_lo
	v_bfe_u32 v13, v3, 16, 1
	v_cmp_u_f32_e32 vcc_lo, v15, v15
	v_bfe_u32 v17, v16, 16, 1
	v_or_b32_e32 v15, 0x400000, v3
	v_mul_f32_e32 v4, v94, v4
	v_add3_u32 v13, v13, v3, 0x7fff
	s_wait_alu 0xfffd
	v_cndmask_b32_e32 v11, v11, v18, vcc_lo
	v_cmp_u_f32_e32 vcc_lo, v3, v3
	v_add3_u32 v17, v17, v16, 0x7fff
	v_or_b32_e32 v18, 0x400000, v16
	v_and_b32_e32 v2, 0xffff0000, v2
	v_and_b32_e32 v7, 0xffff0000, v7
	s_wait_alu 0xfffd
	v_cndmask_b32_e32 v3, v13, v15, vcc_lo
	v_cmp_u_f32_e32 vcc_lo, v16, v16
	v_bfe_u32 v15, v4, 16, 1
	v_dual_add_f32 v1, v1, v6 :: v_dual_add_f32 v2, v2, v7
	s_delay_alu instid0(VALU_DEP_4)
	v_and_b32_e32 v3, 0xffff0000, v3
	s_wait_alu 0xfffd
	v_cndmask_b32_e32 v13, v17, v18, vcc_lo
	v_lshlrev_b32_e32 v17, 16, v45
	v_and_b32_e32 v6, 0xffff0000, v11
	v_and_b32_e32 v11, 0xffff0000, v45
	v_add3_u32 v15, v15, v4, 0x7fff
	v_or_b32_e32 v16, 0x400000, v4
	v_mul_f32_e32 v7, v93, v17
	v_cmp_u_f32_e32 vcc_lo, v4, v4
	v_add_f32_e32 v1, v2, v1
	v_dual_add_f32 v3, v3, v6 :: v_dual_mul_f32 v0, v0, v11
	s_delay_alu instid0(VALU_DEP_4)
	v_bfe_u32 v2, v7, 16, 1
	v_lshlrev_b32_e32 v6, 16, v46
	s_wait_alu 0xfffd
	v_cndmask_b32_e32 v4, v15, v16, vcc_lo
	v_or_b32_e32 v11, 0x400000, v7
	v_bfe_u32 v15, v0, 16, 1
	v_add3_u32 v2, v2, v7, 0x7fff
	v_mul_f32_e32 v6, v88, v6
	v_and_b32_e32 v16, 0xffff0000, v46
	v_cmp_u_f32_e32 vcc_lo, v7, v7
	v_add3_u32 v7, v15, v0, 0x7fff
	v_lshlrev_b32_e32 v17, 16, v47
	v_bfe_u32 v15, v6, 16, 1
	v_mul_f32_e32 v16, v86, v16
	s_wait_alu 0xfffd
	v_cndmask_b32_e32 v2, v2, v11, vcc_lo
	v_or_b32_e32 v11, 0x400000, v0
	v_cmp_u_f32_e32 vcc_lo, v0, v0
	v_dual_mul_f32 v17, v95, v17 :: v_dual_and_b32 v18, 0xffff0000, v47
	s_delay_alu instid0(VALU_DEP_4)
	v_and_b32_e32 v2, 0xffff0000, v2
	v_and_b32_e32 v4, 0xffff0000, v4
	s_wait_alu 0xfffd
	v_cndmask_b32_e32 v0, v7, v11, vcc_lo
	v_add3_u32 v7, v15, v6, 0x7fff
	v_or_b32_e32 v11, 0x400000, v6
	v_bfe_u32 v15, v16, 16, 1
	v_cmp_u_f32_e32 vcc_lo, v6, v6
	v_mul_f32_e32 v18, v85, v18
	v_and_b32_e32 v0, 0xffff0000, v0
	v_and_b32_e32 v13, 0xffff0000, v13
	v_add_f32_e32 v1, v3, v1
	s_wait_alu 0xfffd
	v_cndmask_b32_e32 v6, v7, v11, vcc_lo
	v_add3_u32 v7, v15, v16, 0x7fff
	v_or_b32_e32 v11, 0x400000, v16
	v_bfe_u32 v15, v17, 16, 1
	v_cmp_u_f32_e32 vcc_lo, v16, v16
	v_dual_mul_f32 v16, v94, v19 :: v_dual_mul_f32 v19, v87, v20
	v_or_b32_e32 v20, 0x400000, v17
	s_delay_alu instid0(VALU_DEP_4)
	v_add3_u32 v15, v15, v17, 0x7fff
	s_wait_alu 0xfffd
	v_cndmask_b32_e32 v7, v7, v11, vcc_lo
	v_bfe_u32 v11, v18, 16, 1
	v_cmp_u_f32_e32 vcc_lo, v17, v17
	v_or_b32_e32 v21, 0x400000, v18
	v_bfe_u32 v23, v19, 16, 1
	v_bfe_u32 v22, v16, 16, 1
	v_add3_u32 v11, v11, v18, 0x7fff
	s_wait_alu 0xfffd
	v_cndmask_b32_e32 v15, v15, v20, vcc_lo
	v_cmp_u_f32_e32 vcc_lo, v18, v18
	v_add3_u32 v18, v23, v19, 0x7fff
	v_or_b32_e32 v20, 0x400000, v19
	v_add3_u32 v17, v22, v16, 0x7fff
	v_and_b32_e32 v7, 0xffff0000, v7
	s_wait_alu 0xfffd
	v_cndmask_b32_e32 v11, v11, v21, vcc_lo
	v_cmp_u_f32_e32 vcc_lo, v19, v19
	v_and_b32_e32 v6, 0xffff0000, v6
	v_or_b32_e32 v21, 0x400000, v16
	v_dual_add_f32 v0, v2, v0 :: v_dual_add_f32 v3, v4, v13
	s_wait_alu 0xfffd
	v_cndmask_b32_e32 v18, v18, v20, vcc_lo
	v_cmp_u_f32_e32 vcc_lo, v16, v16
	v_add_f32_e32 v2, v6, v7
	v_and_b32_e32 v6, 0xffff0000, v11
	v_dual_add_f32 v4, v12, v10 :: v_dual_and_b32 v7, 0xffff0000, v15
	s_wait_alu 0xfffd
	s_delay_alu instid0(VALU_DEP_3) | instskip(NEXT) | instid1(VALU_DEP_2)
	v_dual_cndmask_b32 v11, v17, v21 :: v_dual_add_f32 v0, v2, v0
	v_dual_add_f32 v5, v8, v5 :: v_dual_add_f32 v2, v7, v6
	v_and_b32_e32 v6, 0xffff0000, v18
	s_delay_alu instid0(VALU_DEP_3)
	v_and_b32_e32 v7, 0xffff0000, v11
	v_add_f32_e32 v1, v3, v1
	v_cmp_le_i32_e32 vcc_lo, s26, v179
	v_add_f32_e32 v0, v2, v0
	v_add_f32_e32 v175, v175, v4
	;; [unrolled: 1-line block ×5, first 2 shown]
	s_or_b32 s9, vcc_lo, s9
	s_delay_alu instid0(VALU_DEP_3) | instskip(NEXT) | instid1(VALU_DEP_1)
	v_add_f32_e32 v0, v2, v0
	v_add_f32_e32 v145, v145, v0
	s_wait_alu 0xfffe
	s_and_not1_b32 exec_lo, exec_lo, s9
	s_cbranch_execz .LBB188_93
.LBB188_29:                             ; =>This Inner Loop Header: Depth=1
	global_load_b32 v0, v[137:138], off
	v_add_nc_u32_e32 v183, 1, v177
	v_or_b32_e32 v182, 3, v177
	v_or_b32_e32 v184, 2, v177
	;; [unrolled: 1-line block ×5, first 2 shown]
	s_wait_loadcnt 0x0
	v_mad_co_i64_i32 v[0:1], null, v0, s3, 0
	s_delay_alu instid0(VALU_DEP_1) | instskip(SKIP_1) | instid1(VALU_DEP_1)
	v_lshlrev_b64_e32 v[0:1], 1, v[0:1]
	s_wait_alu 0xfffe
	v_add_co_u32 v47, vcc_lo, s4, v0
	s_wait_alu 0xfffd
	s_delay_alu instid0(VALU_DEP_2) | instskip(SKIP_1) | instid1(VALU_DEP_3)
	v_add_co_ci_u32_e64 v48, null, s5, v1, vcc_lo
	v_or_b32_e32 v0, 7, v177
	v_add_co_u32 v45, vcc_lo, v47, v139
	s_wait_alu 0xfffd
	s_delay_alu instid0(VALU_DEP_3)
	v_add_co_ci_u32_e64 v46, null, 0, v48, vcc_lo
	v_cmp_eq_u32_e32 vcc_lo, s8, v179
	global_load_b128 v[1:4], v[45:46], off
	ds_load_2addr_b64 v[93:96], v178 offset1:1
	ds_load_2addr_b64 v[85:88], v178 offset0:2 offset1:3
	s_and_saveexec_b32 s11, vcc_lo
	s_cbranch_execnz .LBB188_63
; %bb.30:                               ;   in Loop: Header=BB188_29 Depth=1
	s_wait_alu 0xfffe
	s_or_b32 exec_lo, exec_lo, s11
	global_load_b128 v[5:8], v[45:46], off offset:512
	s_and_saveexec_b32 s11, vcc_lo
	s_cbranch_execnz .LBB188_64
.LBB188_31:                             ;   in Loop: Header=BB188_29 Depth=1
	s_wait_alu 0xfffe
	s_or_b32 exec_lo, exec_lo, s11
	global_load_b128 v[9:12], v[45:46], off offset:1024
	s_and_saveexec_b32 s11, vcc_lo
	s_cbranch_execnz .LBB188_65
.LBB188_32:                             ;   in Loop: Header=BB188_29 Depth=1
	s_wait_alu 0xfffe
	s_or_b32 exec_lo, exec_lo, s11
	global_load_b128 v[13:16], v[45:46], off offset:1536
	s_and_saveexec_b32 s11, vcc_lo
	s_cbranch_execnz .LBB188_66
.LBB188_33:                             ;   in Loop: Header=BB188_29 Depth=1
	s_wait_alu 0xfffe
	s_or_b32 exec_lo, exec_lo, s11
	global_load_b128 v[17:20], v[45:46], off offset:2048
	s_and_saveexec_b32 s11, vcc_lo
	s_cbranch_execnz .LBB188_67
.LBB188_34:                             ;   in Loop: Header=BB188_29 Depth=1
	s_wait_alu 0xfffe
	s_or_b32 exec_lo, exec_lo, s11
	global_load_b128 v[21:24], v[45:46], off offset:2560
	s_and_saveexec_b32 s11, vcc_lo
	s_cbranch_execnz .LBB188_68
.LBB188_35:                             ;   in Loop: Header=BB188_29 Depth=1
	s_wait_alu 0xfffe
	s_or_b32 exec_lo, exec_lo, s11
	global_load_b128 v[25:28], v[45:46], off offset:3072
	s_and_saveexec_b32 s11, vcc_lo
	s_cbranch_execnz .LBB188_69
.LBB188_36:                             ;   in Loop: Header=BB188_29 Depth=1
	s_wait_alu 0xfffe
	s_or_b32 exec_lo, exec_lo, s11
	global_load_b128 v[29:32], v[45:46], off offset:3584
	s_and_saveexec_b32 s11, vcc_lo
	s_cbranch_execnz .LBB188_70
.LBB188_37:                             ;   in Loop: Header=BB188_29 Depth=1
	s_wait_alu 0xfffe
	s_or_b32 exec_lo, exec_lo, s11
	global_load_b128 v[33:36], v[45:46], off offset:4096
	s_and_saveexec_b32 s11, vcc_lo
	s_cbranch_execnz .LBB188_71
.LBB188_38:                             ;   in Loop: Header=BB188_29 Depth=1
	s_wait_alu 0xfffe
	s_or_b32 exec_lo, exec_lo, s11
	global_load_b128 v[37:40], v[45:46], off offset:4608
	s_and_saveexec_b32 s11, vcc_lo
	s_cbranch_execnz .LBB188_72
.LBB188_39:                             ;   in Loop: Header=BB188_29 Depth=1
	s_wait_alu 0xfffe
	s_or_b32 exec_lo, exec_lo, s11
	global_load_b128 v[41:44], v[45:46], off offset:5120
	s_and_saveexec_b32 s11, vcc_lo
	s_cbranch_execnz .LBB188_73
.LBB188_40:                             ;   in Loop: Header=BB188_29 Depth=1
	s_wait_alu 0xfffe
	s_or_b32 exec_lo, exec_lo, s11
	global_load_b128 v[49:52], v[45:46], off offset:5632
	s_and_saveexec_b32 s11, vcc_lo
	s_cbranch_execnz .LBB188_74
.LBB188_41:                             ;   in Loop: Header=BB188_29 Depth=1
	s_wait_alu 0xfffe
	s_or_b32 exec_lo, exec_lo, s11
	global_load_b128 v[53:56], v[45:46], off offset:6144
	s_and_saveexec_b32 s11, vcc_lo
	s_cbranch_execnz .LBB188_75
.LBB188_42:                             ;   in Loop: Header=BB188_29 Depth=1
	s_wait_alu 0xfffe
	s_or_b32 exec_lo, exec_lo, s11
	global_load_b128 v[57:60], v[45:46], off offset:6656
	s_and_saveexec_b32 s11, vcc_lo
	s_cbranch_execnz .LBB188_76
.LBB188_43:                             ;   in Loop: Header=BB188_29 Depth=1
	s_wait_alu 0xfffe
	s_or_b32 exec_lo, exec_lo, s11
	global_load_b128 v[61:64], v[45:46], off offset:7168
	s_and_saveexec_b32 s11, vcc_lo
	s_cbranch_execnz .LBB188_77
.LBB188_44:                             ;   in Loop: Header=BB188_29 Depth=1
	s_wait_alu 0xfffe
	s_or_b32 exec_lo, exec_lo, s11
	global_load_b128 v[65:68], v[45:46], off offset:7680
	s_and_saveexec_b32 s11, vcc_lo
	s_cbranch_execnz .LBB188_78
.LBB188_45:                             ;   in Loop: Header=BB188_29 Depth=1
	s_wait_alu 0xfffe
	s_or_b32 exec_lo, exec_lo, s11
	global_load_b128 v[69:72], v[45:46], off offset:8192
	s_and_saveexec_b32 s11, vcc_lo
	s_cbranch_execnz .LBB188_79
.LBB188_46:                             ;   in Loop: Header=BB188_29 Depth=1
	s_wait_alu 0xfffe
	s_or_b32 exec_lo, exec_lo, s11
	global_load_b128 v[73:76], v[45:46], off offset:8704
	s_and_saveexec_b32 s11, vcc_lo
	s_cbranch_execnz .LBB188_80
.LBB188_47:                             ;   in Loop: Header=BB188_29 Depth=1
	s_wait_alu 0xfffe
	s_or_b32 exec_lo, exec_lo, s11
	global_load_b128 v[77:80], v[45:46], off offset:9216
	s_and_saveexec_b32 s11, vcc_lo
	s_cbranch_execnz .LBB188_81
.LBB188_48:                             ;   in Loop: Header=BB188_29 Depth=1
	s_wait_alu 0xfffe
	s_or_b32 exec_lo, exec_lo, s11
	global_load_b128 v[81:84], v[45:46], off offset:9728
	s_and_saveexec_b32 s11, vcc_lo
	s_cbranch_execnz .LBB188_82
.LBB188_49:                             ;   in Loop: Header=BB188_29 Depth=1
	s_wait_alu 0xfffe
	s_or_b32 exec_lo, exec_lo, s11
	global_load_b128 v[89:92], v[45:46], off offset:10240
	s_and_saveexec_b32 s11, vcc_lo
	s_cbranch_execnz .LBB188_83
.LBB188_50:                             ;   in Loop: Header=BB188_29 Depth=1
	s_wait_alu 0xfffe
	s_or_b32 exec_lo, exec_lo, s11
	global_load_b128 v[97:100], v[45:46], off offset:10752
	s_and_saveexec_b32 s11, vcc_lo
	s_cbranch_execnz .LBB188_84
.LBB188_51:                             ;   in Loop: Header=BB188_29 Depth=1
	s_wait_alu 0xfffe
	s_or_b32 exec_lo, exec_lo, s11
	global_load_b128 v[101:104], v[45:46], off offset:11264
	s_and_saveexec_b32 s11, vcc_lo
	s_cbranch_execnz .LBB188_85
.LBB188_52:                             ;   in Loop: Header=BB188_29 Depth=1
	s_wait_alu 0xfffe
	s_or_b32 exec_lo, exec_lo, s11
	global_load_b128 v[105:108], v[45:46], off offset:11776
	s_and_saveexec_b32 s11, vcc_lo
	s_cbranch_execnz .LBB188_86
.LBB188_53:                             ;   in Loop: Header=BB188_29 Depth=1
	s_wait_alu 0xfffe
	s_or_b32 exec_lo, exec_lo, s11
	global_load_b128 v[109:112], v[45:46], off offset:12288
	s_and_saveexec_b32 s11, vcc_lo
	s_cbranch_execnz .LBB188_87
.LBB188_54:                             ;   in Loop: Header=BB188_29 Depth=1
	s_wait_alu 0xfffe
	s_or_b32 exec_lo, exec_lo, s11
	global_load_b128 v[113:116], v[45:46], off offset:12800
	s_and_saveexec_b32 s11, vcc_lo
	s_cbranch_execnz .LBB188_88
.LBB188_55:                             ;   in Loop: Header=BB188_29 Depth=1
	s_wait_alu 0xfffe
	s_or_b32 exec_lo, exec_lo, s11
	global_load_b128 v[117:120], v[45:46], off offset:13312
	s_and_saveexec_b32 s11, vcc_lo
	s_cbranch_execnz .LBB188_89
.LBB188_56:                             ;   in Loop: Header=BB188_29 Depth=1
	s_wait_alu 0xfffe
	s_or_b32 exec_lo, exec_lo, s11
	global_load_b128 v[121:124], v[45:46], off offset:13824
	s_and_saveexec_b32 s11, vcc_lo
	s_cbranch_execnz .LBB188_90
.LBB188_57:                             ;   in Loop: Header=BB188_29 Depth=1
	s_wait_alu 0xfffe
	s_or_b32 exec_lo, exec_lo, s11
	global_load_b128 v[125:128], v[45:46], off offset:14336
	s_and_saveexec_b32 s11, vcc_lo
	s_cbranch_execnz .LBB188_91
.LBB188_58:                             ;   in Loop: Header=BB188_29 Depth=1
	s_wait_alu 0xfffe
	s_or_b32 exec_lo, exec_lo, s11
	global_load_b128 v[129:132], v[45:46], off offset:14848
	s_and_saveexec_b32 s11, vcc_lo
	s_cbranch_execnz .LBB188_92
.LBB188_59:                             ;   in Loop: Header=BB188_29 Depth=1
	s_wait_alu 0xfffe
	s_or_b32 exec_lo, exec_lo, s11
	global_load_b128 v[133:136], v[45:46], off offset:15360
	s_and_saveexec_b32 s11, vcc_lo
	s_cbranch_execz .LBB188_61
.LBB188_60:                             ;   in Loop: Header=BB188_29 Depth=1
	v_cmp_gt_i32_e64 s0, s13, v177
	s_wait_loadcnt 0x0
	v_lshrrev_b32_e32 v45, 16, v133
	v_lshrrev_b32_e32 v186, 16, v136
	s_wait_alu 0xf1ff
	v_cndmask_b32_e64 v46, 0, v133, s0
	v_cmp_gt_i32_e64 s0, s10, v183
	v_lshrrev_b32_e32 v133, 16, v134
	s_wait_alu 0xf1ff
	s_delay_alu instid0(VALU_DEP_2) | instskip(SKIP_2) | instid1(VALU_DEP_1)
	v_cndmask_b32_e64 v45, 0, v45, s0
	v_cmp_gt_i32_e64 s0, s13, v184
	s_wait_alu 0xf1ff
	v_cndmask_b32_e64 v134, 0, v134, s0
	v_cmp_gt_i32_e64 s0, s10, v182
	s_wait_alu 0xf1ff
	s_delay_alu instid0(VALU_DEP_1) | instskip(SKIP_2) | instid1(VALU_DEP_3)
	v_cndmask_b32_e64 v185, 0, v133, s0
	v_cmp_gt_i32_e64 s0, s13, v181
	v_lshrrev_b32_e32 v133, 16, v135
	v_perm_b32 v134, v185, v134, 0x5040100
	s_wait_alu 0xf1ff
	s_delay_alu instid0(VALU_DEP_3) | instskip(SKIP_2) | instid1(VALU_DEP_1)
	v_cndmask_b32_e64 v135, 0, v135, s0
	v_cmp_gt_i32_e64 s0, s10, v140
	s_wait_alu 0xf1ff
	v_cndmask_b32_e64 v187, 0, v133, s0
	v_cmp_gt_i32_e64 s0, s13, v141
	v_perm_b32 v133, v45, v46, 0x5040100
	s_delay_alu instid0(VALU_DEP_3) | instskip(SKIP_1) | instid1(VALU_DEP_3)
	v_perm_b32 v135, v187, v135, 0x5040100
	s_wait_alu 0xf1ff
	v_cndmask_b32_e64 v136, 0, v136, s0
	v_cmp_gt_i32_e64 s0, s10, v0
	s_wait_alu 0xf1ff
	s_delay_alu instid0(VALU_DEP_1) | instskip(NEXT) | instid1(VALU_DEP_1)
	v_cndmask_b32_e64 v186, 0, v186, s0
	v_perm_b32 v136, v186, v136, 0x5040100
.LBB188_61:                             ;   in Loop: Header=BB188_29 Depth=1
	s_wait_alu 0xfffe
	s_or_b32 exec_lo, exec_lo, s11
	v_add_co_u32 v45, s0, v47, v180
	s_wait_alu 0xf1ff
	v_add_co_ci_u32_e64 v46, null, 0, v48, s0
	global_load_b128 v[45:48], v[45:46], off
	s_and_saveexec_b32 s0, vcc_lo
	s_cbranch_execz .LBB188_28
; %bb.62:                               ;   in Loop: Header=BB188_29 Depth=1
	v_cmp_gt_i32_e32 vcc_lo, s13, v177
	s_wait_loadcnt 0x0
	v_lshrrev_b32_e32 v185, 16, v45
	v_lshrrev_b32_e32 v186, 16, v46
	s_wait_alu 0xfffd
	v_cndmask_b32_e32 v45, 0, v45, vcc_lo
	v_cmp_gt_i32_e32 vcc_lo, s10, v183
	s_wait_alu 0xfffd
	v_cndmask_b32_e32 v183, 0, v185, vcc_lo
	v_cmp_gt_i32_e32 vcc_lo, s13, v184
	v_lshrrev_b32_e32 v184, 16, v47
	s_wait_alu 0xfffd
	v_cndmask_b32_e32 v46, 0, v46, vcc_lo
	v_cmp_gt_i32_e32 vcc_lo, s10, v182
	s_wait_alu 0xfffd
	v_cndmask_b32_e32 v182, 0, v186, vcc_lo
	v_cmp_gt_i32_e32 vcc_lo, s13, v181
	v_lshrrev_b32_e32 v181, 16, v48
	v_perm_b32 v45, v183, v45, 0x5040100
	s_delay_alu instid0(VALU_DEP_4)
	v_perm_b32 v46, v182, v46, 0x5040100
	s_wait_alu 0xfffd
	v_cndmask_b32_e32 v47, 0, v47, vcc_lo
	v_cmp_gt_i32_e32 vcc_lo, s10, v140
	s_wait_alu 0xfffd
	v_cndmask_b32_e32 v140, 0, v184, vcc_lo
	v_cmp_gt_i32_e32 vcc_lo, s13, v141
	s_delay_alu instid0(VALU_DEP_2)
	v_perm_b32 v47, v140, v47, 0x5040100
	s_wait_alu 0xfffd
	v_cndmask_b32_e32 v48, 0, v48, vcc_lo
	v_cmp_gt_i32_e32 vcc_lo, s10, v0
	s_wait_alu 0xfffd
	v_cndmask_b32_e32 v0, 0, v181, vcc_lo
	s_delay_alu instid0(VALU_DEP_1)
	v_perm_b32 v48, v0, v48, 0x5040100
	s_branch .LBB188_28
.LBB188_63:                             ;   in Loop: Header=BB188_29 Depth=1
	v_cmp_gt_i32_e64 s0, s13, v177
	s_wait_loadcnt 0x0
	v_lshrrev_b32_e32 v5, 16, v1
	v_lshrrev_b32_e32 v6, 16, v2
	;; [unrolled: 1-line block ×4, first 2 shown]
	s_wait_alu 0xf1ff
	v_cndmask_b32_e64 v1, 0, v1, s0
	v_cmp_gt_i32_e64 s0, s10, v183
	s_wait_alu 0xf1ff
	s_delay_alu instid0(VALU_DEP_1) | instskip(SKIP_1) | instid1(VALU_DEP_2)
	v_cndmask_b32_e64 v5, 0, v5, s0
	v_cmp_gt_i32_e64 s0, s13, v184
	v_perm_b32 v1, v5, v1, 0x5040100
	s_wait_alu 0xf1ff
	s_delay_alu instid0(VALU_DEP_2) | instskip(SKIP_2) | instid1(VALU_DEP_1)
	v_cndmask_b32_e64 v2, 0, v2, s0
	v_cmp_gt_i32_e64 s0, s10, v182
	s_wait_alu 0xf1ff
	v_cndmask_b32_e64 v6, 0, v6, s0
	v_cmp_gt_i32_e64 s0, s13, v181
	s_delay_alu instid0(VALU_DEP_2) | instskip(SKIP_1) | instid1(VALU_DEP_2)
	v_perm_b32 v2, v6, v2, 0x5040100
	s_wait_alu 0xf1ff
	v_cndmask_b32_e64 v3, 0, v3, s0
	v_cmp_gt_i32_e64 s0, s10, v140
	s_wait_alu 0xf1ff
	s_delay_alu instid0(VALU_DEP_1) | instskip(SKIP_1) | instid1(VALU_DEP_2)
	v_cndmask_b32_e64 v7, 0, v7, s0
	v_cmp_gt_i32_e64 s0, s13, v141
	v_perm_b32 v3, v7, v3, 0x5040100
	s_wait_alu 0xf1ff
	s_delay_alu instid0(VALU_DEP_2) | instskip(SKIP_2) | instid1(VALU_DEP_1)
	v_cndmask_b32_e64 v4, 0, v4, s0
	v_cmp_gt_i32_e64 s0, s10, v0
	s_wait_alu 0xf1ff
	v_cndmask_b32_e64 v8, 0, v8, s0
	s_delay_alu instid0(VALU_DEP_1)
	v_perm_b32 v4, v8, v4, 0x5040100
	s_wait_alu 0xfffe
	s_or_b32 exec_lo, exec_lo, s11
	global_load_b128 v[5:8], v[45:46], off offset:512
	s_and_saveexec_b32 s11, vcc_lo
	s_cbranch_execz .LBB188_31
.LBB188_64:                             ;   in Loop: Header=BB188_29 Depth=1
	v_cmp_gt_i32_e64 s0, s13, v177
	s_wait_loadcnt 0x0
	v_lshrrev_b32_e32 v9, 16, v5
	v_lshrrev_b32_e32 v10, 16, v6
	v_lshrrev_b32_e32 v11, 16, v7
	v_lshrrev_b32_e32 v12, 16, v8
	s_wait_alu 0xf1ff
	v_cndmask_b32_e64 v5, 0, v5, s0
	v_cmp_gt_i32_e64 s0, s10, v183
	s_wait_alu 0xf1ff
	s_delay_alu instid0(VALU_DEP_1) | instskip(SKIP_1) | instid1(VALU_DEP_2)
	v_cndmask_b32_e64 v9, 0, v9, s0
	v_cmp_gt_i32_e64 s0, s13, v184
	v_perm_b32 v5, v9, v5, 0x5040100
	s_wait_alu 0xf1ff
	s_delay_alu instid0(VALU_DEP_2) | instskip(SKIP_2) | instid1(VALU_DEP_1)
	v_cndmask_b32_e64 v6, 0, v6, s0
	v_cmp_gt_i32_e64 s0, s10, v182
	s_wait_alu 0xf1ff
	v_cndmask_b32_e64 v10, 0, v10, s0
	v_cmp_gt_i32_e64 s0, s13, v181
	s_delay_alu instid0(VALU_DEP_2) | instskip(SKIP_1) | instid1(VALU_DEP_2)
	v_perm_b32 v6, v10, v6, 0x5040100
	s_wait_alu 0xf1ff
	v_cndmask_b32_e64 v7, 0, v7, s0
	v_cmp_gt_i32_e64 s0, s10, v140
	s_wait_alu 0xf1ff
	s_delay_alu instid0(VALU_DEP_1) | instskip(SKIP_1) | instid1(VALU_DEP_2)
	v_cndmask_b32_e64 v11, 0, v11, s0
	v_cmp_gt_i32_e64 s0, s13, v141
	v_perm_b32 v7, v11, v7, 0x5040100
	s_wait_alu 0xf1ff
	s_delay_alu instid0(VALU_DEP_2) | instskip(SKIP_2) | instid1(VALU_DEP_1)
	v_cndmask_b32_e64 v8, 0, v8, s0
	v_cmp_gt_i32_e64 s0, s10, v0
	s_wait_alu 0xf1ff
	v_cndmask_b32_e64 v12, 0, v12, s0
	s_delay_alu instid0(VALU_DEP_1)
	v_perm_b32 v8, v12, v8, 0x5040100
	s_wait_alu 0xfffe
	s_or_b32 exec_lo, exec_lo, s11
	global_load_b128 v[9:12], v[45:46], off offset:1024
	s_and_saveexec_b32 s11, vcc_lo
	s_cbranch_execz .LBB188_32
.LBB188_65:                             ;   in Loop: Header=BB188_29 Depth=1
	v_cmp_gt_i32_e64 s0, s13, v177
	s_wait_loadcnt 0x0
	v_lshrrev_b32_e32 v13, 16, v9
	v_lshrrev_b32_e32 v14, 16, v10
	;; [unrolled: 1-line block ×4, first 2 shown]
	s_wait_alu 0xf1ff
	v_cndmask_b32_e64 v9, 0, v9, s0
	v_cmp_gt_i32_e64 s0, s10, v183
	s_wait_alu 0xf1ff
	s_delay_alu instid0(VALU_DEP_1) | instskip(SKIP_1) | instid1(VALU_DEP_2)
	v_cndmask_b32_e64 v13, 0, v13, s0
	v_cmp_gt_i32_e64 s0, s13, v184
	v_perm_b32 v9, v13, v9, 0x5040100
	s_wait_alu 0xf1ff
	s_delay_alu instid0(VALU_DEP_2) | instskip(SKIP_2) | instid1(VALU_DEP_1)
	v_cndmask_b32_e64 v10, 0, v10, s0
	v_cmp_gt_i32_e64 s0, s10, v182
	s_wait_alu 0xf1ff
	v_cndmask_b32_e64 v14, 0, v14, s0
	v_cmp_gt_i32_e64 s0, s13, v181
	s_delay_alu instid0(VALU_DEP_2) | instskip(SKIP_1) | instid1(VALU_DEP_2)
	v_perm_b32 v10, v14, v10, 0x5040100
	s_wait_alu 0xf1ff
	v_cndmask_b32_e64 v11, 0, v11, s0
	v_cmp_gt_i32_e64 s0, s10, v140
	s_wait_alu 0xf1ff
	s_delay_alu instid0(VALU_DEP_1) | instskip(SKIP_1) | instid1(VALU_DEP_2)
	v_cndmask_b32_e64 v15, 0, v15, s0
	v_cmp_gt_i32_e64 s0, s13, v141
	v_perm_b32 v11, v15, v11, 0x5040100
	s_wait_alu 0xf1ff
	s_delay_alu instid0(VALU_DEP_2) | instskip(SKIP_2) | instid1(VALU_DEP_1)
	v_cndmask_b32_e64 v12, 0, v12, s0
	v_cmp_gt_i32_e64 s0, s10, v0
	s_wait_alu 0xf1ff
	v_cndmask_b32_e64 v16, 0, v16, s0
	s_delay_alu instid0(VALU_DEP_1)
	v_perm_b32 v12, v16, v12, 0x5040100
	s_wait_alu 0xfffe
	s_or_b32 exec_lo, exec_lo, s11
	global_load_b128 v[13:16], v[45:46], off offset:1536
	s_and_saveexec_b32 s11, vcc_lo
	s_cbranch_execz .LBB188_33
.LBB188_66:                             ;   in Loop: Header=BB188_29 Depth=1
	v_cmp_gt_i32_e64 s0, s13, v177
	s_wait_loadcnt 0x0
	v_lshrrev_b32_e32 v17, 16, v13
	v_lshrrev_b32_e32 v18, 16, v14
	;; [unrolled: 1-line block ×4, first 2 shown]
	s_wait_alu 0xf1ff
	v_cndmask_b32_e64 v13, 0, v13, s0
	v_cmp_gt_i32_e64 s0, s10, v183
	s_wait_alu 0xf1ff
	s_delay_alu instid0(VALU_DEP_1) | instskip(SKIP_1) | instid1(VALU_DEP_2)
	v_cndmask_b32_e64 v17, 0, v17, s0
	v_cmp_gt_i32_e64 s0, s13, v184
	v_perm_b32 v13, v17, v13, 0x5040100
	s_wait_alu 0xf1ff
	s_delay_alu instid0(VALU_DEP_2) | instskip(SKIP_2) | instid1(VALU_DEP_1)
	v_cndmask_b32_e64 v14, 0, v14, s0
	v_cmp_gt_i32_e64 s0, s10, v182
	s_wait_alu 0xf1ff
	v_cndmask_b32_e64 v18, 0, v18, s0
	v_cmp_gt_i32_e64 s0, s13, v181
	s_delay_alu instid0(VALU_DEP_2) | instskip(SKIP_1) | instid1(VALU_DEP_2)
	v_perm_b32 v14, v18, v14, 0x5040100
	s_wait_alu 0xf1ff
	v_cndmask_b32_e64 v15, 0, v15, s0
	v_cmp_gt_i32_e64 s0, s10, v140
	s_wait_alu 0xf1ff
	s_delay_alu instid0(VALU_DEP_1) | instskip(SKIP_1) | instid1(VALU_DEP_2)
	v_cndmask_b32_e64 v19, 0, v19, s0
	v_cmp_gt_i32_e64 s0, s13, v141
	v_perm_b32 v15, v19, v15, 0x5040100
	s_wait_alu 0xf1ff
	s_delay_alu instid0(VALU_DEP_2) | instskip(SKIP_2) | instid1(VALU_DEP_1)
	v_cndmask_b32_e64 v16, 0, v16, s0
	v_cmp_gt_i32_e64 s0, s10, v0
	s_wait_alu 0xf1ff
	v_cndmask_b32_e64 v20, 0, v20, s0
	s_delay_alu instid0(VALU_DEP_1)
	v_perm_b32 v16, v20, v16, 0x5040100
	s_wait_alu 0xfffe
	s_or_b32 exec_lo, exec_lo, s11
	global_load_b128 v[17:20], v[45:46], off offset:2048
	s_and_saveexec_b32 s11, vcc_lo
	s_cbranch_execz .LBB188_34
.LBB188_67:                             ;   in Loop: Header=BB188_29 Depth=1
	v_cmp_gt_i32_e64 s0, s13, v177
	s_wait_loadcnt 0x0
	v_lshrrev_b32_e32 v21, 16, v17
	v_lshrrev_b32_e32 v22, 16, v18
	;; [unrolled: 1-line block ×4, first 2 shown]
	s_wait_alu 0xf1ff
	v_cndmask_b32_e64 v17, 0, v17, s0
	v_cmp_gt_i32_e64 s0, s10, v183
	s_wait_alu 0xf1ff
	s_delay_alu instid0(VALU_DEP_1) | instskip(SKIP_1) | instid1(VALU_DEP_2)
	v_cndmask_b32_e64 v21, 0, v21, s0
	v_cmp_gt_i32_e64 s0, s13, v184
	v_perm_b32 v17, v21, v17, 0x5040100
	s_wait_alu 0xf1ff
	s_delay_alu instid0(VALU_DEP_2) | instskip(SKIP_2) | instid1(VALU_DEP_1)
	v_cndmask_b32_e64 v18, 0, v18, s0
	v_cmp_gt_i32_e64 s0, s10, v182
	s_wait_alu 0xf1ff
	v_cndmask_b32_e64 v22, 0, v22, s0
	v_cmp_gt_i32_e64 s0, s13, v181
	s_delay_alu instid0(VALU_DEP_2) | instskip(SKIP_1) | instid1(VALU_DEP_2)
	v_perm_b32 v18, v22, v18, 0x5040100
	s_wait_alu 0xf1ff
	v_cndmask_b32_e64 v19, 0, v19, s0
	v_cmp_gt_i32_e64 s0, s10, v140
	s_wait_alu 0xf1ff
	s_delay_alu instid0(VALU_DEP_1) | instskip(SKIP_1) | instid1(VALU_DEP_2)
	v_cndmask_b32_e64 v23, 0, v23, s0
	v_cmp_gt_i32_e64 s0, s13, v141
	v_perm_b32 v19, v23, v19, 0x5040100
	s_wait_alu 0xf1ff
	s_delay_alu instid0(VALU_DEP_2) | instskip(SKIP_2) | instid1(VALU_DEP_1)
	v_cndmask_b32_e64 v20, 0, v20, s0
	v_cmp_gt_i32_e64 s0, s10, v0
	s_wait_alu 0xf1ff
	v_cndmask_b32_e64 v24, 0, v24, s0
	s_delay_alu instid0(VALU_DEP_1)
	v_perm_b32 v20, v24, v20, 0x5040100
	s_wait_alu 0xfffe
	s_or_b32 exec_lo, exec_lo, s11
	global_load_b128 v[21:24], v[45:46], off offset:2560
	s_and_saveexec_b32 s11, vcc_lo
	s_cbranch_execz .LBB188_35
.LBB188_68:                             ;   in Loop: Header=BB188_29 Depth=1
	v_cmp_gt_i32_e64 s0, s13, v177
	s_wait_loadcnt 0x0
	v_lshrrev_b32_e32 v25, 16, v21
	v_lshrrev_b32_e32 v26, 16, v22
	;; [unrolled: 1-line block ×4, first 2 shown]
	s_wait_alu 0xf1ff
	v_cndmask_b32_e64 v21, 0, v21, s0
	v_cmp_gt_i32_e64 s0, s10, v183
	s_wait_alu 0xf1ff
	s_delay_alu instid0(VALU_DEP_1) | instskip(SKIP_1) | instid1(VALU_DEP_2)
	v_cndmask_b32_e64 v25, 0, v25, s0
	v_cmp_gt_i32_e64 s0, s13, v184
	v_perm_b32 v21, v25, v21, 0x5040100
	s_wait_alu 0xf1ff
	s_delay_alu instid0(VALU_DEP_2) | instskip(SKIP_2) | instid1(VALU_DEP_1)
	v_cndmask_b32_e64 v22, 0, v22, s0
	v_cmp_gt_i32_e64 s0, s10, v182
	s_wait_alu 0xf1ff
	v_cndmask_b32_e64 v26, 0, v26, s0
	v_cmp_gt_i32_e64 s0, s13, v181
	s_delay_alu instid0(VALU_DEP_2) | instskip(SKIP_1) | instid1(VALU_DEP_2)
	v_perm_b32 v22, v26, v22, 0x5040100
	s_wait_alu 0xf1ff
	v_cndmask_b32_e64 v23, 0, v23, s0
	v_cmp_gt_i32_e64 s0, s10, v140
	s_wait_alu 0xf1ff
	s_delay_alu instid0(VALU_DEP_1) | instskip(SKIP_1) | instid1(VALU_DEP_2)
	v_cndmask_b32_e64 v27, 0, v27, s0
	v_cmp_gt_i32_e64 s0, s13, v141
	v_perm_b32 v23, v27, v23, 0x5040100
	s_wait_alu 0xf1ff
	s_delay_alu instid0(VALU_DEP_2) | instskip(SKIP_2) | instid1(VALU_DEP_1)
	v_cndmask_b32_e64 v24, 0, v24, s0
	v_cmp_gt_i32_e64 s0, s10, v0
	s_wait_alu 0xf1ff
	v_cndmask_b32_e64 v28, 0, v28, s0
	s_delay_alu instid0(VALU_DEP_1)
	v_perm_b32 v24, v28, v24, 0x5040100
	s_wait_alu 0xfffe
	s_or_b32 exec_lo, exec_lo, s11
	global_load_b128 v[25:28], v[45:46], off offset:3072
	s_and_saveexec_b32 s11, vcc_lo
	s_cbranch_execz .LBB188_36
.LBB188_69:                             ;   in Loop: Header=BB188_29 Depth=1
	v_cmp_gt_i32_e64 s0, s13, v177
	s_wait_loadcnt 0x0
	v_lshrrev_b32_e32 v29, 16, v25
	v_lshrrev_b32_e32 v30, 16, v26
	;; [unrolled: 1-line block ×4, first 2 shown]
	s_wait_alu 0xf1ff
	v_cndmask_b32_e64 v25, 0, v25, s0
	v_cmp_gt_i32_e64 s0, s10, v183
	s_wait_alu 0xf1ff
	s_delay_alu instid0(VALU_DEP_1) | instskip(SKIP_1) | instid1(VALU_DEP_2)
	v_cndmask_b32_e64 v29, 0, v29, s0
	v_cmp_gt_i32_e64 s0, s13, v184
	v_perm_b32 v25, v29, v25, 0x5040100
	s_wait_alu 0xf1ff
	s_delay_alu instid0(VALU_DEP_2) | instskip(SKIP_2) | instid1(VALU_DEP_1)
	v_cndmask_b32_e64 v26, 0, v26, s0
	v_cmp_gt_i32_e64 s0, s10, v182
	s_wait_alu 0xf1ff
	v_cndmask_b32_e64 v30, 0, v30, s0
	v_cmp_gt_i32_e64 s0, s13, v181
	s_delay_alu instid0(VALU_DEP_2) | instskip(SKIP_1) | instid1(VALU_DEP_2)
	v_perm_b32 v26, v30, v26, 0x5040100
	s_wait_alu 0xf1ff
	v_cndmask_b32_e64 v27, 0, v27, s0
	v_cmp_gt_i32_e64 s0, s10, v140
	s_wait_alu 0xf1ff
	s_delay_alu instid0(VALU_DEP_1) | instskip(SKIP_1) | instid1(VALU_DEP_2)
	v_cndmask_b32_e64 v31, 0, v31, s0
	v_cmp_gt_i32_e64 s0, s13, v141
	v_perm_b32 v27, v31, v27, 0x5040100
	s_wait_alu 0xf1ff
	s_delay_alu instid0(VALU_DEP_2) | instskip(SKIP_2) | instid1(VALU_DEP_1)
	v_cndmask_b32_e64 v28, 0, v28, s0
	v_cmp_gt_i32_e64 s0, s10, v0
	s_wait_alu 0xf1ff
	v_cndmask_b32_e64 v32, 0, v32, s0
	s_delay_alu instid0(VALU_DEP_1)
	v_perm_b32 v28, v32, v28, 0x5040100
	s_wait_alu 0xfffe
	s_or_b32 exec_lo, exec_lo, s11
	global_load_b128 v[29:32], v[45:46], off offset:3584
	s_and_saveexec_b32 s11, vcc_lo
	s_cbranch_execz .LBB188_37
.LBB188_70:                             ;   in Loop: Header=BB188_29 Depth=1
	v_cmp_gt_i32_e64 s0, s13, v177
	s_wait_loadcnt 0x0
	v_lshrrev_b32_e32 v33, 16, v29
	v_lshrrev_b32_e32 v34, 16, v30
	;; [unrolled: 1-line block ×4, first 2 shown]
	s_wait_alu 0xf1ff
	v_cndmask_b32_e64 v29, 0, v29, s0
	v_cmp_gt_i32_e64 s0, s10, v183
	s_wait_alu 0xf1ff
	s_delay_alu instid0(VALU_DEP_1) | instskip(SKIP_1) | instid1(VALU_DEP_2)
	v_cndmask_b32_e64 v33, 0, v33, s0
	v_cmp_gt_i32_e64 s0, s13, v184
	v_perm_b32 v29, v33, v29, 0x5040100
	s_wait_alu 0xf1ff
	s_delay_alu instid0(VALU_DEP_2) | instskip(SKIP_2) | instid1(VALU_DEP_1)
	v_cndmask_b32_e64 v30, 0, v30, s0
	v_cmp_gt_i32_e64 s0, s10, v182
	s_wait_alu 0xf1ff
	v_cndmask_b32_e64 v34, 0, v34, s0
	v_cmp_gt_i32_e64 s0, s13, v181
	s_delay_alu instid0(VALU_DEP_2) | instskip(SKIP_1) | instid1(VALU_DEP_2)
	v_perm_b32 v30, v34, v30, 0x5040100
	s_wait_alu 0xf1ff
	v_cndmask_b32_e64 v31, 0, v31, s0
	v_cmp_gt_i32_e64 s0, s10, v140
	s_wait_alu 0xf1ff
	s_delay_alu instid0(VALU_DEP_1) | instskip(SKIP_1) | instid1(VALU_DEP_2)
	v_cndmask_b32_e64 v35, 0, v35, s0
	v_cmp_gt_i32_e64 s0, s13, v141
	v_perm_b32 v31, v35, v31, 0x5040100
	s_wait_alu 0xf1ff
	s_delay_alu instid0(VALU_DEP_2) | instskip(SKIP_2) | instid1(VALU_DEP_1)
	v_cndmask_b32_e64 v32, 0, v32, s0
	v_cmp_gt_i32_e64 s0, s10, v0
	s_wait_alu 0xf1ff
	v_cndmask_b32_e64 v36, 0, v36, s0
	s_delay_alu instid0(VALU_DEP_1)
	v_perm_b32 v32, v36, v32, 0x5040100
	s_wait_alu 0xfffe
	s_or_b32 exec_lo, exec_lo, s11
	global_load_b128 v[33:36], v[45:46], off offset:4096
	s_and_saveexec_b32 s11, vcc_lo
	s_cbranch_execz .LBB188_38
.LBB188_71:                             ;   in Loop: Header=BB188_29 Depth=1
	v_cmp_gt_i32_e64 s0, s13, v177
	s_wait_loadcnt 0x0
	v_lshrrev_b32_e32 v37, 16, v33
	v_lshrrev_b32_e32 v38, 16, v34
	;; [unrolled: 1-line block ×4, first 2 shown]
	s_wait_alu 0xf1ff
	v_cndmask_b32_e64 v33, 0, v33, s0
	v_cmp_gt_i32_e64 s0, s10, v183
	s_wait_alu 0xf1ff
	s_delay_alu instid0(VALU_DEP_1) | instskip(SKIP_1) | instid1(VALU_DEP_2)
	v_cndmask_b32_e64 v37, 0, v37, s0
	v_cmp_gt_i32_e64 s0, s13, v184
	v_perm_b32 v33, v37, v33, 0x5040100
	s_wait_alu 0xf1ff
	s_delay_alu instid0(VALU_DEP_2) | instskip(SKIP_2) | instid1(VALU_DEP_1)
	v_cndmask_b32_e64 v34, 0, v34, s0
	v_cmp_gt_i32_e64 s0, s10, v182
	s_wait_alu 0xf1ff
	v_cndmask_b32_e64 v38, 0, v38, s0
	v_cmp_gt_i32_e64 s0, s13, v181
	s_delay_alu instid0(VALU_DEP_2) | instskip(SKIP_1) | instid1(VALU_DEP_2)
	v_perm_b32 v34, v38, v34, 0x5040100
	s_wait_alu 0xf1ff
	v_cndmask_b32_e64 v35, 0, v35, s0
	v_cmp_gt_i32_e64 s0, s10, v140
	s_wait_alu 0xf1ff
	s_delay_alu instid0(VALU_DEP_1) | instskip(SKIP_1) | instid1(VALU_DEP_2)
	v_cndmask_b32_e64 v39, 0, v39, s0
	v_cmp_gt_i32_e64 s0, s13, v141
	v_perm_b32 v35, v39, v35, 0x5040100
	s_wait_alu 0xf1ff
	s_delay_alu instid0(VALU_DEP_2) | instskip(SKIP_2) | instid1(VALU_DEP_1)
	v_cndmask_b32_e64 v36, 0, v36, s0
	v_cmp_gt_i32_e64 s0, s10, v0
	s_wait_alu 0xf1ff
	v_cndmask_b32_e64 v40, 0, v40, s0
	s_delay_alu instid0(VALU_DEP_1)
	v_perm_b32 v36, v40, v36, 0x5040100
	s_wait_alu 0xfffe
	s_or_b32 exec_lo, exec_lo, s11
	global_load_b128 v[37:40], v[45:46], off offset:4608
	s_and_saveexec_b32 s11, vcc_lo
	s_cbranch_execz .LBB188_39
.LBB188_72:                             ;   in Loop: Header=BB188_29 Depth=1
	v_cmp_gt_i32_e64 s0, s13, v177
	s_wait_loadcnt 0x0
	v_lshrrev_b32_e32 v41, 16, v37
	v_lshrrev_b32_e32 v42, 16, v38
	;; [unrolled: 1-line block ×4, first 2 shown]
	s_wait_alu 0xf1ff
	v_cndmask_b32_e64 v37, 0, v37, s0
	v_cmp_gt_i32_e64 s0, s10, v183
	s_wait_alu 0xf1ff
	s_delay_alu instid0(VALU_DEP_1) | instskip(SKIP_1) | instid1(VALU_DEP_2)
	v_cndmask_b32_e64 v41, 0, v41, s0
	v_cmp_gt_i32_e64 s0, s13, v184
	v_perm_b32 v37, v41, v37, 0x5040100
	s_wait_alu 0xf1ff
	s_delay_alu instid0(VALU_DEP_2) | instskip(SKIP_2) | instid1(VALU_DEP_1)
	v_cndmask_b32_e64 v38, 0, v38, s0
	v_cmp_gt_i32_e64 s0, s10, v182
	s_wait_alu 0xf1ff
	v_cndmask_b32_e64 v42, 0, v42, s0
	v_cmp_gt_i32_e64 s0, s13, v181
	s_delay_alu instid0(VALU_DEP_2) | instskip(SKIP_1) | instid1(VALU_DEP_2)
	v_perm_b32 v38, v42, v38, 0x5040100
	s_wait_alu 0xf1ff
	v_cndmask_b32_e64 v39, 0, v39, s0
	v_cmp_gt_i32_e64 s0, s10, v140
	s_wait_alu 0xf1ff
	s_delay_alu instid0(VALU_DEP_1) | instskip(SKIP_1) | instid1(VALU_DEP_2)
	v_cndmask_b32_e64 v43, 0, v43, s0
	v_cmp_gt_i32_e64 s0, s13, v141
	v_perm_b32 v39, v43, v39, 0x5040100
	s_wait_alu 0xf1ff
	s_delay_alu instid0(VALU_DEP_2) | instskip(SKIP_2) | instid1(VALU_DEP_1)
	v_cndmask_b32_e64 v40, 0, v40, s0
	v_cmp_gt_i32_e64 s0, s10, v0
	s_wait_alu 0xf1ff
	v_cndmask_b32_e64 v44, 0, v44, s0
	s_delay_alu instid0(VALU_DEP_1)
	v_perm_b32 v40, v44, v40, 0x5040100
	s_wait_alu 0xfffe
	s_or_b32 exec_lo, exec_lo, s11
	global_load_b128 v[41:44], v[45:46], off offset:5120
	s_and_saveexec_b32 s11, vcc_lo
	s_cbranch_execz .LBB188_40
.LBB188_73:                             ;   in Loop: Header=BB188_29 Depth=1
	v_cmp_gt_i32_e64 s0, s13, v177
	s_wait_loadcnt 0x0
	v_lshrrev_b32_e32 v49, 16, v41
	v_lshrrev_b32_e32 v50, 16, v42
	;; [unrolled: 1-line block ×4, first 2 shown]
	s_wait_alu 0xf1ff
	v_cndmask_b32_e64 v41, 0, v41, s0
	v_cmp_gt_i32_e64 s0, s10, v183
	s_wait_alu 0xf1ff
	s_delay_alu instid0(VALU_DEP_1) | instskip(SKIP_1) | instid1(VALU_DEP_2)
	v_cndmask_b32_e64 v49, 0, v49, s0
	v_cmp_gt_i32_e64 s0, s13, v184
	v_perm_b32 v41, v49, v41, 0x5040100
	s_wait_alu 0xf1ff
	s_delay_alu instid0(VALU_DEP_2) | instskip(SKIP_2) | instid1(VALU_DEP_1)
	v_cndmask_b32_e64 v42, 0, v42, s0
	v_cmp_gt_i32_e64 s0, s10, v182
	s_wait_alu 0xf1ff
	v_cndmask_b32_e64 v50, 0, v50, s0
	v_cmp_gt_i32_e64 s0, s13, v181
	s_delay_alu instid0(VALU_DEP_2) | instskip(SKIP_1) | instid1(VALU_DEP_2)
	v_perm_b32 v42, v50, v42, 0x5040100
	s_wait_alu 0xf1ff
	v_cndmask_b32_e64 v43, 0, v43, s0
	v_cmp_gt_i32_e64 s0, s10, v140
	s_wait_alu 0xf1ff
	s_delay_alu instid0(VALU_DEP_1) | instskip(SKIP_1) | instid1(VALU_DEP_2)
	v_cndmask_b32_e64 v51, 0, v51, s0
	v_cmp_gt_i32_e64 s0, s13, v141
	v_perm_b32 v43, v51, v43, 0x5040100
	s_wait_alu 0xf1ff
	s_delay_alu instid0(VALU_DEP_2) | instskip(SKIP_2) | instid1(VALU_DEP_1)
	v_cndmask_b32_e64 v44, 0, v44, s0
	v_cmp_gt_i32_e64 s0, s10, v0
	s_wait_alu 0xf1ff
	v_cndmask_b32_e64 v52, 0, v52, s0
	s_delay_alu instid0(VALU_DEP_1)
	v_perm_b32 v44, v52, v44, 0x5040100
	s_wait_alu 0xfffe
	s_or_b32 exec_lo, exec_lo, s11
	global_load_b128 v[49:52], v[45:46], off offset:5632
	s_and_saveexec_b32 s11, vcc_lo
	s_cbranch_execz .LBB188_41
.LBB188_74:                             ;   in Loop: Header=BB188_29 Depth=1
	v_cmp_gt_i32_e64 s0, s13, v177
	s_wait_loadcnt 0x0
	v_lshrrev_b32_e32 v53, 16, v49
	v_lshrrev_b32_e32 v54, 16, v50
	;; [unrolled: 1-line block ×4, first 2 shown]
	s_wait_alu 0xf1ff
	v_cndmask_b32_e64 v49, 0, v49, s0
	v_cmp_gt_i32_e64 s0, s10, v183
	s_wait_alu 0xf1ff
	s_delay_alu instid0(VALU_DEP_1) | instskip(SKIP_1) | instid1(VALU_DEP_2)
	v_cndmask_b32_e64 v53, 0, v53, s0
	v_cmp_gt_i32_e64 s0, s13, v184
	v_perm_b32 v49, v53, v49, 0x5040100
	s_wait_alu 0xf1ff
	s_delay_alu instid0(VALU_DEP_2) | instskip(SKIP_2) | instid1(VALU_DEP_1)
	v_cndmask_b32_e64 v50, 0, v50, s0
	v_cmp_gt_i32_e64 s0, s10, v182
	s_wait_alu 0xf1ff
	v_cndmask_b32_e64 v54, 0, v54, s0
	v_cmp_gt_i32_e64 s0, s13, v181
	s_delay_alu instid0(VALU_DEP_2) | instskip(SKIP_1) | instid1(VALU_DEP_2)
	v_perm_b32 v50, v54, v50, 0x5040100
	s_wait_alu 0xf1ff
	v_cndmask_b32_e64 v51, 0, v51, s0
	v_cmp_gt_i32_e64 s0, s10, v140
	s_wait_alu 0xf1ff
	s_delay_alu instid0(VALU_DEP_1) | instskip(SKIP_1) | instid1(VALU_DEP_2)
	v_cndmask_b32_e64 v55, 0, v55, s0
	v_cmp_gt_i32_e64 s0, s13, v141
	v_perm_b32 v51, v55, v51, 0x5040100
	s_wait_alu 0xf1ff
	s_delay_alu instid0(VALU_DEP_2) | instskip(SKIP_2) | instid1(VALU_DEP_1)
	v_cndmask_b32_e64 v52, 0, v52, s0
	v_cmp_gt_i32_e64 s0, s10, v0
	s_wait_alu 0xf1ff
	v_cndmask_b32_e64 v56, 0, v56, s0
	s_delay_alu instid0(VALU_DEP_1)
	v_perm_b32 v52, v56, v52, 0x5040100
	s_wait_alu 0xfffe
	s_or_b32 exec_lo, exec_lo, s11
	global_load_b128 v[53:56], v[45:46], off offset:6144
	s_and_saveexec_b32 s11, vcc_lo
	s_cbranch_execz .LBB188_42
.LBB188_75:                             ;   in Loop: Header=BB188_29 Depth=1
	v_cmp_gt_i32_e64 s0, s13, v177
	s_wait_loadcnt 0x0
	v_lshrrev_b32_e32 v57, 16, v53
	v_lshrrev_b32_e32 v58, 16, v54
	v_lshrrev_b32_e32 v59, 16, v55
	v_lshrrev_b32_e32 v60, 16, v56
	s_wait_alu 0xf1ff
	v_cndmask_b32_e64 v53, 0, v53, s0
	v_cmp_gt_i32_e64 s0, s10, v183
	s_wait_alu 0xf1ff
	s_delay_alu instid0(VALU_DEP_1) | instskip(SKIP_1) | instid1(VALU_DEP_2)
	v_cndmask_b32_e64 v57, 0, v57, s0
	v_cmp_gt_i32_e64 s0, s13, v184
	v_perm_b32 v53, v57, v53, 0x5040100
	s_wait_alu 0xf1ff
	s_delay_alu instid0(VALU_DEP_2) | instskip(SKIP_2) | instid1(VALU_DEP_1)
	v_cndmask_b32_e64 v54, 0, v54, s0
	v_cmp_gt_i32_e64 s0, s10, v182
	s_wait_alu 0xf1ff
	v_cndmask_b32_e64 v58, 0, v58, s0
	v_cmp_gt_i32_e64 s0, s13, v181
	s_delay_alu instid0(VALU_DEP_2) | instskip(SKIP_1) | instid1(VALU_DEP_2)
	v_perm_b32 v54, v58, v54, 0x5040100
	s_wait_alu 0xf1ff
	v_cndmask_b32_e64 v55, 0, v55, s0
	v_cmp_gt_i32_e64 s0, s10, v140
	s_wait_alu 0xf1ff
	s_delay_alu instid0(VALU_DEP_1) | instskip(SKIP_1) | instid1(VALU_DEP_2)
	v_cndmask_b32_e64 v59, 0, v59, s0
	v_cmp_gt_i32_e64 s0, s13, v141
	v_perm_b32 v55, v59, v55, 0x5040100
	s_wait_alu 0xf1ff
	s_delay_alu instid0(VALU_DEP_2) | instskip(SKIP_2) | instid1(VALU_DEP_1)
	v_cndmask_b32_e64 v56, 0, v56, s0
	v_cmp_gt_i32_e64 s0, s10, v0
	s_wait_alu 0xf1ff
	v_cndmask_b32_e64 v60, 0, v60, s0
	s_delay_alu instid0(VALU_DEP_1)
	v_perm_b32 v56, v60, v56, 0x5040100
	s_wait_alu 0xfffe
	s_or_b32 exec_lo, exec_lo, s11
	global_load_b128 v[57:60], v[45:46], off offset:6656
	s_and_saveexec_b32 s11, vcc_lo
	s_cbranch_execz .LBB188_43
.LBB188_76:                             ;   in Loop: Header=BB188_29 Depth=1
	v_cmp_gt_i32_e64 s0, s13, v177
	s_wait_loadcnt 0x0
	v_lshrrev_b32_e32 v61, 16, v57
	v_lshrrev_b32_e32 v62, 16, v58
	;; [unrolled: 1-line block ×4, first 2 shown]
	s_wait_alu 0xf1ff
	v_cndmask_b32_e64 v57, 0, v57, s0
	v_cmp_gt_i32_e64 s0, s10, v183
	s_wait_alu 0xf1ff
	s_delay_alu instid0(VALU_DEP_1) | instskip(SKIP_1) | instid1(VALU_DEP_2)
	v_cndmask_b32_e64 v61, 0, v61, s0
	v_cmp_gt_i32_e64 s0, s13, v184
	v_perm_b32 v57, v61, v57, 0x5040100
	s_wait_alu 0xf1ff
	s_delay_alu instid0(VALU_DEP_2) | instskip(SKIP_2) | instid1(VALU_DEP_1)
	v_cndmask_b32_e64 v58, 0, v58, s0
	v_cmp_gt_i32_e64 s0, s10, v182
	s_wait_alu 0xf1ff
	v_cndmask_b32_e64 v62, 0, v62, s0
	v_cmp_gt_i32_e64 s0, s13, v181
	s_delay_alu instid0(VALU_DEP_2) | instskip(SKIP_1) | instid1(VALU_DEP_2)
	v_perm_b32 v58, v62, v58, 0x5040100
	s_wait_alu 0xf1ff
	v_cndmask_b32_e64 v59, 0, v59, s0
	v_cmp_gt_i32_e64 s0, s10, v140
	s_wait_alu 0xf1ff
	s_delay_alu instid0(VALU_DEP_1) | instskip(SKIP_1) | instid1(VALU_DEP_2)
	v_cndmask_b32_e64 v63, 0, v63, s0
	v_cmp_gt_i32_e64 s0, s13, v141
	v_perm_b32 v59, v63, v59, 0x5040100
	s_wait_alu 0xf1ff
	s_delay_alu instid0(VALU_DEP_2) | instskip(SKIP_2) | instid1(VALU_DEP_1)
	v_cndmask_b32_e64 v60, 0, v60, s0
	v_cmp_gt_i32_e64 s0, s10, v0
	s_wait_alu 0xf1ff
	v_cndmask_b32_e64 v64, 0, v64, s0
	s_delay_alu instid0(VALU_DEP_1)
	v_perm_b32 v60, v64, v60, 0x5040100
	s_wait_alu 0xfffe
	s_or_b32 exec_lo, exec_lo, s11
	global_load_b128 v[61:64], v[45:46], off offset:7168
	s_and_saveexec_b32 s11, vcc_lo
	s_cbranch_execz .LBB188_44
.LBB188_77:                             ;   in Loop: Header=BB188_29 Depth=1
	v_cmp_gt_i32_e64 s0, s13, v177
	s_wait_loadcnt 0x0
	v_lshrrev_b32_e32 v65, 16, v61
	v_lshrrev_b32_e32 v66, 16, v62
	;; [unrolled: 1-line block ×4, first 2 shown]
	s_wait_alu 0xf1ff
	v_cndmask_b32_e64 v61, 0, v61, s0
	v_cmp_gt_i32_e64 s0, s10, v183
	s_wait_alu 0xf1ff
	s_delay_alu instid0(VALU_DEP_1) | instskip(SKIP_1) | instid1(VALU_DEP_2)
	v_cndmask_b32_e64 v65, 0, v65, s0
	v_cmp_gt_i32_e64 s0, s13, v184
	v_perm_b32 v61, v65, v61, 0x5040100
	s_wait_alu 0xf1ff
	s_delay_alu instid0(VALU_DEP_2) | instskip(SKIP_2) | instid1(VALU_DEP_1)
	v_cndmask_b32_e64 v62, 0, v62, s0
	v_cmp_gt_i32_e64 s0, s10, v182
	s_wait_alu 0xf1ff
	v_cndmask_b32_e64 v66, 0, v66, s0
	v_cmp_gt_i32_e64 s0, s13, v181
	s_delay_alu instid0(VALU_DEP_2) | instskip(SKIP_1) | instid1(VALU_DEP_2)
	v_perm_b32 v62, v66, v62, 0x5040100
	s_wait_alu 0xf1ff
	v_cndmask_b32_e64 v63, 0, v63, s0
	v_cmp_gt_i32_e64 s0, s10, v140
	s_wait_alu 0xf1ff
	s_delay_alu instid0(VALU_DEP_1) | instskip(SKIP_1) | instid1(VALU_DEP_2)
	v_cndmask_b32_e64 v67, 0, v67, s0
	v_cmp_gt_i32_e64 s0, s13, v141
	v_perm_b32 v63, v67, v63, 0x5040100
	s_wait_alu 0xf1ff
	s_delay_alu instid0(VALU_DEP_2) | instskip(SKIP_2) | instid1(VALU_DEP_1)
	v_cndmask_b32_e64 v64, 0, v64, s0
	v_cmp_gt_i32_e64 s0, s10, v0
	s_wait_alu 0xf1ff
	v_cndmask_b32_e64 v68, 0, v68, s0
	s_delay_alu instid0(VALU_DEP_1)
	v_perm_b32 v64, v68, v64, 0x5040100
	s_wait_alu 0xfffe
	s_or_b32 exec_lo, exec_lo, s11
	global_load_b128 v[65:68], v[45:46], off offset:7680
	s_and_saveexec_b32 s11, vcc_lo
	s_cbranch_execz .LBB188_45
.LBB188_78:                             ;   in Loop: Header=BB188_29 Depth=1
	v_cmp_gt_i32_e64 s0, s13, v177
	s_wait_loadcnt 0x0
	v_lshrrev_b32_e32 v69, 16, v65
	v_lshrrev_b32_e32 v70, 16, v66
	;; [unrolled: 1-line block ×4, first 2 shown]
	s_wait_alu 0xf1ff
	v_cndmask_b32_e64 v65, 0, v65, s0
	v_cmp_gt_i32_e64 s0, s10, v183
	s_wait_alu 0xf1ff
	s_delay_alu instid0(VALU_DEP_1) | instskip(SKIP_1) | instid1(VALU_DEP_2)
	v_cndmask_b32_e64 v69, 0, v69, s0
	v_cmp_gt_i32_e64 s0, s13, v184
	v_perm_b32 v65, v69, v65, 0x5040100
	s_wait_alu 0xf1ff
	s_delay_alu instid0(VALU_DEP_2) | instskip(SKIP_2) | instid1(VALU_DEP_1)
	v_cndmask_b32_e64 v66, 0, v66, s0
	v_cmp_gt_i32_e64 s0, s10, v182
	s_wait_alu 0xf1ff
	v_cndmask_b32_e64 v70, 0, v70, s0
	v_cmp_gt_i32_e64 s0, s13, v181
	s_delay_alu instid0(VALU_DEP_2) | instskip(SKIP_1) | instid1(VALU_DEP_2)
	v_perm_b32 v66, v70, v66, 0x5040100
	s_wait_alu 0xf1ff
	v_cndmask_b32_e64 v67, 0, v67, s0
	v_cmp_gt_i32_e64 s0, s10, v140
	s_wait_alu 0xf1ff
	s_delay_alu instid0(VALU_DEP_1) | instskip(SKIP_1) | instid1(VALU_DEP_2)
	v_cndmask_b32_e64 v71, 0, v71, s0
	v_cmp_gt_i32_e64 s0, s13, v141
	v_perm_b32 v67, v71, v67, 0x5040100
	s_wait_alu 0xf1ff
	s_delay_alu instid0(VALU_DEP_2) | instskip(SKIP_2) | instid1(VALU_DEP_1)
	v_cndmask_b32_e64 v68, 0, v68, s0
	v_cmp_gt_i32_e64 s0, s10, v0
	s_wait_alu 0xf1ff
	v_cndmask_b32_e64 v72, 0, v72, s0
	s_delay_alu instid0(VALU_DEP_1)
	v_perm_b32 v68, v72, v68, 0x5040100
	s_wait_alu 0xfffe
	s_or_b32 exec_lo, exec_lo, s11
	global_load_b128 v[69:72], v[45:46], off offset:8192
	s_and_saveexec_b32 s11, vcc_lo
	s_cbranch_execz .LBB188_46
.LBB188_79:                             ;   in Loop: Header=BB188_29 Depth=1
	v_cmp_gt_i32_e64 s0, s13, v177
	s_wait_loadcnt 0x0
	v_lshrrev_b32_e32 v73, 16, v69
	v_lshrrev_b32_e32 v74, 16, v70
	;; [unrolled: 1-line block ×4, first 2 shown]
	s_wait_alu 0xf1ff
	v_cndmask_b32_e64 v69, 0, v69, s0
	v_cmp_gt_i32_e64 s0, s10, v183
	s_wait_alu 0xf1ff
	s_delay_alu instid0(VALU_DEP_1) | instskip(SKIP_1) | instid1(VALU_DEP_2)
	v_cndmask_b32_e64 v73, 0, v73, s0
	v_cmp_gt_i32_e64 s0, s13, v184
	v_perm_b32 v69, v73, v69, 0x5040100
	s_wait_alu 0xf1ff
	s_delay_alu instid0(VALU_DEP_2) | instskip(SKIP_2) | instid1(VALU_DEP_1)
	v_cndmask_b32_e64 v70, 0, v70, s0
	v_cmp_gt_i32_e64 s0, s10, v182
	s_wait_alu 0xf1ff
	v_cndmask_b32_e64 v74, 0, v74, s0
	v_cmp_gt_i32_e64 s0, s13, v181
	s_delay_alu instid0(VALU_DEP_2) | instskip(SKIP_1) | instid1(VALU_DEP_2)
	v_perm_b32 v70, v74, v70, 0x5040100
	s_wait_alu 0xf1ff
	v_cndmask_b32_e64 v71, 0, v71, s0
	v_cmp_gt_i32_e64 s0, s10, v140
	s_wait_alu 0xf1ff
	s_delay_alu instid0(VALU_DEP_1) | instskip(SKIP_1) | instid1(VALU_DEP_2)
	v_cndmask_b32_e64 v75, 0, v75, s0
	v_cmp_gt_i32_e64 s0, s13, v141
	v_perm_b32 v71, v75, v71, 0x5040100
	s_wait_alu 0xf1ff
	s_delay_alu instid0(VALU_DEP_2) | instskip(SKIP_2) | instid1(VALU_DEP_1)
	v_cndmask_b32_e64 v72, 0, v72, s0
	v_cmp_gt_i32_e64 s0, s10, v0
	s_wait_alu 0xf1ff
	v_cndmask_b32_e64 v76, 0, v76, s0
	s_delay_alu instid0(VALU_DEP_1)
	v_perm_b32 v72, v76, v72, 0x5040100
	s_wait_alu 0xfffe
	s_or_b32 exec_lo, exec_lo, s11
	global_load_b128 v[73:76], v[45:46], off offset:8704
	s_and_saveexec_b32 s11, vcc_lo
	s_cbranch_execz .LBB188_47
.LBB188_80:                             ;   in Loop: Header=BB188_29 Depth=1
	v_cmp_gt_i32_e64 s0, s13, v177
	s_wait_loadcnt 0x0
	v_lshrrev_b32_e32 v77, 16, v73
	v_lshrrev_b32_e32 v78, 16, v74
	;; [unrolled: 1-line block ×4, first 2 shown]
	s_wait_alu 0xf1ff
	v_cndmask_b32_e64 v73, 0, v73, s0
	v_cmp_gt_i32_e64 s0, s10, v183
	s_wait_alu 0xf1ff
	s_delay_alu instid0(VALU_DEP_1) | instskip(SKIP_1) | instid1(VALU_DEP_2)
	v_cndmask_b32_e64 v77, 0, v77, s0
	v_cmp_gt_i32_e64 s0, s13, v184
	v_perm_b32 v73, v77, v73, 0x5040100
	s_wait_alu 0xf1ff
	s_delay_alu instid0(VALU_DEP_2) | instskip(SKIP_2) | instid1(VALU_DEP_1)
	v_cndmask_b32_e64 v74, 0, v74, s0
	v_cmp_gt_i32_e64 s0, s10, v182
	s_wait_alu 0xf1ff
	v_cndmask_b32_e64 v78, 0, v78, s0
	v_cmp_gt_i32_e64 s0, s13, v181
	s_delay_alu instid0(VALU_DEP_2) | instskip(SKIP_1) | instid1(VALU_DEP_2)
	v_perm_b32 v74, v78, v74, 0x5040100
	s_wait_alu 0xf1ff
	v_cndmask_b32_e64 v75, 0, v75, s0
	v_cmp_gt_i32_e64 s0, s10, v140
	s_wait_alu 0xf1ff
	s_delay_alu instid0(VALU_DEP_1) | instskip(SKIP_1) | instid1(VALU_DEP_2)
	v_cndmask_b32_e64 v79, 0, v79, s0
	v_cmp_gt_i32_e64 s0, s13, v141
	v_perm_b32 v75, v79, v75, 0x5040100
	s_wait_alu 0xf1ff
	s_delay_alu instid0(VALU_DEP_2) | instskip(SKIP_2) | instid1(VALU_DEP_1)
	v_cndmask_b32_e64 v76, 0, v76, s0
	v_cmp_gt_i32_e64 s0, s10, v0
	s_wait_alu 0xf1ff
	v_cndmask_b32_e64 v80, 0, v80, s0
	s_delay_alu instid0(VALU_DEP_1)
	v_perm_b32 v76, v80, v76, 0x5040100
	s_wait_alu 0xfffe
	s_or_b32 exec_lo, exec_lo, s11
	global_load_b128 v[77:80], v[45:46], off offset:9216
	s_and_saveexec_b32 s11, vcc_lo
	s_cbranch_execz .LBB188_48
.LBB188_81:                             ;   in Loop: Header=BB188_29 Depth=1
	v_cmp_gt_i32_e64 s0, s13, v177
	s_wait_loadcnt 0x0
	v_lshrrev_b32_e32 v81, 16, v77
	v_lshrrev_b32_e32 v82, 16, v78
	;; [unrolled: 1-line block ×4, first 2 shown]
	s_wait_alu 0xf1ff
	v_cndmask_b32_e64 v77, 0, v77, s0
	v_cmp_gt_i32_e64 s0, s10, v183
	s_wait_alu 0xf1ff
	s_delay_alu instid0(VALU_DEP_1) | instskip(SKIP_1) | instid1(VALU_DEP_2)
	v_cndmask_b32_e64 v81, 0, v81, s0
	v_cmp_gt_i32_e64 s0, s13, v184
	v_perm_b32 v77, v81, v77, 0x5040100
	s_wait_alu 0xf1ff
	s_delay_alu instid0(VALU_DEP_2) | instskip(SKIP_2) | instid1(VALU_DEP_1)
	v_cndmask_b32_e64 v78, 0, v78, s0
	v_cmp_gt_i32_e64 s0, s10, v182
	s_wait_alu 0xf1ff
	v_cndmask_b32_e64 v82, 0, v82, s0
	v_cmp_gt_i32_e64 s0, s13, v181
	s_delay_alu instid0(VALU_DEP_2) | instskip(SKIP_1) | instid1(VALU_DEP_2)
	v_perm_b32 v78, v82, v78, 0x5040100
	s_wait_alu 0xf1ff
	v_cndmask_b32_e64 v79, 0, v79, s0
	v_cmp_gt_i32_e64 s0, s10, v140
	s_wait_alu 0xf1ff
	s_delay_alu instid0(VALU_DEP_1) | instskip(SKIP_1) | instid1(VALU_DEP_2)
	v_cndmask_b32_e64 v83, 0, v83, s0
	v_cmp_gt_i32_e64 s0, s13, v141
	v_perm_b32 v79, v83, v79, 0x5040100
	s_wait_alu 0xf1ff
	s_delay_alu instid0(VALU_DEP_2) | instskip(SKIP_2) | instid1(VALU_DEP_1)
	v_cndmask_b32_e64 v80, 0, v80, s0
	v_cmp_gt_i32_e64 s0, s10, v0
	s_wait_alu 0xf1ff
	v_cndmask_b32_e64 v84, 0, v84, s0
	s_delay_alu instid0(VALU_DEP_1)
	v_perm_b32 v80, v84, v80, 0x5040100
	s_wait_alu 0xfffe
	s_or_b32 exec_lo, exec_lo, s11
	global_load_b128 v[81:84], v[45:46], off offset:9728
	s_and_saveexec_b32 s11, vcc_lo
	s_cbranch_execz .LBB188_49
.LBB188_82:                             ;   in Loop: Header=BB188_29 Depth=1
	v_cmp_gt_i32_e64 s0, s13, v177
	s_wait_loadcnt 0x0
	v_lshrrev_b32_e32 v89, 16, v81
	v_lshrrev_b32_e32 v90, 16, v82
	;; [unrolled: 1-line block ×4, first 2 shown]
	s_wait_alu 0xf1ff
	v_cndmask_b32_e64 v81, 0, v81, s0
	v_cmp_gt_i32_e64 s0, s10, v183
	s_wait_alu 0xf1ff
	s_delay_alu instid0(VALU_DEP_1) | instskip(SKIP_1) | instid1(VALU_DEP_2)
	v_cndmask_b32_e64 v89, 0, v89, s0
	v_cmp_gt_i32_e64 s0, s13, v184
	v_perm_b32 v81, v89, v81, 0x5040100
	s_wait_alu 0xf1ff
	s_delay_alu instid0(VALU_DEP_2) | instskip(SKIP_2) | instid1(VALU_DEP_1)
	v_cndmask_b32_e64 v82, 0, v82, s0
	v_cmp_gt_i32_e64 s0, s10, v182
	s_wait_alu 0xf1ff
	v_cndmask_b32_e64 v90, 0, v90, s0
	v_cmp_gt_i32_e64 s0, s13, v181
	s_delay_alu instid0(VALU_DEP_2) | instskip(SKIP_1) | instid1(VALU_DEP_2)
	v_perm_b32 v82, v90, v82, 0x5040100
	s_wait_alu 0xf1ff
	v_cndmask_b32_e64 v83, 0, v83, s0
	v_cmp_gt_i32_e64 s0, s10, v140
	s_wait_alu 0xf1ff
	s_delay_alu instid0(VALU_DEP_1) | instskip(SKIP_1) | instid1(VALU_DEP_2)
	v_cndmask_b32_e64 v91, 0, v91, s0
	v_cmp_gt_i32_e64 s0, s13, v141
	v_perm_b32 v83, v91, v83, 0x5040100
	s_wait_alu 0xf1ff
	s_delay_alu instid0(VALU_DEP_2) | instskip(SKIP_2) | instid1(VALU_DEP_1)
	v_cndmask_b32_e64 v84, 0, v84, s0
	v_cmp_gt_i32_e64 s0, s10, v0
	s_wait_alu 0xf1ff
	v_cndmask_b32_e64 v92, 0, v92, s0
	s_delay_alu instid0(VALU_DEP_1)
	v_perm_b32 v84, v92, v84, 0x5040100
	s_wait_alu 0xfffe
	s_or_b32 exec_lo, exec_lo, s11
	global_load_b128 v[89:92], v[45:46], off offset:10240
	s_and_saveexec_b32 s11, vcc_lo
	s_cbranch_execz .LBB188_50
.LBB188_83:                             ;   in Loop: Header=BB188_29 Depth=1
	v_cmp_gt_i32_e64 s0, s13, v177
	s_wait_loadcnt 0x0
	v_lshrrev_b32_e32 v97, 16, v89
	v_lshrrev_b32_e32 v98, 16, v90
	;; [unrolled: 1-line block ×4, first 2 shown]
	s_wait_alu 0xf1ff
	v_cndmask_b32_e64 v89, 0, v89, s0
	v_cmp_gt_i32_e64 s0, s10, v183
	s_wait_alu 0xf1ff
	s_delay_alu instid0(VALU_DEP_1) | instskip(SKIP_1) | instid1(VALU_DEP_2)
	v_cndmask_b32_e64 v97, 0, v97, s0
	v_cmp_gt_i32_e64 s0, s13, v184
	v_perm_b32 v89, v97, v89, 0x5040100
	s_wait_alu 0xf1ff
	s_delay_alu instid0(VALU_DEP_2) | instskip(SKIP_2) | instid1(VALU_DEP_1)
	v_cndmask_b32_e64 v90, 0, v90, s0
	v_cmp_gt_i32_e64 s0, s10, v182
	s_wait_alu 0xf1ff
	v_cndmask_b32_e64 v98, 0, v98, s0
	v_cmp_gt_i32_e64 s0, s13, v181
	s_delay_alu instid0(VALU_DEP_2) | instskip(SKIP_1) | instid1(VALU_DEP_2)
	v_perm_b32 v90, v98, v90, 0x5040100
	s_wait_alu 0xf1ff
	v_cndmask_b32_e64 v91, 0, v91, s0
	v_cmp_gt_i32_e64 s0, s10, v140
	s_wait_alu 0xf1ff
	s_delay_alu instid0(VALU_DEP_1) | instskip(SKIP_1) | instid1(VALU_DEP_2)
	v_cndmask_b32_e64 v99, 0, v99, s0
	v_cmp_gt_i32_e64 s0, s13, v141
	v_perm_b32 v91, v99, v91, 0x5040100
	s_wait_alu 0xf1ff
	s_delay_alu instid0(VALU_DEP_2) | instskip(SKIP_2) | instid1(VALU_DEP_1)
	v_cndmask_b32_e64 v92, 0, v92, s0
	v_cmp_gt_i32_e64 s0, s10, v0
	s_wait_alu 0xf1ff
	v_cndmask_b32_e64 v100, 0, v100, s0
	s_delay_alu instid0(VALU_DEP_1)
	v_perm_b32 v92, v100, v92, 0x5040100
	s_wait_alu 0xfffe
	s_or_b32 exec_lo, exec_lo, s11
	global_load_b128 v[97:100], v[45:46], off offset:10752
	s_and_saveexec_b32 s11, vcc_lo
	s_cbranch_execz .LBB188_51
.LBB188_84:                             ;   in Loop: Header=BB188_29 Depth=1
	v_cmp_gt_i32_e64 s0, s13, v177
	s_wait_loadcnt 0x0
	v_lshrrev_b32_e32 v101, 16, v97
	v_lshrrev_b32_e32 v102, 16, v98
	v_lshrrev_b32_e32 v103, 16, v99
	v_lshrrev_b32_e32 v104, 16, v100
	s_wait_alu 0xf1ff
	v_cndmask_b32_e64 v97, 0, v97, s0
	v_cmp_gt_i32_e64 s0, s10, v183
	s_wait_alu 0xf1ff
	s_delay_alu instid0(VALU_DEP_1) | instskip(SKIP_1) | instid1(VALU_DEP_2)
	v_cndmask_b32_e64 v101, 0, v101, s0
	v_cmp_gt_i32_e64 s0, s13, v184
	v_perm_b32 v97, v101, v97, 0x5040100
	s_wait_alu 0xf1ff
	s_delay_alu instid0(VALU_DEP_2) | instskip(SKIP_2) | instid1(VALU_DEP_1)
	v_cndmask_b32_e64 v98, 0, v98, s0
	v_cmp_gt_i32_e64 s0, s10, v182
	s_wait_alu 0xf1ff
	v_cndmask_b32_e64 v102, 0, v102, s0
	v_cmp_gt_i32_e64 s0, s13, v181
	s_delay_alu instid0(VALU_DEP_2) | instskip(SKIP_1) | instid1(VALU_DEP_2)
	v_perm_b32 v98, v102, v98, 0x5040100
	s_wait_alu 0xf1ff
	v_cndmask_b32_e64 v99, 0, v99, s0
	v_cmp_gt_i32_e64 s0, s10, v140
	s_wait_alu 0xf1ff
	s_delay_alu instid0(VALU_DEP_1) | instskip(SKIP_1) | instid1(VALU_DEP_2)
	v_cndmask_b32_e64 v103, 0, v103, s0
	v_cmp_gt_i32_e64 s0, s13, v141
	v_perm_b32 v99, v103, v99, 0x5040100
	s_wait_alu 0xf1ff
	s_delay_alu instid0(VALU_DEP_2) | instskip(SKIP_2) | instid1(VALU_DEP_1)
	v_cndmask_b32_e64 v100, 0, v100, s0
	v_cmp_gt_i32_e64 s0, s10, v0
	s_wait_alu 0xf1ff
	v_cndmask_b32_e64 v104, 0, v104, s0
	s_delay_alu instid0(VALU_DEP_1)
	v_perm_b32 v100, v104, v100, 0x5040100
	s_wait_alu 0xfffe
	s_or_b32 exec_lo, exec_lo, s11
	global_load_b128 v[101:104], v[45:46], off offset:11264
	s_and_saveexec_b32 s11, vcc_lo
	s_cbranch_execz .LBB188_52
.LBB188_85:                             ;   in Loop: Header=BB188_29 Depth=1
	v_cmp_gt_i32_e64 s0, s13, v177
	s_wait_loadcnt 0x0
	v_lshrrev_b32_e32 v105, 16, v101
	v_lshrrev_b32_e32 v106, 16, v102
	;; [unrolled: 1-line block ×4, first 2 shown]
	s_wait_alu 0xf1ff
	v_cndmask_b32_e64 v101, 0, v101, s0
	v_cmp_gt_i32_e64 s0, s10, v183
	s_wait_alu 0xf1ff
	s_delay_alu instid0(VALU_DEP_1) | instskip(SKIP_1) | instid1(VALU_DEP_2)
	v_cndmask_b32_e64 v105, 0, v105, s0
	v_cmp_gt_i32_e64 s0, s13, v184
	v_perm_b32 v101, v105, v101, 0x5040100
	s_wait_alu 0xf1ff
	s_delay_alu instid0(VALU_DEP_2) | instskip(SKIP_2) | instid1(VALU_DEP_1)
	v_cndmask_b32_e64 v102, 0, v102, s0
	v_cmp_gt_i32_e64 s0, s10, v182
	s_wait_alu 0xf1ff
	v_cndmask_b32_e64 v106, 0, v106, s0
	v_cmp_gt_i32_e64 s0, s13, v181
	s_delay_alu instid0(VALU_DEP_2) | instskip(SKIP_1) | instid1(VALU_DEP_2)
	v_perm_b32 v102, v106, v102, 0x5040100
	s_wait_alu 0xf1ff
	v_cndmask_b32_e64 v103, 0, v103, s0
	v_cmp_gt_i32_e64 s0, s10, v140
	s_wait_alu 0xf1ff
	s_delay_alu instid0(VALU_DEP_1) | instskip(SKIP_1) | instid1(VALU_DEP_2)
	v_cndmask_b32_e64 v107, 0, v107, s0
	v_cmp_gt_i32_e64 s0, s13, v141
	v_perm_b32 v103, v107, v103, 0x5040100
	s_wait_alu 0xf1ff
	s_delay_alu instid0(VALU_DEP_2) | instskip(SKIP_2) | instid1(VALU_DEP_1)
	v_cndmask_b32_e64 v104, 0, v104, s0
	v_cmp_gt_i32_e64 s0, s10, v0
	s_wait_alu 0xf1ff
	v_cndmask_b32_e64 v108, 0, v108, s0
	s_delay_alu instid0(VALU_DEP_1)
	v_perm_b32 v104, v108, v104, 0x5040100
	s_wait_alu 0xfffe
	s_or_b32 exec_lo, exec_lo, s11
	global_load_b128 v[105:108], v[45:46], off offset:11776
	s_and_saveexec_b32 s11, vcc_lo
	s_cbranch_execz .LBB188_53
.LBB188_86:                             ;   in Loop: Header=BB188_29 Depth=1
	v_cmp_gt_i32_e64 s0, s13, v177
	s_wait_loadcnt 0x0
	v_lshrrev_b32_e32 v109, 16, v105
	v_lshrrev_b32_e32 v110, 16, v106
	;; [unrolled: 1-line block ×4, first 2 shown]
	s_wait_alu 0xf1ff
	v_cndmask_b32_e64 v105, 0, v105, s0
	v_cmp_gt_i32_e64 s0, s10, v183
	s_wait_alu 0xf1ff
	s_delay_alu instid0(VALU_DEP_1) | instskip(SKIP_1) | instid1(VALU_DEP_2)
	v_cndmask_b32_e64 v109, 0, v109, s0
	v_cmp_gt_i32_e64 s0, s13, v184
	v_perm_b32 v105, v109, v105, 0x5040100
	s_wait_alu 0xf1ff
	s_delay_alu instid0(VALU_DEP_2) | instskip(SKIP_2) | instid1(VALU_DEP_1)
	v_cndmask_b32_e64 v106, 0, v106, s0
	v_cmp_gt_i32_e64 s0, s10, v182
	s_wait_alu 0xf1ff
	v_cndmask_b32_e64 v110, 0, v110, s0
	v_cmp_gt_i32_e64 s0, s13, v181
	s_delay_alu instid0(VALU_DEP_2) | instskip(SKIP_1) | instid1(VALU_DEP_2)
	v_perm_b32 v106, v110, v106, 0x5040100
	s_wait_alu 0xf1ff
	v_cndmask_b32_e64 v107, 0, v107, s0
	v_cmp_gt_i32_e64 s0, s10, v140
	s_wait_alu 0xf1ff
	s_delay_alu instid0(VALU_DEP_1) | instskip(SKIP_1) | instid1(VALU_DEP_2)
	v_cndmask_b32_e64 v111, 0, v111, s0
	v_cmp_gt_i32_e64 s0, s13, v141
	v_perm_b32 v107, v111, v107, 0x5040100
	s_wait_alu 0xf1ff
	s_delay_alu instid0(VALU_DEP_2) | instskip(SKIP_2) | instid1(VALU_DEP_1)
	v_cndmask_b32_e64 v108, 0, v108, s0
	v_cmp_gt_i32_e64 s0, s10, v0
	s_wait_alu 0xf1ff
	v_cndmask_b32_e64 v112, 0, v112, s0
	s_delay_alu instid0(VALU_DEP_1)
	v_perm_b32 v108, v112, v108, 0x5040100
	s_wait_alu 0xfffe
	s_or_b32 exec_lo, exec_lo, s11
	global_load_b128 v[109:112], v[45:46], off offset:12288
	s_and_saveexec_b32 s11, vcc_lo
	s_cbranch_execz .LBB188_54
.LBB188_87:                             ;   in Loop: Header=BB188_29 Depth=1
	v_cmp_gt_i32_e64 s0, s13, v177
	s_wait_loadcnt 0x0
	v_lshrrev_b32_e32 v113, 16, v109
	v_lshrrev_b32_e32 v114, 16, v110
	;; [unrolled: 1-line block ×4, first 2 shown]
	s_wait_alu 0xf1ff
	v_cndmask_b32_e64 v109, 0, v109, s0
	v_cmp_gt_i32_e64 s0, s10, v183
	s_wait_alu 0xf1ff
	s_delay_alu instid0(VALU_DEP_1) | instskip(SKIP_1) | instid1(VALU_DEP_2)
	v_cndmask_b32_e64 v113, 0, v113, s0
	v_cmp_gt_i32_e64 s0, s13, v184
	v_perm_b32 v109, v113, v109, 0x5040100
	s_wait_alu 0xf1ff
	s_delay_alu instid0(VALU_DEP_2) | instskip(SKIP_2) | instid1(VALU_DEP_1)
	v_cndmask_b32_e64 v110, 0, v110, s0
	v_cmp_gt_i32_e64 s0, s10, v182
	s_wait_alu 0xf1ff
	v_cndmask_b32_e64 v114, 0, v114, s0
	v_cmp_gt_i32_e64 s0, s13, v181
	s_delay_alu instid0(VALU_DEP_2) | instskip(SKIP_1) | instid1(VALU_DEP_2)
	v_perm_b32 v110, v114, v110, 0x5040100
	s_wait_alu 0xf1ff
	v_cndmask_b32_e64 v111, 0, v111, s0
	v_cmp_gt_i32_e64 s0, s10, v140
	s_wait_alu 0xf1ff
	s_delay_alu instid0(VALU_DEP_1) | instskip(SKIP_1) | instid1(VALU_DEP_2)
	v_cndmask_b32_e64 v115, 0, v115, s0
	v_cmp_gt_i32_e64 s0, s13, v141
	v_perm_b32 v111, v115, v111, 0x5040100
	s_wait_alu 0xf1ff
	s_delay_alu instid0(VALU_DEP_2) | instskip(SKIP_2) | instid1(VALU_DEP_1)
	v_cndmask_b32_e64 v112, 0, v112, s0
	v_cmp_gt_i32_e64 s0, s10, v0
	s_wait_alu 0xf1ff
	v_cndmask_b32_e64 v116, 0, v116, s0
	s_delay_alu instid0(VALU_DEP_1)
	v_perm_b32 v112, v116, v112, 0x5040100
	s_wait_alu 0xfffe
	s_or_b32 exec_lo, exec_lo, s11
	global_load_b128 v[113:116], v[45:46], off offset:12800
	s_and_saveexec_b32 s11, vcc_lo
	s_cbranch_execz .LBB188_55
.LBB188_88:                             ;   in Loop: Header=BB188_29 Depth=1
	v_cmp_gt_i32_e64 s0, s13, v177
	s_wait_loadcnt 0x0
	v_lshrrev_b32_e32 v117, 16, v113
	v_lshrrev_b32_e32 v118, 16, v114
	;; [unrolled: 1-line block ×4, first 2 shown]
	s_wait_alu 0xf1ff
	v_cndmask_b32_e64 v113, 0, v113, s0
	v_cmp_gt_i32_e64 s0, s10, v183
	s_wait_alu 0xf1ff
	s_delay_alu instid0(VALU_DEP_1) | instskip(SKIP_1) | instid1(VALU_DEP_2)
	v_cndmask_b32_e64 v117, 0, v117, s0
	v_cmp_gt_i32_e64 s0, s13, v184
	v_perm_b32 v113, v117, v113, 0x5040100
	s_wait_alu 0xf1ff
	s_delay_alu instid0(VALU_DEP_2) | instskip(SKIP_2) | instid1(VALU_DEP_1)
	v_cndmask_b32_e64 v114, 0, v114, s0
	v_cmp_gt_i32_e64 s0, s10, v182
	s_wait_alu 0xf1ff
	v_cndmask_b32_e64 v118, 0, v118, s0
	v_cmp_gt_i32_e64 s0, s13, v181
	s_delay_alu instid0(VALU_DEP_2) | instskip(SKIP_1) | instid1(VALU_DEP_2)
	v_perm_b32 v114, v118, v114, 0x5040100
	s_wait_alu 0xf1ff
	v_cndmask_b32_e64 v115, 0, v115, s0
	v_cmp_gt_i32_e64 s0, s10, v140
	s_wait_alu 0xf1ff
	s_delay_alu instid0(VALU_DEP_1) | instskip(SKIP_1) | instid1(VALU_DEP_2)
	v_cndmask_b32_e64 v119, 0, v119, s0
	v_cmp_gt_i32_e64 s0, s13, v141
	v_perm_b32 v115, v119, v115, 0x5040100
	s_wait_alu 0xf1ff
	s_delay_alu instid0(VALU_DEP_2) | instskip(SKIP_2) | instid1(VALU_DEP_1)
	v_cndmask_b32_e64 v116, 0, v116, s0
	v_cmp_gt_i32_e64 s0, s10, v0
	s_wait_alu 0xf1ff
	v_cndmask_b32_e64 v120, 0, v120, s0
	s_delay_alu instid0(VALU_DEP_1)
	v_perm_b32 v116, v120, v116, 0x5040100
	s_wait_alu 0xfffe
	s_or_b32 exec_lo, exec_lo, s11
	global_load_b128 v[117:120], v[45:46], off offset:13312
	s_and_saveexec_b32 s11, vcc_lo
	s_cbranch_execz .LBB188_56
.LBB188_89:                             ;   in Loop: Header=BB188_29 Depth=1
	v_cmp_gt_i32_e64 s0, s13, v177
	s_wait_loadcnt 0x0
	v_lshrrev_b32_e32 v121, 16, v117
	v_lshrrev_b32_e32 v122, 16, v118
	;; [unrolled: 1-line block ×4, first 2 shown]
	s_wait_alu 0xf1ff
	v_cndmask_b32_e64 v117, 0, v117, s0
	v_cmp_gt_i32_e64 s0, s10, v183
	s_wait_alu 0xf1ff
	s_delay_alu instid0(VALU_DEP_1) | instskip(SKIP_1) | instid1(VALU_DEP_2)
	v_cndmask_b32_e64 v121, 0, v121, s0
	v_cmp_gt_i32_e64 s0, s13, v184
	v_perm_b32 v117, v121, v117, 0x5040100
	s_wait_alu 0xf1ff
	s_delay_alu instid0(VALU_DEP_2) | instskip(SKIP_2) | instid1(VALU_DEP_1)
	v_cndmask_b32_e64 v118, 0, v118, s0
	v_cmp_gt_i32_e64 s0, s10, v182
	s_wait_alu 0xf1ff
	v_cndmask_b32_e64 v122, 0, v122, s0
	v_cmp_gt_i32_e64 s0, s13, v181
	s_delay_alu instid0(VALU_DEP_2) | instskip(SKIP_1) | instid1(VALU_DEP_2)
	v_perm_b32 v118, v122, v118, 0x5040100
	s_wait_alu 0xf1ff
	v_cndmask_b32_e64 v119, 0, v119, s0
	v_cmp_gt_i32_e64 s0, s10, v140
	s_wait_alu 0xf1ff
	s_delay_alu instid0(VALU_DEP_1) | instskip(SKIP_1) | instid1(VALU_DEP_2)
	v_cndmask_b32_e64 v123, 0, v123, s0
	v_cmp_gt_i32_e64 s0, s13, v141
	v_perm_b32 v119, v123, v119, 0x5040100
	s_wait_alu 0xf1ff
	s_delay_alu instid0(VALU_DEP_2) | instskip(SKIP_2) | instid1(VALU_DEP_1)
	v_cndmask_b32_e64 v120, 0, v120, s0
	v_cmp_gt_i32_e64 s0, s10, v0
	s_wait_alu 0xf1ff
	v_cndmask_b32_e64 v124, 0, v124, s0
	s_delay_alu instid0(VALU_DEP_1)
	v_perm_b32 v120, v124, v120, 0x5040100
	s_wait_alu 0xfffe
	s_or_b32 exec_lo, exec_lo, s11
	global_load_b128 v[121:124], v[45:46], off offset:13824
	s_and_saveexec_b32 s11, vcc_lo
	s_cbranch_execz .LBB188_57
.LBB188_90:                             ;   in Loop: Header=BB188_29 Depth=1
	v_cmp_gt_i32_e64 s0, s13, v177
	s_wait_loadcnt 0x0
	v_lshrrev_b32_e32 v125, 16, v121
	v_lshrrev_b32_e32 v126, 16, v122
	;; [unrolled: 1-line block ×4, first 2 shown]
	s_wait_alu 0xf1ff
	v_cndmask_b32_e64 v121, 0, v121, s0
	v_cmp_gt_i32_e64 s0, s10, v183
	s_wait_alu 0xf1ff
	s_delay_alu instid0(VALU_DEP_1) | instskip(SKIP_1) | instid1(VALU_DEP_2)
	v_cndmask_b32_e64 v125, 0, v125, s0
	v_cmp_gt_i32_e64 s0, s13, v184
	v_perm_b32 v121, v125, v121, 0x5040100
	s_wait_alu 0xf1ff
	s_delay_alu instid0(VALU_DEP_2) | instskip(SKIP_2) | instid1(VALU_DEP_1)
	v_cndmask_b32_e64 v122, 0, v122, s0
	v_cmp_gt_i32_e64 s0, s10, v182
	s_wait_alu 0xf1ff
	v_cndmask_b32_e64 v126, 0, v126, s0
	v_cmp_gt_i32_e64 s0, s13, v181
	s_delay_alu instid0(VALU_DEP_2) | instskip(SKIP_1) | instid1(VALU_DEP_2)
	v_perm_b32 v122, v126, v122, 0x5040100
	s_wait_alu 0xf1ff
	v_cndmask_b32_e64 v123, 0, v123, s0
	v_cmp_gt_i32_e64 s0, s10, v140
	s_wait_alu 0xf1ff
	s_delay_alu instid0(VALU_DEP_1) | instskip(SKIP_1) | instid1(VALU_DEP_2)
	v_cndmask_b32_e64 v127, 0, v127, s0
	v_cmp_gt_i32_e64 s0, s13, v141
	v_perm_b32 v123, v127, v123, 0x5040100
	s_wait_alu 0xf1ff
	s_delay_alu instid0(VALU_DEP_2) | instskip(SKIP_2) | instid1(VALU_DEP_1)
	v_cndmask_b32_e64 v124, 0, v124, s0
	v_cmp_gt_i32_e64 s0, s10, v0
	s_wait_alu 0xf1ff
	v_cndmask_b32_e64 v128, 0, v128, s0
	s_delay_alu instid0(VALU_DEP_1)
	v_perm_b32 v124, v128, v124, 0x5040100
	s_wait_alu 0xfffe
	s_or_b32 exec_lo, exec_lo, s11
	global_load_b128 v[125:128], v[45:46], off offset:14336
	s_and_saveexec_b32 s11, vcc_lo
	s_cbranch_execz .LBB188_58
.LBB188_91:                             ;   in Loop: Header=BB188_29 Depth=1
	v_cmp_gt_i32_e64 s0, s13, v177
	s_wait_loadcnt 0x0
	v_lshrrev_b32_e32 v129, 16, v125
	v_lshrrev_b32_e32 v130, 16, v126
	;; [unrolled: 1-line block ×4, first 2 shown]
	s_wait_alu 0xf1ff
	v_cndmask_b32_e64 v125, 0, v125, s0
	v_cmp_gt_i32_e64 s0, s10, v183
	s_wait_alu 0xf1ff
	s_delay_alu instid0(VALU_DEP_1) | instskip(SKIP_1) | instid1(VALU_DEP_2)
	v_cndmask_b32_e64 v129, 0, v129, s0
	v_cmp_gt_i32_e64 s0, s13, v184
	v_perm_b32 v125, v129, v125, 0x5040100
	s_wait_alu 0xf1ff
	s_delay_alu instid0(VALU_DEP_2) | instskip(SKIP_2) | instid1(VALU_DEP_1)
	v_cndmask_b32_e64 v126, 0, v126, s0
	v_cmp_gt_i32_e64 s0, s10, v182
	s_wait_alu 0xf1ff
	v_cndmask_b32_e64 v130, 0, v130, s0
	v_cmp_gt_i32_e64 s0, s13, v181
	s_delay_alu instid0(VALU_DEP_2) | instskip(SKIP_1) | instid1(VALU_DEP_2)
	v_perm_b32 v126, v130, v126, 0x5040100
	s_wait_alu 0xf1ff
	v_cndmask_b32_e64 v127, 0, v127, s0
	v_cmp_gt_i32_e64 s0, s10, v140
	s_wait_alu 0xf1ff
	s_delay_alu instid0(VALU_DEP_1) | instskip(SKIP_1) | instid1(VALU_DEP_2)
	v_cndmask_b32_e64 v131, 0, v131, s0
	v_cmp_gt_i32_e64 s0, s13, v141
	v_perm_b32 v127, v131, v127, 0x5040100
	s_wait_alu 0xf1ff
	s_delay_alu instid0(VALU_DEP_2) | instskip(SKIP_2) | instid1(VALU_DEP_1)
	v_cndmask_b32_e64 v128, 0, v128, s0
	v_cmp_gt_i32_e64 s0, s10, v0
	s_wait_alu 0xf1ff
	v_cndmask_b32_e64 v132, 0, v132, s0
	s_delay_alu instid0(VALU_DEP_1)
	v_perm_b32 v128, v132, v128, 0x5040100
	s_wait_alu 0xfffe
	s_or_b32 exec_lo, exec_lo, s11
	global_load_b128 v[129:132], v[45:46], off offset:14848
	s_and_saveexec_b32 s11, vcc_lo
	s_cbranch_execz .LBB188_59
.LBB188_92:                             ;   in Loop: Header=BB188_29 Depth=1
	v_cmp_gt_i32_e64 s0, s13, v177
	s_wait_loadcnt 0x0
	v_lshrrev_b32_e32 v133, 16, v129
	v_lshrrev_b32_e32 v134, 16, v130
	;; [unrolled: 1-line block ×4, first 2 shown]
	s_wait_alu 0xf1ff
	v_cndmask_b32_e64 v129, 0, v129, s0
	v_cmp_gt_i32_e64 s0, s10, v183
	s_wait_alu 0xf1ff
	s_delay_alu instid0(VALU_DEP_1) | instskip(SKIP_1) | instid1(VALU_DEP_2)
	v_cndmask_b32_e64 v133, 0, v133, s0
	v_cmp_gt_i32_e64 s0, s13, v184
	v_perm_b32 v129, v133, v129, 0x5040100
	s_wait_alu 0xf1ff
	s_delay_alu instid0(VALU_DEP_2) | instskip(SKIP_2) | instid1(VALU_DEP_1)
	v_cndmask_b32_e64 v130, 0, v130, s0
	v_cmp_gt_i32_e64 s0, s10, v182
	s_wait_alu 0xf1ff
	v_cndmask_b32_e64 v134, 0, v134, s0
	v_cmp_gt_i32_e64 s0, s13, v181
	s_delay_alu instid0(VALU_DEP_2) | instskip(SKIP_1) | instid1(VALU_DEP_2)
	v_perm_b32 v130, v134, v130, 0x5040100
	s_wait_alu 0xf1ff
	v_cndmask_b32_e64 v131, 0, v131, s0
	v_cmp_gt_i32_e64 s0, s10, v140
	s_wait_alu 0xf1ff
	s_delay_alu instid0(VALU_DEP_1) | instskip(SKIP_1) | instid1(VALU_DEP_2)
	v_cndmask_b32_e64 v135, 0, v135, s0
	v_cmp_gt_i32_e64 s0, s13, v141
	v_perm_b32 v131, v135, v131, 0x5040100
	s_wait_alu 0xf1ff
	s_delay_alu instid0(VALU_DEP_2) | instskip(SKIP_2) | instid1(VALU_DEP_1)
	v_cndmask_b32_e64 v132, 0, v132, s0
	v_cmp_gt_i32_e64 s0, s10, v0
	s_wait_alu 0xf1ff
	v_cndmask_b32_e64 v136, 0, v136, s0
	s_delay_alu instid0(VALU_DEP_1)
	v_perm_b32 v132, v136, v132, 0x5040100
	s_wait_alu 0xfffe
	s_or_b32 exec_lo, exec_lo, s11
	global_load_b128 v[133:136], v[45:46], off offset:15360
	s_and_saveexec_b32 s11, vcc_lo
	s_cbranch_execnz .LBB188_60
	s_branch .LBB188_61
.LBB188_93:
	s_or_b32 exec_lo, exec_lo, s9
.LBB188_94:
	s_wait_alu 0xfffe
	s_or_b32 exec_lo, exec_lo, s1
	ds_bpermute_b32 v0, v143, v174
	ds_bpermute_b32 v2, v143, v175
	;; [unrolled: 1-line block ×19, first 2 shown]
	s_mov_b32 s0, exec_lo
	s_wait_dscnt 0x12
	v_add_f32_e32 v0, v174, v0
	s_wait_dscnt 0x10
	v_dual_add_f32 v2, v175, v2 :: v_dual_add_f32 v3, v173, v3
	s_wait_dscnt 0xe
	v_dual_add_f32 v6, v170, v6 :: v_dual_add_f32 v7, v169, v7
	s_wait_dscnt 0xd
	v_add_f32_e32 v1, v176, v1
	s_wait_dscnt 0xb
	v_dual_add_f32 v4, v172, v4 :: v_dual_add_f32 v5, v171, v5
	ds_bpermute_b32 v13, v142, v0
	ds_bpermute_b32 v16, v142, v3
	;; [unrolled: 1-line block ×5, first 2 shown]
	s_wait_dscnt 0xe
	v_dual_add_f32 v8, v168, v8 :: v_dual_add_f32 v9, v167, v9
	ds_bpermute_b32 v14, v142, v1
	s_wait_dscnt 0xd
	v_dual_add_f32 v10, v166, v10 :: v_dual_add_f32 v11, v165, v11
	ds_bpermute_b32 v17, v142, v4
	ds_bpermute_b32 v19, v142, v6
	;; [unrolled: 1-line block ×6, first 2 shown]
	s_wait_storecnt 0x0
	s_wait_loadcnt_dscnt 0x0
	s_barrier_signal -1
	s_barrier_wait -1
	global_inv scope:SCOPE_SE
	v_dual_add_f32 v31, v0, v13 :: v_dual_add_f32 v24, v3, v16
	v_add_f32_e32 v21, v7, v21
	ds_bpermute_b32 v3, v143, v158
	ds_bpermute_b32 v7, v143, v157
	;; [unrolled: 1-line block ×3, first 2 shown]
	v_dual_add_f32 v25, v2, v15 :: v_dual_add_f32 v20, v5, v18
	ds_bpermute_b32 v18, v143, v154
	v_dual_add_f32 v29, v1, v14 :: v_dual_add_f32 v2, v164, v12
	ds_bpermute_b32 v0, v143, v160
	ds_bpermute_b32 v1, v143, v159
	v_dual_add_f32 v23, v4, v17 :: v_dual_add_f32 v14, v9, v26
	v_dual_add_f32 v19, v6, v19 :: v_dual_add_f32 v16, v8, v22
	;; [unrolled: 1-line block ×4, first 2 shown]
	v_add_f32_e32 v6, v162, v32
	ds_bpermute_b32 v9, v143, v156
	ds_bpermute_b32 v22, v143, v153
	;; [unrolled: 1-line block ×3, first 2 shown]
	s_wait_dscnt 0x6
	v_dual_add_f32 v3, v158, v3 :: v_dual_add_f32 v38, v155, v13
	ds_bpermute_b32 v27, v143, v151
	ds_bpermute_b32 v28, v143, v150
	;; [unrolled: 1-line block ×3, first 2 shown]
	s_wait_dscnt 0x8
	v_dual_add_f32 v7, v157, v7 :: v_dual_add_f32 v40, v154, v18
	ds_bpermute_b32 v13, v143, v145
	ds_bpermute_b32 v4, v142, v2
	;; [unrolled: 1-line block ×5, first 2 shown]
	s_wait_dscnt 0xb
	v_dual_add_f32 v0, v160, v0 :: v_dual_add_f32 v1, v159, v1
	v_dual_add_f32 v35, v148, v35 :: v_dual_add_f32 v36, v147, v36
	v_add_f32_e32 v37, v146, v37
	ds_bpermute_b32 v32, v142, v0
	ds_bpermute_b32 v33, v142, v1
	s_wait_dscnt 0xb
	v_dual_add_f32 v9, v156, v9 :: v_dual_add_f32 v42, v153, v22
	s_wait_dscnt 0xa
	v_add_f32_e32 v44, v152, v26
	s_wait_dscnt 0x9
	v_add_f32_e32 v46, v151, v27
	;; [unrolled: 2-line block ×4, first 2 shown]
	ds_bpermute_b32 v17, v142, v8
	ds_bpermute_b32 v34, v142, v3
	s_wait_dscnt 0x8
	v_add_f32_e32 v55, v145, v13
	ds_bpermute_b32 v41, v142, v9
	ds_bpermute_b32 v43, v142, v38
	;; [unrolled: 1-line block ×8, first 2 shown]
	s_wait_dscnt 0xf
	v_add_f32_e32 v30, v2, v4
	ds_bpermute_b32 v2, v142, v37
	s_wait_dscnt 0xf
	v_add_f32_e32 v27, v5, v10
	ds_bpermute_b32 v56, v142, v36
	ds_bpermute_b32 v57, v142, v55
	s_wait_dscnt 0x10
	v_add_f32_e32 v28, v6, v15
	s_wait_dscnt 0xf
	v_add_f32_e32 v15, v7, v39
	ds_bpermute_b32 v53, v142, v50
	s_wait_dscnt 0xf
	v_add_f32_e32 v22, v0, v32
	s_wait_dscnt 0xe
	v_dual_add_f32 v18, v1, v33 :: v_dual_and_b32 v33, 28, v190
	s_wait_dscnt 0xc
	v_dual_add_f32 v26, v8, v17 :: v_dual_add_f32 v17, v3, v34
	s_wait_dscnt 0xa
	v_dual_add_f32 v13, v9, v41 :: v_dual_add_f32 v10, v38, v43
	;; [unrolled: 2-line block ×4, first 2 shown]
	s_wait_dscnt 0x5
	v_add_f32_e32 v5, v48, v52
	s_wait_dscnt 0x4
	v_add_f32_e32 v3, v35, v54
	;; [unrolled: 2-line block ×3, first 2 shown]
	v_and_b32_e32 v35, 0x3c3, v188
	s_wait_dscnt 0x2
	v_dual_add_f32 v0, v36, v56 :: v_dual_add_nc_u32 v33, 0x220, v33
	s_wait_dscnt 0x1
	v_add_f32_e32 v2, v55, v57
	v_lshrrev_b32_e32 v32, 2, v190
	s_wait_dscnt 0x0
	v_add_f32_e32 v4, v50, v53
	v_lshlrev_b32_e32 v34, 10, v189
	v_cmpx_eq_u32_e32 64, v35
	s_cbranch_execz .LBB188_96
; %bb.95:
	s_delay_alu instid0(VALU_DEP_2) | instskip(NEXT) | instid1(VALU_DEP_1)
	v_add_nc_u32_e32 v35, v33, v34
	v_add_nc_u32_e32 v36, 0xfffff800, v35
	;; [unrolled: 1-line block ×9, first 2 shown]
	ds_store_b32 v36, v31
	ds_store_b32 v37, v29
	ds_store_b32 v38, v25
	ds_store_b32 v39, v24
	ds_store_b32 v40, v23
	ds_store_b32 v41, v20
	ds_store_b32 v42, v19
	ds_store_b32 v43, v21
	v_add_nc_u32_e32 v36, 0xfffff900, v35
	v_add_nc_u32_e32 v37, 0xfffff920, v35
	v_add_nc_u32_e32 v38, 0xfffff940, v35
	v_add_nc_u32_e32 v39, 0xfffff960, v35
	v_add_nc_u32_e32 v40, 0xfffff980, v35
	v_add_nc_u32_e32 v41, 0xfffff9a0, v35
	v_add_nc_u32_e32 v42, 0xfffff9c0, v35
	v_add_nc_u32_e32 v43, 0xfffff9e0, v35
	ds_store_b32 v36, v16
	ds_store_b32 v37, v14
	ds_store_b32 v38, v12
	ds_store_b32 v39, v11
	ds_store_b32 v40, v30
	ds_store_b32 v41, v27
	ds_store_b32 v42, v28
	ds_store_b32 v43, v26
	v_add_nc_u32_e32 v36, 0xfffffa00, v35
	v_add_nc_u32_e32 v37, 0xfffffa20, v35
	v_add_nc_u32_e32 v38, 0xfffffa40, v35
	v_add_nc_u32_e32 v39, 0xfffffa60, v35
	v_add_nc_u32_e32 v40, 0xfffffa80, v35
	v_add_nc_u32_e32 v41, 0xfffffaa0, v35
	v_add_nc_u32_e32 v42, 0xfffffac0, v35
	v_add_nc_u32_e32 v43, 0xfffffae0, v35
	;; [unrolled: 16-line block ×3, first 2 shown]
	ds_store_b32 v36, v7
	ds_store_b32 v37, v6
	;; [unrolled: 1-line block ×8, first 2 shown]
.LBB188_96:
	s_wait_alu 0xfffe
	s_or_b32 exec_lo, exec_lo, s0
	v_lshlrev_b32_e32 v32, 2, v32
	s_mov_b32 s1, exec_lo
	v_cmp_eq_u32_e32 vcc_lo, 0, v144
	s_wait_loadcnt_dscnt 0x0
	s_barrier_signal -1
	v_add3_u32 v32, 0x220, v34, v32
	s_barrier_wait -1
	global_inv scope:SCOPE_SE
	v_cmpx_gt_u32_e32 64, v188
	s_cbranch_execz .LBB188_131
; %bb.97:
	s_and_saveexec_b32 s0, vcc_lo
	s_cbranch_execnz .LBB188_171
; %bb.98:
	s_wait_alu 0xfffe
	s_or_b32 exec_lo, exec_lo, s0
	s_and_saveexec_b32 s0, vcc_lo
	s_cbranch_execnz .LBB188_172
.LBB188_99:
	s_wait_alu 0xfffe
	s_or_b32 exec_lo, exec_lo, s0
	s_and_saveexec_b32 s0, vcc_lo
	s_cbranch_execnz .LBB188_173
.LBB188_100:
	s_wait_alu 0xfffe
	s_or_b32 exec_lo, exec_lo, s0
	s_and_saveexec_b32 s0, vcc_lo
	s_cbranch_execnz .LBB188_174
.LBB188_101:
	s_wait_alu 0xfffe
	s_or_b32 exec_lo, exec_lo, s0
	s_and_saveexec_b32 s0, vcc_lo
	s_cbranch_execnz .LBB188_175
.LBB188_102:
	s_wait_alu 0xfffe
	s_or_b32 exec_lo, exec_lo, s0
	s_and_saveexec_b32 s0, vcc_lo
	s_cbranch_execnz .LBB188_176
.LBB188_103:
	s_wait_alu 0xfffe
	s_or_b32 exec_lo, exec_lo, s0
	s_and_saveexec_b32 s0, vcc_lo
	s_cbranch_execnz .LBB188_177
.LBB188_104:
	s_wait_alu 0xfffe
	s_or_b32 exec_lo, exec_lo, s0
	s_and_saveexec_b32 s0, vcc_lo
	s_cbranch_execnz .LBB188_178
.LBB188_105:
	s_wait_alu 0xfffe
	s_or_b32 exec_lo, exec_lo, s0
	s_and_saveexec_b32 s0, vcc_lo
	s_cbranch_execnz .LBB188_179
.LBB188_106:
	s_wait_alu 0xfffe
	s_or_b32 exec_lo, exec_lo, s0
	s_and_saveexec_b32 s0, vcc_lo
	s_cbranch_execnz .LBB188_180
.LBB188_107:
	s_wait_alu 0xfffe
	s_or_b32 exec_lo, exec_lo, s0
	s_and_saveexec_b32 s0, vcc_lo
	s_cbranch_execnz .LBB188_181
.LBB188_108:
	s_wait_alu 0xfffe
	s_or_b32 exec_lo, exec_lo, s0
	s_and_saveexec_b32 s0, vcc_lo
	s_cbranch_execnz .LBB188_182
.LBB188_109:
	s_wait_alu 0xfffe
	s_or_b32 exec_lo, exec_lo, s0
	s_and_saveexec_b32 s0, vcc_lo
	s_cbranch_execnz .LBB188_183
.LBB188_110:
	s_wait_alu 0xfffe
	s_or_b32 exec_lo, exec_lo, s0
	s_and_saveexec_b32 s0, vcc_lo
	s_cbranch_execnz .LBB188_184
.LBB188_111:
	s_wait_alu 0xfffe
	s_or_b32 exec_lo, exec_lo, s0
	s_and_saveexec_b32 s0, vcc_lo
	s_cbranch_execnz .LBB188_185
.LBB188_112:
	s_wait_alu 0xfffe
	s_or_b32 exec_lo, exec_lo, s0
	s_and_saveexec_b32 s0, vcc_lo
	s_cbranch_execnz .LBB188_186
.LBB188_113:
	s_wait_alu 0xfffe
	s_or_b32 exec_lo, exec_lo, s0
	s_and_saveexec_b32 s0, vcc_lo
	s_cbranch_execnz .LBB188_187
.LBB188_114:
	s_wait_alu 0xfffe
	s_or_b32 exec_lo, exec_lo, s0
	s_and_saveexec_b32 s0, vcc_lo
	s_cbranch_execnz .LBB188_188
.LBB188_115:
	s_wait_alu 0xfffe
	s_or_b32 exec_lo, exec_lo, s0
	s_and_saveexec_b32 s0, vcc_lo
	s_cbranch_execnz .LBB188_189
.LBB188_116:
	s_wait_alu 0xfffe
	s_or_b32 exec_lo, exec_lo, s0
	s_and_saveexec_b32 s0, vcc_lo
	s_cbranch_execnz .LBB188_190
.LBB188_117:
	s_wait_alu 0xfffe
	s_or_b32 exec_lo, exec_lo, s0
	s_and_saveexec_b32 s0, vcc_lo
	s_cbranch_execnz .LBB188_191
.LBB188_118:
	s_wait_alu 0xfffe
	s_or_b32 exec_lo, exec_lo, s0
	s_and_saveexec_b32 s0, vcc_lo
	s_cbranch_execnz .LBB188_192
.LBB188_119:
	s_wait_alu 0xfffe
	s_or_b32 exec_lo, exec_lo, s0
	s_and_saveexec_b32 s0, vcc_lo
	s_cbranch_execnz .LBB188_193
.LBB188_120:
	s_wait_alu 0xfffe
	s_or_b32 exec_lo, exec_lo, s0
	s_and_saveexec_b32 s0, vcc_lo
	s_cbranch_execnz .LBB188_194
.LBB188_121:
	s_wait_alu 0xfffe
	s_or_b32 exec_lo, exec_lo, s0
	s_and_saveexec_b32 s0, vcc_lo
	s_cbranch_execnz .LBB188_195
.LBB188_122:
	s_wait_alu 0xfffe
	s_or_b32 exec_lo, exec_lo, s0
	s_and_saveexec_b32 s0, vcc_lo
	s_cbranch_execnz .LBB188_196
.LBB188_123:
	s_wait_alu 0xfffe
	s_or_b32 exec_lo, exec_lo, s0
	s_and_saveexec_b32 s0, vcc_lo
	s_cbranch_execnz .LBB188_197
.LBB188_124:
	s_wait_alu 0xfffe
	s_or_b32 exec_lo, exec_lo, s0
	s_and_saveexec_b32 s0, vcc_lo
	s_cbranch_execnz .LBB188_198
.LBB188_125:
	s_wait_alu 0xfffe
	s_or_b32 exec_lo, exec_lo, s0
	s_and_saveexec_b32 s0, vcc_lo
	s_cbranch_execnz .LBB188_199
.LBB188_126:
	s_wait_alu 0xfffe
	s_or_b32 exec_lo, exec_lo, s0
	s_and_saveexec_b32 s0, vcc_lo
	s_cbranch_execnz .LBB188_200
.LBB188_127:
	s_wait_alu 0xfffe
	s_or_b32 exec_lo, exec_lo, s0
	s_and_saveexec_b32 s0, vcc_lo
	s_cbranch_execnz .LBB188_201
.LBB188_128:
	s_wait_alu 0xfffe
	s_or_b32 exec_lo, exec_lo, s0
	s_and_saveexec_b32 s0, vcc_lo
	s_cbranch_execz .LBB188_130
.LBB188_129:
	ds_load_b32 v34, v32 offset:992
	s_wait_dscnt 0x0
	v_add_f32_e32 v2, v2, v34
.LBB188_130:
	s_wait_alu 0xfffe
	s_or_b32 exec_lo, exec_lo, s0
.LBB188_131:
	s_wait_alu 0xfffe
	s_or_b32 exec_lo, exec_lo, s1
	v_and_b32_e32 v34, 0x3e3, v188
	s_mov_b32 s1, exec_lo
	s_wait_loadcnt 0x0
	s_barrier_signal -1
	s_barrier_wait -1
	global_inv scope:SCOPE_SE
	v_cmpx_eq_u32_e32 32, v34
	s_cbranch_execz .LBB188_133
; %bb.132:
	ds_store_2addr_b32 v33, v31, v29 offset1:8
	ds_store_2addr_b32 v33, v25, v24 offset0:16 offset1:24
	ds_store_2addr_b32 v33, v23, v20 offset0:32 offset1:40
	;; [unrolled: 1-line block ×15, first 2 shown]
.LBB188_133:
	s_wait_alu 0xfffe
	s_or_b32 exec_lo, exec_lo, s1
	s_wait_loadcnt_dscnt 0x0
	s_barrier_signal -1
	s_barrier_wait -1
	global_inv scope:SCOPE_SE
	s_and_saveexec_b32 s0, s2
	s_cbranch_execz .LBB188_168
; %bb.134:
	s_and_saveexec_b32 s1, vcc_lo
	s_cbranch_execnz .LBB188_202
; %bb.135:
	s_wait_alu 0xfffe
	s_or_b32 exec_lo, exec_lo, s1
	s_and_saveexec_b32 s1, vcc_lo
	s_cbranch_execnz .LBB188_203
.LBB188_136:
	s_wait_alu 0xfffe
	s_or_b32 exec_lo, exec_lo, s1
	s_and_saveexec_b32 s1, vcc_lo
	s_cbranch_execnz .LBB188_204
.LBB188_137:
	s_wait_alu 0xfffe
	s_or_b32 exec_lo, exec_lo, s1
	s_and_saveexec_b32 s1, vcc_lo
	s_cbranch_execnz .LBB188_205
.LBB188_138:
	s_wait_alu 0xfffe
	s_or_b32 exec_lo, exec_lo, s1
	s_and_saveexec_b32 s1, vcc_lo
	s_cbranch_execnz .LBB188_206
.LBB188_139:
	s_wait_alu 0xfffe
	s_or_b32 exec_lo, exec_lo, s1
	s_and_saveexec_b32 s1, vcc_lo
	s_cbranch_execnz .LBB188_207
.LBB188_140:
	s_wait_alu 0xfffe
	s_or_b32 exec_lo, exec_lo, s1
	s_and_saveexec_b32 s1, vcc_lo
	s_cbranch_execnz .LBB188_208
.LBB188_141:
	s_wait_alu 0xfffe
	s_or_b32 exec_lo, exec_lo, s1
	s_and_saveexec_b32 s1, vcc_lo
	s_cbranch_execnz .LBB188_209
.LBB188_142:
	s_wait_alu 0xfffe
	s_or_b32 exec_lo, exec_lo, s1
	s_and_saveexec_b32 s1, vcc_lo
	s_cbranch_execnz .LBB188_210
.LBB188_143:
	s_wait_alu 0xfffe
	s_or_b32 exec_lo, exec_lo, s1
	s_and_saveexec_b32 s1, vcc_lo
	s_cbranch_execnz .LBB188_211
.LBB188_144:
	s_wait_alu 0xfffe
	s_or_b32 exec_lo, exec_lo, s1
	s_and_saveexec_b32 s1, vcc_lo
	s_cbranch_execnz .LBB188_212
.LBB188_145:
	s_wait_alu 0xfffe
	s_or_b32 exec_lo, exec_lo, s1
	s_and_saveexec_b32 s1, vcc_lo
	s_cbranch_execnz .LBB188_213
.LBB188_146:
	s_wait_alu 0xfffe
	s_or_b32 exec_lo, exec_lo, s1
	s_and_saveexec_b32 s1, vcc_lo
	s_cbranch_execnz .LBB188_214
.LBB188_147:
	s_wait_alu 0xfffe
	s_or_b32 exec_lo, exec_lo, s1
	s_and_saveexec_b32 s1, vcc_lo
	s_cbranch_execnz .LBB188_215
.LBB188_148:
	s_wait_alu 0xfffe
	s_or_b32 exec_lo, exec_lo, s1
	s_and_saveexec_b32 s1, vcc_lo
	s_cbranch_execnz .LBB188_216
.LBB188_149:
	s_wait_alu 0xfffe
	s_or_b32 exec_lo, exec_lo, s1
	s_and_saveexec_b32 s1, vcc_lo
	s_cbranch_execnz .LBB188_217
.LBB188_150:
	s_wait_alu 0xfffe
	s_or_b32 exec_lo, exec_lo, s1
	s_and_saveexec_b32 s1, vcc_lo
	s_cbranch_execnz .LBB188_218
.LBB188_151:
	s_wait_alu 0xfffe
	s_or_b32 exec_lo, exec_lo, s1
	s_and_saveexec_b32 s1, vcc_lo
	s_cbranch_execnz .LBB188_219
.LBB188_152:
	s_wait_alu 0xfffe
	s_or_b32 exec_lo, exec_lo, s1
	s_and_saveexec_b32 s1, vcc_lo
	s_cbranch_execnz .LBB188_220
.LBB188_153:
	s_wait_alu 0xfffe
	s_or_b32 exec_lo, exec_lo, s1
	s_and_saveexec_b32 s1, vcc_lo
	s_cbranch_execnz .LBB188_221
.LBB188_154:
	s_wait_alu 0xfffe
	s_or_b32 exec_lo, exec_lo, s1
	s_and_saveexec_b32 s1, vcc_lo
	s_cbranch_execnz .LBB188_222
.LBB188_155:
	s_wait_alu 0xfffe
	s_or_b32 exec_lo, exec_lo, s1
	s_and_saveexec_b32 s1, vcc_lo
	s_cbranch_execnz .LBB188_223
.LBB188_156:
	s_wait_alu 0xfffe
	s_or_b32 exec_lo, exec_lo, s1
	s_and_saveexec_b32 s1, vcc_lo
	s_cbranch_execnz .LBB188_224
.LBB188_157:
	s_wait_alu 0xfffe
	s_or_b32 exec_lo, exec_lo, s1
	s_and_saveexec_b32 s1, vcc_lo
	s_cbranch_execnz .LBB188_225
.LBB188_158:
	s_wait_alu 0xfffe
	s_or_b32 exec_lo, exec_lo, s1
	s_and_saveexec_b32 s1, vcc_lo
	s_cbranch_execnz .LBB188_226
.LBB188_159:
	s_wait_alu 0xfffe
	s_or_b32 exec_lo, exec_lo, s1
	s_and_saveexec_b32 s1, vcc_lo
	s_cbranch_execnz .LBB188_227
.LBB188_160:
	s_wait_alu 0xfffe
	s_or_b32 exec_lo, exec_lo, s1
	s_and_saveexec_b32 s1, vcc_lo
	s_cbranch_execnz .LBB188_228
.LBB188_161:
	s_wait_alu 0xfffe
	s_or_b32 exec_lo, exec_lo, s1
	s_and_saveexec_b32 s1, vcc_lo
	s_cbranch_execnz .LBB188_229
.LBB188_162:
	s_wait_alu 0xfffe
	s_or_b32 exec_lo, exec_lo, s1
	s_and_saveexec_b32 s1, vcc_lo
	s_cbranch_execnz .LBB188_230
.LBB188_163:
	s_wait_alu 0xfffe
	s_or_b32 exec_lo, exec_lo, s1
	s_and_saveexec_b32 s1, vcc_lo
	s_cbranch_execnz .LBB188_231
.LBB188_164:
	s_wait_alu 0xfffe
	s_or_b32 exec_lo, exec_lo, s1
	s_and_saveexec_b32 s1, vcc_lo
	s_cbranch_execnz .LBB188_232
.LBB188_165:
	s_wait_alu 0xfffe
	s_or_b32 exec_lo, exec_lo, s1
	s_and_saveexec_b32 s1, vcc_lo
	s_cbranch_execz .LBB188_167
.LBB188_166:
	ds_load_b32 v32, v32 offset:992
	s_wait_dscnt 0x0
	v_add_f32_e32 v2, v2, v32
.LBB188_167:
	s_wait_alu 0xfffe
	s_or_b32 exec_lo, exec_lo, s1
.LBB188_168:
	s_wait_alu 0xfffe
	s_or_b32 exec_lo, exec_lo, s0
	s_mov_b32 s13, 0
	s_wait_loadcnt 0x0
	s_barrier_signal -1
	s_barrier_wait -1
	global_inv scope:SCOPE_SE
	s_mov_b32 s0, exec_lo
	v_cmpx_eq_u32_e32 0, v34
	s_cbranch_execz .LBB188_170
; %bb.169:
	v_bfe_u32 v32, v31, 16, 1
	v_bfe_u32 v33, v29, 16, 1
	v_or_b32_e32 v35, 0x400000, v31
	v_cmp_u_f32_e32 vcc_lo, v31, v31
	v_or_b32_e32 v36, 0x400000, v29
	v_add3_u32 v32, v32, v31, 0x7fff
	v_add3_u32 v33, v33, v29, 0x7fff
	v_bfe_u32 v37, v25, 16, 1
	s_lshl_b32 s0, s16, 8
	s_mul_i32 s2, s15, s14
	s_wait_alu 0xfffd
	v_cndmask_b32_e32 v31, v32, v35, vcc_lo
	v_bfe_u32 v32, v24, 16, 1
	v_cmp_u_f32_e32 vcc_lo, v29, v29
	v_or_b32_e32 v35, 0x400000, v25
	s_wait_alu 0xfffe
	s_ashr_i32 s1, s0, 31
	v_or_b32_e32 v38, 0x400000, v21
	v_add3_u32 v32, v32, v24, 0x7fff
	s_wait_alu 0xfffd
	v_cndmask_b32_e32 v29, v33, v36, vcc_lo
	v_add3_u32 v33, v37, v25, 0x7fff
	v_cmp_u_f32_e32 vcc_lo, v25, v25
	v_bfe_u32 v36, v23, 16, 1
	v_or_b32_e32 v37, 0x400000, v24
	s_ashr_i32 s3, s2, 31
	s_wait_alu 0xfffe
	s_lshl_b64 s[0:1], s[0:1], 1
	s_wait_alu 0xfffd
	v_cndmask_b32_e32 v25, v33, v35, vcc_lo
	v_cmp_u_f32_e32 vcc_lo, v24, v24
	v_add3_u32 v33, v36, v23, 0x7fff
	v_or_b32_e32 v35, 0x400000, v23
	v_bfe_u32 v36, v19, 16, 1
	s_lshl_b64 s[2:3], s[2:3], 1
	s_wait_alu 0xfffd
	v_cndmask_b32_e32 v24, v32, v37, vcc_lo
	v_bfe_u32 v32, v20, 16, 1
	v_cmp_u_f32_e32 vcc_lo, v23, v23
	v_add3_u32 v36, v36, v19, 0x7fff
	v_or_b32_e32 v37, 0x400000, v19
	s_wait_kmcnt 0x0
	s_wait_alu 0xfffe
	s_add_nc_u64 s[0:1], s[6:7], s[0:1]
	v_add3_u32 v32, v32, v20, 0x7fff
	s_wait_alu 0xfffd
	v_cndmask_b32_e32 v23, v33, v35, vcc_lo
	v_bfe_u32 v33, v21, 16, 1
	v_or_b32_e32 v35, 0x400000, v20
	v_cmp_u_f32_e32 vcc_lo, v20, v20
	v_lshrrev_b32_e32 v34, 1, v188
	s_wait_alu 0xfffe
	s_add_nc_u64 s[0:1], s[0:1], s[2:3]
	v_add3_u32 v33, v33, v21, 0x7fff
	s_wait_alu 0xfffe
	s_add_nc_u64 s[0:1], s[0:1], s[12:13]
	s_wait_alu 0xfffd
	v_cndmask_b32_e32 v20, v32, v35, vcc_lo
	v_cmp_u_f32_e32 vcc_lo, v19, v19
	v_bfe_u32 v32, v16, 16, 1
	s_wait_alu 0xfffd
	v_cndmask_b32_e32 v19, v36, v37, vcc_lo
	v_cmp_u_f32_e32 vcc_lo, v21, v21
	s_wait_alu 0xfffd
	v_cndmask_b32_e32 v21, v33, v38, vcc_lo
	v_bfe_u32 v33, v14, 16, 1
	s_clause 0x7
	global_store_d16_hi_b16 v34, v31, s[0:1]
	global_store_d16_hi_b16 v34, v29, s[0:1] offset:16
	global_store_d16_hi_b16 v34, v25, s[0:1] offset:32
	;; [unrolled: 1-line block ×7, first 2 shown]
	v_add3_u32 v19, v32, v16, 0x7fff
	v_or_b32_e32 v20, 0x400000, v16
	v_cmp_u_f32_e32 vcc_lo, v16, v16
	v_add3_u32 v21, v33, v14, 0x7fff
	v_or_b32_e32 v23, 0x400000, v14
	v_bfe_u32 v24, v12, 16, 1
	v_or_b32_e32 v25, 0x400000, v28
	s_wait_alu 0xfffd
	v_cndmask_b32_e32 v16, v19, v20, vcc_lo
	v_cmp_u_f32_e32 vcc_lo, v14, v14
	v_bfe_u32 v19, v11, 16, 1
	v_add3_u32 v20, v24, v12, 0x7fff
	v_or_b32_e32 v24, 0x400000, v11
	v_or_b32_e32 v29, 0x400000, v26
	s_wait_alu 0xfffd
	v_cndmask_b32_e32 v14, v21, v23, vcc_lo
	v_or_b32_e32 v21, 0x400000, v12
	v_cmp_u_f32_e32 vcc_lo, v12, v12
	v_bfe_u32 v23, v30, 16, 1
	v_add3_u32 v19, v19, v11, 0x7fff
	s_wait_alu 0xfffd
	v_cndmask_b32_e32 v12, v20, v21, vcc_lo
	v_cmp_u_f32_e32 vcc_lo, v11, v11
	v_add3_u32 v20, v23, v30, 0x7fff
	v_or_b32_e32 v21, 0x400000, v30
	v_bfe_u32 v23, v28, 16, 1
	s_wait_alu 0xfffd
	v_cndmask_b32_e32 v11, v19, v24, vcc_lo
	v_bfe_u32 v19, v27, 16, 1
	v_cmp_u_f32_e32 vcc_lo, v30, v30
	v_or_b32_e32 v24, 0x400000, v27
	v_add3_u32 v23, v23, v28, 0x7fff
	s_delay_alu instid0(VALU_DEP_4)
	v_add3_u32 v19, v19, v27, 0x7fff
	s_wait_alu 0xfffd
	v_cndmask_b32_e32 v20, v20, v21, vcc_lo
	v_cmp_u_f32_e32 vcc_lo, v27, v27
	v_bfe_u32 v21, v26, 16, 1
	s_wait_alu 0xfffd
	v_cndmask_b32_e32 v19, v19, v24, vcc_lo
	v_cmp_u_f32_e32 vcc_lo, v28, v28
	s_delay_alu instid0(VALU_DEP_3)
	v_add3_u32 v21, v21, v26, 0x7fff
	v_bfe_u32 v24, v22, 16, 1
	s_wait_alu 0xfffd
	v_cndmask_b32_e32 v23, v23, v25, vcc_lo
	v_cmp_u_f32_e32 vcc_lo, v26, v26
	v_bfe_u32 v25, v18, 16, 1
	s_wait_alu 0xfffd
	v_cndmask_b32_e32 v21, v21, v29, vcc_lo
	s_clause 0x7
	global_store_d16_hi_b16 v34, v16, s[0:1] offset:128
	global_store_d16_hi_b16 v34, v14, s[0:1] offset:144
	;; [unrolled: 1-line block ×8, first 2 shown]
	v_add3_u32 v11, v24, v22, 0x7fff
	v_or_b32_e32 v12, 0x400000, v22
	v_cmp_u_f32_e32 vcc_lo, v22, v22
	v_add3_u32 v14, v25, v18, 0x7fff
	v_or_b32_e32 v16, 0x400000, v18
	v_bfe_u32 v19, v17, 16, 1
	v_or_b32_e32 v20, 0x400000, v15
	s_wait_alu 0xfffd
	v_cndmask_b32_e32 v11, v11, v12, vcc_lo
	v_cmp_u_f32_e32 vcc_lo, v18, v18
	v_bfe_u32 v12, v15, 16, 1
	v_or_b32_e32 v18, 0x400000, v17
	v_or_b32_e32 v21, 0x400000, v8
	s_wait_alu 0xfffd
	v_cndmask_b32_e32 v14, v14, v16, vcc_lo
	v_add3_u32 v16, v19, v17, 0x7fff
	v_cmp_u_f32_e32 vcc_lo, v17, v17
	v_bfe_u32 v19, v13, 16, 1
	v_add3_u32 v12, v12, v15, 0x7fff
	s_wait_alu 0xfffd
	v_cndmask_b32_e32 v16, v16, v18, vcc_lo
	v_cmp_u_f32_e32 vcc_lo, v15, v15
	v_add3_u32 v17, v19, v13, 0x7fff
	v_or_b32_e32 v18, 0x400000, v13
	v_bfe_u32 v15, v10, 16, 1
	v_bfe_u32 v19, v9, 16, 1
	s_wait_alu 0xfffd
	v_cndmask_b32_e32 v12, v12, v20, vcc_lo
	v_cmp_u_f32_e32 vcc_lo, v13, v13
	v_or_b32_e32 v20, 0x400000, v9
	v_add3_u32 v15, v15, v10, 0x7fff
	v_add3_u32 v19, v19, v9, 0x7fff
	s_wait_alu 0xfffd
	v_cndmask_b32_e32 v13, v17, v18, vcc_lo
	v_or_b32_e32 v18, 0x400000, v10
	v_cmp_u_f32_e32 vcc_lo, v10, v10
	v_bfe_u32 v17, v8, 16, 1
	s_wait_alu 0xfffd
	s_delay_alu instid0(VALU_DEP_3) | instskip(SKIP_1) | instid1(VALU_DEP_3)
	v_cndmask_b32_e32 v10, v15, v18, vcc_lo
	v_cmp_u_f32_e32 vcc_lo, v9, v9
	v_add3_u32 v17, v17, v8, 0x7fff
	v_bfe_u32 v15, v7, 16, 1
	s_wait_alu 0xfffd
	v_cndmask_b32_e32 v9, v19, v20, vcc_lo
	v_cmp_u_f32_e32 vcc_lo, v8, v8
	s_wait_alu 0xfffd
	v_cndmask_b32_e32 v8, v17, v21, vcc_lo
	v_bfe_u32 v17, v6, 16, 1
	s_clause 0x7
	global_store_d16_hi_b16 v34, v11, s[0:1] offset:256
	global_store_d16_hi_b16 v34, v14, s[0:1] offset:272
	;; [unrolled: 1-line block ×8, first 2 shown]
	v_add3_u32 v8, v15, v7, 0x7fff
	v_or_b32_e32 v9, 0x400000, v7
	v_cmp_u_f32_e32 vcc_lo, v7, v7
	v_add3_u32 v10, v17, v6, 0x7fff
	v_or_b32_e32 v11, 0x400000, v6
	v_bfe_u32 v12, v5, 16, 1
	v_or_b32_e32 v13, 0x400000, v2
	s_wait_alu 0xfffd
	v_cndmask_b32_e32 v7, v8, v9, vcc_lo
	v_cmp_u_f32_e32 vcc_lo, v6, v6
	v_bfe_u32 v8, v4, 16, 1
	v_add3_u32 v9, v12, v5, 0x7fff
	v_or_b32_e32 v12, 0x400000, v4
	s_wait_alu 0xfffd
	v_cndmask_b32_e32 v6, v10, v11, vcc_lo
	v_or_b32_e32 v10, 0x400000, v5
	v_cmp_u_f32_e32 vcc_lo, v5, v5
	v_bfe_u32 v11, v3, 16, 1
	v_add3_u32 v8, v8, v4, 0x7fff
	s_wait_alu 0xfffd
	v_cndmask_b32_e32 v5, v9, v10, vcc_lo
	v_cmp_u_f32_e32 vcc_lo, v4, v4
	v_add3_u32 v9, v11, v3, 0x7fff
	v_or_b32_e32 v10, 0x400000, v3
	v_bfe_u32 v11, v1, 16, 1
	s_wait_alu 0xfffd
	v_cndmask_b32_e32 v4, v8, v12, vcc_lo
	v_bfe_u32 v8, v0, 16, 1
	v_cmp_u_f32_e32 vcc_lo, v3, v3
	v_add3_u32 v11, v11, v1, 0x7fff
	v_or_b32_e32 v12, 0x400000, v1
	s_delay_alu instid0(VALU_DEP_4)
	v_add3_u32 v8, v8, v0, 0x7fff
	s_wait_alu 0xfffd
	v_cndmask_b32_e32 v3, v9, v10, vcc_lo
	v_or_b32_e32 v10, 0x400000, v0
	v_cmp_u_f32_e32 vcc_lo, v0, v0
	v_bfe_u32 v9, v2, 16, 1
	s_wait_alu 0xfffd
	s_delay_alu instid0(VALU_DEP_3) | instskip(SKIP_1) | instid1(VALU_DEP_3)
	v_cndmask_b32_e32 v0, v8, v10, vcc_lo
	v_cmp_u_f32_e32 vcc_lo, v1, v1
	v_add3_u32 v9, v9, v2, 0x7fff
	s_wait_alu 0xfffd
	v_cndmask_b32_e32 v1, v11, v12, vcc_lo
	v_cmp_u_f32_e32 vcc_lo, v2, v2
	s_wait_alu 0xfffd
	v_cndmask_b32_e32 v2, v9, v13, vcc_lo
	s_clause 0x7
	global_store_d16_hi_b16 v34, v7, s[0:1] offset:384
	global_store_d16_hi_b16 v34, v6, s[0:1] offset:400
	;; [unrolled: 1-line block ×8, first 2 shown]
.LBB188_170:
	s_nop 0
	s_sendmsg sendmsg(MSG_DEALLOC_VGPRS)
	s_endpgm
.LBB188_171:
	ds_load_b32 v34, v32
	s_wait_dscnt 0x0
	v_add_f32_e32 v31, v31, v34
	s_wait_alu 0xfffe
	s_or_b32 exec_lo, exec_lo, s0
	s_and_saveexec_b32 s0, vcc_lo
	s_cbranch_execz .LBB188_99
.LBB188_172:
	ds_load_b32 v34, v32 offset:32
	s_wait_dscnt 0x0
	v_add_f32_e32 v29, v29, v34
	s_wait_alu 0xfffe
	s_or_b32 exec_lo, exec_lo, s0
	s_and_saveexec_b32 s0, vcc_lo
	s_cbranch_execz .LBB188_100
.LBB188_173:
	ds_load_b32 v34, v32 offset:64
	s_wait_dscnt 0x0
	v_add_f32_e32 v25, v25, v34
	s_wait_alu 0xfffe
	s_or_b32 exec_lo, exec_lo, s0
	s_and_saveexec_b32 s0, vcc_lo
	s_cbranch_execz .LBB188_101
.LBB188_174:
	ds_load_b32 v34, v32 offset:96
	s_wait_dscnt 0x0
	v_add_f32_e32 v24, v24, v34
	s_wait_alu 0xfffe
	s_or_b32 exec_lo, exec_lo, s0
	s_and_saveexec_b32 s0, vcc_lo
	s_cbranch_execz .LBB188_102
.LBB188_175:
	ds_load_b32 v34, v32 offset:128
	s_wait_dscnt 0x0
	v_add_f32_e32 v23, v23, v34
	s_wait_alu 0xfffe
	s_or_b32 exec_lo, exec_lo, s0
	s_and_saveexec_b32 s0, vcc_lo
	s_cbranch_execz .LBB188_103
.LBB188_176:
	ds_load_b32 v34, v32 offset:160
	s_wait_dscnt 0x0
	v_add_f32_e32 v20, v20, v34
	s_wait_alu 0xfffe
	s_or_b32 exec_lo, exec_lo, s0
	s_and_saveexec_b32 s0, vcc_lo
	s_cbranch_execz .LBB188_104
.LBB188_177:
	ds_load_b32 v34, v32 offset:192
	s_wait_dscnt 0x0
	v_add_f32_e32 v19, v19, v34
	s_wait_alu 0xfffe
	s_or_b32 exec_lo, exec_lo, s0
	s_and_saveexec_b32 s0, vcc_lo
	s_cbranch_execz .LBB188_105
.LBB188_178:
	ds_load_b32 v34, v32 offset:224
	s_wait_dscnt 0x0
	v_add_f32_e32 v21, v21, v34
	s_wait_alu 0xfffe
	s_or_b32 exec_lo, exec_lo, s0
	s_and_saveexec_b32 s0, vcc_lo
	s_cbranch_execz .LBB188_106
.LBB188_179:
	ds_load_b32 v34, v32 offset:256
	s_wait_dscnt 0x0
	v_add_f32_e32 v16, v16, v34
	s_wait_alu 0xfffe
	s_or_b32 exec_lo, exec_lo, s0
	s_and_saveexec_b32 s0, vcc_lo
	s_cbranch_execz .LBB188_107
.LBB188_180:
	ds_load_b32 v34, v32 offset:288
	s_wait_dscnt 0x0
	v_add_f32_e32 v14, v14, v34
	s_wait_alu 0xfffe
	s_or_b32 exec_lo, exec_lo, s0
	s_and_saveexec_b32 s0, vcc_lo
	s_cbranch_execz .LBB188_108
.LBB188_181:
	ds_load_b32 v34, v32 offset:320
	s_wait_dscnt 0x0
	v_add_f32_e32 v12, v12, v34
	s_wait_alu 0xfffe
	s_or_b32 exec_lo, exec_lo, s0
	s_and_saveexec_b32 s0, vcc_lo
	s_cbranch_execz .LBB188_109
.LBB188_182:
	ds_load_b32 v34, v32 offset:352
	s_wait_dscnt 0x0
	v_add_f32_e32 v11, v11, v34
	s_wait_alu 0xfffe
	s_or_b32 exec_lo, exec_lo, s0
	s_and_saveexec_b32 s0, vcc_lo
	s_cbranch_execz .LBB188_110
.LBB188_183:
	ds_load_b32 v34, v32 offset:384
	s_wait_dscnt 0x0
	v_add_f32_e32 v30, v30, v34
	s_wait_alu 0xfffe
	s_or_b32 exec_lo, exec_lo, s0
	s_and_saveexec_b32 s0, vcc_lo
	s_cbranch_execz .LBB188_111
.LBB188_184:
	ds_load_b32 v34, v32 offset:416
	s_wait_dscnt 0x0
	v_add_f32_e32 v27, v27, v34
	s_wait_alu 0xfffe
	s_or_b32 exec_lo, exec_lo, s0
	s_and_saveexec_b32 s0, vcc_lo
	s_cbranch_execz .LBB188_112
.LBB188_185:
	ds_load_b32 v34, v32 offset:448
	s_wait_dscnt 0x0
	v_add_f32_e32 v28, v28, v34
	s_wait_alu 0xfffe
	s_or_b32 exec_lo, exec_lo, s0
	s_and_saveexec_b32 s0, vcc_lo
	s_cbranch_execz .LBB188_113
.LBB188_186:
	ds_load_b32 v34, v32 offset:480
	s_wait_dscnt 0x0
	v_add_f32_e32 v26, v26, v34
	s_wait_alu 0xfffe
	s_or_b32 exec_lo, exec_lo, s0
	s_and_saveexec_b32 s0, vcc_lo
	s_cbranch_execz .LBB188_114
.LBB188_187:
	ds_load_b32 v34, v32 offset:512
	s_wait_dscnt 0x0
	v_add_f32_e32 v22, v22, v34
	s_wait_alu 0xfffe
	s_or_b32 exec_lo, exec_lo, s0
	s_and_saveexec_b32 s0, vcc_lo
	s_cbranch_execz .LBB188_115
.LBB188_188:
	ds_load_b32 v34, v32 offset:544
	s_wait_dscnt 0x0
	v_add_f32_e32 v18, v18, v34
	s_wait_alu 0xfffe
	s_or_b32 exec_lo, exec_lo, s0
	s_and_saveexec_b32 s0, vcc_lo
	s_cbranch_execz .LBB188_116
.LBB188_189:
	ds_load_b32 v34, v32 offset:576
	s_wait_dscnt 0x0
	v_add_f32_e32 v17, v17, v34
	s_wait_alu 0xfffe
	s_or_b32 exec_lo, exec_lo, s0
	s_and_saveexec_b32 s0, vcc_lo
	s_cbranch_execz .LBB188_117
.LBB188_190:
	ds_load_b32 v34, v32 offset:608
	s_wait_dscnt 0x0
	v_add_f32_e32 v15, v15, v34
	s_wait_alu 0xfffe
	s_or_b32 exec_lo, exec_lo, s0
	s_and_saveexec_b32 s0, vcc_lo
	s_cbranch_execz .LBB188_118
.LBB188_191:
	ds_load_b32 v34, v32 offset:640
	s_wait_dscnt 0x0
	v_add_f32_e32 v13, v13, v34
	s_wait_alu 0xfffe
	s_or_b32 exec_lo, exec_lo, s0
	s_and_saveexec_b32 s0, vcc_lo
	s_cbranch_execz .LBB188_119
.LBB188_192:
	ds_load_b32 v34, v32 offset:672
	s_wait_dscnt 0x0
	v_add_f32_e32 v10, v10, v34
	s_wait_alu 0xfffe
	s_or_b32 exec_lo, exec_lo, s0
	s_and_saveexec_b32 s0, vcc_lo
	s_cbranch_execz .LBB188_120
.LBB188_193:
	ds_load_b32 v34, v32 offset:704
	s_wait_dscnt 0x0
	v_add_f32_e32 v9, v9, v34
	s_wait_alu 0xfffe
	s_or_b32 exec_lo, exec_lo, s0
	s_and_saveexec_b32 s0, vcc_lo
	s_cbranch_execz .LBB188_121
.LBB188_194:
	ds_load_b32 v34, v32 offset:736
	s_wait_dscnt 0x0
	v_add_f32_e32 v8, v8, v34
	s_wait_alu 0xfffe
	s_or_b32 exec_lo, exec_lo, s0
	s_and_saveexec_b32 s0, vcc_lo
	s_cbranch_execz .LBB188_122
.LBB188_195:
	ds_load_b32 v34, v32 offset:768
	s_wait_dscnt 0x0
	v_add_f32_e32 v7, v7, v34
	s_wait_alu 0xfffe
	s_or_b32 exec_lo, exec_lo, s0
	s_and_saveexec_b32 s0, vcc_lo
	s_cbranch_execz .LBB188_123
.LBB188_196:
	ds_load_b32 v34, v32 offset:800
	s_wait_dscnt 0x0
	v_add_f32_e32 v6, v6, v34
	s_wait_alu 0xfffe
	s_or_b32 exec_lo, exec_lo, s0
	s_and_saveexec_b32 s0, vcc_lo
	s_cbranch_execz .LBB188_124
.LBB188_197:
	ds_load_b32 v34, v32 offset:832
	s_wait_dscnt 0x0
	v_add_f32_e32 v5, v5, v34
	s_wait_alu 0xfffe
	s_or_b32 exec_lo, exec_lo, s0
	s_and_saveexec_b32 s0, vcc_lo
	s_cbranch_execz .LBB188_125
.LBB188_198:
	ds_load_b32 v34, v32 offset:864
	s_wait_dscnt 0x0
	v_add_f32_e32 v4, v4, v34
	s_wait_alu 0xfffe
	s_or_b32 exec_lo, exec_lo, s0
	s_and_saveexec_b32 s0, vcc_lo
	s_cbranch_execz .LBB188_126
.LBB188_199:
	ds_load_b32 v34, v32 offset:896
	s_wait_dscnt 0x0
	v_add_f32_e32 v3, v3, v34
	s_wait_alu 0xfffe
	s_or_b32 exec_lo, exec_lo, s0
	s_and_saveexec_b32 s0, vcc_lo
	s_cbranch_execz .LBB188_127
.LBB188_200:
	ds_load_b32 v34, v32 offset:928
	s_wait_dscnt 0x0
	v_add_f32_e32 v0, v0, v34
	s_wait_alu 0xfffe
	s_or_b32 exec_lo, exec_lo, s0
	s_and_saveexec_b32 s0, vcc_lo
	s_cbranch_execz .LBB188_128
.LBB188_201:
	ds_load_b32 v34, v32 offset:960
	s_wait_dscnt 0x0
	v_add_f32_e32 v1, v1, v34
	s_wait_alu 0xfffe
	s_or_b32 exec_lo, exec_lo, s0
	s_and_saveexec_b32 s0, vcc_lo
	s_cbranch_execnz .LBB188_129
	s_branch .LBB188_130
.LBB188_202:
	ds_load_b32 v33, v32
	s_wait_dscnt 0x0
	v_add_f32_e32 v31, v31, v33
	s_wait_alu 0xfffe
	s_or_b32 exec_lo, exec_lo, s1
	s_and_saveexec_b32 s1, vcc_lo
	s_cbranch_execz .LBB188_136
.LBB188_203:
	ds_load_b32 v33, v32 offset:32
	s_wait_dscnt 0x0
	v_add_f32_e32 v29, v29, v33
	s_wait_alu 0xfffe
	s_or_b32 exec_lo, exec_lo, s1
	s_and_saveexec_b32 s1, vcc_lo
	s_cbranch_execz .LBB188_137
.LBB188_204:
	ds_load_b32 v33, v32 offset:64
	s_wait_dscnt 0x0
	v_add_f32_e32 v25, v25, v33
	s_wait_alu 0xfffe
	s_or_b32 exec_lo, exec_lo, s1
	s_and_saveexec_b32 s1, vcc_lo
	s_cbranch_execz .LBB188_138
.LBB188_205:
	ds_load_b32 v33, v32 offset:96
	s_wait_dscnt 0x0
	v_add_f32_e32 v24, v24, v33
	s_wait_alu 0xfffe
	s_or_b32 exec_lo, exec_lo, s1
	s_and_saveexec_b32 s1, vcc_lo
	s_cbranch_execz .LBB188_139
.LBB188_206:
	ds_load_b32 v33, v32 offset:128
	s_wait_dscnt 0x0
	v_add_f32_e32 v23, v23, v33
	s_wait_alu 0xfffe
	s_or_b32 exec_lo, exec_lo, s1
	s_and_saveexec_b32 s1, vcc_lo
	s_cbranch_execz .LBB188_140
.LBB188_207:
	ds_load_b32 v33, v32 offset:160
	s_wait_dscnt 0x0
	v_add_f32_e32 v20, v20, v33
	s_wait_alu 0xfffe
	s_or_b32 exec_lo, exec_lo, s1
	s_and_saveexec_b32 s1, vcc_lo
	s_cbranch_execz .LBB188_141
.LBB188_208:
	ds_load_b32 v33, v32 offset:192
	s_wait_dscnt 0x0
	v_add_f32_e32 v19, v19, v33
	s_wait_alu 0xfffe
	s_or_b32 exec_lo, exec_lo, s1
	s_and_saveexec_b32 s1, vcc_lo
	s_cbranch_execz .LBB188_142
.LBB188_209:
	ds_load_b32 v33, v32 offset:224
	s_wait_dscnt 0x0
	v_add_f32_e32 v21, v21, v33
	s_wait_alu 0xfffe
	s_or_b32 exec_lo, exec_lo, s1
	s_and_saveexec_b32 s1, vcc_lo
	s_cbranch_execz .LBB188_143
.LBB188_210:
	ds_load_b32 v33, v32 offset:256
	s_wait_dscnt 0x0
	v_add_f32_e32 v16, v16, v33
	s_wait_alu 0xfffe
	s_or_b32 exec_lo, exec_lo, s1
	s_and_saveexec_b32 s1, vcc_lo
	s_cbranch_execz .LBB188_144
.LBB188_211:
	ds_load_b32 v33, v32 offset:288
	s_wait_dscnt 0x0
	v_add_f32_e32 v14, v14, v33
	s_wait_alu 0xfffe
	s_or_b32 exec_lo, exec_lo, s1
	s_and_saveexec_b32 s1, vcc_lo
	s_cbranch_execz .LBB188_145
.LBB188_212:
	ds_load_b32 v33, v32 offset:320
	s_wait_dscnt 0x0
	v_add_f32_e32 v12, v12, v33
	s_wait_alu 0xfffe
	s_or_b32 exec_lo, exec_lo, s1
	s_and_saveexec_b32 s1, vcc_lo
	s_cbranch_execz .LBB188_146
.LBB188_213:
	ds_load_b32 v33, v32 offset:352
	s_wait_dscnt 0x0
	v_add_f32_e32 v11, v11, v33
	s_wait_alu 0xfffe
	s_or_b32 exec_lo, exec_lo, s1
	s_and_saveexec_b32 s1, vcc_lo
	s_cbranch_execz .LBB188_147
.LBB188_214:
	ds_load_b32 v33, v32 offset:384
	s_wait_dscnt 0x0
	v_add_f32_e32 v30, v30, v33
	s_wait_alu 0xfffe
	s_or_b32 exec_lo, exec_lo, s1
	s_and_saveexec_b32 s1, vcc_lo
	s_cbranch_execz .LBB188_148
.LBB188_215:
	ds_load_b32 v33, v32 offset:416
	s_wait_dscnt 0x0
	v_add_f32_e32 v27, v27, v33
	s_wait_alu 0xfffe
	s_or_b32 exec_lo, exec_lo, s1
	s_and_saveexec_b32 s1, vcc_lo
	s_cbranch_execz .LBB188_149
.LBB188_216:
	ds_load_b32 v33, v32 offset:448
	s_wait_dscnt 0x0
	v_add_f32_e32 v28, v28, v33
	s_wait_alu 0xfffe
	s_or_b32 exec_lo, exec_lo, s1
	s_and_saveexec_b32 s1, vcc_lo
	s_cbranch_execz .LBB188_150
.LBB188_217:
	ds_load_b32 v33, v32 offset:480
	s_wait_dscnt 0x0
	v_add_f32_e32 v26, v26, v33
	s_wait_alu 0xfffe
	s_or_b32 exec_lo, exec_lo, s1
	s_and_saveexec_b32 s1, vcc_lo
	s_cbranch_execz .LBB188_151
.LBB188_218:
	ds_load_b32 v33, v32 offset:512
	s_wait_dscnt 0x0
	v_add_f32_e32 v22, v22, v33
	s_wait_alu 0xfffe
	s_or_b32 exec_lo, exec_lo, s1
	s_and_saveexec_b32 s1, vcc_lo
	s_cbranch_execz .LBB188_152
.LBB188_219:
	ds_load_b32 v33, v32 offset:544
	s_wait_dscnt 0x0
	v_add_f32_e32 v18, v18, v33
	s_wait_alu 0xfffe
	s_or_b32 exec_lo, exec_lo, s1
	s_and_saveexec_b32 s1, vcc_lo
	s_cbranch_execz .LBB188_153
.LBB188_220:
	ds_load_b32 v33, v32 offset:576
	s_wait_dscnt 0x0
	v_add_f32_e32 v17, v17, v33
	s_wait_alu 0xfffe
	s_or_b32 exec_lo, exec_lo, s1
	s_and_saveexec_b32 s1, vcc_lo
	s_cbranch_execz .LBB188_154
.LBB188_221:
	ds_load_b32 v33, v32 offset:608
	s_wait_dscnt 0x0
	v_add_f32_e32 v15, v15, v33
	s_wait_alu 0xfffe
	s_or_b32 exec_lo, exec_lo, s1
	s_and_saveexec_b32 s1, vcc_lo
	s_cbranch_execz .LBB188_155
.LBB188_222:
	ds_load_b32 v33, v32 offset:640
	s_wait_dscnt 0x0
	v_add_f32_e32 v13, v13, v33
	s_wait_alu 0xfffe
	s_or_b32 exec_lo, exec_lo, s1
	s_and_saveexec_b32 s1, vcc_lo
	s_cbranch_execz .LBB188_156
.LBB188_223:
	ds_load_b32 v33, v32 offset:672
	s_wait_dscnt 0x0
	v_add_f32_e32 v10, v10, v33
	s_wait_alu 0xfffe
	s_or_b32 exec_lo, exec_lo, s1
	s_and_saveexec_b32 s1, vcc_lo
	s_cbranch_execz .LBB188_157
.LBB188_224:
	ds_load_b32 v33, v32 offset:704
	s_wait_dscnt 0x0
	v_add_f32_e32 v9, v9, v33
	s_wait_alu 0xfffe
	s_or_b32 exec_lo, exec_lo, s1
	s_and_saveexec_b32 s1, vcc_lo
	s_cbranch_execz .LBB188_158
.LBB188_225:
	ds_load_b32 v33, v32 offset:736
	s_wait_dscnt 0x0
	v_add_f32_e32 v8, v8, v33
	s_wait_alu 0xfffe
	s_or_b32 exec_lo, exec_lo, s1
	s_and_saveexec_b32 s1, vcc_lo
	s_cbranch_execz .LBB188_159
.LBB188_226:
	ds_load_b32 v33, v32 offset:768
	s_wait_dscnt 0x0
	v_add_f32_e32 v7, v7, v33
	s_wait_alu 0xfffe
	s_or_b32 exec_lo, exec_lo, s1
	s_and_saveexec_b32 s1, vcc_lo
	s_cbranch_execz .LBB188_160
.LBB188_227:
	ds_load_b32 v33, v32 offset:800
	s_wait_dscnt 0x0
	v_add_f32_e32 v6, v6, v33
	s_wait_alu 0xfffe
	s_or_b32 exec_lo, exec_lo, s1
	s_and_saveexec_b32 s1, vcc_lo
	s_cbranch_execz .LBB188_161
.LBB188_228:
	ds_load_b32 v33, v32 offset:832
	s_wait_dscnt 0x0
	v_add_f32_e32 v5, v5, v33
	s_wait_alu 0xfffe
	s_or_b32 exec_lo, exec_lo, s1
	s_and_saveexec_b32 s1, vcc_lo
	s_cbranch_execz .LBB188_162
.LBB188_229:
	ds_load_b32 v33, v32 offset:864
	s_wait_dscnt 0x0
	v_add_f32_e32 v4, v4, v33
	s_wait_alu 0xfffe
	s_or_b32 exec_lo, exec_lo, s1
	s_and_saveexec_b32 s1, vcc_lo
	s_cbranch_execz .LBB188_163
.LBB188_230:
	ds_load_b32 v33, v32 offset:896
	s_wait_dscnt 0x0
	v_add_f32_e32 v3, v3, v33
	s_wait_alu 0xfffe
	s_or_b32 exec_lo, exec_lo, s1
	s_and_saveexec_b32 s1, vcc_lo
	s_cbranch_execz .LBB188_164
.LBB188_231:
	ds_load_b32 v33, v32 offset:928
	s_wait_dscnt 0x0
	v_add_f32_e32 v0, v0, v33
	s_wait_alu 0xfffe
	s_or_b32 exec_lo, exec_lo, s1
	s_and_saveexec_b32 s1, vcc_lo
	s_cbranch_execz .LBB188_165
.LBB188_232:
	ds_load_b32 v33, v32 offset:960
	s_wait_dscnt 0x0
	v_add_f32_e32 v1, v1, v33
	s_wait_alu 0xfffe
	s_or_b32 exec_lo, exec_lo, s1
	s_and_saveexec_b32 s1, vcc_lo
	s_cbranch_execnz .LBB188_166
	s_branch .LBB188_167
	.section	.rodata,"a",@progbits
	.p2align	6, 0x0
	.amdhsa_kernel _ZN4vllm25paged_attention_v2_kernelI14__hip_bfloat16S1_Li256ELi32ELi128ELNS_18Fp8KVCacheDataTypeE0ELb0ELi512EEEvPfS3_PT_PKS4_PKT0_SA_ifPKiSC_iPKfiiiSE_SE_iiiii
		.amdhsa_group_segment_fixed_size 544
		.amdhsa_private_segment_fixed_size 584
		.amdhsa_kernarg_size 400
		.amdhsa_user_sgpr_count 2
		.amdhsa_user_sgpr_dispatch_ptr 0
		.amdhsa_user_sgpr_queue_ptr 0
		.amdhsa_user_sgpr_kernarg_segment_ptr 1
		.amdhsa_user_sgpr_dispatch_id 0
		.amdhsa_user_sgpr_private_segment_size 0
		.amdhsa_wavefront_size32 1
		.amdhsa_uses_dynamic_stack 0
		.amdhsa_enable_private_segment 1
		.amdhsa_system_sgpr_workgroup_id_x 1
		.amdhsa_system_sgpr_workgroup_id_y 1
		.amdhsa_system_sgpr_workgroup_id_z 1
		.amdhsa_system_sgpr_workgroup_info 0
		.amdhsa_system_vgpr_workitem_id 0
		.amdhsa_next_free_vgpr 192
		.amdhsa_next_free_sgpr 36
		.amdhsa_reserve_vcc 1
		.amdhsa_float_round_mode_32 0
		.amdhsa_float_round_mode_16_64 0
		.amdhsa_float_denorm_mode_32 3
		.amdhsa_float_denorm_mode_16_64 3
		.amdhsa_fp16_overflow 0
		.amdhsa_workgroup_processor_mode 1
		.amdhsa_memory_ordered 1
		.amdhsa_forward_progress 1
		.amdhsa_inst_pref_size 255
		.amdhsa_round_robin_scheduling 0
		.amdhsa_exception_fp_ieee_invalid_op 0
		.amdhsa_exception_fp_denorm_src 0
		.amdhsa_exception_fp_ieee_div_zero 0
		.amdhsa_exception_fp_ieee_overflow 0
		.amdhsa_exception_fp_ieee_underflow 0
		.amdhsa_exception_fp_ieee_inexact 0
		.amdhsa_exception_int_div_zero 0
	.end_amdhsa_kernel
	.section	.text._ZN4vllm25paged_attention_v2_kernelI14__hip_bfloat16S1_Li256ELi32ELi128ELNS_18Fp8KVCacheDataTypeE0ELb0ELi512EEEvPfS3_PT_PKS4_PKT0_SA_ifPKiSC_iPKfiiiSE_SE_iiiii,"axG",@progbits,_ZN4vllm25paged_attention_v2_kernelI14__hip_bfloat16S1_Li256ELi32ELi128ELNS_18Fp8KVCacheDataTypeE0ELb0ELi512EEEvPfS3_PT_PKS4_PKT0_SA_ifPKiSC_iPKfiiiSE_SE_iiiii,comdat
.Lfunc_end188:
	.size	_ZN4vllm25paged_attention_v2_kernelI14__hip_bfloat16S1_Li256ELi32ELi128ELNS_18Fp8KVCacheDataTypeE0ELb0ELi512EEEvPfS3_PT_PKS4_PKT0_SA_ifPKiSC_iPKfiiiSE_SE_iiiii, .Lfunc_end188-_ZN4vllm25paged_attention_v2_kernelI14__hip_bfloat16S1_Li256ELi32ELi128ELNS_18Fp8KVCacheDataTypeE0ELb0ELi512EEEvPfS3_PT_PKS4_PKT0_SA_ifPKiSC_iPKfiiiSE_SE_iiiii
                                        ; -- End function
	.set _ZN4vllm25paged_attention_v2_kernelI14__hip_bfloat16S1_Li256ELi32ELi128ELNS_18Fp8KVCacheDataTypeE0ELb0ELi512EEEvPfS3_PT_PKS4_PKT0_SA_ifPKiSC_iPKfiiiSE_SE_iiiii.num_vgpr, 192
	.set _ZN4vllm25paged_attention_v2_kernelI14__hip_bfloat16S1_Li256ELi32ELi128ELNS_18Fp8KVCacheDataTypeE0ELb0ELi512EEEvPfS3_PT_PKS4_PKT0_SA_ifPKiSC_iPKfiiiSE_SE_iiiii.num_agpr, 0
	.set _ZN4vllm25paged_attention_v2_kernelI14__hip_bfloat16S1_Li256ELi32ELi128ELNS_18Fp8KVCacheDataTypeE0ELb0ELi512EEEvPfS3_PT_PKS4_PKT0_SA_ifPKiSC_iPKfiiiSE_SE_iiiii.numbered_sgpr, 36
	.set _ZN4vllm25paged_attention_v2_kernelI14__hip_bfloat16S1_Li256ELi32ELi128ELNS_18Fp8KVCacheDataTypeE0ELb0ELi512EEEvPfS3_PT_PKS4_PKT0_SA_ifPKiSC_iPKfiiiSE_SE_iiiii.num_named_barrier, 0
	.set _ZN4vllm25paged_attention_v2_kernelI14__hip_bfloat16S1_Li256ELi32ELi128ELNS_18Fp8KVCacheDataTypeE0ELb0ELi512EEEvPfS3_PT_PKS4_PKT0_SA_ifPKiSC_iPKfiiiSE_SE_iiiii.private_seg_size, 584
	.set _ZN4vllm25paged_attention_v2_kernelI14__hip_bfloat16S1_Li256ELi32ELi128ELNS_18Fp8KVCacheDataTypeE0ELb0ELi512EEEvPfS3_PT_PKS4_PKT0_SA_ifPKiSC_iPKfiiiSE_SE_iiiii.uses_vcc, 1
	.set _ZN4vllm25paged_attention_v2_kernelI14__hip_bfloat16S1_Li256ELi32ELi128ELNS_18Fp8KVCacheDataTypeE0ELb0ELi512EEEvPfS3_PT_PKS4_PKT0_SA_ifPKiSC_iPKfiiiSE_SE_iiiii.uses_flat_scratch, 1
	.set _ZN4vllm25paged_attention_v2_kernelI14__hip_bfloat16S1_Li256ELi32ELi128ELNS_18Fp8KVCacheDataTypeE0ELb0ELi512EEEvPfS3_PT_PKS4_PKT0_SA_ifPKiSC_iPKfiiiSE_SE_iiiii.has_dyn_sized_stack, 0
	.set _ZN4vllm25paged_attention_v2_kernelI14__hip_bfloat16S1_Li256ELi32ELi128ELNS_18Fp8KVCacheDataTypeE0ELb0ELi512EEEvPfS3_PT_PKS4_PKT0_SA_ifPKiSC_iPKfiiiSE_SE_iiiii.has_recursion, 0
	.set _ZN4vllm25paged_attention_v2_kernelI14__hip_bfloat16S1_Li256ELi32ELi128ELNS_18Fp8KVCacheDataTypeE0ELb0ELi512EEEvPfS3_PT_PKS4_PKT0_SA_ifPKiSC_iPKfiiiSE_SE_iiiii.has_indirect_call, 0
	.section	.AMDGPU.csdata,"",@progbits
; Kernel info:
; codeLenInByte = 46128
; TotalNumSgprs: 38
; NumVgprs: 192
; ScratchSize: 584
; MemoryBound: 0
; FloatMode: 240
; IeeeMode: 1
; LDSByteSize: 544 bytes/workgroup (compile time only)
; SGPRBlocks: 0
; VGPRBlocks: 23
; NumSGPRsForWavesPerEU: 38
; NumVGPRsForWavesPerEU: 192
; Occupancy: 8
; WaveLimiterHint : 1
; COMPUTE_PGM_RSRC2:SCRATCH_EN: 1
; COMPUTE_PGM_RSRC2:USER_SGPR: 2
; COMPUTE_PGM_RSRC2:TRAP_HANDLER: 0
; COMPUTE_PGM_RSRC2:TGID_X_EN: 1
; COMPUTE_PGM_RSRC2:TGID_Y_EN: 1
; COMPUTE_PGM_RSRC2:TGID_Z_EN: 1
; COMPUTE_PGM_RSRC2:TIDIG_COMP_CNT: 0
	.section	.text._ZN4vllm25paged_attention_v2_kernelIfhLi32ELi8ELi128ELNS_18Fp8KVCacheDataTypeE1ELb1ELi512EEEvPfS2_PT_PKS3_PKT0_S9_ifPKiSB_iPKfiiiSD_SD_iiiii,"axG",@progbits,_ZN4vllm25paged_attention_v2_kernelIfhLi32ELi8ELi128ELNS_18Fp8KVCacheDataTypeE1ELb1ELi512EEEvPfS2_PT_PKS3_PKT0_S9_ifPKiSB_iPKfiiiSD_SD_iiiii,comdat
	.protected	_ZN4vllm25paged_attention_v2_kernelIfhLi32ELi8ELi128ELNS_18Fp8KVCacheDataTypeE1ELb1ELi512EEEvPfS2_PT_PKS3_PKT0_S9_ifPKiSB_iPKfiiiSD_SD_iiiii ; -- Begin function _ZN4vllm25paged_attention_v2_kernelIfhLi32ELi8ELi128ELNS_18Fp8KVCacheDataTypeE1ELb1ELi512EEEvPfS2_PT_PKS3_PKT0_S9_ifPKiSB_iPKfiiiSD_SD_iiiii
	.globl	_ZN4vllm25paged_attention_v2_kernelIfhLi32ELi8ELi128ELNS_18Fp8KVCacheDataTypeE1ELb1ELi512EEEvPfS2_PT_PKS3_PKT0_S9_ifPKiSB_iPKfiiiSD_SD_iiiii
	.p2align	8
	.type	_ZN4vllm25paged_attention_v2_kernelIfhLi32ELi8ELi128ELNS_18Fp8KVCacheDataTypeE1ELb1ELi512EEEvPfS2_PT_PKS3_PKT0_S9_ifPKiSB_iPKfiiiSD_SD_iiiii,@function
_ZN4vllm25paged_attention_v2_kernelIfhLi32ELi8ELi128ELNS_18Fp8KVCacheDataTypeE1ELb1ELi512EEEvPfS2_PT_PKS3_PKT0_S9_ifPKiSB_iPKfiiiSD_SD_iiiii: ; @_ZN4vllm25paged_attention_v2_kernelIfhLi32ELi8ELi128ELNS_18Fp8KVCacheDataTypeE1ELb1ELi512EEEvPfS2_PT_PKS3_PKT0_S9_ifPKiSB_iPKfiiiSD_SD_iiiii
; %bb.0:
	s_load_b64 s[2:3], s[0:1], 0x40
	s_and_b32 s35, ttmp7, 0xffff
	s_lshr_b32 s33, ttmp7, 16
	s_lshl_b32 s4, s35, 2
	s_lshl_b32 s37, s33, 9
	s_wait_kmcnt 0x0
	s_load_b32 s34, s[2:3], s4 offset:0x0
	s_wait_kmcnt 0x0
	s_cmp_ge_i32 s37, s34
	s_cbranch_scc1 .LBB189_66
; %bb.1:
	s_clause 0x1
	s_load_b32 s36, s[0:1], 0x90
	s_load_b64 s[6:7], s[0:1], 0x30
	s_wait_kmcnt 0x0
	s_abs_i32 s5, s36
	s_abs_i32 s2, s6
	s_delay_alu instid0(SALU_CYCLE_1) | instskip(SKIP_1) | instid1(SALU_CYCLE_2)
	s_cvt_f32_u32 s3, s2
	s_sub_co_i32 s4, 0, s2
	v_rcp_iflag_f32_e32 v1, s3
	s_delay_alu instid0(TRANS32_DEP_1) | instskip(SKIP_2) | instid1(SALU_CYCLE_2)
	v_readfirstlane_b32 s3, v1
	s_mul_f32 s3, s3, 0x4f7ffffe
	s_wait_alu 0xfffe
	s_cvt_u32_f32 s3, s3
	s_wait_alu 0xfffe
	s_delay_alu instid0(SALU_CYCLE_2) | instskip(NEXT) | instid1(SALU_CYCLE_1)
	s_mul_i32 s4, s4, s3
	s_mul_hi_u32 s4, s3, s4
	s_delay_alu instid0(SALU_CYCLE_1)
	s_add_co_i32 s3, s3, s4
	s_xor_b32 s4, s36, s6
	s_wait_alu 0xfffe
	s_mul_hi_u32 s3, s5, s3
	s_ashr_i32 s4, s4, 31
	s_wait_alu 0xfffe
	s_mul_i32 s8, s3, s2
	s_delay_alu instid0(SALU_CYCLE_1)
	s_sub_co_i32 s5, s5, s8
	s_add_co_i32 s8, s3, 1
	s_sub_co_i32 s9, s5, s2
	s_cmp_ge_u32 s5, s2
	s_cselect_b32 s3, s8, s3
	s_cselect_b32 s5, s9, s5
	s_wait_alu 0xfffe
	s_add_co_i32 s8, s3, 1
	s_cmp_ge_u32 s5, s2
	s_mov_b32 s5, 0
	s_cselect_b32 s2, s8, s3
	s_load_b64 s[8:9], s[0:1], 0x50
	s_xor_b32 s2, s2, s4
	s_mov_b32 s18, s5
	s_wait_alu 0xfffe
	s_sub_co_i32 s11, s2, s4
	s_abs_i32 s4, ttmp9
	s_abs_i32 s10, s11
	s_delay_alu instid0(SALU_CYCLE_1) | instskip(SKIP_2) | instid1(SALU_CYCLE_1)
	s_cvt_f32_u32 s2, s10
	s_sub_co_i32 s3, 0, s10
	s_wait_alu 0xfffe
	v_rcp_iflag_f32_e32 v1, s2
	s_delay_alu instid0(TRANS32_DEP_1) | instskip(SKIP_2) | instid1(SALU_CYCLE_2)
	v_readfirstlane_b32 s2, v1
	s_mul_f32 s2, s2, 0x4f7ffffe
	s_wait_alu 0xfffe
	s_cvt_u32_f32 s2, s2
	s_wait_alu 0xfffe
	s_delay_alu instid0(SALU_CYCLE_2)
	s_mul_i32 s3, s3, s2
	s_wait_alu 0xfffe
	s_mul_hi_u32 s3, s2, s3
	s_wait_alu 0xfffe
	s_add_co_i32 s2, s2, s3
	s_mov_b32 s3, s5
	s_wait_kmcnt 0x0
	s_cmp_eq_u64 s[8:9], 0
	s_cbranch_scc1 .LBB189_3
; %bb.2:
	s_mov_b32 s12, ttmp9
	s_ashr_i32 s13, ttmp9, 31
	s_delay_alu instid0(SALU_CYCLE_1) | instskip(NEXT) | instid1(SALU_CYCLE_1)
	s_lshl_b64 s[12:13], s[12:13], 2
	s_add_nc_u64 s[8:9], s[8:9], s[12:13]
	s_load_b32 s18, s[8:9], 0x0
.LBB189_3:
	s_load_b96 s[20:22], s[0:1], 0x58
	s_mul_u64 s[2:3], s[4:5], s[2:3]
	v_and_b32_e32 v1, 3, v0
	v_cmp_gt_u32_e64 s2, 32, v0
	v_lshlrev_b32_e32 v5, 2, v0
	s_ashr_i32 s5, ttmp9, 31
	s_ashr_i32 s8, s11, 31
	s_lshl_b32 s24, ttmp9, 5
	s_wait_alu 0xfffe
	s_and_saveexec_b32 s9, s2
	s_cbranch_execz .LBB189_5
; %bb.4:
	s_load_b64 s[12:13], s[0:1], 0x18
	s_wait_kmcnt 0x0
	s_mul_i32 s14, s20, s35
	s_ashr_i32 s25, s24, 31
	s_ashr_i32 s15, s14, 31
	v_and_b32_e32 v3, 0x3fc, v0
	s_lshl_b64 s[14:15], s[14:15], 2
	s_delay_alu instid0(VALU_DEP_1) | instskip(SKIP_2) | instid1(SALU_CYCLE_1)
	v_lshl_add_u32 v3, v1, 5, v3
	s_add_nc_u64 s[12:13], s[12:13], s[14:15]
	s_lshl_b64 s[14:15], s[24:25], 2
	s_add_nc_u64 s[12:13], s[12:13], s[14:15]
	global_load_b32 v2, v5, s[12:13]
	s_wait_loadcnt 0x0
	ds_store_b32 v3, v2
.LBB189_5:
	s_or_b32 exec_lo, exec_lo, s9
	s_load_b128 s[12:15], s[0:1], 0x78
	s_mul_i32 s9, s3, s10
	s_xor_b32 s5, s5, s8
	s_sub_co_i32 s4, s4, s9
	s_add_co_i32 s8, s3, 1
	s_sub_co_i32 s9, s4, s10
	s_cmp_ge_u32 s4, s10
                                        ; implicit-def: $sgpr25
	s_cselect_b32 s3, s8, s3
	s_cselect_b32 s4, s9, s4
	s_wait_alu 0xfffe
	s_add_co_i32 s8, s3, 1
	s_cmp_ge_u32 s4, s10
	s_mov_b32 s9, -1
	s_cselect_b32 s4, s8, s3
	s_load_b32 s3, s[0:1], 0x88
	s_xor_b32 s4, s4, s5
	s_wait_dscnt 0x0
	s_sub_co_i32 s19, s4, s5
	s_barrier_signal -1
	s_barrier_wait -1
	s_wait_kmcnt 0x0
	s_abs_i32 s20, s15
	global_inv scope:SCOPE_SE
	s_cvt_f32_u32 s8, s20
	s_delay_alu instid0(SALU_CYCLE_3) | instskip(NEXT) | instid1(TRANS32_DEP_1)
	v_rcp_iflag_f32_e32 v2, s8
	v_readfirstlane_b32 s8, v2
	s_mul_f32 s4, s8, 0x4f7ffffe
	s_add_co_i32 s8, s34, -1
	s_delay_alu instid0(SALU_CYCLE_2) | instskip(SKIP_1) | instid1(SALU_CYCLE_2)
	s_cvt_u32_f32 s10, s4
	s_sub_co_i32 s4, 0, s20
	s_mul_i32 s5, s4, s10
	s_wait_alu 0xfffe
	s_abs_i32 s4, s8
	s_mul_hi_u32 s11, s10, s5
	s_mov_b32 s5, 0
	s_add_co_i32 s26, s10, s11
	s_cmp_lt_i32 s3, 0
	s_mov_b32 s27, s5
	s_cbranch_scc0 .LBB189_7
; %bb.6:
	s_mul_i32 s6, s12, s6
	s_mov_b32 s9, s5
	s_add_co_i32 s6, s19, s6
	s_delay_alu instid0(SALU_CYCLE_1) | instskip(NEXT) | instid1(SALU_CYCLE_1)
	s_mul_i32 s6, s6, s3
	s_sub_co_i32 s25, 1, s6
.LBB189_7:
	s_mul_u64 s[16:17], s[4:5], s[26:27]
	s_ashr_i32 s5, s8, 31
	s_wait_alu 0xfffe
	s_and_not1_b32 vcc_lo, exec_lo, s9
	s_ashr_i32 s15, s15, 31
	s_cbranch_vccnz .LBB189_9
; %bb.8:
	s_mul_i32 s6, s36, s12
	s_delay_alu instid0(SALU_CYCLE_1) | instskip(NEXT) | instid1(SALU_CYCLE_1)
	s_add_co_i32 s6, s6, ttmp9
	s_mul_i32 s3, s6, s3
	s_wait_alu 0xfffe
	s_add_co_i32 s25, s3, 1
.LBB189_9:
	s_clause 0x3
	s_load_b32 s3, s[0:1], 0x48
	s_load_b64 s[28:29], s[0:1], 0x38
	s_load_b32 s12, s[0:1], 0x98
	s_load_b128 s[8:11], s[0:1], 0x68
	s_mul_i32 s6, s17, s20
	s_xor_b32 s5, s5, s15
	s_sub_co_i32 s4, s4, s6
	s_add_co_i32 s16, s17, 1
	v_lshrrev_b32_e32 v11, 5, v0
	v_mov_b32_e32 v10, 0xff7fffff
	v_mbcnt_lo_u32_b32 v7, -1, 0
	s_mul_i32 s22, s19, s22
	s_delay_alu instid0(VALU_DEP_3)
	v_lshl_add_u32 v12, v11, 3, s37
	s_wait_kmcnt 0x0
	s_mul_i32 s30, s3, s35
	s_sub_co_i32 s3, s4, s20
	s_ashr_i32 s31, s30, 31
	s_cmp_ge_u32 s4, s20
	s_cselect_b32 s6, s16, s17
	s_wait_alu 0xfffe
	s_cselect_b32 s3, s3, s4
	s_add_co_i32 s4, s6, 1
	s_wait_alu 0xfffe
	s_cmp_ge_u32 s3, s20
	s_cselect_b32 s3, s4, s6
	s_add_co_i32 s4, s34, 7
	s_lshl_b32 s40, s33, 6
	s_ashr_i32 s6, s4, 31
	v_or_b32_e32 v13, s40, v11
	s_lshr_b32 s6, s6, 29
	s_delay_alu instid0(SALU_CYCLE_1)
	s_add_co_i32 s4, s4, s6
	s_add_co_i32 s6, s40, 64
	s_ashr_i32 s38, s4, 3
	s_wait_alu 0xfffe
	s_xor_b32 s4, s3, s5
	s_min_i32 s27, s6, s38
	v_lshlrev_b32_e32 v6, 2, v13
	v_cmp_gt_i32_e64 s3, s27, v13
	s_sub_co_i32 s39, s4, s5
	s_and_saveexec_b32 s16, s3
	s_cbranch_execz .LBB189_21
; %bb.10:
	s_sub_co_i32 s17, s39, s13
	s_ashr_i32 s23, s22, 31
	s_cmp_neq_f32 s18, 0
	s_load_b64 s[42:43], s[0:1], 0x20
	v_bfe_u32 v8, v0, 2, 3
	v_mov_b32_e32 v20, v13
	s_cselect_b32 vcc_lo, -1, 0
	s_abs_i32 s19, s14
	s_lshl_b64 s[44:45], s[30:31], 2
	s_cvt_f32_u32 s4, s19
	v_lshlrev_b32_e32 v3, 4, v8
	v_dual_mov_b32 v17, 0xff7fffff :: v_dual_lshlrev_b32 v4, 2, v8
	s_delay_alu instid0(SALU_CYCLE_1) | instskip(SKIP_2) | instid1(VALU_DEP_3)
	v_rcp_iflag_f32_e32 v2, s4
	v_subrev_nc_u32_e32 v10, s34, v8
	v_cmp_eq_u32_e64 s4, 0, v1
	v_lshl_or_b32 v16, v11, 5, v4
	v_lshlrev_b32_e32 v9, 5, v1
	s_add_nc_u64 s[44:45], s[28:29], s[44:45]
	s_sub_co_i32 s6, 0, s19
	v_lshl_add_u32 v14, v11, 3, s37
	v_add_nc_u32_e32 v15, 1, v10
	v_add_nc_u32_e32 v16, 0xa0, v16
	v_readfirstlane_b32 s5, v2
	s_wait_kmcnt 0x0
	s_add_nc_u64 s[42:43], s[42:43], s[22:23]
	v_xor_b32_e32 v18, 2, v7
	v_add_co_u32 v2, s23, s42, v3
	s_mul_f32 s5, s5, 0x4f7ffffe
	v_add_co_ci_u32_e64 v3, null, s43, 0, s23
	v_xor_b32_e32 v19, 1, v7
	s_wait_alu 0xfffe
	s_cvt_u32_f32 s42, s5
	v_add_co_u32 v1, s5, v2, v1
	s_wait_alu 0xf1ff
	v_add_co_ci_u32_e64 v2, null, 0, v3, s5
	v_add_co_u32 v3, s5, s44, v6
	s_wait_alu 0xfffe
	s_mul_i32 s6, s6, s42
	v_add_co_ci_u32_e64 v4, null, s45, 0, s5
	v_mov_b32_e32 v10, 0xff7fffff
	s_mul_hi_u32 s5, s42, s6
	s_mov_b32 s41, 0
	s_mov_b32 s23, s21
	s_wait_alu 0xfffe
	s_add_co_i32 s42, s42, s5
	s_branch .LBB189_13
.LBB189_11:                             ;   in Loop: Header=BB189_13 Depth=1
	s_wait_alu 0xfffe
	s_or_b32 exec_lo, exec_lo, s43
.LBB189_12:                             ;   in Loop: Header=BB189_13 Depth=1
	s_wait_alu 0xfffe
	s_or_b32 exec_lo, exec_lo, s6
	v_add_nc_u32_e32 v20, 4, v20
	v_add_co_u32 v3, s6, v3, 16
	s_wait_alu 0xf1ff
	v_add_co_ci_u32_e64 v4, null, 0, v4, s6
	s_delay_alu instid0(VALU_DEP_3)
	v_cmp_le_i32_e64 s5, s27, v20
	v_add_nc_u32_e32 v14, 32, v14
	v_add_nc_u32_e32 v16, 0x80, v16
	s_or_b32 s41, s5, s41
	s_wait_alu 0xfffe
	s_and_not1_b32 exec_lo, exec_lo, s41
	s_cbranch_execz .LBB189_20
.LBB189_13:                             ; =>This Inner Loop Header: Depth=1
	v_sub_nc_u32_e32 v21, 0, v14
	s_delay_alu instid0(VALU_DEP_1) | instskip(SKIP_1) | instid1(VALU_DEP_1)
	v_max_i32_e32 v21, v14, v21
	s_wait_dscnt 0x0
	v_mul_hi_u32 v22, v21, s26
	s_delay_alu instid0(VALU_DEP_1) | instskip(NEXT) | instid1(VALU_DEP_1)
	v_mul_lo_u32 v23, v22, s20
	v_sub_nc_u32_e32 v21, v21, v23
	v_add_nc_u32_e32 v23, 1, v22
	s_delay_alu instid0(VALU_DEP_2) | instskip(SKIP_2) | instid1(VALU_DEP_1)
	v_subrev_nc_u32_e32 v24, s20, v21
	v_cmp_le_u32_e64 s5, s20, v21
	s_wait_alu 0xf1ff
	v_cndmask_b32_e64 v22, v22, v23, s5
	s_delay_alu instid0(VALU_DEP_3) | instskip(SKIP_1) | instid1(VALU_DEP_3)
	v_cndmask_b32_e64 v21, v21, v24, s5
	v_ashrrev_i32_e32 v23, 31, v14
	v_add_nc_u32_e32 v24, 1, v22
	s_delay_alu instid0(VALU_DEP_3) | instskip(NEXT) | instid1(VALU_DEP_3)
	v_cmp_le_u32_e64 s5, s20, v21
	v_xor_b32_e32 v23, s15, v23
	s_wait_alu 0xf1ff
	s_delay_alu instid0(VALU_DEP_2) | instskip(NEXT) | instid1(VALU_DEP_1)
	v_cndmask_b32_e64 v21, v22, v24, s5
	v_xor_b32_e32 v21, v21, v23
	s_delay_alu instid0(VALU_DEP_1) | instskip(NEXT) | instid1(VALU_DEP_1)
	v_sub_nc_u32_e32 v21, v21, v23
	v_add_nc_u32_e32 v22, s25, v21
	v_cmp_ge_i32_e64 s6, s17, v21
	s_delay_alu instid0(VALU_DEP_2) | instskip(NEXT) | instid1(VALU_DEP_1)
	v_sub_nc_u32_e32 v23, 0, v22
	v_max_i32_e32 v23, v22, v23
	v_ashrrev_i32_e32 v22, 31, v22
	s_wait_alu 0xfffe
	s_delay_alu instid0(VALU_DEP_2) | instskip(NEXT) | instid1(VALU_DEP_1)
	v_mul_hi_u32 v24, v23, s42
	v_mul_lo_u32 v24, v24, s19
	s_delay_alu instid0(VALU_DEP_1) | instskip(NEXT) | instid1(VALU_DEP_1)
	v_sub_nc_u32_e32 v23, v23, v24
	v_subrev_nc_u32_e32 v24, s19, v23
	v_cmp_le_u32_e64 s5, s19, v23
	s_wait_alu 0xf1ff
	s_delay_alu instid0(VALU_DEP_1) | instskip(NEXT) | instid1(VALU_DEP_1)
	v_cndmask_b32_e64 v23, v23, v24, s5
	v_subrev_nc_u32_e32 v24, s19, v23
	v_cmp_le_u32_e64 s5, s19, v23
	s_wait_alu 0xf1ff
	s_delay_alu instid0(VALU_DEP_1) | instskip(NEXT) | instid1(VALU_DEP_1)
	v_cndmask_b32_e64 v23, v23, v24, s5
	v_xor_b32_e32 v23, v23, v22
	s_delay_alu instid0(VALU_DEP_1) | instskip(NEXT) | instid1(VALU_DEP_1)
	v_sub_nc_u32_e32 v22, v23, v22
	v_cmp_ne_u32_e64 s5, 0, v22
	s_and_b32 s5, s5, s6
	s_wait_alu 0xfffe
	s_and_saveexec_b32 s6, s5
	s_wait_alu 0xfffe
	s_xor_b32 s5, exec_lo, s6
	s_cbranch_execz .LBB189_17
; %bb.14:                               ;   in Loop: Header=BB189_13 Depth=1
	s_and_saveexec_b32 s6, s4
; %bb.15:                               ;   in Loop: Header=BB189_13 Depth=1
	ds_store_b32 v16, v17
; %bb.16:                               ;   in Loop: Header=BB189_13 Depth=1
	s_wait_alu 0xfffe
	s_or_b32 exec_lo, exec_lo, s6
.LBB189_17:                             ;   in Loop: Header=BB189_13 Depth=1
	s_wait_alu 0xfffe
	s_and_not1_saveexec_b32 s6, s5
	s_cbranch_execz .LBB189_12
; %bb.18:                               ;   in Loop: Header=BB189_13 Depth=1
	global_load_b32 v21, v[3:4], off
	v_cmp_gt_i32_e64 s5, 32, v18
	s_wait_loadcnt 0x0
	v_mad_co_i64_i32 v[21:22], null, v21, s23, v[1:2]
	s_clause 0x7
	global_load_u8 v25, v[21:22], off offset:4
	global_load_u8 v26, v[21:22], off
	global_load_u8 v29, v[21:22], off offset:8
	global_load_u8 v30, v[21:22], off offset:12
	;; [unrolled: 1-line block ×6, first 2 shown]
	s_load_b32 s43, s[8:9], 0x0
	ds_load_b128 v[21:24], v9
	s_wait_loadcnt 0x7
	v_cvt_f32_fp8_e32 v25, v25
	s_wait_loadcnt 0x6
	v_cvt_f32_fp8_e32 v35, v26
	;; [unrolled: 2-line block ×4, first 2 shown]
	s_wait_kmcnt 0x0
	v_dual_mul_f32 v36, s43, v25 :: v_dual_mul_f32 v35, s43, v35
	ds_load_b128 v[25:28], v9 offset:16
	s_wait_dscnt 0x1
	v_dual_mul_f32 v29, s43, v29 :: v_dual_mul_f32 v22, v22, v36
	s_delay_alu instid0(VALU_DEP_1) | instskip(SKIP_2) | instid1(VALU_DEP_1)
	v_fmac_f32_e32 v22, v21, v35
	s_wait_loadcnt 0x3
	v_cvt_f32_fp8_e32 v21, v31
	v_mul_f32_e32 v21, s43, v21
	s_delay_alu instid0(VALU_DEP_3) | instskip(SKIP_2) | instid1(VALU_DEP_1)
	v_fmac_f32_e32 v22, v23, v29
	s_wait_loadcnt 0x2
	v_cvt_f32_fp8_e32 v23, v32
	v_dual_mul_f32 v30, s43, v30 :: v_dual_mul_f32 v23, s43, v23
	s_delay_alu instid0(VALU_DEP_1) | instskip(SKIP_3) | instid1(VALU_DEP_1)
	v_fmac_f32_e32 v22, v24, v30
	s_wait_loadcnt 0x1
	v_cvt_f32_fp8_e32 v24, v33
	s_wait_dscnt 0x0
	v_dual_fmac_f32 v22, v25, v21 :: v_dual_mul_f32 v21, s43, v24
	s_wait_loadcnt 0x0
	v_cvt_f32_fp8_e32 v24, v34
	s_delay_alu instid0(VALU_DEP_2) | instskip(SKIP_1) | instid1(VALU_DEP_3)
	v_fmac_f32_e32 v22, v26, v23
	v_cndmask_b32_e64 v23, v7, v18, s5
	v_mul_f32_e32 v24, s43, v24
	v_cmp_gt_i32_e64 s5, 32, v19
	s_delay_alu instid0(VALU_DEP_3) | instskip(SKIP_1) | instid1(VALU_DEP_2)
	v_dual_fmac_f32 v22, v27, v21 :: v_dual_lshlrev_b32 v21, 2, v23
	s_wait_alu 0xf1ff
	v_cndmask_b32_e64 v23, v7, v19, s5
	s_delay_alu instid0(VALU_DEP_1)
	v_dual_fmac_f32 v22, v28, v24 :: v_dual_lshlrev_b32 v23, 2, v23
	ds_bpermute_b32 v21, v21, v22
	s_wait_dscnt 0x0
	v_add_f32_e32 v21, v22, v21
	ds_bpermute_b32 v22, v23, v21
	s_and_saveexec_b32 s43, s4
	s_cbranch_execz .LBB189_11
; %bb.19:                               ;   in Loop: Header=BB189_13 Depth=1
	s_wait_dscnt 0x0
	v_add_f32_e32 v21, v21, v22
	v_add_nc_u32_e32 v23, v15, v14
	s_delay_alu instid0(VALU_DEP_1) | instskip(NEXT) | instid1(VALU_DEP_1)
	v_cvt_f32_i32_e32 v23, v23
	v_mul_f32_e32 v23, s18, v23
	s_delay_alu instid0(VALU_DEP_1) | instskip(NEXT) | instid1(VALU_DEP_1)
	v_dual_cndmask_b32 v22, 0, v23 :: v_dual_max_num_f32 v23, v10, v10
	v_dual_fmac_f32 v22, s7, v21 :: v_dual_add_nc_u32 v21, v8, v14
	s_delay_alu instid0(VALU_DEP_1) | instskip(NEXT) | instid1(VALU_DEP_2)
	v_max_num_f32_e32 v23, v23, v22
	v_cmp_gt_i32_e64 s5, s34, v21
	s_wait_alu 0xf1ff
	s_delay_alu instid0(VALU_DEP_1) | instskip(NEXT) | instid1(VALU_DEP_3)
	v_cndmask_b32_e64 v21, 0, v22, s5
	v_cndmask_b32_e64 v10, v10, v23, s5
	ds_store_b32 v16, v21
	s_branch .LBB189_11
.LBB189_20:
	s_or_b32 exec_lo, exec_lo, s41
.LBB189_21:
	s_delay_alu instid0(SALU_CYCLE_1)
	s_or_b32 exec_lo, exec_lo, s16
	v_xor_b32_e32 v1, 16, v7
	v_xor_b32_e32 v3, 8, v7
	s_clause 0x2
	s_load_b128 s[16:19], s[0:1], 0x0
	s_load_b64 s[6:7], s[0:1], 0x10
	s_load_b64 s[8:9], s[0:1], 0x28
	v_max_num_f32_e32 v8, v10, v10
	v_and_b32_e32 v14, 31, v0
	v_cmp_gt_i32_e32 vcc_lo, 32, v1
	s_wait_alu 0xfffd
	v_cndmask_b32_e32 v1, v7, v1, vcc_lo
	v_cmp_gt_i32_e32 vcc_lo, 32, v3
	s_wait_alu 0xfffd
	s_delay_alu instid0(VALU_DEP_2) | instskip(SKIP_3) | instid1(VALU_DEP_1)
	v_dual_cndmask_b32 v3, v7, v3 :: v_dual_lshlrev_b32 v2, 2, v1
	ds_bpermute_b32 v1, v2, v10
	s_wait_dscnt 0x0
	v_dual_max_num_f32 v1, v1, v1 :: v_dual_lshlrev_b32 v4, 2, v3
	v_max_num_f32_e32 v1, v8, v1
	v_xor_b32_e32 v8, 4, v7
	s_delay_alu instid0(VALU_DEP_1)
	v_cmp_gt_i32_e32 vcc_lo, 32, v8
	s_wait_alu 0xfffd
	v_cndmask_b32_e32 v8, v7, v8, vcc_lo
	ds_bpermute_b32 v3, v4, v1
	v_cmp_eq_u32_e32 vcc_lo, 0, v14
	v_lshlrev_b32_e32 v10, 2, v8
	v_lshlrev_b32_e32 v8, 2, v11
	s_wait_dscnt 0x0
	v_max_num_f32_e32 v3, v3, v3
	s_delay_alu instid0(VALU_DEP_1)
	v_max_num_f32_e32 v1, v1, v3
	ds_bpermute_b32 v3, v10, v1
	s_and_saveexec_b32 s0, vcc_lo
	s_cbranch_execz .LBB189_23
; %bb.22:
	s_wait_dscnt 0x0
	v_max_num_f32_e32 v3, v3, v3
	v_max_num_f32_e32 v1, v1, v1
	s_delay_alu instid0(VALU_DEP_1)
	v_max_num_f32_e32 v1, v1, v3
	ds_store_b32 v8, v1 offset:128
.LBB189_23:
	s_or_b32 exec_lo, exec_lo, s0
	v_cmp_gt_u32_e64 s0, 4, v14
	v_mov_b32_e32 v1, 0xff7fffff
	v_lshlrev_b32_e32 v9, 2, v14
	s_wait_loadcnt_dscnt 0x0
	s_barrier_signal -1
	s_barrier_wait -1
	global_inv scope:SCOPE_SE
	s_and_saveexec_b32 s1, s0
; %bb.24:
	ds_load_b32 v1, v9 offset:128
; %bb.25:
	s_or_b32 exec_lo, exec_lo, s1
	v_xor_b32_e32 v3, 2, v7
	v_xor_b32_e32 v15, 1, v7
	s_delay_alu instid0(VALU_DEP_2) | instskip(NEXT) | instid1(VALU_DEP_1)
	v_cmp_gt_i32_e64 s1, 32, v3
	v_cndmask_b32_e64 v3, v7, v3, s1
	s_delay_alu instid0(VALU_DEP_3) | instskip(NEXT) | instid1(VALU_DEP_2)
	v_cmp_gt_i32_e64 s1, 32, v15
	v_lshlrev_b32_e32 v16, 2, v3
	s_wait_alu 0xf1ff
	s_delay_alu instid0(VALU_DEP_2)
	v_cndmask_b32_e64 v7, v7, v15, s1
	s_sub_co_i32 s1, s27, s40
	s_wait_alu 0xfffe
	s_lshl_b32 s1, s1, 3
	s_wait_dscnt 0x0
	ds_bpermute_b32 v3, v16, v1
	v_max_num_f32_e32 v1, v1, v1
	v_lshlrev_b32_e32 v15, 2, v7
	v_mov_b32_e32 v7, 0
	s_wait_alu 0xfffe
	s_add_co_i32 s1, s1, s37
	s_wait_alu 0xfffe
	s_min_i32 s1, s1, s34
	s_wait_alu 0xfffe
	s_sub_co_i32 s5, s1, s37
	s_wait_alu 0xfffe
	v_cmp_gt_i32_e64 s1, s5, v0
	s_wait_dscnt 0x0
	v_max_num_f32_e32 v3, v3, v3
	s_delay_alu instid0(VALU_DEP_1) | instskip(SKIP_3) | instid1(VALU_DEP_1)
	v_max_num_f32_e32 v1, v1, v3
	ds_bpermute_b32 v3, v15, v1
	s_wait_dscnt 0x0
	v_max_num_f32_e32 v3, v3, v3
	v_max_num_f32_e32 v1, v1, v3
	v_lshl_add_u32 v3, v0, 2, 0xa0
	ds_bpermute_b32 v1, v7, v1
	s_and_saveexec_b32 s23, s1
	s_cbranch_execz .LBB189_29
; %bb.26:
	v_lshl_add_u32 v17, v0, 2, 0xa0
	v_dual_mov_b32 v7, 0 :: v_dual_mov_b32 v18, v0
	s_mov_b32 s37, 0
.LBB189_27:                             ; =>This Inner Loop Header: Depth=1
	ds_load_b32 v19, v17
	v_add_nc_u32_e32 v18, 0x80, v18
	s_delay_alu instid0(VALU_DEP_1) | instskip(SKIP_4) | instid1(VALU_DEP_1)
	v_cmp_le_i32_e64 s4, s5, v18
	s_wait_alu 0xfffe
	s_or_b32 s37, s4, s37
	s_wait_dscnt 0x0
	v_sub_f32_e32 v19, v19, v1
	v_mul_f32_e32 v19, 0x3fb8aa3b, v19
	s_delay_alu instid0(VALU_DEP_1)
	v_exp_f32_e32 v19, v19
	ds_store_b32 v17, v19
	v_add_f32_e32 v7, v7, v19
	v_add_nc_u32_e32 v17, 0x200, v17
	s_wait_alu 0xfffe
	s_and_not1_b32 exec_lo, exec_lo, s37
	s_cbranch_execnz .LBB189_27
; %bb.28:
	s_or_b32 exec_lo, exec_lo, s37
.LBB189_29:
	s_wait_alu 0xfffe
	s_or_b32 exec_lo, exec_lo, s23
	ds_bpermute_b32 v2, v2, v7
	s_wait_dscnt 0x0
	v_add_f32_e32 v2, v7, v2
	ds_bpermute_b32 v4, v4, v2
	s_wait_dscnt 0x0
	v_add_f32_e32 v2, v2, v4
	;; [unrolled: 3-line block ×5, first 2 shown]
	s_and_saveexec_b32 s4, vcc_lo
; %bb.30:
	ds_store_b32 v8, v2 offset:144
; %bb.31:
	s_wait_alu 0xfffe
	s_or_b32 exec_lo, exec_lo, s4
	s_wait_loadcnt_dscnt 0x0
	s_barrier_signal -1
	s_barrier_wait -1
	global_inv scope:SCOPE_SE
	s_and_saveexec_b32 s4, s0
; %bb.32:
	ds_load_b32 v2, v9 offset:144
; %bb.33:
	s_wait_alu 0xfffe
	s_or_b32 exec_lo, exec_lo, s4
	s_wait_dscnt 0x0
	ds_bpermute_b32 v4, v16, v2
	s_wait_dscnt 0x0
	v_add_f32_e32 v2, v2, v4
	ds_bpermute_b32 v4, v15, v2
	s_wait_dscnt 0x0
	v_add_f32_e32 v2, v2, v4
	v_mov_b32_e32 v4, 0
	ds_bpermute_b32 v2, v4, v2
	s_and_saveexec_b32 s0, s1
	s_cbranch_execz .LBB189_36
; %bb.34:
	s_wait_dscnt 0x0
	v_add_f32_e32 v4, 0x358637bd, v2
	s_mov_b32 s1, 0
	s_delay_alu instid0(VALU_DEP_1) | instskip(SKIP_1) | instid1(VALU_DEP_2)
	v_div_scale_f32 v7, null, v4, v4, 1.0
	v_div_scale_f32 v10, vcc_lo, 1.0, v4, 1.0
	v_rcp_f32_e32 v8, v7
	s_delay_alu instid0(TRANS32_DEP_1) | instskip(NEXT) | instid1(VALU_DEP_1)
	v_fma_f32 v9, -v7, v8, 1.0
	v_fmac_f32_e32 v8, v9, v8
	s_delay_alu instid0(VALU_DEP_1) | instskip(NEXT) | instid1(VALU_DEP_1)
	v_mul_f32_e32 v9, v10, v8
	v_fma_f32 v16, -v7, v9, v10
	s_delay_alu instid0(VALU_DEP_1) | instskip(NEXT) | instid1(VALU_DEP_1)
	v_fmac_f32_e32 v9, v16, v8
	v_fma_f32 v7, -v7, v9, v10
	s_wait_alu 0xfffd
	s_delay_alu instid0(VALU_DEP_1) | instskip(NEXT) | instid1(VALU_DEP_1)
	v_div_fmas_f32 v7, v7, v8, v9
	v_div_fixup_f32 v4, v7, v4, 1.0
	v_mov_b32_e32 v7, v0
.LBB189_35:                             ; =>This Inner Loop Header: Depth=1
	ds_load_b32 v8, v3
	s_wait_dscnt 0x0
	v_dual_mul_f32 v8, v4, v8 :: v_dual_add_nc_u32 v7, 0x80, v7
	s_delay_alu instid0(VALU_DEP_1)
	v_cmp_le_i32_e32 vcc_lo, s5, v7
	ds_store_b32 v3, v8
	v_add_nc_u32_e32 v3, 0x200, v3
	s_wait_alu 0xfffe
	s_or_b32 s1, vcc_lo, s1
	s_wait_alu 0xfffe
	s_and_not1_b32 exec_lo, exec_lo, s1
	s_cbranch_execnz .LBB189_35
.LBB189_36:
	s_wait_alu 0xfffe
	s_or_b32 exec_lo, exec_lo, s0
	s_mul_i32 s0, s12, s35
	s_wait_loadcnt_dscnt 0x0
	s_wait_alu 0xfffe
	s_mul_i32 s4, s0, s36
	s_mov_b32 s0, exec_lo
	s_barrier_signal -1
	s_barrier_wait -1
	global_inv scope:SCOPE_SE
	v_cmpx_eq_u32_e32 0, v0
	s_cbranch_execz .LBB189_38
; %bb.37:
	s_wait_alu 0xfffe
	s_ashr_i32 s5, s4, 31
	s_mul_i32 s36, s12, ttmp9
	s_lshl_b32 s1, s33, 2
	s_wait_alu 0xfffe
	s_lshl_b64 s[40:41], s[4:5], 2
	s_ashr_i32 s37, s36, 31
	v_mov_b32_e32 v3, s1
	s_wait_kmcnt 0x0
	s_wait_alu 0xfffe
	s_add_nc_u64 s[18:19], s[18:19], s[40:41]
	s_lshl_b64 s[36:37], s[36:37], 2
	s_add_nc_u64 s[16:17], s[16:17], s[40:41]
	s_wait_alu 0xfffe
	s_add_nc_u64 s[18:19], s[18:19], s[36:37]
	s_add_nc_u64 s[16:17], s[16:17], s[36:37]
	s_clause 0x1
	global_store_b32 v3, v1, s[18:19]
	global_store_b32 v3, v2, s[16:17]
.LBB189_38:
	s_wait_alu 0xfffe
	s_or_b32 exec_lo, exec_lo, s0
	v_dual_mov_b32 v19, 0 :: v_dual_and_b32 v16, 1, v0
	v_mov_b32_e32 v17, 0
	s_and_saveexec_b32 s1, s3
	s_cbranch_execz .LBB189_48
; %bb.39:
	s_abs_i32 s3, s14
	v_dual_mov_b32 v19, 0 :: v_dual_and_b32 v2, 0x7c, v5
	s_wait_alu 0xfffe
	s_cvt_f32_u32 s0, s3
	s_ashr_i32 s23, s22, 31
	s_wait_kmcnt 0x0
	s_lshl_b64 s[16:17], s[30:31], 2
	s_wait_alu 0xfffe
	s_add_nc_u64 s[8:9], s[8:9], s[22:23]
	v_rcp_iflag_f32_e32 v1, s0
	s_add_nc_u64 s[16:17], s[28:29], s[16:17]
	s_sub_co_i32 s14, 0, s3
	v_dual_mov_b32 v17, 0 :: v_dual_and_b32 v18, 4, v5
	s_wait_alu 0xfffe
	v_add_co_u32 v5, s16, s16, v6
	v_add_co_u32 v7, s8, s8, v2
	s_wait_alu 0xf1ff
	v_add_co_ci_u32_e64 v6, null, s17, 0, s16
	s_delay_alu instid0(TRANS32_DEP_1)
	v_readfirstlane_b32 s0, v1
	v_lshlrev_b32_e32 v1, 4, v16
	v_add_co_ci_u32_e64 v8, null, s9, 0, s8
	s_sub_co_i32 s5, s39, s13
	s_mul_f32 s0, s0, 0x4f7ffffe
	v_lshl_or_b32 v1, v11, 5, v1
	s_mov_b32 s13, s21
	s_add_co_i32 s38, s38, -1
	s_wait_alu 0xfffe
	s_cvt_u32_f32 s0, s0
	s_mov_b32 s8, 0
	v_add_nc_u32_e32 v20, 0xa0, v1
	s_wait_alu 0xfffe
	s_mul_i32 s14, s14, s0
	s_wait_alu 0xfffe
	s_mul_hi_u32 s9, s0, s14
	s_wait_alu 0xfffe
	s_add_co_i32 s9, s0, s9
	s_branch .LBB189_42
.LBB189_40:                             ;   in Loop: Header=BB189_42 Depth=1
	s_wait_alu 0xfffe
	s_or_b32 exec_lo, exec_lo, s0
	s_wait_dscnt 0x0
	v_mul_f32_e32 v24, v1, v24
	v_mul_f32_e32 v1, v1, v30
	s_delay_alu instid0(VALU_DEP_1) | instskip(NEXT) | instid1(VALU_DEP_1)
	v_fmac_f32_e32 v1, v2, v29
	v_dual_fmac_f32 v24, v2, v23 :: v_dual_fmac_f32 v1, v3, v10
	s_delay_alu instid0(VALU_DEP_1) | instskip(NEXT) | instid1(VALU_DEP_1)
	v_dual_fmac_f32 v24, v3, v22 :: v_dual_fmac_f32 v1, v4, v9
	v_fmac_f32_e32 v24, v4, v21
	s_delay_alu instid0(VALU_DEP_2) | instskip(NEXT) | instid1(VALU_DEP_2)
	v_add_f32_e32 v17, v17, v1
	v_add_f32_e32 v19, v19, v24
.LBB189_41:                             ;   in Loop: Header=BB189_42 Depth=1
	s_wait_alu 0xfffe
	s_or_b32 exec_lo, exec_lo, s14
	v_add_nc_u32_e32 v13, 4, v13
	v_add_co_u32 v5, s0, v5, 16
	s_wait_alu 0xf1ff
	v_add_co_ci_u32_e64 v6, null, 0, v6, s0
	s_delay_alu instid0(VALU_DEP_3)
	v_cmp_le_i32_e32 vcc_lo, s27, v13
	v_add_nc_u32_e32 v12, 32, v12
	v_add_nc_u32_e32 v20, 0x80, v20
	s_or_b32 s8, vcc_lo, s8
	s_wait_alu 0xfffe
	s_and_not1_b32 exec_lo, exec_lo, s8
	s_cbranch_execz .LBB189_47
.LBB189_42:                             ; =>This Inner Loop Header: Depth=1
	v_sub_nc_u32_e32 v1, 0, v12
	s_delay_alu instid0(VALU_DEP_1) | instskip(NEXT) | instid1(VALU_DEP_1)
	v_max_i32_e32 v1, v12, v1
	v_mul_hi_u32 v2, v1, s26
	s_delay_alu instid0(VALU_DEP_1) | instskip(NEXT) | instid1(VALU_DEP_1)
	v_mul_lo_u32 v3, v2, s20
	v_sub_nc_u32_e32 v1, v1, v3
	v_add_nc_u32_e32 v3, 1, v2
	s_delay_alu instid0(VALU_DEP_2) | instskip(SKIP_2) | instid1(VALU_DEP_2)
	v_subrev_nc_u32_e32 v4, s20, v1
	v_cmp_le_u32_e32 vcc_lo, s20, v1
	s_wait_alu 0xfffd
	v_dual_cndmask_b32 v2, v2, v3 :: v_dual_cndmask_b32 v1, v1, v4
	v_ashrrev_i32_e32 v3, 31, v12
	s_delay_alu instid0(VALU_DEP_2) | instskip(NEXT) | instid1(VALU_DEP_3)
	v_add_nc_u32_e32 v4, 1, v2
	v_cmp_le_u32_e32 vcc_lo, s20, v1
	s_delay_alu instid0(VALU_DEP_3) | instskip(SKIP_1) | instid1(VALU_DEP_3)
	v_xor_b32_e32 v3, s15, v3
	s_wait_alu 0xfffd
	v_cndmask_b32_e32 v1, v2, v4, vcc_lo
	s_delay_alu instid0(VALU_DEP_1) | instskip(NEXT) | instid1(VALU_DEP_1)
	v_xor_b32_e32 v1, v1, v3
	v_sub_nc_u32_e32 v1, v1, v3
	s_delay_alu instid0(VALU_DEP_1) | instskip(SKIP_1) | instid1(VALU_DEP_2)
	v_add_nc_u32_e32 v2, s25, v1
	v_cmp_lt_i32_e64 s0, s5, v1
	v_sub_nc_u32_e32 v3, 0, v2
	s_delay_alu instid0(VALU_DEP_1) | instskip(SKIP_1) | instid1(VALU_DEP_1)
	v_max_i32_e32 v3, v2, v3
	s_wait_alu 0xfffe
	v_mul_hi_u32 v4, v3, s9
	s_delay_alu instid0(VALU_DEP_1) | instskip(NEXT) | instid1(VALU_DEP_1)
	v_mul_lo_u32 v4, v4, s3
	v_sub_nc_u32_e32 v3, v3, v4
	s_delay_alu instid0(VALU_DEP_1) | instskip(SKIP_2) | instid1(VALU_DEP_2)
	v_subrev_nc_u32_e32 v4, s3, v3
	v_cmp_le_u32_e32 vcc_lo, s3, v3
	s_wait_alu 0xfffd
	v_cndmask_b32_e32 v3, v3, v4, vcc_lo
	v_ashrrev_i32_e32 v2, 31, v2
	s_delay_alu instid0(VALU_DEP_2) | instskip(SKIP_2) | instid1(VALU_DEP_2)
	v_subrev_nc_u32_e32 v4, s3, v3
	v_cmp_le_u32_e32 vcc_lo, s3, v3
	s_wait_alu 0xfffd
	v_cndmask_b32_e32 v3, v3, v4, vcc_lo
	s_delay_alu instid0(VALU_DEP_1) | instskip(NEXT) | instid1(VALU_DEP_1)
	v_xor_b32_e32 v3, v3, v2
	v_sub_nc_u32_e32 v2, v3, v2
	s_delay_alu instid0(VALU_DEP_1)
	v_cmp_eq_u32_e32 vcc_lo, 0, v2
	s_or_b32 s0, vcc_lo, s0
	s_wait_alu 0xfffe
	s_and_saveexec_b32 s14, s0
	s_cbranch_execz .LBB189_41
; %bb.43:                               ;   in Loop: Header=BB189_42 Depth=1
	global_load_b32 v1, v[5:6], off
	s_load_b32 s16, s[10:11], 0x0
	v_cmp_eq_u32_e32 vcc_lo, s38, v13
	s_wait_loadcnt 0x0
	v_mad_co_i64_i32 v[9:10], null, v1, s13, v[7:8]
	ds_load_b128 v[1:4], v20
	global_load_b32 v21, v[9:10], off
	s_wait_loadcnt 0x0
	v_and_b32_e32 v22, 0xffff, v21
	v_lshrrev_b32_e32 v23, 16, v21
	s_delay_alu instid0(VALU_DEP_2) | instskip(SKIP_1) | instid1(VALU_DEP_3)
	v_cvt_pk_f32_fp8_e32 v[21:22], v22
	v_add_nc_u32_e32 v25, v18, v12
	v_cvt_pk_f32_fp8_e32 v[28:29], v23
	s_wait_kmcnt 0x0
	s_delay_alu instid0(VALU_DEP_3) | instskip(NEXT) | instid1(VALU_DEP_3)
	v_mul_f32_e32 v24, s16, v21
	v_add_nc_u32_e32 v27, 1, v25
	v_dual_mul_f32 v23, s16, v22 :: v_dual_add_nc_u32 v26, 2, v25
	v_dual_mul_f32 v22, s16, v28 :: v_dual_mul_f32 v21, s16, v29
	v_add_nc_u32_e32 v28, 3, v25
	s_and_saveexec_b32 s17, vcc_lo
	s_cbranch_execz .LBB189_45
; %bb.44:                               ;   in Loop: Header=BB189_42 Depth=1
	v_cmp_gt_i32_e64 s0, s34, v25
	s_wait_alu 0xf1ff
	s_delay_alu instid0(VALU_DEP_1) | instskip(SKIP_2) | instid1(VALU_DEP_1)
	v_cndmask_b32_e64 v24, 0, v24, s0
	v_cmp_gt_i32_e64 s0, s34, v27
	s_wait_alu 0xf1ff
	v_cndmask_b32_e64 v23, 0, v23, s0
	v_cmp_gt_i32_e64 s0, s34, v26
	s_wait_alu 0xf1ff
	s_delay_alu instid0(VALU_DEP_1) | instskip(SKIP_2) | instid1(VALU_DEP_1)
	v_cndmask_b32_e64 v22, 0, v22, s0
	v_cmp_gt_i32_e64 s0, s34, v28
	s_wait_alu 0xf1ff
	v_cndmask_b32_e64 v21, 0, v21, s0
.LBB189_45:                             ;   in Loop: Header=BB189_42 Depth=1
	s_wait_alu 0xfffe
	s_or_b32 exec_lo, exec_lo, s17
	global_load_b32 v9, v[9:10], off offset:128
	s_mov_b32 s0, s16
	s_wait_loadcnt 0x0
	v_lshrrev_b32_e32 v29, 16, v9
	s_delay_alu instid0(VALU_DEP_1) | instskip(SKIP_1) | instid1(VALU_DEP_1)
	v_cvt_pk_f32_fp8_e32 v[31:32], v29
	v_and_b32_e32 v10, 0xffff, v9
	v_cvt_pk_f32_fp8_e32 v[9:10], v10
	s_wait_alu 0xfffe
	s_delay_alu instid0(VALU_DEP_1)
	v_dual_mul_f32 v30, s16, v9 :: v_dual_mul_f32 v29, s0, v10
	v_dual_mul_f32 v10, s16, v31 :: v_dual_mul_f32 v9, s0, v32
	s_and_saveexec_b32 s0, vcc_lo
	s_cbranch_execz .LBB189_40
; %bb.46:                               ;   in Loop: Header=BB189_42 Depth=1
	v_cmp_gt_i32_e32 vcc_lo, s34, v25
	s_wait_alu 0xfffd
	v_cndmask_b32_e32 v30, 0, v30, vcc_lo
	v_cmp_gt_i32_e32 vcc_lo, s34, v27
	s_wait_alu 0xfffd
	v_cndmask_b32_e32 v29, 0, v29, vcc_lo
	;; [unrolled: 3-line block ×4, first 2 shown]
	s_branch .LBB189_40
.LBB189_47:
	s_or_b32 exec_lo, exec_lo, s8
.LBB189_48:
	s_wait_alu 0xfffe
	s_or_b32 exec_lo, exec_lo, s1
	ds_bpermute_b32 v1, v15, v19
	ds_bpermute_b32 v2, v15, v17
	v_lshrrev_b32_e32 v3, 1, v14
	v_and_b32_e32 v5, 0x3c1, v0
	s_mov_b32 s0, exec_lo
	s_wait_storecnt 0x0
	s_wait_loadcnt_dscnt 0x0
	s_barrier_signal -1
	v_lshl_add_u32 v4, v3, 2, 0xa0
	s_barrier_wait -1
	global_inv scope:SCOPE_SE
	v_dual_add_f32 v1, v19, v1 :: v_dual_add_f32 v2, v17, v2
	v_cmpx_eq_u32_e32 64, v5
	s_cbranch_execz .LBB189_50
; %bb.49:
	v_lshl_add_u32 v5, v11, 7, v4
	s_delay_alu instid0(VALU_DEP_1)
	v_add_nc_u32_e32 v6, 0xffffff00, v5
	v_add_nc_u32_e32 v5, 0xffffff40, v5
	ds_store_b32 v6, v1
	ds_store_b32 v5, v2
.LBB189_50:
	s_wait_alu 0xfffe
	s_or_b32 exec_lo, exec_lo, s0
	v_and_b32_e32 v5, 0x3e0, v0
	v_lshlrev_b32_e32 v3, 2, v3
	s_mov_b32 s1, exec_lo
	v_cmp_eq_u32_e32 vcc_lo, 0, v16
	s_wait_loadcnt_dscnt 0x0
	v_lshlrev_b32_e32 v5, 2, v5
	s_barrier_signal -1
	s_barrier_wait -1
	global_inv scope:SCOPE_SE
	v_add3_u32 v3, 0xa0, v5, v3
	v_cmpx_gt_u32_e32 64, v0
	s_cbranch_execz .LBB189_56
; %bb.51:
	s_and_saveexec_b32 s0, vcc_lo
	s_cbranch_execz .LBB189_53
; %bb.52:
	ds_load_b32 v5, v3
	s_wait_dscnt 0x0
	v_add_f32_e32 v1, v1, v5
.LBB189_53:
	s_wait_alu 0xfffe
	s_or_b32 exec_lo, exec_lo, s0
	s_and_saveexec_b32 s0, vcc_lo
	s_cbranch_execz .LBB189_55
; %bb.54:
	ds_load_b32 v5, v3 offset:64
	s_wait_dscnt 0x0
	v_add_f32_e32 v2, v2, v5
.LBB189_55:
	s_wait_alu 0xfffe
	s_or_b32 exec_lo, exec_lo, s0
.LBB189_56:
	s_wait_alu 0xfffe
	s_or_b32 exec_lo, exec_lo, s1
	v_and_b32_e32 v5, 0x3e1, v0
	s_mov_b32 s1, exec_lo
	s_wait_loadcnt 0x0
	s_barrier_signal -1
	s_barrier_wait -1
	global_inv scope:SCOPE_SE
	v_cmpx_eq_u32_e32 32, v5
; %bb.57:
	ds_store_2addr_b32 v4, v1, v2 offset1:16
; %bb.58:
	s_wait_alu 0xfffe
	s_or_b32 exec_lo, exec_lo, s1
	s_wait_loadcnt_dscnt 0x0
	s_barrier_signal -1
	s_barrier_wait -1
	global_inv scope:SCOPE_SE
	s_and_saveexec_b32 s0, s2
	s_cbranch_execz .LBB189_64
; %bb.59:
	s_and_saveexec_b32 s1, vcc_lo
	s_cbranch_execz .LBB189_61
; %bb.60:
	ds_load_b32 v4, v3
	s_wait_dscnt 0x0
	v_add_f32_e32 v1, v1, v4
.LBB189_61:
	s_wait_alu 0xfffe
	s_or_b32 exec_lo, exec_lo, s1
	s_and_saveexec_b32 s1, vcc_lo
	s_cbranch_execz .LBB189_63
; %bb.62:
	ds_load_b32 v3, v3 offset:64
	s_wait_dscnt 0x0
	v_add_f32_e32 v2, v2, v3
.LBB189_63:
	s_wait_alu 0xfffe
	s_or_b32 exec_lo, exec_lo, s1
.LBB189_64:
	s_wait_alu 0xfffe
	s_or_b32 exec_lo, exec_lo, s0
	s_mov_b32 s1, 0
	s_wait_loadcnt 0x0
	s_barrier_signal -1
	s_barrier_wait -1
	global_inv scope:SCOPE_SE
	s_mov_b32 s0, exec_lo
	v_cmpx_eq_u32_e32 0, v5
	s_cbranch_execz .LBB189_66
; %bb.65:
	s_lshl_b32 s2, s4, 5
	s_mul_i32 s4, s12, s24
	s_wait_alu 0xfffe
	s_ashr_i32 s3, s2, 31
	s_ashr_i32 s5, s4, 31
	s_wait_alu 0xfffe
	s_lshl_b64 s[2:3], s[2:3], 2
	s_lshl_b64 s[4:5], s[4:5], 2
	s_wait_kmcnt 0x0
	s_wait_alu 0xfffe
	s_add_nc_u64 s[2:3], s[6:7], s[2:3]
	v_lshlrev_b32_e32 v0, 1, v0
	s_lshl_b32 s0, s33, 7
	s_wait_alu 0xfffe
	s_add_nc_u64 s[2:3], s[2:3], s[4:5]
	s_wait_alu 0xfffe
	s_add_nc_u64 s[0:1], s[2:3], s[0:1]
	s_clause 0x1
	global_store_b32 v0, v1, s[0:1]
	global_store_b32 v0, v2, s[0:1] offset:64
.LBB189_66:
	s_endpgm
	.section	.rodata,"a",@progbits
	.p2align	6, 0x0
	.amdhsa_kernel _ZN4vllm25paged_attention_v2_kernelIfhLi32ELi8ELi128ELNS_18Fp8KVCacheDataTypeE1ELb1ELi512EEEvPfS2_PT_PKS3_PKT0_S9_ifPKiSB_iPKfiiiSD_SD_iiiii
		.amdhsa_group_segment_fixed_size 160
		.amdhsa_private_segment_fixed_size 0
		.amdhsa_kernarg_size 400
		.amdhsa_user_sgpr_count 2
		.amdhsa_user_sgpr_dispatch_ptr 0
		.amdhsa_user_sgpr_queue_ptr 0
		.amdhsa_user_sgpr_kernarg_segment_ptr 1
		.amdhsa_user_sgpr_dispatch_id 0
		.amdhsa_user_sgpr_private_segment_size 0
		.amdhsa_wavefront_size32 1
		.amdhsa_uses_dynamic_stack 0
		.amdhsa_enable_private_segment 0
		.amdhsa_system_sgpr_workgroup_id_x 1
		.amdhsa_system_sgpr_workgroup_id_y 1
		.amdhsa_system_sgpr_workgroup_id_z 1
		.amdhsa_system_sgpr_workgroup_info 0
		.amdhsa_system_vgpr_workitem_id 0
		.amdhsa_next_free_vgpr 37
		.amdhsa_next_free_sgpr 46
		.amdhsa_reserve_vcc 1
		.amdhsa_float_round_mode_32 0
		.amdhsa_float_round_mode_16_64 0
		.amdhsa_float_denorm_mode_32 3
		.amdhsa_float_denorm_mode_16_64 3
		.amdhsa_fp16_overflow 0
		.amdhsa_workgroup_processor_mode 1
		.amdhsa_memory_ordered 1
		.amdhsa_forward_progress 1
		.amdhsa_inst_pref_size 38
		.amdhsa_round_robin_scheduling 0
		.amdhsa_exception_fp_ieee_invalid_op 0
		.amdhsa_exception_fp_denorm_src 0
		.amdhsa_exception_fp_ieee_div_zero 0
		.amdhsa_exception_fp_ieee_overflow 0
		.amdhsa_exception_fp_ieee_underflow 0
		.amdhsa_exception_fp_ieee_inexact 0
		.amdhsa_exception_int_div_zero 0
	.end_amdhsa_kernel
	.section	.text._ZN4vllm25paged_attention_v2_kernelIfhLi32ELi8ELi128ELNS_18Fp8KVCacheDataTypeE1ELb1ELi512EEEvPfS2_PT_PKS3_PKT0_S9_ifPKiSB_iPKfiiiSD_SD_iiiii,"axG",@progbits,_ZN4vllm25paged_attention_v2_kernelIfhLi32ELi8ELi128ELNS_18Fp8KVCacheDataTypeE1ELb1ELi512EEEvPfS2_PT_PKS3_PKT0_S9_ifPKiSB_iPKfiiiSD_SD_iiiii,comdat
.Lfunc_end189:
	.size	_ZN4vllm25paged_attention_v2_kernelIfhLi32ELi8ELi128ELNS_18Fp8KVCacheDataTypeE1ELb1ELi512EEEvPfS2_PT_PKS3_PKT0_S9_ifPKiSB_iPKfiiiSD_SD_iiiii, .Lfunc_end189-_ZN4vllm25paged_attention_v2_kernelIfhLi32ELi8ELi128ELNS_18Fp8KVCacheDataTypeE1ELb1ELi512EEEvPfS2_PT_PKS3_PKT0_S9_ifPKiSB_iPKfiiiSD_SD_iiiii
                                        ; -- End function
	.set _ZN4vllm25paged_attention_v2_kernelIfhLi32ELi8ELi128ELNS_18Fp8KVCacheDataTypeE1ELb1ELi512EEEvPfS2_PT_PKS3_PKT0_S9_ifPKiSB_iPKfiiiSD_SD_iiiii.num_vgpr, 37
	.set _ZN4vllm25paged_attention_v2_kernelIfhLi32ELi8ELi128ELNS_18Fp8KVCacheDataTypeE1ELb1ELi512EEEvPfS2_PT_PKS3_PKT0_S9_ifPKiSB_iPKfiiiSD_SD_iiiii.num_agpr, 0
	.set _ZN4vllm25paged_attention_v2_kernelIfhLi32ELi8ELi128ELNS_18Fp8KVCacheDataTypeE1ELb1ELi512EEEvPfS2_PT_PKS3_PKT0_S9_ifPKiSB_iPKfiiiSD_SD_iiiii.numbered_sgpr, 46
	.set _ZN4vllm25paged_attention_v2_kernelIfhLi32ELi8ELi128ELNS_18Fp8KVCacheDataTypeE1ELb1ELi512EEEvPfS2_PT_PKS3_PKT0_S9_ifPKiSB_iPKfiiiSD_SD_iiiii.num_named_barrier, 0
	.set _ZN4vllm25paged_attention_v2_kernelIfhLi32ELi8ELi128ELNS_18Fp8KVCacheDataTypeE1ELb1ELi512EEEvPfS2_PT_PKS3_PKT0_S9_ifPKiSB_iPKfiiiSD_SD_iiiii.private_seg_size, 0
	.set _ZN4vllm25paged_attention_v2_kernelIfhLi32ELi8ELi128ELNS_18Fp8KVCacheDataTypeE1ELb1ELi512EEEvPfS2_PT_PKS3_PKT0_S9_ifPKiSB_iPKfiiiSD_SD_iiiii.uses_vcc, 1
	.set _ZN4vllm25paged_attention_v2_kernelIfhLi32ELi8ELi128ELNS_18Fp8KVCacheDataTypeE1ELb1ELi512EEEvPfS2_PT_PKS3_PKT0_S9_ifPKiSB_iPKfiiiSD_SD_iiiii.uses_flat_scratch, 0
	.set _ZN4vllm25paged_attention_v2_kernelIfhLi32ELi8ELi128ELNS_18Fp8KVCacheDataTypeE1ELb1ELi512EEEvPfS2_PT_PKS3_PKT0_S9_ifPKiSB_iPKfiiiSD_SD_iiiii.has_dyn_sized_stack, 0
	.set _ZN4vllm25paged_attention_v2_kernelIfhLi32ELi8ELi128ELNS_18Fp8KVCacheDataTypeE1ELb1ELi512EEEvPfS2_PT_PKS3_PKT0_S9_ifPKiSB_iPKfiiiSD_SD_iiiii.has_recursion, 0
	.set _ZN4vllm25paged_attention_v2_kernelIfhLi32ELi8ELi128ELNS_18Fp8KVCacheDataTypeE1ELb1ELi512EEEvPfS2_PT_PKS3_PKT0_S9_ifPKiSB_iPKfiiiSD_SD_iiiii.has_indirect_call, 0
	.section	.AMDGPU.csdata,"",@progbits
; Kernel info:
; codeLenInByte = 4792
; TotalNumSgprs: 48
; NumVgprs: 37
; ScratchSize: 0
; MemoryBound: 0
; FloatMode: 240
; IeeeMode: 1
; LDSByteSize: 160 bytes/workgroup (compile time only)
; SGPRBlocks: 0
; VGPRBlocks: 4
; NumSGPRsForWavesPerEU: 48
; NumVGPRsForWavesPerEU: 37
; Occupancy: 16
; WaveLimiterHint : 1
; COMPUTE_PGM_RSRC2:SCRATCH_EN: 0
; COMPUTE_PGM_RSRC2:USER_SGPR: 2
; COMPUTE_PGM_RSRC2:TRAP_HANDLER: 0
; COMPUTE_PGM_RSRC2:TGID_X_EN: 1
; COMPUTE_PGM_RSRC2:TGID_Y_EN: 1
; COMPUTE_PGM_RSRC2:TGID_Z_EN: 1
; COMPUTE_PGM_RSRC2:TIDIG_COMP_CNT: 0
	.section	.text._ZN4vllm25paged_attention_v2_kernelIfhLi64ELi8ELi128ELNS_18Fp8KVCacheDataTypeE1ELb1ELi512EEEvPfS2_PT_PKS3_PKT0_S9_ifPKiSB_iPKfiiiSD_SD_iiiii,"axG",@progbits,_ZN4vllm25paged_attention_v2_kernelIfhLi64ELi8ELi128ELNS_18Fp8KVCacheDataTypeE1ELb1ELi512EEEvPfS2_PT_PKS3_PKT0_S9_ifPKiSB_iPKfiiiSD_SD_iiiii,comdat
	.protected	_ZN4vllm25paged_attention_v2_kernelIfhLi64ELi8ELi128ELNS_18Fp8KVCacheDataTypeE1ELb1ELi512EEEvPfS2_PT_PKS3_PKT0_S9_ifPKiSB_iPKfiiiSD_SD_iiiii ; -- Begin function _ZN4vllm25paged_attention_v2_kernelIfhLi64ELi8ELi128ELNS_18Fp8KVCacheDataTypeE1ELb1ELi512EEEvPfS2_PT_PKS3_PKT0_S9_ifPKiSB_iPKfiiiSD_SD_iiiii
	.globl	_ZN4vllm25paged_attention_v2_kernelIfhLi64ELi8ELi128ELNS_18Fp8KVCacheDataTypeE1ELb1ELi512EEEvPfS2_PT_PKS3_PKT0_S9_ifPKiSB_iPKfiiiSD_SD_iiiii
	.p2align	8
	.type	_ZN4vllm25paged_attention_v2_kernelIfhLi64ELi8ELi128ELNS_18Fp8KVCacheDataTypeE1ELb1ELi512EEEvPfS2_PT_PKS3_PKT0_S9_ifPKiSB_iPKfiiiSD_SD_iiiii,@function
_ZN4vllm25paged_attention_v2_kernelIfhLi64ELi8ELi128ELNS_18Fp8KVCacheDataTypeE1ELb1ELi512EEEvPfS2_PT_PKS3_PKT0_S9_ifPKiSB_iPKfiiiSD_SD_iiiii: ; @_ZN4vllm25paged_attention_v2_kernelIfhLi64ELi8ELi128ELNS_18Fp8KVCacheDataTypeE1ELb1ELi512EEEvPfS2_PT_PKS3_PKT0_S9_ifPKiSB_iPKfiiiSD_SD_iiiii
; %bb.0:
	s_load_b64 s[2:3], s[0:1], 0x40
	s_and_b32 s36, ttmp7, 0xffff
	s_lshr_b32 s35, ttmp7, 16
	s_lshl_b32 s4, s36, 2
	s_lshl_b32 s38, s35, 9
	s_wait_kmcnt 0x0
	s_load_b32 s33, s[2:3], s4 offset:0x0
	s_wait_kmcnt 0x0
	s_cmp_ge_i32 s38, s33
	s_cbranch_scc1 .LBB190_72
; %bb.1:
	s_clause 0x1
	s_load_b32 s37, s[0:1], 0x90
	s_load_b64 s[6:7], s[0:1], 0x30
	s_wait_kmcnt 0x0
	s_abs_i32 s5, s37
	s_abs_i32 s2, s6
	s_delay_alu instid0(SALU_CYCLE_1) | instskip(SKIP_1) | instid1(SALU_CYCLE_2)
	s_cvt_f32_u32 s3, s2
	s_sub_co_i32 s4, 0, s2
	v_rcp_iflag_f32_e32 v1, s3
	s_delay_alu instid0(TRANS32_DEP_1) | instskip(SKIP_2) | instid1(SALU_CYCLE_2)
	v_readfirstlane_b32 s3, v1
	s_mul_f32 s3, s3, 0x4f7ffffe
	s_wait_alu 0xfffe
	s_cvt_u32_f32 s3, s3
	s_wait_alu 0xfffe
	s_delay_alu instid0(SALU_CYCLE_2) | instskip(NEXT) | instid1(SALU_CYCLE_1)
	s_mul_i32 s4, s4, s3
	s_mul_hi_u32 s4, s3, s4
	s_delay_alu instid0(SALU_CYCLE_1)
	s_add_co_i32 s3, s3, s4
	s_xor_b32 s4, s37, s6
	s_wait_alu 0xfffe
	s_mul_hi_u32 s3, s5, s3
	s_ashr_i32 s4, s4, 31
	s_wait_alu 0xfffe
	s_mul_i32 s8, s3, s2
	s_delay_alu instid0(SALU_CYCLE_1)
	s_sub_co_i32 s5, s5, s8
	s_add_co_i32 s8, s3, 1
	s_sub_co_i32 s9, s5, s2
	s_cmp_ge_u32 s5, s2
	s_cselect_b32 s3, s8, s3
	s_cselect_b32 s5, s9, s5
	s_wait_alu 0xfffe
	s_add_co_i32 s8, s3, 1
	s_cmp_ge_u32 s5, s2
	s_mov_b32 s5, 0
	s_cselect_b32 s2, s8, s3
	s_load_b64 s[8:9], s[0:1], 0x50
	s_xor_b32 s2, s2, s4
	s_mov_b32 s18, s5
	s_wait_alu 0xfffe
	s_sub_co_i32 s11, s2, s4
	s_abs_i32 s4, ttmp9
	s_abs_i32 s10, s11
	s_delay_alu instid0(SALU_CYCLE_1) | instskip(SKIP_2) | instid1(SALU_CYCLE_1)
	s_cvt_f32_u32 s2, s10
	s_sub_co_i32 s3, 0, s10
	s_wait_alu 0xfffe
	v_rcp_iflag_f32_e32 v1, s2
	s_delay_alu instid0(TRANS32_DEP_1) | instskip(SKIP_2) | instid1(SALU_CYCLE_2)
	v_readfirstlane_b32 s2, v1
	s_mul_f32 s2, s2, 0x4f7ffffe
	s_wait_alu 0xfffe
	s_cvt_u32_f32 s2, s2
	s_wait_alu 0xfffe
	s_delay_alu instid0(SALU_CYCLE_2)
	s_mul_i32 s3, s3, s2
	s_wait_alu 0xfffe
	s_mul_hi_u32 s3, s2, s3
	s_wait_alu 0xfffe
	s_add_co_i32 s2, s2, s3
	s_mov_b32 s3, s5
	s_wait_kmcnt 0x0
	s_cmp_eq_u64 s[8:9], 0
	s_cbranch_scc1 .LBB190_3
; %bb.2:
	s_mov_b32 s12, ttmp9
	s_ashr_i32 s13, ttmp9, 31
	s_delay_alu instid0(SALU_CYCLE_1) | instskip(NEXT) | instid1(SALU_CYCLE_1)
	s_lshl_b64 s[12:13], s[12:13], 2
	s_add_nc_u64 s[8:9], s[8:9], s[12:13]
	s_load_b32 s18, s[8:9], 0x0
.LBB190_3:
	s_load_b96 s[20:22], s[0:1], 0x58
	s_mul_u64 s[2:3], s[4:5], s[2:3]
	v_and_b32_e32 v1, 3, v0
	v_cmp_gt_u32_e64 s2, 64, v0
	v_lshlrev_b32_e32 v5, 2, v0
	s_ashr_i32 s5, ttmp9, 31
	s_ashr_i32 s8, s11, 31
	s_lshl_b32 s24, ttmp9, 6
	s_wait_alu 0xfffe
	s_and_saveexec_b32 s9, s2
	s_cbranch_execz .LBB190_5
; %bb.4:
	s_load_b64 s[12:13], s[0:1], 0x18
	s_wait_kmcnt 0x0
	s_mul_i32 s14, s20, s36
	s_ashr_i32 s25, s24, 31
	s_ashr_i32 s15, s14, 31
	v_and_b32_e32 v3, 0x3fc, v0
	s_lshl_b64 s[14:15], s[14:15], 2
	s_delay_alu instid0(VALU_DEP_1) | instskip(SKIP_2) | instid1(SALU_CYCLE_1)
	v_lshl_add_u32 v3, v1, 6, v3
	s_add_nc_u64 s[12:13], s[12:13], s[14:15]
	s_lshl_b64 s[14:15], s[24:25], 2
	s_add_nc_u64 s[12:13], s[12:13], s[14:15]
	global_load_b32 v2, v5, s[12:13]
	s_wait_loadcnt 0x0
	ds_store_b32 v3, v2
.LBB190_5:
	s_or_b32 exec_lo, exec_lo, s9
	s_load_b128 s[12:15], s[0:1], 0x78
	s_mul_i32 s9, s3, s10
	s_xor_b32 s5, s5, s8
	s_sub_co_i32 s4, s4, s9
	s_add_co_i32 s8, s3, 1
	s_sub_co_i32 s9, s4, s10
	s_cmp_ge_u32 s4, s10
                                        ; implicit-def: $sgpr25
	s_cselect_b32 s3, s8, s3
	s_cselect_b32 s4, s9, s4
	s_wait_alu 0xfffe
	s_add_co_i32 s8, s3, 1
	s_cmp_ge_u32 s4, s10
	s_mov_b32 s9, -1
	s_cselect_b32 s4, s8, s3
	s_load_b32 s3, s[0:1], 0x88
	s_xor_b32 s4, s4, s5
	s_wait_dscnt 0x0
	s_sub_co_i32 s19, s4, s5
	s_barrier_signal -1
	s_barrier_wait -1
	s_wait_kmcnt 0x0
	s_abs_i32 s20, s15
	global_inv scope:SCOPE_SE
	s_cvt_f32_u32 s8, s20
	s_delay_alu instid0(SALU_CYCLE_3) | instskip(NEXT) | instid1(TRANS32_DEP_1)
	v_rcp_iflag_f32_e32 v2, s8
	v_readfirstlane_b32 s8, v2
	s_mul_f32 s4, s8, 0x4f7ffffe
	s_add_co_i32 s8, s33, -1
	s_delay_alu instid0(SALU_CYCLE_2) | instskip(SKIP_1) | instid1(SALU_CYCLE_2)
	s_cvt_u32_f32 s10, s4
	s_sub_co_i32 s4, 0, s20
	s_mul_i32 s5, s4, s10
	s_wait_alu 0xfffe
	s_abs_i32 s4, s8
	s_mul_hi_u32 s11, s10, s5
	s_mov_b32 s5, 0
	s_add_co_i32 s26, s10, s11
	s_cmp_lt_i32 s3, 0
	s_mov_b32 s27, s5
	s_cbranch_scc0 .LBB190_7
; %bb.6:
	s_mul_i32 s6, s12, s6
	s_mov_b32 s9, s5
	s_add_co_i32 s6, s19, s6
	s_delay_alu instid0(SALU_CYCLE_1) | instskip(NEXT) | instid1(SALU_CYCLE_1)
	s_mul_i32 s6, s6, s3
	s_sub_co_i32 s25, 1, s6
.LBB190_7:
	s_mul_u64 s[16:17], s[4:5], s[26:27]
	s_ashr_i32 s5, s8, 31
	s_wait_alu 0xfffe
	s_and_not1_b32 vcc_lo, exec_lo, s9
	s_ashr_i32 s27, s15, 31
	s_cbranch_vccnz .LBB190_9
; %bb.8:
	s_mul_i32 s6, s37, s12
	s_delay_alu instid0(SALU_CYCLE_1) | instskip(NEXT) | instid1(SALU_CYCLE_1)
	s_add_co_i32 s6, s6, ttmp9
	s_mul_i32 s3, s6, s3
	s_wait_alu 0xfffe
	s_add_co_i32 s25, s3, 1
.LBB190_9:
	s_clause 0x3
	s_load_b32 s3, s[0:1], 0x48
	s_load_b64 s[28:29], s[0:1], 0x38
	s_load_b32 s12, s[0:1], 0x98
	s_load_b128 s[8:11], s[0:1], 0x68
	s_mul_i32 s6, s17, s20
	s_xor_b32 s5, s5, s27
	s_sub_co_i32 s4, s4, s6
	s_add_co_i32 s15, s17, 1
	v_lshrrev_b32_e32 v11, 5, v0
	v_mov_b32_e32 v10, 0xff7fffff
	v_mbcnt_lo_u32_b32 v7, -1, 0
	s_mul_i32 s22, s19, s22
	s_delay_alu instid0(VALU_DEP_3)
	v_lshl_add_u32 v12, v11, 3, s38
	s_wait_kmcnt 0x0
	s_mul_i32 s30, s3, s36
	s_sub_co_i32 s3, s4, s20
	s_ashr_i32 s31, s30, 31
	s_cmp_ge_u32 s4, s20
	s_cselect_b32 s6, s15, s17
	s_wait_alu 0xfffe
	s_cselect_b32 s3, s3, s4
	s_add_co_i32 s4, s6, 1
	s_wait_alu 0xfffe
	s_cmp_ge_u32 s3, s20
	s_cselect_b32 s3, s4, s6
	s_add_co_i32 s4, s33, 7
	s_lshl_b32 s15, s35, 6
	s_ashr_i32 s6, s4, 31
	v_or_b32_e32 v13, s15, v11
	s_lshr_b32 s6, s6, 29
	s_delay_alu instid0(SALU_CYCLE_1)
	s_add_co_i32 s4, s4, s6
	s_add_co_i32 s6, s15, 64
	s_ashr_i32 s39, s4, 3
	s_wait_alu 0xfffe
	s_xor_b32 s4, s3, s5
	s_min_i32 s34, s6, s39
	v_lshlrev_b32_e32 v6, 2, v13
	v_cmp_gt_i32_e64 s3, s34, v13
	s_sub_co_i32 s40, s4, s5
	s_and_saveexec_b32 s16, s3
	s_cbranch_execz .LBB190_21
; %bb.10:
	s_sub_co_i32 s17, s40, s13
	s_ashr_i32 s23, s22, 31
	s_cmp_neq_f32 s18, 0
	s_load_b64 s[42:43], s[0:1], 0x20
	v_bfe_u32 v8, v0, 2, 3
	v_mov_b32_e32 v20, v13
	s_cselect_b32 vcc_lo, -1, 0
	s_abs_i32 s19, s14
	s_lshl_b64 s[44:45], s[30:31], 2
	s_cvt_f32_u32 s4, s19
	v_lshlrev_b32_e32 v3, 4, v8
	v_dual_mov_b32 v17, 0xff7fffff :: v_dual_lshlrev_b32 v4, 2, v8
	s_delay_alu instid0(SALU_CYCLE_1) | instskip(SKIP_2) | instid1(VALU_DEP_3)
	v_rcp_iflag_f32_e32 v2, s4
	v_subrev_nc_u32_e32 v10, s33, v8
	v_cmp_eq_u32_e64 s4, 0, v1
	v_lshl_or_b32 v16, v11, 5, v4
	v_lshlrev_b32_e32 v9, 6, v1
	s_add_nc_u64 s[44:45], s[28:29], s[44:45]
	s_sub_co_i32 s6, 0, s19
	v_lshl_add_u32 v14, v11, 3, s38
	v_add_nc_u32_e32 v15, 1, v10
	v_add_nc_u32_e32 v16, 0x120, v16
	v_readfirstlane_b32 s5, v2
	s_wait_kmcnt 0x0
	s_add_nc_u64 s[42:43], s[42:43], s[22:23]
	v_xor_b32_e32 v18, 2, v7
	v_add_co_u32 v2, s23, s42, v3
	s_mul_f32 s5, s5, 0x4f7ffffe
	v_add_co_ci_u32_e64 v3, null, s43, 0, s23
	v_xor_b32_e32 v19, 1, v7
	s_wait_alu 0xfffe
	s_cvt_u32_f32 s42, s5
	v_add_co_u32 v1, s5, v2, v1
	s_wait_alu 0xf1ff
	v_add_co_ci_u32_e64 v2, null, 0, v3, s5
	v_add_co_u32 v3, s5, s44, v6
	s_wait_alu 0xfffe
	s_mul_i32 s6, s6, s42
	v_add_co_ci_u32_e64 v4, null, s45, 0, s5
	v_mov_b32_e32 v10, 0xff7fffff
	s_mul_hi_u32 s5, s42, s6
	s_mov_b32 s41, 0
	s_mov_b32 s23, s21
	s_wait_alu 0xfffe
	s_add_co_i32 s42, s42, s5
	s_branch .LBB190_13
.LBB190_11:                             ;   in Loop: Header=BB190_13 Depth=1
	s_wait_alu 0xfffe
	s_or_b32 exec_lo, exec_lo, s43
.LBB190_12:                             ;   in Loop: Header=BB190_13 Depth=1
	s_wait_alu 0xfffe
	s_or_b32 exec_lo, exec_lo, s6
	v_add_nc_u32_e32 v20, 4, v20
	v_add_co_u32 v3, s6, v3, 16
	s_wait_alu 0xf1ff
	v_add_co_ci_u32_e64 v4, null, 0, v4, s6
	s_delay_alu instid0(VALU_DEP_3) | instskip(SKIP_3) | instid1(SALU_CYCLE_1)
	v_cmp_le_i32_e64 s5, s34, v20
	v_add_nc_u32_e32 v14, 32, v14
	v_add_nc_u32_e32 v16, 0x80, v16
	s_or_b32 s41, s5, s41
	s_and_not1_b32 exec_lo, exec_lo, s41
	s_cbranch_execz .LBB190_20
.LBB190_13:                             ; =>This Inner Loop Header: Depth=1
	v_sub_nc_u32_e32 v21, 0, v14
	s_delay_alu instid0(VALU_DEP_1) | instskip(SKIP_1) | instid1(VALU_DEP_1)
	v_max_i32_e32 v21, v14, v21
	s_wait_dscnt 0x0
	v_mul_hi_u32 v22, v21, s26
	s_delay_alu instid0(VALU_DEP_1) | instskip(NEXT) | instid1(VALU_DEP_1)
	v_mul_lo_u32 v23, v22, s20
	v_sub_nc_u32_e32 v21, v21, v23
	v_add_nc_u32_e32 v23, 1, v22
	s_delay_alu instid0(VALU_DEP_2) | instskip(SKIP_2) | instid1(VALU_DEP_1)
	v_subrev_nc_u32_e32 v24, s20, v21
	v_cmp_le_u32_e64 s5, s20, v21
	s_wait_alu 0xf1ff
	v_cndmask_b32_e64 v22, v22, v23, s5
	s_delay_alu instid0(VALU_DEP_3) | instskip(SKIP_1) | instid1(VALU_DEP_3)
	v_cndmask_b32_e64 v21, v21, v24, s5
	v_ashrrev_i32_e32 v23, 31, v14
	v_add_nc_u32_e32 v24, 1, v22
	s_delay_alu instid0(VALU_DEP_3) | instskip(NEXT) | instid1(VALU_DEP_3)
	v_cmp_le_u32_e64 s5, s20, v21
	v_xor_b32_e32 v23, s27, v23
	s_wait_alu 0xf1ff
	s_delay_alu instid0(VALU_DEP_2) | instskip(NEXT) | instid1(VALU_DEP_1)
	v_cndmask_b32_e64 v21, v22, v24, s5
	v_xor_b32_e32 v21, v21, v23
	s_delay_alu instid0(VALU_DEP_1) | instskip(NEXT) | instid1(VALU_DEP_1)
	v_sub_nc_u32_e32 v21, v21, v23
	v_add_nc_u32_e32 v22, s25, v21
	v_cmp_ge_i32_e64 s6, s17, v21
	s_delay_alu instid0(VALU_DEP_2) | instskip(NEXT) | instid1(VALU_DEP_1)
	v_sub_nc_u32_e32 v23, 0, v22
	v_max_i32_e32 v23, v22, v23
	v_ashrrev_i32_e32 v22, 31, v22
	s_wait_alu 0xfffe
	s_delay_alu instid0(VALU_DEP_2) | instskip(NEXT) | instid1(VALU_DEP_1)
	v_mul_hi_u32 v24, v23, s42
	v_mul_lo_u32 v24, v24, s19
	s_delay_alu instid0(VALU_DEP_1) | instskip(NEXT) | instid1(VALU_DEP_1)
	v_sub_nc_u32_e32 v23, v23, v24
	v_subrev_nc_u32_e32 v24, s19, v23
	v_cmp_le_u32_e64 s5, s19, v23
	s_wait_alu 0xf1ff
	s_delay_alu instid0(VALU_DEP_1) | instskip(NEXT) | instid1(VALU_DEP_1)
	v_cndmask_b32_e64 v23, v23, v24, s5
	v_subrev_nc_u32_e32 v24, s19, v23
	v_cmp_le_u32_e64 s5, s19, v23
	s_wait_alu 0xf1ff
	s_delay_alu instid0(VALU_DEP_1) | instskip(NEXT) | instid1(VALU_DEP_1)
	v_cndmask_b32_e64 v23, v23, v24, s5
	v_xor_b32_e32 v23, v23, v22
	s_delay_alu instid0(VALU_DEP_1) | instskip(NEXT) | instid1(VALU_DEP_1)
	v_sub_nc_u32_e32 v22, v23, v22
	v_cmp_ne_u32_e64 s5, 0, v22
	s_and_b32 s5, s5, s6
	s_wait_alu 0xfffe
	s_and_saveexec_b32 s6, s5
	s_wait_alu 0xfffe
	s_xor_b32 s5, exec_lo, s6
	s_cbranch_execz .LBB190_17
; %bb.14:                               ;   in Loop: Header=BB190_13 Depth=1
	s_and_saveexec_b32 s6, s4
; %bb.15:                               ;   in Loop: Header=BB190_13 Depth=1
	ds_store_b32 v16, v17
; %bb.16:                               ;   in Loop: Header=BB190_13 Depth=1
	s_wait_alu 0xfffe
	s_or_b32 exec_lo, exec_lo, s6
.LBB190_17:                             ;   in Loop: Header=BB190_13 Depth=1
	s_wait_alu 0xfffe
	s_and_not1_saveexec_b32 s6, s5
	s_cbranch_execz .LBB190_12
; %bb.18:                               ;   in Loop: Header=BB190_13 Depth=1
	global_load_b32 v21, v[3:4], off
	v_cmp_gt_i32_e64 s5, 32, v18
	s_wait_loadcnt 0x0
	v_mad_co_i64_i32 v[21:22], null, v21, s23, v[1:2]
	s_clause 0xf
	global_load_u8 v25, v[21:22], off offset:4
	global_load_u8 v26, v[21:22], off
	global_load_u8 v29, v[21:22], off offset:8
	global_load_u8 v30, v[21:22], off offset:12
	;; [unrolled: 1-line block ×14, first 2 shown]
	s_load_b32 s43, s[8:9], 0x0
	ds_load_b128 v[21:24], v9
	s_wait_loadcnt 0xf
	v_cvt_f32_fp8_e32 v25, v25
	s_wait_loadcnt 0xe
	v_cvt_f32_fp8_e32 v43, v26
	;; [unrolled: 2-line block ×3, first 2 shown]
	s_wait_kmcnt 0x0
	s_delay_alu instid0(VALU_DEP_2)
	v_dual_mul_f32 v44, s43, v25 :: v_dual_mul_f32 v43, s43, v43
	ds_load_b128 v[25:28], v9 offset:16
	s_wait_dscnt 0x1
	v_mul_f32_e32 v44, v22, v44
	v_mul_f32_e32 v22, s43, v29
	s_wait_loadcnt 0xc
	v_cvt_f32_fp8_e32 v29, v30
	s_delay_alu instid0(VALU_DEP_1) | instskip(SKIP_4) | instid1(VALU_DEP_1)
	v_dual_mul_f32 v29, s43, v29 :: v_dual_fmac_f32 v44, v21, v43
	s_wait_loadcnt 0xb
	v_cvt_f32_fp8_e32 v21, v31
	s_wait_loadcnt 0xa
	v_cvt_f32_fp8_e32 v31, v32
	v_dual_mul_f32 v30, s43, v21 :: v_dual_mul_f32 v31, s43, v31
	v_fmac_f32_e32 v44, v23, v22
	s_delay_alu instid0(VALU_DEP_1) | instskip(SKIP_4) | instid1(VALU_DEP_1)
	v_fmac_f32_e32 v44, v24, v29
	ds_load_b128 v[21:24], v9 offset:32
	s_wait_loadcnt 0x9
	v_cvt_f32_fp8_e32 v29, v33
	s_wait_dscnt 0x1
	v_dual_fmac_f32 v44, v25, v30 :: v_dual_mul_f32 v25, s43, v29
	s_wait_loadcnt 0x8
	v_cvt_f32_fp8_e32 v29, v34
	s_delay_alu instid0(VALU_DEP_2)
	v_fmac_f32_e32 v44, v26, v31
	s_wait_loadcnt 0x7
	v_cvt_f32_fp8_e32 v26, v35
	s_wait_loadcnt 0x6
	v_cvt_f32_fp8_e32 v31, v36
	v_mul_f32_e32 v29, s43, v29
	v_fmac_f32_e32 v44, v27, v25
	s_delay_alu instid0(VALU_DEP_3) | instskip(NEXT) | instid1(VALU_DEP_2)
	v_dual_mul_f32 v30, s43, v26 :: v_dual_mul_f32 v31, s43, v31
	v_fmac_f32_e32 v44, v28, v29
	ds_load_b128 v[25:28], v9 offset:48
	s_wait_loadcnt 0x5
	v_cvt_f32_fp8_e32 v29, v37
	s_wait_dscnt 0x1
	s_delay_alu instid0(VALU_DEP_1) | instskip(SKIP_2) | instid1(VALU_DEP_2)
	v_dual_fmac_f32 v44, v21, v30 :: v_dual_mul_f32 v21, s43, v29
	s_wait_loadcnt 0x4
	v_cvt_f32_fp8_e32 v29, v38
	v_fmac_f32_e32 v44, v22, v31
	s_wait_loadcnt 0x3
	v_cvt_f32_fp8_e32 v22, v39
	s_delay_alu instid0(VALU_DEP_3) | instskip(NEXT) | instid1(VALU_DEP_2)
	v_mul_f32_e32 v29, s43, v29
	v_dual_fmac_f32 v44, v23, v21 :: v_dual_mul_f32 v21, s43, v22
	s_wait_loadcnt 0x2
	v_cvt_f32_fp8_e32 v22, v40
	s_wait_loadcnt 0x1
	v_cvt_f32_fp8_e32 v23, v41
	v_fmac_f32_e32 v44, v24, v29
	s_delay_alu instid0(VALU_DEP_3) | instskip(SKIP_1) | instid1(VALU_DEP_2)
	v_mul_f32_e32 v22, s43, v22
	s_wait_dscnt 0x0
	v_dual_fmac_f32 v44, v25, v21 :: v_dual_mul_f32 v21, s43, v23
	s_wait_loadcnt 0x0
	v_cvt_f32_fp8_e32 v23, v42
	s_delay_alu instid0(VALU_DEP_2) | instskip(SKIP_1) | instid1(VALU_DEP_3)
	v_fmac_f32_e32 v44, v26, v22
	v_cndmask_b32_e64 v22, v7, v18, s5
	v_mul_f32_e32 v23, s43, v23
	v_cmp_gt_i32_e64 s5, 32, v19
	s_delay_alu instid0(VALU_DEP_3) | instskip(SKIP_1) | instid1(VALU_DEP_2)
	v_dual_fmac_f32 v44, v27, v21 :: v_dual_lshlrev_b32 v21, 2, v22
	s_wait_alu 0xf1ff
	v_cndmask_b32_e64 v22, v7, v19, s5
	s_delay_alu instid0(VALU_DEP_2) | instskip(NEXT) | instid1(VALU_DEP_2)
	v_fmac_f32_e32 v44, v28, v23
	v_lshlrev_b32_e32 v22, 2, v22
	ds_bpermute_b32 v21, v21, v44
	s_wait_dscnt 0x0
	v_add_f32_e32 v21, v44, v21
	ds_bpermute_b32 v22, v22, v21
	s_and_saveexec_b32 s43, s4
	s_cbranch_execz .LBB190_11
; %bb.19:                               ;   in Loop: Header=BB190_13 Depth=1
	s_wait_dscnt 0x0
	v_add_f32_e32 v21, v21, v22
	v_add_nc_u32_e32 v23, v15, v14
	s_delay_alu instid0(VALU_DEP_1) | instskip(NEXT) | instid1(VALU_DEP_1)
	v_cvt_f32_i32_e32 v23, v23
	v_mul_f32_e32 v23, s18, v23
	s_delay_alu instid0(VALU_DEP_1) | instskip(NEXT) | instid1(VALU_DEP_1)
	v_dual_cndmask_b32 v22, 0, v23 :: v_dual_max_num_f32 v23, v10, v10
	v_dual_fmac_f32 v22, s7, v21 :: v_dual_add_nc_u32 v21, v8, v14
	s_delay_alu instid0(VALU_DEP_1) | instskip(NEXT) | instid1(VALU_DEP_2)
	v_max_num_f32_e32 v23, v23, v22
	v_cmp_gt_i32_e64 s5, s33, v21
	s_wait_alu 0xf1ff
	s_delay_alu instid0(VALU_DEP_1) | instskip(NEXT) | instid1(VALU_DEP_3)
	v_cndmask_b32_e64 v21, 0, v22, s5
	v_cndmask_b32_e64 v10, v10, v23, s5
	ds_store_b32 v16, v21
	s_branch .LBB190_11
.LBB190_20:
	s_or_b32 exec_lo, exec_lo, s41
.LBB190_21:
	s_delay_alu instid0(SALU_CYCLE_1)
	s_or_b32 exec_lo, exec_lo, s16
	v_xor_b32_e32 v1, 16, v7
	v_xor_b32_e32 v3, 8, v7
	s_clause 0x2
	s_load_b128 s[16:19], s[0:1], 0x0
	s_load_b64 s[6:7], s[0:1], 0x10
	s_load_b64 s[8:9], s[0:1], 0x28
	v_max_num_f32_e32 v8, v10, v10
	v_and_b32_e32 v14, 31, v0
	v_cmp_gt_i32_e32 vcc_lo, 32, v1
	s_wait_alu 0xfffd
	v_cndmask_b32_e32 v1, v7, v1, vcc_lo
	v_cmp_gt_i32_e32 vcc_lo, 32, v3
	s_wait_alu 0xfffd
	s_delay_alu instid0(VALU_DEP_2) | instskip(SKIP_3) | instid1(VALU_DEP_1)
	v_dual_cndmask_b32 v3, v7, v3 :: v_dual_lshlrev_b32 v2, 2, v1
	ds_bpermute_b32 v1, v2, v10
	s_wait_dscnt 0x0
	v_dual_max_num_f32 v1, v1, v1 :: v_dual_lshlrev_b32 v4, 2, v3
	v_max_num_f32_e32 v1, v8, v1
	v_xor_b32_e32 v8, 4, v7
	s_delay_alu instid0(VALU_DEP_1)
	v_cmp_gt_i32_e32 vcc_lo, 32, v8
	s_wait_alu 0xfffd
	v_cndmask_b32_e32 v8, v7, v8, vcc_lo
	ds_bpermute_b32 v3, v4, v1
	v_cmp_eq_u32_e32 vcc_lo, 0, v14
	v_lshlrev_b32_e32 v10, 2, v8
	v_lshlrev_b32_e32 v8, 2, v11
	s_wait_dscnt 0x0
	v_max_num_f32_e32 v3, v3, v3
	s_delay_alu instid0(VALU_DEP_1)
	v_max_num_f32_e32 v1, v1, v3
	ds_bpermute_b32 v3, v10, v1
	s_and_saveexec_b32 s0, vcc_lo
	s_cbranch_execz .LBB190_23
; %bb.22:
	s_wait_dscnt 0x0
	v_max_num_f32_e32 v3, v3, v3
	v_max_num_f32_e32 v1, v1, v1
	s_delay_alu instid0(VALU_DEP_1)
	v_max_num_f32_e32 v1, v1, v3
	ds_store_b32 v8, v1 offset:256
.LBB190_23:
	s_or_b32 exec_lo, exec_lo, s0
	v_cmp_gt_u32_e64 s0, 4, v14
	v_mov_b32_e32 v1, 0xff7fffff
	v_lshlrev_b32_e32 v9, 2, v14
	s_wait_loadcnt_dscnt 0x0
	s_barrier_signal -1
	s_barrier_wait -1
	global_inv scope:SCOPE_SE
	s_and_saveexec_b32 s1, s0
; %bb.24:
	ds_load_b32 v1, v9 offset:256
; %bb.25:
	s_or_b32 exec_lo, exec_lo, s1
	v_xor_b32_e32 v3, 2, v7
	v_xor_b32_e32 v15, 1, v7
	s_delay_alu instid0(VALU_DEP_2) | instskip(NEXT) | instid1(VALU_DEP_1)
	v_cmp_gt_i32_e64 s1, 32, v3
	v_cndmask_b32_e64 v3, v7, v3, s1
	s_delay_alu instid0(VALU_DEP_3) | instskip(NEXT) | instid1(VALU_DEP_2)
	v_cmp_gt_i32_e64 s1, 32, v15
	v_lshlrev_b32_e32 v16, 2, v3
	s_wait_alu 0xf1ff
	s_delay_alu instid0(VALU_DEP_2)
	v_cndmask_b32_e64 v7, v7, v15, s1
	s_sub_co_i32 s1, s34, s15
	s_wait_alu 0xfffe
	s_lshl_b32 s1, s1, 3
	s_wait_dscnt 0x0
	ds_bpermute_b32 v3, v16, v1
	v_max_num_f32_e32 v1, v1, v1
	v_lshlrev_b32_e32 v15, 2, v7
	v_mov_b32_e32 v7, 0
	s_wait_alu 0xfffe
	s_add_co_i32 s1, s1, s38
	s_wait_alu 0xfffe
	s_min_i32 s1, s1, s33
	s_wait_alu 0xfffe
	s_sub_co_i32 s5, s1, s38
	s_wait_alu 0xfffe
	v_cmp_gt_i32_e64 s1, s5, v0
	s_wait_dscnt 0x0
	v_max_num_f32_e32 v3, v3, v3
	s_delay_alu instid0(VALU_DEP_1) | instskip(SKIP_3) | instid1(VALU_DEP_1)
	v_max_num_f32_e32 v1, v1, v3
	ds_bpermute_b32 v3, v15, v1
	s_wait_dscnt 0x0
	v_max_num_f32_e32 v3, v3, v3
	v_max_num_f32_e32 v1, v1, v3
	v_lshl_add_u32 v3, v0, 2, 0x120
	ds_bpermute_b32 v1, v7, v1
	s_and_saveexec_b32 s23, s1
	s_cbranch_execz .LBB190_29
; %bb.26:
	v_lshl_add_u32 v17, v0, 2, 0x120
	v_dual_mov_b32 v7, 0 :: v_dual_mov_b32 v18, v0
	s_mov_b32 s38, 0
.LBB190_27:                             ; =>This Inner Loop Header: Depth=1
	ds_load_b32 v19, v17
	v_add_nc_u32_e32 v18, 0x80, v18
	s_delay_alu instid0(VALU_DEP_1) | instskip(SKIP_4) | instid1(VALU_DEP_1)
	v_cmp_le_i32_e64 s4, s5, v18
	s_wait_alu 0xfffe
	s_or_b32 s38, s4, s38
	s_wait_dscnt 0x0
	v_sub_f32_e32 v19, v19, v1
	v_mul_f32_e32 v19, 0x3fb8aa3b, v19
	s_delay_alu instid0(VALU_DEP_1)
	v_exp_f32_e32 v19, v19
	ds_store_b32 v17, v19
	v_add_f32_e32 v7, v7, v19
	v_add_nc_u32_e32 v17, 0x200, v17
	s_wait_alu 0xfffe
	s_and_not1_b32 exec_lo, exec_lo, s38
	s_cbranch_execnz .LBB190_27
; %bb.28:
	s_or_b32 exec_lo, exec_lo, s38
.LBB190_29:
	s_wait_alu 0xfffe
	s_or_b32 exec_lo, exec_lo, s23
	ds_bpermute_b32 v2, v2, v7
	s_wait_dscnt 0x0
	v_add_f32_e32 v2, v7, v2
	ds_bpermute_b32 v4, v4, v2
	s_wait_dscnt 0x0
	v_add_f32_e32 v2, v2, v4
	;; [unrolled: 3-line block ×5, first 2 shown]
	s_and_saveexec_b32 s4, vcc_lo
; %bb.30:
	ds_store_b32 v8, v2 offset:272
; %bb.31:
	s_wait_alu 0xfffe
	s_or_b32 exec_lo, exec_lo, s4
	s_wait_loadcnt_dscnt 0x0
	s_barrier_signal -1
	s_barrier_wait -1
	global_inv scope:SCOPE_SE
	s_and_saveexec_b32 s4, s0
; %bb.32:
	ds_load_b32 v2, v9 offset:272
; %bb.33:
	s_wait_alu 0xfffe
	s_or_b32 exec_lo, exec_lo, s4
	s_wait_dscnt 0x0
	ds_bpermute_b32 v4, v16, v2
	s_wait_dscnt 0x0
	v_add_f32_e32 v2, v2, v4
	ds_bpermute_b32 v4, v15, v2
	s_wait_dscnt 0x0
	v_add_f32_e32 v2, v2, v4
	v_mov_b32_e32 v4, 0
	ds_bpermute_b32 v2, v4, v2
	s_and_saveexec_b32 s0, s1
	s_cbranch_execz .LBB190_36
; %bb.34:
	s_wait_dscnt 0x0
	v_add_f32_e32 v4, 0x358637bd, v2
	s_mov_b32 s1, 0
	s_delay_alu instid0(VALU_DEP_1) | instskip(SKIP_1) | instid1(VALU_DEP_2)
	v_div_scale_f32 v7, null, v4, v4, 1.0
	v_div_scale_f32 v10, vcc_lo, 1.0, v4, 1.0
	v_rcp_f32_e32 v8, v7
	s_delay_alu instid0(TRANS32_DEP_1) | instskip(NEXT) | instid1(VALU_DEP_1)
	v_fma_f32 v9, -v7, v8, 1.0
	v_fmac_f32_e32 v8, v9, v8
	s_delay_alu instid0(VALU_DEP_1) | instskip(NEXT) | instid1(VALU_DEP_1)
	v_mul_f32_e32 v9, v10, v8
	v_fma_f32 v16, -v7, v9, v10
	s_delay_alu instid0(VALU_DEP_1) | instskip(NEXT) | instid1(VALU_DEP_1)
	v_fmac_f32_e32 v9, v16, v8
	v_fma_f32 v7, -v7, v9, v10
	s_wait_alu 0xfffd
	s_delay_alu instid0(VALU_DEP_1) | instskip(NEXT) | instid1(VALU_DEP_1)
	v_div_fmas_f32 v7, v7, v8, v9
	v_div_fixup_f32 v4, v7, v4, 1.0
	v_mov_b32_e32 v7, v0
.LBB190_35:                             ; =>This Inner Loop Header: Depth=1
	ds_load_b32 v8, v3
	s_wait_dscnt 0x0
	v_dual_mul_f32 v8, v4, v8 :: v_dual_add_nc_u32 v7, 0x80, v7
	s_delay_alu instid0(VALU_DEP_1)
	v_cmp_le_i32_e32 vcc_lo, s5, v7
	ds_store_b32 v3, v8
	v_add_nc_u32_e32 v3, 0x200, v3
	s_wait_alu 0xfffe
	s_or_b32 s1, vcc_lo, s1
	s_wait_alu 0xfffe
	s_and_not1_b32 exec_lo, exec_lo, s1
	s_cbranch_execnz .LBB190_35
.LBB190_36:
	s_wait_alu 0xfffe
	s_or_b32 exec_lo, exec_lo, s0
	s_mul_i32 s0, s12, s36
	s_wait_loadcnt_dscnt 0x0
	s_wait_alu 0xfffe
	s_mul_i32 s4, s0, s37
	s_mov_b32 s0, exec_lo
	s_barrier_signal -1
	s_barrier_wait -1
	global_inv scope:SCOPE_SE
	v_cmpx_eq_u32_e32 0, v0
	s_cbranch_execz .LBB190_38
; %bb.37:
	s_wait_alu 0xfffe
	s_ashr_i32 s5, s4, 31
	s_mul_i32 s36, s12, ttmp9
	s_lshl_b32 s1, s35, 2
	s_wait_alu 0xfffe
	s_lshl_b64 s[42:43], s[4:5], 2
	s_ashr_i32 s37, s36, 31
	v_mov_b32_e32 v3, s1
	s_wait_kmcnt 0x0
	s_wait_alu 0xfffe
	s_add_nc_u64 s[18:19], s[18:19], s[42:43]
	s_lshl_b64 s[36:37], s[36:37], 2
	s_add_nc_u64 s[16:17], s[16:17], s[42:43]
	s_wait_alu 0xfffe
	s_add_nc_u64 s[18:19], s[18:19], s[36:37]
	s_add_nc_u64 s[16:17], s[16:17], s[36:37]
	s_clause 0x1
	global_store_b32 v3, v1, s[18:19]
	global_store_b32 v3, v2, s[16:17]
.LBB190_38:
	s_wait_alu 0xfffe
	s_or_b32 exec_lo, exec_lo, s0
	v_dual_mov_b32 v20, 0 :: v_dual_mov_b32 v21, 0
	v_dual_mov_b32 v17, 0 :: v_dual_and_b32 v16, 1, v0
	v_mov_b32_e32 v18, 0
	s_and_saveexec_b32 s1, s3
	s_cbranch_execz .LBB190_52
; %bb.39:
	s_abs_i32 s3, s14
	v_dual_mov_b32 v20, 0 :: v_dual_lshlrev_b32 v3, 4, v16
	s_wait_alu 0xfffe
	s_cvt_f32_u32 s0, s3
	v_dual_mov_b32 v17, 0 :: v_dual_and_b32 v2, 0x7c, v5
	s_ashr_i32 s23, s22, 31
	s_wait_alu 0xfffe
	v_rcp_iflag_f32_e32 v1, s0
	s_wait_kmcnt 0x0
	s_lshl_b64 s[16:17], s[30:31], 2
	s_add_nc_u64 s[8:9], s[8:9], s[22:23]
	s_wait_alu 0xfffe
	s_add_nc_u64 s[16:17], s[28:29], s[16:17]
	s_sub_co_i32 s14, 0, s3
	v_dual_mov_b32 v18, 0 :: v_dual_and_b32 v19, 4, v5
	s_wait_alu 0xfffe
	v_add_co_u32 v5, s16, s16, v6
	v_add_co_u32 v7, s8, s8, v2
	v_readfirstlane_b32 s0, v1
	v_lshl_or_b32 v1, v11, 5, v3
	s_wait_alu 0xf1ff
	v_add_co_ci_u32_e64 v6, null, s17, 0, s16
	v_add_co_ci_u32_e64 v8, null, s9, 0, s8
	s_mul_f32 s0, s0, 0x4f7ffffe
	v_dual_mov_b32 v21, 0 :: v_dual_add_nc_u32 v22, 0x120, v1
	s_sub_co_i32 s5, s40, s13
	s_wait_alu 0xfffe
	s_cvt_u32_f32 s0, s0
	s_mov_b32 s13, s21
	s_add_co_i32 s39, s39, -1
	s_mov_b32 s8, 0
	s_wait_alu 0xfffe
	s_mul_i32 s14, s14, s0
	s_wait_alu 0xfffe
	s_mul_hi_u32 s9, s0, s14
	s_wait_alu 0xfffe
	s_add_co_i32 s9, s0, s9
	s_branch .LBB190_42
.LBB190_40:                             ;   in Loop: Header=BB190_42 Depth=1
	s_wait_alu 0xfffe
	s_or_b32 exec_lo, exec_lo, s0
	s_wait_dscnt 0x0
	v_mul_f32_e32 v26, v1, v26
	s_delay_alu instid0(VALU_DEP_1) | instskip(SKIP_1) | instid1(VALU_DEP_2)
	v_dual_mul_f32 v27, v1, v38 :: v_dual_fmac_f32 v26, v2, v25
	v_mul_f32_e32 v29, v1, v34
	v_dual_fmac_f32 v27, v2, v37 :: v_dual_fmac_f32 v26, v3, v24
	v_mul_f32_e32 v1, v1, v40
	s_delay_alu instid0(VALU_DEP_2) | instskip(NEXT) | instid1(VALU_DEP_4)
	v_dual_fmac_f32 v27, v3, v36 :: v_dual_fmac_f32 v26, v4, v23
	v_fmac_f32_e32 v29, v2, v33
	s_delay_alu instid0(VALU_DEP_3) | instskip(NEXT) | instid1(VALU_DEP_3)
	v_fmac_f32_e32 v1, v2, v39
	v_fmac_f32_e32 v27, v4, v35
	s_delay_alu instid0(VALU_DEP_3) | instskip(NEXT) | instid1(VALU_DEP_2)
	v_dual_add_f32 v20, v20, v26 :: v_dual_fmac_f32 v29, v3, v32
	v_dual_fmac_f32 v1, v3, v10 :: v_dual_add_f32 v18, v18, v27
	s_delay_alu instid0(VALU_DEP_2) | instskip(NEXT) | instid1(VALU_DEP_2)
	v_fmac_f32_e32 v29, v4, v28
	v_fmac_f32_e32 v1, v4, v9
	s_delay_alu instid0(VALU_DEP_2) | instskip(NEXT) | instid1(VALU_DEP_2)
	v_add_f32_e32 v21, v21, v29
	v_add_f32_e32 v17, v17, v1
.LBB190_41:                             ;   in Loop: Header=BB190_42 Depth=1
	s_wait_alu 0xfffe
	s_or_b32 exec_lo, exec_lo, s14
	v_add_nc_u32_e32 v13, 4, v13
	v_add_co_u32 v5, s0, v5, 16
	s_wait_alu 0xf1ff
	v_add_co_ci_u32_e64 v6, null, 0, v6, s0
	s_delay_alu instid0(VALU_DEP_3)
	v_cmp_le_i32_e32 vcc_lo, s34, v13
	v_add_nc_u32_e32 v12, 32, v12
	v_add_nc_u32_e32 v22, 0x80, v22
	s_or_b32 s8, vcc_lo, s8
	s_wait_alu 0xfffe
	s_and_not1_b32 exec_lo, exec_lo, s8
	s_cbranch_execz .LBB190_51
.LBB190_42:                             ; =>This Inner Loop Header: Depth=1
	v_sub_nc_u32_e32 v1, 0, v12
	s_delay_alu instid0(VALU_DEP_1) | instskip(NEXT) | instid1(VALU_DEP_1)
	v_max_i32_e32 v1, v12, v1
	v_mul_hi_u32 v2, v1, s26
	s_delay_alu instid0(VALU_DEP_1) | instskip(NEXT) | instid1(VALU_DEP_1)
	v_mul_lo_u32 v3, v2, s20
	v_sub_nc_u32_e32 v1, v1, v3
	v_add_nc_u32_e32 v3, 1, v2
	s_delay_alu instid0(VALU_DEP_2) | instskip(SKIP_2) | instid1(VALU_DEP_2)
	v_subrev_nc_u32_e32 v4, s20, v1
	v_cmp_le_u32_e32 vcc_lo, s20, v1
	s_wait_alu 0xfffd
	v_dual_cndmask_b32 v2, v2, v3 :: v_dual_cndmask_b32 v1, v1, v4
	v_ashrrev_i32_e32 v3, 31, v12
	s_delay_alu instid0(VALU_DEP_2) | instskip(NEXT) | instid1(VALU_DEP_3)
	v_add_nc_u32_e32 v4, 1, v2
	v_cmp_le_u32_e32 vcc_lo, s20, v1
	s_delay_alu instid0(VALU_DEP_3) | instskip(SKIP_1) | instid1(VALU_DEP_3)
	v_xor_b32_e32 v3, s27, v3
	s_wait_alu 0xfffd
	v_cndmask_b32_e32 v1, v2, v4, vcc_lo
	s_delay_alu instid0(VALU_DEP_1) | instskip(NEXT) | instid1(VALU_DEP_1)
	v_xor_b32_e32 v1, v1, v3
	v_sub_nc_u32_e32 v1, v1, v3
	s_delay_alu instid0(VALU_DEP_1) | instskip(SKIP_1) | instid1(VALU_DEP_2)
	v_add_nc_u32_e32 v2, s25, v1
	v_cmp_lt_i32_e64 s0, s5, v1
	v_sub_nc_u32_e32 v3, 0, v2
	s_delay_alu instid0(VALU_DEP_1) | instskip(SKIP_1) | instid1(VALU_DEP_1)
	v_max_i32_e32 v3, v2, v3
	s_wait_alu 0xfffe
	v_mul_hi_u32 v4, v3, s9
	s_delay_alu instid0(VALU_DEP_1) | instskip(NEXT) | instid1(VALU_DEP_1)
	v_mul_lo_u32 v4, v4, s3
	v_sub_nc_u32_e32 v3, v3, v4
	s_delay_alu instid0(VALU_DEP_1) | instskip(SKIP_2) | instid1(VALU_DEP_2)
	v_subrev_nc_u32_e32 v4, s3, v3
	v_cmp_le_u32_e32 vcc_lo, s3, v3
	s_wait_alu 0xfffd
	v_cndmask_b32_e32 v3, v3, v4, vcc_lo
	v_ashrrev_i32_e32 v2, 31, v2
	s_delay_alu instid0(VALU_DEP_2) | instskip(SKIP_2) | instid1(VALU_DEP_2)
	v_subrev_nc_u32_e32 v4, s3, v3
	v_cmp_le_u32_e32 vcc_lo, s3, v3
	s_wait_alu 0xfffd
	v_cndmask_b32_e32 v3, v3, v4, vcc_lo
	s_delay_alu instid0(VALU_DEP_1) | instskip(NEXT) | instid1(VALU_DEP_1)
	v_xor_b32_e32 v3, v3, v2
	v_sub_nc_u32_e32 v2, v3, v2
	s_delay_alu instid0(VALU_DEP_1)
	v_cmp_eq_u32_e32 vcc_lo, 0, v2
	s_or_b32 s0, vcc_lo, s0
	s_wait_alu 0xfffe
	s_and_saveexec_b32 s14, s0
	s_cbranch_execz .LBB190_41
; %bb.43:                               ;   in Loop: Header=BB190_42 Depth=1
	global_load_b32 v1, v[5:6], off
	s_load_b32 s16, s[10:11], 0x0
	v_cmp_eq_u32_e32 vcc_lo, s39, v13
	s_wait_loadcnt 0x0
	v_mad_co_i64_i32 v[9:10], null, v1, s13, v[7:8]
	ds_load_b128 v[1:4], v22
	global_load_b32 v23, v[9:10], off
	s_wait_loadcnt 0x0
	v_lshrrev_b32_e32 v25, 16, v23
	s_delay_alu instid0(VALU_DEP_1) | instskip(SKIP_1) | instid1(VALU_DEP_1)
	v_cvt_pk_f32_fp8_e32 v[31:32], v25
	v_and_b32_e32 v24, 0xffff, v23
	v_cvt_pk_f32_fp8_e32 v[23:24], v24
	s_wait_kmcnt 0x0
	s_delay_alu instid0(VALU_DEP_1) | instskip(NEXT) | instid1(VALU_DEP_1)
	v_dual_mul_f32 v26, s16, v23 :: v_dual_add_nc_u32 v27, v19, v12
	v_dual_mul_f32 v25, s16, v24 :: v_dual_add_nc_u32 v30, 1, v27
	v_add_nc_u32_e32 v29, 2, v27
	v_dual_mul_f32 v24, s16, v31 :: v_dual_mul_f32 v23, s16, v32
	v_add_nc_u32_e32 v31, 3, v27
	s_and_saveexec_b32 s17, vcc_lo
	s_cbranch_execz .LBB190_45
; %bb.44:                               ;   in Loop: Header=BB190_42 Depth=1
	v_cmp_gt_i32_e64 s0, s33, v27
	s_wait_alu 0xf1ff
	s_delay_alu instid0(VALU_DEP_1) | instskip(SKIP_2) | instid1(VALU_DEP_1)
	v_cndmask_b32_e64 v26, 0, v26, s0
	v_cmp_gt_i32_e64 s0, s33, v30
	s_wait_alu 0xf1ff
	v_cndmask_b32_e64 v25, 0, v25, s0
	v_cmp_gt_i32_e64 s0, s33, v29
	s_wait_alu 0xf1ff
	s_delay_alu instid0(VALU_DEP_1) | instskip(SKIP_2) | instid1(VALU_DEP_1)
	v_cndmask_b32_e64 v24, 0, v24, s0
	v_cmp_gt_i32_e64 s0, s33, v31
	s_wait_alu 0xf1ff
	v_cndmask_b32_e64 v23, 0, v23, s0
.LBB190_45:                             ;   in Loop: Header=BB190_42 Depth=1
	s_wait_alu 0xfffe
	s_or_b32 exec_lo, exec_lo, s17
	global_load_b32 v28, v[9:10], off offset:128
	s_mov_b32 s17, s16
	s_wait_loadcnt 0x0
	v_and_b32_e32 v32, 0xffff, v28
	v_lshrrev_b32_e32 v28, 16, v28
	s_delay_alu instid0(VALU_DEP_2) | instskip(NEXT) | instid1(VALU_DEP_2)
	v_cvt_pk_f32_fp8_e32 v[32:33], v32
	v_cvt_pk_f32_fp8_e32 v[35:36], v28
	s_wait_alu 0xfffe
	s_delay_alu instid0(VALU_DEP_2) | instskip(NEXT) | instid1(VALU_DEP_2)
	v_dual_mul_f32 v34, s16, v32 :: v_dual_mul_f32 v33, s17, v33
	v_mul_f32_e32 v32, s16, v35
	s_delay_alu instid0(VALU_DEP_3)
	v_mul_f32_e32 v28, s17, v36
	s_and_saveexec_b32 s18, vcc_lo
	s_cbranch_execz .LBB190_47
; %bb.46:                               ;   in Loop: Header=BB190_42 Depth=1
	v_cmp_gt_i32_e64 s0, s33, v27
	s_wait_alu 0xf1ff
	s_delay_alu instid0(VALU_DEP_1) | instskip(SKIP_2) | instid1(VALU_DEP_1)
	v_cndmask_b32_e64 v34, 0, v34, s0
	v_cmp_gt_i32_e64 s0, s33, v30
	s_wait_alu 0xf1ff
	v_cndmask_b32_e64 v33, 0, v33, s0
	v_cmp_gt_i32_e64 s0, s33, v29
	s_wait_alu 0xf1ff
	s_delay_alu instid0(VALU_DEP_1) | instskip(SKIP_2) | instid1(VALU_DEP_1)
	v_cndmask_b32_e64 v32, 0, v32, s0
	v_cmp_gt_i32_e64 s0, s33, v31
	s_wait_alu 0xf1ff
	v_cndmask_b32_e64 v28, 0, v28, s0
.LBB190_47:                             ;   in Loop: Header=BB190_42 Depth=1
	s_wait_alu 0xfffe
	s_or_b32 exec_lo, exec_lo, s18
	global_load_b32 v35, v[9:10], off offset:256
	s_wait_loadcnt 0x0
	v_lshrrev_b32_e32 v37, 16, v35
	s_delay_alu instid0(VALU_DEP_1) | instskip(SKIP_1) | instid1(VALU_DEP_1)
	v_cvt_pk_f32_fp8_e32 v[39:40], v37
	v_and_b32_e32 v36, 0xffff, v35
	v_cvt_pk_f32_fp8_e32 v[35:36], v36
	s_delay_alu instid0(VALU_DEP_1) | instskip(NEXT) | instid1(VALU_DEP_4)
	v_dual_mul_f32 v38, s16, v35 :: v_dual_mul_f32 v37, s17, v36
	v_dual_mul_f32 v36, s16, v39 :: v_dual_mul_f32 v35, s17, v40
	s_and_saveexec_b32 s18, vcc_lo
	s_cbranch_execz .LBB190_49
; %bb.48:                               ;   in Loop: Header=BB190_42 Depth=1
	v_cmp_gt_i32_e64 s0, s33, v27
	s_wait_alu 0xf1ff
	s_delay_alu instid0(VALU_DEP_1) | instskip(SKIP_2) | instid1(VALU_DEP_1)
	v_cndmask_b32_e64 v38, 0, v38, s0
	v_cmp_gt_i32_e64 s0, s33, v30
	s_wait_alu 0xf1ff
	v_cndmask_b32_e64 v37, 0, v37, s0
	v_cmp_gt_i32_e64 s0, s33, v29
	s_wait_alu 0xf1ff
	s_delay_alu instid0(VALU_DEP_1) | instskip(SKIP_2) | instid1(VALU_DEP_1)
	v_cndmask_b32_e64 v36, 0, v36, s0
	v_cmp_gt_i32_e64 s0, s33, v31
	s_wait_alu 0xf1ff
	v_cndmask_b32_e64 v35, 0, v35, s0
.LBB190_49:                             ;   in Loop: Header=BB190_42 Depth=1
	s_wait_alu 0xfffe
	s_or_b32 exec_lo, exec_lo, s18
	global_load_b32 v9, v[9:10], off offset:384
	s_wait_loadcnt 0x0
	v_lshrrev_b32_e32 v39, 16, v9
	s_delay_alu instid0(VALU_DEP_1) | instskip(SKIP_1) | instid1(VALU_DEP_1)
	v_cvt_pk_f32_fp8_e32 v[41:42], v39
	v_and_b32_e32 v10, 0xffff, v9
	v_cvt_pk_f32_fp8_e32 v[9:10], v10
	s_delay_alu instid0(VALU_DEP_1) | instskip(NEXT) | instid1(VALU_DEP_4)
	v_dual_mul_f32 v40, s16, v9 :: v_dual_mul_f32 v39, s17, v10
	v_dual_mul_f32 v10, s16, v41 :: v_dual_mul_f32 v9, s17, v42
	s_and_saveexec_b32 s0, vcc_lo
	s_cbranch_execz .LBB190_40
; %bb.50:                               ;   in Loop: Header=BB190_42 Depth=1
	v_cmp_gt_i32_e32 vcc_lo, s33, v27
	s_wait_alu 0xfffd
	v_cndmask_b32_e32 v40, 0, v40, vcc_lo
	v_cmp_gt_i32_e32 vcc_lo, s33, v30
	s_wait_alu 0xfffd
	v_cndmask_b32_e32 v39, 0, v39, vcc_lo
	;; [unrolled: 3-line block ×4, first 2 shown]
	s_branch .LBB190_40
.LBB190_51:
	s_or_b32 exec_lo, exec_lo, s8
.LBB190_52:
	s_wait_alu 0xfffe
	s_or_b32 exec_lo, exec_lo, s1
	ds_bpermute_b32 v1, v15, v20
	ds_bpermute_b32 v2, v15, v21
	ds_bpermute_b32 v3, v15, v18
	ds_bpermute_b32 v4, v15, v17
	v_lshrrev_b32_e32 v5, 1, v14
	v_lshlrev_b32_e32 v7, 8, v11
	v_and_b32_e32 v8, 0x3c1, v0
	s_mov_b32 s0, exec_lo
	s_wait_storecnt 0x0
	s_wait_loadcnt_dscnt 0x0
	v_lshl_add_u32 v6, v5, 2, 0x120
	s_barrier_signal -1
	s_barrier_wait -1
	global_inv scope:SCOPE_SE
	v_dual_add_f32 v1, v20, v1 :: v_dual_add_f32 v2, v21, v2
	v_dual_add_f32 v3, v18, v3 :: v_dual_add_f32 v4, v17, v4
	v_cmpx_eq_u32_e32 64, v8
	s_cbranch_execz .LBB190_54
; %bb.53:
	v_add_nc_u32_e32 v8, v6, v7
	s_delay_alu instid0(VALU_DEP_1)
	v_add_nc_u32_e32 v9, 0xfffffe00, v8
	v_add_nc_u32_e32 v10, 0xfffffe40, v8
	;; [unrolled: 1-line block ×4, first 2 shown]
	ds_store_b32 v9, v1
	ds_store_b32 v10, v2
	;; [unrolled: 1-line block ×4, first 2 shown]
.LBB190_54:
	s_wait_alu 0xfffe
	s_or_b32 exec_lo, exec_lo, s0
	v_lshlrev_b32_e32 v5, 2, v5
	v_cmp_eq_u32_e32 vcc_lo, 0, v16
	s_wait_loadcnt_dscnt 0x0
	s_barrier_signal -1
	s_barrier_wait -1
	v_add3_u32 v5, 0x120, v7, v5
	global_inv scope:SCOPE_SE
	s_and_saveexec_b32 s0, s2
	s_cbranch_execz .LBB190_61
; %bb.55:
	s_and_saveexec_b32 s1, vcc_lo
	s_cbranch_execnz .LBB190_73
; %bb.56:
	s_wait_alu 0xfffe
	s_or_b32 exec_lo, exec_lo, s1
	s_and_saveexec_b32 s1, vcc_lo
	s_cbranch_execnz .LBB190_74
.LBB190_57:
	s_wait_alu 0xfffe
	s_or_b32 exec_lo, exec_lo, s1
	s_and_saveexec_b32 s1, vcc_lo
	s_cbranch_execnz .LBB190_75
.LBB190_58:
	s_wait_alu 0xfffe
	s_or_b32 exec_lo, exec_lo, s1
	s_and_saveexec_b32 s1, vcc_lo
	s_cbranch_execz .LBB190_60
.LBB190_59:
	ds_load_b32 v7, v5 offset:192
	s_wait_dscnt 0x0
	v_add_f32_e32 v4, v4, v7
.LBB190_60:
	s_wait_alu 0xfffe
	s_or_b32 exec_lo, exec_lo, s1
.LBB190_61:
	s_wait_alu 0xfffe
	s_or_b32 exec_lo, exec_lo, s0
	v_and_b32_e32 v7, 0x3e1, v0
	s_mov_b32 s1, exec_lo
	s_wait_loadcnt 0x0
	s_barrier_signal -1
	s_barrier_wait -1
	global_inv scope:SCOPE_SE
	v_cmpx_eq_u32_e32 32, v7
	s_cbranch_execz .LBB190_63
; %bb.62:
	ds_store_2addr_b32 v6, v1, v2 offset1:16
	ds_store_2addr_b32 v6, v3, v4 offset0:32 offset1:48
.LBB190_63:
	s_wait_alu 0xfffe
	s_or_b32 exec_lo, exec_lo, s1
	s_delay_alu instid0(SALU_CYCLE_1)
	s_mov_b32 s1, exec_lo
	s_wait_loadcnt_dscnt 0x0
	s_barrier_signal -1
	s_barrier_wait -1
	global_inv scope:SCOPE_SE
	v_cmpx_gt_u32_e32 32, v0
	s_cbranch_execz .LBB190_70
; %bb.64:
	s_and_saveexec_b32 s0, vcc_lo
	s_cbranch_execnz .LBB190_76
; %bb.65:
	s_wait_alu 0xfffe
	s_or_b32 exec_lo, exec_lo, s0
	s_and_saveexec_b32 s0, vcc_lo
	s_cbranch_execnz .LBB190_77
.LBB190_66:
	s_wait_alu 0xfffe
	s_or_b32 exec_lo, exec_lo, s0
	s_and_saveexec_b32 s0, vcc_lo
	s_cbranch_execnz .LBB190_78
.LBB190_67:
	s_wait_alu 0xfffe
	s_or_b32 exec_lo, exec_lo, s0
	s_and_saveexec_b32 s0, vcc_lo
	s_cbranch_execz .LBB190_69
.LBB190_68:
	ds_load_b32 v5, v5 offset:192
	s_wait_dscnt 0x0
	v_add_f32_e32 v4, v4, v5
.LBB190_69:
	s_wait_alu 0xfffe
	s_or_b32 exec_lo, exec_lo, s0
.LBB190_70:
	s_wait_alu 0xfffe
	s_or_b32 exec_lo, exec_lo, s1
	s_mov_b32 s1, 0
	s_wait_loadcnt 0x0
	s_barrier_signal -1
	s_barrier_wait -1
	global_inv scope:SCOPE_SE
	s_mov_b32 s0, exec_lo
	v_cmpx_eq_u32_e32 0, v7
	s_cbranch_execz .LBB190_72
; %bb.71:
	s_lshl_b32 s2, s4, 6
	s_mul_i32 s4, s12, s24
	s_wait_alu 0xfffe
	s_ashr_i32 s3, s2, 31
	s_ashr_i32 s5, s4, 31
	s_wait_alu 0xfffe
	s_lshl_b64 s[2:3], s[2:3], 2
	s_lshl_b64 s[4:5], s[4:5], 2
	s_wait_kmcnt 0x0
	s_wait_alu 0xfffe
	s_add_nc_u64 s[2:3], s[6:7], s[2:3]
	v_lshlrev_b32_e32 v0, 1, v0
	s_lshl_b32 s0, s15, 2
	s_wait_alu 0xfffe
	s_add_nc_u64 s[2:3], s[2:3], s[4:5]
	s_wait_alu 0xfffe
	s_add_nc_u64 s[0:1], s[2:3], s[0:1]
	s_clause 0x3
	global_store_b32 v0, v1, s[0:1]
	global_store_b32 v0, v2, s[0:1] offset:64
	global_store_b32 v0, v3, s[0:1] offset:128
	;; [unrolled: 1-line block ×3, first 2 shown]
.LBB190_72:
	s_endpgm
.LBB190_73:
	ds_load_b32 v7, v5
	s_wait_dscnt 0x0
	v_add_f32_e32 v1, v1, v7
	s_wait_alu 0xfffe
	s_or_b32 exec_lo, exec_lo, s1
	s_and_saveexec_b32 s1, vcc_lo
	s_cbranch_execz .LBB190_57
.LBB190_74:
	ds_load_b32 v7, v5 offset:64
	s_wait_dscnt 0x0
	v_add_f32_e32 v2, v2, v7
	s_wait_alu 0xfffe
	s_or_b32 exec_lo, exec_lo, s1
	s_and_saveexec_b32 s1, vcc_lo
	s_cbranch_execz .LBB190_58
.LBB190_75:
	ds_load_b32 v7, v5 offset:128
	s_wait_dscnt 0x0
	v_add_f32_e32 v3, v3, v7
	s_wait_alu 0xfffe
	s_or_b32 exec_lo, exec_lo, s1
	s_and_saveexec_b32 s1, vcc_lo
	s_cbranch_execnz .LBB190_59
	s_branch .LBB190_60
.LBB190_76:
	ds_load_b32 v6, v5
	s_wait_dscnt 0x0
	v_add_f32_e32 v1, v1, v6
	s_wait_alu 0xfffe
	s_or_b32 exec_lo, exec_lo, s0
	s_and_saveexec_b32 s0, vcc_lo
	s_cbranch_execz .LBB190_66
.LBB190_77:
	ds_load_b32 v6, v5 offset:64
	s_wait_dscnt 0x0
	v_add_f32_e32 v2, v2, v6
	s_wait_alu 0xfffe
	s_or_b32 exec_lo, exec_lo, s0
	s_and_saveexec_b32 s0, vcc_lo
	s_cbranch_execz .LBB190_67
.LBB190_78:
	ds_load_b32 v6, v5 offset:128
	s_wait_dscnt 0x0
	v_add_f32_e32 v3, v3, v6
	s_wait_alu 0xfffe
	s_or_b32 exec_lo, exec_lo, s0
	s_and_saveexec_b32 s0, vcc_lo
	s_cbranch_execnz .LBB190_68
	s_branch .LBB190_69
	.section	.rodata,"a",@progbits
	.p2align	6, 0x0
	.amdhsa_kernel _ZN4vllm25paged_attention_v2_kernelIfhLi64ELi8ELi128ELNS_18Fp8KVCacheDataTypeE1ELb1ELi512EEEvPfS2_PT_PKS3_PKT0_S9_ifPKiSB_iPKfiiiSD_SD_iiiii
		.amdhsa_group_segment_fixed_size 288
		.amdhsa_private_segment_fixed_size 0
		.amdhsa_kernarg_size 400
		.amdhsa_user_sgpr_count 2
		.amdhsa_user_sgpr_dispatch_ptr 0
		.amdhsa_user_sgpr_queue_ptr 0
		.amdhsa_user_sgpr_kernarg_segment_ptr 1
		.amdhsa_user_sgpr_dispatch_id 0
		.amdhsa_user_sgpr_private_segment_size 0
		.amdhsa_wavefront_size32 1
		.amdhsa_uses_dynamic_stack 0
		.amdhsa_enable_private_segment 0
		.amdhsa_system_sgpr_workgroup_id_x 1
		.amdhsa_system_sgpr_workgroup_id_y 1
		.amdhsa_system_sgpr_workgroup_id_z 1
		.amdhsa_system_sgpr_workgroup_info 0
		.amdhsa_system_vgpr_workitem_id 0
		.amdhsa_next_free_vgpr 45
		.amdhsa_next_free_sgpr 46
		.amdhsa_reserve_vcc 1
		.amdhsa_float_round_mode_32 0
		.amdhsa_float_round_mode_16_64 0
		.amdhsa_float_denorm_mode_32 3
		.amdhsa_float_denorm_mode_16_64 3
		.amdhsa_fp16_overflow 0
		.amdhsa_workgroup_processor_mode 1
		.amdhsa_memory_ordered 1
		.amdhsa_forward_progress 1
		.amdhsa_inst_pref_size 46
		.amdhsa_round_robin_scheduling 0
		.amdhsa_exception_fp_ieee_invalid_op 0
		.amdhsa_exception_fp_denorm_src 0
		.amdhsa_exception_fp_ieee_div_zero 0
		.amdhsa_exception_fp_ieee_overflow 0
		.amdhsa_exception_fp_ieee_underflow 0
		.amdhsa_exception_fp_ieee_inexact 0
		.amdhsa_exception_int_div_zero 0
	.end_amdhsa_kernel
	.section	.text._ZN4vllm25paged_attention_v2_kernelIfhLi64ELi8ELi128ELNS_18Fp8KVCacheDataTypeE1ELb1ELi512EEEvPfS2_PT_PKS3_PKT0_S9_ifPKiSB_iPKfiiiSD_SD_iiiii,"axG",@progbits,_ZN4vllm25paged_attention_v2_kernelIfhLi64ELi8ELi128ELNS_18Fp8KVCacheDataTypeE1ELb1ELi512EEEvPfS2_PT_PKS3_PKT0_S9_ifPKiSB_iPKfiiiSD_SD_iiiii,comdat
.Lfunc_end190:
	.size	_ZN4vllm25paged_attention_v2_kernelIfhLi64ELi8ELi128ELNS_18Fp8KVCacheDataTypeE1ELb1ELi512EEEvPfS2_PT_PKS3_PKT0_S9_ifPKiSB_iPKfiiiSD_SD_iiiii, .Lfunc_end190-_ZN4vllm25paged_attention_v2_kernelIfhLi64ELi8ELi128ELNS_18Fp8KVCacheDataTypeE1ELb1ELi512EEEvPfS2_PT_PKS3_PKT0_S9_ifPKiSB_iPKfiiiSD_SD_iiiii
                                        ; -- End function
	.set _ZN4vllm25paged_attention_v2_kernelIfhLi64ELi8ELi128ELNS_18Fp8KVCacheDataTypeE1ELb1ELi512EEEvPfS2_PT_PKS3_PKT0_S9_ifPKiSB_iPKfiiiSD_SD_iiiii.num_vgpr, 45
	.set _ZN4vllm25paged_attention_v2_kernelIfhLi64ELi8ELi128ELNS_18Fp8KVCacheDataTypeE1ELb1ELi512EEEvPfS2_PT_PKS3_PKT0_S9_ifPKiSB_iPKfiiiSD_SD_iiiii.num_agpr, 0
	.set _ZN4vllm25paged_attention_v2_kernelIfhLi64ELi8ELi128ELNS_18Fp8KVCacheDataTypeE1ELb1ELi512EEEvPfS2_PT_PKS3_PKT0_S9_ifPKiSB_iPKfiiiSD_SD_iiiii.numbered_sgpr, 46
	.set _ZN4vllm25paged_attention_v2_kernelIfhLi64ELi8ELi128ELNS_18Fp8KVCacheDataTypeE1ELb1ELi512EEEvPfS2_PT_PKS3_PKT0_S9_ifPKiSB_iPKfiiiSD_SD_iiiii.num_named_barrier, 0
	.set _ZN4vllm25paged_attention_v2_kernelIfhLi64ELi8ELi128ELNS_18Fp8KVCacheDataTypeE1ELb1ELi512EEEvPfS2_PT_PKS3_PKT0_S9_ifPKiSB_iPKfiiiSD_SD_iiiii.private_seg_size, 0
	.set _ZN4vllm25paged_attention_v2_kernelIfhLi64ELi8ELi128ELNS_18Fp8KVCacheDataTypeE1ELb1ELi512EEEvPfS2_PT_PKS3_PKT0_S9_ifPKiSB_iPKfiiiSD_SD_iiiii.uses_vcc, 1
	.set _ZN4vllm25paged_attention_v2_kernelIfhLi64ELi8ELi128ELNS_18Fp8KVCacheDataTypeE1ELb1ELi512EEEvPfS2_PT_PKS3_PKT0_S9_ifPKiSB_iPKfiiiSD_SD_iiiii.uses_flat_scratch, 0
	.set _ZN4vllm25paged_attention_v2_kernelIfhLi64ELi8ELi128ELNS_18Fp8KVCacheDataTypeE1ELb1ELi512EEEvPfS2_PT_PKS3_PKT0_S9_ifPKiSB_iPKfiiiSD_SD_iiiii.has_dyn_sized_stack, 0
	.set _ZN4vllm25paged_attention_v2_kernelIfhLi64ELi8ELi128ELNS_18Fp8KVCacheDataTypeE1ELb1ELi512EEEvPfS2_PT_PKS3_PKT0_S9_ifPKiSB_iPKfiiiSD_SD_iiiii.has_recursion, 0
	.set _ZN4vllm25paged_attention_v2_kernelIfhLi64ELi8ELi128ELNS_18Fp8KVCacheDataTypeE1ELb1ELi512EEEvPfS2_PT_PKS3_PKT0_S9_ifPKiSB_iPKfiiiSD_SD_iiiii.has_indirect_call, 0
	.section	.AMDGPU.csdata,"",@progbits
; Kernel info:
; codeLenInByte = 5772
; TotalNumSgprs: 48
; NumVgprs: 45
; ScratchSize: 0
; MemoryBound: 0
; FloatMode: 240
; IeeeMode: 1
; LDSByteSize: 288 bytes/workgroup (compile time only)
; SGPRBlocks: 0
; VGPRBlocks: 5
; NumSGPRsForWavesPerEU: 48
; NumVGPRsForWavesPerEU: 45
; Occupancy: 16
; WaveLimiterHint : 1
; COMPUTE_PGM_RSRC2:SCRATCH_EN: 0
; COMPUTE_PGM_RSRC2:USER_SGPR: 2
; COMPUTE_PGM_RSRC2:TRAP_HANDLER: 0
; COMPUTE_PGM_RSRC2:TGID_X_EN: 1
; COMPUTE_PGM_RSRC2:TGID_Y_EN: 1
; COMPUTE_PGM_RSRC2:TGID_Z_EN: 1
; COMPUTE_PGM_RSRC2:TIDIG_COMP_CNT: 0
	.section	.text._ZN4vllm25paged_attention_v2_kernelIfhLi80ELi8ELi128ELNS_18Fp8KVCacheDataTypeE1ELb1ELi512EEEvPfS2_PT_PKS3_PKT0_S9_ifPKiSB_iPKfiiiSD_SD_iiiii,"axG",@progbits,_ZN4vllm25paged_attention_v2_kernelIfhLi80ELi8ELi128ELNS_18Fp8KVCacheDataTypeE1ELb1ELi512EEEvPfS2_PT_PKS3_PKT0_S9_ifPKiSB_iPKfiiiSD_SD_iiiii,comdat
	.protected	_ZN4vllm25paged_attention_v2_kernelIfhLi80ELi8ELi128ELNS_18Fp8KVCacheDataTypeE1ELb1ELi512EEEvPfS2_PT_PKS3_PKT0_S9_ifPKiSB_iPKfiiiSD_SD_iiiii ; -- Begin function _ZN4vllm25paged_attention_v2_kernelIfhLi80ELi8ELi128ELNS_18Fp8KVCacheDataTypeE1ELb1ELi512EEEvPfS2_PT_PKS3_PKT0_S9_ifPKiSB_iPKfiiiSD_SD_iiiii
	.globl	_ZN4vllm25paged_attention_v2_kernelIfhLi80ELi8ELi128ELNS_18Fp8KVCacheDataTypeE1ELb1ELi512EEEvPfS2_PT_PKS3_PKT0_S9_ifPKiSB_iPKfiiiSD_SD_iiiii
	.p2align	8
	.type	_ZN4vllm25paged_attention_v2_kernelIfhLi80ELi8ELi128ELNS_18Fp8KVCacheDataTypeE1ELb1ELi512EEEvPfS2_PT_PKS3_PKT0_S9_ifPKiSB_iPKfiiiSD_SD_iiiii,@function
_ZN4vllm25paged_attention_v2_kernelIfhLi80ELi8ELi128ELNS_18Fp8KVCacheDataTypeE1ELb1ELi512EEEvPfS2_PT_PKS3_PKT0_S9_ifPKiSB_iPKfiiiSD_SD_iiiii: ; @_ZN4vllm25paged_attention_v2_kernelIfhLi80ELi8ELi128ELNS_18Fp8KVCacheDataTypeE1ELb1ELi512EEEvPfS2_PT_PKS3_PKT0_S9_ifPKiSB_iPKfiiiSD_SD_iiiii
; %bb.0:
	s_load_b64 s[2:3], s[0:1], 0x40
	s_and_b32 s19, ttmp7, 0xffff
	s_lshr_b32 s33, ttmp7, 16
	s_lshl_b32 s4, s19, 2
	s_lshl_b32 s36, s33, 9
	s_wait_kmcnt 0x0
	s_load_b32 s34, s[2:3], s4 offset:0x0
	s_wait_kmcnt 0x0
	s_cmp_ge_i32 s36, s34
	s_cbranch_scc1 .LBB191_76
; %bb.1:
	s_clause 0x1
	s_load_b32 s35, s[0:1], 0x90
	s_load_b64 s[6:7], s[0:1], 0x30
	s_wait_kmcnt 0x0
	s_abs_i32 s5, s35
	s_abs_i32 s2, s6
	s_delay_alu instid0(SALU_CYCLE_1) | instskip(SKIP_1) | instid1(SALU_CYCLE_2)
	s_cvt_f32_u32 s3, s2
	s_sub_co_i32 s4, 0, s2
	v_rcp_iflag_f32_e32 v1, s3
	s_delay_alu instid0(TRANS32_DEP_1) | instskip(SKIP_2) | instid1(SALU_CYCLE_2)
	v_readfirstlane_b32 s3, v1
	s_mul_f32 s3, s3, 0x4f7ffffe
	s_wait_alu 0xfffe
	s_cvt_u32_f32 s3, s3
	s_wait_alu 0xfffe
	s_delay_alu instid0(SALU_CYCLE_2) | instskip(NEXT) | instid1(SALU_CYCLE_1)
	s_mul_i32 s4, s4, s3
	s_mul_hi_u32 s4, s3, s4
	s_delay_alu instid0(SALU_CYCLE_1)
	s_add_co_i32 s3, s3, s4
	s_xor_b32 s4, s35, s6
	s_wait_alu 0xfffe
	s_mul_hi_u32 s3, s5, s3
	s_ashr_i32 s4, s4, 31
	s_wait_alu 0xfffe
	s_mul_i32 s8, s3, s2
	s_delay_alu instid0(SALU_CYCLE_1)
	s_sub_co_i32 s5, s5, s8
	s_add_co_i32 s8, s3, 1
	s_sub_co_i32 s9, s5, s2
	s_cmp_ge_u32 s5, s2
	s_cselect_b32 s3, s8, s3
	s_cselect_b32 s5, s9, s5
	s_wait_alu 0xfffe
	s_add_co_i32 s8, s3, 1
	s_cmp_ge_u32 s5, s2
	s_cselect_b32 s2, s8, s3
	s_load_b64 s[8:9], s[0:1], 0x50
	s_xor_b32 s2, s2, s4
	s_mov_b32 s3, 0
	s_wait_alu 0xfffe
	s_sub_co_i32 s11, s2, s4
	s_mov_b32 s30, s3
	s_abs_i32 s10, s11
	s_delay_alu instid0(SALU_CYCLE_1) | instskip(SKIP_1) | instid1(SALU_CYCLE_2)
	s_cvt_f32_u32 s2, s10
	s_wait_alu 0xfffe
	v_rcp_iflag_f32_e32 v1, s2
	s_delay_alu instid0(TRANS32_DEP_1) | instskip(SKIP_2) | instid1(SALU_CYCLE_2)
	v_readfirstlane_b32 s2, v1
	s_mul_f32 s2, s2, 0x4f7ffffe
	s_wait_alu 0xfffe
	s_cvt_u32_f32 s4, s2
	s_sub_co_i32 s2, 0, s10
	s_wait_alu 0xfffe
	s_delay_alu instid0(SALU_CYCLE_1)
	s_mul_i32 s2, s2, s4
	s_wait_alu 0xfffe
	s_mul_hi_u32 s5, s4, s2
	s_abs_i32 s2, ttmp9
	s_add_co_i32 s4, s4, s5
	s_mov_b32 s5, s3
	s_wait_kmcnt 0x0
	s_cmp_eq_u64 s[8:9], 0
	s_cbranch_scc1 .LBB191_3
; %bb.2:
	s_mov_b32 s12, ttmp9
	s_ashr_i32 s13, ttmp9, 31
	s_delay_alu instid0(SALU_CYCLE_1) | instskip(NEXT) | instid1(SALU_CYCLE_1)
	s_lshl_b64 s[12:13], s[12:13], 2
	s_add_nc_u64 s[8:9], s[8:9], s[12:13]
	s_load_b32 s30, s[8:9], 0x0
.LBB191_3:
	s_load_b96 s[16:18], s[0:1], 0x58
	v_and_b32_e32 v1, 3, v0
	v_lshlrev_b32_e32 v5, 2, v0
	s_mul_u64 s[4:5], s[2:3], s[4:5]
	s_ashr_i32 s3, ttmp9, 31
	s_ashr_i32 s4, s11, 31
	s_mul_i32 s20, ttmp9, 0x50
	s_mov_b32 s8, exec_lo
	v_cmpx_gt_u32_e32 0x50, v0
	s_cbranch_execz .LBB191_5
; %bb.4:
	s_load_b64 s[12:13], s[0:1], 0x18
	s_wait_kmcnt 0x0
	s_mul_i32 s14, s16, s19
	s_ashr_i32 s21, s20, 31
	s_ashr_i32 s15, s14, 31
	v_and_b32_e32 v3, 0x3fc, v0
	s_lshl_b64 s[14:15], s[14:15], 2
	s_delay_alu instid0(VALU_DEP_1) | instskip(SKIP_2) | instid1(SALU_CYCLE_1)
	v_mad_u32_u24 v3, 0x50, v1, v3
	s_add_nc_u64 s[12:13], s[12:13], s[14:15]
	s_lshl_b64 s[14:15], s[20:21], 2
	s_add_nc_u64 s[12:13], s[12:13], s[14:15]
	global_load_b32 v2, v5, s[12:13]
	s_wait_loadcnt 0x0
	ds_store_b32 v3, v2
.LBB191_5:
	s_or_b32 exec_lo, exec_lo, s8
	s_load_b128 s[12:15], s[0:1], 0x78
	s_mul_i32 s8, s5, s10
	s_xor_b32 s3, s3, s4
	s_sub_co_i32 s2, s2, s8
	s_add_co_i32 s4, s5, 1
	s_wait_alu 0xfffe
	s_sub_co_i32 s8, s2, s10
	s_cmp_ge_u32 s2, s10
                                        ; implicit-def: $sgpr21
	s_cselect_b32 s4, s4, s5
	s_cselect_b32 s2, s8, s2
	s_add_co_i32 s5, s4, 1
	s_wait_alu 0xfffe
	s_cmp_ge_u32 s2, s10
	s_load_b32 s8, s[0:1], 0x88
	s_cselect_b32 s2, s5, s4
	s_add_co_i32 s9, s34, -1
	s_wait_alu 0xfffe
	s_xor_b32 s2, s2, s3
	s_mov_b32 s10, -1
	s_wait_alu 0xfffe
	s_sub_co_i32 s28, s2, s3
	s_wait_dscnt 0x0
	s_barrier_signal -1
	s_wait_kmcnt 0x0
	s_abs_i32 s16, s15
	s_barrier_wait -1
	s_cvt_f32_u32 s4, s16
	global_inv scope:SCOPE_SE
	v_rcp_iflag_f32_e32 v2, s4
	s_delay_alu instid0(TRANS32_DEP_1) | instskip(SKIP_2) | instid1(SALU_CYCLE_2)
	v_readfirstlane_b32 s4, v2
	s_mul_f32 s2, s4, 0x4f7ffffe
	s_wait_alu 0xfffe
	s_cvt_u32_f32 s4, s2
	s_sub_co_i32 s2, 0, s16
	s_wait_alu 0xfffe
	s_delay_alu instid0(SALU_CYCLE_1)
	s_mul_i32 s3, s2, s4
	s_abs_i32 s2, s9
	s_wait_alu 0xfffe
	s_mul_hi_u32 s5, s4, s3
	s_mov_b32 s3, 0
	s_wait_alu 0xfffe
	s_add_co_i32 s22, s4, s5
	s_cmp_lt_i32 s8, 0
	s_mov_b32 s23, s3
	s_cbranch_scc0 .LBB191_7
; %bb.6:
	s_mul_i32 s4, s12, s6
	s_mov_b32 s10, s3
	s_wait_alu 0xfffe
	s_add_co_i32 s4, s28, s4
	s_wait_alu 0xfffe
	s_mul_i32 s4, s4, s8
	s_wait_alu 0xfffe
	s_sub_co_i32 s21, 1, s4
.LBB191_7:
	s_mul_u64 s[4:5], s[2:3], s[22:23]
	s_ashr_i32 s3, s9, 31
	s_and_not1_b32 vcc_lo, exec_lo, s10
	s_ashr_i32 s15, s15, 31
	s_cbranch_vccnz .LBB191_9
; %bb.8:
	s_mul_i32 s4, s35, s12
	s_wait_alu 0xfffe
	s_add_co_i32 s4, s4, ttmp9
	s_wait_alu 0xfffe
	s_mul_i32 s4, s4, s8
	s_wait_alu 0xfffe
	s_add_co_i32 s21, s4, 1
.LBB191_9:
	s_clause 0x3
	s_load_b32 s4, s[0:1], 0x48
	s_load_b64 s[24:25], s[0:1], 0x38
	s_load_b32 s12, s[0:1], 0x98
	s_load_b128 s[8:11], s[0:1], 0x68
	s_mul_i32 s6, s5, s16
	s_xor_b32 s3, s3, s15
	s_sub_co_i32 s2, s2, s6
	s_add_co_i32 s23, s5, 1
	v_lshrrev_b32_e32 v11, 5, v0
	v_mov_b32_e32 v10, 0xff7fffff
	v_mbcnt_lo_u32_b32 v7, -1, 0
	s_mul_i32 s28, s28, s18
	s_delay_alu instid0(VALU_DEP_3)
	v_lshl_add_u32 v12, v11, 3, s36
	s_wait_kmcnt 0x0
	s_mul_i32 s26, s4, s19
	s_wait_alu 0xfffe
	s_sub_co_i32 s4, s2, s16
	s_ashr_i32 s27, s26, 31
	s_cmp_ge_u32 s2, s16
	s_cselect_b32 s5, s23, s5
	s_wait_alu 0xfffe
	s_cselect_b32 s2, s4, s2
	s_add_co_i32 s4, s5, 1
	s_wait_alu 0xfffe
	s_cmp_ge_u32 s2, s16
	s_cselect_b32 s2, s4, s5
	s_add_co_i32 s4, s34, 7
	s_lshl_b32 s39, s33, 6
	s_wait_alu 0xfffe
	s_ashr_i32 s5, s4, 31
	v_or_b32_e32 v13, s39, v11
	s_wait_alu 0xfffe
	s_lshr_b32 s5, s5, 29
	s_wait_alu 0xfffe
	s_add_co_i32 s4, s4, s5
	s_add_co_i32 s5, s39, 64
	s_wait_alu 0xfffe
	s_ashr_i32 s37, s4, 3
	s_xor_b32 s4, s2, s3
	s_wait_alu 0xfffe
	s_min_i32 s23, s5, s37
	v_lshlrev_b32_e32 v6, 2, v13
	v_cmp_gt_i32_e64 s2, s23, v13
	s_sub_co_i32 s38, s4, s3
	s_and_saveexec_b32 s6, s2
	s_cbranch_execz .LBB191_21
; %bb.10:
	s_wait_alu 0xfffe
	s_sub_co_i32 s18, s38, s13
	s_ashr_i32 s29, s28, 31
	s_cmp_neq_f32 s30, 0
	s_load_b64 s[4:5], s[0:1], 0x20
	v_bfe_u32 v8, v0, 2, 3
	v_mov_b32_e32 v17, 0xff7fffff
	s_cselect_b32 vcc_lo, -1, 0
	s_abs_i32 s31, s14
	s_lshl_b64 s[42:43], s[26:27], 2
	s_cvt_f32_u32 s3, s31
	v_lshlrev_b32_e32 v3, 4, v8
	v_subrev_nc_u32_e32 v10, s34, v8
	v_lshlrev_b32_e32 v4, 2, v8
	s_wait_alu 0xfffe
	v_rcp_iflag_f32_e32 v2, s3
	v_cmp_eq_u32_e64 s3, 0, v1
	v_mul_u32_u24_e32 v9, 0x50, v1
	v_dual_mov_b32 v20, v13 :: v_dual_add_nc_u32 v15, 1, v10
	v_mov_b32_e32 v10, 0xff7fffff
	v_lshl_or_b32 v16, v11, 5, v4
	s_add_nc_u64 s[42:43], s[24:25], s[42:43]
	s_sub_co_i32 s44, 0, s31
	v_lshl_add_u32 v14, v11, 3, s36
	s_delay_alu instid0(TRANS32_DEP_1)
	v_readfirstlane_b32 s41, v2
	s_wait_kmcnt 0x0
	s_add_nc_u64 s[4:5], s[4:5], s[28:29]
	v_add_nc_u32_e32 v16, 0x160, v16
	s_wait_alu 0xfffe
	v_add_co_u32 v2, s4, s4, v3
	s_mul_f32 s29, s41, 0x4f7ffffe
	s_wait_alu 0xf1ff
	v_add_co_ci_u32_e64 v3, null, s5, 0, s4
	v_add_co_u32 v1, s4, v2, v1
	s_cvt_u32_f32 s5, s29
	s_wait_alu 0xf1ff
	v_add_co_ci_u32_e64 v2, null, 0, v3, s4
	v_add_co_u32 v3, s4, s42, v6
	s_wait_alu 0xfffe
	s_mul_i32 s44, s44, s5
	v_add_co_ci_u32_e64 v4, null, s43, 0, s4
	v_xor_b32_e32 v18, 2, v7
	v_xor_b32_e32 v19, 1, v7
	s_mul_hi_u32 s4, s5, s44
	s_mov_b32 s40, 0
	s_mov_b32 s29, s17
	s_wait_alu 0xfffe
	s_add_co_i32 s41, s5, s4
	s_branch .LBB191_13
.LBB191_11:                             ;   in Loop: Header=BB191_13 Depth=1
	s_wait_alu 0xfffe
	s_or_b32 exec_lo, exec_lo, s42
.LBB191_12:                             ;   in Loop: Header=BB191_13 Depth=1
	s_wait_alu 0xfffe
	s_or_b32 exec_lo, exec_lo, s5
	v_add_nc_u32_e32 v20, 4, v20
	v_add_co_u32 v3, s5, v3, 16
	s_wait_alu 0xf1ff
	v_add_co_ci_u32_e64 v4, null, 0, v4, s5
	s_delay_alu instid0(VALU_DEP_3)
	v_cmp_le_i32_e64 s4, s23, v20
	v_add_nc_u32_e32 v14, 32, v14
	v_add_nc_u32_e32 v16, 0x80, v16
	s_or_b32 s40, s4, s40
	s_wait_alu 0xfffe
	s_and_not1_b32 exec_lo, exec_lo, s40
	s_cbranch_execz .LBB191_20
.LBB191_13:                             ; =>This Inner Loop Header: Depth=1
	v_sub_nc_u32_e32 v21, 0, v14
	s_delay_alu instid0(VALU_DEP_1) | instskip(SKIP_1) | instid1(VALU_DEP_1)
	v_max_i32_e32 v21, v14, v21
	s_wait_dscnt 0x0
	v_mul_hi_u32 v22, v21, s22
	s_delay_alu instid0(VALU_DEP_1) | instskip(NEXT) | instid1(VALU_DEP_1)
	v_mul_lo_u32 v23, v22, s16
	v_sub_nc_u32_e32 v21, v21, v23
	v_add_nc_u32_e32 v23, 1, v22
	s_delay_alu instid0(VALU_DEP_2) | instskip(SKIP_2) | instid1(VALU_DEP_1)
	v_subrev_nc_u32_e32 v24, s16, v21
	v_cmp_le_u32_e64 s4, s16, v21
	s_wait_alu 0xf1ff
	v_cndmask_b32_e64 v22, v22, v23, s4
	s_delay_alu instid0(VALU_DEP_3) | instskip(SKIP_1) | instid1(VALU_DEP_3)
	v_cndmask_b32_e64 v21, v21, v24, s4
	v_ashrrev_i32_e32 v23, 31, v14
	v_add_nc_u32_e32 v24, 1, v22
	s_delay_alu instid0(VALU_DEP_3) | instskip(NEXT) | instid1(VALU_DEP_3)
	v_cmp_le_u32_e64 s4, s16, v21
	v_xor_b32_e32 v23, s15, v23
	s_wait_alu 0xf1ff
	s_delay_alu instid0(VALU_DEP_2) | instskip(NEXT) | instid1(VALU_DEP_1)
	v_cndmask_b32_e64 v21, v22, v24, s4
	v_xor_b32_e32 v21, v21, v23
	s_delay_alu instid0(VALU_DEP_1) | instskip(NEXT) | instid1(VALU_DEP_1)
	v_sub_nc_u32_e32 v21, v21, v23
	v_add_nc_u32_e32 v22, s21, v21
	v_cmp_ge_i32_e64 s5, s18, v21
	s_delay_alu instid0(VALU_DEP_2) | instskip(NEXT) | instid1(VALU_DEP_1)
	v_sub_nc_u32_e32 v23, 0, v22
	v_max_i32_e32 v23, v22, v23
	v_ashrrev_i32_e32 v22, 31, v22
	s_delay_alu instid0(VALU_DEP_2) | instskip(NEXT) | instid1(VALU_DEP_1)
	v_mul_hi_u32 v24, v23, s41
	v_mul_lo_u32 v24, v24, s31
	s_delay_alu instid0(VALU_DEP_1) | instskip(NEXT) | instid1(VALU_DEP_1)
	v_sub_nc_u32_e32 v23, v23, v24
	v_subrev_nc_u32_e32 v24, s31, v23
	v_cmp_le_u32_e64 s4, s31, v23
	s_wait_alu 0xf1ff
	s_delay_alu instid0(VALU_DEP_1) | instskip(NEXT) | instid1(VALU_DEP_1)
	v_cndmask_b32_e64 v23, v23, v24, s4
	v_subrev_nc_u32_e32 v24, s31, v23
	v_cmp_le_u32_e64 s4, s31, v23
	s_wait_alu 0xf1ff
	s_delay_alu instid0(VALU_DEP_1) | instskip(NEXT) | instid1(VALU_DEP_1)
	v_cndmask_b32_e64 v23, v23, v24, s4
	v_xor_b32_e32 v23, v23, v22
	s_delay_alu instid0(VALU_DEP_1) | instskip(NEXT) | instid1(VALU_DEP_1)
	v_sub_nc_u32_e32 v22, v23, v22
	v_cmp_ne_u32_e64 s4, 0, v22
	s_and_b32 s4, s4, s5
	s_wait_alu 0xfffe
	s_and_saveexec_b32 s5, s4
	s_wait_alu 0xfffe
	s_xor_b32 s4, exec_lo, s5
	s_cbranch_execz .LBB191_17
; %bb.14:                               ;   in Loop: Header=BB191_13 Depth=1
	s_and_saveexec_b32 s5, s3
; %bb.15:                               ;   in Loop: Header=BB191_13 Depth=1
	ds_store_b32 v16, v17
; %bb.16:                               ;   in Loop: Header=BB191_13 Depth=1
	s_wait_alu 0xfffe
	s_or_b32 exec_lo, exec_lo, s5
.LBB191_17:                             ;   in Loop: Header=BB191_13 Depth=1
	s_wait_alu 0xfffe
	s_and_not1_saveexec_b32 s5, s4
	s_cbranch_execz .LBB191_12
; %bb.18:                               ;   in Loop: Header=BB191_13 Depth=1
	global_load_b32 v21, v[3:4], off
	v_cmp_gt_i32_e64 s4, 32, v18
	s_wait_loadcnt 0x0
	v_mad_co_i64_i32 v[21:22], null, v21, s29, v[1:2]
	s_clause 0x13
	global_load_u8 v25, v[21:22], off offset:4
	global_load_u8 v26, v[21:22], off
	global_load_u8 v29, v[21:22], off offset:8
	global_load_u8 v30, v[21:22], off offset:12
	;; [unrolled: 1-line block ×18, first 2 shown]
	s_load_b32 s42, s[8:9], 0x0
	ds_load_b128 v[21:24], v9
	s_wait_loadcnt 0x13
	v_cvt_f32_fp8_e32 v25, v25
	s_wait_loadcnt 0x12
	v_cvt_f32_fp8_e32 v47, v26
	;; [unrolled: 2-line block ×3, first 2 shown]
	s_wait_kmcnt 0x0
	s_delay_alu instid0(VALU_DEP_2)
	v_dual_mul_f32 v48, s42, v25 :: v_dual_mul_f32 v47, s42, v47
	ds_load_b128 v[25:28], v9 offset:16
	s_wait_dscnt 0x1
	v_mul_f32_e32 v48, v22, v48
	v_mul_f32_e32 v22, s42, v29
	s_wait_loadcnt 0x10
	v_cvt_f32_fp8_e32 v29, v30
	s_delay_alu instid0(VALU_DEP_1) | instskip(SKIP_4) | instid1(VALU_DEP_1)
	v_dual_mul_f32 v29, s42, v29 :: v_dual_fmac_f32 v48, v21, v47
	s_wait_loadcnt 0xf
	v_cvt_f32_fp8_e32 v21, v31
	s_wait_loadcnt 0xe
	v_cvt_f32_fp8_e32 v31, v32
	v_dual_mul_f32 v30, s42, v21 :: v_dual_mul_f32 v31, s42, v31
	v_fmac_f32_e32 v48, v23, v22
	s_delay_alu instid0(VALU_DEP_1) | instskip(SKIP_4) | instid1(VALU_DEP_1)
	v_fmac_f32_e32 v48, v24, v29
	ds_load_b128 v[21:24], v9 offset:32
	s_wait_loadcnt 0xd
	v_cvt_f32_fp8_e32 v29, v33
	s_wait_dscnt 0x1
	v_dual_fmac_f32 v48, v25, v30 :: v_dual_mul_f32 v25, s42, v29
	s_wait_loadcnt 0xc
	v_cvt_f32_fp8_e32 v29, v34
	s_delay_alu instid0(VALU_DEP_2)
	v_fmac_f32_e32 v48, v26, v31
	s_wait_loadcnt 0xb
	v_cvt_f32_fp8_e32 v26, v35
	s_wait_loadcnt 0xa
	v_cvt_f32_fp8_e32 v31, v36
	v_mul_f32_e32 v29, s42, v29
	v_fmac_f32_e32 v48, v27, v25
	s_delay_alu instid0(VALU_DEP_3) | instskip(NEXT) | instid1(VALU_DEP_2)
	v_dual_mul_f32 v30, s42, v26 :: v_dual_mul_f32 v31, s42, v31
	v_fmac_f32_e32 v48, v28, v29
	ds_load_b128 v[25:28], v9 offset:48
	s_wait_loadcnt 0x9
	v_cvt_f32_fp8_e32 v29, v37
	s_wait_dscnt 0x1
	s_delay_alu instid0(VALU_DEP_1) | instskip(SKIP_2) | instid1(VALU_DEP_2)
	v_dual_fmac_f32 v48, v21, v30 :: v_dual_mul_f32 v21, s42, v29
	s_wait_loadcnt 0x8
	v_cvt_f32_fp8_e32 v29, v38
	v_fmac_f32_e32 v48, v22, v31
	s_wait_loadcnt 0x7
	v_cvt_f32_fp8_e32 v22, v39
	s_wait_loadcnt 0x6
	v_cvt_f32_fp8_e32 v31, v40
	v_mul_f32_e32 v29, s42, v29
	v_fmac_f32_e32 v48, v23, v21
	s_delay_alu instid0(VALU_DEP_3) | instskip(NEXT) | instid1(VALU_DEP_2)
	v_dual_mul_f32 v30, s42, v22 :: v_dual_mul_f32 v31, s42, v31
	v_fmac_f32_e32 v48, v24, v29
	ds_load_b128 v[21:24], v9 offset:64
	s_wait_loadcnt 0x5
	v_cvt_f32_fp8_e32 v29, v41
	s_wait_dscnt 0x1
	s_delay_alu instid0(VALU_DEP_1) | instskip(SKIP_2) | instid1(VALU_DEP_2)
	v_dual_fmac_f32 v48, v25, v30 :: v_dual_mul_f32 v25, s42, v29
	s_wait_loadcnt 0x4
	v_cvt_f32_fp8_e32 v29, v42
	v_fmac_f32_e32 v48, v26, v31
	s_wait_loadcnt 0x3
	v_cvt_f32_fp8_e32 v26, v43
	s_delay_alu instid0(VALU_DEP_3) | instskip(NEXT) | instid1(VALU_DEP_2)
	v_mul_f32_e32 v29, s42, v29
	v_dual_fmac_f32 v48, v27, v25 :: v_dual_mul_f32 v25, s42, v26
	s_wait_loadcnt 0x2
	v_cvt_f32_fp8_e32 v26, v44
	s_wait_loadcnt 0x1
	v_cvt_f32_fp8_e32 v27, v45
	v_fmac_f32_e32 v48, v28, v29
	s_delay_alu instid0(VALU_DEP_3) | instskip(SKIP_1) | instid1(VALU_DEP_2)
	v_mul_f32_e32 v26, s42, v26
	s_wait_dscnt 0x0
	v_dual_fmac_f32 v48, v21, v25 :: v_dual_mul_f32 v21, s42, v27
	s_wait_loadcnt 0x0
	v_cvt_f32_fp8_e32 v25, v46
	s_delay_alu instid0(VALU_DEP_2) | instskip(SKIP_1) | instid1(VALU_DEP_3)
	v_fmac_f32_e32 v48, v22, v26
	v_cndmask_b32_e64 v22, v7, v18, s4
	v_mul_f32_e32 v25, s42, v25
	v_cmp_gt_i32_e64 s4, 32, v19
	s_delay_alu instid0(VALU_DEP_3) | instskip(SKIP_1) | instid1(VALU_DEP_2)
	v_dual_fmac_f32 v48, v23, v21 :: v_dual_lshlrev_b32 v21, 2, v22
	s_wait_alu 0xf1ff
	v_cndmask_b32_e64 v22, v7, v19, s4
	s_delay_alu instid0(VALU_DEP_2) | instskip(NEXT) | instid1(VALU_DEP_2)
	v_fmac_f32_e32 v48, v24, v25
	v_lshlrev_b32_e32 v22, 2, v22
	ds_bpermute_b32 v21, v21, v48
	s_wait_dscnt 0x0
	v_add_f32_e32 v21, v48, v21
	ds_bpermute_b32 v22, v22, v21
	s_and_saveexec_b32 s42, s3
	s_cbranch_execz .LBB191_11
; %bb.19:                               ;   in Loop: Header=BB191_13 Depth=1
	s_wait_dscnt 0x0
	v_add_f32_e32 v21, v21, v22
	v_add_nc_u32_e32 v23, v15, v14
	s_delay_alu instid0(VALU_DEP_1) | instskip(NEXT) | instid1(VALU_DEP_1)
	v_cvt_f32_i32_e32 v23, v23
	v_mul_f32_e32 v23, s30, v23
	s_delay_alu instid0(VALU_DEP_1) | instskip(NEXT) | instid1(VALU_DEP_1)
	v_dual_cndmask_b32 v22, 0, v23 :: v_dual_max_num_f32 v23, v10, v10
	v_dual_fmac_f32 v22, s7, v21 :: v_dual_add_nc_u32 v21, v8, v14
	s_delay_alu instid0(VALU_DEP_1) | instskip(NEXT) | instid1(VALU_DEP_2)
	v_max_num_f32_e32 v23, v23, v22
	v_cmp_gt_i32_e64 s4, s34, v21
	s_wait_alu 0xf1ff
	s_delay_alu instid0(VALU_DEP_1) | instskip(NEXT) | instid1(VALU_DEP_3)
	v_cndmask_b32_e64 v21, 0, v22, s4
	v_cndmask_b32_e64 v10, v10, v23, s4
	ds_store_b32 v16, v21
	s_branch .LBB191_11
.LBB191_20:
	s_or_b32 exec_lo, exec_lo, s40
.LBB191_21:
	s_delay_alu instid0(SALU_CYCLE_1)
	s_or_b32 exec_lo, exec_lo, s6
	v_xor_b32_e32 v1, 16, v7
	v_xor_b32_e32 v3, 8, v7
	s_clause 0x2
	s_load_b128 s[4:7], s[0:1], 0x0
	s_load_b64 s[8:9], s[0:1], 0x10
	s_load_b64 s[30:31], s[0:1], 0x28
	v_max_num_f32_e32 v8, v10, v10
	v_and_b32_e32 v14, 31, v0
	v_cmp_gt_i32_e32 vcc_lo, 32, v1
	s_wait_alu 0xfffd
	v_cndmask_b32_e32 v1, v7, v1, vcc_lo
	v_cmp_gt_i32_e32 vcc_lo, 32, v3
	s_wait_alu 0xfffd
	s_delay_alu instid0(VALU_DEP_2) | instskip(SKIP_3) | instid1(VALU_DEP_1)
	v_dual_cndmask_b32 v3, v7, v3 :: v_dual_lshlrev_b32 v2, 2, v1
	ds_bpermute_b32 v1, v2, v10
	s_wait_dscnt 0x0
	v_dual_max_num_f32 v1, v1, v1 :: v_dual_lshlrev_b32 v4, 2, v3
	v_max_num_f32_e32 v1, v8, v1
	v_xor_b32_e32 v8, 4, v7
	s_delay_alu instid0(VALU_DEP_1)
	v_cmp_gt_i32_e32 vcc_lo, 32, v8
	s_wait_alu 0xfffd
	v_cndmask_b32_e32 v8, v7, v8, vcc_lo
	ds_bpermute_b32 v3, v4, v1
	v_cmp_eq_u32_e32 vcc_lo, 0, v14
	v_lshlrev_b32_e32 v10, 2, v8
	v_lshlrev_b32_e32 v8, 2, v11
	s_wait_dscnt 0x0
	v_max_num_f32_e32 v3, v3, v3
	s_delay_alu instid0(VALU_DEP_1)
	v_max_num_f32_e32 v1, v1, v3
	ds_bpermute_b32 v3, v10, v1
	s_and_saveexec_b32 s0, vcc_lo
	s_cbranch_execz .LBB191_23
; %bb.22:
	s_wait_dscnt 0x0
	v_max_num_f32_e32 v3, v3, v3
	v_max_num_f32_e32 v1, v1, v1
	s_delay_alu instid0(VALU_DEP_1)
	v_max_num_f32_e32 v1, v1, v3
	ds_store_b32 v8, v1 offset:320
.LBB191_23:
	s_or_b32 exec_lo, exec_lo, s0
	v_cmp_gt_u32_e64 s0, 4, v14
	v_mov_b32_e32 v1, 0xff7fffff
	v_lshlrev_b32_e32 v9, 2, v14
	s_wait_loadcnt_dscnt 0x0
	s_barrier_signal -1
	s_barrier_wait -1
	global_inv scope:SCOPE_SE
	s_and_saveexec_b32 s1, s0
; %bb.24:
	ds_load_b32 v1, v9 offset:320
; %bb.25:
	s_or_b32 exec_lo, exec_lo, s1
	v_xor_b32_e32 v3, 2, v7
	v_xor_b32_e32 v15, 1, v7
	s_delay_alu instid0(VALU_DEP_2) | instskip(NEXT) | instid1(VALU_DEP_1)
	v_cmp_gt_i32_e64 s1, 32, v3
	v_cndmask_b32_e64 v3, v7, v3, s1
	s_delay_alu instid0(VALU_DEP_3) | instskip(NEXT) | instid1(VALU_DEP_2)
	v_cmp_gt_i32_e64 s1, 32, v15
	v_lshlrev_b32_e32 v16, 2, v3
	s_wait_alu 0xf1ff
	s_delay_alu instid0(VALU_DEP_2)
	v_cndmask_b32_e64 v7, v7, v15, s1
	s_sub_co_i32 s1, s23, s39
	s_wait_alu 0xfffe
	s_lshl_b32 s1, s1, 3
	s_wait_dscnt 0x0
	ds_bpermute_b32 v3, v16, v1
	v_max_num_f32_e32 v1, v1, v1
	v_lshlrev_b32_e32 v15, 2, v7
	v_mov_b32_e32 v7, 0
	s_wait_alu 0xfffe
	s_add_co_i32 s1, s1, s36
	s_wait_alu 0xfffe
	s_min_i32 s1, s1, s34
	s_wait_alu 0xfffe
	s_sub_co_i32 s18, s1, s36
	s_wait_alu 0xfffe
	v_cmp_gt_i32_e64 s1, s18, v0
	s_wait_dscnt 0x0
	v_max_num_f32_e32 v3, v3, v3
	s_delay_alu instid0(VALU_DEP_1) | instskip(SKIP_3) | instid1(VALU_DEP_1)
	v_max_num_f32_e32 v1, v1, v3
	ds_bpermute_b32 v3, v15, v1
	s_wait_dscnt 0x0
	v_max_num_f32_e32 v3, v3, v3
	v_max_num_f32_e32 v1, v1, v3
	v_lshl_add_u32 v3, v0, 2, 0x160
	ds_bpermute_b32 v1, v7, v1
	s_and_saveexec_b32 s29, s1
	s_cbranch_execz .LBB191_29
; %bb.26:
	v_lshl_add_u32 v17, v0, 2, 0x160
	v_dual_mov_b32 v7, 0 :: v_dual_mov_b32 v18, v0
	s_mov_b32 s36, 0
.LBB191_27:                             ; =>This Inner Loop Header: Depth=1
	ds_load_b32 v19, v17
	v_add_nc_u32_e32 v18, 0x80, v18
	s_delay_alu instid0(VALU_DEP_1) | instskip(SKIP_4) | instid1(VALU_DEP_1)
	v_cmp_le_i32_e64 s3, s18, v18
	s_wait_alu 0xfffe
	s_or_b32 s36, s3, s36
	s_wait_dscnt 0x0
	v_sub_f32_e32 v19, v19, v1
	v_mul_f32_e32 v19, 0x3fb8aa3b, v19
	s_delay_alu instid0(VALU_DEP_1)
	v_exp_f32_e32 v19, v19
	ds_store_b32 v17, v19
	v_add_f32_e32 v7, v7, v19
	v_add_nc_u32_e32 v17, 0x200, v17
	s_wait_alu 0xfffe
	s_and_not1_b32 exec_lo, exec_lo, s36
	s_cbranch_execnz .LBB191_27
; %bb.28:
	s_or_b32 exec_lo, exec_lo, s36
.LBB191_29:
	s_wait_alu 0xfffe
	s_or_b32 exec_lo, exec_lo, s29
	ds_bpermute_b32 v2, v2, v7
	s_wait_dscnt 0x0
	v_add_f32_e32 v2, v7, v2
	ds_bpermute_b32 v4, v4, v2
	s_wait_dscnt 0x0
	v_add_f32_e32 v2, v2, v4
	;; [unrolled: 3-line block ×5, first 2 shown]
	s_and_saveexec_b32 s3, vcc_lo
; %bb.30:
	ds_store_b32 v8, v2 offset:336
; %bb.31:
	s_wait_alu 0xfffe
	s_or_b32 exec_lo, exec_lo, s3
	s_wait_loadcnt_dscnt 0x0
	s_barrier_signal -1
	s_barrier_wait -1
	global_inv scope:SCOPE_SE
	s_and_saveexec_b32 s3, s0
; %bb.32:
	ds_load_b32 v2, v9 offset:336
; %bb.33:
	s_wait_alu 0xfffe
	s_or_b32 exec_lo, exec_lo, s3
	s_wait_dscnt 0x0
	ds_bpermute_b32 v4, v16, v2
	s_wait_dscnt 0x0
	v_add_f32_e32 v2, v2, v4
	ds_bpermute_b32 v4, v15, v2
	s_wait_dscnt 0x0
	v_add_f32_e32 v2, v2, v4
	v_mov_b32_e32 v4, 0
	ds_bpermute_b32 v2, v4, v2
	s_and_saveexec_b32 s0, s1
	s_cbranch_execz .LBB191_36
; %bb.34:
	s_wait_dscnt 0x0
	v_add_f32_e32 v4, 0x358637bd, v2
	s_mov_b32 s1, 0
	s_delay_alu instid0(VALU_DEP_1) | instskip(SKIP_1) | instid1(VALU_DEP_2)
	v_div_scale_f32 v7, null, v4, v4, 1.0
	v_div_scale_f32 v10, vcc_lo, 1.0, v4, 1.0
	v_rcp_f32_e32 v8, v7
	s_delay_alu instid0(TRANS32_DEP_1) | instskip(NEXT) | instid1(VALU_DEP_1)
	v_fma_f32 v9, -v7, v8, 1.0
	v_fmac_f32_e32 v8, v9, v8
	s_delay_alu instid0(VALU_DEP_1) | instskip(NEXT) | instid1(VALU_DEP_1)
	v_mul_f32_e32 v9, v10, v8
	v_fma_f32 v16, -v7, v9, v10
	s_delay_alu instid0(VALU_DEP_1) | instskip(NEXT) | instid1(VALU_DEP_1)
	v_fmac_f32_e32 v9, v16, v8
	v_fma_f32 v7, -v7, v9, v10
	s_wait_alu 0xfffd
	s_delay_alu instid0(VALU_DEP_1) | instskip(NEXT) | instid1(VALU_DEP_1)
	v_div_fmas_f32 v7, v7, v8, v9
	v_div_fixup_f32 v4, v7, v4, 1.0
	v_mov_b32_e32 v7, v0
.LBB191_35:                             ; =>This Inner Loop Header: Depth=1
	ds_load_b32 v8, v3
	s_wait_dscnt 0x0
	v_dual_mul_f32 v8, v4, v8 :: v_dual_add_nc_u32 v7, 0x80, v7
	s_delay_alu instid0(VALU_DEP_1)
	v_cmp_le_i32_e32 vcc_lo, s18, v7
	ds_store_b32 v3, v8
	v_add_nc_u32_e32 v3, 0x200, v3
	s_wait_alu 0xfffe
	s_or_b32 s1, vcc_lo, s1
	s_wait_alu 0xfffe
	s_and_not1_b32 exec_lo, exec_lo, s1
	s_cbranch_execnz .LBB191_35
.LBB191_36:
	s_wait_alu 0xfffe
	s_or_b32 exec_lo, exec_lo, s0
	s_mul_i32 s0, s12, s19
	s_wait_loadcnt_dscnt 0x0
	s_wait_alu 0xfffe
	s_mul_i32 s18, s0, s35
	s_mov_b32 s0, exec_lo
	s_barrier_signal -1
	s_barrier_wait -1
	global_inv scope:SCOPE_SE
	v_cmpx_eq_u32_e32 0, v0
	s_cbranch_execz .LBB191_38
; %bb.37:
	s_wait_alu 0xfffe
	s_ashr_i32 s19, s18, 31
	s_mul_i32 s40, s12, ttmp9
	s_lshl_b32 s1, s33, 2
	s_wait_alu 0xfffe
	s_lshl_b64 s[42:43], s[18:19], 2
	s_ashr_i32 s41, s40, 31
	v_mov_b32_e32 v3, s1
	s_wait_kmcnt 0x0
	s_wait_alu 0xfffe
	s_add_nc_u64 s[6:7], s[6:7], s[42:43]
	s_lshl_b64 s[40:41], s[40:41], 2
	s_add_nc_u64 s[4:5], s[4:5], s[42:43]
	s_wait_alu 0xfffe
	s_add_nc_u64 s[6:7], s[6:7], s[40:41]
	s_add_nc_u64 s[4:5], s[4:5], s[40:41]
	s_clause 0x1
	global_store_b32 v3, v1, s[6:7]
	global_store_b32 v3, v2, s[4:5]
.LBB191_38:
	s_wait_alu 0xfffe
	s_or_b32 exec_lo, exec_lo, s0
	v_dual_mov_b32 v20, 0 :: v_dual_mov_b32 v21, 0
	v_dual_mov_b32 v19, 0 :: v_dual_and_b32 v16, 1, v0
	v_dual_mov_b32 v18, 0 :: v_dual_mov_b32 v17, 0
	s_and_saveexec_b32 s1, s2
	s_cbranch_execz .LBB191_54
; %bb.39:
	s_abs_i32 s2, s14
	v_dual_mov_b32 v18, 0 :: v_dual_lshlrev_b32 v3, 4, v16
	s_wait_alu 0xfffe
	s_cvt_f32_u32 s0, s2
	s_wait_kmcnt 0x0
	s_lshl_b64 s[6:7], s[26:27], 2
	v_dual_mov_b32 v19, 0 :: v_dual_and_b32 v2, 0x7c, v5
	s_wait_alu 0xfffe
	v_rcp_iflag_f32_e32 v1, s0
	s_ashr_i32 s29, s28, 31
	s_add_nc_u64 s[6:7], s[24:25], s[6:7]
	v_dual_mov_b32 v17, 0 :: v_dual_and_b32 v22, 4, v5
	s_wait_alu 0xfffe
	s_add_nc_u64 s[26:27], s[30:31], s[28:29]
	v_add_co_u32 v5, s6, s6, v6
	s_sub_co_i32 s5, 0, s2
	v_add_co_ci_u32_e64 v6, null, s7, 0, s6
	s_delay_alu instid0(TRANS32_DEP_1)
	v_readfirstlane_b32 s0, v1
	v_lshl_or_b32 v1, v11, 5, v3
	v_add_co_u32 v7, s6, s26, v2
	s_wait_alu 0xf1ff
	v_add_co_ci_u32_e64 v8, null, s27, 0, s6
	s_mul_f32 s0, s0, 0x4f7ffffe
	v_dual_mov_b32 v20, 0 :: v_dual_add_nc_u32 v23, 0x160, v1
	v_mov_b32_e32 v21, 0
	s_wait_alu 0xfffe
	s_cvt_u32_f32 s0, s0
	s_sub_co_i32 s3, s38, s13
	s_mov_b32 s4, s17
	s_add_co_i32 s37, s37, -1
	s_wait_alu 0xfffe
	s_mul_i32 s5, s5, s0
	s_wait_alu 0xfffe
	s_mul_hi_u32 s6, s0, s5
	s_mov_b32 s5, 0
	s_wait_alu 0xfffe
	s_add_co_i32 s6, s0, s6
	s_branch .LBB191_42
.LBB191_40:                             ;   in Loop: Header=BB191_42 Depth=1
	s_wait_alu 0xfffe
	s_or_b32 exec_lo, exec_lo, s0
	s_wait_dscnt 0x0
	v_mul_f32_e32 v32, v1, v39
	v_mul_f32_e32 v27, v1, v27
	s_delay_alu instid0(VALU_DEP_1) | instskip(NEXT) | instid1(VALU_DEP_1)
	v_dual_mul_f32 v30, v1, v43 :: v_dual_fmac_f32 v27, v2, v26
	v_dual_mul_f32 v33, v1, v35 :: v_dual_fmac_f32 v30, v2, v42
	s_delay_alu instid0(VALU_DEP_1) | instskip(SKIP_1) | instid1(VALU_DEP_2)
	v_dual_fmac_f32 v33, v2, v31 :: v_dual_fmac_f32 v30, v3, v41
	v_mul_f32_e32 v1, v1, v45
	v_dual_fmac_f32 v33, v3, v29 :: v_dual_fmac_f32 v30, v4, v40
	s_delay_alu instid0(VALU_DEP_2) | instskip(SKIP_1) | instid1(VALU_DEP_3)
	v_fmac_f32_e32 v1, v2, v44
	v_dual_fmac_f32 v32, v2, v38 :: v_dual_fmac_f32 v27, v3, v25
	v_dual_fmac_f32 v33, v4, v28 :: v_dual_add_f32 v18, v18, v30
	s_delay_alu instid0(VALU_DEP_2) | instskip(NEXT) | instid1(VALU_DEP_4)
	v_dual_fmac_f32 v32, v3, v37 :: v_dual_fmac_f32 v27, v4, v24
	v_fmac_f32_e32 v1, v3, v10
	s_delay_alu instid0(VALU_DEP_2) | instskip(NEXT) | instid1(VALU_DEP_3)
	v_dual_add_f32 v21, v21, v33 :: v_dual_fmac_f32 v32, v4, v36
	v_add_f32_e32 v20, v20, v27
	s_delay_alu instid0(VALU_DEP_3) | instskip(NEXT) | instid1(VALU_DEP_3)
	v_fmac_f32_e32 v1, v4, v9
	v_add_f32_e32 v19, v19, v32
	s_delay_alu instid0(VALU_DEP_2)
	v_add_f32_e32 v17, v17, v1
.LBB191_41:                             ;   in Loop: Header=BB191_42 Depth=1
	s_wait_alu 0xfffe
	s_or_b32 exec_lo, exec_lo, s7
	v_add_nc_u32_e32 v13, 4, v13
	v_add_co_u32 v5, s0, v5, 16
	s_wait_alu 0xf1ff
	v_add_co_ci_u32_e64 v6, null, 0, v6, s0
	s_delay_alu instid0(VALU_DEP_3)
	v_cmp_le_i32_e32 vcc_lo, s23, v13
	v_add_nc_u32_e32 v12, 32, v12
	v_add_nc_u32_e32 v23, 0x80, v23
	s_or_b32 s5, vcc_lo, s5
	s_wait_alu 0xfffe
	s_and_not1_b32 exec_lo, exec_lo, s5
	s_cbranch_execz .LBB191_53
.LBB191_42:                             ; =>This Inner Loop Header: Depth=1
	v_sub_nc_u32_e32 v1, 0, v12
	s_delay_alu instid0(VALU_DEP_1) | instskip(NEXT) | instid1(VALU_DEP_1)
	v_max_i32_e32 v1, v12, v1
	v_mul_hi_u32 v2, v1, s22
	s_delay_alu instid0(VALU_DEP_1) | instskip(NEXT) | instid1(VALU_DEP_1)
	v_mul_lo_u32 v3, v2, s16
	v_sub_nc_u32_e32 v1, v1, v3
	v_add_nc_u32_e32 v3, 1, v2
	s_delay_alu instid0(VALU_DEP_2) | instskip(SKIP_2) | instid1(VALU_DEP_2)
	v_subrev_nc_u32_e32 v4, s16, v1
	v_cmp_le_u32_e32 vcc_lo, s16, v1
	s_wait_alu 0xfffd
	v_dual_cndmask_b32 v2, v2, v3 :: v_dual_cndmask_b32 v1, v1, v4
	v_ashrrev_i32_e32 v3, 31, v12
	s_delay_alu instid0(VALU_DEP_2) | instskip(NEXT) | instid1(VALU_DEP_3)
	v_add_nc_u32_e32 v4, 1, v2
	v_cmp_le_u32_e32 vcc_lo, s16, v1
	s_delay_alu instid0(VALU_DEP_3) | instskip(SKIP_1) | instid1(VALU_DEP_3)
	v_xor_b32_e32 v3, s15, v3
	s_wait_alu 0xfffd
	v_cndmask_b32_e32 v1, v2, v4, vcc_lo
	s_delay_alu instid0(VALU_DEP_1) | instskip(NEXT) | instid1(VALU_DEP_1)
	v_xor_b32_e32 v1, v1, v3
	v_sub_nc_u32_e32 v1, v1, v3
	s_delay_alu instid0(VALU_DEP_1) | instskip(SKIP_1) | instid1(VALU_DEP_2)
	v_add_nc_u32_e32 v2, s21, v1
	v_cmp_lt_i32_e64 s0, s3, v1
	v_sub_nc_u32_e32 v3, 0, v2
	s_delay_alu instid0(VALU_DEP_1) | instskip(SKIP_1) | instid1(VALU_DEP_1)
	v_max_i32_e32 v3, v2, v3
	s_wait_alu 0xfffe
	v_mul_hi_u32 v4, v3, s6
	s_delay_alu instid0(VALU_DEP_1) | instskip(NEXT) | instid1(VALU_DEP_1)
	v_mul_lo_u32 v4, v4, s2
	v_sub_nc_u32_e32 v3, v3, v4
	s_delay_alu instid0(VALU_DEP_1) | instskip(SKIP_2) | instid1(VALU_DEP_2)
	v_subrev_nc_u32_e32 v4, s2, v3
	v_cmp_le_u32_e32 vcc_lo, s2, v3
	s_wait_alu 0xfffd
	v_cndmask_b32_e32 v3, v3, v4, vcc_lo
	v_ashrrev_i32_e32 v2, 31, v2
	s_delay_alu instid0(VALU_DEP_2) | instskip(SKIP_2) | instid1(VALU_DEP_2)
	v_subrev_nc_u32_e32 v4, s2, v3
	v_cmp_le_u32_e32 vcc_lo, s2, v3
	s_wait_alu 0xfffd
	v_cndmask_b32_e32 v3, v3, v4, vcc_lo
	s_delay_alu instid0(VALU_DEP_1) | instskip(NEXT) | instid1(VALU_DEP_1)
	v_xor_b32_e32 v3, v3, v2
	v_sub_nc_u32_e32 v2, v3, v2
	s_delay_alu instid0(VALU_DEP_1)
	v_cmp_eq_u32_e32 vcc_lo, 0, v2
	s_or_b32 s0, vcc_lo, s0
	s_wait_alu 0xfffe
	s_and_saveexec_b32 s7, s0
	s_cbranch_execz .LBB191_41
; %bb.43:                               ;   in Loop: Header=BB191_42 Depth=1
	global_load_b32 v1, v[5:6], off
	s_load_b32 s13, s[10:11], 0x0
	v_add_nc_u32_e32 v30, v22, v12
	v_cmp_eq_u32_e32 vcc_lo, s37, v13
	s_delay_alu instid0(VALU_DEP_2)
	v_add_nc_u32_e32 v34, 3, v30
	s_wait_loadcnt 0x0
	v_mad_co_i64_i32 v[9:10], null, v1, s4, v[7:8]
	ds_load_b128 v[1:4], v23
	global_load_b32 v24, v[9:10], off
	s_wait_loadcnt 0x0
	v_lshrrev_b32_e32 v26, 16, v24
	s_delay_alu instid0(VALU_DEP_1) | instskip(SKIP_1) | instid1(VALU_DEP_1)
	v_cvt_pk_f32_fp8_e32 v[28:29], v26
	v_and_b32_e32 v25, 0xffff, v24
	v_cvt_pk_f32_fp8_e32 v[24:25], v25
	v_add_nc_u32_e32 v33, 1, v30
	s_wait_kmcnt 0x0
	s_delay_alu instid0(VALU_DEP_2) | instskip(NEXT) | instid1(VALU_DEP_3)
	v_dual_mul_f32 v27, s13, v24 :: v_dual_add_nc_u32 v32, 2, v30
	v_dual_mul_f32 v26, s13, v25 :: v_dual_mul_f32 v25, s13, v28
	v_mul_f32_e32 v24, s13, v29
	s_and_saveexec_b32 s14, vcc_lo
	s_cbranch_execz .LBB191_45
; %bb.44:                               ;   in Loop: Header=BB191_42 Depth=1
	v_cmp_gt_i32_e64 s0, s34, v30
	s_wait_alu 0xf1ff
	s_delay_alu instid0(VALU_DEP_1) | instskip(SKIP_2) | instid1(VALU_DEP_1)
	v_cndmask_b32_e64 v27, 0, v27, s0
	v_cmp_gt_i32_e64 s0, s34, v33
	s_wait_alu 0xf1ff
	v_cndmask_b32_e64 v26, 0, v26, s0
	v_cmp_gt_i32_e64 s0, s34, v32
	s_wait_alu 0xf1ff
	s_delay_alu instid0(VALU_DEP_1) | instskip(SKIP_2) | instid1(VALU_DEP_1)
	v_cndmask_b32_e64 v25, 0, v25, s0
	v_cmp_gt_i32_e64 s0, s34, v34
	s_wait_alu 0xf1ff
	v_cndmask_b32_e64 v24, 0, v24, s0
.LBB191_45:                             ;   in Loop: Header=BB191_42 Depth=1
	s_wait_alu 0xfffe
	s_or_b32 exec_lo, exec_lo, s14
	global_load_b32 v28, v[9:10], off offset:128
	s_mov_b32 s14, s13
	s_wait_loadcnt 0x0
	v_lshrrev_b32_e32 v31, 16, v28
	s_delay_alu instid0(VALU_DEP_1) | instskip(SKIP_1) | instid1(VALU_DEP_1)
	v_cvt_pk_f32_fp8_e32 v[36:37], v31
	v_and_b32_e32 v29, 0xffff, v28
	v_cvt_pk_f32_fp8_e32 v[28:29], v29
	s_delay_alu instid0(VALU_DEP_1) | instskip(SKIP_1) | instid1(VALU_DEP_2)
	v_mul_f32_e32 v35, s13, v28
	s_wait_alu 0xfffe
	v_mul_f32_e32 v31, s14, v29
	v_dual_mul_f32 v29, s13, v36 :: v_dual_mul_f32 v28, s14, v37
	s_and_saveexec_b32 s17, vcc_lo
	s_cbranch_execz .LBB191_47
; %bb.46:                               ;   in Loop: Header=BB191_42 Depth=1
	v_cmp_gt_i32_e64 s0, s34, v30
	s_wait_alu 0xf1ff
	s_delay_alu instid0(VALU_DEP_1) | instskip(SKIP_2) | instid1(VALU_DEP_1)
	v_cndmask_b32_e64 v35, 0, v35, s0
	v_cmp_gt_i32_e64 s0, s34, v33
	s_wait_alu 0xf1ff
	v_cndmask_b32_e64 v31, 0, v31, s0
	v_cmp_gt_i32_e64 s0, s34, v32
	s_wait_alu 0xf1ff
	s_delay_alu instid0(VALU_DEP_1) | instskip(SKIP_2) | instid1(VALU_DEP_1)
	v_cndmask_b32_e64 v29, 0, v29, s0
	v_cmp_gt_i32_e64 s0, s34, v34
	s_wait_alu 0xf1ff
	v_cndmask_b32_e64 v28, 0, v28, s0
.LBB191_47:                             ;   in Loop: Header=BB191_42 Depth=1
	s_wait_alu 0xfffe
	s_or_b32 exec_lo, exec_lo, s17
	global_load_b32 v36, v[9:10], off offset:256
	s_wait_loadcnt 0x0
	v_lshrrev_b32_e32 v38, 16, v36
	s_delay_alu instid0(VALU_DEP_1) | instskip(SKIP_1) | instid1(VALU_DEP_1)
	v_cvt_pk_f32_fp8_e32 v[40:41], v38
	v_and_b32_e32 v37, 0xffff, v36
	v_cvt_pk_f32_fp8_e32 v[36:37], v37
	s_delay_alu instid0(VALU_DEP_1) | instskip(NEXT) | instid1(VALU_DEP_4)
	v_dual_mul_f32 v39, s13, v36 :: v_dual_mul_f32 v38, s14, v37
	v_dual_mul_f32 v37, s13, v40 :: v_dual_mul_f32 v36, s14, v41
	s_and_saveexec_b32 s17, vcc_lo
	s_cbranch_execz .LBB191_49
; %bb.48:                               ;   in Loop: Header=BB191_42 Depth=1
	v_cmp_gt_i32_e64 s0, s34, v30
	s_wait_alu 0xf1ff
	s_delay_alu instid0(VALU_DEP_1) | instskip(SKIP_2) | instid1(VALU_DEP_1)
	v_cndmask_b32_e64 v39, 0, v39, s0
	v_cmp_gt_i32_e64 s0, s34, v33
	s_wait_alu 0xf1ff
	v_cndmask_b32_e64 v38, 0, v38, s0
	v_cmp_gt_i32_e64 s0, s34, v32
	s_wait_alu 0xf1ff
	s_delay_alu instid0(VALU_DEP_1) | instskip(SKIP_2) | instid1(VALU_DEP_1)
	v_cndmask_b32_e64 v37, 0, v37, s0
	v_cmp_gt_i32_e64 s0, s34, v34
	s_wait_alu 0xf1ff
	v_cndmask_b32_e64 v36, 0, v36, s0
.LBB191_49:                             ;   in Loop: Header=BB191_42 Depth=1
	s_wait_alu 0xfffe
	s_or_b32 exec_lo, exec_lo, s17
	global_load_b32 v40, v[9:10], off offset:384
	s_wait_loadcnt 0x0
	v_lshrrev_b32_e32 v42, 16, v40
	s_delay_alu instid0(VALU_DEP_1) | instskip(SKIP_1) | instid1(VALU_DEP_1)
	v_cvt_pk_f32_fp8_e32 v[44:45], v42
	v_and_b32_e32 v41, 0xffff, v40
	v_cvt_pk_f32_fp8_e32 v[40:41], v41
	s_delay_alu instid0(VALU_DEP_1) | instskip(NEXT) | instid1(VALU_DEP_4)
	v_dual_mul_f32 v43, s13, v40 :: v_dual_mul_f32 v42, s14, v41
	;; [unrolled: 30-line block ×3, first 2 shown]
	v_dual_mul_f32 v10, s13, v46 :: v_dual_mul_f32 v9, s14, v47
	s_and_saveexec_b32 s0, vcc_lo
	s_cbranch_execz .LBB191_40
; %bb.52:                               ;   in Loop: Header=BB191_42 Depth=1
	v_cmp_gt_i32_e32 vcc_lo, s34, v30
	s_wait_alu 0xfffd
	v_cndmask_b32_e32 v45, 0, v45, vcc_lo
	v_cmp_gt_i32_e32 vcc_lo, s34, v33
	s_wait_alu 0xfffd
	v_cndmask_b32_e32 v44, 0, v44, vcc_lo
	;; [unrolled: 3-line block ×4, first 2 shown]
	s_branch .LBB191_40
.LBB191_53:
	s_or_b32 exec_lo, exec_lo, s5
.LBB191_54:
	s_wait_alu 0xfffe
	s_or_b32 exec_lo, exec_lo, s1
	ds_bpermute_b32 v1, v15, v20
	ds_bpermute_b32 v2, v15, v21
	;; [unrolled: 1-line block ×5, first 2 shown]
	v_lshrrev_b32_e32 v6, 1, v14
	v_mul_u32_u24_e32 v8, 0x140, v11
	v_and_b32_e32 v9, 0x3c1, v0
	s_mov_b32 s0, exec_lo
	s_wait_storecnt 0x0
	s_wait_loadcnt_dscnt 0x0
	v_lshl_add_u32 v7, v6, 2, 0x160
	s_barrier_signal -1
	s_barrier_wait -1
	global_inv scope:SCOPE_SE
	v_dual_add_f32 v1, v20, v1 :: v_dual_add_f32 v2, v21, v2
	v_dual_add_f32 v3, v19, v3 :: v_dual_add_f32 v4, v18, v4
	v_add_f32_e32 v5, v17, v5
	v_cmpx_eq_u32_e32 64, v9
	s_cbranch_execz .LBB191_56
; %bb.55:
	v_add_nc_u32_e32 v9, v7, v8
	s_delay_alu instid0(VALU_DEP_1)
	v_add_nc_u32_e32 v10, 0xfffffd80, v9
	v_add_nc_u32_e32 v11, 0xfffffdc0, v9
	;; [unrolled: 1-line block ×5, first 2 shown]
	ds_store_b32 v10, v1
	ds_store_b32 v11, v2
	;; [unrolled: 1-line block ×5, first 2 shown]
.LBB191_56:
	s_wait_alu 0xfffe
	s_or_b32 exec_lo, exec_lo, s0
	v_lshlrev_b32_e32 v6, 2, v6
	s_mov_b32 s1, exec_lo
	v_cmp_eq_u32_e32 vcc_lo, 0, v16
	s_wait_loadcnt_dscnt 0x0
	s_barrier_signal -1
	v_add3_u32 v6, 0x160, v8, v6
	s_barrier_wait -1
	global_inv scope:SCOPE_SE
	v_cmpx_gt_u32_e32 64, v0
	s_cbranch_execz .LBB191_64
; %bb.57:
	s_and_saveexec_b32 s0, vcc_lo
	s_cbranch_execnz .LBB191_77
; %bb.58:
	s_wait_alu 0xfffe
	s_or_b32 exec_lo, exec_lo, s0
	s_and_saveexec_b32 s0, vcc_lo
	s_cbranch_execnz .LBB191_78
.LBB191_59:
	s_wait_alu 0xfffe
	s_or_b32 exec_lo, exec_lo, s0
	s_and_saveexec_b32 s0, vcc_lo
	s_cbranch_execnz .LBB191_79
.LBB191_60:
	s_wait_alu 0xfffe
	s_or_b32 exec_lo, exec_lo, s0
	s_and_saveexec_b32 s0, vcc_lo
	s_cbranch_execnz .LBB191_80
.LBB191_61:
	s_wait_alu 0xfffe
	s_or_b32 exec_lo, exec_lo, s0
	s_and_saveexec_b32 s0, vcc_lo
	s_cbranch_execz .LBB191_63
.LBB191_62:
	ds_load_b32 v8, v6 offset:256
	s_wait_dscnt 0x0
	v_add_f32_e32 v5, v5, v8
.LBB191_63:
	s_wait_alu 0xfffe
	s_or_b32 exec_lo, exec_lo, s0
.LBB191_64:
	s_wait_alu 0xfffe
	s_or_b32 exec_lo, exec_lo, s1
	v_and_b32_e32 v8, 0x3e1, v0
	s_mov_b32 s1, exec_lo
	s_wait_loadcnt 0x0
	s_barrier_signal -1
	s_barrier_wait -1
	global_inv scope:SCOPE_SE
	v_cmpx_eq_u32_e32 32, v8
	s_cbranch_execz .LBB191_66
; %bb.65:
	ds_store_2addr_b32 v7, v1, v2 offset1:16
	ds_store_2addr_b32 v7, v3, v4 offset0:32 offset1:48
	ds_store_b32 v7, v5 offset:256
.LBB191_66:
	s_wait_alu 0xfffe
	s_or_b32 exec_lo, exec_lo, s1
	s_delay_alu instid0(SALU_CYCLE_1)
	s_mov_b32 s1, exec_lo
	s_wait_loadcnt_dscnt 0x0
	s_barrier_signal -1
	s_barrier_wait -1
	global_inv scope:SCOPE_SE
	v_cmpx_gt_u32_e32 32, v0
	s_cbranch_execz .LBB191_74
; %bb.67:
	s_and_saveexec_b32 s0, vcc_lo
	s_cbranch_execnz .LBB191_81
; %bb.68:
	s_wait_alu 0xfffe
	s_or_b32 exec_lo, exec_lo, s0
	s_and_saveexec_b32 s0, vcc_lo
	s_cbranch_execnz .LBB191_82
.LBB191_69:
	s_wait_alu 0xfffe
	s_or_b32 exec_lo, exec_lo, s0
	s_and_saveexec_b32 s0, vcc_lo
	s_cbranch_execnz .LBB191_83
.LBB191_70:
	s_wait_alu 0xfffe
	s_or_b32 exec_lo, exec_lo, s0
	s_and_saveexec_b32 s0, vcc_lo
	s_cbranch_execnz .LBB191_84
.LBB191_71:
	s_wait_alu 0xfffe
	s_or_b32 exec_lo, exec_lo, s0
	s_and_saveexec_b32 s0, vcc_lo
	s_cbranch_execz .LBB191_73
.LBB191_72:
	ds_load_b32 v6, v6 offset:256
	s_wait_dscnt 0x0
	v_add_f32_e32 v5, v5, v6
.LBB191_73:
	s_wait_alu 0xfffe
	s_or_b32 exec_lo, exec_lo, s0
.LBB191_74:
	s_wait_alu 0xfffe
	s_or_b32 exec_lo, exec_lo, s1
	s_mov_b32 s1, 0
	s_wait_loadcnt 0x0
	s_barrier_signal -1
	s_barrier_wait -1
	global_inv scope:SCOPE_SE
	s_mov_b32 s0, exec_lo
	v_cmpx_eq_u32_e32 0, v8
	s_cbranch_execz .LBB191_76
; %bb.75:
	s_mul_i32 s2, s18, 0x50
	s_wait_kmcnt 0x0
	s_mul_i32 s4, s12, s20
	s_wait_alu 0xfffe
	s_ashr_i32 s3, s2, 31
	s_ashr_i32 s5, s4, 31
	s_wait_alu 0xfffe
	s_lshl_b64 s[2:3], s[2:3], 2
	s_lshl_b64 s[4:5], s[4:5], 2
	s_wait_alu 0xfffe
	s_add_nc_u64 s[2:3], s[8:9], s[2:3]
	v_lshlrev_b32_e32 v0, 1, v0
	s_mul_i32 s0, s33, 0x140
	s_wait_alu 0xfffe
	s_add_nc_u64 s[2:3], s[2:3], s[4:5]
	s_wait_alu 0xfffe
	s_add_nc_u64 s[0:1], s[2:3], s[0:1]
	s_clause 0x4
	global_store_b32 v0, v1, s[0:1]
	global_store_b32 v0, v2, s[0:1] offset:64
	global_store_b32 v0, v3, s[0:1] offset:128
	;; [unrolled: 1-line block ×4, first 2 shown]
.LBB191_76:
	s_endpgm
.LBB191_77:
	ds_load_b32 v8, v6
	s_wait_dscnt 0x0
	v_add_f32_e32 v1, v1, v8
	s_wait_alu 0xfffe
	s_or_b32 exec_lo, exec_lo, s0
	s_and_saveexec_b32 s0, vcc_lo
	s_cbranch_execz .LBB191_59
.LBB191_78:
	ds_load_b32 v8, v6 offset:64
	s_wait_dscnt 0x0
	v_add_f32_e32 v2, v2, v8
	s_wait_alu 0xfffe
	s_or_b32 exec_lo, exec_lo, s0
	s_and_saveexec_b32 s0, vcc_lo
	s_cbranch_execz .LBB191_60
.LBB191_79:
	ds_load_b32 v8, v6 offset:128
	s_wait_dscnt 0x0
	v_add_f32_e32 v3, v3, v8
	s_wait_alu 0xfffe
	s_or_b32 exec_lo, exec_lo, s0
	s_and_saveexec_b32 s0, vcc_lo
	s_cbranch_execz .LBB191_61
.LBB191_80:
	ds_load_b32 v8, v6 offset:192
	s_wait_dscnt 0x0
	v_add_f32_e32 v4, v4, v8
	s_wait_alu 0xfffe
	s_or_b32 exec_lo, exec_lo, s0
	s_and_saveexec_b32 s0, vcc_lo
	s_cbranch_execnz .LBB191_62
	s_branch .LBB191_63
.LBB191_81:
	ds_load_b32 v7, v6
	s_wait_dscnt 0x0
	v_add_f32_e32 v1, v1, v7
	s_wait_alu 0xfffe
	s_or_b32 exec_lo, exec_lo, s0
	s_and_saveexec_b32 s0, vcc_lo
	s_cbranch_execz .LBB191_69
.LBB191_82:
	ds_load_b32 v7, v6 offset:64
	s_wait_dscnt 0x0
	v_add_f32_e32 v2, v2, v7
	s_wait_alu 0xfffe
	s_or_b32 exec_lo, exec_lo, s0
	s_and_saveexec_b32 s0, vcc_lo
	s_cbranch_execz .LBB191_70
.LBB191_83:
	ds_load_b32 v7, v6 offset:128
	s_wait_dscnt 0x0
	v_add_f32_e32 v3, v3, v7
	s_wait_alu 0xfffe
	s_or_b32 exec_lo, exec_lo, s0
	s_and_saveexec_b32 s0, vcc_lo
	s_cbranch_execz .LBB191_71
.LBB191_84:
	ds_load_b32 v7, v6 offset:192
	s_wait_dscnt 0x0
	v_add_f32_e32 v4, v4, v7
	s_wait_alu 0xfffe
	s_or_b32 exec_lo, exec_lo, s0
	s_and_saveexec_b32 s0, vcc_lo
	s_cbranch_execnz .LBB191_72
	s_branch .LBB191_73
	.section	.rodata,"a",@progbits
	.p2align	6, 0x0
	.amdhsa_kernel _ZN4vllm25paged_attention_v2_kernelIfhLi80ELi8ELi128ELNS_18Fp8KVCacheDataTypeE1ELb1ELi512EEEvPfS2_PT_PKS3_PKT0_S9_ifPKiSB_iPKfiiiSD_SD_iiiii
		.amdhsa_group_segment_fixed_size 352
		.amdhsa_private_segment_fixed_size 0
		.amdhsa_kernarg_size 400
		.amdhsa_user_sgpr_count 2
		.amdhsa_user_sgpr_dispatch_ptr 0
		.amdhsa_user_sgpr_queue_ptr 0
		.amdhsa_user_sgpr_kernarg_segment_ptr 1
		.amdhsa_user_sgpr_dispatch_id 0
		.amdhsa_user_sgpr_private_segment_size 0
		.amdhsa_wavefront_size32 1
		.amdhsa_uses_dynamic_stack 0
		.amdhsa_enable_private_segment 0
		.amdhsa_system_sgpr_workgroup_id_x 1
		.amdhsa_system_sgpr_workgroup_id_y 1
		.amdhsa_system_sgpr_workgroup_id_z 1
		.amdhsa_system_sgpr_workgroup_info 0
		.amdhsa_system_vgpr_workitem_id 0
		.amdhsa_next_free_vgpr 49
		.amdhsa_next_free_sgpr 45
		.amdhsa_reserve_vcc 1
		.amdhsa_float_round_mode_32 0
		.amdhsa_float_round_mode_16_64 0
		.amdhsa_float_denorm_mode_32 3
		.amdhsa_float_denorm_mode_16_64 3
		.amdhsa_fp16_overflow 0
		.amdhsa_workgroup_processor_mode 1
		.amdhsa_memory_ordered 1
		.amdhsa_forward_progress 1
		.amdhsa_inst_pref_size 50
		.amdhsa_round_robin_scheduling 0
		.amdhsa_exception_fp_ieee_invalid_op 0
		.amdhsa_exception_fp_denorm_src 0
		.amdhsa_exception_fp_ieee_div_zero 0
		.amdhsa_exception_fp_ieee_overflow 0
		.amdhsa_exception_fp_ieee_underflow 0
		.amdhsa_exception_fp_ieee_inexact 0
		.amdhsa_exception_int_div_zero 0
	.end_amdhsa_kernel
	.section	.text._ZN4vllm25paged_attention_v2_kernelIfhLi80ELi8ELi128ELNS_18Fp8KVCacheDataTypeE1ELb1ELi512EEEvPfS2_PT_PKS3_PKT0_S9_ifPKiSB_iPKfiiiSD_SD_iiiii,"axG",@progbits,_ZN4vllm25paged_attention_v2_kernelIfhLi80ELi8ELi128ELNS_18Fp8KVCacheDataTypeE1ELb1ELi512EEEvPfS2_PT_PKS3_PKT0_S9_ifPKiSB_iPKfiiiSD_SD_iiiii,comdat
.Lfunc_end191:
	.size	_ZN4vllm25paged_attention_v2_kernelIfhLi80ELi8ELi128ELNS_18Fp8KVCacheDataTypeE1ELb1ELi512EEEvPfS2_PT_PKS3_PKT0_S9_ifPKiSB_iPKfiiiSD_SD_iiiii, .Lfunc_end191-_ZN4vllm25paged_attention_v2_kernelIfhLi80ELi8ELi128ELNS_18Fp8KVCacheDataTypeE1ELb1ELi512EEEvPfS2_PT_PKS3_PKT0_S9_ifPKiSB_iPKfiiiSD_SD_iiiii
                                        ; -- End function
	.set _ZN4vllm25paged_attention_v2_kernelIfhLi80ELi8ELi128ELNS_18Fp8KVCacheDataTypeE1ELb1ELi512EEEvPfS2_PT_PKS3_PKT0_S9_ifPKiSB_iPKfiiiSD_SD_iiiii.num_vgpr, 49
	.set _ZN4vllm25paged_attention_v2_kernelIfhLi80ELi8ELi128ELNS_18Fp8KVCacheDataTypeE1ELb1ELi512EEEvPfS2_PT_PKS3_PKT0_S9_ifPKiSB_iPKfiiiSD_SD_iiiii.num_agpr, 0
	.set _ZN4vllm25paged_attention_v2_kernelIfhLi80ELi8ELi128ELNS_18Fp8KVCacheDataTypeE1ELb1ELi512EEEvPfS2_PT_PKS3_PKT0_S9_ifPKiSB_iPKfiiiSD_SD_iiiii.numbered_sgpr, 45
	.set _ZN4vllm25paged_attention_v2_kernelIfhLi80ELi8ELi128ELNS_18Fp8KVCacheDataTypeE1ELb1ELi512EEEvPfS2_PT_PKS3_PKT0_S9_ifPKiSB_iPKfiiiSD_SD_iiiii.num_named_barrier, 0
	.set _ZN4vllm25paged_attention_v2_kernelIfhLi80ELi8ELi128ELNS_18Fp8KVCacheDataTypeE1ELb1ELi512EEEvPfS2_PT_PKS3_PKT0_S9_ifPKiSB_iPKfiiiSD_SD_iiiii.private_seg_size, 0
	.set _ZN4vllm25paged_attention_v2_kernelIfhLi80ELi8ELi128ELNS_18Fp8KVCacheDataTypeE1ELb1ELi512EEEvPfS2_PT_PKS3_PKT0_S9_ifPKiSB_iPKfiiiSD_SD_iiiii.uses_vcc, 1
	.set _ZN4vllm25paged_attention_v2_kernelIfhLi80ELi8ELi128ELNS_18Fp8KVCacheDataTypeE1ELb1ELi512EEEvPfS2_PT_PKS3_PKT0_S9_ifPKiSB_iPKfiiiSD_SD_iiiii.uses_flat_scratch, 0
	.set _ZN4vllm25paged_attention_v2_kernelIfhLi80ELi8ELi128ELNS_18Fp8KVCacheDataTypeE1ELb1ELi512EEEvPfS2_PT_PKS3_PKT0_S9_ifPKiSB_iPKfiiiSD_SD_iiiii.has_dyn_sized_stack, 0
	.set _ZN4vllm25paged_attention_v2_kernelIfhLi80ELi8ELi128ELNS_18Fp8KVCacheDataTypeE1ELb1ELi512EEEvPfS2_PT_PKS3_PKT0_S9_ifPKiSB_iPKfiiiSD_SD_iiiii.has_recursion, 0
	.set _ZN4vllm25paged_attention_v2_kernelIfhLi80ELi8ELi128ELNS_18Fp8KVCacheDataTypeE1ELb1ELi512EEEvPfS2_PT_PKS3_PKT0_S9_ifPKiSB_iPKfiiiSD_SD_iiiii.has_indirect_call, 0
	.section	.AMDGPU.csdata,"",@progbits
; Kernel info:
; codeLenInByte = 6324
; TotalNumSgprs: 47
; NumVgprs: 49
; ScratchSize: 0
; MemoryBound: 0
; FloatMode: 240
; IeeeMode: 1
; LDSByteSize: 352 bytes/workgroup (compile time only)
; SGPRBlocks: 0
; VGPRBlocks: 6
; NumSGPRsForWavesPerEU: 47
; NumVGPRsForWavesPerEU: 49
; Occupancy: 16
; WaveLimiterHint : 1
; COMPUTE_PGM_RSRC2:SCRATCH_EN: 0
; COMPUTE_PGM_RSRC2:USER_SGPR: 2
; COMPUTE_PGM_RSRC2:TRAP_HANDLER: 0
; COMPUTE_PGM_RSRC2:TGID_X_EN: 1
; COMPUTE_PGM_RSRC2:TGID_Y_EN: 1
; COMPUTE_PGM_RSRC2:TGID_Z_EN: 1
; COMPUTE_PGM_RSRC2:TIDIG_COMP_CNT: 0
	.section	.text._ZN4vllm25paged_attention_v2_kernelIfhLi96ELi8ELi128ELNS_18Fp8KVCacheDataTypeE1ELb1ELi512EEEvPfS2_PT_PKS3_PKT0_S9_ifPKiSB_iPKfiiiSD_SD_iiiii,"axG",@progbits,_ZN4vllm25paged_attention_v2_kernelIfhLi96ELi8ELi128ELNS_18Fp8KVCacheDataTypeE1ELb1ELi512EEEvPfS2_PT_PKS3_PKT0_S9_ifPKiSB_iPKfiiiSD_SD_iiiii,comdat
	.protected	_ZN4vllm25paged_attention_v2_kernelIfhLi96ELi8ELi128ELNS_18Fp8KVCacheDataTypeE1ELb1ELi512EEEvPfS2_PT_PKS3_PKT0_S9_ifPKiSB_iPKfiiiSD_SD_iiiii ; -- Begin function _ZN4vllm25paged_attention_v2_kernelIfhLi96ELi8ELi128ELNS_18Fp8KVCacheDataTypeE1ELb1ELi512EEEvPfS2_PT_PKS3_PKT0_S9_ifPKiSB_iPKfiiiSD_SD_iiiii
	.globl	_ZN4vllm25paged_attention_v2_kernelIfhLi96ELi8ELi128ELNS_18Fp8KVCacheDataTypeE1ELb1ELi512EEEvPfS2_PT_PKS3_PKT0_S9_ifPKiSB_iPKfiiiSD_SD_iiiii
	.p2align	8
	.type	_ZN4vllm25paged_attention_v2_kernelIfhLi96ELi8ELi128ELNS_18Fp8KVCacheDataTypeE1ELb1ELi512EEEvPfS2_PT_PKS3_PKT0_S9_ifPKiSB_iPKfiiiSD_SD_iiiii,@function
_ZN4vllm25paged_attention_v2_kernelIfhLi96ELi8ELi128ELNS_18Fp8KVCacheDataTypeE1ELb1ELi512EEEvPfS2_PT_PKS3_PKT0_S9_ifPKiSB_iPKfiiiSD_SD_iiiii: ; @_ZN4vllm25paged_attention_v2_kernelIfhLi96ELi8ELi128ELNS_18Fp8KVCacheDataTypeE1ELb1ELi512EEEvPfS2_PT_PKS3_PKT0_S9_ifPKiSB_iPKfiiiSD_SD_iiiii
; %bb.0:
	s_load_b64 s[2:3], s[0:1], 0x40
	s_and_b32 s19, ttmp7, 0xffff
	s_lshr_b32 s33, ttmp7, 16
	s_lshl_b32 s4, s19, 2
	s_lshl_b32 s36, s33, 9
	s_wait_kmcnt 0x0
	s_load_b32 s34, s[2:3], s4 offset:0x0
	s_wait_kmcnt 0x0
	s_cmp_ge_i32 s36, s34
	s_cbranch_scc1 .LBB192_80
; %bb.1:
	s_clause 0x1
	s_load_b32 s35, s[0:1], 0x90
	s_load_b64 s[6:7], s[0:1], 0x30
	s_wait_kmcnt 0x0
	s_abs_i32 s5, s35
	s_abs_i32 s2, s6
	s_delay_alu instid0(SALU_CYCLE_1) | instskip(SKIP_1) | instid1(SALU_CYCLE_2)
	s_cvt_f32_u32 s3, s2
	s_sub_co_i32 s4, 0, s2
	v_rcp_iflag_f32_e32 v1, s3
	s_delay_alu instid0(TRANS32_DEP_1) | instskip(SKIP_2) | instid1(SALU_CYCLE_2)
	v_readfirstlane_b32 s3, v1
	s_mul_f32 s3, s3, 0x4f7ffffe
	s_wait_alu 0xfffe
	s_cvt_u32_f32 s3, s3
	s_wait_alu 0xfffe
	s_delay_alu instid0(SALU_CYCLE_2) | instskip(NEXT) | instid1(SALU_CYCLE_1)
	s_mul_i32 s4, s4, s3
	s_mul_hi_u32 s4, s3, s4
	s_delay_alu instid0(SALU_CYCLE_1)
	s_add_co_i32 s3, s3, s4
	s_xor_b32 s4, s35, s6
	s_wait_alu 0xfffe
	s_mul_hi_u32 s3, s5, s3
	s_ashr_i32 s4, s4, 31
	s_wait_alu 0xfffe
	s_mul_i32 s8, s3, s2
	s_delay_alu instid0(SALU_CYCLE_1)
	s_sub_co_i32 s5, s5, s8
	s_add_co_i32 s8, s3, 1
	s_sub_co_i32 s9, s5, s2
	s_cmp_ge_u32 s5, s2
	s_cselect_b32 s3, s8, s3
	s_cselect_b32 s5, s9, s5
	s_wait_alu 0xfffe
	s_add_co_i32 s8, s3, 1
	s_cmp_ge_u32 s5, s2
	s_cselect_b32 s2, s8, s3
	s_load_b64 s[8:9], s[0:1], 0x50
	s_xor_b32 s2, s2, s4
	s_mov_b32 s3, 0
	s_wait_alu 0xfffe
	s_sub_co_i32 s11, s2, s4
	s_mov_b32 s30, s3
	s_abs_i32 s10, s11
	s_delay_alu instid0(SALU_CYCLE_1) | instskip(SKIP_1) | instid1(SALU_CYCLE_2)
	s_cvt_f32_u32 s2, s10
	s_wait_alu 0xfffe
	v_rcp_iflag_f32_e32 v1, s2
	s_delay_alu instid0(TRANS32_DEP_1) | instskip(SKIP_2) | instid1(SALU_CYCLE_2)
	v_readfirstlane_b32 s2, v1
	s_mul_f32 s2, s2, 0x4f7ffffe
	s_wait_alu 0xfffe
	s_cvt_u32_f32 s4, s2
	s_sub_co_i32 s2, 0, s10
	s_wait_alu 0xfffe
	s_delay_alu instid0(SALU_CYCLE_1)
	s_mul_i32 s2, s2, s4
	s_wait_alu 0xfffe
	s_mul_hi_u32 s5, s4, s2
	s_abs_i32 s2, ttmp9
	s_add_co_i32 s4, s4, s5
	s_mov_b32 s5, s3
	s_wait_kmcnt 0x0
	s_cmp_eq_u64 s[8:9], 0
	s_cbranch_scc1 .LBB192_3
; %bb.2:
	s_mov_b32 s12, ttmp9
	s_ashr_i32 s13, ttmp9, 31
	s_delay_alu instid0(SALU_CYCLE_1) | instskip(NEXT) | instid1(SALU_CYCLE_1)
	s_lshl_b64 s[12:13], s[12:13], 2
	s_add_nc_u64 s[8:9], s[8:9], s[12:13]
	s_load_b32 s30, s[8:9], 0x0
.LBB192_3:
	s_load_b96 s[16:18], s[0:1], 0x58
	v_and_b32_e32 v1, 3, v0
	v_lshlrev_b32_e32 v5, 2, v0
	s_mul_u64 s[4:5], s[2:3], s[4:5]
	s_ashr_i32 s3, ttmp9, 31
	s_ashr_i32 s4, s11, 31
	s_mul_i32 s20, ttmp9, 0x60
	s_mov_b32 s8, exec_lo
	v_cmpx_gt_u32_e32 0x60, v0
	s_cbranch_execz .LBB192_5
; %bb.4:
	s_load_b64 s[12:13], s[0:1], 0x18
	s_wait_kmcnt 0x0
	s_mul_i32 s14, s16, s19
	s_ashr_i32 s21, s20, 31
	s_ashr_i32 s15, s14, 31
	v_and_b32_e32 v3, 0x3fc, v0
	s_lshl_b64 s[14:15], s[14:15], 2
	s_delay_alu instid0(VALU_DEP_1) | instskip(SKIP_2) | instid1(SALU_CYCLE_1)
	v_mad_u32_u24 v3, 0x60, v1, v3
	s_add_nc_u64 s[12:13], s[12:13], s[14:15]
	s_lshl_b64 s[14:15], s[20:21], 2
	s_add_nc_u64 s[12:13], s[12:13], s[14:15]
	global_load_b32 v2, v5, s[12:13]
	s_wait_loadcnt 0x0
	ds_store_b32 v3, v2
.LBB192_5:
	s_or_b32 exec_lo, exec_lo, s8
	s_load_b128 s[12:15], s[0:1], 0x78
	s_mul_i32 s8, s5, s10
	s_xor_b32 s3, s3, s4
	s_sub_co_i32 s2, s2, s8
	s_add_co_i32 s4, s5, 1
	s_wait_alu 0xfffe
	s_sub_co_i32 s8, s2, s10
	s_cmp_ge_u32 s2, s10
                                        ; implicit-def: $sgpr21
	s_cselect_b32 s4, s4, s5
	s_cselect_b32 s2, s8, s2
	s_add_co_i32 s5, s4, 1
	s_wait_alu 0xfffe
	s_cmp_ge_u32 s2, s10
	s_load_b32 s8, s[0:1], 0x88
	s_cselect_b32 s2, s5, s4
	s_add_co_i32 s9, s34, -1
	s_wait_alu 0xfffe
	s_xor_b32 s2, s2, s3
	s_mov_b32 s10, -1
	s_wait_alu 0xfffe
	s_sub_co_i32 s28, s2, s3
	s_wait_dscnt 0x0
	s_barrier_signal -1
	s_wait_kmcnt 0x0
	s_abs_i32 s16, s15
	s_barrier_wait -1
	s_cvt_f32_u32 s4, s16
	global_inv scope:SCOPE_SE
	v_rcp_iflag_f32_e32 v2, s4
	s_delay_alu instid0(TRANS32_DEP_1) | instskip(SKIP_2) | instid1(SALU_CYCLE_2)
	v_readfirstlane_b32 s4, v2
	s_mul_f32 s2, s4, 0x4f7ffffe
	s_wait_alu 0xfffe
	s_cvt_u32_f32 s4, s2
	s_sub_co_i32 s2, 0, s16
	s_wait_alu 0xfffe
	s_delay_alu instid0(SALU_CYCLE_1)
	s_mul_i32 s3, s2, s4
	s_abs_i32 s2, s9
	s_wait_alu 0xfffe
	s_mul_hi_u32 s5, s4, s3
	s_mov_b32 s3, 0
	s_wait_alu 0xfffe
	s_add_co_i32 s22, s4, s5
	s_cmp_lt_i32 s8, 0
	s_mov_b32 s23, s3
	s_cbranch_scc0 .LBB192_7
; %bb.6:
	s_mul_i32 s4, s12, s6
	s_mov_b32 s10, s3
	s_wait_alu 0xfffe
	s_add_co_i32 s4, s28, s4
	s_wait_alu 0xfffe
	s_mul_i32 s4, s4, s8
	s_wait_alu 0xfffe
	s_sub_co_i32 s21, 1, s4
.LBB192_7:
	s_mul_u64 s[4:5], s[2:3], s[22:23]
	s_ashr_i32 s3, s9, 31
	s_and_not1_b32 vcc_lo, exec_lo, s10
	s_ashr_i32 s15, s15, 31
	s_cbranch_vccnz .LBB192_9
; %bb.8:
	s_mul_i32 s4, s35, s12
	s_wait_alu 0xfffe
	s_add_co_i32 s4, s4, ttmp9
	s_wait_alu 0xfffe
	s_mul_i32 s4, s4, s8
	s_wait_alu 0xfffe
	s_add_co_i32 s21, s4, 1
.LBB192_9:
	s_clause 0x3
	s_load_b32 s4, s[0:1], 0x48
	s_load_b64 s[24:25], s[0:1], 0x38
	s_load_b32 s12, s[0:1], 0x98
	s_load_b128 s[8:11], s[0:1], 0x68
	s_mul_i32 s6, s5, s16
	s_xor_b32 s3, s3, s15
	s_sub_co_i32 s2, s2, s6
	s_add_co_i32 s23, s5, 1
	v_lshrrev_b32_e32 v11, 5, v0
	v_mov_b32_e32 v10, 0xff7fffff
	v_mbcnt_lo_u32_b32 v7, -1, 0
	s_mul_i32 s28, s28, s18
	s_delay_alu instid0(VALU_DEP_3)
	v_lshl_add_u32 v12, v11, 3, s36
	s_wait_kmcnt 0x0
	s_mul_i32 s26, s4, s19
	s_wait_alu 0xfffe
	s_sub_co_i32 s4, s2, s16
	s_ashr_i32 s27, s26, 31
	s_cmp_ge_u32 s2, s16
	s_cselect_b32 s5, s23, s5
	s_wait_alu 0xfffe
	s_cselect_b32 s2, s4, s2
	s_add_co_i32 s4, s5, 1
	s_wait_alu 0xfffe
	s_cmp_ge_u32 s2, s16
	s_cselect_b32 s2, s4, s5
	s_add_co_i32 s4, s34, 7
	s_lshl_b32 s39, s33, 6
	s_wait_alu 0xfffe
	s_ashr_i32 s5, s4, 31
	v_or_b32_e32 v13, s39, v11
	s_wait_alu 0xfffe
	s_lshr_b32 s5, s5, 29
	s_wait_alu 0xfffe
	s_add_co_i32 s4, s4, s5
	s_add_co_i32 s5, s39, 64
	s_wait_alu 0xfffe
	s_ashr_i32 s37, s4, 3
	s_xor_b32 s4, s2, s3
	s_wait_alu 0xfffe
	s_min_i32 s23, s5, s37
	v_lshlrev_b32_e32 v6, 2, v13
	v_cmp_gt_i32_e64 s2, s23, v13
	s_sub_co_i32 s38, s4, s3
	s_and_saveexec_b32 s6, s2
	s_cbranch_execz .LBB192_21
; %bb.10:
	s_wait_alu 0xfffe
	s_sub_co_i32 s18, s38, s13
	s_ashr_i32 s29, s28, 31
	s_cmp_neq_f32 s30, 0
	s_load_b64 s[4:5], s[0:1], 0x20
	v_bfe_u32 v8, v0, 2, 3
	v_mov_b32_e32 v17, 0xff7fffff
	s_cselect_b32 vcc_lo, -1, 0
	s_abs_i32 s31, s14
	s_lshl_b64 s[42:43], s[26:27], 2
	s_cvt_f32_u32 s3, s31
	v_lshlrev_b32_e32 v3, 4, v8
	v_subrev_nc_u32_e32 v10, s34, v8
	v_lshlrev_b32_e32 v4, 2, v8
	s_wait_alu 0xfffe
	v_rcp_iflag_f32_e32 v2, s3
	v_cmp_eq_u32_e64 s3, 0, v1
	v_mul_u32_u24_e32 v9, 0x60, v1
	v_dual_mov_b32 v20, v13 :: v_dual_add_nc_u32 v15, 1, v10
	v_mov_b32_e32 v10, 0xff7fffff
	v_lshl_or_b32 v16, v11, 5, v4
	s_add_nc_u64 s[42:43], s[24:25], s[42:43]
	s_sub_co_i32 s44, 0, s31
	v_lshl_add_u32 v14, v11, 3, s36
	s_delay_alu instid0(TRANS32_DEP_1)
	v_readfirstlane_b32 s41, v2
	s_wait_kmcnt 0x0
	s_add_nc_u64 s[4:5], s[4:5], s[28:29]
	v_add_nc_u32_e32 v16, 0x1a0, v16
	s_wait_alu 0xfffe
	v_add_co_u32 v2, s4, s4, v3
	s_mul_f32 s29, s41, 0x4f7ffffe
	s_wait_alu 0xf1ff
	v_add_co_ci_u32_e64 v3, null, s5, 0, s4
	v_add_co_u32 v1, s4, v2, v1
	s_cvt_u32_f32 s5, s29
	s_wait_alu 0xf1ff
	v_add_co_ci_u32_e64 v2, null, 0, v3, s4
	v_add_co_u32 v3, s4, s42, v6
	s_wait_alu 0xfffe
	s_mul_i32 s44, s44, s5
	v_add_co_ci_u32_e64 v4, null, s43, 0, s4
	v_xor_b32_e32 v18, 2, v7
	v_xor_b32_e32 v19, 1, v7
	s_mul_hi_u32 s4, s5, s44
	s_mov_b32 s40, 0
	s_mov_b32 s29, s17
	s_wait_alu 0xfffe
	s_add_co_i32 s41, s5, s4
	s_branch .LBB192_13
.LBB192_11:                             ;   in Loop: Header=BB192_13 Depth=1
	s_wait_alu 0xfffe
	s_or_b32 exec_lo, exec_lo, s42
.LBB192_12:                             ;   in Loop: Header=BB192_13 Depth=1
	s_wait_alu 0xfffe
	s_or_b32 exec_lo, exec_lo, s5
	v_add_nc_u32_e32 v20, 4, v20
	v_add_co_u32 v3, s5, v3, 16
	s_wait_alu 0xf1ff
	v_add_co_ci_u32_e64 v4, null, 0, v4, s5
	s_delay_alu instid0(VALU_DEP_3)
	v_cmp_le_i32_e64 s4, s23, v20
	v_add_nc_u32_e32 v14, 32, v14
	v_add_nc_u32_e32 v16, 0x80, v16
	s_or_b32 s40, s4, s40
	s_wait_alu 0xfffe
	s_and_not1_b32 exec_lo, exec_lo, s40
	s_cbranch_execz .LBB192_20
.LBB192_13:                             ; =>This Inner Loop Header: Depth=1
	v_sub_nc_u32_e32 v21, 0, v14
	s_delay_alu instid0(VALU_DEP_1) | instskip(SKIP_1) | instid1(VALU_DEP_1)
	v_max_i32_e32 v21, v14, v21
	s_wait_dscnt 0x0
	v_mul_hi_u32 v22, v21, s22
	s_delay_alu instid0(VALU_DEP_1) | instskip(NEXT) | instid1(VALU_DEP_1)
	v_mul_lo_u32 v23, v22, s16
	v_sub_nc_u32_e32 v21, v21, v23
	v_add_nc_u32_e32 v23, 1, v22
	s_delay_alu instid0(VALU_DEP_2) | instskip(SKIP_2) | instid1(VALU_DEP_1)
	v_subrev_nc_u32_e32 v24, s16, v21
	v_cmp_le_u32_e64 s4, s16, v21
	s_wait_alu 0xf1ff
	v_cndmask_b32_e64 v22, v22, v23, s4
	s_delay_alu instid0(VALU_DEP_3) | instskip(SKIP_1) | instid1(VALU_DEP_3)
	v_cndmask_b32_e64 v21, v21, v24, s4
	v_ashrrev_i32_e32 v23, 31, v14
	v_add_nc_u32_e32 v24, 1, v22
	s_delay_alu instid0(VALU_DEP_3) | instskip(NEXT) | instid1(VALU_DEP_3)
	v_cmp_le_u32_e64 s4, s16, v21
	v_xor_b32_e32 v23, s15, v23
	s_wait_alu 0xf1ff
	s_delay_alu instid0(VALU_DEP_2) | instskip(NEXT) | instid1(VALU_DEP_1)
	v_cndmask_b32_e64 v21, v22, v24, s4
	v_xor_b32_e32 v21, v21, v23
	s_delay_alu instid0(VALU_DEP_1) | instskip(NEXT) | instid1(VALU_DEP_1)
	v_sub_nc_u32_e32 v21, v21, v23
	v_add_nc_u32_e32 v22, s21, v21
	v_cmp_ge_i32_e64 s5, s18, v21
	s_delay_alu instid0(VALU_DEP_2) | instskip(NEXT) | instid1(VALU_DEP_1)
	v_sub_nc_u32_e32 v23, 0, v22
	v_max_i32_e32 v23, v22, v23
	v_ashrrev_i32_e32 v22, 31, v22
	s_delay_alu instid0(VALU_DEP_2) | instskip(NEXT) | instid1(VALU_DEP_1)
	v_mul_hi_u32 v24, v23, s41
	v_mul_lo_u32 v24, v24, s31
	s_delay_alu instid0(VALU_DEP_1) | instskip(NEXT) | instid1(VALU_DEP_1)
	v_sub_nc_u32_e32 v23, v23, v24
	v_subrev_nc_u32_e32 v24, s31, v23
	v_cmp_le_u32_e64 s4, s31, v23
	s_wait_alu 0xf1ff
	s_delay_alu instid0(VALU_DEP_1) | instskip(NEXT) | instid1(VALU_DEP_1)
	v_cndmask_b32_e64 v23, v23, v24, s4
	v_subrev_nc_u32_e32 v24, s31, v23
	v_cmp_le_u32_e64 s4, s31, v23
	s_wait_alu 0xf1ff
	s_delay_alu instid0(VALU_DEP_1) | instskip(NEXT) | instid1(VALU_DEP_1)
	v_cndmask_b32_e64 v23, v23, v24, s4
	v_xor_b32_e32 v23, v23, v22
	s_delay_alu instid0(VALU_DEP_1) | instskip(NEXT) | instid1(VALU_DEP_1)
	v_sub_nc_u32_e32 v22, v23, v22
	v_cmp_ne_u32_e64 s4, 0, v22
	s_and_b32 s4, s4, s5
	s_wait_alu 0xfffe
	s_and_saveexec_b32 s5, s4
	s_wait_alu 0xfffe
	s_xor_b32 s4, exec_lo, s5
	s_cbranch_execz .LBB192_17
; %bb.14:                               ;   in Loop: Header=BB192_13 Depth=1
	s_and_saveexec_b32 s5, s3
; %bb.15:                               ;   in Loop: Header=BB192_13 Depth=1
	ds_store_b32 v16, v17
; %bb.16:                               ;   in Loop: Header=BB192_13 Depth=1
	s_wait_alu 0xfffe
	s_or_b32 exec_lo, exec_lo, s5
.LBB192_17:                             ;   in Loop: Header=BB192_13 Depth=1
	s_wait_alu 0xfffe
	s_and_not1_saveexec_b32 s5, s4
	s_cbranch_execz .LBB192_12
; %bb.18:                               ;   in Loop: Header=BB192_13 Depth=1
	global_load_b32 v21, v[3:4], off
	v_cmp_gt_i32_e64 s4, 32, v18
	s_wait_loadcnt 0x0
	v_mad_co_i64_i32 v[21:22], null, v21, s29, v[1:2]
	s_clause 0x17
	global_load_u8 v25, v[21:22], off offset:4
	global_load_u8 v26, v[21:22], off
	global_load_u8 v29, v[21:22], off offset:8
	global_load_u8 v30, v[21:22], off offset:12
	global_load_u8 v31, v[21:22], off offset:128
	global_load_u8 v32, v[21:22], off offset:132
	global_load_u8 v33, v[21:22], off offset:136
	global_load_u8 v34, v[21:22], off offset:140
	global_load_u8 v35, v[21:22], off offset:256
	global_load_u8 v36, v[21:22], off offset:260
	global_load_u8 v37, v[21:22], off offset:264
	global_load_u8 v38, v[21:22], off offset:268
	global_load_u8 v39, v[21:22], off offset:384
	global_load_u8 v40, v[21:22], off offset:388
	global_load_u8 v41, v[21:22], off offset:392
	global_load_u8 v42, v[21:22], off offset:396
	global_load_u8 v43, v[21:22], off offset:512
	global_load_u8 v44, v[21:22], off offset:516
	global_load_u8 v45, v[21:22], off offset:520
	global_load_u8 v46, v[21:22], off offset:524
	global_load_u8 v47, v[21:22], off offset:640
	global_load_u8 v48, v[21:22], off offset:644
	global_load_u8 v49, v[21:22], off offset:648
	global_load_u8 v50, v[21:22], off offset:652
	s_load_b32 s42, s[8:9], 0x0
	ds_load_b128 v[21:24], v9
	s_wait_loadcnt 0x17
	v_cvt_f32_fp8_e32 v25, v25
	s_wait_loadcnt 0x16
	v_cvt_f32_fp8_e32 v51, v26
	;; [unrolled: 2-line block ×3, first 2 shown]
	s_wait_kmcnt 0x0
	s_delay_alu instid0(VALU_DEP_2)
	v_dual_mul_f32 v52, s42, v25 :: v_dual_mul_f32 v51, s42, v51
	ds_load_b128 v[25:28], v9 offset:16
	s_wait_dscnt 0x1
	v_mul_f32_e32 v52, v22, v52
	v_mul_f32_e32 v22, s42, v29
	s_wait_loadcnt 0x14
	v_cvt_f32_fp8_e32 v29, v30
	s_delay_alu instid0(VALU_DEP_1) | instskip(SKIP_4) | instid1(VALU_DEP_1)
	v_dual_mul_f32 v29, s42, v29 :: v_dual_fmac_f32 v52, v21, v51
	s_wait_loadcnt 0x13
	v_cvt_f32_fp8_e32 v21, v31
	s_wait_loadcnt 0x12
	v_cvt_f32_fp8_e32 v31, v32
	v_dual_mul_f32 v30, s42, v21 :: v_dual_mul_f32 v31, s42, v31
	v_fmac_f32_e32 v52, v23, v22
	s_delay_alu instid0(VALU_DEP_1) | instskip(SKIP_4) | instid1(VALU_DEP_1)
	v_fmac_f32_e32 v52, v24, v29
	ds_load_b128 v[21:24], v9 offset:32
	s_wait_loadcnt 0x11
	v_cvt_f32_fp8_e32 v29, v33
	s_wait_dscnt 0x1
	v_dual_fmac_f32 v52, v25, v30 :: v_dual_mul_f32 v25, s42, v29
	s_wait_loadcnt 0x10
	v_cvt_f32_fp8_e32 v29, v34
	s_delay_alu instid0(VALU_DEP_2)
	v_fmac_f32_e32 v52, v26, v31
	s_wait_loadcnt 0xf
	v_cvt_f32_fp8_e32 v26, v35
	s_wait_loadcnt 0xe
	v_cvt_f32_fp8_e32 v31, v36
	v_mul_f32_e32 v29, s42, v29
	v_fmac_f32_e32 v52, v27, v25
	s_delay_alu instid0(VALU_DEP_3) | instskip(NEXT) | instid1(VALU_DEP_2)
	v_dual_mul_f32 v30, s42, v26 :: v_dual_mul_f32 v31, s42, v31
	v_fmac_f32_e32 v52, v28, v29
	ds_load_b128 v[25:28], v9 offset:48
	s_wait_loadcnt 0xd
	v_cvt_f32_fp8_e32 v29, v37
	s_wait_dscnt 0x1
	s_delay_alu instid0(VALU_DEP_1) | instskip(SKIP_2) | instid1(VALU_DEP_2)
	v_dual_fmac_f32 v52, v21, v30 :: v_dual_mul_f32 v21, s42, v29
	s_wait_loadcnt 0xc
	v_cvt_f32_fp8_e32 v29, v38
	v_fmac_f32_e32 v52, v22, v31
	s_wait_loadcnt 0xb
	v_cvt_f32_fp8_e32 v22, v39
	s_wait_loadcnt 0xa
	v_cvt_f32_fp8_e32 v31, v40
	v_mul_f32_e32 v29, s42, v29
	v_fmac_f32_e32 v52, v23, v21
	s_delay_alu instid0(VALU_DEP_3) | instskip(NEXT) | instid1(VALU_DEP_2)
	v_dual_mul_f32 v30, s42, v22 :: v_dual_mul_f32 v31, s42, v31
	v_fmac_f32_e32 v52, v24, v29
	ds_load_b128 v[21:24], v9 offset:64
	s_wait_loadcnt 0x9
	v_cvt_f32_fp8_e32 v29, v41
	s_wait_dscnt 0x1
	s_delay_alu instid0(VALU_DEP_1) | instskip(SKIP_2) | instid1(VALU_DEP_2)
	v_dual_fmac_f32 v52, v25, v30 :: v_dual_mul_f32 v25, s42, v29
	s_wait_loadcnt 0x8
	v_cvt_f32_fp8_e32 v29, v42
	;; [unrolled: 18-line block ×3, first 2 shown]
	v_fmac_f32_e32 v52, v22, v31
	s_wait_loadcnt 0x3
	v_cvt_f32_fp8_e32 v22, v47
	s_delay_alu instid0(VALU_DEP_3) | instskip(NEXT) | instid1(VALU_DEP_2)
	v_mul_f32_e32 v29, s42, v29
	v_dual_fmac_f32 v52, v23, v21 :: v_dual_mul_f32 v21, s42, v22
	s_wait_loadcnt 0x2
	v_cvt_f32_fp8_e32 v22, v48
	s_wait_loadcnt 0x1
	v_cvt_f32_fp8_e32 v23, v49
	v_fmac_f32_e32 v52, v24, v29
	s_delay_alu instid0(VALU_DEP_3) | instskip(SKIP_1) | instid1(VALU_DEP_2)
	v_mul_f32_e32 v22, s42, v22
	s_wait_dscnt 0x0
	v_dual_fmac_f32 v52, v25, v21 :: v_dual_mul_f32 v21, s42, v23
	s_wait_loadcnt 0x0
	v_cvt_f32_fp8_e32 v23, v50
	s_delay_alu instid0(VALU_DEP_2) | instskip(SKIP_1) | instid1(VALU_DEP_3)
	v_fmac_f32_e32 v52, v26, v22
	v_cndmask_b32_e64 v22, v7, v18, s4
	v_mul_f32_e32 v23, s42, v23
	v_cmp_gt_i32_e64 s4, 32, v19
	s_delay_alu instid0(VALU_DEP_3) | instskip(SKIP_1) | instid1(VALU_DEP_2)
	v_dual_fmac_f32 v52, v27, v21 :: v_dual_lshlrev_b32 v21, 2, v22
	s_wait_alu 0xf1ff
	v_cndmask_b32_e64 v22, v7, v19, s4
	s_delay_alu instid0(VALU_DEP_2) | instskip(NEXT) | instid1(VALU_DEP_2)
	v_fmac_f32_e32 v52, v28, v23
	v_lshlrev_b32_e32 v22, 2, v22
	ds_bpermute_b32 v21, v21, v52
	s_wait_dscnt 0x0
	v_add_f32_e32 v21, v52, v21
	ds_bpermute_b32 v22, v22, v21
	s_and_saveexec_b32 s42, s3
	s_cbranch_execz .LBB192_11
; %bb.19:                               ;   in Loop: Header=BB192_13 Depth=1
	s_wait_dscnt 0x0
	v_add_f32_e32 v21, v21, v22
	v_add_nc_u32_e32 v23, v15, v14
	s_delay_alu instid0(VALU_DEP_1) | instskip(NEXT) | instid1(VALU_DEP_1)
	v_cvt_f32_i32_e32 v23, v23
	v_mul_f32_e32 v23, s30, v23
	s_delay_alu instid0(VALU_DEP_1) | instskip(NEXT) | instid1(VALU_DEP_1)
	v_dual_cndmask_b32 v22, 0, v23 :: v_dual_max_num_f32 v23, v10, v10
	v_dual_fmac_f32 v22, s7, v21 :: v_dual_add_nc_u32 v21, v8, v14
	s_delay_alu instid0(VALU_DEP_1) | instskip(NEXT) | instid1(VALU_DEP_2)
	v_max_num_f32_e32 v23, v23, v22
	v_cmp_gt_i32_e64 s4, s34, v21
	s_wait_alu 0xf1ff
	s_delay_alu instid0(VALU_DEP_1) | instskip(NEXT) | instid1(VALU_DEP_3)
	v_cndmask_b32_e64 v21, 0, v22, s4
	v_cndmask_b32_e64 v10, v10, v23, s4
	ds_store_b32 v16, v21
	s_branch .LBB192_11
.LBB192_20:
	s_or_b32 exec_lo, exec_lo, s40
.LBB192_21:
	s_delay_alu instid0(SALU_CYCLE_1)
	s_or_b32 exec_lo, exec_lo, s6
	v_xor_b32_e32 v1, 16, v7
	v_xor_b32_e32 v3, 8, v7
	s_clause 0x2
	s_load_b128 s[4:7], s[0:1], 0x0
	s_load_b64 s[8:9], s[0:1], 0x10
	s_load_b64 s[30:31], s[0:1], 0x28
	v_max_num_f32_e32 v8, v10, v10
	v_and_b32_e32 v14, 31, v0
	v_cmp_gt_i32_e32 vcc_lo, 32, v1
	s_wait_alu 0xfffd
	v_cndmask_b32_e32 v1, v7, v1, vcc_lo
	v_cmp_gt_i32_e32 vcc_lo, 32, v3
	s_wait_alu 0xfffd
	s_delay_alu instid0(VALU_DEP_2) | instskip(SKIP_3) | instid1(VALU_DEP_1)
	v_dual_cndmask_b32 v3, v7, v3 :: v_dual_lshlrev_b32 v2, 2, v1
	ds_bpermute_b32 v1, v2, v10
	s_wait_dscnt 0x0
	v_dual_max_num_f32 v1, v1, v1 :: v_dual_lshlrev_b32 v4, 2, v3
	v_max_num_f32_e32 v1, v8, v1
	v_xor_b32_e32 v8, 4, v7
	s_delay_alu instid0(VALU_DEP_1)
	v_cmp_gt_i32_e32 vcc_lo, 32, v8
	s_wait_alu 0xfffd
	v_cndmask_b32_e32 v8, v7, v8, vcc_lo
	ds_bpermute_b32 v3, v4, v1
	v_cmp_eq_u32_e32 vcc_lo, 0, v14
	v_lshlrev_b32_e32 v10, 2, v8
	v_lshlrev_b32_e32 v8, 2, v11
	s_wait_dscnt 0x0
	v_max_num_f32_e32 v3, v3, v3
	s_delay_alu instid0(VALU_DEP_1)
	v_max_num_f32_e32 v1, v1, v3
	ds_bpermute_b32 v3, v10, v1
	s_and_saveexec_b32 s0, vcc_lo
	s_cbranch_execz .LBB192_23
; %bb.22:
	s_wait_dscnt 0x0
	v_max_num_f32_e32 v3, v3, v3
	v_max_num_f32_e32 v1, v1, v1
	s_delay_alu instid0(VALU_DEP_1)
	v_max_num_f32_e32 v1, v1, v3
	ds_store_b32 v8, v1 offset:384
.LBB192_23:
	s_or_b32 exec_lo, exec_lo, s0
	v_cmp_gt_u32_e64 s0, 4, v14
	v_mov_b32_e32 v1, 0xff7fffff
	v_lshlrev_b32_e32 v9, 2, v14
	s_wait_loadcnt_dscnt 0x0
	s_barrier_signal -1
	s_barrier_wait -1
	global_inv scope:SCOPE_SE
	s_and_saveexec_b32 s1, s0
; %bb.24:
	ds_load_b32 v1, v9 offset:384
; %bb.25:
	s_or_b32 exec_lo, exec_lo, s1
	v_xor_b32_e32 v3, 2, v7
	v_xor_b32_e32 v15, 1, v7
	s_delay_alu instid0(VALU_DEP_2) | instskip(NEXT) | instid1(VALU_DEP_1)
	v_cmp_gt_i32_e64 s1, 32, v3
	v_cndmask_b32_e64 v3, v7, v3, s1
	s_delay_alu instid0(VALU_DEP_3) | instskip(NEXT) | instid1(VALU_DEP_2)
	v_cmp_gt_i32_e64 s1, 32, v15
	v_lshlrev_b32_e32 v16, 2, v3
	s_wait_alu 0xf1ff
	s_delay_alu instid0(VALU_DEP_2)
	v_cndmask_b32_e64 v7, v7, v15, s1
	s_sub_co_i32 s1, s23, s39
	s_wait_alu 0xfffe
	s_lshl_b32 s1, s1, 3
	s_wait_dscnt 0x0
	ds_bpermute_b32 v3, v16, v1
	v_max_num_f32_e32 v1, v1, v1
	v_lshlrev_b32_e32 v15, 2, v7
	v_mov_b32_e32 v7, 0
	s_wait_alu 0xfffe
	s_add_co_i32 s1, s1, s36
	s_wait_alu 0xfffe
	s_min_i32 s1, s1, s34
	s_wait_alu 0xfffe
	s_sub_co_i32 s18, s1, s36
	s_wait_alu 0xfffe
	v_cmp_gt_i32_e64 s1, s18, v0
	s_wait_dscnt 0x0
	v_max_num_f32_e32 v3, v3, v3
	s_delay_alu instid0(VALU_DEP_1) | instskip(SKIP_3) | instid1(VALU_DEP_1)
	v_max_num_f32_e32 v1, v1, v3
	ds_bpermute_b32 v3, v15, v1
	s_wait_dscnt 0x0
	v_max_num_f32_e32 v3, v3, v3
	v_max_num_f32_e32 v1, v1, v3
	v_lshl_add_u32 v3, v0, 2, 0x1a0
	ds_bpermute_b32 v1, v7, v1
	s_and_saveexec_b32 s29, s1
	s_cbranch_execz .LBB192_29
; %bb.26:
	v_lshl_add_u32 v17, v0, 2, 0x1a0
	v_dual_mov_b32 v7, 0 :: v_dual_mov_b32 v18, v0
	s_mov_b32 s36, 0
.LBB192_27:                             ; =>This Inner Loop Header: Depth=1
	ds_load_b32 v19, v17
	v_add_nc_u32_e32 v18, 0x80, v18
	s_delay_alu instid0(VALU_DEP_1) | instskip(SKIP_4) | instid1(VALU_DEP_1)
	v_cmp_le_i32_e64 s3, s18, v18
	s_wait_alu 0xfffe
	s_or_b32 s36, s3, s36
	s_wait_dscnt 0x0
	v_sub_f32_e32 v19, v19, v1
	v_mul_f32_e32 v19, 0x3fb8aa3b, v19
	s_delay_alu instid0(VALU_DEP_1)
	v_exp_f32_e32 v19, v19
	ds_store_b32 v17, v19
	v_add_f32_e32 v7, v7, v19
	v_add_nc_u32_e32 v17, 0x200, v17
	s_wait_alu 0xfffe
	s_and_not1_b32 exec_lo, exec_lo, s36
	s_cbranch_execnz .LBB192_27
; %bb.28:
	s_or_b32 exec_lo, exec_lo, s36
.LBB192_29:
	s_wait_alu 0xfffe
	s_or_b32 exec_lo, exec_lo, s29
	ds_bpermute_b32 v2, v2, v7
	s_wait_dscnt 0x0
	v_add_f32_e32 v2, v7, v2
	ds_bpermute_b32 v4, v4, v2
	s_wait_dscnt 0x0
	v_add_f32_e32 v2, v2, v4
	;; [unrolled: 3-line block ×5, first 2 shown]
	s_and_saveexec_b32 s3, vcc_lo
; %bb.30:
	ds_store_b32 v8, v2 offset:400
; %bb.31:
	s_wait_alu 0xfffe
	s_or_b32 exec_lo, exec_lo, s3
	s_wait_loadcnt_dscnt 0x0
	s_barrier_signal -1
	s_barrier_wait -1
	global_inv scope:SCOPE_SE
	s_and_saveexec_b32 s3, s0
; %bb.32:
	ds_load_b32 v2, v9 offset:400
; %bb.33:
	s_wait_alu 0xfffe
	s_or_b32 exec_lo, exec_lo, s3
	s_wait_dscnt 0x0
	ds_bpermute_b32 v4, v16, v2
	s_wait_dscnt 0x0
	v_add_f32_e32 v2, v2, v4
	ds_bpermute_b32 v4, v15, v2
	s_wait_dscnt 0x0
	v_add_f32_e32 v2, v2, v4
	v_mov_b32_e32 v4, 0
	ds_bpermute_b32 v2, v4, v2
	s_and_saveexec_b32 s0, s1
	s_cbranch_execz .LBB192_36
; %bb.34:
	s_wait_dscnt 0x0
	v_add_f32_e32 v4, 0x358637bd, v2
	s_mov_b32 s1, 0
	s_delay_alu instid0(VALU_DEP_1) | instskip(SKIP_1) | instid1(VALU_DEP_2)
	v_div_scale_f32 v7, null, v4, v4, 1.0
	v_div_scale_f32 v10, vcc_lo, 1.0, v4, 1.0
	v_rcp_f32_e32 v8, v7
	s_delay_alu instid0(TRANS32_DEP_1) | instskip(NEXT) | instid1(VALU_DEP_1)
	v_fma_f32 v9, -v7, v8, 1.0
	v_fmac_f32_e32 v8, v9, v8
	s_delay_alu instid0(VALU_DEP_1) | instskip(NEXT) | instid1(VALU_DEP_1)
	v_mul_f32_e32 v9, v10, v8
	v_fma_f32 v16, -v7, v9, v10
	s_delay_alu instid0(VALU_DEP_1) | instskip(NEXT) | instid1(VALU_DEP_1)
	v_fmac_f32_e32 v9, v16, v8
	v_fma_f32 v7, -v7, v9, v10
	s_wait_alu 0xfffd
	s_delay_alu instid0(VALU_DEP_1) | instskip(NEXT) | instid1(VALU_DEP_1)
	v_div_fmas_f32 v7, v7, v8, v9
	v_div_fixup_f32 v4, v7, v4, 1.0
	v_mov_b32_e32 v7, v0
.LBB192_35:                             ; =>This Inner Loop Header: Depth=1
	ds_load_b32 v8, v3
	s_wait_dscnt 0x0
	v_dual_mul_f32 v8, v4, v8 :: v_dual_add_nc_u32 v7, 0x80, v7
	s_delay_alu instid0(VALU_DEP_1)
	v_cmp_le_i32_e32 vcc_lo, s18, v7
	ds_store_b32 v3, v8
	v_add_nc_u32_e32 v3, 0x200, v3
	s_wait_alu 0xfffe
	s_or_b32 s1, vcc_lo, s1
	s_wait_alu 0xfffe
	s_and_not1_b32 exec_lo, exec_lo, s1
	s_cbranch_execnz .LBB192_35
.LBB192_36:
	s_wait_alu 0xfffe
	s_or_b32 exec_lo, exec_lo, s0
	s_mul_i32 s0, s12, s19
	s_wait_loadcnt_dscnt 0x0
	s_wait_alu 0xfffe
	s_mul_i32 s18, s0, s35
	s_mov_b32 s0, exec_lo
	s_barrier_signal -1
	s_barrier_wait -1
	global_inv scope:SCOPE_SE
	v_cmpx_eq_u32_e32 0, v0
	s_cbranch_execz .LBB192_38
; %bb.37:
	s_wait_alu 0xfffe
	s_ashr_i32 s19, s18, 31
	s_mul_i32 s40, s12, ttmp9
	s_lshl_b32 s1, s33, 2
	s_wait_alu 0xfffe
	s_lshl_b64 s[42:43], s[18:19], 2
	s_ashr_i32 s41, s40, 31
	v_mov_b32_e32 v3, s1
	s_wait_kmcnt 0x0
	s_wait_alu 0xfffe
	s_add_nc_u64 s[6:7], s[6:7], s[42:43]
	s_lshl_b64 s[40:41], s[40:41], 2
	s_add_nc_u64 s[4:5], s[4:5], s[42:43]
	s_wait_alu 0xfffe
	s_add_nc_u64 s[6:7], s[6:7], s[40:41]
	s_add_nc_u64 s[4:5], s[4:5], s[40:41]
	s_clause 0x1
	global_store_b32 v3, v1, s[6:7]
	global_store_b32 v3, v2, s[4:5]
.LBB192_38:
	s_wait_alu 0xfffe
	s_or_b32 exec_lo, exec_lo, s0
	v_dual_mov_b32 v21, 0 :: v_dual_and_b32 v16, 1, v0
	v_dual_mov_b32 v22, 0 :: v_dual_mov_b32 v19, 0
	v_dual_mov_b32 v20, 0 :: v_dual_mov_b32 v17, 0
	v_mov_b32_e32 v18, 0
	s_and_saveexec_b32 s1, s2
	s_cbranch_execz .LBB192_56
; %bb.39:
	s_abs_i32 s2, s14
	v_dual_mov_b32 v20, 0 :: v_dual_lshlrev_b32 v3, 4, v16
	s_wait_alu 0xfffe
	s_cvt_f32_u32 s0, s2
	s_wait_kmcnt 0x0
	s_lshl_b64 s[6:7], s[26:27], 2
	v_dual_mov_b32 v17, 0 :: v_dual_and_b32 v2, 0x7c, v5
	s_wait_alu 0xfffe
	v_rcp_iflag_f32_e32 v1, s0
	s_ashr_i32 s29, s28, 31
	s_add_nc_u64 s[6:7], s[24:25], s[6:7]
	v_dual_mov_b32 v18, 0 :: v_dual_and_b32 v23, 4, v5
	s_wait_alu 0xfffe
	s_add_nc_u64 s[26:27], s[30:31], s[28:29]
	v_add_co_u32 v5, s6, s6, v6
	s_sub_co_i32 s5, 0, s2
	v_add_co_ci_u32_e64 v6, null, s7, 0, s6
	s_delay_alu instid0(TRANS32_DEP_1)
	v_readfirstlane_b32 s0, v1
	v_lshl_or_b32 v1, v11, 5, v3
	v_add_co_u32 v7, s6, s26, v2
	s_wait_alu 0xf1ff
	v_add_co_ci_u32_e64 v8, null, s27, 0, s6
	s_mul_f32 s0, s0, 0x4f7ffffe
	v_dual_mov_b32 v19, 0 :: v_dual_add_nc_u32 v24, 0x1a0, v1
	v_dual_mov_b32 v22, 0 :: v_dual_mov_b32 v21, 0
	s_wait_alu 0xfffe
	s_cvt_u32_f32 s0, s0
	s_sub_co_i32 s3, s38, s13
	s_mov_b32 s4, s17
	s_add_co_i32 s37, s37, -1
	s_wait_alu 0xfffe
	s_mul_i32 s5, s5, s0
	s_wait_alu 0xfffe
	s_mul_hi_u32 s6, s0, s5
	s_mov_b32 s5, 0
	s_wait_alu 0xfffe
	s_add_co_i32 s6, s0, s6
	s_branch .LBB192_42
.LBB192_40:                             ;   in Loop: Header=BB192_42 Depth=1
	s_wait_alu 0xfffe
	s_or_b32 exec_lo, exec_lo, s0
	s_wait_dscnt 0x0
	v_mul_f32_e32 v33, v1, v44
	v_mul_f32_e32 v32, v1, v50
	;; [unrolled: 1-line block ×3, first 2 shown]
	s_delay_alu instid0(VALU_DEP_3) | instskip(SKIP_1) | instid1(VALU_DEP_4)
	v_dual_mul_f32 v34, v1, v40 :: v_dual_fmac_f32 v33, v2, v43
	v_mul_f32_e32 v28, v1, v28
	v_dual_fmac_f32 v32, v2, v47 :: v_dual_mul_f32 v1, v1, v49
	s_delay_alu instid0(VALU_DEP_4) | instskip(NEXT) | instid1(VALU_DEP_4)
	v_fmac_f32_e32 v35, v2, v31
	v_dual_fmac_f32 v34, v2, v39 :: v_dual_fmac_f32 v33, v3, v42
	s_delay_alu instid0(VALU_DEP_3) | instskip(NEXT) | instid1(VALU_DEP_3)
	v_fmac_f32_e32 v32, v3, v46
	v_dual_fmac_f32 v28, v2, v27 :: v_dual_fmac_f32 v35, v3, v30
	s_delay_alu instid0(VALU_DEP_3) | instskip(NEXT) | instid1(VALU_DEP_3)
	v_dual_fmac_f32 v1, v2, v48 :: v_dual_fmac_f32 v34, v3, v38
	v_fmac_f32_e32 v32, v4, v45
	s_delay_alu instid0(VALU_DEP_3) | instskip(NEXT) | instid1(VALU_DEP_3)
	v_dual_fmac_f32 v28, v3, v26 :: v_dual_fmac_f32 v33, v4, v41
	v_fmac_f32_e32 v1, v3, v10
	s_delay_alu instid0(VALU_DEP_3) | instskip(NEXT) | instid1(VALU_DEP_3)
	v_dual_fmac_f32 v35, v4, v29 :: v_dual_add_f32 v18, v18, v32
	v_fmac_f32_e32 v28, v4, v25
	v_fmac_f32_e32 v34, v4, v37
	s_delay_alu instid0(VALU_DEP_3) | instskip(NEXT) | instid1(VALU_DEP_3)
	v_dual_fmac_f32 v1, v4, v9 :: v_dual_add_f32 v22, v22, v35
	v_add_f32_e32 v21, v21, v28
	s_delay_alu instid0(VALU_DEP_3) | instskip(NEXT) | instid1(VALU_DEP_3)
	v_dual_add_f32 v19, v19, v33 :: v_dual_add_f32 v20, v20, v34
	v_add_f32_e32 v17, v17, v1
.LBB192_41:                             ;   in Loop: Header=BB192_42 Depth=1
	s_wait_alu 0xfffe
	s_or_b32 exec_lo, exec_lo, s7
	v_add_nc_u32_e32 v13, 4, v13
	v_add_co_u32 v5, s0, v5, 16
	s_wait_alu 0xf1ff
	v_add_co_ci_u32_e64 v6, null, 0, v6, s0
	s_delay_alu instid0(VALU_DEP_3)
	v_cmp_le_i32_e32 vcc_lo, s23, v13
	v_add_nc_u32_e32 v12, 32, v12
	v_add_nc_u32_e32 v24, 0x80, v24
	s_or_b32 s5, vcc_lo, s5
	s_wait_alu 0xfffe
	s_and_not1_b32 exec_lo, exec_lo, s5
	s_cbranch_execz .LBB192_55
.LBB192_42:                             ; =>This Inner Loop Header: Depth=1
	v_sub_nc_u32_e32 v1, 0, v12
	s_delay_alu instid0(VALU_DEP_1) | instskip(NEXT) | instid1(VALU_DEP_1)
	v_max_i32_e32 v1, v12, v1
	v_mul_hi_u32 v2, v1, s22
	s_delay_alu instid0(VALU_DEP_1) | instskip(NEXT) | instid1(VALU_DEP_1)
	v_mul_lo_u32 v3, v2, s16
	v_sub_nc_u32_e32 v1, v1, v3
	v_add_nc_u32_e32 v3, 1, v2
	s_delay_alu instid0(VALU_DEP_2) | instskip(SKIP_2) | instid1(VALU_DEP_2)
	v_subrev_nc_u32_e32 v4, s16, v1
	v_cmp_le_u32_e32 vcc_lo, s16, v1
	s_wait_alu 0xfffd
	v_dual_cndmask_b32 v2, v2, v3 :: v_dual_cndmask_b32 v1, v1, v4
	v_ashrrev_i32_e32 v3, 31, v12
	s_delay_alu instid0(VALU_DEP_2) | instskip(NEXT) | instid1(VALU_DEP_3)
	v_add_nc_u32_e32 v4, 1, v2
	v_cmp_le_u32_e32 vcc_lo, s16, v1
	s_delay_alu instid0(VALU_DEP_3) | instskip(SKIP_1) | instid1(VALU_DEP_3)
	v_xor_b32_e32 v3, s15, v3
	s_wait_alu 0xfffd
	v_cndmask_b32_e32 v1, v2, v4, vcc_lo
	s_delay_alu instid0(VALU_DEP_1) | instskip(NEXT) | instid1(VALU_DEP_1)
	v_xor_b32_e32 v1, v1, v3
	v_sub_nc_u32_e32 v1, v1, v3
	s_delay_alu instid0(VALU_DEP_1) | instskip(SKIP_1) | instid1(VALU_DEP_2)
	v_add_nc_u32_e32 v2, s21, v1
	v_cmp_lt_i32_e64 s0, s3, v1
	v_sub_nc_u32_e32 v3, 0, v2
	s_delay_alu instid0(VALU_DEP_1) | instskip(SKIP_1) | instid1(VALU_DEP_1)
	v_max_i32_e32 v3, v2, v3
	s_wait_alu 0xfffe
	v_mul_hi_u32 v4, v3, s6
	s_delay_alu instid0(VALU_DEP_1) | instskip(NEXT) | instid1(VALU_DEP_1)
	v_mul_lo_u32 v4, v4, s2
	v_sub_nc_u32_e32 v3, v3, v4
	s_delay_alu instid0(VALU_DEP_1) | instskip(SKIP_2) | instid1(VALU_DEP_2)
	v_subrev_nc_u32_e32 v4, s2, v3
	v_cmp_le_u32_e32 vcc_lo, s2, v3
	s_wait_alu 0xfffd
	v_cndmask_b32_e32 v3, v3, v4, vcc_lo
	v_ashrrev_i32_e32 v2, 31, v2
	s_delay_alu instid0(VALU_DEP_2) | instskip(SKIP_2) | instid1(VALU_DEP_2)
	v_subrev_nc_u32_e32 v4, s2, v3
	v_cmp_le_u32_e32 vcc_lo, s2, v3
	s_wait_alu 0xfffd
	v_cndmask_b32_e32 v3, v3, v4, vcc_lo
	s_delay_alu instid0(VALU_DEP_1) | instskip(NEXT) | instid1(VALU_DEP_1)
	v_xor_b32_e32 v3, v3, v2
	v_sub_nc_u32_e32 v2, v3, v2
	s_delay_alu instid0(VALU_DEP_1)
	v_cmp_eq_u32_e32 vcc_lo, 0, v2
	s_or_b32 s0, vcc_lo, s0
	s_wait_alu 0xfffe
	s_and_saveexec_b32 s7, s0
	s_cbranch_execz .LBB192_41
; %bb.43:                               ;   in Loop: Header=BB192_42 Depth=1
	global_load_b32 v1, v[5:6], off
	s_load_b32 s13, s[10:11], 0x0
	v_cmp_eq_u32_e32 vcc_lo, s37, v13
	s_wait_loadcnt 0x0
	v_mad_co_i64_i32 v[9:10], null, v1, s4, v[7:8]
	ds_load_b128 v[1:4], v24
	global_load_b32 v25, v[9:10], off
	s_wait_loadcnt 0x0
	v_lshrrev_b32_e32 v27, 16, v25
	s_delay_alu instid0(VALU_DEP_1) | instskip(SKIP_1) | instid1(VALU_DEP_1)
	v_cvt_pk_f32_fp8_e32 v[29:30], v27
	v_and_b32_e32 v26, 0xffff, v25
	v_cvt_pk_f32_fp8_e32 v[25:26], v26
	s_wait_kmcnt 0x0
	s_delay_alu instid0(VALU_DEP_1) | instskip(NEXT) | instid1(VALU_DEP_1)
	v_dual_mul_f32 v27, s13, v26 :: v_dual_add_nc_u32 v32, v23, v12
	v_add_nc_u32_e32 v34, 1, v32
	s_delay_alu instid0(VALU_DEP_3)
	v_dual_mul_f32 v28, s13, v25 :: v_dual_add_nc_u32 v33, 2, v32
	v_dual_mul_f32 v26, s13, v29 :: v_dual_add_nc_u32 v35, 3, v32
	v_mul_f32_e32 v25, s13, v30
	s_and_saveexec_b32 s14, vcc_lo
	s_cbranch_execz .LBB192_45
; %bb.44:                               ;   in Loop: Header=BB192_42 Depth=1
	v_cmp_gt_i32_e64 s0, s34, v32
	s_wait_alu 0xf1ff
	s_delay_alu instid0(VALU_DEP_1) | instskip(SKIP_2) | instid1(VALU_DEP_1)
	v_cndmask_b32_e64 v28, 0, v28, s0
	v_cmp_gt_i32_e64 s0, s34, v34
	s_wait_alu 0xf1ff
	v_cndmask_b32_e64 v27, 0, v27, s0
	v_cmp_gt_i32_e64 s0, s34, v33
	s_wait_alu 0xf1ff
	s_delay_alu instid0(VALU_DEP_1) | instskip(SKIP_2) | instid1(VALU_DEP_1)
	v_cndmask_b32_e64 v26, 0, v26, s0
	v_cmp_gt_i32_e64 s0, s34, v35
	s_wait_alu 0xf1ff
	v_cndmask_b32_e64 v25, 0, v25, s0
.LBB192_45:                             ;   in Loop: Header=BB192_42 Depth=1
	s_wait_alu 0xfffe
	s_or_b32 exec_lo, exec_lo, s14
	global_load_b32 v29, v[9:10], off offset:128
	s_mov_b32 s14, s13
	s_wait_loadcnt 0x0
	v_lshrrev_b32_e32 v31, 16, v29
	s_delay_alu instid0(VALU_DEP_1) | instskip(SKIP_1) | instid1(VALU_DEP_1)
	v_cvt_pk_f32_fp8_e32 v[37:38], v31
	v_and_b32_e32 v30, 0xffff, v29
	v_cvt_pk_f32_fp8_e32 v[29:30], v30
	s_wait_alu 0xfffe
	s_delay_alu instid0(VALU_DEP_1)
	v_dual_mul_f32 v36, s13, v29 :: v_dual_mul_f32 v31, s14, v30
	v_dual_mul_f32 v30, s13, v37 :: v_dual_mul_f32 v29, s14, v38
	s_and_saveexec_b32 s17, vcc_lo
	s_cbranch_execz .LBB192_47
; %bb.46:                               ;   in Loop: Header=BB192_42 Depth=1
	v_cmp_gt_i32_e64 s0, s34, v32
	s_wait_alu 0xf1ff
	s_delay_alu instid0(VALU_DEP_1) | instskip(SKIP_2) | instid1(VALU_DEP_1)
	v_cndmask_b32_e64 v36, 0, v36, s0
	v_cmp_gt_i32_e64 s0, s34, v34
	s_wait_alu 0xf1ff
	v_cndmask_b32_e64 v31, 0, v31, s0
	v_cmp_gt_i32_e64 s0, s34, v33
	s_wait_alu 0xf1ff
	s_delay_alu instid0(VALU_DEP_1) | instskip(SKIP_2) | instid1(VALU_DEP_1)
	v_cndmask_b32_e64 v30, 0, v30, s0
	v_cmp_gt_i32_e64 s0, s34, v35
	s_wait_alu 0xf1ff
	v_cndmask_b32_e64 v29, 0, v29, s0
.LBB192_47:                             ;   in Loop: Header=BB192_42 Depth=1
	s_wait_alu 0xfffe
	s_or_b32 exec_lo, exec_lo, s17
	global_load_b32 v37, v[9:10], off offset:256
	s_wait_loadcnt 0x0
	v_lshrrev_b32_e32 v39, 16, v37
	s_delay_alu instid0(VALU_DEP_1) | instskip(SKIP_1) | instid1(VALU_DEP_1)
	v_cvt_pk_f32_fp8_e32 v[41:42], v39
	v_and_b32_e32 v38, 0xffff, v37
	v_cvt_pk_f32_fp8_e32 v[37:38], v38
	s_delay_alu instid0(VALU_DEP_1) | instskip(NEXT) | instid1(VALU_DEP_4)
	v_dual_mul_f32 v40, s13, v37 :: v_dual_mul_f32 v39, s14, v38
	v_dual_mul_f32 v38, s13, v41 :: v_dual_mul_f32 v37, s14, v42
	s_and_saveexec_b32 s17, vcc_lo
	s_cbranch_execz .LBB192_49
; %bb.48:                               ;   in Loop: Header=BB192_42 Depth=1
	v_cmp_gt_i32_e64 s0, s34, v32
	s_wait_alu 0xf1ff
	s_delay_alu instid0(VALU_DEP_1) | instskip(SKIP_2) | instid1(VALU_DEP_1)
	v_cndmask_b32_e64 v40, 0, v40, s0
	v_cmp_gt_i32_e64 s0, s34, v34
	s_wait_alu 0xf1ff
	v_cndmask_b32_e64 v39, 0, v39, s0
	v_cmp_gt_i32_e64 s0, s34, v33
	s_wait_alu 0xf1ff
	s_delay_alu instid0(VALU_DEP_1) | instskip(SKIP_2) | instid1(VALU_DEP_1)
	v_cndmask_b32_e64 v38, 0, v38, s0
	v_cmp_gt_i32_e64 s0, s34, v35
	s_wait_alu 0xf1ff
	v_cndmask_b32_e64 v37, 0, v37, s0
.LBB192_49:                             ;   in Loop: Header=BB192_42 Depth=1
	s_wait_alu 0xfffe
	s_or_b32 exec_lo, exec_lo, s17
	global_load_b32 v41, v[9:10], off offset:384
	s_wait_loadcnt 0x0
	v_lshrrev_b32_e32 v43, 16, v41
	s_delay_alu instid0(VALU_DEP_1) | instskip(SKIP_1) | instid1(VALU_DEP_1)
	v_cvt_pk_f32_fp8_e32 v[45:46], v43
	v_and_b32_e32 v42, 0xffff, v41
	v_cvt_pk_f32_fp8_e32 v[41:42], v42
	s_delay_alu instid0(VALU_DEP_1) | instskip(NEXT) | instid1(VALU_DEP_4)
	v_dual_mul_f32 v44, s13, v41 :: v_dual_mul_f32 v43, s14, v42
	v_dual_mul_f32 v42, s13, v45 :: v_dual_mul_f32 v41, s14, v46
	s_and_saveexec_b32 s17, vcc_lo
	s_cbranch_execz .LBB192_51
; %bb.50:                               ;   in Loop: Header=BB192_42 Depth=1
	v_cmp_gt_i32_e64 s0, s34, v32
	s_wait_alu 0xf1ff
	s_delay_alu instid0(VALU_DEP_1) | instskip(SKIP_2) | instid1(VALU_DEP_1)
	v_cndmask_b32_e64 v44, 0, v44, s0
	v_cmp_gt_i32_e64 s0, s34, v34
	s_wait_alu 0xf1ff
	v_cndmask_b32_e64 v43, 0, v43, s0
	v_cmp_gt_i32_e64 s0, s34, v33
	s_wait_alu 0xf1ff
	s_delay_alu instid0(VALU_DEP_1) | instskip(SKIP_2) | instid1(VALU_DEP_1)
	v_cndmask_b32_e64 v42, 0, v42, s0
	v_cmp_gt_i32_e64 s0, s34, v35
	s_wait_alu 0xf1ff
	v_cndmask_b32_e64 v41, 0, v41, s0
.LBB192_51:                             ;   in Loop: Header=BB192_42 Depth=1
	s_wait_alu 0xfffe
	s_or_b32 exec_lo, exec_lo, s17
	global_load_b32 v45, v[9:10], off offset:512
	s_wait_loadcnt 0x0
	v_and_b32_e32 v46, 0xffff, v45
	v_lshrrev_b32_e32 v47, 16, v45
	s_delay_alu instid0(VALU_DEP_2) | instskip(NEXT) | instid1(VALU_DEP_2)
	v_cvt_pk_f32_fp8_e32 v[45:46], v46
	v_cvt_pk_f32_fp8_e32 v[48:49], v47
	s_delay_alu instid0(VALU_DEP_2) | instskip(NEXT) | instid1(VALU_DEP_2)
	v_dual_mul_f32 v50, s13, v45 :: v_dual_mul_f32 v47, s14, v46
	v_dual_mul_f32 v46, s13, v48 :: v_dual_mul_f32 v45, s14, v49
	s_and_saveexec_b32 s17, vcc_lo
	s_cbranch_execz .LBB192_53
; %bb.52:                               ;   in Loop: Header=BB192_42 Depth=1
	v_cmp_gt_i32_e64 s0, s34, v32
	s_wait_alu 0xf1ff
	s_delay_alu instid0(VALU_DEP_1) | instskip(SKIP_2) | instid1(VALU_DEP_1)
	v_cndmask_b32_e64 v50, 0, v50, s0
	v_cmp_gt_i32_e64 s0, s34, v34
	s_wait_alu 0xf1ff
	v_cndmask_b32_e64 v47, 0, v47, s0
	v_cmp_gt_i32_e64 s0, s34, v33
	s_wait_alu 0xf1ff
	s_delay_alu instid0(VALU_DEP_1) | instskip(SKIP_2) | instid1(VALU_DEP_1)
	v_cndmask_b32_e64 v46, 0, v46, s0
	v_cmp_gt_i32_e64 s0, s34, v35
	s_wait_alu 0xf1ff
	v_cndmask_b32_e64 v45, 0, v45, s0
.LBB192_53:                             ;   in Loop: Header=BB192_42 Depth=1
	s_wait_alu 0xfffe
	s_or_b32 exec_lo, exec_lo, s17
	global_load_b32 v9, v[9:10], off offset:640
	s_wait_loadcnt 0x0
	v_lshrrev_b32_e32 v48, 16, v9
	s_delay_alu instid0(VALU_DEP_1) | instskip(SKIP_1) | instid1(VALU_DEP_1)
	v_cvt_pk_f32_fp8_e32 v[51:52], v48
	v_and_b32_e32 v10, 0xffff, v9
	v_cvt_pk_f32_fp8_e32 v[9:10], v10
	s_delay_alu instid0(VALU_DEP_1) | instskip(NEXT) | instid1(VALU_DEP_4)
	v_dual_mul_f32 v49, s13, v9 :: v_dual_mul_f32 v48, s14, v10
	v_dual_mul_f32 v10, s13, v51 :: v_dual_mul_f32 v9, s14, v52
	s_and_saveexec_b32 s0, vcc_lo
	s_cbranch_execz .LBB192_40
; %bb.54:                               ;   in Loop: Header=BB192_42 Depth=1
	v_cmp_gt_i32_e32 vcc_lo, s34, v32
	s_wait_alu 0xfffd
	v_cndmask_b32_e32 v49, 0, v49, vcc_lo
	v_cmp_gt_i32_e32 vcc_lo, s34, v34
	s_wait_alu 0xfffd
	v_cndmask_b32_e32 v48, 0, v48, vcc_lo
	;; [unrolled: 3-line block ×4, first 2 shown]
	s_branch .LBB192_40
.LBB192_55:
	s_or_b32 exec_lo, exec_lo, s5
.LBB192_56:
	s_wait_alu 0xfffe
	s_or_b32 exec_lo, exec_lo, s1
	ds_bpermute_b32 v1, v15, v21
	ds_bpermute_b32 v2, v15, v22
	;; [unrolled: 1-line block ×6, first 2 shown]
	v_lshrrev_b32_e32 v7, 1, v14
	v_mul_u32_u24_e32 v9, 0x180, v11
	v_and_b32_e32 v10, 0x3c1, v0
	s_mov_b32 s0, exec_lo
	s_wait_storecnt 0x0
	s_wait_loadcnt_dscnt 0x0
	v_lshl_add_u32 v8, v7, 2, 0x1a0
	s_barrier_signal -1
	s_barrier_wait -1
	global_inv scope:SCOPE_SE
	v_dual_add_f32 v1, v21, v1 :: v_dual_add_f32 v2, v22, v2
	v_dual_add_f32 v3, v20, v3 :: v_dual_add_f32 v4, v19, v4
	;; [unrolled: 1-line block ×3, first 2 shown]
	v_cmpx_eq_u32_e32 64, v10
	s_cbranch_execz .LBB192_58
; %bb.57:
	v_add_nc_u32_e32 v10, v8, v9
	s_delay_alu instid0(VALU_DEP_1)
	v_add_nc_u32_e32 v11, 0xfffffd00, v10
	v_add_nc_u32_e32 v12, 0xfffffd40, v10
	v_add_nc_u32_e32 v13, 0xfffffd80, v10
	v_add_nc_u32_e32 v14, 0xfffffdc0, v10
	v_add_nc_u32_e32 v15, 0xfffffe00, v10
	v_add_nc_u32_e32 v10, 0xfffffe40, v10
	ds_store_b32 v11, v1
	ds_store_b32 v12, v2
	;; [unrolled: 1-line block ×6, first 2 shown]
.LBB192_58:
	s_wait_alu 0xfffe
	s_or_b32 exec_lo, exec_lo, s0
	v_lshlrev_b32_e32 v7, 2, v7
	s_mov_b32 s1, exec_lo
	v_cmp_eq_u32_e32 vcc_lo, 0, v16
	s_wait_loadcnt_dscnt 0x0
	s_barrier_signal -1
	v_add3_u32 v7, 0x1a0, v9, v7
	s_barrier_wait -1
	global_inv scope:SCOPE_SE
	v_cmpx_gt_u32_e32 64, v0
	s_cbranch_execz .LBB192_67
; %bb.59:
	s_and_saveexec_b32 s0, vcc_lo
	s_cbranch_execnz .LBB192_81
; %bb.60:
	s_wait_alu 0xfffe
	s_or_b32 exec_lo, exec_lo, s0
	s_and_saveexec_b32 s0, vcc_lo
	s_cbranch_execnz .LBB192_82
.LBB192_61:
	s_wait_alu 0xfffe
	s_or_b32 exec_lo, exec_lo, s0
	s_and_saveexec_b32 s0, vcc_lo
	s_cbranch_execnz .LBB192_83
.LBB192_62:
	s_wait_alu 0xfffe
	s_or_b32 exec_lo, exec_lo, s0
	s_and_saveexec_b32 s0, vcc_lo
	s_cbranch_execnz .LBB192_84
.LBB192_63:
	s_wait_alu 0xfffe
	s_or_b32 exec_lo, exec_lo, s0
	s_and_saveexec_b32 s0, vcc_lo
	s_cbranch_execnz .LBB192_85
.LBB192_64:
	s_wait_alu 0xfffe
	s_or_b32 exec_lo, exec_lo, s0
	s_and_saveexec_b32 s0, vcc_lo
	s_cbranch_execz .LBB192_66
.LBB192_65:
	ds_load_b32 v9, v7 offset:320
	s_wait_dscnt 0x0
	v_add_f32_e32 v6, v6, v9
.LBB192_66:
	s_wait_alu 0xfffe
	s_or_b32 exec_lo, exec_lo, s0
.LBB192_67:
	s_wait_alu 0xfffe
	s_or_b32 exec_lo, exec_lo, s1
	v_and_b32_e32 v9, 0x3e1, v0
	s_mov_b32 s1, exec_lo
	s_wait_loadcnt 0x0
	s_barrier_signal -1
	s_barrier_wait -1
	global_inv scope:SCOPE_SE
	v_cmpx_eq_u32_e32 32, v9
	s_cbranch_execz .LBB192_69
; %bb.68:
	ds_store_2addr_b32 v8, v1, v2 offset1:16
	ds_store_2addr_b32 v8, v3, v4 offset0:32 offset1:48
	ds_store_2addr_b32 v8, v5, v6 offset0:64 offset1:80
.LBB192_69:
	s_wait_alu 0xfffe
	s_or_b32 exec_lo, exec_lo, s1
	s_delay_alu instid0(SALU_CYCLE_1)
	s_mov_b32 s1, exec_lo
	s_wait_loadcnt_dscnt 0x0
	s_barrier_signal -1
	s_barrier_wait -1
	global_inv scope:SCOPE_SE
	v_cmpx_gt_u32_e32 32, v0
	s_cbranch_execz .LBB192_78
; %bb.70:
	s_and_saveexec_b32 s0, vcc_lo
	s_cbranch_execnz .LBB192_86
; %bb.71:
	s_wait_alu 0xfffe
	s_or_b32 exec_lo, exec_lo, s0
	s_and_saveexec_b32 s0, vcc_lo
	s_cbranch_execnz .LBB192_87
.LBB192_72:
	s_wait_alu 0xfffe
	s_or_b32 exec_lo, exec_lo, s0
	s_and_saveexec_b32 s0, vcc_lo
	s_cbranch_execnz .LBB192_88
.LBB192_73:
	s_wait_alu 0xfffe
	s_or_b32 exec_lo, exec_lo, s0
	s_and_saveexec_b32 s0, vcc_lo
	s_cbranch_execnz .LBB192_89
.LBB192_74:
	s_wait_alu 0xfffe
	s_or_b32 exec_lo, exec_lo, s0
	s_and_saveexec_b32 s0, vcc_lo
	s_cbranch_execnz .LBB192_90
.LBB192_75:
	s_wait_alu 0xfffe
	s_or_b32 exec_lo, exec_lo, s0
	s_and_saveexec_b32 s0, vcc_lo
	s_cbranch_execz .LBB192_77
.LBB192_76:
	ds_load_b32 v7, v7 offset:320
	s_wait_dscnt 0x0
	v_add_f32_e32 v6, v6, v7
.LBB192_77:
	s_wait_alu 0xfffe
	s_or_b32 exec_lo, exec_lo, s0
.LBB192_78:
	s_wait_alu 0xfffe
	s_or_b32 exec_lo, exec_lo, s1
	s_mov_b32 s1, 0
	s_wait_loadcnt 0x0
	s_barrier_signal -1
	s_barrier_wait -1
	global_inv scope:SCOPE_SE
	s_mov_b32 s0, exec_lo
	v_cmpx_eq_u32_e32 0, v9
	s_cbranch_execz .LBB192_80
; %bb.79:
	s_mul_i32 s2, s18, 0x60
	s_wait_kmcnt 0x0
	s_mul_i32 s4, s12, s20
	s_wait_alu 0xfffe
	s_ashr_i32 s3, s2, 31
	s_ashr_i32 s5, s4, 31
	s_wait_alu 0xfffe
	s_lshl_b64 s[2:3], s[2:3], 2
	s_lshl_b64 s[4:5], s[4:5], 2
	s_wait_alu 0xfffe
	s_add_nc_u64 s[2:3], s[8:9], s[2:3]
	v_lshlrev_b32_e32 v0, 1, v0
	s_mul_i32 s0, s33, 0x180
	s_wait_alu 0xfffe
	s_add_nc_u64 s[2:3], s[2:3], s[4:5]
	s_wait_alu 0xfffe
	s_add_nc_u64 s[0:1], s[2:3], s[0:1]
	s_clause 0x5
	global_store_b32 v0, v1, s[0:1]
	global_store_b32 v0, v2, s[0:1] offset:64
	global_store_b32 v0, v3, s[0:1] offset:128
	;; [unrolled: 1-line block ×5, first 2 shown]
.LBB192_80:
	s_endpgm
.LBB192_81:
	ds_load_b32 v9, v7
	s_wait_dscnt 0x0
	v_add_f32_e32 v1, v1, v9
	s_wait_alu 0xfffe
	s_or_b32 exec_lo, exec_lo, s0
	s_and_saveexec_b32 s0, vcc_lo
	s_cbranch_execz .LBB192_61
.LBB192_82:
	ds_load_b32 v9, v7 offset:64
	s_wait_dscnt 0x0
	v_add_f32_e32 v2, v2, v9
	s_wait_alu 0xfffe
	s_or_b32 exec_lo, exec_lo, s0
	s_and_saveexec_b32 s0, vcc_lo
	s_cbranch_execz .LBB192_62
.LBB192_83:
	ds_load_b32 v9, v7 offset:128
	s_wait_dscnt 0x0
	v_add_f32_e32 v3, v3, v9
	s_wait_alu 0xfffe
	s_or_b32 exec_lo, exec_lo, s0
	s_and_saveexec_b32 s0, vcc_lo
	s_cbranch_execz .LBB192_63
.LBB192_84:
	ds_load_b32 v9, v7 offset:192
	s_wait_dscnt 0x0
	v_add_f32_e32 v4, v4, v9
	s_wait_alu 0xfffe
	s_or_b32 exec_lo, exec_lo, s0
	s_and_saveexec_b32 s0, vcc_lo
	s_cbranch_execz .LBB192_64
.LBB192_85:
	ds_load_b32 v9, v7 offset:256
	s_wait_dscnt 0x0
	v_add_f32_e32 v5, v5, v9
	s_wait_alu 0xfffe
	s_or_b32 exec_lo, exec_lo, s0
	s_and_saveexec_b32 s0, vcc_lo
	s_cbranch_execnz .LBB192_65
	s_branch .LBB192_66
.LBB192_86:
	ds_load_b32 v8, v7
	s_wait_dscnt 0x0
	v_add_f32_e32 v1, v1, v8
	s_wait_alu 0xfffe
	s_or_b32 exec_lo, exec_lo, s0
	s_and_saveexec_b32 s0, vcc_lo
	s_cbranch_execz .LBB192_72
.LBB192_87:
	ds_load_b32 v8, v7 offset:64
	s_wait_dscnt 0x0
	v_add_f32_e32 v2, v2, v8
	s_wait_alu 0xfffe
	s_or_b32 exec_lo, exec_lo, s0
	s_and_saveexec_b32 s0, vcc_lo
	s_cbranch_execz .LBB192_73
.LBB192_88:
	ds_load_b32 v8, v7 offset:128
	s_wait_dscnt 0x0
	v_add_f32_e32 v3, v3, v8
	s_wait_alu 0xfffe
	s_or_b32 exec_lo, exec_lo, s0
	s_and_saveexec_b32 s0, vcc_lo
	s_cbranch_execz .LBB192_74
.LBB192_89:
	ds_load_b32 v8, v7 offset:192
	s_wait_dscnt 0x0
	v_add_f32_e32 v4, v4, v8
	s_wait_alu 0xfffe
	s_or_b32 exec_lo, exec_lo, s0
	s_and_saveexec_b32 s0, vcc_lo
	s_cbranch_execz .LBB192_75
.LBB192_90:
	ds_load_b32 v8, v7 offset:256
	s_wait_dscnt 0x0
	v_add_f32_e32 v5, v5, v8
	s_wait_alu 0xfffe
	s_or_b32 exec_lo, exec_lo, s0
	s_and_saveexec_b32 s0, vcc_lo
	s_cbranch_execnz .LBB192_76
	s_branch .LBB192_77
	.section	.rodata,"a",@progbits
	.p2align	6, 0x0
	.amdhsa_kernel _ZN4vllm25paged_attention_v2_kernelIfhLi96ELi8ELi128ELNS_18Fp8KVCacheDataTypeE1ELb1ELi512EEEvPfS2_PT_PKS3_PKT0_S9_ifPKiSB_iPKfiiiSD_SD_iiiii
		.amdhsa_group_segment_fixed_size 416
		.amdhsa_private_segment_fixed_size 0
		.amdhsa_kernarg_size 400
		.amdhsa_user_sgpr_count 2
		.amdhsa_user_sgpr_dispatch_ptr 0
		.amdhsa_user_sgpr_queue_ptr 0
		.amdhsa_user_sgpr_kernarg_segment_ptr 1
		.amdhsa_user_sgpr_dispatch_id 0
		.amdhsa_user_sgpr_private_segment_size 0
		.amdhsa_wavefront_size32 1
		.amdhsa_uses_dynamic_stack 0
		.amdhsa_enable_private_segment 0
		.amdhsa_system_sgpr_workgroup_id_x 1
		.amdhsa_system_sgpr_workgroup_id_y 1
		.amdhsa_system_sgpr_workgroup_id_z 1
		.amdhsa_system_sgpr_workgroup_info 0
		.amdhsa_system_vgpr_workitem_id 0
		.amdhsa_next_free_vgpr 53
		.amdhsa_next_free_sgpr 45
		.amdhsa_reserve_vcc 1
		.amdhsa_float_round_mode_32 0
		.amdhsa_float_round_mode_16_64 0
		.amdhsa_float_denorm_mode_32 3
		.amdhsa_float_denorm_mode_16_64 3
		.amdhsa_fp16_overflow 0
		.amdhsa_workgroup_processor_mode 1
		.amdhsa_memory_ordered 1
		.amdhsa_forward_progress 1
		.amdhsa_inst_pref_size 54
		.amdhsa_round_robin_scheduling 0
		.amdhsa_exception_fp_ieee_invalid_op 0
		.amdhsa_exception_fp_denorm_src 0
		.amdhsa_exception_fp_ieee_div_zero 0
		.amdhsa_exception_fp_ieee_overflow 0
		.amdhsa_exception_fp_ieee_underflow 0
		.amdhsa_exception_fp_ieee_inexact 0
		.amdhsa_exception_int_div_zero 0
	.end_amdhsa_kernel
	.section	.text._ZN4vllm25paged_attention_v2_kernelIfhLi96ELi8ELi128ELNS_18Fp8KVCacheDataTypeE1ELb1ELi512EEEvPfS2_PT_PKS3_PKT0_S9_ifPKiSB_iPKfiiiSD_SD_iiiii,"axG",@progbits,_ZN4vllm25paged_attention_v2_kernelIfhLi96ELi8ELi128ELNS_18Fp8KVCacheDataTypeE1ELb1ELi512EEEvPfS2_PT_PKS3_PKT0_S9_ifPKiSB_iPKfiiiSD_SD_iiiii,comdat
.Lfunc_end192:
	.size	_ZN4vllm25paged_attention_v2_kernelIfhLi96ELi8ELi128ELNS_18Fp8KVCacheDataTypeE1ELb1ELi512EEEvPfS2_PT_PKS3_PKT0_S9_ifPKiSB_iPKfiiiSD_SD_iiiii, .Lfunc_end192-_ZN4vllm25paged_attention_v2_kernelIfhLi96ELi8ELi128ELNS_18Fp8KVCacheDataTypeE1ELb1ELi512EEEvPfS2_PT_PKS3_PKT0_S9_ifPKiSB_iPKfiiiSD_SD_iiiii
                                        ; -- End function
	.set _ZN4vllm25paged_attention_v2_kernelIfhLi96ELi8ELi128ELNS_18Fp8KVCacheDataTypeE1ELb1ELi512EEEvPfS2_PT_PKS3_PKT0_S9_ifPKiSB_iPKfiiiSD_SD_iiiii.num_vgpr, 53
	.set _ZN4vllm25paged_attention_v2_kernelIfhLi96ELi8ELi128ELNS_18Fp8KVCacheDataTypeE1ELb1ELi512EEEvPfS2_PT_PKS3_PKT0_S9_ifPKiSB_iPKfiiiSD_SD_iiiii.num_agpr, 0
	.set _ZN4vllm25paged_attention_v2_kernelIfhLi96ELi8ELi128ELNS_18Fp8KVCacheDataTypeE1ELb1ELi512EEEvPfS2_PT_PKS3_PKT0_S9_ifPKiSB_iPKfiiiSD_SD_iiiii.numbered_sgpr, 45
	.set _ZN4vllm25paged_attention_v2_kernelIfhLi96ELi8ELi128ELNS_18Fp8KVCacheDataTypeE1ELb1ELi512EEEvPfS2_PT_PKS3_PKT0_S9_ifPKiSB_iPKfiiiSD_SD_iiiii.num_named_barrier, 0
	.set _ZN4vllm25paged_attention_v2_kernelIfhLi96ELi8ELi128ELNS_18Fp8KVCacheDataTypeE1ELb1ELi512EEEvPfS2_PT_PKS3_PKT0_S9_ifPKiSB_iPKfiiiSD_SD_iiiii.private_seg_size, 0
	.set _ZN4vllm25paged_attention_v2_kernelIfhLi96ELi8ELi128ELNS_18Fp8KVCacheDataTypeE1ELb1ELi512EEEvPfS2_PT_PKS3_PKT0_S9_ifPKiSB_iPKfiiiSD_SD_iiiii.uses_vcc, 1
	.set _ZN4vllm25paged_attention_v2_kernelIfhLi96ELi8ELi128ELNS_18Fp8KVCacheDataTypeE1ELb1ELi512EEEvPfS2_PT_PKS3_PKT0_S9_ifPKiSB_iPKfiiiSD_SD_iiiii.uses_flat_scratch, 0
	.set _ZN4vllm25paged_attention_v2_kernelIfhLi96ELi8ELi128ELNS_18Fp8KVCacheDataTypeE1ELb1ELi512EEEvPfS2_PT_PKS3_PKT0_S9_ifPKiSB_iPKfiiiSD_SD_iiiii.has_dyn_sized_stack, 0
	.set _ZN4vllm25paged_attention_v2_kernelIfhLi96ELi8ELi128ELNS_18Fp8KVCacheDataTypeE1ELb1ELi512EEEvPfS2_PT_PKS3_PKT0_S9_ifPKiSB_iPKfiiiSD_SD_iiiii.has_recursion, 0
	.set _ZN4vllm25paged_attention_v2_kernelIfhLi96ELi8ELi128ELNS_18Fp8KVCacheDataTypeE1ELb1ELi512EEEvPfS2_PT_PKS3_PKT0_S9_ifPKiSB_iPKfiiiSD_SD_iiiii.has_indirect_call, 0
	.section	.AMDGPU.csdata,"",@progbits
; Kernel info:
; codeLenInByte = 6788
; TotalNumSgprs: 47
; NumVgprs: 53
; ScratchSize: 0
; MemoryBound: 0
; FloatMode: 240
; IeeeMode: 1
; LDSByteSize: 416 bytes/workgroup (compile time only)
; SGPRBlocks: 0
; VGPRBlocks: 6
; NumSGPRsForWavesPerEU: 47
; NumVGPRsForWavesPerEU: 53
; Occupancy: 16
; WaveLimiterHint : 1
; COMPUTE_PGM_RSRC2:SCRATCH_EN: 0
; COMPUTE_PGM_RSRC2:USER_SGPR: 2
; COMPUTE_PGM_RSRC2:TRAP_HANDLER: 0
; COMPUTE_PGM_RSRC2:TGID_X_EN: 1
; COMPUTE_PGM_RSRC2:TGID_Y_EN: 1
; COMPUTE_PGM_RSRC2:TGID_Z_EN: 1
; COMPUTE_PGM_RSRC2:TIDIG_COMP_CNT: 0
	.section	.text._ZN4vllm25paged_attention_v2_kernelIfhLi112ELi8ELi128ELNS_18Fp8KVCacheDataTypeE1ELb1ELi512EEEvPfS2_PT_PKS3_PKT0_S9_ifPKiSB_iPKfiiiSD_SD_iiiii,"axG",@progbits,_ZN4vllm25paged_attention_v2_kernelIfhLi112ELi8ELi128ELNS_18Fp8KVCacheDataTypeE1ELb1ELi512EEEvPfS2_PT_PKS3_PKT0_S9_ifPKiSB_iPKfiiiSD_SD_iiiii,comdat
	.protected	_ZN4vllm25paged_attention_v2_kernelIfhLi112ELi8ELi128ELNS_18Fp8KVCacheDataTypeE1ELb1ELi512EEEvPfS2_PT_PKS3_PKT0_S9_ifPKiSB_iPKfiiiSD_SD_iiiii ; -- Begin function _ZN4vllm25paged_attention_v2_kernelIfhLi112ELi8ELi128ELNS_18Fp8KVCacheDataTypeE1ELb1ELi512EEEvPfS2_PT_PKS3_PKT0_S9_ifPKiSB_iPKfiiiSD_SD_iiiii
	.globl	_ZN4vllm25paged_attention_v2_kernelIfhLi112ELi8ELi128ELNS_18Fp8KVCacheDataTypeE1ELb1ELi512EEEvPfS2_PT_PKS3_PKT0_S9_ifPKiSB_iPKfiiiSD_SD_iiiii
	.p2align	8
	.type	_ZN4vllm25paged_attention_v2_kernelIfhLi112ELi8ELi128ELNS_18Fp8KVCacheDataTypeE1ELb1ELi512EEEvPfS2_PT_PKS3_PKT0_S9_ifPKiSB_iPKfiiiSD_SD_iiiii,@function
_ZN4vllm25paged_attention_v2_kernelIfhLi112ELi8ELi128ELNS_18Fp8KVCacheDataTypeE1ELb1ELi512EEEvPfS2_PT_PKS3_PKT0_S9_ifPKiSB_iPKfiiiSD_SD_iiiii: ; @_ZN4vllm25paged_attention_v2_kernelIfhLi112ELi8ELi128ELNS_18Fp8KVCacheDataTypeE1ELb1ELi512EEEvPfS2_PT_PKS3_PKT0_S9_ifPKiSB_iPKfiiiSD_SD_iiiii
; %bb.0:
	s_load_b64 s[2:3], s[0:1], 0x40
	s_and_b32 s19, ttmp7, 0xffff
	s_lshr_b32 s33, ttmp7, 16
	s_lshl_b32 s4, s19, 2
	s_lshl_b32 s36, s33, 9
	s_wait_kmcnt 0x0
	s_load_b32 s34, s[2:3], s4 offset:0x0
	s_wait_kmcnt 0x0
	s_cmp_ge_i32 s36, s34
	s_cbranch_scc1 .LBB193_84
; %bb.1:
	s_clause 0x1
	s_load_b32 s35, s[0:1], 0x90
	s_load_b64 s[6:7], s[0:1], 0x30
	s_wait_kmcnt 0x0
	s_abs_i32 s5, s35
	s_abs_i32 s2, s6
	s_delay_alu instid0(SALU_CYCLE_1) | instskip(SKIP_1) | instid1(SALU_CYCLE_2)
	s_cvt_f32_u32 s3, s2
	s_sub_co_i32 s4, 0, s2
	v_rcp_iflag_f32_e32 v1, s3
	s_delay_alu instid0(TRANS32_DEP_1) | instskip(SKIP_2) | instid1(SALU_CYCLE_2)
	v_readfirstlane_b32 s3, v1
	s_mul_f32 s3, s3, 0x4f7ffffe
	s_wait_alu 0xfffe
	s_cvt_u32_f32 s3, s3
	s_wait_alu 0xfffe
	s_delay_alu instid0(SALU_CYCLE_2) | instskip(NEXT) | instid1(SALU_CYCLE_1)
	s_mul_i32 s4, s4, s3
	s_mul_hi_u32 s4, s3, s4
	s_delay_alu instid0(SALU_CYCLE_1)
	s_add_co_i32 s3, s3, s4
	s_xor_b32 s4, s35, s6
	s_wait_alu 0xfffe
	s_mul_hi_u32 s3, s5, s3
	s_ashr_i32 s4, s4, 31
	s_wait_alu 0xfffe
	s_mul_i32 s8, s3, s2
	s_delay_alu instid0(SALU_CYCLE_1)
	s_sub_co_i32 s5, s5, s8
	s_add_co_i32 s8, s3, 1
	s_sub_co_i32 s9, s5, s2
	s_cmp_ge_u32 s5, s2
	s_cselect_b32 s3, s8, s3
	s_cselect_b32 s5, s9, s5
	s_wait_alu 0xfffe
	s_add_co_i32 s8, s3, 1
	s_cmp_ge_u32 s5, s2
	s_cselect_b32 s2, s8, s3
	s_load_b64 s[8:9], s[0:1], 0x50
	s_xor_b32 s2, s2, s4
	s_mov_b32 s3, 0
	s_wait_alu 0xfffe
	s_sub_co_i32 s11, s2, s4
	s_mov_b32 s30, s3
	s_abs_i32 s10, s11
	s_delay_alu instid0(SALU_CYCLE_1) | instskip(SKIP_1) | instid1(SALU_CYCLE_2)
	s_cvt_f32_u32 s2, s10
	s_wait_alu 0xfffe
	v_rcp_iflag_f32_e32 v1, s2
	s_delay_alu instid0(TRANS32_DEP_1) | instskip(SKIP_2) | instid1(SALU_CYCLE_2)
	v_readfirstlane_b32 s2, v1
	s_mul_f32 s2, s2, 0x4f7ffffe
	s_wait_alu 0xfffe
	s_cvt_u32_f32 s4, s2
	s_sub_co_i32 s2, 0, s10
	s_wait_alu 0xfffe
	s_delay_alu instid0(SALU_CYCLE_1)
	s_mul_i32 s2, s2, s4
	s_wait_alu 0xfffe
	s_mul_hi_u32 s5, s4, s2
	s_abs_i32 s2, ttmp9
	s_add_co_i32 s4, s4, s5
	s_mov_b32 s5, s3
	s_wait_kmcnt 0x0
	s_cmp_eq_u64 s[8:9], 0
	s_cbranch_scc1 .LBB193_3
; %bb.2:
	s_mov_b32 s12, ttmp9
	s_ashr_i32 s13, ttmp9, 31
	s_delay_alu instid0(SALU_CYCLE_1) | instskip(NEXT) | instid1(SALU_CYCLE_1)
	s_lshl_b64 s[12:13], s[12:13], 2
	s_add_nc_u64 s[8:9], s[8:9], s[12:13]
	s_load_b32 s30, s[8:9], 0x0
.LBB193_3:
	s_load_b96 s[16:18], s[0:1], 0x58
	v_and_b32_e32 v1, 3, v0
	v_lshlrev_b32_e32 v5, 2, v0
	s_mul_u64 s[4:5], s[2:3], s[4:5]
	s_ashr_i32 s3, ttmp9, 31
	s_ashr_i32 s4, s11, 31
	s_mul_i32 s20, ttmp9, 0x70
	s_mov_b32 s8, exec_lo
	v_cmpx_gt_u32_e32 0x70, v0
	s_cbranch_execz .LBB193_5
; %bb.4:
	s_load_b64 s[12:13], s[0:1], 0x18
	s_wait_kmcnt 0x0
	s_mul_i32 s14, s16, s19
	s_ashr_i32 s21, s20, 31
	s_ashr_i32 s15, s14, 31
	v_and_b32_e32 v3, 0x3fc, v0
	s_lshl_b64 s[14:15], s[14:15], 2
	s_delay_alu instid0(VALU_DEP_1) | instskip(SKIP_2) | instid1(SALU_CYCLE_1)
	v_mad_u32_u24 v3, 0x70, v1, v3
	s_add_nc_u64 s[12:13], s[12:13], s[14:15]
	s_lshl_b64 s[14:15], s[20:21], 2
	s_add_nc_u64 s[12:13], s[12:13], s[14:15]
	global_load_b32 v2, v5, s[12:13]
	s_wait_loadcnt 0x0
	ds_store_b32 v3, v2
.LBB193_5:
	s_or_b32 exec_lo, exec_lo, s8
	s_load_b128 s[12:15], s[0:1], 0x78
	s_mul_i32 s8, s5, s10
	s_xor_b32 s3, s3, s4
	s_sub_co_i32 s2, s2, s8
	s_add_co_i32 s4, s5, 1
	s_wait_alu 0xfffe
	s_sub_co_i32 s8, s2, s10
	s_cmp_ge_u32 s2, s10
                                        ; implicit-def: $sgpr21
	s_cselect_b32 s4, s4, s5
	s_cselect_b32 s2, s8, s2
	s_add_co_i32 s5, s4, 1
	s_wait_alu 0xfffe
	s_cmp_ge_u32 s2, s10
	s_load_b32 s8, s[0:1], 0x88
	s_cselect_b32 s2, s5, s4
	s_add_co_i32 s9, s34, -1
	s_wait_alu 0xfffe
	s_xor_b32 s2, s2, s3
	s_mov_b32 s10, -1
	s_wait_alu 0xfffe
	s_sub_co_i32 s28, s2, s3
	s_wait_dscnt 0x0
	s_barrier_signal -1
	s_wait_kmcnt 0x0
	s_abs_i32 s16, s15
	s_barrier_wait -1
	s_cvt_f32_u32 s4, s16
	global_inv scope:SCOPE_SE
	v_rcp_iflag_f32_e32 v2, s4
	s_delay_alu instid0(TRANS32_DEP_1) | instskip(SKIP_2) | instid1(SALU_CYCLE_2)
	v_readfirstlane_b32 s4, v2
	s_mul_f32 s2, s4, 0x4f7ffffe
	s_wait_alu 0xfffe
	s_cvt_u32_f32 s4, s2
	s_sub_co_i32 s2, 0, s16
	s_wait_alu 0xfffe
	s_delay_alu instid0(SALU_CYCLE_1)
	s_mul_i32 s3, s2, s4
	s_abs_i32 s2, s9
	s_wait_alu 0xfffe
	s_mul_hi_u32 s5, s4, s3
	s_mov_b32 s3, 0
	s_wait_alu 0xfffe
	s_add_co_i32 s22, s4, s5
	s_cmp_lt_i32 s8, 0
	s_mov_b32 s23, s3
	s_cbranch_scc0 .LBB193_7
; %bb.6:
	s_mul_i32 s4, s12, s6
	s_mov_b32 s10, s3
	s_wait_alu 0xfffe
	s_add_co_i32 s4, s28, s4
	s_wait_alu 0xfffe
	s_mul_i32 s4, s4, s8
	s_wait_alu 0xfffe
	s_sub_co_i32 s21, 1, s4
.LBB193_7:
	s_mul_u64 s[4:5], s[2:3], s[22:23]
	s_ashr_i32 s3, s9, 31
	s_and_not1_b32 vcc_lo, exec_lo, s10
	s_ashr_i32 s15, s15, 31
	s_cbranch_vccnz .LBB193_9
; %bb.8:
	s_mul_i32 s4, s35, s12
	s_wait_alu 0xfffe
	s_add_co_i32 s4, s4, ttmp9
	s_wait_alu 0xfffe
	s_mul_i32 s4, s4, s8
	s_wait_alu 0xfffe
	s_add_co_i32 s21, s4, 1
.LBB193_9:
	s_clause 0x3
	s_load_b32 s4, s[0:1], 0x48
	s_load_b64 s[24:25], s[0:1], 0x38
	s_load_b32 s12, s[0:1], 0x98
	s_load_b128 s[8:11], s[0:1], 0x68
	s_mul_i32 s6, s5, s16
	s_xor_b32 s3, s3, s15
	s_sub_co_i32 s2, s2, s6
	s_add_co_i32 s23, s5, 1
	v_lshrrev_b32_e32 v11, 5, v0
	v_mov_b32_e32 v10, 0xff7fffff
	v_mbcnt_lo_u32_b32 v7, -1, 0
	s_mul_i32 s28, s28, s18
	s_delay_alu instid0(VALU_DEP_3)
	v_lshl_add_u32 v12, v11, 3, s36
	s_wait_kmcnt 0x0
	s_mul_i32 s26, s4, s19
	s_wait_alu 0xfffe
	s_sub_co_i32 s4, s2, s16
	s_ashr_i32 s27, s26, 31
	s_cmp_ge_u32 s2, s16
	s_cselect_b32 s5, s23, s5
	s_wait_alu 0xfffe
	s_cselect_b32 s2, s4, s2
	s_add_co_i32 s4, s5, 1
	s_wait_alu 0xfffe
	s_cmp_ge_u32 s2, s16
	s_cselect_b32 s2, s4, s5
	s_add_co_i32 s4, s34, 7
	s_lshl_b32 s39, s33, 6
	s_wait_alu 0xfffe
	s_ashr_i32 s5, s4, 31
	v_or_b32_e32 v13, s39, v11
	s_wait_alu 0xfffe
	s_lshr_b32 s5, s5, 29
	s_wait_alu 0xfffe
	s_add_co_i32 s4, s4, s5
	s_add_co_i32 s5, s39, 64
	s_wait_alu 0xfffe
	s_ashr_i32 s37, s4, 3
	s_xor_b32 s4, s2, s3
	s_wait_alu 0xfffe
	s_min_i32 s23, s5, s37
	v_lshlrev_b32_e32 v6, 2, v13
	v_cmp_gt_i32_e64 s2, s23, v13
	s_sub_co_i32 s38, s4, s3
	s_and_saveexec_b32 s6, s2
	s_cbranch_execz .LBB193_21
; %bb.10:
	s_wait_alu 0xfffe
	s_sub_co_i32 s18, s38, s13
	s_ashr_i32 s29, s28, 31
	s_cmp_neq_f32 s30, 0
	s_load_b64 s[4:5], s[0:1], 0x20
	v_bfe_u32 v8, v0, 2, 3
	v_mov_b32_e32 v17, 0xff7fffff
	s_cselect_b32 vcc_lo, -1, 0
	s_abs_i32 s31, s14
	s_lshl_b64 s[42:43], s[26:27], 2
	s_cvt_f32_u32 s3, s31
	v_lshlrev_b32_e32 v3, 4, v8
	v_subrev_nc_u32_e32 v10, s34, v8
	v_lshlrev_b32_e32 v4, 2, v8
	s_wait_alu 0xfffe
	v_rcp_iflag_f32_e32 v2, s3
	v_cmp_eq_u32_e64 s3, 0, v1
	v_mul_u32_u24_e32 v9, 0x70, v1
	v_dual_mov_b32 v20, v13 :: v_dual_add_nc_u32 v15, 1, v10
	v_mov_b32_e32 v10, 0xff7fffff
	v_lshl_or_b32 v16, v11, 5, v4
	s_add_nc_u64 s[42:43], s[24:25], s[42:43]
	s_sub_co_i32 s44, 0, s31
	v_lshl_add_u32 v14, v11, 3, s36
	s_delay_alu instid0(TRANS32_DEP_1)
	v_readfirstlane_b32 s41, v2
	s_wait_kmcnt 0x0
	s_add_nc_u64 s[4:5], s[4:5], s[28:29]
	v_add_nc_u32_e32 v16, 0x1e0, v16
	s_wait_alu 0xfffe
	v_add_co_u32 v2, s4, s4, v3
	s_mul_f32 s29, s41, 0x4f7ffffe
	s_wait_alu 0xf1ff
	v_add_co_ci_u32_e64 v3, null, s5, 0, s4
	v_add_co_u32 v1, s4, v2, v1
	s_cvt_u32_f32 s5, s29
	s_wait_alu 0xf1ff
	v_add_co_ci_u32_e64 v2, null, 0, v3, s4
	v_add_co_u32 v3, s4, s42, v6
	s_wait_alu 0xfffe
	s_mul_i32 s44, s44, s5
	v_add_co_ci_u32_e64 v4, null, s43, 0, s4
	v_xor_b32_e32 v18, 2, v7
	v_xor_b32_e32 v19, 1, v7
	s_mul_hi_u32 s4, s5, s44
	s_mov_b32 s40, 0
	s_mov_b32 s29, s17
	s_wait_alu 0xfffe
	s_add_co_i32 s41, s5, s4
	s_branch .LBB193_13
.LBB193_11:                             ;   in Loop: Header=BB193_13 Depth=1
	s_wait_alu 0xfffe
	s_or_b32 exec_lo, exec_lo, s42
.LBB193_12:                             ;   in Loop: Header=BB193_13 Depth=1
	s_wait_alu 0xfffe
	s_or_b32 exec_lo, exec_lo, s5
	v_add_nc_u32_e32 v20, 4, v20
	v_add_co_u32 v3, s5, v3, 16
	s_wait_alu 0xf1ff
	v_add_co_ci_u32_e64 v4, null, 0, v4, s5
	s_delay_alu instid0(VALU_DEP_3)
	v_cmp_le_i32_e64 s4, s23, v20
	v_add_nc_u32_e32 v14, 32, v14
	v_add_nc_u32_e32 v16, 0x80, v16
	s_or_b32 s40, s4, s40
	s_wait_alu 0xfffe
	s_and_not1_b32 exec_lo, exec_lo, s40
	s_cbranch_execz .LBB193_20
.LBB193_13:                             ; =>This Inner Loop Header: Depth=1
	v_sub_nc_u32_e32 v21, 0, v14
	s_delay_alu instid0(VALU_DEP_1) | instskip(SKIP_1) | instid1(VALU_DEP_1)
	v_max_i32_e32 v21, v14, v21
	s_wait_dscnt 0x0
	v_mul_hi_u32 v22, v21, s22
	s_delay_alu instid0(VALU_DEP_1) | instskip(NEXT) | instid1(VALU_DEP_1)
	v_mul_lo_u32 v23, v22, s16
	v_sub_nc_u32_e32 v21, v21, v23
	v_add_nc_u32_e32 v23, 1, v22
	s_delay_alu instid0(VALU_DEP_2) | instskip(SKIP_2) | instid1(VALU_DEP_1)
	v_subrev_nc_u32_e32 v24, s16, v21
	v_cmp_le_u32_e64 s4, s16, v21
	s_wait_alu 0xf1ff
	v_cndmask_b32_e64 v22, v22, v23, s4
	s_delay_alu instid0(VALU_DEP_3) | instskip(SKIP_1) | instid1(VALU_DEP_3)
	v_cndmask_b32_e64 v21, v21, v24, s4
	v_ashrrev_i32_e32 v23, 31, v14
	v_add_nc_u32_e32 v24, 1, v22
	s_delay_alu instid0(VALU_DEP_3) | instskip(NEXT) | instid1(VALU_DEP_3)
	v_cmp_le_u32_e64 s4, s16, v21
	v_xor_b32_e32 v23, s15, v23
	s_wait_alu 0xf1ff
	s_delay_alu instid0(VALU_DEP_2) | instskip(NEXT) | instid1(VALU_DEP_1)
	v_cndmask_b32_e64 v21, v22, v24, s4
	v_xor_b32_e32 v21, v21, v23
	s_delay_alu instid0(VALU_DEP_1) | instskip(NEXT) | instid1(VALU_DEP_1)
	v_sub_nc_u32_e32 v21, v21, v23
	v_add_nc_u32_e32 v22, s21, v21
	v_cmp_ge_i32_e64 s5, s18, v21
	s_delay_alu instid0(VALU_DEP_2) | instskip(NEXT) | instid1(VALU_DEP_1)
	v_sub_nc_u32_e32 v23, 0, v22
	v_max_i32_e32 v23, v22, v23
	v_ashrrev_i32_e32 v22, 31, v22
	s_delay_alu instid0(VALU_DEP_2) | instskip(NEXT) | instid1(VALU_DEP_1)
	v_mul_hi_u32 v24, v23, s41
	v_mul_lo_u32 v24, v24, s31
	s_delay_alu instid0(VALU_DEP_1) | instskip(NEXT) | instid1(VALU_DEP_1)
	v_sub_nc_u32_e32 v23, v23, v24
	v_subrev_nc_u32_e32 v24, s31, v23
	v_cmp_le_u32_e64 s4, s31, v23
	s_wait_alu 0xf1ff
	s_delay_alu instid0(VALU_DEP_1) | instskip(NEXT) | instid1(VALU_DEP_1)
	v_cndmask_b32_e64 v23, v23, v24, s4
	v_subrev_nc_u32_e32 v24, s31, v23
	v_cmp_le_u32_e64 s4, s31, v23
	s_wait_alu 0xf1ff
	s_delay_alu instid0(VALU_DEP_1) | instskip(NEXT) | instid1(VALU_DEP_1)
	v_cndmask_b32_e64 v23, v23, v24, s4
	v_xor_b32_e32 v23, v23, v22
	s_delay_alu instid0(VALU_DEP_1) | instskip(NEXT) | instid1(VALU_DEP_1)
	v_sub_nc_u32_e32 v22, v23, v22
	v_cmp_ne_u32_e64 s4, 0, v22
	s_and_b32 s4, s4, s5
	s_wait_alu 0xfffe
	s_and_saveexec_b32 s5, s4
	s_wait_alu 0xfffe
	s_xor_b32 s4, exec_lo, s5
	s_cbranch_execz .LBB193_17
; %bb.14:                               ;   in Loop: Header=BB193_13 Depth=1
	s_and_saveexec_b32 s5, s3
; %bb.15:                               ;   in Loop: Header=BB193_13 Depth=1
	ds_store_b32 v16, v17
; %bb.16:                               ;   in Loop: Header=BB193_13 Depth=1
	s_wait_alu 0xfffe
	s_or_b32 exec_lo, exec_lo, s5
.LBB193_17:                             ;   in Loop: Header=BB193_13 Depth=1
	s_wait_alu 0xfffe
	s_and_not1_saveexec_b32 s5, s4
	s_cbranch_execz .LBB193_12
; %bb.18:                               ;   in Loop: Header=BB193_13 Depth=1
	global_load_b32 v21, v[3:4], off
	v_cmp_gt_i32_e64 s4, 32, v18
	s_wait_loadcnt 0x0
	v_mad_co_i64_i32 v[21:22], null, v21, s29, v[1:2]
	s_clause 0x1b
	global_load_u8 v25, v[21:22], off offset:4
	global_load_u8 v26, v[21:22], off
	global_load_u8 v29, v[21:22], off offset:8
	global_load_u8 v30, v[21:22], off offset:12
	;; [unrolled: 1-line block ×26, first 2 shown]
	s_load_b32 s42, s[8:9], 0x0
	ds_load_b128 v[21:24], v9
	s_wait_loadcnt 0x1b
	v_cvt_f32_fp8_e32 v25, v25
	s_wait_loadcnt 0x1a
	v_cvt_f32_fp8_e32 v55, v26
	;; [unrolled: 2-line block ×3, first 2 shown]
	s_wait_kmcnt 0x0
	s_delay_alu instid0(VALU_DEP_2)
	v_dual_mul_f32 v56, s42, v25 :: v_dual_mul_f32 v55, s42, v55
	ds_load_b128 v[25:28], v9 offset:16
	s_wait_dscnt 0x1
	v_mul_f32_e32 v56, v22, v56
	v_mul_f32_e32 v22, s42, v29
	s_wait_loadcnt 0x18
	v_cvt_f32_fp8_e32 v29, v30
	s_delay_alu instid0(VALU_DEP_1) | instskip(SKIP_4) | instid1(VALU_DEP_1)
	v_dual_mul_f32 v29, s42, v29 :: v_dual_fmac_f32 v56, v21, v55
	s_wait_loadcnt 0x17
	v_cvt_f32_fp8_e32 v21, v31
	s_wait_loadcnt 0x16
	v_cvt_f32_fp8_e32 v31, v32
	v_dual_mul_f32 v30, s42, v21 :: v_dual_mul_f32 v31, s42, v31
	v_fmac_f32_e32 v56, v23, v22
	s_delay_alu instid0(VALU_DEP_1) | instskip(SKIP_4) | instid1(VALU_DEP_1)
	v_fmac_f32_e32 v56, v24, v29
	ds_load_b128 v[21:24], v9 offset:32
	s_wait_loadcnt 0x15
	v_cvt_f32_fp8_e32 v29, v33
	s_wait_dscnt 0x1
	v_dual_fmac_f32 v56, v25, v30 :: v_dual_mul_f32 v25, s42, v29
	s_wait_loadcnt 0x14
	v_cvt_f32_fp8_e32 v29, v34
	s_delay_alu instid0(VALU_DEP_2)
	v_fmac_f32_e32 v56, v26, v31
	s_wait_loadcnt 0x13
	v_cvt_f32_fp8_e32 v26, v35
	s_wait_loadcnt 0x12
	v_cvt_f32_fp8_e32 v31, v36
	v_mul_f32_e32 v29, s42, v29
	v_fmac_f32_e32 v56, v27, v25
	s_delay_alu instid0(VALU_DEP_3) | instskip(NEXT) | instid1(VALU_DEP_2)
	v_dual_mul_f32 v30, s42, v26 :: v_dual_mul_f32 v31, s42, v31
	v_fmac_f32_e32 v56, v28, v29
	ds_load_b128 v[25:28], v9 offset:48
	s_wait_loadcnt 0x11
	v_cvt_f32_fp8_e32 v29, v37
	s_wait_dscnt 0x1
	s_delay_alu instid0(VALU_DEP_1) | instskip(SKIP_2) | instid1(VALU_DEP_2)
	v_dual_fmac_f32 v56, v21, v30 :: v_dual_mul_f32 v21, s42, v29
	s_wait_loadcnt 0x10
	v_cvt_f32_fp8_e32 v29, v38
	v_fmac_f32_e32 v56, v22, v31
	s_wait_loadcnt 0xf
	v_cvt_f32_fp8_e32 v22, v39
	s_wait_loadcnt 0xe
	v_cvt_f32_fp8_e32 v31, v40
	v_mul_f32_e32 v29, s42, v29
	v_fmac_f32_e32 v56, v23, v21
	s_delay_alu instid0(VALU_DEP_3) | instskip(NEXT) | instid1(VALU_DEP_2)
	v_dual_mul_f32 v30, s42, v22 :: v_dual_mul_f32 v31, s42, v31
	v_fmac_f32_e32 v56, v24, v29
	ds_load_b128 v[21:24], v9 offset:64
	s_wait_loadcnt 0xd
	v_cvt_f32_fp8_e32 v29, v41
	s_wait_dscnt 0x1
	s_delay_alu instid0(VALU_DEP_1) | instskip(SKIP_2) | instid1(VALU_DEP_2)
	v_dual_fmac_f32 v56, v25, v30 :: v_dual_mul_f32 v25, s42, v29
	s_wait_loadcnt 0xc
	v_cvt_f32_fp8_e32 v29, v42
	;; [unrolled: 18-line block ×4, first 2 shown]
	v_fmac_f32_e32 v56, v26, v31
	s_wait_loadcnt 0x3
	v_cvt_f32_fp8_e32 v26, v51
	s_delay_alu instid0(VALU_DEP_3) | instskip(NEXT) | instid1(VALU_DEP_2)
	v_mul_f32_e32 v29, s42, v29
	v_dual_fmac_f32 v56, v27, v25 :: v_dual_mul_f32 v25, s42, v26
	s_wait_loadcnt 0x2
	v_cvt_f32_fp8_e32 v26, v52
	s_wait_loadcnt 0x1
	v_cvt_f32_fp8_e32 v27, v53
	v_fmac_f32_e32 v56, v28, v29
	s_delay_alu instid0(VALU_DEP_3) | instskip(SKIP_1) | instid1(VALU_DEP_2)
	v_mul_f32_e32 v26, s42, v26
	s_wait_dscnt 0x0
	v_dual_fmac_f32 v56, v21, v25 :: v_dual_mul_f32 v21, s42, v27
	s_wait_loadcnt 0x0
	v_cvt_f32_fp8_e32 v25, v54
	s_delay_alu instid0(VALU_DEP_2) | instskip(SKIP_1) | instid1(VALU_DEP_3)
	v_fmac_f32_e32 v56, v22, v26
	v_cndmask_b32_e64 v22, v7, v18, s4
	v_mul_f32_e32 v25, s42, v25
	v_cmp_gt_i32_e64 s4, 32, v19
	s_delay_alu instid0(VALU_DEP_3) | instskip(SKIP_1) | instid1(VALU_DEP_2)
	v_dual_fmac_f32 v56, v23, v21 :: v_dual_lshlrev_b32 v21, 2, v22
	s_wait_alu 0xf1ff
	v_cndmask_b32_e64 v22, v7, v19, s4
	s_delay_alu instid0(VALU_DEP_2) | instskip(NEXT) | instid1(VALU_DEP_2)
	v_fmac_f32_e32 v56, v24, v25
	v_lshlrev_b32_e32 v22, 2, v22
	ds_bpermute_b32 v21, v21, v56
	s_wait_dscnt 0x0
	v_add_f32_e32 v21, v56, v21
	ds_bpermute_b32 v22, v22, v21
	s_and_saveexec_b32 s42, s3
	s_cbranch_execz .LBB193_11
; %bb.19:                               ;   in Loop: Header=BB193_13 Depth=1
	s_wait_dscnt 0x0
	v_add_f32_e32 v21, v21, v22
	v_add_nc_u32_e32 v23, v15, v14
	s_delay_alu instid0(VALU_DEP_1) | instskip(NEXT) | instid1(VALU_DEP_1)
	v_cvt_f32_i32_e32 v23, v23
	v_mul_f32_e32 v23, s30, v23
	s_delay_alu instid0(VALU_DEP_1) | instskip(NEXT) | instid1(VALU_DEP_1)
	v_dual_cndmask_b32 v22, 0, v23 :: v_dual_max_num_f32 v23, v10, v10
	v_dual_fmac_f32 v22, s7, v21 :: v_dual_add_nc_u32 v21, v8, v14
	s_delay_alu instid0(VALU_DEP_1) | instskip(NEXT) | instid1(VALU_DEP_2)
	v_max_num_f32_e32 v23, v23, v22
	v_cmp_gt_i32_e64 s4, s34, v21
	s_wait_alu 0xf1ff
	s_delay_alu instid0(VALU_DEP_1) | instskip(NEXT) | instid1(VALU_DEP_3)
	v_cndmask_b32_e64 v21, 0, v22, s4
	v_cndmask_b32_e64 v10, v10, v23, s4
	ds_store_b32 v16, v21
	s_branch .LBB193_11
.LBB193_20:
	s_or_b32 exec_lo, exec_lo, s40
.LBB193_21:
	s_delay_alu instid0(SALU_CYCLE_1)
	s_or_b32 exec_lo, exec_lo, s6
	v_xor_b32_e32 v1, 16, v7
	v_xor_b32_e32 v3, 8, v7
	s_clause 0x2
	s_load_b128 s[4:7], s[0:1], 0x0
	s_load_b64 s[8:9], s[0:1], 0x10
	s_load_b64 s[30:31], s[0:1], 0x28
	v_max_num_f32_e32 v8, v10, v10
	v_and_b32_e32 v14, 31, v0
	v_cmp_gt_i32_e32 vcc_lo, 32, v1
	s_wait_alu 0xfffd
	v_cndmask_b32_e32 v1, v7, v1, vcc_lo
	v_cmp_gt_i32_e32 vcc_lo, 32, v3
	s_wait_alu 0xfffd
	s_delay_alu instid0(VALU_DEP_2) | instskip(SKIP_3) | instid1(VALU_DEP_1)
	v_dual_cndmask_b32 v3, v7, v3 :: v_dual_lshlrev_b32 v2, 2, v1
	ds_bpermute_b32 v1, v2, v10
	s_wait_dscnt 0x0
	v_dual_max_num_f32 v1, v1, v1 :: v_dual_lshlrev_b32 v4, 2, v3
	v_max_num_f32_e32 v1, v8, v1
	v_xor_b32_e32 v8, 4, v7
	s_delay_alu instid0(VALU_DEP_1)
	v_cmp_gt_i32_e32 vcc_lo, 32, v8
	s_wait_alu 0xfffd
	v_cndmask_b32_e32 v8, v7, v8, vcc_lo
	ds_bpermute_b32 v3, v4, v1
	v_cmp_eq_u32_e32 vcc_lo, 0, v14
	v_lshlrev_b32_e32 v10, 2, v8
	v_lshlrev_b32_e32 v8, 2, v11
	s_wait_dscnt 0x0
	v_max_num_f32_e32 v3, v3, v3
	s_delay_alu instid0(VALU_DEP_1)
	v_max_num_f32_e32 v1, v1, v3
	ds_bpermute_b32 v3, v10, v1
	s_and_saveexec_b32 s0, vcc_lo
	s_cbranch_execz .LBB193_23
; %bb.22:
	s_wait_dscnt 0x0
	v_max_num_f32_e32 v3, v3, v3
	v_max_num_f32_e32 v1, v1, v1
	s_delay_alu instid0(VALU_DEP_1)
	v_max_num_f32_e32 v1, v1, v3
	ds_store_b32 v8, v1 offset:448
.LBB193_23:
	s_or_b32 exec_lo, exec_lo, s0
	v_cmp_gt_u32_e64 s0, 4, v14
	v_mov_b32_e32 v1, 0xff7fffff
	v_lshlrev_b32_e32 v9, 2, v14
	s_wait_loadcnt_dscnt 0x0
	s_barrier_signal -1
	s_barrier_wait -1
	global_inv scope:SCOPE_SE
	s_and_saveexec_b32 s1, s0
; %bb.24:
	ds_load_b32 v1, v9 offset:448
; %bb.25:
	s_or_b32 exec_lo, exec_lo, s1
	v_xor_b32_e32 v3, 2, v7
	v_xor_b32_e32 v15, 1, v7
	s_delay_alu instid0(VALU_DEP_2) | instskip(NEXT) | instid1(VALU_DEP_1)
	v_cmp_gt_i32_e64 s1, 32, v3
	v_cndmask_b32_e64 v3, v7, v3, s1
	s_delay_alu instid0(VALU_DEP_3) | instskip(NEXT) | instid1(VALU_DEP_2)
	v_cmp_gt_i32_e64 s1, 32, v15
	v_lshlrev_b32_e32 v16, 2, v3
	s_wait_alu 0xf1ff
	s_delay_alu instid0(VALU_DEP_2)
	v_cndmask_b32_e64 v7, v7, v15, s1
	s_sub_co_i32 s1, s23, s39
	s_wait_alu 0xfffe
	s_lshl_b32 s1, s1, 3
	s_wait_dscnt 0x0
	ds_bpermute_b32 v3, v16, v1
	v_max_num_f32_e32 v1, v1, v1
	v_lshlrev_b32_e32 v15, 2, v7
	v_mov_b32_e32 v7, 0
	s_wait_alu 0xfffe
	s_add_co_i32 s1, s1, s36
	s_wait_alu 0xfffe
	s_min_i32 s1, s1, s34
	s_wait_alu 0xfffe
	s_sub_co_i32 s18, s1, s36
	s_wait_alu 0xfffe
	v_cmp_gt_i32_e64 s1, s18, v0
	s_wait_dscnt 0x0
	v_max_num_f32_e32 v3, v3, v3
	s_delay_alu instid0(VALU_DEP_1) | instskip(SKIP_3) | instid1(VALU_DEP_1)
	v_max_num_f32_e32 v1, v1, v3
	ds_bpermute_b32 v3, v15, v1
	s_wait_dscnt 0x0
	v_max_num_f32_e32 v3, v3, v3
	v_max_num_f32_e32 v1, v1, v3
	v_lshl_add_u32 v3, v0, 2, 0x1e0
	ds_bpermute_b32 v1, v7, v1
	s_and_saveexec_b32 s29, s1
	s_cbranch_execz .LBB193_29
; %bb.26:
	v_lshl_add_u32 v17, v0, 2, 0x1e0
	v_dual_mov_b32 v7, 0 :: v_dual_mov_b32 v18, v0
	s_mov_b32 s36, 0
.LBB193_27:                             ; =>This Inner Loop Header: Depth=1
	ds_load_b32 v19, v17
	v_add_nc_u32_e32 v18, 0x80, v18
	s_delay_alu instid0(VALU_DEP_1) | instskip(SKIP_4) | instid1(VALU_DEP_1)
	v_cmp_le_i32_e64 s3, s18, v18
	s_wait_alu 0xfffe
	s_or_b32 s36, s3, s36
	s_wait_dscnt 0x0
	v_sub_f32_e32 v19, v19, v1
	v_mul_f32_e32 v19, 0x3fb8aa3b, v19
	s_delay_alu instid0(VALU_DEP_1)
	v_exp_f32_e32 v19, v19
	ds_store_b32 v17, v19
	v_add_f32_e32 v7, v7, v19
	v_add_nc_u32_e32 v17, 0x200, v17
	s_wait_alu 0xfffe
	s_and_not1_b32 exec_lo, exec_lo, s36
	s_cbranch_execnz .LBB193_27
; %bb.28:
	s_or_b32 exec_lo, exec_lo, s36
.LBB193_29:
	s_wait_alu 0xfffe
	s_or_b32 exec_lo, exec_lo, s29
	ds_bpermute_b32 v2, v2, v7
	s_wait_dscnt 0x0
	v_add_f32_e32 v2, v7, v2
	ds_bpermute_b32 v4, v4, v2
	s_wait_dscnt 0x0
	v_add_f32_e32 v2, v2, v4
	;; [unrolled: 3-line block ×5, first 2 shown]
	s_and_saveexec_b32 s3, vcc_lo
; %bb.30:
	ds_store_b32 v8, v2 offset:464
; %bb.31:
	s_wait_alu 0xfffe
	s_or_b32 exec_lo, exec_lo, s3
	s_wait_loadcnt_dscnt 0x0
	s_barrier_signal -1
	s_barrier_wait -1
	global_inv scope:SCOPE_SE
	s_and_saveexec_b32 s3, s0
; %bb.32:
	ds_load_b32 v2, v9 offset:464
; %bb.33:
	s_wait_alu 0xfffe
	s_or_b32 exec_lo, exec_lo, s3
	s_wait_dscnt 0x0
	ds_bpermute_b32 v4, v16, v2
	s_wait_dscnt 0x0
	v_add_f32_e32 v2, v2, v4
	ds_bpermute_b32 v4, v15, v2
	s_wait_dscnt 0x0
	v_add_f32_e32 v2, v2, v4
	v_mov_b32_e32 v4, 0
	ds_bpermute_b32 v2, v4, v2
	s_and_saveexec_b32 s0, s1
	s_cbranch_execz .LBB193_36
; %bb.34:
	s_wait_dscnt 0x0
	v_add_f32_e32 v4, 0x358637bd, v2
	s_mov_b32 s1, 0
	s_delay_alu instid0(VALU_DEP_1) | instskip(SKIP_1) | instid1(VALU_DEP_2)
	v_div_scale_f32 v7, null, v4, v4, 1.0
	v_div_scale_f32 v10, vcc_lo, 1.0, v4, 1.0
	v_rcp_f32_e32 v8, v7
	s_delay_alu instid0(TRANS32_DEP_1) | instskip(NEXT) | instid1(VALU_DEP_1)
	v_fma_f32 v9, -v7, v8, 1.0
	v_fmac_f32_e32 v8, v9, v8
	s_delay_alu instid0(VALU_DEP_1) | instskip(NEXT) | instid1(VALU_DEP_1)
	v_mul_f32_e32 v9, v10, v8
	v_fma_f32 v16, -v7, v9, v10
	s_delay_alu instid0(VALU_DEP_1) | instskip(NEXT) | instid1(VALU_DEP_1)
	v_fmac_f32_e32 v9, v16, v8
	v_fma_f32 v7, -v7, v9, v10
	s_wait_alu 0xfffd
	s_delay_alu instid0(VALU_DEP_1) | instskip(NEXT) | instid1(VALU_DEP_1)
	v_div_fmas_f32 v7, v7, v8, v9
	v_div_fixup_f32 v4, v7, v4, 1.0
	v_mov_b32_e32 v7, v0
.LBB193_35:                             ; =>This Inner Loop Header: Depth=1
	ds_load_b32 v8, v3
	s_wait_dscnt 0x0
	v_dual_mul_f32 v8, v4, v8 :: v_dual_add_nc_u32 v7, 0x80, v7
	s_delay_alu instid0(VALU_DEP_1)
	v_cmp_le_i32_e32 vcc_lo, s18, v7
	ds_store_b32 v3, v8
	v_add_nc_u32_e32 v3, 0x200, v3
	s_wait_alu 0xfffe
	s_or_b32 s1, vcc_lo, s1
	s_wait_alu 0xfffe
	s_and_not1_b32 exec_lo, exec_lo, s1
	s_cbranch_execnz .LBB193_35
.LBB193_36:
	s_wait_alu 0xfffe
	s_or_b32 exec_lo, exec_lo, s0
	s_mul_i32 s0, s12, s19
	s_wait_loadcnt_dscnt 0x0
	s_wait_alu 0xfffe
	s_mul_i32 s18, s0, s35
	s_mov_b32 s0, exec_lo
	s_barrier_signal -1
	s_barrier_wait -1
	global_inv scope:SCOPE_SE
	v_cmpx_eq_u32_e32 0, v0
	s_cbranch_execz .LBB193_38
; %bb.37:
	s_wait_alu 0xfffe
	s_ashr_i32 s19, s18, 31
	s_mul_i32 s40, s12, ttmp9
	s_lshl_b32 s1, s33, 2
	s_wait_alu 0xfffe
	s_lshl_b64 s[42:43], s[18:19], 2
	s_ashr_i32 s41, s40, 31
	v_mov_b32_e32 v3, s1
	s_wait_kmcnt 0x0
	s_wait_alu 0xfffe
	s_add_nc_u64 s[6:7], s[6:7], s[42:43]
	s_lshl_b64 s[40:41], s[40:41], 2
	s_add_nc_u64 s[4:5], s[4:5], s[42:43]
	s_wait_alu 0xfffe
	s_add_nc_u64 s[6:7], s[6:7], s[40:41]
	s_add_nc_u64 s[4:5], s[4:5], s[40:41]
	s_clause 0x1
	global_store_b32 v3, v1, s[6:7]
	global_store_b32 v3, v2, s[4:5]
.LBB193_38:
	s_wait_alu 0xfffe
	s_or_b32 exec_lo, exec_lo, s0
	v_dual_mov_b32 v22, 0 :: v_dual_mov_b32 v23, 0
	v_dual_mov_b32 v21, 0 :: v_dual_and_b32 v16, 1, v0
	v_dual_mov_b32 v20, 0 :: v_dual_mov_b32 v19, 0
	v_dual_mov_b32 v18, 0 :: v_dual_mov_b32 v17, 0
	s_and_saveexec_b32 s1, s2
	s_cbranch_execz .LBB193_58
; %bb.39:
	s_abs_i32 s2, s14
	v_dual_mov_b32 v18, 0 :: v_dual_lshlrev_b32 v3, 4, v16
	s_wait_alu 0xfffe
	s_cvt_f32_u32 s0, s2
	s_wait_kmcnt 0x0
	s_lshl_b64 s[6:7], s[26:27], 2
	v_dual_mov_b32 v19, 0 :: v_dual_and_b32 v2, 0x7c, v5
	s_wait_alu 0xfffe
	v_rcp_iflag_f32_e32 v1, s0
	s_ashr_i32 s29, s28, 31
	s_add_nc_u64 s[6:7], s[24:25], s[6:7]
	v_dual_mov_b32 v17, 0 :: v_dual_and_b32 v24, 4, v5
	s_wait_alu 0xfffe
	s_add_nc_u64 s[26:27], s[30:31], s[28:29]
	v_add_co_u32 v5, s6, s6, v6
	s_sub_co_i32 s5, 0, s2
	v_add_co_ci_u32_e64 v6, null, s7, 0, s6
	s_delay_alu instid0(TRANS32_DEP_1)
	v_readfirstlane_b32 s0, v1
	v_lshl_or_b32 v1, v11, 5, v3
	v_add_co_u32 v7, s6, s26, v2
	s_wait_alu 0xf1ff
	v_add_co_ci_u32_e64 v8, null, s27, 0, s6
	s_mul_f32 s0, s0, 0x4f7ffffe
	v_dual_mov_b32 v20, 0 :: v_dual_add_nc_u32 v25, 0x1e0, v1
	v_dual_mov_b32 v21, 0 :: v_dual_mov_b32 v22, 0
	s_wait_alu 0xfffe
	s_cvt_u32_f32 s0, s0
	v_mov_b32_e32 v23, 0
	s_sub_co_i32 s3, s38, s13
	s_mov_b32 s4, s17
	s_wait_alu 0xfffe
	s_mul_i32 s5, s5, s0
	s_add_co_i32 s37, s37, -1
	s_wait_alu 0xfffe
	s_mul_hi_u32 s6, s0, s5
	s_mov_b32 s5, 0
	s_wait_alu 0xfffe
	s_add_co_i32 s6, s0, s6
	s_branch .LBB193_42
.LBB193_40:                             ;   in Loop: Header=BB193_42 Depth=1
	s_wait_alu 0xfffe
	s_or_b32 exec_lo, exec_lo, s0
	s_wait_dscnt 0x0
	v_mul_f32_e32 v36, v1, v45
	v_mul_f32_e32 v33, v1, v55
	;; [unrolled: 1-line block ×3, first 2 shown]
	s_delay_alu instid0(VALU_DEP_3) | instskip(NEXT) | instid1(VALU_DEP_3)
	v_dual_mul_f32 v35, v1, v51 :: v_dual_fmac_f32 v36, v2, v44
	v_fmac_f32_e32 v33, v2, v52
	s_delay_alu instid0(VALU_DEP_3) | instskip(NEXT) | instid1(VALU_DEP_3)
	v_dual_mul_f32 v37, v1, v42 :: v_dual_fmac_f32 v34, v2, v32
	v_dual_fmac_f32 v35, v2, v48 :: v_dual_fmac_f32 v36, v3, v43
	s_delay_alu instid0(VALU_DEP_3) | instskip(NEXT) | instid1(VALU_DEP_3)
	v_fmac_f32_e32 v33, v3, v50
	v_dual_fmac_f32 v37, v2, v40 :: v_dual_fmac_f32 v34, v3, v31
	v_mul_f32_e32 v29, v1, v29
	s_delay_alu instid0(VALU_DEP_4) | instskip(NEXT) | instid1(VALU_DEP_4)
	v_fmac_f32_e32 v36, v4, v41
	v_fmac_f32_e32 v33, v4, v49
	v_mul_f32_e32 v1, v1, v54
	s_delay_alu instid0(VALU_DEP_4) | instskip(NEXT) | instid1(VALU_DEP_3)
	v_dual_fmac_f32 v34, v4, v30 :: v_dual_fmac_f32 v29, v2, v28
	v_dual_fmac_f32 v35, v3, v47 :: v_dual_add_f32 v18, v18, v33
	s_delay_alu instid0(VALU_DEP_3) | instskip(SKIP_1) | instid1(VALU_DEP_4)
	v_dual_fmac_f32 v1, v2, v53 :: v_dual_add_f32 v20, v20, v36
	v_fmac_f32_e32 v37, v3, v39
	v_fmac_f32_e32 v29, v3, v27
	v_add_f32_e32 v23, v23, v34
	s_delay_alu instid0(VALU_DEP_4) | instskip(NEXT) | instid1(VALU_DEP_4)
	v_fmac_f32_e32 v1, v3, v10
	v_fmac_f32_e32 v37, v4, v38
	s_delay_alu instid0(VALU_DEP_4) | instskip(SKIP_1) | instid1(VALU_DEP_4)
	v_fmac_f32_e32 v29, v4, v26
	v_fmac_f32_e32 v35, v4, v46
	;; [unrolled: 1-line block ×3, first 2 shown]
	s_delay_alu instid0(VALU_DEP_4) | instskip(NEXT) | instid1(VALU_DEP_3)
	v_add_f32_e32 v21, v21, v37
	v_dual_add_f32 v22, v22, v29 :: v_dual_add_f32 v19, v19, v35
	s_delay_alu instid0(VALU_DEP_3)
	v_add_f32_e32 v17, v17, v1
.LBB193_41:                             ;   in Loop: Header=BB193_42 Depth=1
	s_wait_alu 0xfffe
	s_or_b32 exec_lo, exec_lo, s7
	v_add_nc_u32_e32 v13, 4, v13
	v_add_co_u32 v5, s0, v5, 16
	s_wait_alu 0xf1ff
	v_add_co_ci_u32_e64 v6, null, 0, v6, s0
	s_delay_alu instid0(VALU_DEP_3)
	v_cmp_le_i32_e32 vcc_lo, s23, v13
	v_add_nc_u32_e32 v12, 32, v12
	v_add_nc_u32_e32 v25, 0x80, v25
	s_or_b32 s5, vcc_lo, s5
	s_wait_alu 0xfffe
	s_and_not1_b32 exec_lo, exec_lo, s5
	s_cbranch_execz .LBB193_57
.LBB193_42:                             ; =>This Inner Loop Header: Depth=1
	v_sub_nc_u32_e32 v1, 0, v12
	s_delay_alu instid0(VALU_DEP_1) | instskip(NEXT) | instid1(VALU_DEP_1)
	v_max_i32_e32 v1, v12, v1
	v_mul_hi_u32 v2, v1, s22
	s_delay_alu instid0(VALU_DEP_1) | instskip(NEXT) | instid1(VALU_DEP_1)
	v_mul_lo_u32 v3, v2, s16
	v_sub_nc_u32_e32 v1, v1, v3
	v_add_nc_u32_e32 v3, 1, v2
	s_delay_alu instid0(VALU_DEP_2) | instskip(SKIP_2) | instid1(VALU_DEP_2)
	v_subrev_nc_u32_e32 v4, s16, v1
	v_cmp_le_u32_e32 vcc_lo, s16, v1
	s_wait_alu 0xfffd
	v_dual_cndmask_b32 v2, v2, v3 :: v_dual_cndmask_b32 v1, v1, v4
	v_ashrrev_i32_e32 v3, 31, v12
	s_delay_alu instid0(VALU_DEP_2) | instskip(NEXT) | instid1(VALU_DEP_3)
	v_add_nc_u32_e32 v4, 1, v2
	v_cmp_le_u32_e32 vcc_lo, s16, v1
	s_delay_alu instid0(VALU_DEP_3) | instskip(SKIP_1) | instid1(VALU_DEP_3)
	v_xor_b32_e32 v3, s15, v3
	s_wait_alu 0xfffd
	v_cndmask_b32_e32 v1, v2, v4, vcc_lo
	s_delay_alu instid0(VALU_DEP_1) | instskip(NEXT) | instid1(VALU_DEP_1)
	v_xor_b32_e32 v1, v1, v3
	v_sub_nc_u32_e32 v1, v1, v3
	s_delay_alu instid0(VALU_DEP_1) | instskip(SKIP_1) | instid1(VALU_DEP_2)
	v_add_nc_u32_e32 v2, s21, v1
	v_cmp_lt_i32_e64 s0, s3, v1
	v_sub_nc_u32_e32 v3, 0, v2
	s_delay_alu instid0(VALU_DEP_1) | instskip(SKIP_1) | instid1(VALU_DEP_1)
	v_max_i32_e32 v3, v2, v3
	s_wait_alu 0xfffe
	v_mul_hi_u32 v4, v3, s6
	s_delay_alu instid0(VALU_DEP_1) | instskip(NEXT) | instid1(VALU_DEP_1)
	v_mul_lo_u32 v4, v4, s2
	v_sub_nc_u32_e32 v3, v3, v4
	s_delay_alu instid0(VALU_DEP_1) | instskip(SKIP_2) | instid1(VALU_DEP_2)
	v_subrev_nc_u32_e32 v4, s2, v3
	v_cmp_le_u32_e32 vcc_lo, s2, v3
	s_wait_alu 0xfffd
	v_cndmask_b32_e32 v3, v3, v4, vcc_lo
	v_ashrrev_i32_e32 v2, 31, v2
	s_delay_alu instid0(VALU_DEP_2) | instskip(SKIP_2) | instid1(VALU_DEP_2)
	v_subrev_nc_u32_e32 v4, s2, v3
	v_cmp_le_u32_e32 vcc_lo, s2, v3
	s_wait_alu 0xfffd
	v_cndmask_b32_e32 v3, v3, v4, vcc_lo
	s_delay_alu instid0(VALU_DEP_1) | instskip(NEXT) | instid1(VALU_DEP_1)
	v_xor_b32_e32 v3, v3, v2
	v_sub_nc_u32_e32 v2, v3, v2
	s_delay_alu instid0(VALU_DEP_1)
	v_cmp_eq_u32_e32 vcc_lo, 0, v2
	s_or_b32 s0, vcc_lo, s0
	s_wait_alu 0xfffe
	s_and_saveexec_b32 s7, s0
	s_cbranch_execz .LBB193_41
; %bb.43:                               ;   in Loop: Header=BB193_42 Depth=1
	global_load_b32 v1, v[5:6], off
	s_load_b32 s13, s[10:11], 0x0
	v_cmp_eq_u32_e32 vcc_lo, s37, v13
	s_wait_loadcnt 0x0
	v_mad_co_i64_i32 v[9:10], null, v1, s4, v[7:8]
	ds_load_b128 v[1:4], v25
	global_load_b32 v26, v[9:10], off
	s_wait_loadcnt 0x0
	v_lshrrev_b32_e32 v28, 16, v26
	s_delay_alu instid0(VALU_DEP_1) | instskip(SKIP_1) | instid1(VALU_DEP_1)
	v_cvt_pk_f32_fp8_e32 v[30:31], v28
	v_and_b32_e32 v27, 0xffff, v26
	v_cvt_pk_f32_fp8_e32 v[26:27], v27
	s_wait_kmcnt 0x0
	s_delay_alu instid0(VALU_DEP_1) | instskip(NEXT) | instid1(VALU_DEP_1)
	v_dual_mul_f32 v28, s13, v27 :: v_dual_add_nc_u32 v33, v24, v12
	v_dual_mul_f32 v29, s13, v26 :: v_dual_add_nc_u32 v36, 1, v33
	v_add_nc_u32_e32 v35, 2, v33
	v_dual_mul_f32 v27, s13, v30 :: v_dual_mul_f32 v26, s13, v31
	v_add_nc_u32_e32 v37, 3, v33
	s_and_saveexec_b32 s14, vcc_lo
	s_cbranch_execz .LBB193_45
; %bb.44:                               ;   in Loop: Header=BB193_42 Depth=1
	v_cmp_gt_i32_e64 s0, s34, v33
	s_wait_alu 0xf1ff
	s_delay_alu instid0(VALU_DEP_1) | instskip(SKIP_2) | instid1(VALU_DEP_1)
	v_cndmask_b32_e64 v29, 0, v29, s0
	v_cmp_gt_i32_e64 s0, s34, v36
	s_wait_alu 0xf1ff
	v_cndmask_b32_e64 v28, 0, v28, s0
	v_cmp_gt_i32_e64 s0, s34, v35
	s_wait_alu 0xf1ff
	s_delay_alu instid0(VALU_DEP_1) | instskip(SKIP_2) | instid1(VALU_DEP_1)
	v_cndmask_b32_e64 v27, 0, v27, s0
	v_cmp_gt_i32_e64 s0, s34, v37
	s_wait_alu 0xf1ff
	v_cndmask_b32_e64 v26, 0, v26, s0
.LBB193_45:                             ;   in Loop: Header=BB193_42 Depth=1
	s_wait_alu 0xfffe
	s_or_b32 exec_lo, exec_lo, s14
	global_load_b32 v30, v[9:10], off offset:128
	s_mov_b32 s14, s13
	s_wait_loadcnt 0x0
	v_lshrrev_b32_e32 v32, 16, v30
	s_delay_alu instid0(VALU_DEP_1) | instskip(SKIP_1) | instid1(VALU_DEP_1)
	v_cvt_pk_f32_fp8_e32 v[38:39], v32
	v_and_b32_e32 v31, 0xffff, v30
	v_cvt_pk_f32_fp8_e32 v[30:31], v31
	s_delay_alu instid0(VALU_DEP_1) | instskip(SKIP_1) | instid1(VALU_DEP_2)
	v_mul_f32_e32 v34, s13, v30
	s_wait_alu 0xfffe
	v_dual_mul_f32 v32, s14, v31 :: v_dual_mul_f32 v31, s13, v38
	v_mul_f32_e32 v30, s14, v39
	s_and_saveexec_b32 s17, vcc_lo
	s_cbranch_execz .LBB193_47
; %bb.46:                               ;   in Loop: Header=BB193_42 Depth=1
	v_cmp_gt_i32_e64 s0, s34, v33
	s_wait_alu 0xf1ff
	s_delay_alu instid0(VALU_DEP_1) | instskip(SKIP_2) | instid1(VALU_DEP_1)
	v_cndmask_b32_e64 v34, 0, v34, s0
	v_cmp_gt_i32_e64 s0, s34, v36
	s_wait_alu 0xf1ff
	v_cndmask_b32_e64 v32, 0, v32, s0
	v_cmp_gt_i32_e64 s0, s34, v35
	s_wait_alu 0xf1ff
	s_delay_alu instid0(VALU_DEP_1) | instskip(SKIP_2) | instid1(VALU_DEP_1)
	v_cndmask_b32_e64 v31, 0, v31, s0
	v_cmp_gt_i32_e64 s0, s34, v37
	s_wait_alu 0xf1ff
	v_cndmask_b32_e64 v30, 0, v30, s0
.LBB193_47:                             ;   in Loop: Header=BB193_42 Depth=1
	s_wait_alu 0xfffe
	s_or_b32 exec_lo, exec_lo, s17
	global_load_b32 v38, v[9:10], off offset:256
	s_wait_loadcnt 0x0
	v_lshrrev_b32_e32 v40, 16, v38
	s_delay_alu instid0(VALU_DEP_1) | instskip(SKIP_1) | instid1(VALU_DEP_1)
	v_cvt_pk_f32_fp8_e32 v[43:44], v40
	v_and_b32_e32 v39, 0xffff, v38
	v_cvt_pk_f32_fp8_e32 v[38:39], v39
	s_delay_alu instid0(VALU_DEP_1) | instskip(NEXT) | instid1(VALU_DEP_2)
	v_mul_f32_e32 v42, s13, v38
	v_mul_f32_e32 v40, s14, v39
	v_dual_mul_f32 v39, s13, v43 :: v_dual_mul_f32 v38, s14, v44
	s_and_saveexec_b32 s17, vcc_lo
	s_cbranch_execz .LBB193_49
; %bb.48:                               ;   in Loop: Header=BB193_42 Depth=1
	v_cmp_gt_i32_e64 s0, s34, v33
	s_wait_alu 0xf1ff
	s_delay_alu instid0(VALU_DEP_1) | instskip(SKIP_2) | instid1(VALU_DEP_1)
	v_cndmask_b32_e64 v42, 0, v42, s0
	v_cmp_gt_i32_e64 s0, s34, v36
	s_wait_alu 0xf1ff
	v_cndmask_b32_e64 v40, 0, v40, s0
	v_cmp_gt_i32_e64 s0, s34, v35
	s_wait_alu 0xf1ff
	s_delay_alu instid0(VALU_DEP_1) | instskip(SKIP_2) | instid1(VALU_DEP_1)
	v_cndmask_b32_e64 v39, 0, v39, s0
	v_cmp_gt_i32_e64 s0, s34, v37
	s_wait_alu 0xf1ff
	v_cndmask_b32_e64 v38, 0, v38, s0
.LBB193_49:                             ;   in Loop: Header=BB193_42 Depth=1
	s_wait_alu 0xfffe
	s_or_b32 exec_lo, exec_lo, s17
	global_load_b32 v41, v[9:10], off offset:384
	s_wait_loadcnt 0x0
	v_and_b32_e32 v43, 0xffff, v41
	v_lshrrev_b32_e32 v41, 16, v41
	s_delay_alu instid0(VALU_DEP_2) | instskip(NEXT) | instid1(VALU_DEP_2)
	v_cvt_pk_f32_fp8_e32 v[43:44], v43
	v_cvt_pk_f32_fp8_e32 v[46:47], v41
	s_delay_alu instid0(VALU_DEP_2) | instskip(NEXT) | instid1(VALU_DEP_2)
	v_dual_mul_f32 v45, s13, v43 :: v_dual_mul_f32 v44, s14, v44
	v_mul_f32_e32 v43, s13, v46
	s_delay_alu instid0(VALU_DEP_3)
	v_mul_f32_e32 v41, s14, v47
	s_and_saveexec_b32 s17, vcc_lo
	s_cbranch_execz .LBB193_51
; %bb.50:                               ;   in Loop: Header=BB193_42 Depth=1
	v_cmp_gt_i32_e64 s0, s34, v33
	s_wait_alu 0xf1ff
	s_delay_alu instid0(VALU_DEP_1) | instskip(SKIP_2) | instid1(VALU_DEP_1)
	v_cndmask_b32_e64 v45, 0, v45, s0
	v_cmp_gt_i32_e64 s0, s34, v36
	s_wait_alu 0xf1ff
	v_cndmask_b32_e64 v44, 0, v44, s0
	v_cmp_gt_i32_e64 s0, s34, v35
	s_wait_alu 0xf1ff
	s_delay_alu instid0(VALU_DEP_1) | instskip(SKIP_2) | instid1(VALU_DEP_1)
	v_cndmask_b32_e64 v43, 0, v43, s0
	v_cmp_gt_i32_e64 s0, s34, v37
	s_wait_alu 0xf1ff
	v_cndmask_b32_e64 v41, 0, v41, s0
.LBB193_51:                             ;   in Loop: Header=BB193_42 Depth=1
	s_wait_alu 0xfffe
	s_or_b32 exec_lo, exec_lo, s17
	global_load_b32 v46, v[9:10], off offset:512
	s_wait_loadcnt 0x0
	v_and_b32_e32 v47, 0xffff, v46
	v_lshrrev_b32_e32 v48, 16, v46
	s_delay_alu instid0(VALU_DEP_2) | instskip(NEXT) | instid1(VALU_DEP_2)
	v_cvt_pk_f32_fp8_e32 v[46:47], v47
	v_cvt_pk_f32_fp8_e32 v[49:50], v48
	s_delay_alu instid0(VALU_DEP_2) | instskip(NEXT) | instid1(VALU_DEP_2)
	v_dual_mul_f32 v51, s13, v46 :: v_dual_mul_f32 v48, s14, v47
	v_dual_mul_f32 v47, s13, v49 :: v_dual_mul_f32 v46, s14, v50
	s_and_saveexec_b32 s17, vcc_lo
	s_cbranch_execz .LBB193_53
; %bb.52:                               ;   in Loop: Header=BB193_42 Depth=1
	v_cmp_gt_i32_e64 s0, s34, v33
	s_wait_alu 0xf1ff
	s_delay_alu instid0(VALU_DEP_1) | instskip(SKIP_2) | instid1(VALU_DEP_1)
	v_cndmask_b32_e64 v51, 0, v51, s0
	v_cmp_gt_i32_e64 s0, s34, v36
	s_wait_alu 0xf1ff
	v_cndmask_b32_e64 v48, 0, v48, s0
	v_cmp_gt_i32_e64 s0, s34, v35
	s_wait_alu 0xf1ff
	s_delay_alu instid0(VALU_DEP_1) | instskip(SKIP_2) | instid1(VALU_DEP_1)
	v_cndmask_b32_e64 v47, 0, v47, s0
	v_cmp_gt_i32_e64 s0, s34, v37
	s_wait_alu 0xf1ff
	v_cndmask_b32_e64 v46, 0, v46, s0
.LBB193_53:                             ;   in Loop: Header=BB193_42 Depth=1
	s_wait_alu 0xfffe
	s_or_b32 exec_lo, exec_lo, s17
	global_load_b32 v49, v[9:10], off offset:640
	s_wait_loadcnt 0x0
	v_lshrrev_b32_e32 v52, 16, v49
	s_delay_alu instid0(VALU_DEP_1) | instskip(SKIP_1) | instid1(VALU_DEP_1)
	v_cvt_pk_f32_fp8_e32 v[53:54], v52
	v_and_b32_e32 v50, 0xffff, v49
	v_cvt_pk_f32_fp8_e32 v[49:50], v50
	s_delay_alu instid0(VALU_DEP_1) | instskip(NEXT) | instid1(VALU_DEP_4)
	v_dual_mul_f32 v55, s13, v49 :: v_dual_mul_f32 v52, s14, v50
	v_dual_mul_f32 v50, s13, v53 :: v_dual_mul_f32 v49, s14, v54
	s_and_saveexec_b32 s17, vcc_lo
	s_cbranch_execz .LBB193_55
; %bb.54:                               ;   in Loop: Header=BB193_42 Depth=1
	v_cmp_gt_i32_e64 s0, s34, v33
	s_wait_alu 0xf1ff
	s_delay_alu instid0(VALU_DEP_1) | instskip(SKIP_2) | instid1(VALU_DEP_1)
	v_cndmask_b32_e64 v55, 0, v55, s0
	v_cmp_gt_i32_e64 s0, s34, v36
	s_wait_alu 0xf1ff
	v_cndmask_b32_e64 v52, 0, v52, s0
	v_cmp_gt_i32_e64 s0, s34, v35
	s_wait_alu 0xf1ff
	s_delay_alu instid0(VALU_DEP_1) | instskip(SKIP_2) | instid1(VALU_DEP_1)
	v_cndmask_b32_e64 v50, 0, v50, s0
	v_cmp_gt_i32_e64 s0, s34, v37
	s_wait_alu 0xf1ff
	v_cndmask_b32_e64 v49, 0, v49, s0
.LBB193_55:                             ;   in Loop: Header=BB193_42 Depth=1
	s_wait_alu 0xfffe
	s_or_b32 exec_lo, exec_lo, s17
	global_load_b32 v9, v[9:10], off offset:768
	s_wait_loadcnt 0x0
	v_and_b32_e32 v10, 0xffff, v9
	v_lshrrev_b32_e32 v53, 16, v9
	s_delay_alu instid0(VALU_DEP_2) | instskip(NEXT) | instid1(VALU_DEP_2)
	v_cvt_pk_f32_fp8_e32 v[9:10], v10
	v_cvt_pk_f32_fp8_e32 v[56:57], v53
	s_delay_alu instid0(VALU_DEP_2) | instskip(NEXT) | instid1(VALU_DEP_2)
	v_dual_mul_f32 v54, s13, v9 :: v_dual_mul_f32 v53, s14, v10
	v_dual_mul_f32 v10, s13, v56 :: v_dual_mul_f32 v9, s14, v57
	s_and_saveexec_b32 s0, vcc_lo
	s_cbranch_execz .LBB193_40
; %bb.56:                               ;   in Loop: Header=BB193_42 Depth=1
	v_cmp_gt_i32_e32 vcc_lo, s34, v33
	s_wait_alu 0xfffd
	v_cndmask_b32_e32 v54, 0, v54, vcc_lo
	v_cmp_gt_i32_e32 vcc_lo, s34, v36
	s_wait_alu 0xfffd
	v_cndmask_b32_e32 v53, 0, v53, vcc_lo
	;; [unrolled: 3-line block ×4, first 2 shown]
	s_branch .LBB193_40
.LBB193_57:
	s_or_b32 exec_lo, exec_lo, s5
.LBB193_58:
	s_wait_alu 0xfffe
	s_or_b32 exec_lo, exec_lo, s1
	ds_bpermute_b32 v1, v15, v22
	ds_bpermute_b32 v2, v15, v23
	;; [unrolled: 1-line block ×7, first 2 shown]
	v_lshrrev_b32_e32 v8, 1, v14
	v_mul_u32_u24_e32 v10, 0x1c0, v11
	v_and_b32_e32 v11, 0x3c1, v0
	s_mov_b32 s0, exec_lo
	s_wait_storecnt 0x0
	s_wait_loadcnt_dscnt 0x0
	v_lshl_add_u32 v9, v8, 2, 0x1e0
	s_barrier_signal -1
	s_barrier_wait -1
	global_inv scope:SCOPE_SE
	v_dual_add_f32 v1, v22, v1 :: v_dual_add_f32 v2, v23, v2
	v_dual_add_f32 v3, v21, v3 :: v_dual_add_f32 v4, v20, v4
	;; [unrolled: 1-line block ×3, first 2 shown]
	v_add_f32_e32 v7, v17, v7
	v_cmpx_eq_u32_e32 64, v11
	s_cbranch_execz .LBB193_60
; %bb.59:
	v_add_nc_u32_e32 v11, v9, v10
	s_delay_alu instid0(VALU_DEP_1)
	v_add_nc_u32_e32 v12, 0xfffffc80, v11
	v_add_nc_u32_e32 v13, 0xfffffcc0, v11
	;; [unrolled: 1-line block ×7, first 2 shown]
	ds_store_b32 v12, v1
	ds_store_b32 v13, v2
	;; [unrolled: 1-line block ×7, first 2 shown]
.LBB193_60:
	s_wait_alu 0xfffe
	s_or_b32 exec_lo, exec_lo, s0
	v_lshlrev_b32_e32 v8, 2, v8
	s_mov_b32 s1, exec_lo
	v_cmp_eq_u32_e32 vcc_lo, 0, v16
	s_wait_loadcnt_dscnt 0x0
	s_barrier_signal -1
	v_add3_u32 v8, 0x1e0, v10, v8
	s_barrier_wait -1
	global_inv scope:SCOPE_SE
	v_cmpx_gt_u32_e32 64, v0
	s_cbranch_execz .LBB193_70
; %bb.61:
	s_and_saveexec_b32 s0, vcc_lo
	s_cbranch_execnz .LBB193_85
; %bb.62:
	s_wait_alu 0xfffe
	s_or_b32 exec_lo, exec_lo, s0
	s_and_saveexec_b32 s0, vcc_lo
	s_cbranch_execnz .LBB193_86
.LBB193_63:
	s_wait_alu 0xfffe
	s_or_b32 exec_lo, exec_lo, s0
	s_and_saveexec_b32 s0, vcc_lo
	s_cbranch_execnz .LBB193_87
.LBB193_64:
	s_wait_alu 0xfffe
	s_or_b32 exec_lo, exec_lo, s0
	s_and_saveexec_b32 s0, vcc_lo
	s_cbranch_execnz .LBB193_88
.LBB193_65:
	s_wait_alu 0xfffe
	s_or_b32 exec_lo, exec_lo, s0
	s_and_saveexec_b32 s0, vcc_lo
	s_cbranch_execnz .LBB193_89
.LBB193_66:
	s_wait_alu 0xfffe
	s_or_b32 exec_lo, exec_lo, s0
	s_and_saveexec_b32 s0, vcc_lo
	s_cbranch_execnz .LBB193_90
.LBB193_67:
	s_wait_alu 0xfffe
	s_or_b32 exec_lo, exec_lo, s0
	s_and_saveexec_b32 s0, vcc_lo
	s_cbranch_execz .LBB193_69
.LBB193_68:
	ds_load_b32 v10, v8 offset:384
	s_wait_dscnt 0x0
	v_add_f32_e32 v7, v7, v10
.LBB193_69:
	s_wait_alu 0xfffe
	s_or_b32 exec_lo, exec_lo, s0
.LBB193_70:
	s_wait_alu 0xfffe
	s_or_b32 exec_lo, exec_lo, s1
	v_and_b32_e32 v10, 0x3e1, v0
	s_mov_b32 s1, exec_lo
	s_wait_loadcnt 0x0
	s_barrier_signal -1
	s_barrier_wait -1
	global_inv scope:SCOPE_SE
	v_cmpx_eq_u32_e32 32, v10
	s_cbranch_execz .LBB193_72
; %bb.71:
	ds_store_2addr_b32 v9, v1, v2 offset1:16
	ds_store_2addr_b32 v9, v3, v4 offset0:32 offset1:48
	ds_store_2addr_b32 v9, v5, v6 offset0:64 offset1:80
	ds_store_b32 v9, v7 offset:384
.LBB193_72:
	s_wait_alu 0xfffe
	s_or_b32 exec_lo, exec_lo, s1
	s_delay_alu instid0(SALU_CYCLE_1)
	s_mov_b32 s1, exec_lo
	s_wait_loadcnt_dscnt 0x0
	s_barrier_signal -1
	s_barrier_wait -1
	global_inv scope:SCOPE_SE
	v_cmpx_gt_u32_e32 32, v0
	s_cbranch_execz .LBB193_82
; %bb.73:
	s_and_saveexec_b32 s0, vcc_lo
	s_cbranch_execnz .LBB193_91
; %bb.74:
	s_wait_alu 0xfffe
	s_or_b32 exec_lo, exec_lo, s0
	s_and_saveexec_b32 s0, vcc_lo
	s_cbranch_execnz .LBB193_92
.LBB193_75:
	s_wait_alu 0xfffe
	s_or_b32 exec_lo, exec_lo, s0
	s_and_saveexec_b32 s0, vcc_lo
	s_cbranch_execnz .LBB193_93
.LBB193_76:
	s_wait_alu 0xfffe
	s_or_b32 exec_lo, exec_lo, s0
	s_and_saveexec_b32 s0, vcc_lo
	s_cbranch_execnz .LBB193_94
.LBB193_77:
	s_wait_alu 0xfffe
	s_or_b32 exec_lo, exec_lo, s0
	s_and_saveexec_b32 s0, vcc_lo
	s_cbranch_execnz .LBB193_95
.LBB193_78:
	s_wait_alu 0xfffe
	s_or_b32 exec_lo, exec_lo, s0
	s_and_saveexec_b32 s0, vcc_lo
	s_cbranch_execnz .LBB193_96
.LBB193_79:
	s_wait_alu 0xfffe
	s_or_b32 exec_lo, exec_lo, s0
	s_and_saveexec_b32 s0, vcc_lo
	s_cbranch_execz .LBB193_81
.LBB193_80:
	ds_load_b32 v8, v8 offset:384
	s_wait_dscnt 0x0
	v_add_f32_e32 v7, v7, v8
.LBB193_81:
	s_wait_alu 0xfffe
	s_or_b32 exec_lo, exec_lo, s0
.LBB193_82:
	s_wait_alu 0xfffe
	s_or_b32 exec_lo, exec_lo, s1
	s_mov_b32 s1, 0
	s_wait_loadcnt 0x0
	s_barrier_signal -1
	s_barrier_wait -1
	global_inv scope:SCOPE_SE
	s_mov_b32 s0, exec_lo
	v_cmpx_eq_u32_e32 0, v10
	s_cbranch_execz .LBB193_84
; %bb.83:
	s_mul_i32 s2, s18, 0x70
	s_wait_kmcnt 0x0
	s_mul_i32 s4, s12, s20
	s_wait_alu 0xfffe
	s_ashr_i32 s3, s2, 31
	s_ashr_i32 s5, s4, 31
	s_wait_alu 0xfffe
	s_lshl_b64 s[2:3], s[2:3], 2
	s_lshl_b64 s[4:5], s[4:5], 2
	s_wait_alu 0xfffe
	s_add_nc_u64 s[2:3], s[8:9], s[2:3]
	v_lshlrev_b32_e32 v0, 1, v0
	s_mul_i32 s0, s33, 0x1c0
	s_wait_alu 0xfffe
	s_add_nc_u64 s[2:3], s[2:3], s[4:5]
	s_wait_alu 0xfffe
	s_add_nc_u64 s[0:1], s[2:3], s[0:1]
	s_clause 0x6
	global_store_b32 v0, v1, s[0:1]
	global_store_b32 v0, v2, s[0:1] offset:64
	global_store_b32 v0, v3, s[0:1] offset:128
	;; [unrolled: 1-line block ×6, first 2 shown]
.LBB193_84:
	s_endpgm
.LBB193_85:
	ds_load_b32 v10, v8
	s_wait_dscnt 0x0
	v_add_f32_e32 v1, v1, v10
	s_wait_alu 0xfffe
	s_or_b32 exec_lo, exec_lo, s0
	s_and_saveexec_b32 s0, vcc_lo
	s_cbranch_execz .LBB193_63
.LBB193_86:
	ds_load_b32 v10, v8 offset:64
	s_wait_dscnt 0x0
	v_add_f32_e32 v2, v2, v10
	s_wait_alu 0xfffe
	s_or_b32 exec_lo, exec_lo, s0
	s_and_saveexec_b32 s0, vcc_lo
	s_cbranch_execz .LBB193_64
.LBB193_87:
	ds_load_b32 v10, v8 offset:128
	s_wait_dscnt 0x0
	v_add_f32_e32 v3, v3, v10
	s_wait_alu 0xfffe
	s_or_b32 exec_lo, exec_lo, s0
	s_and_saveexec_b32 s0, vcc_lo
	s_cbranch_execz .LBB193_65
.LBB193_88:
	ds_load_b32 v10, v8 offset:192
	s_wait_dscnt 0x0
	v_add_f32_e32 v4, v4, v10
	s_wait_alu 0xfffe
	s_or_b32 exec_lo, exec_lo, s0
	s_and_saveexec_b32 s0, vcc_lo
	s_cbranch_execz .LBB193_66
.LBB193_89:
	ds_load_b32 v10, v8 offset:256
	s_wait_dscnt 0x0
	v_add_f32_e32 v5, v5, v10
	s_wait_alu 0xfffe
	s_or_b32 exec_lo, exec_lo, s0
	s_and_saveexec_b32 s0, vcc_lo
	s_cbranch_execz .LBB193_67
.LBB193_90:
	ds_load_b32 v10, v8 offset:320
	s_wait_dscnt 0x0
	v_add_f32_e32 v6, v6, v10
	s_wait_alu 0xfffe
	s_or_b32 exec_lo, exec_lo, s0
	s_and_saveexec_b32 s0, vcc_lo
	s_cbranch_execnz .LBB193_68
	s_branch .LBB193_69
.LBB193_91:
	ds_load_b32 v9, v8
	s_wait_dscnt 0x0
	v_add_f32_e32 v1, v1, v9
	s_wait_alu 0xfffe
	s_or_b32 exec_lo, exec_lo, s0
	s_and_saveexec_b32 s0, vcc_lo
	s_cbranch_execz .LBB193_75
.LBB193_92:
	ds_load_b32 v9, v8 offset:64
	s_wait_dscnt 0x0
	v_add_f32_e32 v2, v2, v9
	s_wait_alu 0xfffe
	s_or_b32 exec_lo, exec_lo, s0
	s_and_saveexec_b32 s0, vcc_lo
	s_cbranch_execz .LBB193_76
.LBB193_93:
	ds_load_b32 v9, v8 offset:128
	s_wait_dscnt 0x0
	v_add_f32_e32 v3, v3, v9
	s_wait_alu 0xfffe
	s_or_b32 exec_lo, exec_lo, s0
	s_and_saveexec_b32 s0, vcc_lo
	s_cbranch_execz .LBB193_77
.LBB193_94:
	ds_load_b32 v9, v8 offset:192
	s_wait_dscnt 0x0
	v_add_f32_e32 v4, v4, v9
	s_wait_alu 0xfffe
	s_or_b32 exec_lo, exec_lo, s0
	s_and_saveexec_b32 s0, vcc_lo
	s_cbranch_execz .LBB193_78
.LBB193_95:
	ds_load_b32 v9, v8 offset:256
	s_wait_dscnt 0x0
	v_add_f32_e32 v5, v5, v9
	s_wait_alu 0xfffe
	s_or_b32 exec_lo, exec_lo, s0
	s_and_saveexec_b32 s0, vcc_lo
	s_cbranch_execz .LBB193_79
.LBB193_96:
	ds_load_b32 v9, v8 offset:320
	s_wait_dscnt 0x0
	v_add_f32_e32 v6, v6, v9
	s_wait_alu 0xfffe
	s_or_b32 exec_lo, exec_lo, s0
	s_and_saveexec_b32 s0, vcc_lo
	s_cbranch_execnz .LBB193_80
	s_branch .LBB193_81
	.section	.rodata,"a",@progbits
	.p2align	6, 0x0
	.amdhsa_kernel _ZN4vllm25paged_attention_v2_kernelIfhLi112ELi8ELi128ELNS_18Fp8KVCacheDataTypeE1ELb1ELi512EEEvPfS2_PT_PKS3_PKT0_S9_ifPKiSB_iPKfiiiSD_SD_iiiii
		.amdhsa_group_segment_fixed_size 480
		.amdhsa_private_segment_fixed_size 0
		.amdhsa_kernarg_size 400
		.amdhsa_user_sgpr_count 2
		.amdhsa_user_sgpr_dispatch_ptr 0
		.amdhsa_user_sgpr_queue_ptr 0
		.amdhsa_user_sgpr_kernarg_segment_ptr 1
		.amdhsa_user_sgpr_dispatch_id 0
		.amdhsa_user_sgpr_private_segment_size 0
		.amdhsa_wavefront_size32 1
		.amdhsa_uses_dynamic_stack 0
		.amdhsa_enable_private_segment 0
		.amdhsa_system_sgpr_workgroup_id_x 1
		.amdhsa_system_sgpr_workgroup_id_y 1
		.amdhsa_system_sgpr_workgroup_id_z 1
		.amdhsa_system_sgpr_workgroup_info 0
		.amdhsa_system_vgpr_workitem_id 0
		.amdhsa_next_free_vgpr 58
		.amdhsa_next_free_sgpr 45
		.amdhsa_reserve_vcc 1
		.amdhsa_float_round_mode_32 0
		.amdhsa_float_round_mode_16_64 0
		.amdhsa_float_denorm_mode_32 3
		.amdhsa_float_denorm_mode_16_64 3
		.amdhsa_fp16_overflow 0
		.amdhsa_workgroup_processor_mode 1
		.amdhsa_memory_ordered 1
		.amdhsa_forward_progress 1
		.amdhsa_inst_pref_size 57
		.amdhsa_round_robin_scheduling 0
		.amdhsa_exception_fp_ieee_invalid_op 0
		.amdhsa_exception_fp_denorm_src 0
		.amdhsa_exception_fp_ieee_div_zero 0
		.amdhsa_exception_fp_ieee_overflow 0
		.amdhsa_exception_fp_ieee_underflow 0
		.amdhsa_exception_fp_ieee_inexact 0
		.amdhsa_exception_int_div_zero 0
	.end_amdhsa_kernel
	.section	.text._ZN4vllm25paged_attention_v2_kernelIfhLi112ELi8ELi128ELNS_18Fp8KVCacheDataTypeE1ELb1ELi512EEEvPfS2_PT_PKS3_PKT0_S9_ifPKiSB_iPKfiiiSD_SD_iiiii,"axG",@progbits,_ZN4vllm25paged_attention_v2_kernelIfhLi112ELi8ELi128ELNS_18Fp8KVCacheDataTypeE1ELb1ELi512EEEvPfS2_PT_PKS3_PKT0_S9_ifPKiSB_iPKfiiiSD_SD_iiiii,comdat
.Lfunc_end193:
	.size	_ZN4vllm25paged_attention_v2_kernelIfhLi112ELi8ELi128ELNS_18Fp8KVCacheDataTypeE1ELb1ELi512EEEvPfS2_PT_PKS3_PKT0_S9_ifPKiSB_iPKfiiiSD_SD_iiiii, .Lfunc_end193-_ZN4vllm25paged_attention_v2_kernelIfhLi112ELi8ELi128ELNS_18Fp8KVCacheDataTypeE1ELb1ELi512EEEvPfS2_PT_PKS3_PKT0_S9_ifPKiSB_iPKfiiiSD_SD_iiiii
                                        ; -- End function
	.set _ZN4vllm25paged_attention_v2_kernelIfhLi112ELi8ELi128ELNS_18Fp8KVCacheDataTypeE1ELb1ELi512EEEvPfS2_PT_PKS3_PKT0_S9_ifPKiSB_iPKfiiiSD_SD_iiiii.num_vgpr, 58
	.set _ZN4vllm25paged_attention_v2_kernelIfhLi112ELi8ELi128ELNS_18Fp8KVCacheDataTypeE1ELb1ELi512EEEvPfS2_PT_PKS3_PKT0_S9_ifPKiSB_iPKfiiiSD_SD_iiiii.num_agpr, 0
	.set _ZN4vllm25paged_attention_v2_kernelIfhLi112ELi8ELi128ELNS_18Fp8KVCacheDataTypeE1ELb1ELi512EEEvPfS2_PT_PKS3_PKT0_S9_ifPKiSB_iPKfiiiSD_SD_iiiii.numbered_sgpr, 45
	.set _ZN4vllm25paged_attention_v2_kernelIfhLi112ELi8ELi128ELNS_18Fp8KVCacheDataTypeE1ELb1ELi512EEEvPfS2_PT_PKS3_PKT0_S9_ifPKiSB_iPKfiiiSD_SD_iiiii.num_named_barrier, 0
	.set _ZN4vllm25paged_attention_v2_kernelIfhLi112ELi8ELi128ELNS_18Fp8KVCacheDataTypeE1ELb1ELi512EEEvPfS2_PT_PKS3_PKT0_S9_ifPKiSB_iPKfiiiSD_SD_iiiii.private_seg_size, 0
	.set _ZN4vllm25paged_attention_v2_kernelIfhLi112ELi8ELi128ELNS_18Fp8KVCacheDataTypeE1ELb1ELi512EEEvPfS2_PT_PKS3_PKT0_S9_ifPKiSB_iPKfiiiSD_SD_iiiii.uses_vcc, 1
	.set _ZN4vllm25paged_attention_v2_kernelIfhLi112ELi8ELi128ELNS_18Fp8KVCacheDataTypeE1ELb1ELi512EEEvPfS2_PT_PKS3_PKT0_S9_ifPKiSB_iPKfiiiSD_SD_iiiii.uses_flat_scratch, 0
	.set _ZN4vllm25paged_attention_v2_kernelIfhLi112ELi8ELi128ELNS_18Fp8KVCacheDataTypeE1ELb1ELi512EEEvPfS2_PT_PKS3_PKT0_S9_ifPKiSB_iPKfiiiSD_SD_iiiii.has_dyn_sized_stack, 0
	.set _ZN4vllm25paged_attention_v2_kernelIfhLi112ELi8ELi128ELNS_18Fp8KVCacheDataTypeE1ELb1ELi512EEEvPfS2_PT_PKS3_PKT0_S9_ifPKiSB_iPKfiiiSD_SD_iiiii.has_recursion, 0
	.set _ZN4vllm25paged_attention_v2_kernelIfhLi112ELi8ELi128ELNS_18Fp8KVCacheDataTypeE1ELb1ELi512EEEvPfS2_PT_PKS3_PKT0_S9_ifPKiSB_iPKfiiiSD_SD_iiiii.has_indirect_call, 0
	.section	.AMDGPU.csdata,"",@progbits
; Kernel info:
; codeLenInByte = 7264
; TotalNumSgprs: 47
; NumVgprs: 58
; ScratchSize: 0
; MemoryBound: 0
; FloatMode: 240
; IeeeMode: 1
; LDSByteSize: 480 bytes/workgroup (compile time only)
; SGPRBlocks: 0
; VGPRBlocks: 7
; NumSGPRsForWavesPerEU: 47
; NumVGPRsForWavesPerEU: 58
; Occupancy: 16
; WaveLimiterHint : 1
; COMPUTE_PGM_RSRC2:SCRATCH_EN: 0
; COMPUTE_PGM_RSRC2:USER_SGPR: 2
; COMPUTE_PGM_RSRC2:TRAP_HANDLER: 0
; COMPUTE_PGM_RSRC2:TGID_X_EN: 1
; COMPUTE_PGM_RSRC2:TGID_Y_EN: 1
; COMPUTE_PGM_RSRC2:TGID_Z_EN: 1
; COMPUTE_PGM_RSRC2:TIDIG_COMP_CNT: 0
	.section	.text._ZN4vllm25paged_attention_v2_kernelIfhLi120ELi8ELi128ELNS_18Fp8KVCacheDataTypeE1ELb1ELi512EEEvPfS2_PT_PKS3_PKT0_S9_ifPKiSB_iPKfiiiSD_SD_iiiii,"axG",@progbits,_ZN4vllm25paged_attention_v2_kernelIfhLi120ELi8ELi128ELNS_18Fp8KVCacheDataTypeE1ELb1ELi512EEEvPfS2_PT_PKS3_PKT0_S9_ifPKiSB_iPKfiiiSD_SD_iiiii,comdat
	.protected	_ZN4vllm25paged_attention_v2_kernelIfhLi120ELi8ELi128ELNS_18Fp8KVCacheDataTypeE1ELb1ELi512EEEvPfS2_PT_PKS3_PKT0_S9_ifPKiSB_iPKfiiiSD_SD_iiiii ; -- Begin function _ZN4vllm25paged_attention_v2_kernelIfhLi120ELi8ELi128ELNS_18Fp8KVCacheDataTypeE1ELb1ELi512EEEvPfS2_PT_PKS3_PKT0_S9_ifPKiSB_iPKfiiiSD_SD_iiiii
	.globl	_ZN4vllm25paged_attention_v2_kernelIfhLi120ELi8ELi128ELNS_18Fp8KVCacheDataTypeE1ELb1ELi512EEEvPfS2_PT_PKS3_PKT0_S9_ifPKiSB_iPKfiiiSD_SD_iiiii
	.p2align	8
	.type	_ZN4vllm25paged_attention_v2_kernelIfhLi120ELi8ELi128ELNS_18Fp8KVCacheDataTypeE1ELb1ELi512EEEvPfS2_PT_PKS3_PKT0_S9_ifPKiSB_iPKfiiiSD_SD_iiiii,@function
_ZN4vllm25paged_attention_v2_kernelIfhLi120ELi8ELi128ELNS_18Fp8KVCacheDataTypeE1ELb1ELi512EEEvPfS2_PT_PKS3_PKT0_S9_ifPKiSB_iPKfiiiSD_SD_iiiii: ; @_ZN4vllm25paged_attention_v2_kernelIfhLi120ELi8ELi128ELNS_18Fp8KVCacheDataTypeE1ELb1ELi512EEEvPfS2_PT_PKS3_PKT0_S9_ifPKiSB_iPKfiiiSD_SD_iiiii
; %bb.0:
	s_load_b64 s[2:3], s[0:1], 0x40
	s_and_b32 s19, ttmp7, 0xffff
	s_lshr_b32 s33, ttmp7, 16
	s_lshl_b32 s4, s19, 2
	s_lshl_b32 s36, s33, 9
	s_wait_kmcnt 0x0
	s_load_b32 s34, s[2:3], s4 offset:0x0
	s_wait_kmcnt 0x0
	s_cmp_ge_i32 s36, s34
	s_cbranch_scc1 .LBB194_103
; %bb.1:
	s_clause 0x1
	s_load_b32 s35, s[0:1], 0x90
	s_load_b64 s[6:7], s[0:1], 0x30
	s_wait_kmcnt 0x0
	s_abs_i32 s5, s35
	s_abs_i32 s2, s6
	s_delay_alu instid0(SALU_CYCLE_1) | instskip(SKIP_1) | instid1(SALU_CYCLE_2)
	s_cvt_f32_u32 s3, s2
	s_sub_co_i32 s4, 0, s2
	v_rcp_iflag_f32_e32 v1, s3
	s_delay_alu instid0(TRANS32_DEP_1) | instskip(SKIP_2) | instid1(SALU_CYCLE_2)
	v_readfirstlane_b32 s3, v1
	s_mul_f32 s3, s3, 0x4f7ffffe
	s_wait_alu 0xfffe
	s_cvt_u32_f32 s3, s3
	s_wait_alu 0xfffe
	s_delay_alu instid0(SALU_CYCLE_2) | instskip(NEXT) | instid1(SALU_CYCLE_1)
	s_mul_i32 s4, s4, s3
	s_mul_hi_u32 s4, s3, s4
	s_delay_alu instid0(SALU_CYCLE_1)
	s_add_co_i32 s3, s3, s4
	s_xor_b32 s4, s35, s6
	s_wait_alu 0xfffe
	s_mul_hi_u32 s3, s5, s3
	s_ashr_i32 s4, s4, 31
	s_wait_alu 0xfffe
	s_mul_i32 s8, s3, s2
	s_delay_alu instid0(SALU_CYCLE_1)
	s_sub_co_i32 s5, s5, s8
	s_add_co_i32 s8, s3, 1
	s_sub_co_i32 s9, s5, s2
	s_cmp_ge_u32 s5, s2
	s_cselect_b32 s3, s8, s3
	s_cselect_b32 s5, s9, s5
	s_wait_alu 0xfffe
	s_add_co_i32 s8, s3, 1
	s_cmp_ge_u32 s5, s2
	s_cselect_b32 s2, s8, s3
	s_load_b64 s[8:9], s[0:1], 0x50
	s_xor_b32 s2, s2, s4
	s_mov_b32 s3, 0
	s_wait_alu 0xfffe
	s_sub_co_i32 s11, s2, s4
	s_mov_b32 s30, s3
	s_abs_i32 s10, s11
	s_delay_alu instid0(SALU_CYCLE_1) | instskip(SKIP_1) | instid1(SALU_CYCLE_2)
	s_cvt_f32_u32 s2, s10
	s_wait_alu 0xfffe
	v_rcp_iflag_f32_e32 v1, s2
	s_delay_alu instid0(TRANS32_DEP_1) | instskip(SKIP_2) | instid1(SALU_CYCLE_2)
	v_readfirstlane_b32 s2, v1
	s_mul_f32 s2, s2, 0x4f7ffffe
	s_wait_alu 0xfffe
	s_cvt_u32_f32 s4, s2
	s_sub_co_i32 s2, 0, s10
	s_wait_alu 0xfffe
	s_delay_alu instid0(SALU_CYCLE_1)
	s_mul_i32 s2, s2, s4
	s_wait_alu 0xfffe
	s_mul_hi_u32 s5, s4, s2
	s_abs_i32 s2, ttmp9
	s_add_co_i32 s4, s4, s5
	s_mov_b32 s5, s3
	s_wait_kmcnt 0x0
	s_cmp_eq_u64 s[8:9], 0
	s_cbranch_scc1 .LBB194_3
; %bb.2:
	s_mov_b32 s12, ttmp9
	s_ashr_i32 s13, ttmp9, 31
	s_delay_alu instid0(SALU_CYCLE_1) | instskip(NEXT) | instid1(SALU_CYCLE_1)
	s_lshl_b64 s[12:13], s[12:13], 2
	s_add_nc_u64 s[8:9], s[8:9], s[12:13]
	s_load_b32 s30, s[8:9], 0x0
.LBB194_3:
	s_load_b96 s[16:18], s[0:1], 0x58
	v_and_b32_e32 v1, 3, v0
	v_lshlrev_b32_e32 v5, 2, v0
	s_mul_u64 s[4:5], s[2:3], s[4:5]
	s_ashr_i32 s3, ttmp9, 31
	s_ashr_i32 s4, s11, 31
	s_mul_i32 s20, ttmp9, 0x78
	s_mov_b32 s8, exec_lo
	v_cmpx_gt_u32_e32 0x78, v0
	s_cbranch_execz .LBB194_5
; %bb.4:
	s_load_b64 s[12:13], s[0:1], 0x18
	s_wait_kmcnt 0x0
	s_mul_i32 s14, s16, s19
	s_ashr_i32 s21, s20, 31
	s_ashr_i32 s15, s14, 31
	v_and_b32_e32 v3, 0x3fc, v0
	s_lshl_b64 s[14:15], s[14:15], 2
	s_delay_alu instid0(VALU_DEP_1) | instskip(SKIP_2) | instid1(SALU_CYCLE_1)
	v_mad_u32_u24 v3, 0x78, v1, v3
	s_add_nc_u64 s[12:13], s[12:13], s[14:15]
	s_lshl_b64 s[14:15], s[20:21], 2
	s_add_nc_u64 s[12:13], s[12:13], s[14:15]
	global_load_b32 v2, v5, s[12:13]
	s_wait_loadcnt 0x0
	ds_store_b32 v3, v2
.LBB194_5:
	s_or_b32 exec_lo, exec_lo, s8
	s_load_b128 s[12:15], s[0:1], 0x78
	s_mul_i32 s8, s5, s10
	s_xor_b32 s3, s3, s4
	s_sub_co_i32 s2, s2, s8
	s_add_co_i32 s4, s5, 1
	s_wait_alu 0xfffe
	s_sub_co_i32 s8, s2, s10
	s_cmp_ge_u32 s2, s10
                                        ; implicit-def: $sgpr21
	s_cselect_b32 s4, s4, s5
	s_cselect_b32 s2, s8, s2
	s_add_co_i32 s5, s4, 1
	s_wait_alu 0xfffe
	s_cmp_ge_u32 s2, s10
	s_load_b32 s8, s[0:1], 0x88
	s_cselect_b32 s2, s5, s4
	s_add_co_i32 s9, s34, -1
	s_wait_alu 0xfffe
	s_xor_b32 s2, s2, s3
	s_mov_b32 s10, -1
	s_wait_alu 0xfffe
	s_sub_co_i32 s28, s2, s3
	s_wait_dscnt 0x0
	s_barrier_signal -1
	s_wait_kmcnt 0x0
	s_abs_i32 s16, s15
	s_barrier_wait -1
	s_cvt_f32_u32 s4, s16
	global_inv scope:SCOPE_SE
	v_rcp_iflag_f32_e32 v2, s4
	s_delay_alu instid0(TRANS32_DEP_1) | instskip(SKIP_2) | instid1(SALU_CYCLE_2)
	v_readfirstlane_b32 s4, v2
	s_mul_f32 s2, s4, 0x4f7ffffe
	s_wait_alu 0xfffe
	s_cvt_u32_f32 s4, s2
	s_sub_co_i32 s2, 0, s16
	s_wait_alu 0xfffe
	s_delay_alu instid0(SALU_CYCLE_1)
	s_mul_i32 s3, s2, s4
	s_abs_i32 s2, s9
	s_wait_alu 0xfffe
	s_mul_hi_u32 s5, s4, s3
	s_mov_b32 s3, 0
	s_wait_alu 0xfffe
	s_add_co_i32 s22, s4, s5
	s_cmp_lt_i32 s8, 0
	s_mov_b32 s23, s3
	s_cbranch_scc0 .LBB194_7
; %bb.6:
	s_mul_i32 s4, s12, s6
	s_mov_b32 s10, s3
	s_wait_alu 0xfffe
	s_add_co_i32 s4, s28, s4
	s_wait_alu 0xfffe
	s_mul_i32 s4, s4, s8
	s_wait_alu 0xfffe
	s_sub_co_i32 s21, 1, s4
.LBB194_7:
	s_mul_u64 s[4:5], s[2:3], s[22:23]
	s_ashr_i32 s3, s9, 31
	s_and_not1_b32 vcc_lo, exec_lo, s10
	s_ashr_i32 s15, s15, 31
	s_cbranch_vccnz .LBB194_9
; %bb.8:
	s_mul_i32 s4, s35, s12
	s_wait_alu 0xfffe
	s_add_co_i32 s4, s4, ttmp9
	s_wait_alu 0xfffe
	s_mul_i32 s4, s4, s8
	s_wait_alu 0xfffe
	s_add_co_i32 s21, s4, 1
.LBB194_9:
	s_clause 0x3
	s_load_b32 s4, s[0:1], 0x48
	s_load_b64 s[24:25], s[0:1], 0x38
	s_load_b32 s12, s[0:1], 0x98
	s_load_b128 s[8:11], s[0:1], 0x68
	s_mul_i32 s6, s5, s16
	s_xor_b32 s3, s3, s15
	s_sub_co_i32 s2, s2, s6
	s_add_co_i32 s23, s5, 1
	v_lshrrev_b32_e32 v11, 5, v0
	v_mbcnt_lo_u32_b32 v7, -1, 0
	s_mul_i32 s28, s28, s18
	s_mov_b32 s6, exec_lo
	s_delay_alu instid0(VALU_DEP_2)
	v_lshl_add_u32 v12, v11, 3, s36
	s_wait_kmcnt 0x0
	s_mul_i32 s26, s4, s19
	s_wait_alu 0xfffe
	s_sub_co_i32 s4, s2, s16
	s_ashr_i32 s27, s26, 31
	s_cmp_ge_u32 s2, s16
	s_cselect_b32 s5, s23, s5
	s_wait_alu 0xfffe
	s_cselect_b32 s2, s4, s2
	s_add_co_i32 s4, s5, 1
	s_wait_alu 0xfffe
	s_cmp_ge_u32 s2, s16
	s_cselect_b32 s2, s4, s5
	s_add_co_i32 s4, s34, 7
	s_lshl_b32 s39, s33, 6
	s_wait_alu 0xfffe
	s_ashr_i32 s5, s4, 31
	v_or_b32_e32 v13, s39, v11
	s_wait_alu 0xfffe
	s_lshr_b32 s5, s5, 29
	v_mov_b32_e32 v9, 0xff7fffff
	s_wait_alu 0xfffe
	s_add_co_i32 s4, s4, s5
	s_add_co_i32 s5, s39, 64
	s_wait_alu 0xfffe
	s_ashr_i32 s37, s4, 3
	s_xor_b32 s4, s2, s3
	s_wait_alu 0xfffe
	s_min_i32 s23, s5, s37
	v_lshlrev_b32_e32 v6, 2, v13
	v_cmp_le_i32_e64 s2, s23, v13
	s_sub_co_i32 s38, s4, s3
	v_cmpx_gt_i32_e64 s23, v13
	s_cbranch_execz .LBB194_21
; %bb.10:
	s_wait_alu 0xfffe
	s_sub_co_i32 s18, s38, s13
	s_ashr_i32 s29, s28, 31
	s_cmp_neq_f32 s30, 0
	s_load_b64 s[4:5], s[0:1], 0x20
	v_bfe_u32 v8, v0, 2, 3
	v_mov_b32_e32 v20, v13
	s_cselect_b32 vcc_lo, -1, 0
	s_abs_i32 s31, s14
	s_lshl_b64 s[42:43], s[26:27], 2
	s_cvt_f32_u32 s3, s31
	v_lshlrev_b32_e32 v3, 4, v8
	v_dual_mov_b32 v17, 0xff7fffff :: v_dual_lshlrev_b32 v4, 2, v8
	s_wait_alu 0xfffe
	v_rcp_iflag_f32_e32 v2, s3
	v_subrev_nc_u32_e32 v9, s34, v8
	v_cmp_eq_u32_e64 s3, 0, v1
	v_lshl_or_b32 v16, v11, 5, v4
	v_mul_u32_u24_e32 v10, 0x78, v1
	s_add_nc_u64 s[42:43], s[24:25], s[42:43]
	s_sub_co_i32 s44, 0, s31
	v_lshl_add_u32 v14, v11, 3, s36
	v_add_nc_u32_e32 v15, 1, v9
	v_add_nc_u32_e32 v16, 0x200, v16
	v_readfirstlane_b32 s41, v2
	s_wait_kmcnt 0x0
	s_add_nc_u64 s[4:5], s[4:5], s[28:29]
	v_xor_b32_e32 v18, 2, v7
	s_wait_alu 0xfffe
	v_add_co_u32 v2, s4, s4, v3
	s_mul_f32 s29, s41, 0x4f7ffffe
	s_wait_alu 0xf1ff
	v_add_co_ci_u32_e64 v3, null, s5, 0, s4
	v_add_co_u32 v1, s4, v2, v1
	s_cvt_u32_f32 s5, s29
	s_wait_alu 0xf1ff
	v_add_co_ci_u32_e64 v2, null, 0, v3, s4
	v_add_co_u32 v3, s4, s42, v6
	s_wait_alu 0xfffe
	s_mul_i32 s44, s44, s5
	v_add_co_ci_u32_e64 v4, null, s43, 0, s4
	v_xor_b32_e32 v19, 1, v7
	v_mov_b32_e32 v9, 0xff7fffff
	s_mul_hi_u32 s4, s5, s44
	s_mov_b32 s40, 0
	s_mov_b32 s29, s17
	s_wait_alu 0xfffe
	s_add_co_i32 s41, s5, s4
	s_branch .LBB194_13
.LBB194_11:                             ;   in Loop: Header=BB194_13 Depth=1
	s_wait_alu 0xfffe
	s_or_b32 exec_lo, exec_lo, s42
.LBB194_12:                             ;   in Loop: Header=BB194_13 Depth=1
	s_wait_alu 0xfffe
	s_or_b32 exec_lo, exec_lo, s5
	v_add_nc_u32_e32 v20, 4, v20
	v_add_co_u32 v3, s5, v3, 16
	s_wait_alu 0xf1ff
	v_add_co_ci_u32_e64 v4, null, 0, v4, s5
	s_delay_alu instid0(VALU_DEP_3)
	v_cmp_le_i32_e64 s4, s23, v20
	v_add_nc_u32_e32 v14, 32, v14
	v_add_nc_u32_e32 v16, 0x80, v16
	s_or_b32 s40, s4, s40
	s_wait_alu 0xfffe
	s_and_not1_b32 exec_lo, exec_lo, s40
	s_cbranch_execz .LBB194_20
.LBB194_13:                             ; =>This Inner Loop Header: Depth=1
	v_sub_nc_u32_e32 v21, 0, v14
	s_delay_alu instid0(VALU_DEP_1) | instskip(SKIP_1) | instid1(VALU_DEP_1)
	v_max_i32_e32 v21, v14, v21
	s_wait_dscnt 0x0
	v_mul_hi_u32 v22, v21, s22
	s_delay_alu instid0(VALU_DEP_1) | instskip(NEXT) | instid1(VALU_DEP_1)
	v_mul_lo_u32 v23, v22, s16
	v_sub_nc_u32_e32 v21, v21, v23
	v_add_nc_u32_e32 v23, 1, v22
	s_delay_alu instid0(VALU_DEP_2) | instskip(SKIP_2) | instid1(VALU_DEP_1)
	v_subrev_nc_u32_e32 v24, s16, v21
	v_cmp_le_u32_e64 s4, s16, v21
	s_wait_alu 0xf1ff
	v_cndmask_b32_e64 v22, v22, v23, s4
	s_delay_alu instid0(VALU_DEP_3) | instskip(SKIP_1) | instid1(VALU_DEP_3)
	v_cndmask_b32_e64 v21, v21, v24, s4
	v_ashrrev_i32_e32 v23, 31, v14
	v_add_nc_u32_e32 v24, 1, v22
	s_delay_alu instid0(VALU_DEP_3) | instskip(NEXT) | instid1(VALU_DEP_3)
	v_cmp_le_u32_e64 s4, s16, v21
	v_xor_b32_e32 v23, s15, v23
	s_wait_alu 0xf1ff
	s_delay_alu instid0(VALU_DEP_2) | instskip(NEXT) | instid1(VALU_DEP_1)
	v_cndmask_b32_e64 v21, v22, v24, s4
	v_xor_b32_e32 v21, v21, v23
	s_delay_alu instid0(VALU_DEP_1) | instskip(NEXT) | instid1(VALU_DEP_1)
	v_sub_nc_u32_e32 v21, v21, v23
	v_add_nc_u32_e32 v22, s21, v21
	v_cmp_ge_i32_e64 s5, s18, v21
	s_delay_alu instid0(VALU_DEP_2) | instskip(NEXT) | instid1(VALU_DEP_1)
	v_sub_nc_u32_e32 v23, 0, v22
	v_max_i32_e32 v23, v22, v23
	v_ashrrev_i32_e32 v22, 31, v22
	s_delay_alu instid0(VALU_DEP_2) | instskip(NEXT) | instid1(VALU_DEP_1)
	v_mul_hi_u32 v24, v23, s41
	v_mul_lo_u32 v24, v24, s31
	s_delay_alu instid0(VALU_DEP_1) | instskip(NEXT) | instid1(VALU_DEP_1)
	v_sub_nc_u32_e32 v23, v23, v24
	v_subrev_nc_u32_e32 v24, s31, v23
	v_cmp_le_u32_e64 s4, s31, v23
	s_wait_alu 0xf1ff
	s_delay_alu instid0(VALU_DEP_1) | instskip(NEXT) | instid1(VALU_DEP_1)
	v_cndmask_b32_e64 v23, v23, v24, s4
	v_subrev_nc_u32_e32 v24, s31, v23
	v_cmp_le_u32_e64 s4, s31, v23
	s_wait_alu 0xf1ff
	s_delay_alu instid0(VALU_DEP_1) | instskip(NEXT) | instid1(VALU_DEP_1)
	v_cndmask_b32_e64 v23, v23, v24, s4
	v_xor_b32_e32 v23, v23, v22
	s_delay_alu instid0(VALU_DEP_1) | instskip(NEXT) | instid1(VALU_DEP_1)
	v_sub_nc_u32_e32 v22, v23, v22
	v_cmp_ne_u32_e64 s4, 0, v22
	s_and_b32 s4, s4, s5
	s_wait_alu 0xfffe
	s_and_saveexec_b32 s5, s4
	s_wait_alu 0xfffe
	s_xor_b32 s4, exec_lo, s5
	s_cbranch_execz .LBB194_17
; %bb.14:                               ;   in Loop: Header=BB194_13 Depth=1
	s_and_saveexec_b32 s5, s3
; %bb.15:                               ;   in Loop: Header=BB194_13 Depth=1
	ds_store_b32 v16, v17
; %bb.16:                               ;   in Loop: Header=BB194_13 Depth=1
	s_wait_alu 0xfffe
	s_or_b32 exec_lo, exec_lo, s5
.LBB194_17:                             ;   in Loop: Header=BB194_13 Depth=1
	s_wait_alu 0xfffe
	s_and_not1_saveexec_b32 s5, s4
	s_cbranch_execz .LBB194_12
; %bb.18:                               ;   in Loop: Header=BB194_13 Depth=1
	global_load_b32 v21, v[3:4], off
	v_cmp_gt_i32_e64 s4, 32, v18
	s_wait_loadcnt 0x0
	v_mad_co_i64_i32 v[21:22], null, v21, s29, v[1:2]
	s_clause 0x1d
	global_load_u8 v25, v[21:22], off offset:4
	global_load_u8 v26, v[21:22], off
	global_load_u8 v29, v[21:22], off offset:8
	global_load_u8 v30, v[21:22], off offset:12
	;; [unrolled: 1-line block ×28, first 2 shown]
	s_load_b32 s42, s[8:9], 0x0
	ds_load_2addr_b64 v[21:24], v10 offset1:1
	s_wait_loadcnt 0x1d
	v_cvt_f32_fp8_e32 v25, v25
	s_wait_loadcnt 0x1c
	v_cvt_f32_fp8_e32 v57, v26
	;; [unrolled: 2-line block ×3, first 2 shown]
	s_wait_kmcnt 0x0
	v_mul_f32_e32 v58, s42, v25
	ds_load_2addr_b64 v[25:28], v10 offset0:2 offset1:3
	s_wait_dscnt 0x1
	v_dual_mul_f32 v57, s42, v57 :: v_dual_mul_f32 v58, v22, v58
	v_mul_f32_e32 v22, s42, v29
	s_wait_loadcnt 0x1a
	v_cvt_f32_fp8_e32 v29, v30
	s_delay_alu instid0(VALU_DEP_3) | instskip(SKIP_2) | instid1(VALU_DEP_3)
	v_fmac_f32_e32 v58, v21, v57
	s_wait_loadcnt 0x19
	v_cvt_f32_fp8_e32 v21, v31
	v_mul_f32_e32 v29, s42, v29
	s_wait_loadcnt 0x18
	v_cvt_f32_fp8_e32 v31, v32
	v_fmac_f32_e32 v58, v23, v22
	s_delay_alu instid0(VALU_DEP_2) | instskip(NEXT) | instid1(VALU_DEP_2)
	v_dual_mul_f32 v30, s42, v21 :: v_dual_mul_f32 v31, s42, v31
	v_fmac_f32_e32 v58, v24, v29
	ds_load_2addr_b64 v[21:24], v10 offset0:4 offset1:5
	s_wait_loadcnt 0x17
	v_cvt_f32_fp8_e32 v29, v33
	s_wait_dscnt 0x1
	s_delay_alu instid0(VALU_DEP_1) | instskip(SKIP_2) | instid1(VALU_DEP_2)
	v_dual_fmac_f32 v58, v25, v30 :: v_dual_mul_f32 v25, s42, v29
	s_wait_loadcnt 0x16
	v_cvt_f32_fp8_e32 v29, v34
	v_fmac_f32_e32 v58, v26, v31
	s_wait_loadcnt 0x15
	v_cvt_f32_fp8_e32 v26, v35
	s_wait_loadcnt 0x14
	v_cvt_f32_fp8_e32 v31, v36
	v_mul_f32_e32 v29, s42, v29
	s_delay_alu instid0(VALU_DEP_2) | instskip(NEXT) | instid1(VALU_DEP_1)
	v_dual_fmac_f32 v58, v27, v25 :: v_dual_mul_f32 v31, s42, v31
	v_fmac_f32_e32 v58, v28, v29
	s_wait_loadcnt 0x13
	v_cvt_f32_fp8_e32 v29, v37
	v_mul_f32_e32 v30, s42, v26
	ds_load_2addr_b64 v[25:28], v10 offset0:6 offset1:7
	s_wait_dscnt 0x1
	v_dual_fmac_f32 v58, v21, v30 :: v_dual_mul_f32 v21, s42, v29
	s_wait_loadcnt 0x12
	v_cvt_f32_fp8_e32 v29, v38
	s_delay_alu instid0(VALU_DEP_1)
	v_dual_mul_f32 v29, s42, v29 :: v_dual_fmac_f32 v58, v22, v31
	s_wait_loadcnt 0x11
	v_cvt_f32_fp8_e32 v22, v39
	s_wait_loadcnt 0x10
	v_cvt_f32_fp8_e32 v31, v40
	v_fmac_f32_e32 v58, v23, v21
	s_delay_alu instid0(VALU_DEP_2) | instskip(NEXT) | instid1(VALU_DEP_2)
	v_dual_mul_f32 v30, s42, v22 :: v_dual_mul_f32 v31, s42, v31
	v_fmac_f32_e32 v58, v24, v29
	ds_load_2addr_b64 v[21:24], v10 offset0:8 offset1:9
	s_wait_loadcnt 0xf
	v_cvt_f32_fp8_e32 v29, v41
	s_wait_dscnt 0x1
	s_delay_alu instid0(VALU_DEP_1) | instskip(SKIP_2) | instid1(VALU_DEP_2)
	v_dual_fmac_f32 v58, v25, v30 :: v_dual_mul_f32 v25, s42, v29
	s_wait_loadcnt 0xe
	v_cvt_f32_fp8_e32 v29, v42
	v_fmac_f32_e32 v58, v26, v31
	s_wait_loadcnt 0xd
	v_cvt_f32_fp8_e32 v26, v43
	s_wait_loadcnt 0xc
	v_cvt_f32_fp8_e32 v31, v44
	v_mul_f32_e32 v29, s42, v29
	v_fmac_f32_e32 v58, v27, v25
	s_delay_alu instid0(VALU_DEP_3) | instskip(NEXT) | instid1(VALU_DEP_2)
	v_dual_mul_f32 v30, s42, v26 :: v_dual_mul_f32 v31, s42, v31
	v_fmac_f32_e32 v58, v28, v29
	ds_load_2addr_b64 v[25:28], v10 offset0:10 offset1:11
	s_wait_loadcnt 0xb
	v_cvt_f32_fp8_e32 v29, v45
	s_wait_dscnt 0x1
	s_delay_alu instid0(VALU_DEP_1) | instskip(SKIP_2) | instid1(VALU_DEP_2)
	v_dual_fmac_f32 v58, v21, v30 :: v_dual_mul_f32 v21, s42, v29
	s_wait_loadcnt 0xa
	v_cvt_f32_fp8_e32 v29, v46
	v_fmac_f32_e32 v58, v22, v31
	s_wait_loadcnt 0x9
	v_cvt_f32_fp8_e32 v22, v47
	s_wait_loadcnt 0x8
	v_cvt_f32_fp8_e32 v31, v48
	v_mul_f32_e32 v29, s42, v29
	v_fmac_f32_e32 v58, v23, v21
	s_delay_alu instid0(VALU_DEP_3) | instskip(NEXT) | instid1(VALU_DEP_2)
	v_dual_mul_f32 v30, s42, v22 :: v_dual_mul_f32 v31, s42, v31
	v_fmac_f32_e32 v58, v24, v29
	ds_load_2addr_b64 v[21:24], v10 offset0:12 offset1:13
	s_wait_loadcnt 0x7
	v_cvt_f32_fp8_e32 v29, v49
	s_wait_dscnt 0x1
	v_fmac_f32_e32 v58, v25, v30
	s_wait_loadcnt 0x4
	v_cvt_f32_fp8_e32 v30, v52
	v_mul_f32_e32 v25, s42, v29
	v_cvt_f32_fp8_e32 v29, v50
	v_fmac_f32_e32 v58, v26, v31
	v_cvt_f32_fp8_e32 v26, v51
	s_delay_alu instid0(VALU_DEP_3) | instskip(NEXT) | instid1(VALU_DEP_2)
	v_mul_f32_e32 v29, s42, v29
	v_dual_fmac_f32 v58, v27, v25 :: v_dual_mul_f32 v27, s42, v26
	ds_load_b64 v[25:26], v10 offset:112
	v_fmac_f32_e32 v58, v28, v29
	s_wait_loadcnt 0x3
	v_cvt_f32_fp8_e32 v28, v53
	s_wait_dscnt 0x1
	s_delay_alu instid0(VALU_DEP_2) | instskip(NEXT) | instid1(VALU_DEP_2)
	v_dual_mul_f32 v29, s42, v30 :: v_dual_fmac_f32 v58, v21, v27
	v_mul_f32_e32 v21, s42, v28
	s_wait_loadcnt 0x2
	v_cvt_f32_fp8_e32 v27, v54
	s_delay_alu instid0(VALU_DEP_3) | instskip(SKIP_2) | instid1(VALU_DEP_2)
	v_fmac_f32_e32 v58, v22, v29
	s_wait_loadcnt 0x1
	v_cvt_f32_fp8_e32 v22, v55
	v_dual_mul_f32 v27, s42, v27 :: v_dual_fmac_f32 v58, v23, v21
	s_delay_alu instid0(VALU_DEP_2)
	v_mul_f32_e32 v21, s42, v22
	s_wait_loadcnt 0x0
	v_cvt_f32_fp8_e32 v22, v56
	v_cndmask_b32_e64 v23, v7, v18, s4
	v_cmp_gt_i32_e64 s4, 32, v19
	v_fmac_f32_e32 v58, v24, v27
	s_delay_alu instid0(VALU_DEP_4) | instskip(SKIP_1) | instid1(VALU_DEP_2)
	v_mul_f32_e32 v22, s42, v22
	s_wait_dscnt 0x0
	v_dual_fmac_f32 v58, v25, v21 :: v_dual_lshlrev_b32 v21, 2, v23
	s_delay_alu instid0(VALU_DEP_1)
	v_fmac_f32_e32 v58, v26, v22
	s_wait_alu 0xf1ff
	v_cndmask_b32_e64 v22, v7, v19, s4
	ds_bpermute_b32 v21, v21, v58
	s_wait_dscnt 0x0
	v_dual_add_f32 v21, v58, v21 :: v_dual_lshlrev_b32 v22, 2, v22
	ds_bpermute_b32 v22, v22, v21
	s_and_saveexec_b32 s42, s3
	s_cbranch_execz .LBB194_11
; %bb.19:                               ;   in Loop: Header=BB194_13 Depth=1
	s_wait_dscnt 0x0
	v_add_f32_e32 v21, v21, v22
	v_add_nc_u32_e32 v23, v15, v14
	s_delay_alu instid0(VALU_DEP_1) | instskip(NEXT) | instid1(VALU_DEP_1)
	v_cvt_f32_i32_e32 v23, v23
	v_mul_f32_e32 v23, s30, v23
	s_delay_alu instid0(VALU_DEP_1) | instskip(NEXT) | instid1(VALU_DEP_1)
	v_dual_cndmask_b32 v22, 0, v23 :: v_dual_max_num_f32 v23, v9, v9
	v_dual_fmac_f32 v22, s7, v21 :: v_dual_add_nc_u32 v21, v8, v14
	s_delay_alu instid0(VALU_DEP_1) | instskip(NEXT) | instid1(VALU_DEP_2)
	v_max_num_f32_e32 v23, v23, v22
	v_cmp_gt_i32_e64 s4, s34, v21
	s_wait_alu 0xf1ff
	s_delay_alu instid0(VALU_DEP_1) | instskip(NEXT) | instid1(VALU_DEP_3)
	v_cndmask_b32_e64 v21, 0, v22, s4
	v_cndmask_b32_e64 v9, v9, v23, s4
	ds_store_b32 v16, v21
	s_branch .LBB194_11
.LBB194_20:
	s_or_b32 exec_lo, exec_lo, s40
.LBB194_21:
	s_delay_alu instid0(SALU_CYCLE_1)
	s_or_b32 exec_lo, exec_lo, s6
	v_xor_b32_e32 v1, 16, v7
	v_xor_b32_e32 v2, 8, v7
	v_max_num_f32_e32 v4, v9, v9
	s_clause 0x2
	s_load_b128 s[4:7], s[0:1], 0x0
	s_load_b64 s[8:9], s[0:1], 0x10
	s_load_b64 s[30:31], s[0:1], 0x28
	v_cmp_gt_i32_e32 vcc_lo, 32, v1
	s_wait_alu 0xfffd
	v_cndmask_b32_e32 v1, v7, v1, vcc_lo
	v_cmp_gt_i32_e32 vcc_lo, 32, v2
	s_wait_alu 0xfffd
	v_cndmask_b32_e32 v2, v7, v2, vcc_lo
	s_delay_alu instid0(VALU_DEP_1)
	v_lshlrev_b32_e32 v8, 2, v2
	v_lshlrev_b32_e32 v3, 2, v1
	ds_bpermute_b32 v1, v3, v9
	v_lshlrev_b32_e32 v9, 2, v11
	s_wait_dscnt 0x0
	v_max_num_f32_e32 v1, v1, v1
	s_delay_alu instid0(VALU_DEP_1) | instskip(SKIP_1) | instid1(VALU_DEP_1)
	v_max_num_f32_e32 v1, v4, v1
	v_xor_b32_e32 v4, 4, v7
	v_cmp_gt_i32_e32 vcc_lo, 32, v4
	s_wait_alu 0xfffd
	v_cndmask_b32_e32 v4, v7, v4, vcc_lo
	ds_bpermute_b32 v2, v8, v1
	v_lshlrev_b32_e32 v14, 2, v4
	s_wait_dscnt 0x0
	v_max_num_f32_e32 v2, v2, v2
	s_delay_alu instid0(VALU_DEP_1)
	v_dual_max_num_f32 v2, v1, v2 :: v_dual_and_b32 v1, 31, v0
	ds_bpermute_b32 v4, v14, v2
	v_cmp_eq_u32_e32 vcc_lo, 0, v1
	s_and_saveexec_b32 s0, vcc_lo
	s_cbranch_execz .LBB194_23
; %bb.22:
	s_wait_dscnt 0x0
	v_max_num_f32_e32 v4, v4, v4
	v_max_num_f32_e32 v2, v2, v2
	s_delay_alu instid0(VALU_DEP_1)
	v_max_num_f32_e32 v2, v2, v4
	ds_store_b32 v9, v2 offset:480
.LBB194_23:
	s_or_b32 exec_lo, exec_lo, s0
	v_cmp_gt_u32_e64 s0, 4, v1
	v_mov_b32_e32 v2, 0xff7fffff
	v_lshlrev_b32_e32 v10, 2, v1
	s_wait_loadcnt_dscnt 0x0
	s_barrier_signal -1
	s_barrier_wait -1
	global_inv scope:SCOPE_SE
	s_and_saveexec_b32 s1, s0
; %bb.24:
	ds_load_b32 v2, v10 offset:480
; %bb.25:
	s_or_b32 exec_lo, exec_lo, s1
	v_xor_b32_e32 v4, 2, v7
	v_xor_b32_e32 v15, 1, v7
	s_delay_alu instid0(VALU_DEP_2) | instskip(NEXT) | instid1(VALU_DEP_1)
	v_cmp_gt_i32_e64 s1, 32, v4
	v_cndmask_b32_e64 v4, v7, v4, s1
	s_delay_alu instid0(VALU_DEP_3) | instskip(NEXT) | instid1(VALU_DEP_2)
	v_cmp_gt_i32_e64 s1, 32, v15
	v_lshlrev_b32_e32 v16, 2, v4
	s_wait_alu 0xf1ff
	s_delay_alu instid0(VALU_DEP_2) | instskip(SKIP_3) | instid1(VALU_DEP_1)
	v_cndmask_b32_e64 v7, v7, v15, s1
	s_sub_co_i32 s1, s23, s39
	s_wait_alu 0xfffe
	s_lshl_b32 s1, s1, 3
	v_lshlrev_b32_e32 v15, 2, v7
	v_mov_b32_e32 v7, 0
	s_wait_dscnt 0x0
	ds_bpermute_b32 v4, v16, v2
	v_max_num_f32_e32 v2, v2, v2
	s_wait_alu 0xfffe
	s_add_co_i32 s1, s1, s36
	s_wait_alu 0xfffe
	s_min_i32 s1, s1, s34
	s_wait_alu 0xfffe
	s_sub_co_i32 s18, s1, s36
	s_wait_alu 0xfffe
	v_cmp_gt_i32_e64 s1, s18, v0
	s_wait_dscnt 0x0
	v_max_num_f32_e32 v4, v4, v4
	s_delay_alu instid0(VALU_DEP_1) | instskip(SKIP_3) | instid1(VALU_DEP_1)
	v_max_num_f32_e32 v2, v2, v4
	ds_bpermute_b32 v4, v15, v2
	s_wait_dscnt 0x0
	v_max_num_f32_e32 v4, v4, v4
	v_max_num_f32_e32 v2, v2, v4
	v_lshl_add_u32 v4, v0, 2, 0x200
	ds_bpermute_b32 v2, v7, v2
	s_and_saveexec_b32 s29, s1
	s_cbranch_execz .LBB194_29
; %bb.26:
	v_lshl_add_u32 v17, v0, 2, 0x200
	v_dual_mov_b32 v7, 0 :: v_dual_mov_b32 v18, v0
	s_mov_b32 s36, 0
.LBB194_27:                             ; =>This Inner Loop Header: Depth=1
	ds_load_b32 v19, v17
	s_wait_dscnt 0x0
	v_sub_f32_e32 v19, v19, v2
	s_delay_alu instid0(VALU_DEP_1) | instskip(NEXT) | instid1(VALU_DEP_1)
	v_mul_f32_e32 v19, 0x3fb8aa3b, v19
	v_exp_f32_e32 v19, v19
	s_delay_alu instid0(TRANS32_DEP_1) | instskip(NEXT) | instid1(VALU_DEP_1)
	v_dual_add_f32 v7, v7, v19 :: v_dual_add_nc_u32 v18, 0x80, v18
	v_cmp_le_i32_e64 s3, s18, v18
	ds_store_b32 v17, v19
	v_add_nc_u32_e32 v17, 0x200, v17
	s_wait_alu 0xfffe
	s_or_b32 s36, s3, s36
	s_wait_alu 0xfffe
	s_and_not1_b32 exec_lo, exec_lo, s36
	s_cbranch_execnz .LBB194_27
; %bb.28:
	s_or_b32 exec_lo, exec_lo, s36
.LBB194_29:
	s_wait_alu 0xfffe
	s_or_b32 exec_lo, exec_lo, s29
	ds_bpermute_b32 v3, v3, v7
	s_wait_dscnt 0x0
	v_add_f32_e32 v3, v7, v3
	ds_bpermute_b32 v7, v8, v3
	s_wait_dscnt 0x0
	v_add_f32_e32 v3, v3, v7
	;; [unrolled: 3-line block ×5, first 2 shown]
	s_and_saveexec_b32 s3, vcc_lo
; %bb.30:
	ds_store_b32 v9, v3 offset:496
; %bb.31:
	s_wait_alu 0xfffe
	s_or_b32 exec_lo, exec_lo, s3
	s_wait_loadcnt_dscnt 0x0
	s_barrier_signal -1
	s_barrier_wait -1
	global_inv scope:SCOPE_SE
	s_and_saveexec_b32 s3, s0
; %bb.32:
	ds_load_b32 v3, v10 offset:496
; %bb.33:
	s_wait_alu 0xfffe
	s_or_b32 exec_lo, exec_lo, s3
	s_wait_dscnt 0x0
	ds_bpermute_b32 v7, v16, v3
	s_wait_dscnt 0x0
	v_add_f32_e32 v3, v3, v7
	ds_bpermute_b32 v7, v15, v3
	s_wait_dscnt 0x0
	v_add_f32_e32 v3, v3, v7
	v_mov_b32_e32 v7, 0
	ds_bpermute_b32 v3, v7, v3
	s_and_saveexec_b32 s0, s1
	s_cbranch_execz .LBB194_36
; %bb.34:
	s_wait_dscnt 0x0
	v_add_f32_e32 v7, 0x358637bd, v3
	s_mov_b32 s1, 0
	s_delay_alu instid0(VALU_DEP_1) | instskip(SKIP_1) | instid1(VALU_DEP_2)
	v_div_scale_f32 v8, null, v7, v7, 1.0
	v_div_scale_f32 v14, vcc_lo, 1.0, v7, 1.0
	v_rcp_f32_e32 v9, v8
	s_delay_alu instid0(TRANS32_DEP_1) | instskip(NEXT) | instid1(VALU_DEP_1)
	v_fma_f32 v10, -v8, v9, 1.0
	v_fmac_f32_e32 v9, v10, v9
	s_delay_alu instid0(VALU_DEP_1) | instskip(NEXT) | instid1(VALU_DEP_1)
	v_mul_f32_e32 v10, v14, v9
	v_fma_f32 v16, -v8, v10, v14
	s_delay_alu instid0(VALU_DEP_1) | instskip(NEXT) | instid1(VALU_DEP_1)
	v_fmac_f32_e32 v10, v16, v9
	v_fma_f32 v8, -v8, v10, v14
	s_wait_alu 0xfffd
	s_delay_alu instid0(VALU_DEP_1) | instskip(NEXT) | instid1(VALU_DEP_1)
	v_div_fmas_f32 v8, v8, v9, v10
	v_div_fixup_f32 v7, v8, v7, 1.0
	v_mov_b32_e32 v8, v0
.LBB194_35:                             ; =>This Inner Loop Header: Depth=1
	ds_load_b32 v9, v4
	s_wait_dscnt 0x0
	v_dual_mul_f32 v9, v7, v9 :: v_dual_add_nc_u32 v8, 0x80, v8
	s_delay_alu instid0(VALU_DEP_1)
	v_cmp_le_i32_e32 vcc_lo, s18, v8
	ds_store_b32 v4, v9
	v_add_nc_u32_e32 v4, 0x200, v4
	s_wait_alu 0xfffe
	s_or_b32 s1, vcc_lo, s1
	s_wait_alu 0xfffe
	s_and_not1_b32 exec_lo, exec_lo, s1
	s_cbranch_execnz .LBB194_35
.LBB194_36:
	s_wait_alu 0xfffe
	s_or_b32 exec_lo, exec_lo, s0
	s_mul_i32 s0, s12, s19
	s_wait_loadcnt_dscnt 0x0
	s_wait_alu 0xfffe
	s_mul_i32 s18, s0, s35
	s_mov_b32 s0, exec_lo
	s_barrier_signal -1
	s_barrier_wait -1
	global_inv scope:SCOPE_SE
	v_cmpx_eq_u32_e32 0, v0
	s_cbranch_execz .LBB194_38
; %bb.37:
	s_wait_alu 0xfffe
	s_ashr_i32 s19, s18, 31
	s_mul_i32 s40, s12, ttmp9
	s_lshl_b32 s1, s33, 2
	s_wait_alu 0xfffe
	s_lshl_b64 s[42:43], s[18:19], 2
	s_ashr_i32 s41, s40, 31
	v_mov_b32_e32 v4, s1
	s_wait_kmcnt 0x0
	s_wait_alu 0xfffe
	s_add_nc_u64 s[6:7], s[6:7], s[42:43]
	s_lshl_b64 s[40:41], s[40:41], 2
	s_add_nc_u64 s[4:5], s[4:5], s[42:43]
	s_wait_alu 0xfffe
	s_add_nc_u64 s[6:7], s[6:7], s[40:41]
	s_add_nc_u64 s[4:5], s[4:5], s[40:41]
	s_clause 0x1
	global_store_b32 v4, v2, s[6:7]
	global_store_b32 v4, v3, s[4:5]
.LBB194_38:
	s_wait_alu 0xfffe
	s_or_b32 exec_lo, exec_lo, s0
	v_lshrrev_b32_e32 v14, 1, v1
	s_and_saveexec_b32 s0, s2
	s_wait_alu 0xfffe
	s_xor_b32 s0, exec_lo, s0
; %bb.39:
	v_lshrrev_b32_e32 v14, 1, v1
                                        ; implicit-def: $vgpr12
                                        ; implicit-def: $vgpr13
                                        ; implicit-def: $vgpr5
                                        ; implicit-def: $vgpr6
; %bb.40:
	s_wait_kmcnt 0x0
	s_wait_alu 0xfffe
	s_or_saveexec_b32 s4, s0
	v_dual_mov_b32 v23, 0 :: v_dual_and_b32 v16, 1, v0
	v_dual_mov_b32 v24, 0 :: v_dual_mov_b32 v21, 0
	v_dual_mov_b32 v22, 0 :: v_dual_mov_b32 v19, 0
	;; [unrolled: 1-line block ×3, first 2 shown]
	v_mov_b32_e32 v18, 0
	s_wait_alu 0xfffe
	s_xor_b32 exec_lo, exec_lo, s4
	s_cbranch_execz .LBB194_64
; %bb.41:
	s_abs_i32 s5, s14
	s_sub_co_i32 s6, s38, s13
	s_wait_alu 0xfffe
	s_cvt_f32_u32 s0, s5
	v_dual_mov_b32 v20, 0 :: v_dual_lshlrev_b32 v3, 4, v16
	v_dual_mov_b32 v18, 0 :: v_dual_and_b32 v25, 4, v5
	s_wait_alu 0xfffe
	v_rcp_iflag_f32_e32 v1, s0
	s_lshl_b64 s[0:1], s[26:27], 2
	v_or_b32_e32 v2, 0x70, v14
	s_wait_alu 0xfffe
	s_add_nc_u64 s[0:1], s[24:25], s[0:1]
	s_sub_co_i32 s14, 0, s5
	s_wait_alu 0xfffe
	v_add_co_u32 v5, s0, s0, v6
	s_wait_alu 0xf1ff
	v_add_co_ci_u32_e64 v6, null, s1, 0, s0
	v_dual_mov_b32 v19, 0 :: v_dual_mov_b32 v22, 0
	v_readfirstlane_b32 s13, v1
	v_lshl_or_b32 v1, v11, 5, v3
	v_mov_b32_e32 v17, 0
	v_lshl_or_b32 v26, v14, 3, v25
	v_lshl_or_b32 v27, v2, 3, v25
	s_mul_f32 s13, s13, 0x4f7ffffe
	v_dual_mov_b32 v21, 0 :: v_dual_add_nc_u32 v28, 0x200, v1
	v_mov_b32_e32 v24, 0
	s_delay_alu instid0(SALU_CYCLE_1)
	s_cvt_u32_f32 s0, s13
	v_mov_b32_e32 v23, 0
	s_ashr_i32 s29, s28, 31
	s_mov_b32 s7, s17
	s_wait_alu 0xfffe
	s_mul_i32 s14, s14, s0
	s_add_co_i32 s37, s37, -1
	s_wait_alu 0xfffe
	s_mul_hi_u32 s1, s0, s14
	s_add_nc_u64 s[2:3], s[30:31], s[28:29]
	s_mov_b32 s13, 0
	s_wait_alu 0xfffe
	s_add_co_i32 s14, s0, s1
	v_cmp_gt_u32_e32 vcc_lo, 0x78, v2
	s_branch .LBB194_45
.LBB194_42:                             ;   in Loop: Header=BB194_45 Depth=1
	s_wait_alu 0xfffe
	s_or_b32 exec_lo, exec_lo, s1
	s_wait_dscnt 0x0
	v_mul_f32_e32 v37, v1, v57
	s_delay_alu instid0(VALU_DEP_1) | instskip(NEXT) | instid1(VALU_DEP_1)
	v_fmac_f32_e32 v37, v2, v56
	v_fmac_f32_e32 v37, v3, v8
	s_delay_alu instid0(VALU_DEP_1) | instskip(NEXT) | instid1(VALU_DEP_1)
	v_fmac_f32_e32 v37, v4, v7
	v_add_f32_e32 v17, v17, v37
.LBB194_43:                             ;   in Loop: Header=BB194_45 Depth=1
	s_wait_alu 0xfffe
	s_or_b32 exec_lo, exec_lo, s25
	s_wait_dscnt 0x0
	v_mul_f32_e32 v8, v1, v53
	s_delay_alu instid0(VALU_DEP_1) | instskip(SKIP_1) | instid1(VALU_DEP_2)
	v_dual_mul_f32 v7, v1, v55 :: v_dual_fmac_f32 v8, v2, v52
	v_mul_f32_e32 v37, v1, v49
	v_dual_fmac_f32 v7, v2, v54 :: v_dual_mul_f32 v36, v1, v36
	s_delay_alu instid0(VALU_DEP_3) | instskip(NEXT) | instid1(VALU_DEP_2)
	v_dual_fmac_f32 v8, v3, v51 :: v_dual_mul_f32 v45, v1, v45
	v_fmac_f32_e32 v7, v3, v10
	s_delay_alu instid0(VALU_DEP_3) | instskip(NEXT) | instid1(VALU_DEP_3)
	v_dual_mul_f32 v41, v1, v41 :: v_dual_fmac_f32 v36, v2, v35
	v_dual_fmac_f32 v37, v2, v48 :: v_dual_fmac_f32 v8, v4, v50
	s_delay_alu instid0(VALU_DEP_3) | instskip(NEXT) | instid1(VALU_DEP_3)
	v_fmac_f32_e32 v7, v4, v9
	v_dual_mul_f32 v1, v1, v32 :: v_dual_fmac_f32 v36, v3, v34
	s_delay_alu instid0(VALU_DEP_3) | instskip(SKIP_1) | instid1(VALU_DEP_4)
	v_fmac_f32_e32 v37, v3, v47
	v_fmac_f32_e32 v45, v2, v44
	v_dual_add_f32 v18, v18, v7 :: v_dual_add_f32 v19, v19, v8
	s_delay_alu instid0(VALU_DEP_4) | instskip(NEXT) | instid1(VALU_DEP_4)
	v_dual_fmac_f32 v36, v4, v33 :: v_dual_fmac_f32 v1, v2, v31
	v_fmac_f32_e32 v37, v4, v46
	v_fmac_f32_e32 v41, v2, v40
	s_delay_alu instid0(VALU_DEP_3) | instskip(NEXT) | instid1(VALU_DEP_3)
	v_dual_fmac_f32 v45, v3, v43 :: v_dual_add_f32 v24, v24, v36
	v_dual_fmac_f32 v1, v3, v30 :: v_dual_add_f32 v20, v20, v37
	s_delay_alu instid0(VALU_DEP_3) | instskip(NEXT) | instid1(VALU_DEP_3)
	v_fmac_f32_e32 v41, v3, v39
	v_fmac_f32_e32 v45, v4, v42
	s_delay_alu instid0(VALU_DEP_3) | instskip(NEXT) | instid1(VALU_DEP_3)
	v_fmac_f32_e32 v1, v4, v29
	v_fmac_f32_e32 v41, v4, v38
	s_delay_alu instid0(VALU_DEP_3) | instskip(NEXT) | instid1(VALU_DEP_3)
	v_add_f32_e32 v21, v21, v45
	v_add_f32_e32 v23, v23, v1
	s_delay_alu instid0(VALU_DEP_3)
	v_add_f32_e32 v22, v22, v41
.LBB194_44:                             ;   in Loop: Header=BB194_45 Depth=1
	s_wait_alu 0xfffe
	s_or_b32 exec_lo, exec_lo, s17
	v_add_nc_u32_e32 v13, 4, v13
	v_add_co_u32 v5, s1, v5, 16
	s_wait_alu 0xf1ff
	v_add_co_ci_u32_e64 v6, null, 0, v6, s1
	s_delay_alu instid0(VALU_DEP_3) | instskip(SKIP_3) | instid1(SALU_CYCLE_1)
	v_cmp_le_i32_e64 s0, s23, v13
	v_add_nc_u32_e32 v12, 32, v12
	v_add_nc_u32_e32 v28, 0x80, v28
	s_or_b32 s13, s0, s13
	s_and_not1_b32 exec_lo, exec_lo, s13
	s_cbranch_execz .LBB194_63
.LBB194_45:                             ; =>This Inner Loop Header: Depth=1
	v_sub_nc_u32_e32 v1, 0, v12
	s_delay_alu instid0(VALU_DEP_1) | instskip(NEXT) | instid1(VALU_DEP_1)
	v_max_i32_e32 v1, v12, v1
	v_mul_hi_u32 v2, v1, s22
	s_delay_alu instid0(VALU_DEP_1) | instskip(NEXT) | instid1(VALU_DEP_1)
	v_mul_lo_u32 v3, v2, s16
	v_sub_nc_u32_e32 v1, v1, v3
	v_add_nc_u32_e32 v3, 1, v2
	s_delay_alu instid0(VALU_DEP_2) | instskip(SKIP_2) | instid1(VALU_DEP_1)
	v_subrev_nc_u32_e32 v4, s16, v1
	v_cmp_le_u32_e64 s0, s16, v1
	s_wait_alu 0xf1ff
	v_cndmask_b32_e64 v2, v2, v3, s0
	s_delay_alu instid0(VALU_DEP_3) | instskip(SKIP_1) | instid1(VALU_DEP_3)
	v_cndmask_b32_e64 v1, v1, v4, s0
	v_ashrrev_i32_e32 v3, 31, v12
	v_add_nc_u32_e32 v4, 1, v2
	s_delay_alu instid0(VALU_DEP_3) | instskip(NEXT) | instid1(VALU_DEP_3)
	v_cmp_le_u32_e64 s0, s16, v1
	v_xor_b32_e32 v3, s15, v3
	s_wait_alu 0xf1ff
	s_delay_alu instid0(VALU_DEP_2) | instskip(NEXT) | instid1(VALU_DEP_1)
	v_cndmask_b32_e64 v1, v2, v4, s0
	v_xor_b32_e32 v1, v1, v3
	s_delay_alu instid0(VALU_DEP_1) | instskip(NEXT) | instid1(VALU_DEP_1)
	v_sub_nc_u32_e32 v1, v1, v3
	v_add_nc_u32_e32 v2, s21, v1
	v_cmp_lt_i32_e64 s1, s6, v1
	s_delay_alu instid0(VALU_DEP_2) | instskip(NEXT) | instid1(VALU_DEP_1)
	v_sub_nc_u32_e32 v3, 0, v2
	v_max_i32_e32 v3, v2, v3
	v_ashrrev_i32_e32 v2, 31, v2
	s_wait_alu 0xfffe
	s_delay_alu instid0(VALU_DEP_2) | instskip(NEXT) | instid1(VALU_DEP_1)
	v_mul_hi_u32 v4, v3, s14
	v_mul_lo_u32 v4, v4, s5
	s_delay_alu instid0(VALU_DEP_1) | instskip(NEXT) | instid1(VALU_DEP_1)
	v_sub_nc_u32_e32 v3, v3, v4
	v_subrev_nc_u32_e32 v4, s5, v3
	v_cmp_le_u32_e64 s0, s5, v3
	s_wait_alu 0xf1ff
	s_delay_alu instid0(VALU_DEP_1) | instskip(NEXT) | instid1(VALU_DEP_1)
	v_cndmask_b32_e64 v3, v3, v4, s0
	v_subrev_nc_u32_e32 v4, s5, v3
	v_cmp_le_u32_e64 s0, s5, v3
	s_wait_alu 0xf1ff
	s_delay_alu instid0(VALU_DEP_1) | instskip(NEXT) | instid1(VALU_DEP_1)
	v_cndmask_b32_e64 v3, v3, v4, s0
	v_xor_b32_e32 v3, v3, v2
	s_delay_alu instid0(VALU_DEP_1) | instskip(NEXT) | instid1(VALU_DEP_1)
	v_sub_nc_u32_e32 v2, v3, v2
	v_cmp_eq_u32_e64 s0, 0, v2
	s_or_b32 s0, s0, s1
	s_wait_alu 0xfffe
	s_and_saveexec_b32 s17, s0
	s_cbranch_execz .LBB194_44
; %bb.46:                               ;   in Loop: Header=BB194_45 Depth=1
	global_load_b32 v1, v[5:6], off
	s_load_b32 s19, s[10:11], 0x0
	s_wait_loadcnt 0x0
	v_mad_co_i64_i32 v[7:8], null, v1, s7, s[2:3]
	ds_load_b128 v[1:4], v28
	v_add_co_u32 v9, s0, v7, v26
	s_wait_alu 0xf1ff
	v_add_co_ci_u32_e64 v10, null, 0, v8, s0
	v_cmp_eq_u32_e64 s0, s37, v13
	global_load_b32 v29, v[9:10], off
	s_wait_loadcnt 0x0
	v_lshrrev_b32_e32 v31, 16, v29
	s_delay_alu instid0(VALU_DEP_1) | instskip(SKIP_1) | instid1(VALU_DEP_1)
	v_cvt_pk_f32_fp8_e32 v[33:34], v31
	v_and_b32_e32 v30, 0xffff, v29
	v_cvt_pk_f32_fp8_e32 v[29:30], v30
	s_wait_kmcnt 0x0
	s_delay_alu instid0(VALU_DEP_1) | instskip(NEXT) | instid1(VALU_DEP_2)
	v_dual_mul_f32 v32, s19, v29 :: v_dual_add_nc_u32 v37, v25, v12
	v_dual_mul_f32 v31, s19, v30 :: v_dual_mul_f32 v30, s19, v33
	v_mul_f32_e32 v29, s19, v34
	s_and_saveexec_b32 s24, s0
	s_cbranch_execz .LBB194_48
; %bb.47:                               ;   in Loop: Header=BB194_45 Depth=1
	v_add_nc_u32_e32 v33, 1, v37
	v_cmp_gt_i32_e64 s1, s34, v37
	v_add_nc_u32_e32 v34, 2, v37
	v_add_nc_u32_e32 v35, 3, v37
	s_wait_alu 0xf1ff
	s_delay_alu instid0(VALU_DEP_3) | instskip(SKIP_2) | instid1(VALU_DEP_1)
	v_cndmask_b32_e64 v32, 0, v32, s1
	v_cmp_gt_i32_e64 s1, s34, v33
	s_wait_alu 0xf1ff
	v_cndmask_b32_e64 v31, 0, v31, s1
	v_cmp_gt_i32_e64 s1, s34, v34
	s_wait_alu 0xf1ff
	s_delay_alu instid0(VALU_DEP_1) | instskip(SKIP_2) | instid1(VALU_DEP_1)
	v_cndmask_b32_e64 v30, 0, v30, s1
	v_cmp_gt_i32_e64 s1, s34, v35
	s_wait_alu 0xf1ff
	v_cndmask_b32_e64 v29, 0, v29, s1
.LBB194_48:                             ;   in Loop: Header=BB194_45 Depth=1
	s_wait_alu 0xfffe
	s_or_b32 exec_lo, exec_lo, s24
	global_load_b32 v33, v[9:10], off offset:128
	s_mov_b32 s24, s19
	s_wait_loadcnt 0x0
	v_lshrrev_b32_e32 v35, 16, v33
	s_delay_alu instid0(VALU_DEP_1) | instskip(SKIP_1) | instid1(VALU_DEP_1)
	v_cvt_pk_f32_fp8_e32 v[38:39], v35
	v_and_b32_e32 v34, 0xffff, v33
	v_cvt_pk_f32_fp8_e32 v[33:34], v34
	s_wait_alu 0xfffe
	s_delay_alu instid0(VALU_DEP_1)
	v_dual_mul_f32 v36, s19, v33 :: v_dual_mul_f32 v35, s24, v34
	v_dual_mul_f32 v34, s19, v38 :: v_dual_mul_f32 v33, s24, v39
	s_and_saveexec_b32 s25, s0
	s_cbranch_execz .LBB194_50
; %bb.49:                               ;   in Loop: Header=BB194_45 Depth=1
	v_add_nc_u32_e32 v38, 1, v37
	v_cmp_gt_i32_e64 s1, s34, v37
	v_add_nc_u32_e32 v39, 2, v37
	v_add_nc_u32_e32 v40, 3, v37
	s_wait_alu 0xf1ff
	s_delay_alu instid0(VALU_DEP_3) | instskip(SKIP_2) | instid1(VALU_DEP_1)
	v_cndmask_b32_e64 v36, 0, v36, s1
	v_cmp_gt_i32_e64 s1, s34, v38
	s_wait_alu 0xf1ff
	v_cndmask_b32_e64 v35, 0, v35, s1
	v_cmp_gt_i32_e64 s1, s34, v39
	s_wait_alu 0xf1ff
	s_delay_alu instid0(VALU_DEP_1) | instskip(SKIP_2) | instid1(VALU_DEP_1)
	v_cndmask_b32_e64 v34, 0, v34, s1
	v_cmp_gt_i32_e64 s1, s34, v40
	s_wait_alu 0xf1ff
	v_cndmask_b32_e64 v33, 0, v33, s1
.LBB194_50:                             ;   in Loop: Header=BB194_45 Depth=1
	s_wait_alu 0xfffe
	s_or_b32 exec_lo, exec_lo, s25
	global_load_b32 v38, v[9:10], off offset:256
	s_wait_loadcnt 0x0
	v_lshrrev_b32_e32 v40, 16, v38
	s_delay_alu instid0(VALU_DEP_1) | instskip(SKIP_1) | instid1(VALU_DEP_1)
	v_cvt_pk_f32_fp8_e32 v[42:43], v40
	v_and_b32_e32 v39, 0xffff, v38
	v_cvt_pk_f32_fp8_e32 v[38:39], v39
	s_delay_alu instid0(VALU_DEP_1) | instskip(NEXT) | instid1(VALU_DEP_4)
	v_dual_mul_f32 v41, s19, v38 :: v_dual_mul_f32 v40, s24, v39
	v_dual_mul_f32 v39, s19, v42 :: v_dual_mul_f32 v38, s24, v43
	s_and_saveexec_b32 s25, s0
	s_cbranch_execz .LBB194_52
; %bb.51:                               ;   in Loop: Header=BB194_45 Depth=1
	v_add_nc_u32_e32 v42, 1, v37
	v_cmp_gt_i32_e64 s1, s34, v37
	v_add_nc_u32_e32 v43, 2, v37
	v_add_nc_u32_e32 v44, 3, v37
	s_wait_alu 0xf1ff
	s_delay_alu instid0(VALU_DEP_3) | instskip(SKIP_2) | instid1(VALU_DEP_1)
	v_cndmask_b32_e64 v41, 0, v41, s1
	v_cmp_gt_i32_e64 s1, s34, v42
	s_wait_alu 0xf1ff
	v_cndmask_b32_e64 v40, 0, v40, s1
	v_cmp_gt_i32_e64 s1, s34, v43
	s_wait_alu 0xf1ff
	s_delay_alu instid0(VALU_DEP_1) | instskip(SKIP_2) | instid1(VALU_DEP_1)
	v_cndmask_b32_e64 v39, 0, v39, s1
	v_cmp_gt_i32_e64 s1, s34, v44
	s_wait_alu 0xf1ff
	v_cndmask_b32_e64 v38, 0, v38, s1
.LBB194_52:                             ;   in Loop: Header=BB194_45 Depth=1
	s_wait_alu 0xfffe
	s_or_b32 exec_lo, exec_lo, s25
	global_load_b32 v42, v[9:10], off offset:384
	s_wait_loadcnt 0x0
	v_lshrrev_b32_e32 v44, 16, v42
	s_delay_alu instid0(VALU_DEP_1) | instskip(SKIP_1) | instid1(VALU_DEP_1)
	v_cvt_pk_f32_fp8_e32 v[46:47], v44
	v_and_b32_e32 v43, 0xffff, v42
	v_cvt_pk_f32_fp8_e32 v[42:43], v43
	s_delay_alu instid0(VALU_DEP_1) | instskip(NEXT) | instid1(VALU_DEP_4)
	;; [unrolled: 33-line block ×4, first 2 shown]
	v_dual_mul_f32 v53, s19, v50 :: v_dual_mul_f32 v52, s24, v51
	v_dual_mul_f32 v51, s19, v54 :: v_dual_mul_f32 v50, s24, v55
	s_and_saveexec_b32 s25, s0
	s_cbranch_execz .LBB194_58
; %bb.57:                               ;   in Loop: Header=BB194_45 Depth=1
	v_add_nc_u32_e32 v54, 1, v37
	v_cmp_gt_i32_e64 s1, s34, v37
	v_add_nc_u32_e32 v55, 2, v37
	v_add_nc_u32_e32 v56, 3, v37
	s_wait_alu 0xf1ff
	s_delay_alu instid0(VALU_DEP_3) | instskip(SKIP_2) | instid1(VALU_DEP_1)
	v_cndmask_b32_e64 v53, 0, v53, s1
	v_cmp_gt_i32_e64 s1, s34, v54
	s_wait_alu 0xf1ff
	v_cndmask_b32_e64 v52, 0, v52, s1
	v_cmp_gt_i32_e64 s1, s34, v55
	s_wait_alu 0xf1ff
	s_delay_alu instid0(VALU_DEP_1) | instskip(SKIP_2) | instid1(VALU_DEP_1)
	v_cndmask_b32_e64 v51, 0, v51, s1
	v_cmp_gt_i32_e64 s1, s34, v56
	s_wait_alu 0xf1ff
	v_cndmask_b32_e64 v50, 0, v50, s1
.LBB194_58:                             ;   in Loop: Header=BB194_45 Depth=1
	s_wait_alu 0xfffe
	s_or_b32 exec_lo, exec_lo, s25
	global_load_b32 v9, v[9:10], off offset:768
	s_wait_loadcnt 0x0
	v_and_b32_e32 v10, 0xffff, v9
	v_lshrrev_b32_e32 v54, 16, v9
	s_delay_alu instid0(VALU_DEP_2) | instskip(NEXT) | instid1(VALU_DEP_2)
	v_cvt_pk_f32_fp8_e32 v[9:10], v10
	v_cvt_pk_f32_fp8_e32 v[56:57], v54
	s_delay_alu instid0(VALU_DEP_2) | instskip(NEXT) | instid1(VALU_DEP_2)
	v_dual_mul_f32 v55, s19, v9 :: v_dual_mul_f32 v54, s24, v10
	v_dual_mul_f32 v10, s19, v56 :: v_dual_mul_f32 v9, s24, v57
	s_and_saveexec_b32 s25, s0
	s_cbranch_execz .LBB194_60
; %bb.59:                               ;   in Loop: Header=BB194_45 Depth=1
	v_add_nc_u32_e32 v56, 1, v37
	v_cmp_gt_i32_e64 s1, s34, v37
	v_add_nc_u32_e32 v57, 2, v37
	v_add_nc_u32_e32 v58, 3, v37
	s_wait_alu 0xf1ff
	s_delay_alu instid0(VALU_DEP_3) | instskip(SKIP_2) | instid1(VALU_DEP_1)
	v_cndmask_b32_e64 v55, 0, v55, s1
	v_cmp_gt_i32_e64 s1, s34, v56
	s_wait_alu 0xf1ff
	v_cndmask_b32_e64 v54, 0, v54, s1
	v_cmp_gt_i32_e64 s1, s34, v57
	s_wait_alu 0xf1ff
	s_delay_alu instid0(VALU_DEP_1) | instskip(SKIP_2) | instid1(VALU_DEP_1)
	v_cndmask_b32_e64 v10, 0, v10, s1
	v_cmp_gt_i32_e64 s1, s34, v58
	s_wait_alu 0xf1ff
	v_cndmask_b32_e64 v9, 0, v9, s1
.LBB194_60:                             ;   in Loop: Header=BB194_45 Depth=1
	s_wait_alu 0xfffe
	s_or_b32 exec_lo, exec_lo, s25
	s_and_saveexec_b32 s25, vcc_lo
	s_cbranch_execz .LBB194_43
; %bb.61:                               ;   in Loop: Header=BB194_45 Depth=1
	v_add_co_u32 v7, s1, v7, v27
	s_wait_alu 0xf1ff
	v_add_co_ci_u32_e64 v8, null, 0, v8, s1
	global_load_b32 v7, v[7:8], off
	s_wait_loadcnt 0x0
	v_and_b32_e32 v8, 0xffff, v7
	v_lshrrev_b32_e32 v56, 16, v7
	s_delay_alu instid0(VALU_DEP_2) | instskip(NEXT) | instid1(VALU_DEP_2)
	v_cvt_pk_f32_fp8_e32 v[7:8], v8
	v_cvt_pk_f32_fp8_e32 v[58:59], v56
	s_delay_alu instid0(VALU_DEP_2) | instskip(NEXT) | instid1(VALU_DEP_2)
	v_dual_mul_f32 v57, s19, v7 :: v_dual_mul_f32 v56, s24, v8
	v_dual_mul_f32 v8, s19, v58 :: v_dual_mul_f32 v7, s24, v59
	s_and_saveexec_b32 s1, s0
	s_cbranch_execz .LBB194_42
; %bb.62:                               ;   in Loop: Header=BB194_45 Depth=1
	v_add_nc_u32_e32 v58, 1, v37
	v_cmp_gt_i32_e64 s0, s34, v37
	v_add_nc_u32_e32 v59, 2, v37
	v_add_nc_u32_e32 v37, 3, v37
	s_wait_alu 0xf1ff
	s_delay_alu instid0(VALU_DEP_3) | instskip(SKIP_2) | instid1(VALU_DEP_1)
	v_cndmask_b32_e64 v57, 0, v57, s0
	v_cmp_gt_i32_e64 s0, s34, v58
	s_wait_alu 0xf1ff
	v_cndmask_b32_e64 v56, 0, v56, s0
	v_cmp_gt_i32_e64 s0, s34, v59
	s_wait_alu 0xf1ff
	s_delay_alu instid0(VALU_DEP_1) | instskip(SKIP_2) | instid1(VALU_DEP_1)
	v_cndmask_b32_e64 v8, 0, v8, s0
	v_cmp_gt_i32_e64 s0, s34, v37
	s_wait_alu 0xf1ff
	v_cndmask_b32_e64 v7, 0, v7, s0
	s_branch .LBB194_42
.LBB194_63:
	s_or_b32 exec_lo, exec_lo, s13
.LBB194_64:
	s_delay_alu instid0(SALU_CYCLE_1)
	s_or_b32 exec_lo, exec_lo, s4
	ds_bpermute_b32 v1, v15, v23
	ds_bpermute_b32 v3, v15, v24
	ds_bpermute_b32 v4, v15, v22
	ds_bpermute_b32 v5, v15, v21
	ds_bpermute_b32 v6, v15, v20
	ds_bpermute_b32 v7, v15, v19
	ds_bpermute_b32 v8, v15, v18
	ds_bpermute_b32 v10, v15, v17
	s_movk_i32 s0, 0x1e0
	v_and_b32_e32 v12, 0x3c0, v0
	s_wait_alu 0xfffe
	v_mad_u32_u24 v9, v11, s0, 0x200
	s_mov_b32 s1, exec_lo
	v_cmp_eq_u32_e32 vcc_lo, 0, v16
	s_wait_storecnt 0x0
	s_wait_loadcnt_dscnt 0x0
	s_barrier_signal -1
	s_barrier_wait -1
	global_inv scope:SCOPE_SE
	v_dual_add_f32 v2, v23, v1 :: v_dual_add_f32 v3, v24, v3
	v_dual_add_f32 v4, v22, v4 :: v_dual_add_f32 v5, v21, v5
	;; [unrolled: 1-line block ×4, first 2 shown]
	v_cmpx_eq_u32_e32 64, v12
	s_cbranch_execz .LBB194_69
; %bb.65:
	v_add_nc_u32_e32 v10, 0xfffffc40, v9
	s_and_saveexec_b32 s0, vcc_lo
	s_cbranch_execz .LBB194_67
; %bb.66:
	s_delay_alu instid0(VALU_DEP_1)
	v_lshl_add_u32 v11, v14, 2, v10
	ds_store_2addr_b32 v11, v2, v3 offset1:16
	ds_store_2addr_b32 v11, v4, v5 offset0:32 offset1:48
	ds_store_2addr_b32 v11, v6, v7 offset0:64 offset1:80
	ds_store_b32 v11, v8 offset:384
.LBB194_67:
	s_wait_alu 0xfffe
	s_or_b32 exec_lo, exec_lo, s0
	v_or_b32_e32 v11, 0x70, v14
	s_delay_alu instid0(VALU_DEP_1)
	v_cmp_gt_u32_e64 s0, 0x78, v11
	s_and_b32 s0, vcc_lo, s0
	s_wait_alu 0xfffe
	s_and_b32 exec_lo, exec_lo, s0
; %bb.68:
	v_lshl_add_u32 v10, v11, 2, v10
	ds_store_b32 v10, v1
.LBB194_69:
	s_wait_alu 0xfffe
	s_or_b32 exec_lo, exec_lo, s1
	s_delay_alu instid0(SALU_CYCLE_1)
	s_mov_b32 s1, exec_lo
	s_wait_loadcnt_dscnt 0x0
	s_barrier_signal -1
	s_barrier_wait -1
	global_inv scope:SCOPE_SE
	v_cmpx_gt_u32_e32 64, v0
	s_cbranch_execz .LBB194_81
; %bb.70:
	s_and_saveexec_b32 s0, vcc_lo
	s_cbranch_execnz .LBB194_104
; %bb.71:
	s_wait_alu 0xfffe
	s_or_b32 exec_lo, exec_lo, s0
	s_and_saveexec_b32 s0, vcc_lo
	s_cbranch_execnz .LBB194_105
.LBB194_72:
	s_wait_alu 0xfffe
	s_or_b32 exec_lo, exec_lo, s0
	s_and_saveexec_b32 s0, vcc_lo
	s_cbranch_execnz .LBB194_106
.LBB194_73:
	s_wait_alu 0xfffe
	s_or_b32 exec_lo, exec_lo, s0
	s_and_saveexec_b32 s0, vcc_lo
	s_cbranch_execnz .LBB194_107
.LBB194_74:
	s_wait_alu 0xfffe
	s_or_b32 exec_lo, exec_lo, s0
	s_and_saveexec_b32 s0, vcc_lo
	s_cbranch_execnz .LBB194_108
.LBB194_75:
	s_wait_alu 0xfffe
	s_or_b32 exec_lo, exec_lo, s0
	s_and_saveexec_b32 s0, vcc_lo
	s_cbranch_execnz .LBB194_109
.LBB194_76:
	s_wait_alu 0xfffe
	s_or_b32 exec_lo, exec_lo, s0
	s_and_saveexec_b32 s0, vcc_lo
	s_cbranch_execz .LBB194_78
.LBB194_77:
	v_lshl_add_u32 v10, v14, 2, v9
	ds_load_b32 v10, v10 offset:384
	s_wait_dscnt 0x0
	v_add_f32_e32 v8, v8, v10
.LBB194_78:
	s_wait_alu 0xfffe
	s_or_b32 exec_lo, exec_lo, s0
	v_or_b32_e32 v10, 0x70, v14
	s_delay_alu instid0(VALU_DEP_1)
	v_cmp_gt_u32_e64 s0, 0x78, v10
	s_and_b32 s2, vcc_lo, s0
	s_wait_alu 0xfffe
	s_and_saveexec_b32 s0, s2
	s_cbranch_execz .LBB194_80
; %bb.79:
	v_lshl_add_u32 v10, v14, 2, v9
	ds_load_b32 v10, v10 offset:448
	s_wait_dscnt 0x0
	v_add_f32_e32 v1, v1, v10
.LBB194_80:
	s_wait_alu 0xfffe
	s_or_b32 exec_lo, exec_lo, s0
.LBB194_81:
	s_wait_alu 0xfffe
	s_or_b32 exec_lo, exec_lo, s1
	v_and_b32_e32 v10, 0x3e0, v0
	s_mov_b32 s1, exec_lo
	s_wait_loadcnt 0x0
	s_barrier_signal -1
	s_barrier_wait -1
	global_inv scope:SCOPE_SE
	v_cmpx_eq_u32_e32 32, v10
	s_cbranch_execz .LBB194_86
; %bb.82:
	v_lshl_add_u32 v10, v14, 2, 0x200
	s_and_saveexec_b32 s0, vcc_lo
	s_cbranch_execz .LBB194_84
; %bb.83:
	ds_store_2addr_b32 v10, v2, v3 offset1:16
	ds_store_2addr_b32 v10, v4, v5 offset0:32 offset1:48
	ds_store_2addr_b32 v10, v6, v7 offset0:64 offset1:80
	ds_store_b32 v10, v8 offset:384
.LBB194_84:
	s_wait_alu 0xfffe
	s_or_b32 exec_lo, exec_lo, s0
	v_or_b32_e32 v11, 0x70, v14
	s_delay_alu instid0(VALU_DEP_1)
	v_cmp_gt_u32_e64 s0, 0x78, v11
	s_and_b32 s0, vcc_lo, s0
	s_wait_alu 0xfffe
	s_and_b32 exec_lo, exec_lo, s0
; %bb.85:
	ds_store_b32 v10, v1 offset:448
.LBB194_86:
	s_wait_alu 0xfffe
	s_or_b32 exec_lo, exec_lo, s1
	v_cmp_gt_u32_e64 s0, 32, v0
	s_wait_loadcnt_dscnt 0x0
	s_barrier_signal -1
	s_barrier_wait -1
	global_inv scope:SCOPE_SE
	s_and_saveexec_b32 s2, s0
	s_cbranch_execz .LBB194_98
; %bb.87:
	v_lshl_add_u32 v9, v14, 2, v9
	s_and_saveexec_b32 s1, vcc_lo
	s_cbranch_execnz .LBB194_110
; %bb.88:
	s_wait_alu 0xfffe
	s_or_b32 exec_lo, exec_lo, s1
	s_and_saveexec_b32 s1, vcc_lo
	s_cbranch_execnz .LBB194_111
.LBB194_89:
	s_wait_alu 0xfffe
	s_or_b32 exec_lo, exec_lo, s1
	s_and_saveexec_b32 s1, vcc_lo
	s_cbranch_execnz .LBB194_112
.LBB194_90:
	s_wait_alu 0xfffe
	s_or_b32 exec_lo, exec_lo, s1
	s_and_saveexec_b32 s1, vcc_lo
	s_cbranch_execnz .LBB194_113
.LBB194_91:
	s_wait_alu 0xfffe
	s_or_b32 exec_lo, exec_lo, s1
	s_and_saveexec_b32 s1, vcc_lo
	s_cbranch_execnz .LBB194_114
.LBB194_92:
	s_wait_alu 0xfffe
	s_or_b32 exec_lo, exec_lo, s1
	s_and_saveexec_b32 s1, vcc_lo
	s_cbranch_execnz .LBB194_115
.LBB194_93:
	s_wait_alu 0xfffe
	s_or_b32 exec_lo, exec_lo, s1
	s_and_saveexec_b32 s1, vcc_lo
	s_cbranch_execz .LBB194_95
.LBB194_94:
	ds_load_b32 v10, v9 offset:384
	s_wait_dscnt 0x0
	v_add_f32_e32 v8, v8, v10
.LBB194_95:
	s_wait_alu 0xfffe
	s_or_b32 exec_lo, exec_lo, s1
	v_or_b32_e32 v10, 0x70, v14
	s_delay_alu instid0(VALU_DEP_1)
	v_cmp_gt_u32_e64 s1, 0x78, v10
	s_and_b32 s3, vcc_lo, s1
	s_wait_alu 0xfffe
	s_and_saveexec_b32 s1, s3
	s_cbranch_execz .LBB194_97
; %bb.96:
	ds_load_b32 v9, v9 offset:448
	s_wait_dscnt 0x0
	v_add_f32_e32 v1, v1, v9
.LBB194_97:
	s_wait_alu 0xfffe
	s_or_b32 exec_lo, exec_lo, s1
.LBB194_98:
	s_wait_alu 0xfffe
	s_or_b32 exec_lo, exec_lo, s2
	s_wait_loadcnt 0x0
	s_barrier_signal -1
	s_barrier_wait -1
	global_inv scope:SCOPE_SE
	s_and_saveexec_b32 s1, s0
	s_cbranch_execz .LBB194_103
; %bb.99:
	s_mul_i32 s0, s18, 0x78
	s_mul_i32 s2, s12, s20
	s_wait_alu 0xfffe
	s_ashr_i32 s1, s0, 31
	v_lshrrev_b32_e32 v9, 1, v0
	s_ashr_i32 s3, s2, 31
	s_wait_alu 0xfffe
	s_lshl_b64 s[0:1], s[0:1], 2
	s_lshl_b64 s[2:3], s[2:3], 2
	s_wait_alu 0xfffe
	s_add_nc_u64 s[0:1], s[8:9], s[0:1]
	v_lshlrev_b32_e32 v0, 2, v9
	s_wait_alu 0xfffe
	s_add_nc_u64 s[0:1], s[0:1], s[2:3]
	s_mul_i32 s2, s33, 0x1e0
	s_mov_b32 s3, 0
	s_wait_alu 0xfffe
	s_add_nc_u64 s[2:3], s[0:1], s[2:3]
	s_and_saveexec_b32 s0, vcc_lo
	s_cbranch_execz .LBB194_101
; %bb.100:
	s_clause 0x6
	global_store_b32 v0, v2, s[2:3]
	global_store_b32 v0, v3, s[2:3] offset:64
	global_store_b32 v0, v4, s[2:3] offset:128
	;; [unrolled: 1-line block ×6, first 2 shown]
.LBB194_101:
	s_wait_alu 0xfffe
	s_or_b32 exec_lo, exec_lo, s0
	v_or_b32_e32 v2, 0x70, v9
	s_delay_alu instid0(VALU_DEP_1)
	v_cmp_gt_u32_e64 s0, 0x78, v2
	s_and_b32 s0, vcc_lo, s0
	s_wait_alu 0xfffe
	s_and_b32 exec_lo, exec_lo, s0
	s_cbranch_execz .LBB194_103
; %bb.102:
	global_store_b32 v0, v1, s[2:3] offset:448
.LBB194_103:
	s_endpgm
.LBB194_104:
	v_lshl_add_u32 v10, v14, 2, v9
	ds_load_b32 v10, v10
	s_wait_dscnt 0x0
	v_add_f32_e32 v2, v2, v10
	s_wait_alu 0xfffe
	s_or_b32 exec_lo, exec_lo, s0
	s_and_saveexec_b32 s0, vcc_lo
	s_cbranch_execz .LBB194_72
.LBB194_105:
	v_lshl_add_u32 v10, v14, 2, v9
	ds_load_b32 v10, v10 offset:64
	s_wait_dscnt 0x0
	v_add_f32_e32 v3, v3, v10
	s_wait_alu 0xfffe
	s_or_b32 exec_lo, exec_lo, s0
	s_and_saveexec_b32 s0, vcc_lo
	s_cbranch_execz .LBB194_73
.LBB194_106:
	v_lshl_add_u32 v10, v14, 2, v9
	ds_load_b32 v10, v10 offset:128
	s_wait_dscnt 0x0
	v_add_f32_e32 v4, v4, v10
	s_wait_alu 0xfffe
	s_or_b32 exec_lo, exec_lo, s0
	s_and_saveexec_b32 s0, vcc_lo
	s_cbranch_execz .LBB194_74
.LBB194_107:
	v_lshl_add_u32 v10, v14, 2, v9
	ds_load_b32 v10, v10 offset:192
	s_wait_dscnt 0x0
	v_add_f32_e32 v5, v5, v10
	s_wait_alu 0xfffe
	s_or_b32 exec_lo, exec_lo, s0
	s_and_saveexec_b32 s0, vcc_lo
	s_cbranch_execz .LBB194_75
.LBB194_108:
	v_lshl_add_u32 v10, v14, 2, v9
	ds_load_b32 v10, v10 offset:256
	s_wait_dscnt 0x0
	v_add_f32_e32 v6, v6, v10
	s_wait_alu 0xfffe
	s_or_b32 exec_lo, exec_lo, s0
	s_and_saveexec_b32 s0, vcc_lo
	s_cbranch_execz .LBB194_76
.LBB194_109:
	v_lshl_add_u32 v10, v14, 2, v9
	ds_load_b32 v10, v10 offset:320
	s_wait_dscnt 0x0
	v_add_f32_e32 v7, v7, v10
	s_wait_alu 0xfffe
	s_or_b32 exec_lo, exec_lo, s0
	s_and_saveexec_b32 s0, vcc_lo
	s_cbranch_execnz .LBB194_77
	s_branch .LBB194_78
.LBB194_110:
	ds_load_b32 v10, v9
	s_wait_dscnt 0x0
	v_add_f32_e32 v2, v2, v10
	s_wait_alu 0xfffe
	s_or_b32 exec_lo, exec_lo, s1
	s_and_saveexec_b32 s1, vcc_lo
	s_cbranch_execz .LBB194_89
.LBB194_111:
	ds_load_b32 v10, v9 offset:64
	s_wait_dscnt 0x0
	v_add_f32_e32 v3, v3, v10
	s_wait_alu 0xfffe
	s_or_b32 exec_lo, exec_lo, s1
	s_and_saveexec_b32 s1, vcc_lo
	s_cbranch_execz .LBB194_90
.LBB194_112:
	ds_load_b32 v10, v9 offset:128
	s_wait_dscnt 0x0
	v_add_f32_e32 v4, v4, v10
	s_wait_alu 0xfffe
	s_or_b32 exec_lo, exec_lo, s1
	s_and_saveexec_b32 s1, vcc_lo
	s_cbranch_execz .LBB194_91
.LBB194_113:
	ds_load_b32 v10, v9 offset:192
	s_wait_dscnt 0x0
	v_add_f32_e32 v5, v5, v10
	s_wait_alu 0xfffe
	s_or_b32 exec_lo, exec_lo, s1
	s_and_saveexec_b32 s1, vcc_lo
	s_cbranch_execz .LBB194_92
.LBB194_114:
	ds_load_b32 v10, v9 offset:256
	s_wait_dscnt 0x0
	v_add_f32_e32 v6, v6, v10
	s_wait_alu 0xfffe
	s_or_b32 exec_lo, exec_lo, s1
	s_and_saveexec_b32 s1, vcc_lo
	s_cbranch_execz .LBB194_93
.LBB194_115:
	ds_load_b32 v10, v9 offset:320
	s_wait_dscnt 0x0
	v_add_f32_e32 v7, v7, v10
	s_wait_alu 0xfffe
	s_or_b32 exec_lo, exec_lo, s1
	s_and_saveexec_b32 s1, vcc_lo
	s_cbranch_execnz .LBB194_94
	s_branch .LBB194_95
	.section	.rodata,"a",@progbits
	.p2align	6, 0x0
	.amdhsa_kernel _ZN4vllm25paged_attention_v2_kernelIfhLi120ELi8ELi128ELNS_18Fp8KVCacheDataTypeE1ELb1ELi512EEEvPfS2_PT_PKS3_PKT0_S9_ifPKiSB_iPKfiiiSD_SD_iiiii
		.amdhsa_group_segment_fixed_size 512
		.amdhsa_private_segment_fixed_size 0
		.amdhsa_kernarg_size 400
		.amdhsa_user_sgpr_count 2
		.amdhsa_user_sgpr_dispatch_ptr 0
		.amdhsa_user_sgpr_queue_ptr 0
		.amdhsa_user_sgpr_kernarg_segment_ptr 1
		.amdhsa_user_sgpr_dispatch_id 0
		.amdhsa_user_sgpr_private_segment_size 0
		.amdhsa_wavefront_size32 1
		.amdhsa_uses_dynamic_stack 0
		.amdhsa_enable_private_segment 0
		.amdhsa_system_sgpr_workgroup_id_x 1
		.amdhsa_system_sgpr_workgroup_id_y 1
		.amdhsa_system_sgpr_workgroup_id_z 1
		.amdhsa_system_sgpr_workgroup_info 0
		.amdhsa_system_vgpr_workitem_id 0
		.amdhsa_next_free_vgpr 60
		.amdhsa_next_free_sgpr 45
		.amdhsa_reserve_vcc 1
		.amdhsa_float_round_mode_32 0
		.amdhsa_float_round_mode_16_64 0
		.amdhsa_float_denorm_mode_32 3
		.amdhsa_float_denorm_mode_16_64 3
		.amdhsa_fp16_overflow 0
		.amdhsa_workgroup_processor_mode 1
		.amdhsa_memory_ordered 1
		.amdhsa_forward_progress 1
		.amdhsa_inst_pref_size 64
		.amdhsa_round_robin_scheduling 0
		.amdhsa_exception_fp_ieee_invalid_op 0
		.amdhsa_exception_fp_denorm_src 0
		.amdhsa_exception_fp_ieee_div_zero 0
		.amdhsa_exception_fp_ieee_overflow 0
		.amdhsa_exception_fp_ieee_underflow 0
		.amdhsa_exception_fp_ieee_inexact 0
		.amdhsa_exception_int_div_zero 0
	.end_amdhsa_kernel
	.section	.text._ZN4vllm25paged_attention_v2_kernelIfhLi120ELi8ELi128ELNS_18Fp8KVCacheDataTypeE1ELb1ELi512EEEvPfS2_PT_PKS3_PKT0_S9_ifPKiSB_iPKfiiiSD_SD_iiiii,"axG",@progbits,_ZN4vllm25paged_attention_v2_kernelIfhLi120ELi8ELi128ELNS_18Fp8KVCacheDataTypeE1ELb1ELi512EEEvPfS2_PT_PKS3_PKT0_S9_ifPKiSB_iPKfiiiSD_SD_iiiii,comdat
.Lfunc_end194:
	.size	_ZN4vllm25paged_attention_v2_kernelIfhLi120ELi8ELi128ELNS_18Fp8KVCacheDataTypeE1ELb1ELi512EEEvPfS2_PT_PKS3_PKT0_S9_ifPKiSB_iPKfiiiSD_SD_iiiii, .Lfunc_end194-_ZN4vllm25paged_attention_v2_kernelIfhLi120ELi8ELi128ELNS_18Fp8KVCacheDataTypeE1ELb1ELi512EEEvPfS2_PT_PKS3_PKT0_S9_ifPKiSB_iPKfiiiSD_SD_iiiii
                                        ; -- End function
	.set _ZN4vllm25paged_attention_v2_kernelIfhLi120ELi8ELi128ELNS_18Fp8KVCacheDataTypeE1ELb1ELi512EEEvPfS2_PT_PKS3_PKT0_S9_ifPKiSB_iPKfiiiSD_SD_iiiii.num_vgpr, 60
	.set _ZN4vllm25paged_attention_v2_kernelIfhLi120ELi8ELi128ELNS_18Fp8KVCacheDataTypeE1ELb1ELi512EEEvPfS2_PT_PKS3_PKT0_S9_ifPKiSB_iPKfiiiSD_SD_iiiii.num_agpr, 0
	.set _ZN4vllm25paged_attention_v2_kernelIfhLi120ELi8ELi128ELNS_18Fp8KVCacheDataTypeE1ELb1ELi512EEEvPfS2_PT_PKS3_PKT0_S9_ifPKiSB_iPKfiiiSD_SD_iiiii.numbered_sgpr, 45
	.set _ZN4vllm25paged_attention_v2_kernelIfhLi120ELi8ELi128ELNS_18Fp8KVCacheDataTypeE1ELb1ELi512EEEvPfS2_PT_PKS3_PKT0_S9_ifPKiSB_iPKfiiiSD_SD_iiiii.num_named_barrier, 0
	.set _ZN4vllm25paged_attention_v2_kernelIfhLi120ELi8ELi128ELNS_18Fp8KVCacheDataTypeE1ELb1ELi512EEEvPfS2_PT_PKS3_PKT0_S9_ifPKiSB_iPKfiiiSD_SD_iiiii.private_seg_size, 0
	.set _ZN4vllm25paged_attention_v2_kernelIfhLi120ELi8ELi128ELNS_18Fp8KVCacheDataTypeE1ELb1ELi512EEEvPfS2_PT_PKS3_PKT0_S9_ifPKiSB_iPKfiiiSD_SD_iiiii.uses_vcc, 1
	.set _ZN4vllm25paged_attention_v2_kernelIfhLi120ELi8ELi128ELNS_18Fp8KVCacheDataTypeE1ELb1ELi512EEEvPfS2_PT_PKS3_PKT0_S9_ifPKiSB_iPKfiiiSD_SD_iiiii.uses_flat_scratch, 0
	.set _ZN4vllm25paged_attention_v2_kernelIfhLi120ELi8ELi128ELNS_18Fp8KVCacheDataTypeE1ELb1ELi512EEEvPfS2_PT_PKS3_PKT0_S9_ifPKiSB_iPKfiiiSD_SD_iiiii.has_dyn_sized_stack, 0
	.set _ZN4vllm25paged_attention_v2_kernelIfhLi120ELi8ELi128ELNS_18Fp8KVCacheDataTypeE1ELb1ELi512EEEvPfS2_PT_PKS3_PKT0_S9_ifPKiSB_iPKfiiiSD_SD_iiiii.has_recursion, 0
	.set _ZN4vllm25paged_attention_v2_kernelIfhLi120ELi8ELi128ELNS_18Fp8KVCacheDataTypeE1ELb1ELi512EEEvPfS2_PT_PKS3_PKT0_S9_ifPKiSB_iPKfiiiSD_SD_iiiii.has_indirect_call, 0
	.section	.AMDGPU.csdata,"",@progbits
; Kernel info:
; codeLenInByte = 8124
; TotalNumSgprs: 47
; NumVgprs: 60
; ScratchSize: 0
; MemoryBound: 0
; FloatMode: 240
; IeeeMode: 1
; LDSByteSize: 512 bytes/workgroup (compile time only)
; SGPRBlocks: 0
; VGPRBlocks: 7
; NumSGPRsForWavesPerEU: 47
; NumVGPRsForWavesPerEU: 60
; Occupancy: 16
; WaveLimiterHint : 1
; COMPUTE_PGM_RSRC2:SCRATCH_EN: 0
; COMPUTE_PGM_RSRC2:USER_SGPR: 2
; COMPUTE_PGM_RSRC2:TRAP_HANDLER: 0
; COMPUTE_PGM_RSRC2:TGID_X_EN: 1
; COMPUTE_PGM_RSRC2:TGID_Y_EN: 1
; COMPUTE_PGM_RSRC2:TGID_Z_EN: 1
; COMPUTE_PGM_RSRC2:TIDIG_COMP_CNT: 0
	.section	.text._ZN4vllm25paged_attention_v2_kernelIfhLi128ELi8ELi128ELNS_18Fp8KVCacheDataTypeE1ELb1ELi512EEEvPfS2_PT_PKS3_PKT0_S9_ifPKiSB_iPKfiiiSD_SD_iiiii,"axG",@progbits,_ZN4vllm25paged_attention_v2_kernelIfhLi128ELi8ELi128ELNS_18Fp8KVCacheDataTypeE1ELb1ELi512EEEvPfS2_PT_PKS3_PKT0_S9_ifPKiSB_iPKfiiiSD_SD_iiiii,comdat
	.protected	_ZN4vllm25paged_attention_v2_kernelIfhLi128ELi8ELi128ELNS_18Fp8KVCacheDataTypeE1ELb1ELi512EEEvPfS2_PT_PKS3_PKT0_S9_ifPKiSB_iPKfiiiSD_SD_iiiii ; -- Begin function _ZN4vllm25paged_attention_v2_kernelIfhLi128ELi8ELi128ELNS_18Fp8KVCacheDataTypeE1ELb1ELi512EEEvPfS2_PT_PKS3_PKT0_S9_ifPKiSB_iPKfiiiSD_SD_iiiii
	.globl	_ZN4vllm25paged_attention_v2_kernelIfhLi128ELi8ELi128ELNS_18Fp8KVCacheDataTypeE1ELb1ELi512EEEvPfS2_PT_PKS3_PKT0_S9_ifPKiSB_iPKfiiiSD_SD_iiiii
	.p2align	8
	.type	_ZN4vllm25paged_attention_v2_kernelIfhLi128ELi8ELi128ELNS_18Fp8KVCacheDataTypeE1ELb1ELi512EEEvPfS2_PT_PKS3_PKT0_S9_ifPKiSB_iPKfiiiSD_SD_iiiii,@function
_ZN4vllm25paged_attention_v2_kernelIfhLi128ELi8ELi128ELNS_18Fp8KVCacheDataTypeE1ELb1ELi512EEEvPfS2_PT_PKS3_PKT0_S9_ifPKiSB_iPKfiiiSD_SD_iiiii: ; @_ZN4vllm25paged_attention_v2_kernelIfhLi128ELi8ELi128ELNS_18Fp8KVCacheDataTypeE1ELb1ELi512EEEvPfS2_PT_PKS3_PKT0_S9_ifPKiSB_iPKfiiiSD_SD_iiiii
; %bb.0:
	s_load_b64 s[2:3], s[0:1], 0x40
	s_and_b32 s19, ttmp7, 0xffff
	s_lshr_b32 s33, ttmp7, 16
	s_lshl_b32 s4, s19, 2
	s_lshl_b32 s20, s33, 9
	s_wait_kmcnt 0x0
	s_load_b32 s21, s[2:3], s4 offset:0x0
	s_wait_kmcnt 0x0
	s_cmp_ge_i32 s20, s21
	s_cbranch_scc1 .LBB195_88
; %bb.1:
	s_clause 0x1
	s_load_b32 s36, s[0:1], 0x90
	s_load_b64 s[6:7], s[0:1], 0x30
	s_wait_kmcnt 0x0
	s_abs_i32 s5, s36
	s_abs_i32 s2, s6
	s_delay_alu instid0(SALU_CYCLE_1) | instskip(SKIP_1) | instid1(SALU_CYCLE_2)
	s_cvt_f32_u32 s3, s2
	s_sub_co_i32 s4, 0, s2
	v_rcp_iflag_f32_e32 v1, s3
	s_delay_alu instid0(TRANS32_DEP_1) | instskip(SKIP_2) | instid1(SALU_CYCLE_2)
	v_readfirstlane_b32 s3, v1
	s_mul_f32 s3, s3, 0x4f7ffffe
	s_wait_alu 0xfffe
	s_cvt_u32_f32 s3, s3
	s_wait_alu 0xfffe
	s_delay_alu instid0(SALU_CYCLE_2) | instskip(NEXT) | instid1(SALU_CYCLE_1)
	s_mul_i32 s4, s4, s3
	s_mul_hi_u32 s4, s3, s4
	s_delay_alu instid0(SALU_CYCLE_1)
	s_add_co_i32 s3, s3, s4
	s_xor_b32 s4, s36, s6
	s_wait_alu 0xfffe
	s_mul_hi_u32 s3, s5, s3
	s_ashr_i32 s4, s4, 31
	s_wait_alu 0xfffe
	s_mul_i32 s8, s3, s2
	s_delay_alu instid0(SALU_CYCLE_1)
	s_sub_co_i32 s5, s5, s8
	s_add_co_i32 s8, s3, 1
	s_sub_co_i32 s9, s5, s2
	s_cmp_ge_u32 s5, s2
	s_cselect_b32 s3, s8, s3
	s_cselect_b32 s5, s9, s5
	s_wait_alu 0xfffe
	s_add_co_i32 s8, s3, 1
	s_cmp_ge_u32 s5, s2
	s_cselect_b32 s2, s8, s3
	s_load_b64 s[8:9], s[0:1], 0x50
	s_xor_b32 s2, s2, s4
	s_mov_b32 s3, 0
	s_wait_alu 0xfffe
	s_sub_co_i32 s11, s2, s4
	s_mov_b32 s34, s3
	s_abs_i32 s10, s11
	s_delay_alu instid0(SALU_CYCLE_1) | instskip(SKIP_1) | instid1(SALU_CYCLE_2)
	s_cvt_f32_u32 s2, s10
	s_wait_alu 0xfffe
	v_rcp_iflag_f32_e32 v1, s2
	s_delay_alu instid0(TRANS32_DEP_1) | instskip(SKIP_2) | instid1(SALU_CYCLE_2)
	v_readfirstlane_b32 s2, v1
	s_mul_f32 s2, s2, 0x4f7ffffe
	s_wait_alu 0xfffe
	s_cvt_u32_f32 s4, s2
	s_sub_co_i32 s2, 0, s10
	s_wait_alu 0xfffe
	s_delay_alu instid0(SALU_CYCLE_1)
	s_mul_i32 s2, s2, s4
	s_wait_alu 0xfffe
	s_mul_hi_u32 s5, s4, s2
	s_abs_i32 s2, ttmp9
	s_add_co_i32 s4, s4, s5
	s_mov_b32 s5, s3
	s_wait_kmcnt 0x0
	s_cmp_eq_u64 s[8:9], 0
	s_cbranch_scc1 .LBB195_3
; %bb.2:
	s_mov_b32 s12, ttmp9
	s_ashr_i32 s13, ttmp9, 31
	s_delay_alu instid0(SALU_CYCLE_1) | instskip(NEXT) | instid1(SALU_CYCLE_1)
	s_lshl_b64 s[12:13], s[12:13], 2
	s_add_nc_u64 s[8:9], s[8:9], s[12:13]
	s_load_b32 s34, s[8:9], 0x0
.LBB195_3:
	s_load_b96 s[16:18], s[0:1], 0x58
	v_and_b32_e32 v1, 3, v0
	v_lshlrev_b32_e32 v5, 2, v0
	s_mul_u64 s[4:5], s[2:3], s[4:5]
	s_ashr_i32 s3, ttmp9, 31
	s_ashr_i32 s4, s11, 31
	s_lshl_b32 s22, ttmp9, 7
	s_mov_b32 s8, exec_lo
	v_cmpx_gt_u32_e32 0x80, v0
	s_cbranch_execz .LBB195_5
; %bb.4:
	s_load_b64 s[12:13], s[0:1], 0x18
	s_wait_kmcnt 0x0
	s_mul_i32 s14, s16, s19
	s_ashr_i32 s23, s22, 31
	s_ashr_i32 s15, s14, 31
	v_and_b32_e32 v3, 0x3fc, v0
	s_lshl_b64 s[14:15], s[14:15], 2
	s_delay_alu instid0(VALU_DEP_1) | instskip(SKIP_2) | instid1(SALU_CYCLE_1)
	v_lshl_add_u32 v3, v1, 7, v3
	s_add_nc_u64 s[12:13], s[12:13], s[14:15]
	s_lshl_b64 s[14:15], s[22:23], 2
	s_add_nc_u64 s[12:13], s[12:13], s[14:15]
	global_load_b32 v2, v5, s[12:13]
	s_wait_loadcnt 0x0
	ds_store_b32 v3, v2
.LBB195_5:
	s_or_b32 exec_lo, exec_lo, s8
	s_load_b128 s[12:15], s[0:1], 0x78
	s_mul_i32 s8, s5, s10
	s_xor_b32 s3, s3, s4
	s_sub_co_i32 s2, s2, s8
	s_add_co_i32 s4, s5, 1
	s_wait_alu 0xfffe
	s_sub_co_i32 s8, s2, s10
	s_cmp_ge_u32 s2, s10
                                        ; implicit-def: $sgpr23
	s_cselect_b32 s4, s4, s5
	s_cselect_b32 s2, s8, s2
	s_add_co_i32 s5, s4, 1
	s_wait_alu 0xfffe
	s_cmp_ge_u32 s2, s10
	s_load_b32 s8, s[0:1], 0x88
	s_cselect_b32 s2, s5, s4
	s_add_co_i32 s9, s21, -1
	s_wait_alu 0xfffe
	s_xor_b32 s2, s2, s3
	s_mov_b32 s10, -1
	s_wait_alu 0xfffe
	s_sub_co_i32 s30, s2, s3
	s_wait_dscnt 0x0
	s_barrier_signal -1
	s_wait_kmcnt 0x0
	s_abs_i32 s16, s15
	s_barrier_wait -1
	s_cvt_f32_u32 s4, s16
	global_inv scope:SCOPE_SE
	v_rcp_iflag_f32_e32 v2, s4
	s_delay_alu instid0(TRANS32_DEP_1) | instskip(SKIP_2) | instid1(SALU_CYCLE_2)
	v_readfirstlane_b32 s4, v2
	s_mul_f32 s2, s4, 0x4f7ffffe
	s_wait_alu 0xfffe
	s_cvt_u32_f32 s4, s2
	s_sub_co_i32 s2, 0, s16
	s_wait_alu 0xfffe
	s_delay_alu instid0(SALU_CYCLE_1)
	s_mul_i32 s3, s2, s4
	s_abs_i32 s2, s9
	s_wait_alu 0xfffe
	s_mul_hi_u32 s5, s4, s3
	s_mov_b32 s3, 0
	s_wait_alu 0xfffe
	s_add_co_i32 s24, s4, s5
	s_cmp_lt_i32 s8, 0
	s_mov_b32 s25, s3
	s_cbranch_scc0 .LBB195_7
; %bb.6:
	s_mul_i32 s4, s12, s6
	s_mov_b32 s10, s3
	s_wait_alu 0xfffe
	s_add_co_i32 s4, s30, s4
	s_wait_alu 0xfffe
	s_mul_i32 s4, s4, s8
	s_wait_alu 0xfffe
	s_sub_co_i32 s23, 1, s4
.LBB195_7:
	s_mul_u64 s[4:5], s[2:3], s[24:25]
	s_ashr_i32 s3, s9, 31
	s_and_not1_b32 vcc_lo, exec_lo, s10
	s_ashr_i32 s15, s15, 31
	s_cbranch_vccnz .LBB195_9
; %bb.8:
	s_mul_i32 s4, s36, s12
	s_wait_alu 0xfffe
	s_add_co_i32 s4, s4, ttmp9
	s_wait_alu 0xfffe
	s_mul_i32 s4, s4, s8
	s_wait_alu 0xfffe
	s_add_co_i32 s23, s4, 1
.LBB195_9:
	s_clause 0x3
	s_load_b32 s4, s[0:1], 0x48
	s_load_b64 s[26:27], s[0:1], 0x38
	s_load_b32 s12, s[0:1], 0x98
	s_load_b128 s[8:11], s[0:1], 0x68
	s_mul_i32 s6, s5, s16
	s_xor_b32 s3, s3, s15
	s_sub_co_i32 s2, s2, s6
	s_add_co_i32 s25, s5, 1
	v_lshrrev_b32_e32 v11, 5, v0
	v_mov_b32_e32 v10, 0xff7fffff
	v_mbcnt_lo_u32_b32 v7, -1, 0
	s_mul_i32 s30, s30, s18
	s_delay_alu instid0(VALU_DEP_3)
	v_lshl_add_u32 v12, v11, 3, s20
	s_wait_kmcnt 0x0
	s_mul_i32 s28, s4, s19
	s_wait_alu 0xfffe
	s_sub_co_i32 s4, s2, s16
	s_ashr_i32 s29, s28, 31
	s_cmp_ge_u32 s2, s16
	s_cselect_b32 s5, s25, s5
	s_wait_alu 0xfffe
	s_cselect_b32 s2, s4, s2
	s_add_co_i32 s4, s5, 1
	s_wait_alu 0xfffe
	s_cmp_ge_u32 s2, s16
	s_cselect_b32 s2, s4, s5
	s_add_co_i32 s4, s21, 7
	s_lshl_b32 s39, s33, 6
	s_wait_alu 0xfffe
	s_ashr_i32 s5, s4, 31
	v_or_b32_e32 v13, s39, v11
	s_wait_alu 0xfffe
	s_lshr_b32 s5, s5, 29
	s_wait_alu 0xfffe
	s_add_co_i32 s4, s4, s5
	s_add_co_i32 s5, s39, 64
	s_wait_alu 0xfffe
	s_ashr_i32 s37, s4, 3
	s_xor_b32 s4, s2, s3
	s_min_i32 s25, s5, s37
	v_lshlrev_b32_e32 v6, 2, v13
	v_cmp_gt_i32_e64 s2, s25, v13
	s_wait_alu 0xfffe
	s_sub_co_i32 s38, s4, s3
	s_and_saveexec_b32 s6, s2
	s_cbranch_execz .LBB195_21
; %bb.10:
	s_wait_alu 0xfffe
	s_sub_co_i32 s18, s38, s13
	s_ashr_i32 s31, s30, 31
	s_cmp_neq_f32 s34, 0
	s_load_b64 s[4:5], s[0:1], 0x20
	v_bfe_u32 v8, v0, 2, 3
	v_mov_b32_e32 v20, v13
	s_cselect_b32 vcc_lo, -1, 0
	s_abs_i32 s35, s14
	s_lshl_b64 s[42:43], s[28:29], 2
	s_cvt_f32_u32 s3, s35
	v_lshlrev_b32_e32 v3, 4, v8
	v_dual_mov_b32 v17, 0xff7fffff :: v_dual_lshlrev_b32 v4, 2, v8
	s_wait_alu 0xfffe
	v_rcp_iflag_f32_e32 v2, s3
	v_subrev_nc_u32_e32 v10, s21, v8
	v_cmp_eq_u32_e64 s3, 0, v1
	v_lshl_or_b32 v16, v11, 5, v4
	v_lshlrev_b32_e32 v9, 7, v1
	s_add_nc_u64 s[42:43], s[26:27], s[42:43]
	s_sub_co_i32 s44, 0, s35
	v_lshl_add_u32 v14, v11, 3, s20
	v_add_nc_u32_e32 v15, 1, v10
	v_add_nc_u32_e32 v16, 0x220, v16
	v_readfirstlane_b32 s41, v2
	s_wait_kmcnt 0x0
	s_add_nc_u64 s[4:5], s[4:5], s[30:31]
	v_xor_b32_e32 v18, 2, v7
	s_wait_alu 0xfffe
	v_add_co_u32 v2, s4, s4, v3
	s_mul_f32 s31, s41, 0x4f7ffffe
	s_wait_alu 0xf1ff
	v_add_co_ci_u32_e64 v3, null, s5, 0, s4
	v_add_co_u32 v1, s4, v2, v1
	s_cvt_u32_f32 s5, s31
	s_wait_alu 0xf1ff
	v_add_co_ci_u32_e64 v2, null, 0, v3, s4
	v_add_co_u32 v3, s4, s42, v6
	s_wait_alu 0xfffe
	s_mul_i32 s44, s44, s5
	v_add_co_ci_u32_e64 v4, null, s43, 0, s4
	v_xor_b32_e32 v19, 1, v7
	v_mov_b32_e32 v10, 0xff7fffff
	s_mul_hi_u32 s4, s5, s44
	s_mov_b32 s40, 0
	s_mov_b32 s31, s17
	s_wait_alu 0xfffe
	s_add_co_i32 s41, s5, s4
	s_branch .LBB195_13
.LBB195_11:                             ;   in Loop: Header=BB195_13 Depth=1
	s_wait_alu 0xfffe
	s_or_b32 exec_lo, exec_lo, s42
.LBB195_12:                             ;   in Loop: Header=BB195_13 Depth=1
	s_wait_alu 0xfffe
	s_or_b32 exec_lo, exec_lo, s5
	v_add_nc_u32_e32 v20, 4, v20
	v_add_co_u32 v3, s5, v3, 16
	s_wait_alu 0xf1ff
	v_add_co_ci_u32_e64 v4, null, 0, v4, s5
	s_delay_alu instid0(VALU_DEP_3)
	v_cmp_le_i32_e64 s4, s25, v20
	v_add_nc_u32_e32 v14, 32, v14
	v_add_nc_u32_e32 v16, 0x80, v16
	s_or_b32 s40, s4, s40
	s_wait_alu 0xfffe
	s_and_not1_b32 exec_lo, exec_lo, s40
	s_cbranch_execz .LBB195_20
.LBB195_13:                             ; =>This Inner Loop Header: Depth=1
	v_sub_nc_u32_e32 v21, 0, v14
	s_delay_alu instid0(VALU_DEP_1) | instskip(SKIP_1) | instid1(VALU_DEP_1)
	v_max_i32_e32 v21, v14, v21
	s_wait_dscnt 0x0
	v_mul_hi_u32 v22, v21, s24
	s_delay_alu instid0(VALU_DEP_1) | instskip(NEXT) | instid1(VALU_DEP_1)
	v_mul_lo_u32 v23, v22, s16
	v_sub_nc_u32_e32 v21, v21, v23
	v_add_nc_u32_e32 v23, 1, v22
	s_delay_alu instid0(VALU_DEP_2) | instskip(SKIP_2) | instid1(VALU_DEP_1)
	v_subrev_nc_u32_e32 v24, s16, v21
	v_cmp_le_u32_e64 s4, s16, v21
	s_wait_alu 0xf1ff
	v_cndmask_b32_e64 v22, v22, v23, s4
	s_delay_alu instid0(VALU_DEP_3) | instskip(SKIP_1) | instid1(VALU_DEP_3)
	v_cndmask_b32_e64 v21, v21, v24, s4
	v_ashrrev_i32_e32 v23, 31, v14
	v_add_nc_u32_e32 v24, 1, v22
	s_delay_alu instid0(VALU_DEP_3) | instskip(NEXT) | instid1(VALU_DEP_3)
	v_cmp_le_u32_e64 s4, s16, v21
	v_xor_b32_e32 v23, s15, v23
	s_wait_alu 0xf1ff
	s_delay_alu instid0(VALU_DEP_2) | instskip(NEXT) | instid1(VALU_DEP_1)
	v_cndmask_b32_e64 v21, v22, v24, s4
	v_xor_b32_e32 v21, v21, v23
	s_delay_alu instid0(VALU_DEP_1) | instskip(NEXT) | instid1(VALU_DEP_1)
	v_sub_nc_u32_e32 v21, v21, v23
	v_add_nc_u32_e32 v22, s23, v21
	v_cmp_ge_i32_e64 s5, s18, v21
	s_delay_alu instid0(VALU_DEP_2) | instskip(NEXT) | instid1(VALU_DEP_1)
	v_sub_nc_u32_e32 v23, 0, v22
	v_max_i32_e32 v23, v22, v23
	v_ashrrev_i32_e32 v22, 31, v22
	s_delay_alu instid0(VALU_DEP_2) | instskip(NEXT) | instid1(VALU_DEP_1)
	v_mul_hi_u32 v24, v23, s41
	v_mul_lo_u32 v24, v24, s35
	s_delay_alu instid0(VALU_DEP_1) | instskip(NEXT) | instid1(VALU_DEP_1)
	v_sub_nc_u32_e32 v23, v23, v24
	v_subrev_nc_u32_e32 v24, s35, v23
	v_cmp_le_u32_e64 s4, s35, v23
	s_wait_alu 0xf1ff
	s_delay_alu instid0(VALU_DEP_1) | instskip(NEXT) | instid1(VALU_DEP_1)
	v_cndmask_b32_e64 v23, v23, v24, s4
	v_subrev_nc_u32_e32 v24, s35, v23
	v_cmp_le_u32_e64 s4, s35, v23
	s_wait_alu 0xf1ff
	s_delay_alu instid0(VALU_DEP_1) | instskip(NEXT) | instid1(VALU_DEP_1)
	v_cndmask_b32_e64 v23, v23, v24, s4
	v_xor_b32_e32 v23, v23, v22
	s_delay_alu instid0(VALU_DEP_1) | instskip(NEXT) | instid1(VALU_DEP_1)
	v_sub_nc_u32_e32 v22, v23, v22
	v_cmp_ne_u32_e64 s4, 0, v22
	s_and_b32 s4, s4, s5
	s_wait_alu 0xfffe
	s_and_saveexec_b32 s5, s4
	s_wait_alu 0xfffe
	s_xor_b32 s4, exec_lo, s5
	s_cbranch_execz .LBB195_17
; %bb.14:                               ;   in Loop: Header=BB195_13 Depth=1
	s_and_saveexec_b32 s5, s3
; %bb.15:                               ;   in Loop: Header=BB195_13 Depth=1
	ds_store_b32 v16, v17
; %bb.16:                               ;   in Loop: Header=BB195_13 Depth=1
	s_wait_alu 0xfffe
	s_or_b32 exec_lo, exec_lo, s5
.LBB195_17:                             ;   in Loop: Header=BB195_13 Depth=1
	s_wait_alu 0xfffe
	s_and_not1_saveexec_b32 s5, s4
	s_cbranch_execz .LBB195_12
; %bb.18:                               ;   in Loop: Header=BB195_13 Depth=1
	global_load_b32 v21, v[3:4], off
	v_cmp_gt_i32_e64 s4, 32, v18
	s_wait_loadcnt 0x0
	v_mad_co_i64_i32 v[21:22], null, v21, s31, v[1:2]
	s_clause 0x1f
	global_load_u8 v25, v[21:22], off offset:4
	global_load_u8 v26, v[21:22], off
	global_load_u8 v29, v[21:22], off offset:8
	global_load_u8 v30, v[21:22], off offset:12
	;; [unrolled: 1-line block ×30, first 2 shown]
	s_load_b32 s42, s[8:9], 0x0
	ds_load_b128 v[21:24], v9
	s_wait_loadcnt 0x1f
	v_cvt_f32_fp8_e32 v25, v25
	s_wait_loadcnt 0x1e
	v_cvt_f32_fp8_e32 v59, v26
	;; [unrolled: 2-line block ×3, first 2 shown]
	s_wait_kmcnt 0x0
	s_delay_alu instid0(VALU_DEP_2)
	v_dual_mul_f32 v60, s42, v25 :: v_dual_mul_f32 v59, s42, v59
	ds_load_b128 v[25:28], v9 offset:16
	s_wait_dscnt 0x1
	v_mul_f32_e32 v60, v22, v60
	v_mul_f32_e32 v22, s42, v29
	s_wait_loadcnt 0x1c
	v_cvt_f32_fp8_e32 v29, v30
	s_delay_alu instid0(VALU_DEP_1) | instskip(SKIP_4) | instid1(VALU_DEP_1)
	v_dual_mul_f32 v29, s42, v29 :: v_dual_fmac_f32 v60, v21, v59
	s_wait_loadcnt 0x1b
	v_cvt_f32_fp8_e32 v21, v31
	s_wait_loadcnt 0x1a
	v_cvt_f32_fp8_e32 v31, v32
	v_dual_mul_f32 v30, s42, v21 :: v_dual_mul_f32 v31, s42, v31
	v_fmac_f32_e32 v60, v23, v22
	s_delay_alu instid0(VALU_DEP_1) | instskip(SKIP_4) | instid1(VALU_DEP_1)
	v_fmac_f32_e32 v60, v24, v29
	ds_load_b128 v[21:24], v9 offset:32
	s_wait_loadcnt 0x19
	v_cvt_f32_fp8_e32 v29, v33
	s_wait_dscnt 0x1
	v_dual_fmac_f32 v60, v25, v30 :: v_dual_mul_f32 v25, s42, v29
	s_wait_loadcnt 0x18
	v_cvt_f32_fp8_e32 v29, v34
	s_delay_alu instid0(VALU_DEP_2)
	v_fmac_f32_e32 v60, v26, v31
	s_wait_loadcnt 0x17
	v_cvt_f32_fp8_e32 v26, v35
	s_wait_loadcnt 0x16
	v_cvt_f32_fp8_e32 v31, v36
	v_mul_f32_e32 v29, s42, v29
	v_fmac_f32_e32 v60, v27, v25
	s_delay_alu instid0(VALU_DEP_3) | instskip(NEXT) | instid1(VALU_DEP_2)
	v_dual_mul_f32 v30, s42, v26 :: v_dual_mul_f32 v31, s42, v31
	v_fmac_f32_e32 v60, v28, v29
	ds_load_b128 v[25:28], v9 offset:48
	s_wait_loadcnt 0x15
	v_cvt_f32_fp8_e32 v29, v37
	s_wait_dscnt 0x1
	s_delay_alu instid0(VALU_DEP_1) | instskip(SKIP_2) | instid1(VALU_DEP_2)
	v_dual_fmac_f32 v60, v21, v30 :: v_dual_mul_f32 v21, s42, v29
	s_wait_loadcnt 0x14
	v_cvt_f32_fp8_e32 v29, v38
	v_fmac_f32_e32 v60, v22, v31
	s_wait_loadcnt 0x13
	v_cvt_f32_fp8_e32 v22, v39
	s_wait_loadcnt 0x12
	v_cvt_f32_fp8_e32 v31, v40
	v_mul_f32_e32 v29, s42, v29
	v_fmac_f32_e32 v60, v23, v21
	s_delay_alu instid0(VALU_DEP_3) | instskip(NEXT) | instid1(VALU_DEP_2)
	v_dual_mul_f32 v30, s42, v22 :: v_dual_mul_f32 v31, s42, v31
	v_fmac_f32_e32 v60, v24, v29
	ds_load_b128 v[21:24], v9 offset:64
	s_wait_loadcnt 0x11
	v_cvt_f32_fp8_e32 v29, v41
	s_wait_dscnt 0x1
	s_delay_alu instid0(VALU_DEP_1) | instskip(SKIP_2) | instid1(VALU_DEP_2)
	v_dual_fmac_f32 v60, v25, v30 :: v_dual_mul_f32 v25, s42, v29
	s_wait_loadcnt 0x10
	v_cvt_f32_fp8_e32 v29, v42
	;; [unrolled: 18-line block ×5, first 2 shown]
	v_fmac_f32_e32 v60, v22, v31
	s_wait_loadcnt 0x3
	v_cvt_f32_fp8_e32 v22, v55
	s_delay_alu instid0(VALU_DEP_3) | instskip(NEXT) | instid1(VALU_DEP_2)
	v_mul_f32_e32 v29, s42, v29
	v_dual_fmac_f32 v60, v23, v21 :: v_dual_mul_f32 v21, s42, v22
	s_wait_loadcnt 0x2
	v_cvt_f32_fp8_e32 v22, v56
	s_wait_loadcnt 0x1
	v_cvt_f32_fp8_e32 v23, v57
	v_fmac_f32_e32 v60, v24, v29
	s_delay_alu instid0(VALU_DEP_3) | instskip(SKIP_1) | instid1(VALU_DEP_2)
	v_mul_f32_e32 v22, s42, v22
	s_wait_dscnt 0x0
	v_dual_fmac_f32 v60, v25, v21 :: v_dual_mul_f32 v21, s42, v23
	s_wait_loadcnt 0x0
	v_cvt_f32_fp8_e32 v23, v58
	s_delay_alu instid0(VALU_DEP_2) | instskip(SKIP_1) | instid1(VALU_DEP_3)
	v_fmac_f32_e32 v60, v26, v22
	v_cndmask_b32_e64 v22, v7, v18, s4
	v_mul_f32_e32 v23, s42, v23
	v_cmp_gt_i32_e64 s4, 32, v19
	s_delay_alu instid0(VALU_DEP_3) | instskip(SKIP_1) | instid1(VALU_DEP_2)
	v_dual_fmac_f32 v60, v27, v21 :: v_dual_lshlrev_b32 v21, 2, v22
	s_wait_alu 0xf1ff
	v_cndmask_b32_e64 v22, v7, v19, s4
	s_delay_alu instid0(VALU_DEP_2) | instskip(NEXT) | instid1(VALU_DEP_2)
	v_fmac_f32_e32 v60, v28, v23
	v_lshlrev_b32_e32 v22, 2, v22
	ds_bpermute_b32 v21, v21, v60
	s_wait_dscnt 0x0
	v_add_f32_e32 v21, v60, v21
	ds_bpermute_b32 v22, v22, v21
	s_and_saveexec_b32 s42, s3
	s_cbranch_execz .LBB195_11
; %bb.19:                               ;   in Loop: Header=BB195_13 Depth=1
	s_wait_dscnt 0x0
	v_add_f32_e32 v21, v21, v22
	v_add_nc_u32_e32 v23, v15, v14
	s_delay_alu instid0(VALU_DEP_1) | instskip(NEXT) | instid1(VALU_DEP_1)
	v_cvt_f32_i32_e32 v23, v23
	v_mul_f32_e32 v23, s34, v23
	s_delay_alu instid0(VALU_DEP_1) | instskip(NEXT) | instid1(VALU_DEP_1)
	v_dual_cndmask_b32 v22, 0, v23 :: v_dual_max_num_f32 v23, v10, v10
	v_dual_fmac_f32 v22, s7, v21 :: v_dual_add_nc_u32 v21, v8, v14
	s_delay_alu instid0(VALU_DEP_1) | instskip(NEXT) | instid1(VALU_DEP_2)
	v_max_num_f32_e32 v23, v23, v22
	v_cmp_gt_i32_e64 s4, s21, v21
	s_wait_alu 0xf1ff
	s_delay_alu instid0(VALU_DEP_1) | instskip(NEXT) | instid1(VALU_DEP_3)
	v_cndmask_b32_e64 v21, 0, v22, s4
	v_cndmask_b32_e64 v10, v10, v23, s4
	ds_store_b32 v16, v21
	s_branch .LBB195_11
.LBB195_20:
	s_or_b32 exec_lo, exec_lo, s40
.LBB195_21:
	s_delay_alu instid0(SALU_CYCLE_1)
	s_or_b32 exec_lo, exec_lo, s6
	v_xor_b32_e32 v1, 16, v7
	v_xor_b32_e32 v3, 8, v7
	s_clause 0x2
	s_load_b128 s[4:7], s[0:1], 0x0
	s_load_b64 s[8:9], s[0:1], 0x10
	s_load_b64 s[34:35], s[0:1], 0x28
	v_max_num_f32_e32 v8, v10, v10
	v_and_b32_e32 v14, 31, v0
	v_cmp_gt_i32_e32 vcc_lo, 32, v1
	s_wait_alu 0xfffd
	v_cndmask_b32_e32 v1, v7, v1, vcc_lo
	v_cmp_gt_i32_e32 vcc_lo, 32, v3
	s_wait_alu 0xfffd
	s_delay_alu instid0(VALU_DEP_2) | instskip(SKIP_3) | instid1(VALU_DEP_1)
	v_dual_cndmask_b32 v3, v7, v3 :: v_dual_lshlrev_b32 v2, 2, v1
	ds_bpermute_b32 v1, v2, v10
	s_wait_dscnt 0x0
	v_dual_max_num_f32 v1, v1, v1 :: v_dual_lshlrev_b32 v4, 2, v3
	v_max_num_f32_e32 v1, v8, v1
	v_xor_b32_e32 v8, 4, v7
	s_delay_alu instid0(VALU_DEP_1)
	v_cmp_gt_i32_e32 vcc_lo, 32, v8
	s_wait_alu 0xfffd
	v_cndmask_b32_e32 v8, v7, v8, vcc_lo
	ds_bpermute_b32 v3, v4, v1
	v_cmp_eq_u32_e32 vcc_lo, 0, v14
	v_lshlrev_b32_e32 v10, 2, v8
	v_lshlrev_b32_e32 v8, 2, v11
	s_wait_dscnt 0x0
	v_max_num_f32_e32 v3, v3, v3
	s_delay_alu instid0(VALU_DEP_1)
	v_max_num_f32_e32 v1, v1, v3
	ds_bpermute_b32 v3, v10, v1
	s_and_saveexec_b32 s0, vcc_lo
	s_cbranch_execz .LBB195_23
; %bb.22:
	s_wait_dscnt 0x0
	v_max_num_f32_e32 v3, v3, v3
	v_max_num_f32_e32 v1, v1, v1
	s_delay_alu instid0(VALU_DEP_1)
	v_max_num_f32_e32 v1, v1, v3
	ds_store_b32 v8, v1 offset:512
.LBB195_23:
	s_or_b32 exec_lo, exec_lo, s0
	v_cmp_gt_u32_e64 s0, 4, v14
	v_mov_b32_e32 v1, 0xff7fffff
	v_lshlrev_b32_e32 v9, 2, v14
	s_wait_loadcnt_dscnt 0x0
	s_barrier_signal -1
	s_barrier_wait -1
	global_inv scope:SCOPE_SE
	s_and_saveexec_b32 s1, s0
; %bb.24:
	ds_load_b32 v1, v9 offset:512
; %bb.25:
	s_or_b32 exec_lo, exec_lo, s1
	v_xor_b32_e32 v3, 2, v7
	v_xor_b32_e32 v15, 1, v7
	s_delay_alu instid0(VALU_DEP_2) | instskip(NEXT) | instid1(VALU_DEP_1)
	v_cmp_gt_i32_e64 s1, 32, v3
	v_cndmask_b32_e64 v3, v7, v3, s1
	s_delay_alu instid0(VALU_DEP_3) | instskip(NEXT) | instid1(VALU_DEP_2)
	v_cmp_gt_i32_e64 s1, 32, v15
	v_lshlrev_b32_e32 v16, 2, v3
	s_wait_alu 0xf1ff
	s_delay_alu instid0(VALU_DEP_2)
	v_cndmask_b32_e64 v7, v7, v15, s1
	s_sub_co_i32 s1, s25, s39
	s_wait_alu 0xfffe
	s_lshl_b32 s1, s1, 3
	s_wait_dscnt 0x0
	ds_bpermute_b32 v3, v16, v1
	v_max_num_f32_e32 v1, v1, v1
	v_lshlrev_b32_e32 v15, 2, v7
	v_mov_b32_e32 v7, 0
	s_wait_alu 0xfffe
	s_add_co_i32 s1, s1, s20
	s_wait_alu 0xfffe
	s_min_i32 s1, s1, s21
	s_wait_alu 0xfffe
	s_sub_co_i32 s18, s1, s20
	s_wait_alu 0xfffe
	v_cmp_gt_i32_e64 s1, s18, v0
	s_wait_dscnt 0x0
	v_max_num_f32_e32 v3, v3, v3
	s_delay_alu instid0(VALU_DEP_1) | instskip(SKIP_3) | instid1(VALU_DEP_1)
	v_max_num_f32_e32 v1, v1, v3
	ds_bpermute_b32 v3, v15, v1
	s_wait_dscnt 0x0
	v_max_num_f32_e32 v3, v3, v3
	v_max_num_f32_e32 v1, v1, v3
	v_lshl_add_u32 v3, v0, 2, 0x220
	ds_bpermute_b32 v1, v7, v1
	s_and_saveexec_b32 s31, s1
	s_cbranch_execz .LBB195_29
; %bb.26:
	v_lshl_add_u32 v17, v0, 2, 0x220
	v_dual_mov_b32 v7, 0 :: v_dual_mov_b32 v18, v0
	s_mov_b32 s39, 0
.LBB195_27:                             ; =>This Inner Loop Header: Depth=1
	ds_load_b32 v19, v17
	v_add_nc_u32_e32 v18, 0x80, v18
	s_delay_alu instid0(VALU_DEP_1) | instskip(SKIP_4) | instid1(VALU_DEP_1)
	v_cmp_le_i32_e64 s3, s18, v18
	s_wait_alu 0xfffe
	s_or_b32 s39, s3, s39
	s_wait_dscnt 0x0
	v_sub_f32_e32 v19, v19, v1
	v_mul_f32_e32 v19, 0x3fb8aa3b, v19
	s_delay_alu instid0(VALU_DEP_1)
	v_exp_f32_e32 v19, v19
	ds_store_b32 v17, v19
	v_add_f32_e32 v7, v7, v19
	v_add_nc_u32_e32 v17, 0x200, v17
	s_wait_alu 0xfffe
	s_and_not1_b32 exec_lo, exec_lo, s39
	s_cbranch_execnz .LBB195_27
; %bb.28:
	s_or_b32 exec_lo, exec_lo, s39
.LBB195_29:
	s_wait_alu 0xfffe
	s_or_b32 exec_lo, exec_lo, s31
	ds_bpermute_b32 v2, v2, v7
	s_wait_dscnt 0x0
	v_add_f32_e32 v2, v7, v2
	ds_bpermute_b32 v4, v4, v2
	s_wait_dscnt 0x0
	v_add_f32_e32 v2, v2, v4
	;; [unrolled: 3-line block ×5, first 2 shown]
	s_and_saveexec_b32 s3, vcc_lo
; %bb.30:
	ds_store_b32 v8, v2 offset:528
; %bb.31:
	s_wait_alu 0xfffe
	s_or_b32 exec_lo, exec_lo, s3
	s_wait_loadcnt_dscnt 0x0
	s_barrier_signal -1
	s_barrier_wait -1
	global_inv scope:SCOPE_SE
	s_and_saveexec_b32 s3, s0
; %bb.32:
	ds_load_b32 v2, v9 offset:528
; %bb.33:
	s_wait_alu 0xfffe
	s_or_b32 exec_lo, exec_lo, s3
	s_wait_dscnt 0x0
	ds_bpermute_b32 v4, v16, v2
	s_wait_dscnt 0x0
	v_add_f32_e32 v2, v2, v4
	ds_bpermute_b32 v4, v15, v2
	s_wait_dscnt 0x0
	v_add_f32_e32 v2, v2, v4
	v_mov_b32_e32 v4, 0
	ds_bpermute_b32 v2, v4, v2
	s_and_saveexec_b32 s0, s1
	s_cbranch_execz .LBB195_36
; %bb.34:
	s_wait_dscnt 0x0
	v_add_f32_e32 v4, 0x358637bd, v2
	s_mov_b32 s1, 0
	s_delay_alu instid0(VALU_DEP_1) | instskip(SKIP_1) | instid1(VALU_DEP_2)
	v_div_scale_f32 v7, null, v4, v4, 1.0
	v_div_scale_f32 v10, vcc_lo, 1.0, v4, 1.0
	v_rcp_f32_e32 v8, v7
	s_delay_alu instid0(TRANS32_DEP_1) | instskip(NEXT) | instid1(VALU_DEP_1)
	v_fma_f32 v9, -v7, v8, 1.0
	v_fmac_f32_e32 v8, v9, v8
	s_delay_alu instid0(VALU_DEP_1) | instskip(NEXT) | instid1(VALU_DEP_1)
	v_mul_f32_e32 v9, v10, v8
	v_fma_f32 v16, -v7, v9, v10
	s_delay_alu instid0(VALU_DEP_1) | instskip(NEXT) | instid1(VALU_DEP_1)
	v_fmac_f32_e32 v9, v16, v8
	v_fma_f32 v7, -v7, v9, v10
	s_wait_alu 0xfffd
	s_delay_alu instid0(VALU_DEP_1) | instskip(NEXT) | instid1(VALU_DEP_1)
	v_div_fmas_f32 v7, v7, v8, v9
	v_div_fixup_f32 v4, v7, v4, 1.0
	v_mov_b32_e32 v7, v0
.LBB195_35:                             ; =>This Inner Loop Header: Depth=1
	ds_load_b32 v8, v3
	s_wait_dscnt 0x0
	v_dual_mul_f32 v8, v4, v8 :: v_dual_add_nc_u32 v7, 0x80, v7
	s_delay_alu instid0(VALU_DEP_1)
	v_cmp_le_i32_e32 vcc_lo, s18, v7
	ds_store_b32 v3, v8
	v_add_nc_u32_e32 v3, 0x200, v3
	s_wait_alu 0xfffe
	s_or_b32 s1, vcc_lo, s1
	s_wait_alu 0xfffe
	s_and_not1_b32 exec_lo, exec_lo, s1
	s_cbranch_execnz .LBB195_35
.LBB195_36:
	s_wait_alu 0xfffe
	s_or_b32 exec_lo, exec_lo, s0
	s_mul_i32 s0, s12, s19
	s_wait_loadcnt_dscnt 0x0
	s_wait_alu 0xfffe
	s_mul_i32 s18, s0, s36
	s_mov_b32 s0, exec_lo
	s_barrier_signal -1
	s_barrier_wait -1
	global_inv scope:SCOPE_SE
	v_cmpx_eq_u32_e32 0, v0
	s_cbranch_execz .LBB195_38
; %bb.37:
	s_wait_alu 0xfffe
	s_ashr_i32 s19, s18, 31
	s_mul_i32 s40, s12, ttmp9
	s_lshl_b32 s1, s33, 2
	s_wait_alu 0xfffe
	s_lshl_b64 s[42:43], s[18:19], 2
	s_ashr_i32 s41, s40, 31
	v_mov_b32_e32 v3, s1
	s_wait_kmcnt 0x0
	s_wait_alu 0xfffe
	s_add_nc_u64 s[6:7], s[6:7], s[42:43]
	s_lshl_b64 s[40:41], s[40:41], 2
	s_add_nc_u64 s[4:5], s[4:5], s[42:43]
	s_wait_alu 0xfffe
	s_add_nc_u64 s[6:7], s[6:7], s[40:41]
	s_add_nc_u64 s[4:5], s[4:5], s[40:41]
	s_clause 0x1
	global_store_b32 v3, v1, s[6:7]
	global_store_b32 v3, v2, s[4:5]
.LBB195_38:
	s_wait_alu 0xfffe
	s_or_b32 exec_lo, exec_lo, s0
	v_dual_mov_b32 v23, 0 :: v_dual_and_b32 v16, 1, v0
	v_dual_mov_b32 v24, 0 :: v_dual_mov_b32 v21, 0
	v_dual_mov_b32 v22, 0 :: v_dual_mov_b32 v19, 0
	;; [unrolled: 1-line block ×3, first 2 shown]
	v_mov_b32_e32 v18, 0
	s_and_saveexec_b32 s1, s2
	s_cbranch_execz .LBB195_60
; %bb.39:
	s_abs_i32 s2, s14
	v_dual_mov_b32 v20, 0 :: v_dual_lshlrev_b32 v3, 4, v16
	s_wait_alu 0xfffe
	s_cvt_f32_u32 s0, s2
	s_wait_kmcnt 0x0
	s_lshl_b64 s[6:7], s[28:29], 2
	v_dual_mov_b32 v17, 0 :: v_dual_and_b32 v2, 0x7c, v5
	s_wait_alu 0xfffe
	v_rcp_iflag_f32_e32 v1, s0
	s_ashr_i32 s31, s30, 31
	s_add_nc_u64 s[6:7], s[26:27], s[6:7]
	v_dual_mov_b32 v18, 0 :: v_dual_and_b32 v25, 4, v5
	s_wait_alu 0xfffe
	s_add_nc_u64 s[28:29], s[34:35], s[30:31]
	v_add_co_u32 v5, s6, s6, v6
	s_sub_co_i32 s5, 0, s2
	v_add_co_ci_u32_e64 v6, null, s7, 0, s6
	s_delay_alu instid0(TRANS32_DEP_1)
	v_readfirstlane_b32 s0, v1
	v_lshl_or_b32 v1, v11, 5, v3
	v_add_co_u32 v7, s6, s28, v2
	s_wait_alu 0xf1ff
	v_add_co_ci_u32_e64 v8, null, s29, 0, s6
	s_mul_f32 s0, s0, 0x4f7ffffe
	v_dual_mov_b32 v19, 0 :: v_dual_add_nc_u32 v26, 0x220, v1
	v_dual_mov_b32 v21, 0 :: v_dual_mov_b32 v22, 0
	s_wait_alu 0xfffe
	s_cvt_u32_f32 s0, s0
	v_dual_mov_b32 v24, 0 :: v_dual_mov_b32 v23, 0
	s_sub_co_i32 s3, s38, s13
	s_wait_alu 0xfffe
	s_mul_i32 s5, s5, s0
	s_mov_b32 s4, s17
	s_wait_alu 0xfffe
	s_mul_hi_u32 s6, s0, s5
	s_add_co_i32 s37, s37, -1
	s_mov_b32 s5, 0
	s_wait_alu 0xfffe
	s_add_co_i32 s6, s0, s6
	s_branch .LBB195_42
.LBB195_40:                             ;   in Loop: Header=BB195_42 Depth=1
	s_wait_alu 0xfffe
	s_or_b32 exec_lo, exec_lo, s0
	s_wait_dscnt 0x0
	v_mul_f32_e32 v39, v1, v50
	v_mul_f32_e32 v36, v1, v60
	;; [unrolled: 1-line block ×4, first 2 shown]
	s_delay_alu instid0(VALU_DEP_4) | instskip(NEXT) | instid1(VALU_DEP_4)
	v_dual_fmac_f32 v39, v2, v49 :: v_dual_mul_f32 v38, v1, v55
	v_fmac_f32_e32 v36, v2, v59
	s_delay_alu instid0(VALU_DEP_3) | instskip(NEXT) | instid1(VALU_DEP_3)
	v_dual_fmac_f32 v43, v2, v41 :: v_dual_mul_f32 v30, v1, v30
	v_dual_fmac_f32 v39, v3, v48 :: v_dual_fmac_f32 v38, v2, v53
	v_mul_f32_e32 v40, v1, v46
	s_delay_alu instid0(VALU_DEP_4) | instskip(NEXT) | instid1(VALU_DEP_3)
	v_dual_fmac_f32 v36, v3, v56 :: v_dual_mul_f32 v1, v1, v58
	v_dual_fmac_f32 v39, v4, v47 :: v_dual_fmac_f32 v38, v3, v52
	v_fmac_f32_e32 v43, v3, v37
	v_fmac_f32_e32 v30, v2, v29
	s_delay_alu instid0(VALU_DEP_4) | instskip(SKIP_2) | instid1(VALU_DEP_4)
	v_fmac_f32_e32 v1, v2, v57
	v_fmac_f32_e32 v34, v2, v33
	;; [unrolled: 1-line block ×3, first 2 shown]
	v_dual_fmac_f32 v43, v4, v35 :: v_dual_fmac_f32 v30, v3, v28
	s_delay_alu instid0(VALU_DEP_4) | instskip(NEXT) | instid1(VALU_DEP_2)
	v_dual_fmac_f32 v1, v3, v10 :: v_dual_fmac_f32 v40, v2, v45
	v_dual_add_f32 v19, v19, v38 :: v_dual_add_f32 v22, v22, v43
	s_delay_alu instid0(VALU_DEP_3) | instskip(NEXT) | instid1(VALU_DEP_3)
	v_fmac_f32_e32 v30, v4, v27
	v_dual_fmac_f32 v1, v4, v9 :: v_dual_fmac_f32 v40, v3, v44
	v_fmac_f32_e32 v34, v3, v32
	s_delay_alu instid0(VALU_DEP_3) | instskip(NEXT) | instid1(VALU_DEP_3)
	v_dual_add_f32 v20, v20, v39 :: v_dual_add_f32 v23, v23, v30
	v_dual_add_f32 v17, v17, v1 :: v_dual_fmac_f32 v40, v4, v42
	v_fmac_f32_e32 v36, v4, v54
	s_delay_alu instid0(VALU_DEP_2) | instskip(NEXT) | instid1(VALU_DEP_2)
	v_dual_fmac_f32 v34, v4, v31 :: v_dual_add_f32 v21, v21, v40
	v_add_f32_e32 v18, v18, v36
	s_delay_alu instid0(VALU_DEP_2)
	v_add_f32_e32 v24, v24, v34
.LBB195_41:                             ;   in Loop: Header=BB195_42 Depth=1
	s_wait_alu 0xfffe
	s_or_b32 exec_lo, exec_lo, s7
	v_add_nc_u32_e32 v13, 4, v13
	v_add_co_u32 v5, s0, v5, 16
	s_wait_alu 0xf1ff
	v_add_co_ci_u32_e64 v6, null, 0, v6, s0
	s_delay_alu instid0(VALU_DEP_3)
	v_cmp_le_i32_e32 vcc_lo, s25, v13
	v_add_nc_u32_e32 v12, 32, v12
	v_add_nc_u32_e32 v26, 0x80, v26
	s_or_b32 s5, vcc_lo, s5
	s_wait_alu 0xfffe
	s_and_not1_b32 exec_lo, exec_lo, s5
	s_cbranch_execz .LBB195_59
.LBB195_42:                             ; =>This Inner Loop Header: Depth=1
	v_sub_nc_u32_e32 v1, 0, v12
	s_delay_alu instid0(VALU_DEP_1) | instskip(NEXT) | instid1(VALU_DEP_1)
	v_max_i32_e32 v1, v12, v1
	v_mul_hi_u32 v2, v1, s24
	s_delay_alu instid0(VALU_DEP_1) | instskip(NEXT) | instid1(VALU_DEP_1)
	v_mul_lo_u32 v3, v2, s16
	v_sub_nc_u32_e32 v1, v1, v3
	v_add_nc_u32_e32 v3, 1, v2
	s_delay_alu instid0(VALU_DEP_2) | instskip(SKIP_2) | instid1(VALU_DEP_2)
	v_subrev_nc_u32_e32 v4, s16, v1
	v_cmp_le_u32_e32 vcc_lo, s16, v1
	s_wait_alu 0xfffd
	v_dual_cndmask_b32 v2, v2, v3 :: v_dual_cndmask_b32 v1, v1, v4
	v_ashrrev_i32_e32 v3, 31, v12
	s_delay_alu instid0(VALU_DEP_2) | instskip(NEXT) | instid1(VALU_DEP_3)
	v_add_nc_u32_e32 v4, 1, v2
	v_cmp_le_u32_e32 vcc_lo, s16, v1
	s_delay_alu instid0(VALU_DEP_3) | instskip(SKIP_1) | instid1(VALU_DEP_3)
	v_xor_b32_e32 v3, s15, v3
	s_wait_alu 0xfffd
	v_cndmask_b32_e32 v1, v2, v4, vcc_lo
	s_delay_alu instid0(VALU_DEP_1) | instskip(NEXT) | instid1(VALU_DEP_1)
	v_xor_b32_e32 v1, v1, v3
	v_sub_nc_u32_e32 v1, v1, v3
	s_delay_alu instid0(VALU_DEP_1) | instskip(SKIP_1) | instid1(VALU_DEP_2)
	v_add_nc_u32_e32 v2, s23, v1
	v_cmp_lt_i32_e64 s0, s3, v1
	v_sub_nc_u32_e32 v3, 0, v2
	s_delay_alu instid0(VALU_DEP_1) | instskip(SKIP_1) | instid1(VALU_DEP_1)
	v_max_i32_e32 v3, v2, v3
	s_wait_alu 0xfffe
	v_mul_hi_u32 v4, v3, s6
	s_delay_alu instid0(VALU_DEP_1) | instskip(NEXT) | instid1(VALU_DEP_1)
	v_mul_lo_u32 v4, v4, s2
	v_sub_nc_u32_e32 v3, v3, v4
	s_delay_alu instid0(VALU_DEP_1) | instskip(SKIP_2) | instid1(VALU_DEP_2)
	v_subrev_nc_u32_e32 v4, s2, v3
	v_cmp_le_u32_e32 vcc_lo, s2, v3
	s_wait_alu 0xfffd
	v_cndmask_b32_e32 v3, v3, v4, vcc_lo
	v_ashrrev_i32_e32 v2, 31, v2
	s_delay_alu instid0(VALU_DEP_2) | instskip(SKIP_2) | instid1(VALU_DEP_2)
	v_subrev_nc_u32_e32 v4, s2, v3
	v_cmp_le_u32_e32 vcc_lo, s2, v3
	s_wait_alu 0xfffd
	v_cndmask_b32_e32 v3, v3, v4, vcc_lo
	s_delay_alu instid0(VALU_DEP_1) | instskip(NEXT) | instid1(VALU_DEP_1)
	v_xor_b32_e32 v3, v3, v2
	v_sub_nc_u32_e32 v2, v3, v2
	s_delay_alu instid0(VALU_DEP_1)
	v_cmp_eq_u32_e32 vcc_lo, 0, v2
	s_or_b32 s0, vcc_lo, s0
	s_wait_alu 0xfffe
	s_and_saveexec_b32 s7, s0
	s_cbranch_execz .LBB195_41
; %bb.43:                               ;   in Loop: Header=BB195_42 Depth=1
	global_load_b32 v1, v[5:6], off
	s_load_b32 s13, s[10:11], 0x0
	v_add_nc_u32_e32 v36, v25, v12
	v_cmp_eq_u32_e32 vcc_lo, s37, v13
	s_delay_alu instid0(VALU_DEP_2)
	v_add_nc_u32_e32 v38, 2, v36
	v_add_nc_u32_e32 v40, 3, v36
	s_wait_loadcnt 0x0
	v_mad_co_i64_i32 v[9:10], null, v1, s4, v[7:8]
	ds_load_b128 v[1:4], v26
	global_load_b32 v27, v[9:10], off
	s_wait_loadcnt 0x0
	v_lshrrev_b32_e32 v29, 16, v27
	s_delay_alu instid0(VALU_DEP_1) | instskip(SKIP_1) | instid1(VALU_DEP_1)
	v_cvt_pk_f32_fp8_e32 v[31:32], v29
	v_and_b32_e32 v28, 0xffff, v27
	v_cvt_pk_f32_fp8_e32 v[27:28], v28
	s_wait_kmcnt 0x0
	s_delay_alu instid0(VALU_DEP_1) | instskip(NEXT) | instid1(VALU_DEP_2)
	v_dual_mul_f32 v30, s13, v27 :: v_dual_add_nc_u32 v39, 1, v36
	v_dual_mul_f32 v29, s13, v28 :: v_dual_mul_f32 v28, s13, v31
	v_mul_f32_e32 v27, s13, v32
	s_and_saveexec_b32 s14, vcc_lo
	s_cbranch_execz .LBB195_45
; %bb.44:                               ;   in Loop: Header=BB195_42 Depth=1
	v_cmp_gt_i32_e64 s0, s21, v36
	s_wait_alu 0xf1ff
	s_delay_alu instid0(VALU_DEP_1) | instskip(SKIP_2) | instid1(VALU_DEP_1)
	v_cndmask_b32_e64 v30, 0, v30, s0
	v_cmp_gt_i32_e64 s0, s21, v39
	s_wait_alu 0xf1ff
	v_cndmask_b32_e64 v29, 0, v29, s0
	v_cmp_gt_i32_e64 s0, s21, v38
	s_wait_alu 0xf1ff
	s_delay_alu instid0(VALU_DEP_1) | instskip(SKIP_2) | instid1(VALU_DEP_1)
	v_cndmask_b32_e64 v28, 0, v28, s0
	v_cmp_gt_i32_e64 s0, s21, v40
	s_wait_alu 0xf1ff
	v_cndmask_b32_e64 v27, 0, v27, s0
.LBB195_45:                             ;   in Loop: Header=BB195_42 Depth=1
	s_wait_alu 0xfffe
	s_or_b32 exec_lo, exec_lo, s14
	global_load_b32 v31, v[9:10], off offset:128
	s_mov_b32 s14, s13
	s_wait_loadcnt 0x0
	v_lshrrev_b32_e32 v33, 16, v31
	s_delay_alu instid0(VALU_DEP_1) | instskip(SKIP_1) | instid1(VALU_DEP_1)
	v_cvt_pk_f32_fp8_e32 v[41:42], v33
	v_and_b32_e32 v32, 0xffff, v31
	v_cvt_pk_f32_fp8_e32 v[31:32], v32
	s_wait_alu 0xfffe
	s_delay_alu instid0(VALU_DEP_1)
	v_dual_mul_f32 v34, s13, v31 :: v_dual_mul_f32 v33, s14, v32
	v_dual_mul_f32 v32, s13, v41 :: v_dual_mul_f32 v31, s14, v42
	s_and_saveexec_b32 s17, vcc_lo
	s_cbranch_execz .LBB195_47
; %bb.46:                               ;   in Loop: Header=BB195_42 Depth=1
	v_cmp_gt_i32_e64 s0, s21, v36
	s_wait_alu 0xf1ff
	s_delay_alu instid0(VALU_DEP_1) | instskip(SKIP_2) | instid1(VALU_DEP_1)
	v_cndmask_b32_e64 v34, 0, v34, s0
	v_cmp_gt_i32_e64 s0, s21, v39
	s_wait_alu 0xf1ff
	v_cndmask_b32_e64 v33, 0, v33, s0
	v_cmp_gt_i32_e64 s0, s21, v38
	s_wait_alu 0xf1ff
	s_delay_alu instid0(VALU_DEP_1) | instskip(SKIP_2) | instid1(VALU_DEP_1)
	v_cndmask_b32_e64 v32, 0, v32, s0
	v_cmp_gt_i32_e64 s0, s21, v40
	s_wait_alu 0xf1ff
	v_cndmask_b32_e64 v31, 0, v31, s0
.LBB195_47:                             ;   in Loop: Header=BB195_42 Depth=1
	s_wait_alu 0xfffe
	s_or_b32 exec_lo, exec_lo, s17
	global_load_b32 v35, v[9:10], off offset:256
	s_wait_loadcnt 0x0
	v_and_b32_e32 v37, 0xffff, v35
	v_lshrrev_b32_e32 v35, 16, v35
	s_delay_alu instid0(VALU_DEP_2) | instskip(NEXT) | instid1(VALU_DEP_2)
	v_cvt_pk_f32_fp8_e32 v[41:42], v37
	v_cvt_pk_f32_fp8_e32 v[44:45], v35
	s_delay_alu instid0(VALU_DEP_2) | instskip(NEXT) | instid1(VALU_DEP_3)
	v_mul_f32_e32 v43, s13, v41
	v_mul_f32_e32 v41, s14, v42
	s_delay_alu instid0(VALU_DEP_3) | instskip(NEXT) | instid1(VALU_DEP_4)
	v_mul_f32_e32 v37, s13, v44
	v_mul_f32_e32 v35, s14, v45
	s_and_saveexec_b32 s17, vcc_lo
	s_cbranch_execz .LBB195_49
; %bb.48:                               ;   in Loop: Header=BB195_42 Depth=1
	v_cmp_gt_i32_e64 s0, s21, v36
	s_wait_alu 0xf1ff
	s_delay_alu instid0(VALU_DEP_1) | instskip(SKIP_2) | instid1(VALU_DEP_1)
	v_cndmask_b32_e64 v43, 0, v43, s0
	v_cmp_gt_i32_e64 s0, s21, v39
	s_wait_alu 0xf1ff
	v_cndmask_b32_e64 v41, 0, v41, s0
	v_cmp_gt_i32_e64 s0, s21, v38
	s_wait_alu 0xf1ff
	s_delay_alu instid0(VALU_DEP_1) | instskip(SKIP_2) | instid1(VALU_DEP_1)
	v_cndmask_b32_e64 v37, 0, v37, s0
	v_cmp_gt_i32_e64 s0, s21, v40
	s_wait_alu 0xf1ff
	v_cndmask_b32_e64 v35, 0, v35, s0
.LBB195_49:                             ;   in Loop: Header=BB195_42 Depth=1
	s_wait_alu 0xfffe
	s_or_b32 exec_lo, exec_lo, s17
	global_load_b32 v42, v[9:10], off offset:384
	s_wait_loadcnt 0x0
	v_and_b32_e32 v44, 0xffff, v42
	v_lshrrev_b32_e32 v42, 16, v42
	s_delay_alu instid0(VALU_DEP_2) | instskip(NEXT) | instid1(VALU_DEP_2)
	v_cvt_pk_f32_fp8_e32 v[44:45], v44
	v_cvt_pk_f32_fp8_e32 v[47:48], v42
	s_delay_alu instid0(VALU_DEP_2) | instskip(NEXT) | instid1(VALU_DEP_2)
	v_dual_mul_f32 v46, s13, v44 :: v_dual_mul_f32 v45, s14, v45
	v_mul_f32_e32 v44, s13, v47
	s_delay_alu instid0(VALU_DEP_3)
	v_mul_f32_e32 v42, s14, v48
	s_and_saveexec_b32 s17, vcc_lo
	s_cbranch_execz .LBB195_51
; %bb.50:                               ;   in Loop: Header=BB195_42 Depth=1
	v_cmp_gt_i32_e64 s0, s21, v36
	s_wait_alu 0xf1ff
	s_delay_alu instid0(VALU_DEP_1) | instskip(SKIP_2) | instid1(VALU_DEP_1)
	v_cndmask_b32_e64 v46, 0, v46, s0
	v_cmp_gt_i32_e64 s0, s21, v39
	s_wait_alu 0xf1ff
	v_cndmask_b32_e64 v45, 0, v45, s0
	v_cmp_gt_i32_e64 s0, s21, v38
	s_wait_alu 0xf1ff
	s_delay_alu instid0(VALU_DEP_1) | instskip(SKIP_2) | instid1(VALU_DEP_1)
	v_cndmask_b32_e64 v44, 0, v44, s0
	v_cmp_gt_i32_e64 s0, s21, v40
	s_wait_alu 0xf1ff
	v_cndmask_b32_e64 v42, 0, v42, s0
.LBB195_51:                             ;   in Loop: Header=BB195_42 Depth=1
	s_wait_alu 0xfffe
	s_or_b32 exec_lo, exec_lo, s17
	global_load_b32 v47, v[9:10], off offset:512
	s_wait_loadcnt 0x0
	v_lshrrev_b32_e32 v49, 16, v47
	s_delay_alu instid0(VALU_DEP_1) | instskip(SKIP_1) | instid1(VALU_DEP_1)
	v_cvt_pk_f32_fp8_e32 v[51:52], v49
	v_and_b32_e32 v48, 0xffff, v47
	v_cvt_pk_f32_fp8_e32 v[47:48], v48
	s_delay_alu instid0(VALU_DEP_1) | instskip(NEXT) | instid1(VALU_DEP_4)
	v_dual_mul_f32 v50, s13, v47 :: v_dual_mul_f32 v49, s14, v48
	v_dual_mul_f32 v48, s13, v51 :: v_dual_mul_f32 v47, s14, v52
	s_and_saveexec_b32 s17, vcc_lo
	s_cbranch_execz .LBB195_53
; %bb.52:                               ;   in Loop: Header=BB195_42 Depth=1
	v_cmp_gt_i32_e64 s0, s21, v36
	s_wait_alu 0xf1ff
	s_delay_alu instid0(VALU_DEP_1) | instskip(SKIP_2) | instid1(VALU_DEP_1)
	v_cndmask_b32_e64 v50, 0, v50, s0
	v_cmp_gt_i32_e64 s0, s21, v39
	s_wait_alu 0xf1ff
	v_cndmask_b32_e64 v49, 0, v49, s0
	v_cmp_gt_i32_e64 s0, s21, v38
	s_wait_alu 0xf1ff
	s_delay_alu instid0(VALU_DEP_1) | instskip(SKIP_2) | instid1(VALU_DEP_1)
	v_cndmask_b32_e64 v48, 0, v48, s0
	v_cmp_gt_i32_e64 s0, s21, v40
	s_wait_alu 0xf1ff
	v_cndmask_b32_e64 v47, 0, v47, s0
.LBB195_53:                             ;   in Loop: Header=BB195_42 Depth=1
	s_wait_alu 0xfffe
	s_or_b32 exec_lo, exec_lo, s17
	global_load_b32 v51, v[9:10], off offset:640
	s_wait_loadcnt 0x0
	v_lshrrev_b32_e32 v53, 16, v51
	s_delay_alu instid0(VALU_DEP_1) | instskip(SKIP_1) | instid1(VALU_DEP_1)
	v_cvt_pk_f32_fp8_e32 v[56:57], v53
	v_and_b32_e32 v52, 0xffff, v51
	v_cvt_pk_f32_fp8_e32 v[51:52], v52
	s_delay_alu instid0(VALU_DEP_1) | instskip(NEXT) | instid1(VALU_DEP_2)
	v_mul_f32_e32 v55, s13, v51
	v_mul_f32_e32 v53, s14, v52
	v_dual_mul_f32 v52, s13, v56 :: v_dual_mul_f32 v51, s14, v57
	s_and_saveexec_b32 s17, vcc_lo
	s_cbranch_execz .LBB195_55
; %bb.54:                               ;   in Loop: Header=BB195_42 Depth=1
	v_cmp_gt_i32_e64 s0, s21, v36
	s_wait_alu 0xf1ff
	s_delay_alu instid0(VALU_DEP_1) | instskip(SKIP_2) | instid1(VALU_DEP_1)
	v_cndmask_b32_e64 v55, 0, v55, s0
	v_cmp_gt_i32_e64 s0, s21, v39
	s_wait_alu 0xf1ff
	v_cndmask_b32_e64 v53, 0, v53, s0
	v_cmp_gt_i32_e64 s0, s21, v38
	s_wait_alu 0xf1ff
	s_delay_alu instid0(VALU_DEP_1) | instskip(SKIP_2) | instid1(VALU_DEP_1)
	v_cndmask_b32_e64 v52, 0, v52, s0
	v_cmp_gt_i32_e64 s0, s21, v40
	s_wait_alu 0xf1ff
	v_cndmask_b32_e64 v51, 0, v51, s0
.LBB195_55:                             ;   in Loop: Header=BB195_42 Depth=1
	s_wait_alu 0xfffe
	s_or_b32 exec_lo, exec_lo, s17
	global_load_b32 v54, v[9:10], off offset:768
	s_wait_loadcnt 0x0
	v_and_b32_e32 v56, 0xffff, v54
	v_lshrrev_b32_e32 v54, 16, v54
	s_delay_alu instid0(VALU_DEP_2) | instskip(NEXT) | instid1(VALU_DEP_2)
	v_cvt_pk_f32_fp8_e32 v[56:57], v56
	v_cvt_pk_f32_fp8_e32 v[61:62], v54
	s_delay_alu instid0(VALU_DEP_2) | instskip(NEXT) | instid1(VALU_DEP_2)
	v_dual_mul_f32 v60, s13, v56 :: v_dual_mul_f32 v59, s14, v57
	v_mul_f32_e32 v56, s13, v61
	s_delay_alu instid0(VALU_DEP_3)
	v_mul_f32_e32 v54, s14, v62
	s_and_saveexec_b32 s17, vcc_lo
	s_cbranch_execz .LBB195_57
; %bb.56:                               ;   in Loop: Header=BB195_42 Depth=1
	v_cmp_gt_i32_e64 s0, s21, v36
	s_wait_alu 0xf1ff
	s_delay_alu instid0(VALU_DEP_1) | instskip(SKIP_2) | instid1(VALU_DEP_1)
	v_cndmask_b32_e64 v60, 0, v60, s0
	v_cmp_gt_i32_e64 s0, s21, v39
	s_wait_alu 0xf1ff
	v_cndmask_b32_e64 v59, 0, v59, s0
	v_cmp_gt_i32_e64 s0, s21, v38
	s_wait_alu 0xf1ff
	s_delay_alu instid0(VALU_DEP_1) | instskip(SKIP_2) | instid1(VALU_DEP_1)
	v_cndmask_b32_e64 v56, 0, v56, s0
	v_cmp_gt_i32_e64 s0, s21, v40
	s_wait_alu 0xf1ff
	v_cndmask_b32_e64 v54, 0, v54, s0
.LBB195_57:                             ;   in Loop: Header=BB195_42 Depth=1
	s_wait_alu 0xfffe
	s_or_b32 exec_lo, exec_lo, s17
	global_load_b32 v9, v[9:10], off offset:896
	s_wait_loadcnt 0x0
	v_lshrrev_b32_e32 v57, 16, v9
	s_delay_alu instid0(VALU_DEP_1) | instskip(SKIP_1) | instid1(VALU_DEP_1)
	v_cvt_pk_f32_fp8_e32 v[61:62], v57
	v_and_b32_e32 v10, 0xffff, v9
	v_cvt_pk_f32_fp8_e32 v[9:10], v10
	s_delay_alu instid0(VALU_DEP_1) | instskip(NEXT) | instid1(VALU_DEP_4)
	v_dual_mul_f32 v58, s13, v9 :: v_dual_mul_f32 v57, s14, v10
	v_dual_mul_f32 v10, s13, v61 :: v_dual_mul_f32 v9, s14, v62
	s_and_saveexec_b32 s0, vcc_lo
	s_cbranch_execz .LBB195_40
; %bb.58:                               ;   in Loop: Header=BB195_42 Depth=1
	v_cmp_gt_i32_e32 vcc_lo, s21, v36
	s_wait_alu 0xfffd
	v_cndmask_b32_e32 v58, 0, v58, vcc_lo
	v_cmp_gt_i32_e32 vcc_lo, s21, v39
	s_wait_alu 0xfffd
	v_cndmask_b32_e32 v57, 0, v57, vcc_lo
	;; [unrolled: 3-line block ×4, first 2 shown]
	s_branch .LBB195_40
.LBB195_59:
	s_or_b32 exec_lo, exec_lo, s5
.LBB195_60:
	s_wait_alu 0xfffe
	s_or_b32 exec_lo, exec_lo, s1
	ds_bpermute_b32 v1, v15, v23
	ds_bpermute_b32 v2, v15, v24
	;; [unrolled: 1-line block ×8, first 2 shown]
	v_lshrrev_b32_e32 v9, 1, v14
	v_lshlrev_b32_e32 v11, 9, v11
	v_and_b32_e32 v12, 0x3c1, v0
	s_mov_b32 s0, exec_lo
	s_wait_storecnt 0x0
	s_wait_loadcnt_dscnt 0x0
	v_lshl_add_u32 v10, v9, 2, 0x220
	s_barrier_signal -1
	s_barrier_wait -1
	global_inv scope:SCOPE_SE
	v_dual_add_f32 v1, v23, v1 :: v_dual_add_f32 v2, v24, v2
	v_dual_add_f32 v3, v22, v3 :: v_dual_add_f32 v4, v21, v4
	;; [unrolled: 1-line block ×4, first 2 shown]
	v_cmpx_eq_u32_e32 64, v12
	s_cbranch_execz .LBB195_62
; %bb.61:
	v_add_nc_u32_e32 v12, v10, v11
	s_delay_alu instid0(VALU_DEP_1)
	v_add_nc_u32_e32 v13, 0xfffffc00, v12
	v_add_nc_u32_e32 v14, 0xfffffc40, v12
	;; [unrolled: 1-line block ×8, first 2 shown]
	ds_store_b32 v13, v1
	ds_store_b32 v14, v2
	ds_store_b32 v15, v3
	ds_store_b32 v17, v4
	ds_store_b32 v18, v5
	ds_store_b32 v19, v6
	ds_store_b32 v20, v7
	ds_store_b32 v12, v8
.LBB195_62:
	s_wait_alu 0xfffe
	s_or_b32 exec_lo, exec_lo, s0
	v_lshlrev_b32_e32 v9, 2, v9
	s_mov_b32 s1, exec_lo
	v_cmp_eq_u32_e32 vcc_lo, 0, v16
	s_wait_loadcnt_dscnt 0x0
	s_barrier_signal -1
	v_add3_u32 v9, 0x220, v11, v9
	s_barrier_wait -1
	global_inv scope:SCOPE_SE
	v_cmpx_gt_u32_e32 64, v0
	s_cbranch_execz .LBB195_73
; %bb.63:
	s_and_saveexec_b32 s0, vcc_lo
	s_cbranch_execnz .LBB195_89
; %bb.64:
	s_wait_alu 0xfffe
	s_or_b32 exec_lo, exec_lo, s0
	s_and_saveexec_b32 s0, vcc_lo
	s_cbranch_execnz .LBB195_90
.LBB195_65:
	s_wait_alu 0xfffe
	s_or_b32 exec_lo, exec_lo, s0
	s_and_saveexec_b32 s0, vcc_lo
	s_cbranch_execnz .LBB195_91
.LBB195_66:
	s_wait_alu 0xfffe
	s_or_b32 exec_lo, exec_lo, s0
	s_and_saveexec_b32 s0, vcc_lo
	s_cbranch_execnz .LBB195_92
.LBB195_67:
	s_wait_alu 0xfffe
	s_or_b32 exec_lo, exec_lo, s0
	s_and_saveexec_b32 s0, vcc_lo
	s_cbranch_execnz .LBB195_93
.LBB195_68:
	s_wait_alu 0xfffe
	s_or_b32 exec_lo, exec_lo, s0
	s_and_saveexec_b32 s0, vcc_lo
	s_cbranch_execnz .LBB195_94
.LBB195_69:
	s_wait_alu 0xfffe
	s_or_b32 exec_lo, exec_lo, s0
	s_and_saveexec_b32 s0, vcc_lo
	s_cbranch_execnz .LBB195_95
.LBB195_70:
	s_wait_alu 0xfffe
	s_or_b32 exec_lo, exec_lo, s0
	s_and_saveexec_b32 s0, vcc_lo
	s_cbranch_execz .LBB195_72
.LBB195_71:
	ds_load_b32 v11, v9 offset:448
	s_wait_dscnt 0x0
	v_add_f32_e32 v8, v8, v11
.LBB195_72:
	s_wait_alu 0xfffe
	s_or_b32 exec_lo, exec_lo, s0
.LBB195_73:
	s_wait_alu 0xfffe
	s_or_b32 exec_lo, exec_lo, s1
	v_and_b32_e32 v11, 0x3e1, v0
	s_mov_b32 s1, exec_lo
	s_wait_loadcnt 0x0
	s_barrier_signal -1
	s_barrier_wait -1
	global_inv scope:SCOPE_SE
	v_cmpx_eq_u32_e32 32, v11
	s_cbranch_execz .LBB195_75
; %bb.74:
	ds_store_2addr_b32 v10, v1, v2 offset1:16
	ds_store_2addr_b32 v10, v3, v4 offset0:32 offset1:48
	ds_store_2addr_b32 v10, v5, v6 offset0:64 offset1:80
	;; [unrolled: 1-line block ×3, first 2 shown]
.LBB195_75:
	s_wait_alu 0xfffe
	s_or_b32 exec_lo, exec_lo, s1
	s_delay_alu instid0(SALU_CYCLE_1)
	s_mov_b32 s1, exec_lo
	s_wait_loadcnt_dscnt 0x0
	s_barrier_signal -1
	s_barrier_wait -1
	global_inv scope:SCOPE_SE
	v_cmpx_gt_u32_e32 32, v0
	s_cbranch_execz .LBB195_86
; %bb.76:
	s_and_saveexec_b32 s0, vcc_lo
	s_cbranch_execnz .LBB195_96
; %bb.77:
	s_wait_alu 0xfffe
	s_or_b32 exec_lo, exec_lo, s0
	s_and_saveexec_b32 s0, vcc_lo
	s_cbranch_execnz .LBB195_97
.LBB195_78:
	s_wait_alu 0xfffe
	s_or_b32 exec_lo, exec_lo, s0
	s_and_saveexec_b32 s0, vcc_lo
	s_cbranch_execnz .LBB195_98
.LBB195_79:
	s_wait_alu 0xfffe
	s_or_b32 exec_lo, exec_lo, s0
	s_and_saveexec_b32 s0, vcc_lo
	s_cbranch_execnz .LBB195_99
.LBB195_80:
	s_wait_alu 0xfffe
	s_or_b32 exec_lo, exec_lo, s0
	s_and_saveexec_b32 s0, vcc_lo
	s_cbranch_execnz .LBB195_100
.LBB195_81:
	s_wait_alu 0xfffe
	s_or_b32 exec_lo, exec_lo, s0
	s_and_saveexec_b32 s0, vcc_lo
	s_cbranch_execnz .LBB195_101
.LBB195_82:
	s_wait_alu 0xfffe
	s_or_b32 exec_lo, exec_lo, s0
	s_and_saveexec_b32 s0, vcc_lo
	s_cbranch_execnz .LBB195_102
.LBB195_83:
	s_wait_alu 0xfffe
	s_or_b32 exec_lo, exec_lo, s0
	s_and_saveexec_b32 s0, vcc_lo
	s_cbranch_execz .LBB195_85
.LBB195_84:
	ds_load_b32 v9, v9 offset:448
	s_wait_dscnt 0x0
	v_add_f32_e32 v8, v8, v9
.LBB195_85:
	s_wait_alu 0xfffe
	s_or_b32 exec_lo, exec_lo, s0
.LBB195_86:
	s_wait_alu 0xfffe
	s_or_b32 exec_lo, exec_lo, s1
	s_mov_b32 s21, 0
	s_wait_loadcnt 0x0
	s_barrier_signal -1
	s_barrier_wait -1
	global_inv scope:SCOPE_SE
	s_mov_b32 s0, exec_lo
	v_cmpx_eq_u32_e32 0, v11
	s_cbranch_execz .LBB195_88
; %bb.87:
	s_lshl_b32 s0, s18, 7
	s_mul_i32 s2, s12, s22
	s_wait_alu 0xfffe
	s_ashr_i32 s1, s0, 31
	s_ashr_i32 s3, s2, 31
	s_wait_alu 0xfffe
	s_lshl_b64 s[0:1], s[0:1], 2
	s_lshl_b64 s[2:3], s[2:3], 2
	s_wait_kmcnt 0x0
	s_wait_alu 0xfffe
	s_add_nc_u64 s[0:1], s[8:9], s[0:1]
	v_lshlrev_b32_e32 v0, 1, v0
	s_wait_alu 0xfffe
	s_add_nc_u64 s[0:1], s[0:1], s[2:3]
	s_wait_alu 0xfffe
	s_add_nc_u64 s[0:1], s[0:1], s[20:21]
	s_clause 0x7
	global_store_b32 v0, v1, s[0:1]
	global_store_b32 v0, v2, s[0:1] offset:64
	global_store_b32 v0, v3, s[0:1] offset:128
	;; [unrolled: 1-line block ×7, first 2 shown]
.LBB195_88:
	s_endpgm
.LBB195_89:
	ds_load_b32 v11, v9
	s_wait_dscnt 0x0
	v_add_f32_e32 v1, v1, v11
	s_wait_alu 0xfffe
	s_or_b32 exec_lo, exec_lo, s0
	s_and_saveexec_b32 s0, vcc_lo
	s_cbranch_execz .LBB195_65
.LBB195_90:
	ds_load_b32 v11, v9 offset:64
	s_wait_dscnt 0x0
	v_add_f32_e32 v2, v2, v11
	s_wait_alu 0xfffe
	s_or_b32 exec_lo, exec_lo, s0
	s_and_saveexec_b32 s0, vcc_lo
	s_cbranch_execz .LBB195_66
.LBB195_91:
	ds_load_b32 v11, v9 offset:128
	s_wait_dscnt 0x0
	v_add_f32_e32 v3, v3, v11
	s_wait_alu 0xfffe
	s_or_b32 exec_lo, exec_lo, s0
	s_and_saveexec_b32 s0, vcc_lo
	s_cbranch_execz .LBB195_67
.LBB195_92:
	ds_load_b32 v11, v9 offset:192
	s_wait_dscnt 0x0
	v_add_f32_e32 v4, v4, v11
	s_wait_alu 0xfffe
	s_or_b32 exec_lo, exec_lo, s0
	s_and_saveexec_b32 s0, vcc_lo
	s_cbranch_execz .LBB195_68
.LBB195_93:
	ds_load_b32 v11, v9 offset:256
	s_wait_dscnt 0x0
	v_add_f32_e32 v5, v5, v11
	s_wait_alu 0xfffe
	s_or_b32 exec_lo, exec_lo, s0
	s_and_saveexec_b32 s0, vcc_lo
	s_cbranch_execz .LBB195_69
.LBB195_94:
	ds_load_b32 v11, v9 offset:320
	s_wait_dscnt 0x0
	v_add_f32_e32 v6, v6, v11
	s_wait_alu 0xfffe
	s_or_b32 exec_lo, exec_lo, s0
	s_and_saveexec_b32 s0, vcc_lo
	s_cbranch_execz .LBB195_70
.LBB195_95:
	ds_load_b32 v11, v9 offset:384
	s_wait_dscnt 0x0
	v_add_f32_e32 v7, v7, v11
	s_wait_alu 0xfffe
	s_or_b32 exec_lo, exec_lo, s0
	s_and_saveexec_b32 s0, vcc_lo
	s_cbranch_execnz .LBB195_71
	s_branch .LBB195_72
.LBB195_96:
	ds_load_b32 v10, v9
	s_wait_dscnt 0x0
	v_add_f32_e32 v1, v1, v10
	s_wait_alu 0xfffe
	s_or_b32 exec_lo, exec_lo, s0
	s_and_saveexec_b32 s0, vcc_lo
	s_cbranch_execz .LBB195_78
.LBB195_97:
	ds_load_b32 v10, v9 offset:64
	s_wait_dscnt 0x0
	v_add_f32_e32 v2, v2, v10
	s_wait_alu 0xfffe
	s_or_b32 exec_lo, exec_lo, s0
	s_and_saveexec_b32 s0, vcc_lo
	s_cbranch_execz .LBB195_79
.LBB195_98:
	ds_load_b32 v10, v9 offset:128
	s_wait_dscnt 0x0
	v_add_f32_e32 v3, v3, v10
	s_wait_alu 0xfffe
	s_or_b32 exec_lo, exec_lo, s0
	s_and_saveexec_b32 s0, vcc_lo
	s_cbranch_execz .LBB195_80
.LBB195_99:
	ds_load_b32 v10, v9 offset:192
	s_wait_dscnt 0x0
	v_add_f32_e32 v4, v4, v10
	s_wait_alu 0xfffe
	s_or_b32 exec_lo, exec_lo, s0
	s_and_saveexec_b32 s0, vcc_lo
	s_cbranch_execz .LBB195_81
.LBB195_100:
	ds_load_b32 v10, v9 offset:256
	s_wait_dscnt 0x0
	v_add_f32_e32 v5, v5, v10
	s_wait_alu 0xfffe
	s_or_b32 exec_lo, exec_lo, s0
	s_and_saveexec_b32 s0, vcc_lo
	s_cbranch_execz .LBB195_82
.LBB195_101:
	ds_load_b32 v10, v9 offset:320
	s_wait_dscnt 0x0
	v_add_f32_e32 v6, v6, v10
	s_wait_alu 0xfffe
	s_or_b32 exec_lo, exec_lo, s0
	s_and_saveexec_b32 s0, vcc_lo
	s_cbranch_execz .LBB195_83
.LBB195_102:
	ds_load_b32 v10, v9 offset:384
	s_wait_dscnt 0x0
	v_add_f32_e32 v7, v7, v10
	s_wait_alu 0xfffe
	s_or_b32 exec_lo, exec_lo, s0
	s_and_saveexec_b32 s0, vcc_lo
	s_cbranch_execnz .LBB195_84
	s_branch .LBB195_85
	.section	.rodata,"a",@progbits
	.p2align	6, 0x0
	.amdhsa_kernel _ZN4vllm25paged_attention_v2_kernelIfhLi128ELi8ELi128ELNS_18Fp8KVCacheDataTypeE1ELb1ELi512EEEvPfS2_PT_PKS3_PKT0_S9_ifPKiSB_iPKfiiiSD_SD_iiiii
		.amdhsa_group_segment_fixed_size 544
		.amdhsa_private_segment_fixed_size 0
		.amdhsa_kernarg_size 400
		.amdhsa_user_sgpr_count 2
		.amdhsa_user_sgpr_dispatch_ptr 0
		.amdhsa_user_sgpr_queue_ptr 0
		.amdhsa_user_sgpr_kernarg_segment_ptr 1
		.amdhsa_user_sgpr_dispatch_id 0
		.amdhsa_user_sgpr_private_segment_size 0
		.amdhsa_wavefront_size32 1
		.amdhsa_uses_dynamic_stack 0
		.amdhsa_enable_private_segment 0
		.amdhsa_system_sgpr_workgroup_id_x 1
		.amdhsa_system_sgpr_workgroup_id_y 1
		.amdhsa_system_sgpr_workgroup_id_z 1
		.amdhsa_system_sgpr_workgroup_info 0
		.amdhsa_system_vgpr_workitem_id 0
		.amdhsa_next_free_vgpr 63
		.amdhsa_next_free_sgpr 45
		.amdhsa_reserve_vcc 1
		.amdhsa_float_round_mode_32 0
		.amdhsa_float_round_mode_16_64 0
		.amdhsa_float_denorm_mode_32 3
		.amdhsa_float_denorm_mode_16_64 3
		.amdhsa_fp16_overflow 0
		.amdhsa_workgroup_processor_mode 1
		.amdhsa_memory_ordered 1
		.amdhsa_forward_progress 1
		.amdhsa_inst_pref_size 61
		.amdhsa_round_robin_scheduling 0
		.amdhsa_exception_fp_ieee_invalid_op 0
		.amdhsa_exception_fp_denorm_src 0
		.amdhsa_exception_fp_ieee_div_zero 0
		.amdhsa_exception_fp_ieee_overflow 0
		.amdhsa_exception_fp_ieee_underflow 0
		.amdhsa_exception_fp_ieee_inexact 0
		.amdhsa_exception_int_div_zero 0
	.end_amdhsa_kernel
	.section	.text._ZN4vllm25paged_attention_v2_kernelIfhLi128ELi8ELi128ELNS_18Fp8KVCacheDataTypeE1ELb1ELi512EEEvPfS2_PT_PKS3_PKT0_S9_ifPKiSB_iPKfiiiSD_SD_iiiii,"axG",@progbits,_ZN4vllm25paged_attention_v2_kernelIfhLi128ELi8ELi128ELNS_18Fp8KVCacheDataTypeE1ELb1ELi512EEEvPfS2_PT_PKS3_PKT0_S9_ifPKiSB_iPKfiiiSD_SD_iiiii,comdat
.Lfunc_end195:
	.size	_ZN4vllm25paged_attention_v2_kernelIfhLi128ELi8ELi128ELNS_18Fp8KVCacheDataTypeE1ELb1ELi512EEEvPfS2_PT_PKS3_PKT0_S9_ifPKiSB_iPKfiiiSD_SD_iiiii, .Lfunc_end195-_ZN4vllm25paged_attention_v2_kernelIfhLi128ELi8ELi128ELNS_18Fp8KVCacheDataTypeE1ELb1ELi512EEEvPfS2_PT_PKS3_PKT0_S9_ifPKiSB_iPKfiiiSD_SD_iiiii
                                        ; -- End function
	.set _ZN4vllm25paged_attention_v2_kernelIfhLi128ELi8ELi128ELNS_18Fp8KVCacheDataTypeE1ELb1ELi512EEEvPfS2_PT_PKS3_PKT0_S9_ifPKiSB_iPKfiiiSD_SD_iiiii.num_vgpr, 63
	.set _ZN4vllm25paged_attention_v2_kernelIfhLi128ELi8ELi128ELNS_18Fp8KVCacheDataTypeE1ELb1ELi512EEEvPfS2_PT_PKS3_PKT0_S9_ifPKiSB_iPKfiiiSD_SD_iiiii.num_agpr, 0
	.set _ZN4vllm25paged_attention_v2_kernelIfhLi128ELi8ELi128ELNS_18Fp8KVCacheDataTypeE1ELb1ELi512EEEvPfS2_PT_PKS3_PKT0_S9_ifPKiSB_iPKfiiiSD_SD_iiiii.numbered_sgpr, 45
	.set _ZN4vllm25paged_attention_v2_kernelIfhLi128ELi8ELi128ELNS_18Fp8KVCacheDataTypeE1ELb1ELi512EEEvPfS2_PT_PKS3_PKT0_S9_ifPKiSB_iPKfiiiSD_SD_iiiii.num_named_barrier, 0
	.set _ZN4vllm25paged_attention_v2_kernelIfhLi128ELi8ELi128ELNS_18Fp8KVCacheDataTypeE1ELb1ELi512EEEvPfS2_PT_PKS3_PKT0_S9_ifPKiSB_iPKfiiiSD_SD_iiiii.private_seg_size, 0
	.set _ZN4vllm25paged_attention_v2_kernelIfhLi128ELi8ELi128ELNS_18Fp8KVCacheDataTypeE1ELb1ELi512EEEvPfS2_PT_PKS3_PKT0_S9_ifPKiSB_iPKfiiiSD_SD_iiiii.uses_vcc, 1
	.set _ZN4vllm25paged_attention_v2_kernelIfhLi128ELi8ELi128ELNS_18Fp8KVCacheDataTypeE1ELb1ELi512EEEvPfS2_PT_PKS3_PKT0_S9_ifPKiSB_iPKfiiiSD_SD_iiiii.uses_flat_scratch, 0
	.set _ZN4vllm25paged_attention_v2_kernelIfhLi128ELi8ELi128ELNS_18Fp8KVCacheDataTypeE1ELb1ELi512EEEvPfS2_PT_PKS3_PKT0_S9_ifPKiSB_iPKfiiiSD_SD_iiiii.has_dyn_sized_stack, 0
	.set _ZN4vllm25paged_attention_v2_kernelIfhLi128ELi8ELi128ELNS_18Fp8KVCacheDataTypeE1ELb1ELi512EEEvPfS2_PT_PKS3_PKT0_S9_ifPKiSB_iPKfiiiSD_SD_iiiii.has_recursion, 0
	.set _ZN4vllm25paged_attention_v2_kernelIfhLi128ELi8ELi128ELNS_18Fp8KVCacheDataTypeE1ELb1ELi512EEEvPfS2_PT_PKS3_PKT0_S9_ifPKiSB_iPKfiiiSD_SD_iiiii.has_indirect_call, 0
	.section	.AMDGPU.csdata,"",@progbits
; Kernel info:
; codeLenInByte = 7700
; TotalNumSgprs: 47
; NumVgprs: 63
; ScratchSize: 0
; MemoryBound: 0
; FloatMode: 240
; IeeeMode: 1
; LDSByteSize: 544 bytes/workgroup (compile time only)
; SGPRBlocks: 0
; VGPRBlocks: 7
; NumSGPRsForWavesPerEU: 47
; NumVGPRsForWavesPerEU: 63
; Occupancy: 16
; WaveLimiterHint : 1
; COMPUTE_PGM_RSRC2:SCRATCH_EN: 0
; COMPUTE_PGM_RSRC2:USER_SGPR: 2
; COMPUTE_PGM_RSRC2:TRAP_HANDLER: 0
; COMPUTE_PGM_RSRC2:TGID_X_EN: 1
; COMPUTE_PGM_RSRC2:TGID_Y_EN: 1
; COMPUTE_PGM_RSRC2:TGID_Z_EN: 1
; COMPUTE_PGM_RSRC2:TIDIG_COMP_CNT: 0
	.section	.text._ZN4vllm25paged_attention_v2_kernelIfhLi192ELi8ELi128ELNS_18Fp8KVCacheDataTypeE1ELb1ELi512EEEvPfS2_PT_PKS3_PKT0_S9_ifPKiSB_iPKfiiiSD_SD_iiiii,"axG",@progbits,_ZN4vllm25paged_attention_v2_kernelIfhLi192ELi8ELi128ELNS_18Fp8KVCacheDataTypeE1ELb1ELi512EEEvPfS2_PT_PKS3_PKT0_S9_ifPKiSB_iPKfiiiSD_SD_iiiii,comdat
	.protected	_ZN4vllm25paged_attention_v2_kernelIfhLi192ELi8ELi128ELNS_18Fp8KVCacheDataTypeE1ELb1ELi512EEEvPfS2_PT_PKS3_PKT0_S9_ifPKiSB_iPKfiiiSD_SD_iiiii ; -- Begin function _ZN4vllm25paged_attention_v2_kernelIfhLi192ELi8ELi128ELNS_18Fp8KVCacheDataTypeE1ELb1ELi512EEEvPfS2_PT_PKS3_PKT0_S9_ifPKiSB_iPKfiiiSD_SD_iiiii
	.globl	_ZN4vllm25paged_attention_v2_kernelIfhLi192ELi8ELi128ELNS_18Fp8KVCacheDataTypeE1ELb1ELi512EEEvPfS2_PT_PKS3_PKT0_S9_ifPKiSB_iPKfiiiSD_SD_iiiii
	.p2align	8
	.type	_ZN4vllm25paged_attention_v2_kernelIfhLi192ELi8ELi128ELNS_18Fp8KVCacheDataTypeE1ELb1ELi512EEEvPfS2_PT_PKS3_PKT0_S9_ifPKiSB_iPKfiiiSD_SD_iiiii,@function
_ZN4vllm25paged_attention_v2_kernelIfhLi192ELi8ELi128ELNS_18Fp8KVCacheDataTypeE1ELb1ELi512EEEvPfS2_PT_PKS3_PKT0_S9_ifPKiSB_iPKfiiiSD_SD_iiiii: ; @_ZN4vllm25paged_attention_v2_kernelIfhLi192ELi8ELi128ELNS_18Fp8KVCacheDataTypeE1ELb1ELi512EEEvPfS2_PT_PKS3_PKT0_S9_ifPKiSB_iPKfiiiSD_SD_iiiii
; %bb.0:
	s_load_b64 s[2:3], s[0:1], 0x40
	s_and_b32 s19, ttmp7, 0xffff
	s_lshr_b32 s33, ttmp7, 16
	s_lshl_b32 s4, s19, 2
	s_lshl_b32 s37, s33, 9
	s_wait_kmcnt 0x0
	s_load_b32 s35, s[2:3], s4 offset:0x0
	s_wait_kmcnt 0x0
	s_cmp_ge_i32 s37, s35
	s_cbranch_scc1 .LBB196_105
; %bb.1:
	s_clause 0x1
	s_load_b32 s36, s[0:1], 0x90
	s_load_b64 s[6:7], s[0:1], 0x30
	s_wait_kmcnt 0x0
	s_abs_i32 s5, s36
	s_abs_i32 s2, s6
	s_delay_alu instid0(SALU_CYCLE_1) | instskip(SKIP_1) | instid1(SALU_CYCLE_2)
	s_cvt_f32_u32 s3, s2
	s_sub_co_i32 s4, 0, s2
	v_rcp_iflag_f32_e32 v1, s3
	s_delay_alu instid0(TRANS32_DEP_1) | instskip(SKIP_2) | instid1(SALU_CYCLE_2)
	v_readfirstlane_b32 s3, v1
	s_mul_f32 s3, s3, 0x4f7ffffe
	s_wait_alu 0xfffe
	s_cvt_u32_f32 s3, s3
	s_wait_alu 0xfffe
	s_delay_alu instid0(SALU_CYCLE_2) | instskip(NEXT) | instid1(SALU_CYCLE_1)
	s_mul_i32 s4, s4, s3
	s_mul_hi_u32 s4, s3, s4
	s_delay_alu instid0(SALU_CYCLE_1)
	s_add_co_i32 s3, s3, s4
	s_xor_b32 s4, s36, s6
	s_wait_alu 0xfffe
	s_mul_hi_u32 s3, s5, s3
	s_ashr_i32 s4, s4, 31
	s_wait_alu 0xfffe
	s_mul_i32 s8, s3, s2
	s_delay_alu instid0(SALU_CYCLE_1)
	s_sub_co_i32 s5, s5, s8
	s_add_co_i32 s8, s3, 1
	s_sub_co_i32 s9, s5, s2
	s_cmp_ge_u32 s5, s2
	s_cselect_b32 s3, s8, s3
	s_cselect_b32 s5, s9, s5
	s_wait_alu 0xfffe
	s_add_co_i32 s8, s3, 1
	s_cmp_ge_u32 s5, s2
	s_cselect_b32 s2, s8, s3
	s_load_b64 s[8:9], s[0:1], 0x50
	s_xor_b32 s2, s2, s4
	s_mov_b32 s3, 0
	s_wait_alu 0xfffe
	s_sub_co_i32 s11, s2, s4
	s_mov_b32 s30, s3
	s_abs_i32 s10, s11
	s_delay_alu instid0(SALU_CYCLE_1) | instskip(SKIP_1) | instid1(SALU_CYCLE_2)
	s_cvt_f32_u32 s2, s10
	s_wait_alu 0xfffe
	v_rcp_iflag_f32_e32 v1, s2
	s_delay_alu instid0(TRANS32_DEP_1) | instskip(SKIP_2) | instid1(SALU_CYCLE_2)
	v_readfirstlane_b32 s2, v1
	s_mul_f32 s2, s2, 0x4f7ffffe
	s_wait_alu 0xfffe
	s_cvt_u32_f32 s4, s2
	s_sub_co_i32 s2, 0, s10
	s_wait_alu 0xfffe
	s_delay_alu instid0(SALU_CYCLE_1)
	s_mul_i32 s2, s2, s4
	s_wait_alu 0xfffe
	s_mul_hi_u32 s5, s4, s2
	s_abs_i32 s2, ttmp9
	s_add_co_i32 s4, s4, s5
	s_mov_b32 s5, s3
	s_wait_kmcnt 0x0
	s_cmp_eq_u64 s[8:9], 0
	s_cbranch_scc1 .LBB196_3
; %bb.2:
	s_mov_b32 s12, ttmp9
	s_ashr_i32 s13, ttmp9, 31
	s_delay_alu instid0(SALU_CYCLE_1) | instskip(NEXT) | instid1(SALU_CYCLE_1)
	s_lshl_b64 s[12:13], s[12:13], 2
	s_add_nc_u64 s[8:9], s[8:9], s[12:13]
	s_load_b32 s30, s[8:9], 0x0
.LBB196_3:
	s_clause 0x1
	s_load_b32 s34, s[0:1], 0x98
	s_load_b96 s[16:18], s[0:1], 0x58
	v_and_b32_e32 v1, 3, v0
	v_lshlrev_b32_e32 v5, 2, v0
	s_mul_u64 s[4:5], s[2:3], s[4:5]
	s_ashr_i32 s3, ttmp9, 31
	s_ashr_i32 s4, s11, 31
	s_mul_i32 s20, ttmp9, 0xc0
	s_mov_b32 s11, exec_lo
	v_cmpx_gt_u32_e32 0xc0, v0
	s_cbranch_execz .LBB196_6
; %bb.4:
	s_load_b64 s[8:9], s[0:1], 0x18
	s_wait_kmcnt 0x0
	s_mul_i32 s12, s16, s19
	s_ashr_i32 s21, s20, 31
	s_ashr_i32 s13, s12, 31
	v_and_b32_e32 v2, 0x3fc, v0
	s_lshl_b64 s[12:13], s[12:13], 2
	v_cmp_gt_u32_e32 vcc_lo, 64, v0
	s_delay_alu instid0(VALU_DEP_2) | instskip(SKIP_2) | instid1(SALU_CYCLE_1)
	v_mad_u32_u24 v2, 0xc0, v1, v2
	s_add_nc_u64 s[8:9], s[8:9], s[12:13]
	s_lshl_b64 s[12:13], s[20:21], 2
	s_add_nc_u64 s[8:9], s[8:9], s[12:13]
	global_load_b32 v3, v5, s[8:9]
	s_wait_loadcnt 0x0
	ds_store_b32 v2, v3
	s_and_b32 exec_lo, exec_lo, vcc_lo
	s_cbranch_execz .LBB196_6
; %bb.5:
	v_lshrrev_b32_e32 v3, 2, v0
	v_lshlrev_b32_e32 v4, 2, v1
	s_delay_alu instid0(VALU_DEP_2) | instskip(NEXT) | instid1(VALU_DEP_1)
	v_lshlrev_b32_e32 v3, 4, v3
	v_or3_b32 v3, v3, v4, 0x200
	global_load_b32 v3, v3, s[8:9]
	s_wait_loadcnt 0x0
	ds_store_b32 v2, v3 offset:128
.LBB196_6:
	s_or_b32 exec_lo, exec_lo, s11
	s_load_b128 s[12:15], s[0:1], 0x78
	s_mul_i32 s8, s5, s10
	s_xor_b32 s3, s3, s4
	s_sub_co_i32 s2, s2, s8
	s_add_co_i32 s4, s5, 1
	s_wait_alu 0xfffe
	s_sub_co_i32 s8, s2, s10
	s_cmp_ge_u32 s2, s10
                                        ; implicit-def: $sgpr21
	s_cselect_b32 s4, s4, s5
	s_cselect_b32 s2, s8, s2
	s_add_co_i32 s5, s4, 1
	s_wait_alu 0xfffe
	s_cmp_ge_u32 s2, s10
	s_load_b32 s8, s[0:1], 0x88
	s_cselect_b32 s2, s5, s4
	s_add_co_i32 s9, s35, -1
	s_wait_alu 0xfffe
	s_xor_b32 s2, s2, s3
	s_mov_b32 s10, -1
	s_wait_alu 0xfffe
	s_sub_co_i32 s28, s2, s3
	s_wait_dscnt 0x0
	s_barrier_signal -1
	s_wait_kmcnt 0x0
	s_abs_i32 s16, s15
	s_barrier_wait -1
	s_cvt_f32_u32 s4, s16
	global_inv scope:SCOPE_SE
	v_rcp_iflag_f32_e32 v2, s4
	s_delay_alu instid0(TRANS32_DEP_1) | instskip(SKIP_2) | instid1(SALU_CYCLE_2)
	v_readfirstlane_b32 s4, v2
	s_mul_f32 s2, s4, 0x4f7ffffe
	s_wait_alu 0xfffe
	s_cvt_u32_f32 s4, s2
	s_sub_co_i32 s2, 0, s16
	s_wait_alu 0xfffe
	s_delay_alu instid0(SALU_CYCLE_1)
	s_mul_i32 s3, s2, s4
	s_abs_i32 s2, s9
	s_wait_alu 0xfffe
	s_mul_hi_u32 s5, s4, s3
	s_mov_b32 s3, 0
	s_wait_alu 0xfffe
	s_add_co_i32 s22, s4, s5
	s_cmp_lt_i32 s8, 0
	s_mov_b32 s23, s3
	s_cbranch_scc0 .LBB196_8
; %bb.7:
	s_mul_i32 s4, s12, s6
	s_mov_b32 s10, s3
	s_wait_alu 0xfffe
	s_add_co_i32 s4, s28, s4
	s_wait_alu 0xfffe
	s_mul_i32 s4, s4, s8
	s_wait_alu 0xfffe
	s_sub_co_i32 s21, 1, s4
.LBB196_8:
	s_mul_u64 s[4:5], s[2:3], s[22:23]
	s_ashr_i32 s3, s9, 31
	s_and_not1_b32 vcc_lo, exec_lo, s10
	s_ashr_i32 s15, s15, 31
	s_cbranch_vccnz .LBB196_10
; %bb.9:
	s_mul_i32 s4, s36, s12
	s_wait_alu 0xfffe
	s_add_co_i32 s4, s4, ttmp9
	s_wait_alu 0xfffe
	s_mul_i32 s4, s4, s8
	s_wait_alu 0xfffe
	s_add_co_i32 s21, s4, 1
.LBB196_10:
	s_clause 0x2
	s_load_b32 s4, s[0:1], 0x48
	s_load_b64 s[24:25], s[0:1], 0x38
	s_load_b128 s[8:11], s[0:1], 0x68
	s_mul_i32 s6, s5, s16
	s_xor_b32 s3, s3, s15
	s_sub_co_i32 s2, s2, s6
	s_add_co_i32 s12, s5, 1
	v_lshrrev_b32_e32 v11, 5, v0
	v_mov_b32_e32 v10, 0xff7fffff
	v_mbcnt_lo_u32_b32 v7, -1, 0
	s_mul_i32 s28, s28, s18
	s_delay_alu instid0(VALU_DEP_3)
	v_lshl_add_u32 v12, v11, 3, s37
	s_wait_kmcnt 0x0
	s_mul_i32 s26, s4, s19
	s_wait_alu 0xfffe
	s_sub_co_i32 s4, s2, s16
	s_ashr_i32 s27, s26, 31
	s_cmp_ge_u32 s2, s16
	s_cselect_b32 s5, s12, s5
	s_wait_alu 0xfffe
	s_cselect_b32 s2, s4, s2
	s_add_co_i32 s4, s5, 1
	s_wait_alu 0xfffe
	s_cmp_ge_u32 s2, s16
	s_cselect_b32 s2, s4, s5
	s_add_co_i32 s4, s35, 7
	s_lshl_b32 s39, s33, 6
	s_wait_alu 0xfffe
	s_ashr_i32 s5, s4, 31
	v_or_b32_e32 v13, s39, v11
	s_wait_alu 0xfffe
	s_lshr_b32 s5, s5, 29
	s_wait_alu 0xfffe
	s_add_co_i32 s4, s4, s5
	s_add_co_i32 s5, s39, 64
	s_wait_alu 0xfffe
	s_ashr_i32 s23, s4, 3
	s_xor_b32 s4, s2, s3
	s_min_i32 s12, s5, s23
	v_lshlrev_b32_e32 v6, 2, v13
	v_cmp_gt_i32_e64 s2, s12, v13
	s_wait_alu 0xfffe
	s_sub_co_i32 s38, s4, s3
	s_and_saveexec_b32 s6, s2
	s_cbranch_execz .LBB196_22
; %bb.11:
	s_wait_alu 0xfffe
	s_sub_co_i32 s18, s38, s13
	s_ashr_i32 s29, s28, 31
	s_cmp_neq_f32 s30, 0
	s_load_b64 s[4:5], s[0:1], 0x20
	v_bfe_u32 v8, v0, 2, 3
	v_mov_b32_e32 v17, 0xff7fffff
	s_cselect_b32 vcc_lo, -1, 0
	s_abs_i32 s31, s14
	s_lshl_b64 s[42:43], s[26:27], 2
	s_cvt_f32_u32 s3, s31
	v_lshlrev_b32_e32 v3, 4, v8
	v_subrev_nc_u32_e32 v10, s35, v8
	v_lshlrev_b32_e32 v4, 2, v8
	s_wait_alu 0xfffe
	v_rcp_iflag_f32_e32 v2, s3
	v_cmp_eq_u32_e64 s3, 0, v1
	v_mul_u32_u24_e32 v9, 0xc0, v1
	v_dual_mov_b32 v20, v13 :: v_dual_add_nc_u32 v15, 1, v10
	v_mov_b32_e32 v10, 0xff7fffff
	v_lshl_or_b32 v16, v11, 5, v4
	s_add_nc_u64 s[42:43], s[24:25], s[42:43]
	s_sub_co_i32 s44, 0, s31
	v_lshl_add_u32 v14, v11, 3, s37
	s_delay_alu instid0(TRANS32_DEP_1)
	v_readfirstlane_b32 s41, v2
	s_wait_kmcnt 0x0
	s_add_nc_u64 s[4:5], s[4:5], s[28:29]
	v_add_nc_u32_e32 v16, 0x320, v16
	s_wait_alu 0xfffe
	v_add_co_u32 v2, s4, s4, v3
	s_mul_f32 s29, s41, 0x4f7ffffe
	s_wait_alu 0xf1ff
	v_add_co_ci_u32_e64 v3, null, s5, 0, s4
	v_add_co_u32 v1, s4, v2, v1
	s_cvt_u32_f32 s5, s29
	s_wait_alu 0xf1ff
	v_add_co_ci_u32_e64 v2, null, 0, v3, s4
	v_add_co_u32 v3, s4, s42, v6
	s_wait_alu 0xfffe
	s_mul_i32 s44, s44, s5
	v_add_co_ci_u32_e64 v4, null, s43, 0, s4
	v_xor_b32_e32 v18, 2, v7
	v_xor_b32_e32 v19, 1, v7
	s_mul_hi_u32 s4, s5, s44
	s_mov_b32 s40, 0
	s_mov_b32 s29, s17
	s_wait_alu 0xfffe
	s_add_co_i32 s41, s5, s4
	s_branch .LBB196_14
.LBB196_12:                             ;   in Loop: Header=BB196_14 Depth=1
	s_wait_alu 0xfffe
	s_or_b32 exec_lo, exec_lo, s42
.LBB196_13:                             ;   in Loop: Header=BB196_14 Depth=1
	s_wait_alu 0xfffe
	s_or_b32 exec_lo, exec_lo, s5
	v_add_nc_u32_e32 v20, 4, v20
	v_add_co_u32 v3, s5, v3, 16
	s_wait_alu 0xf1ff
	v_add_co_ci_u32_e64 v4, null, 0, v4, s5
	s_delay_alu instid0(VALU_DEP_3)
	v_cmp_le_i32_e64 s4, s12, v20
	v_add_nc_u32_e32 v14, 32, v14
	v_add_nc_u32_e32 v16, 0x80, v16
	s_or_b32 s40, s4, s40
	s_wait_alu 0xfffe
	s_and_not1_b32 exec_lo, exec_lo, s40
	s_cbranch_execz .LBB196_21
.LBB196_14:                             ; =>This Inner Loop Header: Depth=1
	v_sub_nc_u32_e32 v21, 0, v14
	s_delay_alu instid0(VALU_DEP_1) | instskip(SKIP_1) | instid1(VALU_DEP_1)
	v_max_i32_e32 v21, v14, v21
	s_wait_dscnt 0x0
	v_mul_hi_u32 v22, v21, s22
	s_delay_alu instid0(VALU_DEP_1) | instskip(NEXT) | instid1(VALU_DEP_1)
	v_mul_lo_u32 v23, v22, s16
	v_sub_nc_u32_e32 v21, v21, v23
	v_add_nc_u32_e32 v23, 1, v22
	s_delay_alu instid0(VALU_DEP_2) | instskip(SKIP_2) | instid1(VALU_DEP_1)
	v_subrev_nc_u32_e32 v24, s16, v21
	v_cmp_le_u32_e64 s4, s16, v21
	s_wait_alu 0xf1ff
	v_cndmask_b32_e64 v22, v22, v23, s4
	s_delay_alu instid0(VALU_DEP_3) | instskip(SKIP_1) | instid1(VALU_DEP_3)
	v_cndmask_b32_e64 v21, v21, v24, s4
	v_ashrrev_i32_e32 v23, 31, v14
	v_add_nc_u32_e32 v24, 1, v22
	s_delay_alu instid0(VALU_DEP_3) | instskip(NEXT) | instid1(VALU_DEP_3)
	v_cmp_le_u32_e64 s4, s16, v21
	v_xor_b32_e32 v23, s15, v23
	s_wait_alu 0xf1ff
	s_delay_alu instid0(VALU_DEP_2) | instskip(NEXT) | instid1(VALU_DEP_1)
	v_cndmask_b32_e64 v21, v22, v24, s4
	v_xor_b32_e32 v21, v21, v23
	s_delay_alu instid0(VALU_DEP_1) | instskip(NEXT) | instid1(VALU_DEP_1)
	v_sub_nc_u32_e32 v21, v21, v23
	v_add_nc_u32_e32 v22, s21, v21
	v_cmp_ge_i32_e64 s5, s18, v21
	s_delay_alu instid0(VALU_DEP_2) | instskip(NEXT) | instid1(VALU_DEP_1)
	v_sub_nc_u32_e32 v23, 0, v22
	v_max_i32_e32 v23, v22, v23
	v_ashrrev_i32_e32 v22, 31, v22
	s_delay_alu instid0(VALU_DEP_2) | instskip(NEXT) | instid1(VALU_DEP_1)
	v_mul_hi_u32 v24, v23, s41
	v_mul_lo_u32 v24, v24, s31
	s_delay_alu instid0(VALU_DEP_1) | instskip(NEXT) | instid1(VALU_DEP_1)
	v_sub_nc_u32_e32 v23, v23, v24
	v_subrev_nc_u32_e32 v24, s31, v23
	v_cmp_le_u32_e64 s4, s31, v23
	s_wait_alu 0xf1ff
	s_delay_alu instid0(VALU_DEP_1) | instskip(NEXT) | instid1(VALU_DEP_1)
	v_cndmask_b32_e64 v23, v23, v24, s4
	v_subrev_nc_u32_e32 v24, s31, v23
	v_cmp_le_u32_e64 s4, s31, v23
	s_wait_alu 0xf1ff
	s_delay_alu instid0(VALU_DEP_1) | instskip(NEXT) | instid1(VALU_DEP_1)
	v_cndmask_b32_e64 v23, v23, v24, s4
	v_xor_b32_e32 v23, v23, v22
	s_delay_alu instid0(VALU_DEP_1) | instskip(NEXT) | instid1(VALU_DEP_1)
	v_sub_nc_u32_e32 v22, v23, v22
	v_cmp_ne_u32_e64 s4, 0, v22
	s_and_b32 s4, s4, s5
	s_wait_alu 0xfffe
	s_and_saveexec_b32 s5, s4
	s_wait_alu 0xfffe
	s_xor_b32 s4, exec_lo, s5
	s_cbranch_execz .LBB196_18
; %bb.15:                               ;   in Loop: Header=BB196_14 Depth=1
	s_and_saveexec_b32 s5, s3
; %bb.16:                               ;   in Loop: Header=BB196_14 Depth=1
	ds_store_b32 v16, v17
; %bb.17:                               ;   in Loop: Header=BB196_14 Depth=1
	s_wait_alu 0xfffe
	s_or_b32 exec_lo, exec_lo, s5
.LBB196_18:                             ;   in Loop: Header=BB196_14 Depth=1
	s_wait_alu 0xfffe
	s_and_not1_saveexec_b32 s5, s4
	s_cbranch_execz .LBB196_13
; %bb.19:                               ;   in Loop: Header=BB196_14 Depth=1
	global_load_b32 v21, v[3:4], off
	v_cmp_gt_i32_e64 s4, 32, v18
	s_wait_loadcnt 0x0
	v_mad_co_i64_i32 v[21:22], null, v21, s29, v[1:2]
	s_clause 0x1f
	global_load_u8 v25, v[21:22], off offset:4
	global_load_u8 v26, v[21:22], off
	global_load_u8 v29, v[21:22], off offset:8
	global_load_u8 v30, v[21:22], off offset:12
	;; [unrolled: 1-line block ×30, first 2 shown]
	s_clause 0xf
	global_load_u8 v59, v[21:22], off offset:1024
	global_load_u8 v60, v[21:22], off offset:1028
	;; [unrolled: 1-line block ×16, first 2 shown]
	s_load_b32 s42, s[8:9], 0x0
	ds_load_b128 v[21:24], v9
	s_wait_loadcnt 0x2f
	v_cvt_f32_fp8_e32 v25, v25
	s_wait_loadcnt 0x2e
	v_cvt_f32_fp8_e32 v75, v26
	;; [unrolled: 2-line block ×3, first 2 shown]
	s_wait_kmcnt 0x0
	s_delay_alu instid0(VALU_DEP_2)
	v_dual_mul_f32 v76, s42, v25 :: v_dual_mul_f32 v75, s42, v75
	ds_load_b128 v[25:28], v9 offset:16
	s_wait_dscnt 0x1
	v_mul_f32_e32 v76, v22, v76
	v_mul_f32_e32 v22, s42, v29
	s_wait_loadcnt 0x2c
	v_cvt_f32_fp8_e32 v29, v30
	s_delay_alu instid0(VALU_DEP_1) | instskip(SKIP_4) | instid1(VALU_DEP_1)
	v_dual_mul_f32 v29, s42, v29 :: v_dual_fmac_f32 v76, v21, v75
	s_wait_loadcnt 0x2b
	v_cvt_f32_fp8_e32 v21, v31
	s_wait_loadcnt 0x2a
	v_cvt_f32_fp8_e32 v31, v32
	v_dual_mul_f32 v30, s42, v21 :: v_dual_mul_f32 v31, s42, v31
	v_fmac_f32_e32 v76, v23, v22
	s_delay_alu instid0(VALU_DEP_1) | instskip(SKIP_4) | instid1(VALU_DEP_1)
	v_fmac_f32_e32 v76, v24, v29
	ds_load_b128 v[21:24], v9 offset:32
	s_wait_loadcnt 0x29
	v_cvt_f32_fp8_e32 v29, v33
	s_wait_dscnt 0x1
	v_dual_fmac_f32 v76, v25, v30 :: v_dual_mul_f32 v25, s42, v29
	s_wait_loadcnt 0x28
	v_cvt_f32_fp8_e32 v29, v34
	s_delay_alu instid0(VALU_DEP_2)
	v_fmac_f32_e32 v76, v26, v31
	s_wait_loadcnt 0x27
	v_cvt_f32_fp8_e32 v26, v35
	s_wait_loadcnt 0x26
	v_cvt_f32_fp8_e32 v31, v36
	v_mul_f32_e32 v29, s42, v29
	v_fmac_f32_e32 v76, v27, v25
	s_delay_alu instid0(VALU_DEP_3) | instskip(NEXT) | instid1(VALU_DEP_2)
	v_dual_mul_f32 v30, s42, v26 :: v_dual_mul_f32 v31, s42, v31
	v_fmac_f32_e32 v76, v28, v29
	ds_load_b128 v[25:28], v9 offset:48
	s_wait_loadcnt 0x25
	v_cvt_f32_fp8_e32 v29, v37
	s_wait_dscnt 0x1
	s_delay_alu instid0(VALU_DEP_1) | instskip(SKIP_2) | instid1(VALU_DEP_2)
	v_dual_fmac_f32 v76, v21, v30 :: v_dual_mul_f32 v21, s42, v29
	s_wait_loadcnt 0x24
	v_cvt_f32_fp8_e32 v29, v38
	v_fmac_f32_e32 v76, v22, v31
	s_wait_loadcnt 0x23
	v_cvt_f32_fp8_e32 v22, v39
	s_wait_loadcnt 0x22
	v_cvt_f32_fp8_e32 v31, v40
	v_mul_f32_e32 v29, s42, v29
	v_fmac_f32_e32 v76, v23, v21
	s_delay_alu instid0(VALU_DEP_3) | instskip(NEXT) | instid1(VALU_DEP_2)
	v_dual_mul_f32 v30, s42, v22 :: v_dual_mul_f32 v31, s42, v31
	v_fmac_f32_e32 v76, v24, v29
	ds_load_b128 v[21:24], v9 offset:64
	s_wait_loadcnt 0x21
	v_cvt_f32_fp8_e32 v29, v41
	s_wait_dscnt 0x1
	s_delay_alu instid0(VALU_DEP_1) | instskip(SKIP_2) | instid1(VALU_DEP_2)
	v_dual_fmac_f32 v76, v25, v30 :: v_dual_mul_f32 v25, s42, v29
	s_wait_loadcnt 0x20
	v_cvt_f32_fp8_e32 v29, v42
	;; [unrolled: 18-line block ×9, first 2 shown]
	v_fmac_f32_e32 v76, v22, v31
	s_wait_loadcnt 0x3
	v_cvt_f32_fp8_e32 v22, v71
	s_delay_alu instid0(VALU_DEP_3) | instskip(NEXT) | instid1(VALU_DEP_2)
	v_mul_f32_e32 v29, s42, v29
	v_dual_fmac_f32 v76, v23, v21 :: v_dual_mul_f32 v21, s42, v22
	s_wait_loadcnt 0x2
	v_cvt_f32_fp8_e32 v22, v72
	s_wait_loadcnt 0x1
	v_cvt_f32_fp8_e32 v23, v73
	v_fmac_f32_e32 v76, v24, v29
	s_delay_alu instid0(VALU_DEP_3) | instskip(SKIP_1) | instid1(VALU_DEP_2)
	v_mul_f32_e32 v22, s42, v22
	s_wait_dscnt 0x0
	v_dual_fmac_f32 v76, v25, v21 :: v_dual_mul_f32 v21, s42, v23
	s_wait_loadcnt 0x0
	v_cvt_f32_fp8_e32 v23, v74
	s_delay_alu instid0(VALU_DEP_2) | instskip(SKIP_1) | instid1(VALU_DEP_3)
	v_fmac_f32_e32 v76, v26, v22
	v_cndmask_b32_e64 v22, v7, v18, s4
	v_mul_f32_e32 v23, s42, v23
	v_cmp_gt_i32_e64 s4, 32, v19
	s_delay_alu instid0(VALU_DEP_3) | instskip(SKIP_1) | instid1(VALU_DEP_2)
	v_dual_fmac_f32 v76, v27, v21 :: v_dual_lshlrev_b32 v21, 2, v22
	s_wait_alu 0xf1ff
	v_cndmask_b32_e64 v22, v7, v19, s4
	s_delay_alu instid0(VALU_DEP_2) | instskip(NEXT) | instid1(VALU_DEP_2)
	v_fmac_f32_e32 v76, v28, v23
	v_lshlrev_b32_e32 v22, 2, v22
	ds_bpermute_b32 v21, v21, v76
	s_wait_dscnt 0x0
	v_add_f32_e32 v21, v76, v21
	ds_bpermute_b32 v22, v22, v21
	s_and_saveexec_b32 s42, s3
	s_cbranch_execz .LBB196_12
; %bb.20:                               ;   in Loop: Header=BB196_14 Depth=1
	s_wait_dscnt 0x0
	v_add_f32_e32 v21, v21, v22
	v_add_nc_u32_e32 v23, v15, v14
	s_delay_alu instid0(VALU_DEP_1) | instskip(NEXT) | instid1(VALU_DEP_1)
	v_cvt_f32_i32_e32 v23, v23
	v_mul_f32_e32 v23, s30, v23
	s_delay_alu instid0(VALU_DEP_1) | instskip(NEXT) | instid1(VALU_DEP_1)
	v_dual_cndmask_b32 v22, 0, v23 :: v_dual_max_num_f32 v23, v10, v10
	v_dual_fmac_f32 v22, s7, v21 :: v_dual_add_nc_u32 v21, v8, v14
	s_delay_alu instid0(VALU_DEP_1) | instskip(NEXT) | instid1(VALU_DEP_2)
	v_max_num_f32_e32 v23, v23, v22
	v_cmp_gt_i32_e64 s4, s35, v21
	s_wait_alu 0xf1ff
	s_delay_alu instid0(VALU_DEP_1) | instskip(NEXT) | instid1(VALU_DEP_3)
	v_cndmask_b32_e64 v21, 0, v22, s4
	v_cndmask_b32_e64 v10, v10, v23, s4
	ds_store_b32 v16, v21
	s_branch .LBB196_12
.LBB196_21:
	s_or_b32 exec_lo, exec_lo, s40
.LBB196_22:
	s_delay_alu instid0(SALU_CYCLE_1)
	s_or_b32 exec_lo, exec_lo, s6
	v_xor_b32_e32 v1, 16, v7
	v_xor_b32_e32 v3, 8, v7
	s_clause 0x2
	s_load_b128 s[4:7], s[0:1], 0x0
	s_load_b64 s[8:9], s[0:1], 0x10
	s_load_b64 s[30:31], s[0:1], 0x28
	v_max_num_f32_e32 v8, v10, v10
	v_and_b32_e32 v14, 31, v0
	v_cmp_gt_i32_e32 vcc_lo, 32, v1
	s_wait_alu 0xfffd
	v_cndmask_b32_e32 v1, v7, v1, vcc_lo
	v_cmp_gt_i32_e32 vcc_lo, 32, v3
	s_wait_alu 0xfffd
	s_delay_alu instid0(VALU_DEP_2) | instskip(SKIP_3) | instid1(VALU_DEP_1)
	v_dual_cndmask_b32 v3, v7, v3 :: v_dual_lshlrev_b32 v2, 2, v1
	ds_bpermute_b32 v1, v2, v10
	s_wait_dscnt 0x0
	v_dual_max_num_f32 v1, v1, v1 :: v_dual_lshlrev_b32 v4, 2, v3
	v_max_num_f32_e32 v1, v8, v1
	v_xor_b32_e32 v8, 4, v7
	s_delay_alu instid0(VALU_DEP_1)
	v_cmp_gt_i32_e32 vcc_lo, 32, v8
	s_wait_alu 0xfffd
	v_cndmask_b32_e32 v8, v7, v8, vcc_lo
	ds_bpermute_b32 v3, v4, v1
	v_cmp_eq_u32_e32 vcc_lo, 0, v14
	v_lshlrev_b32_e32 v10, 2, v8
	v_lshlrev_b32_e32 v8, 2, v11
	s_wait_dscnt 0x0
	v_max_num_f32_e32 v3, v3, v3
	s_delay_alu instid0(VALU_DEP_1)
	v_max_num_f32_e32 v1, v1, v3
	ds_bpermute_b32 v3, v10, v1
	s_and_saveexec_b32 s0, vcc_lo
	s_cbranch_execz .LBB196_24
; %bb.23:
	s_wait_dscnt 0x0
	v_max_num_f32_e32 v3, v3, v3
	v_max_num_f32_e32 v1, v1, v1
	s_delay_alu instid0(VALU_DEP_1)
	v_max_num_f32_e32 v1, v1, v3
	ds_store_b32 v8, v1 offset:768
.LBB196_24:
	s_or_b32 exec_lo, exec_lo, s0
	v_cmp_gt_u32_e64 s0, 4, v14
	v_mov_b32_e32 v1, 0xff7fffff
	v_lshlrev_b32_e32 v9, 2, v14
	s_wait_loadcnt_dscnt 0x0
	s_barrier_signal -1
	s_barrier_wait -1
	global_inv scope:SCOPE_SE
	s_and_saveexec_b32 s1, s0
; %bb.25:
	ds_load_b32 v1, v9 offset:768
; %bb.26:
	s_or_b32 exec_lo, exec_lo, s1
	v_xor_b32_e32 v3, 2, v7
	v_xor_b32_e32 v15, 1, v7
	s_delay_alu instid0(VALU_DEP_2) | instskip(NEXT) | instid1(VALU_DEP_1)
	v_cmp_gt_i32_e64 s1, 32, v3
	v_cndmask_b32_e64 v3, v7, v3, s1
	s_delay_alu instid0(VALU_DEP_3) | instskip(NEXT) | instid1(VALU_DEP_2)
	v_cmp_gt_i32_e64 s1, 32, v15
	v_lshlrev_b32_e32 v16, 2, v3
	s_wait_alu 0xf1ff
	s_delay_alu instid0(VALU_DEP_2)
	v_cndmask_b32_e64 v7, v7, v15, s1
	s_sub_co_i32 s1, s12, s39
	s_wait_alu 0xfffe
	s_lshl_b32 s1, s1, 3
	s_wait_dscnt 0x0
	ds_bpermute_b32 v3, v16, v1
	v_max_num_f32_e32 v1, v1, v1
	v_lshlrev_b32_e32 v15, 2, v7
	v_mov_b32_e32 v7, 0
	s_wait_alu 0xfffe
	s_add_co_i32 s1, s1, s37
	s_wait_alu 0xfffe
	s_min_i32 s1, s1, s35
	s_wait_alu 0xfffe
	s_sub_co_i32 s18, s1, s37
	s_wait_alu 0xfffe
	v_cmp_gt_i32_e64 s1, s18, v0
	s_wait_dscnt 0x0
	v_max_num_f32_e32 v3, v3, v3
	s_delay_alu instid0(VALU_DEP_1) | instskip(SKIP_3) | instid1(VALU_DEP_1)
	v_max_num_f32_e32 v1, v1, v3
	ds_bpermute_b32 v3, v15, v1
	s_wait_dscnt 0x0
	v_max_num_f32_e32 v3, v3, v3
	v_max_num_f32_e32 v1, v1, v3
	v_lshl_add_u32 v3, v0, 2, 0x320
	ds_bpermute_b32 v1, v7, v1
	s_and_saveexec_b32 s29, s1
	s_cbranch_execz .LBB196_30
; %bb.27:
	v_lshl_add_u32 v17, v0, 2, 0x320
	v_dual_mov_b32 v7, 0 :: v_dual_mov_b32 v18, v0
	s_mov_b32 s37, 0
.LBB196_28:                             ; =>This Inner Loop Header: Depth=1
	ds_load_b32 v19, v17
	v_add_nc_u32_e32 v18, 0x80, v18
	s_delay_alu instid0(VALU_DEP_1) | instskip(SKIP_4) | instid1(VALU_DEP_1)
	v_cmp_le_i32_e64 s3, s18, v18
	s_wait_alu 0xfffe
	s_or_b32 s37, s3, s37
	s_wait_dscnt 0x0
	v_sub_f32_e32 v19, v19, v1
	v_mul_f32_e32 v19, 0x3fb8aa3b, v19
	s_delay_alu instid0(VALU_DEP_1)
	v_exp_f32_e32 v19, v19
	ds_store_b32 v17, v19
	v_add_f32_e32 v7, v7, v19
	v_add_nc_u32_e32 v17, 0x200, v17
	s_wait_alu 0xfffe
	s_and_not1_b32 exec_lo, exec_lo, s37
	s_cbranch_execnz .LBB196_28
; %bb.29:
	s_or_b32 exec_lo, exec_lo, s37
.LBB196_30:
	s_wait_alu 0xfffe
	s_or_b32 exec_lo, exec_lo, s29
	ds_bpermute_b32 v2, v2, v7
	s_wait_dscnt 0x0
	v_add_f32_e32 v2, v7, v2
	ds_bpermute_b32 v4, v4, v2
	s_wait_dscnt 0x0
	v_add_f32_e32 v2, v2, v4
	;; [unrolled: 3-line block ×5, first 2 shown]
	s_and_saveexec_b32 s3, vcc_lo
; %bb.31:
	ds_store_b32 v8, v2 offset:784
; %bb.32:
	s_wait_alu 0xfffe
	s_or_b32 exec_lo, exec_lo, s3
	s_wait_loadcnt_dscnt 0x0
	s_barrier_signal -1
	s_barrier_wait -1
	global_inv scope:SCOPE_SE
	s_and_saveexec_b32 s3, s0
; %bb.33:
	ds_load_b32 v2, v9 offset:784
; %bb.34:
	s_wait_alu 0xfffe
	s_or_b32 exec_lo, exec_lo, s3
	s_wait_dscnt 0x0
	ds_bpermute_b32 v4, v16, v2
	s_wait_dscnt 0x0
	v_add_f32_e32 v2, v2, v4
	ds_bpermute_b32 v4, v15, v2
	s_wait_dscnt 0x0
	v_add_f32_e32 v2, v2, v4
	v_mov_b32_e32 v4, 0
	ds_bpermute_b32 v2, v4, v2
	s_and_saveexec_b32 s0, s1
	s_cbranch_execz .LBB196_37
; %bb.35:
	s_wait_dscnt 0x0
	v_add_f32_e32 v4, 0x358637bd, v2
	s_mov_b32 s1, 0
	s_delay_alu instid0(VALU_DEP_1) | instskip(SKIP_1) | instid1(VALU_DEP_2)
	v_div_scale_f32 v7, null, v4, v4, 1.0
	v_div_scale_f32 v10, vcc_lo, 1.0, v4, 1.0
	v_rcp_f32_e32 v8, v7
	s_delay_alu instid0(TRANS32_DEP_1) | instskip(NEXT) | instid1(VALU_DEP_1)
	v_fma_f32 v9, -v7, v8, 1.0
	v_fmac_f32_e32 v8, v9, v8
	s_delay_alu instid0(VALU_DEP_1) | instskip(NEXT) | instid1(VALU_DEP_1)
	v_mul_f32_e32 v9, v10, v8
	v_fma_f32 v16, -v7, v9, v10
	s_delay_alu instid0(VALU_DEP_1) | instskip(NEXT) | instid1(VALU_DEP_1)
	v_fmac_f32_e32 v9, v16, v8
	v_fma_f32 v7, -v7, v9, v10
	s_wait_alu 0xfffd
	s_delay_alu instid0(VALU_DEP_1) | instskip(NEXT) | instid1(VALU_DEP_1)
	v_div_fmas_f32 v7, v7, v8, v9
	v_div_fixup_f32 v4, v7, v4, 1.0
	v_mov_b32_e32 v7, v0
.LBB196_36:                             ; =>This Inner Loop Header: Depth=1
	ds_load_b32 v8, v3
	s_wait_dscnt 0x0
	v_dual_mul_f32 v8, v4, v8 :: v_dual_add_nc_u32 v7, 0x80, v7
	s_delay_alu instid0(VALU_DEP_1)
	v_cmp_le_i32_e32 vcc_lo, s18, v7
	ds_store_b32 v3, v8
	v_add_nc_u32_e32 v3, 0x200, v3
	s_wait_alu 0xfffe
	s_or_b32 s1, vcc_lo, s1
	s_wait_alu 0xfffe
	s_and_not1_b32 exec_lo, exec_lo, s1
	s_cbranch_execnz .LBB196_36
.LBB196_37:
	s_wait_alu 0xfffe
	s_or_b32 exec_lo, exec_lo, s0
	s_mul_i32 s0, s34, s19
	s_wait_loadcnt_dscnt 0x0
	s_wait_alu 0xfffe
	s_mul_i32 s18, s0, s36
	s_mov_b32 s0, exec_lo
	s_barrier_signal -1
	s_barrier_wait -1
	global_inv scope:SCOPE_SE
	v_cmpx_eq_u32_e32 0, v0
	s_cbranch_execz .LBB196_39
; %bb.38:
	s_wait_alu 0xfffe
	s_ashr_i32 s19, s18, 31
	s_mul_i32 s36, s34, ttmp9
	s_lshl_b32 s1, s33, 2
	s_wait_alu 0xfffe
	s_lshl_b64 s[40:41], s[18:19], 2
	s_ashr_i32 s37, s36, 31
	v_mov_b32_e32 v3, s1
	s_wait_kmcnt 0x0
	s_wait_alu 0xfffe
	s_add_nc_u64 s[6:7], s[6:7], s[40:41]
	s_lshl_b64 s[36:37], s[36:37], 2
	s_add_nc_u64 s[4:5], s[4:5], s[40:41]
	s_wait_alu 0xfffe
	s_add_nc_u64 s[6:7], s[6:7], s[36:37]
	s_add_nc_u64 s[4:5], s[4:5], s[36:37]
	s_clause 0x1
	global_store_b32 v3, v1, s[6:7]
	global_store_b32 v3, v2, s[4:5]
.LBB196_39:
	s_wait_alu 0xfffe
	s_or_b32 exec_lo, exec_lo, s0
	v_dual_mov_b32 v27, 0 :: v_dual_and_b32 v16, 1, v0
	v_dual_mov_b32 v28, 0 :: v_dual_mov_b32 v25, 0
	v_dual_mov_b32 v26, 0 :: v_dual_mov_b32 v23, 0
	;; [unrolled: 1-line block ×5, first 2 shown]
	v_mov_b32_e32 v18, 0
	s_and_saveexec_b32 s1, s2
	s_cbranch_execz .LBB196_69
; %bb.40:
	s_abs_i32 s2, s14
	v_dual_mov_b32 v20, 0 :: v_dual_lshlrev_b32 v3, 4, v16
	s_wait_alu 0xfffe
	s_cvt_f32_u32 s0, s2
	s_wait_kmcnt 0x0
	s_lshl_b64 s[6:7], s[26:27], 2
	v_dual_mov_b32 v17, 0 :: v_dual_and_b32 v2, 0x7c, v5
	s_wait_alu 0xfffe
	v_rcp_iflag_f32_e32 v1, s0
	s_ashr_i32 s29, s28, 31
	s_add_nc_u64 s[6:7], s[24:25], s[6:7]
	v_dual_mov_b32 v18, 0 :: v_dual_and_b32 v29, 4, v5
	s_wait_alu 0xfffe
	s_add_nc_u64 s[26:27], s[30:31], s[28:29]
	v_add_co_u32 v5, s6, s6, v6
	s_sub_co_i32 s5, 0, s2
	v_add_co_ci_u32_e64 v6, null, s7, 0, s6
	s_delay_alu instid0(TRANS32_DEP_1)
	v_readfirstlane_b32 s0, v1
	v_lshl_or_b32 v1, v11, 5, v3
	v_add_co_u32 v7, s6, s26, v2
	s_wait_alu 0xf1ff
	v_add_co_ci_u32_e64 v8, null, s27, 0, s6
	s_mul_f32 s0, s0, 0x4f7ffffe
	v_dual_mov_b32 v19, 0 :: v_dual_add_nc_u32 v30, 0x320, v1
	v_dual_mov_b32 v21, 0 :: v_dual_mov_b32 v22, 0
	s_wait_alu 0xfffe
	s_cvt_u32_f32 s0, s0
	v_dual_mov_b32 v23, 0 :: v_dual_mov_b32 v24, 0
	v_dual_mov_b32 v25, 0 :: v_dual_mov_b32 v26, 0
	s_wait_alu 0xfffe
	s_mul_i32 s5, s5, s0
	v_dual_mov_b32 v28, 0 :: v_dual_mov_b32 v27, 0
	s_wait_alu 0xfffe
	s_mul_hi_u32 s6, s0, s5
	s_sub_co_i32 s3, s38, s13
	s_mov_b32 s4, s17
	s_add_co_i32 s23, s23, -1
	s_mov_b32 s5, 0
	s_wait_alu 0xfffe
	s_add_co_i32 s6, s0, s6
	s_branch .LBB196_43
.LBB196_41:                             ;   in Loop: Header=BB196_43 Depth=1
	s_wait_alu 0xfffe
	s_or_b32 exec_lo, exec_lo, s0
	s_wait_dscnt 0x0
	v_mul_f32_e32 v46, v1, v78
	v_mul_f32_e32 v45, v1, v80
	v_mul_f32_e32 v34, v1, v34
	v_mul_f32_e32 v42, v1, v42
	v_mul_f32_e32 v38, v1, v38
	v_fmac_f32_e32 v46, v2, v75
	v_mul_f32_e32 v49, v1, v67
	v_dual_fmac_f32 v45, v2, v79 :: v_dual_mul_f32 v48, v1, v70
	v_fmac_f32_e32 v34, v2, v33
	s_delay_alu instid0(VALU_DEP_4) | instskip(NEXT) | instid1(VALU_DEP_4)
	v_fmac_f32_e32 v46, v3, v72
	v_dual_mul_f32 v62, v1, v62 :: v_dual_fmac_f32 v49, v2, v65
	s_delay_alu instid0(VALU_DEP_4) | instskip(SKIP_2) | instid1(VALU_DEP_4)
	v_dual_mul_f32 v54, v1, v54 :: v_dual_fmac_f32 v45, v3, v77
	v_mul_f32_e32 v58, v1, v58
	v_fmac_f32_e32 v34, v3, v32
	v_dual_fmac_f32 v49, v3, v64 :: v_dual_fmac_f32 v62, v2, v61
	s_delay_alu instid0(VALU_DEP_3) | instskip(NEXT) | instid1(VALU_DEP_3)
	v_dual_fmac_f32 v45, v4, v76 :: v_dual_fmac_f32 v58, v2, v57
	v_fmac_f32_e32 v34, v4, v31
	s_delay_alu instid0(VALU_DEP_3) | instskip(SKIP_1) | instid1(VALU_DEP_4)
	v_fmac_f32_e32 v49, v4, v63
	v_fmac_f32_e32 v46, v4, v71
	v_dual_add_f32 v18, v18, v45 :: v_dual_mul_f32 v45, v1, v50
	s_delay_alu instid0(VALU_DEP_3) | instskip(NEXT) | instid1(VALU_DEP_3)
	v_dual_fmac_f32 v62, v3, v60 :: v_dual_add_f32 v21, v21, v49
	v_dual_fmac_f32 v48, v2, v69 :: v_dual_add_f32 v19, v19, v46
	v_dual_mul_f32 v1, v1, v74 :: v_dual_fmac_f32 v58, v3, v56
	s_delay_alu instid0(VALU_DEP_2) | instskip(SKIP_2) | instid1(VALU_DEP_4)
	v_dual_fmac_f32 v45, v2, v47 :: v_dual_fmac_f32 v48, v3, v68
	v_fmac_f32_e32 v42, v2, v41
	v_fmac_f32_e32 v38, v2, v37
	v_dual_fmac_f32 v1, v2, v73 :: v_dual_fmac_f32 v58, v4, v55
	v_dual_add_f32 v27, v27, v34 :: v_dual_fmac_f32 v54, v2, v53
	s_delay_alu instid0(VALU_DEP_2) | instskip(NEXT) | instid1(VALU_DEP_3)
	v_dual_fmac_f32 v62, v4, v59 :: v_dual_fmac_f32 v1, v3, v10
	v_add_f32_e32 v23, v23, v58
	v_fmac_f32_e32 v45, v3, v44
	s_delay_alu instid0(VALU_DEP_4)
	v_fmac_f32_e32 v54, v3, v52
	v_fmac_f32_e32 v42, v3, v40
	;; [unrolled: 1-line block ×3, first 2 shown]
	v_dual_add_f32 v22, v22, v62 :: v_dual_fmac_f32 v1, v4, v9
	v_fmac_f32_e32 v45, v4, v43
	v_fmac_f32_e32 v48, v4, v66
	;; [unrolled: 1-line block ×4, first 2 shown]
	s_delay_alu instid0(VALU_DEP_4) | instskip(NEXT) | instid1(VALU_DEP_4)
	v_dual_fmac_f32 v38, v4, v35 :: v_dual_add_f32 v25, v25, v45
	v_dual_add_f32 v20, v20, v48 :: v_dual_add_f32 v17, v17, v1
	s_delay_alu instid0(VALU_DEP_4) | instskip(NEXT) | instid1(VALU_DEP_4)
	v_add_f32_e32 v24, v24, v54
	v_add_f32_e32 v26, v26, v42
	s_delay_alu instid0(VALU_DEP_4)
	v_add_f32_e32 v28, v28, v38
.LBB196_42:                             ;   in Loop: Header=BB196_43 Depth=1
	s_wait_alu 0xfffe
	s_or_b32 exec_lo, exec_lo, s7
	v_add_nc_u32_e32 v13, 4, v13
	v_add_co_u32 v5, s0, v5, 16
	s_wait_alu 0xf1ff
	v_add_co_ci_u32_e64 v6, null, 0, v6, s0
	s_delay_alu instid0(VALU_DEP_3)
	v_cmp_le_i32_e32 vcc_lo, s12, v13
	v_add_nc_u32_e32 v12, 32, v12
	v_add_nc_u32_e32 v30, 0x80, v30
	s_or_b32 s5, vcc_lo, s5
	s_wait_alu 0xfffe
	s_and_not1_b32 exec_lo, exec_lo, s5
	s_cbranch_execz .LBB196_68
.LBB196_43:                             ; =>This Inner Loop Header: Depth=1
	v_sub_nc_u32_e32 v1, 0, v12
	s_delay_alu instid0(VALU_DEP_1) | instskip(NEXT) | instid1(VALU_DEP_1)
	v_max_i32_e32 v1, v12, v1
	v_mul_hi_u32 v2, v1, s22
	s_delay_alu instid0(VALU_DEP_1) | instskip(NEXT) | instid1(VALU_DEP_1)
	v_mul_lo_u32 v3, v2, s16
	v_sub_nc_u32_e32 v1, v1, v3
	v_add_nc_u32_e32 v3, 1, v2
	s_delay_alu instid0(VALU_DEP_2) | instskip(SKIP_2) | instid1(VALU_DEP_2)
	v_subrev_nc_u32_e32 v4, s16, v1
	v_cmp_le_u32_e32 vcc_lo, s16, v1
	s_wait_alu 0xfffd
	v_dual_cndmask_b32 v2, v2, v3 :: v_dual_cndmask_b32 v1, v1, v4
	v_ashrrev_i32_e32 v3, 31, v12
	s_delay_alu instid0(VALU_DEP_2) | instskip(NEXT) | instid1(VALU_DEP_3)
	v_add_nc_u32_e32 v4, 1, v2
	v_cmp_le_u32_e32 vcc_lo, s16, v1
	s_delay_alu instid0(VALU_DEP_3) | instskip(SKIP_1) | instid1(VALU_DEP_3)
	v_xor_b32_e32 v3, s15, v3
	s_wait_alu 0xfffd
	v_cndmask_b32_e32 v1, v2, v4, vcc_lo
	s_delay_alu instid0(VALU_DEP_1) | instskip(NEXT) | instid1(VALU_DEP_1)
	v_xor_b32_e32 v1, v1, v3
	v_sub_nc_u32_e32 v1, v1, v3
	s_delay_alu instid0(VALU_DEP_1) | instskip(SKIP_1) | instid1(VALU_DEP_2)
	v_add_nc_u32_e32 v2, s21, v1
	v_cmp_lt_i32_e64 s0, s3, v1
	v_sub_nc_u32_e32 v3, 0, v2
	s_delay_alu instid0(VALU_DEP_1) | instskip(SKIP_1) | instid1(VALU_DEP_1)
	v_max_i32_e32 v3, v2, v3
	s_wait_alu 0xfffe
	v_mul_hi_u32 v4, v3, s6
	s_delay_alu instid0(VALU_DEP_1) | instskip(NEXT) | instid1(VALU_DEP_1)
	v_mul_lo_u32 v4, v4, s2
	v_sub_nc_u32_e32 v3, v3, v4
	s_delay_alu instid0(VALU_DEP_1) | instskip(SKIP_2) | instid1(VALU_DEP_2)
	v_subrev_nc_u32_e32 v4, s2, v3
	v_cmp_le_u32_e32 vcc_lo, s2, v3
	s_wait_alu 0xfffd
	v_cndmask_b32_e32 v3, v3, v4, vcc_lo
	v_ashrrev_i32_e32 v2, 31, v2
	s_delay_alu instid0(VALU_DEP_2) | instskip(SKIP_2) | instid1(VALU_DEP_2)
	v_subrev_nc_u32_e32 v4, s2, v3
	v_cmp_le_u32_e32 vcc_lo, s2, v3
	s_wait_alu 0xfffd
	v_cndmask_b32_e32 v3, v3, v4, vcc_lo
	s_delay_alu instid0(VALU_DEP_1) | instskip(NEXT) | instid1(VALU_DEP_1)
	v_xor_b32_e32 v3, v3, v2
	v_sub_nc_u32_e32 v2, v3, v2
	s_delay_alu instid0(VALU_DEP_1)
	v_cmp_eq_u32_e32 vcc_lo, 0, v2
	s_or_b32 s0, vcc_lo, s0
	s_wait_alu 0xfffe
	s_and_saveexec_b32 s7, s0
	s_cbranch_execz .LBB196_42
; %bb.44:                               ;   in Loop: Header=BB196_43 Depth=1
	global_load_b32 v1, v[5:6], off
	s_load_b32 s13, s[10:11], 0x0
	v_cmp_eq_u32_e32 vcc_lo, s23, v13
	s_wait_loadcnt 0x0
	v_mad_co_i64_i32 v[9:10], null, v1, s4, v[7:8]
	ds_load_b128 v[1:4], v30
	global_load_b32 v31, v[9:10], off
	s_wait_loadcnt 0x0
	v_lshrrev_b32_e32 v33, 16, v31
	s_delay_alu instid0(VALU_DEP_1) | instskip(SKIP_1) | instid1(VALU_DEP_1)
	v_cvt_pk_f32_fp8_e32 v[35:36], v33
	v_and_b32_e32 v32, 0xffff, v31
	v_cvt_pk_f32_fp8_e32 v[31:32], v32
	s_wait_kmcnt 0x0
	s_delay_alu instid0(VALU_DEP_1) | instskip(NEXT) | instid1(VALU_DEP_1)
	v_dual_mul_f32 v34, s13, v31 :: v_dual_add_nc_u32 v45, v29, v12
	v_dual_mul_f32 v33, s13, v32 :: v_dual_add_nc_u32 v48, 1, v45
	v_add_nc_u32_e32 v46, 2, v45
	v_dual_mul_f32 v32, s13, v35 :: v_dual_add_nc_u32 v49, 3, v45
	v_mul_f32_e32 v31, s13, v36
	s_and_saveexec_b32 s14, vcc_lo
	s_cbranch_execz .LBB196_46
; %bb.45:                               ;   in Loop: Header=BB196_43 Depth=1
	v_cmp_gt_i32_e64 s0, s35, v45
	s_wait_alu 0xf1ff
	s_delay_alu instid0(VALU_DEP_1) | instskip(SKIP_2) | instid1(VALU_DEP_1)
	v_cndmask_b32_e64 v34, 0, v34, s0
	v_cmp_gt_i32_e64 s0, s35, v48
	s_wait_alu 0xf1ff
	v_cndmask_b32_e64 v33, 0, v33, s0
	v_cmp_gt_i32_e64 s0, s35, v46
	s_wait_alu 0xf1ff
	s_delay_alu instid0(VALU_DEP_1) | instskip(SKIP_2) | instid1(VALU_DEP_1)
	v_cndmask_b32_e64 v32, 0, v32, s0
	v_cmp_gt_i32_e64 s0, s35, v49
	s_wait_alu 0xf1ff
	v_cndmask_b32_e64 v31, 0, v31, s0
.LBB196_46:                             ;   in Loop: Header=BB196_43 Depth=1
	s_wait_alu 0xfffe
	s_or_b32 exec_lo, exec_lo, s14
	global_load_b32 v35, v[9:10], off offset:128
	s_mov_b32 s14, s13
	s_wait_loadcnt 0x0
	v_lshrrev_b32_e32 v37, 16, v35
	s_delay_alu instid0(VALU_DEP_1) | instskip(SKIP_1) | instid1(VALU_DEP_1)
	v_cvt_pk_f32_fp8_e32 v[39:40], v37
	v_and_b32_e32 v36, 0xffff, v35
	v_cvt_pk_f32_fp8_e32 v[35:36], v36
	s_wait_alu 0xfffe
	s_delay_alu instid0(VALU_DEP_1)
	v_dual_mul_f32 v38, s13, v35 :: v_dual_mul_f32 v37, s14, v36
	v_dual_mul_f32 v36, s13, v39 :: v_dual_mul_f32 v35, s14, v40
	s_and_saveexec_b32 s17, vcc_lo
	s_cbranch_execz .LBB196_48
; %bb.47:                               ;   in Loop: Header=BB196_43 Depth=1
	v_cmp_gt_i32_e64 s0, s35, v45
	s_wait_alu 0xf1ff
	s_delay_alu instid0(VALU_DEP_1) | instskip(SKIP_2) | instid1(VALU_DEP_1)
	v_cndmask_b32_e64 v38, 0, v38, s0
	v_cmp_gt_i32_e64 s0, s35, v48
	s_wait_alu 0xf1ff
	v_cndmask_b32_e64 v37, 0, v37, s0
	v_cmp_gt_i32_e64 s0, s35, v46
	s_wait_alu 0xf1ff
	s_delay_alu instid0(VALU_DEP_1) | instskip(SKIP_2) | instid1(VALU_DEP_1)
	v_cndmask_b32_e64 v36, 0, v36, s0
	v_cmp_gt_i32_e64 s0, s35, v49
	s_wait_alu 0xf1ff
	v_cndmask_b32_e64 v35, 0, v35, s0
.LBB196_48:                             ;   in Loop: Header=BB196_43 Depth=1
	s_wait_alu 0xfffe
	s_or_b32 exec_lo, exec_lo, s17
	global_load_b32 v39, v[9:10], off offset:256
	s_wait_loadcnt 0x0
	v_lshrrev_b32_e32 v41, 16, v39
	s_delay_alu instid0(VALU_DEP_1) | instskip(SKIP_1) | instid1(VALU_DEP_1)
	v_cvt_pk_f32_fp8_e32 v[43:44], v41
	v_and_b32_e32 v40, 0xffff, v39
	v_cvt_pk_f32_fp8_e32 v[39:40], v40
	s_delay_alu instid0(VALU_DEP_1) | instskip(NEXT) | instid1(VALU_DEP_4)
	v_dual_mul_f32 v42, s13, v39 :: v_dual_mul_f32 v41, s14, v40
	v_dual_mul_f32 v40, s13, v43 :: v_dual_mul_f32 v39, s14, v44
	s_and_saveexec_b32 s17, vcc_lo
	s_cbranch_execz .LBB196_50
; %bb.49:                               ;   in Loop: Header=BB196_43 Depth=1
	v_cmp_gt_i32_e64 s0, s35, v45
	s_wait_alu 0xf1ff
	s_delay_alu instid0(VALU_DEP_1) | instskip(SKIP_2) | instid1(VALU_DEP_1)
	v_cndmask_b32_e64 v42, 0, v42, s0
	v_cmp_gt_i32_e64 s0, s35, v48
	s_wait_alu 0xf1ff
	v_cndmask_b32_e64 v41, 0, v41, s0
	v_cmp_gt_i32_e64 s0, s35, v46
	s_wait_alu 0xf1ff
	s_delay_alu instid0(VALU_DEP_1) | instskip(SKIP_2) | instid1(VALU_DEP_1)
	v_cndmask_b32_e64 v40, 0, v40, s0
	v_cmp_gt_i32_e64 s0, s35, v49
	s_wait_alu 0xf1ff
	v_cndmask_b32_e64 v39, 0, v39, s0
.LBB196_50:                             ;   in Loop: Header=BB196_43 Depth=1
	s_wait_alu 0xfffe
	s_or_b32 exec_lo, exec_lo, s17
	global_load_b32 v43, v[9:10], off offset:384
	s_wait_loadcnt 0x0
	v_lshrrev_b32_e32 v47, 16, v43
	s_delay_alu instid0(VALU_DEP_1) | instskip(SKIP_1) | instid1(VALU_DEP_1)
	v_cvt_pk_f32_fp8_e32 v[51:52], v47
	v_and_b32_e32 v44, 0xffff, v43
	v_cvt_pk_f32_fp8_e32 v[43:44], v44
	s_delay_alu instid0(VALU_DEP_1) | instskip(NEXT) | instid1(VALU_DEP_4)
	;; [unrolled: 30-line block ×5, first 2 shown]
	v_dual_mul_f32 v62, s13, v59 :: v_dual_mul_f32 v61, s14, v60
	v_dual_mul_f32 v60, s13, v63 :: v_dual_mul_f32 v59, s14, v64
	s_and_saveexec_b32 s17, vcc_lo
	s_cbranch_execz .LBB196_58
; %bb.57:                               ;   in Loop: Header=BB196_43 Depth=1
	v_cmp_gt_i32_e64 s0, s35, v45
	s_wait_alu 0xf1ff
	s_delay_alu instid0(VALU_DEP_1) | instskip(SKIP_2) | instid1(VALU_DEP_1)
	v_cndmask_b32_e64 v62, 0, v62, s0
	v_cmp_gt_i32_e64 s0, s35, v48
	s_wait_alu 0xf1ff
	v_cndmask_b32_e64 v61, 0, v61, s0
	v_cmp_gt_i32_e64 s0, s35, v46
	s_wait_alu 0xf1ff
	s_delay_alu instid0(VALU_DEP_1) | instskip(SKIP_2) | instid1(VALU_DEP_1)
	v_cndmask_b32_e64 v60, 0, v60, s0
	v_cmp_gt_i32_e64 s0, s35, v49
	s_wait_alu 0xf1ff
	v_cndmask_b32_e64 v59, 0, v59, s0
.LBB196_58:                             ;   in Loop: Header=BB196_43 Depth=1
	s_wait_alu 0xfffe
	s_or_b32 exec_lo, exec_lo, s17
	global_load_b32 v63, v[9:10], off offset:896
	s_wait_loadcnt 0x0
	v_lshrrev_b32_e32 v65, 16, v63
	s_delay_alu instid0(VALU_DEP_1) | instskip(SKIP_1) | instid1(VALU_DEP_1)
	v_cvt_pk_f32_fp8_e32 v[68:69], v65
	v_and_b32_e32 v64, 0xffff, v63
	v_cvt_pk_f32_fp8_e32 v[63:64], v64
	s_delay_alu instid0(VALU_DEP_1) | instskip(NEXT) | instid1(VALU_DEP_2)
	v_mul_f32_e32 v67, s13, v63
	v_mul_f32_e32 v65, s14, v64
	v_dual_mul_f32 v64, s13, v68 :: v_dual_mul_f32 v63, s14, v69
	s_and_saveexec_b32 s17, vcc_lo
	s_cbranch_execz .LBB196_60
; %bb.59:                               ;   in Loop: Header=BB196_43 Depth=1
	v_cmp_gt_i32_e64 s0, s35, v45
	s_wait_alu 0xf1ff
	s_delay_alu instid0(VALU_DEP_1) | instskip(SKIP_2) | instid1(VALU_DEP_1)
	v_cndmask_b32_e64 v67, 0, v67, s0
	v_cmp_gt_i32_e64 s0, s35, v48
	s_wait_alu 0xf1ff
	v_cndmask_b32_e64 v65, 0, v65, s0
	v_cmp_gt_i32_e64 s0, s35, v46
	s_wait_alu 0xf1ff
	s_delay_alu instid0(VALU_DEP_1) | instskip(SKIP_2) | instid1(VALU_DEP_1)
	v_cndmask_b32_e64 v64, 0, v64, s0
	v_cmp_gt_i32_e64 s0, s35, v49
	s_wait_alu 0xf1ff
	v_cndmask_b32_e64 v63, 0, v63, s0
.LBB196_60:                             ;   in Loop: Header=BB196_43 Depth=1
	s_wait_alu 0xfffe
	s_or_b32 exec_lo, exec_lo, s17
	global_load_b32 v66, v[9:10], off offset:1024
	s_wait_loadcnt 0x0
	v_and_b32_e32 v68, 0xffff, v66
	v_lshrrev_b32_e32 v66, 16, v66
	s_delay_alu instid0(VALU_DEP_2) | instskip(NEXT) | instid1(VALU_DEP_2)
	v_cvt_pk_f32_fp8_e32 v[68:69], v68
	v_cvt_pk_f32_fp8_e32 v[71:72], v66
	s_delay_alu instid0(VALU_DEP_2) | instskip(NEXT) | instid1(VALU_DEP_2)
	v_dual_mul_f32 v70, s13, v68 :: v_dual_mul_f32 v69, s14, v69
	v_mul_f32_e32 v68, s13, v71
	s_delay_alu instid0(VALU_DEP_3)
	v_mul_f32_e32 v66, s14, v72
	s_and_saveexec_b32 s17, vcc_lo
	s_cbranch_execz .LBB196_62
; %bb.61:                               ;   in Loop: Header=BB196_43 Depth=1
	v_cmp_gt_i32_e64 s0, s35, v45
	s_wait_alu 0xf1ff
	s_delay_alu instid0(VALU_DEP_1) | instskip(SKIP_2) | instid1(VALU_DEP_1)
	v_cndmask_b32_e64 v70, 0, v70, s0
	v_cmp_gt_i32_e64 s0, s35, v48
	s_wait_alu 0xf1ff
	v_cndmask_b32_e64 v69, 0, v69, s0
	v_cmp_gt_i32_e64 s0, s35, v46
	s_wait_alu 0xf1ff
	s_delay_alu instid0(VALU_DEP_1) | instskip(SKIP_2) | instid1(VALU_DEP_1)
	v_cndmask_b32_e64 v68, 0, v68, s0
	v_cmp_gt_i32_e64 s0, s35, v49
	s_wait_alu 0xf1ff
	v_cndmask_b32_e64 v66, 0, v66, s0
.LBB196_62:                             ;   in Loop: Header=BB196_43 Depth=1
	s_wait_alu 0xfffe
	s_or_b32 exec_lo, exec_lo, s17
	global_load_b32 v71, v[9:10], off offset:1152
	s_wait_loadcnt 0x0
	v_lshrrev_b32_e32 v73, 16, v71
	s_delay_alu instid0(VALU_DEP_1) | instskip(SKIP_1) | instid1(VALU_DEP_1)
	v_cvt_pk_f32_fp8_e32 v[73:74], v73
	v_and_b32_e32 v72, 0xffff, v71
	v_cvt_pk_f32_fp8_e32 v[71:72], v72
	s_delay_alu instid0(VALU_DEP_1) | instskip(NEXT) | instid1(VALU_DEP_4)
	v_dual_mul_f32 v78, s13, v71 :: v_dual_mul_f32 v75, s14, v72
	v_dual_mul_f32 v72, s13, v73 :: v_dual_mul_f32 v71, s14, v74
	s_and_saveexec_b32 s17, vcc_lo
	s_cbranch_execz .LBB196_64
; %bb.63:                               ;   in Loop: Header=BB196_43 Depth=1
	v_cmp_gt_i32_e64 s0, s35, v45
	s_wait_alu 0xf1ff
	s_delay_alu instid0(VALU_DEP_1) | instskip(SKIP_2) | instid1(VALU_DEP_1)
	v_cndmask_b32_e64 v78, 0, v78, s0
	v_cmp_gt_i32_e64 s0, s35, v48
	s_wait_alu 0xf1ff
	v_cndmask_b32_e64 v75, 0, v75, s0
	v_cmp_gt_i32_e64 s0, s35, v46
	s_wait_alu 0xf1ff
	s_delay_alu instid0(VALU_DEP_1) | instskip(SKIP_2) | instid1(VALU_DEP_1)
	v_cndmask_b32_e64 v72, 0, v72, s0
	v_cmp_gt_i32_e64 s0, s35, v49
	s_wait_alu 0xf1ff
	v_cndmask_b32_e64 v71, 0, v71, s0
.LBB196_64:                             ;   in Loop: Header=BB196_43 Depth=1
	s_wait_alu 0xfffe
	s_or_b32 exec_lo, exec_lo, s17
	global_load_b32 v73, v[9:10], off offset:1280
	s_wait_loadcnt 0x0
	v_and_b32_e32 v74, 0xffff, v73
	v_lshrrev_b32_e32 v76, 16, v73
	s_delay_alu instid0(VALU_DEP_2) | instskip(NEXT) | instid1(VALU_DEP_2)
	v_cvt_pk_f32_fp8_e32 v[73:74], v74
	v_cvt_pk_f32_fp8_e32 v[81:82], v76
	s_delay_alu instid0(VALU_DEP_2) | instskip(NEXT) | instid1(VALU_DEP_2)
	v_dual_mul_f32 v80, s13, v73 :: v_dual_mul_f32 v79, s14, v74
	v_dual_mul_f32 v77, s13, v81 :: v_dual_mul_f32 v76, s14, v82
	s_and_saveexec_b32 s17, vcc_lo
	s_cbranch_execz .LBB196_66
; %bb.65:                               ;   in Loop: Header=BB196_43 Depth=1
	v_cmp_gt_i32_e64 s0, s35, v45
	s_wait_alu 0xf1ff
	s_delay_alu instid0(VALU_DEP_1) | instskip(SKIP_2) | instid1(VALU_DEP_1)
	v_cndmask_b32_e64 v80, 0, v80, s0
	v_cmp_gt_i32_e64 s0, s35, v48
	s_wait_alu 0xf1ff
	v_cndmask_b32_e64 v79, 0, v79, s0
	v_cmp_gt_i32_e64 s0, s35, v46
	s_wait_alu 0xf1ff
	s_delay_alu instid0(VALU_DEP_1) | instskip(SKIP_2) | instid1(VALU_DEP_1)
	v_cndmask_b32_e64 v77, 0, v77, s0
	v_cmp_gt_i32_e64 s0, s35, v49
	s_wait_alu 0xf1ff
	v_cndmask_b32_e64 v76, 0, v76, s0
.LBB196_66:                             ;   in Loop: Header=BB196_43 Depth=1
	s_wait_alu 0xfffe
	s_or_b32 exec_lo, exec_lo, s17
	global_load_b32 v9, v[9:10], off offset:1408
	s_wait_loadcnt 0x0
	v_lshrrev_b32_e32 v73, 16, v9
	s_delay_alu instid0(VALU_DEP_1) | instskip(SKIP_1) | instid1(VALU_DEP_1)
	v_cvt_pk_f32_fp8_e32 v[81:82], v73
	v_and_b32_e32 v10, 0xffff, v9
	v_cvt_pk_f32_fp8_e32 v[9:10], v10
	s_delay_alu instid0(VALU_DEP_1) | instskip(NEXT) | instid1(VALU_DEP_4)
	v_dual_mul_f32 v74, s13, v9 :: v_dual_mul_f32 v73, s14, v10
	v_dual_mul_f32 v10, s13, v81 :: v_dual_mul_f32 v9, s14, v82
	s_and_saveexec_b32 s0, vcc_lo
	s_cbranch_execz .LBB196_41
; %bb.67:                               ;   in Loop: Header=BB196_43 Depth=1
	v_cmp_gt_i32_e32 vcc_lo, s35, v45
	s_wait_alu 0xfffd
	v_cndmask_b32_e32 v74, 0, v74, vcc_lo
	v_cmp_gt_i32_e32 vcc_lo, s35, v48
	s_wait_alu 0xfffd
	v_cndmask_b32_e32 v73, 0, v73, vcc_lo
	;; [unrolled: 3-line block ×4, first 2 shown]
	s_branch .LBB196_41
.LBB196_68:
	s_or_b32 exec_lo, exec_lo, s5
.LBB196_69:
	s_wait_alu 0xfffe
	s_or_b32 exec_lo, exec_lo, s1
	ds_bpermute_b32 v1, v15, v27
	ds_bpermute_b32 v2, v15, v28
	;; [unrolled: 1-line block ×12, first 2 shown]
	v_lshrrev_b32_e32 v15, 1, v14
	v_mul_u32_u24_e32 v11, 0x300, v11
	s_mov_b32 s0, exec_lo
	s_wait_storecnt 0x0
	s_wait_loadcnt_dscnt 0x0
	s_barrier_signal -1
	v_lshl_add_u32 v14, v15, 2, 0x320
	s_barrier_wait -1
	global_inv scope:SCOPE_SE
	v_dual_add_f32 v1, v27, v1 :: v_dual_add_f32 v2, v28, v2
	v_dual_add_f32 v3, v26, v3 :: v_dual_add_f32 v4, v25, v4
	;; [unrolled: 1-line block ×5, first 2 shown]
	v_and_b32_e32 v19, 0x3c1, v0
	v_dual_add_f32 v12, v18, v12 :: v_dual_add_f32 v13, v17, v13
	s_delay_alu instid0(VALU_DEP_2)
	v_cmpx_eq_u32_e32 64, v19
	s_cbranch_execz .LBB196_71
; %bb.70:
	v_add_nc_u32_e32 v17, v14, v11
	s_delay_alu instid0(VALU_DEP_1)
	v_add_nc_u32_e32 v18, 0xfffffa00, v17
	v_add_nc_u32_e32 v19, 0xfffffa40, v17
	;; [unrolled: 1-line block ×12, first 2 shown]
	ds_store_b32 v18, v1
	ds_store_b32 v19, v2
	;; [unrolled: 1-line block ×12, first 2 shown]
.LBB196_71:
	s_wait_alu 0xfffe
	s_or_b32 exec_lo, exec_lo, s0
	v_lshlrev_b32_e32 v15, 2, v15
	s_mov_b32 s1, exec_lo
	v_cmp_eq_u32_e32 vcc_lo, 0, v16
	s_wait_loadcnt_dscnt 0x0
	s_barrier_signal -1
	v_add3_u32 v11, 0x320, v11, v15
	s_barrier_wait -1
	global_inv scope:SCOPE_SE
	v_cmpx_gt_u32_e32 64, v0
	s_cbranch_execz .LBB196_86
; %bb.72:
	s_and_saveexec_b32 s0, vcc_lo
	s_cbranch_execnz .LBB196_106
; %bb.73:
	s_wait_alu 0xfffe
	s_or_b32 exec_lo, exec_lo, s0
	s_and_saveexec_b32 s0, vcc_lo
	s_cbranch_execnz .LBB196_107
.LBB196_74:
	s_wait_alu 0xfffe
	s_or_b32 exec_lo, exec_lo, s0
	s_and_saveexec_b32 s0, vcc_lo
	s_cbranch_execnz .LBB196_108
.LBB196_75:
	s_wait_alu 0xfffe
	s_or_b32 exec_lo, exec_lo, s0
	s_and_saveexec_b32 s0, vcc_lo
	s_cbranch_execnz .LBB196_109
.LBB196_76:
	s_wait_alu 0xfffe
	s_or_b32 exec_lo, exec_lo, s0
	s_and_saveexec_b32 s0, vcc_lo
	s_cbranch_execnz .LBB196_110
.LBB196_77:
	s_wait_alu 0xfffe
	s_or_b32 exec_lo, exec_lo, s0
	s_and_saveexec_b32 s0, vcc_lo
	s_cbranch_execnz .LBB196_111
.LBB196_78:
	s_wait_alu 0xfffe
	s_or_b32 exec_lo, exec_lo, s0
	s_and_saveexec_b32 s0, vcc_lo
	s_cbranch_execnz .LBB196_112
.LBB196_79:
	s_wait_alu 0xfffe
	s_or_b32 exec_lo, exec_lo, s0
	s_and_saveexec_b32 s0, vcc_lo
	s_cbranch_execnz .LBB196_113
.LBB196_80:
	s_wait_alu 0xfffe
	s_or_b32 exec_lo, exec_lo, s0
	s_and_saveexec_b32 s0, vcc_lo
	s_cbranch_execnz .LBB196_114
.LBB196_81:
	s_wait_alu 0xfffe
	s_or_b32 exec_lo, exec_lo, s0
	s_and_saveexec_b32 s0, vcc_lo
	s_cbranch_execnz .LBB196_115
.LBB196_82:
	s_wait_alu 0xfffe
	s_or_b32 exec_lo, exec_lo, s0
	s_and_saveexec_b32 s0, vcc_lo
	s_cbranch_execnz .LBB196_116
.LBB196_83:
	s_wait_alu 0xfffe
	s_or_b32 exec_lo, exec_lo, s0
	s_and_saveexec_b32 s0, vcc_lo
	s_cbranch_execz .LBB196_85
.LBB196_84:
	ds_load_b32 v15, v11 offset:704
	s_wait_dscnt 0x0
	v_add_f32_e32 v13, v13, v15
.LBB196_85:
	s_wait_alu 0xfffe
	s_or_b32 exec_lo, exec_lo, s0
.LBB196_86:
	s_wait_alu 0xfffe
	s_or_b32 exec_lo, exec_lo, s1
	v_and_b32_e32 v15, 0x3e1, v0
	s_mov_b32 s1, exec_lo
	s_wait_loadcnt 0x0
	s_barrier_signal -1
	s_barrier_wait -1
	global_inv scope:SCOPE_SE
	v_cmpx_eq_u32_e32 32, v15
	s_cbranch_execz .LBB196_88
; %bb.87:
	ds_store_2addr_b32 v14, v1, v2 offset1:16
	ds_store_2addr_b32 v14, v3, v4 offset0:32 offset1:48
	ds_store_2addr_b32 v14, v5, v6 offset0:64 offset1:80
	ds_store_2addr_b32 v14, v7, v8 offset0:96 offset1:112
	ds_store_2addr_b32 v14, v9, v10 offset0:128 offset1:144
	ds_store_2addr_b32 v14, v12, v13 offset0:160 offset1:176
.LBB196_88:
	s_wait_alu 0xfffe
	s_or_b32 exec_lo, exec_lo, s1
	s_delay_alu instid0(SALU_CYCLE_1)
	s_mov_b32 s1, exec_lo
	s_wait_loadcnt_dscnt 0x0
	s_barrier_signal -1
	s_barrier_wait -1
	global_inv scope:SCOPE_SE
	v_cmpx_gt_u32_e32 32, v0
	s_cbranch_execz .LBB196_103
; %bb.89:
	s_and_saveexec_b32 s0, vcc_lo
	s_cbranch_execnz .LBB196_117
; %bb.90:
	s_wait_alu 0xfffe
	s_or_b32 exec_lo, exec_lo, s0
	s_and_saveexec_b32 s0, vcc_lo
	s_cbranch_execnz .LBB196_118
.LBB196_91:
	s_wait_alu 0xfffe
	s_or_b32 exec_lo, exec_lo, s0
	s_and_saveexec_b32 s0, vcc_lo
	s_cbranch_execnz .LBB196_119
.LBB196_92:
	s_wait_alu 0xfffe
	s_or_b32 exec_lo, exec_lo, s0
	s_and_saveexec_b32 s0, vcc_lo
	s_cbranch_execnz .LBB196_120
.LBB196_93:
	s_wait_alu 0xfffe
	s_or_b32 exec_lo, exec_lo, s0
	s_and_saveexec_b32 s0, vcc_lo
	s_cbranch_execnz .LBB196_121
.LBB196_94:
	s_wait_alu 0xfffe
	s_or_b32 exec_lo, exec_lo, s0
	s_and_saveexec_b32 s0, vcc_lo
	s_cbranch_execnz .LBB196_122
.LBB196_95:
	s_wait_alu 0xfffe
	s_or_b32 exec_lo, exec_lo, s0
	s_and_saveexec_b32 s0, vcc_lo
	s_cbranch_execnz .LBB196_123
.LBB196_96:
	s_wait_alu 0xfffe
	s_or_b32 exec_lo, exec_lo, s0
	s_and_saveexec_b32 s0, vcc_lo
	s_cbranch_execnz .LBB196_124
.LBB196_97:
	s_wait_alu 0xfffe
	s_or_b32 exec_lo, exec_lo, s0
	s_and_saveexec_b32 s0, vcc_lo
	s_cbranch_execnz .LBB196_125
.LBB196_98:
	s_wait_alu 0xfffe
	s_or_b32 exec_lo, exec_lo, s0
	s_and_saveexec_b32 s0, vcc_lo
	s_cbranch_execnz .LBB196_126
.LBB196_99:
	s_wait_alu 0xfffe
	s_or_b32 exec_lo, exec_lo, s0
	s_and_saveexec_b32 s0, vcc_lo
	s_cbranch_execnz .LBB196_127
.LBB196_100:
	s_wait_alu 0xfffe
	s_or_b32 exec_lo, exec_lo, s0
	s_and_saveexec_b32 s0, vcc_lo
	s_cbranch_execz .LBB196_102
.LBB196_101:
	ds_load_b32 v11, v11 offset:704
	s_wait_dscnt 0x0
	v_add_f32_e32 v13, v13, v11
.LBB196_102:
	s_wait_alu 0xfffe
	s_or_b32 exec_lo, exec_lo, s0
.LBB196_103:
	s_wait_alu 0xfffe
	s_or_b32 exec_lo, exec_lo, s1
	s_mov_b32 s1, 0
	s_wait_loadcnt 0x0
	s_barrier_signal -1
	s_barrier_wait -1
	global_inv scope:SCOPE_SE
	s_mov_b32 s0, exec_lo
	v_cmpx_eq_u32_e32 0, v15
	s_cbranch_execz .LBB196_105
; %bb.104:
	s_mul_i32 s2, s18, 0xc0
	s_wait_kmcnt 0x0
	s_mul_i32 s4, s34, s20
	s_wait_alu 0xfffe
	s_ashr_i32 s3, s2, 31
	s_ashr_i32 s5, s4, 31
	s_wait_alu 0xfffe
	s_lshl_b64 s[2:3], s[2:3], 2
	s_lshl_b64 s[4:5], s[4:5], 2
	s_wait_alu 0xfffe
	s_add_nc_u64 s[2:3], s[8:9], s[2:3]
	v_lshlrev_b32_e32 v0, 1, v0
	s_mul_i32 s0, s33, 0x300
	s_wait_alu 0xfffe
	s_add_nc_u64 s[2:3], s[2:3], s[4:5]
	s_wait_alu 0xfffe
	s_add_nc_u64 s[0:1], s[2:3], s[0:1]
	s_clause 0xb
	global_store_b32 v0, v1, s[0:1]
	global_store_b32 v0, v2, s[0:1] offset:64
	global_store_b32 v0, v3, s[0:1] offset:128
	;; [unrolled: 1-line block ×11, first 2 shown]
.LBB196_105:
	s_endpgm
.LBB196_106:
	ds_load_b32 v15, v11
	s_wait_dscnt 0x0
	v_add_f32_e32 v1, v1, v15
	s_wait_alu 0xfffe
	s_or_b32 exec_lo, exec_lo, s0
	s_and_saveexec_b32 s0, vcc_lo
	s_cbranch_execz .LBB196_74
.LBB196_107:
	ds_load_b32 v15, v11 offset:64
	s_wait_dscnt 0x0
	v_add_f32_e32 v2, v2, v15
	s_wait_alu 0xfffe
	s_or_b32 exec_lo, exec_lo, s0
	s_and_saveexec_b32 s0, vcc_lo
	s_cbranch_execz .LBB196_75
.LBB196_108:
	ds_load_b32 v15, v11 offset:128
	s_wait_dscnt 0x0
	v_add_f32_e32 v3, v3, v15
	s_wait_alu 0xfffe
	s_or_b32 exec_lo, exec_lo, s0
	s_and_saveexec_b32 s0, vcc_lo
	s_cbranch_execz .LBB196_76
.LBB196_109:
	ds_load_b32 v15, v11 offset:192
	s_wait_dscnt 0x0
	v_add_f32_e32 v4, v4, v15
	s_wait_alu 0xfffe
	s_or_b32 exec_lo, exec_lo, s0
	s_and_saveexec_b32 s0, vcc_lo
	s_cbranch_execz .LBB196_77
.LBB196_110:
	ds_load_b32 v15, v11 offset:256
	s_wait_dscnt 0x0
	v_add_f32_e32 v5, v5, v15
	s_wait_alu 0xfffe
	s_or_b32 exec_lo, exec_lo, s0
	s_and_saveexec_b32 s0, vcc_lo
	s_cbranch_execz .LBB196_78
.LBB196_111:
	ds_load_b32 v15, v11 offset:320
	s_wait_dscnt 0x0
	v_add_f32_e32 v6, v6, v15
	s_wait_alu 0xfffe
	s_or_b32 exec_lo, exec_lo, s0
	s_and_saveexec_b32 s0, vcc_lo
	s_cbranch_execz .LBB196_79
.LBB196_112:
	ds_load_b32 v15, v11 offset:384
	s_wait_dscnt 0x0
	v_add_f32_e32 v7, v7, v15
	s_wait_alu 0xfffe
	s_or_b32 exec_lo, exec_lo, s0
	s_and_saveexec_b32 s0, vcc_lo
	s_cbranch_execz .LBB196_80
.LBB196_113:
	ds_load_b32 v15, v11 offset:448
	s_wait_dscnt 0x0
	v_add_f32_e32 v8, v8, v15
	s_wait_alu 0xfffe
	s_or_b32 exec_lo, exec_lo, s0
	s_and_saveexec_b32 s0, vcc_lo
	s_cbranch_execz .LBB196_81
.LBB196_114:
	ds_load_b32 v15, v11 offset:512
	s_wait_dscnt 0x0
	v_add_f32_e32 v9, v9, v15
	s_wait_alu 0xfffe
	s_or_b32 exec_lo, exec_lo, s0
	s_and_saveexec_b32 s0, vcc_lo
	s_cbranch_execz .LBB196_82
.LBB196_115:
	ds_load_b32 v15, v11 offset:576
	s_wait_dscnt 0x0
	v_add_f32_e32 v10, v10, v15
	s_wait_alu 0xfffe
	s_or_b32 exec_lo, exec_lo, s0
	s_and_saveexec_b32 s0, vcc_lo
	s_cbranch_execz .LBB196_83
.LBB196_116:
	ds_load_b32 v15, v11 offset:640
	s_wait_dscnt 0x0
	v_add_f32_e32 v12, v12, v15
	s_wait_alu 0xfffe
	s_or_b32 exec_lo, exec_lo, s0
	s_and_saveexec_b32 s0, vcc_lo
	s_cbranch_execnz .LBB196_84
	s_branch .LBB196_85
.LBB196_117:
	ds_load_b32 v14, v11
	s_wait_dscnt 0x0
	v_add_f32_e32 v1, v1, v14
	s_wait_alu 0xfffe
	s_or_b32 exec_lo, exec_lo, s0
	s_and_saveexec_b32 s0, vcc_lo
	s_cbranch_execz .LBB196_91
.LBB196_118:
	ds_load_b32 v14, v11 offset:64
	s_wait_dscnt 0x0
	v_add_f32_e32 v2, v2, v14
	s_wait_alu 0xfffe
	s_or_b32 exec_lo, exec_lo, s0
	s_and_saveexec_b32 s0, vcc_lo
	s_cbranch_execz .LBB196_92
.LBB196_119:
	ds_load_b32 v14, v11 offset:128
	s_wait_dscnt 0x0
	v_add_f32_e32 v3, v3, v14
	s_wait_alu 0xfffe
	s_or_b32 exec_lo, exec_lo, s0
	s_and_saveexec_b32 s0, vcc_lo
	s_cbranch_execz .LBB196_93
.LBB196_120:
	ds_load_b32 v14, v11 offset:192
	s_wait_dscnt 0x0
	v_add_f32_e32 v4, v4, v14
	s_wait_alu 0xfffe
	s_or_b32 exec_lo, exec_lo, s0
	s_and_saveexec_b32 s0, vcc_lo
	s_cbranch_execz .LBB196_94
.LBB196_121:
	ds_load_b32 v14, v11 offset:256
	s_wait_dscnt 0x0
	v_add_f32_e32 v5, v5, v14
	s_wait_alu 0xfffe
	s_or_b32 exec_lo, exec_lo, s0
	s_and_saveexec_b32 s0, vcc_lo
	s_cbranch_execz .LBB196_95
.LBB196_122:
	ds_load_b32 v14, v11 offset:320
	s_wait_dscnt 0x0
	v_add_f32_e32 v6, v6, v14
	s_wait_alu 0xfffe
	s_or_b32 exec_lo, exec_lo, s0
	s_and_saveexec_b32 s0, vcc_lo
	s_cbranch_execz .LBB196_96
.LBB196_123:
	ds_load_b32 v14, v11 offset:384
	s_wait_dscnt 0x0
	v_add_f32_e32 v7, v7, v14
	s_wait_alu 0xfffe
	s_or_b32 exec_lo, exec_lo, s0
	s_and_saveexec_b32 s0, vcc_lo
	s_cbranch_execz .LBB196_97
.LBB196_124:
	ds_load_b32 v14, v11 offset:448
	s_wait_dscnt 0x0
	v_add_f32_e32 v8, v8, v14
	s_wait_alu 0xfffe
	s_or_b32 exec_lo, exec_lo, s0
	s_and_saveexec_b32 s0, vcc_lo
	s_cbranch_execz .LBB196_98
.LBB196_125:
	ds_load_b32 v14, v11 offset:512
	s_wait_dscnt 0x0
	v_add_f32_e32 v9, v9, v14
	s_wait_alu 0xfffe
	s_or_b32 exec_lo, exec_lo, s0
	s_and_saveexec_b32 s0, vcc_lo
	s_cbranch_execz .LBB196_99
.LBB196_126:
	ds_load_b32 v14, v11 offset:576
	s_wait_dscnt 0x0
	v_add_f32_e32 v10, v10, v14
	s_wait_alu 0xfffe
	s_or_b32 exec_lo, exec_lo, s0
	s_and_saveexec_b32 s0, vcc_lo
	s_cbranch_execz .LBB196_100
.LBB196_127:
	ds_load_b32 v14, v11 offset:640
	s_wait_dscnt 0x0
	v_add_f32_e32 v12, v12, v14
	s_wait_alu 0xfffe
	s_or_b32 exec_lo, exec_lo, s0
	s_and_saveexec_b32 s0, vcc_lo
	s_cbranch_execnz .LBB196_101
	s_branch .LBB196_102
	.section	.rodata,"a",@progbits
	.p2align	6, 0x0
	.amdhsa_kernel _ZN4vllm25paged_attention_v2_kernelIfhLi192ELi8ELi128ELNS_18Fp8KVCacheDataTypeE1ELb1ELi512EEEvPfS2_PT_PKS3_PKT0_S9_ifPKiSB_iPKfiiiSD_SD_iiiii
		.amdhsa_group_segment_fixed_size 800
		.amdhsa_private_segment_fixed_size 0
		.amdhsa_kernarg_size 400
		.amdhsa_user_sgpr_count 2
		.amdhsa_user_sgpr_dispatch_ptr 0
		.amdhsa_user_sgpr_queue_ptr 0
		.amdhsa_user_sgpr_kernarg_segment_ptr 1
		.amdhsa_user_sgpr_dispatch_id 0
		.amdhsa_user_sgpr_private_segment_size 0
		.amdhsa_wavefront_size32 1
		.amdhsa_uses_dynamic_stack 0
		.amdhsa_enable_private_segment 0
		.amdhsa_system_sgpr_workgroup_id_x 1
		.amdhsa_system_sgpr_workgroup_id_y 1
		.amdhsa_system_sgpr_workgroup_id_z 1
		.amdhsa_system_sgpr_workgroup_info 0
		.amdhsa_system_vgpr_workitem_id 0
		.amdhsa_next_free_vgpr 83
		.amdhsa_next_free_sgpr 45
		.amdhsa_reserve_vcc 1
		.amdhsa_float_round_mode_32 0
		.amdhsa_float_round_mode_16_64 0
		.amdhsa_float_denorm_mode_32 3
		.amdhsa_float_denorm_mode_16_64 3
		.amdhsa_fp16_overflow 0
		.amdhsa_workgroup_processor_mode 1
		.amdhsa_memory_ordered 1
		.amdhsa_forward_progress 1
		.amdhsa_inst_pref_size 76
		.amdhsa_round_robin_scheduling 0
		.amdhsa_exception_fp_ieee_invalid_op 0
		.amdhsa_exception_fp_denorm_src 0
		.amdhsa_exception_fp_ieee_div_zero 0
		.amdhsa_exception_fp_ieee_overflow 0
		.amdhsa_exception_fp_ieee_underflow 0
		.amdhsa_exception_fp_ieee_inexact 0
		.amdhsa_exception_int_div_zero 0
	.end_amdhsa_kernel
	.section	.text._ZN4vllm25paged_attention_v2_kernelIfhLi192ELi8ELi128ELNS_18Fp8KVCacheDataTypeE1ELb1ELi512EEEvPfS2_PT_PKS3_PKT0_S9_ifPKiSB_iPKfiiiSD_SD_iiiii,"axG",@progbits,_ZN4vllm25paged_attention_v2_kernelIfhLi192ELi8ELi128ELNS_18Fp8KVCacheDataTypeE1ELb1ELi512EEEvPfS2_PT_PKS3_PKT0_S9_ifPKiSB_iPKfiiiSD_SD_iiiii,comdat
.Lfunc_end196:
	.size	_ZN4vllm25paged_attention_v2_kernelIfhLi192ELi8ELi128ELNS_18Fp8KVCacheDataTypeE1ELb1ELi512EEEvPfS2_PT_PKS3_PKT0_S9_ifPKiSB_iPKfiiiSD_SD_iiiii, .Lfunc_end196-_ZN4vllm25paged_attention_v2_kernelIfhLi192ELi8ELi128ELNS_18Fp8KVCacheDataTypeE1ELb1ELi512EEEvPfS2_PT_PKS3_PKT0_S9_ifPKiSB_iPKfiiiSD_SD_iiiii
                                        ; -- End function
	.set _ZN4vllm25paged_attention_v2_kernelIfhLi192ELi8ELi128ELNS_18Fp8KVCacheDataTypeE1ELb1ELi512EEEvPfS2_PT_PKS3_PKT0_S9_ifPKiSB_iPKfiiiSD_SD_iiiii.num_vgpr, 83
	.set _ZN4vllm25paged_attention_v2_kernelIfhLi192ELi8ELi128ELNS_18Fp8KVCacheDataTypeE1ELb1ELi512EEEvPfS2_PT_PKS3_PKT0_S9_ifPKiSB_iPKfiiiSD_SD_iiiii.num_agpr, 0
	.set _ZN4vllm25paged_attention_v2_kernelIfhLi192ELi8ELi128ELNS_18Fp8KVCacheDataTypeE1ELb1ELi512EEEvPfS2_PT_PKS3_PKT0_S9_ifPKiSB_iPKfiiiSD_SD_iiiii.numbered_sgpr, 45
	.set _ZN4vllm25paged_attention_v2_kernelIfhLi192ELi8ELi128ELNS_18Fp8KVCacheDataTypeE1ELb1ELi512EEEvPfS2_PT_PKS3_PKT0_S9_ifPKiSB_iPKfiiiSD_SD_iiiii.num_named_barrier, 0
	.set _ZN4vllm25paged_attention_v2_kernelIfhLi192ELi8ELi128ELNS_18Fp8KVCacheDataTypeE1ELb1ELi512EEEvPfS2_PT_PKS3_PKT0_S9_ifPKiSB_iPKfiiiSD_SD_iiiii.private_seg_size, 0
	.set _ZN4vllm25paged_attention_v2_kernelIfhLi192ELi8ELi128ELNS_18Fp8KVCacheDataTypeE1ELb1ELi512EEEvPfS2_PT_PKS3_PKT0_S9_ifPKiSB_iPKfiiiSD_SD_iiiii.uses_vcc, 1
	.set _ZN4vllm25paged_attention_v2_kernelIfhLi192ELi8ELi128ELNS_18Fp8KVCacheDataTypeE1ELb1ELi512EEEvPfS2_PT_PKS3_PKT0_S9_ifPKiSB_iPKfiiiSD_SD_iiiii.uses_flat_scratch, 0
	.set _ZN4vllm25paged_attention_v2_kernelIfhLi192ELi8ELi128ELNS_18Fp8KVCacheDataTypeE1ELb1ELi512EEEvPfS2_PT_PKS3_PKT0_S9_ifPKiSB_iPKfiiiSD_SD_iiiii.has_dyn_sized_stack, 0
	.set _ZN4vllm25paged_attention_v2_kernelIfhLi192ELi8ELi128ELNS_18Fp8KVCacheDataTypeE1ELb1ELi512EEEvPfS2_PT_PKS3_PKT0_S9_ifPKiSB_iPKfiiiSD_SD_iiiii.has_recursion, 0
	.set _ZN4vllm25paged_attention_v2_kernelIfhLi192ELi8ELi128ELNS_18Fp8KVCacheDataTypeE1ELb1ELi512EEEvPfS2_PT_PKS3_PKT0_S9_ifPKiSB_iPKfiiiSD_SD_iiiii.has_indirect_call, 0
	.section	.AMDGPU.csdata,"",@progbits
; Kernel info:
; codeLenInByte = 9660
; TotalNumSgprs: 47
; NumVgprs: 83
; ScratchSize: 0
; MemoryBound: 0
; FloatMode: 240
; IeeeMode: 1
; LDSByteSize: 800 bytes/workgroup (compile time only)
; SGPRBlocks: 0
; VGPRBlocks: 10
; NumSGPRsForWavesPerEU: 47
; NumVGPRsForWavesPerEU: 83
; Occupancy: 16
; WaveLimiterHint : 1
; COMPUTE_PGM_RSRC2:SCRATCH_EN: 0
; COMPUTE_PGM_RSRC2:USER_SGPR: 2
; COMPUTE_PGM_RSRC2:TRAP_HANDLER: 0
; COMPUTE_PGM_RSRC2:TGID_X_EN: 1
; COMPUTE_PGM_RSRC2:TGID_Y_EN: 1
; COMPUTE_PGM_RSRC2:TGID_Z_EN: 1
; COMPUTE_PGM_RSRC2:TIDIG_COMP_CNT: 0
	.section	.text._ZN4vllm25paged_attention_v2_kernelIfhLi256ELi8ELi128ELNS_18Fp8KVCacheDataTypeE1ELb1ELi512EEEvPfS2_PT_PKS3_PKT0_S9_ifPKiSB_iPKfiiiSD_SD_iiiii,"axG",@progbits,_ZN4vllm25paged_attention_v2_kernelIfhLi256ELi8ELi128ELNS_18Fp8KVCacheDataTypeE1ELb1ELi512EEEvPfS2_PT_PKS3_PKT0_S9_ifPKiSB_iPKfiiiSD_SD_iiiii,comdat
	.protected	_ZN4vllm25paged_attention_v2_kernelIfhLi256ELi8ELi128ELNS_18Fp8KVCacheDataTypeE1ELb1ELi512EEEvPfS2_PT_PKS3_PKT0_S9_ifPKiSB_iPKfiiiSD_SD_iiiii ; -- Begin function _ZN4vllm25paged_attention_v2_kernelIfhLi256ELi8ELi128ELNS_18Fp8KVCacheDataTypeE1ELb1ELi512EEEvPfS2_PT_PKS3_PKT0_S9_ifPKiSB_iPKfiiiSD_SD_iiiii
	.globl	_ZN4vllm25paged_attention_v2_kernelIfhLi256ELi8ELi128ELNS_18Fp8KVCacheDataTypeE1ELb1ELi512EEEvPfS2_PT_PKS3_PKT0_S9_ifPKiSB_iPKfiiiSD_SD_iiiii
	.p2align	8
	.type	_ZN4vllm25paged_attention_v2_kernelIfhLi256ELi8ELi128ELNS_18Fp8KVCacheDataTypeE1ELb1ELi512EEEvPfS2_PT_PKS3_PKT0_S9_ifPKiSB_iPKfiiiSD_SD_iiiii,@function
_ZN4vllm25paged_attention_v2_kernelIfhLi256ELi8ELi128ELNS_18Fp8KVCacheDataTypeE1ELb1ELi512EEEvPfS2_PT_PKS3_PKT0_S9_ifPKiSB_iPKfiiiSD_SD_iiiii: ; @_ZN4vllm25paged_attention_v2_kernelIfhLi256ELi8ELi128ELNS_18Fp8KVCacheDataTypeE1ELb1ELi512EEEvPfS2_PT_PKS3_PKT0_S9_ifPKiSB_iPKfiiiSD_SD_iiiii
; %bb.0:
	s_load_b64 s[2:3], s[0:1], 0x40
	s_and_b32 s19, ttmp7, 0xffff
	s_lshr_b32 s33, ttmp7, 16
	s_lshl_b32 s4, s19, 2
	s_lshl_b32 s37, s33, 9
	s_wait_kmcnt 0x0
	s_load_b32 s35, s[2:3], s4 offset:0x0
	s_wait_kmcnt 0x0
	s_cmp_ge_i32 s37, s35
	s_cbranch_scc1 .LBB197_121
; %bb.1:
	s_clause 0x1
	s_load_b32 s36, s[0:1], 0x90
	s_load_b64 s[6:7], s[0:1], 0x30
	s_wait_kmcnt 0x0
	s_abs_i32 s5, s36
	s_abs_i32 s2, s6
	s_delay_alu instid0(SALU_CYCLE_1) | instskip(SKIP_1) | instid1(SALU_CYCLE_2)
	s_cvt_f32_u32 s3, s2
	s_sub_co_i32 s4, 0, s2
	v_rcp_iflag_f32_e32 v1, s3
	s_delay_alu instid0(TRANS32_DEP_1) | instskip(SKIP_2) | instid1(SALU_CYCLE_2)
	v_readfirstlane_b32 s3, v1
	s_mul_f32 s3, s3, 0x4f7ffffe
	s_wait_alu 0xfffe
	s_cvt_u32_f32 s3, s3
	s_wait_alu 0xfffe
	s_delay_alu instid0(SALU_CYCLE_2) | instskip(NEXT) | instid1(SALU_CYCLE_1)
	s_mul_i32 s4, s4, s3
	s_mul_hi_u32 s4, s3, s4
	s_delay_alu instid0(SALU_CYCLE_1)
	s_add_co_i32 s3, s3, s4
	s_xor_b32 s4, s36, s6
	s_wait_alu 0xfffe
	s_mul_hi_u32 s3, s5, s3
	s_ashr_i32 s4, s4, 31
	s_wait_alu 0xfffe
	s_mul_i32 s8, s3, s2
	s_delay_alu instid0(SALU_CYCLE_1)
	s_sub_co_i32 s5, s5, s8
	s_add_co_i32 s8, s3, 1
	s_sub_co_i32 s9, s5, s2
	s_cmp_ge_u32 s5, s2
	s_cselect_b32 s3, s8, s3
	s_cselect_b32 s5, s9, s5
	s_wait_alu 0xfffe
	s_add_co_i32 s8, s3, 1
	s_cmp_ge_u32 s5, s2
	s_cselect_b32 s2, s8, s3
	s_load_b64 s[8:9], s[0:1], 0x50
	s_xor_b32 s2, s2, s4
	s_mov_b32 s3, 0
	s_wait_alu 0xfffe
	s_sub_co_i32 s11, s2, s4
	s_mov_b32 s30, s3
	s_abs_i32 s10, s11
	s_delay_alu instid0(SALU_CYCLE_1) | instskip(SKIP_1) | instid1(SALU_CYCLE_2)
	s_cvt_f32_u32 s2, s10
	s_wait_alu 0xfffe
	v_rcp_iflag_f32_e32 v1, s2
	s_delay_alu instid0(TRANS32_DEP_1) | instskip(SKIP_2) | instid1(SALU_CYCLE_2)
	v_readfirstlane_b32 s2, v1
	s_mul_f32 s2, s2, 0x4f7ffffe
	s_wait_alu 0xfffe
	s_cvt_u32_f32 s4, s2
	s_sub_co_i32 s2, 0, s10
	s_wait_alu 0xfffe
	s_delay_alu instid0(SALU_CYCLE_1)
	s_mul_i32 s2, s2, s4
	s_wait_alu 0xfffe
	s_mul_hi_u32 s5, s4, s2
	s_abs_i32 s2, ttmp9
	s_add_co_i32 s4, s4, s5
	s_mov_b32 s5, s3
	s_wait_kmcnt 0x0
	s_cmp_eq_u64 s[8:9], 0
	s_cbranch_scc1 .LBB197_3
; %bb.2:
	s_mov_b32 s12, ttmp9
	s_ashr_i32 s13, ttmp9, 31
	s_delay_alu instid0(SALU_CYCLE_1) | instskip(NEXT) | instid1(SALU_CYCLE_1)
	s_lshl_b64 s[12:13], s[12:13], 2
	s_add_nc_u64 s[8:9], s[8:9], s[12:13]
	s_load_b32 s30, s[8:9], 0x0
.LBB197_3:
	s_clause 0x1
	s_load_b32 s34, s[0:1], 0x98
	s_load_b96 s[16:18], s[0:1], 0x58
	v_and_b32_e32 v1, 3, v0
	v_lshlrev_b32_e32 v5, 2, v0
	s_mul_u64 s[4:5], s[2:3], s[4:5]
	s_ashr_i32 s3, ttmp9, 31
	s_ashr_i32 s4, s11, 31
	s_lshl_b32 s20, ttmp9, 8
	s_mov_b32 s11, exec_lo
	v_cmpx_gt_u32_e32 0x100, v0
	s_cbranch_execz .LBB197_6
; %bb.4:
	s_load_b64 s[8:9], s[0:1], 0x18
	s_wait_kmcnt 0x0
	s_mul_i32 s12, s16, s19
	s_ashr_i32 s21, s20, 31
	s_ashr_i32 s13, s12, 31
	v_and_b32_e32 v2, 0x3fc, v0
	s_lshl_b64 s[12:13], s[12:13], 2
	v_cmp_gt_u32_e32 vcc_lo, 0x80, v0
	s_delay_alu instid0(VALU_DEP_2) | instskip(SKIP_2) | instid1(SALU_CYCLE_1)
	v_lshl_add_u32 v2, v1, 8, v2
	s_add_nc_u64 s[8:9], s[8:9], s[12:13]
	s_lshl_b64 s[12:13], s[20:21], 2
	s_add_nc_u64 s[8:9], s[8:9], s[12:13]
	global_load_b32 v3, v5, s[8:9]
	s_wait_loadcnt 0x0
	ds_store_b32 v2, v3
	s_and_b32 exec_lo, exec_lo, vcc_lo
	s_cbranch_execz .LBB197_6
; %bb.5:
	v_lshrrev_b32_e32 v3, 2, v0
	v_lshlrev_b32_e32 v4, 2, v1
	s_delay_alu instid0(VALU_DEP_2) | instskip(NEXT) | instid1(VALU_DEP_1)
	v_lshlrev_b32_e32 v3, 4, v3
	v_or3_b32 v3, v3, v4, 0x200
	global_load_b32 v3, v3, s[8:9]
	s_wait_loadcnt 0x0
	ds_store_b32 v2, v3 offset:128
.LBB197_6:
	s_or_b32 exec_lo, exec_lo, s11
	s_load_b128 s[12:15], s[0:1], 0x78
	s_mul_i32 s8, s5, s10
	s_xor_b32 s3, s3, s4
	s_sub_co_i32 s2, s2, s8
	s_add_co_i32 s4, s5, 1
	s_wait_alu 0xfffe
	s_sub_co_i32 s8, s2, s10
	s_cmp_ge_u32 s2, s10
                                        ; implicit-def: $sgpr21
	s_cselect_b32 s4, s4, s5
	s_cselect_b32 s2, s8, s2
	s_add_co_i32 s5, s4, 1
	s_wait_alu 0xfffe
	s_cmp_ge_u32 s2, s10
	s_load_b32 s8, s[0:1], 0x88
	s_cselect_b32 s2, s5, s4
	s_add_co_i32 s9, s35, -1
	s_wait_alu 0xfffe
	s_xor_b32 s2, s2, s3
	s_mov_b32 s10, -1
	s_wait_alu 0xfffe
	s_sub_co_i32 s28, s2, s3
	s_wait_dscnt 0x0
	s_barrier_signal -1
	s_wait_kmcnt 0x0
	s_abs_i32 s16, s15
	s_barrier_wait -1
	s_cvt_f32_u32 s4, s16
	global_inv scope:SCOPE_SE
	v_rcp_iflag_f32_e32 v2, s4
	s_delay_alu instid0(TRANS32_DEP_1) | instskip(SKIP_2) | instid1(SALU_CYCLE_2)
	v_readfirstlane_b32 s4, v2
	s_mul_f32 s2, s4, 0x4f7ffffe
	s_wait_alu 0xfffe
	s_cvt_u32_f32 s4, s2
	s_sub_co_i32 s2, 0, s16
	s_wait_alu 0xfffe
	s_delay_alu instid0(SALU_CYCLE_1)
	s_mul_i32 s3, s2, s4
	s_abs_i32 s2, s9
	s_wait_alu 0xfffe
	s_mul_hi_u32 s5, s4, s3
	s_mov_b32 s3, 0
	s_wait_alu 0xfffe
	s_add_co_i32 s22, s4, s5
	s_cmp_lt_i32 s8, 0
	s_mov_b32 s23, s3
	s_cbranch_scc0 .LBB197_8
; %bb.7:
	s_mul_i32 s4, s12, s6
	s_mov_b32 s10, s3
	s_wait_alu 0xfffe
	s_add_co_i32 s4, s28, s4
	s_wait_alu 0xfffe
	s_mul_i32 s4, s4, s8
	s_wait_alu 0xfffe
	s_sub_co_i32 s21, 1, s4
.LBB197_8:
	s_mul_u64 s[4:5], s[2:3], s[22:23]
	s_ashr_i32 s3, s9, 31
	s_and_not1_b32 vcc_lo, exec_lo, s10
	s_ashr_i32 s15, s15, 31
	s_cbranch_vccnz .LBB197_10
; %bb.9:
	s_mul_i32 s4, s36, s12
	s_wait_alu 0xfffe
	s_add_co_i32 s4, s4, ttmp9
	s_wait_alu 0xfffe
	s_mul_i32 s4, s4, s8
	s_wait_alu 0xfffe
	s_add_co_i32 s21, s4, 1
.LBB197_10:
	s_clause 0x2
	s_load_b32 s4, s[0:1], 0x48
	s_load_b64 s[24:25], s[0:1], 0x38
	s_load_b128 s[8:11], s[0:1], 0x68
	s_mul_i32 s6, s5, s16
	s_xor_b32 s3, s3, s15
	s_sub_co_i32 s2, s2, s6
	s_add_co_i32 s12, s5, 1
	v_lshrrev_b32_e32 v11, 5, v0
	v_mov_b32_e32 v10, 0xff7fffff
	v_mbcnt_lo_u32_b32 v7, -1, 0
	s_mul_i32 s28, s28, s18
	s_delay_alu instid0(VALU_DEP_3)
	v_lshl_add_u32 v12, v11, 3, s37
	s_wait_kmcnt 0x0
	s_mul_i32 s26, s4, s19
	s_wait_alu 0xfffe
	s_sub_co_i32 s4, s2, s16
	s_ashr_i32 s27, s26, 31
	s_cmp_ge_u32 s2, s16
	s_cselect_b32 s5, s12, s5
	s_wait_alu 0xfffe
	s_cselect_b32 s2, s4, s2
	s_add_co_i32 s4, s5, 1
	s_wait_alu 0xfffe
	s_cmp_ge_u32 s2, s16
	s_cselect_b32 s2, s4, s5
	s_add_co_i32 s4, s35, 7
	s_lshl_b32 s39, s33, 6
	s_wait_alu 0xfffe
	s_ashr_i32 s5, s4, 31
	v_or_b32_e32 v13, s39, v11
	s_wait_alu 0xfffe
	s_lshr_b32 s5, s5, 29
	s_wait_alu 0xfffe
	s_add_co_i32 s4, s4, s5
	s_add_co_i32 s5, s39, 64
	s_wait_alu 0xfffe
	s_ashr_i32 s23, s4, 3
	s_xor_b32 s4, s2, s3
	s_min_i32 s12, s5, s23
	v_lshlrev_b32_e32 v6, 2, v13
	v_cmp_gt_i32_e64 s2, s12, v13
	s_wait_alu 0xfffe
	s_sub_co_i32 s38, s4, s3
	s_and_saveexec_b32 s6, s2
	s_cbranch_execz .LBB197_22
; %bb.11:
	s_wait_alu 0xfffe
	s_sub_co_i32 s18, s38, s13
	s_ashr_i32 s29, s28, 31
	s_cmp_neq_f32 s30, 0
	s_load_b64 s[4:5], s[0:1], 0x20
	v_bfe_u32 v8, v0, 2, 3
	v_mov_b32_e32 v20, v13
	s_cselect_b32 vcc_lo, -1, 0
	s_abs_i32 s31, s14
	s_lshl_b64 s[42:43], s[26:27], 2
	s_cvt_f32_u32 s3, s31
	v_lshlrev_b32_e32 v3, 4, v8
	v_dual_mov_b32 v17, 0xff7fffff :: v_dual_lshlrev_b32 v4, 2, v8
	s_wait_alu 0xfffe
	v_rcp_iflag_f32_e32 v2, s3
	v_subrev_nc_u32_e32 v10, s35, v8
	v_cmp_eq_u32_e64 s3, 0, v1
	v_lshl_or_b32 v16, v11, 5, v4
	v_lshlrev_b32_e32 v9, 8, v1
	s_add_nc_u64 s[42:43], s[24:25], s[42:43]
	s_sub_co_i32 s44, 0, s31
	v_lshl_add_u32 v14, v11, 3, s37
	v_add_nc_u32_e32 v15, 1, v10
	v_add_nc_u32_e32 v16, 0x420, v16
	v_readfirstlane_b32 s41, v2
	s_wait_kmcnt 0x0
	s_add_nc_u64 s[4:5], s[4:5], s[28:29]
	v_xor_b32_e32 v18, 2, v7
	s_wait_alu 0xfffe
	v_add_co_u32 v2, s4, s4, v3
	s_mul_f32 s29, s41, 0x4f7ffffe
	s_wait_alu 0xf1ff
	v_add_co_ci_u32_e64 v3, null, s5, 0, s4
	v_add_co_u32 v1, s4, v2, v1
	s_cvt_u32_f32 s5, s29
	s_wait_alu 0xf1ff
	v_add_co_ci_u32_e64 v2, null, 0, v3, s4
	v_add_co_u32 v3, s4, s42, v6
	s_wait_alu 0xfffe
	s_mul_i32 s44, s44, s5
	v_add_co_ci_u32_e64 v4, null, s43, 0, s4
	v_xor_b32_e32 v19, 1, v7
	v_mov_b32_e32 v10, 0xff7fffff
	s_mul_hi_u32 s4, s5, s44
	s_mov_b32 s40, 0
	s_mov_b32 s29, s17
	s_wait_alu 0xfffe
	s_add_co_i32 s41, s5, s4
	s_branch .LBB197_14
.LBB197_12:                             ;   in Loop: Header=BB197_14 Depth=1
	s_wait_alu 0xfffe
	s_or_b32 exec_lo, exec_lo, s42
.LBB197_13:                             ;   in Loop: Header=BB197_14 Depth=1
	s_wait_alu 0xfffe
	s_or_b32 exec_lo, exec_lo, s5
	v_add_nc_u32_e32 v20, 4, v20
	v_add_co_u32 v3, s5, v3, 16
	s_wait_alu 0xf1ff
	v_add_co_ci_u32_e64 v4, null, 0, v4, s5
	s_delay_alu instid0(VALU_DEP_3)
	v_cmp_le_i32_e64 s4, s12, v20
	v_add_nc_u32_e32 v14, 32, v14
	v_add_nc_u32_e32 v16, 0x80, v16
	s_or_b32 s40, s4, s40
	s_wait_alu 0xfffe
	s_and_not1_b32 exec_lo, exec_lo, s40
	s_cbranch_execz .LBB197_21
.LBB197_14:                             ; =>This Inner Loop Header: Depth=1
	v_sub_nc_u32_e32 v21, 0, v14
	s_delay_alu instid0(VALU_DEP_1) | instskip(SKIP_1) | instid1(VALU_DEP_1)
	v_max_i32_e32 v21, v14, v21
	s_wait_dscnt 0x0
	v_mul_hi_u32 v22, v21, s22
	s_delay_alu instid0(VALU_DEP_1) | instskip(NEXT) | instid1(VALU_DEP_1)
	v_mul_lo_u32 v23, v22, s16
	v_sub_nc_u32_e32 v21, v21, v23
	v_add_nc_u32_e32 v23, 1, v22
	s_delay_alu instid0(VALU_DEP_2) | instskip(SKIP_2) | instid1(VALU_DEP_1)
	v_subrev_nc_u32_e32 v24, s16, v21
	v_cmp_le_u32_e64 s4, s16, v21
	s_wait_alu 0xf1ff
	v_cndmask_b32_e64 v22, v22, v23, s4
	s_delay_alu instid0(VALU_DEP_3) | instskip(SKIP_1) | instid1(VALU_DEP_3)
	v_cndmask_b32_e64 v21, v21, v24, s4
	v_ashrrev_i32_e32 v23, 31, v14
	v_add_nc_u32_e32 v24, 1, v22
	s_delay_alu instid0(VALU_DEP_3) | instskip(NEXT) | instid1(VALU_DEP_3)
	v_cmp_le_u32_e64 s4, s16, v21
	v_xor_b32_e32 v23, s15, v23
	s_wait_alu 0xf1ff
	s_delay_alu instid0(VALU_DEP_2) | instskip(NEXT) | instid1(VALU_DEP_1)
	v_cndmask_b32_e64 v21, v22, v24, s4
	v_xor_b32_e32 v21, v21, v23
	s_delay_alu instid0(VALU_DEP_1) | instskip(NEXT) | instid1(VALU_DEP_1)
	v_sub_nc_u32_e32 v21, v21, v23
	v_add_nc_u32_e32 v22, s21, v21
	v_cmp_ge_i32_e64 s5, s18, v21
	s_delay_alu instid0(VALU_DEP_2) | instskip(NEXT) | instid1(VALU_DEP_1)
	v_sub_nc_u32_e32 v23, 0, v22
	v_max_i32_e32 v23, v22, v23
	v_ashrrev_i32_e32 v22, 31, v22
	s_delay_alu instid0(VALU_DEP_2) | instskip(NEXT) | instid1(VALU_DEP_1)
	v_mul_hi_u32 v24, v23, s41
	v_mul_lo_u32 v24, v24, s31
	s_delay_alu instid0(VALU_DEP_1) | instskip(NEXT) | instid1(VALU_DEP_1)
	v_sub_nc_u32_e32 v23, v23, v24
	v_subrev_nc_u32_e32 v24, s31, v23
	v_cmp_le_u32_e64 s4, s31, v23
	s_wait_alu 0xf1ff
	s_delay_alu instid0(VALU_DEP_1) | instskip(NEXT) | instid1(VALU_DEP_1)
	v_cndmask_b32_e64 v23, v23, v24, s4
	v_subrev_nc_u32_e32 v24, s31, v23
	v_cmp_le_u32_e64 s4, s31, v23
	s_wait_alu 0xf1ff
	s_delay_alu instid0(VALU_DEP_1) | instskip(NEXT) | instid1(VALU_DEP_1)
	v_cndmask_b32_e64 v23, v23, v24, s4
	v_xor_b32_e32 v23, v23, v22
	s_delay_alu instid0(VALU_DEP_1) | instskip(NEXT) | instid1(VALU_DEP_1)
	v_sub_nc_u32_e32 v22, v23, v22
	v_cmp_ne_u32_e64 s4, 0, v22
	s_and_b32 s4, s4, s5
	s_wait_alu 0xfffe
	s_and_saveexec_b32 s5, s4
	s_wait_alu 0xfffe
	s_xor_b32 s4, exec_lo, s5
	s_cbranch_execz .LBB197_18
; %bb.15:                               ;   in Loop: Header=BB197_14 Depth=1
	s_and_saveexec_b32 s5, s3
; %bb.16:                               ;   in Loop: Header=BB197_14 Depth=1
	ds_store_b32 v16, v17
; %bb.17:                               ;   in Loop: Header=BB197_14 Depth=1
	s_wait_alu 0xfffe
	s_or_b32 exec_lo, exec_lo, s5
.LBB197_18:                             ;   in Loop: Header=BB197_14 Depth=1
	s_wait_alu 0xfffe
	s_and_not1_saveexec_b32 s5, s4
	s_cbranch_execz .LBB197_13
; %bb.19:                               ;   in Loop: Header=BB197_14 Depth=1
	global_load_b32 v21, v[3:4], off
	v_cmp_gt_i32_e64 s4, 32, v18
	s_wait_loadcnt 0x0
	v_mad_co_i64_i32 v[25:26], null, v21, s29, v[1:2]
	s_clause 0x1f
	global_load_u8 v27, v[25:26], off offset:4
	global_load_u8 v28, v[25:26], off
	global_load_u8 v29, v[25:26], off offset:8
	global_load_u8 v30, v[25:26], off offset:12
	;; [unrolled: 1-line block ×30, first 2 shown]
	s_clause 0x1c
	global_load_u8 v59, v[25:26], off offset:1024
	global_load_u8 v60, v[25:26], off offset:1028
	;; [unrolled: 1-line block ×29, first 2 shown]
	s_load_b32 s42, s[8:9], 0x0
	s_clause 0x1
	global_load_u8 v88, v[25:26], off offset:1924
	global_load_u8 v89, v[25:26], off offset:1928
	ds_load_b128 v[21:24], v9
	global_load_u8 v90, v[25:26], off offset:1932
	s_wait_loadcnt 0x3e
	v_cvt_f32_fp8_e32 v25, v27
	v_cvt_f32_fp8_e32 v91, v28
	s_wait_loadcnt 0x3d
	v_cvt_f32_fp8_e32 v29, v29
	s_wait_kmcnt 0x0
	s_delay_alu instid0(VALU_DEP_2)
	v_dual_mul_f32 v92, s42, v25 :: v_dual_mul_f32 v91, s42, v91
	ds_load_b128 v[25:28], v9 offset:16
	s_wait_dscnt 0x1
	v_dual_mul_f32 v29, s42, v29 :: v_dual_mul_f32 v92, v22, v92
	s_wait_loadcnt 0x3c
	v_cvt_f32_fp8_e32 v22, v30
	s_delay_alu instid0(VALU_DEP_2) | instskip(SKIP_2) | instid1(VALU_DEP_3)
	v_fmac_f32_e32 v92, v21, v91
	s_wait_loadcnt 0x3b
	v_cvt_f32_fp8_e32 v21, v31
	v_mul_f32_e32 v22, s42, v22
	s_wait_loadcnt 0x39
	v_cvt_f32_fp8_e32 v31, v33
	v_fmac_f32_e32 v92, v23, v29
	v_cvt_f32_fp8_e32 v29, v32
	v_mul_f32_e32 v30, s42, v21
	s_delay_alu instid0(VALU_DEP_3)
	v_fmac_f32_e32 v92, v24, v22
	ds_load_b128 v[21:24], v9 offset:32
	s_wait_dscnt 0x1
	v_dual_mul_f32 v29, s42, v29 :: v_dual_fmac_f32 v92, v25, v30
	s_wait_loadcnt 0x38
	v_cvt_f32_fp8_e32 v25, v34
	v_mul_f32_e32 v30, s42, v31
	s_wait_loadcnt 0x35
	v_cvt_f32_fp8_e32 v31, v37
	v_fmac_f32_e32 v92, v26, v29
	v_cvt_f32_fp8_e32 v26, v35
	v_mul_f32_e32 v25, s42, v25
	v_cvt_f32_fp8_e32 v29, v36
	s_delay_alu instid0(VALU_DEP_4) | instskip(NEXT) | instid1(VALU_DEP_2)
	v_fmac_f32_e32 v92, v27, v30
	v_dual_mul_f32 v30, s42, v26 :: v_dual_mul_f32 v29, s42, v29
	s_delay_alu instid0(VALU_DEP_2)
	v_fmac_f32_e32 v92, v28, v25
	ds_load_b128 v[25:28], v9 offset:48
	s_wait_dscnt 0x1
	v_fmac_f32_e32 v92, v21, v30
	s_wait_loadcnt 0x34
	v_cvt_f32_fp8_e32 v21, v38
	v_mul_f32_e32 v30, s42, v31
	s_wait_loadcnt 0x31
	v_cvt_f32_fp8_e32 v31, v41
	v_fmac_f32_e32 v92, v22, v29
	v_cvt_f32_fp8_e32 v22, v39
	v_mul_f32_e32 v21, s42, v21
	v_cvt_f32_fp8_e32 v29, v40
	s_delay_alu instid0(VALU_DEP_4) | instskip(NEXT) | instid1(VALU_DEP_2)
	v_fmac_f32_e32 v92, v23, v30
	v_dual_mul_f32 v30, s42, v22 :: v_dual_mul_f32 v29, s42, v29
	s_delay_alu instid0(VALU_DEP_2)
	v_fmac_f32_e32 v92, v24, v21
	ds_load_b128 v[21:24], v9 offset:64
	s_wait_dscnt 0x1
	v_fmac_f32_e32 v92, v25, v30
	;; [unrolled: 17-line block ×11, first 2 shown]
	s_wait_loadcnt 0xc
	v_cvt_f32_fp8_e32 v21, v78
	v_mul_f32_e32 v30, s42, v31
	s_wait_loadcnt 0x5
	v_cvt_f32_fp8_e32 v31, v85
	v_fmac_f32_e32 v92, v22, v29
	v_cvt_f32_fp8_e32 v22, v79
	v_mul_f32_e32 v21, s42, v21
	v_cvt_f32_fp8_e32 v29, v81
	s_delay_alu instid0(VALU_DEP_4) | instskip(SKIP_1) | instid1(VALU_DEP_3)
	v_fmac_f32_e32 v92, v30, v23
	v_cvt_f32_fp8_e32 v23, v80
	v_dual_mul_f32 v22, s42, v22 :: v_dual_mul_f32 v29, s42, v29
	s_delay_alu instid0(VALU_DEP_3) | instskip(NEXT) | instid1(VALU_DEP_3)
	v_fmac_f32_e32 v92, v21, v24
	v_mul_f32_e32 v30, s42, v23
	s_wait_dscnt 0x0
	s_delay_alu instid0(VALU_DEP_2) | instskip(SKIP_4) | instid1(VALU_DEP_2)
	v_fmac_f32_e32 v92, v22, v25
	ds_load_b128 v[21:24], v9 offset:224
	v_cvt_f32_fp8_e32 v25, v82
	v_fmac_f32_e32 v92, v30, v26
	v_cvt_f32_fp8_e32 v26, v83
	v_dual_mul_f32 v25, s42, v25 :: v_dual_fmac_f32 v92, v29, v27
	v_cvt_f32_fp8_e32 v27, v84
	s_delay_alu instid0(VALU_DEP_2) | instskip(NEXT) | instid1(VALU_DEP_2)
	v_dual_mul_f32 v29, s42, v26 :: v_dual_fmac_f32 v92, v25, v28
	v_mul_f32_e32 v30, s42, v27
	ds_load_b128 v[25:28], v9 offset:240
	s_wait_dscnt 0x1
	v_dual_fmac_f32 v92, v29, v21 :: v_dual_mul_f32 v21, s42, v31
	s_wait_loadcnt 0x4
	v_cvt_f32_fp8_e32 v29, v86
	s_delay_alu instid0(VALU_DEP_2) | instskip(SKIP_2) | instid1(VALU_DEP_2)
	v_fmac_f32_e32 v92, v30, v22
	s_wait_loadcnt 0x3
	v_cvt_f32_fp8_e32 v22, v87
	v_dual_mul_f32 v29, s42, v29 :: v_dual_fmac_f32 v92, v21, v23
	s_delay_alu instid0(VALU_DEP_2)
	v_mul_f32_e32 v21, s42, v22
	s_wait_loadcnt 0x2
	v_cvt_f32_fp8_e32 v22, v88
	s_wait_loadcnt 0x1
	v_cvt_f32_fp8_e32 v23, v89
	v_fmac_f32_e32 v92, v29, v24
	s_delay_alu instid0(VALU_DEP_3) | instskip(SKIP_1) | instid1(VALU_DEP_2)
	v_mul_f32_e32 v22, s42, v22
	s_wait_dscnt 0x0
	v_dual_fmac_f32 v92, v21, v25 :: v_dual_mul_f32 v21, s42, v23
	s_wait_loadcnt 0x0
	v_cvt_f32_fp8_e32 v23, v90
	s_delay_alu instid0(VALU_DEP_2) | instskip(SKIP_1) | instid1(VALU_DEP_3)
	v_fmac_f32_e32 v92, v22, v26
	v_cndmask_b32_e64 v22, v7, v18, s4
	v_mul_f32_e32 v23, s42, v23
	v_cmp_gt_i32_e64 s4, 32, v19
	s_delay_alu instid0(VALU_DEP_3) | instskip(SKIP_1) | instid1(VALU_DEP_2)
	v_dual_fmac_f32 v92, v21, v27 :: v_dual_lshlrev_b32 v21, 2, v22
	s_wait_alu 0xf1ff
	v_cndmask_b32_e64 v22, v7, v19, s4
	s_delay_alu instid0(VALU_DEP_2) | instskip(NEXT) | instid1(VALU_DEP_2)
	v_fmac_f32_e32 v92, v23, v28
	v_lshlrev_b32_e32 v22, 2, v22
	ds_bpermute_b32 v21, v21, v92
	s_wait_dscnt 0x0
	v_add_f32_e32 v21, v92, v21
	ds_bpermute_b32 v22, v22, v21
	s_and_saveexec_b32 s42, s3
	s_cbranch_execz .LBB197_12
; %bb.20:                               ;   in Loop: Header=BB197_14 Depth=1
	s_wait_dscnt 0x0
	v_add_f32_e32 v21, v21, v22
	v_add_nc_u32_e32 v23, v15, v14
	s_delay_alu instid0(VALU_DEP_1) | instskip(NEXT) | instid1(VALU_DEP_1)
	v_cvt_f32_i32_e32 v23, v23
	v_mul_f32_e32 v23, s30, v23
	s_delay_alu instid0(VALU_DEP_1) | instskip(NEXT) | instid1(VALU_DEP_1)
	v_dual_cndmask_b32 v22, 0, v23 :: v_dual_max_num_f32 v23, v10, v10
	v_dual_fmac_f32 v22, s7, v21 :: v_dual_add_nc_u32 v21, v8, v14
	s_delay_alu instid0(VALU_DEP_1) | instskip(NEXT) | instid1(VALU_DEP_2)
	v_max_num_f32_e32 v23, v23, v22
	v_cmp_gt_i32_e64 s4, s35, v21
	s_wait_alu 0xf1ff
	s_delay_alu instid0(VALU_DEP_1) | instskip(NEXT) | instid1(VALU_DEP_3)
	v_cndmask_b32_e64 v21, 0, v22, s4
	v_cndmask_b32_e64 v10, v10, v23, s4
	ds_store_b32 v16, v21
	s_branch .LBB197_12
.LBB197_21:
	s_or_b32 exec_lo, exec_lo, s40
.LBB197_22:
	s_delay_alu instid0(SALU_CYCLE_1)
	s_or_b32 exec_lo, exec_lo, s6
	v_xor_b32_e32 v1, 16, v7
	v_xor_b32_e32 v3, 8, v7
	s_clause 0x2
	s_load_b128 s[4:7], s[0:1], 0x0
	s_load_b64 s[8:9], s[0:1], 0x10
	s_load_b64 s[30:31], s[0:1], 0x28
	v_max_num_f32_e32 v8, v10, v10
	v_and_b32_e32 v14, 31, v0
	v_cmp_gt_i32_e32 vcc_lo, 32, v1
	s_wait_alu 0xfffd
	v_cndmask_b32_e32 v1, v7, v1, vcc_lo
	v_cmp_gt_i32_e32 vcc_lo, 32, v3
	s_wait_alu 0xfffd
	s_delay_alu instid0(VALU_DEP_2) | instskip(SKIP_3) | instid1(VALU_DEP_1)
	v_dual_cndmask_b32 v3, v7, v3 :: v_dual_lshlrev_b32 v2, 2, v1
	ds_bpermute_b32 v1, v2, v10
	s_wait_dscnt 0x0
	v_dual_max_num_f32 v1, v1, v1 :: v_dual_lshlrev_b32 v4, 2, v3
	v_max_num_f32_e32 v1, v8, v1
	v_xor_b32_e32 v8, 4, v7
	s_delay_alu instid0(VALU_DEP_1)
	v_cmp_gt_i32_e32 vcc_lo, 32, v8
	s_wait_alu 0xfffd
	v_cndmask_b32_e32 v8, v7, v8, vcc_lo
	ds_bpermute_b32 v3, v4, v1
	v_cmp_eq_u32_e32 vcc_lo, 0, v14
	v_lshlrev_b32_e32 v10, 2, v8
	v_lshlrev_b32_e32 v8, 2, v11
	s_wait_dscnt 0x0
	v_max_num_f32_e32 v3, v3, v3
	s_delay_alu instid0(VALU_DEP_1)
	v_max_num_f32_e32 v1, v1, v3
	ds_bpermute_b32 v3, v10, v1
	s_and_saveexec_b32 s0, vcc_lo
	s_cbranch_execz .LBB197_24
; %bb.23:
	s_wait_dscnt 0x0
	v_max_num_f32_e32 v3, v3, v3
	v_max_num_f32_e32 v1, v1, v1
	s_delay_alu instid0(VALU_DEP_1)
	v_max_num_f32_e32 v1, v1, v3
	ds_store_b32 v8, v1 offset:1024
.LBB197_24:
	s_or_b32 exec_lo, exec_lo, s0
	v_cmp_gt_u32_e64 s0, 4, v14
	v_mov_b32_e32 v1, 0xff7fffff
	v_lshlrev_b32_e32 v9, 2, v14
	s_wait_loadcnt_dscnt 0x0
	s_barrier_signal -1
	s_barrier_wait -1
	global_inv scope:SCOPE_SE
	s_and_saveexec_b32 s1, s0
; %bb.25:
	ds_load_b32 v1, v9 offset:1024
; %bb.26:
	s_or_b32 exec_lo, exec_lo, s1
	v_xor_b32_e32 v3, 2, v7
	v_xor_b32_e32 v15, 1, v7
	s_delay_alu instid0(VALU_DEP_2) | instskip(NEXT) | instid1(VALU_DEP_1)
	v_cmp_gt_i32_e64 s1, 32, v3
	v_cndmask_b32_e64 v3, v7, v3, s1
	s_delay_alu instid0(VALU_DEP_3) | instskip(NEXT) | instid1(VALU_DEP_2)
	v_cmp_gt_i32_e64 s1, 32, v15
	v_lshlrev_b32_e32 v16, 2, v3
	s_wait_alu 0xf1ff
	s_delay_alu instid0(VALU_DEP_2)
	v_cndmask_b32_e64 v7, v7, v15, s1
	s_sub_co_i32 s1, s12, s39
	s_wait_alu 0xfffe
	s_lshl_b32 s1, s1, 3
	s_wait_dscnt 0x0
	ds_bpermute_b32 v3, v16, v1
	v_max_num_f32_e32 v1, v1, v1
	v_lshlrev_b32_e32 v15, 2, v7
	v_mov_b32_e32 v7, 0
	s_wait_alu 0xfffe
	s_add_co_i32 s1, s1, s37
	s_wait_alu 0xfffe
	s_min_i32 s1, s1, s35
	s_wait_alu 0xfffe
	s_sub_co_i32 s18, s1, s37
	s_wait_alu 0xfffe
	v_cmp_gt_i32_e64 s1, s18, v0
	s_wait_dscnt 0x0
	v_max_num_f32_e32 v3, v3, v3
	s_delay_alu instid0(VALU_DEP_1) | instskip(SKIP_3) | instid1(VALU_DEP_1)
	v_max_num_f32_e32 v1, v1, v3
	ds_bpermute_b32 v3, v15, v1
	s_wait_dscnt 0x0
	v_max_num_f32_e32 v3, v3, v3
	v_max_num_f32_e32 v1, v1, v3
	v_lshl_add_u32 v3, v0, 2, 0x420
	ds_bpermute_b32 v1, v7, v1
	s_and_saveexec_b32 s29, s1
	s_cbranch_execz .LBB197_30
; %bb.27:
	v_lshl_add_u32 v17, v0, 2, 0x420
	v_dual_mov_b32 v7, 0 :: v_dual_mov_b32 v18, v0
	s_mov_b32 s37, 0
.LBB197_28:                             ; =>This Inner Loop Header: Depth=1
	ds_load_b32 v19, v17
	v_add_nc_u32_e32 v18, 0x80, v18
	s_delay_alu instid0(VALU_DEP_1) | instskip(SKIP_4) | instid1(VALU_DEP_1)
	v_cmp_le_i32_e64 s3, s18, v18
	s_wait_alu 0xfffe
	s_or_b32 s37, s3, s37
	s_wait_dscnt 0x0
	v_sub_f32_e32 v19, v19, v1
	v_mul_f32_e32 v19, 0x3fb8aa3b, v19
	s_delay_alu instid0(VALU_DEP_1)
	v_exp_f32_e32 v19, v19
	ds_store_b32 v17, v19
	v_add_f32_e32 v7, v7, v19
	v_add_nc_u32_e32 v17, 0x200, v17
	s_wait_alu 0xfffe
	s_and_not1_b32 exec_lo, exec_lo, s37
	s_cbranch_execnz .LBB197_28
; %bb.29:
	s_or_b32 exec_lo, exec_lo, s37
.LBB197_30:
	s_wait_alu 0xfffe
	s_or_b32 exec_lo, exec_lo, s29
	ds_bpermute_b32 v2, v2, v7
	s_wait_dscnt 0x0
	v_add_f32_e32 v2, v7, v2
	ds_bpermute_b32 v4, v4, v2
	s_wait_dscnt 0x0
	v_add_f32_e32 v2, v2, v4
	;; [unrolled: 3-line block ×5, first 2 shown]
	s_and_saveexec_b32 s3, vcc_lo
; %bb.31:
	ds_store_b32 v8, v2 offset:1040
; %bb.32:
	s_wait_alu 0xfffe
	s_or_b32 exec_lo, exec_lo, s3
	s_wait_loadcnt_dscnt 0x0
	s_barrier_signal -1
	s_barrier_wait -1
	global_inv scope:SCOPE_SE
	s_and_saveexec_b32 s3, s0
; %bb.33:
	ds_load_b32 v2, v9 offset:1040
; %bb.34:
	s_wait_alu 0xfffe
	s_or_b32 exec_lo, exec_lo, s3
	s_wait_dscnt 0x0
	ds_bpermute_b32 v4, v16, v2
	s_wait_dscnt 0x0
	v_add_f32_e32 v2, v2, v4
	ds_bpermute_b32 v4, v15, v2
	s_wait_dscnt 0x0
	v_add_f32_e32 v2, v2, v4
	v_mov_b32_e32 v4, 0
	ds_bpermute_b32 v2, v4, v2
	s_and_saveexec_b32 s0, s1
	s_cbranch_execz .LBB197_37
; %bb.35:
	s_wait_dscnt 0x0
	v_add_f32_e32 v4, 0x358637bd, v2
	s_mov_b32 s1, 0
	s_delay_alu instid0(VALU_DEP_1) | instskip(SKIP_1) | instid1(VALU_DEP_2)
	v_div_scale_f32 v7, null, v4, v4, 1.0
	v_div_scale_f32 v10, vcc_lo, 1.0, v4, 1.0
	v_rcp_f32_e32 v8, v7
	s_delay_alu instid0(TRANS32_DEP_1) | instskip(NEXT) | instid1(VALU_DEP_1)
	v_fma_f32 v9, -v7, v8, 1.0
	v_fmac_f32_e32 v8, v9, v8
	s_delay_alu instid0(VALU_DEP_1) | instskip(NEXT) | instid1(VALU_DEP_1)
	v_mul_f32_e32 v9, v10, v8
	v_fma_f32 v16, -v7, v9, v10
	s_delay_alu instid0(VALU_DEP_1) | instskip(NEXT) | instid1(VALU_DEP_1)
	v_fmac_f32_e32 v9, v16, v8
	v_fma_f32 v7, -v7, v9, v10
	s_wait_alu 0xfffd
	s_delay_alu instid0(VALU_DEP_1) | instskip(NEXT) | instid1(VALU_DEP_1)
	v_div_fmas_f32 v7, v7, v8, v9
	v_div_fixup_f32 v4, v7, v4, 1.0
	v_mov_b32_e32 v7, v0
.LBB197_36:                             ; =>This Inner Loop Header: Depth=1
	ds_load_b32 v8, v3
	s_wait_dscnt 0x0
	v_dual_mul_f32 v8, v4, v8 :: v_dual_add_nc_u32 v7, 0x80, v7
	s_delay_alu instid0(VALU_DEP_1)
	v_cmp_le_i32_e32 vcc_lo, s18, v7
	ds_store_b32 v3, v8
	v_add_nc_u32_e32 v3, 0x200, v3
	s_wait_alu 0xfffe
	s_or_b32 s1, vcc_lo, s1
	s_wait_alu 0xfffe
	s_and_not1_b32 exec_lo, exec_lo, s1
	s_cbranch_execnz .LBB197_36
.LBB197_37:
	s_wait_alu 0xfffe
	s_or_b32 exec_lo, exec_lo, s0
	s_mul_i32 s0, s34, s19
	s_wait_loadcnt_dscnt 0x0
	s_wait_alu 0xfffe
	s_mul_i32 s18, s0, s36
	s_mov_b32 s0, exec_lo
	s_barrier_signal -1
	s_barrier_wait -1
	global_inv scope:SCOPE_SE
	v_cmpx_eq_u32_e32 0, v0
	s_cbranch_execz .LBB197_39
; %bb.38:
	s_wait_alu 0xfffe
	s_ashr_i32 s19, s18, 31
	s_mul_i32 s36, s34, ttmp9
	s_lshl_b32 s1, s33, 2
	s_wait_alu 0xfffe
	s_lshl_b64 s[40:41], s[18:19], 2
	s_ashr_i32 s37, s36, 31
	v_mov_b32_e32 v3, s1
	s_wait_kmcnt 0x0
	s_wait_alu 0xfffe
	s_add_nc_u64 s[6:7], s[6:7], s[40:41]
	s_lshl_b64 s[36:37], s[36:37], 2
	s_add_nc_u64 s[4:5], s[4:5], s[40:41]
	s_wait_alu 0xfffe
	s_add_nc_u64 s[6:7], s[6:7], s[36:37]
	s_add_nc_u64 s[4:5], s[4:5], s[36:37]
	s_clause 0x1
	global_store_b32 v3, v1, s[6:7]
	global_store_b32 v3, v2, s[4:5]
.LBB197_39:
	s_wait_alu 0xfffe
	s_or_b32 exec_lo, exec_lo, s0
	v_dual_mov_b32 v31, 0 :: v_dual_and_b32 v16, 1, v0
	v_dual_mov_b32 v32, 0 :: v_dual_mov_b32 v29, 0
	v_dual_mov_b32 v30, 0 :: v_dual_mov_b32 v27, 0
	;; [unrolled: 1-line block ×7, first 2 shown]
	v_mov_b32_e32 v18, 0
	s_and_saveexec_b32 s1, s2
	s_cbranch_execz .LBB197_77
; %bb.40:
	s_abs_i32 s2, s14
	v_dual_mov_b32 v20, 0 :: v_dual_lshlrev_b32 v3, 4, v16
	s_wait_alu 0xfffe
	s_cvt_f32_u32 s0, s2
	s_wait_kmcnt 0x0
	s_lshl_b64 s[6:7], s[26:27], 2
	v_dual_mov_b32 v17, 0 :: v_dual_and_b32 v2, 0x7c, v5
	s_wait_alu 0xfffe
	v_rcp_iflag_f32_e32 v1, s0
	s_ashr_i32 s29, s28, 31
	s_add_nc_u64 s[6:7], s[24:25], s[6:7]
	v_dual_mov_b32 v18, 0 :: v_dual_and_b32 v33, 4, v5
	s_wait_alu 0xfffe
	s_add_nc_u64 s[26:27], s[30:31], s[28:29]
	v_add_co_u32 v5, s6, s6, v6
	s_sub_co_i32 s5, 0, s2
	v_add_co_ci_u32_e64 v6, null, s7, 0, s6
	s_delay_alu instid0(TRANS32_DEP_1)
	v_readfirstlane_b32 s0, v1
	v_lshl_or_b32 v1, v11, 5, v3
	v_add_co_u32 v7, s6, s26, v2
	s_wait_alu 0xf1ff
	v_add_co_ci_u32_e64 v8, null, s27, 0, s6
	s_mul_f32 s0, s0, 0x4f7ffffe
	v_dual_mov_b32 v19, 0 :: v_dual_add_nc_u32 v34, 0x420, v1
	v_dual_mov_b32 v21, 0 :: v_dual_mov_b32 v22, 0
	s_wait_alu 0xfffe
	s_cvt_u32_f32 s0, s0
	v_dual_mov_b32 v23, 0 :: v_dual_mov_b32 v24, 0
	v_dual_mov_b32 v25, 0 :: v_dual_mov_b32 v26, 0
	s_wait_alu 0xfffe
	s_mul_i32 s5, s5, s0
	v_dual_mov_b32 v27, 0 :: v_dual_mov_b32 v28, 0
	v_dual_mov_b32 v29, 0 :: v_dual_mov_b32 v30, 0
	;; [unrolled: 1-line block ×3, first 2 shown]
	s_wait_alu 0xfffe
	s_mul_hi_u32 s6, s0, s5
	s_sub_co_i32 s3, s38, s13
	s_mov_b32 s4, s17
	s_add_co_i32 s23, s23, -1
	s_mov_b32 s5, 0
	s_wait_alu 0xfffe
	s_add_co_i32 s6, s0, s6
	s_branch .LBB197_43
.LBB197_41:                             ;   in Loop: Header=BB197_43 Depth=1
	s_wait_alu 0xfffe
	s_or_b32 exec_lo, exec_lo, s0
	s_wait_dscnt 0x0
	v_mul_f32_e32 v52, v1, v96
	v_mul_f32_e32 v51, v1, v100
	;; [unrolled: 1-line block ×5, first 2 shown]
	v_fmac_f32_e32 v52, v2, v95
	v_fmac_f32_e32 v51, v2, v99
	;; [unrolled: 1-line block ×3, first 2 shown]
	v_dual_fmac_f32 v53, v2, v89 :: v_dual_mul_f32 v82, v1, v82
	v_fmac_f32_e32 v58, v2, v57
	v_mul_f32_e32 v50, v1, v50
	s_delay_alu instid0(VALU_DEP_4) | instskip(NEXT) | instid1(VALU_DEP_4)
	v_fmac_f32_e32 v54, v3, v84
	v_fmac_f32_e32 v53, v3, v88
	v_dual_fmac_f32 v51, v3, v98 :: v_dual_fmac_f32 v82, v2, v81
	v_mul_f32_e32 v78, v1, v78
	s_delay_alu instid0(VALU_DEP_3) | instskip(NEXT) | instid1(VALU_DEP_3)
	v_dual_mul_f32 v46, v1, v46 :: v_dual_fmac_f32 v53, v4, v87
	v_dual_fmac_f32 v51, v4, v97 :: v_dual_mul_f32 v42, v1, v42
	s_delay_alu instid0(VALU_DEP_3) | instskip(SKIP_1) | instid1(VALU_DEP_4)
	v_fmac_f32_e32 v78, v2, v77
	v_mul_f32_e32 v38, v1, v38
	v_dual_add_f32 v20, v20, v53 :: v_dual_mul_f32 v53, v1, v66
	s_delay_alu instid0(VALU_DEP_4) | instskip(NEXT) | instid1(VALU_DEP_4)
	v_add_f32_e32 v18, v18, v51
	v_dual_fmac_f32 v78, v3, v76 :: v_dual_mul_f32 v51, v1, v74
	v_fmac_f32_e32 v52, v3, v94
	s_delay_alu instid0(VALU_DEP_4) | instskip(NEXT) | instid1(VALU_DEP_3)
	v_dual_fmac_f32 v54, v4, v83 :: v_dual_fmac_f32 v53, v2, v65
	v_dual_fmac_f32 v78, v4, v75 :: v_dual_fmac_f32 v51, v2, v73
	s_delay_alu instid0(VALU_DEP_2) | instskip(NEXT) | instid1(VALU_DEP_3)
	v_dual_fmac_f32 v82, v3, v80 :: v_dual_add_f32 v21, v21, v54
	v_dual_fmac_f32 v53, v3, v64 :: v_dual_fmac_f32 v52, v4, v93
	s_delay_alu instid0(VALU_DEP_3) | instskip(SKIP_1) | instid1(VALU_DEP_3)
	v_add_f32_e32 v23, v23, v78
	v_mul_f32_e32 v54, v1, v62
	v_dual_fmac_f32 v50, v2, v49 :: v_dual_fmac_f32 v53, v4, v63
	s_delay_alu instid0(VALU_DEP_4) | instskip(SKIP_1) | instid1(VALU_DEP_3)
	v_dual_add_f32 v19, v19, v52 :: v_dual_mul_f32 v52, v1, v70
	v_dual_mul_f32 v1, v1, v91 :: v_dual_fmac_f32 v58, v3, v56
	v_fmac_f32_e32 v50, v3, v48
	v_fmac_f32_e32 v46, v2, v45
	v_fmac_f32_e32 v42, v2, v41
	s_delay_alu instid0(VALU_DEP_4) | instskip(NEXT) | instid1(VALU_DEP_4)
	v_dual_fmac_f32 v1, v2, v90 :: v_dual_fmac_f32 v58, v4, v55
	v_fmac_f32_e32 v50, v4, v47
	v_fmac_f32_e32 v38, v2, v37
	v_dual_fmac_f32 v82, v4, v79 :: v_dual_fmac_f32 v51, v3, v72
	s_delay_alu instid0(VALU_DEP_4) | instskip(NEXT) | instid1(VALU_DEP_4)
	v_fmac_f32_e32 v1, v3, v10
	v_dual_add_f32 v29, v29, v50 :: v_dual_fmac_f32 v46, v3, v44
	v_fmac_f32_e32 v42, v3, v40
	s_delay_alu instid0(VALU_DEP_3) | instskip(SKIP_4) | instid1(VALU_DEP_4)
	v_dual_fmac_f32 v38, v3, v36 :: v_dual_fmac_f32 v1, v4, v9
	v_fmac_f32_e32 v54, v2, v61
	v_dual_add_f32 v22, v22, v82 :: v_dual_fmac_f32 v51, v4, v71
	v_fmac_f32_e32 v46, v4, v43
	v_fmac_f32_e32 v42, v4, v39
	;; [unrolled: 1-line block ×3, first 2 shown]
	v_dual_fmac_f32 v38, v4, v35 :: v_dual_add_f32 v17, v17, v1
	v_add_f32_e32 v24, v24, v51
	v_add_f32_e32 v26, v26, v53
	s_delay_alu instid0(VALU_DEP_4)
	v_fmac_f32_e32 v54, v4, v59
	v_fmac_f32_e32 v52, v2, v69
	v_add_f32_e32 v28, v28, v58
	v_add_f32_e32 v30, v30, v46
	;; [unrolled: 1-line block ×4, first 2 shown]
	v_fmac_f32_e32 v52, v3, v68
	s_delay_alu instid0(VALU_DEP_1) | instskip(NEXT) | instid1(VALU_DEP_1)
	v_dual_add_f32 v31, v31, v38 :: v_dual_fmac_f32 v52, v4, v67
	v_add_f32_e32 v25, v25, v52
.LBB197_42:                             ;   in Loop: Header=BB197_43 Depth=1
	s_wait_alu 0xfffe
	s_or_b32 exec_lo, exec_lo, s7
	v_add_nc_u32_e32 v13, 4, v13
	v_add_co_u32 v5, s0, v5, 16
	s_wait_alu 0xf1ff
	v_add_co_ci_u32_e64 v6, null, 0, v6, s0
	s_delay_alu instid0(VALU_DEP_3)
	v_cmp_le_i32_e32 vcc_lo, s12, v13
	v_add_nc_u32_e32 v12, 32, v12
	v_add_nc_u32_e32 v34, 0x80, v34
	s_or_b32 s5, vcc_lo, s5
	s_wait_alu 0xfffe
	s_and_not1_b32 exec_lo, exec_lo, s5
	s_cbranch_execz .LBB197_76
.LBB197_43:                             ; =>This Inner Loop Header: Depth=1
	v_sub_nc_u32_e32 v1, 0, v12
	s_delay_alu instid0(VALU_DEP_1) | instskip(NEXT) | instid1(VALU_DEP_1)
	v_max_i32_e32 v1, v12, v1
	v_mul_hi_u32 v2, v1, s22
	s_delay_alu instid0(VALU_DEP_1) | instskip(NEXT) | instid1(VALU_DEP_1)
	v_mul_lo_u32 v3, v2, s16
	v_sub_nc_u32_e32 v1, v1, v3
	v_add_nc_u32_e32 v3, 1, v2
	s_delay_alu instid0(VALU_DEP_2) | instskip(SKIP_2) | instid1(VALU_DEP_2)
	v_subrev_nc_u32_e32 v4, s16, v1
	v_cmp_le_u32_e32 vcc_lo, s16, v1
	s_wait_alu 0xfffd
	v_dual_cndmask_b32 v2, v2, v3 :: v_dual_cndmask_b32 v1, v1, v4
	v_ashrrev_i32_e32 v3, 31, v12
	s_delay_alu instid0(VALU_DEP_2) | instskip(NEXT) | instid1(VALU_DEP_3)
	v_add_nc_u32_e32 v4, 1, v2
	v_cmp_le_u32_e32 vcc_lo, s16, v1
	s_delay_alu instid0(VALU_DEP_3) | instskip(SKIP_1) | instid1(VALU_DEP_3)
	v_xor_b32_e32 v3, s15, v3
	s_wait_alu 0xfffd
	v_cndmask_b32_e32 v1, v2, v4, vcc_lo
	s_delay_alu instid0(VALU_DEP_1) | instskip(NEXT) | instid1(VALU_DEP_1)
	v_xor_b32_e32 v1, v1, v3
	v_sub_nc_u32_e32 v1, v1, v3
	s_delay_alu instid0(VALU_DEP_1) | instskip(SKIP_1) | instid1(VALU_DEP_2)
	v_add_nc_u32_e32 v2, s21, v1
	v_cmp_lt_i32_e64 s0, s3, v1
	v_sub_nc_u32_e32 v3, 0, v2
	s_delay_alu instid0(VALU_DEP_1) | instskip(SKIP_1) | instid1(VALU_DEP_1)
	v_max_i32_e32 v3, v2, v3
	s_wait_alu 0xfffe
	v_mul_hi_u32 v4, v3, s6
	s_delay_alu instid0(VALU_DEP_1) | instskip(NEXT) | instid1(VALU_DEP_1)
	v_mul_lo_u32 v4, v4, s2
	v_sub_nc_u32_e32 v3, v3, v4
	s_delay_alu instid0(VALU_DEP_1) | instskip(SKIP_2) | instid1(VALU_DEP_2)
	v_subrev_nc_u32_e32 v4, s2, v3
	v_cmp_le_u32_e32 vcc_lo, s2, v3
	s_wait_alu 0xfffd
	v_cndmask_b32_e32 v3, v3, v4, vcc_lo
	v_ashrrev_i32_e32 v2, 31, v2
	s_delay_alu instid0(VALU_DEP_2) | instskip(SKIP_2) | instid1(VALU_DEP_2)
	v_subrev_nc_u32_e32 v4, s2, v3
	v_cmp_le_u32_e32 vcc_lo, s2, v3
	s_wait_alu 0xfffd
	v_cndmask_b32_e32 v3, v3, v4, vcc_lo
	s_delay_alu instid0(VALU_DEP_1) | instskip(NEXT) | instid1(VALU_DEP_1)
	v_xor_b32_e32 v3, v3, v2
	v_sub_nc_u32_e32 v2, v3, v2
	s_delay_alu instid0(VALU_DEP_1)
	v_cmp_eq_u32_e32 vcc_lo, 0, v2
	s_or_b32 s0, vcc_lo, s0
	s_wait_alu 0xfffe
	s_and_saveexec_b32 s7, s0
	s_cbranch_execz .LBB197_42
; %bb.44:                               ;   in Loop: Header=BB197_43 Depth=1
	global_load_b32 v1, v[5:6], off
	s_load_b32 s13, s[10:11], 0x0
	v_cmp_eq_u32_e32 vcc_lo, s23, v13
	s_wait_loadcnt 0x0
	v_mad_co_i64_i32 v[9:10], null, v1, s4, v[7:8]
	ds_load_b128 v[1:4], v34
	global_load_b32 v35, v[9:10], off
	s_wait_loadcnt 0x0
	v_lshrrev_b32_e32 v37, 16, v35
	s_delay_alu instid0(VALU_DEP_1) | instskip(SKIP_1) | instid1(VALU_DEP_1)
	v_cvt_pk_f32_fp8_e32 v[39:40], v37
	v_and_b32_e32 v36, 0xffff, v35
	v_cvt_pk_f32_fp8_e32 v[35:36], v36
	s_wait_kmcnt 0x0
	s_delay_alu instid0(VALU_DEP_1) | instskip(NEXT) | instid1(VALU_DEP_1)
	v_dual_mul_f32 v38, s13, v35 :: v_dual_add_nc_u32 v51, v33, v12
	v_add_nc_u32_e32 v53, 1, v51
	s_delay_alu instid0(VALU_DEP_3)
	v_dual_mul_f32 v37, s13, v36 :: v_dual_add_nc_u32 v52, 2, v51
	v_dual_mul_f32 v36, s13, v39 :: v_dual_mul_f32 v35, s13, v40
	v_add_nc_u32_e32 v54, 3, v51
	s_and_saveexec_b32 s14, vcc_lo
	s_cbranch_execz .LBB197_46
; %bb.45:                               ;   in Loop: Header=BB197_43 Depth=1
	v_cmp_gt_i32_e64 s0, s35, v51
	s_wait_alu 0xf1ff
	s_delay_alu instid0(VALU_DEP_1) | instskip(SKIP_2) | instid1(VALU_DEP_1)
	v_cndmask_b32_e64 v38, 0, v38, s0
	v_cmp_gt_i32_e64 s0, s35, v53
	s_wait_alu 0xf1ff
	v_cndmask_b32_e64 v37, 0, v37, s0
	v_cmp_gt_i32_e64 s0, s35, v52
	s_wait_alu 0xf1ff
	s_delay_alu instid0(VALU_DEP_1) | instskip(SKIP_2) | instid1(VALU_DEP_1)
	v_cndmask_b32_e64 v36, 0, v36, s0
	v_cmp_gt_i32_e64 s0, s35, v54
	s_wait_alu 0xf1ff
	v_cndmask_b32_e64 v35, 0, v35, s0
.LBB197_46:                             ;   in Loop: Header=BB197_43 Depth=1
	s_wait_alu 0xfffe
	s_or_b32 exec_lo, exec_lo, s14
	global_load_b32 v39, v[9:10], off offset:128
	s_mov_b32 s14, s13
	s_wait_loadcnt 0x0
	v_lshrrev_b32_e32 v41, 16, v39
	s_delay_alu instid0(VALU_DEP_1) | instskip(SKIP_1) | instid1(VALU_DEP_1)
	v_cvt_pk_f32_fp8_e32 v[43:44], v41
	v_and_b32_e32 v40, 0xffff, v39
	v_cvt_pk_f32_fp8_e32 v[39:40], v40
	s_wait_alu 0xfffe
	s_delay_alu instid0(VALU_DEP_1)
	v_dual_mul_f32 v42, s13, v39 :: v_dual_mul_f32 v41, s14, v40
	v_dual_mul_f32 v40, s13, v43 :: v_dual_mul_f32 v39, s14, v44
	s_and_saveexec_b32 s17, vcc_lo
	s_cbranch_execz .LBB197_48
; %bb.47:                               ;   in Loop: Header=BB197_43 Depth=1
	v_cmp_gt_i32_e64 s0, s35, v51
	s_wait_alu 0xf1ff
	s_delay_alu instid0(VALU_DEP_1) | instskip(SKIP_2) | instid1(VALU_DEP_1)
	v_cndmask_b32_e64 v42, 0, v42, s0
	v_cmp_gt_i32_e64 s0, s35, v53
	s_wait_alu 0xf1ff
	v_cndmask_b32_e64 v41, 0, v41, s0
	v_cmp_gt_i32_e64 s0, s35, v52
	s_wait_alu 0xf1ff
	s_delay_alu instid0(VALU_DEP_1) | instskip(SKIP_2) | instid1(VALU_DEP_1)
	v_cndmask_b32_e64 v40, 0, v40, s0
	v_cmp_gt_i32_e64 s0, s35, v54
	s_wait_alu 0xf1ff
	v_cndmask_b32_e64 v39, 0, v39, s0
.LBB197_48:                             ;   in Loop: Header=BB197_43 Depth=1
	s_wait_alu 0xfffe
	s_or_b32 exec_lo, exec_lo, s17
	global_load_b32 v43, v[9:10], off offset:256
	s_wait_loadcnt 0x0
	v_lshrrev_b32_e32 v45, 16, v43
	s_delay_alu instid0(VALU_DEP_1) | instskip(SKIP_1) | instid1(VALU_DEP_1)
	v_cvt_pk_f32_fp8_e32 v[47:48], v45
	v_and_b32_e32 v44, 0xffff, v43
	v_cvt_pk_f32_fp8_e32 v[43:44], v44
	s_delay_alu instid0(VALU_DEP_1) | instskip(NEXT) | instid1(VALU_DEP_4)
	v_dual_mul_f32 v46, s13, v43 :: v_dual_mul_f32 v45, s14, v44
	v_dual_mul_f32 v44, s13, v47 :: v_dual_mul_f32 v43, s14, v48
	s_and_saveexec_b32 s17, vcc_lo
	s_cbranch_execz .LBB197_50
; %bb.49:                               ;   in Loop: Header=BB197_43 Depth=1
	v_cmp_gt_i32_e64 s0, s35, v51
	s_wait_alu 0xf1ff
	s_delay_alu instid0(VALU_DEP_1) | instskip(SKIP_2) | instid1(VALU_DEP_1)
	v_cndmask_b32_e64 v46, 0, v46, s0
	v_cmp_gt_i32_e64 s0, s35, v53
	s_wait_alu 0xf1ff
	v_cndmask_b32_e64 v45, 0, v45, s0
	v_cmp_gt_i32_e64 s0, s35, v52
	s_wait_alu 0xf1ff
	s_delay_alu instid0(VALU_DEP_1) | instskip(SKIP_2) | instid1(VALU_DEP_1)
	v_cndmask_b32_e64 v44, 0, v44, s0
	v_cmp_gt_i32_e64 s0, s35, v54
	s_wait_alu 0xf1ff
	v_cndmask_b32_e64 v43, 0, v43, s0
.LBB197_50:                             ;   in Loop: Header=BB197_43 Depth=1
	s_wait_alu 0xfffe
	s_or_b32 exec_lo, exec_lo, s17
	global_load_b32 v47, v[9:10], off offset:384
	s_wait_loadcnt 0x0
	v_lshrrev_b32_e32 v49, 16, v47
	s_delay_alu instid0(VALU_DEP_1) | instskip(SKIP_1) | instid1(VALU_DEP_1)
	v_cvt_pk_f32_fp8_e32 v[55:56], v49
	v_and_b32_e32 v48, 0xffff, v47
	v_cvt_pk_f32_fp8_e32 v[47:48], v48
	s_delay_alu instid0(VALU_DEP_1) | instskip(NEXT) | instid1(VALU_DEP_4)
	v_dual_mul_f32 v50, s13, v47 :: v_dual_mul_f32 v49, s14, v48
	v_dual_mul_f32 v48, s13, v55 :: v_dual_mul_f32 v47, s14, v56
	s_and_saveexec_b32 s17, vcc_lo
	s_cbranch_execz .LBB197_52
; %bb.51:                               ;   in Loop: Header=BB197_43 Depth=1
	v_cmp_gt_i32_e64 s0, s35, v51
	s_wait_alu 0xf1ff
	s_delay_alu instid0(VALU_DEP_1) | instskip(SKIP_2) | instid1(VALU_DEP_1)
	v_cndmask_b32_e64 v50, 0, v50, s0
	v_cmp_gt_i32_e64 s0, s35, v53
	s_wait_alu 0xf1ff
	v_cndmask_b32_e64 v49, 0, v49, s0
	v_cmp_gt_i32_e64 s0, s35, v52
	s_wait_alu 0xf1ff
	s_delay_alu instid0(VALU_DEP_1) | instskip(SKIP_2) | instid1(VALU_DEP_1)
	v_cndmask_b32_e64 v48, 0, v48, s0
	v_cmp_gt_i32_e64 s0, s35, v54
	s_wait_alu 0xf1ff
	v_cndmask_b32_e64 v47, 0, v47, s0
.LBB197_52:                             ;   in Loop: Header=BB197_43 Depth=1
	s_wait_alu 0xfffe
	s_or_b32 exec_lo, exec_lo, s17
	global_load_b32 v55, v[9:10], off offset:512
	s_wait_loadcnt 0x0
	v_lshrrev_b32_e32 v57, 16, v55
	s_delay_alu instid0(VALU_DEP_1) | instskip(SKIP_1) | instid1(VALU_DEP_1)
	v_cvt_pk_f32_fp8_e32 v[59:60], v57
	v_and_b32_e32 v56, 0xffff, v55
	v_cvt_pk_f32_fp8_e32 v[55:56], v56
	s_delay_alu instid0(VALU_DEP_1) | instskip(NEXT) | instid1(VALU_DEP_4)
	v_dual_mul_f32 v58, s13, v55 :: v_dual_mul_f32 v57, s14, v56
	v_dual_mul_f32 v56, s13, v59 :: v_dual_mul_f32 v55, s14, v60
	s_and_saveexec_b32 s17, vcc_lo
	s_cbranch_execz .LBB197_54
; %bb.53:                               ;   in Loop: Header=BB197_43 Depth=1
	v_cmp_gt_i32_e64 s0, s35, v51
	s_wait_alu 0xf1ff
	s_delay_alu instid0(VALU_DEP_1) | instskip(SKIP_2) | instid1(VALU_DEP_1)
	v_cndmask_b32_e64 v58, 0, v58, s0
	v_cmp_gt_i32_e64 s0, s35, v53
	s_wait_alu 0xf1ff
	v_cndmask_b32_e64 v57, 0, v57, s0
	v_cmp_gt_i32_e64 s0, s35, v52
	s_wait_alu 0xf1ff
	s_delay_alu instid0(VALU_DEP_1) | instskip(SKIP_2) | instid1(VALU_DEP_1)
	v_cndmask_b32_e64 v56, 0, v56, s0
	v_cmp_gt_i32_e64 s0, s35, v54
	s_wait_alu 0xf1ff
	v_cndmask_b32_e64 v55, 0, v55, s0
.LBB197_54:                             ;   in Loop: Header=BB197_43 Depth=1
	s_wait_alu 0xfffe
	s_or_b32 exec_lo, exec_lo, s17
	global_load_b32 v59, v[9:10], off offset:640
	s_wait_loadcnt 0x0
	v_lshrrev_b32_e32 v61, 16, v59
	s_delay_alu instid0(VALU_DEP_1) | instskip(SKIP_1) | instid1(VALU_DEP_1)
	v_cvt_pk_f32_fp8_e32 v[63:64], v61
	v_and_b32_e32 v60, 0xffff, v59
	v_cvt_pk_f32_fp8_e32 v[59:60], v60
	s_delay_alu instid0(VALU_DEP_1) | instskip(NEXT) | instid1(VALU_DEP_4)
	v_dual_mul_f32 v62, s13, v59 :: v_dual_mul_f32 v61, s14, v60
	v_dual_mul_f32 v60, s13, v63 :: v_dual_mul_f32 v59, s14, v64
	s_and_saveexec_b32 s17, vcc_lo
	s_cbranch_execz .LBB197_56
; %bb.55:                               ;   in Loop: Header=BB197_43 Depth=1
	v_cmp_gt_i32_e64 s0, s35, v51
	s_wait_alu 0xf1ff
	s_delay_alu instid0(VALU_DEP_1) | instskip(SKIP_2) | instid1(VALU_DEP_1)
	v_cndmask_b32_e64 v62, 0, v62, s0
	v_cmp_gt_i32_e64 s0, s35, v53
	s_wait_alu 0xf1ff
	v_cndmask_b32_e64 v61, 0, v61, s0
	v_cmp_gt_i32_e64 s0, s35, v52
	s_wait_alu 0xf1ff
	s_delay_alu instid0(VALU_DEP_1) | instskip(SKIP_2) | instid1(VALU_DEP_1)
	v_cndmask_b32_e64 v60, 0, v60, s0
	v_cmp_gt_i32_e64 s0, s35, v54
	s_wait_alu 0xf1ff
	v_cndmask_b32_e64 v59, 0, v59, s0
.LBB197_56:                             ;   in Loop: Header=BB197_43 Depth=1
	s_wait_alu 0xfffe
	s_or_b32 exec_lo, exec_lo, s17
	global_load_b32 v63, v[9:10], off offset:768
	s_wait_loadcnt 0x0
	v_lshrrev_b32_e32 v65, 16, v63
	s_delay_alu instid0(VALU_DEP_1) | instskip(SKIP_1) | instid1(VALU_DEP_1)
	v_cvt_pk_f32_fp8_e32 v[67:68], v65
	v_and_b32_e32 v64, 0xffff, v63
	v_cvt_pk_f32_fp8_e32 v[63:64], v64
	s_delay_alu instid0(VALU_DEP_1) | instskip(NEXT) | instid1(VALU_DEP_4)
	v_dual_mul_f32 v66, s13, v63 :: v_dual_mul_f32 v65, s14, v64
	v_dual_mul_f32 v64, s13, v67 :: v_dual_mul_f32 v63, s14, v68
	s_and_saveexec_b32 s17, vcc_lo
	s_cbranch_execz .LBB197_58
; %bb.57:                               ;   in Loop: Header=BB197_43 Depth=1
	v_cmp_gt_i32_e64 s0, s35, v51
	s_wait_alu 0xf1ff
	s_delay_alu instid0(VALU_DEP_1) | instskip(SKIP_2) | instid1(VALU_DEP_1)
	v_cndmask_b32_e64 v66, 0, v66, s0
	v_cmp_gt_i32_e64 s0, s35, v53
	s_wait_alu 0xf1ff
	v_cndmask_b32_e64 v65, 0, v65, s0
	v_cmp_gt_i32_e64 s0, s35, v52
	s_wait_alu 0xf1ff
	s_delay_alu instid0(VALU_DEP_1) | instskip(SKIP_2) | instid1(VALU_DEP_1)
	v_cndmask_b32_e64 v64, 0, v64, s0
	v_cmp_gt_i32_e64 s0, s35, v54
	s_wait_alu 0xf1ff
	v_cndmask_b32_e64 v63, 0, v63, s0
.LBB197_58:                             ;   in Loop: Header=BB197_43 Depth=1
	s_wait_alu 0xfffe
	s_or_b32 exec_lo, exec_lo, s17
	global_load_b32 v67, v[9:10], off offset:896
	s_wait_loadcnt 0x0
	v_lshrrev_b32_e32 v69, 16, v67
	s_delay_alu instid0(VALU_DEP_1) | instskip(SKIP_1) | instid1(VALU_DEP_1)
	v_cvt_pk_f32_fp8_e32 v[71:72], v69
	v_and_b32_e32 v68, 0xffff, v67
	v_cvt_pk_f32_fp8_e32 v[67:68], v68
	s_delay_alu instid0(VALU_DEP_1) | instskip(NEXT) | instid1(VALU_DEP_4)
	v_dual_mul_f32 v70, s13, v67 :: v_dual_mul_f32 v69, s14, v68
	v_dual_mul_f32 v68, s13, v71 :: v_dual_mul_f32 v67, s14, v72
	s_and_saveexec_b32 s17, vcc_lo
	s_cbranch_execz .LBB197_60
; %bb.59:                               ;   in Loop: Header=BB197_43 Depth=1
	v_cmp_gt_i32_e64 s0, s35, v51
	s_wait_alu 0xf1ff
	s_delay_alu instid0(VALU_DEP_1) | instskip(SKIP_2) | instid1(VALU_DEP_1)
	v_cndmask_b32_e64 v70, 0, v70, s0
	v_cmp_gt_i32_e64 s0, s35, v53
	s_wait_alu 0xf1ff
	v_cndmask_b32_e64 v69, 0, v69, s0
	v_cmp_gt_i32_e64 s0, s35, v52
	s_wait_alu 0xf1ff
	s_delay_alu instid0(VALU_DEP_1) | instskip(SKIP_2) | instid1(VALU_DEP_1)
	v_cndmask_b32_e64 v68, 0, v68, s0
	v_cmp_gt_i32_e64 s0, s35, v54
	s_wait_alu 0xf1ff
	v_cndmask_b32_e64 v67, 0, v67, s0
.LBB197_60:                             ;   in Loop: Header=BB197_43 Depth=1
	s_wait_alu 0xfffe
	s_or_b32 exec_lo, exec_lo, s17
	global_load_b32 v71, v[9:10], off offset:1024
	s_wait_loadcnt 0x0
	v_lshrrev_b32_e32 v73, 16, v71
	s_delay_alu instid0(VALU_DEP_1) | instskip(SKIP_1) | instid1(VALU_DEP_1)
	v_cvt_pk_f32_fp8_e32 v[75:76], v73
	v_and_b32_e32 v72, 0xffff, v71
	v_cvt_pk_f32_fp8_e32 v[71:72], v72
	s_delay_alu instid0(VALU_DEP_1) | instskip(NEXT) | instid1(VALU_DEP_4)
	v_dual_mul_f32 v74, s13, v71 :: v_dual_mul_f32 v73, s14, v72
	v_dual_mul_f32 v72, s13, v75 :: v_dual_mul_f32 v71, s14, v76
	s_and_saveexec_b32 s17, vcc_lo
	s_cbranch_execz .LBB197_62
; %bb.61:                               ;   in Loop: Header=BB197_43 Depth=1
	v_cmp_gt_i32_e64 s0, s35, v51
	s_wait_alu 0xf1ff
	s_delay_alu instid0(VALU_DEP_1) | instskip(SKIP_2) | instid1(VALU_DEP_1)
	v_cndmask_b32_e64 v74, 0, v74, s0
	v_cmp_gt_i32_e64 s0, s35, v53
	s_wait_alu 0xf1ff
	v_cndmask_b32_e64 v73, 0, v73, s0
	v_cmp_gt_i32_e64 s0, s35, v52
	s_wait_alu 0xf1ff
	s_delay_alu instid0(VALU_DEP_1) | instskip(SKIP_2) | instid1(VALU_DEP_1)
	v_cndmask_b32_e64 v72, 0, v72, s0
	v_cmp_gt_i32_e64 s0, s35, v54
	s_wait_alu 0xf1ff
	v_cndmask_b32_e64 v71, 0, v71, s0
.LBB197_62:                             ;   in Loop: Header=BB197_43 Depth=1
	s_wait_alu 0xfffe
	s_or_b32 exec_lo, exec_lo, s17
	global_load_b32 v75, v[9:10], off offset:1152
	s_wait_loadcnt 0x0
	v_lshrrev_b32_e32 v77, 16, v75
	s_delay_alu instid0(VALU_DEP_1) | instskip(SKIP_1) | instid1(VALU_DEP_1)
	v_cvt_pk_f32_fp8_e32 v[79:80], v77
	v_and_b32_e32 v76, 0xffff, v75
	v_cvt_pk_f32_fp8_e32 v[75:76], v76
	s_delay_alu instid0(VALU_DEP_1) | instskip(NEXT) | instid1(VALU_DEP_4)
	v_dual_mul_f32 v78, s13, v75 :: v_dual_mul_f32 v77, s14, v76
	v_dual_mul_f32 v76, s13, v79 :: v_dual_mul_f32 v75, s14, v80
	s_and_saveexec_b32 s17, vcc_lo
	s_cbranch_execz .LBB197_64
; %bb.63:                               ;   in Loop: Header=BB197_43 Depth=1
	v_cmp_gt_i32_e64 s0, s35, v51
	s_wait_alu 0xf1ff
	s_delay_alu instid0(VALU_DEP_1) | instskip(SKIP_2) | instid1(VALU_DEP_1)
	v_cndmask_b32_e64 v78, 0, v78, s0
	v_cmp_gt_i32_e64 s0, s35, v53
	s_wait_alu 0xf1ff
	v_cndmask_b32_e64 v77, 0, v77, s0
	v_cmp_gt_i32_e64 s0, s35, v52
	s_wait_alu 0xf1ff
	s_delay_alu instid0(VALU_DEP_1) | instskip(SKIP_2) | instid1(VALU_DEP_1)
	v_cndmask_b32_e64 v76, 0, v76, s0
	v_cmp_gt_i32_e64 s0, s35, v54
	s_wait_alu 0xf1ff
	v_cndmask_b32_e64 v75, 0, v75, s0
.LBB197_64:                             ;   in Loop: Header=BB197_43 Depth=1
	s_wait_alu 0xfffe
	s_or_b32 exec_lo, exec_lo, s17
	global_load_b32 v79, v[9:10], off offset:1280
	s_wait_loadcnt 0x0
	v_lshrrev_b32_e32 v81, 16, v79
	s_delay_alu instid0(VALU_DEP_1) | instskip(SKIP_1) | instid1(VALU_DEP_1)
	v_cvt_pk_f32_fp8_e32 v[83:84], v81
	v_and_b32_e32 v80, 0xffff, v79
	v_cvt_pk_f32_fp8_e32 v[79:80], v80
	s_delay_alu instid0(VALU_DEP_1) | instskip(NEXT) | instid1(VALU_DEP_4)
	v_dual_mul_f32 v82, s13, v79 :: v_dual_mul_f32 v81, s14, v80
	v_dual_mul_f32 v80, s13, v83 :: v_dual_mul_f32 v79, s14, v84
	s_and_saveexec_b32 s17, vcc_lo
	s_cbranch_execz .LBB197_66
; %bb.65:                               ;   in Loop: Header=BB197_43 Depth=1
	v_cmp_gt_i32_e64 s0, s35, v51
	s_wait_alu 0xf1ff
	s_delay_alu instid0(VALU_DEP_1) | instskip(SKIP_2) | instid1(VALU_DEP_1)
	v_cndmask_b32_e64 v82, 0, v82, s0
	v_cmp_gt_i32_e64 s0, s35, v53
	s_wait_alu 0xf1ff
	v_cndmask_b32_e64 v81, 0, v81, s0
	v_cmp_gt_i32_e64 s0, s35, v52
	s_wait_alu 0xf1ff
	s_delay_alu instid0(VALU_DEP_1) | instskip(SKIP_2) | instid1(VALU_DEP_1)
	v_cndmask_b32_e64 v80, 0, v80, s0
	v_cmp_gt_i32_e64 s0, s35, v54
	s_wait_alu 0xf1ff
	v_cndmask_b32_e64 v79, 0, v79, s0
.LBB197_66:                             ;   in Loop: Header=BB197_43 Depth=1
	s_wait_alu 0xfffe
	s_or_b32 exec_lo, exec_lo, s17
	global_load_b32 v83, v[9:10], off offset:1408
	s_wait_loadcnt 0x0
	v_lshrrev_b32_e32 v85, 16, v83
	s_delay_alu instid0(VALU_DEP_1) | instskip(SKIP_1) | instid1(VALU_DEP_1)
	v_cvt_pk_f32_fp8_e32 v[87:88], v85
	v_and_b32_e32 v84, 0xffff, v83
	v_cvt_pk_f32_fp8_e32 v[83:84], v84
	s_delay_alu instid0(VALU_DEP_1) | instskip(NEXT) | instid1(VALU_DEP_4)
	v_dual_mul_f32 v86, s13, v83 :: v_dual_mul_f32 v85, s14, v84
	v_dual_mul_f32 v84, s13, v87 :: v_dual_mul_f32 v83, s14, v88
	s_and_saveexec_b32 s17, vcc_lo
	s_cbranch_execz .LBB197_68
; %bb.67:                               ;   in Loop: Header=BB197_43 Depth=1
	v_cmp_gt_i32_e64 s0, s35, v51
	s_wait_alu 0xf1ff
	s_delay_alu instid0(VALU_DEP_1) | instskip(SKIP_2) | instid1(VALU_DEP_1)
	v_cndmask_b32_e64 v86, 0, v86, s0
	v_cmp_gt_i32_e64 s0, s35, v53
	s_wait_alu 0xf1ff
	v_cndmask_b32_e64 v85, 0, v85, s0
	v_cmp_gt_i32_e64 s0, s35, v52
	s_wait_alu 0xf1ff
	s_delay_alu instid0(VALU_DEP_1) | instskip(SKIP_2) | instid1(VALU_DEP_1)
	v_cndmask_b32_e64 v84, 0, v84, s0
	v_cmp_gt_i32_e64 s0, s35, v54
	s_wait_alu 0xf1ff
	v_cndmask_b32_e64 v83, 0, v83, s0
.LBB197_68:                             ;   in Loop: Header=BB197_43 Depth=1
	s_wait_alu 0xfffe
	s_or_b32 exec_lo, exec_lo, s17
	global_load_b32 v87, v[9:10], off offset:1536
	s_wait_loadcnt 0x0
	v_and_b32_e32 v88, 0xffff, v87
	v_lshrrev_b32_e32 v89, 16, v87
	s_delay_alu instid0(VALU_DEP_2) | instskip(NEXT) | instid1(VALU_DEP_2)
	v_cvt_pk_f32_fp8_e32 v[87:88], v88
	v_cvt_pk_f32_fp8_e32 v[90:91], v89
	s_delay_alu instid0(VALU_DEP_2) | instskip(NEXT) | instid1(VALU_DEP_2)
	v_dual_mul_f32 v92, s13, v87 :: v_dual_mul_f32 v89, s14, v88
	v_dual_mul_f32 v88, s13, v90 :: v_dual_mul_f32 v87, s14, v91
	s_and_saveexec_b32 s17, vcc_lo
	s_cbranch_execz .LBB197_70
; %bb.69:                               ;   in Loop: Header=BB197_43 Depth=1
	v_cmp_gt_i32_e64 s0, s35, v51
	s_wait_alu 0xf1ff
	s_delay_alu instid0(VALU_DEP_1) | instskip(SKIP_2) | instid1(VALU_DEP_1)
	v_cndmask_b32_e64 v92, 0, v92, s0
	v_cmp_gt_i32_e64 s0, s35, v53
	s_wait_alu 0xf1ff
	v_cndmask_b32_e64 v89, 0, v89, s0
	v_cmp_gt_i32_e64 s0, s35, v52
	s_wait_alu 0xf1ff
	s_delay_alu instid0(VALU_DEP_1) | instskip(SKIP_2) | instid1(VALU_DEP_1)
	v_cndmask_b32_e64 v88, 0, v88, s0
	v_cmp_gt_i32_e64 s0, s35, v54
	s_wait_alu 0xf1ff
	v_cndmask_b32_e64 v87, 0, v87, s0
.LBB197_70:                             ;   in Loop: Header=BB197_43 Depth=1
	s_wait_alu 0xfffe
	s_or_b32 exec_lo, exec_lo, s17
	global_load_b32 v90, v[9:10], off offset:1664
	s_wait_loadcnt 0x0
	v_lshrrev_b32_e32 v93, 16, v90
	s_delay_alu instid0(VALU_DEP_1) | instskip(NEXT) | instid1(VALU_DEP_1)
	v_cvt_pk_f32_fp8_e32 v[97:98], v93
	v_dual_mul_f32 v94, s13, v97 :: v_dual_and_b32 v91, 0xffff, v90
	s_delay_alu instid0(VALU_DEP_1) | instskip(NEXT) | instid1(VALU_DEP_3)
	v_cvt_pk_f32_fp8_e32 v[90:91], v91
	v_mul_f32_e32 v93, s14, v98
	s_delay_alu instid0(VALU_DEP_2)
	v_dual_mul_f32 v96, s13, v90 :: v_dual_mul_f32 v95, s14, v91
	s_and_saveexec_b32 s17, vcc_lo
	s_cbranch_execz .LBB197_72
; %bb.71:                               ;   in Loop: Header=BB197_43 Depth=1
	v_cmp_gt_i32_e64 s0, s35, v51
	s_wait_alu 0xf1ff
	s_delay_alu instid0(VALU_DEP_1) | instskip(SKIP_2) | instid1(VALU_DEP_1)
	v_cndmask_b32_e64 v96, 0, v96, s0
	v_cmp_gt_i32_e64 s0, s35, v53
	s_wait_alu 0xf1ff
	v_cndmask_b32_e64 v95, 0, v95, s0
	v_cmp_gt_i32_e64 s0, s35, v52
	s_wait_alu 0xf1ff
	s_delay_alu instid0(VALU_DEP_1) | instskip(SKIP_2) | instid1(VALU_DEP_1)
	v_cndmask_b32_e64 v94, 0, v94, s0
	v_cmp_gt_i32_e64 s0, s35, v54
	s_wait_alu 0xf1ff
	v_cndmask_b32_e64 v93, 0, v93, s0
.LBB197_72:                             ;   in Loop: Header=BB197_43 Depth=1
	s_wait_alu 0xfffe
	s_or_b32 exec_lo, exec_lo, s17
	global_load_b32 v90, v[9:10], off offset:1792
	s_wait_loadcnt 0x0
	v_lshrrev_b32_e32 v97, 16, v90
	s_delay_alu instid0(VALU_DEP_1) | instskip(NEXT) | instid1(VALU_DEP_1)
	v_cvt_pk_f32_fp8_e32 v[101:102], v97
	v_dual_mul_f32 v98, s13, v101 :: v_dual_and_b32 v91, 0xffff, v90
	s_delay_alu instid0(VALU_DEP_1) | instskip(NEXT) | instid1(VALU_DEP_3)
	v_cvt_pk_f32_fp8_e32 v[90:91], v91
	v_mul_f32_e32 v97, s14, v102
	s_delay_alu instid0(VALU_DEP_2)
	v_dual_mul_f32 v100, s13, v90 :: v_dual_mul_f32 v99, s14, v91
	s_and_saveexec_b32 s17, vcc_lo
	s_cbranch_execz .LBB197_74
; %bb.73:                               ;   in Loop: Header=BB197_43 Depth=1
	v_cmp_gt_i32_e64 s0, s35, v51
	s_wait_alu 0xf1ff
	s_delay_alu instid0(VALU_DEP_1) | instskip(SKIP_2) | instid1(VALU_DEP_1)
	v_cndmask_b32_e64 v100, 0, v100, s0
	v_cmp_gt_i32_e64 s0, s35, v53
	s_wait_alu 0xf1ff
	v_cndmask_b32_e64 v99, 0, v99, s0
	v_cmp_gt_i32_e64 s0, s35, v52
	s_wait_alu 0xf1ff
	s_delay_alu instid0(VALU_DEP_1) | instskip(SKIP_2) | instid1(VALU_DEP_1)
	v_cndmask_b32_e64 v98, 0, v98, s0
	v_cmp_gt_i32_e64 s0, s35, v54
	s_wait_alu 0xf1ff
	v_cndmask_b32_e64 v97, 0, v97, s0
.LBB197_74:                             ;   in Loop: Header=BB197_43 Depth=1
	s_wait_alu 0xfffe
	s_or_b32 exec_lo, exec_lo, s17
	global_load_b32 v9, v[9:10], off offset:1920
	s_wait_loadcnt 0x0
	v_lshrrev_b32_e32 v90, 16, v9
	s_delay_alu instid0(VALU_DEP_1) | instskip(SKIP_1) | instid1(VALU_DEP_1)
	v_cvt_pk_f32_fp8_e32 v[101:102], v90
	v_and_b32_e32 v10, 0xffff, v9
	v_cvt_pk_f32_fp8_e32 v[9:10], v10
	s_delay_alu instid0(VALU_DEP_1) | instskip(NEXT) | instid1(VALU_DEP_4)
	v_dual_mul_f32 v91, s13, v9 :: v_dual_mul_f32 v90, s14, v10
	v_dual_mul_f32 v10, s13, v101 :: v_dual_mul_f32 v9, s14, v102
	s_and_saveexec_b32 s0, vcc_lo
	s_cbranch_execz .LBB197_41
; %bb.75:                               ;   in Loop: Header=BB197_43 Depth=1
	v_cmp_gt_i32_e32 vcc_lo, s35, v51
	s_wait_alu 0xfffd
	v_cndmask_b32_e32 v91, 0, v91, vcc_lo
	v_cmp_gt_i32_e32 vcc_lo, s35, v53
	s_wait_alu 0xfffd
	v_cndmask_b32_e32 v90, 0, v90, vcc_lo
	;; [unrolled: 3-line block ×4, first 2 shown]
	s_branch .LBB197_41
.LBB197_76:
	s_or_b32 exec_lo, exec_lo, s5
.LBB197_77:
	s_wait_alu 0xfffe
	s_or_b32 exec_lo, exec_lo, s1
	ds_bpermute_b32 v33, v15, v20
	ds_bpermute_b32 v1, v15, v31
	;; [unrolled: 1-line block ×16, first 2 shown]
	v_lshlrev_b32_e32 v11, 10, v11
	s_mov_b32 s0, exec_lo
	s_wait_storecnt 0x0
	s_wait_loadcnt_dscnt 0x0
	s_barrier_signal -1
	v_add_f32_e32 v15, v20, v33
	v_lshrrev_b32_e32 v20, 1, v14
	v_dual_add_f32 v1, v31, v1 :: v_dual_add_f32 v2, v32, v2
	v_dual_add_f32 v3, v30, v3 :: v_dual_add_f32 v4, v29, v4
	;; [unrolled: 1-line block ×6, first 2 shown]
	v_dual_add_f32 v14, v19, v34 :: v_dual_and_b32 v21, 0x3c1, v0
	v_dual_add_f32 v18, v18, v35 :: v_dual_add_f32 v17, v17, v36
	v_lshl_add_u32 v19, v20, 2, 0x420
	s_barrier_wait -1
	global_inv scope:SCOPE_SE
	v_cmpx_eq_u32_e32 64, v21
	s_cbranch_execz .LBB197_79
; %bb.78:
	v_add_nc_u32_e32 v21, v19, v11
	s_delay_alu instid0(VALU_DEP_1)
	v_add_nc_u32_e32 v22, 0xfffff800, v21
	v_add_nc_u32_e32 v23, 0xfffff840, v21
	v_add_nc_u32_e32 v24, 0xfffff880, v21
	v_add_nc_u32_e32 v25, 0xfffff8c0, v21
	v_add_nc_u32_e32 v26, 0xfffff900, v21
	v_add_nc_u32_e32 v27, 0xfffff940, v21
	v_add_nc_u32_e32 v28, 0xfffff980, v21
	v_add_nc_u32_e32 v29, 0xfffff9c0, v21
	ds_store_b32 v22, v1
	ds_store_b32 v23, v2
	;; [unrolled: 1-line block ×8, first 2 shown]
	v_add_nc_u32_e32 v22, 0xfffffa00, v21
	v_add_nc_u32_e32 v23, 0xfffffa40, v21
	;; [unrolled: 1-line block ×8, first 2 shown]
	ds_store_b32 v22, v9
	ds_store_b32 v23, v10
	;; [unrolled: 1-line block ×8, first 2 shown]
.LBB197_79:
	s_wait_alu 0xfffe
	s_or_b32 exec_lo, exec_lo, s0
	v_lshlrev_b32_e32 v20, 2, v20
	s_mov_b32 s1, exec_lo
	v_cmp_eq_u32_e32 vcc_lo, 0, v16
	s_wait_loadcnt_dscnt 0x0
	s_barrier_signal -1
	v_add3_u32 v11, 0x420, v11, v20
	s_barrier_wait -1
	global_inv scope:SCOPE_SE
	v_cmpx_gt_u32_e32 64, v0
	s_cbranch_execz .LBB197_98
; %bb.80:
	s_and_saveexec_b32 s0, vcc_lo
	s_cbranch_execnz .LBB197_122
; %bb.81:
	s_wait_alu 0xfffe
	s_or_b32 exec_lo, exec_lo, s0
	s_and_saveexec_b32 s0, vcc_lo
	s_cbranch_execnz .LBB197_123
.LBB197_82:
	s_wait_alu 0xfffe
	s_or_b32 exec_lo, exec_lo, s0
	s_and_saveexec_b32 s0, vcc_lo
	s_cbranch_execnz .LBB197_124
.LBB197_83:
	s_wait_alu 0xfffe
	s_or_b32 exec_lo, exec_lo, s0
	s_and_saveexec_b32 s0, vcc_lo
	s_cbranch_execnz .LBB197_125
.LBB197_84:
	s_wait_alu 0xfffe
	s_or_b32 exec_lo, exec_lo, s0
	s_and_saveexec_b32 s0, vcc_lo
	s_cbranch_execnz .LBB197_126
.LBB197_85:
	s_wait_alu 0xfffe
	s_or_b32 exec_lo, exec_lo, s0
	s_and_saveexec_b32 s0, vcc_lo
	s_cbranch_execnz .LBB197_127
.LBB197_86:
	s_wait_alu 0xfffe
	s_or_b32 exec_lo, exec_lo, s0
	s_and_saveexec_b32 s0, vcc_lo
	s_cbranch_execnz .LBB197_128
.LBB197_87:
	s_wait_alu 0xfffe
	s_or_b32 exec_lo, exec_lo, s0
	s_and_saveexec_b32 s0, vcc_lo
	s_cbranch_execnz .LBB197_129
.LBB197_88:
	s_wait_alu 0xfffe
	s_or_b32 exec_lo, exec_lo, s0
	s_and_saveexec_b32 s0, vcc_lo
	s_cbranch_execnz .LBB197_130
.LBB197_89:
	s_wait_alu 0xfffe
	s_or_b32 exec_lo, exec_lo, s0
	s_and_saveexec_b32 s0, vcc_lo
	s_cbranch_execnz .LBB197_131
.LBB197_90:
	s_wait_alu 0xfffe
	s_or_b32 exec_lo, exec_lo, s0
	s_and_saveexec_b32 s0, vcc_lo
	s_cbranch_execnz .LBB197_132
.LBB197_91:
	s_wait_alu 0xfffe
	s_or_b32 exec_lo, exec_lo, s0
	s_and_saveexec_b32 s0, vcc_lo
	s_cbranch_execnz .LBB197_133
.LBB197_92:
	s_wait_alu 0xfffe
	s_or_b32 exec_lo, exec_lo, s0
	s_and_saveexec_b32 s0, vcc_lo
	s_cbranch_execnz .LBB197_134
.LBB197_93:
	s_wait_alu 0xfffe
	s_or_b32 exec_lo, exec_lo, s0
	s_and_saveexec_b32 s0, vcc_lo
	s_cbranch_execnz .LBB197_135
.LBB197_94:
	s_wait_alu 0xfffe
	s_or_b32 exec_lo, exec_lo, s0
	s_and_saveexec_b32 s0, vcc_lo
	s_cbranch_execnz .LBB197_136
.LBB197_95:
	s_wait_alu 0xfffe
	s_or_b32 exec_lo, exec_lo, s0
	s_and_saveexec_b32 s0, vcc_lo
	s_cbranch_execz .LBB197_97
.LBB197_96:
	ds_load_b32 v16, v11 offset:960
	s_wait_dscnt 0x0
	v_add_f32_e32 v17, v17, v16
.LBB197_97:
	s_wait_alu 0xfffe
	s_or_b32 exec_lo, exec_lo, s0
.LBB197_98:
	s_wait_alu 0xfffe
	s_or_b32 exec_lo, exec_lo, s1
	v_and_b32_e32 v16, 0x3e1, v0
	s_mov_b32 s1, exec_lo
	s_wait_loadcnt 0x0
	s_barrier_signal -1
	s_barrier_wait -1
	global_inv scope:SCOPE_SE
	v_cmpx_eq_u32_e32 32, v16
	s_cbranch_execz .LBB197_100
; %bb.99:
	ds_store_2addr_b32 v19, v1, v2 offset1:16
	ds_store_2addr_b32 v19, v3, v4 offset0:32 offset1:48
	ds_store_2addr_b32 v19, v5, v6 offset0:64 offset1:80
	;; [unrolled: 1-line block ×7, first 2 shown]
.LBB197_100:
	s_wait_alu 0xfffe
	s_or_b32 exec_lo, exec_lo, s1
	s_delay_alu instid0(SALU_CYCLE_1)
	s_mov_b32 s1, exec_lo
	s_wait_loadcnt_dscnt 0x0
	s_barrier_signal -1
	s_barrier_wait -1
	global_inv scope:SCOPE_SE
	v_cmpx_gt_u32_e32 32, v0
	s_cbranch_execz .LBB197_119
; %bb.101:
	s_and_saveexec_b32 s0, vcc_lo
	s_cbranch_execnz .LBB197_137
; %bb.102:
	s_wait_alu 0xfffe
	s_or_b32 exec_lo, exec_lo, s0
	s_and_saveexec_b32 s0, vcc_lo
	s_cbranch_execnz .LBB197_138
.LBB197_103:
	s_wait_alu 0xfffe
	s_or_b32 exec_lo, exec_lo, s0
	s_and_saveexec_b32 s0, vcc_lo
	s_cbranch_execnz .LBB197_139
.LBB197_104:
	s_wait_alu 0xfffe
	s_or_b32 exec_lo, exec_lo, s0
	s_and_saveexec_b32 s0, vcc_lo
	s_cbranch_execnz .LBB197_140
.LBB197_105:
	s_wait_alu 0xfffe
	s_or_b32 exec_lo, exec_lo, s0
	s_and_saveexec_b32 s0, vcc_lo
	s_cbranch_execnz .LBB197_141
.LBB197_106:
	s_wait_alu 0xfffe
	s_or_b32 exec_lo, exec_lo, s0
	s_and_saveexec_b32 s0, vcc_lo
	s_cbranch_execnz .LBB197_142
.LBB197_107:
	s_wait_alu 0xfffe
	s_or_b32 exec_lo, exec_lo, s0
	s_and_saveexec_b32 s0, vcc_lo
	s_cbranch_execnz .LBB197_143
.LBB197_108:
	s_wait_alu 0xfffe
	s_or_b32 exec_lo, exec_lo, s0
	s_and_saveexec_b32 s0, vcc_lo
	s_cbranch_execnz .LBB197_144
.LBB197_109:
	s_wait_alu 0xfffe
	s_or_b32 exec_lo, exec_lo, s0
	s_and_saveexec_b32 s0, vcc_lo
	s_cbranch_execnz .LBB197_145
.LBB197_110:
	s_wait_alu 0xfffe
	s_or_b32 exec_lo, exec_lo, s0
	s_and_saveexec_b32 s0, vcc_lo
	s_cbranch_execnz .LBB197_146
.LBB197_111:
	s_wait_alu 0xfffe
	s_or_b32 exec_lo, exec_lo, s0
	s_and_saveexec_b32 s0, vcc_lo
	s_cbranch_execnz .LBB197_147
.LBB197_112:
	s_wait_alu 0xfffe
	s_or_b32 exec_lo, exec_lo, s0
	s_and_saveexec_b32 s0, vcc_lo
	s_cbranch_execnz .LBB197_148
.LBB197_113:
	s_wait_alu 0xfffe
	s_or_b32 exec_lo, exec_lo, s0
	s_and_saveexec_b32 s0, vcc_lo
	s_cbranch_execnz .LBB197_149
.LBB197_114:
	s_wait_alu 0xfffe
	s_or_b32 exec_lo, exec_lo, s0
	s_and_saveexec_b32 s0, vcc_lo
	s_cbranch_execnz .LBB197_150
.LBB197_115:
	s_wait_alu 0xfffe
	s_or_b32 exec_lo, exec_lo, s0
	s_and_saveexec_b32 s0, vcc_lo
	s_cbranch_execnz .LBB197_151
.LBB197_116:
	s_wait_alu 0xfffe
	s_or_b32 exec_lo, exec_lo, s0
	s_and_saveexec_b32 s0, vcc_lo
	s_cbranch_execz .LBB197_118
.LBB197_117:
	ds_load_b32 v11, v11 offset:960
	s_wait_dscnt 0x0
	v_add_f32_e32 v17, v17, v11
.LBB197_118:
	s_wait_alu 0xfffe
	s_or_b32 exec_lo, exec_lo, s0
.LBB197_119:
	s_wait_alu 0xfffe
	s_or_b32 exec_lo, exec_lo, s1
	s_mov_b32 s1, 0
	s_wait_loadcnt 0x0
	s_barrier_signal -1
	s_barrier_wait -1
	global_inv scope:SCOPE_SE
	s_mov_b32 s0, exec_lo
	v_cmpx_eq_u32_e32 0, v16
	s_cbranch_execz .LBB197_121
; %bb.120:
	s_lshl_b32 s2, s18, 8
	s_wait_kmcnt 0x0
	s_mul_i32 s4, s34, s20
	s_wait_alu 0xfffe
	s_ashr_i32 s3, s2, 31
	s_ashr_i32 s5, s4, 31
	s_wait_alu 0xfffe
	s_lshl_b64 s[2:3], s[2:3], 2
	s_lshl_b64 s[4:5], s[4:5], 2
	s_wait_alu 0xfffe
	s_add_nc_u64 s[2:3], s[8:9], s[2:3]
	v_lshlrev_b32_e32 v0, 1, v0
	s_lshl_b32 s0, s33, 10
	s_wait_alu 0xfffe
	s_add_nc_u64 s[2:3], s[2:3], s[4:5]
	s_wait_alu 0xfffe
	s_add_nc_u64 s[0:1], s[2:3], s[0:1]
	s_clause 0xf
	global_store_b32 v0, v1, s[0:1]
	global_store_b32 v0, v2, s[0:1] offset:64
	global_store_b32 v0, v3, s[0:1] offset:128
	;; [unrolled: 1-line block ×15, first 2 shown]
.LBB197_121:
	s_nop 0
	s_sendmsg sendmsg(MSG_DEALLOC_VGPRS)
	s_endpgm
.LBB197_122:
	ds_load_b32 v16, v11
	s_wait_dscnt 0x0
	v_add_f32_e32 v1, v1, v16
	s_wait_alu 0xfffe
	s_or_b32 exec_lo, exec_lo, s0
	s_and_saveexec_b32 s0, vcc_lo
	s_cbranch_execz .LBB197_82
.LBB197_123:
	ds_load_b32 v16, v11 offset:64
	s_wait_dscnt 0x0
	v_add_f32_e32 v2, v2, v16
	s_wait_alu 0xfffe
	s_or_b32 exec_lo, exec_lo, s0
	s_and_saveexec_b32 s0, vcc_lo
	s_cbranch_execz .LBB197_83
.LBB197_124:
	ds_load_b32 v16, v11 offset:128
	s_wait_dscnt 0x0
	v_add_f32_e32 v3, v3, v16
	s_wait_alu 0xfffe
	s_or_b32 exec_lo, exec_lo, s0
	s_and_saveexec_b32 s0, vcc_lo
	s_cbranch_execz .LBB197_84
.LBB197_125:
	ds_load_b32 v16, v11 offset:192
	s_wait_dscnt 0x0
	v_add_f32_e32 v4, v4, v16
	s_wait_alu 0xfffe
	s_or_b32 exec_lo, exec_lo, s0
	s_and_saveexec_b32 s0, vcc_lo
	s_cbranch_execz .LBB197_85
.LBB197_126:
	ds_load_b32 v16, v11 offset:256
	s_wait_dscnt 0x0
	v_add_f32_e32 v5, v5, v16
	s_wait_alu 0xfffe
	s_or_b32 exec_lo, exec_lo, s0
	s_and_saveexec_b32 s0, vcc_lo
	s_cbranch_execz .LBB197_86
.LBB197_127:
	ds_load_b32 v16, v11 offset:320
	s_wait_dscnt 0x0
	v_add_f32_e32 v6, v6, v16
	s_wait_alu 0xfffe
	s_or_b32 exec_lo, exec_lo, s0
	s_and_saveexec_b32 s0, vcc_lo
	s_cbranch_execz .LBB197_87
.LBB197_128:
	ds_load_b32 v16, v11 offset:384
	s_wait_dscnt 0x0
	v_add_f32_e32 v7, v7, v16
	s_wait_alu 0xfffe
	s_or_b32 exec_lo, exec_lo, s0
	s_and_saveexec_b32 s0, vcc_lo
	s_cbranch_execz .LBB197_88
.LBB197_129:
	ds_load_b32 v16, v11 offset:448
	s_wait_dscnt 0x0
	v_add_f32_e32 v8, v8, v16
	s_wait_alu 0xfffe
	s_or_b32 exec_lo, exec_lo, s0
	s_and_saveexec_b32 s0, vcc_lo
	s_cbranch_execz .LBB197_89
.LBB197_130:
	ds_load_b32 v16, v11 offset:512
	s_wait_dscnt 0x0
	v_add_f32_e32 v9, v9, v16
	s_wait_alu 0xfffe
	s_or_b32 exec_lo, exec_lo, s0
	s_and_saveexec_b32 s0, vcc_lo
	s_cbranch_execz .LBB197_90
.LBB197_131:
	ds_load_b32 v16, v11 offset:576
	s_wait_dscnt 0x0
	v_add_f32_e32 v10, v10, v16
	s_wait_alu 0xfffe
	s_or_b32 exec_lo, exec_lo, s0
	s_and_saveexec_b32 s0, vcc_lo
	s_cbranch_execz .LBB197_91
.LBB197_132:
	ds_load_b32 v16, v11 offset:640
	s_wait_dscnt 0x0
	v_add_f32_e32 v12, v12, v16
	s_wait_alu 0xfffe
	s_or_b32 exec_lo, exec_lo, s0
	s_and_saveexec_b32 s0, vcc_lo
	s_cbranch_execz .LBB197_92
.LBB197_133:
	ds_load_b32 v16, v11 offset:704
	s_wait_dscnt 0x0
	v_add_f32_e32 v13, v13, v16
	s_wait_alu 0xfffe
	s_or_b32 exec_lo, exec_lo, s0
	s_and_saveexec_b32 s0, vcc_lo
	s_cbranch_execz .LBB197_93
.LBB197_134:
	ds_load_b32 v16, v11 offset:768
	s_wait_dscnt 0x0
	v_add_f32_e32 v15, v15, v16
	s_wait_alu 0xfffe
	s_or_b32 exec_lo, exec_lo, s0
	s_and_saveexec_b32 s0, vcc_lo
	s_cbranch_execz .LBB197_94
.LBB197_135:
	ds_load_b32 v16, v11 offset:832
	s_wait_dscnt 0x0
	v_add_f32_e32 v14, v14, v16
	s_wait_alu 0xfffe
	s_or_b32 exec_lo, exec_lo, s0
	s_and_saveexec_b32 s0, vcc_lo
	s_cbranch_execz .LBB197_95
.LBB197_136:
	ds_load_b32 v16, v11 offset:896
	s_wait_dscnt 0x0
	v_add_f32_e32 v18, v18, v16
	s_wait_alu 0xfffe
	s_or_b32 exec_lo, exec_lo, s0
	s_and_saveexec_b32 s0, vcc_lo
	s_cbranch_execnz .LBB197_96
	s_branch .LBB197_97
.LBB197_137:
	ds_load_b32 v19, v11
	s_wait_dscnt 0x0
	v_add_f32_e32 v1, v1, v19
	s_wait_alu 0xfffe
	s_or_b32 exec_lo, exec_lo, s0
	s_and_saveexec_b32 s0, vcc_lo
	s_cbranch_execz .LBB197_103
.LBB197_138:
	ds_load_b32 v19, v11 offset:64
	s_wait_dscnt 0x0
	v_add_f32_e32 v2, v2, v19
	s_wait_alu 0xfffe
	s_or_b32 exec_lo, exec_lo, s0
	s_and_saveexec_b32 s0, vcc_lo
	s_cbranch_execz .LBB197_104
.LBB197_139:
	ds_load_b32 v19, v11 offset:128
	s_wait_dscnt 0x0
	v_add_f32_e32 v3, v3, v19
	s_wait_alu 0xfffe
	s_or_b32 exec_lo, exec_lo, s0
	s_and_saveexec_b32 s0, vcc_lo
	s_cbranch_execz .LBB197_105
.LBB197_140:
	ds_load_b32 v19, v11 offset:192
	s_wait_dscnt 0x0
	v_add_f32_e32 v4, v4, v19
	s_wait_alu 0xfffe
	s_or_b32 exec_lo, exec_lo, s0
	s_and_saveexec_b32 s0, vcc_lo
	s_cbranch_execz .LBB197_106
.LBB197_141:
	ds_load_b32 v19, v11 offset:256
	s_wait_dscnt 0x0
	v_add_f32_e32 v5, v5, v19
	s_wait_alu 0xfffe
	s_or_b32 exec_lo, exec_lo, s0
	s_and_saveexec_b32 s0, vcc_lo
	s_cbranch_execz .LBB197_107
.LBB197_142:
	ds_load_b32 v19, v11 offset:320
	s_wait_dscnt 0x0
	v_add_f32_e32 v6, v6, v19
	s_wait_alu 0xfffe
	s_or_b32 exec_lo, exec_lo, s0
	s_and_saveexec_b32 s0, vcc_lo
	s_cbranch_execz .LBB197_108
.LBB197_143:
	ds_load_b32 v19, v11 offset:384
	s_wait_dscnt 0x0
	v_add_f32_e32 v7, v7, v19
	s_wait_alu 0xfffe
	s_or_b32 exec_lo, exec_lo, s0
	s_and_saveexec_b32 s0, vcc_lo
	s_cbranch_execz .LBB197_109
.LBB197_144:
	ds_load_b32 v19, v11 offset:448
	s_wait_dscnt 0x0
	v_add_f32_e32 v8, v8, v19
	s_wait_alu 0xfffe
	s_or_b32 exec_lo, exec_lo, s0
	s_and_saveexec_b32 s0, vcc_lo
	s_cbranch_execz .LBB197_110
.LBB197_145:
	ds_load_b32 v19, v11 offset:512
	s_wait_dscnt 0x0
	v_add_f32_e32 v9, v9, v19
	s_wait_alu 0xfffe
	s_or_b32 exec_lo, exec_lo, s0
	s_and_saveexec_b32 s0, vcc_lo
	s_cbranch_execz .LBB197_111
.LBB197_146:
	ds_load_b32 v19, v11 offset:576
	s_wait_dscnt 0x0
	v_add_f32_e32 v10, v10, v19
	s_wait_alu 0xfffe
	s_or_b32 exec_lo, exec_lo, s0
	s_and_saveexec_b32 s0, vcc_lo
	s_cbranch_execz .LBB197_112
.LBB197_147:
	ds_load_b32 v19, v11 offset:640
	s_wait_dscnt 0x0
	v_add_f32_e32 v12, v12, v19
	s_wait_alu 0xfffe
	s_or_b32 exec_lo, exec_lo, s0
	s_and_saveexec_b32 s0, vcc_lo
	s_cbranch_execz .LBB197_113
.LBB197_148:
	ds_load_b32 v19, v11 offset:704
	s_wait_dscnt 0x0
	v_add_f32_e32 v13, v13, v19
	s_wait_alu 0xfffe
	s_or_b32 exec_lo, exec_lo, s0
	s_and_saveexec_b32 s0, vcc_lo
	s_cbranch_execz .LBB197_114
.LBB197_149:
	ds_load_b32 v19, v11 offset:768
	s_wait_dscnt 0x0
	v_add_f32_e32 v15, v15, v19
	s_wait_alu 0xfffe
	s_or_b32 exec_lo, exec_lo, s0
	s_and_saveexec_b32 s0, vcc_lo
	s_cbranch_execz .LBB197_115
.LBB197_150:
	ds_load_b32 v19, v11 offset:832
	s_wait_dscnt 0x0
	v_add_f32_e32 v14, v14, v19
	s_wait_alu 0xfffe
	s_or_b32 exec_lo, exec_lo, s0
	s_and_saveexec_b32 s0, vcc_lo
	s_cbranch_execz .LBB197_116
.LBB197_151:
	ds_load_b32 v19, v11 offset:896
	s_wait_dscnt 0x0
	v_add_f32_e32 v18, v18, v19
	s_wait_alu 0xfffe
	s_or_b32 exec_lo, exec_lo, s0
	s_and_saveexec_b32 s0, vcc_lo
	s_cbranch_execnz .LBB197_117
	s_branch .LBB197_118
	.section	.rodata,"a",@progbits
	.p2align	6, 0x0
	.amdhsa_kernel _ZN4vllm25paged_attention_v2_kernelIfhLi256ELi8ELi128ELNS_18Fp8KVCacheDataTypeE1ELb1ELi512EEEvPfS2_PT_PKS3_PKT0_S9_ifPKiSB_iPKfiiiSD_SD_iiiii
		.amdhsa_group_segment_fixed_size 1056
		.amdhsa_private_segment_fixed_size 0
		.amdhsa_kernarg_size 400
		.amdhsa_user_sgpr_count 2
		.amdhsa_user_sgpr_dispatch_ptr 0
		.amdhsa_user_sgpr_queue_ptr 0
		.amdhsa_user_sgpr_kernarg_segment_ptr 1
		.amdhsa_user_sgpr_dispatch_id 0
		.amdhsa_user_sgpr_private_segment_size 0
		.amdhsa_wavefront_size32 1
		.amdhsa_uses_dynamic_stack 0
		.amdhsa_enable_private_segment 0
		.amdhsa_system_sgpr_workgroup_id_x 1
		.amdhsa_system_sgpr_workgroup_id_y 1
		.amdhsa_system_sgpr_workgroup_id_z 1
		.amdhsa_system_sgpr_workgroup_info 0
		.amdhsa_system_vgpr_workitem_id 0
		.amdhsa_next_free_vgpr 103
		.amdhsa_next_free_sgpr 45
		.amdhsa_reserve_vcc 1
		.amdhsa_float_round_mode_32 0
		.amdhsa_float_round_mode_16_64 0
		.amdhsa_float_denorm_mode_32 3
		.amdhsa_float_denorm_mode_16_64 3
		.amdhsa_fp16_overflow 0
		.amdhsa_workgroup_processor_mode 1
		.amdhsa_memory_ordered 1
		.amdhsa_forward_progress 1
		.amdhsa_inst_pref_size 90
		.amdhsa_round_robin_scheduling 0
		.amdhsa_exception_fp_ieee_invalid_op 0
		.amdhsa_exception_fp_denorm_src 0
		.amdhsa_exception_fp_ieee_div_zero 0
		.amdhsa_exception_fp_ieee_overflow 0
		.amdhsa_exception_fp_ieee_underflow 0
		.amdhsa_exception_fp_ieee_inexact 0
		.amdhsa_exception_int_div_zero 0
	.end_amdhsa_kernel
	.section	.text._ZN4vllm25paged_attention_v2_kernelIfhLi256ELi8ELi128ELNS_18Fp8KVCacheDataTypeE1ELb1ELi512EEEvPfS2_PT_PKS3_PKT0_S9_ifPKiSB_iPKfiiiSD_SD_iiiii,"axG",@progbits,_ZN4vllm25paged_attention_v2_kernelIfhLi256ELi8ELi128ELNS_18Fp8KVCacheDataTypeE1ELb1ELi512EEEvPfS2_PT_PKS3_PKT0_S9_ifPKiSB_iPKfiiiSD_SD_iiiii,comdat
.Lfunc_end197:
	.size	_ZN4vllm25paged_attention_v2_kernelIfhLi256ELi8ELi128ELNS_18Fp8KVCacheDataTypeE1ELb1ELi512EEEvPfS2_PT_PKS3_PKT0_S9_ifPKiSB_iPKfiiiSD_SD_iiiii, .Lfunc_end197-_ZN4vllm25paged_attention_v2_kernelIfhLi256ELi8ELi128ELNS_18Fp8KVCacheDataTypeE1ELb1ELi512EEEvPfS2_PT_PKS3_PKT0_S9_ifPKiSB_iPKfiiiSD_SD_iiiii
                                        ; -- End function
	.set _ZN4vllm25paged_attention_v2_kernelIfhLi256ELi8ELi128ELNS_18Fp8KVCacheDataTypeE1ELb1ELi512EEEvPfS2_PT_PKS3_PKT0_S9_ifPKiSB_iPKfiiiSD_SD_iiiii.num_vgpr, 103
	.set _ZN4vllm25paged_attention_v2_kernelIfhLi256ELi8ELi128ELNS_18Fp8KVCacheDataTypeE1ELb1ELi512EEEvPfS2_PT_PKS3_PKT0_S9_ifPKiSB_iPKfiiiSD_SD_iiiii.num_agpr, 0
	.set _ZN4vllm25paged_attention_v2_kernelIfhLi256ELi8ELi128ELNS_18Fp8KVCacheDataTypeE1ELb1ELi512EEEvPfS2_PT_PKS3_PKT0_S9_ifPKiSB_iPKfiiiSD_SD_iiiii.numbered_sgpr, 45
	.set _ZN4vllm25paged_attention_v2_kernelIfhLi256ELi8ELi128ELNS_18Fp8KVCacheDataTypeE1ELb1ELi512EEEvPfS2_PT_PKS3_PKT0_S9_ifPKiSB_iPKfiiiSD_SD_iiiii.num_named_barrier, 0
	.set _ZN4vllm25paged_attention_v2_kernelIfhLi256ELi8ELi128ELNS_18Fp8KVCacheDataTypeE1ELb1ELi512EEEvPfS2_PT_PKS3_PKT0_S9_ifPKiSB_iPKfiiiSD_SD_iiiii.private_seg_size, 0
	.set _ZN4vllm25paged_attention_v2_kernelIfhLi256ELi8ELi128ELNS_18Fp8KVCacheDataTypeE1ELb1ELi512EEEvPfS2_PT_PKS3_PKT0_S9_ifPKiSB_iPKfiiiSD_SD_iiiii.uses_vcc, 1
	.set _ZN4vllm25paged_attention_v2_kernelIfhLi256ELi8ELi128ELNS_18Fp8KVCacheDataTypeE1ELb1ELi512EEEvPfS2_PT_PKS3_PKT0_S9_ifPKiSB_iPKfiiiSD_SD_iiiii.uses_flat_scratch, 0
	.set _ZN4vllm25paged_attention_v2_kernelIfhLi256ELi8ELi128ELNS_18Fp8KVCacheDataTypeE1ELb1ELi512EEEvPfS2_PT_PKS3_PKT0_S9_ifPKiSB_iPKfiiiSD_SD_iiiii.has_dyn_sized_stack, 0
	.set _ZN4vllm25paged_attention_v2_kernelIfhLi256ELi8ELi128ELNS_18Fp8KVCacheDataTypeE1ELb1ELi512EEEvPfS2_PT_PKS3_PKT0_S9_ifPKiSB_iPKfiiiSD_SD_iiiii.has_recursion, 0
	.set _ZN4vllm25paged_attention_v2_kernelIfhLi256ELi8ELi128ELNS_18Fp8KVCacheDataTypeE1ELb1ELi512EEEvPfS2_PT_PKS3_PKT0_S9_ifPKiSB_iPKfiiiSD_SD_iiiii.has_indirect_call, 0
	.section	.AMDGPU.csdata,"",@progbits
; Kernel info:
; codeLenInByte = 11396
; TotalNumSgprs: 47
; NumVgprs: 103
; ScratchSize: 0
; MemoryBound: 0
; FloatMode: 240
; IeeeMode: 1
; LDSByteSize: 1056 bytes/workgroup (compile time only)
; SGPRBlocks: 0
; VGPRBlocks: 12
; NumSGPRsForWavesPerEU: 47
; NumVGPRsForWavesPerEU: 103
; Occupancy: 12
; WaveLimiterHint : 1
; COMPUTE_PGM_RSRC2:SCRATCH_EN: 0
; COMPUTE_PGM_RSRC2:USER_SGPR: 2
; COMPUTE_PGM_RSRC2:TRAP_HANDLER: 0
; COMPUTE_PGM_RSRC2:TGID_X_EN: 1
; COMPUTE_PGM_RSRC2:TGID_Y_EN: 1
; COMPUTE_PGM_RSRC2:TGID_Z_EN: 1
; COMPUTE_PGM_RSRC2:TIDIG_COMP_CNT: 0
	.section	.text._ZN4vllm25paged_attention_v2_kernelIfhLi32ELi8ELi128ELNS_18Fp8KVCacheDataTypeE1ELb0ELi512EEEvPfS2_PT_PKS3_PKT0_S9_ifPKiSB_iPKfiiiSD_SD_iiiii,"axG",@progbits,_ZN4vllm25paged_attention_v2_kernelIfhLi32ELi8ELi128ELNS_18Fp8KVCacheDataTypeE1ELb0ELi512EEEvPfS2_PT_PKS3_PKT0_S9_ifPKiSB_iPKfiiiSD_SD_iiiii,comdat
	.protected	_ZN4vllm25paged_attention_v2_kernelIfhLi32ELi8ELi128ELNS_18Fp8KVCacheDataTypeE1ELb0ELi512EEEvPfS2_PT_PKS3_PKT0_S9_ifPKiSB_iPKfiiiSD_SD_iiiii ; -- Begin function _ZN4vllm25paged_attention_v2_kernelIfhLi32ELi8ELi128ELNS_18Fp8KVCacheDataTypeE1ELb0ELi512EEEvPfS2_PT_PKS3_PKT0_S9_ifPKiSB_iPKfiiiSD_SD_iiiii
	.globl	_ZN4vllm25paged_attention_v2_kernelIfhLi32ELi8ELi128ELNS_18Fp8KVCacheDataTypeE1ELb0ELi512EEEvPfS2_PT_PKS3_PKT0_S9_ifPKiSB_iPKfiiiSD_SD_iiiii
	.p2align	8
	.type	_ZN4vllm25paged_attention_v2_kernelIfhLi32ELi8ELi128ELNS_18Fp8KVCacheDataTypeE1ELb0ELi512EEEvPfS2_PT_PKS3_PKT0_S9_ifPKiSB_iPKfiiiSD_SD_iiiii,@function
_ZN4vllm25paged_attention_v2_kernelIfhLi32ELi8ELi128ELNS_18Fp8KVCacheDataTypeE1ELb0ELi512EEEvPfS2_PT_PKS3_PKT0_S9_ifPKiSB_iPKfiiiSD_SD_iiiii: ; @_ZN4vllm25paged_attention_v2_kernelIfhLi32ELi8ELi128ELNS_18Fp8KVCacheDataTypeE1ELb0ELi512EEEvPfS2_PT_PKS3_PKT0_S9_ifPKiSB_iPKfiiiSD_SD_iiiii
; %bb.0:
	s_load_b64 s[2:3], s[0:1], 0x40
	s_and_b32 s29, ttmp7, 0xffff
	s_lshr_b32 s26, ttmp7, 16
	s_lshl_b32 s4, s29, 2
	s_lshl_b32 s28, s26, 9
	s_wait_kmcnt 0x0
	s_load_b32 s27, s[2:3], s4 offset:0x0
	s_wait_kmcnt 0x0
	s_cmp_ge_i32 s28, s27
	s_cbranch_scc1 .LBB198_56
; %bb.1:
	s_clause 0x1
	s_load_b32 s30, s[0:1], 0x90
	s_load_b64 s[6:7], s[0:1], 0x30
	s_wait_kmcnt 0x0
	s_abs_i32 s5, s30
	s_abs_i32 s2, s6
	s_delay_alu instid0(SALU_CYCLE_1) | instskip(SKIP_1) | instid1(SALU_CYCLE_2)
	s_cvt_f32_u32 s3, s2
	s_sub_co_i32 s4, 0, s2
	v_rcp_iflag_f32_e32 v1, s3
	s_delay_alu instid0(TRANS32_DEP_1) | instskip(SKIP_2) | instid1(SALU_CYCLE_2)
	v_readfirstlane_b32 s3, v1
	s_mul_f32 s3, s3, 0x4f7ffffe
	s_wait_alu 0xfffe
	s_cvt_u32_f32 s3, s3
	s_wait_alu 0xfffe
	s_delay_alu instid0(SALU_CYCLE_2) | instskip(NEXT) | instid1(SALU_CYCLE_1)
	s_mul_i32 s4, s4, s3
	s_mul_hi_u32 s4, s3, s4
	s_delay_alu instid0(SALU_CYCLE_1)
	s_add_co_i32 s3, s3, s4
	s_xor_b32 s4, s30, s6
	s_wait_alu 0xfffe
	s_mul_hi_u32 s3, s5, s3
	s_ashr_i32 s4, s4, 31
	s_wait_alu 0xfffe
	s_mul_i32 s6, s3, s2
	s_delay_alu instid0(SALU_CYCLE_1)
	s_sub_co_i32 s5, s5, s6
	s_add_co_i32 s6, s3, 1
	s_sub_co_i32 s8, s5, s2
	s_cmp_ge_u32 s5, s2
	s_cselect_b32 s3, s6, s3
	s_cselect_b32 s5, s8, s5
	s_wait_alu 0xfffe
	s_add_co_i32 s6, s3, 1
	s_cmp_ge_u32 s5, s2
	s_load_b64 s[8:9], s[0:1], 0x50
	s_cselect_b32 s2, s6, s3
	s_mov_b32 s5, 0
	s_wait_alu 0xfffe
	s_xor_b32 s2, s2, s4
	s_mov_b32 s12, s5
	s_wait_alu 0xfffe
	s_sub_co_i32 s10, s2, s4
	s_abs_i32 s4, ttmp9
	s_abs_i32 s6, s10
	s_delay_alu instid0(SALU_CYCLE_1) | instskip(SKIP_2) | instid1(SALU_CYCLE_1)
	s_cvt_f32_u32 s2, s6
	s_sub_co_i32 s3, 0, s6
	s_wait_alu 0xfffe
	v_rcp_iflag_f32_e32 v1, s2
	s_delay_alu instid0(TRANS32_DEP_1) | instskip(SKIP_2) | instid1(SALU_CYCLE_2)
	v_readfirstlane_b32 s2, v1
	s_mul_f32 s2, s2, 0x4f7ffffe
	s_wait_alu 0xfffe
	s_cvt_u32_f32 s2, s2
	s_wait_alu 0xfffe
	s_delay_alu instid0(SALU_CYCLE_2)
	s_mul_i32 s3, s3, s2
	s_wait_alu 0xfffe
	s_mul_hi_u32 s3, s2, s3
	s_wait_alu 0xfffe
	s_add_co_i32 s2, s2, s3
	s_mov_b32 s3, s5
	s_wait_kmcnt 0x0
	s_cmp_eq_u64 s[8:9], 0
	s_cbranch_scc1 .LBB198_3
; %bb.2:
	s_mov_b32 s12, ttmp9
	s_ashr_i32 s13, ttmp9, 31
	s_delay_alu instid0(SALU_CYCLE_1) | instskip(NEXT) | instid1(SALU_CYCLE_1)
	s_lshl_b64 s[12:13], s[12:13], 2
	s_add_nc_u64 s[8:9], s[8:9], s[12:13]
	s_load_b32 s12, s[8:9], 0x0
.LBB198_3:
	s_load_b96 s[16:18], s[0:1], 0x58
	s_mul_u64 s[2:3], s[4:5], s[2:3]
	v_and_b32_e32 v9, 3, v0
	v_cmp_gt_u32_e64 s2, 32, v0
	v_lshlrev_b32_e32 v15, 2, v0
	s_ashr_i32 s5, ttmp9, 31
	s_ashr_i32 s8, s10, 31
	s_lshl_b32 s20, ttmp9, 5
	s_wait_alu 0xfffe
	s_and_saveexec_b32 s9, s2
	s_cbranch_execz .LBB198_5
; %bb.4:
	s_load_b64 s[10:11], s[0:1], 0x18
	s_wait_kmcnt 0x0
	s_mul_i32 s14, s16, s29
	s_ashr_i32 s21, s20, 31
	s_ashr_i32 s15, s14, 31
	v_and_b32_e32 v2, 0x3fc, v0
	s_lshl_b64 s[14:15], s[14:15], 2
	s_delay_alu instid0(VALU_DEP_1) | instskip(SKIP_2) | instid1(SALU_CYCLE_1)
	v_lshl_add_u32 v2, v9, 5, v2
	s_add_nc_u64 s[10:11], s[10:11], s[14:15]
	s_lshl_b64 s[14:15], s[20:21], 2
	s_add_nc_u64 s[10:11], s[10:11], s[14:15]
	global_load_b32 v1, v15, s[10:11]
	s_wait_loadcnt 0x0
	ds_store_b32 v2, v1
.LBB198_5:
	s_or_b32 exec_lo, exec_lo, s9
	s_add_co_i32 s9, s27, 7
	s_xor_b32 s5, s5, s8
	s_ashr_i32 s10, s9, 31
	s_lshl_b32 s33, s26, 6
	s_lshr_b32 s8, s10, 29
	s_mul_i32 s10, s3, s6
	s_add_co_i32 s9, s9, s8
	s_add_co_i32 s8, s33, 64
	s_ashr_i32 s31, s9, 3
	s_load_b32 s9, s[0:1], 0x48
	s_sub_co_i32 s4, s4, s10
	s_min_i32 s21, s8, s31
	s_add_co_i32 s8, s3, 1
	s_sub_co_i32 s10, s4, s6
	s_cmp_ge_u32 s4, s6
	v_lshrrev_b32_e32 v13, 5, v0
	s_cselect_b32 s3, s8, s3
	s_cselect_b32 s4, s10, s4
	s_wait_alu 0xfffe
	s_add_co_i32 s8, s3, 1
	s_cmp_ge_u32 s4, s6
	v_or_b32_e32 v14, s33, v13
	s_cselect_b32 s3, s8, s3
	v_mbcnt_lo_u32_b32 v17, -1, 0
	s_wait_alu 0xfffe
	s_xor_b32 s3, s3, s5
	s_wait_dscnt 0x0
	s_wait_alu 0xfffe
	s_sub_co_i32 s4, s3, s5
	v_cmp_gt_i32_e64 s3, s21, v14
	s_mov_b32 s5, exec_lo
	s_barrier_signal -1
	s_wait_kmcnt 0x0
	s_mul_i32 s22, s9, s29
	s_barrier_wait -1
	s_ashr_i32 s23, s22, 31
	global_inv scope:SCOPE_SE
                                        ; implicit-def: $vgpr18
                                        ; implicit-def: $vgpr19
	v_cmpx_le_i32_e64 s21, v14
	s_xor_b32 s5, exec_lo, s5
; %bb.6:
	v_dual_mov_b32 v18, 0 :: v_dual_mov_b32 v19, 32
	v_mbcnt_lo_u32_b32 v17, -1, 0
                                        ; implicit-def: $vgpr9
; %bb.7:
	s_or_saveexec_b32 s13, s5
	s_clause 0x2
	s_load_b32 s16, s[0:1], 0x98
	s_load_b64 s[24:25], s[0:1], 0x38
	s_load_b128 s[8:11], s[0:1], 0x68
	v_mov_b32_e32 v20, 0xff7fffff
	v_lshlrev_b32_e32 v16, 2, v14
	s_mul_i32 s18, s4, s18
	s_xor_b32 exec_lo, exec_lo, s13
	s_cbranch_execz .LBB198_13
; %bb.8:
	s_load_b64 s[4:5], s[0:1], 0x20
	v_xor_b32_e32 v1, 2, v17
	v_xor_b32_e32 v2, 1, v17
	v_bfe_u32 v11, v0, 2, 3
	v_dual_mov_b32 v18, 0 :: v_dual_lshlrev_b32 v5, 5, v9
	s_delay_alu instid0(VALU_DEP_4) | instskip(NEXT) | instid1(VALU_DEP_3)
	v_cmp_gt_i32_e32 vcc_lo, 32, v1
	v_dual_mov_b32 v19, 32 :: v_dual_lshlrev_b32 v20, 4, v11
	v_mov_b32_e32 v25, v14
	s_ashr_i32 s19, s18, 31
	v_cndmask_b32_e32 v10, v17, v1, vcc_lo
	v_cmp_gt_i32_e32 vcc_lo, 32, v2
	s_cmp_neq_f32 s12, 0
	v_lshlrev_b32_e32 v23, 3, v13
	s_delay_alu instid0(VALU_DEP_3)
	v_lshlrev_b32_e32 v21, 2, v10
	s_wait_alu 0xfffd
	v_cndmask_b32_e32 v12, v17, v2, vcc_lo
	ds_load_b128 v[1:4], v5
	ds_load_b128 v[5:8], v5 offset:16
	s_wait_kmcnt 0x0
	s_load_b32 s8, s[8:9], 0x0
	s_add_nc_u64 s[4:5], s[4:5], s[18:19]
	v_cmp_eq_u32_e32 vcc_lo, 0, v9
	v_add_co_u32 v10, s4, s4, v20
	v_lshlrev_b32_e32 v20, 2, v11
	v_lshlrev_b32_e32 v22, 2, v12
	s_wait_alu 0xf1ff
	v_add_co_ci_u32_e64 v12, null, s5, 0, s4
	s_cselect_b32 s4, -1, 0
	s_lshl_b64 s[14:15], s[22:23], 2
	v_lshl_or_b32 v20, v13, 5, v20
	v_add_co_u32 v9, s5, v10, v9
	s_add_nc_u64 s[14:15], s[24:25], s[14:15]
	s_wait_alu 0xf1ff
	v_add_co_ci_u32_e64 v10, null, 0, v12, s5
	v_add3_u32 v23, s28, v23, v11
	v_add_co_u32 v11, s5, s14, v16
	v_add_nc_u32_e32 v24, 0xa0, v20
	s_wait_alu 0xf1ff
	v_add_co_ci_u32_e64 v12, null, s15, 0, s5
	v_mov_b32_e32 v20, 0xff7fffff
	s_mov_b32 s14, s17
	s_mov_b32 s9, 0
	s_sub_co_i32 s15, 1, s27
	s_branch .LBB198_10
.LBB198_9:                              ;   in Loop: Header=BB198_10 Depth=1
	s_wait_alu 0xfffe
	s_or_b32 exec_lo, exec_lo, s6
	v_add_nc_u32_e32 v25, 4, v25
	v_add_co_u32 v11, s6, v11, 16
	v_add_nc_u32_e32 v23, 32, v23
	v_add_nc_u32_e32 v24, 0x80, v24
	s_delay_alu instid0(VALU_DEP_4)
	v_cmp_le_i32_e64 s5, s21, v25
	s_wait_alu 0xf1ff
	v_add_co_ci_u32_e64 v12, null, 0, v12, s6
	s_or_b32 s9, s5, s9
	s_wait_alu 0xfffe
	s_and_not1_b32 exec_lo, exec_lo, s9
	s_cbranch_execz .LBB198_12
.LBB198_10:                             ; =>This Inner Loop Header: Depth=1
	global_load_b32 v26, v[11:12], off
	s_wait_loadcnt_dscnt 0x0
	s_wait_alu 0xfffe
	v_mad_co_i64_i32 v[26:27], null, v26, s14, v[9:10]
	s_clause 0x7
	global_load_u8 v28, v[26:27], off offset:4
	global_load_u8 v29, v[26:27], off
	global_load_u8 v30, v[26:27], off offset:8
	global_load_u8 v31, v[26:27], off offset:12
	;; [unrolled: 1-line block ×6, first 2 shown]
	s_wait_loadcnt 0x7
	v_cvt_f32_fp8_e32 v27, v28
	s_wait_loadcnt 0x6
	v_cvt_f32_fp8_e32 v28, v29
	;; [unrolled: 2-line block ×4, first 2 shown]
	s_wait_kmcnt 0x0
	v_dual_mul_f32 v27, s8, v27 :: v_dual_mul_f32 v28, s8, v28
	s_wait_loadcnt 0x0
	v_cvt_f32_fp8_e32 v26, v26
	s_wait_dscnt 0x1
	s_delay_alu instid0(VALU_DEP_2) | instskip(NEXT) | instid1(VALU_DEP_1)
	v_dual_mul_f32 v30, s8, v30 :: v_dual_mul_f32 v27, v2, v27
	v_dual_mul_f32 v26, s8, v26 :: v_dual_fmac_f32 v27, v1, v28
	v_cvt_f32_fp8_e32 v28, v32
	s_delay_alu instid0(VALU_DEP_1) | instskip(NEXT) | instid1(VALU_DEP_1)
	v_dual_mul_f32 v29, s8, v29 :: v_dual_mul_f32 v28, s8, v28
	v_fmac_f32_e32 v27, v3, v29
	v_cvt_f32_fp8_e32 v29, v33
	s_delay_alu instid0(VALU_DEP_2) | instskip(SKIP_1) | instid1(VALU_DEP_3)
	v_fmac_f32_e32 v27, v4, v30
	v_cvt_f32_fp8_e32 v30, v34
	v_mul_f32_e32 v29, s8, v29
	s_wait_dscnt 0x0
	s_delay_alu instid0(VALU_DEP_2) | instskip(NEXT) | instid1(VALU_DEP_1)
	v_dual_fmac_f32 v27, v5, v28 :: v_dual_mul_f32 v28, s8, v30
	v_fmac_f32_e32 v27, v6, v29
	s_delay_alu instid0(VALU_DEP_1) | instskip(NEXT) | instid1(VALU_DEP_1)
	v_fmac_f32_e32 v27, v7, v28
	v_fmac_f32_e32 v27, v8, v26
	ds_bpermute_b32 v26, v21, v27
	s_wait_dscnt 0x0
	v_add_f32_e32 v26, v27, v26
	ds_bpermute_b32 v27, v22, v26
	s_and_saveexec_b32 s6, vcc_lo
	s_cbranch_execz .LBB198_9
; %bb.11:                               ;   in Loop: Header=BB198_10 Depth=1
	s_wait_dscnt 0x0
	v_add_f32_e32 v26, v26, v27
	v_add_nc_u32_e32 v28, s15, v23
	v_cmp_gt_i32_e64 s5, s27, v23
	s_delay_alu instid0(VALU_DEP_2) | instskip(NEXT) | instid1(VALU_DEP_1)
	v_cvt_f32_i32_e32 v28, v28
	v_mul_f32_e32 v28, s12, v28
	s_delay_alu instid0(VALU_DEP_1) | instskip(NEXT) | instid1(VALU_DEP_1)
	v_cndmask_b32_e64 v27, 0, v28, s4
	v_dual_max_num_f32 v28, v20, v20 :: v_dual_fmac_f32 v27, s7, v26
	s_delay_alu instid0(VALU_DEP_1) | instskip(SKIP_2) | instid1(VALU_DEP_2)
	v_max_num_f32_e32 v26, v28, v27
	s_wait_alu 0xf1ff
	v_cndmask_b32_e64 v27, 0, v27, s5
	v_cndmask_b32_e64 v20, v20, v26, s5
	ds_store_b32 v24, v27
	s_branch .LBB198_9
.LBB198_12:
	s_or_b32 exec_lo, exec_lo, s9
.LBB198_13:
	s_delay_alu instid0(SALU_CYCLE_1)
	s_or_b32 exec_lo, exec_lo, s13
	v_xor_b32_e32 v1, 16, v17
	v_xor_b32_e32 v3, 8, v17
	s_clause 0x1
	s_load_b128 s[12:15], s[0:1], 0x0
	s_load_b64 s[6:7], s[0:1], 0x10
	s_wait_kmcnt 0x0
	s_load_b64 s[8:9], s[0:1], 0x28
	v_and_b32_e32 v11, 31, v0
	v_max_num_f32_e32 v5, v20, v20
	v_cmp_lt_i32_e32 vcc_lo, v1, v19
	s_wait_alu 0xfffd
	v_cndmask_b32_e32 v1, v17, v1, vcc_lo
	v_cmp_lt_i32_e32 vcc_lo, v3, v19
	s_wait_alu 0xfffd
	v_cndmask_b32_e32 v3, v17, v3, vcc_lo
	s_delay_alu instid0(VALU_DEP_1) | instskip(SKIP_4) | instid1(VALU_DEP_1)
	v_lshlrev_b32_e32 v4, 2, v3
	v_lshlrev_b32_e32 v2, 2, v1
	ds_bpermute_b32 v1, v2, v20
	s_wait_dscnt 0x0
	v_max_num_f32_e32 v1, v1, v1
	v_max_num_f32_e32 v1, v5, v1
	v_xor_b32_e32 v5, 4, v17
	ds_bpermute_b32 v3, v4, v1
	v_cmp_lt_i32_e32 vcc_lo, v5, v19
	s_wait_alu 0xfffd
	v_cndmask_b32_e32 v5, v17, v5, vcc_lo
	v_cmp_eq_u32_e32 vcc_lo, 0, v11
	s_delay_alu instid0(VALU_DEP_2) | instskip(SKIP_3) | instid1(VALU_DEP_1)
	v_lshlrev_b32_e32 v7, 2, v5
	v_lshlrev_b32_e32 v5, 2, v13
	s_wait_dscnt 0x0
	v_max_num_f32_e32 v3, v3, v3
	v_max_num_f32_e32 v1, v1, v3
	ds_bpermute_b32 v3, v7, v1
	s_and_saveexec_b32 s0, vcc_lo
	s_cbranch_execz .LBB198_15
; %bb.14:
	s_wait_dscnt 0x0
	v_max_num_f32_e32 v3, v3, v3
	v_max_num_f32_e32 v1, v1, v1
	s_delay_alu instid0(VALU_DEP_1)
	v_max_num_f32_e32 v1, v1, v3
	ds_store_b32 v5, v1 offset:128
.LBB198_15:
	s_or_b32 exec_lo, exec_lo, s0
	v_cmp_gt_u32_e64 s0, 4, v11
	v_dual_mov_b32 v1, 0xff7fffff :: v_dual_lshlrev_b32 v6, 2, v11
	s_wait_loadcnt_dscnt 0x0
	s_barrier_signal -1
	s_barrier_wait -1
	global_inv scope:SCOPE_SE
	s_and_saveexec_b32 s1, s0
; %bb.16:
	ds_load_b32 v1, v6 offset:128
; %bb.17:
	s_or_b32 exec_lo, exec_lo, s1
	v_xor_b32_e32 v3, 2, v17
	v_xor_b32_e32 v9, 1, v17
	s_delay_alu instid0(VALU_DEP_2) | instskip(NEXT) | instid1(VALU_DEP_1)
	v_cmp_lt_i32_e64 s1, v3, v19
	v_cndmask_b32_e64 v3, v17, v3, s1
	s_delay_alu instid0(VALU_DEP_3) | instskip(NEXT) | instid1(VALU_DEP_2)
	v_cmp_lt_i32_e64 s1, v9, v19
	v_lshlrev_b32_e32 v8, 2, v3
	s_wait_alu 0xf1ff
	s_delay_alu instid0(VALU_DEP_2)
	v_cndmask_b32_e64 v9, v17, v9, s1
	s_sub_co_i32 s1, s21, s33
	s_wait_alu 0xfffe
	s_lshl_b32 s1, s1, 3
	s_wait_dscnt 0x0
	ds_bpermute_b32 v3, v8, v1
	v_max_num_f32_e32 v1, v1, v1
	s_wait_alu 0xfffe
	s_add_co_i32 s1, s1, s28
	v_lshlrev_b32_e32 v12, 2, v9
	s_wait_alu 0xfffe
	s_min_i32 s1, s1, s27
	v_mov_b32_e32 v9, 0
	s_wait_alu 0xfffe
	s_sub_co_i32 s5, s1, s28
	s_wait_alu 0xfffe
	v_cmp_gt_i32_e64 s1, s5, v0
	s_wait_dscnt 0x0
	v_max_num_f32_e32 v3, v3, v3
	s_delay_alu instid0(VALU_DEP_1) | instskip(SKIP_3) | instid1(VALU_DEP_1)
	v_max_num_f32_e32 v1, v1, v3
	ds_bpermute_b32 v3, v12, v1
	s_wait_dscnt 0x0
	v_max_num_f32_e32 v3, v3, v3
	v_max_num_f32_e32 v1, v1, v3
	v_lshlrev_b32_e32 v3, 2, v18
	ds_bpermute_b32 v1, v3, v1
	v_lshl_add_u32 v3, v0, 2, 0xa0
	s_and_saveexec_b32 s19, s1
	s_cbranch_execz .LBB198_21
; %bb.18:
	v_lshl_add_u32 v10, v0, 2, 0xa0
	v_dual_mov_b32 v9, 0 :: v_dual_mov_b32 v18, v0
	s_mov_b32 s33, 0
.LBB198_19:                             ; =>This Inner Loop Header: Depth=1
	ds_load_b32 v19, v10
	v_add_nc_u32_e32 v18, 0x80, v18
	s_delay_alu instid0(VALU_DEP_1) | instskip(SKIP_4) | instid1(VALU_DEP_1)
	v_cmp_le_i32_e64 s4, s5, v18
	s_wait_alu 0xfffe
	s_or_b32 s33, s4, s33
	s_wait_dscnt 0x0
	v_sub_f32_e32 v19, v19, v1
	v_mul_f32_e32 v19, 0x3fb8aa3b, v19
	s_delay_alu instid0(VALU_DEP_1)
	v_exp_f32_e32 v19, v19
	ds_store_b32 v10, v19
	v_dual_add_f32 v9, v9, v19 :: v_dual_add_nc_u32 v10, 0x200, v10
	s_wait_alu 0xfffe
	s_and_not1_b32 exec_lo, exec_lo, s33
	s_cbranch_execnz .LBB198_19
; %bb.20:
	s_or_b32 exec_lo, exec_lo, s33
.LBB198_21:
	s_delay_alu instid0(SALU_CYCLE_1)
	s_or_b32 exec_lo, exec_lo, s19
	ds_bpermute_b32 v2, v2, v9
	s_wait_dscnt 0x0
	v_add_f32_e32 v2, v9, v2
	ds_bpermute_b32 v4, v4, v2
	s_wait_dscnt 0x0
	v_add_f32_e32 v2, v2, v4
	;; [unrolled: 3-line block ×5, first 2 shown]
	s_and_saveexec_b32 s4, vcc_lo
; %bb.22:
	ds_store_b32 v5, v2 offset:144
; %bb.23:
	s_wait_alu 0xfffe
	s_or_b32 exec_lo, exec_lo, s4
	s_wait_loadcnt_dscnt 0x0
	s_barrier_signal -1
	s_barrier_wait -1
	global_inv scope:SCOPE_SE
	s_and_saveexec_b32 s4, s0
; %bb.24:
	ds_load_b32 v2, v6 offset:144
; %bb.25:
	s_wait_alu 0xfffe
	s_or_b32 exec_lo, exec_lo, s4
	s_wait_dscnt 0x0
	ds_bpermute_b32 v4, v8, v2
	s_wait_dscnt 0x0
	v_dual_add_f32 v2, v2, v4 :: v_dual_lshlrev_b32 v5, 2, v17
	ds_bpermute_b32 v4, v12, v2
	s_wait_dscnt 0x0
	v_add_f32_e32 v2, v2, v4
	v_and_b32_e32 v4, 0xffffff80, v5
	ds_bpermute_b32 v2, v4, v2
	s_and_saveexec_b32 s0, s1
	s_cbranch_execz .LBB198_28
; %bb.26:
	s_wait_dscnt 0x0
	v_add_f32_e32 v4, 0x358637bd, v2
	s_mov_b32 s1, 0
	s_delay_alu instid0(VALU_DEP_1) | instskip(SKIP_1) | instid1(VALU_DEP_2)
	v_div_scale_f32 v5, null, v4, v4, 1.0
	v_div_scale_f32 v8, vcc_lo, 1.0, v4, 1.0
	v_rcp_f32_e32 v6, v5
	s_delay_alu instid0(TRANS32_DEP_1) | instskip(NEXT) | instid1(VALU_DEP_1)
	v_fma_f32 v7, -v5, v6, 1.0
	v_fmac_f32_e32 v6, v7, v6
	s_delay_alu instid0(VALU_DEP_1) | instskip(NEXT) | instid1(VALU_DEP_1)
	v_mul_f32_e32 v7, v8, v6
	v_fma_f32 v9, -v5, v7, v8
	s_delay_alu instid0(VALU_DEP_1) | instskip(NEXT) | instid1(VALU_DEP_1)
	v_fmac_f32_e32 v7, v9, v6
	v_fma_f32 v5, -v5, v7, v8
	s_wait_alu 0xfffd
	s_delay_alu instid0(VALU_DEP_1) | instskip(NEXT) | instid1(VALU_DEP_1)
	v_div_fmas_f32 v5, v5, v6, v7
	v_div_fixup_f32 v4, v5, v4, 1.0
	v_mov_b32_e32 v5, v0
.LBB198_27:                             ; =>This Inner Loop Header: Depth=1
	ds_load_b32 v6, v3
	s_wait_dscnt 0x0
	v_dual_mul_f32 v6, v4, v6 :: v_dual_add_nc_u32 v5, 0x80, v5
	s_delay_alu instid0(VALU_DEP_1)
	v_cmp_le_i32_e32 vcc_lo, s5, v5
	ds_store_b32 v3, v6
	v_add_nc_u32_e32 v3, 0x200, v3
	s_wait_alu 0xfffe
	s_or_b32 s1, vcc_lo, s1
	s_wait_alu 0xfffe
	s_and_not1_b32 exec_lo, exec_lo, s1
	s_cbranch_execnz .LBB198_27
.LBB198_28:
	s_wait_alu 0xfffe
	s_or_b32 exec_lo, exec_lo, s0
	s_mul_i32 s0, s16, s29
	s_wait_loadcnt_dscnt 0x0
	s_wait_alu 0xfffe
	s_mul_i32 s4, s0, s30
	s_mov_b32 s0, exec_lo
	s_barrier_signal -1
	s_barrier_wait -1
	global_inv scope:SCOPE_SE
	v_cmpx_eq_u32_e32 0, v0
	s_cbranch_execz .LBB198_30
; %bb.29:
	s_wait_alu 0xfffe
	s_ashr_i32 s5, s4, 31
	s_mul_i32 s34, s16, ttmp9
	s_lshl_b32 s1, s26, 2
	s_wait_alu 0xfffe
	s_lshl_b64 s[36:37], s[4:5], 2
	s_ashr_i32 s35, s34, 31
	v_mov_b32_e32 v3, s1
	s_add_nc_u64 s[14:15], s[14:15], s[36:37]
	s_lshl_b64 s[34:35], s[34:35], 2
	s_add_nc_u64 s[12:13], s[12:13], s[36:37]
	s_wait_alu 0xfffe
	s_add_nc_u64 s[14:15], s[14:15], s[34:35]
	s_add_nc_u64 s[12:13], s[12:13], s[34:35]
	s_clause 0x1
	global_store_b32 v3, v1, s[14:15]
	global_store_b32 v3, v2, s[12:13]
.LBB198_30:
	s_wait_alu 0xfffe
	s_or_b32 exec_lo, exec_lo, s0
	v_dual_mov_b32 v19, 0 :: v_dual_mov_b32 v18, 0
	v_and_b32_e32 v17, 1, v0
	s_and_saveexec_b32 s1, s3
	s_cbranch_execz .LBB198_38
; %bb.31:
	s_load_b32 s5, s[10:11], 0x0
	v_and_b32_e32 v3, 0x7c, v15
	s_ashr_i32 s19, s18, 31
	v_dual_mov_b32 v19, 0 :: v_dual_lshlrev_b32 v2, 4, v17
	s_wait_kmcnt 0x0
	s_add_nc_u64 s[8:9], s[8:9], s[18:19]
	v_dual_mov_b32 v18, 0 :: v_dual_and_b32 v1, 4, v15
	s_wait_alu 0xfffe
	v_add_co_u32 v5, s0, s8, v3
	s_wait_alu 0xf1ff
	v_add_co_ci_u32_e64 v6, null, s9, 0, s0
	s_lshl_b64 s[8:9], s[22:23], 2
	v_lshl_add_u32 v4, v13, 3, s28
	v_lshl_or_b32 v2, v13, 5, v2
	s_wait_alu 0xfffe
	s_add_nc_u64 s[8:9], s[24:25], s[8:9]
	s_mov_b32 s3, s17
	s_wait_alu 0xfffe
	v_add_co_u32 v7, s0, s8, v16
	v_add3_u32 v15, v4, v1, 3
	v_add_nc_u32_e32 v20, 0xa0, v2
	s_wait_alu 0xf1ff
	v_add_co_ci_u32_e64 v8, null, s9, 0, s0
	s_mov_b32 s8, s5
	s_add_co_i32 s31, s31, -1
	s_mov_b32 s9, 0
	s_branch .LBB198_33
.LBB198_32:                             ;   in Loop: Header=BB198_33 Depth=1
	s_wait_alu 0xfffe
	s_or_b32 exec_lo, exec_lo, s0
	s_wait_dscnt 0x0
	v_dual_mul_f32 v23, v1, v23 :: v_dual_add_nc_u32 v14, 4, v14
	v_mul_f32_e32 v1, v1, v28
	v_add_co_u32 v7, s0, v7, 16
	s_delay_alu instid0(VALU_DEP_3) | instskip(NEXT) | instid1(VALU_DEP_3)
	v_dual_fmac_f32 v23, v2, v22 :: v_dual_add_nc_u32 v20, 0x80, v20
	v_fmac_f32_e32 v1, v2, v27
	v_cmp_le_i32_e32 vcc_lo, s21, v14
	v_add_nc_u32_e32 v15, 32, v15
	s_delay_alu instid0(VALU_DEP_4) | instskip(SKIP_4) | instid1(VALU_DEP_1)
	v_fmac_f32_e32 v23, v3, v21
	s_wait_alu 0xf1ff
	v_add_co_ci_u32_e64 v8, null, 0, v8, s0
	v_fmac_f32_e32 v1, v3, v10
	s_or_b32 s9, vcc_lo, s9
	v_fmac_f32_e32 v1, v4, v9
	s_delay_alu instid0(VALU_DEP_1) | instskip(NEXT) | instid1(VALU_DEP_1)
	v_dual_fmac_f32 v23, v4, v16 :: v_dual_add_f32 v18, v18, v1
	v_add_f32_e32 v19, v19, v23
	s_wait_alu 0xfffe
	s_and_not1_b32 exec_lo, exec_lo, s9
	s_cbranch_execz .LBB198_37
.LBB198_33:                             ; =>This Inner Loop Header: Depth=1
	global_load_b32 v1, v[7:8], off
	v_cmp_eq_u32_e32 vcc_lo, s31, v14
	v_add_nc_u32_e32 v25, -2, v15
	s_wait_loadcnt 0x0
	v_mad_co_i64_i32 v[9:10], null, v1, s3, v[5:6]
	ds_load_b128 v[1:4], v20
	global_load_b32 v16, v[9:10], off
	s_wait_loadcnt 0x0
	v_and_b32_e32 v21, 0xffff, v16
	v_lshrrev_b32_e32 v16, 16, v16
	s_delay_alu instid0(VALU_DEP_2) | instskip(NEXT) | instid1(VALU_DEP_2)
	v_cvt_pk_f32_fp8_e32 v[21:22], v21
	v_cvt_pk_f32_fp8_e32 v[26:27], v16
	s_delay_alu instid0(VALU_DEP_2) | instskip(SKIP_1) | instid1(VALU_DEP_3)
	v_dual_mul_f32 v23, s5, v21 :: v_dual_add_nc_u32 v24, -3, v15
	s_wait_alu 0xfffe
	v_mul_f32_e32 v22, s8, v22
	s_delay_alu instid0(VALU_DEP_3)
	v_dual_mul_f32 v21, s5, v26 :: v_dual_mul_f32 v16, s8, v27
	v_add_nc_u32_e32 v26, -1, v15
	s_and_saveexec_b32 s10, vcc_lo
	s_cbranch_execz .LBB198_35
; %bb.34:                               ;   in Loop: Header=BB198_33 Depth=1
	v_cmp_gt_i32_e64 s0, s27, v24
	s_wait_alu 0xf1ff
	s_delay_alu instid0(VALU_DEP_1) | instskip(SKIP_2) | instid1(VALU_DEP_1)
	v_cndmask_b32_e64 v23, 0, v23, s0
	v_cmp_gt_i32_e64 s0, s27, v25
	s_wait_alu 0xf1ff
	v_cndmask_b32_e64 v22, 0, v22, s0
	v_cmp_gt_i32_e64 s0, s27, v26
	s_wait_alu 0xf1ff
	s_delay_alu instid0(VALU_DEP_1) | instskip(SKIP_2) | instid1(VALU_DEP_1)
	v_cndmask_b32_e64 v21, 0, v21, s0
	v_cmp_gt_i32_e64 s0, s27, v15
	s_wait_alu 0xf1ff
	v_cndmask_b32_e64 v16, 0, v16, s0
.LBB198_35:                             ;   in Loop: Header=BB198_33 Depth=1
	s_or_b32 exec_lo, exec_lo, s10
	global_load_b32 v9, v[9:10], off offset:128
	s_wait_loadcnt 0x0
	v_lshrrev_b32_e32 v27, 16, v9
	s_delay_alu instid0(VALU_DEP_1) | instskip(SKIP_1) | instid1(VALU_DEP_1)
	v_cvt_pk_f32_fp8_e32 v[29:30], v27
	v_and_b32_e32 v10, 0xffff, v9
	v_cvt_pk_f32_fp8_e32 v[9:10], v10
	s_delay_alu instid0(VALU_DEP_1) | instskip(NEXT) | instid1(VALU_DEP_4)
	v_dual_mul_f32 v28, s5, v9 :: v_dual_mul_f32 v27, s8, v10
	v_dual_mul_f32 v10, s5, v29 :: v_dual_mul_f32 v9, s8, v30
	s_and_saveexec_b32 s0, vcc_lo
	s_cbranch_execz .LBB198_32
; %bb.36:                               ;   in Loop: Header=BB198_33 Depth=1
	v_cmp_gt_i32_e32 vcc_lo, s27, v24
	s_wait_alu 0xfffd
	v_cndmask_b32_e32 v28, 0, v28, vcc_lo
	v_cmp_gt_i32_e32 vcc_lo, s27, v25
	s_wait_alu 0xfffd
	v_cndmask_b32_e32 v27, 0, v27, vcc_lo
	;; [unrolled: 3-line block ×4, first 2 shown]
	s_branch .LBB198_32
.LBB198_37:
	s_or_b32 exec_lo, exec_lo, s9
.LBB198_38:
	s_wait_alu 0xfffe
	s_or_b32 exec_lo, exec_lo, s1
	ds_bpermute_b32 v1, v12, v19
	ds_bpermute_b32 v2, v12, v18
	v_lshrrev_b32_e32 v3, 1, v11
	v_and_b32_e32 v5, 0x3c1, v0
	s_mov_b32 s0, exec_lo
	s_wait_storecnt 0x0
	s_wait_loadcnt_dscnt 0x0
	s_barrier_signal -1
	v_lshl_add_u32 v4, v3, 2, 0xa0
	s_barrier_wait -1
	global_inv scope:SCOPE_SE
	v_dual_add_f32 v1, v19, v1 :: v_dual_add_f32 v2, v18, v2
	v_cmpx_eq_u32_e32 64, v5
	s_cbranch_execz .LBB198_40
; %bb.39:
	v_lshl_add_u32 v5, v13, 7, v4
	s_delay_alu instid0(VALU_DEP_1)
	v_add_nc_u32_e32 v6, 0xffffff00, v5
	v_add_nc_u32_e32 v5, 0xffffff40, v5
	ds_store_b32 v6, v1
	ds_store_b32 v5, v2
.LBB198_40:
	s_wait_alu 0xfffe
	s_or_b32 exec_lo, exec_lo, s0
	v_and_b32_e32 v5, 0x3e0, v0
	v_lshlrev_b32_e32 v3, 2, v3
	s_mov_b32 s1, exec_lo
	v_cmp_eq_u32_e32 vcc_lo, 0, v17
	s_wait_loadcnt_dscnt 0x0
	v_lshlrev_b32_e32 v5, 2, v5
	s_barrier_signal -1
	s_barrier_wait -1
	global_inv scope:SCOPE_SE
	v_add3_u32 v3, 0xa0, v5, v3
	v_cmpx_gt_u32_e32 64, v0
	s_cbranch_execz .LBB198_46
; %bb.41:
	s_and_saveexec_b32 s0, vcc_lo
	s_cbranch_execz .LBB198_43
; %bb.42:
	ds_load_b32 v5, v3
	s_wait_dscnt 0x0
	v_add_f32_e32 v1, v1, v5
.LBB198_43:
	s_wait_alu 0xfffe
	s_or_b32 exec_lo, exec_lo, s0
	s_and_saveexec_b32 s0, vcc_lo
	s_cbranch_execz .LBB198_45
; %bb.44:
	ds_load_b32 v5, v3 offset:64
	s_wait_dscnt 0x0
	v_add_f32_e32 v2, v2, v5
.LBB198_45:
	s_wait_alu 0xfffe
	s_or_b32 exec_lo, exec_lo, s0
.LBB198_46:
	s_wait_alu 0xfffe
	s_or_b32 exec_lo, exec_lo, s1
	v_and_b32_e32 v5, 0x3e1, v0
	s_mov_b32 s1, exec_lo
	s_wait_loadcnt 0x0
	s_barrier_signal -1
	s_barrier_wait -1
	global_inv scope:SCOPE_SE
	v_cmpx_eq_u32_e32 32, v5
; %bb.47:
	ds_store_2addr_b32 v4, v1, v2 offset1:16
; %bb.48:
	s_wait_alu 0xfffe
	s_or_b32 exec_lo, exec_lo, s1
	s_wait_loadcnt_dscnt 0x0
	s_barrier_signal -1
	s_barrier_wait -1
	global_inv scope:SCOPE_SE
	s_and_saveexec_b32 s0, s2
	s_cbranch_execz .LBB198_54
; %bb.49:
	s_and_saveexec_b32 s1, vcc_lo
	s_cbranch_execz .LBB198_51
; %bb.50:
	ds_load_b32 v4, v3
	s_wait_dscnt 0x0
	v_add_f32_e32 v1, v1, v4
.LBB198_51:
	s_wait_alu 0xfffe
	s_or_b32 exec_lo, exec_lo, s1
	s_and_saveexec_b32 s1, vcc_lo
	s_cbranch_execz .LBB198_53
; %bb.52:
	ds_load_b32 v3, v3 offset:64
	s_wait_dscnt 0x0
	v_add_f32_e32 v2, v2, v3
.LBB198_53:
	s_wait_alu 0xfffe
	s_or_b32 exec_lo, exec_lo, s1
.LBB198_54:
	s_wait_alu 0xfffe
	s_or_b32 exec_lo, exec_lo, s0
	s_mov_b32 s1, 0
	s_wait_loadcnt 0x0
	s_barrier_signal -1
	s_barrier_wait -1
	global_inv scope:SCOPE_SE
	s_mov_b32 s0, exec_lo
	v_cmpx_eq_u32_e32 0, v5
	s_cbranch_execz .LBB198_56
; %bb.55:
	s_lshl_b32 s2, s4, 5
	s_mul_i32 s4, s16, s20
	s_wait_alu 0xfffe
	s_ashr_i32 s3, s2, 31
	s_ashr_i32 s5, s4, 31
	s_wait_alu 0xfffe
	s_lshl_b64 s[2:3], s[2:3], 2
	s_lshl_b64 s[4:5], s[4:5], 2
	s_wait_alu 0xfffe
	s_add_nc_u64 s[2:3], s[6:7], s[2:3]
	v_lshlrev_b32_e32 v0, 1, v0
	s_lshl_b32 s0, s26, 7
	s_wait_alu 0xfffe
	s_add_nc_u64 s[2:3], s[2:3], s[4:5]
	s_wait_alu 0xfffe
	s_add_nc_u64 s[0:1], s[2:3], s[0:1]
	s_clause 0x1
	global_store_b32 v0, v1, s[0:1]
	global_store_b32 v0, v2, s[0:1] offset:64
.LBB198_56:
	s_endpgm
	.section	.rodata,"a",@progbits
	.p2align	6, 0x0
	.amdhsa_kernel _ZN4vllm25paged_attention_v2_kernelIfhLi32ELi8ELi128ELNS_18Fp8KVCacheDataTypeE1ELb0ELi512EEEvPfS2_PT_PKS3_PKT0_S9_ifPKiSB_iPKfiiiSD_SD_iiiii
		.amdhsa_group_segment_fixed_size 160
		.amdhsa_private_segment_fixed_size 0
		.amdhsa_kernarg_size 400
		.amdhsa_user_sgpr_count 2
		.amdhsa_user_sgpr_dispatch_ptr 0
		.amdhsa_user_sgpr_queue_ptr 0
		.amdhsa_user_sgpr_kernarg_segment_ptr 1
		.amdhsa_user_sgpr_dispatch_id 0
		.amdhsa_user_sgpr_private_segment_size 0
		.amdhsa_wavefront_size32 1
		.amdhsa_uses_dynamic_stack 0
		.amdhsa_enable_private_segment 0
		.amdhsa_system_sgpr_workgroup_id_x 1
		.amdhsa_system_sgpr_workgroup_id_y 1
		.amdhsa_system_sgpr_workgroup_id_z 1
		.amdhsa_system_sgpr_workgroup_info 0
		.amdhsa_system_vgpr_workitem_id 0
		.amdhsa_next_free_vgpr 35
		.amdhsa_next_free_sgpr 38
		.amdhsa_reserve_vcc 1
		.amdhsa_float_round_mode_32 0
		.amdhsa_float_round_mode_16_64 0
		.amdhsa_float_denorm_mode_32 3
		.amdhsa_float_denorm_mode_16_64 3
		.amdhsa_fp16_overflow 0
		.amdhsa_workgroup_processor_mode 1
		.amdhsa_memory_ordered 1
		.amdhsa_forward_progress 1
		.amdhsa_inst_pref_size 31
		.amdhsa_round_robin_scheduling 0
		.amdhsa_exception_fp_ieee_invalid_op 0
		.amdhsa_exception_fp_denorm_src 0
		.amdhsa_exception_fp_ieee_div_zero 0
		.amdhsa_exception_fp_ieee_overflow 0
		.amdhsa_exception_fp_ieee_underflow 0
		.amdhsa_exception_fp_ieee_inexact 0
		.amdhsa_exception_int_div_zero 0
	.end_amdhsa_kernel
	.section	.text._ZN4vllm25paged_attention_v2_kernelIfhLi32ELi8ELi128ELNS_18Fp8KVCacheDataTypeE1ELb0ELi512EEEvPfS2_PT_PKS3_PKT0_S9_ifPKiSB_iPKfiiiSD_SD_iiiii,"axG",@progbits,_ZN4vllm25paged_attention_v2_kernelIfhLi32ELi8ELi128ELNS_18Fp8KVCacheDataTypeE1ELb0ELi512EEEvPfS2_PT_PKS3_PKT0_S9_ifPKiSB_iPKfiiiSD_SD_iiiii,comdat
.Lfunc_end198:
	.size	_ZN4vllm25paged_attention_v2_kernelIfhLi32ELi8ELi128ELNS_18Fp8KVCacheDataTypeE1ELb0ELi512EEEvPfS2_PT_PKS3_PKT0_S9_ifPKiSB_iPKfiiiSD_SD_iiiii, .Lfunc_end198-_ZN4vllm25paged_attention_v2_kernelIfhLi32ELi8ELi128ELNS_18Fp8KVCacheDataTypeE1ELb0ELi512EEEvPfS2_PT_PKS3_PKT0_S9_ifPKiSB_iPKfiiiSD_SD_iiiii
                                        ; -- End function
	.set _ZN4vllm25paged_attention_v2_kernelIfhLi32ELi8ELi128ELNS_18Fp8KVCacheDataTypeE1ELb0ELi512EEEvPfS2_PT_PKS3_PKT0_S9_ifPKiSB_iPKfiiiSD_SD_iiiii.num_vgpr, 35
	.set _ZN4vllm25paged_attention_v2_kernelIfhLi32ELi8ELi128ELNS_18Fp8KVCacheDataTypeE1ELb0ELi512EEEvPfS2_PT_PKS3_PKT0_S9_ifPKiSB_iPKfiiiSD_SD_iiiii.num_agpr, 0
	.set _ZN4vllm25paged_attention_v2_kernelIfhLi32ELi8ELi128ELNS_18Fp8KVCacheDataTypeE1ELb0ELi512EEEvPfS2_PT_PKS3_PKT0_S9_ifPKiSB_iPKfiiiSD_SD_iiiii.numbered_sgpr, 38
	.set _ZN4vllm25paged_attention_v2_kernelIfhLi32ELi8ELi128ELNS_18Fp8KVCacheDataTypeE1ELb0ELi512EEEvPfS2_PT_PKS3_PKT0_S9_ifPKiSB_iPKfiiiSD_SD_iiiii.num_named_barrier, 0
	.set _ZN4vllm25paged_attention_v2_kernelIfhLi32ELi8ELi128ELNS_18Fp8KVCacheDataTypeE1ELb0ELi512EEEvPfS2_PT_PKS3_PKT0_S9_ifPKiSB_iPKfiiiSD_SD_iiiii.private_seg_size, 0
	.set _ZN4vllm25paged_attention_v2_kernelIfhLi32ELi8ELi128ELNS_18Fp8KVCacheDataTypeE1ELb0ELi512EEEvPfS2_PT_PKS3_PKT0_S9_ifPKiSB_iPKfiiiSD_SD_iiiii.uses_vcc, 1
	.set _ZN4vllm25paged_attention_v2_kernelIfhLi32ELi8ELi128ELNS_18Fp8KVCacheDataTypeE1ELb0ELi512EEEvPfS2_PT_PKS3_PKT0_S9_ifPKiSB_iPKfiiiSD_SD_iiiii.uses_flat_scratch, 0
	.set _ZN4vllm25paged_attention_v2_kernelIfhLi32ELi8ELi128ELNS_18Fp8KVCacheDataTypeE1ELb0ELi512EEEvPfS2_PT_PKS3_PKT0_S9_ifPKiSB_iPKfiiiSD_SD_iiiii.has_dyn_sized_stack, 0
	.set _ZN4vllm25paged_attention_v2_kernelIfhLi32ELi8ELi128ELNS_18Fp8KVCacheDataTypeE1ELb0ELi512EEEvPfS2_PT_PKS3_PKT0_S9_ifPKiSB_iPKfiiiSD_SD_iiiii.has_recursion, 0
	.set _ZN4vllm25paged_attention_v2_kernelIfhLi32ELi8ELi128ELNS_18Fp8KVCacheDataTypeE1ELb0ELi512EEEvPfS2_PT_PKS3_PKT0_S9_ifPKiSB_iPKfiiiSD_SD_iiiii.has_indirect_call, 0
	.section	.AMDGPU.csdata,"",@progbits
; Kernel info:
; codeLenInByte = 3852
; TotalNumSgprs: 40
; NumVgprs: 35
; ScratchSize: 0
; MemoryBound: 0
; FloatMode: 240
; IeeeMode: 1
; LDSByteSize: 160 bytes/workgroup (compile time only)
; SGPRBlocks: 0
; VGPRBlocks: 4
; NumSGPRsForWavesPerEU: 40
; NumVGPRsForWavesPerEU: 35
; Occupancy: 16
; WaveLimiterHint : 1
; COMPUTE_PGM_RSRC2:SCRATCH_EN: 0
; COMPUTE_PGM_RSRC2:USER_SGPR: 2
; COMPUTE_PGM_RSRC2:TRAP_HANDLER: 0
; COMPUTE_PGM_RSRC2:TGID_X_EN: 1
; COMPUTE_PGM_RSRC2:TGID_Y_EN: 1
; COMPUTE_PGM_RSRC2:TGID_Z_EN: 1
; COMPUTE_PGM_RSRC2:TIDIG_COMP_CNT: 0
	.section	.text._ZN4vllm25paged_attention_v2_kernelIfhLi64ELi8ELi128ELNS_18Fp8KVCacheDataTypeE1ELb0ELi512EEEvPfS2_PT_PKS3_PKT0_S9_ifPKiSB_iPKfiiiSD_SD_iiiii,"axG",@progbits,_ZN4vllm25paged_attention_v2_kernelIfhLi64ELi8ELi128ELNS_18Fp8KVCacheDataTypeE1ELb0ELi512EEEvPfS2_PT_PKS3_PKT0_S9_ifPKiSB_iPKfiiiSD_SD_iiiii,comdat
	.protected	_ZN4vllm25paged_attention_v2_kernelIfhLi64ELi8ELi128ELNS_18Fp8KVCacheDataTypeE1ELb0ELi512EEEvPfS2_PT_PKS3_PKT0_S9_ifPKiSB_iPKfiiiSD_SD_iiiii ; -- Begin function _ZN4vllm25paged_attention_v2_kernelIfhLi64ELi8ELi128ELNS_18Fp8KVCacheDataTypeE1ELb0ELi512EEEvPfS2_PT_PKS3_PKT0_S9_ifPKiSB_iPKfiiiSD_SD_iiiii
	.globl	_ZN4vllm25paged_attention_v2_kernelIfhLi64ELi8ELi128ELNS_18Fp8KVCacheDataTypeE1ELb0ELi512EEEvPfS2_PT_PKS3_PKT0_S9_ifPKiSB_iPKfiiiSD_SD_iiiii
	.p2align	8
	.type	_ZN4vllm25paged_attention_v2_kernelIfhLi64ELi8ELi128ELNS_18Fp8KVCacheDataTypeE1ELb0ELi512EEEvPfS2_PT_PKS3_PKT0_S9_ifPKiSB_iPKfiiiSD_SD_iiiii,@function
_ZN4vllm25paged_attention_v2_kernelIfhLi64ELi8ELi128ELNS_18Fp8KVCacheDataTypeE1ELb0ELi512EEEvPfS2_PT_PKS3_PKT0_S9_ifPKiSB_iPKfiiiSD_SD_iiiii: ; @_ZN4vllm25paged_attention_v2_kernelIfhLi64ELi8ELi128ELNS_18Fp8KVCacheDataTypeE1ELb0ELi512EEEvPfS2_PT_PKS3_PKT0_S9_ifPKiSB_iPKfiiiSD_SD_iiiii
; %bb.0:
	s_load_b64 s[2:3], s[0:1], 0x40
	s_and_b32 s30, ttmp7, 0xffff
	s_lshr_b32 s29, ttmp7, 16
	s_lshl_b32 s4, s30, 2
	s_lshl_b32 s28, s29, 9
	s_wait_kmcnt 0x0
	s_load_b32 s26, s[2:3], s4 offset:0x0
	s_wait_kmcnt 0x0
	s_cmp_ge_i32 s28, s26
	s_cbranch_scc1 .LBB199_62
; %bb.1:
	s_clause 0x1
	s_load_b32 s31, s[0:1], 0x90
	s_load_b64 s[6:7], s[0:1], 0x30
	s_wait_kmcnt 0x0
	s_abs_i32 s5, s31
	s_abs_i32 s2, s6
	s_delay_alu instid0(SALU_CYCLE_1) | instskip(SKIP_1) | instid1(SALU_CYCLE_2)
	s_cvt_f32_u32 s3, s2
	s_sub_co_i32 s4, 0, s2
	v_rcp_iflag_f32_e32 v1, s3
	s_delay_alu instid0(TRANS32_DEP_1) | instskip(SKIP_2) | instid1(SALU_CYCLE_2)
	v_readfirstlane_b32 s3, v1
	s_mul_f32 s3, s3, 0x4f7ffffe
	s_wait_alu 0xfffe
	s_cvt_u32_f32 s3, s3
	s_wait_alu 0xfffe
	s_delay_alu instid0(SALU_CYCLE_2) | instskip(NEXT) | instid1(SALU_CYCLE_1)
	s_mul_i32 s4, s4, s3
	s_mul_hi_u32 s4, s3, s4
	s_delay_alu instid0(SALU_CYCLE_1)
	s_add_co_i32 s3, s3, s4
	s_xor_b32 s4, s31, s6
	s_wait_alu 0xfffe
	s_mul_hi_u32 s3, s5, s3
	s_ashr_i32 s4, s4, 31
	s_wait_alu 0xfffe
	s_mul_i32 s6, s3, s2
	s_delay_alu instid0(SALU_CYCLE_1)
	s_sub_co_i32 s5, s5, s6
	s_add_co_i32 s6, s3, 1
	s_sub_co_i32 s8, s5, s2
	s_cmp_ge_u32 s5, s2
	s_cselect_b32 s3, s6, s3
	s_cselect_b32 s5, s8, s5
	s_wait_alu 0xfffe
	s_add_co_i32 s6, s3, 1
	s_cmp_ge_u32 s5, s2
	s_load_b64 s[8:9], s[0:1], 0x50
	s_cselect_b32 s2, s6, s3
	s_mov_b32 s5, 0
	s_wait_alu 0xfffe
	s_xor_b32 s2, s2, s4
	s_mov_b32 s12, s5
	s_wait_alu 0xfffe
	s_sub_co_i32 s10, s2, s4
	s_abs_i32 s4, ttmp9
	s_abs_i32 s6, s10
	s_delay_alu instid0(SALU_CYCLE_1) | instskip(SKIP_2) | instid1(SALU_CYCLE_1)
	s_cvt_f32_u32 s2, s6
	s_sub_co_i32 s3, 0, s6
	s_wait_alu 0xfffe
	v_rcp_iflag_f32_e32 v1, s2
	s_delay_alu instid0(TRANS32_DEP_1) | instskip(SKIP_2) | instid1(SALU_CYCLE_2)
	v_readfirstlane_b32 s2, v1
	s_mul_f32 s2, s2, 0x4f7ffffe
	s_wait_alu 0xfffe
	s_cvt_u32_f32 s2, s2
	s_wait_alu 0xfffe
	s_delay_alu instid0(SALU_CYCLE_2)
	s_mul_i32 s3, s3, s2
	s_wait_alu 0xfffe
	s_mul_hi_u32 s3, s2, s3
	s_wait_alu 0xfffe
	s_add_co_i32 s2, s2, s3
	s_mov_b32 s3, s5
	s_wait_kmcnt 0x0
	s_cmp_eq_u64 s[8:9], 0
	s_cbranch_scc1 .LBB199_3
; %bb.2:
	s_mov_b32 s12, ttmp9
	s_ashr_i32 s13, ttmp9, 31
	s_delay_alu instid0(SALU_CYCLE_1) | instskip(NEXT) | instid1(SALU_CYCLE_1)
	s_lshl_b64 s[12:13], s[12:13], 2
	s_add_nc_u64 s[8:9], s[8:9], s[12:13]
	s_load_b32 s12, s[8:9], 0x0
.LBB199_3:
	s_load_b96 s[16:18], s[0:1], 0x58
	s_mul_u64 s[2:3], s[4:5], s[2:3]
	v_and_b32_e32 v17, 3, v0
	v_cmp_gt_u32_e64 s2, 64, v0
	v_lshlrev_b32_e32 v23, 2, v0
	s_ashr_i32 s5, ttmp9, 31
	s_ashr_i32 s8, s10, 31
	s_lshl_b32 s20, ttmp9, 6
	s_wait_alu 0xfffe
	s_and_saveexec_b32 s9, s2
	s_cbranch_execz .LBB199_5
; %bb.4:
	s_load_b64 s[10:11], s[0:1], 0x18
	s_wait_kmcnt 0x0
	s_mul_i32 s14, s16, s30
	s_ashr_i32 s21, s20, 31
	s_ashr_i32 s15, s14, 31
	v_and_b32_e32 v2, 0x3fc, v0
	s_lshl_b64 s[14:15], s[14:15], 2
	s_delay_alu instid0(VALU_DEP_1) | instskip(SKIP_2) | instid1(SALU_CYCLE_1)
	v_lshl_add_u32 v2, v17, 6, v2
	s_add_nc_u64 s[10:11], s[10:11], s[14:15]
	s_lshl_b64 s[14:15], s[20:21], 2
	s_add_nc_u64 s[10:11], s[10:11], s[14:15]
	global_load_b32 v1, v23, s[10:11]
	s_wait_loadcnt 0x0
	ds_store_b32 v2, v1
.LBB199_5:
	s_or_b32 exec_lo, exec_lo, s9
	s_add_co_i32 s9, s26, 7
	s_xor_b32 s5, s5, s8
	s_ashr_i32 s10, s9, 31
	s_wait_kmcnt 0x0
	s_lshl_b32 s16, s29, 6
	s_lshr_b32 s8, s10, 29
	s_mul_i32 s10, s3, s6
	s_add_co_i32 s9, s9, s8
	s_add_co_i32 s8, s16, 64
	s_ashr_i32 s33, s9, 3
	s_load_b32 s9, s[0:1], 0x48
	s_sub_co_i32 s4, s4, s10
	s_min_i32 s27, s8, s33
	s_add_co_i32 s8, s3, 1
	s_sub_co_i32 s10, s4, s6
	s_cmp_ge_u32 s4, s6
	v_lshrrev_b32_e32 v21, 5, v0
	s_cselect_b32 s3, s8, s3
	s_cselect_b32 s4, s10, s4
	s_wait_alu 0xfffe
	s_add_co_i32 s8, s3, 1
	s_cmp_ge_u32 s4, s6
	v_or_b32_e32 v22, s16, v21
	s_cselect_b32 s3, s8, s3
	v_mbcnt_lo_u32_b32 v25, -1, 0
	s_wait_alu 0xfffe
	s_xor_b32 s3, s3, s5
	s_wait_dscnt 0x0
	s_wait_alu 0xfffe
	s_sub_co_i32 s4, s3, s5
	v_cmp_gt_i32_e64 s3, s27, v22
	s_mov_b32 s5, exec_lo
	s_barrier_signal -1
	s_wait_kmcnt 0x0
	s_mul_i32 s22, s9, s30
	s_barrier_wait -1
	s_ashr_i32 s23, s22, 31
	global_inv scope:SCOPE_SE
                                        ; implicit-def: $vgpr26
                                        ; implicit-def: $vgpr27
	v_cmpx_le_i32_e64 s27, v22
	s_xor_b32 s5, exec_lo, s5
; %bb.6:
	v_dual_mov_b32 v26, 0 :: v_dual_mov_b32 v27, 32
	v_mbcnt_lo_u32_b32 v25, -1, 0
                                        ; implicit-def: $vgpr17
; %bb.7:
	s_or_saveexec_b32 s13, s5
	s_clause 0x2
	s_load_b32 s21, s[0:1], 0x98
	s_load_b64 s[24:25], s[0:1], 0x38
	s_load_b128 s[8:11], s[0:1], 0x68
	v_mov_b32_e32 v28, 0xff7fffff
	v_lshlrev_b32_e32 v24, 2, v22
	s_mul_i32 s18, s4, s18
	s_xor_b32 exec_lo, exec_lo, s13
	s_cbranch_execz .LBB199_13
; %bb.8:
	s_load_b64 s[4:5], s[0:1], 0x20
	v_xor_b32_e32 v9, 2, v25
	v_xor_b32_e32 v18, 1, v25
	v_dual_mov_b32 v26, 0 :: v_dual_lshlrev_b32 v13, 6, v17
	v_bfe_u32 v19, v0, 2, 3
	s_delay_alu instid0(VALU_DEP_4)
	v_cmp_gt_i32_e32 vcc_lo, 32, v9
	ds_load_b128 v[1:4], v13
	ds_load_b128 v[5:8], v13 offset:16
	v_dual_mov_b32 v33, v22 :: v_dual_cndmask_b32 v28, v25, v9
	v_cmp_gt_i32_e32 vcc_lo, 32, v18
	ds_load_b128 v[9:12], v13 offset:32
	ds_load_b128 v[13:16], v13 offset:48
	s_wait_kmcnt 0x0
	s_load_b32 s8, s[8:9], 0x0
	v_dual_mov_b32 v27, 32 :: v_dual_lshlrev_b32 v20, 4, v19
	v_dual_cndmask_b32 v18, v25, v18 :: v_dual_lshlrev_b32 v29, 2, v28
	s_ashr_i32 s19, s18, 31
	s_cmp_neq_f32 s12, 0
	s_add_nc_u64 s[4:5], s[4:5], s[18:19]
	s_delay_alu instid0(VALU_DEP_1)
	v_lshlrev_b32_e32 v30, 2, v18
	v_lshlrev_b32_e32 v18, 2, v19
	v_add_co_u32 v20, s4, s4, v20
	s_wait_alu 0xf1ff
	v_add_co_ci_u32_e64 v28, null, s5, 0, s4
	v_lshlrev_b32_e32 v31, 3, v21
	s_cselect_b32 s4, -1, 0
	s_lshl_b64 s[14:15], s[22:23], 2
	v_lshl_or_b32 v32, v21, 5, v18
	v_cmp_eq_u32_e32 vcc_lo, 0, v17
	v_add_co_u32 v17, s5, v20, v17
	s_add_nc_u64 s[14:15], s[24:25], s[14:15]
	s_wait_alu 0xf1ff
	v_add_co_ci_u32_e64 v18, null, 0, v28, s5
	v_mov_b32_e32 v28, 0xff7fffff
	v_add3_u32 v31, s28, v31, v19
	v_add_co_u32 v19, s5, s14, v24
	v_add_nc_u32_e32 v32, 0x120, v32
	s_wait_alu 0xf1ff
	v_add_co_ci_u32_e64 v20, null, s15, 0, s5
	s_mov_b32 s14, s17
	s_mov_b32 s9, 0
	s_sub_co_i32 s15, 1, s26
	s_branch .LBB199_10
.LBB199_9:                              ;   in Loop: Header=BB199_10 Depth=1
	s_wait_alu 0xfffe
	s_or_b32 exec_lo, exec_lo, s6
	v_add_nc_u32_e32 v33, 4, v33
	v_add_co_u32 v19, s6, v19, 16
	v_add_nc_u32_e32 v31, 32, v31
	v_add_nc_u32_e32 v32, 0x80, v32
	s_delay_alu instid0(VALU_DEP_4)
	v_cmp_le_i32_e64 s5, s27, v33
	s_wait_alu 0xf1ff
	v_add_co_ci_u32_e64 v20, null, 0, v20, s6
	s_or_b32 s9, s5, s9
	s_wait_alu 0xfffe
	s_and_not1_b32 exec_lo, exec_lo, s9
	s_cbranch_execz .LBB199_12
.LBB199_10:                             ; =>This Inner Loop Header: Depth=1
	global_load_b32 v34, v[19:20], off
	s_wait_loadcnt_dscnt 0x0
	s_wait_alu 0xfffe
	v_mad_co_i64_i32 v[34:35], null, v34, s14, v[17:18]
	s_clause 0xf
	global_load_u8 v36, v[34:35], off offset:4
	global_load_u8 v37, v[34:35], off
	global_load_u8 v38, v[34:35], off offset:8
	global_load_u8 v39, v[34:35], off offset:12
	;; [unrolled: 1-line block ×14, first 2 shown]
	s_wait_loadcnt 0xf
	v_cvt_f32_fp8_e32 v35, v36
	s_wait_loadcnt 0xe
	v_cvt_f32_fp8_e32 v36, v37
	;; [unrolled: 2-line block ×4, first 2 shown]
	s_wait_kmcnt 0x0
	v_dual_mul_f32 v35, s8, v35 :: v_dual_mul_f32 v36, s8, v36
	s_wait_dscnt 0x3
	s_delay_alu instid0(VALU_DEP_1) | instskip(NEXT) | instid1(VALU_DEP_1)
	v_dual_mul_f32 v38, s8, v38 :: v_dual_mul_f32 v35, v2, v35
	v_fmac_f32_e32 v35, v1, v36
	s_wait_loadcnt 0xb
	v_cvt_f32_fp8_e32 v36, v40
	v_mul_f32_e32 v37, s8, v37
	s_wait_loadcnt 0x0
	v_cvt_f32_fp8_e32 v34, v34
	s_delay_alu instid0(VALU_DEP_2) | instskip(SKIP_1) | instid1(VALU_DEP_3)
	v_dual_mul_f32 v36, s8, v36 :: v_dual_fmac_f32 v35, v3, v37
	v_cvt_f32_fp8_e32 v37, v41
	v_mul_f32_e32 v34, s8, v34
	s_delay_alu instid0(VALU_DEP_3) | instskip(SKIP_1) | instid1(VALU_DEP_4)
	v_fmac_f32_e32 v35, v4, v38
	v_cvt_f32_fp8_e32 v38, v42
	v_mul_f32_e32 v37, s8, v37
	s_wait_dscnt 0x2
	s_delay_alu instid0(VALU_DEP_2) | instskip(SKIP_1) | instid1(VALU_DEP_2)
	v_dual_fmac_f32 v35, v5, v36 :: v_dual_mul_f32 v36, s8, v38
	v_cvt_f32_fp8_e32 v38, v43
	v_fmac_f32_e32 v35, v6, v37
	v_cvt_f32_fp8_e32 v37, v44
	s_delay_alu instid0(VALU_DEP_2) | instskip(NEXT) | instid1(VALU_DEP_2)
	v_dual_mul_f32 v38, s8, v38 :: v_dual_fmac_f32 v35, v7, v36
	v_mul_f32_e32 v36, s8, v37
	v_cvt_f32_fp8_e32 v37, v45
	s_delay_alu instid0(VALU_DEP_3) | instskip(SKIP_1) | instid1(VALU_DEP_3)
	v_fmac_f32_e32 v35, v8, v38
	v_cvt_f32_fp8_e32 v38, v46
	v_mul_f32_e32 v37, s8, v37
	s_wait_dscnt 0x1
	s_delay_alu instid0(VALU_DEP_2) | instskip(SKIP_1) | instid1(VALU_DEP_2)
	v_dual_fmac_f32 v35, v9, v36 :: v_dual_mul_f32 v36, s8, v38
	v_cvt_f32_fp8_e32 v38, v47
	v_fmac_f32_e32 v35, v10, v37
	v_cvt_f32_fp8_e32 v37, v48
	s_delay_alu instid0(VALU_DEP_2) | instskip(NEXT) | instid1(VALU_DEP_2)
	v_dual_mul_f32 v38, s8, v38 :: v_dual_fmac_f32 v35, v11, v36
	v_mul_f32_e32 v36, s8, v37
	v_cvt_f32_fp8_e32 v37, v49
	s_delay_alu instid0(VALU_DEP_3) | instskip(SKIP_1) | instid1(VALU_DEP_3)
	v_fmac_f32_e32 v35, v12, v38
	v_cvt_f32_fp8_e32 v38, v50
	v_mul_f32_e32 v37, s8, v37
	s_wait_dscnt 0x0
	s_delay_alu instid0(VALU_DEP_2) | instskip(NEXT) | instid1(VALU_DEP_1)
	v_dual_fmac_f32 v35, v13, v36 :: v_dual_mul_f32 v36, s8, v38
	v_fmac_f32_e32 v35, v14, v37
	s_delay_alu instid0(VALU_DEP_1) | instskip(NEXT) | instid1(VALU_DEP_1)
	v_fmac_f32_e32 v35, v15, v36
	v_fmac_f32_e32 v35, v16, v34
	ds_bpermute_b32 v34, v29, v35
	s_wait_dscnt 0x0
	v_add_f32_e32 v34, v35, v34
	ds_bpermute_b32 v35, v30, v34
	s_and_saveexec_b32 s6, vcc_lo
	s_cbranch_execz .LBB199_9
; %bb.11:                               ;   in Loop: Header=BB199_10 Depth=1
	s_wait_dscnt 0x0
	v_add_f32_e32 v34, v34, v35
	v_add_nc_u32_e32 v36, s15, v31
	v_cmp_gt_i32_e64 s5, s26, v31
	s_delay_alu instid0(VALU_DEP_2) | instskip(NEXT) | instid1(VALU_DEP_1)
	v_cvt_f32_i32_e32 v36, v36
	v_mul_f32_e32 v36, s12, v36
	s_delay_alu instid0(VALU_DEP_1) | instskip(NEXT) | instid1(VALU_DEP_1)
	v_cndmask_b32_e64 v35, 0, v36, s4
	v_dual_max_num_f32 v36, v28, v28 :: v_dual_fmac_f32 v35, s7, v34
	s_delay_alu instid0(VALU_DEP_1) | instskip(SKIP_2) | instid1(VALU_DEP_2)
	v_max_num_f32_e32 v34, v36, v35
	s_wait_alu 0xf1ff
	v_cndmask_b32_e64 v35, 0, v35, s5
	v_cndmask_b32_e64 v28, v28, v34, s5
	ds_store_b32 v32, v35
	s_branch .LBB199_9
.LBB199_12:
	s_or_b32 exec_lo, exec_lo, s9
.LBB199_13:
	s_delay_alu instid0(SALU_CYCLE_1)
	s_or_b32 exec_lo, exec_lo, s13
	v_xor_b32_e32 v1, 16, v25
	v_xor_b32_e32 v3, 8, v25
	s_clause 0x1
	s_load_b128 s[12:15], s[0:1], 0x0
	s_load_b64 s[6:7], s[0:1], 0x10
	s_wait_kmcnt 0x0
	s_load_b64 s[8:9], s[0:1], 0x28
	v_and_b32_e32 v11, 31, v0
	v_max_num_f32_e32 v5, v28, v28
	v_cmp_lt_i32_e32 vcc_lo, v1, v27
	s_wait_alu 0xfffd
	v_cndmask_b32_e32 v1, v25, v1, vcc_lo
	v_cmp_lt_i32_e32 vcc_lo, v3, v27
	s_wait_alu 0xfffd
	v_cndmask_b32_e32 v3, v25, v3, vcc_lo
	s_delay_alu instid0(VALU_DEP_1) | instskip(SKIP_4) | instid1(VALU_DEP_1)
	v_lshlrev_b32_e32 v4, 2, v3
	v_lshlrev_b32_e32 v2, 2, v1
	ds_bpermute_b32 v1, v2, v28
	s_wait_dscnt 0x0
	v_max_num_f32_e32 v1, v1, v1
	v_max_num_f32_e32 v1, v5, v1
	v_xor_b32_e32 v5, 4, v25
	ds_bpermute_b32 v3, v4, v1
	v_cmp_lt_i32_e32 vcc_lo, v5, v27
	s_wait_alu 0xfffd
	v_cndmask_b32_e32 v5, v25, v5, vcc_lo
	v_cmp_eq_u32_e32 vcc_lo, 0, v11
	s_delay_alu instid0(VALU_DEP_2) | instskip(SKIP_3) | instid1(VALU_DEP_1)
	v_lshlrev_b32_e32 v7, 2, v5
	v_lshlrev_b32_e32 v5, 2, v21
	s_wait_dscnt 0x0
	v_max_num_f32_e32 v3, v3, v3
	v_max_num_f32_e32 v1, v1, v3
	ds_bpermute_b32 v3, v7, v1
	s_and_saveexec_b32 s0, vcc_lo
	s_cbranch_execz .LBB199_15
; %bb.14:
	s_wait_dscnt 0x0
	v_max_num_f32_e32 v3, v3, v3
	v_max_num_f32_e32 v1, v1, v1
	s_delay_alu instid0(VALU_DEP_1)
	v_max_num_f32_e32 v1, v1, v3
	ds_store_b32 v5, v1 offset:256
.LBB199_15:
	s_or_b32 exec_lo, exec_lo, s0
	v_cmp_gt_u32_e64 s0, 4, v11
	v_dual_mov_b32 v1, 0xff7fffff :: v_dual_lshlrev_b32 v6, 2, v11
	s_wait_loadcnt_dscnt 0x0
	s_barrier_signal -1
	s_barrier_wait -1
	global_inv scope:SCOPE_SE
	s_and_saveexec_b32 s1, s0
; %bb.16:
	ds_load_b32 v1, v6 offset:256
; %bb.17:
	s_or_b32 exec_lo, exec_lo, s1
	v_xor_b32_e32 v3, 2, v25
	v_xor_b32_e32 v9, 1, v25
	s_delay_alu instid0(VALU_DEP_2) | instskip(NEXT) | instid1(VALU_DEP_1)
	v_cmp_lt_i32_e64 s1, v3, v27
	v_cndmask_b32_e64 v3, v25, v3, s1
	s_delay_alu instid0(VALU_DEP_3) | instskip(NEXT) | instid1(VALU_DEP_2)
	v_cmp_lt_i32_e64 s1, v9, v27
	v_lshlrev_b32_e32 v8, 2, v3
	s_wait_alu 0xf1ff
	s_delay_alu instid0(VALU_DEP_2)
	v_cndmask_b32_e64 v9, v25, v9, s1
	s_sub_co_i32 s1, s27, s16
	s_wait_alu 0xfffe
	s_lshl_b32 s1, s1, 3
	s_wait_dscnt 0x0
	ds_bpermute_b32 v3, v8, v1
	v_max_num_f32_e32 v1, v1, v1
	s_wait_alu 0xfffe
	s_add_co_i32 s1, s1, s28
	v_lshlrev_b32_e32 v12, 2, v9
	s_wait_alu 0xfffe
	s_min_i32 s1, s1, s26
	v_mov_b32_e32 v9, 0
	s_wait_alu 0xfffe
	s_sub_co_i32 s5, s1, s28
	s_wait_alu 0xfffe
	v_cmp_gt_i32_e64 s1, s5, v0
	s_wait_dscnt 0x0
	v_max_num_f32_e32 v3, v3, v3
	s_delay_alu instid0(VALU_DEP_1) | instskip(SKIP_3) | instid1(VALU_DEP_1)
	v_max_num_f32_e32 v1, v1, v3
	ds_bpermute_b32 v3, v12, v1
	s_wait_dscnt 0x0
	v_max_num_f32_e32 v3, v3, v3
	v_max_num_f32_e32 v1, v1, v3
	v_lshlrev_b32_e32 v3, 2, v26
	ds_bpermute_b32 v1, v3, v1
	v_lshl_add_u32 v3, v0, 2, 0x120
	s_and_saveexec_b32 s19, s1
	s_cbranch_execz .LBB199_21
; %bb.18:
	v_lshl_add_u32 v10, v0, 2, 0x120
	v_mov_b32_e32 v9, 0
	v_mov_b32_e32 v13, v0
	s_mov_b32 s34, 0
.LBB199_19:                             ; =>This Inner Loop Header: Depth=1
	ds_load_b32 v14, v10
	v_add_nc_u32_e32 v13, 0x80, v13
	s_delay_alu instid0(VALU_DEP_1) | instskip(SKIP_3) | instid1(VALU_DEP_1)
	v_cmp_le_i32_e64 s4, s5, v13
	s_or_b32 s34, s4, s34
	s_wait_dscnt 0x0
	v_sub_f32_e32 v14, v14, v1
	v_mul_f32_e32 v14, 0x3fb8aa3b, v14
	s_delay_alu instid0(VALU_DEP_1)
	v_exp_f32_e32 v14, v14
	ds_store_b32 v10, v14
	v_add_f32_e32 v9, v9, v14
	v_add_nc_u32_e32 v10, 0x200, v10
	s_and_not1_b32 exec_lo, exec_lo, s34
	s_cbranch_execnz .LBB199_19
; %bb.20:
	s_or_b32 exec_lo, exec_lo, s34
.LBB199_21:
	s_delay_alu instid0(SALU_CYCLE_1)
	s_or_b32 exec_lo, exec_lo, s19
	ds_bpermute_b32 v2, v2, v9
	s_wait_dscnt 0x0
	v_add_f32_e32 v2, v9, v2
	ds_bpermute_b32 v4, v4, v2
	s_wait_dscnt 0x0
	v_add_f32_e32 v2, v2, v4
	;; [unrolled: 3-line block ×5, first 2 shown]
	s_and_saveexec_b32 s4, vcc_lo
; %bb.22:
	ds_store_b32 v5, v2 offset:272
; %bb.23:
	s_wait_alu 0xfffe
	s_or_b32 exec_lo, exec_lo, s4
	s_wait_loadcnt_dscnt 0x0
	s_barrier_signal -1
	s_barrier_wait -1
	global_inv scope:SCOPE_SE
	s_and_saveexec_b32 s4, s0
; %bb.24:
	ds_load_b32 v2, v6 offset:272
; %bb.25:
	s_wait_alu 0xfffe
	s_or_b32 exec_lo, exec_lo, s4
	s_wait_dscnt 0x0
	ds_bpermute_b32 v4, v8, v2
	s_wait_dscnt 0x0
	v_dual_add_f32 v2, v2, v4 :: v_dual_lshlrev_b32 v5, 2, v25
	ds_bpermute_b32 v4, v12, v2
	s_wait_dscnt 0x0
	v_add_f32_e32 v2, v2, v4
	v_and_b32_e32 v4, 0xffffff80, v5
	ds_bpermute_b32 v2, v4, v2
	s_and_saveexec_b32 s0, s1
	s_cbranch_execz .LBB199_28
; %bb.26:
	s_wait_dscnt 0x0
	v_add_f32_e32 v4, 0x358637bd, v2
	s_mov_b32 s1, 0
	s_delay_alu instid0(VALU_DEP_1) | instskip(SKIP_1) | instid1(VALU_DEP_2)
	v_div_scale_f32 v5, null, v4, v4, 1.0
	v_div_scale_f32 v8, vcc_lo, 1.0, v4, 1.0
	v_rcp_f32_e32 v6, v5
	s_delay_alu instid0(TRANS32_DEP_1) | instskip(NEXT) | instid1(VALU_DEP_1)
	v_fma_f32 v7, -v5, v6, 1.0
	v_fmac_f32_e32 v6, v7, v6
	s_delay_alu instid0(VALU_DEP_1) | instskip(NEXT) | instid1(VALU_DEP_1)
	v_mul_f32_e32 v7, v8, v6
	v_fma_f32 v9, -v5, v7, v8
	s_delay_alu instid0(VALU_DEP_1) | instskip(NEXT) | instid1(VALU_DEP_1)
	v_fmac_f32_e32 v7, v9, v6
	v_fma_f32 v5, -v5, v7, v8
	s_wait_alu 0xfffd
	s_delay_alu instid0(VALU_DEP_1) | instskip(NEXT) | instid1(VALU_DEP_1)
	v_div_fmas_f32 v5, v5, v6, v7
	v_div_fixup_f32 v4, v5, v4, 1.0
	v_mov_b32_e32 v5, v0
.LBB199_27:                             ; =>This Inner Loop Header: Depth=1
	ds_load_b32 v6, v3
	s_wait_dscnt 0x0
	v_dual_mul_f32 v6, v4, v6 :: v_dual_add_nc_u32 v5, 0x80, v5
	s_delay_alu instid0(VALU_DEP_1)
	v_cmp_le_i32_e32 vcc_lo, s5, v5
	ds_store_b32 v3, v6
	v_add_nc_u32_e32 v3, 0x200, v3
	s_wait_alu 0xfffe
	s_or_b32 s1, vcc_lo, s1
	s_wait_alu 0xfffe
	s_and_not1_b32 exec_lo, exec_lo, s1
	s_cbranch_execnz .LBB199_27
.LBB199_28:
	s_wait_alu 0xfffe
	s_or_b32 exec_lo, exec_lo, s0
	s_mul_i32 s0, s21, s30
	s_wait_loadcnt_dscnt 0x0
	s_wait_alu 0xfffe
	s_mul_i32 s4, s0, s31
	s_mov_b32 s0, exec_lo
	s_barrier_signal -1
	s_barrier_wait -1
	global_inv scope:SCOPE_SE
	v_cmpx_eq_u32_e32 0, v0
	s_cbranch_execz .LBB199_30
; %bb.29:
	s_wait_alu 0xfffe
	s_ashr_i32 s5, s4, 31
	s_mul_i32 s30, s21, ttmp9
	s_lshl_b32 s1, s29, 2
	s_wait_alu 0xfffe
	s_lshl_b64 s[34:35], s[4:5], 2
	s_ashr_i32 s31, s30, 31
	v_mov_b32_e32 v3, s1
	s_add_nc_u64 s[14:15], s[14:15], s[34:35]
	s_lshl_b64 s[30:31], s[30:31], 2
	s_add_nc_u64 s[12:13], s[12:13], s[34:35]
	s_wait_alu 0xfffe
	s_add_nc_u64 s[14:15], s[14:15], s[30:31]
	s_add_nc_u64 s[12:13], s[12:13], s[30:31]
	s_clause 0x1
	global_store_b32 v3, v1, s[14:15]
	global_store_b32 v3, v2, s[12:13]
.LBB199_30:
	s_wait_alu 0xfffe
	s_or_b32 exec_lo, exec_lo, s0
	v_dual_mov_b32 v15, 0 :: v_dual_mov_b32 v16, 0
	v_dual_mov_b32 v14, 0 :: v_dual_and_b32 v13, 1, v0
	v_mov_b32_e32 v17, 0
	s_and_saveexec_b32 s1, s3
	s_cbranch_execz .LBB199_42
; %bb.31:
	s_load_b32 s5, s[10:11], 0x0
	v_dual_mov_b32 v16, 0 :: v_dual_and_b32 v3, 0x7c, v23
	s_ashr_i32 s19, s18, 31
	v_dual_mov_b32 v17, 0 :: v_dual_lshlrev_b32 v2, 4, v13
	s_wait_kmcnt 0x0
	s_add_nc_u64 s[8:9], s[8:9], s[18:19]
	v_dual_mov_b32 v14, 0 :: v_dual_and_b32 v1, 4, v23
	s_wait_alu 0xfffe
	v_add_co_u32 v5, s0, s8, v3
	s_wait_alu 0xf1ff
	v_add_co_ci_u32_e64 v6, null, s9, 0, s0
	s_lshl_b64 s[8:9], s[22:23], 2
	v_lshl_add_u32 v4, v21, 3, s28
	v_lshl_or_b32 v2, v21, 5, v2
	s_wait_alu 0xfffe
	s_add_nc_u64 s[8:9], s[24:25], s[8:9]
	v_mov_b32_e32 v15, 0
	s_wait_alu 0xfffe
	v_add_co_u32 v7, s0, s8, v24
	v_add3_u32 v18, v4, v1, 3
	v_add_nc_u32_e32 v19, 0x120, v2
	s_wait_alu 0xf1ff
	v_add_co_ci_u32_e64 v8, null, s9, 0, s0
	s_mov_b32 s3, s17
	s_mov_b32 s8, s5
	s_add_co_i32 s33, s33, -1
	s_mov_b32 s9, 0
	s_branch .LBB199_33
.LBB199_32:                             ;   in Loop: Header=BB199_33 Depth=1
	s_wait_alu 0xfffe
	s_or_b32 exec_lo, exec_lo, s0
	s_wait_dscnt 0x0
	v_dual_mul_f32 v27, v1, v36 :: v_dual_add_nc_u32 v22, 4, v22
	v_dual_mul_f32 v25, v1, v25 :: v_dual_add_nc_u32 v18, 32, v18
	v_add_co_u32 v7, s0, v7, 16
	s_delay_alu instid0(VALU_DEP_3) | instskip(NEXT) | instid1(VALU_DEP_3)
	v_fmac_f32_e32 v27, v2, v35
	v_fmac_f32_e32 v25, v2, v24
	v_cmp_le_i32_e32 vcc_lo, s27, v22
	v_add_nc_u32_e32 v19, 0x80, v19
	s_wait_alu 0xf1ff
	v_add_co_ci_u32_e64 v8, null, 0, v8, s0
	v_fmac_f32_e32 v27, v3, v34
	v_fmac_f32_e32 v25, v3, v23
	s_or_b32 s9, vcc_lo, s9
	s_delay_alu instid0(VALU_DEP_2) | instskip(SKIP_3) | instid1(VALU_DEP_3)
	v_fmac_f32_e32 v27, v4, v33
	v_mul_f32_e32 v29, v1, v32
	v_mul_f32_e32 v1, v1, v38
	v_fmac_f32_e32 v25, v4, v20
	v_dual_add_f32 v16, v16, v27 :: v_dual_fmac_f32 v29, v2, v30
	s_delay_alu instid0(VALU_DEP_3) | instskip(NEXT) | instid1(VALU_DEP_3)
	v_fmac_f32_e32 v1, v2, v37
	v_add_f32_e32 v15, v15, v25
	s_delay_alu instid0(VALU_DEP_3) | instskip(NEXT) | instid1(VALU_DEP_3)
	v_fmac_f32_e32 v29, v3, v28
	v_fmac_f32_e32 v1, v3, v10
	s_delay_alu instid0(VALU_DEP_2) | instskip(NEXT) | instid1(VALU_DEP_2)
	v_fmac_f32_e32 v29, v4, v26
	v_fmac_f32_e32 v1, v4, v9
	s_delay_alu instid0(VALU_DEP_2) | instskip(NEXT) | instid1(VALU_DEP_2)
	v_add_f32_e32 v17, v17, v29
	v_add_f32_e32 v14, v14, v1
	s_wait_alu 0xfffe
	s_and_not1_b32 exec_lo, exec_lo, s9
	s_cbranch_execz .LBB199_41
.LBB199_33:                             ; =>This Inner Loop Header: Depth=1
	global_load_b32 v1, v[7:8], off
	v_cmp_eq_u32_e32 vcc_lo, s33, v22
	v_add_nc_u32_e32 v29, -2, v18
	s_wait_loadcnt 0x0
	s_wait_alu 0xfffe
	v_mad_co_i64_i32 v[9:10], null, v1, s3, v[5:6]
	ds_load_b128 v[1:4], v19
	global_load_b32 v20, v[9:10], off
	s_wait_loadcnt 0x0
	v_and_b32_e32 v23, 0xffff, v20
	v_lshrrev_b32_e32 v20, 16, v20
	s_delay_alu instid0(VALU_DEP_1) | instskip(NEXT) | instid1(VALU_DEP_1)
	v_cvt_pk_f32_fp8_e32 v[30:31], v20
	v_mul_f32_e32 v20, s8, v31
	s_delay_alu instid0(VALU_DEP_4) | instskip(SKIP_2) | instid1(VALU_DEP_3)
	v_cvt_pk_f32_fp8_e32 v[23:24], v23
	v_add_nc_u32_e32 v27, -3, v18
	v_add_nc_u32_e32 v31, -1, v18
	v_dual_mul_f32 v25, s5, v23 :: v_dual_mul_f32 v24, s8, v24
	v_mul_f32_e32 v23, s5, v30
	s_and_saveexec_b32 s10, vcc_lo
	s_cbranch_execz .LBB199_35
; %bb.34:                               ;   in Loop: Header=BB199_33 Depth=1
	v_cmp_gt_i32_e64 s0, s26, v27
	s_wait_alu 0xf1ff
	s_delay_alu instid0(VALU_DEP_1) | instskip(SKIP_2) | instid1(VALU_DEP_1)
	v_cndmask_b32_e64 v25, 0, v25, s0
	v_cmp_gt_i32_e64 s0, s26, v29
	s_wait_alu 0xf1ff
	v_cndmask_b32_e64 v24, 0, v24, s0
	v_cmp_gt_i32_e64 s0, s26, v31
	s_wait_alu 0xf1ff
	s_delay_alu instid0(VALU_DEP_1) | instskip(SKIP_2) | instid1(VALU_DEP_1)
	v_cndmask_b32_e64 v23, 0, v23, s0
	v_cmp_gt_i32_e64 s0, s26, v18
	s_wait_alu 0xf1ff
	v_cndmask_b32_e64 v20, 0, v20, s0
.LBB199_35:                             ;   in Loop: Header=BB199_33 Depth=1
	s_or_b32 exec_lo, exec_lo, s10
	global_load_b32 v26, v[9:10], off offset:128
	s_wait_loadcnt 0x0
	v_and_b32_e32 v28, 0xffff, v26
	v_lshrrev_b32_e32 v26, 16, v26
	s_delay_alu instid0(VALU_DEP_2) | instskip(NEXT) | instid1(VALU_DEP_2)
	v_cvt_pk_f32_fp8_e32 v[32:33], v28
	v_cvt_pk_f32_fp8_e32 v[34:35], v26
	s_delay_alu instid0(VALU_DEP_2) | instskip(NEXT) | instid1(VALU_DEP_3)
	v_mul_f32_e32 v32, s5, v32
	v_mul_f32_e32 v30, s8, v33
	s_delay_alu instid0(VALU_DEP_3) | instskip(NEXT) | instid1(VALU_DEP_4)
	v_mul_f32_e32 v28, s5, v34
	v_mul_f32_e32 v26, s8, v35
	s_and_saveexec_b32 s10, vcc_lo
	s_cbranch_execz .LBB199_37
; %bb.36:                               ;   in Loop: Header=BB199_33 Depth=1
	v_cmp_gt_i32_e64 s0, s26, v27
	s_wait_alu 0xf1ff
	s_delay_alu instid0(VALU_DEP_1) | instskip(SKIP_2) | instid1(VALU_DEP_1)
	v_cndmask_b32_e64 v32, 0, v32, s0
	v_cmp_gt_i32_e64 s0, s26, v29
	s_wait_alu 0xf1ff
	v_cndmask_b32_e64 v30, 0, v30, s0
	v_cmp_gt_i32_e64 s0, s26, v31
	s_wait_alu 0xf1ff
	s_delay_alu instid0(VALU_DEP_1) | instskip(SKIP_2) | instid1(VALU_DEP_1)
	v_cndmask_b32_e64 v28, 0, v28, s0
	v_cmp_gt_i32_e64 s0, s26, v18
	s_wait_alu 0xf1ff
	v_cndmask_b32_e64 v26, 0, v26, s0
.LBB199_37:                             ;   in Loop: Header=BB199_33 Depth=1
	s_or_b32 exec_lo, exec_lo, s10
	global_load_b32 v33, v[9:10], off offset:256
	s_wait_loadcnt 0x0
	v_lshrrev_b32_e32 v35, 16, v33
	s_delay_alu instid0(VALU_DEP_1) | instskip(SKIP_1) | instid1(VALU_DEP_1)
	v_cvt_pk_f32_fp8_e32 v[37:38], v35
	v_and_b32_e32 v34, 0xffff, v33
	v_cvt_pk_f32_fp8_e32 v[33:34], v34
	s_delay_alu instid0(VALU_DEP_1) | instskip(NEXT) | instid1(VALU_DEP_4)
	v_dual_mul_f32 v36, s5, v33 :: v_dual_mul_f32 v35, s8, v34
	v_dual_mul_f32 v34, s5, v37 :: v_dual_mul_f32 v33, s8, v38
	s_and_saveexec_b32 s10, vcc_lo
	s_cbranch_execz .LBB199_39
; %bb.38:                               ;   in Loop: Header=BB199_33 Depth=1
	v_cmp_gt_i32_e64 s0, s26, v27
	s_wait_alu 0xf1ff
	s_delay_alu instid0(VALU_DEP_1) | instskip(SKIP_2) | instid1(VALU_DEP_1)
	v_cndmask_b32_e64 v36, 0, v36, s0
	v_cmp_gt_i32_e64 s0, s26, v29
	s_wait_alu 0xf1ff
	v_cndmask_b32_e64 v35, 0, v35, s0
	v_cmp_gt_i32_e64 s0, s26, v31
	s_wait_alu 0xf1ff
	s_delay_alu instid0(VALU_DEP_1) | instskip(SKIP_2) | instid1(VALU_DEP_1)
	v_cndmask_b32_e64 v34, 0, v34, s0
	v_cmp_gt_i32_e64 s0, s26, v18
	s_wait_alu 0xf1ff
	v_cndmask_b32_e64 v33, 0, v33, s0
.LBB199_39:                             ;   in Loop: Header=BB199_33 Depth=1
	s_or_b32 exec_lo, exec_lo, s10
	global_load_b32 v9, v[9:10], off offset:384
	s_wait_loadcnt 0x0
	v_lshrrev_b32_e32 v37, 16, v9
	s_delay_alu instid0(VALU_DEP_1) | instskip(SKIP_1) | instid1(VALU_DEP_1)
	v_cvt_pk_f32_fp8_e32 v[39:40], v37
	v_and_b32_e32 v10, 0xffff, v9
	v_cvt_pk_f32_fp8_e32 v[9:10], v10
	s_delay_alu instid0(VALU_DEP_1) | instskip(NEXT) | instid1(VALU_DEP_4)
	v_dual_mul_f32 v38, s5, v9 :: v_dual_mul_f32 v37, s8, v10
	v_dual_mul_f32 v10, s5, v39 :: v_dual_mul_f32 v9, s8, v40
	s_and_saveexec_b32 s0, vcc_lo
	s_cbranch_execz .LBB199_32
; %bb.40:                               ;   in Loop: Header=BB199_33 Depth=1
	v_cmp_gt_i32_e32 vcc_lo, s26, v27
	s_wait_alu 0xfffd
	v_cndmask_b32_e32 v38, 0, v38, vcc_lo
	v_cmp_gt_i32_e32 vcc_lo, s26, v29
	s_wait_alu 0xfffd
	v_cndmask_b32_e32 v37, 0, v37, vcc_lo
	;; [unrolled: 3-line block ×4, first 2 shown]
	s_branch .LBB199_32
.LBB199_41:
	s_or_b32 exec_lo, exec_lo, s9
.LBB199_42:
	s_wait_alu 0xfffe
	s_or_b32 exec_lo, exec_lo, s1
	ds_bpermute_b32 v1, v12, v15
	ds_bpermute_b32 v2, v12, v17
	;; [unrolled: 1-line block ×4, first 2 shown]
	v_lshrrev_b32_e32 v5, 1, v11
	v_lshlrev_b32_e32 v7, 8, v21
	v_and_b32_e32 v8, 0x3c1, v0
	s_mov_b32 s0, exec_lo
	s_wait_storecnt 0x0
	s_wait_loadcnt_dscnt 0x0
	v_lshl_add_u32 v6, v5, 2, 0x120
	s_barrier_signal -1
	s_barrier_wait -1
	global_inv scope:SCOPE_SE
	v_dual_add_f32 v1, v15, v1 :: v_dual_add_f32 v2, v17, v2
	v_dual_add_f32 v3, v16, v3 :: v_dual_add_f32 v4, v14, v4
	v_cmpx_eq_u32_e32 64, v8
	s_cbranch_execz .LBB199_44
; %bb.43:
	v_add_nc_u32_e32 v8, v6, v7
	s_delay_alu instid0(VALU_DEP_1)
	v_add_nc_u32_e32 v9, 0xfffffe00, v8
	v_add_nc_u32_e32 v10, 0xfffffe40, v8
	v_add_nc_u32_e32 v11, 0xfffffe80, v8
	v_add_nc_u32_e32 v8, 0xfffffec0, v8
	ds_store_b32 v9, v1
	ds_store_b32 v10, v2
	;; [unrolled: 1-line block ×4, first 2 shown]
.LBB199_44:
	s_wait_alu 0xfffe
	s_or_b32 exec_lo, exec_lo, s0
	v_lshlrev_b32_e32 v5, 2, v5
	v_cmp_eq_u32_e32 vcc_lo, 0, v13
	s_wait_loadcnt_dscnt 0x0
	s_barrier_signal -1
	s_barrier_wait -1
	v_add3_u32 v5, 0x120, v7, v5
	global_inv scope:SCOPE_SE
	s_and_saveexec_b32 s0, s2
	s_cbranch_execz .LBB199_51
; %bb.45:
	s_and_saveexec_b32 s1, vcc_lo
	s_cbranch_execnz .LBB199_63
; %bb.46:
	s_wait_alu 0xfffe
	s_or_b32 exec_lo, exec_lo, s1
	s_and_saveexec_b32 s1, vcc_lo
	s_cbranch_execnz .LBB199_64
.LBB199_47:
	s_wait_alu 0xfffe
	s_or_b32 exec_lo, exec_lo, s1
	s_and_saveexec_b32 s1, vcc_lo
	s_cbranch_execnz .LBB199_65
.LBB199_48:
	s_wait_alu 0xfffe
	s_or_b32 exec_lo, exec_lo, s1
	s_and_saveexec_b32 s1, vcc_lo
	s_cbranch_execz .LBB199_50
.LBB199_49:
	ds_load_b32 v7, v5 offset:192
	s_wait_dscnt 0x0
	v_add_f32_e32 v4, v4, v7
.LBB199_50:
	s_wait_alu 0xfffe
	s_or_b32 exec_lo, exec_lo, s1
.LBB199_51:
	s_wait_alu 0xfffe
	s_or_b32 exec_lo, exec_lo, s0
	v_and_b32_e32 v7, 0x3e1, v0
	s_mov_b32 s1, exec_lo
	s_wait_loadcnt 0x0
	s_barrier_signal -1
	s_barrier_wait -1
	global_inv scope:SCOPE_SE
	v_cmpx_eq_u32_e32 32, v7
	s_cbranch_execz .LBB199_53
; %bb.52:
	ds_store_2addr_b32 v6, v1, v2 offset1:16
	ds_store_2addr_b32 v6, v3, v4 offset0:32 offset1:48
.LBB199_53:
	s_wait_alu 0xfffe
	s_or_b32 exec_lo, exec_lo, s1
	s_delay_alu instid0(SALU_CYCLE_1)
	s_mov_b32 s1, exec_lo
	s_wait_loadcnt_dscnt 0x0
	s_barrier_signal -1
	s_barrier_wait -1
	global_inv scope:SCOPE_SE
	v_cmpx_gt_u32_e32 32, v0
	s_cbranch_execz .LBB199_60
; %bb.54:
	s_and_saveexec_b32 s0, vcc_lo
	s_cbranch_execnz .LBB199_66
; %bb.55:
	s_wait_alu 0xfffe
	s_or_b32 exec_lo, exec_lo, s0
	s_and_saveexec_b32 s0, vcc_lo
	s_cbranch_execnz .LBB199_67
.LBB199_56:
	s_wait_alu 0xfffe
	s_or_b32 exec_lo, exec_lo, s0
	s_and_saveexec_b32 s0, vcc_lo
	s_cbranch_execnz .LBB199_68
.LBB199_57:
	s_wait_alu 0xfffe
	s_or_b32 exec_lo, exec_lo, s0
	s_and_saveexec_b32 s0, vcc_lo
	s_cbranch_execz .LBB199_59
.LBB199_58:
	ds_load_b32 v5, v5 offset:192
	s_wait_dscnt 0x0
	v_add_f32_e32 v4, v4, v5
.LBB199_59:
	s_wait_alu 0xfffe
	s_or_b32 exec_lo, exec_lo, s0
.LBB199_60:
	s_wait_alu 0xfffe
	s_or_b32 exec_lo, exec_lo, s1
	s_mov_b32 s1, 0
	s_wait_loadcnt 0x0
	s_barrier_signal -1
	s_barrier_wait -1
	global_inv scope:SCOPE_SE
	s_mov_b32 s0, exec_lo
	v_cmpx_eq_u32_e32 0, v7
	s_cbranch_execz .LBB199_62
; %bb.61:
	s_lshl_b32 s2, s4, 6
	s_mul_i32 s4, s21, s20
	s_wait_alu 0xfffe
	s_ashr_i32 s3, s2, 31
	s_ashr_i32 s5, s4, 31
	s_wait_alu 0xfffe
	s_lshl_b64 s[2:3], s[2:3], 2
	s_lshl_b64 s[4:5], s[4:5], 2
	s_wait_alu 0xfffe
	s_add_nc_u64 s[2:3], s[6:7], s[2:3]
	v_lshlrev_b32_e32 v0, 1, v0
	s_lshl_b32 s0, s16, 2
	s_wait_alu 0xfffe
	s_add_nc_u64 s[2:3], s[2:3], s[4:5]
	s_wait_alu 0xfffe
	s_add_nc_u64 s[0:1], s[2:3], s[0:1]
	s_clause 0x3
	global_store_b32 v0, v1, s[0:1]
	global_store_b32 v0, v2, s[0:1] offset:64
	global_store_b32 v0, v3, s[0:1] offset:128
	;; [unrolled: 1-line block ×3, first 2 shown]
.LBB199_62:
	s_endpgm
.LBB199_63:
	ds_load_b32 v7, v5
	s_wait_dscnt 0x0
	v_add_f32_e32 v1, v1, v7
	s_wait_alu 0xfffe
	s_or_b32 exec_lo, exec_lo, s1
	s_and_saveexec_b32 s1, vcc_lo
	s_cbranch_execz .LBB199_47
.LBB199_64:
	ds_load_b32 v7, v5 offset:64
	s_wait_dscnt 0x0
	v_add_f32_e32 v2, v2, v7
	s_wait_alu 0xfffe
	s_or_b32 exec_lo, exec_lo, s1
	s_and_saveexec_b32 s1, vcc_lo
	s_cbranch_execz .LBB199_48
.LBB199_65:
	ds_load_b32 v7, v5 offset:128
	s_wait_dscnt 0x0
	v_add_f32_e32 v3, v3, v7
	s_wait_alu 0xfffe
	s_or_b32 exec_lo, exec_lo, s1
	s_and_saveexec_b32 s1, vcc_lo
	s_cbranch_execnz .LBB199_49
	s_branch .LBB199_50
.LBB199_66:
	ds_load_b32 v6, v5
	s_wait_dscnt 0x0
	v_add_f32_e32 v1, v1, v6
	s_wait_alu 0xfffe
	s_or_b32 exec_lo, exec_lo, s0
	s_and_saveexec_b32 s0, vcc_lo
	s_cbranch_execz .LBB199_56
.LBB199_67:
	ds_load_b32 v6, v5 offset:64
	s_wait_dscnt 0x0
	v_add_f32_e32 v2, v2, v6
	s_wait_alu 0xfffe
	s_or_b32 exec_lo, exec_lo, s0
	s_and_saveexec_b32 s0, vcc_lo
	s_cbranch_execz .LBB199_57
.LBB199_68:
	ds_load_b32 v6, v5 offset:128
	s_wait_dscnt 0x0
	v_add_f32_e32 v3, v3, v6
	s_wait_alu 0xfffe
	s_or_b32 exec_lo, exec_lo, s0
	s_and_saveexec_b32 s0, vcc_lo
	s_cbranch_execnz .LBB199_58
	s_branch .LBB199_59
	.section	.rodata,"a",@progbits
	.p2align	6, 0x0
	.amdhsa_kernel _ZN4vllm25paged_attention_v2_kernelIfhLi64ELi8ELi128ELNS_18Fp8KVCacheDataTypeE1ELb0ELi512EEEvPfS2_PT_PKS3_PKT0_S9_ifPKiSB_iPKfiiiSD_SD_iiiii
		.amdhsa_group_segment_fixed_size 288
		.amdhsa_private_segment_fixed_size 0
		.amdhsa_kernarg_size 400
		.amdhsa_user_sgpr_count 2
		.amdhsa_user_sgpr_dispatch_ptr 0
		.amdhsa_user_sgpr_queue_ptr 0
		.amdhsa_user_sgpr_kernarg_segment_ptr 1
		.amdhsa_user_sgpr_dispatch_id 0
		.amdhsa_user_sgpr_private_segment_size 0
		.amdhsa_wavefront_size32 1
		.amdhsa_uses_dynamic_stack 0
		.amdhsa_enable_private_segment 0
		.amdhsa_system_sgpr_workgroup_id_x 1
		.amdhsa_system_sgpr_workgroup_id_y 1
		.amdhsa_system_sgpr_workgroup_id_z 1
		.amdhsa_system_sgpr_workgroup_info 0
		.amdhsa_system_vgpr_workitem_id 0
		.amdhsa_next_free_vgpr 51
		.amdhsa_next_free_sgpr 36
		.amdhsa_reserve_vcc 1
		.amdhsa_float_round_mode_32 0
		.amdhsa_float_round_mode_16_64 0
		.amdhsa_float_denorm_mode_32 3
		.amdhsa_float_denorm_mode_16_64 3
		.amdhsa_fp16_overflow 0
		.amdhsa_workgroup_processor_mode 1
		.amdhsa_memory_ordered 1
		.amdhsa_forward_progress 1
		.amdhsa_inst_pref_size 38
		.amdhsa_round_robin_scheduling 0
		.amdhsa_exception_fp_ieee_invalid_op 0
		.amdhsa_exception_fp_denorm_src 0
		.amdhsa_exception_fp_ieee_div_zero 0
		.amdhsa_exception_fp_ieee_overflow 0
		.amdhsa_exception_fp_ieee_underflow 0
		.amdhsa_exception_fp_ieee_inexact 0
		.amdhsa_exception_int_div_zero 0
	.end_amdhsa_kernel
	.section	.text._ZN4vllm25paged_attention_v2_kernelIfhLi64ELi8ELi128ELNS_18Fp8KVCacheDataTypeE1ELb0ELi512EEEvPfS2_PT_PKS3_PKT0_S9_ifPKiSB_iPKfiiiSD_SD_iiiii,"axG",@progbits,_ZN4vllm25paged_attention_v2_kernelIfhLi64ELi8ELi128ELNS_18Fp8KVCacheDataTypeE1ELb0ELi512EEEvPfS2_PT_PKS3_PKT0_S9_ifPKiSB_iPKfiiiSD_SD_iiiii,comdat
.Lfunc_end199:
	.size	_ZN4vllm25paged_attention_v2_kernelIfhLi64ELi8ELi128ELNS_18Fp8KVCacheDataTypeE1ELb0ELi512EEEvPfS2_PT_PKS3_PKT0_S9_ifPKiSB_iPKfiiiSD_SD_iiiii, .Lfunc_end199-_ZN4vllm25paged_attention_v2_kernelIfhLi64ELi8ELi128ELNS_18Fp8KVCacheDataTypeE1ELb0ELi512EEEvPfS2_PT_PKS3_PKT0_S9_ifPKiSB_iPKfiiiSD_SD_iiiii
                                        ; -- End function
	.set _ZN4vllm25paged_attention_v2_kernelIfhLi64ELi8ELi128ELNS_18Fp8KVCacheDataTypeE1ELb0ELi512EEEvPfS2_PT_PKS3_PKT0_S9_ifPKiSB_iPKfiiiSD_SD_iiiii.num_vgpr, 51
	.set _ZN4vllm25paged_attention_v2_kernelIfhLi64ELi8ELi128ELNS_18Fp8KVCacheDataTypeE1ELb0ELi512EEEvPfS2_PT_PKS3_PKT0_S9_ifPKiSB_iPKfiiiSD_SD_iiiii.num_agpr, 0
	.set _ZN4vllm25paged_attention_v2_kernelIfhLi64ELi8ELi128ELNS_18Fp8KVCacheDataTypeE1ELb0ELi512EEEvPfS2_PT_PKS3_PKT0_S9_ifPKiSB_iPKfiiiSD_SD_iiiii.numbered_sgpr, 36
	.set _ZN4vllm25paged_attention_v2_kernelIfhLi64ELi8ELi128ELNS_18Fp8KVCacheDataTypeE1ELb0ELi512EEEvPfS2_PT_PKS3_PKT0_S9_ifPKiSB_iPKfiiiSD_SD_iiiii.num_named_barrier, 0
	.set _ZN4vllm25paged_attention_v2_kernelIfhLi64ELi8ELi128ELNS_18Fp8KVCacheDataTypeE1ELb0ELi512EEEvPfS2_PT_PKS3_PKT0_S9_ifPKiSB_iPKfiiiSD_SD_iiiii.private_seg_size, 0
	.set _ZN4vllm25paged_attention_v2_kernelIfhLi64ELi8ELi128ELNS_18Fp8KVCacheDataTypeE1ELb0ELi512EEEvPfS2_PT_PKS3_PKT0_S9_ifPKiSB_iPKfiiiSD_SD_iiiii.uses_vcc, 1
	.set _ZN4vllm25paged_attention_v2_kernelIfhLi64ELi8ELi128ELNS_18Fp8KVCacheDataTypeE1ELb0ELi512EEEvPfS2_PT_PKS3_PKT0_S9_ifPKiSB_iPKfiiiSD_SD_iiiii.uses_flat_scratch, 0
	.set _ZN4vllm25paged_attention_v2_kernelIfhLi64ELi8ELi128ELNS_18Fp8KVCacheDataTypeE1ELb0ELi512EEEvPfS2_PT_PKS3_PKT0_S9_ifPKiSB_iPKfiiiSD_SD_iiiii.has_dyn_sized_stack, 0
	.set _ZN4vllm25paged_attention_v2_kernelIfhLi64ELi8ELi128ELNS_18Fp8KVCacheDataTypeE1ELb0ELi512EEEvPfS2_PT_PKS3_PKT0_S9_ifPKiSB_iPKfiiiSD_SD_iiiii.has_recursion, 0
	.set _ZN4vllm25paged_attention_v2_kernelIfhLi64ELi8ELi128ELNS_18Fp8KVCacheDataTypeE1ELb0ELi512EEEvPfS2_PT_PKS3_PKT0_S9_ifPKiSB_iPKfiiiSD_SD_iiiii.has_indirect_call, 0
	.section	.AMDGPU.csdata,"",@progbits
; Kernel info:
; codeLenInByte = 4792
; TotalNumSgprs: 38
; NumVgprs: 51
; ScratchSize: 0
; MemoryBound: 0
; FloatMode: 240
; IeeeMode: 1
; LDSByteSize: 288 bytes/workgroup (compile time only)
; SGPRBlocks: 0
; VGPRBlocks: 6
; NumSGPRsForWavesPerEU: 38
; NumVGPRsForWavesPerEU: 51
; Occupancy: 16
; WaveLimiterHint : 1
; COMPUTE_PGM_RSRC2:SCRATCH_EN: 0
; COMPUTE_PGM_RSRC2:USER_SGPR: 2
; COMPUTE_PGM_RSRC2:TRAP_HANDLER: 0
; COMPUTE_PGM_RSRC2:TGID_X_EN: 1
; COMPUTE_PGM_RSRC2:TGID_Y_EN: 1
; COMPUTE_PGM_RSRC2:TGID_Z_EN: 1
; COMPUTE_PGM_RSRC2:TIDIG_COMP_CNT: 0
	.section	.text._ZN4vllm25paged_attention_v2_kernelIfhLi80ELi8ELi128ELNS_18Fp8KVCacheDataTypeE1ELb0ELi512EEEvPfS2_PT_PKS3_PKT0_S9_ifPKiSB_iPKfiiiSD_SD_iiiii,"axG",@progbits,_ZN4vllm25paged_attention_v2_kernelIfhLi80ELi8ELi128ELNS_18Fp8KVCacheDataTypeE1ELb0ELi512EEEvPfS2_PT_PKS3_PKT0_S9_ifPKiSB_iPKfiiiSD_SD_iiiii,comdat
	.protected	_ZN4vllm25paged_attention_v2_kernelIfhLi80ELi8ELi128ELNS_18Fp8KVCacheDataTypeE1ELb0ELi512EEEvPfS2_PT_PKS3_PKT0_S9_ifPKiSB_iPKfiiiSD_SD_iiiii ; -- Begin function _ZN4vllm25paged_attention_v2_kernelIfhLi80ELi8ELi128ELNS_18Fp8KVCacheDataTypeE1ELb0ELi512EEEvPfS2_PT_PKS3_PKT0_S9_ifPKiSB_iPKfiiiSD_SD_iiiii
	.globl	_ZN4vllm25paged_attention_v2_kernelIfhLi80ELi8ELi128ELNS_18Fp8KVCacheDataTypeE1ELb0ELi512EEEvPfS2_PT_PKS3_PKT0_S9_ifPKiSB_iPKfiiiSD_SD_iiiii
	.p2align	8
	.type	_ZN4vllm25paged_attention_v2_kernelIfhLi80ELi8ELi128ELNS_18Fp8KVCacheDataTypeE1ELb0ELi512EEEvPfS2_PT_PKS3_PKT0_S9_ifPKiSB_iPKfiiiSD_SD_iiiii,@function
_ZN4vllm25paged_attention_v2_kernelIfhLi80ELi8ELi128ELNS_18Fp8KVCacheDataTypeE1ELb0ELi512EEEvPfS2_PT_PKS3_PKT0_S9_ifPKiSB_iPKfiiiSD_SD_iiiii: ; @_ZN4vllm25paged_attention_v2_kernelIfhLi80ELi8ELi128ELNS_18Fp8KVCacheDataTypeE1ELb0ELi512EEEvPfS2_PT_PKS3_PKT0_S9_ifPKiSB_iPKfiiiSD_SD_iiiii
; %bb.0:
	s_load_b64 s[2:3], s[0:1], 0x40
	s_and_b32 s15, ttmp7, 0xffff
	s_lshr_b32 s26, ttmp7, 16
	s_lshl_b32 s4, s15, 2
	s_lshl_b32 s28, s26, 9
	s_wait_kmcnt 0x0
	s_load_b32 s27, s[2:3], s4 offset:0x0
	s_wait_kmcnt 0x0
	s_cmp_ge_i32 s28, s27
	s_cbranch_scc1 .LBB200_66
; %bb.1:
	s_clause 0x1
	s_load_b32 s29, s[0:1], 0x90
	s_load_b64 s[8:9], s[0:1], 0x30
	s_wait_kmcnt 0x0
	s_abs_i32 s5, s29
	s_abs_i32 s2, s8
	s_delay_alu instid0(SALU_CYCLE_1) | instskip(SKIP_1) | instid1(SALU_CYCLE_2)
	s_cvt_f32_u32 s3, s2
	s_sub_co_i32 s4, 0, s2
	v_rcp_iflag_f32_e32 v1, s3
	s_delay_alu instid0(TRANS32_DEP_1) | instskip(SKIP_2) | instid1(SALU_CYCLE_2)
	v_readfirstlane_b32 s3, v1
	s_mul_f32 s3, s3, 0x4f7ffffe
	s_wait_alu 0xfffe
	s_cvt_u32_f32 s3, s3
	s_wait_alu 0xfffe
	s_delay_alu instid0(SALU_CYCLE_2) | instskip(NEXT) | instid1(SALU_CYCLE_1)
	s_mul_i32 s4, s4, s3
	s_mul_hi_u32 s4, s3, s4
	s_delay_alu instid0(SALU_CYCLE_1)
	s_add_co_i32 s3, s3, s4
	s_xor_b32 s4, s29, s8
	s_wait_alu 0xfffe
	s_mul_hi_u32 s3, s5, s3
	s_ashr_i32 s4, s4, 31
	s_wait_alu 0xfffe
	s_mul_i32 s6, s3, s2
	s_delay_alu instid0(SALU_CYCLE_1)
	s_sub_co_i32 s5, s5, s6
	s_add_co_i32 s6, s3, 1
	s_sub_co_i32 s7, s5, s2
	s_cmp_ge_u32 s5, s2
	s_cselect_b32 s3, s6, s3
	s_cselect_b32 s5, s7, s5
	s_wait_alu 0xfffe
	s_add_co_i32 s6, s3, 1
	s_cmp_ge_u32 s5, s2
	s_cselect_b32 s2, s6, s3
	s_load_b64 s[6:7], s[0:1], 0x50
	s_xor_b32 s2, s2, s4
	s_mov_b32 s3, 0
	s_wait_alu 0xfffe
	s_sub_co_i32 s11, s2, s4
	s_mov_b32 s8, s3
	s_abs_i32 s10, s11
	s_delay_alu instid0(SALU_CYCLE_1) | instskip(SKIP_1) | instid1(SALU_CYCLE_2)
	s_cvt_f32_u32 s2, s10
	s_wait_alu 0xfffe
	v_rcp_iflag_f32_e32 v1, s2
	s_delay_alu instid0(TRANS32_DEP_1) | instskip(SKIP_2) | instid1(SALU_CYCLE_2)
	v_readfirstlane_b32 s2, v1
	s_mul_f32 s2, s2, 0x4f7ffffe
	s_wait_alu 0xfffe
	s_cvt_u32_f32 s4, s2
	s_sub_co_i32 s2, 0, s10
	s_wait_alu 0xfffe
	s_delay_alu instid0(SALU_CYCLE_1)
	s_mul_i32 s2, s2, s4
	s_wait_alu 0xfffe
	s_mul_hi_u32 s5, s4, s2
	s_abs_i32 s2, ttmp9
	s_add_co_i32 s4, s4, s5
	s_mov_b32 s5, s3
	s_wait_kmcnt 0x0
	s_cmp_eq_u64 s[6:7], 0
	s_cbranch_scc1 .LBB200_3
; %bb.2:
	s_mov_b32 s12, ttmp9
	s_ashr_i32 s13, ttmp9, 31
	s_delay_alu instid0(SALU_CYCLE_1) | instskip(NEXT) | instid1(SALU_CYCLE_1)
	s_lshl_b64 s[12:13], s[12:13], 2
	s_add_nc_u64 s[6:7], s[6:7], s[12:13]
	s_load_b32 s8, s[6:7], 0x0
.LBB200_3:
	s_load_b96 s[12:14], s[0:1], 0x58
	v_and_b32_e32 v21, 3, v0
	v_lshlrev_b32_e32 v27, 2, v0
	s_mul_u64 s[4:5], s[2:3], s[4:5]
	s_ashr_i32 s3, ttmp9, 31
	s_ashr_i32 s4, s11, 31
	s_mul_i32 s16, ttmp9, 0x50
	s_mov_b32 s6, exec_lo
	v_cmpx_gt_u32_e32 0x50, v0
	s_cbranch_execz .LBB200_5
; %bb.4:
	s_load_b64 s[18:19], s[0:1], 0x18
	s_wait_kmcnt 0x0
	s_mul_i32 s20, s12, s15
	s_ashr_i32 s17, s16, 31
	s_ashr_i32 s21, s20, 31
	v_and_b32_e32 v2, 0x3fc, v0
	s_lshl_b64 s[20:21], s[20:21], 2
	s_delay_alu instid0(VALU_DEP_1) | instskip(SKIP_2) | instid1(SALU_CYCLE_1)
	v_mad_u32_u24 v2, 0x50, v21, v2
	s_add_nc_u64 s[18:19], s[18:19], s[20:21]
	s_lshl_b64 s[20:21], s[16:17], 2
	s_add_nc_u64 s[18:19], s[18:19], s[20:21]
	global_load_b32 v1, v27, s[18:19]
	s_wait_loadcnt 0x0
	ds_store_b32 v2, v1
.LBB200_5:
	s_or_b32 exec_lo, exec_lo, s6
	s_add_co_i32 s6, s27, 7
	s_wait_alu 0xfffe
	s_xor_b32 s3, s3, s4
	s_ashr_i32 s7, s6, 31
	s_lshl_b32 s31, s26, 6
	s_lshr_b32 s4, s7, 29
	s_mul_i32 s7, s5, s10
	s_add_co_i32 s6, s6, s4
	s_add_co_i32 s4, s31, 64
	s_ashr_i32 s30, s6, 3
	s_load_b32 s6, s[0:1], 0x48
	s_sub_co_i32 s2, s2, s7
	s_min_i32 s17, s4, s30
	s_add_co_i32 s4, s5, 1
	s_wait_alu 0xfffe
	s_sub_co_i32 s7, s2, s10
	s_cmp_ge_u32 s2, s10
	v_lshrrev_b32_e32 v25, 5, v0
	s_cselect_b32 s4, s4, s5
	s_cselect_b32 s2, s7, s2
	s_add_co_i32 s5, s4, 1
	s_wait_alu 0xfffe
	s_cmp_ge_u32 s2, s10
	v_or_b32_e32 v26, s31, v25
	s_cselect_b32 s2, s5, s4
	v_mbcnt_lo_u32_b32 v29, -1, 0
	s_wait_alu 0xfffe
	s_xor_b32 s2, s2, s3
	s_mov_b32 s4, exec_lo
	s_wait_alu 0xfffe
	s_sub_co_i32 s3, s2, s3
	v_cmp_gt_i32_e64 s2, s17, v26
	s_wait_dscnt 0x0
	s_barrier_signal -1
	s_wait_kmcnt 0x0
	s_mul_i32 s18, s6, s15
	s_barrier_wait -1
	s_ashr_i32 s19, s18, 31
	global_inv scope:SCOPE_SE
                                        ; implicit-def: $vgpr30
                                        ; implicit-def: $vgpr31
	v_cmpx_le_i32_e64 s17, v26
	s_xor_b32 s4, exec_lo, s4
; %bb.6:
	v_dual_mov_b32 v30, 0 :: v_dual_mov_b32 v31, 32
	v_mbcnt_lo_u32_b32 v29, -1, 0
                                        ; implicit-def: $vgpr21
; %bb.7:
	s_or_saveexec_b32 s10, s4
	s_clause 0x2
	s_load_b32 s12, s[0:1], 0x98
	s_load_b64 s[20:21], s[0:1], 0x38
	s_load_b128 s[4:7], s[0:1], 0x68
	v_mov_b32_e32 v32, 0xff7fffff
	v_lshlrev_b32_e32 v28, 2, v26
	s_mul_i32 s22, s3, s14
	s_xor_b32 exec_lo, exec_lo, s10
	s_cbranch_execz .LBB200_13
; %bb.8:
	s_load_b64 s[24:25], s[0:1], 0x20
	v_xor_b32_e32 v22, 2, v29
	v_bfe_u32 v23, v0, 2, 3
	v_mul_u32_u24_e32 v17, 0x50, v21
	v_xor_b32_e32 v24, 1, v29
	ds_load_b128 v[1:4], v17
	ds_load_b128 v[5:8], v17 offset:16
	ds_load_b128 v[9:12], v17 offset:32
	;; [unrolled: 1-line block ×4, first 2 shown]
	v_cmp_gt_i32_e32 vcc_lo, 32, v22
	v_dual_mov_b32 v37, v26 :: v_dual_lshlrev_b32 v32, 4, v23
	s_ashr_i32 s23, s22, 31
	s_wait_kmcnt 0x0
	s_load_b32 s11, s[4:5], 0x0
	v_cndmask_b32_e32 v22, v29, v22, vcc_lo
	v_cmp_gt_i32_e32 vcc_lo, 32, v24
	s_cmp_neq_f32 s8, 0
	v_dual_mov_b32 v30, 0 :: v_dual_mov_b32 v31, 32
	s_wait_alu 0xfffd
	v_dual_cndmask_b32 v24, v29, v24 :: v_dual_lshlrev_b32 v33, 2, v22
	s_add_nc_u64 s[24:25], s[24:25], s[22:23]
	v_lshlrev_b32_e32 v22, 2, v23
	v_add_co_u32 v32, s3, s24, v32
	s_wait_alu 0xf1ff
	v_add_co_ci_u32_e64 v35, null, s25, 0, s3
	v_cmp_eq_u32_e32 vcc_lo, 0, v21
	s_delay_alu instid0(VALU_DEP_3)
	v_add_co_u32 v21, s4, v32, v21
	v_lshlrev_b32_e32 v34, 2, v24
	v_lshlrev_b32_e32 v24, 3, v25
	s_cselect_b32 s3, -1, 0
	v_lshl_or_b32 v36, v25, 5, v22
	v_add_co_ci_u32_e64 v22, null, 0, v35, s4
	s_lshl_b64 s[4:5], s[18:19], 2
	v_add3_u32 v35, s28, v24, v23
	s_wait_alu 0xfffe
	s_add_nc_u64 s[4:5], s[20:21], s[4:5]
	v_add_nc_u32_e32 v36, 0x160, v36
	s_wait_alu 0xfffe
	v_add_co_u32 v23, s4, s4, v28
	s_wait_alu 0xf1ff
	v_add_co_ci_u32_e64 v24, null, s5, 0, s4
	v_mov_b32_e32 v32, 0xff7fffff
	s_mov_b32 s23, s13
	s_mov_b32 s14, 0
	s_sub_co_i32 s24, 1, s27
	s_branch .LBB200_10
.LBB200_9:                              ;   in Loop: Header=BB200_10 Depth=1
	s_wait_alu 0xfffe
	s_or_b32 exec_lo, exec_lo, s5
	v_add_nc_u32_e32 v37, 4, v37
	v_add_co_u32 v23, s5, v23, 16
	v_add_nc_u32_e32 v35, 32, v35
	v_add_nc_u32_e32 v36, 0x80, v36
	s_delay_alu instid0(VALU_DEP_4) | instskip(SKIP_3) | instid1(SALU_CYCLE_1)
	v_cmp_le_i32_e64 s4, s17, v37
	s_wait_alu 0xf1ff
	v_add_co_ci_u32_e64 v24, null, 0, v24, s5
	s_or_b32 s14, s4, s14
	s_and_not1_b32 exec_lo, exec_lo, s14
	s_cbranch_execz .LBB200_12
.LBB200_10:                             ; =>This Inner Loop Header: Depth=1
	global_load_b32 v38, v[23:24], off
	s_wait_loadcnt_dscnt 0x0
	v_mad_co_i64_i32 v[38:39], null, v38, s23, v[21:22]
	s_clause 0x13
	global_load_u8 v40, v[38:39], off offset:4
	global_load_u8 v41, v[38:39], off
	global_load_u8 v42, v[38:39], off offset:8
	global_load_u8 v43, v[38:39], off offset:12
	;; [unrolled: 1-line block ×18, first 2 shown]
	s_wait_loadcnt 0x13
	v_cvt_f32_fp8_e32 v39, v40
	s_wait_loadcnt 0x12
	v_cvt_f32_fp8_e32 v40, v41
	;; [unrolled: 2-line block ×4, first 2 shown]
	s_wait_kmcnt 0x0
	v_dual_mul_f32 v39, s11, v39 :: v_dual_mul_f32 v40, s11, v40
	s_wait_dscnt 0x4
	s_delay_alu instid0(VALU_DEP_1) | instskip(NEXT) | instid1(VALU_DEP_1)
	v_dual_mul_f32 v42, s11, v42 :: v_dual_mul_f32 v39, v2, v39
	v_fmac_f32_e32 v39, v1, v40
	s_wait_loadcnt 0xf
	v_cvt_f32_fp8_e32 v40, v44
	v_mul_f32_e32 v41, s11, v41
	s_wait_loadcnt 0x0
	v_cvt_f32_fp8_e32 v38, v38
	s_delay_alu instid0(VALU_DEP_2) | instskip(SKIP_1) | instid1(VALU_DEP_3)
	v_dual_mul_f32 v40, s11, v40 :: v_dual_fmac_f32 v39, v3, v41
	v_cvt_f32_fp8_e32 v41, v45
	v_mul_f32_e32 v38, s11, v38
	s_delay_alu instid0(VALU_DEP_3) | instskip(SKIP_1) | instid1(VALU_DEP_4)
	v_fmac_f32_e32 v39, v4, v42
	v_cvt_f32_fp8_e32 v42, v46
	v_mul_f32_e32 v41, s11, v41
	s_wait_dscnt 0x3
	s_delay_alu instid0(VALU_DEP_2) | instskip(SKIP_1) | instid1(VALU_DEP_2)
	v_dual_fmac_f32 v39, v5, v40 :: v_dual_mul_f32 v40, s11, v42
	v_cvt_f32_fp8_e32 v42, v47
	v_fmac_f32_e32 v39, v6, v41
	v_cvt_f32_fp8_e32 v41, v48
	s_delay_alu instid0(VALU_DEP_2) | instskip(NEXT) | instid1(VALU_DEP_2)
	v_dual_mul_f32 v42, s11, v42 :: v_dual_fmac_f32 v39, v7, v40
	v_mul_f32_e32 v40, s11, v41
	v_cvt_f32_fp8_e32 v41, v49
	s_delay_alu instid0(VALU_DEP_3) | instskip(SKIP_1) | instid1(VALU_DEP_3)
	v_fmac_f32_e32 v39, v8, v42
	v_cvt_f32_fp8_e32 v42, v50
	v_mul_f32_e32 v41, s11, v41
	s_wait_dscnt 0x2
	s_delay_alu instid0(VALU_DEP_2) | instskip(SKIP_1) | instid1(VALU_DEP_2)
	v_dual_fmac_f32 v39, v9, v40 :: v_dual_mul_f32 v40, s11, v42
	v_cvt_f32_fp8_e32 v42, v51
	v_fmac_f32_e32 v39, v10, v41
	v_cvt_f32_fp8_e32 v41, v52
	s_delay_alu instid0(VALU_DEP_2) | instskip(NEXT) | instid1(VALU_DEP_2)
	v_dual_mul_f32 v42, s11, v42 :: v_dual_fmac_f32 v39, v11, v40
	v_mul_f32_e32 v40, s11, v41
	v_cvt_f32_fp8_e32 v41, v53
	s_delay_alu instid0(VALU_DEP_3) | instskip(SKIP_1) | instid1(VALU_DEP_3)
	;; [unrolled: 14-line block ×3, first 2 shown]
	v_fmac_f32_e32 v39, v16, v42
	v_cvt_f32_fp8_e32 v42, v58
	v_mul_f32_e32 v41, s11, v41
	s_wait_dscnt 0x0
	s_delay_alu instid0(VALU_DEP_2) | instskip(NEXT) | instid1(VALU_DEP_1)
	v_dual_fmac_f32 v39, v17, v40 :: v_dual_mul_f32 v40, s11, v42
	v_fmac_f32_e32 v39, v18, v41
	s_delay_alu instid0(VALU_DEP_1) | instskip(NEXT) | instid1(VALU_DEP_1)
	v_fmac_f32_e32 v39, v19, v40
	v_fmac_f32_e32 v39, v20, v38
	ds_bpermute_b32 v38, v33, v39
	s_wait_dscnt 0x0
	v_add_f32_e32 v38, v39, v38
	ds_bpermute_b32 v39, v34, v38
	s_and_saveexec_b32 s5, vcc_lo
	s_cbranch_execz .LBB200_9
; %bb.11:                               ;   in Loop: Header=BB200_10 Depth=1
	s_wait_dscnt 0x0
	v_add_f32_e32 v38, v38, v39
	s_wait_alu 0xfffe
	v_add_nc_u32_e32 v40, s24, v35
	v_cmp_gt_i32_e64 s4, s27, v35
	s_delay_alu instid0(VALU_DEP_2) | instskip(NEXT) | instid1(VALU_DEP_1)
	v_cvt_f32_i32_e32 v40, v40
	v_mul_f32_e32 v40, s8, v40
	s_delay_alu instid0(VALU_DEP_1) | instskip(NEXT) | instid1(VALU_DEP_1)
	v_cndmask_b32_e64 v39, 0, v40, s3
	v_dual_max_num_f32 v40, v32, v32 :: v_dual_fmac_f32 v39, s9, v38
	s_delay_alu instid0(VALU_DEP_1) | instskip(SKIP_2) | instid1(VALU_DEP_2)
	v_max_num_f32_e32 v38, v40, v39
	s_wait_alu 0xf1ff
	v_cndmask_b32_e64 v39, 0, v39, s4
	v_cndmask_b32_e64 v32, v32, v38, s4
	ds_store_b32 v36, v39
	s_branch .LBB200_9
.LBB200_12:
	s_or_b32 exec_lo, exec_lo, s14
.LBB200_13:
	s_delay_alu instid0(SALU_CYCLE_1)
	s_or_b32 exec_lo, exec_lo, s10
	v_xor_b32_e32 v1, 16, v29
	v_xor_b32_e32 v3, 8, v29
	s_load_b128 s[8:11], s[0:1], 0x0
	s_wait_kmcnt 0x0
	s_clause 0x1
	s_load_b64 s[4:5], s[0:1], 0x10
	s_load_b64 s[24:25], s[0:1], 0x28
	v_and_b32_e32 v11, 31, v0
	v_max_num_f32_e32 v5, v32, v32
	v_cmp_lt_i32_e32 vcc_lo, v1, v31
	s_wait_alu 0xfffd
	v_cndmask_b32_e32 v1, v29, v1, vcc_lo
	v_cmp_lt_i32_e32 vcc_lo, v3, v31
	s_wait_alu 0xfffd
	v_cndmask_b32_e32 v3, v29, v3, vcc_lo
	s_delay_alu instid0(VALU_DEP_1) | instskip(SKIP_4) | instid1(VALU_DEP_1)
	v_lshlrev_b32_e32 v4, 2, v3
	v_lshlrev_b32_e32 v2, 2, v1
	ds_bpermute_b32 v1, v2, v32
	s_wait_dscnt 0x0
	v_max_num_f32_e32 v1, v1, v1
	v_max_num_f32_e32 v1, v5, v1
	v_xor_b32_e32 v5, 4, v29
	ds_bpermute_b32 v3, v4, v1
	v_cmp_lt_i32_e32 vcc_lo, v5, v31
	s_wait_alu 0xfffd
	v_cndmask_b32_e32 v5, v29, v5, vcc_lo
	v_cmp_eq_u32_e32 vcc_lo, 0, v11
	s_delay_alu instid0(VALU_DEP_2) | instskip(SKIP_3) | instid1(VALU_DEP_1)
	v_lshlrev_b32_e32 v7, 2, v5
	v_lshlrev_b32_e32 v5, 2, v25
	s_wait_dscnt 0x0
	v_max_num_f32_e32 v3, v3, v3
	v_max_num_f32_e32 v1, v1, v3
	ds_bpermute_b32 v3, v7, v1
	s_and_saveexec_b32 s0, vcc_lo
	s_cbranch_execz .LBB200_15
; %bb.14:
	s_wait_dscnt 0x0
	v_max_num_f32_e32 v3, v3, v3
	v_max_num_f32_e32 v1, v1, v1
	s_delay_alu instid0(VALU_DEP_1)
	v_max_num_f32_e32 v1, v1, v3
	ds_store_b32 v5, v1 offset:320
.LBB200_15:
	s_or_b32 exec_lo, exec_lo, s0
	v_cmp_gt_u32_e64 s0, 4, v11
	v_dual_mov_b32 v1, 0xff7fffff :: v_dual_lshlrev_b32 v6, 2, v11
	s_wait_loadcnt_dscnt 0x0
	s_barrier_signal -1
	s_barrier_wait -1
	global_inv scope:SCOPE_SE
	s_and_saveexec_b32 s1, s0
; %bb.16:
	ds_load_b32 v1, v6 offset:320
; %bb.17:
	s_or_b32 exec_lo, exec_lo, s1
	v_xor_b32_e32 v3, 2, v29
	v_xor_b32_e32 v9, 1, v29
	s_delay_alu instid0(VALU_DEP_2) | instskip(NEXT) | instid1(VALU_DEP_1)
	v_cmp_lt_i32_e64 s1, v3, v31
	v_cndmask_b32_e64 v3, v29, v3, s1
	s_delay_alu instid0(VALU_DEP_3) | instskip(NEXT) | instid1(VALU_DEP_2)
	v_cmp_lt_i32_e64 s1, v9, v31
	v_lshlrev_b32_e32 v8, 2, v3
	s_wait_alu 0xf1ff
	s_delay_alu instid0(VALU_DEP_2)
	v_cndmask_b32_e64 v9, v29, v9, s1
	s_sub_co_i32 s1, s17, s31
	s_wait_alu 0xfffe
	s_lshl_b32 s1, s1, 3
	s_wait_dscnt 0x0
	ds_bpermute_b32 v3, v8, v1
	v_max_num_f32_e32 v1, v1, v1
	s_wait_alu 0xfffe
	s_add_co_i32 s1, s1, s28
	v_lshlrev_b32_e32 v12, 2, v9
	s_wait_alu 0xfffe
	s_min_i32 s1, s1, s27
	v_mov_b32_e32 v9, 0
	s_wait_alu 0xfffe
	s_sub_co_i32 s14, s1, s28
	s_delay_alu instid0(SALU_CYCLE_1) | instskip(SKIP_2) | instid1(VALU_DEP_1)
	v_cmp_gt_i32_e64 s1, s14, v0
	s_wait_dscnt 0x0
	v_max_num_f32_e32 v3, v3, v3
	v_max_num_f32_e32 v1, v1, v3
	ds_bpermute_b32 v3, v12, v1
	s_wait_dscnt 0x0
	v_max_num_f32_e32 v3, v3, v3
	s_delay_alu instid0(VALU_DEP_1)
	v_max_num_f32_e32 v1, v1, v3
	v_lshlrev_b32_e32 v3, 2, v30
	ds_bpermute_b32 v1, v3, v1
	v_lshl_add_u32 v3, v0, 2, 0x160
	s_and_saveexec_b32 s23, s1
	s_cbranch_execz .LBB200_21
; %bb.18:
	v_lshl_add_u32 v10, v0, 2, 0x160
	v_mov_b32_e32 v9, 0
	v_mov_b32_e32 v13, v0
	s_mov_b32 s31, 0
.LBB200_19:                             ; =>This Inner Loop Header: Depth=1
	ds_load_b32 v14, v10
	v_add_nc_u32_e32 v13, 0x80, v13
	s_delay_alu instid0(VALU_DEP_1) | instskip(SKIP_4) | instid1(VALU_DEP_1)
	v_cmp_le_i32_e64 s3, s14, v13
	s_wait_alu 0xfffe
	s_or_b32 s31, s3, s31
	s_wait_dscnt 0x0
	v_sub_f32_e32 v14, v14, v1
	v_mul_f32_e32 v14, 0x3fb8aa3b, v14
	s_delay_alu instid0(VALU_DEP_1)
	v_exp_f32_e32 v14, v14
	ds_store_b32 v10, v14
	v_add_f32_e32 v9, v9, v14
	v_add_nc_u32_e32 v10, 0x200, v10
	s_wait_alu 0xfffe
	s_and_not1_b32 exec_lo, exec_lo, s31
	s_cbranch_execnz .LBB200_19
; %bb.20:
	s_or_b32 exec_lo, exec_lo, s31
.LBB200_21:
	s_wait_alu 0xfffe
	s_or_b32 exec_lo, exec_lo, s23
	ds_bpermute_b32 v2, v2, v9
	s_wait_dscnt 0x0
	v_add_f32_e32 v2, v9, v2
	ds_bpermute_b32 v4, v4, v2
	s_wait_dscnt 0x0
	v_add_f32_e32 v2, v2, v4
	;; [unrolled: 3-line block ×5, first 2 shown]
	s_and_saveexec_b32 s3, vcc_lo
; %bb.22:
	ds_store_b32 v5, v2 offset:336
; %bb.23:
	s_wait_alu 0xfffe
	s_or_b32 exec_lo, exec_lo, s3
	s_wait_loadcnt_dscnt 0x0
	s_barrier_signal -1
	s_barrier_wait -1
	global_inv scope:SCOPE_SE
	s_and_saveexec_b32 s3, s0
; %bb.24:
	ds_load_b32 v2, v6 offset:336
; %bb.25:
	s_wait_alu 0xfffe
	s_or_b32 exec_lo, exec_lo, s3
	s_wait_dscnt 0x0
	ds_bpermute_b32 v4, v8, v2
	s_wait_dscnt 0x0
	v_dual_add_f32 v2, v2, v4 :: v_dual_lshlrev_b32 v5, 2, v29
	ds_bpermute_b32 v4, v12, v2
	s_wait_dscnt 0x0
	v_add_f32_e32 v2, v2, v4
	v_and_b32_e32 v4, 0xffffff80, v5
	ds_bpermute_b32 v2, v4, v2
	s_and_saveexec_b32 s0, s1
	s_cbranch_execz .LBB200_28
; %bb.26:
	s_wait_dscnt 0x0
	v_add_f32_e32 v4, 0x358637bd, v2
	s_mov_b32 s1, 0
	s_delay_alu instid0(VALU_DEP_1) | instskip(SKIP_1) | instid1(VALU_DEP_2)
	v_div_scale_f32 v5, null, v4, v4, 1.0
	v_div_scale_f32 v8, vcc_lo, 1.0, v4, 1.0
	v_rcp_f32_e32 v6, v5
	s_delay_alu instid0(TRANS32_DEP_1) | instskip(NEXT) | instid1(VALU_DEP_1)
	v_fma_f32 v7, -v5, v6, 1.0
	v_fmac_f32_e32 v6, v7, v6
	s_delay_alu instid0(VALU_DEP_1) | instskip(NEXT) | instid1(VALU_DEP_1)
	v_mul_f32_e32 v7, v8, v6
	v_fma_f32 v9, -v5, v7, v8
	s_delay_alu instid0(VALU_DEP_1) | instskip(NEXT) | instid1(VALU_DEP_1)
	v_fmac_f32_e32 v7, v9, v6
	v_fma_f32 v5, -v5, v7, v8
	s_wait_alu 0xfffd
	s_delay_alu instid0(VALU_DEP_1) | instskip(NEXT) | instid1(VALU_DEP_1)
	v_div_fmas_f32 v5, v5, v6, v7
	v_div_fixup_f32 v4, v5, v4, 1.0
	v_mov_b32_e32 v5, v0
.LBB200_27:                             ; =>This Inner Loop Header: Depth=1
	ds_load_b32 v6, v3
	s_wait_dscnt 0x0
	v_dual_mul_f32 v6, v4, v6 :: v_dual_add_nc_u32 v5, 0x80, v5
	s_delay_alu instid0(VALU_DEP_1)
	v_cmp_le_i32_e32 vcc_lo, s14, v5
	ds_store_b32 v3, v6
	v_add_nc_u32_e32 v3, 0x200, v3
	s_wait_alu 0xfffe
	s_or_b32 s1, vcc_lo, s1
	s_wait_alu 0xfffe
	s_and_not1_b32 exec_lo, exec_lo, s1
	s_cbranch_execnz .LBB200_27
.LBB200_28:
	s_wait_alu 0xfffe
	s_or_b32 exec_lo, exec_lo, s0
	s_mul_i32 s0, s12, s15
	s_wait_loadcnt_dscnt 0x0
	s_wait_alu 0xfffe
	s_mul_i32 s14, s0, s29
	s_mov_b32 s0, exec_lo
	s_barrier_signal -1
	s_barrier_wait -1
	global_inv scope:SCOPE_SE
	v_cmpx_eq_u32_e32 0, v0
	s_cbranch_execz .LBB200_30
; %bb.29:
	s_wait_alu 0xfffe
	s_ashr_i32 s15, s14, 31
	s_mul_i32 s34, s12, ttmp9
	s_lshl_b32 s1, s26, 2
	s_wait_alu 0xfffe
	s_lshl_b64 s[36:37], s[14:15], 2
	s_ashr_i32 s35, s34, 31
	v_mov_b32_e32 v3, s1
	s_add_nc_u64 s[10:11], s[10:11], s[36:37]
	s_lshl_b64 s[34:35], s[34:35], 2
	s_add_nc_u64 s[8:9], s[8:9], s[36:37]
	s_wait_alu 0xfffe
	s_add_nc_u64 s[10:11], s[10:11], s[34:35]
	s_add_nc_u64 s[8:9], s[8:9], s[34:35]
	s_clause 0x1
	global_store_b32 v3, v1, s[10:11]
	global_store_b32 v3, v2, s[8:9]
.LBB200_30:
	s_wait_alu 0xfffe
	s_or_b32 exec_lo, exec_lo, s0
	v_dual_mov_b32 v16, 0 :: v_dual_and_b32 v13, 1, v0
	v_dual_mov_b32 v18, 0 :: v_dual_mov_b32 v17, 0
	v_dual_mov_b32 v15, 0 :: v_dual_mov_b32 v14, 0
	s_and_saveexec_b32 s1, s2
	s_cbranch_execz .LBB200_44
; %bb.31:
	s_load_b32 s3, s[6:7], 0x0
	v_dual_mov_b32 v15, 0 :: v_dual_lshlrev_b32 v2, 4, v13
	v_dual_mov_b32 v18, 0 :: v_dual_and_b32 v3, 0x7c, v27
	s_ashr_i32 s23, s22, 31
	s_lshl_b64 s[6:7], s[18:19], 2
	s_wait_kmcnt 0x0
	s_wait_alu 0xfffe
	s_add_nc_u64 s[8:9], s[24:25], s[22:23]
	v_dual_mov_b32 v14, 0 :: v_dual_and_b32 v1, 4, v27
	v_lshl_add_u32 v4, v25, 3, s28
	v_lshl_or_b32 v2, v25, 5, v2
	s_wait_alu 0xfffe
	v_add_co_u32 v5, s0, s8, v3
	s_add_nc_u64 s[6:7], s[20:21], s[6:7]
	s_wait_alu 0xf1ff
	v_add_co_ci_u32_e64 v6, null, s9, 0, s0
	v_add_co_u32 v7, s0, s6, v28
	v_add3_u32 v19, v4, v1, 3
	v_dual_mov_b32 v17, 0 :: v_dual_add_nc_u32 v20, 0x160, v2
	s_wait_alu 0xf1ff
	v_add_co_ci_u32_e64 v8, null, s7, 0, s0
	v_mov_b32_e32 v16, 0
	s_mov_b32 s2, s13
	s_mov_b32 s6, s3
	s_add_co_i32 s30, s30, -1
	s_mov_b32 s7, 0
	s_branch .LBB200_33
.LBB200_32:                             ;   in Loop: Header=BB200_33 Depth=1
	s_wait_alu 0xfffe
	s_or_b32 exec_lo, exec_lo, s0
	s_wait_dscnt 0x0
	v_mul_f32_e32 v31, v1, v37
	v_mul_f32_e32 v30, v1, v41
	;; [unrolled: 1-line block ×3, first 2 shown]
	v_add_nc_u32_e32 v26, 4, v26
	v_add_co_u32 v7, s0, v7, 16
	v_fmac_f32_e32 v31, v2, v36
	v_mul_f32_e32 v24, v1, v24
	v_dual_mul_f32 v1, v1, v43 :: v_dual_fmac_f32 v30, v2, v40
	v_cmp_le_i32_e32 vcc_lo, s17, v26
	s_delay_alu instid0(VALU_DEP_4) | instskip(NEXT) | instid1(VALU_DEP_3)
	v_dual_fmac_f32 v31, v3, v35 :: v_dual_add_nc_u32 v20, 0x80, v20
	v_fmac_f32_e32 v1, v2, v42
	v_fmac_f32_e32 v32, v2, v29
	;; [unrolled: 1-line block ×3, first 2 shown]
	s_delay_alu instid0(VALU_DEP_4) | instskip(NEXT) | instid1(VALU_DEP_4)
	v_dual_fmac_f32 v30, v3, v39 :: v_dual_fmac_f32 v31, v4, v34
	v_fmac_f32_e32 v1, v3, v10
	s_delay_alu instid0(VALU_DEP_4) | instskip(NEXT) | instid1(VALU_DEP_4)
	v_fmac_f32_e32 v32, v3, v28
	v_fmac_f32_e32 v24, v3, v22
	s_delay_alu instid0(VALU_DEP_4) | instskip(NEXT) | instid1(VALU_DEP_4)
	v_dual_fmac_f32 v30, v4, v38 :: v_dual_add_nc_u32 v19, 32, v19
	v_fmac_f32_e32 v1, v4, v9
	s_delay_alu instid0(VALU_DEP_4) | instskip(NEXT) | instid1(VALU_DEP_4)
	v_fmac_f32_e32 v32, v4, v27
	v_dual_add_f32 v17, v17, v31 :: v_dual_fmac_f32 v24, v4, v21
	s_delay_alu instid0(VALU_DEP_3) | instskip(NEXT) | instid1(VALU_DEP_3)
	v_dual_add_f32 v15, v15, v30 :: v_dual_add_f32 v14, v14, v1
	v_add_f32_e32 v18, v18, v32
	s_wait_alu 0xf1ff
	v_add_co_ci_u32_e64 v8, null, 0, v8, s0
	v_add_f32_e32 v16, v16, v24
	s_or_b32 s7, vcc_lo, s7
	s_wait_alu 0xfffe
	s_and_not1_b32 exec_lo, exec_lo, s7
	s_cbranch_execz .LBB200_43
.LBB200_33:                             ; =>This Inner Loop Header: Depth=1
	global_load_b32 v1, v[7:8], off
	s_wait_alu 0xfffe
	v_cmp_eq_u32_e32 vcc_lo, s30, v26
	v_add_nc_u32_e32 v32, -1, v19
	s_wait_loadcnt 0x0
	v_mad_co_i64_i32 v[9:10], null, v1, s2, v[5:6]
	ds_load_b128 v[1:4], v20
	global_load_b32 v21, v[9:10], off
	s_wait_loadcnt 0x0
	v_lshrrev_b32_e32 v23, 16, v21
	s_delay_alu instid0(VALU_DEP_1) | instskip(SKIP_1) | instid1(VALU_DEP_1)
	v_cvt_pk_f32_fp8_e32 v[27:28], v23
	v_and_b32_e32 v22, 0xffff, v21
	v_cvt_pk_f32_fp8_e32 v[21:22], v22
	v_add_nc_u32_e32 v30, -3, v19
	s_delay_alu instid0(VALU_DEP_2) | instskip(NEXT) | instid1(VALU_DEP_3)
	v_dual_mul_f32 v24, s3, v21 :: v_dual_add_nc_u32 v31, -2, v19
	v_dual_mul_f32 v23, s6, v22 :: v_dual_mul_f32 v22, s3, v27
	v_mul_f32_e32 v21, s6, v28
	s_and_saveexec_b32 s8, vcc_lo
	s_cbranch_execz .LBB200_35
; %bb.34:                               ;   in Loop: Header=BB200_33 Depth=1
	v_cmp_gt_i32_e64 s0, s27, v30
	s_wait_alu 0xf1ff
	s_delay_alu instid0(VALU_DEP_1) | instskip(SKIP_2) | instid1(VALU_DEP_1)
	v_cndmask_b32_e64 v24, 0, v24, s0
	v_cmp_gt_i32_e64 s0, s27, v31
	s_wait_alu 0xf1ff
	v_cndmask_b32_e64 v23, 0, v23, s0
	v_cmp_gt_i32_e64 s0, s27, v32
	s_wait_alu 0xf1ff
	s_delay_alu instid0(VALU_DEP_1) | instskip(SKIP_2) | instid1(VALU_DEP_1)
	v_cndmask_b32_e64 v22, 0, v22, s0
	v_cmp_gt_i32_e64 s0, s27, v19
	s_wait_alu 0xf1ff
	v_cndmask_b32_e64 v21, 0, v21, s0
.LBB200_35:                             ;   in Loop: Header=BB200_33 Depth=1
	s_wait_alu 0xfffe
	s_or_b32 exec_lo, exec_lo, s8
	global_load_b32 v27, v[9:10], off offset:128
	s_wait_loadcnt 0x0
	v_and_b32_e32 v28, 0xffff, v27
	v_lshrrev_b32_e32 v29, 16, v27
	s_delay_alu instid0(VALU_DEP_2) | instskip(NEXT) | instid1(VALU_DEP_2)
	v_cvt_pk_f32_fp8_e32 v[27:28], v28
	v_cvt_pk_f32_fp8_e32 v[34:35], v29
	s_delay_alu instid0(VALU_DEP_2) | instskip(NEXT) | instid1(VALU_DEP_2)
	v_mul_f32_e32 v33, s3, v27
	v_dual_mul_f32 v29, s6, v28 :: v_dual_mul_f32 v28, s3, v34
	s_delay_alu instid0(VALU_DEP_3)
	v_mul_f32_e32 v27, s6, v35
	s_and_saveexec_b32 s8, vcc_lo
	s_cbranch_execz .LBB200_37
; %bb.36:                               ;   in Loop: Header=BB200_33 Depth=1
	v_cmp_gt_i32_e64 s0, s27, v30
	s_wait_alu 0xf1ff
	s_delay_alu instid0(VALU_DEP_1) | instskip(SKIP_2) | instid1(VALU_DEP_1)
	v_cndmask_b32_e64 v33, 0, v33, s0
	v_cmp_gt_i32_e64 s0, s27, v31
	s_wait_alu 0xf1ff
	v_cndmask_b32_e64 v29, 0, v29, s0
	v_cmp_gt_i32_e64 s0, s27, v32
	s_wait_alu 0xf1ff
	s_delay_alu instid0(VALU_DEP_1) | instskip(SKIP_2) | instid1(VALU_DEP_1)
	v_cndmask_b32_e64 v28, 0, v28, s0
	v_cmp_gt_i32_e64 s0, s27, v19
	s_wait_alu 0xf1ff
	v_cndmask_b32_e64 v27, 0, v27, s0
.LBB200_37:                             ;   in Loop: Header=BB200_33 Depth=1
	s_wait_alu 0xfffe
	s_or_b32 exec_lo, exec_lo, s8
	global_load_b32 v34, v[9:10], off offset:256
	s_wait_loadcnt 0x0
	v_lshrrev_b32_e32 v36, 16, v34
	s_delay_alu instid0(VALU_DEP_1) | instskip(SKIP_1) | instid1(VALU_DEP_1)
	v_cvt_pk_f32_fp8_e32 v[38:39], v36
	v_and_b32_e32 v35, 0xffff, v34
	v_cvt_pk_f32_fp8_e32 v[34:35], v35
	s_delay_alu instid0(VALU_DEP_1) | instskip(NEXT) | instid1(VALU_DEP_4)
	v_dual_mul_f32 v37, s3, v34 :: v_dual_mul_f32 v36, s6, v35
	v_dual_mul_f32 v35, s3, v38 :: v_dual_mul_f32 v34, s6, v39
	s_and_saveexec_b32 s8, vcc_lo
	s_cbranch_execz .LBB200_39
; %bb.38:                               ;   in Loop: Header=BB200_33 Depth=1
	v_cmp_gt_i32_e64 s0, s27, v30
	s_wait_alu 0xf1ff
	s_delay_alu instid0(VALU_DEP_1) | instskip(SKIP_2) | instid1(VALU_DEP_1)
	v_cndmask_b32_e64 v37, 0, v37, s0
	v_cmp_gt_i32_e64 s0, s27, v31
	s_wait_alu 0xf1ff
	v_cndmask_b32_e64 v36, 0, v36, s0
	v_cmp_gt_i32_e64 s0, s27, v32
	s_wait_alu 0xf1ff
	s_delay_alu instid0(VALU_DEP_1) | instskip(SKIP_2) | instid1(VALU_DEP_1)
	v_cndmask_b32_e64 v35, 0, v35, s0
	v_cmp_gt_i32_e64 s0, s27, v19
	s_wait_alu 0xf1ff
	v_cndmask_b32_e64 v34, 0, v34, s0
.LBB200_39:                             ;   in Loop: Header=BB200_33 Depth=1
	s_wait_alu 0xfffe
	s_or_b32 exec_lo, exec_lo, s8
	global_load_b32 v38, v[9:10], off offset:384
	s_wait_loadcnt 0x0
	v_lshrrev_b32_e32 v40, 16, v38
	s_delay_alu instid0(VALU_DEP_1) | instskip(SKIP_1) | instid1(VALU_DEP_1)
	v_cvt_pk_f32_fp8_e32 v[42:43], v40
	v_and_b32_e32 v39, 0xffff, v38
	v_cvt_pk_f32_fp8_e32 v[38:39], v39
	s_delay_alu instid0(VALU_DEP_1) | instskip(NEXT) | instid1(VALU_DEP_4)
	v_dual_mul_f32 v41, s3, v38 :: v_dual_mul_f32 v40, s6, v39
	v_dual_mul_f32 v39, s3, v42 :: v_dual_mul_f32 v38, s6, v43
	s_and_saveexec_b32 s8, vcc_lo
	s_cbranch_execz .LBB200_41
; %bb.40:                               ;   in Loop: Header=BB200_33 Depth=1
	v_cmp_gt_i32_e64 s0, s27, v30
	s_wait_alu 0xf1ff
	s_delay_alu instid0(VALU_DEP_1) | instskip(SKIP_2) | instid1(VALU_DEP_1)
	v_cndmask_b32_e64 v41, 0, v41, s0
	v_cmp_gt_i32_e64 s0, s27, v31
	s_wait_alu 0xf1ff
	v_cndmask_b32_e64 v40, 0, v40, s0
	v_cmp_gt_i32_e64 s0, s27, v32
	s_wait_alu 0xf1ff
	s_delay_alu instid0(VALU_DEP_1) | instskip(SKIP_2) | instid1(VALU_DEP_1)
	v_cndmask_b32_e64 v39, 0, v39, s0
	v_cmp_gt_i32_e64 s0, s27, v19
	s_wait_alu 0xf1ff
	v_cndmask_b32_e64 v38, 0, v38, s0
.LBB200_41:                             ;   in Loop: Header=BB200_33 Depth=1
	s_wait_alu 0xfffe
	s_or_b32 exec_lo, exec_lo, s8
	global_load_b32 v9, v[9:10], off offset:512
	s_wait_loadcnt 0x0
	v_and_b32_e32 v10, 0xffff, v9
	v_lshrrev_b32_e32 v42, 16, v9
	s_delay_alu instid0(VALU_DEP_2) | instskip(NEXT) | instid1(VALU_DEP_2)
	v_cvt_pk_f32_fp8_e32 v[9:10], v10
	v_cvt_pk_f32_fp8_e32 v[44:45], v42
	s_delay_alu instid0(VALU_DEP_2) | instskip(NEXT) | instid1(VALU_DEP_2)
	v_dual_mul_f32 v43, s3, v9 :: v_dual_mul_f32 v42, s6, v10
	v_dual_mul_f32 v10, s3, v44 :: v_dual_mul_f32 v9, s6, v45
	s_and_saveexec_b32 s0, vcc_lo
	s_cbranch_execz .LBB200_32
; %bb.42:                               ;   in Loop: Header=BB200_33 Depth=1
	v_cmp_gt_i32_e32 vcc_lo, s27, v30
	s_wait_alu 0xfffd
	v_cndmask_b32_e32 v43, 0, v43, vcc_lo
	v_cmp_gt_i32_e32 vcc_lo, s27, v31
	s_wait_alu 0xfffd
	v_cndmask_b32_e32 v42, 0, v42, vcc_lo
	;; [unrolled: 3-line block ×4, first 2 shown]
	s_branch .LBB200_32
.LBB200_43:
	s_or_b32 exec_lo, exec_lo, s7
.LBB200_44:
	s_wait_alu 0xfffe
	s_or_b32 exec_lo, exec_lo, s1
	ds_bpermute_b32 v1, v12, v16
	ds_bpermute_b32 v2, v12, v18
	ds_bpermute_b32 v3, v12, v17
	ds_bpermute_b32 v4, v12, v15
	ds_bpermute_b32 v5, v12, v14
	v_lshrrev_b32_e32 v6, 1, v11
	v_mul_u32_u24_e32 v8, 0x140, v25
	v_and_b32_e32 v9, 0x3c1, v0
	s_mov_b32 s0, exec_lo
	s_wait_storecnt 0x0
	s_wait_loadcnt_dscnt 0x0
	v_lshl_add_u32 v7, v6, 2, 0x160
	s_barrier_signal -1
	s_barrier_wait -1
	global_inv scope:SCOPE_SE
	v_dual_add_f32 v1, v16, v1 :: v_dual_add_f32 v2, v18, v2
	v_dual_add_f32 v3, v17, v3 :: v_dual_add_f32 v4, v15, v4
	v_add_f32_e32 v5, v14, v5
	v_cmpx_eq_u32_e32 64, v9
	s_cbranch_execz .LBB200_46
; %bb.45:
	v_add_nc_u32_e32 v9, v7, v8
	s_delay_alu instid0(VALU_DEP_1)
	v_add_nc_u32_e32 v10, 0xfffffd80, v9
	v_add_nc_u32_e32 v11, 0xfffffdc0, v9
	;; [unrolled: 1-line block ×5, first 2 shown]
	ds_store_b32 v10, v1
	ds_store_b32 v11, v2
	;; [unrolled: 1-line block ×5, first 2 shown]
.LBB200_46:
	s_wait_alu 0xfffe
	s_or_b32 exec_lo, exec_lo, s0
	v_lshlrev_b32_e32 v6, 2, v6
	s_mov_b32 s1, exec_lo
	v_cmp_eq_u32_e32 vcc_lo, 0, v13
	s_wait_loadcnt_dscnt 0x0
	s_barrier_signal -1
	v_add3_u32 v6, 0x160, v8, v6
	s_barrier_wait -1
	global_inv scope:SCOPE_SE
	v_cmpx_gt_u32_e32 64, v0
	s_cbranch_execz .LBB200_54
; %bb.47:
	s_and_saveexec_b32 s0, vcc_lo
	s_cbranch_execnz .LBB200_67
; %bb.48:
	s_wait_alu 0xfffe
	s_or_b32 exec_lo, exec_lo, s0
	s_and_saveexec_b32 s0, vcc_lo
	s_cbranch_execnz .LBB200_68
.LBB200_49:
	s_wait_alu 0xfffe
	s_or_b32 exec_lo, exec_lo, s0
	s_and_saveexec_b32 s0, vcc_lo
	s_cbranch_execnz .LBB200_69
.LBB200_50:
	s_wait_alu 0xfffe
	s_or_b32 exec_lo, exec_lo, s0
	s_and_saveexec_b32 s0, vcc_lo
	s_cbranch_execnz .LBB200_70
.LBB200_51:
	s_wait_alu 0xfffe
	s_or_b32 exec_lo, exec_lo, s0
	s_and_saveexec_b32 s0, vcc_lo
	s_cbranch_execz .LBB200_53
.LBB200_52:
	ds_load_b32 v8, v6 offset:256
	s_wait_dscnt 0x0
	v_add_f32_e32 v5, v5, v8
.LBB200_53:
	s_wait_alu 0xfffe
	s_or_b32 exec_lo, exec_lo, s0
.LBB200_54:
	s_wait_alu 0xfffe
	s_or_b32 exec_lo, exec_lo, s1
	v_and_b32_e32 v8, 0x3e1, v0
	s_mov_b32 s1, exec_lo
	s_wait_loadcnt 0x0
	s_barrier_signal -1
	s_barrier_wait -1
	global_inv scope:SCOPE_SE
	v_cmpx_eq_u32_e32 32, v8
	s_cbranch_execz .LBB200_56
; %bb.55:
	ds_store_2addr_b32 v7, v1, v2 offset1:16
	ds_store_2addr_b32 v7, v3, v4 offset0:32 offset1:48
	ds_store_b32 v7, v5 offset:256
.LBB200_56:
	s_wait_alu 0xfffe
	s_or_b32 exec_lo, exec_lo, s1
	s_delay_alu instid0(SALU_CYCLE_1)
	s_mov_b32 s1, exec_lo
	s_wait_loadcnt_dscnt 0x0
	s_barrier_signal -1
	s_barrier_wait -1
	global_inv scope:SCOPE_SE
	v_cmpx_gt_u32_e32 32, v0
	s_cbranch_execz .LBB200_64
; %bb.57:
	s_and_saveexec_b32 s0, vcc_lo
	s_cbranch_execnz .LBB200_71
; %bb.58:
	s_wait_alu 0xfffe
	s_or_b32 exec_lo, exec_lo, s0
	s_and_saveexec_b32 s0, vcc_lo
	s_cbranch_execnz .LBB200_72
.LBB200_59:
	s_wait_alu 0xfffe
	s_or_b32 exec_lo, exec_lo, s0
	s_and_saveexec_b32 s0, vcc_lo
	s_cbranch_execnz .LBB200_73
.LBB200_60:
	s_wait_alu 0xfffe
	s_or_b32 exec_lo, exec_lo, s0
	s_and_saveexec_b32 s0, vcc_lo
	s_cbranch_execnz .LBB200_74
.LBB200_61:
	s_wait_alu 0xfffe
	s_or_b32 exec_lo, exec_lo, s0
	s_and_saveexec_b32 s0, vcc_lo
	s_cbranch_execz .LBB200_63
.LBB200_62:
	ds_load_b32 v6, v6 offset:256
	s_wait_dscnt 0x0
	v_add_f32_e32 v5, v5, v6
.LBB200_63:
	s_wait_alu 0xfffe
	s_or_b32 exec_lo, exec_lo, s0
.LBB200_64:
	s_wait_alu 0xfffe
	s_or_b32 exec_lo, exec_lo, s1
	s_mov_b32 s1, 0
	s_wait_loadcnt 0x0
	s_barrier_signal -1
	s_barrier_wait -1
	global_inv scope:SCOPE_SE
	s_mov_b32 s0, exec_lo
	v_cmpx_eq_u32_e32 0, v8
	s_cbranch_execz .LBB200_66
; %bb.65:
	s_mul_i32 s2, s14, 0x50
	s_mul_i32 s6, s12, s16
	s_wait_alu 0xfffe
	s_ashr_i32 s3, s2, 31
	s_ashr_i32 s7, s6, 31
	s_wait_alu 0xfffe
	s_lshl_b64 s[2:3], s[2:3], 2
	s_lshl_b64 s[6:7], s[6:7], 2
	s_wait_kmcnt 0x0
	s_wait_alu 0xfffe
	s_add_nc_u64 s[2:3], s[4:5], s[2:3]
	v_lshlrev_b32_e32 v0, 1, v0
	s_mul_i32 s0, s26, 0x140
	s_wait_alu 0xfffe
	s_add_nc_u64 s[2:3], s[2:3], s[6:7]
	s_wait_alu 0xfffe
	s_add_nc_u64 s[0:1], s[2:3], s[0:1]
	s_clause 0x4
	global_store_b32 v0, v1, s[0:1]
	global_store_b32 v0, v2, s[0:1] offset:64
	global_store_b32 v0, v3, s[0:1] offset:128
	;; [unrolled: 1-line block ×4, first 2 shown]
.LBB200_66:
	s_endpgm
.LBB200_67:
	ds_load_b32 v8, v6
	s_wait_dscnt 0x0
	v_add_f32_e32 v1, v1, v8
	s_wait_alu 0xfffe
	s_or_b32 exec_lo, exec_lo, s0
	s_and_saveexec_b32 s0, vcc_lo
	s_cbranch_execz .LBB200_49
.LBB200_68:
	ds_load_b32 v8, v6 offset:64
	s_wait_dscnt 0x0
	v_add_f32_e32 v2, v2, v8
	s_wait_alu 0xfffe
	s_or_b32 exec_lo, exec_lo, s0
	s_and_saveexec_b32 s0, vcc_lo
	s_cbranch_execz .LBB200_50
.LBB200_69:
	ds_load_b32 v8, v6 offset:128
	s_wait_dscnt 0x0
	v_add_f32_e32 v3, v3, v8
	s_wait_alu 0xfffe
	s_or_b32 exec_lo, exec_lo, s0
	s_and_saveexec_b32 s0, vcc_lo
	s_cbranch_execz .LBB200_51
.LBB200_70:
	ds_load_b32 v8, v6 offset:192
	s_wait_dscnt 0x0
	v_add_f32_e32 v4, v4, v8
	s_wait_alu 0xfffe
	s_or_b32 exec_lo, exec_lo, s0
	s_and_saveexec_b32 s0, vcc_lo
	s_cbranch_execnz .LBB200_52
	s_branch .LBB200_53
.LBB200_71:
	ds_load_b32 v7, v6
	s_wait_dscnt 0x0
	v_add_f32_e32 v1, v1, v7
	s_wait_alu 0xfffe
	s_or_b32 exec_lo, exec_lo, s0
	s_and_saveexec_b32 s0, vcc_lo
	s_cbranch_execz .LBB200_59
.LBB200_72:
	ds_load_b32 v7, v6 offset:64
	s_wait_dscnt 0x0
	v_add_f32_e32 v2, v2, v7
	s_wait_alu 0xfffe
	s_or_b32 exec_lo, exec_lo, s0
	s_and_saveexec_b32 s0, vcc_lo
	s_cbranch_execz .LBB200_60
.LBB200_73:
	ds_load_b32 v7, v6 offset:128
	s_wait_dscnt 0x0
	v_add_f32_e32 v3, v3, v7
	s_wait_alu 0xfffe
	s_or_b32 exec_lo, exec_lo, s0
	s_and_saveexec_b32 s0, vcc_lo
	s_cbranch_execz .LBB200_61
.LBB200_74:
	ds_load_b32 v7, v6 offset:192
	s_wait_dscnt 0x0
	v_add_f32_e32 v4, v4, v7
	s_wait_alu 0xfffe
	s_or_b32 exec_lo, exec_lo, s0
	s_and_saveexec_b32 s0, vcc_lo
	s_cbranch_execnz .LBB200_62
	s_branch .LBB200_63
	.section	.rodata,"a",@progbits
	.p2align	6, 0x0
	.amdhsa_kernel _ZN4vllm25paged_attention_v2_kernelIfhLi80ELi8ELi128ELNS_18Fp8KVCacheDataTypeE1ELb0ELi512EEEvPfS2_PT_PKS3_PKT0_S9_ifPKiSB_iPKfiiiSD_SD_iiiii
		.amdhsa_group_segment_fixed_size 352
		.amdhsa_private_segment_fixed_size 0
		.amdhsa_kernarg_size 400
		.amdhsa_user_sgpr_count 2
		.amdhsa_user_sgpr_dispatch_ptr 0
		.amdhsa_user_sgpr_queue_ptr 0
		.amdhsa_user_sgpr_kernarg_segment_ptr 1
		.amdhsa_user_sgpr_dispatch_id 0
		.amdhsa_user_sgpr_private_segment_size 0
		.amdhsa_wavefront_size32 1
		.amdhsa_uses_dynamic_stack 0
		.amdhsa_enable_private_segment 0
		.amdhsa_system_sgpr_workgroup_id_x 1
		.amdhsa_system_sgpr_workgroup_id_y 1
		.amdhsa_system_sgpr_workgroup_id_z 1
		.amdhsa_system_sgpr_workgroup_info 0
		.amdhsa_system_vgpr_workitem_id 0
		.amdhsa_next_free_vgpr 59
		.amdhsa_next_free_sgpr 38
		.amdhsa_reserve_vcc 1
		.amdhsa_float_round_mode_32 0
		.amdhsa_float_round_mode_16_64 0
		.amdhsa_float_denorm_mode_32 3
		.amdhsa_float_denorm_mode_16_64 3
		.amdhsa_fp16_overflow 0
		.amdhsa_workgroup_processor_mode 1
		.amdhsa_memory_ordered 1
		.amdhsa_forward_progress 1
		.amdhsa_inst_pref_size 42
		.amdhsa_round_robin_scheduling 0
		.amdhsa_exception_fp_ieee_invalid_op 0
		.amdhsa_exception_fp_denorm_src 0
		.amdhsa_exception_fp_ieee_div_zero 0
		.amdhsa_exception_fp_ieee_overflow 0
		.amdhsa_exception_fp_ieee_underflow 0
		.amdhsa_exception_fp_ieee_inexact 0
		.amdhsa_exception_int_div_zero 0
	.end_amdhsa_kernel
	.section	.text._ZN4vllm25paged_attention_v2_kernelIfhLi80ELi8ELi128ELNS_18Fp8KVCacheDataTypeE1ELb0ELi512EEEvPfS2_PT_PKS3_PKT0_S9_ifPKiSB_iPKfiiiSD_SD_iiiii,"axG",@progbits,_ZN4vllm25paged_attention_v2_kernelIfhLi80ELi8ELi128ELNS_18Fp8KVCacheDataTypeE1ELb0ELi512EEEvPfS2_PT_PKS3_PKT0_S9_ifPKiSB_iPKfiiiSD_SD_iiiii,comdat
.Lfunc_end200:
	.size	_ZN4vllm25paged_attention_v2_kernelIfhLi80ELi8ELi128ELNS_18Fp8KVCacheDataTypeE1ELb0ELi512EEEvPfS2_PT_PKS3_PKT0_S9_ifPKiSB_iPKfiiiSD_SD_iiiii, .Lfunc_end200-_ZN4vllm25paged_attention_v2_kernelIfhLi80ELi8ELi128ELNS_18Fp8KVCacheDataTypeE1ELb0ELi512EEEvPfS2_PT_PKS3_PKT0_S9_ifPKiSB_iPKfiiiSD_SD_iiiii
                                        ; -- End function
	.set _ZN4vllm25paged_attention_v2_kernelIfhLi80ELi8ELi128ELNS_18Fp8KVCacheDataTypeE1ELb0ELi512EEEvPfS2_PT_PKS3_PKT0_S9_ifPKiSB_iPKfiiiSD_SD_iiiii.num_vgpr, 59
	.set _ZN4vllm25paged_attention_v2_kernelIfhLi80ELi8ELi128ELNS_18Fp8KVCacheDataTypeE1ELb0ELi512EEEvPfS2_PT_PKS3_PKT0_S9_ifPKiSB_iPKfiiiSD_SD_iiiii.num_agpr, 0
	.set _ZN4vllm25paged_attention_v2_kernelIfhLi80ELi8ELi128ELNS_18Fp8KVCacheDataTypeE1ELb0ELi512EEEvPfS2_PT_PKS3_PKT0_S9_ifPKiSB_iPKfiiiSD_SD_iiiii.numbered_sgpr, 38
	.set _ZN4vllm25paged_attention_v2_kernelIfhLi80ELi8ELi128ELNS_18Fp8KVCacheDataTypeE1ELb0ELi512EEEvPfS2_PT_PKS3_PKT0_S9_ifPKiSB_iPKfiiiSD_SD_iiiii.num_named_barrier, 0
	.set _ZN4vllm25paged_attention_v2_kernelIfhLi80ELi8ELi128ELNS_18Fp8KVCacheDataTypeE1ELb0ELi512EEEvPfS2_PT_PKS3_PKT0_S9_ifPKiSB_iPKfiiiSD_SD_iiiii.private_seg_size, 0
	.set _ZN4vllm25paged_attention_v2_kernelIfhLi80ELi8ELi128ELNS_18Fp8KVCacheDataTypeE1ELb0ELi512EEEvPfS2_PT_PKS3_PKT0_S9_ifPKiSB_iPKfiiiSD_SD_iiiii.uses_vcc, 1
	.set _ZN4vllm25paged_attention_v2_kernelIfhLi80ELi8ELi128ELNS_18Fp8KVCacheDataTypeE1ELb0ELi512EEEvPfS2_PT_PKS3_PKT0_S9_ifPKiSB_iPKfiiiSD_SD_iiiii.uses_flat_scratch, 0
	.set _ZN4vllm25paged_attention_v2_kernelIfhLi80ELi8ELi128ELNS_18Fp8KVCacheDataTypeE1ELb0ELi512EEEvPfS2_PT_PKS3_PKT0_S9_ifPKiSB_iPKfiiiSD_SD_iiiii.has_dyn_sized_stack, 0
	.set _ZN4vllm25paged_attention_v2_kernelIfhLi80ELi8ELi128ELNS_18Fp8KVCacheDataTypeE1ELb0ELi512EEEvPfS2_PT_PKS3_PKT0_S9_ifPKiSB_iPKfiiiSD_SD_iiiii.has_recursion, 0
	.set _ZN4vllm25paged_attention_v2_kernelIfhLi80ELi8ELi128ELNS_18Fp8KVCacheDataTypeE1ELb0ELi512EEEvPfS2_PT_PKS3_PKT0_S9_ifPKiSB_iPKfiiiSD_SD_iiiii.has_indirect_call, 0
	.section	.AMDGPU.csdata,"",@progbits
; Kernel info:
; codeLenInByte = 5288
; TotalNumSgprs: 40
; NumVgprs: 59
; ScratchSize: 0
; MemoryBound: 0
; FloatMode: 240
; IeeeMode: 1
; LDSByteSize: 352 bytes/workgroup (compile time only)
; SGPRBlocks: 0
; VGPRBlocks: 7
; NumSGPRsForWavesPerEU: 40
; NumVGPRsForWavesPerEU: 59
; Occupancy: 16
; WaveLimiterHint : 1
; COMPUTE_PGM_RSRC2:SCRATCH_EN: 0
; COMPUTE_PGM_RSRC2:USER_SGPR: 2
; COMPUTE_PGM_RSRC2:TRAP_HANDLER: 0
; COMPUTE_PGM_RSRC2:TGID_X_EN: 1
; COMPUTE_PGM_RSRC2:TGID_Y_EN: 1
; COMPUTE_PGM_RSRC2:TGID_Z_EN: 1
; COMPUTE_PGM_RSRC2:TIDIG_COMP_CNT: 0
	.section	.text._ZN4vllm25paged_attention_v2_kernelIfhLi96ELi8ELi128ELNS_18Fp8KVCacheDataTypeE1ELb0ELi512EEEvPfS2_PT_PKS3_PKT0_S9_ifPKiSB_iPKfiiiSD_SD_iiiii,"axG",@progbits,_ZN4vllm25paged_attention_v2_kernelIfhLi96ELi8ELi128ELNS_18Fp8KVCacheDataTypeE1ELb0ELi512EEEvPfS2_PT_PKS3_PKT0_S9_ifPKiSB_iPKfiiiSD_SD_iiiii,comdat
	.protected	_ZN4vllm25paged_attention_v2_kernelIfhLi96ELi8ELi128ELNS_18Fp8KVCacheDataTypeE1ELb0ELi512EEEvPfS2_PT_PKS3_PKT0_S9_ifPKiSB_iPKfiiiSD_SD_iiiii ; -- Begin function _ZN4vllm25paged_attention_v2_kernelIfhLi96ELi8ELi128ELNS_18Fp8KVCacheDataTypeE1ELb0ELi512EEEvPfS2_PT_PKS3_PKT0_S9_ifPKiSB_iPKfiiiSD_SD_iiiii
	.globl	_ZN4vllm25paged_attention_v2_kernelIfhLi96ELi8ELi128ELNS_18Fp8KVCacheDataTypeE1ELb0ELi512EEEvPfS2_PT_PKS3_PKT0_S9_ifPKiSB_iPKfiiiSD_SD_iiiii
	.p2align	8
	.type	_ZN4vllm25paged_attention_v2_kernelIfhLi96ELi8ELi128ELNS_18Fp8KVCacheDataTypeE1ELb0ELi512EEEvPfS2_PT_PKS3_PKT0_S9_ifPKiSB_iPKfiiiSD_SD_iiiii,@function
_ZN4vllm25paged_attention_v2_kernelIfhLi96ELi8ELi128ELNS_18Fp8KVCacheDataTypeE1ELb0ELi512EEEvPfS2_PT_PKS3_PKT0_S9_ifPKiSB_iPKfiiiSD_SD_iiiii: ; @_ZN4vllm25paged_attention_v2_kernelIfhLi96ELi8ELi128ELNS_18Fp8KVCacheDataTypeE1ELb0ELi512EEEvPfS2_PT_PKS3_PKT0_S9_ifPKiSB_iPKfiiiSD_SD_iiiii
; %bb.0:
	s_load_b64 s[2:3], s[0:1], 0x40
	s_and_b32 s15, ttmp7, 0xffff
	s_lshr_b32 s26, ttmp7, 16
	s_lshl_b32 s4, s15, 2
	s_lshl_b32 s28, s26, 9
	s_wait_kmcnt 0x0
	s_load_b32 s27, s[2:3], s4 offset:0x0
	s_wait_kmcnt 0x0
	s_cmp_ge_i32 s28, s27
	s_cbranch_scc1 .LBB201_70
; %bb.1:
	s_clause 0x1
	s_load_b32 s29, s[0:1], 0x90
	s_load_b64 s[8:9], s[0:1], 0x30
	s_wait_kmcnt 0x0
	s_abs_i32 s5, s29
	s_abs_i32 s2, s8
	s_delay_alu instid0(SALU_CYCLE_1) | instskip(SKIP_1) | instid1(SALU_CYCLE_2)
	s_cvt_f32_u32 s3, s2
	s_sub_co_i32 s4, 0, s2
	v_rcp_iflag_f32_e32 v1, s3
	s_delay_alu instid0(TRANS32_DEP_1) | instskip(SKIP_2) | instid1(SALU_CYCLE_2)
	v_readfirstlane_b32 s3, v1
	s_mul_f32 s3, s3, 0x4f7ffffe
	s_wait_alu 0xfffe
	s_cvt_u32_f32 s3, s3
	s_wait_alu 0xfffe
	s_delay_alu instid0(SALU_CYCLE_2) | instskip(NEXT) | instid1(SALU_CYCLE_1)
	s_mul_i32 s4, s4, s3
	s_mul_hi_u32 s4, s3, s4
	s_delay_alu instid0(SALU_CYCLE_1)
	s_add_co_i32 s3, s3, s4
	s_xor_b32 s4, s29, s8
	s_wait_alu 0xfffe
	s_mul_hi_u32 s3, s5, s3
	s_ashr_i32 s4, s4, 31
	s_wait_alu 0xfffe
	s_mul_i32 s6, s3, s2
	s_delay_alu instid0(SALU_CYCLE_1)
	s_sub_co_i32 s5, s5, s6
	s_add_co_i32 s6, s3, 1
	s_sub_co_i32 s7, s5, s2
	s_cmp_ge_u32 s5, s2
	s_cselect_b32 s3, s6, s3
	s_cselect_b32 s5, s7, s5
	s_wait_alu 0xfffe
	s_add_co_i32 s6, s3, 1
	s_cmp_ge_u32 s5, s2
	s_cselect_b32 s2, s6, s3
	s_load_b64 s[6:7], s[0:1], 0x50
	s_xor_b32 s2, s2, s4
	s_mov_b32 s3, 0
	s_wait_alu 0xfffe
	s_sub_co_i32 s11, s2, s4
	s_mov_b32 s8, s3
	s_abs_i32 s10, s11
	s_delay_alu instid0(SALU_CYCLE_1) | instskip(SKIP_1) | instid1(SALU_CYCLE_2)
	s_cvt_f32_u32 s2, s10
	s_wait_alu 0xfffe
	v_rcp_iflag_f32_e32 v1, s2
	s_delay_alu instid0(TRANS32_DEP_1) | instskip(SKIP_2) | instid1(SALU_CYCLE_2)
	v_readfirstlane_b32 s2, v1
	s_mul_f32 s2, s2, 0x4f7ffffe
	s_wait_alu 0xfffe
	s_cvt_u32_f32 s4, s2
	s_sub_co_i32 s2, 0, s10
	s_wait_alu 0xfffe
	s_delay_alu instid0(SALU_CYCLE_1)
	s_mul_i32 s2, s2, s4
	s_wait_alu 0xfffe
	s_mul_hi_u32 s5, s4, s2
	s_abs_i32 s2, ttmp9
	s_add_co_i32 s4, s4, s5
	s_mov_b32 s5, s3
	s_wait_kmcnt 0x0
	s_cmp_eq_u64 s[6:7], 0
	s_cbranch_scc1 .LBB201_3
; %bb.2:
	s_mov_b32 s12, ttmp9
	s_ashr_i32 s13, ttmp9, 31
	s_delay_alu instid0(SALU_CYCLE_1) | instskip(NEXT) | instid1(SALU_CYCLE_1)
	s_lshl_b64 s[12:13], s[12:13], 2
	s_add_nc_u64 s[6:7], s[6:7], s[12:13]
	s_load_b32 s8, s[6:7], 0x0
.LBB201_3:
	s_load_b96 s[12:14], s[0:1], 0x58
	v_and_b32_e32 v25, 3, v0
	v_lshlrev_b32_e32 v31, 2, v0
	s_mul_u64 s[4:5], s[2:3], s[4:5]
	s_ashr_i32 s3, ttmp9, 31
	s_ashr_i32 s4, s11, 31
	s_mul_i32 s16, ttmp9, 0x60
	s_mov_b32 s6, exec_lo
	v_cmpx_gt_u32_e32 0x60, v0
	s_cbranch_execz .LBB201_5
; %bb.4:
	s_load_b64 s[18:19], s[0:1], 0x18
	s_wait_kmcnt 0x0
	s_mul_i32 s20, s12, s15
	s_ashr_i32 s17, s16, 31
	s_ashr_i32 s21, s20, 31
	v_and_b32_e32 v2, 0x3fc, v0
	s_lshl_b64 s[20:21], s[20:21], 2
	s_delay_alu instid0(VALU_DEP_1) | instskip(SKIP_2) | instid1(SALU_CYCLE_1)
	v_mad_u32_u24 v2, 0x60, v25, v2
	s_add_nc_u64 s[18:19], s[18:19], s[20:21]
	s_lshl_b64 s[20:21], s[16:17], 2
	s_add_nc_u64 s[18:19], s[18:19], s[20:21]
	global_load_b32 v1, v31, s[18:19]
	s_wait_loadcnt 0x0
	ds_store_b32 v2, v1
.LBB201_5:
	s_or_b32 exec_lo, exec_lo, s6
	s_add_co_i32 s6, s27, 7
	s_wait_alu 0xfffe
	s_xor_b32 s3, s3, s4
	s_ashr_i32 s7, s6, 31
	s_lshl_b32 s31, s26, 6
	s_lshr_b32 s4, s7, 29
	s_mul_i32 s7, s5, s10
	s_add_co_i32 s6, s6, s4
	s_add_co_i32 s4, s31, 64
	s_ashr_i32 s30, s6, 3
	s_load_b32 s6, s[0:1], 0x48
	s_sub_co_i32 s2, s2, s7
	s_min_i32 s17, s4, s30
	s_add_co_i32 s4, s5, 1
	s_wait_alu 0xfffe
	s_sub_co_i32 s7, s2, s10
	s_cmp_ge_u32 s2, s10
	v_lshrrev_b32_e32 v29, 5, v0
	s_cselect_b32 s4, s4, s5
	s_cselect_b32 s2, s7, s2
	s_add_co_i32 s5, s4, 1
	s_wait_alu 0xfffe
	s_cmp_ge_u32 s2, s10
	v_or_b32_e32 v30, s31, v29
	s_cselect_b32 s2, s5, s4
	v_mbcnt_lo_u32_b32 v33, -1, 0
	s_wait_alu 0xfffe
	s_xor_b32 s2, s2, s3
	s_mov_b32 s4, exec_lo
	s_wait_alu 0xfffe
	s_sub_co_i32 s3, s2, s3
	v_cmp_gt_i32_e64 s2, s17, v30
	s_wait_dscnt 0x0
	s_barrier_signal -1
	s_wait_kmcnt 0x0
	s_mul_i32 s18, s6, s15
	s_barrier_wait -1
	s_ashr_i32 s19, s18, 31
	global_inv scope:SCOPE_SE
                                        ; implicit-def: $vgpr34
                                        ; implicit-def: $vgpr35
	v_cmpx_le_i32_e64 s17, v30
	s_xor_b32 s4, exec_lo, s4
; %bb.6:
	v_dual_mov_b32 v34, 0 :: v_dual_mov_b32 v35, 32
	v_mbcnt_lo_u32_b32 v33, -1, 0
                                        ; implicit-def: $vgpr25
; %bb.7:
	s_or_saveexec_b32 s10, s4
	s_clause 0x2
	s_load_b32 s12, s[0:1], 0x98
	s_load_b64 s[20:21], s[0:1], 0x38
	s_load_b128 s[4:7], s[0:1], 0x68
	v_mov_b32_e32 v36, 0xff7fffff
	v_lshlrev_b32_e32 v32, 2, v30
	s_mul_i32 s22, s3, s14
	s_xor_b32 exec_lo, exec_lo, s10
	s_cbranch_execz .LBB201_13
; %bb.8:
	s_load_b64 s[24:25], s[0:1], 0x20
	v_xor_b32_e32 v26, 2, v33
	v_mul_u32_u24_e32 v21, 0x60, v25
	v_bfe_u32 v27, v0, 2, 3
	v_xor_b32_e32 v28, 1, v33
	ds_load_b128 v[1:4], v21
	ds_load_b128 v[5:8], v21 offset:16
	ds_load_b128 v[9:12], v21 offset:32
	;; [unrolled: 1-line block ×5, first 2 shown]
	v_cmp_gt_i32_e32 vcc_lo, 32, v26
	v_dual_mov_b32 v34, 0 :: v_dual_lshlrev_b32 v35, 4, v27
	s_ashr_i32 s23, s22, 31
	s_wait_kmcnt 0x0
	s_load_b32 s11, s[4:5], 0x0
	v_cndmask_b32_e32 v26, v33, v26, vcc_lo
	v_cmp_gt_i32_e32 vcc_lo, 32, v28
	s_cmp_neq_f32 s8, 0
	s_mov_b32 s14, 0
	v_mov_b32_e32 v41, v30
	s_add_nc_u64 s[24:25], s[24:25], s[22:23]
	s_mov_b32 s23, s13
	v_add_co_u32 v36, s3, s24, v35
	s_wait_alu 0xfffd
	v_dual_mov_b32 v35, 32 :: v_dual_cndmask_b32 v28, v33, v28
	v_lshlrev_b32_e32 v37, 2, v26
	s_wait_alu 0xf1ff
	v_add_co_ci_u32_e64 v39, null, s25, 0, s3
	v_lshlrev_b32_e32 v26, 2, v27
	v_cmp_eq_u32_e32 vcc_lo, 0, v25
	v_add_co_u32 v25, s4, v36, v25
	v_lshlrev_b32_e32 v38, 2, v28
	v_lshlrev_b32_e32 v28, 3, v29
	s_cselect_b32 s3, -1, 0
	v_lshl_or_b32 v40, v29, 5, v26
	v_add_co_ci_u32_e64 v26, null, 0, v39, s4
	s_lshl_b64 s[4:5], s[18:19], 2
	v_add3_u32 v39, s28, v28, v27
	s_wait_alu 0xfffe
	s_add_nc_u64 s[4:5], s[20:21], s[4:5]
	v_add_nc_u32_e32 v40, 0x1a0, v40
	s_wait_alu 0xfffe
	v_add_co_u32 v27, s4, s4, v32
	s_wait_alu 0xf1ff
	v_add_co_ci_u32_e64 v28, null, s5, 0, s4
	v_mov_b32_e32 v36, 0xff7fffff
	s_sub_co_i32 s24, 1, s27
	s_branch .LBB201_10
.LBB201_9:                              ;   in Loop: Header=BB201_10 Depth=1
	s_wait_alu 0xfffe
	s_or_b32 exec_lo, exec_lo, s5
	v_add_nc_u32_e32 v41, 4, v41
	v_add_co_u32 v27, s5, v27, 16
	v_add_nc_u32_e32 v39, 32, v39
	v_add_nc_u32_e32 v40, 0x80, v40
	s_delay_alu instid0(VALU_DEP_4) | instskip(SKIP_3) | instid1(SALU_CYCLE_1)
	v_cmp_le_i32_e64 s4, s17, v41
	s_wait_alu 0xf1ff
	v_add_co_ci_u32_e64 v28, null, 0, v28, s5
	s_or_b32 s14, s4, s14
	s_and_not1_b32 exec_lo, exec_lo, s14
	s_cbranch_execz .LBB201_12
.LBB201_10:                             ; =>This Inner Loop Header: Depth=1
	global_load_b32 v42, v[27:28], off
	s_wait_loadcnt_dscnt 0x0
	v_mad_co_i64_i32 v[42:43], null, v42, s23, v[25:26]
	s_clause 0x17
	global_load_u8 v44, v[42:43], off offset:4
	global_load_u8 v45, v[42:43], off
	global_load_u8 v46, v[42:43], off offset:8
	global_load_u8 v47, v[42:43], off offset:12
	global_load_u8 v48, v[42:43], off offset:128
	global_load_u8 v49, v[42:43], off offset:132
	global_load_u8 v50, v[42:43], off offset:136
	global_load_u8 v51, v[42:43], off offset:140
	global_load_u8 v52, v[42:43], off offset:256
	global_load_u8 v53, v[42:43], off offset:260
	global_load_u8 v54, v[42:43], off offset:264
	global_load_u8 v55, v[42:43], off offset:268
	global_load_u8 v56, v[42:43], off offset:384
	global_load_u8 v57, v[42:43], off offset:388
	global_load_u8 v58, v[42:43], off offset:392
	global_load_u8 v59, v[42:43], off offset:396
	global_load_u8 v60, v[42:43], off offset:512
	global_load_u8 v61, v[42:43], off offset:516
	global_load_u8 v62, v[42:43], off offset:520
	global_load_u8 v63, v[42:43], off offset:524
	global_load_u8 v64, v[42:43], off offset:640
	global_load_u8 v65, v[42:43], off offset:644
	global_load_u8 v66, v[42:43], off offset:648
	global_load_u8 v42, v[42:43], off offset:652
	s_wait_loadcnt 0x17
	v_cvt_f32_fp8_e32 v43, v44
	s_wait_loadcnt 0x16
	v_cvt_f32_fp8_e32 v44, v45
	;; [unrolled: 2-line block ×4, first 2 shown]
	s_wait_kmcnt 0x0
	v_dual_mul_f32 v43, s11, v43 :: v_dual_mul_f32 v44, s11, v44
	s_wait_dscnt 0x5
	s_delay_alu instid0(VALU_DEP_1) | instskip(NEXT) | instid1(VALU_DEP_1)
	v_dual_mul_f32 v46, s11, v46 :: v_dual_mul_f32 v43, v2, v43
	v_fmac_f32_e32 v43, v1, v44
	s_wait_loadcnt 0x13
	v_cvt_f32_fp8_e32 v44, v48
	s_delay_alu instid0(VALU_DEP_1) | instskip(NEXT) | instid1(VALU_DEP_1)
	v_dual_mul_f32 v45, s11, v45 :: v_dual_mul_f32 v44, s11, v44
	v_fmac_f32_e32 v43, v3, v45
	s_wait_loadcnt 0x12
	v_cvt_f32_fp8_e32 v45, v49
	s_wait_loadcnt 0x0
	v_cvt_f32_fp8_e32 v42, v42
	v_fmac_f32_e32 v43, v4, v46
	v_cvt_f32_fp8_e32 v46, v50
	s_delay_alu instid0(VALU_DEP_3) | instskip(SKIP_1) | instid1(VALU_DEP_2)
	v_dual_mul_f32 v45, s11, v45 :: v_dual_mul_f32 v42, s11, v42
	s_wait_dscnt 0x4
	v_dual_fmac_f32 v43, v5, v44 :: v_dual_mul_f32 v44, s11, v46
	v_cvt_f32_fp8_e32 v46, v51
	s_delay_alu instid0(VALU_DEP_2) | instskip(SKIP_1) | instid1(VALU_DEP_2)
	v_fmac_f32_e32 v43, v6, v45
	v_cvt_f32_fp8_e32 v45, v52
	v_dual_mul_f32 v46, s11, v46 :: v_dual_fmac_f32 v43, v7, v44
	s_delay_alu instid0(VALU_DEP_2) | instskip(SKIP_1) | instid1(VALU_DEP_3)
	v_mul_f32_e32 v44, s11, v45
	v_cvt_f32_fp8_e32 v45, v53
	v_fmac_f32_e32 v43, v8, v46
	v_cvt_f32_fp8_e32 v46, v54
	s_delay_alu instid0(VALU_DEP_3) | instskip(SKIP_1) | instid1(VALU_DEP_2)
	v_mul_f32_e32 v45, s11, v45
	s_wait_dscnt 0x3
	v_dual_fmac_f32 v43, v9, v44 :: v_dual_mul_f32 v44, s11, v46
	v_cvt_f32_fp8_e32 v46, v55
	s_delay_alu instid0(VALU_DEP_2) | instskip(SKIP_1) | instid1(VALU_DEP_2)
	v_fmac_f32_e32 v43, v10, v45
	v_cvt_f32_fp8_e32 v45, v56
	v_dual_mul_f32 v46, s11, v46 :: v_dual_fmac_f32 v43, v11, v44
	s_delay_alu instid0(VALU_DEP_2) | instskip(SKIP_1) | instid1(VALU_DEP_3)
	v_mul_f32_e32 v44, s11, v45
	v_cvt_f32_fp8_e32 v45, v57
	v_fmac_f32_e32 v43, v12, v46
	v_cvt_f32_fp8_e32 v46, v58
	s_delay_alu instid0(VALU_DEP_3) | instskip(SKIP_1) | instid1(VALU_DEP_2)
	v_mul_f32_e32 v45, s11, v45
	;; [unrolled: 14-line block ×4, first 2 shown]
	s_wait_dscnt 0x0
	v_dual_fmac_f32 v43, v21, v44 :: v_dual_mul_f32 v44, s11, v46
	s_delay_alu instid0(VALU_DEP_1) | instskip(NEXT) | instid1(VALU_DEP_1)
	v_fmac_f32_e32 v43, v22, v45
	v_fmac_f32_e32 v43, v23, v44
	s_delay_alu instid0(VALU_DEP_1)
	v_fmac_f32_e32 v43, v24, v42
	ds_bpermute_b32 v42, v37, v43
	s_wait_dscnt 0x0
	v_add_f32_e32 v42, v43, v42
	ds_bpermute_b32 v43, v38, v42
	s_and_saveexec_b32 s5, vcc_lo
	s_cbranch_execz .LBB201_9
; %bb.11:                               ;   in Loop: Header=BB201_10 Depth=1
	s_wait_dscnt 0x0
	v_add_f32_e32 v42, v42, v43
	s_wait_alu 0xfffe
	v_add_nc_u32_e32 v44, s24, v39
	v_cmp_gt_i32_e64 s4, s27, v39
	s_delay_alu instid0(VALU_DEP_2) | instskip(NEXT) | instid1(VALU_DEP_1)
	v_cvt_f32_i32_e32 v44, v44
	v_mul_f32_e32 v44, s8, v44
	s_delay_alu instid0(VALU_DEP_1) | instskip(NEXT) | instid1(VALU_DEP_1)
	v_cndmask_b32_e64 v43, 0, v44, s3
	v_dual_max_num_f32 v44, v36, v36 :: v_dual_fmac_f32 v43, s9, v42
	s_delay_alu instid0(VALU_DEP_1) | instskip(SKIP_2) | instid1(VALU_DEP_2)
	v_max_num_f32_e32 v42, v44, v43
	s_wait_alu 0xf1ff
	v_cndmask_b32_e64 v43, 0, v43, s4
	v_cndmask_b32_e64 v36, v36, v42, s4
	ds_store_b32 v40, v43
	s_branch .LBB201_9
.LBB201_12:
	s_or_b32 exec_lo, exec_lo, s14
.LBB201_13:
	s_delay_alu instid0(SALU_CYCLE_1)
	s_or_b32 exec_lo, exec_lo, s10
	v_xor_b32_e32 v1, 16, v33
	v_xor_b32_e32 v3, 8, v33
	s_load_b128 s[8:11], s[0:1], 0x0
	s_wait_kmcnt 0x0
	s_clause 0x1
	s_load_b64 s[4:5], s[0:1], 0x10
	s_load_b64 s[24:25], s[0:1], 0x28
	v_and_b32_e32 v11, 31, v0
	v_max_num_f32_e32 v5, v36, v36
	v_cmp_lt_i32_e32 vcc_lo, v1, v35
	s_wait_alu 0xfffd
	v_cndmask_b32_e32 v1, v33, v1, vcc_lo
	v_cmp_lt_i32_e32 vcc_lo, v3, v35
	s_wait_alu 0xfffd
	v_cndmask_b32_e32 v3, v33, v3, vcc_lo
	s_delay_alu instid0(VALU_DEP_1) | instskip(SKIP_4) | instid1(VALU_DEP_1)
	v_lshlrev_b32_e32 v4, 2, v3
	v_lshlrev_b32_e32 v2, 2, v1
	ds_bpermute_b32 v1, v2, v36
	s_wait_dscnt 0x0
	v_max_num_f32_e32 v1, v1, v1
	v_max_num_f32_e32 v1, v5, v1
	v_xor_b32_e32 v5, 4, v33
	ds_bpermute_b32 v3, v4, v1
	v_cmp_lt_i32_e32 vcc_lo, v5, v35
	s_wait_alu 0xfffd
	v_cndmask_b32_e32 v5, v33, v5, vcc_lo
	v_cmp_eq_u32_e32 vcc_lo, 0, v11
	s_delay_alu instid0(VALU_DEP_2) | instskip(SKIP_3) | instid1(VALU_DEP_1)
	v_lshlrev_b32_e32 v7, 2, v5
	v_lshlrev_b32_e32 v5, 2, v29
	s_wait_dscnt 0x0
	v_max_num_f32_e32 v3, v3, v3
	v_max_num_f32_e32 v1, v1, v3
	ds_bpermute_b32 v3, v7, v1
	s_and_saveexec_b32 s0, vcc_lo
	s_cbranch_execz .LBB201_15
; %bb.14:
	s_wait_dscnt 0x0
	v_max_num_f32_e32 v3, v3, v3
	v_max_num_f32_e32 v1, v1, v1
	s_delay_alu instid0(VALU_DEP_1)
	v_max_num_f32_e32 v1, v1, v3
	ds_store_b32 v5, v1 offset:384
.LBB201_15:
	s_or_b32 exec_lo, exec_lo, s0
	v_cmp_gt_u32_e64 s0, 4, v11
	v_dual_mov_b32 v1, 0xff7fffff :: v_dual_lshlrev_b32 v6, 2, v11
	s_wait_loadcnt_dscnt 0x0
	s_barrier_signal -1
	s_barrier_wait -1
	global_inv scope:SCOPE_SE
	s_and_saveexec_b32 s1, s0
; %bb.16:
	ds_load_b32 v1, v6 offset:384
; %bb.17:
	s_or_b32 exec_lo, exec_lo, s1
	v_xor_b32_e32 v3, 2, v33
	v_xor_b32_e32 v9, 1, v33
	s_delay_alu instid0(VALU_DEP_2) | instskip(NEXT) | instid1(VALU_DEP_1)
	v_cmp_lt_i32_e64 s1, v3, v35
	v_cndmask_b32_e64 v3, v33, v3, s1
	s_delay_alu instid0(VALU_DEP_3) | instskip(NEXT) | instid1(VALU_DEP_2)
	v_cmp_lt_i32_e64 s1, v9, v35
	v_lshlrev_b32_e32 v8, 2, v3
	s_wait_alu 0xf1ff
	s_delay_alu instid0(VALU_DEP_2)
	v_cndmask_b32_e64 v9, v33, v9, s1
	s_sub_co_i32 s1, s17, s31
	s_wait_alu 0xfffe
	s_lshl_b32 s1, s1, 3
	s_wait_dscnt 0x0
	ds_bpermute_b32 v3, v8, v1
	v_max_num_f32_e32 v1, v1, v1
	s_wait_alu 0xfffe
	s_add_co_i32 s1, s1, s28
	v_lshlrev_b32_e32 v12, 2, v9
	s_wait_alu 0xfffe
	s_min_i32 s1, s1, s27
	v_mov_b32_e32 v9, 0
	s_wait_alu 0xfffe
	s_sub_co_i32 s14, s1, s28
	s_delay_alu instid0(SALU_CYCLE_1) | instskip(SKIP_2) | instid1(VALU_DEP_1)
	v_cmp_gt_i32_e64 s1, s14, v0
	s_wait_dscnt 0x0
	v_max_num_f32_e32 v3, v3, v3
	v_max_num_f32_e32 v1, v1, v3
	ds_bpermute_b32 v3, v12, v1
	s_wait_dscnt 0x0
	v_max_num_f32_e32 v3, v3, v3
	s_delay_alu instid0(VALU_DEP_1)
	v_max_num_f32_e32 v1, v1, v3
	v_lshlrev_b32_e32 v3, 2, v34
	ds_bpermute_b32 v1, v3, v1
	v_lshl_add_u32 v3, v0, 2, 0x1a0
	s_and_saveexec_b32 s23, s1
	s_cbranch_execz .LBB201_21
; %bb.18:
	v_lshl_add_u32 v10, v0, 2, 0x1a0
	v_mov_b32_e32 v9, 0
	v_mov_b32_e32 v13, v0
	s_mov_b32 s31, 0
.LBB201_19:                             ; =>This Inner Loop Header: Depth=1
	ds_load_b32 v14, v10
	v_add_nc_u32_e32 v13, 0x80, v13
	s_delay_alu instid0(VALU_DEP_1) | instskip(SKIP_4) | instid1(VALU_DEP_1)
	v_cmp_le_i32_e64 s3, s14, v13
	s_wait_alu 0xfffe
	s_or_b32 s31, s3, s31
	s_wait_dscnt 0x0
	v_sub_f32_e32 v14, v14, v1
	v_mul_f32_e32 v14, 0x3fb8aa3b, v14
	s_delay_alu instid0(VALU_DEP_1)
	v_exp_f32_e32 v14, v14
	ds_store_b32 v10, v14
	v_add_f32_e32 v9, v9, v14
	v_add_nc_u32_e32 v10, 0x200, v10
	s_wait_alu 0xfffe
	s_and_not1_b32 exec_lo, exec_lo, s31
	s_cbranch_execnz .LBB201_19
; %bb.20:
	s_or_b32 exec_lo, exec_lo, s31
.LBB201_21:
	s_wait_alu 0xfffe
	s_or_b32 exec_lo, exec_lo, s23
	ds_bpermute_b32 v2, v2, v9
	s_wait_dscnt 0x0
	v_add_f32_e32 v2, v9, v2
	ds_bpermute_b32 v4, v4, v2
	s_wait_dscnt 0x0
	v_add_f32_e32 v2, v2, v4
	;; [unrolled: 3-line block ×5, first 2 shown]
	s_and_saveexec_b32 s3, vcc_lo
; %bb.22:
	ds_store_b32 v5, v2 offset:400
; %bb.23:
	s_wait_alu 0xfffe
	s_or_b32 exec_lo, exec_lo, s3
	s_wait_loadcnt_dscnt 0x0
	s_barrier_signal -1
	s_barrier_wait -1
	global_inv scope:SCOPE_SE
	s_and_saveexec_b32 s3, s0
; %bb.24:
	ds_load_b32 v2, v6 offset:400
; %bb.25:
	s_wait_alu 0xfffe
	s_or_b32 exec_lo, exec_lo, s3
	s_wait_dscnt 0x0
	ds_bpermute_b32 v4, v8, v2
	s_wait_dscnt 0x0
	v_dual_add_f32 v2, v2, v4 :: v_dual_lshlrev_b32 v5, 2, v33
	ds_bpermute_b32 v4, v12, v2
	s_wait_dscnt 0x0
	v_add_f32_e32 v2, v2, v4
	v_and_b32_e32 v4, 0xffffff80, v5
	ds_bpermute_b32 v2, v4, v2
	s_and_saveexec_b32 s0, s1
	s_cbranch_execz .LBB201_28
; %bb.26:
	s_wait_dscnt 0x0
	v_add_f32_e32 v4, 0x358637bd, v2
	s_mov_b32 s1, 0
	s_delay_alu instid0(VALU_DEP_1) | instskip(SKIP_1) | instid1(VALU_DEP_2)
	v_div_scale_f32 v5, null, v4, v4, 1.0
	v_div_scale_f32 v8, vcc_lo, 1.0, v4, 1.0
	v_rcp_f32_e32 v6, v5
	s_delay_alu instid0(TRANS32_DEP_1) | instskip(NEXT) | instid1(VALU_DEP_1)
	v_fma_f32 v7, -v5, v6, 1.0
	v_fmac_f32_e32 v6, v7, v6
	s_delay_alu instid0(VALU_DEP_1) | instskip(NEXT) | instid1(VALU_DEP_1)
	v_mul_f32_e32 v7, v8, v6
	v_fma_f32 v9, -v5, v7, v8
	s_delay_alu instid0(VALU_DEP_1) | instskip(NEXT) | instid1(VALU_DEP_1)
	v_fmac_f32_e32 v7, v9, v6
	v_fma_f32 v5, -v5, v7, v8
	s_wait_alu 0xfffd
	s_delay_alu instid0(VALU_DEP_1) | instskip(NEXT) | instid1(VALU_DEP_1)
	v_div_fmas_f32 v5, v5, v6, v7
	v_div_fixup_f32 v4, v5, v4, 1.0
	v_mov_b32_e32 v5, v0
.LBB201_27:                             ; =>This Inner Loop Header: Depth=1
	ds_load_b32 v6, v3
	s_wait_dscnt 0x0
	v_dual_mul_f32 v6, v4, v6 :: v_dual_add_nc_u32 v5, 0x80, v5
	s_delay_alu instid0(VALU_DEP_1)
	v_cmp_le_i32_e32 vcc_lo, s14, v5
	ds_store_b32 v3, v6
	v_add_nc_u32_e32 v3, 0x200, v3
	s_wait_alu 0xfffe
	s_or_b32 s1, vcc_lo, s1
	s_wait_alu 0xfffe
	s_and_not1_b32 exec_lo, exec_lo, s1
	s_cbranch_execnz .LBB201_27
.LBB201_28:
	s_wait_alu 0xfffe
	s_or_b32 exec_lo, exec_lo, s0
	s_mul_i32 s0, s12, s15
	s_wait_loadcnt_dscnt 0x0
	s_wait_alu 0xfffe
	s_mul_i32 s14, s0, s29
	s_mov_b32 s0, exec_lo
	s_barrier_signal -1
	s_barrier_wait -1
	global_inv scope:SCOPE_SE
	v_cmpx_eq_u32_e32 0, v0
	s_cbranch_execz .LBB201_30
; %bb.29:
	s_wait_alu 0xfffe
	s_ashr_i32 s15, s14, 31
	s_mul_i32 s34, s12, ttmp9
	s_lshl_b32 s1, s26, 2
	s_wait_alu 0xfffe
	s_lshl_b64 s[36:37], s[14:15], 2
	s_ashr_i32 s35, s34, 31
	v_mov_b32_e32 v3, s1
	s_add_nc_u64 s[10:11], s[10:11], s[36:37]
	s_lshl_b64 s[34:35], s[34:35], 2
	s_add_nc_u64 s[8:9], s[8:9], s[36:37]
	s_wait_alu 0xfffe
	s_add_nc_u64 s[10:11], s[10:11], s[34:35]
	s_add_nc_u64 s[8:9], s[8:9], s[34:35]
	s_clause 0x1
	global_store_b32 v3, v1, s[10:11]
	global_store_b32 v3, v2, s[8:9]
.LBB201_30:
	s_wait_alu 0xfffe
	s_or_b32 exec_lo, exec_lo, s0
	v_dual_mov_b32 v17, 0 :: v_dual_mov_b32 v18, 0
	v_dual_mov_b32 v16, 0 :: v_dual_and_b32 v13, 1, v0
	v_dual_mov_b32 v19, 0 :: v_dual_mov_b32 v14, 0
	v_mov_b32_e32 v15, 0
	s_and_saveexec_b32 s1, s2
	s_cbranch_execz .LBB201_46
; %bb.31:
	s_load_b32 s3, s[6:7], 0x0
	v_dual_mov_b32 v15, 0 :: v_dual_lshlrev_b32 v2, 4, v13
	v_dual_mov_b32 v16, 0 :: v_dual_and_b32 v3, 0x7c, v31
	s_ashr_i32 s23, s22, 31
	s_lshl_b64 s[6:7], s[18:19], 2
	s_wait_kmcnt 0x0
	s_wait_alu 0xfffe
	s_add_nc_u64 s[8:9], s[24:25], s[22:23]
	v_dual_mov_b32 v14, 0 :: v_dual_and_b32 v1, 4, v31
	v_lshl_add_u32 v4, v29, 3, s28
	v_lshl_or_b32 v2, v29, 5, v2
	s_wait_alu 0xfffe
	v_add_co_u32 v5, s0, s8, v3
	s_add_nc_u64 s[6:7], s[20:21], s[6:7]
	s_wait_alu 0xf1ff
	v_add_co_ci_u32_e64 v6, null, s9, 0, s0
	v_add_co_u32 v7, s0, s6, v32
	v_add3_u32 v20, v4, v1, 3
	v_dual_mov_b32 v18, 0 :: v_dual_add_nc_u32 v21, 0x1a0, v2
	s_wait_alu 0xf1ff
	v_add_co_ci_u32_e64 v8, null, s7, 0, s0
	v_mov_b32_e32 v19, 0
	v_mov_b32_e32 v17, 0
	s_mov_b32 s2, s13
	s_mov_b32 s6, s3
	s_add_co_i32 s30, s30, -1
	s_mov_b32 s7, 0
	s_branch .LBB201_33
.LBB201_32:                             ;   in Loop: Header=BB201_33 Depth=1
	s_wait_alu 0xfffe
	s_or_b32 exec_lo, exec_lo, s0
	s_wait_dscnt 0x0
	v_mul_f32_e32 v32, v1, v42
	v_mul_f32_e32 v31, v1, v48
	v_add_co_u32 v7, s0, v7, 16
	v_add_nc_u32_e32 v21, 0x80, v21
	s_delay_alu instid0(VALU_DEP_4)
	v_fmac_f32_e32 v32, v2, v41
	v_mul_f32_e32 v33, v1, v33
	v_fmac_f32_e32 v31, v2, v45
	s_wait_alu 0xf1ff
	v_add_co_ci_u32_e64 v8, null, 0, v8, s0
	v_fmac_f32_e32 v32, v3, v40
	v_dual_mul_f32 v34, v1, v38 :: v_dual_fmac_f32 v33, v2, v28
	v_dual_fmac_f32 v31, v3, v44 :: v_dual_add_nc_u32 v30, 4, v30
	s_delay_alu instid0(VALU_DEP_3) | instskip(NEXT) | instid1(VALU_DEP_3)
	v_fmac_f32_e32 v32, v4, v39
	v_fmac_f32_e32 v34, v2, v37
	v_mul_f32_e32 v25, v1, v25
	v_mul_f32_e32 v1, v1, v47
	v_fmac_f32_e32 v33, v3, v27
	v_cmp_le_i32_e32 vcc_lo, s17, v30
	v_fmac_f32_e32 v34, v3, v36
	v_fmac_f32_e32 v25, v2, v24
	v_dual_add_f32 v16, v16, v32 :: v_dual_fmac_f32 v1, v2, v46
	v_fmac_f32_e32 v33, v4, v26
	s_delay_alu instid0(VALU_DEP_4) | instskip(SKIP_3) | instid1(VALU_DEP_2)
	v_fmac_f32_e32 v34, v4, v35
	v_fmac_f32_e32 v31, v4, v43
	s_or_b32 s7, vcc_lo, s7
	v_dual_fmac_f32 v1, v3, v10 :: v_dual_add_nc_u32 v20, 32, v20
	v_dual_add_f32 v18, v18, v34 :: v_dual_add_f32 v15, v15, v31
	v_add_f32_e32 v19, v19, v33
	s_delay_alu instid0(VALU_DEP_3) | instskip(NEXT) | instid1(VALU_DEP_1)
	v_fmac_f32_e32 v1, v4, v9
	v_dual_fmac_f32 v25, v3, v23 :: v_dual_add_f32 v14, v14, v1
	s_delay_alu instid0(VALU_DEP_1) | instskip(NEXT) | instid1(VALU_DEP_1)
	v_fmac_f32_e32 v25, v4, v22
	v_add_f32_e32 v17, v17, v25
	s_wait_alu 0xfffe
	s_and_not1_b32 exec_lo, exec_lo, s7
	s_cbranch_execz .LBB201_45
.LBB201_33:                             ; =>This Inner Loop Header: Depth=1
	global_load_b32 v1, v[7:8], off
	s_wait_alu 0xfffe
	v_cmp_eq_u32_e32 vcc_lo, s30, v30
	v_add_nc_u32_e32 v34, -1, v20
	s_wait_loadcnt 0x0
	v_mad_co_i64_i32 v[9:10], null, v1, s2, v[5:6]
	ds_load_b128 v[1:4], v21
	global_load_b32 v22, v[9:10], off
	s_wait_loadcnt 0x0
	v_lshrrev_b32_e32 v24, 16, v22
	s_delay_alu instid0(VALU_DEP_1) | instskip(SKIP_1) | instid1(VALU_DEP_1)
	v_cvt_pk_f32_fp8_e32 v[26:27], v24
	v_and_b32_e32 v23, 0xffff, v22
	v_cvt_pk_f32_fp8_e32 v[22:23], v23
	v_add_nc_u32_e32 v31, -3, v20
	s_delay_alu instid0(VALU_DEP_2) | instskip(NEXT) | instid1(VALU_DEP_3)
	v_dual_mul_f32 v25, s3, v22 :: v_dual_add_nc_u32 v32, -2, v20
	v_dual_mul_f32 v24, s6, v23 :: v_dual_mul_f32 v23, s3, v26
	v_mul_f32_e32 v22, s6, v27
	s_and_saveexec_b32 s8, vcc_lo
	s_cbranch_execz .LBB201_35
; %bb.34:                               ;   in Loop: Header=BB201_33 Depth=1
	v_cmp_gt_i32_e64 s0, s27, v31
	s_wait_alu 0xf1ff
	s_delay_alu instid0(VALU_DEP_1) | instskip(SKIP_2) | instid1(VALU_DEP_1)
	v_cndmask_b32_e64 v25, 0, v25, s0
	v_cmp_gt_i32_e64 s0, s27, v32
	s_wait_alu 0xf1ff
	v_cndmask_b32_e64 v24, 0, v24, s0
	v_cmp_gt_i32_e64 s0, s27, v34
	s_wait_alu 0xf1ff
	s_delay_alu instid0(VALU_DEP_1) | instskip(SKIP_2) | instid1(VALU_DEP_1)
	v_cndmask_b32_e64 v23, 0, v23, s0
	v_cmp_gt_i32_e64 s0, s27, v20
	s_wait_alu 0xf1ff
	v_cndmask_b32_e64 v22, 0, v22, s0
.LBB201_35:                             ;   in Loop: Header=BB201_33 Depth=1
	s_wait_alu 0xfffe
	s_or_b32 exec_lo, exec_lo, s8
	global_load_b32 v26, v[9:10], off offset:128
	s_wait_loadcnt 0x0
	v_lshrrev_b32_e32 v28, 16, v26
	s_delay_alu instid0(VALU_DEP_1) | instskip(SKIP_1) | instid1(VALU_DEP_1)
	v_cvt_pk_f32_fp8_e32 v[35:36], v28
	v_and_b32_e32 v27, 0xffff, v26
	v_cvt_pk_f32_fp8_e32 v[26:27], v27
	s_delay_alu instid0(VALU_DEP_1) | instskip(NEXT) | instid1(VALU_DEP_4)
	v_dual_mul_f32 v33, s3, v26 :: v_dual_mul_f32 v28, s6, v27
	v_dual_mul_f32 v27, s3, v35 :: v_dual_mul_f32 v26, s6, v36
	s_and_saveexec_b32 s8, vcc_lo
	s_cbranch_execz .LBB201_37
; %bb.36:                               ;   in Loop: Header=BB201_33 Depth=1
	v_cmp_gt_i32_e64 s0, s27, v31
	s_wait_alu 0xf1ff
	s_delay_alu instid0(VALU_DEP_1) | instskip(SKIP_2) | instid1(VALU_DEP_1)
	v_cndmask_b32_e64 v33, 0, v33, s0
	v_cmp_gt_i32_e64 s0, s27, v32
	s_wait_alu 0xf1ff
	v_cndmask_b32_e64 v28, 0, v28, s0
	v_cmp_gt_i32_e64 s0, s27, v34
	s_wait_alu 0xf1ff
	s_delay_alu instid0(VALU_DEP_1) | instskip(SKIP_2) | instid1(VALU_DEP_1)
	v_cndmask_b32_e64 v27, 0, v27, s0
	v_cmp_gt_i32_e64 s0, s27, v20
	s_wait_alu 0xf1ff
	v_cndmask_b32_e64 v26, 0, v26, s0
.LBB201_37:                             ;   in Loop: Header=BB201_33 Depth=1
	s_wait_alu 0xfffe
	s_or_b32 exec_lo, exec_lo, s8
	global_load_b32 v35, v[9:10], off offset:256
	s_wait_loadcnt 0x0
	v_lshrrev_b32_e32 v37, 16, v35
	s_delay_alu instid0(VALU_DEP_1) | instskip(SKIP_1) | instid1(VALU_DEP_1)
	v_cvt_pk_f32_fp8_e32 v[39:40], v37
	v_and_b32_e32 v36, 0xffff, v35
	v_cvt_pk_f32_fp8_e32 v[35:36], v36
	s_delay_alu instid0(VALU_DEP_1) | instskip(NEXT) | instid1(VALU_DEP_4)
	v_dual_mul_f32 v38, s3, v35 :: v_dual_mul_f32 v37, s6, v36
	v_dual_mul_f32 v36, s3, v39 :: v_dual_mul_f32 v35, s6, v40
	;; [unrolled: 30-line block ×3, first 2 shown]
	s_and_saveexec_b32 s8, vcc_lo
	s_cbranch_execz .LBB201_41
; %bb.40:                               ;   in Loop: Header=BB201_33 Depth=1
	v_cmp_gt_i32_e64 s0, s27, v31
	s_wait_alu 0xf1ff
	s_delay_alu instid0(VALU_DEP_1) | instskip(SKIP_2) | instid1(VALU_DEP_1)
	v_cndmask_b32_e64 v42, 0, v42, s0
	v_cmp_gt_i32_e64 s0, s27, v32
	s_wait_alu 0xf1ff
	v_cndmask_b32_e64 v41, 0, v41, s0
	v_cmp_gt_i32_e64 s0, s27, v34
	s_wait_alu 0xf1ff
	s_delay_alu instid0(VALU_DEP_1) | instskip(SKIP_2) | instid1(VALU_DEP_1)
	v_cndmask_b32_e64 v40, 0, v40, s0
	v_cmp_gt_i32_e64 s0, s27, v20
	s_wait_alu 0xf1ff
	v_cndmask_b32_e64 v39, 0, v39, s0
.LBB201_41:                             ;   in Loop: Header=BB201_33 Depth=1
	s_wait_alu 0xfffe
	s_or_b32 exec_lo, exec_lo, s8
	global_load_b32 v43, v[9:10], off offset:512
	s_wait_loadcnt 0x0
	v_and_b32_e32 v44, 0xffff, v43
	v_lshrrev_b32_e32 v45, 16, v43
	s_delay_alu instid0(VALU_DEP_2) | instskip(NEXT) | instid1(VALU_DEP_2)
	v_cvt_pk_f32_fp8_e32 v[43:44], v44
	v_cvt_pk_f32_fp8_e32 v[46:47], v45
	s_delay_alu instid0(VALU_DEP_2) | instskip(NEXT) | instid1(VALU_DEP_2)
	v_dual_mul_f32 v48, s3, v43 :: v_dual_mul_f32 v45, s6, v44
	v_dual_mul_f32 v44, s3, v46 :: v_dual_mul_f32 v43, s6, v47
	s_and_saveexec_b32 s8, vcc_lo
	s_cbranch_execz .LBB201_43
; %bb.42:                               ;   in Loop: Header=BB201_33 Depth=1
	v_cmp_gt_i32_e64 s0, s27, v31
	s_wait_alu 0xf1ff
	s_delay_alu instid0(VALU_DEP_1) | instskip(SKIP_2) | instid1(VALU_DEP_1)
	v_cndmask_b32_e64 v48, 0, v48, s0
	v_cmp_gt_i32_e64 s0, s27, v32
	s_wait_alu 0xf1ff
	v_cndmask_b32_e64 v45, 0, v45, s0
	v_cmp_gt_i32_e64 s0, s27, v34
	s_wait_alu 0xf1ff
	s_delay_alu instid0(VALU_DEP_1) | instskip(SKIP_2) | instid1(VALU_DEP_1)
	v_cndmask_b32_e64 v44, 0, v44, s0
	v_cmp_gt_i32_e64 s0, s27, v20
	s_wait_alu 0xf1ff
	v_cndmask_b32_e64 v43, 0, v43, s0
.LBB201_43:                             ;   in Loop: Header=BB201_33 Depth=1
	s_wait_alu 0xfffe
	s_or_b32 exec_lo, exec_lo, s8
	global_load_b32 v9, v[9:10], off offset:640
	s_wait_loadcnt 0x0
	v_lshrrev_b32_e32 v46, 16, v9
	s_delay_alu instid0(VALU_DEP_1) | instskip(SKIP_1) | instid1(VALU_DEP_1)
	v_cvt_pk_f32_fp8_e32 v[49:50], v46
	v_and_b32_e32 v10, 0xffff, v9
	v_cvt_pk_f32_fp8_e32 v[9:10], v10
	s_delay_alu instid0(VALU_DEP_1) | instskip(NEXT) | instid1(VALU_DEP_4)
	v_dual_mul_f32 v47, s3, v9 :: v_dual_mul_f32 v46, s6, v10
	v_dual_mul_f32 v10, s3, v49 :: v_dual_mul_f32 v9, s6, v50
	s_and_saveexec_b32 s0, vcc_lo
	s_cbranch_execz .LBB201_32
; %bb.44:                               ;   in Loop: Header=BB201_33 Depth=1
	v_cmp_gt_i32_e32 vcc_lo, s27, v31
	s_wait_alu 0xfffd
	v_cndmask_b32_e32 v47, 0, v47, vcc_lo
	v_cmp_gt_i32_e32 vcc_lo, s27, v32
	s_wait_alu 0xfffd
	v_cndmask_b32_e32 v46, 0, v46, vcc_lo
	;; [unrolled: 3-line block ×4, first 2 shown]
	s_branch .LBB201_32
.LBB201_45:
	s_or_b32 exec_lo, exec_lo, s7
.LBB201_46:
	s_wait_alu 0xfffe
	s_or_b32 exec_lo, exec_lo, s1
	ds_bpermute_b32 v1, v12, v17
	ds_bpermute_b32 v2, v12, v19
	;; [unrolled: 1-line block ×6, first 2 shown]
	v_lshrrev_b32_e32 v7, 1, v11
	v_mul_u32_u24_e32 v9, 0x180, v29
	v_and_b32_e32 v10, 0x3c1, v0
	s_mov_b32 s0, exec_lo
	s_wait_storecnt 0x0
	s_wait_loadcnt_dscnt 0x0
	v_lshl_add_u32 v8, v7, 2, 0x1a0
	s_barrier_signal -1
	s_barrier_wait -1
	global_inv scope:SCOPE_SE
	v_dual_add_f32 v1, v17, v1 :: v_dual_add_f32 v2, v19, v2
	v_dual_add_f32 v3, v18, v3 :: v_dual_add_f32 v4, v16, v4
	;; [unrolled: 1-line block ×3, first 2 shown]
	v_cmpx_eq_u32_e32 64, v10
	s_cbranch_execz .LBB201_48
; %bb.47:
	v_add_nc_u32_e32 v10, v8, v9
	s_delay_alu instid0(VALU_DEP_1)
	v_add_nc_u32_e32 v11, 0xfffffd00, v10
	v_add_nc_u32_e32 v12, 0xfffffd40, v10
	;; [unrolled: 1-line block ×6, first 2 shown]
	ds_store_b32 v11, v1
	ds_store_b32 v12, v2
	;; [unrolled: 1-line block ×6, first 2 shown]
.LBB201_48:
	s_wait_alu 0xfffe
	s_or_b32 exec_lo, exec_lo, s0
	v_lshlrev_b32_e32 v7, 2, v7
	s_mov_b32 s1, exec_lo
	v_cmp_eq_u32_e32 vcc_lo, 0, v13
	s_wait_loadcnt_dscnt 0x0
	s_barrier_signal -1
	v_add3_u32 v7, 0x1a0, v9, v7
	s_barrier_wait -1
	global_inv scope:SCOPE_SE
	v_cmpx_gt_u32_e32 64, v0
	s_cbranch_execz .LBB201_57
; %bb.49:
	s_and_saveexec_b32 s0, vcc_lo
	s_cbranch_execnz .LBB201_71
; %bb.50:
	s_wait_alu 0xfffe
	s_or_b32 exec_lo, exec_lo, s0
	s_and_saveexec_b32 s0, vcc_lo
	s_cbranch_execnz .LBB201_72
.LBB201_51:
	s_wait_alu 0xfffe
	s_or_b32 exec_lo, exec_lo, s0
	s_and_saveexec_b32 s0, vcc_lo
	s_cbranch_execnz .LBB201_73
.LBB201_52:
	s_wait_alu 0xfffe
	s_or_b32 exec_lo, exec_lo, s0
	s_and_saveexec_b32 s0, vcc_lo
	s_cbranch_execnz .LBB201_74
.LBB201_53:
	s_wait_alu 0xfffe
	s_or_b32 exec_lo, exec_lo, s0
	s_and_saveexec_b32 s0, vcc_lo
	s_cbranch_execnz .LBB201_75
.LBB201_54:
	s_wait_alu 0xfffe
	s_or_b32 exec_lo, exec_lo, s0
	s_and_saveexec_b32 s0, vcc_lo
	s_cbranch_execz .LBB201_56
.LBB201_55:
	ds_load_b32 v9, v7 offset:320
	s_wait_dscnt 0x0
	v_add_f32_e32 v6, v6, v9
.LBB201_56:
	s_wait_alu 0xfffe
	s_or_b32 exec_lo, exec_lo, s0
.LBB201_57:
	s_wait_alu 0xfffe
	s_or_b32 exec_lo, exec_lo, s1
	v_and_b32_e32 v9, 0x3e1, v0
	s_mov_b32 s1, exec_lo
	s_wait_loadcnt 0x0
	s_barrier_signal -1
	s_barrier_wait -1
	global_inv scope:SCOPE_SE
	v_cmpx_eq_u32_e32 32, v9
	s_cbranch_execz .LBB201_59
; %bb.58:
	ds_store_2addr_b32 v8, v1, v2 offset1:16
	ds_store_2addr_b32 v8, v3, v4 offset0:32 offset1:48
	ds_store_2addr_b32 v8, v5, v6 offset0:64 offset1:80
.LBB201_59:
	s_wait_alu 0xfffe
	s_or_b32 exec_lo, exec_lo, s1
	s_delay_alu instid0(SALU_CYCLE_1)
	s_mov_b32 s1, exec_lo
	s_wait_loadcnt_dscnt 0x0
	s_barrier_signal -1
	s_barrier_wait -1
	global_inv scope:SCOPE_SE
	v_cmpx_gt_u32_e32 32, v0
	s_cbranch_execz .LBB201_68
; %bb.60:
	s_and_saveexec_b32 s0, vcc_lo
	s_cbranch_execnz .LBB201_76
; %bb.61:
	s_wait_alu 0xfffe
	s_or_b32 exec_lo, exec_lo, s0
	s_and_saveexec_b32 s0, vcc_lo
	s_cbranch_execnz .LBB201_77
.LBB201_62:
	s_wait_alu 0xfffe
	s_or_b32 exec_lo, exec_lo, s0
	s_and_saveexec_b32 s0, vcc_lo
	s_cbranch_execnz .LBB201_78
.LBB201_63:
	s_wait_alu 0xfffe
	s_or_b32 exec_lo, exec_lo, s0
	s_and_saveexec_b32 s0, vcc_lo
	s_cbranch_execnz .LBB201_79
.LBB201_64:
	s_wait_alu 0xfffe
	s_or_b32 exec_lo, exec_lo, s0
	s_and_saveexec_b32 s0, vcc_lo
	s_cbranch_execnz .LBB201_80
.LBB201_65:
	s_wait_alu 0xfffe
	s_or_b32 exec_lo, exec_lo, s0
	s_and_saveexec_b32 s0, vcc_lo
	s_cbranch_execz .LBB201_67
.LBB201_66:
	ds_load_b32 v7, v7 offset:320
	s_wait_dscnt 0x0
	v_add_f32_e32 v6, v6, v7
.LBB201_67:
	s_wait_alu 0xfffe
	s_or_b32 exec_lo, exec_lo, s0
.LBB201_68:
	s_wait_alu 0xfffe
	s_or_b32 exec_lo, exec_lo, s1
	s_mov_b32 s1, 0
	s_wait_loadcnt 0x0
	s_barrier_signal -1
	s_barrier_wait -1
	global_inv scope:SCOPE_SE
	s_mov_b32 s0, exec_lo
	v_cmpx_eq_u32_e32 0, v9
	s_cbranch_execz .LBB201_70
; %bb.69:
	s_mul_i32 s2, s14, 0x60
	s_mul_i32 s6, s12, s16
	s_wait_alu 0xfffe
	s_ashr_i32 s3, s2, 31
	s_ashr_i32 s7, s6, 31
	s_wait_alu 0xfffe
	s_lshl_b64 s[2:3], s[2:3], 2
	s_lshl_b64 s[6:7], s[6:7], 2
	s_wait_kmcnt 0x0
	s_wait_alu 0xfffe
	s_add_nc_u64 s[2:3], s[4:5], s[2:3]
	v_lshlrev_b32_e32 v0, 1, v0
	s_mul_i32 s0, s26, 0x180
	s_wait_alu 0xfffe
	s_add_nc_u64 s[2:3], s[2:3], s[6:7]
	s_wait_alu 0xfffe
	s_add_nc_u64 s[0:1], s[2:3], s[0:1]
	s_clause 0x5
	global_store_b32 v0, v1, s[0:1]
	global_store_b32 v0, v2, s[0:1] offset:64
	global_store_b32 v0, v3, s[0:1] offset:128
	;; [unrolled: 1-line block ×5, first 2 shown]
.LBB201_70:
	s_endpgm
.LBB201_71:
	ds_load_b32 v9, v7
	s_wait_dscnt 0x0
	v_add_f32_e32 v1, v1, v9
	s_wait_alu 0xfffe
	s_or_b32 exec_lo, exec_lo, s0
	s_and_saveexec_b32 s0, vcc_lo
	s_cbranch_execz .LBB201_51
.LBB201_72:
	ds_load_b32 v9, v7 offset:64
	s_wait_dscnt 0x0
	v_add_f32_e32 v2, v2, v9
	s_wait_alu 0xfffe
	s_or_b32 exec_lo, exec_lo, s0
	s_and_saveexec_b32 s0, vcc_lo
	s_cbranch_execz .LBB201_52
.LBB201_73:
	ds_load_b32 v9, v7 offset:128
	s_wait_dscnt 0x0
	v_add_f32_e32 v3, v3, v9
	s_wait_alu 0xfffe
	s_or_b32 exec_lo, exec_lo, s0
	s_and_saveexec_b32 s0, vcc_lo
	s_cbranch_execz .LBB201_53
.LBB201_74:
	ds_load_b32 v9, v7 offset:192
	s_wait_dscnt 0x0
	v_add_f32_e32 v4, v4, v9
	s_wait_alu 0xfffe
	s_or_b32 exec_lo, exec_lo, s0
	s_and_saveexec_b32 s0, vcc_lo
	s_cbranch_execz .LBB201_54
.LBB201_75:
	ds_load_b32 v9, v7 offset:256
	s_wait_dscnt 0x0
	v_add_f32_e32 v5, v5, v9
	s_wait_alu 0xfffe
	s_or_b32 exec_lo, exec_lo, s0
	s_and_saveexec_b32 s0, vcc_lo
	s_cbranch_execnz .LBB201_55
	s_branch .LBB201_56
.LBB201_76:
	ds_load_b32 v8, v7
	s_wait_dscnt 0x0
	v_add_f32_e32 v1, v1, v8
	s_wait_alu 0xfffe
	s_or_b32 exec_lo, exec_lo, s0
	s_and_saveexec_b32 s0, vcc_lo
	s_cbranch_execz .LBB201_62
.LBB201_77:
	ds_load_b32 v8, v7 offset:64
	s_wait_dscnt 0x0
	v_add_f32_e32 v2, v2, v8
	s_wait_alu 0xfffe
	s_or_b32 exec_lo, exec_lo, s0
	s_and_saveexec_b32 s0, vcc_lo
	s_cbranch_execz .LBB201_63
.LBB201_78:
	ds_load_b32 v8, v7 offset:128
	s_wait_dscnt 0x0
	v_add_f32_e32 v3, v3, v8
	s_wait_alu 0xfffe
	s_or_b32 exec_lo, exec_lo, s0
	s_and_saveexec_b32 s0, vcc_lo
	s_cbranch_execz .LBB201_64
.LBB201_79:
	ds_load_b32 v8, v7 offset:192
	s_wait_dscnt 0x0
	v_add_f32_e32 v4, v4, v8
	s_wait_alu 0xfffe
	s_or_b32 exec_lo, exec_lo, s0
	s_and_saveexec_b32 s0, vcc_lo
	s_cbranch_execz .LBB201_65
.LBB201_80:
	ds_load_b32 v8, v7 offset:256
	s_wait_dscnt 0x0
	v_add_f32_e32 v5, v5, v8
	s_wait_alu 0xfffe
	s_or_b32 exec_lo, exec_lo, s0
	s_and_saveexec_b32 s0, vcc_lo
	s_cbranch_execnz .LBB201_66
	s_branch .LBB201_67
	.section	.rodata,"a",@progbits
	.p2align	6, 0x0
	.amdhsa_kernel _ZN4vllm25paged_attention_v2_kernelIfhLi96ELi8ELi128ELNS_18Fp8KVCacheDataTypeE1ELb0ELi512EEEvPfS2_PT_PKS3_PKT0_S9_ifPKiSB_iPKfiiiSD_SD_iiiii
		.amdhsa_group_segment_fixed_size 416
		.amdhsa_private_segment_fixed_size 0
		.amdhsa_kernarg_size 400
		.amdhsa_user_sgpr_count 2
		.amdhsa_user_sgpr_dispatch_ptr 0
		.amdhsa_user_sgpr_queue_ptr 0
		.amdhsa_user_sgpr_kernarg_segment_ptr 1
		.amdhsa_user_sgpr_dispatch_id 0
		.amdhsa_user_sgpr_private_segment_size 0
		.amdhsa_wavefront_size32 1
		.amdhsa_uses_dynamic_stack 0
		.amdhsa_enable_private_segment 0
		.amdhsa_system_sgpr_workgroup_id_x 1
		.amdhsa_system_sgpr_workgroup_id_y 1
		.amdhsa_system_sgpr_workgroup_id_z 1
		.amdhsa_system_sgpr_workgroup_info 0
		.amdhsa_system_vgpr_workitem_id 0
		.amdhsa_next_free_vgpr 67
		.amdhsa_next_free_sgpr 38
		.amdhsa_reserve_vcc 1
		.amdhsa_float_round_mode_32 0
		.amdhsa_float_round_mode_16_64 0
		.amdhsa_float_denorm_mode_32 3
		.amdhsa_float_denorm_mode_16_64 3
		.amdhsa_fp16_overflow 0
		.amdhsa_workgroup_processor_mode 1
		.amdhsa_memory_ordered 1
		.amdhsa_forward_progress 1
		.amdhsa_inst_pref_size 45
		.amdhsa_round_robin_scheduling 0
		.amdhsa_exception_fp_ieee_invalid_op 0
		.amdhsa_exception_fp_denorm_src 0
		.amdhsa_exception_fp_ieee_div_zero 0
		.amdhsa_exception_fp_ieee_overflow 0
		.amdhsa_exception_fp_ieee_underflow 0
		.amdhsa_exception_fp_ieee_inexact 0
		.amdhsa_exception_int_div_zero 0
	.end_amdhsa_kernel
	.section	.text._ZN4vllm25paged_attention_v2_kernelIfhLi96ELi8ELi128ELNS_18Fp8KVCacheDataTypeE1ELb0ELi512EEEvPfS2_PT_PKS3_PKT0_S9_ifPKiSB_iPKfiiiSD_SD_iiiii,"axG",@progbits,_ZN4vllm25paged_attention_v2_kernelIfhLi96ELi8ELi128ELNS_18Fp8KVCacheDataTypeE1ELb0ELi512EEEvPfS2_PT_PKS3_PKT0_S9_ifPKiSB_iPKfiiiSD_SD_iiiii,comdat
.Lfunc_end201:
	.size	_ZN4vllm25paged_attention_v2_kernelIfhLi96ELi8ELi128ELNS_18Fp8KVCacheDataTypeE1ELb0ELi512EEEvPfS2_PT_PKS3_PKT0_S9_ifPKiSB_iPKfiiiSD_SD_iiiii, .Lfunc_end201-_ZN4vllm25paged_attention_v2_kernelIfhLi96ELi8ELi128ELNS_18Fp8KVCacheDataTypeE1ELb0ELi512EEEvPfS2_PT_PKS3_PKT0_S9_ifPKiSB_iPKfiiiSD_SD_iiiii
                                        ; -- End function
	.set _ZN4vllm25paged_attention_v2_kernelIfhLi96ELi8ELi128ELNS_18Fp8KVCacheDataTypeE1ELb0ELi512EEEvPfS2_PT_PKS3_PKT0_S9_ifPKiSB_iPKfiiiSD_SD_iiiii.num_vgpr, 67
	.set _ZN4vllm25paged_attention_v2_kernelIfhLi96ELi8ELi128ELNS_18Fp8KVCacheDataTypeE1ELb0ELi512EEEvPfS2_PT_PKS3_PKT0_S9_ifPKiSB_iPKfiiiSD_SD_iiiii.num_agpr, 0
	.set _ZN4vllm25paged_attention_v2_kernelIfhLi96ELi8ELi128ELNS_18Fp8KVCacheDataTypeE1ELb0ELi512EEEvPfS2_PT_PKS3_PKT0_S9_ifPKiSB_iPKfiiiSD_SD_iiiii.numbered_sgpr, 38
	.set _ZN4vllm25paged_attention_v2_kernelIfhLi96ELi8ELi128ELNS_18Fp8KVCacheDataTypeE1ELb0ELi512EEEvPfS2_PT_PKS3_PKT0_S9_ifPKiSB_iPKfiiiSD_SD_iiiii.num_named_barrier, 0
	.set _ZN4vllm25paged_attention_v2_kernelIfhLi96ELi8ELi128ELNS_18Fp8KVCacheDataTypeE1ELb0ELi512EEEvPfS2_PT_PKS3_PKT0_S9_ifPKiSB_iPKfiiiSD_SD_iiiii.private_seg_size, 0
	.set _ZN4vllm25paged_attention_v2_kernelIfhLi96ELi8ELi128ELNS_18Fp8KVCacheDataTypeE1ELb0ELi512EEEvPfS2_PT_PKS3_PKT0_S9_ifPKiSB_iPKfiiiSD_SD_iiiii.uses_vcc, 1
	.set _ZN4vllm25paged_attention_v2_kernelIfhLi96ELi8ELi128ELNS_18Fp8KVCacheDataTypeE1ELb0ELi512EEEvPfS2_PT_PKS3_PKT0_S9_ifPKiSB_iPKfiiiSD_SD_iiiii.uses_flat_scratch, 0
	.set _ZN4vllm25paged_attention_v2_kernelIfhLi96ELi8ELi128ELNS_18Fp8KVCacheDataTypeE1ELb0ELi512EEEvPfS2_PT_PKS3_PKT0_S9_ifPKiSB_iPKfiiiSD_SD_iiiii.has_dyn_sized_stack, 0
	.set _ZN4vllm25paged_attention_v2_kernelIfhLi96ELi8ELi128ELNS_18Fp8KVCacheDataTypeE1ELb0ELi512EEEvPfS2_PT_PKS3_PKT0_S9_ifPKiSB_iPKfiiiSD_SD_iiiii.has_recursion, 0
	.set _ZN4vllm25paged_attention_v2_kernelIfhLi96ELi8ELi128ELNS_18Fp8KVCacheDataTypeE1ELb0ELi512EEEvPfS2_PT_PKS3_PKT0_S9_ifPKiSB_iPKfiiiSD_SD_iiiii.has_indirect_call, 0
	.section	.AMDGPU.csdata,"",@progbits
; Kernel info:
; codeLenInByte = 5728
; TotalNumSgprs: 40
; NumVgprs: 67
; ScratchSize: 0
; MemoryBound: 0
; FloatMode: 240
; IeeeMode: 1
; LDSByteSize: 416 bytes/workgroup (compile time only)
; SGPRBlocks: 0
; VGPRBlocks: 8
; NumSGPRsForWavesPerEU: 40
; NumVGPRsForWavesPerEU: 67
; Occupancy: 16
; WaveLimiterHint : 1
; COMPUTE_PGM_RSRC2:SCRATCH_EN: 0
; COMPUTE_PGM_RSRC2:USER_SGPR: 2
; COMPUTE_PGM_RSRC2:TRAP_HANDLER: 0
; COMPUTE_PGM_RSRC2:TGID_X_EN: 1
; COMPUTE_PGM_RSRC2:TGID_Y_EN: 1
; COMPUTE_PGM_RSRC2:TGID_Z_EN: 1
; COMPUTE_PGM_RSRC2:TIDIG_COMP_CNT: 0
	.section	.text._ZN4vllm25paged_attention_v2_kernelIfhLi112ELi8ELi128ELNS_18Fp8KVCacheDataTypeE1ELb0ELi512EEEvPfS2_PT_PKS3_PKT0_S9_ifPKiSB_iPKfiiiSD_SD_iiiii,"axG",@progbits,_ZN4vllm25paged_attention_v2_kernelIfhLi112ELi8ELi128ELNS_18Fp8KVCacheDataTypeE1ELb0ELi512EEEvPfS2_PT_PKS3_PKT0_S9_ifPKiSB_iPKfiiiSD_SD_iiiii,comdat
	.protected	_ZN4vllm25paged_attention_v2_kernelIfhLi112ELi8ELi128ELNS_18Fp8KVCacheDataTypeE1ELb0ELi512EEEvPfS2_PT_PKS3_PKT0_S9_ifPKiSB_iPKfiiiSD_SD_iiiii ; -- Begin function _ZN4vllm25paged_attention_v2_kernelIfhLi112ELi8ELi128ELNS_18Fp8KVCacheDataTypeE1ELb0ELi512EEEvPfS2_PT_PKS3_PKT0_S9_ifPKiSB_iPKfiiiSD_SD_iiiii
	.globl	_ZN4vllm25paged_attention_v2_kernelIfhLi112ELi8ELi128ELNS_18Fp8KVCacheDataTypeE1ELb0ELi512EEEvPfS2_PT_PKS3_PKT0_S9_ifPKiSB_iPKfiiiSD_SD_iiiii
	.p2align	8
	.type	_ZN4vllm25paged_attention_v2_kernelIfhLi112ELi8ELi128ELNS_18Fp8KVCacheDataTypeE1ELb0ELi512EEEvPfS2_PT_PKS3_PKT0_S9_ifPKiSB_iPKfiiiSD_SD_iiiii,@function
_ZN4vllm25paged_attention_v2_kernelIfhLi112ELi8ELi128ELNS_18Fp8KVCacheDataTypeE1ELb0ELi512EEEvPfS2_PT_PKS3_PKT0_S9_ifPKiSB_iPKfiiiSD_SD_iiiii: ; @_ZN4vllm25paged_attention_v2_kernelIfhLi112ELi8ELi128ELNS_18Fp8KVCacheDataTypeE1ELb0ELi512EEEvPfS2_PT_PKS3_PKT0_S9_ifPKiSB_iPKfiiiSD_SD_iiiii
; %bb.0:
	s_load_b64 s[2:3], s[0:1], 0x40
	s_and_b32 s15, ttmp7, 0xffff
	s_lshr_b32 s26, ttmp7, 16
	s_lshl_b32 s4, s15, 2
	s_lshl_b32 s28, s26, 9
	s_wait_kmcnt 0x0
	s_load_b32 s27, s[2:3], s4 offset:0x0
	s_wait_kmcnt 0x0
	s_cmp_ge_i32 s28, s27
	s_cbranch_scc1 .LBB202_74
; %bb.1:
	s_clause 0x1
	s_load_b32 s29, s[0:1], 0x90
	s_load_b64 s[8:9], s[0:1], 0x30
	s_wait_kmcnt 0x0
	s_abs_i32 s5, s29
	s_abs_i32 s2, s8
	s_delay_alu instid0(SALU_CYCLE_1) | instskip(SKIP_1) | instid1(SALU_CYCLE_2)
	s_cvt_f32_u32 s3, s2
	s_sub_co_i32 s4, 0, s2
	v_rcp_iflag_f32_e32 v1, s3
	s_delay_alu instid0(TRANS32_DEP_1) | instskip(SKIP_2) | instid1(SALU_CYCLE_2)
	v_readfirstlane_b32 s3, v1
	s_mul_f32 s3, s3, 0x4f7ffffe
	s_wait_alu 0xfffe
	s_cvt_u32_f32 s3, s3
	s_wait_alu 0xfffe
	s_delay_alu instid0(SALU_CYCLE_2) | instskip(NEXT) | instid1(SALU_CYCLE_1)
	s_mul_i32 s4, s4, s3
	s_mul_hi_u32 s4, s3, s4
	s_delay_alu instid0(SALU_CYCLE_1)
	s_add_co_i32 s3, s3, s4
	s_xor_b32 s4, s29, s8
	s_wait_alu 0xfffe
	s_mul_hi_u32 s3, s5, s3
	s_ashr_i32 s4, s4, 31
	s_wait_alu 0xfffe
	s_mul_i32 s6, s3, s2
	s_delay_alu instid0(SALU_CYCLE_1)
	s_sub_co_i32 s5, s5, s6
	s_add_co_i32 s6, s3, 1
	s_sub_co_i32 s7, s5, s2
	s_cmp_ge_u32 s5, s2
	s_cselect_b32 s3, s6, s3
	s_cselect_b32 s5, s7, s5
	s_wait_alu 0xfffe
	s_add_co_i32 s6, s3, 1
	s_cmp_ge_u32 s5, s2
	s_cselect_b32 s2, s6, s3
	s_load_b64 s[6:7], s[0:1], 0x50
	s_xor_b32 s2, s2, s4
	s_mov_b32 s3, 0
	s_wait_alu 0xfffe
	s_sub_co_i32 s11, s2, s4
	s_mov_b32 s8, s3
	s_abs_i32 s10, s11
	s_delay_alu instid0(SALU_CYCLE_1) | instskip(SKIP_1) | instid1(SALU_CYCLE_2)
	s_cvt_f32_u32 s2, s10
	s_wait_alu 0xfffe
	v_rcp_iflag_f32_e32 v1, s2
	s_delay_alu instid0(TRANS32_DEP_1) | instskip(SKIP_2) | instid1(SALU_CYCLE_2)
	v_readfirstlane_b32 s2, v1
	s_mul_f32 s2, s2, 0x4f7ffffe
	s_wait_alu 0xfffe
	s_cvt_u32_f32 s4, s2
	s_sub_co_i32 s2, 0, s10
	s_wait_alu 0xfffe
	s_delay_alu instid0(SALU_CYCLE_1)
	s_mul_i32 s2, s2, s4
	s_wait_alu 0xfffe
	s_mul_hi_u32 s5, s4, s2
	s_abs_i32 s2, ttmp9
	s_add_co_i32 s4, s4, s5
	s_mov_b32 s5, s3
	s_wait_kmcnt 0x0
	s_cmp_eq_u64 s[6:7], 0
	s_cbranch_scc1 .LBB202_3
; %bb.2:
	s_mov_b32 s12, ttmp9
	s_ashr_i32 s13, ttmp9, 31
	s_delay_alu instid0(SALU_CYCLE_1) | instskip(NEXT) | instid1(SALU_CYCLE_1)
	s_lshl_b64 s[12:13], s[12:13], 2
	s_add_nc_u64 s[6:7], s[6:7], s[12:13]
	s_load_b32 s8, s[6:7], 0x0
.LBB202_3:
	s_load_b96 s[12:14], s[0:1], 0x58
	v_and_b32_e32 v29, 3, v0
	v_lshlrev_b32_e32 v35, 2, v0
	s_mul_u64 s[4:5], s[2:3], s[4:5]
	s_ashr_i32 s3, ttmp9, 31
	s_ashr_i32 s4, s11, 31
	s_mul_i32 s16, ttmp9, 0x70
	s_mov_b32 s6, exec_lo
	v_cmpx_gt_u32_e32 0x70, v0
	s_cbranch_execz .LBB202_5
; %bb.4:
	s_load_b64 s[18:19], s[0:1], 0x18
	s_wait_kmcnt 0x0
	s_mul_i32 s20, s12, s15
	s_ashr_i32 s17, s16, 31
	s_ashr_i32 s21, s20, 31
	v_and_b32_e32 v2, 0x3fc, v0
	s_lshl_b64 s[20:21], s[20:21], 2
	s_delay_alu instid0(VALU_DEP_1) | instskip(SKIP_2) | instid1(SALU_CYCLE_1)
	v_mad_u32_u24 v2, 0x70, v29, v2
	s_add_nc_u64 s[18:19], s[18:19], s[20:21]
	s_lshl_b64 s[20:21], s[16:17], 2
	s_add_nc_u64 s[18:19], s[18:19], s[20:21]
	global_load_b32 v1, v35, s[18:19]
	s_wait_loadcnt 0x0
	ds_store_b32 v2, v1
.LBB202_5:
	s_or_b32 exec_lo, exec_lo, s6
	s_add_co_i32 s6, s27, 7
	s_wait_alu 0xfffe
	s_xor_b32 s3, s3, s4
	s_ashr_i32 s7, s6, 31
	s_lshl_b32 s31, s26, 6
	s_lshr_b32 s4, s7, 29
	s_mul_i32 s7, s5, s10
	s_add_co_i32 s6, s6, s4
	s_add_co_i32 s4, s31, 64
	s_ashr_i32 s30, s6, 3
	s_load_b32 s6, s[0:1], 0x48
	s_sub_co_i32 s2, s2, s7
	s_min_i32 s17, s4, s30
	s_add_co_i32 s4, s5, 1
	s_wait_alu 0xfffe
	s_sub_co_i32 s7, s2, s10
	s_cmp_ge_u32 s2, s10
	v_lshrrev_b32_e32 v33, 5, v0
	s_cselect_b32 s4, s4, s5
	s_cselect_b32 s2, s7, s2
	s_add_co_i32 s5, s4, 1
	s_wait_alu 0xfffe
	s_cmp_ge_u32 s2, s10
	v_or_b32_e32 v34, s31, v33
	s_cselect_b32 s2, s5, s4
	v_mbcnt_lo_u32_b32 v37, -1, 0
	s_wait_alu 0xfffe
	s_xor_b32 s2, s2, s3
	s_mov_b32 s4, exec_lo
	s_wait_alu 0xfffe
	s_sub_co_i32 s3, s2, s3
	v_cmp_gt_i32_e64 s2, s17, v34
	s_wait_dscnt 0x0
	s_barrier_signal -1
	s_wait_kmcnt 0x0
	s_mul_i32 s18, s6, s15
	s_barrier_wait -1
	s_ashr_i32 s19, s18, 31
	global_inv scope:SCOPE_SE
                                        ; implicit-def: $vgpr38
                                        ; implicit-def: $vgpr39
	v_cmpx_le_i32_e64 s17, v34
	s_xor_b32 s4, exec_lo, s4
; %bb.6:
	v_dual_mov_b32 v38, 0 :: v_dual_mov_b32 v39, 32
	v_mbcnt_lo_u32_b32 v37, -1, 0
                                        ; implicit-def: $vgpr29
; %bb.7:
	s_or_saveexec_b32 s10, s4
	s_clause 0x2
	s_load_b32 s12, s[0:1], 0x98
	s_load_b64 s[20:21], s[0:1], 0x38
	s_load_b128 s[4:7], s[0:1], 0x68
	v_mov_b32_e32 v40, 0xff7fffff
	v_lshlrev_b32_e32 v36, 2, v34
	s_mul_i32 s22, s3, s14
	s_xor_b32 exec_lo, exec_lo, s10
	s_cbranch_execz .LBB202_13
; %bb.8:
	s_load_b64 s[24:25], s[0:1], 0x20
	v_xor_b32_e32 v26, 2, v37
	v_bfe_u32 v31, v0, 2, 3
	v_xor_b32_e32 v27, 1, v37
	v_mul_u32_u24_e32 v25, 0x70, v29
	s_ashr_i32 s23, s22, 31
	v_cmp_gt_i32_e32 vcc_lo, 32, v26
	v_dual_mov_b32 v45, v34 :: v_dual_lshlrev_b32 v28, 4, v31
	ds_load_b128 v[1:4], v25
	ds_load_b128 v[5:8], v25 offset:16
	ds_load_b128 v[9:12], v25 offset:32
	;; [unrolled: 1-line block ×5, first 2 shown]
	s_wait_kmcnt 0x0
	s_load_b32 s11, s[4:5], 0x0
	v_cndmask_b32_e32 v30, v37, v26, vcc_lo
	v_cmp_gt_i32_e32 vcc_lo, 32, v27
	s_cmp_neq_f32 s8, 0
	v_dual_mov_b32 v38, 0 :: v_dual_mov_b32 v39, 32
	s_wait_alu 0xfffd
	v_dual_cndmask_b32 v32, v37, v27 :: v_dual_lshlrev_b32 v41, 2, v30
	v_lshlrev_b32_e32 v30, 2, v31
	v_cmp_eq_u32_e32 vcc_lo, 0, v29
	s_add_nc_u64 s[24:25], s[24:25], s[22:23]
	s_mov_b32 s23, s13
	v_add_co_u32 v40, s3, s24, v28
	ds_load_b128 v[25:28], v25 offset:96
	s_wait_alu 0xf1ff
	v_add_co_ci_u32_e64 v43, null, s25, 0, s3
	v_add_co_u32 v29, s4, v40, v29
	v_lshlrev_b32_e32 v42, 2, v32
	v_lshlrev_b32_e32 v32, 3, v33
	s_cselect_b32 s3, -1, 0
	v_lshl_or_b32 v44, v33, 5, v30
	v_add_co_ci_u32_e64 v30, null, 0, v43, s4
	s_lshl_b64 s[4:5], s[18:19], 2
	v_add3_u32 v43, s28, v32, v31
	s_wait_alu 0xfffe
	s_add_nc_u64 s[4:5], s[20:21], s[4:5]
	v_add_nc_u32_e32 v44, 0x1e0, v44
	s_wait_alu 0xfffe
	v_add_co_u32 v31, s4, s4, v36
	s_wait_alu 0xf1ff
	v_add_co_ci_u32_e64 v32, null, s5, 0, s4
	v_mov_b32_e32 v40, 0xff7fffff
	s_mov_b32 s14, 0
	s_sub_co_i32 s24, 1, s27
	s_branch .LBB202_10
.LBB202_9:                              ;   in Loop: Header=BB202_10 Depth=1
	s_wait_alu 0xfffe
	s_or_b32 exec_lo, exec_lo, s5
	v_add_nc_u32_e32 v45, 4, v45
	v_add_co_u32 v31, s5, v31, 16
	v_add_nc_u32_e32 v43, 32, v43
	v_add_nc_u32_e32 v44, 0x80, v44
	s_delay_alu instid0(VALU_DEP_4) | instskip(SKIP_3) | instid1(SALU_CYCLE_1)
	v_cmp_le_i32_e64 s4, s17, v45
	s_wait_alu 0xf1ff
	v_add_co_ci_u32_e64 v32, null, 0, v32, s5
	s_or_b32 s14, s4, s14
	s_and_not1_b32 exec_lo, exec_lo, s14
	s_cbranch_execz .LBB202_12
.LBB202_10:                             ; =>This Inner Loop Header: Depth=1
	global_load_b32 v46, v[31:32], off
	s_wait_loadcnt_dscnt 0x0
	v_mad_co_i64_i32 v[46:47], null, v46, s23, v[29:30]
	s_clause 0x1b
	global_load_u8 v48, v[46:47], off offset:4
	global_load_u8 v49, v[46:47], off
	global_load_u8 v50, v[46:47], off offset:8
	global_load_u8 v51, v[46:47], off offset:12
	;; [unrolled: 1-line block ×26, first 2 shown]
	s_wait_loadcnt 0x1b
	v_cvt_f32_fp8_e32 v47, v48
	s_wait_loadcnt 0x1a
	v_cvt_f32_fp8_e32 v48, v49
	;; [unrolled: 2-line block ×4, first 2 shown]
	s_wait_kmcnt 0x0
	v_dual_mul_f32 v47, s11, v47 :: v_dual_mul_f32 v48, s11, v48
	s_wait_dscnt 0x6
	s_delay_alu instid0(VALU_DEP_1) | instskip(NEXT) | instid1(VALU_DEP_1)
	v_dual_mul_f32 v50, s11, v50 :: v_dual_mul_f32 v47, v2, v47
	v_fmac_f32_e32 v47, v1, v48
	s_wait_loadcnt 0x17
	v_cvt_f32_fp8_e32 v48, v52
	s_delay_alu instid0(VALU_DEP_1) | instskip(NEXT) | instid1(VALU_DEP_1)
	v_dual_mul_f32 v49, s11, v49 :: v_dual_mul_f32 v48, s11, v48
	v_fmac_f32_e32 v47, v3, v49
	s_wait_loadcnt 0x16
	v_cvt_f32_fp8_e32 v49, v53
	s_delay_alu instid0(VALU_DEP_2) | instskip(SKIP_2) | instid1(VALU_DEP_3)
	v_fmac_f32_e32 v47, v4, v50
	s_wait_loadcnt 0x15
	v_cvt_f32_fp8_e32 v50, v54
	v_mul_f32_e32 v49, s11, v49
	s_wait_loadcnt 0x0
	v_cvt_f32_fp8_e32 v46, v46
	s_wait_dscnt 0x5
	v_dual_fmac_f32 v47, v5, v48 :: v_dual_mul_f32 v48, s11, v50
	v_cvt_f32_fp8_e32 v50, v55
	s_delay_alu instid0(VALU_DEP_2) | instskip(SKIP_1) | instid1(VALU_DEP_2)
	v_dual_mul_f32 v46, s11, v46 :: v_dual_fmac_f32 v47, v6, v49
	v_cvt_f32_fp8_e32 v49, v56
	v_dual_mul_f32 v50, s11, v50 :: v_dual_fmac_f32 v47, v7, v48
	s_delay_alu instid0(VALU_DEP_2) | instskip(SKIP_1) | instid1(VALU_DEP_3)
	v_mul_f32_e32 v48, s11, v49
	v_cvt_f32_fp8_e32 v49, v57
	v_fmac_f32_e32 v47, v8, v50
	v_cvt_f32_fp8_e32 v50, v58
	s_delay_alu instid0(VALU_DEP_3) | instskip(SKIP_1) | instid1(VALU_DEP_2)
	v_mul_f32_e32 v49, s11, v49
	s_wait_dscnt 0x4
	v_dual_fmac_f32 v47, v9, v48 :: v_dual_mul_f32 v48, s11, v50
	v_cvt_f32_fp8_e32 v50, v59
	s_delay_alu instid0(VALU_DEP_2) | instskip(SKIP_1) | instid1(VALU_DEP_2)
	v_fmac_f32_e32 v47, v10, v49
	v_cvt_f32_fp8_e32 v49, v60
	v_dual_mul_f32 v50, s11, v50 :: v_dual_fmac_f32 v47, v11, v48
	s_delay_alu instid0(VALU_DEP_2) | instskip(SKIP_1) | instid1(VALU_DEP_3)
	v_mul_f32_e32 v48, s11, v49
	v_cvt_f32_fp8_e32 v49, v61
	v_fmac_f32_e32 v47, v12, v50
	v_cvt_f32_fp8_e32 v50, v62
	s_delay_alu instid0(VALU_DEP_3) | instskip(SKIP_1) | instid1(VALU_DEP_2)
	v_mul_f32_e32 v49, s11, v49
	s_wait_dscnt 0x3
	v_dual_fmac_f32 v47, v13, v48 :: v_dual_mul_f32 v48, s11, v50
	v_cvt_f32_fp8_e32 v50, v63
	s_delay_alu instid0(VALU_DEP_2) | instskip(SKIP_1) | instid1(VALU_DEP_2)
	v_fmac_f32_e32 v47, v14, v49
	;; [unrolled: 14-line block ×4, first 2 shown]
	v_cvt_f32_fp8_e32 v49, v72
	v_dual_mul_f32 v50, s11, v50 :: v_dual_fmac_f32 v47, v23, v48
	s_delay_alu instid0(VALU_DEP_2) | instskip(SKIP_1) | instid1(VALU_DEP_3)
	v_mul_f32_e32 v48, s11, v49
	v_cvt_f32_fp8_e32 v49, v73
	v_fmac_f32_e32 v47, v24, v50
	v_cvt_f32_fp8_e32 v50, v74
	s_delay_alu instid0(VALU_DEP_3) | instskip(SKIP_1) | instid1(VALU_DEP_2)
	v_mul_f32_e32 v49, s11, v49
	s_wait_dscnt 0x0
	v_dual_fmac_f32 v47, v25, v48 :: v_dual_mul_f32 v48, s11, v50
	s_delay_alu instid0(VALU_DEP_1) | instskip(NEXT) | instid1(VALU_DEP_1)
	v_fmac_f32_e32 v47, v26, v49
	v_fmac_f32_e32 v47, v27, v48
	s_delay_alu instid0(VALU_DEP_1)
	v_fmac_f32_e32 v47, v28, v46
	ds_bpermute_b32 v46, v41, v47
	s_wait_dscnt 0x0
	v_add_f32_e32 v46, v47, v46
	ds_bpermute_b32 v47, v42, v46
	s_and_saveexec_b32 s5, vcc_lo
	s_cbranch_execz .LBB202_9
; %bb.11:                               ;   in Loop: Header=BB202_10 Depth=1
	s_wait_dscnt 0x0
	v_add_f32_e32 v46, v46, v47
	s_wait_alu 0xfffe
	v_add_nc_u32_e32 v48, s24, v43
	v_cmp_gt_i32_e64 s4, s27, v43
	s_delay_alu instid0(VALU_DEP_2) | instskip(NEXT) | instid1(VALU_DEP_1)
	v_cvt_f32_i32_e32 v48, v48
	v_mul_f32_e32 v48, s8, v48
	s_delay_alu instid0(VALU_DEP_1) | instskip(NEXT) | instid1(VALU_DEP_1)
	v_cndmask_b32_e64 v47, 0, v48, s3
	v_dual_max_num_f32 v48, v40, v40 :: v_dual_fmac_f32 v47, s9, v46
	s_delay_alu instid0(VALU_DEP_1) | instskip(SKIP_2) | instid1(VALU_DEP_2)
	v_max_num_f32_e32 v46, v48, v47
	s_wait_alu 0xf1ff
	v_cndmask_b32_e64 v47, 0, v47, s4
	v_cndmask_b32_e64 v40, v40, v46, s4
	ds_store_b32 v44, v47
	s_branch .LBB202_9
.LBB202_12:
	s_or_b32 exec_lo, exec_lo, s14
.LBB202_13:
	s_delay_alu instid0(SALU_CYCLE_1)
	s_or_b32 exec_lo, exec_lo, s10
	v_xor_b32_e32 v1, 16, v37
	v_xor_b32_e32 v3, 8, v37
	s_load_b128 s[8:11], s[0:1], 0x0
	s_wait_kmcnt 0x0
	s_clause 0x1
	s_load_b64 s[4:5], s[0:1], 0x10
	s_load_b64 s[24:25], s[0:1], 0x28
	v_and_b32_e32 v11, 31, v0
	v_max_num_f32_e32 v5, v40, v40
	v_cmp_lt_i32_e32 vcc_lo, v1, v39
	s_wait_alu 0xfffd
	v_cndmask_b32_e32 v1, v37, v1, vcc_lo
	v_cmp_lt_i32_e32 vcc_lo, v3, v39
	s_wait_alu 0xfffd
	v_cndmask_b32_e32 v3, v37, v3, vcc_lo
	s_delay_alu instid0(VALU_DEP_1) | instskip(SKIP_4) | instid1(VALU_DEP_1)
	v_lshlrev_b32_e32 v4, 2, v3
	v_lshlrev_b32_e32 v2, 2, v1
	ds_bpermute_b32 v1, v2, v40
	s_wait_dscnt 0x0
	v_max_num_f32_e32 v1, v1, v1
	v_max_num_f32_e32 v1, v5, v1
	v_xor_b32_e32 v5, 4, v37
	ds_bpermute_b32 v3, v4, v1
	v_cmp_lt_i32_e32 vcc_lo, v5, v39
	s_wait_alu 0xfffd
	v_cndmask_b32_e32 v5, v37, v5, vcc_lo
	v_cmp_eq_u32_e32 vcc_lo, 0, v11
	s_delay_alu instid0(VALU_DEP_2) | instskip(SKIP_3) | instid1(VALU_DEP_1)
	v_lshlrev_b32_e32 v7, 2, v5
	v_lshlrev_b32_e32 v5, 2, v33
	s_wait_dscnt 0x0
	v_max_num_f32_e32 v3, v3, v3
	v_max_num_f32_e32 v1, v1, v3
	ds_bpermute_b32 v3, v7, v1
	s_and_saveexec_b32 s0, vcc_lo
	s_cbranch_execz .LBB202_15
; %bb.14:
	s_wait_dscnt 0x0
	v_max_num_f32_e32 v3, v3, v3
	v_max_num_f32_e32 v1, v1, v1
	s_delay_alu instid0(VALU_DEP_1)
	v_max_num_f32_e32 v1, v1, v3
	ds_store_b32 v5, v1 offset:448
.LBB202_15:
	s_or_b32 exec_lo, exec_lo, s0
	v_cmp_gt_u32_e64 s0, 4, v11
	v_dual_mov_b32 v1, 0xff7fffff :: v_dual_lshlrev_b32 v6, 2, v11
	s_wait_loadcnt_dscnt 0x0
	s_barrier_signal -1
	s_barrier_wait -1
	global_inv scope:SCOPE_SE
	s_and_saveexec_b32 s1, s0
; %bb.16:
	ds_load_b32 v1, v6 offset:448
; %bb.17:
	s_or_b32 exec_lo, exec_lo, s1
	v_xor_b32_e32 v3, 2, v37
	v_xor_b32_e32 v9, 1, v37
	s_delay_alu instid0(VALU_DEP_2) | instskip(NEXT) | instid1(VALU_DEP_1)
	v_cmp_lt_i32_e64 s1, v3, v39
	v_cndmask_b32_e64 v3, v37, v3, s1
	s_delay_alu instid0(VALU_DEP_3) | instskip(NEXT) | instid1(VALU_DEP_2)
	v_cmp_lt_i32_e64 s1, v9, v39
	v_lshlrev_b32_e32 v8, 2, v3
	s_wait_alu 0xf1ff
	s_delay_alu instid0(VALU_DEP_2)
	v_cndmask_b32_e64 v9, v37, v9, s1
	s_sub_co_i32 s1, s17, s31
	s_wait_alu 0xfffe
	s_lshl_b32 s1, s1, 3
	s_wait_dscnt 0x0
	ds_bpermute_b32 v3, v8, v1
	v_max_num_f32_e32 v1, v1, v1
	s_wait_alu 0xfffe
	s_add_co_i32 s1, s1, s28
	v_lshlrev_b32_e32 v12, 2, v9
	s_wait_alu 0xfffe
	s_min_i32 s1, s1, s27
	v_mov_b32_e32 v9, 0
	s_wait_alu 0xfffe
	s_sub_co_i32 s14, s1, s28
	s_delay_alu instid0(SALU_CYCLE_1) | instskip(SKIP_2) | instid1(VALU_DEP_1)
	v_cmp_gt_i32_e64 s1, s14, v0
	s_wait_dscnt 0x0
	v_max_num_f32_e32 v3, v3, v3
	v_max_num_f32_e32 v1, v1, v3
	ds_bpermute_b32 v3, v12, v1
	s_wait_dscnt 0x0
	v_max_num_f32_e32 v3, v3, v3
	s_delay_alu instid0(VALU_DEP_1)
	v_max_num_f32_e32 v1, v1, v3
	v_lshlrev_b32_e32 v3, 2, v38
	ds_bpermute_b32 v1, v3, v1
	v_lshl_add_u32 v3, v0, 2, 0x1e0
	s_and_saveexec_b32 s23, s1
	s_cbranch_execz .LBB202_21
; %bb.18:
	v_lshl_add_u32 v10, v0, 2, 0x1e0
	v_mov_b32_e32 v9, 0
	v_mov_b32_e32 v13, v0
	s_mov_b32 s31, 0
.LBB202_19:                             ; =>This Inner Loop Header: Depth=1
	ds_load_b32 v14, v10
	v_add_nc_u32_e32 v13, 0x80, v13
	s_delay_alu instid0(VALU_DEP_1) | instskip(SKIP_4) | instid1(VALU_DEP_1)
	v_cmp_le_i32_e64 s3, s14, v13
	s_wait_alu 0xfffe
	s_or_b32 s31, s3, s31
	s_wait_dscnt 0x0
	v_sub_f32_e32 v14, v14, v1
	v_mul_f32_e32 v14, 0x3fb8aa3b, v14
	s_delay_alu instid0(VALU_DEP_1)
	v_exp_f32_e32 v14, v14
	ds_store_b32 v10, v14
	v_add_f32_e32 v9, v9, v14
	v_add_nc_u32_e32 v10, 0x200, v10
	s_wait_alu 0xfffe
	s_and_not1_b32 exec_lo, exec_lo, s31
	s_cbranch_execnz .LBB202_19
; %bb.20:
	s_or_b32 exec_lo, exec_lo, s31
.LBB202_21:
	s_wait_alu 0xfffe
	s_or_b32 exec_lo, exec_lo, s23
	ds_bpermute_b32 v2, v2, v9
	s_wait_dscnt 0x0
	v_add_f32_e32 v2, v9, v2
	ds_bpermute_b32 v4, v4, v2
	s_wait_dscnt 0x0
	v_add_f32_e32 v2, v2, v4
	;; [unrolled: 3-line block ×5, first 2 shown]
	s_and_saveexec_b32 s3, vcc_lo
; %bb.22:
	ds_store_b32 v5, v2 offset:464
; %bb.23:
	s_wait_alu 0xfffe
	s_or_b32 exec_lo, exec_lo, s3
	s_wait_loadcnt_dscnt 0x0
	s_barrier_signal -1
	s_barrier_wait -1
	global_inv scope:SCOPE_SE
	s_and_saveexec_b32 s3, s0
; %bb.24:
	ds_load_b32 v2, v6 offset:464
; %bb.25:
	s_wait_alu 0xfffe
	s_or_b32 exec_lo, exec_lo, s3
	s_wait_dscnt 0x0
	ds_bpermute_b32 v4, v8, v2
	s_wait_dscnt 0x0
	v_dual_add_f32 v2, v2, v4 :: v_dual_lshlrev_b32 v5, 2, v37
	ds_bpermute_b32 v4, v12, v2
	s_wait_dscnt 0x0
	v_add_f32_e32 v2, v2, v4
	v_and_b32_e32 v4, 0xffffff80, v5
	ds_bpermute_b32 v2, v4, v2
	s_and_saveexec_b32 s0, s1
	s_cbranch_execz .LBB202_28
; %bb.26:
	s_wait_dscnt 0x0
	v_add_f32_e32 v4, 0x358637bd, v2
	s_mov_b32 s1, 0
	s_delay_alu instid0(VALU_DEP_1) | instskip(SKIP_1) | instid1(VALU_DEP_2)
	v_div_scale_f32 v5, null, v4, v4, 1.0
	v_div_scale_f32 v8, vcc_lo, 1.0, v4, 1.0
	v_rcp_f32_e32 v6, v5
	s_delay_alu instid0(TRANS32_DEP_1) | instskip(NEXT) | instid1(VALU_DEP_1)
	v_fma_f32 v7, -v5, v6, 1.0
	v_fmac_f32_e32 v6, v7, v6
	s_delay_alu instid0(VALU_DEP_1) | instskip(NEXT) | instid1(VALU_DEP_1)
	v_mul_f32_e32 v7, v8, v6
	v_fma_f32 v9, -v5, v7, v8
	s_delay_alu instid0(VALU_DEP_1) | instskip(NEXT) | instid1(VALU_DEP_1)
	v_fmac_f32_e32 v7, v9, v6
	v_fma_f32 v5, -v5, v7, v8
	s_wait_alu 0xfffd
	s_delay_alu instid0(VALU_DEP_1) | instskip(NEXT) | instid1(VALU_DEP_1)
	v_div_fmas_f32 v5, v5, v6, v7
	v_div_fixup_f32 v4, v5, v4, 1.0
	v_mov_b32_e32 v5, v0
.LBB202_27:                             ; =>This Inner Loop Header: Depth=1
	ds_load_b32 v6, v3
	s_wait_dscnt 0x0
	v_dual_mul_f32 v6, v4, v6 :: v_dual_add_nc_u32 v5, 0x80, v5
	s_delay_alu instid0(VALU_DEP_1)
	v_cmp_le_i32_e32 vcc_lo, s14, v5
	ds_store_b32 v3, v6
	v_add_nc_u32_e32 v3, 0x200, v3
	s_wait_alu 0xfffe
	s_or_b32 s1, vcc_lo, s1
	s_wait_alu 0xfffe
	s_and_not1_b32 exec_lo, exec_lo, s1
	s_cbranch_execnz .LBB202_27
.LBB202_28:
	s_wait_alu 0xfffe
	s_or_b32 exec_lo, exec_lo, s0
	s_mul_i32 s0, s12, s15
	s_wait_loadcnt_dscnt 0x0
	s_wait_alu 0xfffe
	s_mul_i32 s14, s0, s29
	s_mov_b32 s0, exec_lo
	s_barrier_signal -1
	s_barrier_wait -1
	global_inv scope:SCOPE_SE
	v_cmpx_eq_u32_e32 0, v0
	s_cbranch_execz .LBB202_30
; %bb.29:
	s_wait_alu 0xfffe
	s_ashr_i32 s15, s14, 31
	s_mul_i32 s34, s12, ttmp9
	s_lshl_b32 s1, s26, 2
	s_wait_alu 0xfffe
	s_lshl_b64 s[36:37], s[14:15], 2
	s_ashr_i32 s35, s34, 31
	v_mov_b32_e32 v3, s1
	s_add_nc_u64 s[10:11], s[10:11], s[36:37]
	s_lshl_b64 s[34:35], s[34:35], 2
	s_add_nc_u64 s[8:9], s[8:9], s[36:37]
	s_wait_alu 0xfffe
	s_add_nc_u64 s[10:11], s[10:11], s[34:35]
	s_add_nc_u64 s[8:9], s[8:9], s[34:35]
	s_clause 0x1
	global_store_b32 v3, v1, s[10:11]
	global_store_b32 v3, v2, s[8:9]
.LBB202_30:
	s_wait_alu 0xfffe
	s_or_b32 exec_lo, exec_lo, s0
	v_dual_mov_b32 v18, 0 :: v_dual_and_b32 v13, 1, v0
	v_dual_mov_b32 v20, 0 :: v_dual_mov_b32 v19, 0
	v_dual_mov_b32 v17, 0 :: v_dual_mov_b32 v16, 0
	;; [unrolled: 1-line block ×3, first 2 shown]
	s_and_saveexec_b32 s1, s2
	s_cbranch_execz .LBB202_48
; %bb.31:
	s_load_b32 s3, s[6:7], 0x0
	v_dual_mov_b32 v15, 0 :: v_dual_lshlrev_b32 v2, 4, v13
	v_dual_mov_b32 v16, 0 :: v_dual_and_b32 v3, 0x7c, v35
	s_ashr_i32 s23, s22, 31
	s_lshl_b64 s[6:7], s[18:19], 2
	s_wait_kmcnt 0x0
	s_wait_alu 0xfffe
	s_add_nc_u64 s[8:9], s[24:25], s[22:23]
	v_dual_mov_b32 v14, 0 :: v_dual_and_b32 v1, 4, v35
	v_lshl_add_u32 v4, v33, 3, s28
	v_lshl_or_b32 v2, v33, 5, v2
	s_wait_alu 0xfffe
	v_add_co_u32 v5, s0, s8, v3
	s_add_nc_u64 s[6:7], s[20:21], s[6:7]
	s_wait_alu 0xf1ff
	v_add_co_ci_u32_e64 v6, null, s9, 0, s0
	v_add_co_u32 v7, s0, s6, v36
	v_add3_u32 v21, v4, v1, 3
	v_dual_mov_b32 v17, 0 :: v_dual_add_nc_u32 v22, 0x1e0, v2
	s_wait_alu 0xf1ff
	v_add_co_ci_u32_e64 v8, null, s7, 0, s0
	v_dual_mov_b32 v19, 0 :: v_dual_mov_b32 v20, 0
	v_mov_b32_e32 v18, 0
	s_mov_b32 s2, s13
	s_mov_b32 s6, s3
	s_add_co_i32 s30, s30, -1
	s_mov_b32 s7, 0
	s_branch .LBB202_33
.LBB202_32:                             ;   in Loop: Header=BB202_33 Depth=1
	s_wait_alu 0xfffe
	s_or_b32 exec_lo, exec_lo, s0
	s_wait_dscnt 0x0
	v_mul_f32_e32 v36, v1, v43
	v_mul_f32_e32 v31, v1, v53
	v_add_co_u32 v7, s0, v7, 16
	s_delay_alu instid0(VALU_DEP_3) | instskip(NEXT) | instid1(VALU_DEP_3)
	v_dual_fmac_f32 v36, v2, v42 :: v_dual_add_nc_u32 v21, 32, v21
	v_fmac_f32_e32 v31, v2, v50
	v_mul_f32_e32 v30, v1, v30
	s_wait_alu 0xf1ff
	v_add_co_ci_u32_e64 v8, null, 0, v8, s0
	v_fmac_f32_e32 v36, v3, v41
	v_fmac_f32_e32 v31, v3, v48
	v_dual_mul_f32 v39, v1, v39 :: v_dual_fmac_f32 v30, v2, v29
	v_dual_mul_f32 v35, v1, v49 :: v_dual_add_nc_u32 v34, 4, v34
	s_delay_alu instid0(VALU_DEP_4) | instskip(SKIP_1) | instid1(VALU_DEP_3)
	v_fmac_f32_e32 v36, v4, v40
	v_add_nc_u32_e32 v22, 0x80, v22
	v_dual_fmac_f32 v30, v3, v28 :: v_dual_fmac_f32 v35, v2, v46
	v_mul_f32_e32 v26, v1, v26
	v_cmp_le_i32_e32 vcc_lo, s17, v34
	s_delay_alu instid0(VALU_DEP_3) | instskip(NEXT) | instid1(VALU_DEP_3)
	v_dual_fmac_f32 v30, v4, v27 :: v_dual_fmac_f32 v35, v3, v45
	v_dual_mul_f32 v1, v1, v52 :: v_dual_fmac_f32 v26, v2, v25
	v_fmac_f32_e32 v31, v4, v47
	s_delay_alu instid0(VALU_DEP_3) | instskip(NEXT) | instid1(VALU_DEP_4)
	v_add_f32_e32 v20, v20, v30
	v_fmac_f32_e32 v35, v4, v44
	v_fmac_f32_e32 v39, v2, v38
	v_dual_fmac_f32 v1, v2, v51 :: v_dual_fmac_f32 v26, v3, v24
	v_add_f32_e32 v15, v15, v31
	s_delay_alu instid0(VALU_DEP_3) | instskip(NEXT) | instid1(VALU_DEP_3)
	v_dual_add_f32 v16, v16, v35 :: v_dual_fmac_f32 v39, v3, v37
	v_dual_fmac_f32 v1, v3, v10 :: v_dual_fmac_f32 v26, v4, v23
	s_or_b32 s7, vcc_lo, s7
	s_delay_alu instid0(VALU_DEP_2) | instskip(NEXT) | instid1(VALU_DEP_2)
	v_fmac_f32_e32 v39, v4, v32
	v_fmac_f32_e32 v1, v4, v9
	s_delay_alu instid0(VALU_DEP_3) | instskip(NEXT) | instid1(VALU_DEP_2)
	v_dual_add_f32 v17, v17, v36 :: v_dual_add_f32 v18, v18, v26
	v_dual_add_f32 v19, v19, v39 :: v_dual_add_f32 v14, v14, v1
	s_wait_alu 0xfffe
	s_and_not1_b32 exec_lo, exec_lo, s7
	s_cbranch_execz .LBB202_47
.LBB202_33:                             ; =>This Inner Loop Header: Depth=1
	global_load_b32 v1, v[7:8], off
	s_wait_alu 0xfffe
	v_cmp_eq_u32_e32 vcc_lo, s30, v34
	v_add_nc_u32_e32 v36, -1, v21
	s_wait_loadcnt 0x0
	v_mad_co_i64_i32 v[9:10], null, v1, s2, v[5:6]
	ds_load_b128 v[1:4], v22
	global_load_b32 v23, v[9:10], off
	s_wait_loadcnt 0x0
	v_lshrrev_b32_e32 v25, 16, v23
	s_delay_alu instid0(VALU_DEP_1) | instskip(SKIP_2) | instid1(VALU_DEP_2)
	v_cvt_pk_f32_fp8_e32 v[27:28], v25
	v_and_b32_e32 v24, 0xffff, v23
	v_add_nc_u32_e32 v35, -2, v21
	v_cvt_pk_f32_fp8_e32 v[23:24], v24
	s_delay_alu instid0(VALU_DEP_1) | instskip(NEXT) | instid1(VALU_DEP_2)
	v_dual_mul_f32 v26, s3, v23 :: v_dual_add_nc_u32 v31, -3, v21
	v_dual_mul_f32 v25, s6, v24 :: v_dual_mul_f32 v24, s3, v27
	v_mul_f32_e32 v23, s6, v28
	s_and_saveexec_b32 s8, vcc_lo
	s_cbranch_execz .LBB202_35
; %bb.34:                               ;   in Loop: Header=BB202_33 Depth=1
	v_cmp_gt_i32_e64 s0, s27, v31
	s_wait_alu 0xf1ff
	s_delay_alu instid0(VALU_DEP_1) | instskip(SKIP_2) | instid1(VALU_DEP_1)
	v_cndmask_b32_e64 v26, 0, v26, s0
	v_cmp_gt_i32_e64 s0, s27, v35
	s_wait_alu 0xf1ff
	v_cndmask_b32_e64 v25, 0, v25, s0
	v_cmp_gt_i32_e64 s0, s27, v36
	s_wait_alu 0xf1ff
	s_delay_alu instid0(VALU_DEP_1) | instskip(SKIP_2) | instid1(VALU_DEP_1)
	v_cndmask_b32_e64 v24, 0, v24, s0
	v_cmp_gt_i32_e64 s0, s27, v21
	s_wait_alu 0xf1ff
	v_cndmask_b32_e64 v23, 0, v23, s0
.LBB202_35:                             ;   in Loop: Header=BB202_33 Depth=1
	s_wait_alu 0xfffe
	s_or_b32 exec_lo, exec_lo, s8
	global_load_b32 v27, v[9:10], off offset:128
	s_wait_loadcnt 0x0
	v_lshrrev_b32_e32 v29, 16, v27
	s_delay_alu instid0(VALU_DEP_1) | instskip(SKIP_1) | instid1(VALU_DEP_1)
	v_cvt_pk_f32_fp8_e32 v[37:38], v29
	v_and_b32_e32 v28, 0xffff, v27
	v_cvt_pk_f32_fp8_e32 v[27:28], v28
	s_delay_alu instid0(VALU_DEP_1) | instskip(NEXT) | instid1(VALU_DEP_4)
	v_dual_mul_f32 v30, s3, v27 :: v_dual_mul_f32 v29, s6, v28
	v_dual_mul_f32 v28, s3, v37 :: v_dual_mul_f32 v27, s6, v38
	s_and_saveexec_b32 s8, vcc_lo
	s_cbranch_execz .LBB202_37
; %bb.36:                               ;   in Loop: Header=BB202_33 Depth=1
	v_cmp_gt_i32_e64 s0, s27, v31
	s_wait_alu 0xf1ff
	s_delay_alu instid0(VALU_DEP_1) | instskip(SKIP_2) | instid1(VALU_DEP_1)
	v_cndmask_b32_e64 v30, 0, v30, s0
	v_cmp_gt_i32_e64 s0, s27, v35
	s_wait_alu 0xf1ff
	v_cndmask_b32_e64 v29, 0, v29, s0
	v_cmp_gt_i32_e64 s0, s27, v36
	s_wait_alu 0xf1ff
	s_delay_alu instid0(VALU_DEP_1) | instskip(SKIP_2) | instid1(VALU_DEP_1)
	v_cndmask_b32_e64 v28, 0, v28, s0
	v_cmp_gt_i32_e64 s0, s27, v21
	s_wait_alu 0xf1ff
	v_cndmask_b32_e64 v27, 0, v27, s0
.LBB202_37:                             ;   in Loop: Header=BB202_33 Depth=1
	s_wait_alu 0xfffe
	s_or_b32 exec_lo, exec_lo, s8
	global_load_b32 v32, v[9:10], off offset:256
	s_wait_loadcnt 0x0
	v_and_b32_e32 v37, 0xffff, v32
	v_lshrrev_b32_e32 v32, 16, v32
	s_delay_alu instid0(VALU_DEP_2) | instskip(NEXT) | instid1(VALU_DEP_2)
	v_cvt_pk_f32_fp8_e32 v[37:38], v37
	v_cvt_pk_f32_fp8_e32 v[40:41], v32
	s_delay_alu instid0(VALU_DEP_2) | instskip(NEXT) | instid1(VALU_DEP_2)
	v_dual_mul_f32 v39, s3, v37 :: v_dual_mul_f32 v38, s6, v38
	v_dual_mul_f32 v37, s3, v40 :: v_dual_mul_f32 v32, s6, v41
	s_and_saveexec_b32 s8, vcc_lo
	s_cbranch_execz .LBB202_39
; %bb.38:                               ;   in Loop: Header=BB202_33 Depth=1
	v_cmp_gt_i32_e64 s0, s27, v31
	s_wait_alu 0xf1ff
	s_delay_alu instid0(VALU_DEP_1) | instskip(SKIP_2) | instid1(VALU_DEP_1)
	v_cndmask_b32_e64 v39, 0, v39, s0
	v_cmp_gt_i32_e64 s0, s27, v35
	s_wait_alu 0xf1ff
	v_cndmask_b32_e64 v38, 0, v38, s0
	v_cmp_gt_i32_e64 s0, s27, v36
	s_wait_alu 0xf1ff
	s_delay_alu instid0(VALU_DEP_1) | instskip(SKIP_2) | instid1(VALU_DEP_1)
	v_cndmask_b32_e64 v37, 0, v37, s0
	v_cmp_gt_i32_e64 s0, s27, v21
	s_wait_alu 0xf1ff
	v_cndmask_b32_e64 v32, 0, v32, s0
.LBB202_39:                             ;   in Loop: Header=BB202_33 Depth=1
	s_wait_alu 0xfffe
	s_or_b32 exec_lo, exec_lo, s8
	global_load_b32 v40, v[9:10], off offset:384
	s_wait_loadcnt 0x0
	v_lshrrev_b32_e32 v42, 16, v40
	s_delay_alu instid0(VALU_DEP_1) | instskip(SKIP_1) | instid1(VALU_DEP_1)
	v_cvt_pk_f32_fp8_e32 v[44:45], v42
	v_and_b32_e32 v41, 0xffff, v40
	v_cvt_pk_f32_fp8_e32 v[40:41], v41
	s_delay_alu instid0(VALU_DEP_1) | instskip(NEXT) | instid1(VALU_DEP_4)
	v_dual_mul_f32 v43, s3, v40 :: v_dual_mul_f32 v42, s6, v41
	v_dual_mul_f32 v41, s3, v44 :: v_dual_mul_f32 v40, s6, v45
	s_and_saveexec_b32 s8, vcc_lo
	s_cbranch_execz .LBB202_41
; %bb.40:                               ;   in Loop: Header=BB202_33 Depth=1
	v_cmp_gt_i32_e64 s0, s27, v31
	s_wait_alu 0xf1ff
	s_delay_alu instid0(VALU_DEP_1) | instskip(SKIP_2) | instid1(VALU_DEP_1)
	v_cndmask_b32_e64 v43, 0, v43, s0
	v_cmp_gt_i32_e64 s0, s27, v35
	s_wait_alu 0xf1ff
	v_cndmask_b32_e64 v42, 0, v42, s0
	v_cmp_gt_i32_e64 s0, s27, v36
	s_wait_alu 0xf1ff
	s_delay_alu instid0(VALU_DEP_1) | instskip(SKIP_2) | instid1(VALU_DEP_1)
	v_cndmask_b32_e64 v41, 0, v41, s0
	v_cmp_gt_i32_e64 s0, s27, v21
	s_wait_alu 0xf1ff
	v_cndmask_b32_e64 v40, 0, v40, s0
.LBB202_41:                             ;   in Loop: Header=BB202_33 Depth=1
	s_wait_alu 0xfffe
	s_or_b32 exec_lo, exec_lo, s8
	global_load_b32 v44, v[9:10], off offset:512
	s_wait_loadcnt 0x0
	v_and_b32_e32 v45, 0xffff, v44
	v_lshrrev_b32_e32 v46, 16, v44
	s_delay_alu instid0(VALU_DEP_2) | instskip(NEXT) | instid1(VALU_DEP_2)
	v_cvt_pk_f32_fp8_e32 v[44:45], v45
	v_cvt_pk_f32_fp8_e32 v[47:48], v46
	s_delay_alu instid0(VALU_DEP_2) | instskip(NEXT) | instid1(VALU_DEP_2)
	v_dual_mul_f32 v49, s3, v44 :: v_dual_mul_f32 v46, s6, v45
	v_dual_mul_f32 v45, s3, v47 :: v_dual_mul_f32 v44, s6, v48
	s_and_saveexec_b32 s8, vcc_lo
	s_cbranch_execz .LBB202_43
; %bb.42:                               ;   in Loop: Header=BB202_33 Depth=1
	v_cmp_gt_i32_e64 s0, s27, v31
	s_wait_alu 0xf1ff
	s_delay_alu instid0(VALU_DEP_1) | instskip(SKIP_2) | instid1(VALU_DEP_1)
	v_cndmask_b32_e64 v49, 0, v49, s0
	v_cmp_gt_i32_e64 s0, s27, v35
	s_wait_alu 0xf1ff
	v_cndmask_b32_e64 v46, 0, v46, s0
	v_cmp_gt_i32_e64 s0, s27, v36
	s_wait_alu 0xf1ff
	s_delay_alu instid0(VALU_DEP_1) | instskip(SKIP_2) | instid1(VALU_DEP_1)
	v_cndmask_b32_e64 v45, 0, v45, s0
	v_cmp_gt_i32_e64 s0, s27, v21
	s_wait_alu 0xf1ff
	v_cndmask_b32_e64 v44, 0, v44, s0
.LBB202_43:                             ;   in Loop: Header=BB202_33 Depth=1
	s_wait_alu 0xfffe
	s_or_b32 exec_lo, exec_lo, s8
	global_load_b32 v47, v[9:10], off offset:640
	s_wait_loadcnt 0x0
	v_lshrrev_b32_e32 v50, 16, v47
	s_delay_alu instid0(VALU_DEP_1) | instskip(SKIP_1) | instid1(VALU_DEP_1)
	v_cvt_pk_f32_fp8_e32 v[51:52], v50
	v_and_b32_e32 v48, 0xffff, v47
	v_cvt_pk_f32_fp8_e32 v[47:48], v48
	s_delay_alu instid0(VALU_DEP_1) | instskip(NEXT) | instid1(VALU_DEP_4)
	v_dual_mul_f32 v53, s3, v47 :: v_dual_mul_f32 v50, s6, v48
	v_dual_mul_f32 v48, s3, v51 :: v_dual_mul_f32 v47, s6, v52
	s_and_saveexec_b32 s8, vcc_lo
	s_cbranch_execz .LBB202_45
; %bb.44:                               ;   in Loop: Header=BB202_33 Depth=1
	v_cmp_gt_i32_e64 s0, s27, v31
	s_wait_alu 0xf1ff
	s_delay_alu instid0(VALU_DEP_1) | instskip(SKIP_2) | instid1(VALU_DEP_1)
	v_cndmask_b32_e64 v53, 0, v53, s0
	v_cmp_gt_i32_e64 s0, s27, v35
	s_wait_alu 0xf1ff
	v_cndmask_b32_e64 v50, 0, v50, s0
	v_cmp_gt_i32_e64 s0, s27, v36
	s_wait_alu 0xf1ff
	s_delay_alu instid0(VALU_DEP_1) | instskip(SKIP_2) | instid1(VALU_DEP_1)
	v_cndmask_b32_e64 v48, 0, v48, s0
	v_cmp_gt_i32_e64 s0, s27, v21
	s_wait_alu 0xf1ff
	v_cndmask_b32_e64 v47, 0, v47, s0
.LBB202_45:                             ;   in Loop: Header=BB202_33 Depth=1
	s_wait_alu 0xfffe
	s_or_b32 exec_lo, exec_lo, s8
	global_load_b32 v9, v[9:10], off offset:768
	s_wait_loadcnt 0x0
	v_lshrrev_b32_e32 v51, 16, v9
	s_delay_alu instid0(VALU_DEP_1) | instskip(SKIP_1) | instid1(VALU_DEP_1)
	v_cvt_pk_f32_fp8_e32 v[54:55], v51
	v_and_b32_e32 v10, 0xffff, v9
	v_cvt_pk_f32_fp8_e32 v[9:10], v10
	s_delay_alu instid0(VALU_DEP_1) | instskip(NEXT) | instid1(VALU_DEP_4)
	v_dual_mul_f32 v52, s3, v9 :: v_dual_mul_f32 v51, s6, v10
	v_dual_mul_f32 v10, s3, v54 :: v_dual_mul_f32 v9, s6, v55
	s_and_saveexec_b32 s0, vcc_lo
	s_cbranch_execz .LBB202_32
; %bb.46:                               ;   in Loop: Header=BB202_33 Depth=1
	v_cmp_gt_i32_e32 vcc_lo, s27, v31
	s_wait_alu 0xfffd
	v_cndmask_b32_e32 v52, 0, v52, vcc_lo
	v_cmp_gt_i32_e32 vcc_lo, s27, v35
	s_wait_alu 0xfffd
	v_cndmask_b32_e32 v51, 0, v51, vcc_lo
	;; [unrolled: 3-line block ×4, first 2 shown]
	s_branch .LBB202_32
.LBB202_47:
	s_or_b32 exec_lo, exec_lo, s7
.LBB202_48:
	s_wait_alu 0xfffe
	s_or_b32 exec_lo, exec_lo, s1
	ds_bpermute_b32 v1, v12, v18
	ds_bpermute_b32 v2, v12, v20
	;; [unrolled: 1-line block ×7, first 2 shown]
	v_lshrrev_b32_e32 v8, 1, v11
	v_mul_u32_u24_e32 v10, 0x1c0, v33
	v_and_b32_e32 v11, 0x3c1, v0
	s_mov_b32 s0, exec_lo
	s_wait_storecnt 0x0
	s_wait_loadcnt_dscnt 0x0
	v_lshl_add_u32 v9, v8, 2, 0x1e0
	s_barrier_signal -1
	s_barrier_wait -1
	global_inv scope:SCOPE_SE
	v_dual_add_f32 v1, v18, v1 :: v_dual_add_f32 v2, v20, v2
	v_dual_add_f32 v3, v19, v3 :: v_dual_add_f32 v4, v17, v4
	;; [unrolled: 1-line block ×3, first 2 shown]
	v_add_f32_e32 v7, v14, v7
	v_cmpx_eq_u32_e32 64, v11
	s_cbranch_execz .LBB202_50
; %bb.49:
	v_add_nc_u32_e32 v11, v9, v10
	s_delay_alu instid0(VALU_DEP_1)
	v_add_nc_u32_e32 v12, 0xfffffc80, v11
	v_add_nc_u32_e32 v14, 0xfffffcc0, v11
	;; [unrolled: 1-line block ×7, first 2 shown]
	ds_store_b32 v12, v1
	ds_store_b32 v14, v2
	;; [unrolled: 1-line block ×7, first 2 shown]
.LBB202_50:
	s_wait_alu 0xfffe
	s_or_b32 exec_lo, exec_lo, s0
	v_lshlrev_b32_e32 v8, 2, v8
	s_mov_b32 s1, exec_lo
	v_cmp_eq_u32_e32 vcc_lo, 0, v13
	s_wait_loadcnt_dscnt 0x0
	s_barrier_signal -1
	v_add3_u32 v8, 0x1e0, v10, v8
	s_barrier_wait -1
	global_inv scope:SCOPE_SE
	v_cmpx_gt_u32_e32 64, v0
	s_cbranch_execz .LBB202_60
; %bb.51:
	s_and_saveexec_b32 s0, vcc_lo
	s_cbranch_execnz .LBB202_75
; %bb.52:
	s_wait_alu 0xfffe
	s_or_b32 exec_lo, exec_lo, s0
	s_and_saveexec_b32 s0, vcc_lo
	s_cbranch_execnz .LBB202_76
.LBB202_53:
	s_wait_alu 0xfffe
	s_or_b32 exec_lo, exec_lo, s0
	s_and_saveexec_b32 s0, vcc_lo
	s_cbranch_execnz .LBB202_77
.LBB202_54:
	s_wait_alu 0xfffe
	s_or_b32 exec_lo, exec_lo, s0
	s_and_saveexec_b32 s0, vcc_lo
	s_cbranch_execnz .LBB202_78
.LBB202_55:
	s_wait_alu 0xfffe
	s_or_b32 exec_lo, exec_lo, s0
	s_and_saveexec_b32 s0, vcc_lo
	s_cbranch_execnz .LBB202_79
.LBB202_56:
	s_wait_alu 0xfffe
	s_or_b32 exec_lo, exec_lo, s0
	s_and_saveexec_b32 s0, vcc_lo
	s_cbranch_execnz .LBB202_80
.LBB202_57:
	s_wait_alu 0xfffe
	s_or_b32 exec_lo, exec_lo, s0
	s_and_saveexec_b32 s0, vcc_lo
	s_cbranch_execz .LBB202_59
.LBB202_58:
	ds_load_b32 v10, v8 offset:384
	s_wait_dscnt 0x0
	v_add_f32_e32 v7, v7, v10
.LBB202_59:
	s_wait_alu 0xfffe
	s_or_b32 exec_lo, exec_lo, s0
.LBB202_60:
	s_wait_alu 0xfffe
	s_or_b32 exec_lo, exec_lo, s1
	v_and_b32_e32 v10, 0x3e1, v0
	s_mov_b32 s1, exec_lo
	s_wait_loadcnt 0x0
	s_barrier_signal -1
	s_barrier_wait -1
	global_inv scope:SCOPE_SE
	v_cmpx_eq_u32_e32 32, v10
	s_cbranch_execz .LBB202_62
; %bb.61:
	ds_store_2addr_b32 v9, v1, v2 offset1:16
	ds_store_2addr_b32 v9, v3, v4 offset0:32 offset1:48
	ds_store_2addr_b32 v9, v5, v6 offset0:64 offset1:80
	ds_store_b32 v9, v7 offset:384
.LBB202_62:
	s_wait_alu 0xfffe
	s_or_b32 exec_lo, exec_lo, s1
	s_delay_alu instid0(SALU_CYCLE_1)
	s_mov_b32 s1, exec_lo
	s_wait_loadcnt_dscnt 0x0
	s_barrier_signal -1
	s_barrier_wait -1
	global_inv scope:SCOPE_SE
	v_cmpx_gt_u32_e32 32, v0
	s_cbranch_execz .LBB202_72
; %bb.63:
	s_and_saveexec_b32 s0, vcc_lo
	s_cbranch_execnz .LBB202_81
; %bb.64:
	s_wait_alu 0xfffe
	s_or_b32 exec_lo, exec_lo, s0
	s_and_saveexec_b32 s0, vcc_lo
	s_cbranch_execnz .LBB202_82
.LBB202_65:
	s_wait_alu 0xfffe
	s_or_b32 exec_lo, exec_lo, s0
	s_and_saveexec_b32 s0, vcc_lo
	s_cbranch_execnz .LBB202_83
.LBB202_66:
	s_wait_alu 0xfffe
	s_or_b32 exec_lo, exec_lo, s0
	s_and_saveexec_b32 s0, vcc_lo
	s_cbranch_execnz .LBB202_84
.LBB202_67:
	s_wait_alu 0xfffe
	s_or_b32 exec_lo, exec_lo, s0
	s_and_saveexec_b32 s0, vcc_lo
	s_cbranch_execnz .LBB202_85
.LBB202_68:
	s_wait_alu 0xfffe
	s_or_b32 exec_lo, exec_lo, s0
	s_and_saveexec_b32 s0, vcc_lo
	s_cbranch_execnz .LBB202_86
.LBB202_69:
	s_wait_alu 0xfffe
	s_or_b32 exec_lo, exec_lo, s0
	s_and_saveexec_b32 s0, vcc_lo
	s_cbranch_execz .LBB202_71
.LBB202_70:
	ds_load_b32 v8, v8 offset:384
	s_wait_dscnt 0x0
	v_add_f32_e32 v7, v7, v8
.LBB202_71:
	s_wait_alu 0xfffe
	s_or_b32 exec_lo, exec_lo, s0
.LBB202_72:
	s_wait_alu 0xfffe
	s_or_b32 exec_lo, exec_lo, s1
	s_mov_b32 s1, 0
	s_wait_loadcnt 0x0
	s_barrier_signal -1
	s_barrier_wait -1
	global_inv scope:SCOPE_SE
	s_mov_b32 s0, exec_lo
	v_cmpx_eq_u32_e32 0, v10
	s_cbranch_execz .LBB202_74
; %bb.73:
	s_mul_i32 s2, s14, 0x70
	s_mul_i32 s6, s12, s16
	s_wait_alu 0xfffe
	s_ashr_i32 s3, s2, 31
	s_ashr_i32 s7, s6, 31
	s_wait_alu 0xfffe
	s_lshl_b64 s[2:3], s[2:3], 2
	s_lshl_b64 s[6:7], s[6:7], 2
	s_wait_kmcnt 0x0
	s_wait_alu 0xfffe
	s_add_nc_u64 s[2:3], s[4:5], s[2:3]
	v_lshlrev_b32_e32 v0, 1, v0
	s_mul_i32 s0, s26, 0x1c0
	s_wait_alu 0xfffe
	s_add_nc_u64 s[2:3], s[2:3], s[6:7]
	s_wait_alu 0xfffe
	s_add_nc_u64 s[0:1], s[2:3], s[0:1]
	s_clause 0x6
	global_store_b32 v0, v1, s[0:1]
	global_store_b32 v0, v2, s[0:1] offset:64
	global_store_b32 v0, v3, s[0:1] offset:128
	;; [unrolled: 1-line block ×6, first 2 shown]
.LBB202_74:
	s_endpgm
.LBB202_75:
	ds_load_b32 v10, v8
	s_wait_dscnt 0x0
	v_add_f32_e32 v1, v1, v10
	s_wait_alu 0xfffe
	s_or_b32 exec_lo, exec_lo, s0
	s_and_saveexec_b32 s0, vcc_lo
	s_cbranch_execz .LBB202_53
.LBB202_76:
	ds_load_b32 v10, v8 offset:64
	s_wait_dscnt 0x0
	v_add_f32_e32 v2, v2, v10
	s_wait_alu 0xfffe
	s_or_b32 exec_lo, exec_lo, s0
	s_and_saveexec_b32 s0, vcc_lo
	s_cbranch_execz .LBB202_54
.LBB202_77:
	ds_load_b32 v10, v8 offset:128
	s_wait_dscnt 0x0
	v_add_f32_e32 v3, v3, v10
	s_wait_alu 0xfffe
	s_or_b32 exec_lo, exec_lo, s0
	s_and_saveexec_b32 s0, vcc_lo
	s_cbranch_execz .LBB202_55
.LBB202_78:
	ds_load_b32 v10, v8 offset:192
	s_wait_dscnt 0x0
	v_add_f32_e32 v4, v4, v10
	s_wait_alu 0xfffe
	s_or_b32 exec_lo, exec_lo, s0
	s_and_saveexec_b32 s0, vcc_lo
	s_cbranch_execz .LBB202_56
.LBB202_79:
	ds_load_b32 v10, v8 offset:256
	s_wait_dscnt 0x0
	v_add_f32_e32 v5, v5, v10
	s_wait_alu 0xfffe
	s_or_b32 exec_lo, exec_lo, s0
	s_and_saveexec_b32 s0, vcc_lo
	s_cbranch_execz .LBB202_57
.LBB202_80:
	ds_load_b32 v10, v8 offset:320
	s_wait_dscnt 0x0
	v_add_f32_e32 v6, v6, v10
	s_wait_alu 0xfffe
	s_or_b32 exec_lo, exec_lo, s0
	s_and_saveexec_b32 s0, vcc_lo
	s_cbranch_execnz .LBB202_58
	s_branch .LBB202_59
.LBB202_81:
	ds_load_b32 v9, v8
	s_wait_dscnt 0x0
	v_add_f32_e32 v1, v1, v9
	s_wait_alu 0xfffe
	s_or_b32 exec_lo, exec_lo, s0
	s_and_saveexec_b32 s0, vcc_lo
	s_cbranch_execz .LBB202_65
.LBB202_82:
	ds_load_b32 v9, v8 offset:64
	s_wait_dscnt 0x0
	v_add_f32_e32 v2, v2, v9
	s_wait_alu 0xfffe
	s_or_b32 exec_lo, exec_lo, s0
	s_and_saveexec_b32 s0, vcc_lo
	s_cbranch_execz .LBB202_66
.LBB202_83:
	ds_load_b32 v9, v8 offset:128
	s_wait_dscnt 0x0
	v_add_f32_e32 v3, v3, v9
	s_wait_alu 0xfffe
	s_or_b32 exec_lo, exec_lo, s0
	s_and_saveexec_b32 s0, vcc_lo
	s_cbranch_execz .LBB202_67
.LBB202_84:
	ds_load_b32 v9, v8 offset:192
	s_wait_dscnt 0x0
	v_add_f32_e32 v4, v4, v9
	s_wait_alu 0xfffe
	s_or_b32 exec_lo, exec_lo, s0
	s_and_saveexec_b32 s0, vcc_lo
	s_cbranch_execz .LBB202_68
.LBB202_85:
	ds_load_b32 v9, v8 offset:256
	s_wait_dscnt 0x0
	v_add_f32_e32 v5, v5, v9
	s_wait_alu 0xfffe
	s_or_b32 exec_lo, exec_lo, s0
	s_and_saveexec_b32 s0, vcc_lo
	s_cbranch_execz .LBB202_69
.LBB202_86:
	ds_load_b32 v9, v8 offset:320
	s_wait_dscnt 0x0
	v_add_f32_e32 v6, v6, v9
	s_wait_alu 0xfffe
	s_or_b32 exec_lo, exec_lo, s0
	s_and_saveexec_b32 s0, vcc_lo
	s_cbranch_execnz .LBB202_70
	s_branch .LBB202_71
	.section	.rodata,"a",@progbits
	.p2align	6, 0x0
	.amdhsa_kernel _ZN4vllm25paged_attention_v2_kernelIfhLi112ELi8ELi128ELNS_18Fp8KVCacheDataTypeE1ELb0ELi512EEEvPfS2_PT_PKS3_PKT0_S9_ifPKiSB_iPKfiiiSD_SD_iiiii
		.amdhsa_group_segment_fixed_size 480
		.amdhsa_private_segment_fixed_size 0
		.amdhsa_kernarg_size 400
		.amdhsa_user_sgpr_count 2
		.amdhsa_user_sgpr_dispatch_ptr 0
		.amdhsa_user_sgpr_queue_ptr 0
		.amdhsa_user_sgpr_kernarg_segment_ptr 1
		.amdhsa_user_sgpr_dispatch_id 0
		.amdhsa_user_sgpr_private_segment_size 0
		.amdhsa_wavefront_size32 1
		.amdhsa_uses_dynamic_stack 0
		.amdhsa_enable_private_segment 0
		.amdhsa_system_sgpr_workgroup_id_x 1
		.amdhsa_system_sgpr_workgroup_id_y 1
		.amdhsa_system_sgpr_workgroup_id_z 1
		.amdhsa_system_sgpr_workgroup_info 0
		.amdhsa_system_vgpr_workitem_id 0
		.amdhsa_next_free_vgpr 75
		.amdhsa_next_free_sgpr 38
		.amdhsa_reserve_vcc 1
		.amdhsa_float_round_mode_32 0
		.amdhsa_float_round_mode_16_64 0
		.amdhsa_float_denorm_mode_32 3
		.amdhsa_float_denorm_mode_16_64 3
		.amdhsa_fp16_overflow 0
		.amdhsa_workgroup_processor_mode 1
		.amdhsa_memory_ordered 1
		.amdhsa_forward_progress 1
		.amdhsa_inst_pref_size 49
		.amdhsa_round_robin_scheduling 0
		.amdhsa_exception_fp_ieee_invalid_op 0
		.amdhsa_exception_fp_denorm_src 0
		.amdhsa_exception_fp_ieee_div_zero 0
		.amdhsa_exception_fp_ieee_overflow 0
		.amdhsa_exception_fp_ieee_underflow 0
		.amdhsa_exception_fp_ieee_inexact 0
		.amdhsa_exception_int_div_zero 0
	.end_amdhsa_kernel
	.section	.text._ZN4vllm25paged_attention_v2_kernelIfhLi112ELi8ELi128ELNS_18Fp8KVCacheDataTypeE1ELb0ELi512EEEvPfS2_PT_PKS3_PKT0_S9_ifPKiSB_iPKfiiiSD_SD_iiiii,"axG",@progbits,_ZN4vllm25paged_attention_v2_kernelIfhLi112ELi8ELi128ELNS_18Fp8KVCacheDataTypeE1ELb0ELi512EEEvPfS2_PT_PKS3_PKT0_S9_ifPKiSB_iPKfiiiSD_SD_iiiii,comdat
.Lfunc_end202:
	.size	_ZN4vllm25paged_attention_v2_kernelIfhLi112ELi8ELi128ELNS_18Fp8KVCacheDataTypeE1ELb0ELi512EEEvPfS2_PT_PKS3_PKT0_S9_ifPKiSB_iPKfiiiSD_SD_iiiii, .Lfunc_end202-_ZN4vllm25paged_attention_v2_kernelIfhLi112ELi8ELi128ELNS_18Fp8KVCacheDataTypeE1ELb0ELi512EEEvPfS2_PT_PKS3_PKT0_S9_ifPKiSB_iPKfiiiSD_SD_iiiii
                                        ; -- End function
	.set _ZN4vllm25paged_attention_v2_kernelIfhLi112ELi8ELi128ELNS_18Fp8KVCacheDataTypeE1ELb0ELi512EEEvPfS2_PT_PKS3_PKT0_S9_ifPKiSB_iPKfiiiSD_SD_iiiii.num_vgpr, 75
	.set _ZN4vllm25paged_attention_v2_kernelIfhLi112ELi8ELi128ELNS_18Fp8KVCacheDataTypeE1ELb0ELi512EEEvPfS2_PT_PKS3_PKT0_S9_ifPKiSB_iPKfiiiSD_SD_iiiii.num_agpr, 0
	.set _ZN4vllm25paged_attention_v2_kernelIfhLi112ELi8ELi128ELNS_18Fp8KVCacheDataTypeE1ELb0ELi512EEEvPfS2_PT_PKS3_PKT0_S9_ifPKiSB_iPKfiiiSD_SD_iiiii.numbered_sgpr, 38
	.set _ZN4vllm25paged_attention_v2_kernelIfhLi112ELi8ELi128ELNS_18Fp8KVCacheDataTypeE1ELb0ELi512EEEvPfS2_PT_PKS3_PKT0_S9_ifPKiSB_iPKfiiiSD_SD_iiiii.num_named_barrier, 0
	.set _ZN4vllm25paged_attention_v2_kernelIfhLi112ELi8ELi128ELNS_18Fp8KVCacheDataTypeE1ELb0ELi512EEEvPfS2_PT_PKS3_PKT0_S9_ifPKiSB_iPKfiiiSD_SD_iiiii.private_seg_size, 0
	.set _ZN4vllm25paged_attention_v2_kernelIfhLi112ELi8ELi128ELNS_18Fp8KVCacheDataTypeE1ELb0ELi512EEEvPfS2_PT_PKS3_PKT0_S9_ifPKiSB_iPKfiiiSD_SD_iiiii.uses_vcc, 1
	.set _ZN4vllm25paged_attention_v2_kernelIfhLi112ELi8ELi128ELNS_18Fp8KVCacheDataTypeE1ELb0ELi512EEEvPfS2_PT_PKS3_PKT0_S9_ifPKiSB_iPKfiiiSD_SD_iiiii.uses_flat_scratch, 0
	.set _ZN4vllm25paged_attention_v2_kernelIfhLi112ELi8ELi128ELNS_18Fp8KVCacheDataTypeE1ELb0ELi512EEEvPfS2_PT_PKS3_PKT0_S9_ifPKiSB_iPKfiiiSD_SD_iiiii.has_dyn_sized_stack, 0
	.set _ZN4vllm25paged_attention_v2_kernelIfhLi112ELi8ELi128ELNS_18Fp8KVCacheDataTypeE1ELb0ELi512EEEvPfS2_PT_PKS3_PKT0_S9_ifPKiSB_iPKfiiiSD_SD_iiiii.has_recursion, 0
	.set _ZN4vllm25paged_attention_v2_kernelIfhLi112ELi8ELi128ELNS_18Fp8KVCacheDataTypeE1ELb0ELi512EEEvPfS2_PT_PKS3_PKT0_S9_ifPKiSB_iPKfiiiSD_SD_iiiii.has_indirect_call, 0
	.section	.AMDGPU.csdata,"",@progbits
; Kernel info:
; codeLenInByte = 6196
; TotalNumSgprs: 40
; NumVgprs: 75
; ScratchSize: 0
; MemoryBound: 0
; FloatMode: 240
; IeeeMode: 1
; LDSByteSize: 480 bytes/workgroup (compile time only)
; SGPRBlocks: 0
; VGPRBlocks: 9
; NumSGPRsForWavesPerEU: 40
; NumVGPRsForWavesPerEU: 75
; Occupancy: 16
; WaveLimiterHint : 1
; COMPUTE_PGM_RSRC2:SCRATCH_EN: 0
; COMPUTE_PGM_RSRC2:USER_SGPR: 2
; COMPUTE_PGM_RSRC2:TRAP_HANDLER: 0
; COMPUTE_PGM_RSRC2:TGID_X_EN: 1
; COMPUTE_PGM_RSRC2:TGID_Y_EN: 1
; COMPUTE_PGM_RSRC2:TGID_Z_EN: 1
; COMPUTE_PGM_RSRC2:TIDIG_COMP_CNT: 0
	.section	.text._ZN4vllm25paged_attention_v2_kernelIfhLi120ELi8ELi128ELNS_18Fp8KVCacheDataTypeE1ELb0ELi512EEEvPfS2_PT_PKS3_PKT0_S9_ifPKiSB_iPKfiiiSD_SD_iiiii,"axG",@progbits,_ZN4vllm25paged_attention_v2_kernelIfhLi120ELi8ELi128ELNS_18Fp8KVCacheDataTypeE1ELb0ELi512EEEvPfS2_PT_PKS3_PKT0_S9_ifPKiSB_iPKfiiiSD_SD_iiiii,comdat
	.protected	_ZN4vllm25paged_attention_v2_kernelIfhLi120ELi8ELi128ELNS_18Fp8KVCacheDataTypeE1ELb0ELi512EEEvPfS2_PT_PKS3_PKT0_S9_ifPKiSB_iPKfiiiSD_SD_iiiii ; -- Begin function _ZN4vllm25paged_attention_v2_kernelIfhLi120ELi8ELi128ELNS_18Fp8KVCacheDataTypeE1ELb0ELi512EEEvPfS2_PT_PKS3_PKT0_S9_ifPKiSB_iPKfiiiSD_SD_iiiii
	.globl	_ZN4vllm25paged_attention_v2_kernelIfhLi120ELi8ELi128ELNS_18Fp8KVCacheDataTypeE1ELb0ELi512EEEvPfS2_PT_PKS3_PKT0_S9_ifPKiSB_iPKfiiiSD_SD_iiiii
	.p2align	8
	.type	_ZN4vllm25paged_attention_v2_kernelIfhLi120ELi8ELi128ELNS_18Fp8KVCacheDataTypeE1ELb0ELi512EEEvPfS2_PT_PKS3_PKT0_S9_ifPKiSB_iPKfiiiSD_SD_iiiii,@function
_ZN4vllm25paged_attention_v2_kernelIfhLi120ELi8ELi128ELNS_18Fp8KVCacheDataTypeE1ELb0ELi512EEEvPfS2_PT_PKS3_PKT0_S9_ifPKiSB_iPKfiiiSD_SD_iiiii: ; @_ZN4vllm25paged_attention_v2_kernelIfhLi120ELi8ELi128ELNS_18Fp8KVCacheDataTypeE1ELb0ELi512EEEvPfS2_PT_PKS3_PKT0_S9_ifPKiSB_iPKfiiiSD_SD_iiiii
; %bb.0:
	s_load_b64 s[2:3], s[0:1], 0x40
	s_and_b32 s15, ttmp7, 0xffff
	s_lshr_b32 s26, ttmp7, 16
	s_lshl_b32 s4, s15, 2
	s_lshl_b32 s28, s26, 9
	s_wait_kmcnt 0x0
	s_load_b32 s27, s[2:3], s4 offset:0x0
	s_wait_kmcnt 0x0
	s_cmp_ge_i32 s28, s27
	s_cbranch_scc1 .LBB203_93
; %bb.1:
	s_clause 0x1
	s_load_b32 s30, s[0:1], 0x90
	s_load_b64 s[8:9], s[0:1], 0x30
	s_wait_kmcnt 0x0
	s_abs_i32 s5, s30
	s_abs_i32 s2, s8
	s_delay_alu instid0(SALU_CYCLE_1) | instskip(SKIP_1) | instid1(SALU_CYCLE_2)
	s_cvt_f32_u32 s3, s2
	s_sub_co_i32 s4, 0, s2
	v_rcp_iflag_f32_e32 v1, s3
	s_delay_alu instid0(TRANS32_DEP_1) | instskip(SKIP_2) | instid1(SALU_CYCLE_2)
	v_readfirstlane_b32 s3, v1
	s_mul_f32 s3, s3, 0x4f7ffffe
	s_wait_alu 0xfffe
	s_cvt_u32_f32 s3, s3
	s_wait_alu 0xfffe
	s_delay_alu instid0(SALU_CYCLE_2) | instskip(NEXT) | instid1(SALU_CYCLE_1)
	s_mul_i32 s4, s4, s3
	s_mul_hi_u32 s4, s3, s4
	s_delay_alu instid0(SALU_CYCLE_1)
	s_add_co_i32 s3, s3, s4
	s_xor_b32 s4, s30, s8
	s_wait_alu 0xfffe
	s_mul_hi_u32 s3, s5, s3
	s_ashr_i32 s4, s4, 31
	s_wait_alu 0xfffe
	s_mul_i32 s6, s3, s2
	s_delay_alu instid0(SALU_CYCLE_1)
	s_sub_co_i32 s5, s5, s6
	s_add_co_i32 s6, s3, 1
	s_sub_co_i32 s7, s5, s2
	s_cmp_ge_u32 s5, s2
	s_cselect_b32 s3, s6, s3
	s_cselect_b32 s5, s7, s5
	s_wait_alu 0xfffe
	s_add_co_i32 s6, s3, 1
	s_cmp_ge_u32 s5, s2
	s_cselect_b32 s2, s6, s3
	s_load_b64 s[6:7], s[0:1], 0x50
	s_xor_b32 s2, s2, s4
	s_mov_b32 s3, 0
	s_wait_alu 0xfffe
	s_sub_co_i32 s11, s2, s4
	s_mov_b32 s8, s3
	s_abs_i32 s10, s11
	s_delay_alu instid0(SALU_CYCLE_1) | instskip(SKIP_1) | instid1(SALU_CYCLE_2)
	s_cvt_f32_u32 s2, s10
	s_wait_alu 0xfffe
	v_rcp_iflag_f32_e32 v1, s2
	s_delay_alu instid0(TRANS32_DEP_1) | instskip(SKIP_2) | instid1(SALU_CYCLE_2)
	v_readfirstlane_b32 s2, v1
	s_mul_f32 s2, s2, 0x4f7ffffe
	s_wait_alu 0xfffe
	s_cvt_u32_f32 s4, s2
	s_sub_co_i32 s2, 0, s10
	s_wait_alu 0xfffe
	s_delay_alu instid0(SALU_CYCLE_1)
	s_mul_i32 s2, s2, s4
	s_wait_alu 0xfffe
	s_mul_hi_u32 s5, s4, s2
	s_abs_i32 s2, ttmp9
	s_add_co_i32 s4, s4, s5
	s_mov_b32 s5, s3
	s_wait_kmcnt 0x0
	s_cmp_eq_u64 s[6:7], 0
	s_cbranch_scc1 .LBB203_3
; %bb.2:
	s_mov_b32 s12, ttmp9
	s_ashr_i32 s13, ttmp9, 31
	s_delay_alu instid0(SALU_CYCLE_1) | instskip(NEXT) | instid1(SALU_CYCLE_1)
	s_lshl_b64 s[12:13], s[12:13], 2
	s_add_nc_u64 s[6:7], s[6:7], s[12:13]
	s_load_b32 s8, s[6:7], 0x0
.LBB203_3:
	s_load_b96 s[12:14], s[0:1], 0x58
	v_and_b32_e32 v31, 3, v0
	v_lshlrev_b32_e32 v37, 2, v0
	s_mul_u64 s[4:5], s[2:3], s[4:5]
	s_ashr_i32 s3, ttmp9, 31
	s_ashr_i32 s4, s11, 31
	s_mul_i32 s16, ttmp9, 0x78
	s_mov_b32 s6, exec_lo
	v_cmpx_gt_u32_e32 0x78, v0
	s_cbranch_execz .LBB203_5
; %bb.4:
	s_load_b64 s[18:19], s[0:1], 0x18
	s_wait_kmcnt 0x0
	s_mul_i32 s20, s12, s15
	s_ashr_i32 s17, s16, 31
	s_ashr_i32 s21, s20, 31
	v_and_b32_e32 v2, 0x3fc, v0
	s_lshl_b64 s[20:21], s[20:21], 2
	s_delay_alu instid0(VALU_DEP_1) | instskip(SKIP_2) | instid1(SALU_CYCLE_1)
	v_mad_u32_u24 v2, 0x78, v31, v2
	s_add_nc_u64 s[18:19], s[18:19], s[20:21]
	s_lshl_b64 s[20:21], s[16:17], 2
	s_add_nc_u64 s[18:19], s[18:19], s[20:21]
	global_load_b32 v1, v37, s[18:19]
	s_wait_loadcnt 0x0
	ds_store_b32 v2, v1
.LBB203_5:
	s_or_b32 exec_lo, exec_lo, s6
	s_add_co_i32 s6, s27, 7
	s_wait_alu 0xfffe
	s_xor_b32 s3, s3, s4
	s_ashr_i32 s7, s6, 31
	s_lshl_b32 s31, s26, 6
	s_lshr_b32 s4, s7, 29
	s_mul_i32 s7, s5, s10
	s_add_co_i32 s6, s6, s4
	s_add_co_i32 s4, s31, 64
	s_ashr_i32 s29, s6, 3
	s_sub_co_i32 s2, s2, s7
	s_min_i32 s17, s4, s29
	s_load_b32 s4, s[0:1], 0x48
	s_add_co_i32 s6, s5, 1
	s_sub_co_i32 s7, s2, s10
	s_cmp_ge_u32 s2, s10
	v_lshrrev_b32_e32 v35, 5, v0
	s_cselect_b32 s5, s6, s5
	s_cselect_b32 s2, s7, s2
	s_add_co_i32 s6, s5, 1
	s_wait_alu 0xfffe
	s_cmp_ge_u32 s2, s10
	v_or_b32_e32 v36, s31, v35
	s_cselect_b32 s2, s6, s5
	v_mbcnt_lo_u32_b32 v39, -1, 0
	s_wait_alu 0xfffe
	s_xor_b32 s2, s2, s3
	s_wait_dscnt 0x0
	s_wait_alu 0xfffe
	s_sub_co_i32 s3, s2, s3
	v_cmp_le_i32_e64 s2, s17, v36
	s_barrier_signal -1
	s_barrier_wait -1
	global_inv scope:SCOPE_SE
                                        ; implicit-def: $vgpr40
                                        ; implicit-def: $vgpr41
	s_wait_kmcnt 0x0
	s_mul_i32 s18, s4, s15
	s_delay_alu instid0(SALU_CYCLE_1) | instskip(SKIP_1) | instid1(SALU_CYCLE_1)
	s_ashr_i32 s19, s18, 31
	s_and_saveexec_b32 s4, s2
	s_xor_b32 s4, exec_lo, s4
; %bb.6:
	v_dual_mov_b32 v40, 0 :: v_dual_mov_b32 v41, 32
	v_mbcnt_lo_u32_b32 v39, -1, 0
                                        ; implicit-def: $vgpr31
; %bb.7:
	s_or_saveexec_b32 s10, s4
	s_clause 0x2
	s_load_b32 s12, s[0:1], 0x98
	s_load_b64 s[20:21], s[0:1], 0x38
	s_load_b128 s[4:7], s[0:1], 0x68
	v_mov_b32_e32 v42, 0xff7fffff
	v_lshlrev_b32_e32 v38, 2, v36
	s_mul_i32 s22, s3, s14
	s_xor_b32 exec_lo, exec_lo, s10
	s_cbranch_execz .LBB203_13
; %bb.8:
	s_load_b64 s[24:25], s[0:1], 0x20
	v_xor_b32_e32 v25, 2, v39
	v_bfe_u32 v33, v0, 2, 3
	v_xor_b32_e32 v26, 1, v39
	v_mul_u32_u24_e32 v29, 0x78, v31
	v_mov_b32_e32 v40, 0
	v_cmp_gt_i32_e32 vcc_lo, 32, v25
	v_lshlrev_b32_e32 v27, 4, v33
	s_ashr_i32 s23, s22, 31
	ds_load_2addr_b64 v[1:4], v29 offset1:1
	ds_load_2addr_b64 v[5:8], v29 offset0:2 offset1:3
	ds_load_2addr_b64 v[9:12], v29 offset0:4 offset1:5
	;; [unrolled: 1-line block ×5, first 2 shown]
	v_dual_mov_b32 v41, 32 :: v_dual_cndmask_b32 v32, v39, v25
	v_cmp_gt_i32_e32 vcc_lo, 32, v26
	s_cmp_neq_f32 s8, 0
	s_mov_b32 s14, 0
	v_mov_b32_e32 v47, v36
	s_wait_alu 0xfffd
	v_dual_cndmask_b32 v34, v39, v26 :: v_dual_lshlrev_b32 v43, 2, v32
	v_lshlrev_b32_e32 v32, 2, v33
	v_cmp_eq_u32_e32 vcc_lo, 0, v31
	s_wait_kmcnt 0x0
	s_add_nc_u64 s[24:25], s[24:25], s[22:23]
	s_mov_b32 s23, s13
	v_add_co_u32 v42, s3, s24, v27
	ds_load_2addr_b64 v[25:28], v29 offset0:12 offset1:13
	ds_load_b64 v[29:30], v29 offset:112
	s_load_b32 s11, s[4:5], 0x0
	v_add_co_ci_u32_e64 v45, null, s25, 0, s3
	v_add_co_u32 v31, s4, v42, v31
	v_lshlrev_b32_e32 v44, 2, v34
	v_lshlrev_b32_e32 v34, 3, v35
	s_cselect_b32 s3, -1, 0
	v_lshl_or_b32 v46, v35, 5, v32
	v_add_co_ci_u32_e64 v32, null, 0, v45, s4
	s_lshl_b64 s[4:5], s[18:19], 2
	v_add3_u32 v45, s28, v34, v33
	s_wait_alu 0xfffe
	s_add_nc_u64 s[4:5], s[20:21], s[4:5]
	v_add_nc_u32_e32 v46, 0x200, v46
	s_wait_alu 0xfffe
	v_add_co_u32 v33, s4, s4, v38
	s_wait_alu 0xf1ff
	v_add_co_ci_u32_e64 v34, null, s5, 0, s4
	v_mov_b32_e32 v42, 0xff7fffff
	s_sub_co_i32 s24, 1, s27
	s_branch .LBB203_10
.LBB203_9:                              ;   in Loop: Header=BB203_10 Depth=1
	s_wait_alu 0xfffe
	s_or_b32 exec_lo, exec_lo, s5
	v_add_nc_u32_e32 v47, 4, v47
	v_add_co_u32 v33, s5, v33, 16
	v_add_nc_u32_e32 v45, 32, v45
	v_add_nc_u32_e32 v46, 0x80, v46
	s_delay_alu instid0(VALU_DEP_4) | instskip(SKIP_3) | instid1(SALU_CYCLE_1)
	v_cmp_le_i32_e64 s4, s17, v47
	s_wait_alu 0xf1ff
	v_add_co_ci_u32_e64 v34, null, 0, v34, s5
	s_or_b32 s14, s4, s14
	s_and_not1_b32 exec_lo, exec_lo, s14
	s_cbranch_execz .LBB203_12
.LBB203_10:                             ; =>This Inner Loop Header: Depth=1
	global_load_b32 v48, v[33:34], off
	s_wait_loadcnt_dscnt 0x0
	v_mad_co_i64_i32 v[48:49], null, v48, s23, v[31:32]
	s_clause 0x1d
	global_load_u8 v50, v[48:49], off offset:4
	global_load_u8 v51, v[48:49], off
	global_load_u8 v52, v[48:49], off offset:8
	global_load_u8 v53, v[48:49], off offset:12
	;; [unrolled: 1-line block ×28, first 2 shown]
	s_wait_loadcnt 0x1d
	v_cvt_f32_fp8_e32 v49, v50
	s_wait_loadcnt 0x1c
	v_cvt_f32_fp8_e32 v50, v51
	;; [unrolled: 2-line block ×4, first 2 shown]
	s_wait_kmcnt 0x0
	v_dual_mul_f32 v49, s11, v49 :: v_dual_mul_f32 v50, s11, v50
	s_wait_dscnt 0x7
	s_delay_alu instid0(VALU_DEP_1) | instskip(NEXT) | instid1(VALU_DEP_1)
	v_dual_mul_f32 v52, s11, v52 :: v_dual_mul_f32 v49, v2, v49
	v_fmac_f32_e32 v49, v1, v50
	s_wait_loadcnt 0x19
	v_cvt_f32_fp8_e32 v50, v54
	s_delay_alu instid0(VALU_DEP_1) | instskip(NEXT) | instid1(VALU_DEP_1)
	v_dual_mul_f32 v51, s11, v51 :: v_dual_mul_f32 v50, s11, v50
	v_fmac_f32_e32 v49, v3, v51
	s_wait_loadcnt 0x18
	v_cvt_f32_fp8_e32 v51, v55
	s_delay_alu instid0(VALU_DEP_2) | instskip(SKIP_2) | instid1(VALU_DEP_3)
	v_fmac_f32_e32 v49, v4, v52
	s_wait_loadcnt 0x17
	v_cvt_f32_fp8_e32 v52, v56
	v_mul_f32_e32 v51, s11, v51
	s_wait_loadcnt 0x0
	v_cvt_f32_fp8_e32 v48, v48
	s_wait_dscnt 0x6
	v_dual_fmac_f32 v49, v5, v50 :: v_dual_mul_f32 v50, s11, v52
	v_cvt_f32_fp8_e32 v52, v57
	s_delay_alu instid0(VALU_DEP_2) | instskip(SKIP_1) | instid1(VALU_DEP_2)
	v_dual_mul_f32 v48, s11, v48 :: v_dual_fmac_f32 v49, v6, v51
	v_cvt_f32_fp8_e32 v51, v58
	v_dual_mul_f32 v52, s11, v52 :: v_dual_fmac_f32 v49, v7, v50
	s_delay_alu instid0(VALU_DEP_2) | instskip(SKIP_1) | instid1(VALU_DEP_3)
	v_mul_f32_e32 v50, s11, v51
	v_cvt_f32_fp8_e32 v51, v59
	v_fmac_f32_e32 v49, v8, v52
	v_cvt_f32_fp8_e32 v52, v60
	s_delay_alu instid0(VALU_DEP_3) | instskip(SKIP_1) | instid1(VALU_DEP_2)
	v_mul_f32_e32 v51, s11, v51
	s_wait_dscnt 0x5
	v_dual_fmac_f32 v49, v9, v50 :: v_dual_mul_f32 v50, s11, v52
	v_cvt_f32_fp8_e32 v52, v61
	s_delay_alu instid0(VALU_DEP_2) | instskip(SKIP_1) | instid1(VALU_DEP_2)
	v_fmac_f32_e32 v49, v10, v51
	v_cvt_f32_fp8_e32 v51, v62
	v_dual_mul_f32 v52, s11, v52 :: v_dual_fmac_f32 v49, v11, v50
	s_delay_alu instid0(VALU_DEP_2) | instskip(SKIP_1) | instid1(VALU_DEP_3)
	v_mul_f32_e32 v50, s11, v51
	v_cvt_f32_fp8_e32 v51, v63
	v_fmac_f32_e32 v49, v12, v52
	v_cvt_f32_fp8_e32 v52, v64
	s_delay_alu instid0(VALU_DEP_3) | instskip(SKIP_1) | instid1(VALU_DEP_2)
	v_mul_f32_e32 v51, s11, v51
	s_wait_dscnt 0x4
	v_dual_fmac_f32 v49, v13, v50 :: v_dual_mul_f32 v50, s11, v52
	v_cvt_f32_fp8_e32 v52, v65
	s_delay_alu instid0(VALU_DEP_2) | instskip(SKIP_1) | instid1(VALU_DEP_2)
	v_fmac_f32_e32 v49, v14, v51
	;; [unrolled: 14-line block ×5, first 2 shown]
	v_cvt_f32_fp8_e32 v51, v78
	v_dual_mul_f32 v52, s11, v52 :: v_dual_fmac_f32 v49, v27, v50
	s_delay_alu instid0(VALU_DEP_1) | instskip(SKIP_1) | instid1(VALU_DEP_1)
	v_dual_mul_f32 v50, s11, v51 :: v_dual_fmac_f32 v49, v28, v52
	s_wait_dscnt 0x0
	v_fmac_f32_e32 v49, v29, v50
	s_delay_alu instid0(VALU_DEP_1)
	v_fmac_f32_e32 v49, v30, v48
	ds_bpermute_b32 v48, v43, v49
	s_wait_dscnt 0x0
	v_add_f32_e32 v48, v49, v48
	ds_bpermute_b32 v49, v44, v48
	s_and_saveexec_b32 s5, vcc_lo
	s_cbranch_execz .LBB203_9
; %bb.11:                               ;   in Loop: Header=BB203_10 Depth=1
	s_wait_dscnt 0x0
	v_add_f32_e32 v48, v48, v49
	s_wait_alu 0xfffe
	v_add_nc_u32_e32 v50, s24, v45
	v_cmp_gt_i32_e64 s4, s27, v45
	s_delay_alu instid0(VALU_DEP_2) | instskip(NEXT) | instid1(VALU_DEP_1)
	v_cvt_f32_i32_e32 v50, v50
	v_mul_f32_e32 v50, s8, v50
	s_delay_alu instid0(VALU_DEP_1) | instskip(NEXT) | instid1(VALU_DEP_1)
	v_cndmask_b32_e64 v49, 0, v50, s3
	v_dual_max_num_f32 v50, v42, v42 :: v_dual_fmac_f32 v49, s9, v48
	s_delay_alu instid0(VALU_DEP_1) | instskip(SKIP_2) | instid1(VALU_DEP_2)
	v_max_num_f32_e32 v48, v50, v49
	s_wait_alu 0xf1ff
	v_cndmask_b32_e64 v49, 0, v49, s4
	v_cndmask_b32_e64 v42, v42, v48, s4
	ds_store_b32 v46, v49
	s_branch .LBB203_9
.LBB203_12:
	s_or_b32 exec_lo, exec_lo, s14
.LBB203_13:
	s_delay_alu instid0(SALU_CYCLE_1)
	s_or_b32 exec_lo, exec_lo, s10
	v_xor_b32_e32 v1, 16, v39
	v_xor_b32_e32 v2, 8, v39
	s_load_b128 s[8:11], s[0:1], 0x0
	s_wait_kmcnt 0x0
	s_clause 0x1
	s_load_b64 s[4:5], s[0:1], 0x10
	s_load_b64 s[24:25], s[0:1], 0x28
	v_lshlrev_b32_e32 v6, 2, v35
	v_max_num_f32_e32 v4, v42, v42
	v_cmp_lt_i32_e32 vcc_lo, v1, v41
	s_wait_alu 0xfffd
	v_cndmask_b32_e32 v1, v39, v1, vcc_lo
	v_cmp_lt_i32_e32 vcc_lo, v2, v41
	s_wait_alu 0xfffd
	s_delay_alu instid0(VALU_DEP_2) | instskip(SKIP_3) | instid1(VALU_DEP_1)
	v_dual_cndmask_b32 v2, v39, v2 :: v_dual_lshlrev_b32 v3, 2, v1
	ds_bpermute_b32 v1, v3, v42
	s_wait_dscnt 0x0
	v_max_num_f32_e32 v1, v1, v1
	v_max_num_f32_e32 v1, v4, v1
	v_xor_b32_e32 v4, 4, v39
	s_delay_alu instid0(VALU_DEP_1) | instskip(SKIP_2) | instid1(VALU_DEP_1)
	v_cmp_lt_i32_e32 vcc_lo, v4, v41
	s_wait_alu 0xfffd
	v_dual_cndmask_b32 v4, v39, v4 :: v_dual_lshlrev_b32 v5, 2, v2
	v_lshlrev_b32_e32 v8, 2, v4
	ds_bpermute_b32 v2, v5, v1
	s_wait_dscnt 0x0
	v_max_num_f32_e32 v2, v2, v2
	s_delay_alu instid0(VALU_DEP_1)
	v_dual_max_num_f32 v2, v1, v2 :: v_dual_and_b32 v1, 31, v0
	ds_bpermute_b32 v4, v8, v2
	v_cmp_eq_u32_e32 vcc_lo, 0, v1
	s_and_saveexec_b32 s0, vcc_lo
	s_cbranch_execz .LBB203_15
; %bb.14:
	s_wait_dscnt 0x0
	v_max_num_f32_e32 v4, v4, v4
	v_max_num_f32_e32 v2, v2, v2
	s_delay_alu instid0(VALU_DEP_1)
	v_max_num_f32_e32 v2, v2, v4
	ds_store_b32 v6, v2 offset:480
.LBB203_15:
	s_or_b32 exec_lo, exec_lo, s0
	v_cmp_gt_u32_e64 s0, 4, v1
	v_dual_mov_b32 v2, 0xff7fffff :: v_dual_lshlrev_b32 v7, 2, v1
	s_wait_loadcnt_dscnt 0x0
	s_barrier_signal -1
	s_barrier_wait -1
	global_inv scope:SCOPE_SE
	s_and_saveexec_b32 s1, s0
; %bb.16:
	ds_load_b32 v2, v7 offset:480
; %bb.17:
	s_or_b32 exec_lo, exec_lo, s1
	v_xor_b32_e32 v4, 2, v39
	v_xor_b32_e32 v10, 1, v39
	s_delay_alu instid0(VALU_DEP_2) | instskip(NEXT) | instid1(VALU_DEP_1)
	v_cmp_lt_i32_e64 s1, v4, v41
	v_cndmask_b32_e64 v4, v39, v4, s1
	s_delay_alu instid0(VALU_DEP_3) | instskip(NEXT) | instid1(VALU_DEP_2)
	v_cmp_lt_i32_e64 s1, v10, v41
	v_lshlrev_b32_e32 v9, 2, v4
	s_wait_alu 0xf1ff
	s_delay_alu instid0(VALU_DEP_2)
	v_cndmask_b32_e64 v10, v39, v10, s1
	s_sub_co_i32 s1, s17, s31
	s_wait_alu 0xfffe
	s_lshl_b32 s1, s1, 3
	s_wait_dscnt 0x0
	ds_bpermute_b32 v4, v9, v2
	v_max_num_f32_e32 v2, v2, v2
	v_lshlrev_b32_e32 v12, 2, v10
	s_wait_alu 0xfffe
	s_add_co_i32 s1, s1, s28
	v_mov_b32_e32 v10, 0
	s_wait_alu 0xfffe
	s_min_i32 s1, s1, s27
	s_wait_alu 0xfffe
	s_sub_co_i32 s14, s1, s28
	s_delay_alu instid0(SALU_CYCLE_1) | instskip(SKIP_2) | instid1(VALU_DEP_1)
	v_cmp_gt_i32_e64 s1, s14, v0
	s_wait_dscnt 0x0
	v_max_num_f32_e32 v4, v4, v4
	v_max_num_f32_e32 v2, v2, v4
	ds_bpermute_b32 v4, v12, v2
	s_wait_dscnt 0x0
	v_max_num_f32_e32 v4, v4, v4
	s_delay_alu instid0(VALU_DEP_1)
	v_max_num_f32_e32 v2, v2, v4
	v_lshlrev_b32_e32 v4, 2, v40
	ds_bpermute_b32 v2, v4, v2
	v_lshl_add_u32 v4, v0, 2, 0x200
	s_and_saveexec_b32 s23, s1
	s_cbranch_execz .LBB203_21
; %bb.18:
	v_lshl_add_u32 v11, v0, 2, 0x200
	v_dual_mov_b32 v10, 0 :: v_dual_mov_b32 v13, v0
	s_mov_b32 s31, 0
.LBB203_19:                             ; =>This Inner Loop Header: Depth=1
	ds_load_b32 v14, v11
	v_add_nc_u32_e32 v13, 0x80, v13
	s_delay_alu instid0(VALU_DEP_1) | instskip(SKIP_4) | instid1(VALU_DEP_1)
	v_cmp_le_i32_e64 s3, s14, v13
	s_wait_alu 0xfffe
	s_or_b32 s31, s3, s31
	s_wait_dscnt 0x0
	v_sub_f32_e32 v14, v14, v2
	v_mul_f32_e32 v14, 0x3fb8aa3b, v14
	s_delay_alu instid0(VALU_DEP_1)
	v_exp_f32_e32 v14, v14
	ds_store_b32 v11, v14
	v_dual_add_f32 v10, v10, v14 :: v_dual_add_nc_u32 v11, 0x200, v11
	s_wait_alu 0xfffe
	s_and_not1_b32 exec_lo, exec_lo, s31
	s_cbranch_execnz .LBB203_19
; %bb.20:
	s_or_b32 exec_lo, exec_lo, s31
.LBB203_21:
	s_wait_alu 0xfffe
	s_or_b32 exec_lo, exec_lo, s23
	ds_bpermute_b32 v3, v3, v10
	s_wait_dscnt 0x0
	v_add_f32_e32 v3, v10, v3
	ds_bpermute_b32 v5, v5, v3
	s_wait_dscnt 0x0
	v_add_f32_e32 v3, v3, v5
	;; [unrolled: 3-line block ×5, first 2 shown]
	s_and_saveexec_b32 s3, vcc_lo
; %bb.22:
	ds_store_b32 v6, v3 offset:496
; %bb.23:
	s_wait_alu 0xfffe
	s_or_b32 exec_lo, exec_lo, s3
	s_wait_loadcnt_dscnt 0x0
	s_barrier_signal -1
	s_barrier_wait -1
	global_inv scope:SCOPE_SE
	s_and_saveexec_b32 s3, s0
; %bb.24:
	ds_load_b32 v3, v7 offset:496
; %bb.25:
	s_wait_alu 0xfffe
	s_or_b32 exec_lo, exec_lo, s3
	s_wait_dscnt 0x0
	ds_bpermute_b32 v5, v9, v3
	s_wait_dscnt 0x0
	v_dual_add_f32 v3, v3, v5 :: v_dual_lshlrev_b32 v6, 2, v39
	ds_bpermute_b32 v5, v12, v3
	s_wait_dscnt 0x0
	v_add_f32_e32 v3, v3, v5
	v_and_b32_e32 v5, 0xffffff80, v6
	ds_bpermute_b32 v3, v5, v3
	s_and_saveexec_b32 s0, s1
	s_cbranch_execz .LBB203_28
; %bb.26:
	s_wait_dscnt 0x0
	v_add_f32_e32 v5, 0x358637bd, v3
	s_mov_b32 s1, 0
	s_delay_alu instid0(VALU_DEP_1) | instskip(SKIP_1) | instid1(VALU_DEP_2)
	v_div_scale_f32 v6, null, v5, v5, 1.0
	v_div_scale_f32 v9, vcc_lo, 1.0, v5, 1.0
	v_rcp_f32_e32 v7, v6
	s_delay_alu instid0(TRANS32_DEP_1) | instskip(NEXT) | instid1(VALU_DEP_1)
	v_fma_f32 v8, -v6, v7, 1.0
	v_fmac_f32_e32 v7, v8, v7
	s_delay_alu instid0(VALU_DEP_1) | instskip(NEXT) | instid1(VALU_DEP_1)
	v_mul_f32_e32 v8, v9, v7
	v_fma_f32 v10, -v6, v8, v9
	s_delay_alu instid0(VALU_DEP_1) | instskip(NEXT) | instid1(VALU_DEP_1)
	v_fmac_f32_e32 v8, v10, v7
	v_fma_f32 v6, -v6, v8, v9
	s_wait_alu 0xfffd
	s_delay_alu instid0(VALU_DEP_1) | instskip(NEXT) | instid1(VALU_DEP_1)
	v_div_fmas_f32 v6, v6, v7, v8
	v_div_fixup_f32 v5, v6, v5, 1.0
	v_mov_b32_e32 v6, v0
.LBB203_27:                             ; =>This Inner Loop Header: Depth=1
	ds_load_b32 v7, v4
	s_wait_dscnt 0x0
	v_dual_mul_f32 v7, v5, v7 :: v_dual_add_nc_u32 v6, 0x80, v6
	s_delay_alu instid0(VALU_DEP_1)
	v_cmp_le_i32_e32 vcc_lo, s14, v6
	ds_store_b32 v4, v7
	v_add_nc_u32_e32 v4, 0x200, v4
	s_wait_alu 0xfffe
	s_or_b32 s1, vcc_lo, s1
	s_wait_alu 0xfffe
	s_and_not1_b32 exec_lo, exec_lo, s1
	s_cbranch_execnz .LBB203_27
.LBB203_28:
	s_wait_alu 0xfffe
	s_or_b32 exec_lo, exec_lo, s0
	s_mul_i32 s0, s12, s15
	s_wait_loadcnt_dscnt 0x0
	s_wait_alu 0xfffe
	s_mul_i32 s14, s0, s30
	s_mov_b32 s0, exec_lo
	s_barrier_signal -1
	s_barrier_wait -1
	global_inv scope:SCOPE_SE
	v_cmpx_eq_u32_e32 0, v0
	s_cbranch_execz .LBB203_30
; %bb.29:
	s_wait_alu 0xfffe
	s_ashr_i32 s15, s14, 31
	s_mul_i32 s30, s12, ttmp9
	s_lshl_b32 s1, s26, 2
	s_wait_alu 0xfffe
	s_lshl_b64 s[34:35], s[14:15], 2
	s_ashr_i32 s31, s30, 31
	v_mov_b32_e32 v4, s1
	s_add_nc_u64 s[10:11], s[10:11], s[34:35]
	s_wait_alu 0xfffe
	s_lshl_b64 s[30:31], s[30:31], 2
	s_add_nc_u64 s[8:9], s[8:9], s[34:35]
	s_wait_alu 0xfffe
	s_add_nc_u64 s[10:11], s[10:11], s[30:31]
	s_add_nc_u64 s[8:9], s[8:9], s[30:31]
	s_clause 0x1
	global_store_b32 v4, v2, s[10:11]
	global_store_b32 v4, v3, s[8:9]
.LBB203_30:
	s_wait_alu 0xfffe
	s_or_b32 exec_lo, exec_lo, s0
	v_lshrrev_b32_e32 v11, 1, v1
	s_and_saveexec_b32 s0, s2
	s_wait_alu 0xfffe
	s_xor_b32 s0, exec_lo, s0
; %bb.31:
	v_lshrrev_b32_e32 v11, 1, v1
                                        ; implicit-def: $vgpr36
                                        ; implicit-def: $vgpr37
                                        ; implicit-def: $vgpr38
; %bb.32:
	s_wait_alu 0xfffe
	s_or_saveexec_b32 s8, s0
	v_dual_mov_b32 v19, 0 :: v_dual_mov_b32 v20, 0
	v_dual_mov_b32 v18, 0 :: v_dual_and_b32 v13, 1, v0
	v_dual_mov_b32 v21, 0 :: v_dual_mov_b32 v16, 0
	v_dual_mov_b32 v17, 0 :: v_dual_mov_b32 v14, 0
	v_mov_b32_e32 v15, 0
	s_wait_alu 0xfffe
	s_xor_b32 exec_lo, exec_lo, s8
	s_cbranch_execz .LBB203_54
; %bb.33:
	s_load_b32 s6, s[6:7], 0x0
	v_dual_mov_b32 v15, 0 :: v_dual_lshlrev_b32 v2, 4, v13
	s_lshl_b64 s[0:1], s[18:19], 2
	v_dual_mov_b32 v14, 0 :: v_dual_and_b32 v1, 4, v37
	v_or_b32_e32 v3, 0x70, v11
	v_lshl_add_u32 v4, v35, 3, s28
	v_lshl_or_b32 v2, v35, 5, v2
	s_wait_alu 0xfffe
	s_add_nc_u64 s[0:1], s[20:21], s[0:1]
	v_lshl_or_b32 v22, v11, 3, v1
	s_wait_alu 0xfffe
	v_add_co_u32 v5, s0, s0, v38
	v_lshl_or_b32 v23, v3, 3, v1
	v_add3_u32 v24, v4, v1, 3
	v_dual_mov_b32 v16, 0 :: v_dual_add_nc_u32 v25, 0x200, v2
	s_wait_alu 0xf1ff
	v_add_co_ci_u32_e64 v6, null, s1, 0, s0
	v_dual_mov_b32 v17, 0 :: v_dual_mov_b32 v18, 0
	v_dual_mov_b32 v20, 0 :: v_dual_mov_b32 v21, 0
	v_mov_b32_e32 v19, 0
	s_ashr_i32 s23, s22, 31
	s_mov_b32 s9, s13
	s_wait_kmcnt 0x0
	s_wait_alu 0xfffe
	s_add_nc_u64 s[2:3], s[24:25], s[22:23]
	s_add_co_i32 s29, s29, -1
	s_mov_b32 s10, s6
	s_mov_b32 s7, 0
	v_cmp_gt_u32_e32 vcc_lo, 0x78, v3
	s_branch .LBB203_36
.LBB203_34:                             ;   in Loop: Header=BB203_36 Depth=1
	s_wait_alu 0xfffe
	s_or_b32 exec_lo, exec_lo, s1
	s_wait_dscnt 0x0
	v_mul_f32_e32 v38, v1, v56
	s_delay_alu instid0(VALU_DEP_1) | instskip(NEXT) | instid1(VALU_DEP_1)
	v_fmac_f32_e32 v38, v2, v55
	v_fmac_f32_e32 v38, v3, v8
	s_delay_alu instid0(VALU_DEP_1) | instskip(NEXT) | instid1(VALU_DEP_1)
	v_fmac_f32_e32 v38, v4, v7
	v_add_f32_e32 v14, v14, v38
.LBB203_35:                             ;   in Loop: Header=BB203_36 Depth=1
	s_wait_alu 0xfffe
	s_or_b32 exec_lo, exec_lo, s11
	s_wait_dscnt 0x0
	v_mul_f32_e32 v8, v1, v52
	v_dual_mul_f32 v7, v1, v54 :: v_dual_add_nc_u32 v36, 4, v36
	v_add_co_u32 v5, s1, v5, 16
	s_delay_alu instid0(VALU_DEP_3) | instskip(NEXT) | instid1(VALU_DEP_3)
	v_fmac_f32_e32 v8, v2, v51
	v_dual_fmac_f32 v7, v2, v53 :: v_dual_mul_f32 v38, v1, v48
	v_mul_f32_e32 v33, v1, v33
	v_cmp_le_i32_e64 s0, s17, v36
	s_delay_alu instid0(VALU_DEP_4) | instskip(NEXT) | instid1(VALU_DEP_4)
	v_fmac_f32_e32 v8, v3, v50
	v_dual_fmac_f32 v7, v3, v10 :: v_dual_mul_f32 v44, v1, v44
	v_add_nc_u32_e32 v24, 32, v24
	s_wait_alu 0xf1ff
	v_add_co_ci_u32_e64 v6, null, 0, v6, s1
	s_delay_alu instid0(VALU_DEP_3) | instskip(SKIP_3) | instid1(VALU_DEP_4)
	v_dual_fmac_f32 v38, v2, v47 :: v_dual_fmac_f32 v7, v4, v9
	v_mul_f32_e32 v40, v1, v40
	v_mul_f32_e32 v1, v1, v29
	v_dual_fmac_f32 v8, v4, v49 :: v_dual_fmac_f32 v33, v2, v32
	v_fmac_f32_e32 v38, v3, v46
	v_add_f32_e32 v15, v15, v7
	s_delay_alu instid0(VALU_DEP_4) | instskip(NEXT) | instid1(VALU_DEP_4)
	v_fmac_f32_e32 v1, v2, v28
	v_dual_add_f32 v16, v16, v8 :: v_dual_fmac_f32 v33, v3, v31
	v_fmac_f32_e32 v40, v2, v39
	s_delay_alu instid0(VALU_DEP_3) | instskip(NEXT) | instid1(VALU_DEP_3)
	v_dual_fmac_f32 v38, v4, v45 :: v_dual_fmac_f32 v1, v3, v27
	v_dual_fmac_f32 v44, v2, v43 :: v_dual_fmac_f32 v33, v4, v30
	s_delay_alu instid0(VALU_DEP_2) | instskip(NEXT) | instid1(VALU_DEP_3)
	v_dual_fmac_f32 v40, v3, v37 :: v_dual_add_f32 v17, v17, v38
	v_fmac_f32_e32 v1, v4, v26
	s_delay_alu instid0(VALU_DEP_3) | instskip(NEXT) | instid1(VALU_DEP_3)
	v_dual_fmac_f32 v44, v3, v42 :: v_dual_add_f32 v21, v21, v33
	v_fmac_f32_e32 v40, v4, v34
	s_or_b32 s7, s0, s7
	s_delay_alu instid0(VALU_DEP_3) | instskip(NEXT) | instid1(VALU_DEP_3)
	v_add_f32_e32 v19, v19, v1
	v_fmac_f32_e32 v44, v4, v41
	s_delay_alu instid0(VALU_DEP_3) | instskip(NEXT) | instid1(VALU_DEP_2)
	v_dual_add_f32 v20, v20, v40 :: v_dual_add_nc_u32 v25, 0x80, v25
	v_add_f32_e32 v18, v18, v44
	s_wait_alu 0xfffe
	s_and_not1_b32 exec_lo, exec_lo, s7
	s_cbranch_execz .LBB203_53
.LBB203_36:                             ; =>This Inner Loop Header: Depth=1
	global_load_b32 v1, v[5:6], off
	s_wait_loadcnt 0x0
	s_wait_alu 0xfffe
	v_mad_co_i64_i32 v[7:8], null, v1, s9, s[2:3]
	ds_load_b128 v[1:4], v25
	v_add_co_u32 v9, s0, v7, v22
	s_wait_alu 0xf1ff
	v_add_co_ci_u32_e64 v10, null, 0, v8, s0
	v_cmp_eq_u32_e64 s0, s29, v36
	global_load_b32 v26, v[9:10], off
	s_wait_loadcnt 0x0
	v_lshrrev_b32_e32 v28, 16, v26
	s_delay_alu instid0(VALU_DEP_1) | instskip(SKIP_1) | instid1(VALU_DEP_1)
	v_cvt_pk_f32_fp8_e32 v[30:31], v28
	v_and_b32_e32 v27, 0xffff, v26
	v_cvt_pk_f32_fp8_e32 v[26:27], v27
	s_delay_alu instid0(VALU_DEP_1) | instskip(NEXT) | instid1(VALU_DEP_2)
	v_dual_mul_f32 v29, s6, v26 :: v_dual_add_nc_u32 v38, -3, v24
	v_dual_mul_f32 v28, s10, v27 :: v_dual_mul_f32 v27, s6, v30
	v_mul_f32_e32 v26, s10, v31
	s_and_saveexec_b32 s11, s0
	s_cbranch_execz .LBB203_38
; %bb.37:                               ;   in Loop: Header=BB203_36 Depth=1
	v_add_nc_u32_e32 v30, -2, v24
	v_cmp_gt_i32_e64 s1, s27, v38
	v_add_nc_u32_e32 v31, -1, v24
	s_wait_alu 0xf1ff
	s_delay_alu instid0(VALU_DEP_2) | instskip(SKIP_2) | instid1(VALU_DEP_1)
	v_cndmask_b32_e64 v29, 0, v29, s1
	v_cmp_gt_i32_e64 s1, s27, v30
	s_wait_alu 0xf1ff
	v_cndmask_b32_e64 v28, 0, v28, s1
	v_cmp_gt_i32_e64 s1, s27, v31
	s_wait_alu 0xf1ff
	s_delay_alu instid0(VALU_DEP_1) | instskip(SKIP_2) | instid1(VALU_DEP_1)
	v_cndmask_b32_e64 v27, 0, v27, s1
	v_cmp_gt_i32_e64 s1, s27, v24
	s_wait_alu 0xf1ff
	v_cndmask_b32_e64 v26, 0, v26, s1
.LBB203_38:                             ;   in Loop: Header=BB203_36 Depth=1
	s_wait_alu 0xfffe
	s_or_b32 exec_lo, exec_lo, s11
	global_load_b32 v30, v[9:10], off offset:128
	s_wait_loadcnt 0x0
	v_lshrrev_b32_e32 v32, 16, v30
	s_delay_alu instid0(VALU_DEP_1) | instskip(SKIP_1) | instid1(VALU_DEP_1)
	v_cvt_pk_f32_fp8_e32 v[39:40], v32
	v_and_b32_e32 v31, 0xffff, v30
	v_cvt_pk_f32_fp8_e32 v[30:31], v31
	s_delay_alu instid0(VALU_DEP_1) | instskip(NEXT) | instid1(VALU_DEP_4)
	v_dual_mul_f32 v33, s6, v30 :: v_dual_mul_f32 v32, s10, v31
	v_dual_mul_f32 v31, s6, v39 :: v_dual_mul_f32 v30, s10, v40
	s_and_saveexec_b32 s11, s0
	s_cbranch_execz .LBB203_40
; %bb.39:                               ;   in Loop: Header=BB203_36 Depth=1
	v_add_nc_u32_e32 v34, -2, v24
	v_cmp_gt_i32_e64 s1, s27, v38
	v_add_nc_u32_e32 v37, -1, v24
	s_wait_alu 0xf1ff
	s_delay_alu instid0(VALU_DEP_2) | instskip(SKIP_2) | instid1(VALU_DEP_1)
	v_cndmask_b32_e64 v33, 0, v33, s1
	v_cmp_gt_i32_e64 s1, s27, v34
	s_wait_alu 0xf1ff
	v_cndmask_b32_e64 v32, 0, v32, s1
	v_cmp_gt_i32_e64 s1, s27, v37
	s_wait_alu 0xf1ff
	s_delay_alu instid0(VALU_DEP_1) | instskip(SKIP_2) | instid1(VALU_DEP_1)
	v_cndmask_b32_e64 v31, 0, v31, s1
	v_cmp_gt_i32_e64 s1, s27, v24
	s_wait_alu 0xf1ff
	v_cndmask_b32_e64 v30, 0, v30, s1
.LBB203_40:                             ;   in Loop: Header=BB203_36 Depth=1
	s_wait_alu 0xfffe
	s_or_b32 exec_lo, exec_lo, s11
	global_load_b32 v34, v[9:10], off offset:256
	s_wait_loadcnt 0x0
	v_and_b32_e32 v37, 0xffff, v34
	v_lshrrev_b32_e32 v34, 16, v34
	s_delay_alu instid0(VALU_DEP_2) | instskip(NEXT) | instid1(VALU_DEP_2)
	v_cvt_pk_f32_fp8_e32 v[40:41], v37
	v_cvt_pk_f32_fp8_e32 v[42:43], v34
	s_delay_alu instid0(VALU_DEP_2) | instskip(NEXT) | instid1(VALU_DEP_2)
	v_dual_mul_f32 v40, s6, v40 :: v_dual_mul_f32 v39, s10, v41
	v_dual_mul_f32 v34, s10, v43 :: v_dual_mul_f32 v37, s6, v42
	s_and_saveexec_b32 s11, s0
	s_cbranch_execz .LBB203_42
; %bb.41:                               ;   in Loop: Header=BB203_36 Depth=1
	v_add_nc_u32_e32 v41, -2, v24
	v_cmp_gt_i32_e64 s1, s27, v38
	v_add_nc_u32_e32 v42, -1, v24
	s_wait_alu 0xf1ff
	s_delay_alu instid0(VALU_DEP_2) | instskip(SKIP_2) | instid1(VALU_DEP_1)
	v_cndmask_b32_e64 v40, 0, v40, s1
	v_cmp_gt_i32_e64 s1, s27, v41
	s_wait_alu 0xf1ff
	v_cndmask_b32_e64 v39, 0, v39, s1
	v_cmp_gt_i32_e64 s1, s27, v42
	s_wait_alu 0xf1ff
	s_delay_alu instid0(VALU_DEP_1) | instskip(SKIP_2) | instid1(VALU_DEP_1)
	v_cndmask_b32_e64 v37, 0, v37, s1
	v_cmp_gt_i32_e64 s1, s27, v24
	s_wait_alu 0xf1ff
	v_cndmask_b32_e64 v34, 0, v34, s1
.LBB203_42:                             ;   in Loop: Header=BB203_36 Depth=1
	s_wait_alu 0xfffe
	s_or_b32 exec_lo, exec_lo, s11
	global_load_b32 v41, v[9:10], off offset:384
	s_wait_loadcnt 0x0
	v_lshrrev_b32_e32 v43, 16, v41
	s_delay_alu instid0(VALU_DEP_1) | instskip(SKIP_1) | instid1(VALU_DEP_1)
	v_cvt_pk_f32_fp8_e32 v[45:46], v43
	v_and_b32_e32 v42, 0xffff, v41
	v_cvt_pk_f32_fp8_e32 v[41:42], v42
	s_delay_alu instid0(VALU_DEP_1) | instskip(NEXT) | instid1(VALU_DEP_4)
	v_dual_mul_f32 v44, s6, v41 :: v_dual_mul_f32 v43, s10, v42
	v_dual_mul_f32 v42, s6, v45 :: v_dual_mul_f32 v41, s10, v46
	s_and_saveexec_b32 s11, s0
	s_cbranch_execz .LBB203_44
; %bb.43:                               ;   in Loop: Header=BB203_36 Depth=1
	v_add_nc_u32_e32 v45, -2, v24
	v_cmp_gt_i32_e64 s1, s27, v38
	v_add_nc_u32_e32 v46, -1, v24
	s_wait_alu 0xf1ff
	s_delay_alu instid0(VALU_DEP_2) | instskip(SKIP_2) | instid1(VALU_DEP_1)
	v_cndmask_b32_e64 v44, 0, v44, s1
	v_cmp_gt_i32_e64 s1, s27, v45
	s_wait_alu 0xf1ff
	v_cndmask_b32_e64 v43, 0, v43, s1
	v_cmp_gt_i32_e64 s1, s27, v46
	s_wait_alu 0xf1ff
	s_delay_alu instid0(VALU_DEP_1) | instskip(SKIP_2) | instid1(VALU_DEP_1)
	v_cndmask_b32_e64 v42, 0, v42, s1
	v_cmp_gt_i32_e64 s1, s27, v24
	s_wait_alu 0xf1ff
	v_cndmask_b32_e64 v41, 0, v41, s1
.LBB203_44:                             ;   in Loop: Header=BB203_36 Depth=1
	s_wait_alu 0xfffe
	s_or_b32 exec_lo, exec_lo, s11
	global_load_b32 v45, v[9:10], off offset:512
	s_wait_loadcnt 0x0
	v_lshrrev_b32_e32 v47, 16, v45
	s_delay_alu instid0(VALU_DEP_1) | instskip(SKIP_1) | instid1(VALU_DEP_1)
	v_cvt_pk_f32_fp8_e32 v[49:50], v47
	v_and_b32_e32 v46, 0xffff, v45
	v_cvt_pk_f32_fp8_e32 v[45:46], v46
	s_delay_alu instid0(VALU_DEP_1) | instskip(NEXT) | instid1(VALU_DEP_4)
	;; [unrolled: 32-line block ×4, first 2 shown]
	v_dual_mul_f32 v54, s6, v9 :: v_dual_mul_f32 v53, s10, v10
	v_dual_mul_f32 v10, s6, v55 :: v_dual_mul_f32 v9, s10, v56
	s_and_saveexec_b32 s11, s0
	s_cbranch_execz .LBB203_50
; %bb.49:                               ;   in Loop: Header=BB203_36 Depth=1
	v_add_nc_u32_e32 v55, -2, v24
	v_cmp_gt_i32_e64 s1, s27, v38
	v_add_nc_u32_e32 v56, -1, v24
	s_wait_alu 0xf1ff
	s_delay_alu instid0(VALU_DEP_2) | instskip(SKIP_2) | instid1(VALU_DEP_1)
	v_cndmask_b32_e64 v54, 0, v54, s1
	v_cmp_gt_i32_e64 s1, s27, v55
	s_wait_alu 0xf1ff
	v_cndmask_b32_e64 v53, 0, v53, s1
	v_cmp_gt_i32_e64 s1, s27, v56
	s_wait_alu 0xf1ff
	s_delay_alu instid0(VALU_DEP_1) | instskip(SKIP_2) | instid1(VALU_DEP_1)
	v_cndmask_b32_e64 v10, 0, v10, s1
	v_cmp_gt_i32_e64 s1, s27, v24
	s_wait_alu 0xf1ff
	v_cndmask_b32_e64 v9, 0, v9, s1
.LBB203_50:                             ;   in Loop: Header=BB203_36 Depth=1
	s_wait_alu 0xfffe
	s_or_b32 exec_lo, exec_lo, s11
	s_and_saveexec_b32 s11, vcc_lo
	s_cbranch_execz .LBB203_35
; %bb.51:                               ;   in Loop: Header=BB203_36 Depth=1
	v_add_co_u32 v7, s1, v7, v23
	s_wait_alu 0xf1ff
	v_add_co_ci_u32_e64 v8, null, 0, v8, s1
	global_load_b32 v7, v[7:8], off
	s_wait_loadcnt 0x0
	v_lshrrev_b32_e32 v55, 16, v7
	s_delay_alu instid0(VALU_DEP_1) | instskip(SKIP_1) | instid1(VALU_DEP_1)
	v_cvt_pk_f32_fp8_e32 v[57:58], v55
	v_and_b32_e32 v8, 0xffff, v7
	v_cvt_pk_f32_fp8_e32 v[7:8], v8
	s_delay_alu instid0(VALU_DEP_1) | instskip(NEXT) | instid1(VALU_DEP_4)
	v_dual_mul_f32 v56, s6, v7 :: v_dual_mul_f32 v55, s10, v8
	v_dual_mul_f32 v8, s6, v57 :: v_dual_mul_f32 v7, s10, v58
	s_and_saveexec_b32 s1, s0
	s_cbranch_execz .LBB203_34
; %bb.52:                               ;   in Loop: Header=BB203_36 Depth=1
	v_add_nc_u32_e32 v57, -2, v24
	v_cmp_gt_i32_e64 s0, s27, v38
	v_add_nc_u32_e32 v58, -1, v24
	s_wait_alu 0xf1ff
	s_delay_alu instid0(VALU_DEP_2) | instskip(SKIP_2) | instid1(VALU_DEP_1)
	v_cndmask_b32_e64 v56, 0, v56, s0
	v_cmp_gt_i32_e64 s0, s27, v57
	s_wait_alu 0xf1ff
	v_cndmask_b32_e64 v55, 0, v55, s0
	v_cmp_gt_i32_e64 s0, s27, v58
	s_wait_alu 0xf1ff
	s_delay_alu instid0(VALU_DEP_1) | instskip(SKIP_2) | instid1(VALU_DEP_1)
	v_cndmask_b32_e64 v8, 0, v8, s0
	v_cmp_gt_i32_e64 s0, s27, v24
	s_wait_alu 0xf1ff
	v_cndmask_b32_e64 v7, 0, v7, s0
	s_branch .LBB203_34
.LBB203_53:
	s_or_b32 exec_lo, exec_lo, s7
.LBB203_54:
	s_delay_alu instid0(SALU_CYCLE_1)
	s_or_b32 exec_lo, exec_lo, s8
	ds_bpermute_b32 v1, v12, v19
	ds_bpermute_b32 v3, v12, v21
	;; [unrolled: 1-line block ×8, first 2 shown]
	s_movk_i32 s0, 0x1e0
	v_and_b32_e32 v12, 0x3c0, v0
	s_wait_alu 0xfffe
	v_mad_u32_u24 v9, v35, s0, 0x200
	s_mov_b32 s1, exec_lo
	v_cmp_eq_u32_e32 vcc_lo, 0, v13
	s_wait_storecnt 0x0
	s_wait_loadcnt_dscnt 0x0
	s_barrier_signal -1
	s_barrier_wait -1
	global_inv scope:SCOPE_SE
	v_dual_add_f32 v2, v19, v1 :: v_dual_add_f32 v3, v21, v3
	v_dual_add_f32 v4, v20, v4 :: v_dual_add_f32 v5, v18, v5
	;; [unrolled: 1-line block ×4, first 2 shown]
	v_cmpx_eq_u32_e32 64, v12
	s_cbranch_execz .LBB203_59
; %bb.55:
	v_add_nc_u32_e32 v10, 0xfffffc40, v9
	s_and_saveexec_b32 s0, vcc_lo
	s_cbranch_execz .LBB203_57
; %bb.56:
	s_delay_alu instid0(VALU_DEP_1)
	v_lshl_add_u32 v12, v11, 2, v10
	ds_store_2addr_b32 v12, v2, v3 offset1:16
	ds_store_2addr_b32 v12, v4, v5 offset0:32 offset1:48
	ds_store_2addr_b32 v12, v6, v7 offset0:64 offset1:80
	ds_store_b32 v12, v8 offset:384
.LBB203_57:
	s_wait_alu 0xfffe
	s_or_b32 exec_lo, exec_lo, s0
	v_or_b32_e32 v12, 0x70, v11
	s_delay_alu instid0(VALU_DEP_1)
	v_cmp_gt_u32_e64 s0, 0x78, v12
	s_and_b32 s0, vcc_lo, s0
	s_wait_alu 0xfffe
	s_and_b32 exec_lo, exec_lo, s0
; %bb.58:
	v_lshl_add_u32 v10, v12, 2, v10
	ds_store_b32 v10, v1
.LBB203_59:
	s_wait_alu 0xfffe
	s_or_b32 exec_lo, exec_lo, s1
	s_delay_alu instid0(SALU_CYCLE_1)
	s_mov_b32 s1, exec_lo
	s_wait_loadcnt_dscnt 0x0
	s_barrier_signal -1
	s_barrier_wait -1
	global_inv scope:SCOPE_SE
	v_cmpx_gt_u32_e32 64, v0
	s_cbranch_execz .LBB203_71
; %bb.60:
	s_and_saveexec_b32 s0, vcc_lo
	s_cbranch_execnz .LBB203_94
; %bb.61:
	s_wait_alu 0xfffe
	s_or_b32 exec_lo, exec_lo, s0
	s_and_saveexec_b32 s0, vcc_lo
	s_cbranch_execnz .LBB203_95
.LBB203_62:
	s_wait_alu 0xfffe
	s_or_b32 exec_lo, exec_lo, s0
	s_and_saveexec_b32 s0, vcc_lo
	s_cbranch_execnz .LBB203_96
.LBB203_63:
	s_wait_alu 0xfffe
	s_or_b32 exec_lo, exec_lo, s0
	s_and_saveexec_b32 s0, vcc_lo
	s_cbranch_execnz .LBB203_97
.LBB203_64:
	s_wait_alu 0xfffe
	s_or_b32 exec_lo, exec_lo, s0
	s_and_saveexec_b32 s0, vcc_lo
	s_cbranch_execnz .LBB203_98
.LBB203_65:
	s_wait_alu 0xfffe
	s_or_b32 exec_lo, exec_lo, s0
	s_and_saveexec_b32 s0, vcc_lo
	s_cbranch_execnz .LBB203_99
.LBB203_66:
	s_wait_alu 0xfffe
	s_or_b32 exec_lo, exec_lo, s0
	s_and_saveexec_b32 s0, vcc_lo
	s_cbranch_execz .LBB203_68
.LBB203_67:
	v_lshl_add_u32 v10, v11, 2, v9
	ds_load_b32 v10, v10 offset:384
	s_wait_dscnt 0x0
	v_add_f32_e32 v8, v8, v10
.LBB203_68:
	s_wait_alu 0xfffe
	s_or_b32 exec_lo, exec_lo, s0
	v_or_b32_e32 v10, 0x70, v11
	s_delay_alu instid0(VALU_DEP_1)
	v_cmp_gt_u32_e64 s0, 0x78, v10
	s_and_b32 s2, vcc_lo, s0
	s_wait_alu 0xfffe
	s_and_saveexec_b32 s0, s2
	s_cbranch_execz .LBB203_70
; %bb.69:
	v_lshl_add_u32 v10, v11, 2, v9
	ds_load_b32 v10, v10 offset:448
	s_wait_dscnt 0x0
	v_add_f32_e32 v1, v1, v10
.LBB203_70:
	s_wait_alu 0xfffe
	s_or_b32 exec_lo, exec_lo, s0
.LBB203_71:
	s_wait_alu 0xfffe
	s_or_b32 exec_lo, exec_lo, s1
	v_and_b32_e32 v10, 0x3e0, v0
	s_mov_b32 s1, exec_lo
	s_wait_loadcnt 0x0
	s_barrier_signal -1
	s_barrier_wait -1
	global_inv scope:SCOPE_SE
	v_cmpx_eq_u32_e32 32, v10
	s_cbranch_execz .LBB203_76
; %bb.72:
	v_lshl_add_u32 v10, v11, 2, 0x200
	s_and_saveexec_b32 s0, vcc_lo
	s_cbranch_execz .LBB203_74
; %bb.73:
	ds_store_2addr_b32 v10, v2, v3 offset1:16
	ds_store_2addr_b32 v10, v4, v5 offset0:32 offset1:48
	ds_store_2addr_b32 v10, v6, v7 offset0:64 offset1:80
	ds_store_b32 v10, v8 offset:384
.LBB203_74:
	s_wait_alu 0xfffe
	s_or_b32 exec_lo, exec_lo, s0
	v_or_b32_e32 v12, 0x70, v11
	s_delay_alu instid0(VALU_DEP_1)
	v_cmp_gt_u32_e64 s0, 0x78, v12
	s_and_b32 s0, vcc_lo, s0
	s_wait_alu 0xfffe
	s_and_b32 exec_lo, exec_lo, s0
; %bb.75:
	ds_store_b32 v10, v1 offset:448
.LBB203_76:
	s_wait_alu 0xfffe
	s_or_b32 exec_lo, exec_lo, s1
	v_cmp_gt_u32_e64 s0, 32, v0
	s_wait_loadcnt_dscnt 0x0
	s_barrier_signal -1
	s_barrier_wait -1
	global_inv scope:SCOPE_SE
	s_and_saveexec_b32 s2, s0
	s_cbranch_execz .LBB203_88
; %bb.77:
	v_lshl_add_u32 v9, v11, 2, v9
	s_and_saveexec_b32 s1, vcc_lo
	s_cbranch_execnz .LBB203_100
; %bb.78:
	s_wait_alu 0xfffe
	s_or_b32 exec_lo, exec_lo, s1
	s_and_saveexec_b32 s1, vcc_lo
	s_cbranch_execnz .LBB203_101
.LBB203_79:
	s_wait_alu 0xfffe
	s_or_b32 exec_lo, exec_lo, s1
	s_and_saveexec_b32 s1, vcc_lo
	s_cbranch_execnz .LBB203_102
.LBB203_80:
	s_wait_alu 0xfffe
	s_or_b32 exec_lo, exec_lo, s1
	s_and_saveexec_b32 s1, vcc_lo
	s_cbranch_execnz .LBB203_103
.LBB203_81:
	s_wait_alu 0xfffe
	s_or_b32 exec_lo, exec_lo, s1
	s_and_saveexec_b32 s1, vcc_lo
	s_cbranch_execnz .LBB203_104
.LBB203_82:
	s_wait_alu 0xfffe
	s_or_b32 exec_lo, exec_lo, s1
	s_and_saveexec_b32 s1, vcc_lo
	s_cbranch_execnz .LBB203_105
.LBB203_83:
	s_wait_alu 0xfffe
	s_or_b32 exec_lo, exec_lo, s1
	s_and_saveexec_b32 s1, vcc_lo
	s_cbranch_execz .LBB203_85
.LBB203_84:
	ds_load_b32 v10, v9 offset:384
	s_wait_dscnt 0x0
	v_add_f32_e32 v8, v8, v10
.LBB203_85:
	s_wait_alu 0xfffe
	s_or_b32 exec_lo, exec_lo, s1
	v_or_b32_e32 v10, 0x70, v11
	s_delay_alu instid0(VALU_DEP_1)
	v_cmp_gt_u32_e64 s1, 0x78, v10
	s_and_b32 s3, vcc_lo, s1
	s_wait_alu 0xfffe
	s_and_saveexec_b32 s1, s3
	s_cbranch_execz .LBB203_87
; %bb.86:
	ds_load_b32 v9, v9 offset:448
	s_wait_dscnt 0x0
	v_add_f32_e32 v1, v1, v9
.LBB203_87:
	s_wait_alu 0xfffe
	s_or_b32 exec_lo, exec_lo, s1
.LBB203_88:
	s_wait_alu 0xfffe
	s_or_b32 exec_lo, exec_lo, s2
	s_wait_loadcnt 0x0
	s_barrier_signal -1
	s_barrier_wait -1
	global_inv scope:SCOPE_SE
	s_and_saveexec_b32 s1, s0
	s_cbranch_execz .LBB203_93
; %bb.89:
	s_mul_i32 s0, s14, 0x78
	s_mul_i32 s2, s12, s16
	s_wait_alu 0xfffe
	s_ashr_i32 s1, s0, 31
	v_lshrrev_b32_e32 v9, 1, v0
	s_ashr_i32 s3, s2, 31
	s_wait_alu 0xfffe
	s_lshl_b64 s[0:1], s[0:1], 2
	s_lshl_b64 s[2:3], s[2:3], 2
	s_wait_kmcnt 0x0
	s_wait_alu 0xfffe
	s_add_nc_u64 s[0:1], s[4:5], s[0:1]
	v_lshlrev_b32_e32 v0, 2, v9
	s_wait_alu 0xfffe
	s_add_nc_u64 s[0:1], s[0:1], s[2:3]
	s_mul_i32 s2, s26, 0x1e0
	s_mov_b32 s3, 0
	s_wait_alu 0xfffe
	s_add_nc_u64 s[2:3], s[0:1], s[2:3]
	s_and_saveexec_b32 s0, vcc_lo
	s_cbranch_execz .LBB203_91
; %bb.90:
	s_clause 0x6
	global_store_b32 v0, v2, s[2:3]
	global_store_b32 v0, v3, s[2:3] offset:64
	global_store_b32 v0, v4, s[2:3] offset:128
	;; [unrolled: 1-line block ×6, first 2 shown]
.LBB203_91:
	s_wait_alu 0xfffe
	s_or_b32 exec_lo, exec_lo, s0
	v_or_b32_e32 v2, 0x70, v9
	s_delay_alu instid0(VALU_DEP_1)
	v_cmp_gt_u32_e64 s0, 0x78, v2
	s_and_b32 s0, vcc_lo, s0
	s_wait_alu 0xfffe
	s_and_b32 exec_lo, exec_lo, s0
	s_cbranch_execz .LBB203_93
; %bb.92:
	global_store_b32 v0, v1, s[2:3] offset:448
.LBB203_93:
	s_endpgm
.LBB203_94:
	v_lshl_add_u32 v10, v11, 2, v9
	ds_load_b32 v10, v10
	s_wait_dscnt 0x0
	v_add_f32_e32 v2, v2, v10
	s_wait_alu 0xfffe
	s_or_b32 exec_lo, exec_lo, s0
	s_and_saveexec_b32 s0, vcc_lo
	s_cbranch_execz .LBB203_62
.LBB203_95:
	v_lshl_add_u32 v10, v11, 2, v9
	ds_load_b32 v10, v10 offset:64
	s_wait_dscnt 0x0
	v_add_f32_e32 v3, v3, v10
	s_wait_alu 0xfffe
	s_or_b32 exec_lo, exec_lo, s0
	s_and_saveexec_b32 s0, vcc_lo
	s_cbranch_execz .LBB203_63
.LBB203_96:
	v_lshl_add_u32 v10, v11, 2, v9
	ds_load_b32 v10, v10 offset:128
	s_wait_dscnt 0x0
	v_add_f32_e32 v4, v4, v10
	s_wait_alu 0xfffe
	s_or_b32 exec_lo, exec_lo, s0
	s_and_saveexec_b32 s0, vcc_lo
	s_cbranch_execz .LBB203_64
.LBB203_97:
	v_lshl_add_u32 v10, v11, 2, v9
	ds_load_b32 v10, v10 offset:192
	s_wait_dscnt 0x0
	v_add_f32_e32 v5, v5, v10
	s_wait_alu 0xfffe
	s_or_b32 exec_lo, exec_lo, s0
	s_and_saveexec_b32 s0, vcc_lo
	s_cbranch_execz .LBB203_65
.LBB203_98:
	v_lshl_add_u32 v10, v11, 2, v9
	ds_load_b32 v10, v10 offset:256
	s_wait_dscnt 0x0
	v_add_f32_e32 v6, v6, v10
	s_wait_alu 0xfffe
	s_or_b32 exec_lo, exec_lo, s0
	s_and_saveexec_b32 s0, vcc_lo
	s_cbranch_execz .LBB203_66
.LBB203_99:
	v_lshl_add_u32 v10, v11, 2, v9
	ds_load_b32 v10, v10 offset:320
	s_wait_dscnt 0x0
	v_add_f32_e32 v7, v7, v10
	s_wait_alu 0xfffe
	s_or_b32 exec_lo, exec_lo, s0
	s_and_saveexec_b32 s0, vcc_lo
	s_cbranch_execnz .LBB203_67
	s_branch .LBB203_68
.LBB203_100:
	ds_load_b32 v10, v9
	s_wait_dscnt 0x0
	v_add_f32_e32 v2, v2, v10
	s_wait_alu 0xfffe
	s_or_b32 exec_lo, exec_lo, s1
	s_and_saveexec_b32 s1, vcc_lo
	s_cbranch_execz .LBB203_79
.LBB203_101:
	ds_load_b32 v10, v9 offset:64
	s_wait_dscnt 0x0
	v_add_f32_e32 v3, v3, v10
	s_wait_alu 0xfffe
	s_or_b32 exec_lo, exec_lo, s1
	s_and_saveexec_b32 s1, vcc_lo
	s_cbranch_execz .LBB203_80
.LBB203_102:
	ds_load_b32 v10, v9 offset:128
	s_wait_dscnt 0x0
	v_add_f32_e32 v4, v4, v10
	s_wait_alu 0xfffe
	s_or_b32 exec_lo, exec_lo, s1
	s_and_saveexec_b32 s1, vcc_lo
	s_cbranch_execz .LBB203_81
.LBB203_103:
	ds_load_b32 v10, v9 offset:192
	s_wait_dscnt 0x0
	v_add_f32_e32 v5, v5, v10
	s_wait_alu 0xfffe
	s_or_b32 exec_lo, exec_lo, s1
	s_and_saveexec_b32 s1, vcc_lo
	s_cbranch_execz .LBB203_82
.LBB203_104:
	ds_load_b32 v10, v9 offset:256
	s_wait_dscnt 0x0
	v_add_f32_e32 v6, v6, v10
	s_wait_alu 0xfffe
	s_or_b32 exec_lo, exec_lo, s1
	s_and_saveexec_b32 s1, vcc_lo
	s_cbranch_execz .LBB203_83
.LBB203_105:
	ds_load_b32 v10, v9 offset:320
	s_wait_dscnt 0x0
	v_add_f32_e32 v7, v7, v10
	s_wait_alu 0xfffe
	s_or_b32 exec_lo, exec_lo, s1
	s_and_saveexec_b32 s1, vcc_lo
	s_cbranch_execnz .LBB203_84
	s_branch .LBB203_85
	.section	.rodata,"a",@progbits
	.p2align	6, 0x0
	.amdhsa_kernel _ZN4vllm25paged_attention_v2_kernelIfhLi120ELi8ELi128ELNS_18Fp8KVCacheDataTypeE1ELb0ELi512EEEvPfS2_PT_PKS3_PKT0_S9_ifPKiSB_iPKfiiiSD_SD_iiiii
		.amdhsa_group_segment_fixed_size 512
		.amdhsa_private_segment_fixed_size 0
		.amdhsa_kernarg_size 400
		.amdhsa_user_sgpr_count 2
		.amdhsa_user_sgpr_dispatch_ptr 0
		.amdhsa_user_sgpr_queue_ptr 0
		.amdhsa_user_sgpr_kernarg_segment_ptr 1
		.amdhsa_user_sgpr_dispatch_id 0
		.amdhsa_user_sgpr_private_segment_size 0
		.amdhsa_wavefront_size32 1
		.amdhsa_uses_dynamic_stack 0
		.amdhsa_enable_private_segment 0
		.amdhsa_system_sgpr_workgroup_id_x 1
		.amdhsa_system_sgpr_workgroup_id_y 1
		.amdhsa_system_sgpr_workgroup_id_z 1
		.amdhsa_system_sgpr_workgroup_info 0
		.amdhsa_system_vgpr_workitem_id 0
		.amdhsa_next_free_vgpr 79
		.amdhsa_next_free_sgpr 36
		.amdhsa_reserve_vcc 1
		.amdhsa_float_round_mode_32 0
		.amdhsa_float_round_mode_16_64 0
		.amdhsa_float_denorm_mode_32 3
		.amdhsa_float_denorm_mode_16_64 3
		.amdhsa_fp16_overflow 0
		.amdhsa_workgroup_processor_mode 1
		.amdhsa_memory_ordered 1
		.amdhsa_forward_progress 1
		.amdhsa_inst_pref_size 55
		.amdhsa_round_robin_scheduling 0
		.amdhsa_exception_fp_ieee_invalid_op 0
		.amdhsa_exception_fp_denorm_src 0
		.amdhsa_exception_fp_ieee_div_zero 0
		.amdhsa_exception_fp_ieee_overflow 0
		.amdhsa_exception_fp_ieee_underflow 0
		.amdhsa_exception_fp_ieee_inexact 0
		.amdhsa_exception_int_div_zero 0
	.end_amdhsa_kernel
	.section	.text._ZN4vllm25paged_attention_v2_kernelIfhLi120ELi8ELi128ELNS_18Fp8KVCacheDataTypeE1ELb0ELi512EEEvPfS2_PT_PKS3_PKT0_S9_ifPKiSB_iPKfiiiSD_SD_iiiii,"axG",@progbits,_ZN4vllm25paged_attention_v2_kernelIfhLi120ELi8ELi128ELNS_18Fp8KVCacheDataTypeE1ELb0ELi512EEEvPfS2_PT_PKS3_PKT0_S9_ifPKiSB_iPKfiiiSD_SD_iiiii,comdat
.Lfunc_end203:
	.size	_ZN4vllm25paged_attention_v2_kernelIfhLi120ELi8ELi128ELNS_18Fp8KVCacheDataTypeE1ELb0ELi512EEEvPfS2_PT_PKS3_PKT0_S9_ifPKiSB_iPKfiiiSD_SD_iiiii, .Lfunc_end203-_ZN4vllm25paged_attention_v2_kernelIfhLi120ELi8ELi128ELNS_18Fp8KVCacheDataTypeE1ELb0ELi512EEEvPfS2_PT_PKS3_PKT0_S9_ifPKiSB_iPKfiiiSD_SD_iiiii
                                        ; -- End function
	.set _ZN4vllm25paged_attention_v2_kernelIfhLi120ELi8ELi128ELNS_18Fp8KVCacheDataTypeE1ELb0ELi512EEEvPfS2_PT_PKS3_PKT0_S9_ifPKiSB_iPKfiiiSD_SD_iiiii.num_vgpr, 79
	.set _ZN4vllm25paged_attention_v2_kernelIfhLi120ELi8ELi128ELNS_18Fp8KVCacheDataTypeE1ELb0ELi512EEEvPfS2_PT_PKS3_PKT0_S9_ifPKiSB_iPKfiiiSD_SD_iiiii.num_agpr, 0
	.set _ZN4vllm25paged_attention_v2_kernelIfhLi120ELi8ELi128ELNS_18Fp8KVCacheDataTypeE1ELb0ELi512EEEvPfS2_PT_PKS3_PKT0_S9_ifPKiSB_iPKfiiiSD_SD_iiiii.numbered_sgpr, 36
	.set _ZN4vllm25paged_attention_v2_kernelIfhLi120ELi8ELi128ELNS_18Fp8KVCacheDataTypeE1ELb0ELi512EEEvPfS2_PT_PKS3_PKT0_S9_ifPKiSB_iPKfiiiSD_SD_iiiii.num_named_barrier, 0
	.set _ZN4vllm25paged_attention_v2_kernelIfhLi120ELi8ELi128ELNS_18Fp8KVCacheDataTypeE1ELb0ELi512EEEvPfS2_PT_PKS3_PKT0_S9_ifPKiSB_iPKfiiiSD_SD_iiiii.private_seg_size, 0
	.set _ZN4vllm25paged_attention_v2_kernelIfhLi120ELi8ELi128ELNS_18Fp8KVCacheDataTypeE1ELb0ELi512EEEvPfS2_PT_PKS3_PKT0_S9_ifPKiSB_iPKfiiiSD_SD_iiiii.uses_vcc, 1
	.set _ZN4vllm25paged_attention_v2_kernelIfhLi120ELi8ELi128ELNS_18Fp8KVCacheDataTypeE1ELb0ELi512EEEvPfS2_PT_PKS3_PKT0_S9_ifPKiSB_iPKfiiiSD_SD_iiiii.uses_flat_scratch, 0
	.set _ZN4vllm25paged_attention_v2_kernelIfhLi120ELi8ELi128ELNS_18Fp8KVCacheDataTypeE1ELb0ELi512EEEvPfS2_PT_PKS3_PKT0_S9_ifPKiSB_iPKfiiiSD_SD_iiiii.has_dyn_sized_stack, 0
	.set _ZN4vllm25paged_attention_v2_kernelIfhLi120ELi8ELi128ELNS_18Fp8KVCacheDataTypeE1ELb0ELi512EEEvPfS2_PT_PKS3_PKT0_S9_ifPKiSB_iPKfiiiSD_SD_iiiii.has_recursion, 0
	.set _ZN4vllm25paged_attention_v2_kernelIfhLi120ELi8ELi128ELNS_18Fp8KVCacheDataTypeE1ELb0ELi512EEEvPfS2_PT_PKS3_PKT0_S9_ifPKiSB_iPKfiiiSD_SD_iiiii.has_indirect_call, 0
	.section	.AMDGPU.csdata,"",@progbits
; Kernel info:
; codeLenInByte = 7004
; TotalNumSgprs: 38
; NumVgprs: 79
; ScratchSize: 0
; MemoryBound: 0
; FloatMode: 240
; IeeeMode: 1
; LDSByteSize: 512 bytes/workgroup (compile time only)
; SGPRBlocks: 0
; VGPRBlocks: 9
; NumSGPRsForWavesPerEU: 38
; NumVGPRsForWavesPerEU: 79
; Occupancy: 16
; WaveLimiterHint : 1
; COMPUTE_PGM_RSRC2:SCRATCH_EN: 0
; COMPUTE_PGM_RSRC2:USER_SGPR: 2
; COMPUTE_PGM_RSRC2:TRAP_HANDLER: 0
; COMPUTE_PGM_RSRC2:TGID_X_EN: 1
; COMPUTE_PGM_RSRC2:TGID_Y_EN: 1
; COMPUTE_PGM_RSRC2:TGID_Z_EN: 1
; COMPUTE_PGM_RSRC2:TIDIG_COMP_CNT: 0
	.section	.text._ZN4vllm25paged_attention_v2_kernelIfhLi128ELi8ELi128ELNS_18Fp8KVCacheDataTypeE1ELb0ELi512EEEvPfS2_PT_PKS3_PKT0_S9_ifPKiSB_iPKfiiiSD_SD_iiiii,"axG",@progbits,_ZN4vllm25paged_attention_v2_kernelIfhLi128ELi8ELi128ELNS_18Fp8KVCacheDataTypeE1ELb0ELi512EEEvPfS2_PT_PKS3_PKT0_S9_ifPKiSB_iPKfiiiSD_SD_iiiii,comdat
	.protected	_ZN4vllm25paged_attention_v2_kernelIfhLi128ELi8ELi128ELNS_18Fp8KVCacheDataTypeE1ELb0ELi512EEEvPfS2_PT_PKS3_PKT0_S9_ifPKiSB_iPKfiiiSD_SD_iiiii ; -- Begin function _ZN4vllm25paged_attention_v2_kernelIfhLi128ELi8ELi128ELNS_18Fp8KVCacheDataTypeE1ELb0ELi512EEEvPfS2_PT_PKS3_PKT0_S9_ifPKiSB_iPKfiiiSD_SD_iiiii
	.globl	_ZN4vllm25paged_attention_v2_kernelIfhLi128ELi8ELi128ELNS_18Fp8KVCacheDataTypeE1ELb0ELi512EEEvPfS2_PT_PKS3_PKT0_S9_ifPKiSB_iPKfiiiSD_SD_iiiii
	.p2align	8
	.type	_ZN4vllm25paged_attention_v2_kernelIfhLi128ELi8ELi128ELNS_18Fp8KVCacheDataTypeE1ELb0ELi512EEEvPfS2_PT_PKS3_PKT0_S9_ifPKiSB_iPKfiiiSD_SD_iiiii,@function
_ZN4vllm25paged_attention_v2_kernelIfhLi128ELi8ELi128ELNS_18Fp8KVCacheDataTypeE1ELb0ELi512EEEvPfS2_PT_PKS3_PKT0_S9_ifPKiSB_iPKfiiiSD_SD_iiiii: ; @_ZN4vllm25paged_attention_v2_kernelIfhLi128ELi8ELi128ELNS_18Fp8KVCacheDataTypeE1ELb0ELi512EEEvPfS2_PT_PKS3_PKT0_S9_ifPKiSB_iPKfiiiSD_SD_iiiii
; %bb.0:
	s_load_b64 s[2:3], s[0:1], 0x40
	s_and_b32 s15, ttmp7, 0xffff
	s_lshr_b32 s28, ttmp7, 16
	s_lshl_b32 s4, s15, 2
	s_lshl_b32 s16, s28, 9
	s_wait_kmcnt 0x0
	s_load_b32 s17, s[2:3], s4 offset:0x0
	s_wait_kmcnt 0x0
	s_cmp_ge_i32 s16, s17
	s_cbranch_scc1 .LBB204_78
; %bb.1:
	s_clause 0x1
	s_load_b32 s29, s[0:1], 0x90
	s_load_b64 s[8:9], s[0:1], 0x30
	s_wait_kmcnt 0x0
	s_abs_i32 s5, s29
	s_abs_i32 s2, s8
	s_delay_alu instid0(SALU_CYCLE_1) | instskip(SKIP_1) | instid1(SALU_CYCLE_2)
	s_cvt_f32_u32 s3, s2
	s_sub_co_i32 s4, 0, s2
	v_rcp_iflag_f32_e32 v1, s3
	s_delay_alu instid0(TRANS32_DEP_1) | instskip(SKIP_2) | instid1(SALU_CYCLE_2)
	v_readfirstlane_b32 s3, v1
	s_mul_f32 s3, s3, 0x4f7ffffe
	s_wait_alu 0xfffe
	s_cvt_u32_f32 s3, s3
	s_wait_alu 0xfffe
	s_delay_alu instid0(SALU_CYCLE_2) | instskip(NEXT) | instid1(SALU_CYCLE_1)
	s_mul_i32 s4, s4, s3
	s_mul_hi_u32 s4, s3, s4
	s_delay_alu instid0(SALU_CYCLE_1)
	s_add_co_i32 s3, s3, s4
	s_xor_b32 s4, s29, s8
	s_wait_alu 0xfffe
	s_mul_hi_u32 s3, s5, s3
	s_ashr_i32 s4, s4, 31
	s_wait_alu 0xfffe
	s_mul_i32 s6, s3, s2
	s_delay_alu instid0(SALU_CYCLE_1)
	s_sub_co_i32 s5, s5, s6
	s_add_co_i32 s6, s3, 1
	s_sub_co_i32 s7, s5, s2
	s_cmp_ge_u32 s5, s2
	s_cselect_b32 s3, s6, s3
	s_cselect_b32 s5, s7, s5
	s_wait_alu 0xfffe
	s_add_co_i32 s6, s3, 1
	s_cmp_ge_u32 s5, s2
	s_cselect_b32 s2, s6, s3
	s_load_b64 s[6:7], s[0:1], 0x50
	s_xor_b32 s2, s2, s4
	s_mov_b32 s3, 0
	s_wait_alu 0xfffe
	s_sub_co_i32 s11, s2, s4
	s_mov_b32 s8, s3
	s_abs_i32 s10, s11
	s_delay_alu instid0(SALU_CYCLE_1) | instskip(SKIP_1) | instid1(SALU_CYCLE_2)
	s_cvt_f32_u32 s2, s10
	s_wait_alu 0xfffe
	v_rcp_iflag_f32_e32 v1, s2
	s_delay_alu instid0(TRANS32_DEP_1) | instskip(SKIP_2) | instid1(SALU_CYCLE_2)
	v_readfirstlane_b32 s2, v1
	s_mul_f32 s2, s2, 0x4f7ffffe
	s_wait_alu 0xfffe
	s_cvt_u32_f32 s4, s2
	s_sub_co_i32 s2, 0, s10
	s_wait_alu 0xfffe
	s_delay_alu instid0(SALU_CYCLE_1)
	s_mul_i32 s2, s2, s4
	s_wait_alu 0xfffe
	s_mul_hi_u32 s5, s4, s2
	s_abs_i32 s2, ttmp9
	s_add_co_i32 s4, s4, s5
	s_mov_b32 s5, s3
	s_wait_kmcnt 0x0
	s_cmp_eq_u64 s[6:7], 0
	s_cbranch_scc1 .LBB204_3
; %bb.2:
	s_mov_b32 s12, ttmp9
	s_ashr_i32 s13, ttmp9, 31
	s_delay_alu instid0(SALU_CYCLE_1) | instskip(NEXT) | instid1(SALU_CYCLE_1)
	s_lshl_b64 s[12:13], s[12:13], 2
	s_add_nc_u64 s[6:7], s[6:7], s[12:13]
	s_load_b32 s8, s[6:7], 0x0
.LBB204_3:
	s_load_b96 s[12:14], s[0:1], 0x58
	v_and_b32_e32 v33, 3, v0
	v_lshlrev_b32_e32 v39, 2, v0
	s_mul_u64 s[4:5], s[2:3], s[4:5]
	s_ashr_i32 s3, ttmp9, 31
	s_ashr_i32 s4, s11, 31
	s_lshl_b32 s18, ttmp9, 7
	s_mov_b32 s6, exec_lo
	v_cmpx_gt_u32_e32 0x80, v0
	s_cbranch_execz .LBB204_5
; %bb.4:
	s_load_b64 s[20:21], s[0:1], 0x18
	s_wait_kmcnt 0x0
	s_mul_i32 s22, s12, s15
	s_ashr_i32 s19, s18, 31
	s_ashr_i32 s23, s22, 31
	v_and_b32_e32 v2, 0x3fc, v0
	s_lshl_b64 s[22:23], s[22:23], 2
	s_delay_alu instid0(VALU_DEP_1) | instskip(SKIP_2) | instid1(SALU_CYCLE_1)
	v_lshl_add_u32 v2, v33, 7, v2
	s_add_nc_u64 s[20:21], s[20:21], s[22:23]
	s_lshl_b64 s[22:23], s[18:19], 2
	s_add_nc_u64 s[20:21], s[20:21], s[22:23]
	global_load_b32 v1, v39, s[20:21]
	s_wait_loadcnt 0x0
	ds_store_b32 v2, v1
.LBB204_5:
	s_or_b32 exec_lo, exec_lo, s6
	s_add_co_i32 s6, s17, 7
	s_wait_alu 0xfffe
	s_xor_b32 s3, s3, s4
	s_ashr_i32 s7, s6, 31
	s_lshl_b32 s31, s28, 6
	s_lshr_b32 s4, s7, 29
	s_mul_i32 s7, s5, s10
	s_add_co_i32 s6, s6, s4
	s_add_co_i32 s4, s31, 64
	s_ashr_i32 s30, s6, 3
	s_load_b32 s6, s[0:1], 0x48
	s_sub_co_i32 s2, s2, s7
	s_min_i32 s19, s4, s30
	s_add_co_i32 s4, s5, 1
	s_wait_alu 0xfffe
	s_sub_co_i32 s7, s2, s10
	s_cmp_ge_u32 s2, s10
	v_lshrrev_b32_e32 v37, 5, v0
	s_cselect_b32 s4, s4, s5
	s_cselect_b32 s2, s7, s2
	s_add_co_i32 s5, s4, 1
	s_wait_alu 0xfffe
	s_cmp_ge_u32 s2, s10
	v_or_b32_e32 v38, s31, v37
	s_cselect_b32 s2, s5, s4
	v_mbcnt_lo_u32_b32 v41, -1, 0
	s_wait_alu 0xfffe
	s_xor_b32 s2, s2, s3
	s_mov_b32 s4, exec_lo
	s_wait_alu 0xfffe
	s_sub_co_i32 s3, s2, s3
	v_cmp_gt_i32_e64 s2, s19, v38
	s_wait_dscnt 0x0
	s_barrier_signal -1
	s_wait_kmcnt 0x0
	s_mul_i32 s20, s6, s15
	s_barrier_wait -1
	s_ashr_i32 s21, s20, 31
	global_inv scope:SCOPE_SE
                                        ; implicit-def: $vgpr42
                                        ; implicit-def: $vgpr43
	v_cmpx_le_i32_e64 s19, v38
	s_xor_b32 s4, exec_lo, s4
; %bb.6:
	v_dual_mov_b32 v42, 0 :: v_dual_mov_b32 v43, 32
	v_mbcnt_lo_u32_b32 v41, -1, 0
                                        ; implicit-def: $vgpr33
; %bb.7:
	s_or_saveexec_b32 s10, s4
	s_clause 0x2
	s_load_b32 s12, s[0:1], 0x98
	s_load_b64 s[22:23], s[0:1], 0x38
	s_load_b128 s[4:7], s[0:1], 0x68
	v_mov_b32_e32 v44, 0xff7fffff
	v_lshlrev_b32_e32 v40, 2, v38
	s_mul_i32 s24, s3, s14
	s_xor_b32 exec_lo, exec_lo, s10
	s_cbranch_execz .LBB204_13
; %bb.8:
	s_load_b64 s[26:27], s[0:1], 0x20
	v_xor_b32_e32 v25, 2, v41
	v_bfe_u32 v35, v0, 2, 3
	v_xor_b32_e32 v26, 1, v41
	v_dual_mov_b32 v42, 0 :: v_dual_lshlrev_b32 v29, 7, v33
	s_delay_alu instid0(VALU_DEP_4) | instskip(NEXT) | instid1(VALU_DEP_4)
	v_cmp_gt_i32_e32 vcc_lo, 32, v25
	v_lshlrev_b32_e32 v27, 4, v35
	s_ashr_i32 s25, s24, 31
	ds_load_b128 v[1:4], v29
	ds_load_b128 v[5:8], v29 offset:16
	ds_load_b128 v[9:12], v29 offset:32
	;; [unrolled: 1-line block ×5, first 2 shown]
	s_cmp_neq_f32 s8, 0
	v_cndmask_b32_e32 v34, v41, v25, vcc_lo
	v_cmp_gt_i32_e32 vcc_lo, 32, v26
	s_mov_b32 s14, 0
	v_mov_b32_e32 v43, 32
	v_mov_b32_e32 v49, v38
	v_lshlrev_b32_e32 v45, 2, v34
	s_wait_alu 0xfffd
	v_cndmask_b32_e32 v36, v41, v26, vcc_lo
	v_lshlrev_b32_e32 v34, 2, v35
	v_cmp_eq_u32_e32 vcc_lo, 0, v33
	s_wait_kmcnt 0x0
	s_add_nc_u64 s[26:27], s[26:27], s[24:25]
	s_mov_b32 s25, s13
	v_add_co_u32 v44, s3, s26, v27
	ds_load_b128 v[25:28], v29 offset:96
	ds_load_b128 v[29:32], v29 offset:112
	s_load_b32 s11, s[4:5], 0x0
	v_add_co_ci_u32_e64 v47, null, s27, 0, s3
	v_add_co_u32 v33, s4, v44, v33
	v_lshlrev_b32_e32 v46, 2, v36
	v_lshlrev_b32_e32 v36, 3, v37
	s_cselect_b32 s3, -1, 0
	v_lshl_or_b32 v48, v37, 5, v34
	v_add_co_ci_u32_e64 v34, null, 0, v47, s4
	s_lshl_b64 s[4:5], s[20:21], 2
	v_add3_u32 v47, s16, v36, v35
	s_wait_alu 0xfffe
	s_add_nc_u64 s[4:5], s[22:23], s[4:5]
	v_add_nc_u32_e32 v48, 0x220, v48
	s_wait_alu 0xfffe
	v_add_co_u32 v35, s4, s4, v40
	s_wait_alu 0xf1ff
	v_add_co_ci_u32_e64 v36, null, s5, 0, s4
	v_mov_b32_e32 v44, 0xff7fffff
	s_sub_co_i32 s26, 1, s17
	s_branch .LBB204_10
.LBB204_9:                              ;   in Loop: Header=BB204_10 Depth=1
	s_wait_alu 0xfffe
	s_or_b32 exec_lo, exec_lo, s5
	v_add_nc_u32_e32 v49, 4, v49
	v_add_co_u32 v35, s5, v35, 16
	v_add_nc_u32_e32 v47, 32, v47
	v_add_nc_u32_e32 v48, 0x80, v48
	s_delay_alu instid0(VALU_DEP_4) | instskip(SKIP_3) | instid1(SALU_CYCLE_1)
	v_cmp_le_i32_e64 s4, s19, v49
	s_wait_alu 0xf1ff
	v_add_co_ci_u32_e64 v36, null, 0, v36, s5
	s_or_b32 s14, s4, s14
	s_and_not1_b32 exec_lo, exec_lo, s14
	s_cbranch_execz .LBB204_12
.LBB204_10:                             ; =>This Inner Loop Header: Depth=1
	global_load_b32 v50, v[35:36], off
	s_wait_loadcnt_dscnt 0x0
	v_mad_co_i64_i32 v[50:51], null, v50, s25, v[33:34]
	s_clause 0x1f
	global_load_u8 v52, v[50:51], off offset:4
	global_load_u8 v53, v[50:51], off
	global_load_u8 v54, v[50:51], off offset:8
	global_load_u8 v55, v[50:51], off offset:12
	;; [unrolled: 1-line block ×30, first 2 shown]
	s_wait_loadcnt 0x1f
	v_cvt_f32_fp8_e32 v51, v52
	s_wait_loadcnt 0x1e
	v_cvt_f32_fp8_e32 v52, v53
	;; [unrolled: 2-line block ×4, first 2 shown]
	s_wait_kmcnt 0x0
	v_dual_mul_f32 v51, s11, v51 :: v_dual_mul_f32 v52, s11, v52
	s_wait_dscnt 0x7
	s_delay_alu instid0(VALU_DEP_1) | instskip(NEXT) | instid1(VALU_DEP_1)
	v_dual_mul_f32 v54, s11, v54 :: v_dual_mul_f32 v51, v2, v51
	v_fmac_f32_e32 v51, v1, v52
	s_wait_loadcnt 0x1b
	v_cvt_f32_fp8_e32 v52, v56
	s_delay_alu instid0(VALU_DEP_1) | instskip(NEXT) | instid1(VALU_DEP_1)
	v_dual_mul_f32 v53, s11, v53 :: v_dual_mul_f32 v52, s11, v52
	v_fmac_f32_e32 v51, v3, v53
	s_wait_loadcnt 0x1a
	v_cvt_f32_fp8_e32 v53, v57
	s_delay_alu instid0(VALU_DEP_2) | instskip(SKIP_2) | instid1(VALU_DEP_3)
	v_fmac_f32_e32 v51, v4, v54
	s_wait_loadcnt 0x19
	v_cvt_f32_fp8_e32 v54, v58
	v_mul_f32_e32 v53, s11, v53
	s_wait_loadcnt 0x0
	v_cvt_f32_fp8_e32 v50, v50
	s_wait_dscnt 0x6
	v_dual_fmac_f32 v51, v5, v52 :: v_dual_mul_f32 v52, s11, v54
	v_cvt_f32_fp8_e32 v54, v59
	s_delay_alu instid0(VALU_DEP_2) | instskip(SKIP_1) | instid1(VALU_DEP_2)
	v_dual_mul_f32 v50, s11, v50 :: v_dual_fmac_f32 v51, v6, v53
	v_cvt_f32_fp8_e32 v53, v60
	v_dual_mul_f32 v54, s11, v54 :: v_dual_fmac_f32 v51, v7, v52
	s_delay_alu instid0(VALU_DEP_2) | instskip(SKIP_1) | instid1(VALU_DEP_3)
	v_mul_f32_e32 v52, s11, v53
	v_cvt_f32_fp8_e32 v53, v61
	v_fmac_f32_e32 v51, v8, v54
	v_cvt_f32_fp8_e32 v54, v62
	s_delay_alu instid0(VALU_DEP_3) | instskip(SKIP_1) | instid1(VALU_DEP_2)
	v_mul_f32_e32 v53, s11, v53
	s_wait_dscnt 0x5
	v_dual_fmac_f32 v51, v9, v52 :: v_dual_mul_f32 v52, s11, v54
	v_cvt_f32_fp8_e32 v54, v63
	s_delay_alu instid0(VALU_DEP_2) | instskip(SKIP_1) | instid1(VALU_DEP_2)
	v_fmac_f32_e32 v51, v10, v53
	v_cvt_f32_fp8_e32 v53, v64
	v_dual_mul_f32 v54, s11, v54 :: v_dual_fmac_f32 v51, v11, v52
	s_delay_alu instid0(VALU_DEP_2) | instskip(SKIP_1) | instid1(VALU_DEP_3)
	v_mul_f32_e32 v52, s11, v53
	v_cvt_f32_fp8_e32 v53, v65
	v_fmac_f32_e32 v51, v12, v54
	v_cvt_f32_fp8_e32 v54, v66
	s_delay_alu instid0(VALU_DEP_3) | instskip(SKIP_1) | instid1(VALU_DEP_2)
	v_mul_f32_e32 v53, s11, v53
	s_wait_dscnt 0x4
	v_dual_fmac_f32 v51, v13, v52 :: v_dual_mul_f32 v52, s11, v54
	v_cvt_f32_fp8_e32 v54, v67
	s_delay_alu instid0(VALU_DEP_2) | instskip(SKIP_1) | instid1(VALU_DEP_2)
	v_fmac_f32_e32 v51, v14, v53
	;; [unrolled: 14-line block ×5, first 2 shown]
	v_cvt_f32_fp8_e32 v53, v80
	v_dual_mul_f32 v54, s11, v54 :: v_dual_fmac_f32 v51, v27, v52
	s_delay_alu instid0(VALU_DEP_2) | instskip(SKIP_1) | instid1(VALU_DEP_3)
	v_mul_f32_e32 v52, s11, v53
	v_cvt_f32_fp8_e32 v53, v81
	v_fmac_f32_e32 v51, v28, v54
	v_cvt_f32_fp8_e32 v54, v82
	s_delay_alu instid0(VALU_DEP_3) | instskip(SKIP_1) | instid1(VALU_DEP_2)
	v_mul_f32_e32 v53, s11, v53
	s_wait_dscnt 0x0
	v_dual_fmac_f32 v51, v29, v52 :: v_dual_mul_f32 v52, s11, v54
	s_delay_alu instid0(VALU_DEP_1) | instskip(NEXT) | instid1(VALU_DEP_1)
	v_fmac_f32_e32 v51, v30, v53
	v_fmac_f32_e32 v51, v31, v52
	s_delay_alu instid0(VALU_DEP_1)
	v_fmac_f32_e32 v51, v32, v50
	ds_bpermute_b32 v50, v45, v51
	s_wait_dscnt 0x0
	v_add_f32_e32 v50, v51, v50
	ds_bpermute_b32 v51, v46, v50
	s_and_saveexec_b32 s5, vcc_lo
	s_cbranch_execz .LBB204_9
; %bb.11:                               ;   in Loop: Header=BB204_10 Depth=1
	s_wait_dscnt 0x0
	v_add_f32_e32 v50, v50, v51
	s_wait_alu 0xfffe
	v_add_nc_u32_e32 v52, s26, v47
	v_cmp_gt_i32_e64 s4, s17, v47
	s_delay_alu instid0(VALU_DEP_2) | instskip(NEXT) | instid1(VALU_DEP_1)
	v_cvt_f32_i32_e32 v52, v52
	v_mul_f32_e32 v52, s8, v52
	s_delay_alu instid0(VALU_DEP_1) | instskip(NEXT) | instid1(VALU_DEP_1)
	v_cndmask_b32_e64 v51, 0, v52, s3
	v_dual_max_num_f32 v52, v44, v44 :: v_dual_fmac_f32 v51, s9, v50
	s_delay_alu instid0(VALU_DEP_1) | instskip(SKIP_2) | instid1(VALU_DEP_2)
	v_max_num_f32_e32 v50, v52, v51
	s_wait_alu 0xf1ff
	v_cndmask_b32_e64 v51, 0, v51, s4
	v_cndmask_b32_e64 v44, v44, v50, s4
	ds_store_b32 v48, v51
	s_branch .LBB204_9
.LBB204_12:
	s_or_b32 exec_lo, exec_lo, s14
.LBB204_13:
	s_delay_alu instid0(SALU_CYCLE_1)
	s_or_b32 exec_lo, exec_lo, s10
	v_xor_b32_e32 v1, 16, v41
	v_xor_b32_e32 v3, 8, v41
	s_load_b128 s[8:11], s[0:1], 0x0
	s_wait_kmcnt 0x0
	s_clause 0x1
	s_load_b64 s[4:5], s[0:1], 0x10
	s_load_b64 s[26:27], s[0:1], 0x28
	v_and_b32_e32 v11, 31, v0
	v_max_num_f32_e32 v5, v44, v44
	v_cmp_lt_i32_e32 vcc_lo, v1, v43
	s_wait_alu 0xfffd
	v_cndmask_b32_e32 v1, v41, v1, vcc_lo
	v_cmp_lt_i32_e32 vcc_lo, v3, v43
	s_wait_alu 0xfffd
	v_cndmask_b32_e32 v3, v41, v3, vcc_lo
	s_delay_alu instid0(VALU_DEP_1) | instskip(SKIP_4) | instid1(VALU_DEP_1)
	v_lshlrev_b32_e32 v4, 2, v3
	v_lshlrev_b32_e32 v2, 2, v1
	ds_bpermute_b32 v1, v2, v44
	s_wait_dscnt 0x0
	v_max_num_f32_e32 v1, v1, v1
	v_max_num_f32_e32 v1, v5, v1
	v_xor_b32_e32 v5, 4, v41
	ds_bpermute_b32 v3, v4, v1
	v_cmp_lt_i32_e32 vcc_lo, v5, v43
	s_wait_alu 0xfffd
	v_cndmask_b32_e32 v5, v41, v5, vcc_lo
	v_cmp_eq_u32_e32 vcc_lo, 0, v11
	s_delay_alu instid0(VALU_DEP_2) | instskip(SKIP_3) | instid1(VALU_DEP_1)
	v_lshlrev_b32_e32 v7, 2, v5
	v_lshlrev_b32_e32 v5, 2, v37
	s_wait_dscnt 0x0
	v_max_num_f32_e32 v3, v3, v3
	v_max_num_f32_e32 v1, v1, v3
	ds_bpermute_b32 v3, v7, v1
	s_and_saveexec_b32 s0, vcc_lo
	s_cbranch_execz .LBB204_15
; %bb.14:
	s_wait_dscnt 0x0
	v_max_num_f32_e32 v3, v3, v3
	v_max_num_f32_e32 v1, v1, v1
	s_delay_alu instid0(VALU_DEP_1)
	v_max_num_f32_e32 v1, v1, v3
	ds_store_b32 v5, v1 offset:512
.LBB204_15:
	s_or_b32 exec_lo, exec_lo, s0
	v_cmp_gt_u32_e64 s0, 4, v11
	v_dual_mov_b32 v1, 0xff7fffff :: v_dual_lshlrev_b32 v6, 2, v11
	s_wait_loadcnt_dscnt 0x0
	s_barrier_signal -1
	s_barrier_wait -1
	global_inv scope:SCOPE_SE
	s_and_saveexec_b32 s1, s0
; %bb.16:
	ds_load_b32 v1, v6 offset:512
; %bb.17:
	s_or_b32 exec_lo, exec_lo, s1
	v_xor_b32_e32 v3, 2, v41
	v_xor_b32_e32 v9, 1, v41
	s_delay_alu instid0(VALU_DEP_2) | instskip(NEXT) | instid1(VALU_DEP_1)
	v_cmp_lt_i32_e64 s1, v3, v43
	v_cndmask_b32_e64 v3, v41, v3, s1
	s_delay_alu instid0(VALU_DEP_3) | instskip(NEXT) | instid1(VALU_DEP_2)
	v_cmp_lt_i32_e64 s1, v9, v43
	v_lshlrev_b32_e32 v8, 2, v3
	s_wait_alu 0xf1ff
	s_delay_alu instid0(VALU_DEP_2)
	v_cndmask_b32_e64 v9, v41, v9, s1
	s_sub_co_i32 s1, s19, s31
	s_wait_alu 0xfffe
	s_lshl_b32 s1, s1, 3
	s_wait_dscnt 0x0
	ds_bpermute_b32 v3, v8, v1
	v_max_num_f32_e32 v1, v1, v1
	s_wait_alu 0xfffe
	s_add_co_i32 s1, s1, s16
	v_lshlrev_b32_e32 v12, 2, v9
	s_wait_alu 0xfffe
	s_min_i32 s1, s1, s17
	v_mov_b32_e32 v9, 0
	s_wait_alu 0xfffe
	s_sub_co_i32 s14, s1, s16
	s_delay_alu instid0(SALU_CYCLE_1) | instskip(SKIP_2) | instid1(VALU_DEP_1)
	v_cmp_gt_i32_e64 s1, s14, v0
	s_wait_dscnt 0x0
	v_max_num_f32_e32 v3, v3, v3
	v_max_num_f32_e32 v1, v1, v3
	ds_bpermute_b32 v3, v12, v1
	s_wait_dscnt 0x0
	v_max_num_f32_e32 v3, v3, v3
	s_delay_alu instid0(VALU_DEP_1)
	v_max_num_f32_e32 v1, v1, v3
	v_lshlrev_b32_e32 v3, 2, v42
	ds_bpermute_b32 v1, v3, v1
	v_lshl_add_u32 v3, v0, 2, 0x220
	s_and_saveexec_b32 s25, s1
	s_cbranch_execz .LBB204_21
; %bb.18:
	v_lshl_add_u32 v10, v0, 2, 0x220
	v_mov_b32_e32 v9, 0
	v_mov_b32_e32 v13, v0
	s_mov_b32 s31, 0
.LBB204_19:                             ; =>This Inner Loop Header: Depth=1
	ds_load_b32 v14, v10
	v_add_nc_u32_e32 v13, 0x80, v13
	s_delay_alu instid0(VALU_DEP_1) | instskip(SKIP_4) | instid1(VALU_DEP_1)
	v_cmp_le_i32_e64 s3, s14, v13
	s_wait_alu 0xfffe
	s_or_b32 s31, s3, s31
	s_wait_dscnt 0x0
	v_sub_f32_e32 v14, v14, v1
	v_mul_f32_e32 v14, 0x3fb8aa3b, v14
	s_delay_alu instid0(VALU_DEP_1)
	v_exp_f32_e32 v14, v14
	ds_store_b32 v10, v14
	v_add_f32_e32 v9, v9, v14
	v_add_nc_u32_e32 v10, 0x200, v10
	s_wait_alu 0xfffe
	s_and_not1_b32 exec_lo, exec_lo, s31
	s_cbranch_execnz .LBB204_19
; %bb.20:
	s_or_b32 exec_lo, exec_lo, s31
.LBB204_21:
	s_wait_alu 0xfffe
	s_or_b32 exec_lo, exec_lo, s25
	ds_bpermute_b32 v2, v2, v9
	s_wait_dscnt 0x0
	v_add_f32_e32 v2, v9, v2
	ds_bpermute_b32 v4, v4, v2
	s_wait_dscnt 0x0
	v_add_f32_e32 v2, v2, v4
	;; [unrolled: 3-line block ×5, first 2 shown]
	s_and_saveexec_b32 s3, vcc_lo
; %bb.22:
	ds_store_b32 v5, v2 offset:528
; %bb.23:
	s_wait_alu 0xfffe
	s_or_b32 exec_lo, exec_lo, s3
	s_wait_loadcnt_dscnt 0x0
	s_barrier_signal -1
	s_barrier_wait -1
	global_inv scope:SCOPE_SE
	s_and_saveexec_b32 s3, s0
; %bb.24:
	ds_load_b32 v2, v6 offset:528
; %bb.25:
	s_wait_alu 0xfffe
	s_or_b32 exec_lo, exec_lo, s3
	s_wait_dscnt 0x0
	ds_bpermute_b32 v4, v8, v2
	s_wait_dscnt 0x0
	v_dual_add_f32 v2, v2, v4 :: v_dual_lshlrev_b32 v5, 2, v41
	ds_bpermute_b32 v4, v12, v2
	s_wait_dscnt 0x0
	v_add_f32_e32 v2, v2, v4
	v_and_b32_e32 v4, 0xffffff80, v5
	ds_bpermute_b32 v2, v4, v2
	s_and_saveexec_b32 s0, s1
	s_cbranch_execz .LBB204_28
; %bb.26:
	s_wait_dscnt 0x0
	v_add_f32_e32 v4, 0x358637bd, v2
	s_mov_b32 s1, 0
	s_delay_alu instid0(VALU_DEP_1) | instskip(SKIP_1) | instid1(VALU_DEP_2)
	v_div_scale_f32 v5, null, v4, v4, 1.0
	v_div_scale_f32 v8, vcc_lo, 1.0, v4, 1.0
	v_rcp_f32_e32 v6, v5
	s_delay_alu instid0(TRANS32_DEP_1) | instskip(NEXT) | instid1(VALU_DEP_1)
	v_fma_f32 v7, -v5, v6, 1.0
	v_fmac_f32_e32 v6, v7, v6
	s_delay_alu instid0(VALU_DEP_1) | instskip(NEXT) | instid1(VALU_DEP_1)
	v_mul_f32_e32 v7, v8, v6
	v_fma_f32 v9, -v5, v7, v8
	s_delay_alu instid0(VALU_DEP_1) | instskip(NEXT) | instid1(VALU_DEP_1)
	v_fmac_f32_e32 v7, v9, v6
	v_fma_f32 v5, -v5, v7, v8
	s_wait_alu 0xfffd
	s_delay_alu instid0(VALU_DEP_1) | instskip(NEXT) | instid1(VALU_DEP_1)
	v_div_fmas_f32 v5, v5, v6, v7
	v_div_fixup_f32 v4, v5, v4, 1.0
	v_mov_b32_e32 v5, v0
.LBB204_27:                             ; =>This Inner Loop Header: Depth=1
	ds_load_b32 v6, v3
	s_wait_dscnt 0x0
	v_dual_mul_f32 v6, v4, v6 :: v_dual_add_nc_u32 v5, 0x80, v5
	s_delay_alu instid0(VALU_DEP_1)
	v_cmp_le_i32_e32 vcc_lo, s14, v5
	ds_store_b32 v3, v6
	v_add_nc_u32_e32 v3, 0x200, v3
	s_wait_alu 0xfffe
	s_or_b32 s1, vcc_lo, s1
	s_wait_alu 0xfffe
	s_and_not1_b32 exec_lo, exec_lo, s1
	s_cbranch_execnz .LBB204_27
.LBB204_28:
	s_wait_alu 0xfffe
	s_or_b32 exec_lo, exec_lo, s0
	s_mul_i32 s0, s12, s15
	s_wait_loadcnt_dscnt 0x0
	s_wait_alu 0xfffe
	s_mul_i32 s14, s0, s29
	s_mov_b32 s0, exec_lo
	s_barrier_signal -1
	s_barrier_wait -1
	global_inv scope:SCOPE_SE
	v_cmpx_eq_u32_e32 0, v0
	s_cbranch_execz .LBB204_30
; %bb.29:
	s_wait_alu 0xfffe
	s_ashr_i32 s15, s14, 31
	s_mul_i32 s34, s12, ttmp9
	s_lshl_b32 s1, s28, 2
	s_wait_alu 0xfffe
	s_lshl_b64 s[36:37], s[14:15], 2
	s_ashr_i32 s35, s34, 31
	v_mov_b32_e32 v3, s1
	s_add_nc_u64 s[10:11], s[10:11], s[36:37]
	s_lshl_b64 s[28:29], s[34:35], 2
	s_add_nc_u64 s[8:9], s[8:9], s[36:37]
	s_wait_alu 0xfffe
	s_add_nc_u64 s[10:11], s[10:11], s[28:29]
	s_add_nc_u64 s[8:9], s[8:9], s[28:29]
	s_clause 0x1
	global_store_b32 v3, v1, s[10:11]
	global_store_b32 v3, v2, s[8:9]
.LBB204_30:
	s_wait_alu 0xfffe
	s_or_b32 exec_lo, exec_lo, s0
	v_dual_mov_b32 v19, 0 :: v_dual_mov_b32 v20, 0
	v_dual_mov_b32 v18, 0 :: v_dual_and_b32 v13, 1, v0
	v_dual_mov_b32 v21, 0 :: v_dual_mov_b32 v16, 0
	v_dual_mov_b32 v17, 0 :: v_dual_mov_b32 v14, 0
	v_mov_b32_e32 v15, 0
	s_and_saveexec_b32 s1, s2
	s_cbranch_execz .LBB204_50
; %bb.31:
	s_load_b32 s3, s[6:7], 0x0
	v_dual_mov_b32 v15, 0 :: v_dual_lshlrev_b32 v2, 4, v13
	v_dual_mov_b32 v16, 0 :: v_dual_and_b32 v3, 0x7c, v39
	s_ashr_i32 s25, s24, 31
	s_lshl_b64 s[6:7], s[20:21], 2
	s_wait_kmcnt 0x0
	s_wait_alu 0xfffe
	s_add_nc_u64 s[8:9], s[26:27], s[24:25]
	v_dual_mov_b32 v14, 0 :: v_dual_and_b32 v1, 4, v39
	v_lshl_add_u32 v4, v37, 3, s16
	v_lshl_or_b32 v2, v37, 5, v2
	s_wait_alu 0xfffe
	v_add_co_u32 v5, s0, s8, v3
	s_add_nc_u64 s[6:7], s[22:23], s[6:7]
	s_wait_alu 0xf1ff
	v_add_co_ci_u32_e64 v6, null, s9, 0, s0
	v_add_co_u32 v7, s0, s6, v40
	v_add3_u32 v22, v4, v1, 3
	v_dual_mov_b32 v18, 0 :: v_dual_add_nc_u32 v23, 0x220, v2
	s_wait_alu 0xf1ff
	v_add_co_ci_u32_e64 v8, null, s7, 0, s0
	v_dual_mov_b32 v17, 0 :: v_dual_mov_b32 v20, 0
	v_mov_b32_e32 v21, 0
	v_mov_b32_e32 v19, 0
	s_mov_b32 s2, s13
	s_mov_b32 s6, s3
	s_add_co_i32 s30, s30, -1
	s_mov_b32 s7, 0
	s_branch .LBB204_33
.LBB204_32:                             ;   in Loop: Header=BB204_33 Depth=1
	s_wait_alu 0xfffe
	s_or_b32 exec_lo, exec_lo, s0
	s_wait_dscnt 0x0
	v_mul_f32_e32 v39, v1, v48
	v_mul_f32_e32 v34, v1, v58
	v_add_co_u32 v7, s0, v7, 16
	s_delay_alu instid0(VALU_DEP_3) | instskip(SKIP_1) | instid1(VALU_DEP_4)
	v_dual_fmac_f32 v39, v2, v47 :: v_dual_add_nc_u32 v22, 32, v22
	v_mul_f32_e32 v36, v1, v53
	v_fmac_f32_e32 v34, v2, v57
	s_wait_alu 0xf1ff
	v_add_co_ci_u32_e64 v8, null, 0, v8, s0
	s_delay_alu instid0(VALU_DEP_3) | instskip(NEXT) | instid1(VALU_DEP_3)
	v_dual_fmac_f32 v39, v3, v46 :: v_dual_fmac_f32 v36, v2, v51
	v_dual_fmac_f32 v34, v3, v54 :: v_dual_mul_f32 v31, v1, v31
	s_delay_alu instid0(VALU_DEP_2) | instskip(NEXT) | instid1(VALU_DEP_3)
	v_dual_mul_f32 v40, v1, v40 :: v_dual_fmac_f32 v39, v4, v45
	v_dual_fmac_f32 v36, v3, v50 :: v_dual_mul_f32 v27, v1, v27
	s_delay_alu instid0(VALU_DEP_3) | instskip(NEXT) | instid1(VALU_DEP_3)
	v_dual_fmac_f32 v34, v4, v52 :: v_dual_fmac_f32 v31, v2, v30
	v_add_f32_e32 v17, v17, v39
	v_mul_f32_e32 v44, v1, v44
	s_delay_alu instid0(VALU_DEP_4) | instskip(NEXT) | instid1(VALU_DEP_4)
	v_dual_fmac_f32 v36, v4, v49 :: v_dual_mul_f32 v1, v1, v56
	v_add_f32_e32 v15, v15, v34
	v_fmac_f32_e32 v27, v2, v26
	s_delay_alu instid0(VALU_DEP_4) | instskip(NEXT) | instid1(VALU_DEP_4)
	v_dual_fmac_f32 v44, v2, v43 :: v_dual_fmac_f32 v31, v3, v29
	v_add_f32_e32 v16, v16, v36
	s_delay_alu instid0(VALU_DEP_3) | instskip(NEXT) | instid1(VALU_DEP_3)
	v_dual_fmac_f32 v40, v2, v35 :: v_dual_fmac_f32 v27, v3, v25
	v_dual_fmac_f32 v44, v3, v42 :: v_dual_fmac_f32 v1, v2, v55
	s_delay_alu instid0(VALU_DEP_2) | instskip(NEXT) | instid1(VALU_DEP_3)
	v_dual_fmac_f32 v31, v4, v28 :: v_dual_fmac_f32 v40, v3, v33
	v_dual_fmac_f32 v27, v4, v24 :: v_dual_add_nc_u32 v38, 4, v38
	s_delay_alu instid0(VALU_DEP_3) | instskip(NEXT) | instid1(VALU_DEP_3)
	v_dual_fmac_f32 v44, v4, v41 :: v_dual_fmac_f32 v1, v3, v10
	v_dual_fmac_f32 v40, v4, v32 :: v_dual_add_f32 v21, v21, v31
	s_delay_alu instid0(VALU_DEP_3) | instskip(NEXT) | instid1(VALU_DEP_3)
	v_cmp_le_i32_e32 vcc_lo, s19, v38
	v_dual_add_f32 v18, v18, v44 :: v_dual_fmac_f32 v1, v4, v9
	s_delay_alu instid0(VALU_DEP_3) | instskip(SKIP_2) | instid1(VALU_DEP_3)
	v_dual_add_f32 v20, v20, v40 :: v_dual_add_f32 v19, v19, v27
	v_add_nc_u32_e32 v23, 0x80, v23
	s_or_b32 s7, vcc_lo, s7
	v_add_f32_e32 v14, v14, v1
	s_wait_alu 0xfffe
	s_and_not1_b32 exec_lo, exec_lo, s7
	s_cbranch_execz .LBB204_49
.LBB204_33:                             ; =>This Inner Loop Header: Depth=1
	global_load_b32 v1, v[7:8], off
	s_wait_alu 0xfffe
	v_cmp_eq_u32_e32 vcc_lo, s30, v38
	v_add_nc_u32_e32 v39, -1, v22
	s_wait_loadcnt 0x0
	v_mad_co_i64_i32 v[9:10], null, v1, s2, v[5:6]
	ds_load_b128 v[1:4], v23
	global_load_b32 v24, v[9:10], off
	s_wait_loadcnt 0x0
	v_lshrrev_b32_e32 v26, 16, v24
	s_delay_alu instid0(VALU_DEP_1) | instskip(SKIP_2) | instid1(VALU_DEP_2)
	v_cvt_pk_f32_fp8_e32 v[28:29], v26
	v_and_b32_e32 v25, 0xffff, v24
	v_add_nc_u32_e32 v36, -2, v22
	v_cvt_pk_f32_fp8_e32 v[24:25], v25
	s_delay_alu instid0(VALU_DEP_1) | instskip(NEXT) | instid1(VALU_DEP_2)
	v_dual_mul_f32 v27, s3, v24 :: v_dual_add_nc_u32 v34, -3, v22
	v_dual_mul_f32 v26, s6, v25 :: v_dual_mul_f32 v25, s3, v28
	v_mul_f32_e32 v24, s6, v29
	s_and_saveexec_b32 s8, vcc_lo
	s_cbranch_execz .LBB204_35
; %bb.34:                               ;   in Loop: Header=BB204_33 Depth=1
	v_cmp_gt_i32_e64 s0, s17, v34
	s_wait_alu 0xf1ff
	s_delay_alu instid0(VALU_DEP_1) | instskip(SKIP_2) | instid1(VALU_DEP_1)
	v_cndmask_b32_e64 v27, 0, v27, s0
	v_cmp_gt_i32_e64 s0, s17, v36
	s_wait_alu 0xf1ff
	v_cndmask_b32_e64 v26, 0, v26, s0
	v_cmp_gt_i32_e64 s0, s17, v39
	s_wait_alu 0xf1ff
	s_delay_alu instid0(VALU_DEP_1) | instskip(SKIP_2) | instid1(VALU_DEP_1)
	v_cndmask_b32_e64 v25, 0, v25, s0
	v_cmp_gt_i32_e64 s0, s17, v22
	s_wait_alu 0xf1ff
	v_cndmask_b32_e64 v24, 0, v24, s0
.LBB204_35:                             ;   in Loop: Header=BB204_33 Depth=1
	s_wait_alu 0xfffe
	s_or_b32 exec_lo, exec_lo, s8
	global_load_b32 v28, v[9:10], off offset:128
	s_wait_loadcnt 0x0
	v_lshrrev_b32_e32 v30, 16, v28
	s_delay_alu instid0(VALU_DEP_1) | instskip(SKIP_1) | instid1(VALU_DEP_1)
	v_cvt_pk_f32_fp8_e32 v[32:33], v30
	v_and_b32_e32 v29, 0xffff, v28
	v_cvt_pk_f32_fp8_e32 v[28:29], v29
	s_delay_alu instid0(VALU_DEP_1) | instskip(NEXT) | instid1(VALU_DEP_4)
	v_dual_mul_f32 v31, s3, v28 :: v_dual_mul_f32 v30, s6, v29
	v_dual_mul_f32 v29, s3, v32 :: v_dual_mul_f32 v28, s6, v33
	s_and_saveexec_b32 s8, vcc_lo
	s_cbranch_execz .LBB204_37
; %bb.36:                               ;   in Loop: Header=BB204_33 Depth=1
	v_cmp_gt_i32_e64 s0, s17, v34
	s_wait_alu 0xf1ff
	s_delay_alu instid0(VALU_DEP_1) | instskip(SKIP_2) | instid1(VALU_DEP_1)
	v_cndmask_b32_e64 v31, 0, v31, s0
	v_cmp_gt_i32_e64 s0, s17, v36
	s_wait_alu 0xf1ff
	v_cndmask_b32_e64 v30, 0, v30, s0
	v_cmp_gt_i32_e64 s0, s17, v39
	s_wait_alu 0xf1ff
	s_delay_alu instid0(VALU_DEP_1) | instskip(SKIP_2) | instid1(VALU_DEP_1)
	v_cndmask_b32_e64 v29, 0, v29, s0
	v_cmp_gt_i32_e64 s0, s17, v22
	s_wait_alu 0xf1ff
	v_cndmask_b32_e64 v28, 0, v28, s0
.LBB204_37:                             ;   in Loop: Header=BB204_33 Depth=1
	s_wait_alu 0xfffe
	s_or_b32 exec_lo, exec_lo, s8
	global_load_b32 v32, v[9:10], off offset:256
	s_wait_loadcnt 0x0
	v_lshrrev_b32_e32 v35, 16, v32
	s_delay_alu instid0(VALU_DEP_1) | instskip(SKIP_1) | instid1(VALU_DEP_1)
	v_cvt_pk_f32_fp8_e32 v[41:42], v35
	v_and_b32_e32 v33, 0xffff, v32
	v_cvt_pk_f32_fp8_e32 v[32:33], v33
	s_delay_alu instid0(VALU_DEP_1) | instskip(NEXT) | instid1(VALU_DEP_4)
	v_dual_mul_f32 v40, s3, v32 :: v_dual_mul_f32 v35, s6, v33
	v_dual_mul_f32 v33, s3, v41 :: v_dual_mul_f32 v32, s6, v42
	;; [unrolled: 30-line block ×4, first 2 shown]
	s_and_saveexec_b32 s8, vcc_lo
	s_cbranch_execz .LBB204_43
; %bb.42:                               ;   in Loop: Header=BB204_33 Depth=1
	v_cmp_gt_i32_e64 s0, s17, v34
	s_wait_alu 0xf1ff
	s_delay_alu instid0(VALU_DEP_1) | instskip(SKIP_2) | instid1(VALU_DEP_1)
	v_cndmask_b32_e64 v48, 0, v48, s0
	v_cmp_gt_i32_e64 s0, s17, v36
	s_wait_alu 0xf1ff
	v_cndmask_b32_e64 v47, 0, v47, s0
	v_cmp_gt_i32_e64 s0, s17, v39
	s_wait_alu 0xf1ff
	s_delay_alu instid0(VALU_DEP_1) | instskip(SKIP_2) | instid1(VALU_DEP_1)
	v_cndmask_b32_e64 v46, 0, v46, s0
	v_cmp_gt_i32_e64 s0, s17, v22
	s_wait_alu 0xf1ff
	v_cndmask_b32_e64 v45, 0, v45, s0
.LBB204_43:                             ;   in Loop: Header=BB204_33 Depth=1
	s_wait_alu 0xfffe
	s_or_b32 exec_lo, exec_lo, s8
	global_load_b32 v49, v[9:10], off offset:640
	s_wait_loadcnt 0x0
	v_lshrrev_b32_e32 v51, 16, v49
	s_delay_alu instid0(VALU_DEP_1) | instskip(SKIP_1) | instid1(VALU_DEP_1)
	v_cvt_pk_f32_fp8_e32 v[54:55], v51
	v_and_b32_e32 v50, 0xffff, v49
	v_cvt_pk_f32_fp8_e32 v[49:50], v50
	s_delay_alu instid0(VALU_DEP_1) | instskip(NEXT) | instid1(VALU_DEP_2)
	v_mul_f32_e32 v53, s3, v49
	v_mul_f32_e32 v51, s6, v50
	v_dual_mul_f32 v50, s3, v54 :: v_dual_mul_f32 v49, s6, v55
	s_and_saveexec_b32 s8, vcc_lo
	s_cbranch_execz .LBB204_45
; %bb.44:                               ;   in Loop: Header=BB204_33 Depth=1
	v_cmp_gt_i32_e64 s0, s17, v34
	s_wait_alu 0xf1ff
	s_delay_alu instid0(VALU_DEP_1) | instskip(SKIP_2) | instid1(VALU_DEP_1)
	v_cndmask_b32_e64 v53, 0, v53, s0
	v_cmp_gt_i32_e64 s0, s17, v36
	s_wait_alu 0xf1ff
	v_cndmask_b32_e64 v51, 0, v51, s0
	v_cmp_gt_i32_e64 s0, s17, v39
	s_wait_alu 0xf1ff
	s_delay_alu instid0(VALU_DEP_1) | instskip(SKIP_2) | instid1(VALU_DEP_1)
	v_cndmask_b32_e64 v50, 0, v50, s0
	v_cmp_gt_i32_e64 s0, s17, v22
	s_wait_alu 0xf1ff
	v_cndmask_b32_e64 v49, 0, v49, s0
.LBB204_45:                             ;   in Loop: Header=BB204_33 Depth=1
	s_wait_alu 0xfffe
	s_or_b32 exec_lo, exec_lo, s8
	global_load_b32 v52, v[9:10], off offset:768
	s_wait_loadcnt 0x0
	v_and_b32_e32 v54, 0xffff, v52
	v_lshrrev_b32_e32 v52, 16, v52
	s_delay_alu instid0(VALU_DEP_2) | instskip(NEXT) | instid1(VALU_DEP_2)
	v_cvt_pk_f32_fp8_e32 v[54:55], v54
	v_cvt_pk_f32_fp8_e32 v[59:60], v52
	s_delay_alu instid0(VALU_DEP_2) | instskip(NEXT) | instid1(VALU_DEP_2)
	v_dual_mul_f32 v58, s3, v54 :: v_dual_mul_f32 v57, s6, v55
	v_mul_f32_e32 v54, s3, v59
	s_delay_alu instid0(VALU_DEP_3)
	v_mul_f32_e32 v52, s6, v60
	s_and_saveexec_b32 s8, vcc_lo
	s_cbranch_execz .LBB204_47
; %bb.46:                               ;   in Loop: Header=BB204_33 Depth=1
	v_cmp_gt_i32_e64 s0, s17, v34
	s_wait_alu 0xf1ff
	s_delay_alu instid0(VALU_DEP_1) | instskip(SKIP_2) | instid1(VALU_DEP_1)
	v_cndmask_b32_e64 v58, 0, v58, s0
	v_cmp_gt_i32_e64 s0, s17, v36
	s_wait_alu 0xf1ff
	v_cndmask_b32_e64 v57, 0, v57, s0
	v_cmp_gt_i32_e64 s0, s17, v39
	s_wait_alu 0xf1ff
	s_delay_alu instid0(VALU_DEP_1) | instskip(SKIP_2) | instid1(VALU_DEP_1)
	v_cndmask_b32_e64 v54, 0, v54, s0
	v_cmp_gt_i32_e64 s0, s17, v22
	s_wait_alu 0xf1ff
	v_cndmask_b32_e64 v52, 0, v52, s0
.LBB204_47:                             ;   in Loop: Header=BB204_33 Depth=1
	s_wait_alu 0xfffe
	s_or_b32 exec_lo, exec_lo, s8
	global_load_b32 v9, v[9:10], off offset:896
	s_wait_loadcnt 0x0
	v_lshrrev_b32_e32 v55, 16, v9
	s_delay_alu instid0(VALU_DEP_1) | instskip(SKIP_1) | instid1(VALU_DEP_1)
	v_cvt_pk_f32_fp8_e32 v[59:60], v55
	v_and_b32_e32 v10, 0xffff, v9
	v_cvt_pk_f32_fp8_e32 v[9:10], v10
	s_delay_alu instid0(VALU_DEP_1) | instskip(NEXT) | instid1(VALU_DEP_4)
	v_dual_mul_f32 v56, s3, v9 :: v_dual_mul_f32 v55, s6, v10
	v_dual_mul_f32 v10, s3, v59 :: v_dual_mul_f32 v9, s6, v60
	s_and_saveexec_b32 s0, vcc_lo
	s_cbranch_execz .LBB204_32
; %bb.48:                               ;   in Loop: Header=BB204_33 Depth=1
	v_cmp_gt_i32_e32 vcc_lo, s17, v34
	s_wait_alu 0xfffd
	v_cndmask_b32_e32 v56, 0, v56, vcc_lo
	v_cmp_gt_i32_e32 vcc_lo, s17, v36
	s_wait_alu 0xfffd
	v_cndmask_b32_e32 v55, 0, v55, vcc_lo
	;; [unrolled: 3-line block ×4, first 2 shown]
	s_branch .LBB204_32
.LBB204_49:
	s_or_b32 exec_lo, exec_lo, s7
.LBB204_50:
	s_wait_alu 0xfffe
	s_or_b32 exec_lo, exec_lo, s1
	ds_bpermute_b32 v1, v12, v19
	ds_bpermute_b32 v2, v12, v21
	;; [unrolled: 1-line block ×8, first 2 shown]
	v_lshrrev_b32_e32 v9, 1, v11
	v_lshlrev_b32_e32 v11, 9, v37
	v_and_b32_e32 v12, 0x3c1, v0
	s_mov_b32 s0, exec_lo
	s_wait_storecnt 0x0
	s_wait_loadcnt_dscnt 0x0
	v_lshl_add_u32 v10, v9, 2, 0x220
	s_barrier_signal -1
	s_barrier_wait -1
	global_inv scope:SCOPE_SE
	v_dual_add_f32 v1, v19, v1 :: v_dual_add_f32 v2, v21, v2
	v_dual_add_f32 v3, v20, v3 :: v_dual_add_f32 v4, v18, v4
	;; [unrolled: 1-line block ×4, first 2 shown]
	v_cmpx_eq_u32_e32 64, v12
	s_cbranch_execz .LBB204_52
; %bb.51:
	v_add_nc_u32_e32 v12, v10, v11
	s_delay_alu instid0(VALU_DEP_1)
	v_add_nc_u32_e32 v14, 0xfffffc00, v12
	v_add_nc_u32_e32 v15, 0xfffffc40, v12
	;; [unrolled: 1-line block ×8, first 2 shown]
	ds_store_b32 v14, v1
	ds_store_b32 v15, v2
	;; [unrolled: 1-line block ×8, first 2 shown]
.LBB204_52:
	s_wait_alu 0xfffe
	s_or_b32 exec_lo, exec_lo, s0
	v_lshlrev_b32_e32 v9, 2, v9
	s_mov_b32 s1, exec_lo
	v_cmp_eq_u32_e32 vcc_lo, 0, v13
	s_wait_loadcnt_dscnt 0x0
	s_barrier_signal -1
	v_add3_u32 v9, 0x220, v11, v9
	s_barrier_wait -1
	global_inv scope:SCOPE_SE
	v_cmpx_gt_u32_e32 64, v0
	s_cbranch_execz .LBB204_63
; %bb.53:
	s_and_saveexec_b32 s0, vcc_lo
	s_cbranch_execnz .LBB204_79
; %bb.54:
	s_wait_alu 0xfffe
	s_or_b32 exec_lo, exec_lo, s0
	s_and_saveexec_b32 s0, vcc_lo
	s_cbranch_execnz .LBB204_80
.LBB204_55:
	s_wait_alu 0xfffe
	s_or_b32 exec_lo, exec_lo, s0
	s_and_saveexec_b32 s0, vcc_lo
	s_cbranch_execnz .LBB204_81
.LBB204_56:
	s_wait_alu 0xfffe
	s_or_b32 exec_lo, exec_lo, s0
	s_and_saveexec_b32 s0, vcc_lo
	s_cbranch_execnz .LBB204_82
.LBB204_57:
	s_wait_alu 0xfffe
	s_or_b32 exec_lo, exec_lo, s0
	s_and_saveexec_b32 s0, vcc_lo
	s_cbranch_execnz .LBB204_83
.LBB204_58:
	s_wait_alu 0xfffe
	s_or_b32 exec_lo, exec_lo, s0
	s_and_saveexec_b32 s0, vcc_lo
	s_cbranch_execnz .LBB204_84
.LBB204_59:
	s_wait_alu 0xfffe
	s_or_b32 exec_lo, exec_lo, s0
	s_and_saveexec_b32 s0, vcc_lo
	s_cbranch_execnz .LBB204_85
.LBB204_60:
	s_wait_alu 0xfffe
	s_or_b32 exec_lo, exec_lo, s0
	s_and_saveexec_b32 s0, vcc_lo
	s_cbranch_execz .LBB204_62
.LBB204_61:
	ds_load_b32 v11, v9 offset:448
	s_wait_dscnt 0x0
	v_add_f32_e32 v8, v8, v11
.LBB204_62:
	s_wait_alu 0xfffe
	s_or_b32 exec_lo, exec_lo, s0
.LBB204_63:
	s_wait_alu 0xfffe
	s_or_b32 exec_lo, exec_lo, s1
	v_and_b32_e32 v11, 0x3e1, v0
	s_mov_b32 s1, exec_lo
	s_wait_loadcnt 0x0
	s_barrier_signal -1
	s_barrier_wait -1
	global_inv scope:SCOPE_SE
	v_cmpx_eq_u32_e32 32, v11
	s_cbranch_execz .LBB204_65
; %bb.64:
	ds_store_2addr_b32 v10, v1, v2 offset1:16
	ds_store_2addr_b32 v10, v3, v4 offset0:32 offset1:48
	ds_store_2addr_b32 v10, v5, v6 offset0:64 offset1:80
	;; [unrolled: 1-line block ×3, first 2 shown]
.LBB204_65:
	s_wait_alu 0xfffe
	s_or_b32 exec_lo, exec_lo, s1
	s_delay_alu instid0(SALU_CYCLE_1)
	s_mov_b32 s1, exec_lo
	s_wait_loadcnt_dscnt 0x0
	s_barrier_signal -1
	s_barrier_wait -1
	global_inv scope:SCOPE_SE
	v_cmpx_gt_u32_e32 32, v0
	s_cbranch_execz .LBB204_76
; %bb.66:
	s_and_saveexec_b32 s0, vcc_lo
	s_cbranch_execnz .LBB204_86
; %bb.67:
	s_wait_alu 0xfffe
	s_or_b32 exec_lo, exec_lo, s0
	s_and_saveexec_b32 s0, vcc_lo
	s_cbranch_execnz .LBB204_87
.LBB204_68:
	s_wait_alu 0xfffe
	s_or_b32 exec_lo, exec_lo, s0
	s_and_saveexec_b32 s0, vcc_lo
	s_cbranch_execnz .LBB204_88
.LBB204_69:
	s_wait_alu 0xfffe
	s_or_b32 exec_lo, exec_lo, s0
	s_and_saveexec_b32 s0, vcc_lo
	s_cbranch_execnz .LBB204_89
.LBB204_70:
	s_wait_alu 0xfffe
	s_or_b32 exec_lo, exec_lo, s0
	s_and_saveexec_b32 s0, vcc_lo
	s_cbranch_execnz .LBB204_90
.LBB204_71:
	s_wait_alu 0xfffe
	s_or_b32 exec_lo, exec_lo, s0
	s_and_saveexec_b32 s0, vcc_lo
	s_cbranch_execnz .LBB204_91
.LBB204_72:
	s_wait_alu 0xfffe
	s_or_b32 exec_lo, exec_lo, s0
	s_and_saveexec_b32 s0, vcc_lo
	s_cbranch_execnz .LBB204_92
.LBB204_73:
	s_wait_alu 0xfffe
	s_or_b32 exec_lo, exec_lo, s0
	s_and_saveexec_b32 s0, vcc_lo
	s_cbranch_execz .LBB204_75
.LBB204_74:
	ds_load_b32 v9, v9 offset:448
	s_wait_dscnt 0x0
	v_add_f32_e32 v8, v8, v9
.LBB204_75:
	s_wait_alu 0xfffe
	s_or_b32 exec_lo, exec_lo, s0
.LBB204_76:
	s_wait_alu 0xfffe
	s_or_b32 exec_lo, exec_lo, s1
	s_mov_b32 s17, 0
	s_wait_loadcnt 0x0
	s_barrier_signal -1
	s_barrier_wait -1
	global_inv scope:SCOPE_SE
	s_mov_b32 s0, exec_lo
	v_cmpx_eq_u32_e32 0, v11
	s_cbranch_execz .LBB204_78
; %bb.77:
	s_lshl_b32 s0, s14, 7
	s_mul_i32 s2, s12, s18
	s_wait_alu 0xfffe
	s_ashr_i32 s1, s0, 31
	s_ashr_i32 s3, s2, 31
	s_wait_alu 0xfffe
	s_lshl_b64 s[0:1], s[0:1], 2
	s_lshl_b64 s[2:3], s[2:3], 2
	s_wait_kmcnt 0x0
	s_wait_alu 0xfffe
	s_add_nc_u64 s[0:1], s[4:5], s[0:1]
	v_lshlrev_b32_e32 v0, 1, v0
	s_wait_alu 0xfffe
	s_add_nc_u64 s[0:1], s[0:1], s[2:3]
	s_wait_alu 0xfffe
	s_add_nc_u64 s[0:1], s[0:1], s[16:17]
	s_clause 0x7
	global_store_b32 v0, v1, s[0:1]
	global_store_b32 v0, v2, s[0:1] offset:64
	global_store_b32 v0, v3, s[0:1] offset:128
	;; [unrolled: 1-line block ×7, first 2 shown]
.LBB204_78:
	s_endpgm
.LBB204_79:
	ds_load_b32 v11, v9
	s_wait_dscnt 0x0
	v_add_f32_e32 v1, v1, v11
	s_wait_alu 0xfffe
	s_or_b32 exec_lo, exec_lo, s0
	s_and_saveexec_b32 s0, vcc_lo
	s_cbranch_execz .LBB204_55
.LBB204_80:
	ds_load_b32 v11, v9 offset:64
	s_wait_dscnt 0x0
	v_add_f32_e32 v2, v2, v11
	s_wait_alu 0xfffe
	s_or_b32 exec_lo, exec_lo, s0
	s_and_saveexec_b32 s0, vcc_lo
	s_cbranch_execz .LBB204_56
.LBB204_81:
	ds_load_b32 v11, v9 offset:128
	s_wait_dscnt 0x0
	v_add_f32_e32 v3, v3, v11
	s_wait_alu 0xfffe
	s_or_b32 exec_lo, exec_lo, s0
	s_and_saveexec_b32 s0, vcc_lo
	s_cbranch_execz .LBB204_57
.LBB204_82:
	ds_load_b32 v11, v9 offset:192
	s_wait_dscnt 0x0
	v_add_f32_e32 v4, v4, v11
	s_wait_alu 0xfffe
	s_or_b32 exec_lo, exec_lo, s0
	s_and_saveexec_b32 s0, vcc_lo
	s_cbranch_execz .LBB204_58
.LBB204_83:
	ds_load_b32 v11, v9 offset:256
	s_wait_dscnt 0x0
	v_add_f32_e32 v5, v5, v11
	s_wait_alu 0xfffe
	s_or_b32 exec_lo, exec_lo, s0
	s_and_saveexec_b32 s0, vcc_lo
	s_cbranch_execz .LBB204_59
.LBB204_84:
	ds_load_b32 v11, v9 offset:320
	s_wait_dscnt 0x0
	v_add_f32_e32 v6, v6, v11
	s_wait_alu 0xfffe
	s_or_b32 exec_lo, exec_lo, s0
	s_and_saveexec_b32 s0, vcc_lo
	s_cbranch_execz .LBB204_60
.LBB204_85:
	ds_load_b32 v11, v9 offset:384
	s_wait_dscnt 0x0
	v_add_f32_e32 v7, v7, v11
	s_wait_alu 0xfffe
	s_or_b32 exec_lo, exec_lo, s0
	s_and_saveexec_b32 s0, vcc_lo
	s_cbranch_execnz .LBB204_61
	s_branch .LBB204_62
.LBB204_86:
	ds_load_b32 v10, v9
	s_wait_dscnt 0x0
	v_add_f32_e32 v1, v1, v10
	s_wait_alu 0xfffe
	s_or_b32 exec_lo, exec_lo, s0
	s_and_saveexec_b32 s0, vcc_lo
	s_cbranch_execz .LBB204_68
.LBB204_87:
	ds_load_b32 v10, v9 offset:64
	s_wait_dscnt 0x0
	v_add_f32_e32 v2, v2, v10
	s_wait_alu 0xfffe
	s_or_b32 exec_lo, exec_lo, s0
	s_and_saveexec_b32 s0, vcc_lo
	s_cbranch_execz .LBB204_69
.LBB204_88:
	ds_load_b32 v10, v9 offset:128
	s_wait_dscnt 0x0
	v_add_f32_e32 v3, v3, v10
	s_wait_alu 0xfffe
	s_or_b32 exec_lo, exec_lo, s0
	s_and_saveexec_b32 s0, vcc_lo
	s_cbranch_execz .LBB204_70
.LBB204_89:
	ds_load_b32 v10, v9 offset:192
	s_wait_dscnt 0x0
	v_add_f32_e32 v4, v4, v10
	s_wait_alu 0xfffe
	s_or_b32 exec_lo, exec_lo, s0
	s_and_saveexec_b32 s0, vcc_lo
	s_cbranch_execz .LBB204_71
.LBB204_90:
	ds_load_b32 v10, v9 offset:256
	s_wait_dscnt 0x0
	v_add_f32_e32 v5, v5, v10
	s_wait_alu 0xfffe
	s_or_b32 exec_lo, exec_lo, s0
	s_and_saveexec_b32 s0, vcc_lo
	s_cbranch_execz .LBB204_72
.LBB204_91:
	ds_load_b32 v10, v9 offset:320
	s_wait_dscnt 0x0
	v_add_f32_e32 v6, v6, v10
	s_wait_alu 0xfffe
	s_or_b32 exec_lo, exec_lo, s0
	s_and_saveexec_b32 s0, vcc_lo
	s_cbranch_execz .LBB204_73
.LBB204_92:
	ds_load_b32 v10, v9 offset:384
	s_wait_dscnt 0x0
	v_add_f32_e32 v7, v7, v10
	s_wait_alu 0xfffe
	s_or_b32 exec_lo, exec_lo, s0
	s_and_saveexec_b32 s0, vcc_lo
	s_cbranch_execnz .LBB204_74
	s_branch .LBB204_75
	.section	.rodata,"a",@progbits
	.p2align	6, 0x0
	.amdhsa_kernel _ZN4vllm25paged_attention_v2_kernelIfhLi128ELi8ELi128ELNS_18Fp8KVCacheDataTypeE1ELb0ELi512EEEvPfS2_PT_PKS3_PKT0_S9_ifPKiSB_iPKfiiiSD_SD_iiiii
		.amdhsa_group_segment_fixed_size 544
		.amdhsa_private_segment_fixed_size 0
		.amdhsa_kernarg_size 400
		.amdhsa_user_sgpr_count 2
		.amdhsa_user_sgpr_dispatch_ptr 0
		.amdhsa_user_sgpr_queue_ptr 0
		.amdhsa_user_sgpr_kernarg_segment_ptr 1
		.amdhsa_user_sgpr_dispatch_id 0
		.amdhsa_user_sgpr_private_segment_size 0
		.amdhsa_wavefront_size32 1
		.amdhsa_uses_dynamic_stack 0
		.amdhsa_enable_private_segment 0
		.amdhsa_system_sgpr_workgroup_id_x 1
		.amdhsa_system_sgpr_workgroup_id_y 1
		.amdhsa_system_sgpr_workgroup_id_z 1
		.amdhsa_system_sgpr_workgroup_info 0
		.amdhsa_system_vgpr_workitem_id 0
		.amdhsa_next_free_vgpr 83
		.amdhsa_next_free_sgpr 38
		.amdhsa_reserve_vcc 1
		.amdhsa_float_round_mode_32 0
		.amdhsa_float_round_mode_16_64 0
		.amdhsa_float_denorm_mode_32 3
		.amdhsa_float_denorm_mode_16_64 3
		.amdhsa_fp16_overflow 0
		.amdhsa_workgroup_processor_mode 1
		.amdhsa_memory_ordered 1
		.amdhsa_forward_progress 1
		.amdhsa_inst_pref_size 52
		.amdhsa_round_robin_scheduling 0
		.amdhsa_exception_fp_ieee_invalid_op 0
		.amdhsa_exception_fp_denorm_src 0
		.amdhsa_exception_fp_ieee_div_zero 0
		.amdhsa_exception_fp_ieee_overflow 0
		.amdhsa_exception_fp_ieee_underflow 0
		.amdhsa_exception_fp_ieee_inexact 0
		.amdhsa_exception_int_div_zero 0
	.end_amdhsa_kernel
	.section	.text._ZN4vllm25paged_attention_v2_kernelIfhLi128ELi8ELi128ELNS_18Fp8KVCacheDataTypeE1ELb0ELi512EEEvPfS2_PT_PKS3_PKT0_S9_ifPKiSB_iPKfiiiSD_SD_iiiii,"axG",@progbits,_ZN4vllm25paged_attention_v2_kernelIfhLi128ELi8ELi128ELNS_18Fp8KVCacheDataTypeE1ELb0ELi512EEEvPfS2_PT_PKS3_PKT0_S9_ifPKiSB_iPKfiiiSD_SD_iiiii,comdat
.Lfunc_end204:
	.size	_ZN4vllm25paged_attention_v2_kernelIfhLi128ELi8ELi128ELNS_18Fp8KVCacheDataTypeE1ELb0ELi512EEEvPfS2_PT_PKS3_PKT0_S9_ifPKiSB_iPKfiiiSD_SD_iiiii, .Lfunc_end204-_ZN4vllm25paged_attention_v2_kernelIfhLi128ELi8ELi128ELNS_18Fp8KVCacheDataTypeE1ELb0ELi512EEEvPfS2_PT_PKS3_PKT0_S9_ifPKiSB_iPKfiiiSD_SD_iiiii
                                        ; -- End function
	.set _ZN4vllm25paged_attention_v2_kernelIfhLi128ELi8ELi128ELNS_18Fp8KVCacheDataTypeE1ELb0ELi512EEEvPfS2_PT_PKS3_PKT0_S9_ifPKiSB_iPKfiiiSD_SD_iiiii.num_vgpr, 83
	.set _ZN4vllm25paged_attention_v2_kernelIfhLi128ELi8ELi128ELNS_18Fp8KVCacheDataTypeE1ELb0ELi512EEEvPfS2_PT_PKS3_PKT0_S9_ifPKiSB_iPKfiiiSD_SD_iiiii.num_agpr, 0
	.set _ZN4vllm25paged_attention_v2_kernelIfhLi128ELi8ELi128ELNS_18Fp8KVCacheDataTypeE1ELb0ELi512EEEvPfS2_PT_PKS3_PKT0_S9_ifPKiSB_iPKfiiiSD_SD_iiiii.numbered_sgpr, 38
	.set _ZN4vllm25paged_attention_v2_kernelIfhLi128ELi8ELi128ELNS_18Fp8KVCacheDataTypeE1ELb0ELi512EEEvPfS2_PT_PKS3_PKT0_S9_ifPKiSB_iPKfiiiSD_SD_iiiii.num_named_barrier, 0
	.set _ZN4vllm25paged_attention_v2_kernelIfhLi128ELi8ELi128ELNS_18Fp8KVCacheDataTypeE1ELb0ELi512EEEvPfS2_PT_PKS3_PKT0_S9_ifPKiSB_iPKfiiiSD_SD_iiiii.private_seg_size, 0
	.set _ZN4vllm25paged_attention_v2_kernelIfhLi128ELi8ELi128ELNS_18Fp8KVCacheDataTypeE1ELb0ELi512EEEvPfS2_PT_PKS3_PKT0_S9_ifPKiSB_iPKfiiiSD_SD_iiiii.uses_vcc, 1
	.set _ZN4vllm25paged_attention_v2_kernelIfhLi128ELi8ELi128ELNS_18Fp8KVCacheDataTypeE1ELb0ELi512EEEvPfS2_PT_PKS3_PKT0_S9_ifPKiSB_iPKfiiiSD_SD_iiiii.uses_flat_scratch, 0
	.set _ZN4vllm25paged_attention_v2_kernelIfhLi128ELi8ELi128ELNS_18Fp8KVCacheDataTypeE1ELb0ELi512EEEvPfS2_PT_PKS3_PKT0_S9_ifPKiSB_iPKfiiiSD_SD_iiiii.has_dyn_sized_stack, 0
	.set _ZN4vllm25paged_attention_v2_kernelIfhLi128ELi8ELi128ELNS_18Fp8KVCacheDataTypeE1ELb0ELi512EEEvPfS2_PT_PKS3_PKT0_S9_ifPKiSB_iPKfiiiSD_SD_iiiii.has_recursion, 0
	.set _ZN4vllm25paged_attention_v2_kernelIfhLi128ELi8ELi128ELNS_18Fp8KVCacheDataTypeE1ELb0ELi512EEEvPfS2_PT_PKS3_PKT0_S9_ifPKiSB_iPKfiiiSD_SD_iiiii.has_indirect_call, 0
	.section	.AMDGPU.csdata,"",@progbits
; Kernel info:
; codeLenInByte = 6636
; TotalNumSgprs: 40
; NumVgprs: 83
; ScratchSize: 0
; MemoryBound: 0
; FloatMode: 240
; IeeeMode: 1
; LDSByteSize: 544 bytes/workgroup (compile time only)
; SGPRBlocks: 0
; VGPRBlocks: 10
; NumSGPRsForWavesPerEU: 40
; NumVGPRsForWavesPerEU: 83
; Occupancy: 16
; WaveLimiterHint : 1
; COMPUTE_PGM_RSRC2:SCRATCH_EN: 0
; COMPUTE_PGM_RSRC2:USER_SGPR: 2
; COMPUTE_PGM_RSRC2:TRAP_HANDLER: 0
; COMPUTE_PGM_RSRC2:TGID_X_EN: 1
; COMPUTE_PGM_RSRC2:TGID_Y_EN: 1
; COMPUTE_PGM_RSRC2:TGID_Z_EN: 1
; COMPUTE_PGM_RSRC2:TIDIG_COMP_CNT: 0
	.section	.text._ZN4vllm25paged_attention_v2_kernelIfhLi192ELi8ELi128ELNS_18Fp8KVCacheDataTypeE1ELb0ELi512EEEvPfS2_PT_PKS3_PKT0_S9_ifPKiSB_iPKfiiiSD_SD_iiiii,"axG",@progbits,_ZN4vllm25paged_attention_v2_kernelIfhLi192ELi8ELi128ELNS_18Fp8KVCacheDataTypeE1ELb0ELi512EEEvPfS2_PT_PKS3_PKT0_S9_ifPKiSB_iPKfiiiSD_SD_iiiii,comdat
	.protected	_ZN4vllm25paged_attention_v2_kernelIfhLi192ELi8ELi128ELNS_18Fp8KVCacheDataTypeE1ELb0ELi512EEEvPfS2_PT_PKS3_PKT0_S9_ifPKiSB_iPKfiiiSD_SD_iiiii ; -- Begin function _ZN4vllm25paged_attention_v2_kernelIfhLi192ELi8ELi128ELNS_18Fp8KVCacheDataTypeE1ELb0ELi512EEEvPfS2_PT_PKS3_PKT0_S9_ifPKiSB_iPKfiiiSD_SD_iiiii
	.globl	_ZN4vllm25paged_attention_v2_kernelIfhLi192ELi8ELi128ELNS_18Fp8KVCacheDataTypeE1ELb0ELi512EEEvPfS2_PT_PKS3_PKT0_S9_ifPKiSB_iPKfiiiSD_SD_iiiii
	.p2align	8
	.type	_ZN4vllm25paged_attention_v2_kernelIfhLi192ELi8ELi128ELNS_18Fp8KVCacheDataTypeE1ELb0ELi512EEEvPfS2_PT_PKS3_PKT0_S9_ifPKiSB_iPKfiiiSD_SD_iiiii,@function
_ZN4vllm25paged_attention_v2_kernelIfhLi192ELi8ELi128ELNS_18Fp8KVCacheDataTypeE1ELb0ELi512EEEvPfS2_PT_PKS3_PKT0_S9_ifPKiSB_iPKfiiiSD_SD_iiiii: ; @_ZN4vllm25paged_attention_v2_kernelIfhLi192ELi8ELi128ELNS_18Fp8KVCacheDataTypeE1ELb0ELi512EEEvPfS2_PT_PKS3_PKT0_S9_ifPKiSB_iPKfiiiSD_SD_iiiii
; %bb.0:
	s_load_b64 s[2:3], s[0:1], 0x40
	s_and_b32 s15, ttmp7, 0xffff
	s_lshr_b32 s26, ttmp7, 16
	s_lshl_b32 s4, s15, 2
	s_lshl_b32 s29, s26, 9
	s_wait_kmcnt 0x0
	s_load_b32 s28, s[2:3], s4 offset:0x0
	s_wait_kmcnt 0x0
	s_cmp_ge_i32 s29, s28
	s_cbranch_scc1 .LBB205_95
; %bb.1:
	s_clause 0x1
	s_load_b32 s30, s[0:1], 0x90
	s_load_b64 s[8:9], s[0:1], 0x30
	s_wait_kmcnt 0x0
	s_abs_i32 s5, s30
	s_abs_i32 s2, s8
	s_delay_alu instid0(SALU_CYCLE_1) | instskip(SKIP_1) | instid1(SALU_CYCLE_2)
	s_cvt_f32_u32 s3, s2
	s_sub_co_i32 s4, 0, s2
	v_rcp_iflag_f32_e32 v1, s3
	s_delay_alu instid0(TRANS32_DEP_1) | instskip(SKIP_2) | instid1(SALU_CYCLE_2)
	v_readfirstlane_b32 s3, v1
	s_mul_f32 s3, s3, 0x4f7ffffe
	s_wait_alu 0xfffe
	s_cvt_u32_f32 s3, s3
	s_wait_alu 0xfffe
	s_delay_alu instid0(SALU_CYCLE_2) | instskip(NEXT) | instid1(SALU_CYCLE_1)
	s_mul_i32 s4, s4, s3
	s_mul_hi_u32 s4, s3, s4
	s_delay_alu instid0(SALU_CYCLE_1)
	s_add_co_i32 s3, s3, s4
	s_xor_b32 s4, s30, s8
	s_wait_alu 0xfffe
	s_mul_hi_u32 s3, s5, s3
	s_ashr_i32 s4, s4, 31
	s_wait_alu 0xfffe
	s_mul_i32 s6, s3, s2
	s_delay_alu instid0(SALU_CYCLE_1)
	s_sub_co_i32 s5, s5, s6
	s_add_co_i32 s6, s3, 1
	s_sub_co_i32 s7, s5, s2
	s_cmp_ge_u32 s5, s2
	s_cselect_b32 s3, s6, s3
	s_cselect_b32 s5, s7, s5
	s_wait_alu 0xfffe
	s_add_co_i32 s6, s3, 1
	s_cmp_ge_u32 s5, s2
	s_cselect_b32 s2, s6, s3
	s_load_b64 s[6:7], s[0:1], 0x50
	s_xor_b32 s2, s2, s4
	s_mov_b32 s3, 0
	s_wait_alu 0xfffe
	s_sub_co_i32 s11, s2, s4
	s_mov_b32 s8, s3
	s_abs_i32 s10, s11
	s_delay_alu instid0(SALU_CYCLE_1) | instskip(SKIP_1) | instid1(SALU_CYCLE_2)
	s_cvt_f32_u32 s2, s10
	s_wait_alu 0xfffe
	v_rcp_iflag_f32_e32 v1, s2
	s_delay_alu instid0(TRANS32_DEP_1) | instskip(SKIP_2) | instid1(SALU_CYCLE_2)
	v_readfirstlane_b32 s2, v1
	s_mul_f32 s2, s2, 0x4f7ffffe
	s_wait_alu 0xfffe
	s_cvt_u32_f32 s4, s2
	s_sub_co_i32 s2, 0, s10
	s_wait_alu 0xfffe
	s_delay_alu instid0(SALU_CYCLE_1)
	s_mul_i32 s2, s2, s4
	s_wait_alu 0xfffe
	s_mul_hi_u32 s5, s4, s2
	s_abs_i32 s2, ttmp9
	s_add_co_i32 s4, s4, s5
	s_mov_b32 s5, s3
	s_wait_kmcnt 0x0
	s_cmp_eq_u64 s[6:7], 0
	s_cbranch_scc1 .LBB205_3
; %bb.2:
	s_mov_b32 s12, ttmp9
	s_ashr_i32 s13, ttmp9, 31
	s_delay_alu instid0(SALU_CYCLE_1) | instskip(NEXT) | instid1(SALU_CYCLE_1)
	s_lshl_b64 s[12:13], s[12:13], 2
	s_add_nc_u64 s[6:7], s[6:7], s[12:13]
	s_load_b32 s8, s[6:7], 0x0
.LBB205_3:
	s_clause 0x1
	s_load_b32 s27, s[0:1], 0x98
	s_load_b96 s[12:14], s[0:1], 0x58
	v_and_b32_e32 v49, 3, v0
	v_lshlrev_b32_e32 v55, 2, v0
	s_mul_u64 s[4:5], s[2:3], s[4:5]
	s_ashr_i32 s3, ttmp9, 31
	s_ashr_i32 s4, s11, 31
	s_mul_i32 s16, ttmp9, 0xc0
	s_mov_b32 s11, exec_lo
	v_cmpx_gt_u32_e32 0xc0, v0
	s_cbranch_execz .LBB205_6
; %bb.4:
	s_load_b64 s[6:7], s[0:1], 0x18
	s_wait_kmcnt 0x0
	s_mul_i32 s18, s12, s15
	s_ashr_i32 s17, s16, 31
	s_ashr_i32 s19, s18, 31
	v_and_b32_e32 v1, 0x3fc, v0
	s_lshl_b64 s[18:19], s[18:19], 2
	v_cmp_gt_u32_e32 vcc_lo, 64, v0
	s_delay_alu instid0(VALU_DEP_2) | instskip(SKIP_2) | instid1(SALU_CYCLE_1)
	v_mad_u32_u24 v1, 0xc0, v49, v1
	s_add_nc_u64 s[6:7], s[6:7], s[18:19]
	s_lshl_b64 s[18:19], s[16:17], 2
	s_add_nc_u64 s[6:7], s[6:7], s[18:19]
	global_load_b32 v2, v55, s[6:7]
	s_wait_loadcnt 0x0
	ds_store_b32 v1, v2
	s_and_b32 exec_lo, exec_lo, vcc_lo
	s_cbranch_execz .LBB205_6
; %bb.5:
	v_lshrrev_b32_e32 v2, 2, v0
	v_lshlrev_b32_e32 v3, 2, v49
	s_delay_alu instid0(VALU_DEP_2) | instskip(NEXT) | instid1(VALU_DEP_1)
	v_lshlrev_b32_e32 v2, 4, v2
	v_or3_b32 v2, v2, v3, 0x200
	global_load_b32 v2, v2, s[6:7]
	s_wait_loadcnt 0x0
	ds_store_b32 v1, v2 offset:128
.LBB205_6:
	s_or_b32 exec_lo, exec_lo, s11
	s_add_co_i32 s6, s28, 7
	s_wait_alu 0xfffe
	s_xor_b32 s3, s3, s4
	s_ashr_i32 s7, s6, 31
	s_lshl_b32 s31, s26, 6
	s_lshr_b32 s4, s7, 29
	s_mul_i32 s7, s5, s10
	s_add_co_i32 s6, s6, s4
	s_add_co_i32 s4, s31, 64
	s_ashr_i32 s17, s6, 3
	s_load_b32 s6, s[0:1], 0x48
	s_sub_co_i32 s2, s2, s7
	s_wait_kmcnt 0x0
	s_min_i32 s12, s4, s17
	s_add_co_i32 s4, s5, 1
	s_wait_alu 0xfffe
	s_sub_co_i32 s7, s2, s10
	s_cmp_ge_u32 s2, s10
	v_lshrrev_b32_e32 v53, 5, v0
	s_cselect_b32 s4, s4, s5
	s_cselect_b32 s2, s7, s2
	s_add_co_i32 s5, s4, 1
	s_wait_alu 0xfffe
	s_cmp_ge_u32 s2, s10
	v_or_b32_e32 v54, s31, v53
	s_cselect_b32 s2, s5, s4
	v_mbcnt_lo_u32_b32 v57, -1, 0
	s_wait_alu 0xfffe
	s_xor_b32 s2, s2, s3
	s_mov_b32 s4, exec_lo
	s_wait_alu 0xfffe
	s_sub_co_i32 s3, s2, s3
	v_cmp_gt_i32_e64 s2, s12, v54
	s_wait_dscnt 0x0
	s_barrier_signal -1
	s_mul_i32 s18, s6, s15
	s_barrier_wait -1
	s_ashr_i32 s19, s18, 31
	global_inv scope:SCOPE_SE
                                        ; implicit-def: $vgpr58
                                        ; implicit-def: $vgpr59
	v_cmpx_le_i32_e64 s12, v54
	s_xor_b32 s4, exec_lo, s4
; %bb.7:
	v_dual_mov_b32 v58, 0 :: v_dual_mov_b32 v59, 32
	v_mbcnt_lo_u32_b32 v57, -1, 0
                                        ; implicit-def: $vgpr49
; %bb.8:
	s_or_saveexec_b32 s10, s4
	s_clause 0x1
	s_load_b64 s[20:21], s[0:1], 0x38
	s_load_b128 s[4:7], s[0:1], 0x68
	v_mov_b32_e32 v60, 0xff7fffff
	v_lshlrev_b32_e32 v56, 2, v54
	s_mul_i32 s22, s3, s14
	s_xor_b32 exec_lo, exec_lo, s10
	s_cbranch_execz .LBB205_14
; %bb.9:
	s_load_b64 s[24:25], s[0:1], 0x20
	v_xor_b32_e32 v41, 2, v57
	v_mul_u32_u24_e32 v45, 0xc0, v49
	v_bfe_u32 v51, v0, 2, 3
	v_xor_b32_e32 v42, 1, v57
	ds_load_b128 v[1:4], v45
	ds_load_b128 v[5:8], v45 offset:16
	ds_load_b128 v[9:12], v45 offset:32
	;; [unrolled: 1-line block ×9, first 2 shown]
	v_cmp_gt_i32_e32 vcc_lo, 32, v41
	v_dual_mov_b32 v58, 0 :: v_dual_lshlrev_b32 v43, 4, v51
	s_ashr_i32 s23, s22, 31
	v_dual_mov_b32 v59, 32 :: v_dual_cndmask_b32 v60, v57, v41
	v_cmp_gt_i32_e32 vcc_lo, 32, v42
	s_cmp_neq_f32 s8, 0
	v_lshlrev_b32_e32 v63, 3, v53
	s_mov_b32 s14, 0
	s_wait_alu 0xfffd
	v_dual_cndmask_b32 v62, v57, v42 :: v_dual_lshlrev_b32 v61, 2, v60
	s_wait_kmcnt 0x0
	s_add_nc_u64 s[24:25], s[24:25], s[22:23]
	v_lshlrev_b32_e32 v60, 2, v51
	v_add_co_u32 v50, s3, s24, v43
	ds_load_b128 v[41:44], v45 offset:160
	ds_load_b128 v[45:48], v45 offset:176
	s_load_b32 s11, s[4:5], 0x0
	v_add_co_ci_u32_e64 v52, null, s25, 0, s3
	v_cmp_eq_u32_e32 vcc_lo, 0, v49
	v_add_co_u32 v49, s4, v50, v49
	v_lshl_or_b32 v60, v53, 5, v60
	s_cselect_b32 s3, -1, 0
	v_add_co_ci_u32_e64 v50, null, 0, v52, s4
	s_lshl_b64 s[4:5], s[18:19], 2
	v_add_nc_u32_e32 v64, 0x320, v60
	s_wait_alu 0xfffe
	s_add_nc_u64 s[4:5], s[20:21], s[4:5]
	v_mov_b32_e32 v60, 0xff7fffff
	v_add3_u32 v63, s29, v63, v51
	s_wait_alu 0xfffe
	v_add_co_u32 v51, s4, s4, v56
	v_dual_mov_b32 v65, v54 :: v_dual_lshlrev_b32 v62, 2, v62
	s_wait_alu 0xf1ff
	v_add_co_ci_u32_e64 v52, null, s5, 0, s4
	s_mov_b32 s23, s13
	s_sub_co_i32 s24, 1, s28
	s_branch .LBB205_11
.LBB205_10:                             ;   in Loop: Header=BB205_11 Depth=1
	s_wait_alu 0xfffe
	s_or_b32 exec_lo, exec_lo, s5
	v_add_nc_u32_e32 v65, 4, v65
	v_add_co_u32 v51, s5, v51, 16
	v_add_nc_u32_e32 v63, 32, v63
	v_add_nc_u32_e32 v64, 0x80, v64
	s_delay_alu instid0(VALU_DEP_4) | instskip(SKIP_3) | instid1(SALU_CYCLE_1)
	v_cmp_le_i32_e64 s4, s12, v65
	s_wait_alu 0xf1ff
	v_add_co_ci_u32_e64 v52, null, 0, v52, s5
	s_or_b32 s14, s4, s14
	s_and_not1_b32 exec_lo, exec_lo, s14
	s_cbranch_execz .LBB205_13
.LBB205_11:                             ; =>This Inner Loop Header: Depth=1
	global_load_b32 v66, v[51:52], off
	s_wait_loadcnt_dscnt 0x0
	v_mad_co_i64_i32 v[66:67], null, v66, s23, v[49:50]
	s_clause 0x1f
	global_load_u8 v68, v[66:67], off offset:4
	global_load_u8 v69, v[66:67], off offset:8
	;; [unrolled: 1-line block ×7, first 2 shown]
	global_load_u8 v75, v[66:67], off
	global_load_u8 v76, v[66:67], off offset:256
	global_load_u8 v77, v[66:67], off offset:260
	;; [unrolled: 1-line block ×24, first 2 shown]
	s_clause 0xf
	global_load_u8 v100, v[66:67], off offset:1024
	global_load_u8 v101, v[66:67], off offset:1028
	;; [unrolled: 1-line block ×16, first 2 shown]
	s_wait_loadcnt 0x2f
	v_cvt_f32_fp8_e32 v67, v68
	s_wait_loadcnt 0x2e
	v_cvt_f32_fp8_e32 v69, v69
	;; [unrolled: 2-line block ×4, first 2 shown]
	s_wait_kmcnt 0x0
	s_delay_alu instid0(VALU_DEP_2) | instskip(SKIP_1) | instid1(VALU_DEP_1)
	v_dual_mul_f32 v67, s11, v67 :: v_dual_mul_f32 v70, s11, v70
	s_wait_dscnt 0xb
	v_dual_mul_f32 v68, s11, v68 :: v_dual_mul_f32 v67, v2, v67
	s_delay_alu instid0(VALU_DEP_1) | instskip(SKIP_1) | instid1(VALU_DEP_1)
	v_fmac_f32_e32 v67, v1, v68
	v_cvt_f32_fp8_e32 v68, v71
	v_dual_mul_f32 v69, s11, v69 :: v_dual_mul_f32 v68, s11, v68
	s_delay_alu instid0(VALU_DEP_1) | instskip(SKIP_1) | instid1(VALU_DEP_2)
	v_fmac_f32_e32 v67, v3, v69
	v_cvt_f32_fp8_e32 v69, v72
	v_fmac_f32_e32 v67, v4, v70
	v_cvt_f32_fp8_e32 v70, v73
	s_delay_alu instid0(VALU_DEP_3) | instskip(SKIP_1) | instid1(VALU_DEP_3)
	v_mul_f32_e32 v69, s11, v69
	s_wait_dscnt 0xa
	v_fmac_f32_e32 v67, v5, v68
	v_cvt_f32_fp8_e32 v68, v74
	s_delay_alu instid0(VALU_DEP_2) | instskip(SKIP_2) | instid1(VALU_DEP_2)
	v_dual_mul_f32 v70, s11, v70 :: v_dual_fmac_f32 v67, v6, v69
	s_wait_loadcnt 0x27
	v_cvt_f32_fp8_e32 v69, v76
	v_dual_mul_f32 v68, s11, v68 :: v_dual_fmac_f32 v67, v7, v70
	s_wait_loadcnt 0x26
	v_cvt_f32_fp8_e32 v70, v77
	s_delay_alu instid0(VALU_DEP_3)
	v_mul_f32_e32 v69, s11, v69
	s_wait_loadcnt 0x0
	v_cvt_f32_fp8_e32 v66, v66
	v_fmac_f32_e32 v67, v8, v68
	v_cvt_f32_fp8_e32 v68, v78
	v_mul_f32_e32 v70, s11, v70
	s_wait_dscnt 0x9
	s_delay_alu instid0(VALU_DEP_3) | instskip(SKIP_1) | instid1(VALU_DEP_2)
	v_dual_mul_f32 v66, s11, v66 :: v_dual_fmac_f32 v67, v9, v69
	v_cvt_f32_fp8_e32 v69, v79
	v_dual_mul_f32 v68, s11, v68 :: v_dual_fmac_f32 v67, v10, v70
	v_cvt_f32_fp8_e32 v70, v80
	s_delay_alu instid0(VALU_DEP_3) | instskip(NEXT) | instid1(VALU_DEP_3)
	v_mul_f32_e32 v69, s11, v69
	v_fmac_f32_e32 v67, v11, v68
	v_cvt_f32_fp8_e32 v68, v81
	s_delay_alu instid0(VALU_DEP_2) | instskip(SKIP_2) | instid1(VALU_DEP_2)
	v_dual_mul_f32 v70, s11, v70 :: v_dual_fmac_f32 v67, v12, v69
	v_cvt_f32_fp8_e32 v69, v82
	s_wait_dscnt 0x8
	v_dual_mul_f32 v68, s11, v68 :: v_dual_fmac_f32 v67, v13, v70
	v_cvt_f32_fp8_e32 v70, v83
	s_delay_alu instid0(VALU_DEP_3) | instskip(NEXT) | instid1(VALU_DEP_3)
	v_mul_f32_e32 v69, s11, v69
	v_fmac_f32_e32 v67, v14, v68
	v_cvt_f32_fp8_e32 v68, v84
	s_delay_alu instid0(VALU_DEP_2) | instskip(SKIP_1) | instid1(VALU_DEP_2)
	v_dual_mul_f32 v70, s11, v70 :: v_dual_fmac_f32 v67, v15, v69
	v_cvt_f32_fp8_e32 v69, v85
	v_dual_mul_f32 v68, s11, v68 :: v_dual_fmac_f32 v67, v16, v70
	s_delay_alu instid0(VALU_DEP_2) | instskip(SKIP_2) | instid1(VALU_DEP_3)
	v_mul_f32_e32 v69, s11, v69
	v_cvt_f32_fp8_e32 v70, v87
	s_wait_dscnt 0x7
	v_fmac_f32_e32 v67, v17, v68
	v_cvt_f32_fp8_e32 v68, v86
	s_delay_alu instid0(VALU_DEP_2) | instskip(NEXT) | instid1(VALU_DEP_2)
	v_dual_mul_f32 v70, s11, v70 :: v_dual_fmac_f32 v67, v18, v69
	v_mul_f32_e32 v68, s11, v68
	v_cvt_f32_fp8_e32 v69, v88
	s_delay_alu instid0(VALU_DEP_1) | instskip(SKIP_1) | instid1(VALU_DEP_2)
	v_dual_fmac_f32 v67, v19, v68 :: v_dual_mul_f32 v68, s11, v69
	v_cvt_f32_fp8_e32 v69, v89
	v_fmac_f32_e32 v67, v20, v70
	v_cvt_f32_fp8_e32 v70, v90
	s_delay_alu instid0(VALU_DEP_3) | instskip(SKIP_1) | instid1(VALU_DEP_2)
	v_mul_f32_e32 v69, s11, v69
	s_wait_dscnt 0x6
	v_dual_fmac_f32 v67, v21, v68 :: v_dual_mul_f32 v68, s11, v70
	v_cvt_f32_fp8_e32 v70, v91
	s_delay_alu instid0(VALU_DEP_2) | instskip(SKIP_1) | instid1(VALU_DEP_2)
	v_fmac_f32_e32 v67, v22, v69
	v_cvt_f32_fp8_e32 v69, v92
	v_dual_mul_f32 v70, s11, v70 :: v_dual_fmac_f32 v67, v23, v68
	s_delay_alu instid0(VALU_DEP_2) | instskip(SKIP_1) | instid1(VALU_DEP_3)
	v_mul_f32_e32 v68, s11, v69
	v_cvt_f32_fp8_e32 v69, v93
	v_fmac_f32_e32 v67, v24, v70
	v_cvt_f32_fp8_e32 v70, v94
	s_delay_alu instid0(VALU_DEP_3) | instskip(SKIP_1) | instid1(VALU_DEP_2)
	v_mul_f32_e32 v69, s11, v69
	s_wait_dscnt 0x5
	v_dual_fmac_f32 v67, v25, v68 :: v_dual_mul_f32 v68, s11, v70
	v_cvt_f32_fp8_e32 v70, v95
	s_delay_alu instid0(VALU_DEP_2) | instskip(SKIP_1) | instid1(VALU_DEP_2)
	v_fmac_f32_e32 v67, v26, v69
	v_cvt_f32_fp8_e32 v69, v96
	v_dual_mul_f32 v70, s11, v70 :: v_dual_fmac_f32 v67, v27, v68
	s_delay_alu instid0(VALU_DEP_2) | instskip(SKIP_1) | instid1(VALU_DEP_3)
	v_mul_f32_e32 v68, s11, v69
	;; [unrolled: 14-line block ×6, first 2 shown]
	v_cvt_f32_fp8_e32 v69, v113
	v_fmac_f32_e32 v67, v44, v70
	v_cvt_f32_fp8_e32 v70, v114
	s_delay_alu instid0(VALU_DEP_3) | instskip(SKIP_1) | instid1(VALU_DEP_2)
	v_mul_f32_e32 v69, s11, v69
	s_wait_dscnt 0x0
	v_dual_fmac_f32 v67, v45, v68 :: v_dual_mul_f32 v68, s11, v70
	s_delay_alu instid0(VALU_DEP_1) | instskip(NEXT) | instid1(VALU_DEP_1)
	v_fmac_f32_e32 v67, v46, v69
	v_fmac_f32_e32 v67, v47, v68
	s_delay_alu instid0(VALU_DEP_1)
	v_fmac_f32_e32 v67, v48, v66
	ds_bpermute_b32 v66, v61, v67
	s_wait_dscnt 0x0
	v_add_f32_e32 v66, v67, v66
	ds_bpermute_b32 v67, v62, v66
	s_and_saveexec_b32 s5, vcc_lo
	s_cbranch_execz .LBB205_10
; %bb.12:                               ;   in Loop: Header=BB205_11 Depth=1
	s_wait_dscnt 0x0
	v_add_f32_e32 v66, v66, v67
	s_wait_alu 0xfffe
	v_add_nc_u32_e32 v68, s24, v63
	v_cmp_gt_i32_e64 s4, s28, v63
	s_delay_alu instid0(VALU_DEP_2) | instskip(NEXT) | instid1(VALU_DEP_1)
	v_cvt_f32_i32_e32 v68, v68
	v_mul_f32_e32 v68, s8, v68
	s_delay_alu instid0(VALU_DEP_1) | instskip(NEXT) | instid1(VALU_DEP_1)
	v_cndmask_b32_e64 v67, 0, v68, s3
	v_dual_max_num_f32 v68, v60, v60 :: v_dual_fmac_f32 v67, s9, v66
	s_delay_alu instid0(VALU_DEP_1) | instskip(SKIP_2) | instid1(VALU_DEP_2)
	v_max_num_f32_e32 v66, v68, v67
	s_wait_alu 0xf1ff
	v_cndmask_b32_e64 v67, 0, v67, s4
	v_cndmask_b32_e64 v60, v60, v66, s4
	ds_store_b32 v64, v67
	s_branch .LBB205_10
.LBB205_13:
	s_or_b32 exec_lo, exec_lo, s14
.LBB205_14:
	s_delay_alu instid0(SALU_CYCLE_1)
	s_or_b32 exec_lo, exec_lo, s10
	v_xor_b32_e32 v1, 16, v57
	v_xor_b32_e32 v3, 8, v57
	s_load_b128 s[8:11], s[0:1], 0x0
	s_wait_kmcnt 0x0
	s_clause 0x1
	s_load_b64 s[4:5], s[0:1], 0x10
	s_load_b64 s[24:25], s[0:1], 0x28
	v_and_b32_e32 v11, 31, v0
	v_max_num_f32_e32 v5, v60, v60
	v_cmp_lt_i32_e32 vcc_lo, v1, v59
	s_wait_alu 0xfffd
	v_cndmask_b32_e32 v1, v57, v1, vcc_lo
	v_cmp_lt_i32_e32 vcc_lo, v3, v59
	s_wait_alu 0xfffd
	v_cndmask_b32_e32 v3, v57, v3, vcc_lo
	s_delay_alu instid0(VALU_DEP_1) | instskip(SKIP_4) | instid1(VALU_DEP_1)
	v_lshlrev_b32_e32 v4, 2, v3
	v_lshlrev_b32_e32 v2, 2, v1
	ds_bpermute_b32 v1, v2, v60
	s_wait_dscnt 0x0
	v_max_num_f32_e32 v1, v1, v1
	v_max_num_f32_e32 v1, v5, v1
	v_xor_b32_e32 v5, 4, v57
	ds_bpermute_b32 v3, v4, v1
	v_cmp_lt_i32_e32 vcc_lo, v5, v59
	s_wait_alu 0xfffd
	v_cndmask_b32_e32 v5, v57, v5, vcc_lo
	v_cmp_eq_u32_e32 vcc_lo, 0, v11
	s_delay_alu instid0(VALU_DEP_2) | instskip(SKIP_3) | instid1(VALU_DEP_1)
	v_lshlrev_b32_e32 v7, 2, v5
	v_lshlrev_b32_e32 v5, 2, v53
	s_wait_dscnt 0x0
	v_max_num_f32_e32 v3, v3, v3
	v_max_num_f32_e32 v1, v1, v3
	ds_bpermute_b32 v3, v7, v1
	s_and_saveexec_b32 s0, vcc_lo
	s_cbranch_execz .LBB205_16
; %bb.15:
	s_wait_dscnt 0x0
	v_max_num_f32_e32 v3, v3, v3
	v_max_num_f32_e32 v1, v1, v1
	s_delay_alu instid0(VALU_DEP_1)
	v_max_num_f32_e32 v1, v1, v3
	ds_store_b32 v5, v1 offset:768
.LBB205_16:
	s_or_b32 exec_lo, exec_lo, s0
	v_cmp_gt_u32_e64 s0, 4, v11
	v_dual_mov_b32 v1, 0xff7fffff :: v_dual_lshlrev_b32 v6, 2, v11
	s_wait_loadcnt_dscnt 0x0
	s_barrier_signal -1
	s_barrier_wait -1
	global_inv scope:SCOPE_SE
	s_and_saveexec_b32 s1, s0
; %bb.17:
	ds_load_b32 v1, v6 offset:768
; %bb.18:
	s_or_b32 exec_lo, exec_lo, s1
	v_xor_b32_e32 v3, 2, v57
	v_xor_b32_e32 v9, 1, v57
	s_delay_alu instid0(VALU_DEP_2) | instskip(NEXT) | instid1(VALU_DEP_1)
	v_cmp_lt_i32_e64 s1, v3, v59
	v_cndmask_b32_e64 v3, v57, v3, s1
	s_delay_alu instid0(VALU_DEP_3) | instskip(NEXT) | instid1(VALU_DEP_2)
	v_cmp_lt_i32_e64 s1, v9, v59
	v_lshlrev_b32_e32 v8, 2, v3
	s_wait_alu 0xf1ff
	s_delay_alu instid0(VALU_DEP_2)
	v_cndmask_b32_e64 v9, v57, v9, s1
	s_sub_co_i32 s1, s12, s31
	s_wait_alu 0xfffe
	s_lshl_b32 s1, s1, 3
	s_wait_dscnt 0x0
	ds_bpermute_b32 v3, v8, v1
	v_max_num_f32_e32 v1, v1, v1
	s_wait_alu 0xfffe
	s_add_co_i32 s1, s1, s29
	v_lshlrev_b32_e32 v12, 2, v9
	s_wait_alu 0xfffe
	s_min_i32 s1, s1, s28
	v_mov_b32_e32 v9, 0
	s_wait_alu 0xfffe
	s_sub_co_i32 s14, s1, s29
	s_delay_alu instid0(SALU_CYCLE_1) | instskip(SKIP_2) | instid1(VALU_DEP_1)
	v_cmp_gt_i32_e64 s1, s14, v0
	s_wait_dscnt 0x0
	v_max_num_f32_e32 v3, v3, v3
	v_max_num_f32_e32 v1, v1, v3
	ds_bpermute_b32 v3, v12, v1
	s_wait_dscnt 0x0
	v_max_num_f32_e32 v3, v3, v3
	s_delay_alu instid0(VALU_DEP_1)
	v_max_num_f32_e32 v1, v1, v3
	v_lshlrev_b32_e32 v3, 2, v58
	ds_bpermute_b32 v1, v3, v1
	v_lshl_add_u32 v3, v0, 2, 0x320
	s_and_saveexec_b32 s23, s1
	s_cbranch_execz .LBB205_22
; %bb.19:
	v_lshl_add_u32 v10, v0, 2, 0x320
	v_mov_b32_e32 v9, 0
	v_mov_b32_e32 v13, v0
	s_mov_b32 s31, 0
.LBB205_20:                             ; =>This Inner Loop Header: Depth=1
	ds_load_b32 v14, v10
	v_add_nc_u32_e32 v13, 0x80, v13
	s_delay_alu instid0(VALU_DEP_1) | instskip(SKIP_4) | instid1(VALU_DEP_1)
	v_cmp_le_i32_e64 s3, s14, v13
	s_wait_alu 0xfffe
	s_or_b32 s31, s3, s31
	s_wait_dscnt 0x0
	v_sub_f32_e32 v14, v14, v1
	v_mul_f32_e32 v14, 0x3fb8aa3b, v14
	s_delay_alu instid0(VALU_DEP_1)
	v_exp_f32_e32 v14, v14
	ds_store_b32 v10, v14
	v_add_f32_e32 v9, v9, v14
	v_add_nc_u32_e32 v10, 0x200, v10
	s_wait_alu 0xfffe
	s_and_not1_b32 exec_lo, exec_lo, s31
	s_cbranch_execnz .LBB205_20
; %bb.21:
	s_or_b32 exec_lo, exec_lo, s31
.LBB205_22:
	s_wait_alu 0xfffe
	s_or_b32 exec_lo, exec_lo, s23
	ds_bpermute_b32 v2, v2, v9
	s_wait_dscnt 0x0
	v_add_f32_e32 v2, v9, v2
	ds_bpermute_b32 v4, v4, v2
	s_wait_dscnt 0x0
	v_add_f32_e32 v2, v2, v4
	;; [unrolled: 3-line block ×5, first 2 shown]
	s_and_saveexec_b32 s3, vcc_lo
; %bb.23:
	ds_store_b32 v5, v2 offset:784
; %bb.24:
	s_wait_alu 0xfffe
	s_or_b32 exec_lo, exec_lo, s3
	s_wait_loadcnt_dscnt 0x0
	s_barrier_signal -1
	s_barrier_wait -1
	global_inv scope:SCOPE_SE
	s_and_saveexec_b32 s3, s0
; %bb.25:
	ds_load_b32 v2, v6 offset:784
; %bb.26:
	s_wait_alu 0xfffe
	s_or_b32 exec_lo, exec_lo, s3
	s_wait_dscnt 0x0
	ds_bpermute_b32 v4, v8, v2
	s_wait_dscnt 0x0
	v_dual_add_f32 v2, v2, v4 :: v_dual_lshlrev_b32 v5, 2, v57
	ds_bpermute_b32 v4, v12, v2
	s_wait_dscnt 0x0
	v_add_f32_e32 v2, v2, v4
	v_and_b32_e32 v4, 0xffffff80, v5
	ds_bpermute_b32 v2, v4, v2
	s_and_saveexec_b32 s0, s1
	s_cbranch_execz .LBB205_29
; %bb.27:
	s_wait_dscnt 0x0
	v_add_f32_e32 v4, 0x358637bd, v2
	s_mov_b32 s1, 0
	s_delay_alu instid0(VALU_DEP_1) | instskip(SKIP_1) | instid1(VALU_DEP_2)
	v_div_scale_f32 v5, null, v4, v4, 1.0
	v_div_scale_f32 v8, vcc_lo, 1.0, v4, 1.0
	v_rcp_f32_e32 v6, v5
	s_delay_alu instid0(TRANS32_DEP_1) | instskip(NEXT) | instid1(VALU_DEP_1)
	v_fma_f32 v7, -v5, v6, 1.0
	v_fmac_f32_e32 v6, v7, v6
	s_delay_alu instid0(VALU_DEP_1) | instskip(NEXT) | instid1(VALU_DEP_1)
	v_mul_f32_e32 v7, v8, v6
	v_fma_f32 v9, -v5, v7, v8
	s_delay_alu instid0(VALU_DEP_1) | instskip(NEXT) | instid1(VALU_DEP_1)
	v_fmac_f32_e32 v7, v9, v6
	v_fma_f32 v5, -v5, v7, v8
	s_wait_alu 0xfffd
	s_delay_alu instid0(VALU_DEP_1) | instskip(NEXT) | instid1(VALU_DEP_1)
	v_div_fmas_f32 v5, v5, v6, v7
	v_div_fixup_f32 v4, v5, v4, 1.0
	v_mov_b32_e32 v5, v0
.LBB205_28:                             ; =>This Inner Loop Header: Depth=1
	ds_load_b32 v6, v3
	s_wait_dscnt 0x0
	v_dual_mul_f32 v6, v4, v6 :: v_dual_add_nc_u32 v5, 0x80, v5
	s_delay_alu instid0(VALU_DEP_1)
	v_cmp_le_i32_e32 vcc_lo, s14, v5
	ds_store_b32 v3, v6
	v_add_nc_u32_e32 v3, 0x200, v3
	s_wait_alu 0xfffe
	s_or_b32 s1, vcc_lo, s1
	s_wait_alu 0xfffe
	s_and_not1_b32 exec_lo, exec_lo, s1
	s_cbranch_execnz .LBB205_28
.LBB205_29:
	s_wait_alu 0xfffe
	s_or_b32 exec_lo, exec_lo, s0
	s_mul_i32 s0, s27, s15
	s_wait_loadcnt_dscnt 0x0
	s_wait_alu 0xfffe
	s_mul_i32 s14, s0, s30
	s_mov_b32 s0, exec_lo
	s_barrier_signal -1
	s_barrier_wait -1
	global_inv scope:SCOPE_SE
	v_cmpx_eq_u32_e32 0, v0
	s_cbranch_execz .LBB205_31
; %bb.30:
	s_wait_alu 0xfffe
	s_ashr_i32 s15, s14, 31
	s_mul_i32 s30, s27, ttmp9
	s_lshl_b32 s1, s26, 2
	s_wait_alu 0xfffe
	s_lshl_b64 s[34:35], s[14:15], 2
	s_ashr_i32 s31, s30, 31
	v_mov_b32_e32 v3, s1
	s_add_nc_u64 s[10:11], s[10:11], s[34:35]
	s_wait_alu 0xfffe
	s_lshl_b64 s[30:31], s[30:31], 2
	s_add_nc_u64 s[8:9], s[8:9], s[34:35]
	s_wait_alu 0xfffe
	s_add_nc_u64 s[10:11], s[10:11], s[30:31]
	s_add_nc_u64 s[8:9], s[8:9], s[30:31]
	s_clause 0x1
	global_store_b32 v3, v1, s[10:11]
	global_store_b32 v3, v2, s[8:9]
.LBB205_31:
	s_wait_alu 0xfffe
	s_or_b32 exec_lo, exec_lo, s0
	v_dual_mov_b32 v23, 0 :: v_dual_mov_b32 v24, 0
	v_dual_mov_b32 v22, 0 :: v_dual_and_b32 v13, 1, v0
	v_dual_mov_b32 v25, 0 :: v_dual_mov_b32 v20, 0
	v_dual_mov_b32 v21, 0 :: v_dual_mov_b32 v18, 0
	;; [unrolled: 1-line block ×4, first 2 shown]
	v_mov_b32_e32 v15, 0
	s_and_saveexec_b32 s1, s2
	s_cbranch_execz .LBB205_59
; %bb.32:
	s_load_b32 s3, s[6:7], 0x0
	v_dual_mov_b32 v15, 0 :: v_dual_lshlrev_b32 v2, 4, v13
	v_dual_mov_b32 v16, 0 :: v_dual_and_b32 v3, 0x7c, v55
	s_ashr_i32 s23, s22, 31
	s_lshl_b64 s[6:7], s[18:19], 2
	s_wait_kmcnt 0x0
	s_wait_alu 0xfffe
	s_add_nc_u64 s[8:9], s[24:25], s[22:23]
	v_dual_mov_b32 v14, 0 :: v_dual_and_b32 v1, 4, v55
	v_lshl_add_u32 v4, v53, 3, s29
	v_lshl_or_b32 v2, v53, 5, v2
	s_wait_alu 0xfffe
	v_add_co_u32 v5, s0, s8, v3
	s_add_nc_u64 s[6:7], s[20:21], s[6:7]
	s_wait_alu 0xf1ff
	v_add_co_ci_u32_e64 v6, null, s9, 0, s0
	v_add_co_u32 v7, s0, s6, v56
	v_add3_u32 v26, v4, v1, 3
	v_dual_mov_b32 v18, 0 :: v_dual_add_nc_u32 v27, 0x320, v2
	s_wait_alu 0xf1ff
	v_add_co_ci_u32_e64 v8, null, s7, 0, s0
	v_dual_mov_b32 v17, 0 :: v_dual_mov_b32 v20, 0
	v_dual_mov_b32 v19, 0 :: v_dual_mov_b32 v22, 0
	;; [unrolled: 1-line block ×3, first 2 shown]
	v_mov_b32_e32 v25, 0
	v_mov_b32_e32 v23, 0
	s_mov_b32 s2, s13
	s_mov_b32 s6, s3
	s_add_co_i32 s17, s17, -1
	s_mov_b32 s7, 0
	s_branch .LBB205_34
.LBB205_33:                             ;   in Loop: Header=BB205_34 Depth=1
	s_wait_alu 0xfffe
	s_or_b32 exec_lo, exec_lo, s0
	s_wait_dscnt 0x0
	v_mul_f32_e32 v43, v1, v76
	v_mul_f32_e32 v42, v1, v78
	v_add_co_u32 v7, s0, v7, 16
	s_delay_alu instid0(VALU_DEP_3) | instskip(SKIP_1) | instid1(VALU_DEP_4)
	v_dual_fmac_f32 v43, v2, v73 :: v_dual_add_nc_u32 v26, 32, v26
	v_mul_f32_e32 v44, v1, v68
	v_fmac_f32_e32 v42, v2, v77
	s_wait_alu 0xf1ff
	v_add_co_ci_u32_e64 v8, null, 0, v8, s0
	s_delay_alu instid0(VALU_DEP_3)
	v_dual_fmac_f32 v43, v3, v70 :: v_dual_fmac_f32 v44, v2, v67
	v_mul_f32_e32 v64, v1, v64
	v_mul_f32_e32 v31, v1, v31
	;; [unrolled: 1-line block ×4, first 2 shown]
	v_dual_fmac_f32 v44, v3, v66 :: v_dual_fmac_f32 v43, v4, v69
	s_delay_alu instid0(VALU_DEP_4) | instskip(SKIP_1) | instid1(VALU_DEP_3)
	v_fmac_f32_e32 v31, v2, v30
	v_fmac_f32_e32 v64, v2, v63
	v_dual_fmac_f32 v39, v2, v38 :: v_dual_fmac_f32 v44, v4, v65
	v_fmac_f32_e32 v42, v3, v75
	s_delay_alu instid0(VALU_DEP_4) | instskip(NEXT) | instid1(VALU_DEP_3)
	v_dual_fmac_f32 v31, v3, v29 :: v_dual_add_nc_u32 v54, 4, v54
	v_fmac_f32_e32 v39, v3, v37
	s_delay_alu instid0(VALU_DEP_3) | instskip(SKIP_1) | instid1(VALU_DEP_4)
	v_dual_add_f32 v17, v17, v44 :: v_dual_fmac_f32 v42, v4, v74
	v_mul_f32_e32 v60, v1, v60
	v_fmac_f32_e32 v31, v4, v28
	s_delay_alu instid0(VALU_DEP_4) | instskip(SKIP_1) | instid1(VALU_DEP_4)
	v_fmac_f32_e32 v39, v4, v36
	v_cmp_le_i32_e32 vcc_lo, s12, v54
	v_dual_add_f32 v15, v15, v42 :: v_dual_fmac_f32 v60, v2, v59
	s_delay_alu instid0(VALU_DEP_4) | instskip(SKIP_2) | instid1(VALU_DEP_4)
	v_dual_mul_f32 v42, v1, v46 :: v_dual_add_f32 v23, v23, v31
	v_mul_f32_e32 v35, v1, v35
	v_add_f32_e32 v16, v16, v43
	v_fmac_f32_e32 v60, v3, v58
	v_add_f32_e32 v24, v24, v39
	s_or_b32 s7, vcc_lo, s7
	v_fmac_f32_e32 v35, v2, v34
	v_fmac_f32_e32 v56, v2, v55
	;; [unrolled: 1-line block ×3, first 2 shown]
	v_mul_f32_e32 v50, v1, v50
	v_dual_mul_f32 v1, v1, v72 :: v_dual_fmac_f32 v64, v3, v62
	v_fmac_f32_e32 v35, v3, v33
	s_delay_alu instid0(VALU_DEP_3) | instskip(SKIP_1) | instid1(VALU_DEP_4)
	v_dual_add_f32 v19, v19, v60 :: v_dual_fmac_f32 v50, v2, v49
	v_fmac_f32_e32 v42, v2, v45
	v_dual_fmac_f32 v1, v2, v71 :: v_dual_fmac_f32 v64, v4, v61
	v_add_nc_u32_e32 v27, 0x80, v27
	v_fmac_f32_e32 v35, v4, v32
	v_fmac_f32_e32 v50, v3, v48
	;; [unrolled: 1-line block ×5, first 2 shown]
	v_dual_add_f32 v18, v18, v64 :: v_dual_add_f32 v25, v25, v35
	v_fmac_f32_e32 v50, v4, v47
	v_fmac_f32_e32 v42, v4, v40
	;; [unrolled: 1-line block ×3, first 2 shown]
	s_delay_alu instid0(VALU_DEP_3) | instskip(NEXT) | instid1(VALU_DEP_3)
	v_dual_fmac_f32 v56, v4, v51 :: v_dual_add_f32 v21, v21, v50
	v_add_f32_e32 v22, v22, v42
	s_delay_alu instid0(VALU_DEP_3) | instskip(NEXT) | instid1(VALU_DEP_3)
	v_add_f32_e32 v14, v14, v1
	v_add_f32_e32 v20, v20, v56
	s_wait_alu 0xfffe
	s_and_not1_b32 exec_lo, exec_lo, s7
	s_cbranch_execz .LBB205_58
.LBB205_34:                             ; =>This Inner Loop Header: Depth=1
	global_load_b32 v1, v[7:8], off
	v_cmp_eq_u32_e32 vcc_lo, s17, v54
	v_add_nc_u32_e32 v44, -1, v26
	s_wait_loadcnt 0x0
	s_wait_alu 0xfffe
	v_mad_co_i64_i32 v[9:10], null, v1, s2, v[5:6]
	ds_load_b128 v[1:4], v27
	global_load_b32 v28, v[9:10], off
	s_wait_loadcnt 0x0
	v_lshrrev_b32_e32 v30, 16, v28
	s_delay_alu instid0(VALU_DEP_1) | instskip(SKIP_1) | instid1(VALU_DEP_1)
	v_cvt_pk_f32_fp8_e32 v[32:33], v30
	v_and_b32_e32 v29, 0xffff, v28
	v_cvt_pk_f32_fp8_e32 v[28:29], v29
	v_add_nc_u32_e32 v42, -3, v26
	s_delay_alu instid0(VALU_DEP_2) | instskip(NEXT) | instid1(VALU_DEP_3)
	v_dual_mul_f32 v30, s6, v29 :: v_dual_add_nc_u32 v43, -2, v26
	v_mul_f32_e32 v31, s3, v28
	v_dual_mul_f32 v29, s3, v32 :: v_dual_mul_f32 v28, s6, v33
	s_and_saveexec_b32 s8, vcc_lo
	s_cbranch_execz .LBB205_36
; %bb.35:                               ;   in Loop: Header=BB205_34 Depth=1
	v_cmp_gt_i32_e64 s0, s28, v42
	s_wait_alu 0xf1ff
	s_delay_alu instid0(VALU_DEP_1) | instskip(SKIP_2) | instid1(VALU_DEP_1)
	v_cndmask_b32_e64 v31, 0, v31, s0
	v_cmp_gt_i32_e64 s0, s28, v43
	s_wait_alu 0xf1ff
	v_cndmask_b32_e64 v30, 0, v30, s0
	v_cmp_gt_i32_e64 s0, s28, v44
	s_wait_alu 0xf1ff
	s_delay_alu instid0(VALU_DEP_1) | instskip(SKIP_2) | instid1(VALU_DEP_1)
	v_cndmask_b32_e64 v29, 0, v29, s0
	v_cmp_gt_i32_e64 s0, s28, v26
	s_wait_alu 0xf1ff
	v_cndmask_b32_e64 v28, 0, v28, s0
.LBB205_36:                             ;   in Loop: Header=BB205_34 Depth=1
	s_wait_alu 0xfffe
	s_or_b32 exec_lo, exec_lo, s8
	global_load_b32 v32, v[9:10], off offset:128
	s_wait_loadcnt 0x0
	v_lshrrev_b32_e32 v34, 16, v32
	s_delay_alu instid0(VALU_DEP_1) | instskip(SKIP_1) | instid1(VALU_DEP_1)
	v_cvt_pk_f32_fp8_e32 v[36:37], v34
	v_and_b32_e32 v33, 0xffff, v32
	v_cvt_pk_f32_fp8_e32 v[32:33], v33
	s_delay_alu instid0(VALU_DEP_1) | instskip(NEXT) | instid1(VALU_DEP_4)
	v_dual_mul_f32 v35, s3, v32 :: v_dual_mul_f32 v34, s6, v33
	v_dual_mul_f32 v33, s3, v36 :: v_dual_mul_f32 v32, s6, v37
	s_and_saveexec_b32 s8, vcc_lo
	s_cbranch_execz .LBB205_38
; %bb.37:                               ;   in Loop: Header=BB205_34 Depth=1
	v_cmp_gt_i32_e64 s0, s28, v42
	s_wait_alu 0xf1ff
	s_delay_alu instid0(VALU_DEP_1) | instskip(SKIP_2) | instid1(VALU_DEP_1)
	v_cndmask_b32_e64 v35, 0, v35, s0
	v_cmp_gt_i32_e64 s0, s28, v43
	s_wait_alu 0xf1ff
	v_cndmask_b32_e64 v34, 0, v34, s0
	v_cmp_gt_i32_e64 s0, s28, v44
	s_wait_alu 0xf1ff
	s_delay_alu instid0(VALU_DEP_1) | instskip(SKIP_2) | instid1(VALU_DEP_1)
	v_cndmask_b32_e64 v33, 0, v33, s0
	v_cmp_gt_i32_e64 s0, s28, v26
	s_wait_alu 0xf1ff
	v_cndmask_b32_e64 v32, 0, v32, s0
.LBB205_38:                             ;   in Loop: Header=BB205_34 Depth=1
	s_wait_alu 0xfffe
	s_or_b32 exec_lo, exec_lo, s8
	global_load_b32 v36, v[9:10], off offset:256
	s_wait_loadcnt 0x0
	v_lshrrev_b32_e32 v38, 16, v36
	s_delay_alu instid0(VALU_DEP_1) | instskip(SKIP_1) | instid1(VALU_DEP_1)
	v_cvt_pk_f32_fp8_e32 v[40:41], v38
	v_and_b32_e32 v37, 0xffff, v36
	v_cvt_pk_f32_fp8_e32 v[36:37], v37
	s_delay_alu instid0(VALU_DEP_1) | instskip(NEXT) | instid1(VALU_DEP_4)
	v_dual_mul_f32 v39, s3, v36 :: v_dual_mul_f32 v38, s6, v37
	v_dual_mul_f32 v37, s3, v40 :: v_dual_mul_f32 v36, s6, v41
	s_and_saveexec_b32 s8, vcc_lo
	s_cbranch_execz .LBB205_40
; %bb.39:                               ;   in Loop: Header=BB205_34 Depth=1
	v_cmp_gt_i32_e64 s0, s28, v42
	s_wait_alu 0xf1ff
	s_delay_alu instid0(VALU_DEP_1) | instskip(SKIP_2) | instid1(VALU_DEP_1)
	v_cndmask_b32_e64 v39, 0, v39, s0
	v_cmp_gt_i32_e64 s0, s28, v43
	s_wait_alu 0xf1ff
	v_cndmask_b32_e64 v38, 0, v38, s0
	v_cmp_gt_i32_e64 s0, s28, v44
	s_wait_alu 0xf1ff
	s_delay_alu instid0(VALU_DEP_1) | instskip(SKIP_2) | instid1(VALU_DEP_1)
	v_cndmask_b32_e64 v37, 0, v37, s0
	v_cmp_gt_i32_e64 s0, s28, v26
	s_wait_alu 0xf1ff
	v_cndmask_b32_e64 v36, 0, v36, s0
.LBB205_40:                             ;   in Loop: Header=BB205_34 Depth=1
	s_wait_alu 0xfffe
	s_or_b32 exec_lo, exec_lo, s8
	global_load_b32 v40, v[9:10], off offset:384
	s_wait_loadcnt 0x0
	v_and_b32_e32 v41, 0xffff, v40
	v_lshrrev_b32_e32 v45, 16, v40
	s_delay_alu instid0(VALU_DEP_2) | instskip(NEXT) | instid1(VALU_DEP_2)
	v_cvt_pk_f32_fp8_e32 v[40:41], v41
	v_cvt_pk_f32_fp8_e32 v[47:48], v45
	s_delay_alu instid0(VALU_DEP_2) | instskip(NEXT) | instid1(VALU_DEP_2)
	v_dual_mul_f32 v46, s3, v40 :: v_dual_mul_f32 v45, s6, v41
	v_dual_mul_f32 v41, s3, v47 :: v_dual_mul_f32 v40, s6, v48
	s_and_saveexec_b32 s8, vcc_lo
	s_cbranch_execz .LBB205_42
; %bb.41:                               ;   in Loop: Header=BB205_34 Depth=1
	v_cmp_gt_i32_e64 s0, s28, v42
	s_wait_alu 0xf1ff
	s_delay_alu instid0(VALU_DEP_1) | instskip(SKIP_2) | instid1(VALU_DEP_1)
	v_cndmask_b32_e64 v46, 0, v46, s0
	v_cmp_gt_i32_e64 s0, s28, v43
	s_wait_alu 0xf1ff
	v_cndmask_b32_e64 v45, 0, v45, s0
	v_cmp_gt_i32_e64 s0, s28, v44
	s_wait_alu 0xf1ff
	s_delay_alu instid0(VALU_DEP_1) | instskip(SKIP_2) | instid1(VALU_DEP_1)
	v_cndmask_b32_e64 v41, 0, v41, s0
	v_cmp_gt_i32_e64 s0, s28, v26
	s_wait_alu 0xf1ff
	v_cndmask_b32_e64 v40, 0, v40, s0
.LBB205_42:                             ;   in Loop: Header=BB205_34 Depth=1
	s_wait_alu 0xfffe
	s_or_b32 exec_lo, exec_lo, s8
	global_load_b32 v47, v[9:10], off offset:512
	s_wait_loadcnt 0x0
	v_lshrrev_b32_e32 v49, 16, v47
	s_delay_alu instid0(VALU_DEP_1) | instskip(SKIP_1) | instid1(VALU_DEP_1)
	v_cvt_pk_f32_fp8_e32 v[51:52], v49
	v_and_b32_e32 v48, 0xffff, v47
	v_cvt_pk_f32_fp8_e32 v[47:48], v48
	s_delay_alu instid0(VALU_DEP_1) | instskip(NEXT) | instid1(VALU_DEP_4)
	v_dual_mul_f32 v50, s3, v47 :: v_dual_mul_f32 v49, s6, v48
	v_dual_mul_f32 v48, s3, v51 :: v_dual_mul_f32 v47, s6, v52
	s_and_saveexec_b32 s8, vcc_lo
	s_cbranch_execz .LBB205_44
; %bb.43:                               ;   in Loop: Header=BB205_34 Depth=1
	v_cmp_gt_i32_e64 s0, s28, v42
	s_wait_alu 0xf1ff
	s_delay_alu instid0(VALU_DEP_1) | instskip(SKIP_2) | instid1(VALU_DEP_1)
	v_cndmask_b32_e64 v50, 0, v50, s0
	v_cmp_gt_i32_e64 s0, s28, v43
	s_wait_alu 0xf1ff
	v_cndmask_b32_e64 v49, 0, v49, s0
	v_cmp_gt_i32_e64 s0, s28, v44
	s_wait_alu 0xf1ff
	s_delay_alu instid0(VALU_DEP_1) | instskip(SKIP_2) | instid1(VALU_DEP_1)
	v_cndmask_b32_e64 v48, 0, v48, s0
	v_cmp_gt_i32_e64 s0, s28, v26
	s_wait_alu 0xf1ff
	v_cndmask_b32_e64 v47, 0, v47, s0
.LBB205_44:                             ;   in Loop: Header=BB205_34 Depth=1
	s_wait_alu 0xfffe
	s_or_b32 exec_lo, exec_lo, s8
	global_load_b32 v51, v[9:10], off offset:640
	s_wait_loadcnt 0x0
	v_lshrrev_b32_e32 v55, 16, v51
	s_delay_alu instid0(VALU_DEP_1) | instskip(SKIP_1) | instid1(VALU_DEP_1)
	v_cvt_pk_f32_fp8_e32 v[57:58], v55
	v_and_b32_e32 v52, 0xffff, v51
	v_cvt_pk_f32_fp8_e32 v[51:52], v52
	s_delay_alu instid0(VALU_DEP_1) | instskip(NEXT) | instid1(VALU_DEP_4)
	;; [unrolled: 30-line block ×6, first 2 shown]
	v_dual_mul_f32 v76, s3, v69 :: v_dual_mul_f32 v73, s6, v70
	v_dual_mul_f32 v70, s3, v71 :: v_dual_mul_f32 v69, s6, v72
	s_and_saveexec_b32 s8, vcc_lo
	s_cbranch_execz .LBB205_54
; %bb.53:                               ;   in Loop: Header=BB205_34 Depth=1
	v_cmp_gt_i32_e64 s0, s28, v42
	s_wait_alu 0xf1ff
	s_delay_alu instid0(VALU_DEP_1) | instskip(SKIP_2) | instid1(VALU_DEP_1)
	v_cndmask_b32_e64 v76, 0, v76, s0
	v_cmp_gt_i32_e64 s0, s28, v43
	s_wait_alu 0xf1ff
	v_cndmask_b32_e64 v73, 0, v73, s0
	v_cmp_gt_i32_e64 s0, s28, v44
	s_wait_alu 0xf1ff
	s_delay_alu instid0(VALU_DEP_1) | instskip(SKIP_2) | instid1(VALU_DEP_1)
	v_cndmask_b32_e64 v70, 0, v70, s0
	v_cmp_gt_i32_e64 s0, s28, v26
	s_wait_alu 0xf1ff
	v_cndmask_b32_e64 v69, 0, v69, s0
.LBB205_54:                             ;   in Loop: Header=BB205_34 Depth=1
	s_wait_alu 0xfffe
	s_or_b32 exec_lo, exec_lo, s8
	global_load_b32 v71, v[9:10], off offset:1280
	s_wait_loadcnt 0x0
	v_and_b32_e32 v72, 0xffff, v71
	v_lshrrev_b32_e32 v74, 16, v71
	s_delay_alu instid0(VALU_DEP_2) | instskip(NEXT) | instid1(VALU_DEP_2)
	v_cvt_pk_f32_fp8_e32 v[71:72], v72
	v_cvt_pk_f32_fp8_e32 v[79:80], v74
	s_delay_alu instid0(VALU_DEP_2) | instskip(NEXT) | instid1(VALU_DEP_2)
	v_dual_mul_f32 v78, s3, v71 :: v_dual_mul_f32 v77, s6, v72
	v_dual_mul_f32 v75, s3, v79 :: v_dual_mul_f32 v74, s6, v80
	s_and_saveexec_b32 s8, vcc_lo
	s_cbranch_execz .LBB205_56
; %bb.55:                               ;   in Loop: Header=BB205_34 Depth=1
	v_cmp_gt_i32_e64 s0, s28, v42
	s_wait_alu 0xf1ff
	s_delay_alu instid0(VALU_DEP_1) | instskip(SKIP_2) | instid1(VALU_DEP_1)
	v_cndmask_b32_e64 v78, 0, v78, s0
	v_cmp_gt_i32_e64 s0, s28, v43
	s_wait_alu 0xf1ff
	v_cndmask_b32_e64 v77, 0, v77, s0
	v_cmp_gt_i32_e64 s0, s28, v44
	s_wait_alu 0xf1ff
	s_delay_alu instid0(VALU_DEP_1) | instskip(SKIP_2) | instid1(VALU_DEP_1)
	v_cndmask_b32_e64 v75, 0, v75, s0
	v_cmp_gt_i32_e64 s0, s28, v26
	s_wait_alu 0xf1ff
	v_cndmask_b32_e64 v74, 0, v74, s0
.LBB205_56:                             ;   in Loop: Header=BB205_34 Depth=1
	s_wait_alu 0xfffe
	s_or_b32 exec_lo, exec_lo, s8
	global_load_b32 v9, v[9:10], off offset:1408
	s_wait_loadcnt 0x0
	v_lshrrev_b32_e32 v71, 16, v9
	s_delay_alu instid0(VALU_DEP_1) | instskip(SKIP_1) | instid1(VALU_DEP_1)
	v_cvt_pk_f32_fp8_e32 v[79:80], v71
	v_and_b32_e32 v10, 0xffff, v9
	v_cvt_pk_f32_fp8_e32 v[9:10], v10
	s_delay_alu instid0(VALU_DEP_1) | instskip(NEXT) | instid1(VALU_DEP_4)
	v_dual_mul_f32 v72, s3, v9 :: v_dual_mul_f32 v71, s6, v10
	v_dual_mul_f32 v10, s3, v79 :: v_dual_mul_f32 v9, s6, v80
	s_and_saveexec_b32 s0, vcc_lo
	s_cbranch_execz .LBB205_33
; %bb.57:                               ;   in Loop: Header=BB205_34 Depth=1
	v_cmp_gt_i32_e32 vcc_lo, s28, v42
	s_wait_alu 0xfffd
	v_cndmask_b32_e32 v72, 0, v72, vcc_lo
	v_cmp_gt_i32_e32 vcc_lo, s28, v43
	s_wait_alu 0xfffd
	v_cndmask_b32_e32 v71, 0, v71, vcc_lo
	;; [unrolled: 3-line block ×4, first 2 shown]
	s_branch .LBB205_33
.LBB205_58:
	s_or_b32 exec_lo, exec_lo, s7
.LBB205_59:
	s_wait_alu 0xfffe
	s_or_b32 exec_lo, exec_lo, s1
	ds_bpermute_b32 v9, v12, v17
	ds_bpermute_b32 v1, v12, v23
	;; [unrolled: 1-line block ×12, first 2 shown]
	s_mov_b32 s0, exec_lo
	s_wait_storecnt 0x0
	s_wait_loadcnt_dscnt 0x0
	s_barrier_signal -1
	s_barrier_wait -1
	global_inv scope:SCOPE_SE
	v_add_f32_e32 v9, v17, v9
	v_lshrrev_b32_e32 v17, 1, v11
	v_dual_add_f32 v1, v23, v1 :: v_dual_add_f32 v2, v25, v2
	v_dual_add_f32 v3, v24, v3 :: v_dual_add_f32 v4, v22, v4
	v_dual_add_f32 v5, v21, v5 :: v_dual_add_f32 v6, v20, v6
	v_dual_add_f32 v7, v19, v7 :: v_dual_add_f32 v8, v18, v8
	v_add_f32_e32 v10, v16, v10
	v_dual_add_f32 v11, v15, v26 :: v_dual_and_b32 v16, 0x3c1, v0
	v_add_f32_e32 v12, v14, v12
	v_lshl_add_u32 v14, v17, 2, 0x320
	v_mul_u32_u24_e32 v15, 0x300, v53
	s_delay_alu instid0(VALU_DEP_4)
	v_cmpx_eq_u32_e32 64, v16
	s_cbranch_execz .LBB205_61
; %bb.60:
	s_delay_alu instid0(VALU_DEP_2) | instskip(NEXT) | instid1(VALU_DEP_1)
	v_add_nc_u32_e32 v16, v14, v15
	v_add_nc_u32_e32 v18, 0xfffffa00, v16
	;; [unrolled: 1-line block ×13, first 2 shown]
	ds_store_b32 v18, v1
	ds_store_b32 v19, v2
	ds_store_b32 v20, v3
	ds_store_b32 v21, v4
	ds_store_b32 v22, v5
	ds_store_b32 v23, v6
	ds_store_b32 v24, v7
	ds_store_b32 v25, v8
	ds_store_b32 v26, v9
	ds_store_b32 v27, v10
	ds_store_b32 v28, v11
	ds_store_b32 v16, v12
.LBB205_61:
	s_wait_alu 0xfffe
	s_or_b32 exec_lo, exec_lo, s0
	v_lshlrev_b32_e32 v16, 2, v17
	v_cmp_eq_u32_e32 vcc_lo, 0, v13
	s_mov_b32 s1, exec_lo
	s_wait_loadcnt_dscnt 0x0
	s_barrier_signal -1
	v_add3_u32 v13, 0x320, v15, v16
	s_barrier_wait -1
	global_inv scope:SCOPE_SE
	v_cmpx_gt_u32_e32 64, v0
	s_cbranch_execz .LBB205_76
; %bb.62:
	s_and_saveexec_b32 s0, vcc_lo
	s_cbranch_execnz .LBB205_96
; %bb.63:
	s_wait_alu 0xfffe
	s_or_b32 exec_lo, exec_lo, s0
	s_and_saveexec_b32 s0, vcc_lo
	s_cbranch_execnz .LBB205_97
.LBB205_64:
	s_wait_alu 0xfffe
	s_or_b32 exec_lo, exec_lo, s0
	s_and_saveexec_b32 s0, vcc_lo
	s_cbranch_execnz .LBB205_98
.LBB205_65:
	s_wait_alu 0xfffe
	s_or_b32 exec_lo, exec_lo, s0
	s_and_saveexec_b32 s0, vcc_lo
	s_cbranch_execnz .LBB205_99
.LBB205_66:
	s_wait_alu 0xfffe
	s_or_b32 exec_lo, exec_lo, s0
	s_and_saveexec_b32 s0, vcc_lo
	s_cbranch_execnz .LBB205_100
.LBB205_67:
	s_wait_alu 0xfffe
	s_or_b32 exec_lo, exec_lo, s0
	s_and_saveexec_b32 s0, vcc_lo
	s_cbranch_execnz .LBB205_101
.LBB205_68:
	s_wait_alu 0xfffe
	s_or_b32 exec_lo, exec_lo, s0
	s_and_saveexec_b32 s0, vcc_lo
	s_cbranch_execnz .LBB205_102
.LBB205_69:
	s_wait_alu 0xfffe
	s_or_b32 exec_lo, exec_lo, s0
	s_and_saveexec_b32 s0, vcc_lo
	s_cbranch_execnz .LBB205_103
.LBB205_70:
	s_wait_alu 0xfffe
	s_or_b32 exec_lo, exec_lo, s0
	s_and_saveexec_b32 s0, vcc_lo
	s_cbranch_execnz .LBB205_104
.LBB205_71:
	s_wait_alu 0xfffe
	s_or_b32 exec_lo, exec_lo, s0
	s_and_saveexec_b32 s0, vcc_lo
	s_cbranch_execnz .LBB205_105
.LBB205_72:
	s_wait_alu 0xfffe
	s_or_b32 exec_lo, exec_lo, s0
	s_and_saveexec_b32 s0, vcc_lo
	s_cbranch_execnz .LBB205_106
.LBB205_73:
	s_wait_alu 0xfffe
	s_or_b32 exec_lo, exec_lo, s0
	s_and_saveexec_b32 s0, vcc_lo
	s_cbranch_execz .LBB205_75
.LBB205_74:
	ds_load_b32 v15, v13 offset:704
	s_wait_dscnt 0x0
	v_add_f32_e32 v12, v12, v15
.LBB205_75:
	s_wait_alu 0xfffe
	s_or_b32 exec_lo, exec_lo, s0
.LBB205_76:
	s_wait_alu 0xfffe
	s_or_b32 exec_lo, exec_lo, s1
	v_and_b32_e32 v15, 0x3e1, v0
	s_mov_b32 s1, exec_lo
	s_wait_loadcnt 0x0
	s_barrier_signal -1
	s_barrier_wait -1
	global_inv scope:SCOPE_SE
	v_cmpx_eq_u32_e32 32, v15
	s_cbranch_execz .LBB205_78
; %bb.77:
	ds_store_2addr_b32 v14, v1, v2 offset1:16
	ds_store_2addr_b32 v14, v3, v4 offset0:32 offset1:48
	ds_store_2addr_b32 v14, v5, v6 offset0:64 offset1:80
	;; [unrolled: 1-line block ×5, first 2 shown]
.LBB205_78:
	s_wait_alu 0xfffe
	s_or_b32 exec_lo, exec_lo, s1
	s_delay_alu instid0(SALU_CYCLE_1)
	s_mov_b32 s1, exec_lo
	s_wait_loadcnt_dscnt 0x0
	s_barrier_signal -1
	s_barrier_wait -1
	global_inv scope:SCOPE_SE
	v_cmpx_gt_u32_e32 32, v0
	s_cbranch_execz .LBB205_93
; %bb.79:
	s_and_saveexec_b32 s0, vcc_lo
	s_cbranch_execnz .LBB205_107
; %bb.80:
	s_wait_alu 0xfffe
	s_or_b32 exec_lo, exec_lo, s0
	s_and_saveexec_b32 s0, vcc_lo
	s_cbranch_execnz .LBB205_108
.LBB205_81:
	s_wait_alu 0xfffe
	s_or_b32 exec_lo, exec_lo, s0
	s_and_saveexec_b32 s0, vcc_lo
	s_cbranch_execnz .LBB205_109
.LBB205_82:
	s_wait_alu 0xfffe
	s_or_b32 exec_lo, exec_lo, s0
	s_and_saveexec_b32 s0, vcc_lo
	s_cbranch_execnz .LBB205_110
.LBB205_83:
	s_wait_alu 0xfffe
	s_or_b32 exec_lo, exec_lo, s0
	s_and_saveexec_b32 s0, vcc_lo
	s_cbranch_execnz .LBB205_111
.LBB205_84:
	s_wait_alu 0xfffe
	s_or_b32 exec_lo, exec_lo, s0
	s_and_saveexec_b32 s0, vcc_lo
	s_cbranch_execnz .LBB205_112
.LBB205_85:
	s_wait_alu 0xfffe
	s_or_b32 exec_lo, exec_lo, s0
	s_and_saveexec_b32 s0, vcc_lo
	s_cbranch_execnz .LBB205_113
.LBB205_86:
	s_wait_alu 0xfffe
	s_or_b32 exec_lo, exec_lo, s0
	s_and_saveexec_b32 s0, vcc_lo
	s_cbranch_execnz .LBB205_114
.LBB205_87:
	s_wait_alu 0xfffe
	s_or_b32 exec_lo, exec_lo, s0
	s_and_saveexec_b32 s0, vcc_lo
	s_cbranch_execnz .LBB205_115
.LBB205_88:
	s_wait_alu 0xfffe
	s_or_b32 exec_lo, exec_lo, s0
	s_and_saveexec_b32 s0, vcc_lo
	s_cbranch_execnz .LBB205_116
.LBB205_89:
	s_wait_alu 0xfffe
	s_or_b32 exec_lo, exec_lo, s0
	s_and_saveexec_b32 s0, vcc_lo
	s_cbranch_execnz .LBB205_117
.LBB205_90:
	s_wait_alu 0xfffe
	s_or_b32 exec_lo, exec_lo, s0
	s_and_saveexec_b32 s0, vcc_lo
	s_cbranch_execz .LBB205_92
.LBB205_91:
	ds_load_b32 v13, v13 offset:704
	s_wait_dscnt 0x0
	v_add_f32_e32 v12, v12, v13
.LBB205_92:
	s_wait_alu 0xfffe
	s_or_b32 exec_lo, exec_lo, s0
.LBB205_93:
	s_wait_alu 0xfffe
	s_or_b32 exec_lo, exec_lo, s1
	s_mov_b32 s1, 0
	s_wait_loadcnt 0x0
	s_barrier_signal -1
	s_barrier_wait -1
	global_inv scope:SCOPE_SE
	s_mov_b32 s0, exec_lo
	v_cmpx_eq_u32_e32 0, v15
	s_cbranch_execz .LBB205_95
; %bb.94:
	s_mul_i32 s2, s14, 0xc0
	s_mul_i32 s6, s27, s16
	s_wait_alu 0xfffe
	s_ashr_i32 s3, s2, 31
	s_ashr_i32 s7, s6, 31
	s_wait_alu 0xfffe
	s_lshl_b64 s[2:3], s[2:3], 2
	s_lshl_b64 s[6:7], s[6:7], 2
	s_wait_kmcnt 0x0
	s_wait_alu 0xfffe
	s_add_nc_u64 s[2:3], s[4:5], s[2:3]
	v_lshlrev_b32_e32 v0, 1, v0
	s_mul_i32 s0, s26, 0x300
	s_wait_alu 0xfffe
	s_add_nc_u64 s[2:3], s[2:3], s[6:7]
	s_wait_alu 0xfffe
	s_add_nc_u64 s[0:1], s[2:3], s[0:1]
	s_clause 0xb
	global_store_b32 v0, v1, s[0:1]
	global_store_b32 v0, v2, s[0:1] offset:64
	global_store_b32 v0, v3, s[0:1] offset:128
	;; [unrolled: 1-line block ×11, first 2 shown]
.LBB205_95:
	s_nop 0
	s_sendmsg sendmsg(MSG_DEALLOC_VGPRS)
	s_endpgm
.LBB205_96:
	ds_load_b32 v15, v13
	s_wait_dscnt 0x0
	v_add_f32_e32 v1, v1, v15
	s_wait_alu 0xfffe
	s_or_b32 exec_lo, exec_lo, s0
	s_and_saveexec_b32 s0, vcc_lo
	s_cbranch_execz .LBB205_64
.LBB205_97:
	ds_load_b32 v15, v13 offset:64
	s_wait_dscnt 0x0
	v_add_f32_e32 v2, v2, v15
	s_wait_alu 0xfffe
	s_or_b32 exec_lo, exec_lo, s0
	s_and_saveexec_b32 s0, vcc_lo
	s_cbranch_execz .LBB205_65
.LBB205_98:
	ds_load_b32 v15, v13 offset:128
	s_wait_dscnt 0x0
	v_add_f32_e32 v3, v3, v15
	s_wait_alu 0xfffe
	s_or_b32 exec_lo, exec_lo, s0
	s_and_saveexec_b32 s0, vcc_lo
	s_cbranch_execz .LBB205_66
.LBB205_99:
	ds_load_b32 v15, v13 offset:192
	s_wait_dscnt 0x0
	v_add_f32_e32 v4, v4, v15
	s_wait_alu 0xfffe
	s_or_b32 exec_lo, exec_lo, s0
	s_and_saveexec_b32 s0, vcc_lo
	s_cbranch_execz .LBB205_67
.LBB205_100:
	ds_load_b32 v15, v13 offset:256
	s_wait_dscnt 0x0
	v_add_f32_e32 v5, v5, v15
	s_wait_alu 0xfffe
	s_or_b32 exec_lo, exec_lo, s0
	s_and_saveexec_b32 s0, vcc_lo
	s_cbranch_execz .LBB205_68
.LBB205_101:
	ds_load_b32 v15, v13 offset:320
	s_wait_dscnt 0x0
	v_add_f32_e32 v6, v6, v15
	s_wait_alu 0xfffe
	s_or_b32 exec_lo, exec_lo, s0
	s_and_saveexec_b32 s0, vcc_lo
	s_cbranch_execz .LBB205_69
.LBB205_102:
	ds_load_b32 v15, v13 offset:384
	s_wait_dscnt 0x0
	v_add_f32_e32 v7, v7, v15
	s_wait_alu 0xfffe
	s_or_b32 exec_lo, exec_lo, s0
	s_and_saveexec_b32 s0, vcc_lo
	s_cbranch_execz .LBB205_70
.LBB205_103:
	ds_load_b32 v15, v13 offset:448
	s_wait_dscnt 0x0
	v_add_f32_e32 v8, v8, v15
	s_wait_alu 0xfffe
	s_or_b32 exec_lo, exec_lo, s0
	s_and_saveexec_b32 s0, vcc_lo
	s_cbranch_execz .LBB205_71
.LBB205_104:
	ds_load_b32 v15, v13 offset:512
	s_wait_dscnt 0x0
	v_add_f32_e32 v9, v9, v15
	s_wait_alu 0xfffe
	s_or_b32 exec_lo, exec_lo, s0
	s_and_saveexec_b32 s0, vcc_lo
	s_cbranch_execz .LBB205_72
.LBB205_105:
	ds_load_b32 v15, v13 offset:576
	s_wait_dscnt 0x0
	v_add_f32_e32 v10, v10, v15
	s_wait_alu 0xfffe
	s_or_b32 exec_lo, exec_lo, s0
	s_and_saveexec_b32 s0, vcc_lo
	s_cbranch_execz .LBB205_73
.LBB205_106:
	ds_load_b32 v15, v13 offset:640
	s_wait_dscnt 0x0
	v_add_f32_e32 v11, v11, v15
	s_wait_alu 0xfffe
	s_or_b32 exec_lo, exec_lo, s0
	s_and_saveexec_b32 s0, vcc_lo
	s_cbranch_execnz .LBB205_74
	s_branch .LBB205_75
.LBB205_107:
	ds_load_b32 v14, v13
	s_wait_dscnt 0x0
	v_add_f32_e32 v1, v1, v14
	s_wait_alu 0xfffe
	s_or_b32 exec_lo, exec_lo, s0
	s_and_saveexec_b32 s0, vcc_lo
	s_cbranch_execz .LBB205_81
.LBB205_108:
	ds_load_b32 v14, v13 offset:64
	s_wait_dscnt 0x0
	v_add_f32_e32 v2, v2, v14
	s_wait_alu 0xfffe
	s_or_b32 exec_lo, exec_lo, s0
	s_and_saveexec_b32 s0, vcc_lo
	s_cbranch_execz .LBB205_82
.LBB205_109:
	ds_load_b32 v14, v13 offset:128
	s_wait_dscnt 0x0
	v_add_f32_e32 v3, v3, v14
	s_wait_alu 0xfffe
	s_or_b32 exec_lo, exec_lo, s0
	s_and_saveexec_b32 s0, vcc_lo
	s_cbranch_execz .LBB205_83
.LBB205_110:
	ds_load_b32 v14, v13 offset:192
	s_wait_dscnt 0x0
	v_add_f32_e32 v4, v4, v14
	s_wait_alu 0xfffe
	s_or_b32 exec_lo, exec_lo, s0
	s_and_saveexec_b32 s0, vcc_lo
	s_cbranch_execz .LBB205_84
.LBB205_111:
	ds_load_b32 v14, v13 offset:256
	s_wait_dscnt 0x0
	v_add_f32_e32 v5, v5, v14
	s_wait_alu 0xfffe
	s_or_b32 exec_lo, exec_lo, s0
	s_and_saveexec_b32 s0, vcc_lo
	s_cbranch_execz .LBB205_85
.LBB205_112:
	ds_load_b32 v14, v13 offset:320
	s_wait_dscnt 0x0
	v_add_f32_e32 v6, v6, v14
	s_wait_alu 0xfffe
	s_or_b32 exec_lo, exec_lo, s0
	s_and_saveexec_b32 s0, vcc_lo
	s_cbranch_execz .LBB205_86
.LBB205_113:
	ds_load_b32 v14, v13 offset:384
	s_wait_dscnt 0x0
	v_add_f32_e32 v7, v7, v14
	s_wait_alu 0xfffe
	s_or_b32 exec_lo, exec_lo, s0
	s_and_saveexec_b32 s0, vcc_lo
	s_cbranch_execz .LBB205_87
.LBB205_114:
	ds_load_b32 v14, v13 offset:448
	s_wait_dscnt 0x0
	v_add_f32_e32 v8, v8, v14
	s_wait_alu 0xfffe
	s_or_b32 exec_lo, exec_lo, s0
	s_and_saveexec_b32 s0, vcc_lo
	s_cbranch_execz .LBB205_88
.LBB205_115:
	ds_load_b32 v14, v13 offset:512
	s_wait_dscnt 0x0
	v_add_f32_e32 v9, v9, v14
	s_wait_alu 0xfffe
	s_or_b32 exec_lo, exec_lo, s0
	s_and_saveexec_b32 s0, vcc_lo
	s_cbranch_execz .LBB205_89
.LBB205_116:
	ds_load_b32 v14, v13 offset:576
	s_wait_dscnt 0x0
	v_add_f32_e32 v10, v10, v14
	s_wait_alu 0xfffe
	s_or_b32 exec_lo, exec_lo, s0
	s_and_saveexec_b32 s0, vcc_lo
	s_cbranch_execz .LBB205_90
.LBB205_117:
	ds_load_b32 v14, v13 offset:640
	s_wait_dscnt 0x0
	v_add_f32_e32 v11, v11, v14
	s_wait_alu 0xfffe
	s_or_b32 exec_lo, exec_lo, s0
	s_and_saveexec_b32 s0, vcc_lo
	s_cbranch_execnz .LBB205_91
	s_branch .LBB205_92
	.section	.rodata,"a",@progbits
	.p2align	6, 0x0
	.amdhsa_kernel _ZN4vllm25paged_attention_v2_kernelIfhLi192ELi8ELi128ELNS_18Fp8KVCacheDataTypeE1ELb0ELi512EEEvPfS2_PT_PKS3_PKT0_S9_ifPKiSB_iPKfiiiSD_SD_iiiii
		.amdhsa_group_segment_fixed_size 800
		.amdhsa_private_segment_fixed_size 0
		.amdhsa_kernarg_size 400
		.amdhsa_user_sgpr_count 2
		.amdhsa_user_sgpr_dispatch_ptr 0
		.amdhsa_user_sgpr_queue_ptr 0
		.amdhsa_user_sgpr_kernarg_segment_ptr 1
		.amdhsa_user_sgpr_dispatch_id 0
		.amdhsa_user_sgpr_private_segment_size 0
		.amdhsa_wavefront_size32 1
		.amdhsa_uses_dynamic_stack 0
		.amdhsa_enable_private_segment 0
		.amdhsa_system_sgpr_workgroup_id_x 1
		.amdhsa_system_sgpr_workgroup_id_y 1
		.amdhsa_system_sgpr_workgroup_id_z 1
		.amdhsa_system_sgpr_workgroup_info 0
		.amdhsa_system_vgpr_workitem_id 0
		.amdhsa_next_free_vgpr 115
		.amdhsa_next_free_sgpr 36
		.amdhsa_reserve_vcc 1
		.amdhsa_float_round_mode_32 0
		.amdhsa_float_round_mode_16_64 0
		.amdhsa_float_denorm_mode_32 3
		.amdhsa_float_denorm_mode_16_64 3
		.amdhsa_fp16_overflow 0
		.amdhsa_workgroup_processor_mode 1
		.amdhsa_memory_ordered 1
		.amdhsa_forward_progress 1
		.amdhsa_inst_pref_size 67
		.amdhsa_round_robin_scheduling 0
		.amdhsa_exception_fp_ieee_invalid_op 0
		.amdhsa_exception_fp_denorm_src 0
		.amdhsa_exception_fp_ieee_div_zero 0
		.amdhsa_exception_fp_ieee_overflow 0
		.amdhsa_exception_fp_ieee_underflow 0
		.amdhsa_exception_fp_ieee_inexact 0
		.amdhsa_exception_int_div_zero 0
	.end_amdhsa_kernel
	.section	.text._ZN4vllm25paged_attention_v2_kernelIfhLi192ELi8ELi128ELNS_18Fp8KVCacheDataTypeE1ELb0ELi512EEEvPfS2_PT_PKS3_PKT0_S9_ifPKiSB_iPKfiiiSD_SD_iiiii,"axG",@progbits,_ZN4vllm25paged_attention_v2_kernelIfhLi192ELi8ELi128ELNS_18Fp8KVCacheDataTypeE1ELb0ELi512EEEvPfS2_PT_PKS3_PKT0_S9_ifPKiSB_iPKfiiiSD_SD_iiiii,comdat
.Lfunc_end205:
	.size	_ZN4vllm25paged_attention_v2_kernelIfhLi192ELi8ELi128ELNS_18Fp8KVCacheDataTypeE1ELb0ELi512EEEvPfS2_PT_PKS3_PKT0_S9_ifPKiSB_iPKfiiiSD_SD_iiiii, .Lfunc_end205-_ZN4vllm25paged_attention_v2_kernelIfhLi192ELi8ELi128ELNS_18Fp8KVCacheDataTypeE1ELb0ELi512EEEvPfS2_PT_PKS3_PKT0_S9_ifPKiSB_iPKfiiiSD_SD_iiiii
                                        ; -- End function
	.set _ZN4vllm25paged_attention_v2_kernelIfhLi192ELi8ELi128ELNS_18Fp8KVCacheDataTypeE1ELb0ELi512EEEvPfS2_PT_PKS3_PKT0_S9_ifPKiSB_iPKfiiiSD_SD_iiiii.num_vgpr, 115
	.set _ZN4vllm25paged_attention_v2_kernelIfhLi192ELi8ELi128ELNS_18Fp8KVCacheDataTypeE1ELb0ELi512EEEvPfS2_PT_PKS3_PKT0_S9_ifPKiSB_iPKfiiiSD_SD_iiiii.num_agpr, 0
	.set _ZN4vllm25paged_attention_v2_kernelIfhLi192ELi8ELi128ELNS_18Fp8KVCacheDataTypeE1ELb0ELi512EEEvPfS2_PT_PKS3_PKT0_S9_ifPKiSB_iPKfiiiSD_SD_iiiii.numbered_sgpr, 36
	.set _ZN4vllm25paged_attention_v2_kernelIfhLi192ELi8ELi128ELNS_18Fp8KVCacheDataTypeE1ELb0ELi512EEEvPfS2_PT_PKS3_PKT0_S9_ifPKiSB_iPKfiiiSD_SD_iiiii.num_named_barrier, 0
	.set _ZN4vllm25paged_attention_v2_kernelIfhLi192ELi8ELi128ELNS_18Fp8KVCacheDataTypeE1ELb0ELi512EEEvPfS2_PT_PKS3_PKT0_S9_ifPKiSB_iPKfiiiSD_SD_iiiii.private_seg_size, 0
	.set _ZN4vllm25paged_attention_v2_kernelIfhLi192ELi8ELi128ELNS_18Fp8KVCacheDataTypeE1ELb0ELi512EEEvPfS2_PT_PKS3_PKT0_S9_ifPKiSB_iPKfiiiSD_SD_iiiii.uses_vcc, 1
	.set _ZN4vllm25paged_attention_v2_kernelIfhLi192ELi8ELi128ELNS_18Fp8KVCacheDataTypeE1ELb0ELi512EEEvPfS2_PT_PKS3_PKT0_S9_ifPKiSB_iPKfiiiSD_SD_iiiii.uses_flat_scratch, 0
	.set _ZN4vllm25paged_attention_v2_kernelIfhLi192ELi8ELi128ELNS_18Fp8KVCacheDataTypeE1ELb0ELi512EEEvPfS2_PT_PKS3_PKT0_S9_ifPKiSB_iPKfiiiSD_SD_iiiii.has_dyn_sized_stack, 0
	.set _ZN4vllm25paged_attention_v2_kernelIfhLi192ELi8ELi128ELNS_18Fp8KVCacheDataTypeE1ELb0ELi512EEEvPfS2_PT_PKS3_PKT0_S9_ifPKiSB_iPKfiiiSD_SD_iiiii.has_recursion, 0
	.set _ZN4vllm25paged_attention_v2_kernelIfhLi192ELi8ELi128ELNS_18Fp8KVCacheDataTypeE1ELb0ELi512EEEvPfS2_PT_PKS3_PKT0_S9_ifPKiSB_iPKfiiiSD_SD_iiiii.has_indirect_call, 0
	.section	.AMDGPU.csdata,"",@progbits
; Kernel info:
; codeLenInByte = 8544
; TotalNumSgprs: 38
; NumVgprs: 115
; ScratchSize: 0
; MemoryBound: 0
; FloatMode: 240
; IeeeMode: 1
; LDSByteSize: 800 bytes/workgroup (compile time only)
; SGPRBlocks: 0
; VGPRBlocks: 14
; NumSGPRsForWavesPerEU: 38
; NumVGPRsForWavesPerEU: 115
; Occupancy: 12
; WaveLimiterHint : 1
; COMPUTE_PGM_RSRC2:SCRATCH_EN: 0
; COMPUTE_PGM_RSRC2:USER_SGPR: 2
; COMPUTE_PGM_RSRC2:TRAP_HANDLER: 0
; COMPUTE_PGM_RSRC2:TGID_X_EN: 1
; COMPUTE_PGM_RSRC2:TGID_Y_EN: 1
; COMPUTE_PGM_RSRC2:TGID_Z_EN: 1
; COMPUTE_PGM_RSRC2:TIDIG_COMP_CNT: 0
	.section	.text._ZN4vllm25paged_attention_v2_kernelIfhLi256ELi8ELi128ELNS_18Fp8KVCacheDataTypeE1ELb0ELi512EEEvPfS2_PT_PKS3_PKT0_S9_ifPKiSB_iPKfiiiSD_SD_iiiii,"axG",@progbits,_ZN4vllm25paged_attention_v2_kernelIfhLi256ELi8ELi128ELNS_18Fp8KVCacheDataTypeE1ELb0ELi512EEEvPfS2_PT_PKS3_PKT0_S9_ifPKiSB_iPKfiiiSD_SD_iiiii,comdat
	.protected	_ZN4vllm25paged_attention_v2_kernelIfhLi256ELi8ELi128ELNS_18Fp8KVCacheDataTypeE1ELb0ELi512EEEvPfS2_PT_PKS3_PKT0_S9_ifPKiSB_iPKfiiiSD_SD_iiiii ; -- Begin function _ZN4vllm25paged_attention_v2_kernelIfhLi256ELi8ELi128ELNS_18Fp8KVCacheDataTypeE1ELb0ELi512EEEvPfS2_PT_PKS3_PKT0_S9_ifPKiSB_iPKfiiiSD_SD_iiiii
	.globl	_ZN4vllm25paged_attention_v2_kernelIfhLi256ELi8ELi128ELNS_18Fp8KVCacheDataTypeE1ELb0ELi512EEEvPfS2_PT_PKS3_PKT0_S9_ifPKiSB_iPKfiiiSD_SD_iiiii
	.p2align	8
	.type	_ZN4vllm25paged_attention_v2_kernelIfhLi256ELi8ELi128ELNS_18Fp8KVCacheDataTypeE1ELb0ELi512EEEvPfS2_PT_PKS3_PKT0_S9_ifPKiSB_iPKfiiiSD_SD_iiiii,@function
_ZN4vllm25paged_attention_v2_kernelIfhLi256ELi8ELi128ELNS_18Fp8KVCacheDataTypeE1ELb0ELi512EEEvPfS2_PT_PKS3_PKT0_S9_ifPKiSB_iPKfiiiSD_SD_iiiii: ; @_ZN4vllm25paged_attention_v2_kernelIfhLi256ELi8ELi128ELNS_18Fp8KVCacheDataTypeE1ELb0ELi512EEEvPfS2_PT_PKS3_PKT0_S9_ifPKiSB_iPKfiiiSD_SD_iiiii
; %bb.0:
	s_load_b64 s[2:3], s[0:1], 0x40
	s_and_b32 s15, ttmp7, 0xffff
	s_lshr_b32 s26, ttmp7, 16
	s_lshl_b32 s4, s15, 2
	s_lshl_b32 s29, s26, 9
	s_wait_kmcnt 0x0
	s_load_b32 s28, s[2:3], s4 offset:0x0
	s_wait_kmcnt 0x0
	s_cmp_ge_i32 s29, s28
	s_cbranch_scc1 .LBB206_111
; %bb.1:
	s_clause 0x1
	s_load_b32 s30, s[0:1], 0x90
	s_load_b64 s[8:9], s[0:1], 0x30
	s_wait_kmcnt 0x0
	s_abs_i32 s5, s30
	s_abs_i32 s2, s8
	s_delay_alu instid0(SALU_CYCLE_1) | instskip(SKIP_1) | instid1(SALU_CYCLE_2)
	s_cvt_f32_u32 s3, s2
	s_sub_co_i32 s4, 0, s2
	v_rcp_iflag_f32_e32 v1, s3
	s_delay_alu instid0(TRANS32_DEP_1) | instskip(SKIP_2) | instid1(SALU_CYCLE_2)
	v_readfirstlane_b32 s3, v1
	s_mul_f32 s3, s3, 0x4f7ffffe
	s_wait_alu 0xfffe
	s_cvt_u32_f32 s3, s3
	s_wait_alu 0xfffe
	s_delay_alu instid0(SALU_CYCLE_2) | instskip(NEXT) | instid1(SALU_CYCLE_1)
	s_mul_i32 s4, s4, s3
	s_mul_hi_u32 s4, s3, s4
	s_delay_alu instid0(SALU_CYCLE_1)
	s_add_co_i32 s3, s3, s4
	s_xor_b32 s4, s30, s8
	s_wait_alu 0xfffe
	s_mul_hi_u32 s3, s5, s3
	s_ashr_i32 s4, s4, 31
	s_wait_alu 0xfffe
	s_mul_i32 s6, s3, s2
	s_delay_alu instid0(SALU_CYCLE_1)
	s_sub_co_i32 s5, s5, s6
	s_add_co_i32 s6, s3, 1
	s_sub_co_i32 s7, s5, s2
	s_cmp_ge_u32 s5, s2
	s_cselect_b32 s3, s6, s3
	s_cselect_b32 s5, s7, s5
	s_wait_alu 0xfffe
	s_add_co_i32 s6, s3, 1
	s_cmp_ge_u32 s5, s2
	s_cselect_b32 s2, s6, s3
	s_load_b64 s[6:7], s[0:1], 0x50
	s_xor_b32 s2, s2, s4
	s_mov_b32 s3, 0
	s_wait_alu 0xfffe
	s_sub_co_i32 s11, s2, s4
	s_mov_b32 s8, s3
	s_abs_i32 s10, s11
	s_delay_alu instid0(SALU_CYCLE_1) | instskip(SKIP_1) | instid1(SALU_CYCLE_2)
	s_cvt_f32_u32 s2, s10
	s_wait_alu 0xfffe
	v_rcp_iflag_f32_e32 v1, s2
	s_delay_alu instid0(TRANS32_DEP_1) | instskip(SKIP_2) | instid1(SALU_CYCLE_2)
	v_readfirstlane_b32 s2, v1
	s_mul_f32 s2, s2, 0x4f7ffffe
	s_wait_alu 0xfffe
	s_cvt_u32_f32 s4, s2
	s_sub_co_i32 s2, 0, s10
	s_wait_alu 0xfffe
	s_delay_alu instid0(SALU_CYCLE_1)
	s_mul_i32 s2, s2, s4
	s_wait_alu 0xfffe
	s_mul_hi_u32 s5, s4, s2
	s_abs_i32 s2, ttmp9
	s_add_co_i32 s4, s4, s5
	s_mov_b32 s5, s3
	s_wait_kmcnt 0x0
	s_cmp_eq_u64 s[6:7], 0
	s_cbranch_scc1 .LBB206_3
; %bb.2:
	s_mov_b32 s12, ttmp9
	s_ashr_i32 s13, ttmp9, 31
	s_delay_alu instid0(SALU_CYCLE_1) | instskip(NEXT) | instid1(SALU_CYCLE_1)
	s_lshl_b64 s[12:13], s[12:13], 2
	s_add_nc_u64 s[6:7], s[6:7], s[12:13]
	s_load_b32 s8, s[6:7], 0x0
.LBB206_3:
	s_clause 0x1
	s_load_b32 s27, s[0:1], 0x98
	s_load_b96 s[12:14], s[0:1], 0x58
	v_and_b32_e32 v65, 3, v0
	v_lshlrev_b32_e32 v71, 2, v0
	s_mul_u64 s[4:5], s[2:3], s[4:5]
	s_ashr_i32 s3, ttmp9, 31
	s_ashr_i32 s4, s11, 31
	s_lshl_b32 s16, ttmp9, 8
	s_mov_b32 s11, exec_lo
	v_cmpx_gt_u32_e32 0x100, v0
	s_cbranch_execz .LBB206_6
; %bb.4:
	s_load_b64 s[6:7], s[0:1], 0x18
	s_wait_kmcnt 0x0
	s_mul_i32 s18, s12, s15
	s_ashr_i32 s17, s16, 31
	s_ashr_i32 s19, s18, 31
	v_and_b32_e32 v1, 0x3fc, v0
	s_lshl_b64 s[18:19], s[18:19], 2
	v_cmp_gt_u32_e32 vcc_lo, 0x80, v0
	s_delay_alu instid0(VALU_DEP_2) | instskip(SKIP_2) | instid1(SALU_CYCLE_1)
	v_lshl_add_u32 v1, v65, 8, v1
	s_add_nc_u64 s[6:7], s[6:7], s[18:19]
	s_lshl_b64 s[18:19], s[16:17], 2
	s_add_nc_u64 s[6:7], s[6:7], s[18:19]
	global_load_b32 v2, v71, s[6:7]
	s_wait_loadcnt 0x0
	ds_store_b32 v1, v2
	s_and_b32 exec_lo, exec_lo, vcc_lo
	s_cbranch_execz .LBB206_6
; %bb.5:
	v_lshrrev_b32_e32 v2, 2, v0
	v_lshlrev_b32_e32 v3, 2, v65
	s_delay_alu instid0(VALU_DEP_2) | instskip(NEXT) | instid1(VALU_DEP_1)
	v_lshlrev_b32_e32 v2, 4, v2
	v_or3_b32 v2, v2, v3, 0x200
	global_load_b32 v2, v2, s[6:7]
	s_wait_loadcnt 0x0
	ds_store_b32 v1, v2 offset:128
.LBB206_6:
	s_or_b32 exec_lo, exec_lo, s11
	s_add_co_i32 s6, s28, 7
	s_wait_alu 0xfffe
	s_xor_b32 s3, s3, s4
	s_ashr_i32 s7, s6, 31
	s_lshl_b32 s31, s26, 6
	s_lshr_b32 s4, s7, 29
	s_mul_i32 s7, s5, s10
	s_add_co_i32 s6, s6, s4
	s_add_co_i32 s4, s31, 64
	s_ashr_i32 s17, s6, 3
	s_load_b32 s6, s[0:1], 0x48
	s_sub_co_i32 s2, s2, s7
	s_wait_kmcnt 0x0
	s_min_i32 s12, s4, s17
	s_add_co_i32 s4, s5, 1
	s_wait_alu 0xfffe
	s_sub_co_i32 s7, s2, s10
	s_cmp_ge_u32 s2, s10
	v_lshrrev_b32_e32 v69, 5, v0
	s_cselect_b32 s4, s4, s5
	s_cselect_b32 s2, s7, s2
	s_add_co_i32 s5, s4, 1
	s_wait_alu 0xfffe
	s_cmp_ge_u32 s2, s10
	v_or_b32_e32 v70, s31, v69
	s_cselect_b32 s2, s5, s4
	v_mbcnt_lo_u32_b32 v73, -1, 0
	s_wait_alu 0xfffe
	s_xor_b32 s2, s2, s3
	s_mov_b32 s4, exec_lo
	s_wait_alu 0xfffe
	s_sub_co_i32 s3, s2, s3
	v_cmp_gt_i32_e64 s2, s12, v70
	s_wait_dscnt 0x0
	s_barrier_signal -1
	s_mul_i32 s18, s6, s15
	s_barrier_wait -1
	s_ashr_i32 s19, s18, 31
	global_inv scope:SCOPE_SE
                                        ; implicit-def: $vgpr74
                                        ; implicit-def: $vgpr75
	v_cmpx_le_i32_e64 s12, v70
	s_xor_b32 s4, exec_lo, s4
; %bb.7:
	v_dual_mov_b32 v74, 0 :: v_dual_mov_b32 v75, 32
	v_mbcnt_lo_u32_b32 v73, -1, 0
                                        ; implicit-def: $vgpr65
; %bb.8:
	s_or_saveexec_b32 s10, s4
	s_clause 0x1
	s_load_b64 s[20:21], s[0:1], 0x38
	s_load_b128 s[4:7], s[0:1], 0x68
	v_mov_b32_e32 v76, 0xff7fffff
	v_lshlrev_b32_e32 v72, 2, v70
	s_mul_i32 s22, s3, s14
	s_xor_b32 exec_lo, exec_lo, s10
	s_cbranch_execz .LBB206_14
; %bb.9:
	s_load_b64 s[24:25], s[0:1], 0x20
	v_xor_b32_e32 v41, 2, v73
	v_xor_b32_e32 v42, 1, v73
	v_dual_mov_b32 v74, 0 :: v_dual_lshlrev_b32 v61, 8, v65
	v_bfe_u32 v67, v0, 2, 3
	s_delay_alu instid0(VALU_DEP_4)
	v_cmp_gt_i32_e32 vcc_lo, 32, v41
	ds_load_b128 v[1:4], v61
	ds_load_b128 v[5:8], v61 offset:16
	ds_load_b128 v[9:12], v61 offset:32
	;; [unrolled: 1-line block ×9, first 2 shown]
	s_ashr_i32 s23, s22, 31
	v_dual_mov_b32 v75, 32 :: v_dual_lshlrev_b32 v76, 2, v67
	v_cndmask_b32_e32 v49, v73, v41, vcc_lo
	v_cmp_gt_i32_e32 vcc_lo, 32, v42
	v_lshlrev_b32_e32 v43, 4, v67
	s_cmp_neq_f32 s8, 0
	v_lshlrev_b32_e32 v79, 3, v69
	v_lshl_or_b32 v76, v69, 5, v76
	s_wait_alu 0xfffd
	v_cndmask_b32_e32 v50, v73, v42, vcc_lo
	v_cmp_eq_u32_e32 vcc_lo, 0, v65
	s_wait_kmcnt 0x0
	s_add_nc_u64 s[24:25], s[24:25], s[22:23]
	v_add3_u32 v79, s29, v79, v67
	v_add_co_u32 v66, s3, s24, v43
	ds_load_b128 v[41:44], v61 offset:160
	ds_load_b128 v[45:48], v61 offset:176
	v_lshlrev_b32_e32 v78, 2, v50
	v_lshlrev_b32_e32 v77, 2, v49
	ds_load_b128 v[49:52], v61 offset:192
	ds_load_b128 v[53:56], v61 offset:208
	;; [unrolled: 1-line block ×4, first 2 shown]
	s_load_b32 s11, s[4:5], 0x0
	v_add_co_ci_u32_e64 v68, null, s25, 0, s3
	v_add_co_u32 v65, s4, v66, v65
	s_cselect_b32 s3, -1, 0
	v_add_co_ci_u32_e64 v66, null, 0, v68, s4
	s_lshl_b64 s[4:5], s[18:19], 2
	v_dual_mov_b32 v81, v70 :: v_dual_add_nc_u32 v80, 0x420, v76
	s_wait_alu 0xfffe
	s_add_nc_u64 s[4:5], s[20:21], s[4:5]
	v_mov_b32_e32 v76, 0xff7fffff
	s_wait_alu 0xfffe
	v_add_co_u32 v67, s4, s4, v72
	s_wait_alu 0xf1ff
	v_add_co_ci_u32_e64 v68, null, s5, 0, s4
	s_mov_b32 s23, s13
	s_mov_b32 s14, 0
	s_sub_co_i32 s24, 1, s28
	s_branch .LBB206_11
.LBB206_10:                             ;   in Loop: Header=BB206_11 Depth=1
	s_wait_alu 0xfffe
	s_or_b32 exec_lo, exec_lo, s5
	v_add_nc_u32_e32 v81, 4, v81
	v_add_co_u32 v67, s5, v67, 16
	v_add_nc_u32_e32 v79, 32, v79
	v_add_nc_u32_e32 v80, 0x80, v80
	s_delay_alu instid0(VALU_DEP_4) | instskip(SKIP_3) | instid1(SALU_CYCLE_1)
	v_cmp_le_i32_e64 s4, s12, v81
	s_wait_alu 0xf1ff
	v_add_co_ci_u32_e64 v68, null, 0, v68, s5
	s_or_b32 s14, s4, s14
	s_and_not1_b32 exec_lo, exec_lo, s14
	s_cbranch_execz .LBB206_13
.LBB206_11:                             ; =>This Inner Loop Header: Depth=1
	global_load_b32 v82, v[67:68], off
	s_wait_loadcnt_dscnt 0x0
	v_mad_co_i64_i32 v[82:83], null, v82, s23, v[65:66]
	s_clause 0x1f
	global_load_u8 v84, v[82:83], off offset:4
	global_load_u8 v85, v[82:83], off offset:8
	;; [unrolled: 1-line block ×7, first 2 shown]
	global_load_u8 v91, v[82:83], off
	global_load_u8 v92, v[82:83], off offset:256
	global_load_u8 v93, v[82:83], off offset:260
	;; [unrolled: 1-line block ×24, first 2 shown]
	s_clause 0x1f
	global_load_u8 v116, v[82:83], off offset:1024
	global_load_u8 v117, v[82:83], off offset:1028
	;; [unrolled: 1-line block ×32, first 2 shown]
	s_wait_loadcnt 0x3e
	v_cvt_f32_fp8_e32 v83, v84
	v_cvt_f32_fp8_e32 v85, v85
	s_wait_loadcnt 0x3d
	v_cvt_f32_fp8_e32 v86, v86
	s_wait_loadcnt 0x38
	v_cvt_f32_fp8_e32 v84, v91
	s_wait_kmcnt 0x0
	s_delay_alu instid0(VALU_DEP_2) | instskip(SKIP_1) | instid1(VALU_DEP_1)
	v_dual_mul_f32 v83, s11, v83 :: v_dual_mul_f32 v86, s11, v86
	s_wait_dscnt 0xf
	v_dual_mul_f32 v84, s11, v84 :: v_dual_mul_f32 v83, v2, v83
	s_delay_alu instid0(VALU_DEP_1) | instskip(SKIP_1) | instid1(VALU_DEP_1)
	v_fmac_f32_e32 v83, v1, v84
	v_cvt_f32_fp8_e32 v84, v87
	v_dual_mul_f32 v85, s11, v85 :: v_dual_mul_f32 v84, s11, v84
	s_delay_alu instid0(VALU_DEP_1) | instskip(SKIP_1) | instid1(VALU_DEP_2)
	v_fmac_f32_e32 v83, v3, v85
	v_cvt_f32_fp8_e32 v85, v88
	v_fmac_f32_e32 v83, v4, v86
	v_cvt_f32_fp8_e32 v86, v89
	s_delay_alu instid0(VALU_DEP_3) | instskip(SKIP_1) | instid1(VALU_DEP_3)
	v_mul_f32_e32 v85, s11, v85
	s_wait_dscnt 0xe
	v_fmac_f32_e32 v83, v5, v84
	v_cvt_f32_fp8_e32 v84, v90
	s_delay_alu instid0(VALU_DEP_2) | instskip(SKIP_2) | instid1(VALU_DEP_2)
	v_dual_mul_f32 v86, s11, v86 :: v_dual_fmac_f32 v83, v6, v85
	s_wait_loadcnt 0x37
	v_cvt_f32_fp8_e32 v85, v92
	v_dual_mul_f32 v84, s11, v84 :: v_dual_fmac_f32 v83, v7, v86
	s_wait_loadcnt 0x36
	v_cvt_f32_fp8_e32 v86, v93
	s_delay_alu instid0(VALU_DEP_3) | instskip(NEXT) | instid1(VALU_DEP_3)
	v_mul_f32_e32 v85, s11, v85
	v_fmac_f32_e32 v83, v8, v84
	s_wait_loadcnt 0x35
	v_cvt_f32_fp8_e32 v84, v94
	s_wait_dscnt 0xd
	s_delay_alu instid0(VALU_DEP_2) | instskip(SKIP_2) | instid1(VALU_DEP_2)
	v_dual_mul_f32 v86, s11, v86 :: v_dual_fmac_f32 v83, v9, v85
	s_wait_loadcnt 0x34
	v_cvt_f32_fp8_e32 v85, v95
	v_dual_mul_f32 v84, s11, v84 :: v_dual_fmac_f32 v83, v10, v86
	s_wait_loadcnt 0x33
	v_cvt_f32_fp8_e32 v86, v96
	s_delay_alu instid0(VALU_DEP_3)
	v_mul_f32_e32 v85, s11, v85
	s_wait_loadcnt 0x0
	v_cvt_f32_fp8_e32 v82, v82
	v_fmac_f32_e32 v83, v11, v84
	v_cvt_f32_fp8_e32 v84, v97
	v_mul_f32_e32 v86, s11, v86
	s_delay_alu instid0(VALU_DEP_3) | instskip(SKIP_2) | instid1(VALU_DEP_2)
	v_dual_mul_f32 v82, s11, v82 :: v_dual_fmac_f32 v83, v12, v85
	v_cvt_f32_fp8_e32 v85, v98
	s_wait_dscnt 0xc
	v_dual_mul_f32 v84, s11, v84 :: v_dual_fmac_f32 v83, v13, v86
	v_cvt_f32_fp8_e32 v86, v99
	s_delay_alu instid0(VALU_DEP_3) | instskip(NEXT) | instid1(VALU_DEP_3)
	v_mul_f32_e32 v85, s11, v85
	v_fmac_f32_e32 v83, v14, v84
	v_cvt_f32_fp8_e32 v84, v100
	s_delay_alu instid0(VALU_DEP_2) | instskip(SKIP_1) | instid1(VALU_DEP_2)
	v_dual_mul_f32 v86, s11, v86 :: v_dual_fmac_f32 v83, v15, v85
	v_cvt_f32_fp8_e32 v85, v101
	v_dual_mul_f32 v84, s11, v84 :: v_dual_fmac_f32 v83, v16, v86
	v_cvt_f32_fp8_e32 v86, v102
	s_delay_alu instid0(VALU_DEP_3) | instskip(SKIP_1) | instid1(VALU_DEP_3)
	v_mul_f32_e32 v85, s11, v85
	s_wait_dscnt 0xb
	v_fmac_f32_e32 v83, v17, v84
	v_cvt_f32_fp8_e32 v84, v103
	s_delay_alu instid0(VALU_DEP_2) | instskip(SKIP_1) | instid1(VALU_DEP_2)
	v_dual_mul_f32 v86, s11, v86 :: v_dual_fmac_f32 v83, v18, v85
	v_cvt_f32_fp8_e32 v85, v104
	v_dual_mul_f32 v84, s11, v84 :: v_dual_fmac_f32 v83, v19, v86
	v_cvt_f32_fp8_e32 v86, v105
	s_delay_alu instid0(VALU_DEP_3) | instskip(NEXT) | instid1(VALU_DEP_3)
	v_mul_f32_e32 v85, s11, v85
	v_fmac_f32_e32 v83, v20, v84
	v_cvt_f32_fp8_e32 v84, v106
	s_wait_dscnt 0xa
	s_delay_alu instid0(VALU_DEP_2) | instskip(SKIP_1) | instid1(VALU_DEP_2)
	v_dual_mul_f32 v86, s11, v86 :: v_dual_fmac_f32 v83, v21, v85
	v_cvt_f32_fp8_e32 v85, v107
	v_dual_mul_f32 v84, s11, v84 :: v_dual_fmac_f32 v83, v22, v86
	v_cvt_f32_fp8_e32 v86, v108
	s_delay_alu instid0(VALU_DEP_3) | instskip(NEXT) | instid1(VALU_DEP_3)
	v_mul_f32_e32 v85, s11, v85
	v_fmac_f32_e32 v83, v23, v84
	v_cvt_f32_fp8_e32 v84, v109
	s_delay_alu instid0(VALU_DEP_2) | instskip(SKIP_2) | instid1(VALU_DEP_2)
	v_dual_mul_f32 v86, s11, v86 :: v_dual_fmac_f32 v83, v24, v85
	v_cvt_f32_fp8_e32 v85, v110
	s_wait_dscnt 0x9
	v_dual_mul_f32 v84, s11, v84 :: v_dual_fmac_f32 v83, v25, v86
	v_cvt_f32_fp8_e32 v86, v111
	s_delay_alu instid0(VALU_DEP_3) | instskip(NEXT) | instid1(VALU_DEP_3)
	v_mul_f32_e32 v85, s11, v85
	v_fmac_f32_e32 v83, v26, v84
	v_cvt_f32_fp8_e32 v84, v112
	s_delay_alu instid0(VALU_DEP_2) | instskip(SKIP_1) | instid1(VALU_DEP_2)
	v_dual_mul_f32 v86, s11, v86 :: v_dual_fmac_f32 v83, v27, v85
	v_cvt_f32_fp8_e32 v85, v113
	v_dual_mul_f32 v84, s11, v84 :: v_dual_fmac_f32 v83, v28, v86
	v_cvt_f32_fp8_e32 v86, v114
	s_delay_alu instid0(VALU_DEP_3) | instskip(SKIP_1) | instid1(VALU_DEP_3)
	v_mul_f32_e32 v85, s11, v85
	s_wait_dscnt 0x8
	v_fmac_f32_e32 v83, v29, v84
	v_cvt_f32_fp8_e32 v84, v115
	s_delay_alu instid0(VALU_DEP_2) | instskip(SKIP_1) | instid1(VALU_DEP_2)
	v_dual_mul_f32 v86, s11, v86 :: v_dual_fmac_f32 v83, v30, v85
	v_cvt_f32_fp8_e32 v85, v116
	v_dual_mul_f32 v84, s11, v84 :: v_dual_fmac_f32 v83, v31, v86
	v_cvt_f32_fp8_e32 v86, v117
	s_delay_alu instid0(VALU_DEP_3) | instskip(NEXT) | instid1(VALU_DEP_3)
	v_mul_f32_e32 v85, s11, v85
	v_fmac_f32_e32 v83, v32, v84
	v_cvt_f32_fp8_e32 v84, v118
	s_wait_dscnt 0x7
	s_delay_alu instid0(VALU_DEP_2) | instskip(SKIP_1) | instid1(VALU_DEP_2)
	v_dual_mul_f32 v86, s11, v86 :: v_dual_fmac_f32 v83, v33, v85
	v_cvt_f32_fp8_e32 v85, v119
	v_dual_mul_f32 v84, s11, v84 :: v_dual_fmac_f32 v83, v34, v86
	v_cvt_f32_fp8_e32 v86, v120
	s_delay_alu instid0(VALU_DEP_3) | instskip(NEXT) | instid1(VALU_DEP_3)
	v_mul_f32_e32 v85, s11, v85
	v_fmac_f32_e32 v83, v35, v84
	v_cvt_f32_fp8_e32 v84, v121
	s_delay_alu instid0(VALU_DEP_2) | instskip(SKIP_2) | instid1(VALU_DEP_2)
	v_dual_mul_f32 v86, s11, v86 :: v_dual_fmac_f32 v83, v36, v85
	v_cvt_f32_fp8_e32 v85, v122
	s_wait_dscnt 0x6
	v_dual_mul_f32 v84, s11, v84 :: v_dual_fmac_f32 v83, v37, v86
	v_cvt_f32_fp8_e32 v86, v123
	s_delay_alu instid0(VALU_DEP_3) | instskip(NEXT) | instid1(VALU_DEP_3)
	v_mul_f32_e32 v85, s11, v85
	v_fmac_f32_e32 v83, v38, v84
	v_cvt_f32_fp8_e32 v84, v124
	s_delay_alu instid0(VALU_DEP_2) | instskip(SKIP_1) | instid1(VALU_DEP_2)
	v_dual_mul_f32 v86, s11, v86 :: v_dual_fmac_f32 v83, v39, v85
	v_cvt_f32_fp8_e32 v85, v125
	v_dual_mul_f32 v84, s11, v84 :: v_dual_fmac_f32 v83, v40, v86
	v_cvt_f32_fp8_e32 v86, v126
	s_delay_alu instid0(VALU_DEP_3) | instskip(SKIP_1) | instid1(VALU_DEP_2)
	v_mul_f32_e32 v85, s11, v85
	s_wait_dscnt 0x5
	v_dual_fmac_f32 v83, v41, v84 :: v_dual_mul_f32 v84, s11, v86
	v_cvt_f32_fp8_e32 v86, v128
	s_delay_alu instid0(VALU_DEP_2) | instskip(SKIP_1) | instid1(VALU_DEP_1)
	v_fmac_f32_e32 v83, v42, v85
	v_cvt_f32_fp8_e32 v85, v127
	v_dual_fmac_f32 v83, v43, v84 :: v_dual_mul_f32 v84, s11, v85
	s_delay_alu instid0(VALU_DEP_4) | instskip(SKIP_1) | instid1(VALU_DEP_3)
	v_mul_f32_e32 v85, s11, v86
	v_cvt_f32_fp8_e32 v86, v129
	v_fmac_f32_e32 v83, v44, v84
	v_cvt_f32_fp8_e32 v84, v130
	s_wait_dscnt 0x4
	s_delay_alu instid0(VALU_DEP_2) | instskip(NEXT) | instid1(VALU_DEP_2)
	v_dual_mul_f32 v86, s11, v86 :: v_dual_fmac_f32 v83, v45, v85
	v_mul_f32_e32 v84, s11, v84
	v_cvt_f32_fp8_e32 v85, v131
	s_delay_alu instid0(VALU_DEP_3) | instskip(SKIP_1) | instid1(VALU_DEP_3)
	v_fmac_f32_e32 v83, v46, v86
	v_cvt_f32_fp8_e32 v86, v132
	v_mul_f32_e32 v85, s11, v85
	s_delay_alu instid0(VALU_DEP_2) | instskip(SKIP_1) | instid1(VALU_DEP_2)
	v_dual_fmac_f32 v83, v47, v84 :: v_dual_mul_f32 v84, s11, v86
	v_cvt_f32_fp8_e32 v86, v133
	v_fmac_f32_e32 v83, v48, v85
	v_cvt_f32_fp8_e32 v85, v134
	s_wait_dscnt 0x3
	s_delay_alu instid0(VALU_DEP_2) | instskip(NEXT) | instid1(VALU_DEP_2)
	v_dual_mul_f32 v86, s11, v86 :: v_dual_fmac_f32 v83, v49, v84
	v_mul_f32_e32 v84, s11, v85
	v_cvt_f32_fp8_e32 v85, v135
	s_delay_alu instid0(VALU_DEP_3) | instskip(SKIP_1) | instid1(VALU_DEP_3)
	v_fmac_f32_e32 v83, v50, v86
	v_cvt_f32_fp8_e32 v86, v136
	v_mul_f32_e32 v85, s11, v85
	s_delay_alu instid0(VALU_DEP_2) | instskip(SKIP_1) | instid1(VALU_DEP_2)
	v_dual_fmac_f32 v83, v51, v84 :: v_dual_mul_f32 v84, s11, v86
	;; [unrolled: 14-line block ×4, first 2 shown]
	v_cvt_f32_fp8_e32 v86, v145
	v_fmac_f32_e32 v83, v60, v85
	v_cvt_f32_fp8_e32 v85, v146
	s_wait_dscnt 0x0
	s_delay_alu instid0(VALU_DEP_2) | instskip(NEXT) | instid1(VALU_DEP_1)
	v_dual_mul_f32 v86, s11, v86 :: v_dual_fmac_f32 v83, v61, v84
	v_dual_mul_f32 v84, s11, v85 :: v_dual_fmac_f32 v83, v62, v86
	s_delay_alu instid0(VALU_DEP_1) | instskip(NEXT) | instid1(VALU_DEP_1)
	v_fmac_f32_e32 v83, v63, v84
	v_fmac_f32_e32 v83, v64, v82
	ds_bpermute_b32 v82, v77, v83
	s_wait_dscnt 0x0
	v_add_f32_e32 v82, v83, v82
	ds_bpermute_b32 v83, v78, v82
	s_and_saveexec_b32 s5, vcc_lo
	s_cbranch_execz .LBB206_10
; %bb.12:                               ;   in Loop: Header=BB206_11 Depth=1
	s_wait_dscnt 0x0
	v_add_f32_e32 v82, v82, v83
	s_wait_alu 0xfffe
	v_add_nc_u32_e32 v84, s24, v79
	v_cmp_gt_i32_e64 s4, s28, v79
	s_delay_alu instid0(VALU_DEP_2) | instskip(NEXT) | instid1(VALU_DEP_1)
	v_cvt_f32_i32_e32 v84, v84
	v_mul_f32_e32 v84, s8, v84
	s_delay_alu instid0(VALU_DEP_1) | instskip(NEXT) | instid1(VALU_DEP_1)
	v_cndmask_b32_e64 v83, 0, v84, s3
	v_dual_max_num_f32 v84, v76, v76 :: v_dual_fmac_f32 v83, s9, v82
	s_delay_alu instid0(VALU_DEP_1) | instskip(SKIP_2) | instid1(VALU_DEP_2)
	v_max_num_f32_e32 v82, v84, v83
	s_wait_alu 0xf1ff
	v_cndmask_b32_e64 v83, 0, v83, s4
	v_cndmask_b32_e64 v76, v76, v82, s4
	ds_store_b32 v80, v83
	s_branch .LBB206_10
.LBB206_13:
	s_or_b32 exec_lo, exec_lo, s14
.LBB206_14:
	s_delay_alu instid0(SALU_CYCLE_1)
	s_or_b32 exec_lo, exec_lo, s10
	v_xor_b32_e32 v1, 16, v73
	v_xor_b32_e32 v3, 8, v73
	s_load_b128 s[8:11], s[0:1], 0x0
	s_wait_kmcnt 0x0
	s_clause 0x1
	s_load_b64 s[4:5], s[0:1], 0x10
	s_load_b64 s[24:25], s[0:1], 0x28
	v_and_b32_e32 v11, 31, v0
	v_max_num_f32_e32 v5, v76, v76
	v_cmp_lt_i32_e32 vcc_lo, v1, v75
	s_wait_alu 0xfffd
	v_cndmask_b32_e32 v1, v73, v1, vcc_lo
	v_cmp_lt_i32_e32 vcc_lo, v3, v75
	s_wait_alu 0xfffd
	v_cndmask_b32_e32 v3, v73, v3, vcc_lo
	s_delay_alu instid0(VALU_DEP_1) | instskip(SKIP_4) | instid1(VALU_DEP_1)
	v_lshlrev_b32_e32 v4, 2, v3
	v_lshlrev_b32_e32 v2, 2, v1
	ds_bpermute_b32 v1, v2, v76
	s_wait_dscnt 0x0
	v_max_num_f32_e32 v1, v1, v1
	v_max_num_f32_e32 v1, v5, v1
	v_xor_b32_e32 v5, 4, v73
	ds_bpermute_b32 v3, v4, v1
	v_cmp_lt_i32_e32 vcc_lo, v5, v75
	s_wait_alu 0xfffd
	v_cndmask_b32_e32 v5, v73, v5, vcc_lo
	v_cmp_eq_u32_e32 vcc_lo, 0, v11
	s_delay_alu instid0(VALU_DEP_2) | instskip(SKIP_3) | instid1(VALU_DEP_1)
	v_lshlrev_b32_e32 v7, 2, v5
	v_lshlrev_b32_e32 v5, 2, v69
	s_wait_dscnt 0x0
	v_max_num_f32_e32 v3, v3, v3
	v_max_num_f32_e32 v1, v1, v3
	ds_bpermute_b32 v3, v7, v1
	s_and_saveexec_b32 s0, vcc_lo
	s_cbranch_execz .LBB206_16
; %bb.15:
	s_wait_dscnt 0x0
	v_max_num_f32_e32 v3, v3, v3
	v_max_num_f32_e32 v1, v1, v1
	s_delay_alu instid0(VALU_DEP_1)
	v_max_num_f32_e32 v1, v1, v3
	ds_store_b32 v5, v1 offset:1024
.LBB206_16:
	s_or_b32 exec_lo, exec_lo, s0
	v_cmp_gt_u32_e64 s0, 4, v11
	v_dual_mov_b32 v1, 0xff7fffff :: v_dual_lshlrev_b32 v6, 2, v11
	s_wait_loadcnt_dscnt 0x0
	s_barrier_signal -1
	s_barrier_wait -1
	global_inv scope:SCOPE_SE
	s_and_saveexec_b32 s1, s0
; %bb.17:
	ds_load_b32 v1, v6 offset:1024
; %bb.18:
	s_or_b32 exec_lo, exec_lo, s1
	v_xor_b32_e32 v3, 2, v73
	v_xor_b32_e32 v9, 1, v73
	s_delay_alu instid0(VALU_DEP_2) | instskip(NEXT) | instid1(VALU_DEP_1)
	v_cmp_lt_i32_e64 s1, v3, v75
	v_cndmask_b32_e64 v3, v73, v3, s1
	s_delay_alu instid0(VALU_DEP_3) | instskip(NEXT) | instid1(VALU_DEP_2)
	v_cmp_lt_i32_e64 s1, v9, v75
	v_lshlrev_b32_e32 v8, 2, v3
	s_wait_alu 0xf1ff
	s_delay_alu instid0(VALU_DEP_2)
	v_cndmask_b32_e64 v9, v73, v9, s1
	s_sub_co_i32 s1, s12, s31
	s_wait_alu 0xfffe
	s_lshl_b32 s1, s1, 3
	s_wait_dscnt 0x0
	ds_bpermute_b32 v3, v8, v1
	v_max_num_f32_e32 v1, v1, v1
	s_wait_alu 0xfffe
	s_add_co_i32 s1, s1, s29
	v_lshlrev_b32_e32 v12, 2, v9
	s_wait_alu 0xfffe
	s_min_i32 s1, s1, s28
	v_mov_b32_e32 v9, 0
	s_wait_alu 0xfffe
	s_sub_co_i32 s14, s1, s29
	s_delay_alu instid0(SALU_CYCLE_1) | instskip(SKIP_2) | instid1(VALU_DEP_1)
	v_cmp_gt_i32_e64 s1, s14, v0
	s_wait_dscnt 0x0
	v_max_num_f32_e32 v3, v3, v3
	v_max_num_f32_e32 v1, v1, v3
	ds_bpermute_b32 v3, v12, v1
	s_wait_dscnt 0x0
	v_max_num_f32_e32 v3, v3, v3
	s_delay_alu instid0(VALU_DEP_1)
	v_max_num_f32_e32 v1, v1, v3
	v_lshlrev_b32_e32 v3, 2, v74
	ds_bpermute_b32 v1, v3, v1
	v_lshl_add_u32 v3, v0, 2, 0x420
	s_and_saveexec_b32 s23, s1
	s_cbranch_execz .LBB206_22
; %bb.19:
	v_lshl_add_u32 v10, v0, 2, 0x420
	v_mov_b32_e32 v9, 0
	v_mov_b32_e32 v13, v0
	s_mov_b32 s31, 0
.LBB206_20:                             ; =>This Inner Loop Header: Depth=1
	ds_load_b32 v14, v10
	v_add_nc_u32_e32 v13, 0x80, v13
	s_delay_alu instid0(VALU_DEP_1) | instskip(SKIP_4) | instid1(VALU_DEP_1)
	v_cmp_le_i32_e64 s3, s14, v13
	s_wait_alu 0xfffe
	s_or_b32 s31, s3, s31
	s_wait_dscnt 0x0
	v_sub_f32_e32 v14, v14, v1
	v_mul_f32_e32 v14, 0x3fb8aa3b, v14
	s_delay_alu instid0(VALU_DEP_1)
	v_exp_f32_e32 v14, v14
	ds_store_b32 v10, v14
	v_add_f32_e32 v9, v9, v14
	v_add_nc_u32_e32 v10, 0x200, v10
	s_wait_alu 0xfffe
	s_and_not1_b32 exec_lo, exec_lo, s31
	s_cbranch_execnz .LBB206_20
; %bb.21:
	s_or_b32 exec_lo, exec_lo, s31
.LBB206_22:
	s_wait_alu 0xfffe
	s_or_b32 exec_lo, exec_lo, s23
	ds_bpermute_b32 v2, v2, v9
	s_wait_dscnt 0x0
	v_add_f32_e32 v2, v9, v2
	ds_bpermute_b32 v4, v4, v2
	s_wait_dscnt 0x0
	v_add_f32_e32 v2, v2, v4
	;; [unrolled: 3-line block ×5, first 2 shown]
	s_and_saveexec_b32 s3, vcc_lo
; %bb.23:
	ds_store_b32 v5, v2 offset:1040
; %bb.24:
	s_wait_alu 0xfffe
	s_or_b32 exec_lo, exec_lo, s3
	s_wait_loadcnt_dscnt 0x0
	s_barrier_signal -1
	s_barrier_wait -1
	global_inv scope:SCOPE_SE
	s_and_saveexec_b32 s3, s0
; %bb.25:
	ds_load_b32 v2, v6 offset:1040
; %bb.26:
	s_wait_alu 0xfffe
	s_or_b32 exec_lo, exec_lo, s3
	s_wait_dscnt 0x0
	ds_bpermute_b32 v4, v8, v2
	s_wait_dscnt 0x0
	v_dual_add_f32 v2, v2, v4 :: v_dual_lshlrev_b32 v5, 2, v73
	ds_bpermute_b32 v4, v12, v2
	s_wait_dscnt 0x0
	v_add_f32_e32 v2, v2, v4
	v_and_b32_e32 v4, 0xffffff80, v5
	ds_bpermute_b32 v2, v4, v2
	s_and_saveexec_b32 s0, s1
	s_cbranch_execz .LBB206_29
; %bb.27:
	s_wait_dscnt 0x0
	v_add_f32_e32 v4, 0x358637bd, v2
	s_mov_b32 s1, 0
	s_delay_alu instid0(VALU_DEP_1) | instskip(SKIP_1) | instid1(VALU_DEP_2)
	v_div_scale_f32 v5, null, v4, v4, 1.0
	v_div_scale_f32 v8, vcc_lo, 1.0, v4, 1.0
	v_rcp_f32_e32 v6, v5
	s_delay_alu instid0(TRANS32_DEP_1) | instskip(NEXT) | instid1(VALU_DEP_1)
	v_fma_f32 v7, -v5, v6, 1.0
	v_fmac_f32_e32 v6, v7, v6
	s_delay_alu instid0(VALU_DEP_1) | instskip(NEXT) | instid1(VALU_DEP_1)
	v_mul_f32_e32 v7, v8, v6
	v_fma_f32 v9, -v5, v7, v8
	s_delay_alu instid0(VALU_DEP_1) | instskip(NEXT) | instid1(VALU_DEP_1)
	v_fmac_f32_e32 v7, v9, v6
	v_fma_f32 v5, -v5, v7, v8
	s_wait_alu 0xfffd
	s_delay_alu instid0(VALU_DEP_1) | instskip(NEXT) | instid1(VALU_DEP_1)
	v_div_fmas_f32 v5, v5, v6, v7
	v_div_fixup_f32 v4, v5, v4, 1.0
	v_mov_b32_e32 v5, v0
.LBB206_28:                             ; =>This Inner Loop Header: Depth=1
	ds_load_b32 v6, v3
	s_wait_dscnt 0x0
	v_dual_mul_f32 v6, v4, v6 :: v_dual_add_nc_u32 v5, 0x80, v5
	s_delay_alu instid0(VALU_DEP_1)
	v_cmp_le_i32_e32 vcc_lo, s14, v5
	ds_store_b32 v3, v6
	v_add_nc_u32_e32 v3, 0x200, v3
	s_wait_alu 0xfffe
	s_or_b32 s1, vcc_lo, s1
	s_wait_alu 0xfffe
	s_and_not1_b32 exec_lo, exec_lo, s1
	s_cbranch_execnz .LBB206_28
.LBB206_29:
	s_wait_alu 0xfffe
	s_or_b32 exec_lo, exec_lo, s0
	s_mul_i32 s0, s27, s15
	s_wait_loadcnt_dscnt 0x0
	s_wait_alu 0xfffe
	s_mul_i32 s14, s0, s30
	s_mov_b32 s0, exec_lo
	s_barrier_signal -1
	s_barrier_wait -1
	global_inv scope:SCOPE_SE
	v_cmpx_eq_u32_e32 0, v0
	s_cbranch_execz .LBB206_31
; %bb.30:
	s_wait_alu 0xfffe
	s_ashr_i32 s15, s14, 31
	s_mul_i32 s30, s27, ttmp9
	s_lshl_b32 s1, s26, 2
	s_wait_alu 0xfffe
	s_lshl_b64 s[34:35], s[14:15], 2
	s_ashr_i32 s31, s30, 31
	v_mov_b32_e32 v3, s1
	s_add_nc_u64 s[10:11], s[10:11], s[34:35]
	s_wait_alu 0xfffe
	s_lshl_b64 s[30:31], s[30:31], 2
	s_add_nc_u64 s[8:9], s[8:9], s[34:35]
	s_wait_alu 0xfffe
	s_add_nc_u64 s[10:11], s[10:11], s[30:31]
	s_add_nc_u64 s[8:9], s[8:9], s[30:31]
	s_clause 0x1
	global_store_b32 v3, v1, s[10:11]
	global_store_b32 v3, v2, s[8:9]
.LBB206_31:
	s_wait_alu 0xfffe
	s_or_b32 exec_lo, exec_lo, s0
	v_dual_mov_b32 v27, 0 :: v_dual_mov_b32 v28, 0
	v_dual_mov_b32 v26, 0 :: v_dual_and_b32 v13, 1, v0
	v_dual_mov_b32 v29, 0 :: v_dual_mov_b32 v24, 0
	v_dual_mov_b32 v25, 0 :: v_dual_mov_b32 v22, 0
	;; [unrolled: 1-line block ×6, first 2 shown]
	v_mov_b32_e32 v15, 0
	s_and_saveexec_b32 s1, s2
	s_cbranch_execz .LBB206_67
; %bb.32:
	s_load_b32 s3, s[6:7], 0x0
	v_dual_mov_b32 v15, 0 :: v_dual_lshlrev_b32 v2, 4, v13
	v_dual_mov_b32 v16, 0 :: v_dual_and_b32 v3, 0x7c, v71
	s_ashr_i32 s23, s22, 31
	s_lshl_b64 s[6:7], s[18:19], 2
	s_wait_kmcnt 0x0
	s_wait_alu 0xfffe
	s_add_nc_u64 s[8:9], s[24:25], s[22:23]
	v_dual_mov_b32 v14, 0 :: v_dual_and_b32 v1, 4, v71
	v_lshl_add_u32 v4, v69, 3, s29
	v_lshl_or_b32 v2, v69, 5, v2
	s_wait_alu 0xfffe
	v_add_co_u32 v5, s0, s8, v3
	s_add_nc_u64 s[6:7], s[20:21], s[6:7]
	s_wait_alu 0xf1ff
	v_add_co_ci_u32_e64 v6, null, s9, 0, s0
	v_add_co_u32 v7, s0, s6, v72
	v_add3_u32 v30, v4, v1, 3
	v_dual_mov_b32 v18, 0 :: v_dual_add_nc_u32 v31, 0x420, v2
	s_wait_alu 0xf1ff
	v_add_co_ci_u32_e64 v8, null, s7, 0, s0
	v_dual_mov_b32 v17, 0 :: v_dual_mov_b32 v20, 0
	v_dual_mov_b32 v19, 0 :: v_dual_mov_b32 v22, 0
	;; [unrolled: 1-line block ×5, first 2 shown]
	v_mov_b32_e32 v29, 0
	v_mov_b32_e32 v27, 0
	s_mov_b32 s2, s13
	s_mov_b32 s6, s3
	s_add_co_i32 s17, s17, -1
	s_mov_b32 s7, 0
	s_branch .LBB206_34
.LBB206_33:                             ;   in Loop: Header=BB206_34 Depth=1
	s_wait_alu 0xfffe
	s_or_b32 exec_lo, exec_lo, s0
	s_wait_dscnt 0x0
	v_mul_f32_e32 v49, v1, v94
	v_mul_f32_e32 v48, v1, v98
	;; [unrolled: 1-line block ×3, first 2 shown]
	v_add_nc_u32_e32 v70, 4, v70
	v_add_co_u32 v7, s0, v7, 16
	v_dual_fmac_f32 v49, v2, v93 :: v_dual_mul_f32 v50, v1, v90
	v_fmac_f32_e32 v48, v2, v97
	s_delay_alu instid0(VALU_DEP_4) | instskip(NEXT) | instid1(VALU_DEP_3)
	v_cmp_le_i32_e32 vcc_lo, s12, v70
	v_dual_fmac_f32 v49, v3, v92 :: v_dual_add_nc_u32 v30, 32, v30
	v_mul_f32_e32 v84, v1, v84
	v_fmac_f32_e32 v50, v2, v88
	s_wait_alu 0xf1ff
	v_add_co_ci_u32_e64 v8, null, 0, v8, s0
	v_fmac_f32_e32 v49, v4, v91
	s_or_b32 s7, vcc_lo, s7
	v_mul_f32_e32 v35, v1, v35
	v_mul_f32_e32 v43, v1, v43
	s_delay_alu instid0(VALU_DEP_3) | instskip(SKIP_1) | instid1(VALU_DEP_3)
	v_dual_mul_f32 v39, v1, v39 :: v_dual_add_f32 v16, v16, v49
	v_mul_f32_e32 v49, v1, v66
	v_dual_mul_f32 v80, v1, v80 :: v_dual_fmac_f32 v43, v2, v42
	v_fmac_f32_e32 v50, v3, v86
	s_delay_alu instid0(VALU_DEP_4) | instskip(NEXT) | instid1(VALU_DEP_4)
	v_fmac_f32_e32 v39, v2, v38
	v_fmac_f32_e32 v49, v2, v65
	s_delay_alu instid0(VALU_DEP_4)
	v_fmac_f32_e32 v80, v2, v79
	v_mul_f32_e32 v58, v1, v58
	v_fmac_f32_e32 v35, v2, v34
	v_fmac_f32_e32 v39, v3, v37
	;; [unrolled: 1-line block ×3, first 2 shown]
	v_mul_f32_e32 v76, v1, v76
	v_fmac_f32_e32 v80, v3, v78
	s_delay_alu instid0(VALU_DEP_4) | instskip(NEXT) | instid1(VALU_DEP_4)
	v_dual_fmac_f32 v54, v2, v53 :: v_dual_fmac_f32 v39, v4, v36
	v_fmac_f32_e32 v49, v4, v63
	s_delay_alu instid0(VALU_DEP_3) | instskip(SKIP_1) | instid1(VALU_DEP_4)
	v_dual_mul_f32 v47, v1, v47 :: v_dual_fmac_f32 v80, v4, v77
	v_fmac_f32_e32 v76, v2, v75
	v_dual_fmac_f32 v54, v3, v52 :: v_dual_add_f32 v29, v29, v39
	s_delay_alu instid0(VALU_DEP_3) | instskip(NEXT) | instid1(VALU_DEP_4)
	v_fmac_f32_e32 v47, v2, v46
	v_add_f32_e32 v19, v19, v80
	s_delay_alu instid0(VALU_DEP_4) | instskip(NEXT) | instid1(VALU_DEP_4)
	v_fmac_f32_e32 v76, v3, v74
	v_fmac_f32_e32 v54, v4, v51
	;; [unrolled: 1-line block ×5, first 2 shown]
	s_delay_alu instid0(VALU_DEP_4) | instskip(NEXT) | instid1(VALU_DEP_4)
	v_dual_fmac_f32 v76, v4, v73 :: v_dual_add_f32 v25, v25, v54
	v_dual_fmac_f32 v48, v3, v96 :: v_dual_add_f32 v17, v17, v50
	v_mul_f32_e32 v50, v1, v62
	s_delay_alu instid0(VALU_DEP_3) | instskip(SKIP_1) | instid1(VALU_DEP_3)
	v_add_f32_e32 v20, v20, v76
	v_dual_fmac_f32 v58, v2, v57 :: v_dual_fmac_f32 v43, v4, v40
	v_dual_fmac_f32 v47, v4, v44 :: v_dual_fmac_f32 v50, v2, v61
	s_delay_alu instid0(VALU_DEP_2) | instskip(NEXT) | instid1(VALU_DEP_3)
	v_dual_fmac_f32 v58, v3, v56 :: v_dual_add_nc_u32 v31, 0x80, v31
	v_add_f32_e32 v28, v28, v43
	s_delay_alu instid0(VALU_DEP_3) | instskip(NEXT) | instid1(VALU_DEP_4)
	v_add_f32_e32 v26, v26, v47
	v_fmac_f32_e32 v50, v3, v60
	s_delay_alu instid0(VALU_DEP_4) | instskip(SKIP_1) | instid1(VALU_DEP_3)
	v_dual_fmac_f32 v35, v3, v33 :: v_dual_fmac_f32 v58, v4, v55
	v_add_f32_e32 v22, v22, v49
	v_fmac_f32_e32 v50, v4, v59
	v_fmac_f32_e32 v48, v4, v95
	s_delay_alu instid0(VALU_DEP_4) | instskip(SKIP_1) | instid1(VALU_DEP_4)
	v_fmac_f32_e32 v35, v4, v32
	v_add_f32_e32 v24, v24, v58
	v_dual_add_f32 v23, v23, v50 :: v_dual_fmac_f32 v84, v2, v83
	s_delay_alu instid0(VALU_DEP_4) | instskip(SKIP_4) | instid1(VALU_DEP_4)
	v_add_f32_e32 v15, v15, v48
	v_mul_f32_e32 v48, v1, v72
	v_mul_f32_e32 v1, v1, v89
	v_add_f32_e32 v27, v27, v35
	v_fmac_f32_e32 v84, v3, v82
	v_fmac_f32_e32 v48, v2, v71
	s_delay_alu instid0(VALU_DEP_2) | instskip(NEXT) | instid1(VALU_DEP_1)
	v_dual_fmac_f32 v1, v2, v87 :: v_dual_fmac_f32 v84, v4, v81
	v_fmac_f32_e32 v1, v3, v10
	s_delay_alu instid0(VALU_DEP_3) | instskip(NEXT) | instid1(VALU_DEP_2)
	v_fmac_f32_e32 v48, v3, v68
	v_dual_add_f32 v18, v18, v84 :: v_dual_fmac_f32 v1, v4, v9
	s_delay_alu instid0(VALU_DEP_2) | instskip(NEXT) | instid1(VALU_DEP_1)
	v_fmac_f32_e32 v48, v4, v67
	v_dual_add_f32 v14, v14, v1 :: v_dual_add_f32 v21, v21, v48
	s_wait_alu 0xfffe
	s_and_not1_b32 exec_lo, exec_lo, s7
	s_cbranch_execz .LBB206_66
.LBB206_34:                             ; =>This Inner Loop Header: Depth=1
	global_load_b32 v1, v[7:8], off
	v_cmp_eq_u32_e32 vcc_lo, s17, v70
	v_add_nc_u32_e32 v50, -1, v30
	s_wait_loadcnt 0x0
	s_wait_alu 0xfffe
	v_mad_co_i64_i32 v[9:10], null, v1, s2, v[5:6]
	ds_load_b128 v[1:4], v31
	global_load_b32 v32, v[9:10], off
	s_wait_loadcnt 0x0
	v_lshrrev_b32_e32 v34, 16, v32
	s_delay_alu instid0(VALU_DEP_1) | instskip(SKIP_1) | instid1(VALU_DEP_1)
	v_cvt_pk_f32_fp8_e32 v[36:37], v34
	v_and_b32_e32 v33, 0xffff, v32
	v_cvt_pk_f32_fp8_e32 v[32:33], v33
	v_add_nc_u32_e32 v48, -3, v30
	s_delay_alu instid0(VALU_DEP_2) | instskip(NEXT) | instid1(VALU_DEP_3)
	v_dual_mul_f32 v34, s6, v33 :: v_dual_add_nc_u32 v49, -2, v30
	v_mul_f32_e32 v35, s3, v32
	v_dual_mul_f32 v33, s3, v36 :: v_dual_mul_f32 v32, s6, v37
	s_and_saveexec_b32 s8, vcc_lo
	s_cbranch_execz .LBB206_36
; %bb.35:                               ;   in Loop: Header=BB206_34 Depth=1
	v_cmp_gt_i32_e64 s0, s28, v48
	s_wait_alu 0xf1ff
	s_delay_alu instid0(VALU_DEP_1) | instskip(SKIP_2) | instid1(VALU_DEP_1)
	v_cndmask_b32_e64 v35, 0, v35, s0
	v_cmp_gt_i32_e64 s0, s28, v49
	s_wait_alu 0xf1ff
	v_cndmask_b32_e64 v34, 0, v34, s0
	v_cmp_gt_i32_e64 s0, s28, v50
	s_wait_alu 0xf1ff
	s_delay_alu instid0(VALU_DEP_1) | instskip(SKIP_2) | instid1(VALU_DEP_1)
	v_cndmask_b32_e64 v33, 0, v33, s0
	v_cmp_gt_i32_e64 s0, s28, v30
	s_wait_alu 0xf1ff
	v_cndmask_b32_e64 v32, 0, v32, s0
.LBB206_36:                             ;   in Loop: Header=BB206_34 Depth=1
	s_wait_alu 0xfffe
	s_or_b32 exec_lo, exec_lo, s8
	global_load_b32 v36, v[9:10], off offset:128
	s_wait_loadcnt 0x0
	v_lshrrev_b32_e32 v38, 16, v36
	s_delay_alu instid0(VALU_DEP_1) | instskip(SKIP_1) | instid1(VALU_DEP_1)
	v_cvt_pk_f32_fp8_e32 v[40:41], v38
	v_and_b32_e32 v37, 0xffff, v36
	v_cvt_pk_f32_fp8_e32 v[36:37], v37
	s_delay_alu instid0(VALU_DEP_1) | instskip(NEXT) | instid1(VALU_DEP_4)
	v_dual_mul_f32 v39, s3, v36 :: v_dual_mul_f32 v38, s6, v37
	v_dual_mul_f32 v37, s3, v40 :: v_dual_mul_f32 v36, s6, v41
	s_and_saveexec_b32 s8, vcc_lo
	s_cbranch_execz .LBB206_38
; %bb.37:                               ;   in Loop: Header=BB206_34 Depth=1
	v_cmp_gt_i32_e64 s0, s28, v48
	s_wait_alu 0xf1ff
	s_delay_alu instid0(VALU_DEP_1) | instskip(SKIP_2) | instid1(VALU_DEP_1)
	v_cndmask_b32_e64 v39, 0, v39, s0
	v_cmp_gt_i32_e64 s0, s28, v49
	s_wait_alu 0xf1ff
	v_cndmask_b32_e64 v38, 0, v38, s0
	v_cmp_gt_i32_e64 s0, s28, v50
	s_wait_alu 0xf1ff
	s_delay_alu instid0(VALU_DEP_1) | instskip(SKIP_2) | instid1(VALU_DEP_1)
	v_cndmask_b32_e64 v37, 0, v37, s0
	v_cmp_gt_i32_e64 s0, s28, v30
	s_wait_alu 0xf1ff
	v_cndmask_b32_e64 v36, 0, v36, s0
.LBB206_38:                             ;   in Loop: Header=BB206_34 Depth=1
	s_wait_alu 0xfffe
	s_or_b32 exec_lo, exec_lo, s8
	global_load_b32 v40, v[9:10], off offset:256
	s_wait_loadcnt 0x0
	v_lshrrev_b32_e32 v42, 16, v40
	s_delay_alu instid0(VALU_DEP_1) | instskip(SKIP_1) | instid1(VALU_DEP_1)
	v_cvt_pk_f32_fp8_e32 v[44:45], v42
	v_and_b32_e32 v41, 0xffff, v40
	v_cvt_pk_f32_fp8_e32 v[40:41], v41
	s_delay_alu instid0(VALU_DEP_1) | instskip(NEXT) | instid1(VALU_DEP_4)
	v_dual_mul_f32 v43, s3, v40 :: v_dual_mul_f32 v42, s6, v41
	v_dual_mul_f32 v41, s3, v44 :: v_dual_mul_f32 v40, s6, v45
	s_and_saveexec_b32 s8, vcc_lo
	s_cbranch_execz .LBB206_40
; %bb.39:                               ;   in Loop: Header=BB206_34 Depth=1
	v_cmp_gt_i32_e64 s0, s28, v48
	s_wait_alu 0xf1ff
	s_delay_alu instid0(VALU_DEP_1) | instskip(SKIP_2) | instid1(VALU_DEP_1)
	v_cndmask_b32_e64 v43, 0, v43, s0
	v_cmp_gt_i32_e64 s0, s28, v49
	s_wait_alu 0xf1ff
	v_cndmask_b32_e64 v42, 0, v42, s0
	v_cmp_gt_i32_e64 s0, s28, v50
	s_wait_alu 0xf1ff
	s_delay_alu instid0(VALU_DEP_1) | instskip(SKIP_2) | instid1(VALU_DEP_1)
	v_cndmask_b32_e64 v41, 0, v41, s0
	v_cmp_gt_i32_e64 s0, s28, v30
	s_wait_alu 0xf1ff
	v_cndmask_b32_e64 v40, 0, v40, s0
.LBB206_40:                             ;   in Loop: Header=BB206_34 Depth=1
	s_wait_alu 0xfffe
	s_or_b32 exec_lo, exec_lo, s8
	global_load_b32 v44, v[9:10], off offset:384
	s_wait_loadcnt 0x0
	v_and_b32_e32 v45, 0xffff, v44
	v_lshrrev_b32_e32 v46, 16, v44
	s_delay_alu instid0(VALU_DEP_2) | instskip(NEXT) | instid1(VALU_DEP_2)
	v_cvt_pk_f32_fp8_e32 v[44:45], v45
	v_cvt_pk_f32_fp8_e32 v[51:52], v46
	s_delay_alu instid0(VALU_DEP_2) | instskip(NEXT) | instid1(VALU_DEP_2)
	v_dual_mul_f32 v47, s3, v44 :: v_dual_mul_f32 v46, s6, v45
	v_dual_mul_f32 v45, s3, v51 :: v_dual_mul_f32 v44, s6, v52
	s_and_saveexec_b32 s8, vcc_lo
	s_cbranch_execz .LBB206_42
; %bb.41:                               ;   in Loop: Header=BB206_34 Depth=1
	v_cmp_gt_i32_e64 s0, s28, v48
	s_wait_alu 0xf1ff
	s_delay_alu instid0(VALU_DEP_1) | instskip(SKIP_2) | instid1(VALU_DEP_1)
	v_cndmask_b32_e64 v47, 0, v47, s0
	v_cmp_gt_i32_e64 s0, s28, v49
	s_wait_alu 0xf1ff
	v_cndmask_b32_e64 v46, 0, v46, s0
	v_cmp_gt_i32_e64 s0, s28, v50
	s_wait_alu 0xf1ff
	s_delay_alu instid0(VALU_DEP_1) | instskip(SKIP_2) | instid1(VALU_DEP_1)
	v_cndmask_b32_e64 v45, 0, v45, s0
	v_cmp_gt_i32_e64 s0, s28, v30
	s_wait_alu 0xf1ff
	v_cndmask_b32_e64 v44, 0, v44, s0
.LBB206_42:                             ;   in Loop: Header=BB206_34 Depth=1
	s_wait_alu 0xfffe
	s_or_b32 exec_lo, exec_lo, s8
	global_load_b32 v51, v[9:10], off offset:512
	s_wait_loadcnt 0x0
	v_lshrrev_b32_e32 v53, 16, v51
	s_delay_alu instid0(VALU_DEP_1) | instskip(SKIP_1) | instid1(VALU_DEP_1)
	v_cvt_pk_f32_fp8_e32 v[55:56], v53
	v_and_b32_e32 v52, 0xffff, v51
	v_cvt_pk_f32_fp8_e32 v[51:52], v52
	s_delay_alu instid0(VALU_DEP_1) | instskip(NEXT) | instid1(VALU_DEP_4)
	v_dual_mul_f32 v54, s3, v51 :: v_dual_mul_f32 v53, s6, v52
	v_dual_mul_f32 v52, s3, v55 :: v_dual_mul_f32 v51, s6, v56
	s_and_saveexec_b32 s8, vcc_lo
	s_cbranch_execz .LBB206_44
; %bb.43:                               ;   in Loop: Header=BB206_34 Depth=1
	v_cmp_gt_i32_e64 s0, s28, v48
	s_wait_alu 0xf1ff
	s_delay_alu instid0(VALU_DEP_1) | instskip(SKIP_2) | instid1(VALU_DEP_1)
	v_cndmask_b32_e64 v54, 0, v54, s0
	v_cmp_gt_i32_e64 s0, s28, v49
	s_wait_alu 0xf1ff
	v_cndmask_b32_e64 v53, 0, v53, s0
	v_cmp_gt_i32_e64 s0, s28, v50
	s_wait_alu 0xf1ff
	s_delay_alu instid0(VALU_DEP_1) | instskip(SKIP_2) | instid1(VALU_DEP_1)
	v_cndmask_b32_e64 v52, 0, v52, s0
	v_cmp_gt_i32_e64 s0, s28, v30
	s_wait_alu 0xf1ff
	v_cndmask_b32_e64 v51, 0, v51, s0
.LBB206_44:                             ;   in Loop: Header=BB206_34 Depth=1
	s_wait_alu 0xfffe
	s_or_b32 exec_lo, exec_lo, s8
	global_load_b32 v55, v[9:10], off offset:640
	s_wait_loadcnt 0x0
	v_lshrrev_b32_e32 v57, 16, v55
	s_delay_alu instid0(VALU_DEP_1) | instskip(SKIP_1) | instid1(VALU_DEP_1)
	v_cvt_pk_f32_fp8_e32 v[59:60], v57
	v_and_b32_e32 v56, 0xffff, v55
	v_cvt_pk_f32_fp8_e32 v[55:56], v56
	s_delay_alu instid0(VALU_DEP_1) | instskip(NEXT) | instid1(VALU_DEP_4)
	;; [unrolled: 30-line block ×8, first 2 shown]
	v_dual_mul_f32 v84, s3, v81 :: v_dual_mul_f32 v83, s6, v82
	v_dual_mul_f32 v82, s3, v85 :: v_dual_mul_f32 v81, s6, v86
	s_and_saveexec_b32 s8, vcc_lo
	s_cbranch_execz .LBB206_58
; %bb.57:                               ;   in Loop: Header=BB206_34 Depth=1
	v_cmp_gt_i32_e64 s0, s28, v48
	s_wait_alu 0xf1ff
	s_delay_alu instid0(VALU_DEP_1) | instskip(SKIP_2) | instid1(VALU_DEP_1)
	v_cndmask_b32_e64 v84, 0, v84, s0
	v_cmp_gt_i32_e64 s0, s28, v49
	s_wait_alu 0xf1ff
	v_cndmask_b32_e64 v83, 0, v83, s0
	v_cmp_gt_i32_e64 s0, s28, v50
	s_wait_alu 0xf1ff
	s_delay_alu instid0(VALU_DEP_1) | instskip(SKIP_2) | instid1(VALU_DEP_1)
	v_cndmask_b32_e64 v82, 0, v82, s0
	v_cmp_gt_i32_e64 s0, s28, v30
	s_wait_alu 0xf1ff
	v_cndmask_b32_e64 v81, 0, v81, s0
.LBB206_58:                             ;   in Loop: Header=BB206_34 Depth=1
	s_wait_alu 0xfffe
	s_or_b32 exec_lo, exec_lo, s8
	global_load_b32 v85, v[9:10], off offset:1536
	s_wait_loadcnt 0x0
	v_lshrrev_b32_e32 v87, 16, v85
	s_delay_alu instid0(VALU_DEP_1) | instskip(SKIP_1) | instid1(VALU_DEP_1)
	v_cvt_pk_f32_fp8_e32 v[91:92], v87
	v_and_b32_e32 v86, 0xffff, v85
	v_cvt_pk_f32_fp8_e32 v[85:86], v86
	s_delay_alu instid0(VALU_DEP_1) | instskip(NEXT) | instid1(VALU_DEP_2)
	v_mul_f32_e32 v90, s3, v85
	v_mul_f32_e32 v88, s6, v86
	v_dual_mul_f32 v86, s3, v91 :: v_dual_mul_f32 v85, s6, v92
	s_and_saveexec_b32 s8, vcc_lo
	s_cbranch_execz .LBB206_60
; %bb.59:                               ;   in Loop: Header=BB206_34 Depth=1
	v_cmp_gt_i32_e64 s0, s28, v48
	s_wait_alu 0xf1ff
	s_delay_alu instid0(VALU_DEP_1) | instskip(SKIP_2) | instid1(VALU_DEP_1)
	v_cndmask_b32_e64 v90, 0, v90, s0
	v_cmp_gt_i32_e64 s0, s28, v49
	s_wait_alu 0xf1ff
	v_cndmask_b32_e64 v88, 0, v88, s0
	v_cmp_gt_i32_e64 s0, s28, v50
	s_wait_alu 0xf1ff
	s_delay_alu instid0(VALU_DEP_1) | instskip(SKIP_2) | instid1(VALU_DEP_1)
	v_cndmask_b32_e64 v86, 0, v86, s0
	v_cmp_gt_i32_e64 s0, s28, v30
	s_wait_alu 0xf1ff
	v_cndmask_b32_e64 v85, 0, v85, s0
.LBB206_60:                             ;   in Loop: Header=BB206_34 Depth=1
	s_wait_alu 0xfffe
	s_or_b32 exec_lo, exec_lo, s8
	global_load_b32 v87, v[9:10], off offset:1664
	s_wait_loadcnt 0x0
	v_and_b32_e32 v89, 0xffff, v87
	v_lshrrev_b32_e32 v87, 16, v87
	s_delay_alu instid0(VALU_DEP_2) | instskip(NEXT) | instid1(VALU_DEP_2)
	v_cvt_pk_f32_fp8_e32 v[91:92], v89
	v_cvt_pk_f32_fp8_e32 v[95:96], v87
	s_delay_alu instid0(VALU_DEP_2) | instskip(NEXT) | instid1(VALU_DEP_2)
	v_dual_mul_f32 v94, s3, v91 :: v_dual_mul_f32 v93, s6, v92
	v_dual_mul_f32 v92, s3, v95 :: v_dual_mul_f32 v91, s6, v96
	s_and_saveexec_b32 s8, vcc_lo
	s_cbranch_execz .LBB206_62
; %bb.61:                               ;   in Loop: Header=BB206_34 Depth=1
	v_cmp_gt_i32_e64 s0, s28, v48
	s_wait_alu 0xf1ff
	s_delay_alu instid0(VALU_DEP_1) | instskip(SKIP_2) | instid1(VALU_DEP_1)
	v_cndmask_b32_e64 v94, 0, v94, s0
	v_cmp_gt_i32_e64 s0, s28, v49
	s_wait_alu 0xf1ff
	v_cndmask_b32_e64 v93, 0, v93, s0
	v_cmp_gt_i32_e64 s0, s28, v50
	s_wait_alu 0xf1ff
	s_delay_alu instid0(VALU_DEP_1) | instskip(SKIP_2) | instid1(VALU_DEP_1)
	v_cndmask_b32_e64 v92, 0, v92, s0
	v_cmp_gt_i32_e64 s0, s28, v30
	s_wait_alu 0xf1ff
	v_cndmask_b32_e64 v91, 0, v91, s0
.LBB206_62:                             ;   in Loop: Header=BB206_34 Depth=1
	s_wait_alu 0xfffe
	s_or_b32 exec_lo, exec_lo, s8
	global_load_b32 v87, v[9:10], off offset:1792
	s_wait_loadcnt 0x0
	v_and_b32_e32 v89, 0xffff, v87
	v_lshrrev_b32_e32 v87, 16, v87
	s_delay_alu instid0(VALU_DEP_2) | instskip(NEXT) | instid1(VALU_DEP_2)
	v_cvt_pk_f32_fp8_e32 v[95:96], v89
	v_cvt_pk_f32_fp8_e32 v[99:100], v87
	s_delay_alu instid0(VALU_DEP_2) | instskip(NEXT) | instid1(VALU_DEP_2)
	v_dual_mul_f32 v98, s3, v95 :: v_dual_mul_f32 v97, s6, v96
	v_dual_mul_f32 v96, s3, v99 :: v_dual_mul_f32 v95, s6, v100
	s_and_saveexec_b32 s8, vcc_lo
	s_cbranch_execz .LBB206_64
; %bb.63:                               ;   in Loop: Header=BB206_34 Depth=1
	v_cmp_gt_i32_e64 s0, s28, v48
	s_wait_alu 0xf1ff
	s_delay_alu instid0(VALU_DEP_1) | instskip(SKIP_2) | instid1(VALU_DEP_1)
	v_cndmask_b32_e64 v98, 0, v98, s0
	v_cmp_gt_i32_e64 s0, s28, v49
	s_wait_alu 0xf1ff
	v_cndmask_b32_e64 v97, 0, v97, s0
	v_cmp_gt_i32_e64 s0, s28, v50
	s_wait_alu 0xf1ff
	s_delay_alu instid0(VALU_DEP_1) | instskip(SKIP_2) | instid1(VALU_DEP_1)
	v_cndmask_b32_e64 v96, 0, v96, s0
	v_cmp_gt_i32_e64 s0, s28, v30
	s_wait_alu 0xf1ff
	v_cndmask_b32_e64 v95, 0, v95, s0
.LBB206_64:                             ;   in Loop: Header=BB206_34 Depth=1
	s_wait_alu 0xfffe
	s_or_b32 exec_lo, exec_lo, s8
	global_load_b32 v9, v[9:10], off offset:1920
	s_wait_loadcnt 0x0
	v_lshrrev_b32_e32 v87, 16, v9
	s_delay_alu instid0(VALU_DEP_1) | instskip(SKIP_1) | instid1(VALU_DEP_1)
	v_cvt_pk_f32_fp8_e32 v[99:100], v87
	v_and_b32_e32 v10, 0xffff, v9
	v_cvt_pk_f32_fp8_e32 v[9:10], v10
	s_delay_alu instid0(VALU_DEP_1) | instskip(NEXT) | instid1(VALU_DEP_2)
	v_mul_f32_e32 v89, s3, v9
	v_dual_mul_f32 v87, s6, v10 :: v_dual_mul_f32 v10, s3, v99
	v_mul_f32_e32 v9, s6, v100
	s_and_saveexec_b32 s0, vcc_lo
	s_cbranch_execz .LBB206_33
; %bb.65:                               ;   in Loop: Header=BB206_34 Depth=1
	v_cmp_gt_i32_e32 vcc_lo, s28, v48
	s_wait_alu 0xfffd
	v_cndmask_b32_e32 v89, 0, v89, vcc_lo
	v_cmp_gt_i32_e32 vcc_lo, s28, v49
	s_wait_alu 0xfffd
	v_cndmask_b32_e32 v87, 0, v87, vcc_lo
	;; [unrolled: 3-line block ×4, first 2 shown]
	s_branch .LBB206_33
.LBB206_66:
	s_or_b32 exec_lo, exec_lo, s7
.LBB206_67:
	s_wait_alu 0xfffe
	s_or_b32 exec_lo, exec_lo, s1
	ds_bpermute_b32 v30, v12, v19
	ds_bpermute_b32 v1, v12, v27
	;; [unrolled: 1-line block ×16, first 2 shown]
	s_mov_b32 s0, exec_lo
	s_wait_storecnt 0x0
	s_wait_loadcnt_dscnt 0x0
	s_barrier_signal -1
	s_barrier_wait -1
	v_add_f32_e32 v12, v19, v30
	v_lshrrev_b32_e32 v19, 1, v11
	v_dual_add_f32 v1, v27, v1 :: v_dual_add_f32 v2, v29, v2
	v_dual_add_f32 v3, v28, v3 :: v_dual_add_f32 v4, v26, v4
	v_dual_add_f32 v5, v25, v5 :: v_dual_add_f32 v6, v24, v6
	v_dual_add_f32 v7, v23, v7 :: v_dual_add_f32 v8, v22, v8
	v_dual_add_f32 v9, v21, v9 :: v_dual_add_f32 v10, v20, v10
	v_dual_add_f32 v18, v18, v31 :: v_dual_add_f32 v11, v16, v33
	v_add_f32_e32 v17, v17, v32
	v_dual_add_f32 v14, v14, v35 :: v_dual_and_b32 v21, 0x3c1, v0
	v_dual_add_f32 v15, v15, v34 :: v_dual_lshlrev_b32 v20, 10, v69
	v_lshl_add_u32 v16, v19, 2, 0x420
	global_inv scope:SCOPE_SE
	v_cmpx_eq_u32_e32 64, v21
	s_cbranch_execz .LBB206_69
; %bb.68:
	v_add_nc_u32_e32 v21, v16, v20
	s_delay_alu instid0(VALU_DEP_1)
	v_add_nc_u32_e32 v22, 0xfffff800, v21
	v_add_nc_u32_e32 v23, 0xfffff840, v21
	;; [unrolled: 1-line block ×8, first 2 shown]
	ds_store_b32 v22, v1
	ds_store_b32 v23, v2
	;; [unrolled: 1-line block ×8, first 2 shown]
	v_add_nc_u32_e32 v22, 0xfffffa00, v21
	v_add_nc_u32_e32 v23, 0xfffffa40, v21
	;; [unrolled: 1-line block ×8, first 2 shown]
	ds_store_b32 v22, v9
	ds_store_b32 v23, v10
	;; [unrolled: 1-line block ×8, first 2 shown]
.LBB206_69:
	s_wait_alu 0xfffe
	s_or_b32 exec_lo, exec_lo, s0
	v_lshlrev_b32_e32 v19, 2, v19
	v_cmp_eq_u32_e32 vcc_lo, 0, v13
	s_mov_b32 s1, exec_lo
	s_wait_loadcnt_dscnt 0x0
	s_barrier_signal -1
	v_add3_u32 v13, 0x420, v20, v19
	s_barrier_wait -1
	global_inv scope:SCOPE_SE
	v_cmpx_gt_u32_e32 64, v0
	s_cbranch_execz .LBB206_88
; %bb.70:
	s_and_saveexec_b32 s0, vcc_lo
	s_cbranch_execnz .LBB206_112
; %bb.71:
	s_wait_alu 0xfffe
	s_or_b32 exec_lo, exec_lo, s0
	s_and_saveexec_b32 s0, vcc_lo
	s_cbranch_execnz .LBB206_113
.LBB206_72:
	s_wait_alu 0xfffe
	s_or_b32 exec_lo, exec_lo, s0
	s_and_saveexec_b32 s0, vcc_lo
	s_cbranch_execnz .LBB206_114
.LBB206_73:
	s_wait_alu 0xfffe
	s_or_b32 exec_lo, exec_lo, s0
	s_and_saveexec_b32 s0, vcc_lo
	s_cbranch_execnz .LBB206_115
.LBB206_74:
	s_wait_alu 0xfffe
	s_or_b32 exec_lo, exec_lo, s0
	s_and_saveexec_b32 s0, vcc_lo
	s_cbranch_execnz .LBB206_116
.LBB206_75:
	s_wait_alu 0xfffe
	s_or_b32 exec_lo, exec_lo, s0
	s_and_saveexec_b32 s0, vcc_lo
	s_cbranch_execnz .LBB206_117
.LBB206_76:
	s_wait_alu 0xfffe
	s_or_b32 exec_lo, exec_lo, s0
	s_and_saveexec_b32 s0, vcc_lo
	s_cbranch_execnz .LBB206_118
.LBB206_77:
	s_wait_alu 0xfffe
	s_or_b32 exec_lo, exec_lo, s0
	s_and_saveexec_b32 s0, vcc_lo
	s_cbranch_execnz .LBB206_119
.LBB206_78:
	s_wait_alu 0xfffe
	s_or_b32 exec_lo, exec_lo, s0
	s_and_saveexec_b32 s0, vcc_lo
	s_cbranch_execnz .LBB206_120
.LBB206_79:
	s_wait_alu 0xfffe
	s_or_b32 exec_lo, exec_lo, s0
	s_and_saveexec_b32 s0, vcc_lo
	s_cbranch_execnz .LBB206_121
.LBB206_80:
	s_wait_alu 0xfffe
	s_or_b32 exec_lo, exec_lo, s0
	s_and_saveexec_b32 s0, vcc_lo
	s_cbranch_execnz .LBB206_122
.LBB206_81:
	s_wait_alu 0xfffe
	s_or_b32 exec_lo, exec_lo, s0
	s_and_saveexec_b32 s0, vcc_lo
	s_cbranch_execnz .LBB206_123
.LBB206_82:
	s_wait_alu 0xfffe
	s_or_b32 exec_lo, exec_lo, s0
	s_and_saveexec_b32 s0, vcc_lo
	s_cbranch_execnz .LBB206_124
.LBB206_83:
	s_wait_alu 0xfffe
	s_or_b32 exec_lo, exec_lo, s0
	s_and_saveexec_b32 s0, vcc_lo
	s_cbranch_execnz .LBB206_125
.LBB206_84:
	s_wait_alu 0xfffe
	s_or_b32 exec_lo, exec_lo, s0
	s_and_saveexec_b32 s0, vcc_lo
	s_cbranch_execnz .LBB206_126
.LBB206_85:
	s_wait_alu 0xfffe
	s_or_b32 exec_lo, exec_lo, s0
	s_and_saveexec_b32 s0, vcc_lo
	s_cbranch_execz .LBB206_87
.LBB206_86:
	ds_load_b32 v19, v13 offset:960
	s_wait_dscnt 0x0
	v_add_f32_e32 v14, v14, v19
.LBB206_87:
	s_wait_alu 0xfffe
	s_or_b32 exec_lo, exec_lo, s0
.LBB206_88:
	s_wait_alu 0xfffe
	s_or_b32 exec_lo, exec_lo, s1
	v_and_b32_e32 v19, 0x3e1, v0
	s_mov_b32 s1, exec_lo
	s_wait_loadcnt 0x0
	s_barrier_signal -1
	s_barrier_wait -1
	global_inv scope:SCOPE_SE
	v_cmpx_eq_u32_e32 32, v19
	s_cbranch_execz .LBB206_90
; %bb.89:
	ds_store_2addr_b32 v16, v1, v2 offset1:16
	ds_store_2addr_b32 v16, v3, v4 offset0:32 offset1:48
	ds_store_2addr_b32 v16, v5, v6 offset0:64 offset1:80
	;; [unrolled: 1-line block ×7, first 2 shown]
.LBB206_90:
	s_wait_alu 0xfffe
	s_or_b32 exec_lo, exec_lo, s1
	s_delay_alu instid0(SALU_CYCLE_1)
	s_mov_b32 s1, exec_lo
	s_wait_loadcnt_dscnt 0x0
	s_barrier_signal -1
	s_barrier_wait -1
	global_inv scope:SCOPE_SE
	v_cmpx_gt_u32_e32 32, v0
	s_cbranch_execz .LBB206_109
; %bb.91:
	s_and_saveexec_b32 s0, vcc_lo
	s_cbranch_execnz .LBB206_127
; %bb.92:
	s_wait_alu 0xfffe
	s_or_b32 exec_lo, exec_lo, s0
	s_and_saveexec_b32 s0, vcc_lo
	s_cbranch_execnz .LBB206_128
.LBB206_93:
	s_wait_alu 0xfffe
	s_or_b32 exec_lo, exec_lo, s0
	s_and_saveexec_b32 s0, vcc_lo
	s_cbranch_execnz .LBB206_129
.LBB206_94:
	s_wait_alu 0xfffe
	s_or_b32 exec_lo, exec_lo, s0
	s_and_saveexec_b32 s0, vcc_lo
	s_cbranch_execnz .LBB206_130
.LBB206_95:
	s_wait_alu 0xfffe
	s_or_b32 exec_lo, exec_lo, s0
	s_and_saveexec_b32 s0, vcc_lo
	s_cbranch_execnz .LBB206_131
.LBB206_96:
	s_wait_alu 0xfffe
	s_or_b32 exec_lo, exec_lo, s0
	s_and_saveexec_b32 s0, vcc_lo
	s_cbranch_execnz .LBB206_132
.LBB206_97:
	s_wait_alu 0xfffe
	s_or_b32 exec_lo, exec_lo, s0
	s_and_saveexec_b32 s0, vcc_lo
	s_cbranch_execnz .LBB206_133
.LBB206_98:
	s_wait_alu 0xfffe
	s_or_b32 exec_lo, exec_lo, s0
	s_and_saveexec_b32 s0, vcc_lo
	s_cbranch_execnz .LBB206_134
.LBB206_99:
	s_wait_alu 0xfffe
	s_or_b32 exec_lo, exec_lo, s0
	s_and_saveexec_b32 s0, vcc_lo
	s_cbranch_execnz .LBB206_135
.LBB206_100:
	s_wait_alu 0xfffe
	s_or_b32 exec_lo, exec_lo, s0
	s_and_saveexec_b32 s0, vcc_lo
	s_cbranch_execnz .LBB206_136
.LBB206_101:
	s_wait_alu 0xfffe
	s_or_b32 exec_lo, exec_lo, s0
	s_and_saveexec_b32 s0, vcc_lo
	s_cbranch_execnz .LBB206_137
.LBB206_102:
	s_wait_alu 0xfffe
	s_or_b32 exec_lo, exec_lo, s0
	s_and_saveexec_b32 s0, vcc_lo
	s_cbranch_execnz .LBB206_138
.LBB206_103:
	s_wait_alu 0xfffe
	s_or_b32 exec_lo, exec_lo, s0
	s_and_saveexec_b32 s0, vcc_lo
	s_cbranch_execnz .LBB206_139
.LBB206_104:
	s_wait_alu 0xfffe
	s_or_b32 exec_lo, exec_lo, s0
	s_and_saveexec_b32 s0, vcc_lo
	s_cbranch_execnz .LBB206_140
.LBB206_105:
	s_wait_alu 0xfffe
	s_or_b32 exec_lo, exec_lo, s0
	s_and_saveexec_b32 s0, vcc_lo
	s_cbranch_execnz .LBB206_141
.LBB206_106:
	s_wait_alu 0xfffe
	s_or_b32 exec_lo, exec_lo, s0
	s_and_saveexec_b32 s0, vcc_lo
	s_cbranch_execz .LBB206_108
.LBB206_107:
	ds_load_b32 v13, v13 offset:960
	s_wait_dscnt 0x0
	v_add_f32_e32 v14, v14, v13
.LBB206_108:
	s_wait_alu 0xfffe
	s_or_b32 exec_lo, exec_lo, s0
.LBB206_109:
	s_wait_alu 0xfffe
	s_or_b32 exec_lo, exec_lo, s1
	s_mov_b32 s1, 0
	s_wait_loadcnt 0x0
	s_barrier_signal -1
	s_barrier_wait -1
	global_inv scope:SCOPE_SE
	s_mov_b32 s0, exec_lo
	v_cmpx_eq_u32_e32 0, v19
	s_cbranch_execz .LBB206_111
; %bb.110:
	s_lshl_b32 s2, s14, 8
	s_mul_i32 s6, s27, s16
	s_wait_alu 0xfffe
	s_ashr_i32 s3, s2, 31
	s_ashr_i32 s7, s6, 31
	s_wait_alu 0xfffe
	s_lshl_b64 s[2:3], s[2:3], 2
	s_lshl_b64 s[6:7], s[6:7], 2
	s_wait_kmcnt 0x0
	s_wait_alu 0xfffe
	s_add_nc_u64 s[2:3], s[4:5], s[2:3]
	v_lshlrev_b32_e32 v0, 1, v0
	s_lshl_b32 s0, s26, 10
	s_wait_alu 0xfffe
	s_add_nc_u64 s[2:3], s[2:3], s[6:7]
	s_wait_alu 0xfffe
	s_add_nc_u64 s[0:1], s[2:3], s[0:1]
	s_clause 0xf
	global_store_b32 v0, v1, s[0:1]
	global_store_b32 v0, v2, s[0:1] offset:64
	global_store_b32 v0, v3, s[0:1] offset:128
	;; [unrolled: 1-line block ×15, first 2 shown]
.LBB206_111:
	s_nop 0
	s_sendmsg sendmsg(MSG_DEALLOC_VGPRS)
	s_endpgm
.LBB206_112:
	ds_load_b32 v19, v13
	s_wait_dscnt 0x0
	v_add_f32_e32 v1, v1, v19
	s_wait_alu 0xfffe
	s_or_b32 exec_lo, exec_lo, s0
	s_and_saveexec_b32 s0, vcc_lo
	s_cbranch_execz .LBB206_72
.LBB206_113:
	ds_load_b32 v19, v13 offset:64
	s_wait_dscnt 0x0
	v_add_f32_e32 v2, v2, v19
	s_wait_alu 0xfffe
	s_or_b32 exec_lo, exec_lo, s0
	s_and_saveexec_b32 s0, vcc_lo
	s_cbranch_execz .LBB206_73
.LBB206_114:
	ds_load_b32 v19, v13 offset:128
	s_wait_dscnt 0x0
	v_add_f32_e32 v3, v3, v19
	s_wait_alu 0xfffe
	s_or_b32 exec_lo, exec_lo, s0
	s_and_saveexec_b32 s0, vcc_lo
	s_cbranch_execz .LBB206_74
.LBB206_115:
	ds_load_b32 v19, v13 offset:192
	s_wait_dscnt 0x0
	v_add_f32_e32 v4, v4, v19
	s_wait_alu 0xfffe
	s_or_b32 exec_lo, exec_lo, s0
	s_and_saveexec_b32 s0, vcc_lo
	s_cbranch_execz .LBB206_75
.LBB206_116:
	ds_load_b32 v19, v13 offset:256
	s_wait_dscnt 0x0
	v_add_f32_e32 v5, v5, v19
	s_wait_alu 0xfffe
	s_or_b32 exec_lo, exec_lo, s0
	s_and_saveexec_b32 s0, vcc_lo
	s_cbranch_execz .LBB206_76
.LBB206_117:
	ds_load_b32 v19, v13 offset:320
	s_wait_dscnt 0x0
	v_add_f32_e32 v6, v6, v19
	s_wait_alu 0xfffe
	s_or_b32 exec_lo, exec_lo, s0
	s_and_saveexec_b32 s0, vcc_lo
	s_cbranch_execz .LBB206_77
.LBB206_118:
	ds_load_b32 v19, v13 offset:384
	s_wait_dscnt 0x0
	v_add_f32_e32 v7, v7, v19
	s_wait_alu 0xfffe
	s_or_b32 exec_lo, exec_lo, s0
	s_and_saveexec_b32 s0, vcc_lo
	s_cbranch_execz .LBB206_78
.LBB206_119:
	ds_load_b32 v19, v13 offset:448
	s_wait_dscnt 0x0
	v_add_f32_e32 v8, v8, v19
	s_wait_alu 0xfffe
	s_or_b32 exec_lo, exec_lo, s0
	s_and_saveexec_b32 s0, vcc_lo
	s_cbranch_execz .LBB206_79
.LBB206_120:
	ds_load_b32 v19, v13 offset:512
	s_wait_dscnt 0x0
	v_add_f32_e32 v9, v9, v19
	s_wait_alu 0xfffe
	s_or_b32 exec_lo, exec_lo, s0
	s_and_saveexec_b32 s0, vcc_lo
	s_cbranch_execz .LBB206_80
.LBB206_121:
	ds_load_b32 v19, v13 offset:576
	s_wait_dscnt 0x0
	v_add_f32_e32 v10, v10, v19
	s_wait_alu 0xfffe
	s_or_b32 exec_lo, exec_lo, s0
	s_and_saveexec_b32 s0, vcc_lo
	s_cbranch_execz .LBB206_81
.LBB206_122:
	ds_load_b32 v19, v13 offset:640
	s_wait_dscnt 0x0
	v_add_f32_e32 v12, v12, v19
	s_wait_alu 0xfffe
	s_or_b32 exec_lo, exec_lo, s0
	s_and_saveexec_b32 s0, vcc_lo
	s_cbranch_execz .LBB206_82
.LBB206_123:
	ds_load_b32 v19, v13 offset:704
	s_wait_dscnt 0x0
	v_add_f32_e32 v18, v18, v19
	s_wait_alu 0xfffe
	s_or_b32 exec_lo, exec_lo, s0
	s_and_saveexec_b32 s0, vcc_lo
	s_cbranch_execz .LBB206_83
.LBB206_124:
	ds_load_b32 v19, v13 offset:768
	s_wait_dscnt 0x0
	v_add_f32_e32 v17, v17, v19
	s_wait_alu 0xfffe
	s_or_b32 exec_lo, exec_lo, s0
	s_and_saveexec_b32 s0, vcc_lo
	s_cbranch_execz .LBB206_84
.LBB206_125:
	ds_load_b32 v19, v13 offset:832
	s_wait_dscnt 0x0
	v_add_f32_e32 v11, v11, v19
	s_wait_alu 0xfffe
	s_or_b32 exec_lo, exec_lo, s0
	s_and_saveexec_b32 s0, vcc_lo
	s_cbranch_execz .LBB206_85
.LBB206_126:
	ds_load_b32 v19, v13 offset:896
	s_wait_dscnt 0x0
	v_add_f32_e32 v15, v15, v19
	s_wait_alu 0xfffe
	s_or_b32 exec_lo, exec_lo, s0
	s_and_saveexec_b32 s0, vcc_lo
	s_cbranch_execnz .LBB206_86
	s_branch .LBB206_87
.LBB206_127:
	ds_load_b32 v16, v13
	s_wait_dscnt 0x0
	v_add_f32_e32 v1, v1, v16
	s_wait_alu 0xfffe
	s_or_b32 exec_lo, exec_lo, s0
	s_and_saveexec_b32 s0, vcc_lo
	s_cbranch_execz .LBB206_93
.LBB206_128:
	ds_load_b32 v16, v13 offset:64
	s_wait_dscnt 0x0
	v_add_f32_e32 v2, v2, v16
	s_wait_alu 0xfffe
	s_or_b32 exec_lo, exec_lo, s0
	s_and_saveexec_b32 s0, vcc_lo
	s_cbranch_execz .LBB206_94
.LBB206_129:
	ds_load_b32 v16, v13 offset:128
	s_wait_dscnt 0x0
	v_add_f32_e32 v3, v3, v16
	s_wait_alu 0xfffe
	s_or_b32 exec_lo, exec_lo, s0
	s_and_saveexec_b32 s0, vcc_lo
	s_cbranch_execz .LBB206_95
.LBB206_130:
	ds_load_b32 v16, v13 offset:192
	s_wait_dscnt 0x0
	v_add_f32_e32 v4, v4, v16
	s_wait_alu 0xfffe
	s_or_b32 exec_lo, exec_lo, s0
	s_and_saveexec_b32 s0, vcc_lo
	s_cbranch_execz .LBB206_96
.LBB206_131:
	ds_load_b32 v16, v13 offset:256
	s_wait_dscnt 0x0
	v_add_f32_e32 v5, v5, v16
	s_wait_alu 0xfffe
	s_or_b32 exec_lo, exec_lo, s0
	s_and_saveexec_b32 s0, vcc_lo
	s_cbranch_execz .LBB206_97
.LBB206_132:
	ds_load_b32 v16, v13 offset:320
	s_wait_dscnt 0x0
	v_add_f32_e32 v6, v6, v16
	s_wait_alu 0xfffe
	s_or_b32 exec_lo, exec_lo, s0
	s_and_saveexec_b32 s0, vcc_lo
	s_cbranch_execz .LBB206_98
.LBB206_133:
	ds_load_b32 v16, v13 offset:384
	s_wait_dscnt 0x0
	v_add_f32_e32 v7, v7, v16
	s_wait_alu 0xfffe
	s_or_b32 exec_lo, exec_lo, s0
	s_and_saveexec_b32 s0, vcc_lo
	s_cbranch_execz .LBB206_99
.LBB206_134:
	ds_load_b32 v16, v13 offset:448
	s_wait_dscnt 0x0
	v_add_f32_e32 v8, v8, v16
	s_wait_alu 0xfffe
	s_or_b32 exec_lo, exec_lo, s0
	s_and_saveexec_b32 s0, vcc_lo
	s_cbranch_execz .LBB206_100
.LBB206_135:
	ds_load_b32 v16, v13 offset:512
	s_wait_dscnt 0x0
	v_add_f32_e32 v9, v9, v16
	s_wait_alu 0xfffe
	s_or_b32 exec_lo, exec_lo, s0
	s_and_saveexec_b32 s0, vcc_lo
	s_cbranch_execz .LBB206_101
.LBB206_136:
	ds_load_b32 v16, v13 offset:576
	s_wait_dscnt 0x0
	v_add_f32_e32 v10, v10, v16
	s_wait_alu 0xfffe
	s_or_b32 exec_lo, exec_lo, s0
	s_and_saveexec_b32 s0, vcc_lo
	s_cbranch_execz .LBB206_102
.LBB206_137:
	ds_load_b32 v16, v13 offset:640
	s_wait_dscnt 0x0
	v_add_f32_e32 v12, v12, v16
	s_wait_alu 0xfffe
	s_or_b32 exec_lo, exec_lo, s0
	s_and_saveexec_b32 s0, vcc_lo
	s_cbranch_execz .LBB206_103
.LBB206_138:
	ds_load_b32 v16, v13 offset:704
	s_wait_dscnt 0x0
	v_add_f32_e32 v18, v18, v16
	s_wait_alu 0xfffe
	s_or_b32 exec_lo, exec_lo, s0
	s_and_saveexec_b32 s0, vcc_lo
	s_cbranch_execz .LBB206_104
.LBB206_139:
	ds_load_b32 v16, v13 offset:768
	s_wait_dscnt 0x0
	v_add_f32_e32 v17, v17, v16
	s_wait_alu 0xfffe
	s_or_b32 exec_lo, exec_lo, s0
	s_and_saveexec_b32 s0, vcc_lo
	s_cbranch_execz .LBB206_105
.LBB206_140:
	ds_load_b32 v16, v13 offset:832
	s_wait_dscnt 0x0
	v_add_f32_e32 v11, v11, v16
	s_wait_alu 0xfffe
	s_or_b32 exec_lo, exec_lo, s0
	s_and_saveexec_b32 s0, vcc_lo
	s_cbranch_execz .LBB206_106
.LBB206_141:
	ds_load_b32 v16, v13 offset:896
	s_wait_dscnt 0x0
	v_add_f32_e32 v15, v15, v16
	s_wait_alu 0xfffe
	s_or_b32 exec_lo, exec_lo, s0
	s_and_saveexec_b32 s0, vcc_lo
	s_cbranch_execnz .LBB206_107
	s_branch .LBB206_108
	.section	.rodata,"a",@progbits
	.p2align	6, 0x0
	.amdhsa_kernel _ZN4vllm25paged_attention_v2_kernelIfhLi256ELi8ELi128ELNS_18Fp8KVCacheDataTypeE1ELb0ELi512EEEvPfS2_PT_PKS3_PKT0_S9_ifPKiSB_iPKfiiiSD_SD_iiiii
		.amdhsa_group_segment_fixed_size 1056
		.amdhsa_private_segment_fixed_size 0
		.amdhsa_kernarg_size 400
		.amdhsa_user_sgpr_count 2
		.amdhsa_user_sgpr_dispatch_ptr 0
		.amdhsa_user_sgpr_queue_ptr 0
		.amdhsa_user_sgpr_kernarg_segment_ptr 1
		.amdhsa_user_sgpr_dispatch_id 0
		.amdhsa_user_sgpr_private_segment_size 0
		.amdhsa_wavefront_size32 1
		.amdhsa_uses_dynamic_stack 0
		.amdhsa_enable_private_segment 0
		.amdhsa_system_sgpr_workgroup_id_x 1
		.amdhsa_system_sgpr_workgroup_id_y 1
		.amdhsa_system_sgpr_workgroup_id_z 1
		.amdhsa_system_sgpr_workgroup_info 0
		.amdhsa_system_vgpr_workitem_id 0
		.amdhsa_next_free_vgpr 147
		.amdhsa_next_free_sgpr 36
		.amdhsa_reserve_vcc 1
		.amdhsa_float_round_mode_32 0
		.amdhsa_float_round_mode_16_64 0
		.amdhsa_float_denorm_mode_32 3
		.amdhsa_float_denorm_mode_16_64 3
		.amdhsa_fp16_overflow 0
		.amdhsa_workgroup_processor_mode 1
		.amdhsa_memory_ordered 1
		.amdhsa_forward_progress 1
		.amdhsa_inst_pref_size 81
		.amdhsa_round_robin_scheduling 0
		.amdhsa_exception_fp_ieee_invalid_op 0
		.amdhsa_exception_fp_denorm_src 0
		.amdhsa_exception_fp_ieee_div_zero 0
		.amdhsa_exception_fp_ieee_overflow 0
		.amdhsa_exception_fp_ieee_underflow 0
		.amdhsa_exception_fp_ieee_inexact 0
		.amdhsa_exception_int_div_zero 0
	.end_amdhsa_kernel
	.section	.text._ZN4vllm25paged_attention_v2_kernelIfhLi256ELi8ELi128ELNS_18Fp8KVCacheDataTypeE1ELb0ELi512EEEvPfS2_PT_PKS3_PKT0_S9_ifPKiSB_iPKfiiiSD_SD_iiiii,"axG",@progbits,_ZN4vllm25paged_attention_v2_kernelIfhLi256ELi8ELi128ELNS_18Fp8KVCacheDataTypeE1ELb0ELi512EEEvPfS2_PT_PKS3_PKT0_S9_ifPKiSB_iPKfiiiSD_SD_iiiii,comdat
.Lfunc_end206:
	.size	_ZN4vllm25paged_attention_v2_kernelIfhLi256ELi8ELi128ELNS_18Fp8KVCacheDataTypeE1ELb0ELi512EEEvPfS2_PT_PKS3_PKT0_S9_ifPKiSB_iPKfiiiSD_SD_iiiii, .Lfunc_end206-_ZN4vllm25paged_attention_v2_kernelIfhLi256ELi8ELi128ELNS_18Fp8KVCacheDataTypeE1ELb0ELi512EEEvPfS2_PT_PKS3_PKT0_S9_ifPKiSB_iPKfiiiSD_SD_iiiii
                                        ; -- End function
	.set _ZN4vllm25paged_attention_v2_kernelIfhLi256ELi8ELi128ELNS_18Fp8KVCacheDataTypeE1ELb0ELi512EEEvPfS2_PT_PKS3_PKT0_S9_ifPKiSB_iPKfiiiSD_SD_iiiii.num_vgpr, 147
	.set _ZN4vllm25paged_attention_v2_kernelIfhLi256ELi8ELi128ELNS_18Fp8KVCacheDataTypeE1ELb0ELi512EEEvPfS2_PT_PKS3_PKT0_S9_ifPKiSB_iPKfiiiSD_SD_iiiii.num_agpr, 0
	.set _ZN4vllm25paged_attention_v2_kernelIfhLi256ELi8ELi128ELNS_18Fp8KVCacheDataTypeE1ELb0ELi512EEEvPfS2_PT_PKS3_PKT0_S9_ifPKiSB_iPKfiiiSD_SD_iiiii.numbered_sgpr, 36
	.set _ZN4vllm25paged_attention_v2_kernelIfhLi256ELi8ELi128ELNS_18Fp8KVCacheDataTypeE1ELb0ELi512EEEvPfS2_PT_PKS3_PKT0_S9_ifPKiSB_iPKfiiiSD_SD_iiiii.num_named_barrier, 0
	.set _ZN4vllm25paged_attention_v2_kernelIfhLi256ELi8ELi128ELNS_18Fp8KVCacheDataTypeE1ELb0ELi512EEEvPfS2_PT_PKS3_PKT0_S9_ifPKiSB_iPKfiiiSD_SD_iiiii.private_seg_size, 0
	.set _ZN4vllm25paged_attention_v2_kernelIfhLi256ELi8ELi128ELNS_18Fp8KVCacheDataTypeE1ELb0ELi512EEEvPfS2_PT_PKS3_PKT0_S9_ifPKiSB_iPKfiiiSD_SD_iiiii.uses_vcc, 1
	.set _ZN4vllm25paged_attention_v2_kernelIfhLi256ELi8ELi128ELNS_18Fp8KVCacheDataTypeE1ELb0ELi512EEEvPfS2_PT_PKS3_PKT0_S9_ifPKiSB_iPKfiiiSD_SD_iiiii.uses_flat_scratch, 0
	.set _ZN4vllm25paged_attention_v2_kernelIfhLi256ELi8ELi128ELNS_18Fp8KVCacheDataTypeE1ELb0ELi512EEEvPfS2_PT_PKS3_PKT0_S9_ifPKiSB_iPKfiiiSD_SD_iiiii.has_dyn_sized_stack, 0
	.set _ZN4vllm25paged_attention_v2_kernelIfhLi256ELi8ELi128ELNS_18Fp8KVCacheDataTypeE1ELb0ELi512EEEvPfS2_PT_PKS3_PKT0_S9_ifPKiSB_iPKfiiiSD_SD_iiiii.has_recursion, 0
	.set _ZN4vllm25paged_attention_v2_kernelIfhLi256ELi8ELi128ELNS_18Fp8KVCacheDataTypeE1ELb0ELi512EEEvPfS2_PT_PKS3_PKT0_S9_ifPKiSB_iPKfiiiSD_SD_iiiii.has_indirect_call, 0
	.section	.AMDGPU.csdata,"",@progbits
; Kernel info:
; codeLenInByte = 10360
; TotalNumSgprs: 38
; NumVgprs: 147
; ScratchSize: 0
; MemoryBound: 0
; FloatMode: 240
; IeeeMode: 1
; LDSByteSize: 1056 bytes/workgroup (compile time only)
; SGPRBlocks: 0
; VGPRBlocks: 18
; NumSGPRsForWavesPerEU: 38
; NumVGPRsForWavesPerEU: 147
; Occupancy: 9
; WaveLimiterHint : 1
; COMPUTE_PGM_RSRC2:SCRATCH_EN: 0
; COMPUTE_PGM_RSRC2:USER_SGPR: 2
; COMPUTE_PGM_RSRC2:TRAP_HANDLER: 0
; COMPUTE_PGM_RSRC2:TGID_X_EN: 1
; COMPUTE_PGM_RSRC2:TGID_Y_EN: 1
; COMPUTE_PGM_RSRC2:TGID_Z_EN: 1
; COMPUTE_PGM_RSRC2:TIDIG_COMP_CNT: 0
	.section	.text._ZN4vllm25paged_attention_v2_kernelIfhLi32ELi16ELi128ELNS_18Fp8KVCacheDataTypeE1ELb1ELi512EEEvPfS2_PT_PKS3_PKT0_S9_ifPKiSB_iPKfiiiSD_SD_iiiii,"axG",@progbits,_ZN4vllm25paged_attention_v2_kernelIfhLi32ELi16ELi128ELNS_18Fp8KVCacheDataTypeE1ELb1ELi512EEEvPfS2_PT_PKS3_PKT0_S9_ifPKiSB_iPKfiiiSD_SD_iiiii,comdat
	.protected	_ZN4vllm25paged_attention_v2_kernelIfhLi32ELi16ELi128ELNS_18Fp8KVCacheDataTypeE1ELb1ELi512EEEvPfS2_PT_PKS3_PKT0_S9_ifPKiSB_iPKfiiiSD_SD_iiiii ; -- Begin function _ZN4vllm25paged_attention_v2_kernelIfhLi32ELi16ELi128ELNS_18Fp8KVCacheDataTypeE1ELb1ELi512EEEvPfS2_PT_PKS3_PKT0_S9_ifPKiSB_iPKfiiiSD_SD_iiiii
	.globl	_ZN4vllm25paged_attention_v2_kernelIfhLi32ELi16ELi128ELNS_18Fp8KVCacheDataTypeE1ELb1ELi512EEEvPfS2_PT_PKS3_PKT0_S9_ifPKiSB_iPKfiiiSD_SD_iiiii
	.p2align	8
	.type	_ZN4vllm25paged_attention_v2_kernelIfhLi32ELi16ELi128ELNS_18Fp8KVCacheDataTypeE1ELb1ELi512EEEvPfS2_PT_PKS3_PKT0_S9_ifPKiSB_iPKfiiiSD_SD_iiiii,@function
_ZN4vllm25paged_attention_v2_kernelIfhLi32ELi16ELi128ELNS_18Fp8KVCacheDataTypeE1ELb1ELi512EEEvPfS2_PT_PKS3_PKT0_S9_ifPKiSB_iPKfiiiSD_SD_iiiii: ; @_ZN4vllm25paged_attention_v2_kernelIfhLi32ELi16ELi128ELNS_18Fp8KVCacheDataTypeE1ELb1ELi512EEEvPfS2_PT_PKS3_PKT0_S9_ifPKiSB_iPKfiiiSD_SD_iiiii
; %bb.0:
	s_load_b64 s[2:3], s[0:1], 0x40
	s_and_b32 s19, ttmp7, 0xffff
	s_lshr_b32 s35, ttmp7, 16
	s_lshl_b32 s4, s19, 2
	s_lshl_b32 s37, s35, 9
	s_wait_kmcnt 0x0
	s_load_b32 s33, s[2:3], s4 offset:0x0
	s_wait_kmcnt 0x0
	s_cmp_ge_i32 s37, s33
	s_cbranch_scc1 .LBB207_72
; %bb.1:
	s_clause 0x1
	s_load_b32 s36, s[0:1], 0x90
	s_load_b64 s[6:7], s[0:1], 0x30
	s_wait_kmcnt 0x0
	s_abs_i32 s5, s36
	s_abs_i32 s2, s6
	s_delay_alu instid0(SALU_CYCLE_1) | instskip(SKIP_1) | instid1(SALU_CYCLE_2)
	s_cvt_f32_u32 s3, s2
	s_sub_co_i32 s4, 0, s2
	v_rcp_iflag_f32_e32 v1, s3
	s_delay_alu instid0(TRANS32_DEP_1) | instskip(SKIP_2) | instid1(SALU_CYCLE_2)
	v_readfirstlane_b32 s3, v1
	s_mul_f32 s3, s3, 0x4f7ffffe
	s_wait_alu 0xfffe
	s_cvt_u32_f32 s3, s3
	s_wait_alu 0xfffe
	s_delay_alu instid0(SALU_CYCLE_2) | instskip(NEXT) | instid1(SALU_CYCLE_1)
	s_mul_i32 s4, s4, s3
	s_mul_hi_u32 s4, s3, s4
	s_delay_alu instid0(SALU_CYCLE_1)
	s_add_co_i32 s3, s3, s4
	s_xor_b32 s4, s36, s6
	s_wait_alu 0xfffe
	s_mul_hi_u32 s3, s5, s3
	s_ashr_i32 s4, s4, 31
	s_wait_alu 0xfffe
	s_mul_i32 s8, s3, s2
	s_delay_alu instid0(SALU_CYCLE_1)
	s_sub_co_i32 s5, s5, s8
	s_add_co_i32 s8, s3, 1
	s_sub_co_i32 s9, s5, s2
	s_cmp_ge_u32 s5, s2
	s_cselect_b32 s3, s8, s3
	s_cselect_b32 s5, s9, s5
	s_wait_alu 0xfffe
	s_add_co_i32 s8, s3, 1
	s_cmp_ge_u32 s5, s2
	s_cselect_b32 s2, s8, s3
	s_load_b64 s[8:9], s[0:1], 0x50
	s_xor_b32 s2, s2, s4
	s_mov_b32 s3, 0
	s_wait_alu 0xfffe
	s_sub_co_i32 s11, s2, s4
	s_mov_b32 s30, s3
	s_abs_i32 s10, s11
	s_delay_alu instid0(SALU_CYCLE_1) | instskip(SKIP_1) | instid1(SALU_CYCLE_2)
	s_cvt_f32_u32 s2, s10
	s_wait_alu 0xfffe
	v_rcp_iflag_f32_e32 v1, s2
	s_delay_alu instid0(TRANS32_DEP_1) | instskip(SKIP_2) | instid1(SALU_CYCLE_2)
	v_readfirstlane_b32 s2, v1
	s_mul_f32 s2, s2, 0x4f7ffffe
	s_wait_alu 0xfffe
	s_cvt_u32_f32 s4, s2
	s_sub_co_i32 s2, 0, s10
	s_wait_alu 0xfffe
	s_delay_alu instid0(SALU_CYCLE_1)
	s_mul_i32 s2, s2, s4
	s_wait_alu 0xfffe
	s_mul_hi_u32 s5, s4, s2
	s_abs_i32 s2, ttmp9
	s_add_co_i32 s4, s4, s5
	s_mov_b32 s5, s3
	s_wait_kmcnt 0x0
	s_cmp_eq_u64 s[8:9], 0
	s_cbranch_scc1 .LBB207_3
; %bb.2:
	s_mov_b32 s12, ttmp9
	s_ashr_i32 s13, ttmp9, 31
	s_delay_alu instid0(SALU_CYCLE_1) | instskip(NEXT) | instid1(SALU_CYCLE_1)
	s_lshl_b64 s[12:13], s[12:13], 2
	s_add_nc_u64 s[8:9], s[8:9], s[12:13]
	s_load_b32 s30, s[8:9], 0x0
.LBB207_3:
	s_load_b96 s[16:18], s[0:1], 0x58
	v_and_b32_e32 v1, 1, v0
	v_lshlrev_b32_e32 v5, 2, v0
	s_mul_u64 s[4:5], s[2:3], s[4:5]
	s_ashr_i32 s3, ttmp9, 31
	s_ashr_i32 s4, s11, 31
	s_lshl_b32 s20, ttmp9, 5
	s_mov_b32 s8, exec_lo
	v_cmpx_gt_u32_e32 16, v0
	s_cbranch_execz .LBB207_5
; %bb.4:
	s_load_b64 s[12:13], s[0:1], 0x18
	s_wait_kmcnt 0x0
	s_mul_i32 s14, s16, s19
	s_ashr_i32 s21, s20, 31
	s_ashr_i32 s15, s14, 31
	v_lshlrev_b32_e32 v2, 3, v0
	s_lshl_b64 s[14:15], s[14:15], 2
	v_and_b32_e32 v4, 0xff8, v5
	s_delay_alu instid0(VALU_DEP_1) | instskip(SKIP_2) | instid1(SALU_CYCLE_1)
	v_lshl_add_u32 v4, v1, 6, v4
	s_add_nc_u64 s[12:13], s[12:13], s[14:15]
	s_lshl_b64 s[14:15], s[20:21], 2
	s_add_nc_u64 s[12:13], s[12:13], s[14:15]
	global_load_b64 v[2:3], v2, s[12:13]
	s_wait_loadcnt 0x0
	ds_store_b64 v4, v[2:3]
.LBB207_5:
	s_or_b32 exec_lo, exec_lo, s8
	s_load_b128 s[12:15], s[0:1], 0x78
	s_mul_i32 s8, s5, s10
	s_xor_b32 s3, s3, s4
	s_sub_co_i32 s2, s2, s8
	s_add_co_i32 s4, s5, 1
	s_wait_alu 0xfffe
	s_sub_co_i32 s8, s2, s10
	s_cmp_ge_u32 s2, s10
                                        ; implicit-def: $sgpr21
	s_cselect_b32 s4, s4, s5
	s_cselect_b32 s2, s8, s2
	s_add_co_i32 s5, s4, 1
	s_wait_alu 0xfffe
	s_cmp_ge_u32 s2, s10
	s_load_b32 s8, s[0:1], 0x88
	s_cselect_b32 s2, s5, s4
	s_add_co_i32 s9, s33, -1
	s_wait_alu 0xfffe
	s_xor_b32 s2, s2, s3
	s_mov_b32 s10, -1
	s_wait_alu 0xfffe
	s_sub_co_i32 s28, s2, s3
	s_wait_dscnt 0x0
	s_barrier_signal -1
	s_wait_kmcnt 0x0
	s_abs_i32 s16, s15
	s_barrier_wait -1
	s_cvt_f32_u32 s4, s16
	global_inv scope:SCOPE_SE
	v_rcp_iflag_f32_e32 v2, s4
	s_delay_alu instid0(TRANS32_DEP_1) | instskip(SKIP_2) | instid1(SALU_CYCLE_2)
	v_readfirstlane_b32 s4, v2
	s_mul_f32 s2, s4, 0x4f7ffffe
	s_wait_alu 0xfffe
	s_cvt_u32_f32 s4, s2
	s_sub_co_i32 s2, 0, s16
	s_wait_alu 0xfffe
	s_delay_alu instid0(SALU_CYCLE_1)
	s_mul_i32 s3, s2, s4
	s_abs_i32 s2, s9
	s_wait_alu 0xfffe
	s_mul_hi_u32 s5, s4, s3
	s_mov_b32 s3, 0
	s_wait_alu 0xfffe
	s_add_co_i32 s22, s4, s5
	s_cmp_lt_i32 s8, 0
	s_mov_b32 s23, s3
	s_cbranch_scc0 .LBB207_7
; %bb.6:
	s_mul_i32 s4, s12, s6
	s_mov_b32 s10, s3
	s_wait_alu 0xfffe
	s_add_co_i32 s4, s28, s4
	s_wait_alu 0xfffe
	s_mul_i32 s4, s4, s8
	s_wait_alu 0xfffe
	s_sub_co_i32 s21, 1, s4
.LBB207_7:
	s_mul_u64 s[4:5], s[2:3], s[22:23]
	s_ashr_i32 s3, s9, 31
	s_and_not1_b32 vcc_lo, exec_lo, s10
	s_ashr_i32 s23, s15, 31
	s_cbranch_vccnz .LBB207_9
; %bb.8:
	s_mul_i32 s4, s36, s12
	s_wait_alu 0xfffe
	s_add_co_i32 s4, s4, ttmp9
	s_wait_alu 0xfffe
	s_mul_i32 s4, s4, s8
	s_wait_alu 0xfffe
	s_add_co_i32 s21, s4, 1
.LBB207_9:
	s_clause 0x3
	s_load_b32 s4, s[0:1], 0x48
	s_load_b64 s[24:25], s[0:1], 0x38
	s_load_b32 s12, s[0:1], 0x98
	s_load_b128 s[8:11], s[0:1], 0x68
	s_mul_i32 s6, s5, s16
	s_xor_b32 s3, s3, s23
	s_sub_co_i32 s2, s2, s6
	s_add_co_i32 s15, s5, 1
	v_lshrrev_b32_e32 v11, 5, v0
	v_mbcnt_lo_u32_b32 v7, -1, 0
	s_mul_i32 s28, s28, s18
	s_delay_alu instid0(VALU_DEP_2)
	v_lshl_add_u32 v12, v11, 4, s37
	s_wait_kmcnt 0x0
	s_mul_i32 s26, s4, s19
	s_wait_alu 0xfffe
	s_sub_co_i32 s4, s2, s16
	s_ashr_i32 s27, s26, 31
	s_cmp_ge_u32 s2, s16
	s_cselect_b32 s5, s15, s5
	s_wait_alu 0xfffe
	s_cselect_b32 s2, s4, s2
	s_add_co_i32 s4, s5, 1
	s_wait_alu 0xfffe
	s_cmp_ge_u32 s2, s16
	s_cselect_b32 s2, s4, s5
	s_add_co_i32 s4, s33, 15
	s_lshl_b32 s15, s35, 5
	s_wait_alu 0xfffe
	s_ashr_i32 s5, s4, 31
	v_or_b32_e32 v13, s15, v11
	s_wait_alu 0xfffe
	s_lshr_b32 s5, s5, 28
	v_mov_b32_e32 v9, 0xff7fffff
	s_wait_alu 0xfffe
	s_add_co_i32 s4, s4, s5
	s_add_co_i32 s5, s15, 32
	s_wait_alu 0xfffe
	s_ashr_i32 s38, s4, 4
	s_xor_b32 s4, s2, s3
	s_min_i32 s34, s5, s38
	v_lshlrev_b32_e32 v6, 2, v13
	v_cmp_gt_i32_e64 s2, s34, v13
	s_wait_alu 0xfffe
	s_sub_co_i32 s39, s4, s3
	s_and_saveexec_b32 s6, s2
	s_cbranch_execz .LBB207_21
; %bb.10:
	s_sub_co_i32 s18, s39, s13
	s_ashr_i32 s29, s28, 31
	s_cmp_neq_f32 s30, 0
	s_load_b64 s[4:5], s[0:1], 0x20
	v_bfe_u32 v8, v0, 1, 4
	v_lshlrev_b32_e32 v3, 1, v1
	s_cselect_b32 vcc_lo, -1, 0
	s_abs_i32 s31, s14
	v_dual_mov_b32 v17, 0xff7fffff :: v_dual_lshlrev_b32 v10, 6, v1
	s_cvt_f32_u32 s3, s31
	v_lshlrev_b32_e32 v4, 2, v8
	v_subrev_nc_u32_e32 v9, s33, v8
	s_lshl_b64 s[42:43], s[26:27], 2
	s_wait_alu 0xfffe
	v_rcp_iflag_f32_e32 v2, s3
	v_cmp_eq_u32_e64 s3, 0, v1
	v_lshlrev_b32_e32 v1, 4, v8
	v_add_nc_u32_e32 v15, 1, v9
	v_mov_b32_e32 v9, 0xff7fffff
	v_lshl_or_b32 v16, v11, 6, v4
	s_add_nc_u64 s[42:43], s[24:25], s[42:43]
	s_sub_co_i32 s44, 0, s31
	v_lshl_add_u32 v14, v11, 4, s37
	s_wait_kmcnt 0x0
	s_add_nc_u64 s[4:5], s[4:5], s[28:29]
	v_readfirstlane_b32 s41, v2
	s_wait_alu 0xfffe
	v_add_co_u32 v1, s4, s4, v1
	s_wait_alu 0xf1ff
	v_add_co_ci_u32_e64 v2, null, s5, 0, s4
	s_mul_f32 s29, s41, 0x4f7ffffe
	v_add_co_u32 v1, s4, v1, v3
	s_wait_alu 0xf1ff
	v_add_co_ci_u32_e64 v2, null, 0, v2, s4
	s_cvt_u32_f32 s5, s29
	v_add_co_u32 v3, s4, s42, v6
	s_wait_alu 0xf1ff
	v_add_co_ci_u32_e64 v4, null, s43, 0, s4
	s_wait_alu 0xfffe
	s_mul_i32 s44, s44, s5
	v_dual_mov_b32 v19, v13 :: v_dual_add_nc_u32 v16, 0xa0, v16
	v_xor_b32_e32 v18, 1, v7
	s_mul_hi_u32 s4, s5, s44
	s_mov_b32 s40, 0
	s_mov_b32 s29, s17
	s_wait_alu 0xfffe
	s_add_co_i32 s41, s5, s4
	s_branch .LBB207_13
.LBB207_11:                             ;   in Loop: Header=BB207_13 Depth=1
	s_wait_alu 0xfffe
	s_or_b32 exec_lo, exec_lo, s42
.LBB207_12:                             ;   in Loop: Header=BB207_13 Depth=1
	s_wait_alu 0xfffe
	s_or_b32 exec_lo, exec_lo, s5
	v_add_nc_u32_e32 v19, 4, v19
	v_add_co_u32 v3, s5, v3, 16
	s_wait_alu 0xf1ff
	v_add_co_ci_u32_e64 v4, null, 0, v4, s5
	s_delay_alu instid0(VALU_DEP_3)
	v_cmp_le_i32_e64 s4, s34, v19
	v_add_nc_u32_e32 v14, 64, v14
	v_add_nc_u32_e32 v16, 0x100, v16
	s_or_b32 s40, s4, s40
	s_wait_alu 0xfffe
	s_and_not1_b32 exec_lo, exec_lo, s40
	s_cbranch_execz .LBB207_20
.LBB207_13:                             ; =>This Inner Loop Header: Depth=1
	v_sub_nc_u32_e32 v20, 0, v14
	s_delay_alu instid0(VALU_DEP_1) | instskip(SKIP_1) | instid1(VALU_DEP_1)
	v_max_i32_e32 v20, v14, v20
	s_wait_dscnt 0x0
	v_mul_hi_u32 v21, v20, s22
	s_delay_alu instid0(VALU_DEP_1) | instskip(NEXT) | instid1(VALU_DEP_1)
	v_mul_lo_u32 v22, v21, s16
	v_sub_nc_u32_e32 v20, v20, v22
	v_add_nc_u32_e32 v22, 1, v21
	s_delay_alu instid0(VALU_DEP_2) | instskip(SKIP_2) | instid1(VALU_DEP_1)
	v_subrev_nc_u32_e32 v23, s16, v20
	v_cmp_le_u32_e64 s4, s16, v20
	s_wait_alu 0xf1ff
	v_cndmask_b32_e64 v21, v21, v22, s4
	s_delay_alu instid0(VALU_DEP_3) | instskip(SKIP_1) | instid1(VALU_DEP_3)
	v_cndmask_b32_e64 v20, v20, v23, s4
	v_ashrrev_i32_e32 v22, 31, v14
	v_add_nc_u32_e32 v23, 1, v21
	s_delay_alu instid0(VALU_DEP_3) | instskip(NEXT) | instid1(VALU_DEP_3)
	v_cmp_le_u32_e64 s4, s16, v20
	v_xor_b32_e32 v22, s23, v22
	s_wait_alu 0xf1ff
	s_delay_alu instid0(VALU_DEP_2) | instskip(NEXT) | instid1(VALU_DEP_1)
	v_cndmask_b32_e64 v20, v21, v23, s4
	v_xor_b32_e32 v20, v20, v22
	s_delay_alu instid0(VALU_DEP_1) | instskip(NEXT) | instid1(VALU_DEP_1)
	v_sub_nc_u32_e32 v20, v20, v22
	v_add_nc_u32_e32 v21, s21, v20
	v_cmp_ge_i32_e64 s5, s18, v20
	s_delay_alu instid0(VALU_DEP_2) | instskip(NEXT) | instid1(VALU_DEP_1)
	v_sub_nc_u32_e32 v22, 0, v21
	v_max_i32_e32 v22, v21, v22
	v_ashrrev_i32_e32 v21, 31, v21
	s_delay_alu instid0(VALU_DEP_2) | instskip(NEXT) | instid1(VALU_DEP_1)
	v_mul_hi_u32 v23, v22, s41
	v_mul_lo_u32 v23, v23, s31
	s_delay_alu instid0(VALU_DEP_1) | instskip(NEXT) | instid1(VALU_DEP_1)
	v_sub_nc_u32_e32 v22, v22, v23
	v_subrev_nc_u32_e32 v23, s31, v22
	v_cmp_le_u32_e64 s4, s31, v22
	s_wait_alu 0xf1ff
	s_delay_alu instid0(VALU_DEP_1) | instskip(NEXT) | instid1(VALU_DEP_1)
	v_cndmask_b32_e64 v22, v22, v23, s4
	v_subrev_nc_u32_e32 v23, s31, v22
	v_cmp_le_u32_e64 s4, s31, v22
	s_wait_alu 0xf1ff
	s_delay_alu instid0(VALU_DEP_1) | instskip(NEXT) | instid1(VALU_DEP_1)
	v_cndmask_b32_e64 v22, v22, v23, s4
	v_xor_b32_e32 v22, v22, v21
	s_delay_alu instid0(VALU_DEP_1) | instskip(NEXT) | instid1(VALU_DEP_1)
	v_sub_nc_u32_e32 v21, v22, v21
	v_cmp_ne_u32_e64 s4, 0, v21
	s_and_b32 s4, s4, s5
	s_wait_alu 0xfffe
	s_and_saveexec_b32 s5, s4
	s_wait_alu 0xfffe
	s_xor_b32 s4, exec_lo, s5
	s_cbranch_execz .LBB207_17
; %bb.14:                               ;   in Loop: Header=BB207_13 Depth=1
	s_and_saveexec_b32 s5, s3
; %bb.15:                               ;   in Loop: Header=BB207_13 Depth=1
	ds_store_b32 v16, v17
; %bb.16:                               ;   in Loop: Header=BB207_13 Depth=1
	s_wait_alu 0xfffe
	s_or_b32 exec_lo, exec_lo, s5
.LBB207_17:                             ;   in Loop: Header=BB207_13 Depth=1
	s_wait_alu 0xfffe
	s_and_not1_saveexec_b32 s5, s4
	s_cbranch_execz .LBB207_12
; %bb.18:                               ;   in Loop: Header=BB207_13 Depth=1
	global_load_b32 v20, v[3:4], off
	s_wait_loadcnt 0x0
	v_mad_co_i64_i32 v[20:21], null, v20, s29, v[1:2]
	s_clause 0x7
	global_load_u16 v28, v[20:21], off offset:4
	global_load_u16 v29, v[20:21], off
	global_load_u16 v40, v[20:21], off offset:8
	global_load_u16 v41, v[20:21], off offset:12
	;; [unrolled: 1-line block ×6, first 2 shown]
	s_load_b32 s4, s[8:9], 0x0
	ds_load_b128 v[20:23], v10
	ds_load_b128 v[24:27], v10 offset:16
	s_wait_loadcnt 0x7
	v_cvt_pk_f32_fp8_e32 v[36:37], v28
	s_wait_loadcnt 0x6
	v_cvt_pk_f32_fp8_e32 v[38:39], v29
	ds_load_b128 v[28:31], v10 offset:32
	ds_load_b128 v[32:35], v10 offset:48
	s_wait_kmcnt 0x0
	v_dual_mul_f32 v46, s4, v36 :: v_dual_mul_f32 v47, s4, v37
	s_wait_loadcnt 0x5
	v_cvt_pk_f32_fp8_e32 v[36:37], v40
	v_dual_mul_f32 v39, s4, v39 :: v_dual_mul_f32 v38, s4, v38
	s_wait_dscnt 0x3
	v_mul_f32_e32 v40, v22, v46
	v_mul_f32_e32 v46, v23, v47
	s_wait_loadcnt 0x4
	v_cvt_pk_f32_fp8_e32 v[22:23], v41
	s_delay_alu instid0(VALU_DEP_3) | instskip(NEXT) | instid1(VALU_DEP_3)
	v_dual_mul_f32 v37, s4, v37 :: v_dual_fmac_f32 v40, v20, v38
	v_fmac_f32_e32 v46, v21, v39
	s_wait_loadcnt 0x3
	v_cvt_pk_f32_fp8_e32 v[20:21], v42
	v_dual_mul_f32 v38, s4, v23 :: v_dual_mul_f32 v39, s4, v22
	s_wait_loadcnt 0x2
	v_cvt_pk_f32_fp8_e32 v[22:23], v43
	v_mul_f32_e32 v36, s4, v36
	s_wait_dscnt 0x2
	v_dual_fmac_f32 v46, v25, v37 :: v_dual_mul_f32 v25, s4, v20
	s_delay_alu instid0(VALU_DEP_1) | instskip(NEXT) | instid1(VALU_DEP_3)
	v_fmac_f32_e32 v46, v27, v38
	v_dual_mul_f32 v27, s4, v22 :: v_dual_fmac_f32 v40, v24, v36
	v_mul_f32_e32 v24, s4, v21
	s_wait_loadcnt 0x1
	v_cvt_pk_f32_fp8_e32 v[20:21], v44
	s_delay_alu instid0(VALU_DEP_3)
	v_fmac_f32_e32 v40, v26, v39
	v_mul_f32_e32 v26, s4, v23
	s_wait_dscnt 0x1
	v_fmac_f32_e32 v46, v29, v24
	s_wait_loadcnt 0x0
	v_cvt_pk_f32_fp8_e32 v[22:23], v45
	v_mul_f32_e32 v21, s4, v21
	v_fmac_f32_e32 v40, v28, v25
	v_mul_f32_e32 v20, s4, v20
	s_delay_alu instid0(VALU_DEP_4) | instskip(SKIP_1) | instid1(VALU_DEP_4)
	v_dual_fmac_f32 v46, v31, v26 :: v_dual_mul_f32 v23, s4, v23
	v_mul_f32_e32 v22, s4, v22
	v_fmac_f32_e32 v40, v30, v27
	v_cmp_gt_i32_e64 s4, 32, v18
	s_wait_dscnt 0x0
	v_fmac_f32_e32 v46, v33, v21
	s_delay_alu instid0(VALU_DEP_3) | instskip(SKIP_2) | instid1(VALU_DEP_3)
	v_fmac_f32_e32 v40, v32, v20
	s_wait_alu 0xf1ff
	v_cndmask_b32_e64 v20, v7, v18, s4
	v_fmac_f32_e32 v46, v35, v23
	s_delay_alu instid0(VALU_DEP_2) | instskip(NEXT) | instid1(VALU_DEP_1)
	v_dual_fmac_f32 v40, v34, v22 :: v_dual_lshlrev_b32 v21, 2, v20
	v_add_f32_e32 v20, v40, v46
	ds_bpermute_b32 v21, v21, v20
	s_and_saveexec_b32 s42, s3
	s_cbranch_execz .LBB207_11
; %bb.19:                               ;   in Loop: Header=BB207_13 Depth=1
	s_wait_dscnt 0x0
	v_add_f32_e32 v20, v20, v21
	v_add_nc_u32_e32 v22, v15, v14
	s_delay_alu instid0(VALU_DEP_1) | instskip(NEXT) | instid1(VALU_DEP_1)
	v_cvt_f32_i32_e32 v22, v22
	v_mul_f32_e32 v22, s30, v22
	s_delay_alu instid0(VALU_DEP_1) | instskip(NEXT) | instid1(VALU_DEP_1)
	v_dual_cndmask_b32 v21, 0, v22 :: v_dual_max_num_f32 v22, v9, v9
	v_dual_fmac_f32 v21, s7, v20 :: v_dual_add_nc_u32 v20, v8, v14
	s_delay_alu instid0(VALU_DEP_1) | instskip(NEXT) | instid1(VALU_DEP_2)
	v_max_num_f32_e32 v22, v22, v21
	v_cmp_gt_i32_e64 s4, s33, v20
	s_wait_alu 0xf1ff
	s_delay_alu instid0(VALU_DEP_1) | instskip(NEXT) | instid1(VALU_DEP_3)
	v_cndmask_b32_e64 v20, 0, v21, s4
	v_cndmask_b32_e64 v9, v9, v22, s4
	ds_store_b32 v16, v20
	s_branch .LBB207_11
.LBB207_20:
	s_or_b32 exec_lo, exec_lo, s40
.LBB207_21:
	s_delay_alu instid0(SALU_CYCLE_1)
	s_or_b32 exec_lo, exec_lo, s6
	v_xor_b32_e32 v1, 16, v7
	v_xor_b32_e32 v3, 8, v7
	;; [unrolled: 1-line block ×3, first 2 shown]
	s_clause 0x2
	s_load_b128 s[4:7], s[0:1], 0x0
	s_load_b64 s[8:9], s[0:1], 0x10
	s_load_b64 s[30:31], s[0:1], 0x28
	v_and_b32_e32 v14, 31, v0
	v_cmp_gt_i32_e32 vcc_lo, 32, v1
	s_wait_alu 0xfffd
	v_cndmask_b32_e32 v1, v7, v1, vcc_lo
	v_cmp_gt_i32_e32 vcc_lo, 32, v3
	s_wait_alu 0xfffd
	s_delay_alu instid0(VALU_DEP_2)
	v_dual_cndmask_b32 v3, v7, v3 :: v_dual_lshlrev_b32 v2, 2, v1
	v_max_num_f32_e32 v4, v9, v9
	v_cmp_gt_i32_e32 vcc_lo, 32, v8
	ds_bpermute_b32 v1, v2, v9
	v_lshlrev_b32_e32 v3, 2, v3
	v_xor_b32_e32 v9, 2, v7
	s_wait_alu 0xfffd
	v_cndmask_b32_e32 v8, v7, v8, vcc_lo
	s_delay_alu instid0(VALU_DEP_2) | instskip(SKIP_1) | instid1(VALU_DEP_2)
	v_cmp_gt_i32_e32 vcc_lo, 32, v9
	s_wait_alu 0xfffd
	v_dual_cndmask_b32 v9, v7, v9 :: v_dual_lshlrev_b32 v8, 2, v8
	v_cmp_eq_u32_e32 vcc_lo, 0, v14
	s_delay_alu instid0(VALU_DEP_2) | instskip(SKIP_3) | instid1(VALU_DEP_1)
	v_lshlrev_b32_e32 v15, 2, v9
	v_lshlrev_b32_e32 v9, 2, v11
	s_wait_dscnt 0x0
	v_max_num_f32_e32 v1, v1, v1
	v_max_num_f32_e32 v1, v4, v1
	ds_bpermute_b32 v4, v3, v1
	s_wait_dscnt 0x0
	v_max_num_f32_e32 v4, v4, v4
	s_delay_alu instid0(VALU_DEP_1) | instskip(SKIP_3) | instid1(VALU_DEP_1)
	v_max_num_f32_e32 v1, v1, v4
	ds_bpermute_b32 v4, v8, v1
	s_wait_dscnt 0x0
	v_max_num_f32_e32 v4, v4, v4
	v_max_num_f32_e32 v1, v1, v4
	ds_bpermute_b32 v4, v15, v1
	s_and_saveexec_b32 s0, vcc_lo
	s_cbranch_execz .LBB207_23
; %bb.22:
	s_wait_dscnt 0x0
	v_dual_max_num_f32 v4, v4, v4 :: v_dual_max_num_f32 v1, v1, v1
	s_delay_alu instid0(VALU_DEP_1)
	v_max_num_f32_e32 v1, v1, v4
	ds_store_b32 v9, v1 offset:128
.LBB207_23:
	s_or_b32 exec_lo, exec_lo, s0
	v_cmp_gt_u32_e64 s0, 4, v14
	v_dual_mov_b32 v1, 0xff7fffff :: v_dual_lshlrev_b32 v10, 2, v14
	s_wait_loadcnt_dscnt 0x0
	s_barrier_signal -1
	s_barrier_wait -1
	global_inv scope:SCOPE_SE
	s_and_saveexec_b32 s1, s0
; %bb.24:
	ds_load_b32 v1, v10 offset:128
; %bb.25:
	s_or_b32 exec_lo, exec_lo, s1
	s_wait_dscnt 0x0
	ds_bpermute_b32 v4, v15, v1
	v_xor_b32_e32 v16, 1, v7
	v_max_num_f32_e32 v1, v1, v1
	s_delay_alu instid0(VALU_DEP_2) | instskip(NEXT) | instid1(VALU_DEP_1)
	v_cmp_gt_i32_e64 s1, 32, v16
	v_cndmask_b32_e64 v7, v7, v16, s1
	s_sub_co_i32 s1, s34, s15
	s_wait_alu 0xfffe
	s_lshl_b32 s1, s1, 4
	s_wait_alu 0xfffe
	s_add_co_i32 s1, s1, s37
	s_wait_alu 0xfffe
	s_min_i32 s1, s1, s33
	s_wait_alu 0xfffe
	s_sub_co_i32 s18, s1, s37
	s_wait_dscnt 0x0
	v_max_num_f32_e32 v4, v4, v4
	v_lshlrev_b32_e32 v16, 2, v7
	s_wait_alu 0xfffe
	v_cmp_gt_i32_e64 s1, s18, v0
	v_mov_b32_e32 v7, 0
	v_max_num_f32_e32 v1, v1, v4
	ds_bpermute_b32 v4, v16, v1
	s_wait_dscnt 0x0
	v_max_num_f32_e32 v4, v4, v4
	s_delay_alu instid0(VALU_DEP_1)
	v_max_num_f32_e32 v1, v1, v4
	v_lshl_add_u32 v4, v0, 2, 0xa0
	ds_bpermute_b32 v1, v7, v1
	s_and_saveexec_b32 s29, s1
	s_cbranch_execz .LBB207_29
; %bb.26:
	v_lshl_add_u32 v17, v0, 2, 0xa0
	v_dual_mov_b32 v7, 0 :: v_dual_mov_b32 v18, v0
	s_mov_b32 s37, 0
.LBB207_27:                             ; =>This Inner Loop Header: Depth=1
	ds_load_b32 v19, v17
	v_add_nc_u32_e32 v18, 0x80, v18
	s_delay_alu instid0(VALU_DEP_1) | instskip(SKIP_4) | instid1(VALU_DEP_1)
	v_cmp_le_i32_e64 s3, s18, v18
	s_wait_alu 0xfffe
	s_or_b32 s37, s3, s37
	s_wait_dscnt 0x0
	v_sub_f32_e32 v19, v19, v1
	v_mul_f32_e32 v19, 0x3fb8aa3b, v19
	s_delay_alu instid0(VALU_DEP_1)
	v_exp_f32_e32 v19, v19
	ds_store_b32 v17, v19
	v_add_f32_e32 v7, v7, v19
	v_add_nc_u32_e32 v17, 0x200, v17
	s_wait_alu 0xfffe
	s_and_not1_b32 exec_lo, exec_lo, s37
	s_cbranch_execnz .LBB207_27
; %bb.28:
	s_or_b32 exec_lo, exec_lo, s37
.LBB207_29:
	s_wait_alu 0xfffe
	s_or_b32 exec_lo, exec_lo, s29
	ds_bpermute_b32 v2, v2, v7
	s_wait_dscnt 0x0
	v_add_f32_e32 v2, v7, v2
	ds_bpermute_b32 v3, v3, v2
	s_wait_dscnt 0x0
	v_add_f32_e32 v2, v2, v3
	;; [unrolled: 3-line block ×5, first 2 shown]
	s_and_saveexec_b32 s3, vcc_lo
; %bb.30:
	ds_store_b32 v9, v2 offset:144
; %bb.31:
	s_wait_alu 0xfffe
	s_or_b32 exec_lo, exec_lo, s3
	s_wait_loadcnt_dscnt 0x0
	s_barrier_signal -1
	s_barrier_wait -1
	global_inv scope:SCOPE_SE
	s_and_saveexec_b32 s3, s0
; %bb.32:
	ds_load_b32 v2, v10 offset:144
; %bb.33:
	s_wait_alu 0xfffe
	s_or_b32 exec_lo, exec_lo, s3
	s_wait_dscnt 0x0
	ds_bpermute_b32 v3, v15, v2
	s_wait_dscnt 0x0
	v_add_f32_e32 v2, v2, v3
	ds_bpermute_b32 v3, v16, v2
	s_wait_dscnt 0x0
	v_dual_add_f32 v2, v2, v3 :: v_dual_mov_b32 v3, 0
	ds_bpermute_b32 v2, v3, v2
	s_and_saveexec_b32 s0, s1
	s_cbranch_execz .LBB207_36
; %bb.34:
	s_wait_dscnt 0x0
	v_add_f32_e32 v3, 0x358637bd, v2
	s_mov_b32 s1, 0
	s_delay_alu instid0(VALU_DEP_1) | instskip(NEXT) | instid1(VALU_DEP_1)
	v_div_scale_f32 v7, null, v3, v3, 1.0
	v_rcp_f32_e32 v8, v7
	s_delay_alu instid0(TRANS32_DEP_1) | instskip(NEXT) | instid1(VALU_DEP_1)
	v_fma_f32 v9, -v7, v8, 1.0
	v_fmac_f32_e32 v8, v9, v8
	v_div_scale_f32 v10, vcc_lo, 1.0, v3, 1.0
	s_delay_alu instid0(VALU_DEP_1) | instskip(NEXT) | instid1(VALU_DEP_1)
	v_mul_f32_e32 v9, v10, v8
	v_fma_f32 v17, -v7, v9, v10
	s_delay_alu instid0(VALU_DEP_1) | instskip(NEXT) | instid1(VALU_DEP_1)
	v_fmac_f32_e32 v9, v17, v8
	v_fma_f32 v7, -v7, v9, v10
	s_wait_alu 0xfffd
	s_delay_alu instid0(VALU_DEP_1) | instskip(NEXT) | instid1(VALU_DEP_1)
	v_div_fmas_f32 v7, v7, v8, v9
	v_div_fixup_f32 v3, v7, v3, 1.0
	v_mov_b32_e32 v7, v0
.LBB207_35:                             ; =>This Inner Loop Header: Depth=1
	ds_load_b32 v8, v4
	s_wait_dscnt 0x0
	v_dual_mul_f32 v8, v3, v8 :: v_dual_add_nc_u32 v7, 0x80, v7
	s_delay_alu instid0(VALU_DEP_1)
	v_cmp_le_i32_e32 vcc_lo, s18, v7
	ds_store_b32 v4, v8
	v_add_nc_u32_e32 v4, 0x200, v4
	s_wait_alu 0xfffe
	s_or_b32 s1, vcc_lo, s1
	s_wait_alu 0xfffe
	s_and_not1_b32 exec_lo, exec_lo, s1
	s_cbranch_execnz .LBB207_35
.LBB207_36:
	s_wait_alu 0xfffe
	s_or_b32 exec_lo, exec_lo, s0
	s_mul_i32 s0, s12, s19
	s_wait_loadcnt_dscnt 0x0
	s_wait_alu 0xfffe
	s_mul_i32 s18, s0, s36
	s_mov_b32 s0, exec_lo
	s_barrier_signal -1
	s_barrier_wait -1
	global_inv scope:SCOPE_SE
	v_cmpx_eq_u32_e32 0, v0
	s_cbranch_execz .LBB207_38
; %bb.37:
	s_wait_alu 0xfffe
	s_ashr_i32 s19, s18, 31
	s_mul_i32 s36, s12, ttmp9
	s_lshl_b32 s1, s35, 2
	s_wait_alu 0xfffe
	s_lshl_b64 s[40:41], s[18:19], 2
	s_ashr_i32 s37, s36, 31
	v_mov_b32_e32 v3, s1
	s_wait_kmcnt 0x0
	s_wait_alu 0xfffe
	s_add_nc_u64 s[6:7], s[6:7], s[40:41]
	s_lshl_b64 s[36:37], s[36:37], 2
	s_add_nc_u64 s[4:5], s[4:5], s[40:41]
	s_wait_alu 0xfffe
	s_add_nc_u64 s[6:7], s[6:7], s[36:37]
	s_add_nc_u64 s[4:5], s[4:5], s[36:37]
	s_clause 0x1
	global_store_b32 v3, v1, s[6:7]
	global_store_b32 v3, v2, s[4:5]
.LBB207_38:
	s_wait_alu 0xfffe
	s_or_b32 exec_lo, exec_lo, s0
	v_dual_mov_b32 v21, 0 :: v_dual_mov_b32 v22, 0
	v_dual_mov_b32 v18, 0 :: v_dual_and_b32 v17, 3, v0
	v_mov_b32_e32 v19, 0
	s_and_saveexec_b32 s1, s2
	s_cbranch_execz .LBB207_52
; %bb.39:
	s_abs_i32 s2, s14
	v_dual_mov_b32 v18, 0 :: v_dual_lshlrev_b32 v3, 4, v17
	s_wait_alu 0xfffe
	s_cvt_f32_u32 s0, s2
	s_wait_kmcnt 0x0
	s_lshl_b64 s[6:7], s[26:27], 2
	v_dual_mov_b32 v21, 0 :: v_dual_and_b32 v2, 0x7c, v5
	s_wait_alu 0xfffe
	v_rcp_iflag_f32_e32 v1, s0
	s_ashr_i32 s29, s28, 31
	s_add_nc_u64 s[6:7], s[24:25], s[6:7]
	v_dual_mov_b32 v19, 0 :: v_dual_and_b32 v20, 12, v5
	s_wait_alu 0xfffe
	s_add_nc_u64 s[26:27], s[30:31], s[28:29]
	v_add_co_u32 v5, s6, s6, v6
	s_sub_co_i32 s5, 0, s2
	v_add_co_ci_u32_e64 v6, null, s7, 0, s6
	s_delay_alu instid0(TRANS32_DEP_1)
	v_readfirstlane_b32 s0, v1
	v_lshl_or_b32 v1, v11, 6, v3
	v_add_co_u32 v7, s6, s26, v2
	s_wait_alu 0xf1ff
	v_add_co_ci_u32_e64 v8, null, s27, 0, s6
	s_mul_f32 s0, s0, 0x4f7ffffe
	v_dual_mov_b32 v22, 0 :: v_dual_add_nc_u32 v23, 0xa0, v1
	s_sub_co_i32 s3, s39, s13
	s_wait_alu 0xfffe
	s_cvt_u32_f32 s0, s0
	s_mov_b32 s4, s17
	s_add_co_i32 s38, s38, -1
	s_wait_alu 0xfffe
	s_mul_i32 s5, s5, s0
	s_wait_alu 0xfffe
	s_mul_hi_u32 s6, s0, s5
	s_mov_b32 s5, 0
	s_wait_alu 0xfffe
	s_add_co_i32 s6, s0, s6
	s_branch .LBB207_42
.LBB207_40:                             ;   in Loop: Header=BB207_42 Depth=1
	s_wait_alu 0xfffe
	s_or_b32 exec_lo, exec_lo, s0
	s_wait_dscnt 0x0
	v_mul_f32_e32 v27, v1, v27
	v_mul_f32_e32 v28, v1, v39
	;; [unrolled: 1-line block ×4, first 2 shown]
	s_delay_alu instid0(VALU_DEP_4) | instskip(NEXT) | instid1(VALU_DEP_4)
	v_fmac_f32_e32 v27, v2, v26
	v_fmac_f32_e32 v28, v2, v38
	s_delay_alu instid0(VALU_DEP_3) | instskip(NEXT) | instid1(VALU_DEP_3)
	v_fmac_f32_e32 v1, v2, v40
	v_dual_fmac_f32 v30, v2, v34 :: v_dual_fmac_f32 v27, v3, v25
	s_delay_alu instid0(VALU_DEP_1) | instskip(NEXT) | instid1(VALU_DEP_2)
	v_dual_fmac_f32 v28, v3, v37 :: v_dual_fmac_f32 v27, v4, v24
	v_fmac_f32_e32 v30, v3, v33
	s_delay_alu instid0(VALU_DEP_2) | instskip(NEXT) | instid1(VALU_DEP_2)
	v_dual_fmac_f32 v28, v4, v36 :: v_dual_add_f32 v21, v21, v27
	v_dual_fmac_f32 v1, v3, v10 :: v_dual_fmac_f32 v30, v4, v29
	s_delay_alu instid0(VALU_DEP_1) | instskip(NEXT) | instid1(VALU_DEP_1)
	v_dual_fmac_f32 v1, v4, v9 :: v_dual_add_f32 v22, v22, v30
	v_dual_add_f32 v19, v19, v28 :: v_dual_add_f32 v18, v18, v1
.LBB207_41:                             ;   in Loop: Header=BB207_42 Depth=1
	s_wait_alu 0xfffe
	s_or_b32 exec_lo, exec_lo, s7
	v_add_nc_u32_e32 v13, 4, v13
	v_add_co_u32 v5, s0, v5, 16
	s_wait_alu 0xf1ff
	v_add_co_ci_u32_e64 v6, null, 0, v6, s0
	s_delay_alu instid0(VALU_DEP_3)
	v_cmp_le_i32_e32 vcc_lo, s34, v13
	v_add_nc_u32_e32 v12, 64, v12
	v_add_nc_u32_e32 v23, 0x100, v23
	s_or_b32 s5, vcc_lo, s5
	s_wait_alu 0xfffe
	s_and_not1_b32 exec_lo, exec_lo, s5
	s_cbranch_execz .LBB207_51
.LBB207_42:                             ; =>This Inner Loop Header: Depth=1
	v_sub_nc_u32_e32 v1, 0, v12
	s_delay_alu instid0(VALU_DEP_1) | instskip(NEXT) | instid1(VALU_DEP_1)
	v_max_i32_e32 v1, v12, v1
	v_mul_hi_u32 v2, v1, s22
	s_delay_alu instid0(VALU_DEP_1) | instskip(NEXT) | instid1(VALU_DEP_1)
	v_mul_lo_u32 v3, v2, s16
	v_sub_nc_u32_e32 v1, v1, v3
	v_add_nc_u32_e32 v3, 1, v2
	s_delay_alu instid0(VALU_DEP_2) | instskip(SKIP_2) | instid1(VALU_DEP_2)
	v_subrev_nc_u32_e32 v4, s16, v1
	v_cmp_le_u32_e32 vcc_lo, s16, v1
	s_wait_alu 0xfffd
	v_dual_cndmask_b32 v2, v2, v3 :: v_dual_cndmask_b32 v1, v1, v4
	v_ashrrev_i32_e32 v3, 31, v12
	s_delay_alu instid0(VALU_DEP_2) | instskip(NEXT) | instid1(VALU_DEP_3)
	v_add_nc_u32_e32 v4, 1, v2
	v_cmp_le_u32_e32 vcc_lo, s16, v1
	s_delay_alu instid0(VALU_DEP_3) | instskip(SKIP_1) | instid1(VALU_DEP_3)
	v_xor_b32_e32 v3, s23, v3
	s_wait_alu 0xfffd
	v_cndmask_b32_e32 v1, v2, v4, vcc_lo
	s_delay_alu instid0(VALU_DEP_1) | instskip(NEXT) | instid1(VALU_DEP_1)
	v_xor_b32_e32 v1, v1, v3
	v_sub_nc_u32_e32 v1, v1, v3
	s_delay_alu instid0(VALU_DEP_1) | instskip(SKIP_1) | instid1(VALU_DEP_2)
	v_add_nc_u32_e32 v2, s21, v1
	v_cmp_lt_i32_e64 s0, s3, v1
	v_sub_nc_u32_e32 v3, 0, v2
	s_delay_alu instid0(VALU_DEP_1) | instskip(SKIP_1) | instid1(VALU_DEP_1)
	v_max_i32_e32 v3, v2, v3
	s_wait_alu 0xfffe
	v_mul_hi_u32 v4, v3, s6
	s_delay_alu instid0(VALU_DEP_1) | instskip(NEXT) | instid1(VALU_DEP_1)
	v_mul_lo_u32 v4, v4, s2
	v_sub_nc_u32_e32 v3, v3, v4
	s_delay_alu instid0(VALU_DEP_1) | instskip(SKIP_2) | instid1(VALU_DEP_2)
	v_subrev_nc_u32_e32 v4, s2, v3
	v_cmp_le_u32_e32 vcc_lo, s2, v3
	s_wait_alu 0xfffd
	v_cndmask_b32_e32 v3, v3, v4, vcc_lo
	v_ashrrev_i32_e32 v2, 31, v2
	s_delay_alu instid0(VALU_DEP_2) | instskip(SKIP_2) | instid1(VALU_DEP_2)
	v_subrev_nc_u32_e32 v4, s2, v3
	v_cmp_le_u32_e32 vcc_lo, s2, v3
	s_wait_alu 0xfffd
	v_cndmask_b32_e32 v3, v3, v4, vcc_lo
	s_delay_alu instid0(VALU_DEP_1) | instskip(NEXT) | instid1(VALU_DEP_1)
	v_xor_b32_e32 v3, v3, v2
	v_sub_nc_u32_e32 v2, v3, v2
	s_delay_alu instid0(VALU_DEP_1)
	v_cmp_eq_u32_e32 vcc_lo, 0, v2
	s_or_b32 s0, vcc_lo, s0
	s_wait_alu 0xfffe
	s_and_saveexec_b32 s7, s0
	s_cbranch_execz .LBB207_41
; %bb.43:                               ;   in Loop: Header=BB207_42 Depth=1
	global_load_b32 v1, v[5:6], off
	s_load_b32 s13, s[10:11], 0x0
	v_add_nc_u32_e32 v28, v20, v12
	v_cmp_eq_u32_e32 vcc_lo, s38, v13
	s_delay_alu instid0(VALU_DEP_2)
	v_add_nc_u32_e32 v30, 2, v28
	s_wait_loadcnt 0x0
	v_mad_co_i64_i32 v[9:10], null, v1, s4, v[7:8]
	ds_load_b128 v[1:4], v23
	global_load_b32 v24, v[9:10], off
	s_wait_loadcnt 0x0
	v_lshrrev_b32_e32 v26, 16, v24
	s_delay_alu instid0(VALU_DEP_1) | instskip(SKIP_1) | instid1(VALU_DEP_1)
	v_cvt_pk_f32_fp8_e32 v[32:33], v26
	v_and_b32_e32 v25, 0xffff, v24
	v_cvt_pk_f32_fp8_e32 v[24:25], v25
	s_wait_kmcnt 0x0
	s_delay_alu instid0(VALU_DEP_1) | instskip(NEXT) | instid1(VALU_DEP_2)
	v_dual_mul_f32 v26, s13, v25 :: v_dual_add_nc_u32 v31, 1, v28
	v_mul_f32_e32 v27, s13, v24
	v_dual_mul_f32 v25, s13, v32 :: v_dual_mul_f32 v24, s13, v33
	v_add_nc_u32_e32 v32, 3, v28
	s_and_saveexec_b32 s14, vcc_lo
	s_cbranch_execz .LBB207_45
; %bb.44:                               ;   in Loop: Header=BB207_42 Depth=1
	v_cmp_gt_i32_e64 s0, s33, v28
	s_wait_alu 0xf1ff
	s_delay_alu instid0(VALU_DEP_1) | instskip(SKIP_2) | instid1(VALU_DEP_1)
	v_cndmask_b32_e64 v27, 0, v27, s0
	v_cmp_gt_i32_e64 s0, s33, v31
	s_wait_alu 0xf1ff
	v_cndmask_b32_e64 v26, 0, v26, s0
	v_cmp_gt_i32_e64 s0, s33, v30
	s_wait_alu 0xf1ff
	s_delay_alu instid0(VALU_DEP_1) | instskip(SKIP_2) | instid1(VALU_DEP_1)
	v_cndmask_b32_e64 v25, 0, v25, s0
	v_cmp_gt_i32_e64 s0, s33, v32
	s_wait_alu 0xf1ff
	v_cndmask_b32_e64 v24, 0, v24, s0
.LBB207_45:                             ;   in Loop: Header=BB207_42 Depth=1
	s_wait_alu 0xfffe
	s_or_b32 exec_lo, exec_lo, s14
	global_load_b32 v29, v[9:10], off offset:128
	s_mov_b32 s14, s13
	s_wait_loadcnt 0x0
	v_and_b32_e32 v33, 0xffff, v29
	v_lshrrev_b32_e32 v29, 16, v29
	s_delay_alu instid0(VALU_DEP_2) | instskip(NEXT) | instid1(VALU_DEP_2)
	v_cvt_pk_f32_fp8_e32 v[33:34], v33
	v_cvt_pk_f32_fp8_e32 v[36:37], v29
	s_wait_alu 0xfffe
	s_delay_alu instid0(VALU_DEP_2) | instskip(NEXT) | instid1(VALU_DEP_2)
	v_dual_mul_f32 v35, s13, v33 :: v_dual_mul_f32 v34, s14, v34
	v_mul_f32_e32 v33, s13, v36
	s_delay_alu instid0(VALU_DEP_3)
	v_mul_f32_e32 v29, s14, v37
	s_and_saveexec_b32 s17, vcc_lo
	s_cbranch_execz .LBB207_47
; %bb.46:                               ;   in Loop: Header=BB207_42 Depth=1
	v_cmp_gt_i32_e64 s0, s33, v28
	s_wait_alu 0xf1ff
	s_delay_alu instid0(VALU_DEP_1) | instskip(SKIP_2) | instid1(VALU_DEP_1)
	v_cndmask_b32_e64 v35, 0, v35, s0
	v_cmp_gt_i32_e64 s0, s33, v31
	s_wait_alu 0xf1ff
	v_cndmask_b32_e64 v34, 0, v34, s0
	v_cmp_gt_i32_e64 s0, s33, v30
	s_wait_alu 0xf1ff
	s_delay_alu instid0(VALU_DEP_1) | instskip(SKIP_2) | instid1(VALU_DEP_1)
	v_cndmask_b32_e64 v33, 0, v33, s0
	v_cmp_gt_i32_e64 s0, s33, v32
	s_wait_alu 0xf1ff
	v_cndmask_b32_e64 v29, 0, v29, s0
.LBB207_47:                             ;   in Loop: Header=BB207_42 Depth=1
	s_wait_alu 0xfffe
	s_or_b32 exec_lo, exec_lo, s17
	global_load_b32 v36, v[9:10], off offset:256
	s_wait_loadcnt 0x0
	v_lshrrev_b32_e32 v38, 16, v36
	s_delay_alu instid0(VALU_DEP_1) | instskip(SKIP_1) | instid1(VALU_DEP_1)
	v_cvt_pk_f32_fp8_e32 v[40:41], v38
	v_and_b32_e32 v37, 0xffff, v36
	v_cvt_pk_f32_fp8_e32 v[36:37], v37
	s_delay_alu instid0(VALU_DEP_1) | instskip(NEXT) | instid1(VALU_DEP_4)
	v_dual_mul_f32 v39, s13, v36 :: v_dual_mul_f32 v38, s14, v37
	v_dual_mul_f32 v37, s13, v40 :: v_dual_mul_f32 v36, s14, v41
	s_and_saveexec_b32 s17, vcc_lo
	s_cbranch_execz .LBB207_49
; %bb.48:                               ;   in Loop: Header=BB207_42 Depth=1
	v_cmp_gt_i32_e64 s0, s33, v28
	s_wait_alu 0xf1ff
	s_delay_alu instid0(VALU_DEP_1) | instskip(SKIP_2) | instid1(VALU_DEP_1)
	v_cndmask_b32_e64 v39, 0, v39, s0
	v_cmp_gt_i32_e64 s0, s33, v31
	s_wait_alu 0xf1ff
	v_cndmask_b32_e64 v38, 0, v38, s0
	v_cmp_gt_i32_e64 s0, s33, v30
	s_wait_alu 0xf1ff
	s_delay_alu instid0(VALU_DEP_1) | instskip(SKIP_2) | instid1(VALU_DEP_1)
	v_cndmask_b32_e64 v37, 0, v37, s0
	v_cmp_gt_i32_e64 s0, s33, v32
	s_wait_alu 0xf1ff
	v_cndmask_b32_e64 v36, 0, v36, s0
.LBB207_49:                             ;   in Loop: Header=BB207_42 Depth=1
	s_wait_alu 0xfffe
	s_or_b32 exec_lo, exec_lo, s17
	global_load_b32 v9, v[9:10], off offset:384
	s_wait_loadcnt 0x0
	v_lshrrev_b32_e32 v40, 16, v9
	s_delay_alu instid0(VALU_DEP_1) | instskip(SKIP_1) | instid1(VALU_DEP_1)
	v_cvt_pk_f32_fp8_e32 v[42:43], v40
	v_and_b32_e32 v10, 0xffff, v9
	v_cvt_pk_f32_fp8_e32 v[9:10], v10
	s_delay_alu instid0(VALU_DEP_1) | instskip(NEXT) | instid1(VALU_DEP_4)
	v_dual_mul_f32 v41, s13, v9 :: v_dual_mul_f32 v40, s14, v10
	v_dual_mul_f32 v10, s13, v42 :: v_dual_mul_f32 v9, s14, v43
	s_and_saveexec_b32 s0, vcc_lo
	s_cbranch_execz .LBB207_40
; %bb.50:                               ;   in Loop: Header=BB207_42 Depth=1
	v_cmp_gt_i32_e32 vcc_lo, s33, v28
	s_wait_alu 0xfffd
	v_cndmask_b32_e32 v41, 0, v41, vcc_lo
	v_cmp_gt_i32_e32 vcc_lo, s33, v31
	s_wait_alu 0xfffd
	v_cndmask_b32_e32 v40, 0, v40, vcc_lo
	;; [unrolled: 3-line block ×4, first 2 shown]
	s_branch .LBB207_40
.LBB207_51:
	s_or_b32 exec_lo, exec_lo, s5
.LBB207_52:
	s_wait_alu 0xfffe
	s_or_b32 exec_lo, exec_lo, s1
	ds_bpermute_b32 v1, v15, v21
	ds_bpermute_b32 v2, v15, v22
	;; [unrolled: 1-line block ×4, first 2 shown]
	v_lshrrev_b32_e32 v5, 2, v14
	s_mov_b32 s0, exec_lo
	s_wait_storecnt 0x0
	s_wait_loadcnt_dscnt 0x0
	s_barrier_signal -1
	s_barrier_wait -1
	global_inv scope:SCOPE_SE
	v_dual_add_f32 v1, v21, v1 :: v_dual_add_f32 v2, v22, v2
	v_dual_add_f32 v3, v19, v3 :: v_dual_add_f32 v4, v18, v4
	ds_bpermute_b32 v7, v16, v1
	ds_bpermute_b32 v8, v16, v2
	;; [unrolled: 1-line block ×4, first 2 shown]
	v_and_b32_e32 v6, 28, v14
	s_wait_dscnt 0x3
	v_dual_add_f32 v1, v1, v7 :: v_dual_and_b32 v12, 0x3c3, v0
	s_delay_alu instid0(VALU_DEP_2)
	v_add_nc_u32_e32 v6, 0xa0, v6
	s_wait_dscnt 0x1
	v_dual_add_f32 v2, v2, v8 :: v_dual_add_f32 v3, v3, v9
	s_wait_dscnt 0x0
	v_add_f32_e32 v4, v4, v10
	v_cmpx_eq_u32_e32 64, v12
	s_cbranch_execz .LBB207_54
; %bb.53:
	v_lshl_add_u32 v7, v11, 7, v6
	s_delay_alu instid0(VALU_DEP_1)
	v_add_nc_u32_e32 v8, 0xffffff00, v7
	v_add_nc_u32_e32 v9, 0xffffff20, v7
	;; [unrolled: 1-line block ×4, first 2 shown]
	ds_store_b32 v8, v1
	ds_store_b32 v9, v2
	;; [unrolled: 1-line block ×4, first 2 shown]
.LBB207_54:
	s_wait_alu 0xfffe
	s_or_b32 exec_lo, exec_lo, s0
	v_and_b32_e32 v7, 0x3e0, v0
	v_lshlrev_b32_e32 v5, 2, v5
	s_mov_b32 s1, exec_lo
	v_cmp_eq_u32_e32 vcc_lo, 0, v17
	s_wait_loadcnt_dscnt 0x0
	v_lshlrev_b32_e32 v7, 2, v7
	s_barrier_signal -1
	s_barrier_wait -1
	global_inv scope:SCOPE_SE
	v_add3_u32 v5, 0xa0, v7, v5
	v_cmpx_gt_u32_e32 64, v0
	s_cbranch_execz .LBB207_61
; %bb.55:
	s_and_saveexec_b32 s0, vcc_lo
	s_cbranch_execnz .LBB207_73
; %bb.56:
	s_wait_alu 0xfffe
	s_or_b32 exec_lo, exec_lo, s0
	s_and_saveexec_b32 s0, vcc_lo
	s_cbranch_execnz .LBB207_74
.LBB207_57:
	s_wait_alu 0xfffe
	s_or_b32 exec_lo, exec_lo, s0
	s_and_saveexec_b32 s0, vcc_lo
	s_cbranch_execnz .LBB207_75
.LBB207_58:
	s_wait_alu 0xfffe
	s_or_b32 exec_lo, exec_lo, s0
	s_and_saveexec_b32 s0, vcc_lo
	s_cbranch_execz .LBB207_60
.LBB207_59:
	ds_load_b32 v7, v5 offset:96
	s_wait_dscnt 0x0
	v_add_f32_e32 v4, v4, v7
.LBB207_60:
	s_wait_alu 0xfffe
	s_or_b32 exec_lo, exec_lo, s0
.LBB207_61:
	s_wait_alu 0xfffe
	s_or_b32 exec_lo, exec_lo, s1
	v_and_b32_e32 v7, 0x3e3, v0
	s_mov_b32 s1, exec_lo
	s_wait_loadcnt 0x0
	s_barrier_signal -1
	s_barrier_wait -1
	global_inv scope:SCOPE_SE
	v_cmpx_eq_u32_e32 32, v7
	s_cbranch_execz .LBB207_63
; %bb.62:
	ds_store_2addr_b32 v6, v1, v2 offset1:8
	ds_store_2addr_b32 v6, v3, v4 offset0:16 offset1:24
.LBB207_63:
	s_wait_alu 0xfffe
	s_or_b32 exec_lo, exec_lo, s1
	s_delay_alu instid0(SALU_CYCLE_1)
	s_mov_b32 s1, exec_lo
	s_wait_loadcnt_dscnt 0x0
	s_barrier_signal -1
	s_barrier_wait -1
	global_inv scope:SCOPE_SE
	v_cmpx_gt_u32_e32 32, v0
	s_cbranch_execz .LBB207_70
; %bb.64:
	s_and_saveexec_b32 s0, vcc_lo
	s_cbranch_execnz .LBB207_76
; %bb.65:
	s_wait_alu 0xfffe
	s_or_b32 exec_lo, exec_lo, s0
	s_and_saveexec_b32 s0, vcc_lo
	s_cbranch_execnz .LBB207_77
.LBB207_66:
	s_wait_alu 0xfffe
	s_or_b32 exec_lo, exec_lo, s0
	s_and_saveexec_b32 s0, vcc_lo
	s_cbranch_execnz .LBB207_78
.LBB207_67:
	s_wait_alu 0xfffe
	s_or_b32 exec_lo, exec_lo, s0
	s_and_saveexec_b32 s0, vcc_lo
	s_cbranch_execz .LBB207_69
.LBB207_68:
	ds_load_b32 v5, v5 offset:96
	s_wait_dscnt 0x0
	v_add_f32_e32 v4, v4, v5
.LBB207_69:
	s_wait_alu 0xfffe
	s_or_b32 exec_lo, exec_lo, s0
.LBB207_70:
	s_wait_alu 0xfffe
	s_or_b32 exec_lo, exec_lo, s1
	s_mov_b32 s1, 0
	s_wait_loadcnt 0x0
	s_barrier_signal -1
	s_barrier_wait -1
	global_inv scope:SCOPE_SE
	s_mov_b32 s0, exec_lo
	v_cmpx_eq_u32_e32 0, v7
	s_cbranch_execz .LBB207_72
; %bb.71:
	s_lshl_b32 s2, s18, 5
	s_wait_kmcnt 0x0
	s_mul_i32 s4, s12, s20
	s_wait_alu 0xfffe
	s_ashr_i32 s3, s2, 31
	s_ashr_i32 s5, s4, 31
	s_wait_alu 0xfffe
	s_lshl_b64 s[2:3], s[2:3], 2
	s_lshl_b64 s[4:5], s[4:5], 2
	s_wait_alu 0xfffe
	s_add_nc_u64 s[2:3], s[8:9], s[2:3]
	s_lshl_b32 s0, s15, 2
	s_wait_alu 0xfffe
	s_add_nc_u64 s[2:3], s[2:3], s[4:5]
	s_wait_alu 0xfffe
	s_add_nc_u64 s[0:1], s[2:3], s[0:1]
	s_clause 0x3
	global_store_b32 v0, v1, s[0:1]
	global_store_b32 v0, v2, s[0:1] offset:32
	global_store_b32 v0, v3, s[0:1] offset:64
	;; [unrolled: 1-line block ×3, first 2 shown]
.LBB207_72:
	s_endpgm
.LBB207_73:
	ds_load_b32 v7, v5
	s_wait_dscnt 0x0
	v_add_f32_e32 v1, v1, v7
	s_wait_alu 0xfffe
	s_or_b32 exec_lo, exec_lo, s0
	s_and_saveexec_b32 s0, vcc_lo
	s_cbranch_execz .LBB207_57
.LBB207_74:
	ds_load_b32 v7, v5 offset:32
	s_wait_dscnt 0x0
	v_add_f32_e32 v2, v2, v7
	s_wait_alu 0xfffe
	s_or_b32 exec_lo, exec_lo, s0
	s_and_saveexec_b32 s0, vcc_lo
	s_cbranch_execz .LBB207_58
.LBB207_75:
	ds_load_b32 v7, v5 offset:64
	s_wait_dscnt 0x0
	v_add_f32_e32 v3, v3, v7
	s_wait_alu 0xfffe
	s_or_b32 exec_lo, exec_lo, s0
	s_and_saveexec_b32 s0, vcc_lo
	s_cbranch_execnz .LBB207_59
	s_branch .LBB207_60
.LBB207_76:
	ds_load_b32 v6, v5
	s_wait_dscnt 0x0
	v_add_f32_e32 v1, v1, v6
	s_wait_alu 0xfffe
	s_or_b32 exec_lo, exec_lo, s0
	s_and_saveexec_b32 s0, vcc_lo
	s_cbranch_execz .LBB207_66
.LBB207_77:
	ds_load_b32 v6, v5 offset:32
	s_wait_dscnt 0x0
	v_add_f32_e32 v2, v2, v6
	s_wait_alu 0xfffe
	s_or_b32 exec_lo, exec_lo, s0
	s_and_saveexec_b32 s0, vcc_lo
	s_cbranch_execz .LBB207_67
.LBB207_78:
	ds_load_b32 v6, v5 offset:64
	s_wait_dscnt 0x0
	v_add_f32_e32 v3, v3, v6
	s_wait_alu 0xfffe
	s_or_b32 exec_lo, exec_lo, s0
	s_and_saveexec_b32 s0, vcc_lo
	s_cbranch_execnz .LBB207_68
	s_branch .LBB207_69
	.section	.rodata,"a",@progbits
	.p2align	6, 0x0
	.amdhsa_kernel _ZN4vllm25paged_attention_v2_kernelIfhLi32ELi16ELi128ELNS_18Fp8KVCacheDataTypeE1ELb1ELi512EEEvPfS2_PT_PKS3_PKT0_S9_ifPKiSB_iPKfiiiSD_SD_iiiii
		.amdhsa_group_segment_fixed_size 160
		.amdhsa_private_segment_fixed_size 0
		.amdhsa_kernarg_size 400
		.amdhsa_user_sgpr_count 2
		.amdhsa_user_sgpr_dispatch_ptr 0
		.amdhsa_user_sgpr_queue_ptr 0
		.amdhsa_user_sgpr_kernarg_segment_ptr 1
		.amdhsa_user_sgpr_dispatch_id 0
		.amdhsa_user_sgpr_private_segment_size 0
		.amdhsa_wavefront_size32 1
		.amdhsa_uses_dynamic_stack 0
		.amdhsa_enable_private_segment 0
		.amdhsa_system_sgpr_workgroup_id_x 1
		.amdhsa_system_sgpr_workgroup_id_y 1
		.amdhsa_system_sgpr_workgroup_id_z 1
		.amdhsa_system_sgpr_workgroup_info 0
		.amdhsa_system_vgpr_workitem_id 0
		.amdhsa_next_free_vgpr 48
		.amdhsa_next_free_sgpr 45
		.amdhsa_reserve_vcc 1
		.amdhsa_float_round_mode_32 0
		.amdhsa_float_round_mode_16_64 0
		.amdhsa_float_denorm_mode_32 3
		.amdhsa_float_denorm_mode_16_64 3
		.amdhsa_fp16_overflow 0
		.amdhsa_workgroup_processor_mode 1
		.amdhsa_memory_ordered 1
		.amdhsa_forward_progress 1
		.amdhsa_inst_pref_size 45
		.amdhsa_round_robin_scheduling 0
		.amdhsa_exception_fp_ieee_invalid_op 0
		.amdhsa_exception_fp_denorm_src 0
		.amdhsa_exception_fp_ieee_div_zero 0
		.amdhsa_exception_fp_ieee_overflow 0
		.amdhsa_exception_fp_ieee_underflow 0
		.amdhsa_exception_fp_ieee_inexact 0
		.amdhsa_exception_int_div_zero 0
	.end_amdhsa_kernel
	.section	.text._ZN4vllm25paged_attention_v2_kernelIfhLi32ELi16ELi128ELNS_18Fp8KVCacheDataTypeE1ELb1ELi512EEEvPfS2_PT_PKS3_PKT0_S9_ifPKiSB_iPKfiiiSD_SD_iiiii,"axG",@progbits,_ZN4vllm25paged_attention_v2_kernelIfhLi32ELi16ELi128ELNS_18Fp8KVCacheDataTypeE1ELb1ELi512EEEvPfS2_PT_PKS3_PKT0_S9_ifPKiSB_iPKfiiiSD_SD_iiiii,comdat
.Lfunc_end207:
	.size	_ZN4vllm25paged_attention_v2_kernelIfhLi32ELi16ELi128ELNS_18Fp8KVCacheDataTypeE1ELb1ELi512EEEvPfS2_PT_PKS3_PKT0_S9_ifPKiSB_iPKfiiiSD_SD_iiiii, .Lfunc_end207-_ZN4vllm25paged_attention_v2_kernelIfhLi32ELi16ELi128ELNS_18Fp8KVCacheDataTypeE1ELb1ELi512EEEvPfS2_PT_PKS3_PKT0_S9_ifPKiSB_iPKfiiiSD_SD_iiiii
                                        ; -- End function
	.set _ZN4vllm25paged_attention_v2_kernelIfhLi32ELi16ELi128ELNS_18Fp8KVCacheDataTypeE1ELb1ELi512EEEvPfS2_PT_PKS3_PKT0_S9_ifPKiSB_iPKfiiiSD_SD_iiiii.num_vgpr, 48
	.set _ZN4vllm25paged_attention_v2_kernelIfhLi32ELi16ELi128ELNS_18Fp8KVCacheDataTypeE1ELb1ELi512EEEvPfS2_PT_PKS3_PKT0_S9_ifPKiSB_iPKfiiiSD_SD_iiiii.num_agpr, 0
	.set _ZN4vllm25paged_attention_v2_kernelIfhLi32ELi16ELi128ELNS_18Fp8KVCacheDataTypeE1ELb1ELi512EEEvPfS2_PT_PKS3_PKT0_S9_ifPKiSB_iPKfiiiSD_SD_iiiii.numbered_sgpr, 45
	.set _ZN4vllm25paged_attention_v2_kernelIfhLi32ELi16ELi128ELNS_18Fp8KVCacheDataTypeE1ELb1ELi512EEEvPfS2_PT_PKS3_PKT0_S9_ifPKiSB_iPKfiiiSD_SD_iiiii.num_named_barrier, 0
	.set _ZN4vllm25paged_attention_v2_kernelIfhLi32ELi16ELi128ELNS_18Fp8KVCacheDataTypeE1ELb1ELi512EEEvPfS2_PT_PKS3_PKT0_S9_ifPKiSB_iPKfiiiSD_SD_iiiii.private_seg_size, 0
	.set _ZN4vllm25paged_attention_v2_kernelIfhLi32ELi16ELi128ELNS_18Fp8KVCacheDataTypeE1ELb1ELi512EEEvPfS2_PT_PKS3_PKT0_S9_ifPKiSB_iPKfiiiSD_SD_iiiii.uses_vcc, 1
	.set _ZN4vllm25paged_attention_v2_kernelIfhLi32ELi16ELi128ELNS_18Fp8KVCacheDataTypeE1ELb1ELi512EEEvPfS2_PT_PKS3_PKT0_S9_ifPKiSB_iPKfiiiSD_SD_iiiii.uses_flat_scratch, 0
	.set _ZN4vllm25paged_attention_v2_kernelIfhLi32ELi16ELi128ELNS_18Fp8KVCacheDataTypeE1ELb1ELi512EEEvPfS2_PT_PKS3_PKT0_S9_ifPKiSB_iPKfiiiSD_SD_iiiii.has_dyn_sized_stack, 0
	.set _ZN4vllm25paged_attention_v2_kernelIfhLi32ELi16ELi128ELNS_18Fp8KVCacheDataTypeE1ELb1ELi512EEEvPfS2_PT_PKS3_PKT0_S9_ifPKiSB_iPKfiiiSD_SD_iiiii.has_recursion, 0
	.set _ZN4vllm25paged_attention_v2_kernelIfhLi32ELi16ELi128ELNS_18Fp8KVCacheDataTypeE1ELb1ELi512EEEvPfS2_PT_PKS3_PKT0_S9_ifPKiSB_iPKfiiiSD_SD_iiiii.has_indirect_call, 0
	.section	.AMDGPU.csdata,"",@progbits
; Kernel info:
; codeLenInByte = 5692
; TotalNumSgprs: 47
; NumVgprs: 48
; ScratchSize: 0
; MemoryBound: 0
; FloatMode: 240
; IeeeMode: 1
; LDSByteSize: 160 bytes/workgroup (compile time only)
; SGPRBlocks: 0
; VGPRBlocks: 5
; NumSGPRsForWavesPerEU: 47
; NumVGPRsForWavesPerEU: 48
; Occupancy: 16
; WaveLimiterHint : 1
; COMPUTE_PGM_RSRC2:SCRATCH_EN: 0
; COMPUTE_PGM_RSRC2:USER_SGPR: 2
; COMPUTE_PGM_RSRC2:TRAP_HANDLER: 0
; COMPUTE_PGM_RSRC2:TGID_X_EN: 1
; COMPUTE_PGM_RSRC2:TGID_Y_EN: 1
; COMPUTE_PGM_RSRC2:TGID_Z_EN: 1
; COMPUTE_PGM_RSRC2:TIDIG_COMP_CNT: 0
	.section	.text._ZN4vllm25paged_attention_v2_kernelIfhLi64ELi16ELi128ELNS_18Fp8KVCacheDataTypeE1ELb1ELi512EEEvPfS2_PT_PKS3_PKT0_S9_ifPKiSB_iPKfiiiSD_SD_iiiii,"axG",@progbits,_ZN4vllm25paged_attention_v2_kernelIfhLi64ELi16ELi128ELNS_18Fp8KVCacheDataTypeE1ELb1ELi512EEEvPfS2_PT_PKS3_PKT0_S9_ifPKiSB_iPKfiiiSD_SD_iiiii,comdat
	.protected	_ZN4vllm25paged_attention_v2_kernelIfhLi64ELi16ELi128ELNS_18Fp8KVCacheDataTypeE1ELb1ELi512EEEvPfS2_PT_PKS3_PKT0_S9_ifPKiSB_iPKfiiiSD_SD_iiiii ; -- Begin function _ZN4vllm25paged_attention_v2_kernelIfhLi64ELi16ELi128ELNS_18Fp8KVCacheDataTypeE1ELb1ELi512EEEvPfS2_PT_PKS3_PKT0_S9_ifPKiSB_iPKfiiiSD_SD_iiiii
	.globl	_ZN4vllm25paged_attention_v2_kernelIfhLi64ELi16ELi128ELNS_18Fp8KVCacheDataTypeE1ELb1ELi512EEEvPfS2_PT_PKS3_PKT0_S9_ifPKiSB_iPKfiiiSD_SD_iiiii
	.p2align	8
	.type	_ZN4vllm25paged_attention_v2_kernelIfhLi64ELi16ELi128ELNS_18Fp8KVCacheDataTypeE1ELb1ELi512EEEvPfS2_PT_PKS3_PKT0_S9_ifPKiSB_iPKfiiiSD_SD_iiiii,@function
_ZN4vllm25paged_attention_v2_kernelIfhLi64ELi16ELi128ELNS_18Fp8KVCacheDataTypeE1ELb1ELi512EEEvPfS2_PT_PKS3_PKT0_S9_ifPKiSB_iPKfiiiSD_SD_iiiii: ; @_ZN4vllm25paged_attention_v2_kernelIfhLi64ELi16ELi128ELNS_18Fp8KVCacheDataTypeE1ELb1ELi512EEEvPfS2_PT_PKS3_PKT0_S9_ifPKiSB_iPKfiiiSD_SD_iiiii
; %bb.0:
	s_load_b64 s[2:3], s[0:1], 0x40
	s_and_b32 s35, ttmp7, 0xffff
	s_lshr_b32 s33, ttmp7, 16
	s_lshl_b32 s4, s35, 2
	s_lshl_b32 s37, s33, 9
	s_wait_kmcnt 0x0
	s_load_b32 s34, s[2:3], s4 offset:0x0
	s_wait_kmcnt 0x0
	s_cmp_ge_i32 s37, s34
	s_cbranch_scc1 .LBB208_88
; %bb.1:
	s_clause 0x1
	s_load_b32 s36, s[0:1], 0x90
	s_load_b64 s[6:7], s[0:1], 0x30
	s_wait_kmcnt 0x0
	s_abs_i32 s5, s36
	s_abs_i32 s2, s6
	s_delay_alu instid0(SALU_CYCLE_1) | instskip(SKIP_1) | instid1(SALU_CYCLE_2)
	s_cvt_f32_u32 s3, s2
	s_sub_co_i32 s4, 0, s2
	v_rcp_iflag_f32_e32 v1, s3
	s_delay_alu instid0(TRANS32_DEP_1) | instskip(SKIP_2) | instid1(SALU_CYCLE_2)
	v_readfirstlane_b32 s3, v1
	s_mul_f32 s3, s3, 0x4f7ffffe
	s_wait_alu 0xfffe
	s_cvt_u32_f32 s3, s3
	s_wait_alu 0xfffe
	s_delay_alu instid0(SALU_CYCLE_2) | instskip(NEXT) | instid1(SALU_CYCLE_1)
	s_mul_i32 s4, s4, s3
	s_mul_hi_u32 s4, s3, s4
	s_delay_alu instid0(SALU_CYCLE_1)
	s_add_co_i32 s3, s3, s4
	s_xor_b32 s4, s36, s6
	s_wait_alu 0xfffe
	s_mul_hi_u32 s3, s5, s3
	s_ashr_i32 s4, s4, 31
	s_wait_alu 0xfffe
	s_mul_i32 s8, s3, s2
	s_delay_alu instid0(SALU_CYCLE_1)
	s_sub_co_i32 s5, s5, s8
	s_add_co_i32 s8, s3, 1
	s_sub_co_i32 s9, s5, s2
	s_cmp_ge_u32 s5, s2
	s_cselect_b32 s3, s8, s3
	s_cselect_b32 s5, s9, s5
	s_wait_alu 0xfffe
	s_add_co_i32 s8, s3, 1
	s_cmp_ge_u32 s5, s2
	s_mov_b32 s5, 0
	s_cselect_b32 s2, s8, s3
	s_load_b64 s[8:9], s[0:1], 0x50
	s_xor_b32 s2, s2, s4
	s_mov_b32 s18, s5
	s_wait_alu 0xfffe
	s_sub_co_i32 s11, s2, s4
	s_abs_i32 s4, ttmp9
	s_abs_i32 s10, s11
	s_delay_alu instid0(SALU_CYCLE_1) | instskip(SKIP_2) | instid1(SALU_CYCLE_1)
	s_cvt_f32_u32 s2, s10
	s_sub_co_i32 s3, 0, s10
	s_wait_alu 0xfffe
	v_rcp_iflag_f32_e32 v1, s2
	s_delay_alu instid0(TRANS32_DEP_1) | instskip(SKIP_2) | instid1(SALU_CYCLE_2)
	v_readfirstlane_b32 s2, v1
	s_mul_f32 s2, s2, 0x4f7ffffe
	s_wait_alu 0xfffe
	s_cvt_u32_f32 s2, s2
	s_wait_alu 0xfffe
	s_delay_alu instid0(SALU_CYCLE_2)
	s_mul_i32 s3, s3, s2
	s_wait_alu 0xfffe
	s_mul_hi_u32 s3, s2, s3
	s_wait_alu 0xfffe
	s_add_co_i32 s2, s2, s3
	s_mov_b32 s3, s5
	s_wait_kmcnt 0x0
	s_cmp_eq_u64 s[8:9], 0
	s_cbranch_scc1 .LBB208_3
; %bb.2:
	s_mov_b32 s12, ttmp9
	s_ashr_i32 s13, ttmp9, 31
	s_delay_alu instid0(SALU_CYCLE_1) | instskip(NEXT) | instid1(SALU_CYCLE_1)
	s_lshl_b64 s[12:13], s[12:13], 2
	s_add_nc_u64 s[8:9], s[8:9], s[12:13]
	s_load_b32 s18, s[8:9], 0x0
.LBB208_3:
	s_load_b96 s[20:22], s[0:1], 0x58
	s_mul_u64 s[2:3], s[4:5], s[2:3]
	v_and_b32_e32 v1, 1, v0
	v_cmp_gt_u32_e64 s2, 32, v0
	v_lshlrev_b32_e32 v5, 2, v0
	s_ashr_i32 s5, ttmp9, 31
	s_ashr_i32 s8, s11, 31
	s_lshl_b32 s24, ttmp9, 6
	s_wait_alu 0xfffe
	s_and_saveexec_b32 s9, s2
	s_cbranch_execz .LBB208_5
; %bb.4:
	s_load_b64 s[12:13], s[0:1], 0x18
	s_wait_kmcnt 0x0
	s_mul_i32 s14, s20, s35
	s_ashr_i32 s25, s24, 31
	s_ashr_i32 s15, s14, 31
	v_lshlrev_b32_e32 v2, 3, v0
	s_lshl_b64 s[14:15], s[14:15], 2
	v_and_b32_e32 v4, 0xff8, v5
	s_delay_alu instid0(VALU_DEP_1) | instskip(SKIP_2) | instid1(SALU_CYCLE_1)
	v_lshl_add_u32 v4, v1, 7, v4
	s_add_nc_u64 s[12:13], s[12:13], s[14:15]
	s_lshl_b64 s[14:15], s[24:25], 2
	s_add_nc_u64 s[12:13], s[12:13], s[14:15]
	global_load_b64 v[2:3], v2, s[12:13]
	s_wait_loadcnt 0x0
	ds_store_b64 v4, v[2:3]
.LBB208_5:
	s_or_b32 exec_lo, exec_lo, s9
	s_load_b128 s[12:15], s[0:1], 0x78
	s_mul_i32 s9, s3, s10
	s_xor_b32 s5, s5, s8
	s_sub_co_i32 s4, s4, s9
	s_add_co_i32 s8, s3, 1
	s_sub_co_i32 s9, s4, s10
	s_cmp_ge_u32 s4, s10
                                        ; implicit-def: $sgpr25
	s_cselect_b32 s3, s8, s3
	s_cselect_b32 s4, s9, s4
	s_wait_alu 0xfffe
	s_add_co_i32 s8, s3, 1
	s_cmp_ge_u32 s4, s10
	s_mov_b32 s9, -1
	s_cselect_b32 s4, s8, s3
	s_load_b32 s3, s[0:1], 0x88
	s_xor_b32 s4, s4, s5
	s_wait_dscnt 0x0
	s_sub_co_i32 s19, s4, s5
	s_barrier_signal -1
	s_barrier_wait -1
	s_wait_kmcnt 0x0
	s_abs_i32 s20, s15
	global_inv scope:SCOPE_SE
	s_cvt_f32_u32 s8, s20
	s_delay_alu instid0(SALU_CYCLE_3) | instskip(NEXT) | instid1(TRANS32_DEP_1)
	v_rcp_iflag_f32_e32 v2, s8
	v_readfirstlane_b32 s8, v2
	s_mul_f32 s4, s8, 0x4f7ffffe
	s_add_co_i32 s8, s34, -1
	s_delay_alu instid0(SALU_CYCLE_2) | instskip(SKIP_1) | instid1(SALU_CYCLE_2)
	s_cvt_u32_f32 s10, s4
	s_sub_co_i32 s4, 0, s20
	s_mul_i32 s5, s4, s10
	s_wait_alu 0xfffe
	s_abs_i32 s4, s8
	s_mul_hi_u32 s11, s10, s5
	s_mov_b32 s5, 0
	s_add_co_i32 s26, s10, s11
	s_cmp_lt_i32 s3, 0
	s_mov_b32 s27, s5
	s_cbranch_scc0 .LBB208_7
; %bb.6:
	s_mul_i32 s6, s12, s6
	s_mov_b32 s9, s5
	s_add_co_i32 s6, s19, s6
	s_delay_alu instid0(SALU_CYCLE_1) | instskip(NEXT) | instid1(SALU_CYCLE_1)
	s_mul_i32 s6, s6, s3
	s_sub_co_i32 s25, 1, s6
.LBB208_7:
	s_mul_u64 s[16:17], s[4:5], s[26:27]
	s_ashr_i32 s5, s8, 31
	s_wait_alu 0xfffe
	s_and_not1_b32 vcc_lo, exec_lo, s9
	s_ashr_i32 s15, s15, 31
	s_cbranch_vccnz .LBB208_9
; %bb.8:
	s_mul_i32 s6, s36, s12
	s_delay_alu instid0(SALU_CYCLE_1) | instskip(NEXT) | instid1(SALU_CYCLE_1)
	s_add_co_i32 s6, s6, ttmp9
	s_mul_i32 s3, s6, s3
	s_wait_alu 0xfffe
	s_add_co_i32 s25, s3, 1
.LBB208_9:
	s_clause 0x3
	s_load_b32 s3, s[0:1], 0x48
	s_load_b64 s[28:29], s[0:1], 0x38
	s_load_b32 s12, s[0:1], 0x98
	s_load_b128 s[8:11], s[0:1], 0x68
	s_mul_i32 s6, s17, s20
	s_xor_b32 s5, s5, s15
	s_sub_co_i32 s4, s4, s6
	s_add_co_i32 s16, s17, 1
	v_lshrrev_b32_e32 v11, 5, v0
	v_mbcnt_lo_u32_b32 v7, -1, 0
	s_mul_i32 s22, s19, s22
	s_delay_alu instid0(VALU_DEP_2)
	v_lshl_add_u32 v12, v11, 4, s37
	s_wait_kmcnt 0x0
	s_mul_i32 s30, s3, s35
	s_sub_co_i32 s3, s4, s20
	s_ashr_i32 s31, s30, 31
	s_cmp_ge_u32 s4, s20
	s_cselect_b32 s6, s16, s17
	s_wait_alu 0xfffe
	s_cselect_b32 s3, s3, s4
	s_add_co_i32 s4, s6, 1
	s_wait_alu 0xfffe
	s_cmp_ge_u32 s3, s20
	s_cselect_b32 s3, s4, s6
	s_add_co_i32 s4, s34, 15
	s_lshl_b32 s40, s33, 5
	s_ashr_i32 s6, s4, 31
	v_or_b32_e32 v13, s40, v11
	s_lshr_b32 s6, s6, 28
	v_mov_b32_e32 v9, 0xff7fffff
	s_add_co_i32 s4, s4, s6
	s_add_co_i32 s6, s40, 32
	s_ashr_i32 s38, s4, 4
	s_wait_alu 0xfffe
	s_xor_b32 s4, s3, s5
	s_min_i32 s27, s6, s38
	v_lshlrev_b32_e32 v6, 2, v13
	v_cmp_gt_i32_e64 s3, s27, v13
	s_sub_co_i32 s39, s4, s5
	s_and_saveexec_b32 s16, s3
	s_cbranch_execz .LBB208_21
; %bb.10:
	s_sub_co_i32 s17, s39, s13
	s_ashr_i32 s23, s22, 31
	s_cmp_neq_f32 s18, 0
	s_load_b64 s[42:43], s[0:1], 0x20
	v_bfe_u32 v8, v0, 1, 4
	v_lshlrev_b32_e32 v3, 1, v1
	s_cselect_b32 vcc_lo, -1, 0
	s_abs_i32 s19, s14
	v_dual_mov_b32 v17, 0xff7fffff :: v_dual_lshlrev_b32 v10, 7, v1
	s_cvt_f32_u32 s4, s19
	v_lshlrev_b32_e32 v4, 2, v8
	v_subrev_nc_u32_e32 v9, s34, v8
	s_lshl_b64 s[44:45], s[30:31], 2
	v_rcp_iflag_f32_e32 v2, s4
	v_cmp_eq_u32_e64 s4, 0, v1
	v_lshlrev_b32_e32 v1, 4, v8
	v_add_nc_u32_e32 v15, 1, v9
	v_mov_b32_e32 v9, 0xff7fffff
	v_lshl_or_b32 v16, v11, 6, v4
	s_add_nc_u64 s[44:45], s[28:29], s[44:45]
	s_sub_co_i32 s6, 0, s19
	v_lshl_add_u32 v14, v11, 4, s37
	s_wait_kmcnt 0x0
	s_add_nc_u64 s[42:43], s[42:43], s[22:23]
	v_readfirstlane_b32 s5, v2
	v_add_co_u32 v1, s23, s42, v1
	s_delay_alu instid0(VALU_DEP_1)
	v_add_co_ci_u32_e64 v2, null, s43, 0, s23
	s_mul_f32 s5, s5, 0x4f7ffffe
	v_dual_mov_b32 v19, v13 :: v_dual_add_nc_u32 v16, 0x120, v16
	v_xor_b32_e32 v18, 1, v7
	s_wait_alu 0xfffe
	s_cvt_u32_f32 s42, s5
	v_add_co_u32 v1, s5, v1, v3
	s_wait_alu 0xf1ff
	v_add_co_ci_u32_e64 v2, null, 0, v2, s5
	v_add_co_u32 v3, s5, s44, v6
	s_wait_alu 0xfffe
	s_mul_i32 s6, s6, s42
	v_add_co_ci_u32_e64 v4, null, s45, 0, s5
	s_mul_hi_u32 s5, s42, s6
	s_mov_b32 s41, 0
	s_mov_b32 s23, s21
	s_wait_alu 0xfffe
	s_add_co_i32 s42, s42, s5
	s_branch .LBB208_13
.LBB208_11:                             ;   in Loop: Header=BB208_13 Depth=1
	s_wait_alu 0xfffe
	s_or_b32 exec_lo, exec_lo, s43
.LBB208_12:                             ;   in Loop: Header=BB208_13 Depth=1
	s_wait_alu 0xfffe
	s_or_b32 exec_lo, exec_lo, s6
	v_add_nc_u32_e32 v19, 4, v19
	v_add_co_u32 v3, s6, v3, 16
	s_wait_alu 0xf1ff
	v_add_co_ci_u32_e64 v4, null, 0, v4, s6
	s_delay_alu instid0(VALU_DEP_3)
	v_cmp_le_i32_e64 s5, s27, v19
	v_add_nc_u32_e32 v14, 64, v14
	v_add_nc_u32_e32 v16, 0x100, v16
	s_or_b32 s41, s5, s41
	s_wait_alu 0xfffe
	s_and_not1_b32 exec_lo, exec_lo, s41
	s_cbranch_execz .LBB208_20
.LBB208_13:                             ; =>This Inner Loop Header: Depth=1
	v_sub_nc_u32_e32 v20, 0, v14
	s_delay_alu instid0(VALU_DEP_1) | instskip(SKIP_1) | instid1(VALU_DEP_1)
	v_max_i32_e32 v20, v14, v20
	s_wait_dscnt 0x0
	v_mul_hi_u32 v21, v20, s26
	s_delay_alu instid0(VALU_DEP_1) | instskip(NEXT) | instid1(VALU_DEP_1)
	v_mul_lo_u32 v22, v21, s20
	v_sub_nc_u32_e32 v20, v20, v22
	v_add_nc_u32_e32 v22, 1, v21
	s_delay_alu instid0(VALU_DEP_2) | instskip(SKIP_2) | instid1(VALU_DEP_1)
	v_subrev_nc_u32_e32 v23, s20, v20
	v_cmp_le_u32_e64 s5, s20, v20
	s_wait_alu 0xf1ff
	v_cndmask_b32_e64 v21, v21, v22, s5
	s_delay_alu instid0(VALU_DEP_3) | instskip(SKIP_1) | instid1(VALU_DEP_3)
	v_cndmask_b32_e64 v20, v20, v23, s5
	v_ashrrev_i32_e32 v22, 31, v14
	v_add_nc_u32_e32 v23, 1, v21
	s_delay_alu instid0(VALU_DEP_3) | instskip(NEXT) | instid1(VALU_DEP_3)
	v_cmp_le_u32_e64 s5, s20, v20
	v_xor_b32_e32 v22, s15, v22
	s_wait_alu 0xf1ff
	s_delay_alu instid0(VALU_DEP_2) | instskip(NEXT) | instid1(VALU_DEP_1)
	v_cndmask_b32_e64 v20, v21, v23, s5
	v_xor_b32_e32 v20, v20, v22
	s_delay_alu instid0(VALU_DEP_1) | instskip(NEXT) | instid1(VALU_DEP_1)
	v_sub_nc_u32_e32 v20, v20, v22
	v_add_nc_u32_e32 v21, s25, v20
	v_cmp_ge_i32_e64 s6, s17, v20
	s_delay_alu instid0(VALU_DEP_2) | instskip(NEXT) | instid1(VALU_DEP_1)
	v_sub_nc_u32_e32 v22, 0, v21
	v_max_i32_e32 v22, v21, v22
	v_ashrrev_i32_e32 v21, 31, v21
	s_wait_alu 0xfffe
	s_delay_alu instid0(VALU_DEP_2) | instskip(NEXT) | instid1(VALU_DEP_1)
	v_mul_hi_u32 v23, v22, s42
	v_mul_lo_u32 v23, v23, s19
	s_delay_alu instid0(VALU_DEP_1) | instskip(NEXT) | instid1(VALU_DEP_1)
	v_sub_nc_u32_e32 v22, v22, v23
	v_subrev_nc_u32_e32 v23, s19, v22
	v_cmp_le_u32_e64 s5, s19, v22
	s_wait_alu 0xf1ff
	s_delay_alu instid0(VALU_DEP_1) | instskip(NEXT) | instid1(VALU_DEP_1)
	v_cndmask_b32_e64 v22, v22, v23, s5
	v_subrev_nc_u32_e32 v23, s19, v22
	v_cmp_le_u32_e64 s5, s19, v22
	s_wait_alu 0xf1ff
	s_delay_alu instid0(VALU_DEP_1) | instskip(NEXT) | instid1(VALU_DEP_1)
	v_cndmask_b32_e64 v22, v22, v23, s5
	v_xor_b32_e32 v22, v22, v21
	s_delay_alu instid0(VALU_DEP_1) | instskip(NEXT) | instid1(VALU_DEP_1)
	v_sub_nc_u32_e32 v21, v22, v21
	v_cmp_ne_u32_e64 s5, 0, v21
	s_and_b32 s5, s5, s6
	s_wait_alu 0xfffe
	s_and_saveexec_b32 s6, s5
	s_wait_alu 0xfffe
	s_xor_b32 s5, exec_lo, s6
	s_cbranch_execz .LBB208_17
; %bb.14:                               ;   in Loop: Header=BB208_13 Depth=1
	s_and_saveexec_b32 s6, s4
; %bb.15:                               ;   in Loop: Header=BB208_13 Depth=1
	ds_store_b32 v16, v17
; %bb.16:                               ;   in Loop: Header=BB208_13 Depth=1
	s_wait_alu 0xfffe
	s_or_b32 exec_lo, exec_lo, s6
.LBB208_17:                             ;   in Loop: Header=BB208_13 Depth=1
	s_wait_alu 0xfffe
	s_and_not1_saveexec_b32 s6, s5
	s_cbranch_execz .LBB208_12
; %bb.18:                               ;   in Loop: Header=BB208_13 Depth=1
	global_load_b32 v20, v[3:4], off
	s_wait_loadcnt 0x0
	v_mad_co_i64_i32 v[20:21], null, v20, s23, v[1:2]
	s_clause 0xf
	global_load_u16 v36, v[20:21], off offset:4
	global_load_u16 v44, v[20:21], off
	global_load_u16 v56, v[20:21], off offset:8
	global_load_u16 v57, v[20:21], off offset:12
	;; [unrolled: 1-line block ×14, first 2 shown]
	s_load_b32 s5, s[8:9], 0x0
	ds_load_b128 v[20:23], v10
	ds_load_b128 v[24:27], v10 offset:16
	ds_load_b128 v[28:31], v10 offset:32
	;; [unrolled: 1-line block ×3, first 2 shown]
	s_wait_loadcnt 0xf
	v_cvt_pk_f32_fp8_e32 v[52:53], v36
	s_wait_loadcnt 0xe
	v_cvt_pk_f32_fp8_e32 v[54:55], v44
	ds_load_b128 v[36:39], v10 offset:64
	ds_load_b128 v[40:43], v10 offset:80
	;; [unrolled: 1-line block ×4, first 2 shown]
	s_wait_kmcnt 0x0
	v_dual_mul_f32 v70, s5, v52 :: v_dual_mul_f32 v71, s5, v53
	s_wait_loadcnt 0xd
	v_cvt_pk_f32_fp8_e32 v[52:53], v56
	v_dual_mul_f32 v55, s5, v55 :: v_dual_mul_f32 v54, s5, v54
	s_wait_dscnt 0x7
	v_mul_f32_e32 v56, v22, v70
	v_mul_f32_e32 v70, v23, v71
	s_wait_loadcnt 0xc
	v_cvt_pk_f32_fp8_e32 v[22:23], v57
	s_delay_alu instid0(VALU_DEP_3) | instskip(NEXT) | instid1(VALU_DEP_3)
	v_dual_mul_f32 v53, s5, v53 :: v_dual_fmac_f32 v56, v20, v54
	v_fmac_f32_e32 v70, v21, v55
	s_wait_loadcnt 0xb
	v_cvt_pk_f32_fp8_e32 v[20:21], v58
	v_dual_mul_f32 v54, s5, v23 :: v_dual_mul_f32 v55, s5, v22
	s_wait_loadcnt 0xa
	v_cvt_pk_f32_fp8_e32 v[22:23], v59
	v_mul_f32_e32 v52, s5, v52
	s_wait_dscnt 0x6
	v_dual_fmac_f32 v70, v25, v53 :: v_dual_mul_f32 v25, s5, v20
	s_delay_alu instid0(VALU_DEP_1) | instskip(NEXT) | instid1(VALU_DEP_3)
	v_fmac_f32_e32 v70, v27, v54
	v_dual_mul_f32 v27, s5, v22 :: v_dual_fmac_f32 v56, v24, v52
	v_mul_f32_e32 v24, s5, v21
	s_wait_loadcnt 0x9
	v_cvt_pk_f32_fp8_e32 v[20:21], v60
	s_delay_alu instid0(VALU_DEP_3)
	v_fmac_f32_e32 v56, v26, v55
	v_mul_f32_e32 v26, s5, v23
	s_wait_dscnt 0x5
	v_fmac_f32_e32 v70, v29, v24
	s_wait_loadcnt 0x8
	v_cvt_pk_f32_fp8_e32 v[22:23], v61
	v_mul_f32_e32 v24, s5, v21
	v_dual_fmac_f32 v56, v28, v25 :: v_dual_mul_f32 v25, s5, v20
	v_fmac_f32_e32 v70, v31, v26
	s_wait_loadcnt 0x7
	v_cvt_pk_f32_fp8_e32 v[20:21], v62
	v_mul_f32_e32 v26, s5, v23
	v_dual_fmac_f32 v56, v30, v27 :: v_dual_mul_f32 v27, s5, v22
	s_wait_dscnt 0x4
	v_fmac_f32_e32 v70, v33, v24
	s_wait_loadcnt 0x6
	v_cvt_pk_f32_fp8_e32 v[22:23], v63
	v_mul_f32_e32 v24, s5, v21
	v_dual_fmac_f32 v56, v32, v25 :: v_dual_mul_f32 v25, s5, v20
	v_fmac_f32_e32 v70, v35, v26
	s_wait_loadcnt 0x5
	v_cvt_pk_f32_fp8_e32 v[20:21], v64
	v_mul_f32_e32 v26, s5, v23
	v_dual_fmac_f32 v56, v34, v27 :: v_dual_mul_f32 v27, s5, v22
	s_wait_dscnt 0x3
	v_fmac_f32_e32 v70, v37, v24
	s_wait_loadcnt 0x4
	v_cvt_pk_f32_fp8_e32 v[22:23], v65
	v_mul_f32_e32 v24, s5, v21
	v_dual_fmac_f32 v56, v36, v25 :: v_dual_mul_f32 v25, s5, v20
	v_fmac_f32_e32 v70, v39, v26
	s_wait_loadcnt 0x3
	v_cvt_pk_f32_fp8_e32 v[20:21], v66
	v_mul_f32_e32 v26, s5, v23
	v_dual_fmac_f32 v56, v38, v27 :: v_dual_mul_f32 v27, s5, v22
	s_wait_dscnt 0x2
	v_fmac_f32_e32 v70, v41, v24
	s_wait_loadcnt 0x2
	v_cvt_pk_f32_fp8_e32 v[22:23], v67
	v_mul_f32_e32 v24, s5, v21
	v_dual_fmac_f32 v56, v40, v25 :: v_dual_mul_f32 v25, s5, v20
	v_fmac_f32_e32 v70, v43, v26
	s_wait_loadcnt 0x1
	v_cvt_pk_f32_fp8_e32 v[20:21], v68
	v_mul_f32_e32 v26, s5, v23
	v_dual_fmac_f32 v56, v42, v27 :: v_dual_mul_f32 v27, s5, v22
	s_wait_dscnt 0x1
	v_fmac_f32_e32 v70, v45, v24
	s_wait_loadcnt 0x0
	v_cvt_pk_f32_fp8_e32 v[22:23], v69
	v_mul_f32_e32 v21, s5, v21
	v_fmac_f32_e32 v56, v44, v25
	v_mul_f32_e32 v20, s5, v20
	s_delay_alu instid0(VALU_DEP_4) | instskip(SKIP_1) | instid1(VALU_DEP_4)
	v_dual_fmac_f32 v70, v47, v26 :: v_dual_mul_f32 v23, s5, v23
	v_mul_f32_e32 v22, s5, v22
	v_fmac_f32_e32 v56, v46, v27
	v_cmp_gt_i32_e64 s5, 32, v18
	s_wait_dscnt 0x0
	v_fmac_f32_e32 v70, v49, v21
	s_delay_alu instid0(VALU_DEP_3) | instskip(SKIP_2) | instid1(VALU_DEP_3)
	v_fmac_f32_e32 v56, v48, v20
	s_wait_alu 0xf1ff
	v_cndmask_b32_e64 v20, v7, v18, s5
	v_fmac_f32_e32 v70, v51, v23
	s_delay_alu instid0(VALU_DEP_2) | instskip(NEXT) | instid1(VALU_DEP_1)
	v_dual_fmac_f32 v56, v50, v22 :: v_dual_lshlrev_b32 v21, 2, v20
	v_add_f32_e32 v20, v56, v70
	ds_bpermute_b32 v21, v21, v20
	s_and_saveexec_b32 s43, s4
	s_cbranch_execz .LBB208_11
; %bb.19:                               ;   in Loop: Header=BB208_13 Depth=1
	s_wait_dscnt 0x0
	v_add_f32_e32 v20, v20, v21
	v_add_nc_u32_e32 v22, v15, v14
	s_delay_alu instid0(VALU_DEP_1) | instskip(NEXT) | instid1(VALU_DEP_1)
	v_cvt_f32_i32_e32 v22, v22
	v_mul_f32_e32 v22, s18, v22
	s_delay_alu instid0(VALU_DEP_1) | instskip(NEXT) | instid1(VALU_DEP_1)
	v_dual_cndmask_b32 v21, 0, v22 :: v_dual_max_num_f32 v22, v9, v9
	v_dual_fmac_f32 v21, s7, v20 :: v_dual_add_nc_u32 v20, v8, v14
	s_delay_alu instid0(VALU_DEP_1) | instskip(NEXT) | instid1(VALU_DEP_2)
	v_max_num_f32_e32 v22, v22, v21
	v_cmp_gt_i32_e64 s5, s34, v20
	s_wait_alu 0xf1ff
	s_delay_alu instid0(VALU_DEP_1) | instskip(NEXT) | instid1(VALU_DEP_3)
	v_cndmask_b32_e64 v20, 0, v21, s5
	v_cndmask_b32_e64 v9, v9, v22, s5
	ds_store_b32 v16, v20
	s_branch .LBB208_11
.LBB208_20:
	s_or_b32 exec_lo, exec_lo, s41
.LBB208_21:
	s_delay_alu instid0(SALU_CYCLE_1)
	s_or_b32 exec_lo, exec_lo, s16
	v_xor_b32_e32 v1, 16, v7
	v_xor_b32_e32 v3, 8, v7
	;; [unrolled: 1-line block ×3, first 2 shown]
	s_clause 0x2
	s_load_b128 s[16:19], s[0:1], 0x0
	s_load_b64 s[6:7], s[0:1], 0x10
	s_load_b64 s[8:9], s[0:1], 0x28
	v_and_b32_e32 v14, 31, v0
	v_cmp_gt_i32_e32 vcc_lo, 32, v1
	s_wait_alu 0xfffd
	v_cndmask_b32_e32 v1, v7, v1, vcc_lo
	v_cmp_gt_i32_e32 vcc_lo, 32, v3
	s_wait_alu 0xfffd
	s_delay_alu instid0(VALU_DEP_2)
	v_dual_cndmask_b32 v3, v7, v3 :: v_dual_lshlrev_b32 v2, 2, v1
	v_max_num_f32_e32 v4, v9, v9
	v_cmp_gt_i32_e32 vcc_lo, 32, v8
	ds_bpermute_b32 v1, v2, v9
	v_lshlrev_b32_e32 v3, 2, v3
	v_xor_b32_e32 v9, 2, v7
	s_wait_alu 0xfffd
	v_cndmask_b32_e32 v8, v7, v8, vcc_lo
	s_delay_alu instid0(VALU_DEP_2) | instskip(SKIP_1) | instid1(VALU_DEP_2)
	v_cmp_gt_i32_e32 vcc_lo, 32, v9
	s_wait_alu 0xfffd
	v_dual_cndmask_b32 v9, v7, v9 :: v_dual_lshlrev_b32 v8, 2, v8
	v_cmp_eq_u32_e32 vcc_lo, 0, v14
	s_delay_alu instid0(VALU_DEP_2) | instskip(SKIP_3) | instid1(VALU_DEP_1)
	v_lshlrev_b32_e32 v15, 2, v9
	v_lshlrev_b32_e32 v9, 2, v11
	s_wait_dscnt 0x0
	v_max_num_f32_e32 v1, v1, v1
	v_max_num_f32_e32 v1, v4, v1
	ds_bpermute_b32 v4, v3, v1
	s_wait_dscnt 0x0
	v_max_num_f32_e32 v4, v4, v4
	s_delay_alu instid0(VALU_DEP_1) | instskip(SKIP_3) | instid1(VALU_DEP_1)
	v_max_num_f32_e32 v1, v1, v4
	ds_bpermute_b32 v4, v8, v1
	s_wait_dscnt 0x0
	v_max_num_f32_e32 v4, v4, v4
	v_max_num_f32_e32 v1, v1, v4
	ds_bpermute_b32 v4, v15, v1
	s_and_saveexec_b32 s0, vcc_lo
	s_cbranch_execz .LBB208_23
; %bb.22:
	s_wait_dscnt 0x0
	v_dual_max_num_f32 v4, v4, v4 :: v_dual_max_num_f32 v1, v1, v1
	s_delay_alu instid0(VALU_DEP_1)
	v_max_num_f32_e32 v1, v1, v4
	ds_store_b32 v9, v1 offset:256
.LBB208_23:
	s_or_b32 exec_lo, exec_lo, s0
	v_cmp_gt_u32_e64 s0, 4, v14
	v_dual_mov_b32 v1, 0xff7fffff :: v_dual_lshlrev_b32 v10, 2, v14
	s_wait_loadcnt_dscnt 0x0
	s_barrier_signal -1
	s_barrier_wait -1
	global_inv scope:SCOPE_SE
	s_and_saveexec_b32 s1, s0
; %bb.24:
	ds_load_b32 v1, v10 offset:256
; %bb.25:
	s_or_b32 exec_lo, exec_lo, s1
	s_wait_dscnt 0x0
	ds_bpermute_b32 v4, v15, v1
	v_xor_b32_e32 v16, 1, v7
	v_max_num_f32_e32 v1, v1, v1
	s_delay_alu instid0(VALU_DEP_2) | instskip(NEXT) | instid1(VALU_DEP_1)
	v_cmp_gt_i32_e64 s1, 32, v16
	v_cndmask_b32_e64 v7, v7, v16, s1
	s_sub_co_i32 s1, s27, s40
	s_wait_alu 0xfffe
	s_lshl_b32 s1, s1, 4
	s_wait_alu 0xfffe
	s_add_co_i32 s1, s1, s37
	s_wait_alu 0xfffe
	s_min_i32 s1, s1, s34
	s_wait_alu 0xfffe
	s_sub_co_i32 s5, s1, s37
	s_wait_dscnt 0x0
	v_max_num_f32_e32 v4, v4, v4
	v_lshlrev_b32_e32 v16, 2, v7
	s_wait_alu 0xfffe
	v_cmp_gt_i32_e64 s1, s5, v0
	v_mov_b32_e32 v7, 0
	v_max_num_f32_e32 v1, v1, v4
	ds_bpermute_b32 v4, v16, v1
	s_wait_dscnt 0x0
	v_max_num_f32_e32 v4, v4, v4
	s_delay_alu instid0(VALU_DEP_1)
	v_max_num_f32_e32 v1, v1, v4
	v_lshl_add_u32 v4, v0, 2, 0x120
	ds_bpermute_b32 v1, v7, v1
	s_and_saveexec_b32 s23, s1
	s_cbranch_execz .LBB208_29
; %bb.26:
	v_lshl_add_u32 v17, v0, 2, 0x120
	v_dual_mov_b32 v7, 0 :: v_dual_mov_b32 v18, v0
	s_mov_b32 s37, 0
.LBB208_27:                             ; =>This Inner Loop Header: Depth=1
	ds_load_b32 v19, v17
	v_add_nc_u32_e32 v18, 0x80, v18
	s_delay_alu instid0(VALU_DEP_1) | instskip(SKIP_4) | instid1(VALU_DEP_1)
	v_cmp_le_i32_e64 s4, s5, v18
	s_wait_alu 0xfffe
	s_or_b32 s37, s4, s37
	s_wait_dscnt 0x0
	v_sub_f32_e32 v19, v19, v1
	v_mul_f32_e32 v19, 0x3fb8aa3b, v19
	s_delay_alu instid0(VALU_DEP_1)
	v_exp_f32_e32 v19, v19
	ds_store_b32 v17, v19
	v_add_f32_e32 v7, v7, v19
	v_add_nc_u32_e32 v17, 0x200, v17
	s_wait_alu 0xfffe
	s_and_not1_b32 exec_lo, exec_lo, s37
	s_cbranch_execnz .LBB208_27
; %bb.28:
	s_or_b32 exec_lo, exec_lo, s37
.LBB208_29:
	s_wait_alu 0xfffe
	s_or_b32 exec_lo, exec_lo, s23
	ds_bpermute_b32 v2, v2, v7
	s_wait_dscnt 0x0
	v_add_f32_e32 v2, v7, v2
	ds_bpermute_b32 v3, v3, v2
	s_wait_dscnt 0x0
	v_add_f32_e32 v2, v2, v3
	;; [unrolled: 3-line block ×5, first 2 shown]
	s_and_saveexec_b32 s4, vcc_lo
; %bb.30:
	ds_store_b32 v9, v2 offset:272
; %bb.31:
	s_wait_alu 0xfffe
	s_or_b32 exec_lo, exec_lo, s4
	s_wait_loadcnt_dscnt 0x0
	s_barrier_signal -1
	s_barrier_wait -1
	global_inv scope:SCOPE_SE
	s_and_saveexec_b32 s4, s0
; %bb.32:
	ds_load_b32 v2, v10 offset:272
; %bb.33:
	s_wait_alu 0xfffe
	s_or_b32 exec_lo, exec_lo, s4
	s_wait_dscnt 0x0
	ds_bpermute_b32 v3, v15, v2
	s_wait_dscnt 0x0
	v_add_f32_e32 v2, v2, v3
	ds_bpermute_b32 v3, v16, v2
	s_wait_dscnt 0x0
	v_dual_add_f32 v2, v2, v3 :: v_dual_mov_b32 v3, 0
	ds_bpermute_b32 v2, v3, v2
	s_and_saveexec_b32 s0, s1
	s_cbranch_execz .LBB208_36
; %bb.34:
	s_wait_dscnt 0x0
	v_add_f32_e32 v3, 0x358637bd, v2
	s_mov_b32 s1, 0
	s_delay_alu instid0(VALU_DEP_1) | instskip(NEXT) | instid1(VALU_DEP_1)
	v_div_scale_f32 v7, null, v3, v3, 1.0
	v_rcp_f32_e32 v8, v7
	s_delay_alu instid0(TRANS32_DEP_1) | instskip(NEXT) | instid1(VALU_DEP_1)
	v_fma_f32 v9, -v7, v8, 1.0
	v_fmac_f32_e32 v8, v9, v8
	v_div_scale_f32 v10, vcc_lo, 1.0, v3, 1.0
	s_delay_alu instid0(VALU_DEP_1) | instskip(NEXT) | instid1(VALU_DEP_1)
	v_mul_f32_e32 v9, v10, v8
	v_fma_f32 v17, -v7, v9, v10
	s_delay_alu instid0(VALU_DEP_1) | instskip(NEXT) | instid1(VALU_DEP_1)
	v_fmac_f32_e32 v9, v17, v8
	v_fma_f32 v7, -v7, v9, v10
	s_wait_alu 0xfffd
	s_delay_alu instid0(VALU_DEP_1) | instskip(NEXT) | instid1(VALU_DEP_1)
	v_div_fmas_f32 v7, v7, v8, v9
	v_div_fixup_f32 v3, v7, v3, 1.0
	v_mov_b32_e32 v7, v0
.LBB208_35:                             ; =>This Inner Loop Header: Depth=1
	ds_load_b32 v8, v4
	s_wait_dscnt 0x0
	v_dual_mul_f32 v8, v3, v8 :: v_dual_add_nc_u32 v7, 0x80, v7
	s_delay_alu instid0(VALU_DEP_1)
	v_cmp_le_i32_e32 vcc_lo, s5, v7
	ds_store_b32 v4, v8
	v_add_nc_u32_e32 v4, 0x200, v4
	s_wait_alu 0xfffe
	s_or_b32 s1, vcc_lo, s1
	s_wait_alu 0xfffe
	s_and_not1_b32 exec_lo, exec_lo, s1
	s_cbranch_execnz .LBB208_35
.LBB208_36:
	s_wait_alu 0xfffe
	s_or_b32 exec_lo, exec_lo, s0
	s_mul_i32 s0, s12, s35
	s_wait_loadcnt_dscnt 0x0
	s_wait_alu 0xfffe
	s_mul_i32 s4, s0, s36
	s_mov_b32 s0, exec_lo
	s_barrier_signal -1
	s_barrier_wait -1
	global_inv scope:SCOPE_SE
	v_cmpx_eq_u32_e32 0, v0
	s_cbranch_execz .LBB208_38
; %bb.37:
	s_wait_alu 0xfffe
	s_ashr_i32 s5, s4, 31
	s_mul_i32 s36, s12, ttmp9
	s_lshl_b32 s1, s33, 2
	s_wait_alu 0xfffe
	s_lshl_b64 s[40:41], s[4:5], 2
	s_ashr_i32 s37, s36, 31
	v_mov_b32_e32 v3, s1
	s_wait_kmcnt 0x0
	s_wait_alu 0xfffe
	s_add_nc_u64 s[18:19], s[18:19], s[40:41]
	s_lshl_b64 s[36:37], s[36:37], 2
	s_add_nc_u64 s[16:17], s[16:17], s[40:41]
	s_wait_alu 0xfffe
	s_add_nc_u64 s[18:19], s[18:19], s[36:37]
	s_add_nc_u64 s[16:17], s[16:17], s[36:37]
	s_clause 0x1
	global_store_b32 v3, v1, s[18:19]
	global_store_b32 v3, v2, s[16:17]
.LBB208_38:
	s_wait_alu 0xfffe
	s_or_b32 exec_lo, exec_lo, s0
	v_dual_mov_b32 v24, 0 :: v_dual_and_b32 v17, 3, v0
	v_dual_mov_b32 v25, 0 :: v_dual_mov_b32 v22, 0
	v_dual_mov_b32 v23, 0 :: v_dual_mov_b32 v20, 0
	;; [unrolled: 1-line block ×3, first 2 shown]
	v_mov_b32_e32 v19, 0
	s_and_saveexec_b32 s1, s3
	s_cbranch_execz .LBB208_60
; %bb.39:
	s_abs_i32 s3, s14
	v_dual_mov_b32 v18, 0 :: v_dual_lshlrev_b32 v3, 4, v17
	s_wait_alu 0xfffe
	s_cvt_f32_u32 s0, s3
	v_dual_mov_b32 v21, 0 :: v_dual_and_b32 v2, 0x7c, v5
	s_ashr_i32 s23, s22, 31
	s_wait_alu 0xfffe
	v_rcp_iflag_f32_e32 v1, s0
	s_wait_kmcnt 0x0
	s_lshl_b64 s[16:17], s[30:31], 2
	s_add_nc_u64 s[8:9], s[8:9], s[22:23]
	s_wait_alu 0xfffe
	s_add_nc_u64 s[16:17], s[28:29], s[16:17]
	s_sub_co_i32 s14, 0, s3
	v_dual_mov_b32 v19, 0 :: v_dual_and_b32 v26, 12, v5
	s_wait_alu 0xfffe
	v_add_co_u32 v5, s16, s16, v6
	v_add_co_u32 v7, s8, s8, v2
	v_readfirstlane_b32 s0, v1
	v_lshl_or_b32 v1, v11, 6, v3
	s_wait_alu 0xf1ff
	v_add_co_ci_u32_e64 v6, null, s17, 0, s16
	v_add_co_ci_u32_e64 v8, null, s9, 0, s8
	s_mul_f32 s0, s0, 0x4f7ffffe
	v_dual_mov_b32 v20, 0 :: v_dual_add_nc_u32 v27, 0x120, v1
	v_dual_mov_b32 v22, 0 :: v_dual_mov_b32 v23, 0
	s_wait_alu 0xfffe
	s_cvt_u32_f32 s0, s0
	v_dual_mov_b32 v25, 0 :: v_dual_mov_b32 v24, 0
	s_sub_co_i32 s5, s39, s13
	s_wait_alu 0xfffe
	s_mul_i32 s14, s14, s0
	s_mov_b32 s13, s21
	s_wait_alu 0xfffe
	s_mul_hi_u32 s9, s0, s14
	s_add_co_i32 s38, s38, -1
	s_mov_b32 s8, 0
	s_wait_alu 0xfffe
	s_add_co_i32 s9, s0, s9
	s_branch .LBB208_42
.LBB208_40:                             ;   in Loop: Header=BB208_42 Depth=1
	s_wait_alu 0xfffe
	s_or_b32 exec_lo, exec_lo, s0
	s_wait_dscnt 0x0
	v_mul_f32_e32 v40, v1, v51
	v_mul_f32_e32 v37, v1, v61
	;; [unrolled: 1-line block ×3, first 2 shown]
	s_delay_alu instid0(VALU_DEP_3) | instskip(NEXT) | instid1(VALU_DEP_3)
	v_dual_fmac_f32 v40, v2, v50 :: v_dual_mul_f32 v39, v1, v56
	v_fmac_f32_e32 v37, v2, v60
	s_delay_alu instid0(VALU_DEP_3) | instskip(NEXT) | instid1(VALU_DEP_3)
	v_dual_fmac_f32 v44, v2, v42 :: v_dual_mul_f32 v35, v1, v35
	v_dual_fmac_f32 v40, v3, v49 :: v_dual_fmac_f32 v39, v2, v54
	s_delay_alu instid0(VALU_DEP_2) | instskip(SKIP_2) | instid1(VALU_DEP_4)
	v_dual_mul_f32 v41, v1, v47 :: v_dual_fmac_f32 v44, v3, v38
	v_mul_f32_e32 v31, v1, v31
	v_mul_f32_e32 v1, v1, v59
	v_dual_fmac_f32 v39, v3, v53 :: v_dual_fmac_f32 v40, v4, v48
	s_delay_alu instid0(VALU_DEP_4) | instskip(NEXT) | instid1(VALU_DEP_4)
	v_dual_fmac_f32 v35, v2, v34 :: v_dual_fmac_f32 v44, v4, v36
	v_fmac_f32_e32 v31, v2, v30
	s_delay_alu instid0(VALU_DEP_4) | instskip(NEXT) | instid1(VALU_DEP_4)
	v_fmac_f32_e32 v1, v2, v58
	v_add_f32_e32 v21, v21, v40
	s_delay_alu instid0(VALU_DEP_4) | instskip(SKIP_3) | instid1(VALU_DEP_4)
	v_fmac_f32_e32 v35, v3, v33
	v_add_f32_e32 v23, v23, v44
	v_fmac_f32_e32 v31, v3, v29
	v_fmac_f32_e32 v1, v3, v10
	v_fmac_f32_e32 v35, v4, v32
	s_delay_alu instid0(VALU_DEP_3) | instskip(SKIP_1) | instid1(VALU_DEP_4)
	v_fmac_f32_e32 v31, v4, v28
	v_fmac_f32_e32 v41, v2, v46
	;; [unrolled: 1-line block ×4, first 2 shown]
	v_add_f32_e32 v25, v25, v35
	s_delay_alu instid0(VALU_DEP_4) | instskip(NEXT) | instid1(VALU_DEP_4)
	v_dual_add_f32 v24, v24, v31 :: v_dual_fmac_f32 v41, v3, v45
	v_add_f32_e32 v18, v18, v1
	s_delay_alu instid0(VALU_DEP_4) | instskip(NEXT) | instid1(VALU_DEP_3)
	v_dual_fmac_f32 v37, v3, v57 :: v_dual_add_f32 v20, v20, v39
	v_fmac_f32_e32 v41, v4, v43
	s_delay_alu instid0(VALU_DEP_1) | instskip(NEXT) | instid1(VALU_DEP_1)
	v_dual_fmac_f32 v37, v4, v55 :: v_dual_add_f32 v22, v22, v41
	v_add_f32_e32 v19, v19, v37
.LBB208_41:                             ;   in Loop: Header=BB208_42 Depth=1
	s_wait_alu 0xfffe
	s_or_b32 exec_lo, exec_lo, s14
	v_add_nc_u32_e32 v13, 4, v13
	v_add_co_u32 v5, s0, v5, 16
	s_wait_alu 0xf1ff
	v_add_co_ci_u32_e64 v6, null, 0, v6, s0
	s_delay_alu instid0(VALU_DEP_3)
	v_cmp_le_i32_e32 vcc_lo, s27, v13
	v_add_nc_u32_e32 v12, 64, v12
	v_add_nc_u32_e32 v27, 0x100, v27
	s_or_b32 s8, vcc_lo, s8
	s_wait_alu 0xfffe
	s_and_not1_b32 exec_lo, exec_lo, s8
	s_cbranch_execz .LBB208_59
.LBB208_42:                             ; =>This Inner Loop Header: Depth=1
	v_sub_nc_u32_e32 v1, 0, v12
	s_delay_alu instid0(VALU_DEP_1) | instskip(NEXT) | instid1(VALU_DEP_1)
	v_max_i32_e32 v1, v12, v1
	v_mul_hi_u32 v2, v1, s26
	s_delay_alu instid0(VALU_DEP_1) | instskip(NEXT) | instid1(VALU_DEP_1)
	v_mul_lo_u32 v3, v2, s20
	v_sub_nc_u32_e32 v1, v1, v3
	v_add_nc_u32_e32 v3, 1, v2
	s_delay_alu instid0(VALU_DEP_2) | instskip(SKIP_2) | instid1(VALU_DEP_2)
	v_subrev_nc_u32_e32 v4, s20, v1
	v_cmp_le_u32_e32 vcc_lo, s20, v1
	s_wait_alu 0xfffd
	v_dual_cndmask_b32 v2, v2, v3 :: v_dual_cndmask_b32 v1, v1, v4
	v_ashrrev_i32_e32 v3, 31, v12
	s_delay_alu instid0(VALU_DEP_2) | instskip(NEXT) | instid1(VALU_DEP_3)
	v_add_nc_u32_e32 v4, 1, v2
	v_cmp_le_u32_e32 vcc_lo, s20, v1
	s_delay_alu instid0(VALU_DEP_3) | instskip(SKIP_1) | instid1(VALU_DEP_3)
	v_xor_b32_e32 v3, s15, v3
	s_wait_alu 0xfffd
	v_cndmask_b32_e32 v1, v2, v4, vcc_lo
	s_delay_alu instid0(VALU_DEP_1) | instskip(NEXT) | instid1(VALU_DEP_1)
	v_xor_b32_e32 v1, v1, v3
	v_sub_nc_u32_e32 v1, v1, v3
	s_delay_alu instid0(VALU_DEP_1) | instskip(SKIP_1) | instid1(VALU_DEP_2)
	v_add_nc_u32_e32 v2, s25, v1
	v_cmp_lt_i32_e64 s0, s5, v1
	v_sub_nc_u32_e32 v3, 0, v2
	s_delay_alu instid0(VALU_DEP_1) | instskip(SKIP_1) | instid1(VALU_DEP_1)
	v_max_i32_e32 v3, v2, v3
	s_wait_alu 0xfffe
	v_mul_hi_u32 v4, v3, s9
	s_delay_alu instid0(VALU_DEP_1) | instskip(NEXT) | instid1(VALU_DEP_1)
	v_mul_lo_u32 v4, v4, s3
	v_sub_nc_u32_e32 v3, v3, v4
	s_delay_alu instid0(VALU_DEP_1) | instskip(SKIP_2) | instid1(VALU_DEP_2)
	v_subrev_nc_u32_e32 v4, s3, v3
	v_cmp_le_u32_e32 vcc_lo, s3, v3
	s_wait_alu 0xfffd
	v_cndmask_b32_e32 v3, v3, v4, vcc_lo
	v_ashrrev_i32_e32 v2, 31, v2
	s_delay_alu instid0(VALU_DEP_2) | instskip(SKIP_2) | instid1(VALU_DEP_2)
	v_subrev_nc_u32_e32 v4, s3, v3
	v_cmp_le_u32_e32 vcc_lo, s3, v3
	s_wait_alu 0xfffd
	v_cndmask_b32_e32 v3, v3, v4, vcc_lo
	s_delay_alu instid0(VALU_DEP_1) | instskip(NEXT) | instid1(VALU_DEP_1)
	v_xor_b32_e32 v3, v3, v2
	v_sub_nc_u32_e32 v2, v3, v2
	s_delay_alu instid0(VALU_DEP_1)
	v_cmp_eq_u32_e32 vcc_lo, 0, v2
	s_or_b32 s0, vcc_lo, s0
	s_wait_alu 0xfffe
	s_and_saveexec_b32 s14, s0
	s_cbranch_execz .LBB208_41
; %bb.43:                               ;   in Loop: Header=BB208_42 Depth=1
	global_load_b32 v1, v[5:6], off
	s_load_b32 s16, s[10:11], 0x0
	v_cmp_eq_u32_e32 vcc_lo, s38, v13
	s_wait_loadcnt 0x0
	v_mad_co_i64_i32 v[9:10], null, v1, s13, v[7:8]
	ds_load_b128 v[1:4], v27
	global_load_b32 v28, v[9:10], off
	s_wait_loadcnt 0x0
	v_lshrrev_b32_e32 v30, 16, v28
	s_delay_alu instid0(VALU_DEP_1) | instskip(SKIP_1) | instid1(VALU_DEP_1)
	v_cvt_pk_f32_fp8_e32 v[32:33], v30
	v_and_b32_e32 v29, 0xffff, v28
	v_cvt_pk_f32_fp8_e32 v[28:29], v29
	s_wait_kmcnt 0x0
	s_delay_alu instid0(VALU_DEP_1) | instskip(NEXT) | instid1(VALU_DEP_1)
	v_dual_mul_f32 v30, s16, v29 :: v_dual_add_nc_u32 v37, v26, v12
	v_dual_mul_f32 v31, s16, v28 :: v_dual_add_nc_u32 v40, 1, v37
	v_add_nc_u32_e32 v39, 2, v37
	v_dual_mul_f32 v29, s16, v32 :: v_dual_mul_f32 v28, s16, v33
	v_add_nc_u32_e32 v41, 3, v37
	s_and_saveexec_b32 s17, vcc_lo
	s_cbranch_execz .LBB208_45
; %bb.44:                               ;   in Loop: Header=BB208_42 Depth=1
	v_cmp_gt_i32_e64 s0, s34, v37
	s_wait_alu 0xf1ff
	s_delay_alu instid0(VALU_DEP_1) | instskip(SKIP_2) | instid1(VALU_DEP_1)
	v_cndmask_b32_e64 v31, 0, v31, s0
	v_cmp_gt_i32_e64 s0, s34, v40
	s_wait_alu 0xf1ff
	v_cndmask_b32_e64 v30, 0, v30, s0
	v_cmp_gt_i32_e64 s0, s34, v39
	s_wait_alu 0xf1ff
	s_delay_alu instid0(VALU_DEP_1) | instskip(SKIP_2) | instid1(VALU_DEP_1)
	v_cndmask_b32_e64 v29, 0, v29, s0
	v_cmp_gt_i32_e64 s0, s34, v41
	s_wait_alu 0xf1ff
	v_cndmask_b32_e64 v28, 0, v28, s0
.LBB208_45:                             ;   in Loop: Header=BB208_42 Depth=1
	s_wait_alu 0xfffe
	s_or_b32 exec_lo, exec_lo, s17
	global_load_b32 v32, v[9:10], off offset:128
	s_mov_b32 s17, s16
	s_wait_loadcnt 0x0
	v_lshrrev_b32_e32 v34, 16, v32
	s_delay_alu instid0(VALU_DEP_1) | instskip(SKIP_1) | instid1(VALU_DEP_1)
	v_cvt_pk_f32_fp8_e32 v[42:43], v34
	v_and_b32_e32 v33, 0xffff, v32
	v_cvt_pk_f32_fp8_e32 v[32:33], v33
	s_wait_alu 0xfffe
	s_delay_alu instid0(VALU_DEP_1)
	v_dual_mul_f32 v35, s16, v32 :: v_dual_mul_f32 v34, s17, v33
	v_dual_mul_f32 v33, s16, v42 :: v_dual_mul_f32 v32, s17, v43
	s_and_saveexec_b32 s18, vcc_lo
	s_cbranch_execz .LBB208_47
; %bb.46:                               ;   in Loop: Header=BB208_42 Depth=1
	v_cmp_gt_i32_e64 s0, s34, v37
	s_wait_alu 0xf1ff
	s_delay_alu instid0(VALU_DEP_1) | instskip(SKIP_2) | instid1(VALU_DEP_1)
	v_cndmask_b32_e64 v35, 0, v35, s0
	v_cmp_gt_i32_e64 s0, s34, v40
	s_wait_alu 0xf1ff
	v_cndmask_b32_e64 v34, 0, v34, s0
	v_cmp_gt_i32_e64 s0, s34, v39
	s_wait_alu 0xf1ff
	s_delay_alu instid0(VALU_DEP_1) | instskip(SKIP_2) | instid1(VALU_DEP_1)
	v_cndmask_b32_e64 v33, 0, v33, s0
	v_cmp_gt_i32_e64 s0, s34, v41
	s_wait_alu 0xf1ff
	v_cndmask_b32_e64 v32, 0, v32, s0
.LBB208_47:                             ;   in Loop: Header=BB208_42 Depth=1
	s_wait_alu 0xfffe
	s_or_b32 exec_lo, exec_lo, s18
	global_load_b32 v36, v[9:10], off offset:256
	s_wait_loadcnt 0x0
	v_and_b32_e32 v38, 0xffff, v36
	v_lshrrev_b32_e32 v36, 16, v36
	s_delay_alu instid0(VALU_DEP_2) | instskip(NEXT) | instid1(VALU_DEP_2)
	v_cvt_pk_f32_fp8_e32 v[42:43], v38
	v_cvt_pk_f32_fp8_e32 v[45:46], v36
	s_delay_alu instid0(VALU_DEP_2) | instskip(NEXT) | instid1(VALU_DEP_3)
	v_mul_f32_e32 v44, s16, v42
	v_mul_f32_e32 v42, s17, v43
	s_delay_alu instid0(VALU_DEP_3) | instskip(NEXT) | instid1(VALU_DEP_4)
	v_mul_f32_e32 v38, s16, v45
	v_mul_f32_e32 v36, s17, v46
	s_and_saveexec_b32 s18, vcc_lo
	s_cbranch_execz .LBB208_49
; %bb.48:                               ;   in Loop: Header=BB208_42 Depth=1
	v_cmp_gt_i32_e64 s0, s34, v37
	s_wait_alu 0xf1ff
	s_delay_alu instid0(VALU_DEP_1) | instskip(SKIP_2) | instid1(VALU_DEP_1)
	v_cndmask_b32_e64 v44, 0, v44, s0
	v_cmp_gt_i32_e64 s0, s34, v40
	s_wait_alu 0xf1ff
	v_cndmask_b32_e64 v42, 0, v42, s0
	v_cmp_gt_i32_e64 s0, s34, v39
	s_wait_alu 0xf1ff
	s_delay_alu instid0(VALU_DEP_1) | instskip(SKIP_2) | instid1(VALU_DEP_1)
	v_cndmask_b32_e64 v38, 0, v38, s0
	v_cmp_gt_i32_e64 s0, s34, v41
	s_wait_alu 0xf1ff
	v_cndmask_b32_e64 v36, 0, v36, s0
.LBB208_49:                             ;   in Loop: Header=BB208_42 Depth=1
	s_wait_alu 0xfffe
	s_or_b32 exec_lo, exec_lo, s18
	global_load_b32 v43, v[9:10], off offset:384
	s_wait_loadcnt 0x0
	v_and_b32_e32 v45, 0xffff, v43
	v_lshrrev_b32_e32 v43, 16, v43
	s_delay_alu instid0(VALU_DEP_2) | instskip(NEXT) | instid1(VALU_DEP_2)
	v_cvt_pk_f32_fp8_e32 v[45:46], v45
	v_cvt_pk_f32_fp8_e32 v[48:49], v43
	s_delay_alu instid0(VALU_DEP_2) | instskip(NEXT) | instid1(VALU_DEP_2)
	v_dual_mul_f32 v47, s16, v45 :: v_dual_mul_f32 v46, s17, v46
	v_mul_f32_e32 v45, s16, v48
	s_delay_alu instid0(VALU_DEP_3)
	v_mul_f32_e32 v43, s17, v49
	s_and_saveexec_b32 s18, vcc_lo
	s_cbranch_execz .LBB208_51
; %bb.50:                               ;   in Loop: Header=BB208_42 Depth=1
	v_cmp_gt_i32_e64 s0, s34, v37
	s_wait_alu 0xf1ff
	s_delay_alu instid0(VALU_DEP_1) | instskip(SKIP_2) | instid1(VALU_DEP_1)
	v_cndmask_b32_e64 v47, 0, v47, s0
	v_cmp_gt_i32_e64 s0, s34, v40
	s_wait_alu 0xf1ff
	v_cndmask_b32_e64 v46, 0, v46, s0
	v_cmp_gt_i32_e64 s0, s34, v39
	s_wait_alu 0xf1ff
	s_delay_alu instid0(VALU_DEP_1) | instskip(SKIP_2) | instid1(VALU_DEP_1)
	v_cndmask_b32_e64 v45, 0, v45, s0
	v_cmp_gt_i32_e64 s0, s34, v41
	s_wait_alu 0xf1ff
	v_cndmask_b32_e64 v43, 0, v43, s0
.LBB208_51:                             ;   in Loop: Header=BB208_42 Depth=1
	s_wait_alu 0xfffe
	s_or_b32 exec_lo, exec_lo, s18
	global_load_b32 v48, v[9:10], off offset:512
	s_wait_loadcnt 0x0
	v_lshrrev_b32_e32 v50, 16, v48
	s_delay_alu instid0(VALU_DEP_1) | instskip(SKIP_1) | instid1(VALU_DEP_1)
	v_cvt_pk_f32_fp8_e32 v[52:53], v50
	v_and_b32_e32 v49, 0xffff, v48
	v_cvt_pk_f32_fp8_e32 v[48:49], v49
	s_delay_alu instid0(VALU_DEP_1) | instskip(NEXT) | instid1(VALU_DEP_4)
	v_dual_mul_f32 v51, s16, v48 :: v_dual_mul_f32 v50, s17, v49
	v_dual_mul_f32 v49, s16, v52 :: v_dual_mul_f32 v48, s17, v53
	s_and_saveexec_b32 s18, vcc_lo
	s_cbranch_execz .LBB208_53
; %bb.52:                               ;   in Loop: Header=BB208_42 Depth=1
	v_cmp_gt_i32_e64 s0, s34, v37
	s_wait_alu 0xf1ff
	s_delay_alu instid0(VALU_DEP_1) | instskip(SKIP_2) | instid1(VALU_DEP_1)
	v_cndmask_b32_e64 v51, 0, v51, s0
	v_cmp_gt_i32_e64 s0, s34, v40
	s_wait_alu 0xf1ff
	v_cndmask_b32_e64 v50, 0, v50, s0
	v_cmp_gt_i32_e64 s0, s34, v39
	s_wait_alu 0xf1ff
	s_delay_alu instid0(VALU_DEP_1) | instskip(SKIP_2) | instid1(VALU_DEP_1)
	v_cndmask_b32_e64 v49, 0, v49, s0
	v_cmp_gt_i32_e64 s0, s34, v41
	s_wait_alu 0xf1ff
	v_cndmask_b32_e64 v48, 0, v48, s0
.LBB208_53:                             ;   in Loop: Header=BB208_42 Depth=1
	s_wait_alu 0xfffe
	s_or_b32 exec_lo, exec_lo, s18
	global_load_b32 v52, v[9:10], off offset:640
	s_wait_loadcnt 0x0
	v_lshrrev_b32_e32 v54, 16, v52
	s_delay_alu instid0(VALU_DEP_1) | instskip(SKIP_1) | instid1(VALU_DEP_1)
	v_cvt_pk_f32_fp8_e32 v[57:58], v54
	v_and_b32_e32 v53, 0xffff, v52
	v_cvt_pk_f32_fp8_e32 v[52:53], v53
	s_delay_alu instid0(VALU_DEP_1) | instskip(NEXT) | instid1(VALU_DEP_2)
	v_mul_f32_e32 v56, s16, v52
	v_mul_f32_e32 v54, s17, v53
	v_dual_mul_f32 v53, s16, v57 :: v_dual_mul_f32 v52, s17, v58
	s_and_saveexec_b32 s18, vcc_lo
	s_cbranch_execz .LBB208_55
; %bb.54:                               ;   in Loop: Header=BB208_42 Depth=1
	v_cmp_gt_i32_e64 s0, s34, v37
	s_wait_alu 0xf1ff
	s_delay_alu instid0(VALU_DEP_1) | instskip(SKIP_2) | instid1(VALU_DEP_1)
	v_cndmask_b32_e64 v56, 0, v56, s0
	v_cmp_gt_i32_e64 s0, s34, v40
	s_wait_alu 0xf1ff
	v_cndmask_b32_e64 v54, 0, v54, s0
	v_cmp_gt_i32_e64 s0, s34, v39
	s_wait_alu 0xf1ff
	s_delay_alu instid0(VALU_DEP_1) | instskip(SKIP_2) | instid1(VALU_DEP_1)
	v_cndmask_b32_e64 v53, 0, v53, s0
	v_cmp_gt_i32_e64 s0, s34, v41
	s_wait_alu 0xf1ff
	v_cndmask_b32_e64 v52, 0, v52, s0
.LBB208_55:                             ;   in Loop: Header=BB208_42 Depth=1
	s_wait_alu 0xfffe
	s_or_b32 exec_lo, exec_lo, s18
	global_load_b32 v55, v[9:10], off offset:768
	s_wait_loadcnt 0x0
	v_and_b32_e32 v57, 0xffff, v55
	v_lshrrev_b32_e32 v55, 16, v55
	s_delay_alu instid0(VALU_DEP_2) | instskip(NEXT) | instid1(VALU_DEP_2)
	v_cvt_pk_f32_fp8_e32 v[57:58], v57
	v_cvt_pk_f32_fp8_e32 v[62:63], v55
	s_delay_alu instid0(VALU_DEP_2) | instskip(NEXT) | instid1(VALU_DEP_2)
	v_dual_mul_f32 v61, s16, v57 :: v_dual_mul_f32 v60, s17, v58
	v_mul_f32_e32 v57, s16, v62
	s_delay_alu instid0(VALU_DEP_3)
	v_mul_f32_e32 v55, s17, v63
	s_and_saveexec_b32 s18, vcc_lo
	s_cbranch_execz .LBB208_57
; %bb.56:                               ;   in Loop: Header=BB208_42 Depth=1
	v_cmp_gt_i32_e64 s0, s34, v37
	s_wait_alu 0xf1ff
	s_delay_alu instid0(VALU_DEP_1) | instskip(SKIP_2) | instid1(VALU_DEP_1)
	v_cndmask_b32_e64 v61, 0, v61, s0
	v_cmp_gt_i32_e64 s0, s34, v40
	s_wait_alu 0xf1ff
	v_cndmask_b32_e64 v60, 0, v60, s0
	v_cmp_gt_i32_e64 s0, s34, v39
	s_wait_alu 0xf1ff
	s_delay_alu instid0(VALU_DEP_1) | instskip(SKIP_2) | instid1(VALU_DEP_1)
	v_cndmask_b32_e64 v57, 0, v57, s0
	v_cmp_gt_i32_e64 s0, s34, v41
	s_wait_alu 0xf1ff
	v_cndmask_b32_e64 v55, 0, v55, s0
.LBB208_57:                             ;   in Loop: Header=BB208_42 Depth=1
	s_wait_alu 0xfffe
	s_or_b32 exec_lo, exec_lo, s18
	global_load_b32 v9, v[9:10], off offset:896
	s_wait_loadcnt 0x0
	v_lshrrev_b32_e32 v58, 16, v9
	s_delay_alu instid0(VALU_DEP_1) | instskip(SKIP_1) | instid1(VALU_DEP_1)
	v_cvt_pk_f32_fp8_e32 v[62:63], v58
	v_and_b32_e32 v10, 0xffff, v9
	v_cvt_pk_f32_fp8_e32 v[9:10], v10
	s_delay_alu instid0(VALU_DEP_1) | instskip(NEXT) | instid1(VALU_DEP_4)
	v_dual_mul_f32 v59, s16, v9 :: v_dual_mul_f32 v58, s17, v10
	v_dual_mul_f32 v10, s16, v62 :: v_dual_mul_f32 v9, s17, v63
	s_and_saveexec_b32 s0, vcc_lo
	s_cbranch_execz .LBB208_40
; %bb.58:                               ;   in Loop: Header=BB208_42 Depth=1
	v_cmp_gt_i32_e32 vcc_lo, s34, v37
	s_wait_alu 0xfffd
	v_cndmask_b32_e32 v59, 0, v59, vcc_lo
	v_cmp_gt_i32_e32 vcc_lo, s34, v40
	s_wait_alu 0xfffd
	v_cndmask_b32_e32 v58, 0, v58, vcc_lo
	;; [unrolled: 3-line block ×4, first 2 shown]
	s_branch .LBB208_40
.LBB208_59:
	s_or_b32 exec_lo, exec_lo, s8
.LBB208_60:
	s_wait_alu 0xfffe
	s_or_b32 exec_lo, exec_lo, s1
	ds_bpermute_b32 v1, v15, v24
	ds_bpermute_b32 v2, v15, v25
	;; [unrolled: 1-line block ×8, first 2 shown]
	v_lshrrev_b32_e32 v9, 2, v14
	s_mov_b32 s0, exec_lo
	s_wait_storecnt 0x0
	s_wait_loadcnt_dscnt 0x0
	s_barrier_signal -1
	s_barrier_wait -1
	global_inv scope:SCOPE_SE
	v_dual_add_f32 v1, v24, v1 :: v_dual_add_f32 v2, v25, v2
	v_dual_add_f32 v3, v23, v3 :: v_dual_add_f32 v4, v22, v4
	;; [unrolled: 1-line block ×4, first 2 shown]
	ds_bpermute_b32 v12, v16, v1
	ds_bpermute_b32 v13, v16, v2
	;; [unrolled: 1-line block ×8, first 2 shown]
	v_and_b32_e32 v10, 28, v14
	v_lshlrev_b32_e32 v11, 8, v11
	v_and_b32_e32 v14, 0x3c3, v0
	s_wait_dscnt 0x7
	s_delay_alu instid0(VALU_DEP_3)
	v_dual_add_f32 v1, v1, v12 :: v_dual_add_nc_u32 v10, 0x120, v10
	s_wait_dscnt 0x5
	v_dual_add_f32 v2, v2, v13 :: v_dual_add_f32 v3, v3, v15
	s_wait_dscnt 0x3
	v_dual_add_f32 v4, v4, v18 :: v_dual_add_f32 v5, v5, v19
	;; [unrolled: 2-line block ×3, first 2 shown]
	s_wait_dscnt 0x0
	v_add_f32_e32 v8, v8, v16
	v_cmpx_eq_u32_e32 64, v14
	s_cbranch_execz .LBB208_62
; %bb.61:
	v_add_nc_u32_e32 v12, v10, v11
	s_delay_alu instid0(VALU_DEP_1)
	v_add_nc_u32_e32 v13, 0xfffffe00, v12
	v_add_nc_u32_e32 v14, 0xfffffe20, v12
	;; [unrolled: 1-line block ×8, first 2 shown]
	ds_store_b32 v13, v1
	ds_store_b32 v14, v2
	ds_store_b32 v15, v3
	ds_store_b32 v16, v4
	ds_store_b32 v18, v5
	ds_store_b32 v19, v6
	ds_store_b32 v20, v7
	ds_store_b32 v12, v8
.LBB208_62:
	s_wait_alu 0xfffe
	s_or_b32 exec_lo, exec_lo, s0
	v_lshlrev_b32_e32 v9, 2, v9
	s_mov_b32 s1, exec_lo
	v_cmp_eq_u32_e32 vcc_lo, 0, v17
	s_wait_loadcnt_dscnt 0x0
	s_barrier_signal -1
	v_add3_u32 v9, 0x120, v11, v9
	s_barrier_wait -1
	global_inv scope:SCOPE_SE
	v_cmpx_gt_u32_e32 64, v0
	s_cbranch_execz .LBB208_73
; %bb.63:
	s_and_saveexec_b32 s0, vcc_lo
	s_cbranch_execnz .LBB208_89
; %bb.64:
	s_wait_alu 0xfffe
	s_or_b32 exec_lo, exec_lo, s0
	s_and_saveexec_b32 s0, vcc_lo
	s_cbranch_execnz .LBB208_90
.LBB208_65:
	s_wait_alu 0xfffe
	s_or_b32 exec_lo, exec_lo, s0
	s_and_saveexec_b32 s0, vcc_lo
	s_cbranch_execnz .LBB208_91
.LBB208_66:
	s_wait_alu 0xfffe
	s_or_b32 exec_lo, exec_lo, s0
	s_and_saveexec_b32 s0, vcc_lo
	s_cbranch_execnz .LBB208_92
.LBB208_67:
	s_wait_alu 0xfffe
	s_or_b32 exec_lo, exec_lo, s0
	s_and_saveexec_b32 s0, vcc_lo
	s_cbranch_execnz .LBB208_93
.LBB208_68:
	s_wait_alu 0xfffe
	s_or_b32 exec_lo, exec_lo, s0
	s_and_saveexec_b32 s0, vcc_lo
	s_cbranch_execnz .LBB208_94
.LBB208_69:
	s_wait_alu 0xfffe
	s_or_b32 exec_lo, exec_lo, s0
	s_and_saveexec_b32 s0, vcc_lo
	s_cbranch_execnz .LBB208_95
.LBB208_70:
	s_wait_alu 0xfffe
	s_or_b32 exec_lo, exec_lo, s0
	s_and_saveexec_b32 s0, vcc_lo
	s_cbranch_execz .LBB208_72
.LBB208_71:
	ds_load_b32 v11, v9 offset:224
	s_wait_dscnt 0x0
	v_add_f32_e32 v8, v8, v11
.LBB208_72:
	s_wait_alu 0xfffe
	s_or_b32 exec_lo, exec_lo, s0
.LBB208_73:
	s_wait_alu 0xfffe
	s_or_b32 exec_lo, exec_lo, s1
	v_and_b32_e32 v11, 0x3e3, v0
	s_mov_b32 s1, exec_lo
	s_wait_loadcnt 0x0
	s_barrier_signal -1
	s_barrier_wait -1
	global_inv scope:SCOPE_SE
	v_cmpx_eq_u32_e32 32, v11
	s_cbranch_execz .LBB208_75
; %bb.74:
	ds_store_2addr_b32 v10, v1, v2 offset1:8
	ds_store_2addr_b32 v10, v3, v4 offset0:16 offset1:24
	ds_store_2addr_b32 v10, v5, v6 offset0:32 offset1:40
	;; [unrolled: 1-line block ×3, first 2 shown]
.LBB208_75:
	s_wait_alu 0xfffe
	s_or_b32 exec_lo, exec_lo, s1
	s_wait_loadcnt_dscnt 0x0
	s_barrier_signal -1
	s_barrier_wait -1
	global_inv scope:SCOPE_SE
	s_and_saveexec_b32 s0, s2
	s_cbranch_execz .LBB208_86
; %bb.76:
	s_and_saveexec_b32 s1, vcc_lo
	s_cbranch_execnz .LBB208_96
; %bb.77:
	s_wait_alu 0xfffe
	s_or_b32 exec_lo, exec_lo, s1
	s_and_saveexec_b32 s1, vcc_lo
	s_cbranch_execnz .LBB208_97
.LBB208_78:
	s_wait_alu 0xfffe
	s_or_b32 exec_lo, exec_lo, s1
	s_and_saveexec_b32 s1, vcc_lo
	s_cbranch_execnz .LBB208_98
.LBB208_79:
	s_wait_alu 0xfffe
	s_or_b32 exec_lo, exec_lo, s1
	s_and_saveexec_b32 s1, vcc_lo
	s_cbranch_execnz .LBB208_99
.LBB208_80:
	s_wait_alu 0xfffe
	s_or_b32 exec_lo, exec_lo, s1
	s_and_saveexec_b32 s1, vcc_lo
	s_cbranch_execnz .LBB208_100
.LBB208_81:
	s_wait_alu 0xfffe
	s_or_b32 exec_lo, exec_lo, s1
	s_and_saveexec_b32 s1, vcc_lo
	s_cbranch_execnz .LBB208_101
.LBB208_82:
	s_wait_alu 0xfffe
	s_or_b32 exec_lo, exec_lo, s1
	s_and_saveexec_b32 s1, vcc_lo
	s_cbranch_execnz .LBB208_102
.LBB208_83:
	s_wait_alu 0xfffe
	s_or_b32 exec_lo, exec_lo, s1
	s_and_saveexec_b32 s1, vcc_lo
	s_cbranch_execz .LBB208_85
.LBB208_84:
	ds_load_b32 v9, v9 offset:224
	s_wait_dscnt 0x0
	v_add_f32_e32 v8, v8, v9
.LBB208_85:
	s_wait_alu 0xfffe
	s_or_b32 exec_lo, exec_lo, s1
.LBB208_86:
	s_wait_alu 0xfffe
	s_or_b32 exec_lo, exec_lo, s0
	s_mov_b32 s1, 0
	s_wait_loadcnt 0x0
	s_barrier_signal -1
	s_barrier_wait -1
	global_inv scope:SCOPE_SE
	s_mov_b32 s0, exec_lo
	v_cmpx_eq_u32_e32 0, v11
	s_cbranch_execz .LBB208_88
; %bb.87:
	s_lshl_b32 s2, s4, 6
	s_mul_i32 s4, s12, s24
	s_wait_alu 0xfffe
	s_ashr_i32 s3, s2, 31
	s_ashr_i32 s5, s4, 31
	s_wait_alu 0xfffe
	s_lshl_b64 s[2:3], s[2:3], 2
	s_lshl_b64 s[4:5], s[4:5], 2
	s_wait_kmcnt 0x0
	s_wait_alu 0xfffe
	s_add_nc_u64 s[2:3], s[6:7], s[2:3]
	s_lshl_b32 s0, s33, 8
	s_wait_alu 0xfffe
	s_add_nc_u64 s[2:3], s[2:3], s[4:5]
	s_wait_alu 0xfffe
	s_add_nc_u64 s[0:1], s[2:3], s[0:1]
	s_clause 0x7
	global_store_b32 v0, v1, s[0:1]
	global_store_b32 v0, v2, s[0:1] offset:32
	global_store_b32 v0, v3, s[0:1] offset:64
	;; [unrolled: 1-line block ×7, first 2 shown]
.LBB208_88:
	s_endpgm
.LBB208_89:
	ds_load_b32 v11, v9
	s_wait_dscnt 0x0
	v_add_f32_e32 v1, v1, v11
	s_wait_alu 0xfffe
	s_or_b32 exec_lo, exec_lo, s0
	s_and_saveexec_b32 s0, vcc_lo
	s_cbranch_execz .LBB208_65
.LBB208_90:
	ds_load_b32 v11, v9 offset:32
	s_wait_dscnt 0x0
	v_add_f32_e32 v2, v2, v11
	s_wait_alu 0xfffe
	s_or_b32 exec_lo, exec_lo, s0
	s_and_saveexec_b32 s0, vcc_lo
	s_cbranch_execz .LBB208_66
.LBB208_91:
	ds_load_b32 v11, v9 offset:64
	s_wait_dscnt 0x0
	v_add_f32_e32 v3, v3, v11
	s_wait_alu 0xfffe
	s_or_b32 exec_lo, exec_lo, s0
	s_and_saveexec_b32 s0, vcc_lo
	s_cbranch_execz .LBB208_67
.LBB208_92:
	ds_load_b32 v11, v9 offset:96
	s_wait_dscnt 0x0
	v_add_f32_e32 v4, v4, v11
	s_wait_alu 0xfffe
	s_or_b32 exec_lo, exec_lo, s0
	s_and_saveexec_b32 s0, vcc_lo
	s_cbranch_execz .LBB208_68
.LBB208_93:
	ds_load_b32 v11, v9 offset:128
	s_wait_dscnt 0x0
	v_add_f32_e32 v5, v5, v11
	s_wait_alu 0xfffe
	s_or_b32 exec_lo, exec_lo, s0
	s_and_saveexec_b32 s0, vcc_lo
	s_cbranch_execz .LBB208_69
.LBB208_94:
	ds_load_b32 v11, v9 offset:160
	s_wait_dscnt 0x0
	v_add_f32_e32 v6, v6, v11
	s_wait_alu 0xfffe
	s_or_b32 exec_lo, exec_lo, s0
	s_and_saveexec_b32 s0, vcc_lo
	s_cbranch_execz .LBB208_70
.LBB208_95:
	ds_load_b32 v11, v9 offset:192
	s_wait_dscnt 0x0
	v_add_f32_e32 v7, v7, v11
	s_wait_alu 0xfffe
	s_or_b32 exec_lo, exec_lo, s0
	s_and_saveexec_b32 s0, vcc_lo
	s_cbranch_execnz .LBB208_71
	s_branch .LBB208_72
.LBB208_96:
	ds_load_b32 v10, v9
	s_wait_dscnt 0x0
	v_add_f32_e32 v1, v1, v10
	s_wait_alu 0xfffe
	s_or_b32 exec_lo, exec_lo, s1
	s_and_saveexec_b32 s1, vcc_lo
	s_cbranch_execz .LBB208_78
.LBB208_97:
	ds_load_b32 v10, v9 offset:32
	s_wait_dscnt 0x0
	v_add_f32_e32 v2, v2, v10
	s_wait_alu 0xfffe
	s_or_b32 exec_lo, exec_lo, s1
	s_and_saveexec_b32 s1, vcc_lo
	s_cbranch_execz .LBB208_79
.LBB208_98:
	ds_load_b32 v10, v9 offset:64
	s_wait_dscnt 0x0
	v_add_f32_e32 v3, v3, v10
	s_wait_alu 0xfffe
	s_or_b32 exec_lo, exec_lo, s1
	s_and_saveexec_b32 s1, vcc_lo
	s_cbranch_execz .LBB208_80
.LBB208_99:
	ds_load_b32 v10, v9 offset:96
	s_wait_dscnt 0x0
	v_add_f32_e32 v4, v4, v10
	s_wait_alu 0xfffe
	s_or_b32 exec_lo, exec_lo, s1
	s_and_saveexec_b32 s1, vcc_lo
	s_cbranch_execz .LBB208_81
.LBB208_100:
	ds_load_b32 v10, v9 offset:128
	s_wait_dscnt 0x0
	v_add_f32_e32 v5, v5, v10
	s_wait_alu 0xfffe
	s_or_b32 exec_lo, exec_lo, s1
	s_and_saveexec_b32 s1, vcc_lo
	s_cbranch_execz .LBB208_82
.LBB208_101:
	ds_load_b32 v10, v9 offset:160
	s_wait_dscnt 0x0
	v_add_f32_e32 v6, v6, v10
	s_wait_alu 0xfffe
	s_or_b32 exec_lo, exec_lo, s1
	s_and_saveexec_b32 s1, vcc_lo
	s_cbranch_execz .LBB208_83
.LBB208_102:
	ds_load_b32 v10, v9 offset:192
	s_wait_dscnt 0x0
	v_add_f32_e32 v7, v7, v10
	s_wait_alu 0xfffe
	s_or_b32 exec_lo, exec_lo, s1
	s_and_saveexec_b32 s1, vcc_lo
	s_cbranch_execnz .LBB208_84
	s_branch .LBB208_85
	.section	.rodata,"a",@progbits
	.p2align	6, 0x0
	.amdhsa_kernel _ZN4vllm25paged_attention_v2_kernelIfhLi64ELi16ELi128ELNS_18Fp8KVCacheDataTypeE1ELb1ELi512EEEvPfS2_PT_PKS3_PKT0_S9_ifPKiSB_iPKfiiiSD_SD_iiiii
		.amdhsa_group_segment_fixed_size 288
		.amdhsa_private_segment_fixed_size 0
		.amdhsa_kernarg_size 400
		.amdhsa_user_sgpr_count 2
		.amdhsa_user_sgpr_dispatch_ptr 0
		.amdhsa_user_sgpr_queue_ptr 0
		.amdhsa_user_sgpr_kernarg_segment_ptr 1
		.amdhsa_user_sgpr_dispatch_id 0
		.amdhsa_user_sgpr_private_segment_size 0
		.amdhsa_wavefront_size32 1
		.amdhsa_uses_dynamic_stack 0
		.amdhsa_enable_private_segment 0
		.amdhsa_system_sgpr_workgroup_id_x 1
		.amdhsa_system_sgpr_workgroup_id_y 1
		.amdhsa_system_sgpr_workgroup_id_z 1
		.amdhsa_system_sgpr_workgroup_info 0
		.amdhsa_system_vgpr_workitem_id 0
		.amdhsa_next_free_vgpr 72
		.amdhsa_next_free_sgpr 46
		.amdhsa_reserve_vcc 1
		.amdhsa_float_round_mode_32 0
		.amdhsa_float_round_mode_16_64 0
		.amdhsa_float_denorm_mode_32 3
		.amdhsa_float_denorm_mode_16_64 3
		.amdhsa_fp16_overflow 0
		.amdhsa_workgroup_processor_mode 1
		.amdhsa_memory_ordered 1
		.amdhsa_forward_progress 1
		.amdhsa_inst_pref_size 58
		.amdhsa_round_robin_scheduling 0
		.amdhsa_exception_fp_ieee_invalid_op 0
		.amdhsa_exception_fp_denorm_src 0
		.amdhsa_exception_fp_ieee_div_zero 0
		.amdhsa_exception_fp_ieee_overflow 0
		.amdhsa_exception_fp_ieee_underflow 0
		.amdhsa_exception_fp_ieee_inexact 0
		.amdhsa_exception_int_div_zero 0
	.end_amdhsa_kernel
	.section	.text._ZN4vllm25paged_attention_v2_kernelIfhLi64ELi16ELi128ELNS_18Fp8KVCacheDataTypeE1ELb1ELi512EEEvPfS2_PT_PKS3_PKT0_S9_ifPKiSB_iPKfiiiSD_SD_iiiii,"axG",@progbits,_ZN4vllm25paged_attention_v2_kernelIfhLi64ELi16ELi128ELNS_18Fp8KVCacheDataTypeE1ELb1ELi512EEEvPfS2_PT_PKS3_PKT0_S9_ifPKiSB_iPKfiiiSD_SD_iiiii,comdat
.Lfunc_end208:
	.size	_ZN4vllm25paged_attention_v2_kernelIfhLi64ELi16ELi128ELNS_18Fp8KVCacheDataTypeE1ELb1ELi512EEEvPfS2_PT_PKS3_PKT0_S9_ifPKiSB_iPKfiiiSD_SD_iiiii, .Lfunc_end208-_ZN4vllm25paged_attention_v2_kernelIfhLi64ELi16ELi128ELNS_18Fp8KVCacheDataTypeE1ELb1ELi512EEEvPfS2_PT_PKS3_PKT0_S9_ifPKiSB_iPKfiiiSD_SD_iiiii
                                        ; -- End function
	.set _ZN4vllm25paged_attention_v2_kernelIfhLi64ELi16ELi128ELNS_18Fp8KVCacheDataTypeE1ELb1ELi512EEEvPfS2_PT_PKS3_PKT0_S9_ifPKiSB_iPKfiiiSD_SD_iiiii.num_vgpr, 72
	.set _ZN4vllm25paged_attention_v2_kernelIfhLi64ELi16ELi128ELNS_18Fp8KVCacheDataTypeE1ELb1ELi512EEEvPfS2_PT_PKS3_PKT0_S9_ifPKiSB_iPKfiiiSD_SD_iiiii.num_agpr, 0
	.set _ZN4vllm25paged_attention_v2_kernelIfhLi64ELi16ELi128ELNS_18Fp8KVCacheDataTypeE1ELb1ELi512EEEvPfS2_PT_PKS3_PKT0_S9_ifPKiSB_iPKfiiiSD_SD_iiiii.numbered_sgpr, 46
	.set _ZN4vllm25paged_attention_v2_kernelIfhLi64ELi16ELi128ELNS_18Fp8KVCacheDataTypeE1ELb1ELi512EEEvPfS2_PT_PKS3_PKT0_S9_ifPKiSB_iPKfiiiSD_SD_iiiii.num_named_barrier, 0
	.set _ZN4vllm25paged_attention_v2_kernelIfhLi64ELi16ELi128ELNS_18Fp8KVCacheDataTypeE1ELb1ELi512EEEvPfS2_PT_PKS3_PKT0_S9_ifPKiSB_iPKfiiiSD_SD_iiiii.private_seg_size, 0
	.set _ZN4vllm25paged_attention_v2_kernelIfhLi64ELi16ELi128ELNS_18Fp8KVCacheDataTypeE1ELb1ELi512EEEvPfS2_PT_PKS3_PKT0_S9_ifPKiSB_iPKfiiiSD_SD_iiiii.uses_vcc, 1
	.set _ZN4vllm25paged_attention_v2_kernelIfhLi64ELi16ELi128ELNS_18Fp8KVCacheDataTypeE1ELb1ELi512EEEvPfS2_PT_PKS3_PKT0_S9_ifPKiSB_iPKfiiiSD_SD_iiiii.uses_flat_scratch, 0
	.set _ZN4vllm25paged_attention_v2_kernelIfhLi64ELi16ELi128ELNS_18Fp8KVCacheDataTypeE1ELb1ELi512EEEvPfS2_PT_PKS3_PKT0_S9_ifPKiSB_iPKfiiiSD_SD_iiiii.has_dyn_sized_stack, 0
	.set _ZN4vllm25paged_attention_v2_kernelIfhLi64ELi16ELi128ELNS_18Fp8KVCacheDataTypeE1ELb1ELi512EEEvPfS2_PT_PKS3_PKT0_S9_ifPKiSB_iPKfiiiSD_SD_iiiii.has_recursion, 0
	.set _ZN4vllm25paged_attention_v2_kernelIfhLi64ELi16ELi128ELNS_18Fp8KVCacheDataTypeE1ELb1ELi512EEEvPfS2_PT_PKS3_PKT0_S9_ifPKiSB_iPKfiiiSD_SD_iiiii.has_indirect_call, 0
	.section	.AMDGPU.csdata,"",@progbits
; Kernel info:
; codeLenInByte = 7372
; TotalNumSgprs: 48
; NumVgprs: 72
; ScratchSize: 0
; MemoryBound: 0
; FloatMode: 240
; IeeeMode: 1
; LDSByteSize: 288 bytes/workgroup (compile time only)
; SGPRBlocks: 0
; VGPRBlocks: 8
; NumSGPRsForWavesPerEU: 48
; NumVGPRsForWavesPerEU: 72
; Occupancy: 16
; WaveLimiterHint : 1
; COMPUTE_PGM_RSRC2:SCRATCH_EN: 0
; COMPUTE_PGM_RSRC2:USER_SGPR: 2
; COMPUTE_PGM_RSRC2:TRAP_HANDLER: 0
; COMPUTE_PGM_RSRC2:TGID_X_EN: 1
; COMPUTE_PGM_RSRC2:TGID_Y_EN: 1
; COMPUTE_PGM_RSRC2:TGID_Z_EN: 1
; COMPUTE_PGM_RSRC2:TIDIG_COMP_CNT: 0
	.section	.text._ZN4vllm25paged_attention_v2_kernelIfhLi80ELi16ELi128ELNS_18Fp8KVCacheDataTypeE1ELb1ELi512EEEvPfS2_PT_PKS3_PKT0_S9_ifPKiSB_iPKfiiiSD_SD_iiiii,"axG",@progbits,_ZN4vllm25paged_attention_v2_kernelIfhLi80ELi16ELi128ELNS_18Fp8KVCacheDataTypeE1ELb1ELi512EEEvPfS2_PT_PKS3_PKT0_S9_ifPKiSB_iPKfiiiSD_SD_iiiii,comdat
	.protected	_ZN4vllm25paged_attention_v2_kernelIfhLi80ELi16ELi128ELNS_18Fp8KVCacheDataTypeE1ELb1ELi512EEEvPfS2_PT_PKS3_PKT0_S9_ifPKiSB_iPKfiiiSD_SD_iiiii ; -- Begin function _ZN4vllm25paged_attention_v2_kernelIfhLi80ELi16ELi128ELNS_18Fp8KVCacheDataTypeE1ELb1ELi512EEEvPfS2_PT_PKS3_PKT0_S9_ifPKiSB_iPKfiiiSD_SD_iiiii
	.globl	_ZN4vllm25paged_attention_v2_kernelIfhLi80ELi16ELi128ELNS_18Fp8KVCacheDataTypeE1ELb1ELi512EEEvPfS2_PT_PKS3_PKT0_S9_ifPKiSB_iPKfiiiSD_SD_iiiii
	.p2align	8
	.type	_ZN4vllm25paged_attention_v2_kernelIfhLi80ELi16ELi128ELNS_18Fp8KVCacheDataTypeE1ELb1ELi512EEEvPfS2_PT_PKS3_PKT0_S9_ifPKiSB_iPKfiiiSD_SD_iiiii,@function
_ZN4vllm25paged_attention_v2_kernelIfhLi80ELi16ELi128ELNS_18Fp8KVCacheDataTypeE1ELb1ELi512EEEvPfS2_PT_PKS3_PKT0_S9_ifPKiSB_iPKfiiiSD_SD_iiiii: ; @_ZN4vllm25paged_attention_v2_kernelIfhLi80ELi16ELi128ELNS_18Fp8KVCacheDataTypeE1ELb1ELi512EEEvPfS2_PT_PKS3_PKT0_S9_ifPKiSB_iPKfiiiSD_SD_iiiii
; %bb.0:
	s_load_b64 s[2:3], s[0:1], 0x40
	s_and_b32 s19, ttmp7, 0xffff
	s_lshr_b32 s33, ttmp7, 16
	s_lshl_b32 s4, s19, 2
	s_lshl_b32 s36, s33, 9
	s_wait_kmcnt 0x0
	s_load_b32 s34, s[2:3], s4 offset:0x0
	s_wait_kmcnt 0x0
	s_cmp_ge_i32 s36, s34
	s_cbranch_scc1 .LBB209_96
; %bb.1:
	s_clause 0x1
	s_load_b32 s35, s[0:1], 0x90
	s_load_b64 s[6:7], s[0:1], 0x30
	s_wait_kmcnt 0x0
	s_abs_i32 s5, s35
	s_abs_i32 s2, s6
	s_delay_alu instid0(SALU_CYCLE_1) | instskip(SKIP_1) | instid1(SALU_CYCLE_2)
	s_cvt_f32_u32 s3, s2
	s_sub_co_i32 s4, 0, s2
	v_rcp_iflag_f32_e32 v1, s3
	s_delay_alu instid0(TRANS32_DEP_1) | instskip(SKIP_2) | instid1(SALU_CYCLE_2)
	v_readfirstlane_b32 s3, v1
	s_mul_f32 s3, s3, 0x4f7ffffe
	s_wait_alu 0xfffe
	s_cvt_u32_f32 s3, s3
	s_wait_alu 0xfffe
	s_delay_alu instid0(SALU_CYCLE_2) | instskip(NEXT) | instid1(SALU_CYCLE_1)
	s_mul_i32 s4, s4, s3
	s_mul_hi_u32 s4, s3, s4
	s_delay_alu instid0(SALU_CYCLE_1)
	s_add_co_i32 s3, s3, s4
	s_xor_b32 s4, s35, s6
	s_wait_alu 0xfffe
	s_mul_hi_u32 s3, s5, s3
	s_ashr_i32 s4, s4, 31
	s_wait_alu 0xfffe
	s_mul_i32 s8, s3, s2
	s_delay_alu instid0(SALU_CYCLE_1)
	s_sub_co_i32 s5, s5, s8
	s_add_co_i32 s8, s3, 1
	s_sub_co_i32 s9, s5, s2
	s_cmp_ge_u32 s5, s2
	s_cselect_b32 s3, s8, s3
	s_cselect_b32 s5, s9, s5
	s_wait_alu 0xfffe
	s_add_co_i32 s8, s3, 1
	s_cmp_ge_u32 s5, s2
	s_cselect_b32 s2, s8, s3
	s_load_b64 s[8:9], s[0:1], 0x50
	s_xor_b32 s2, s2, s4
	s_mov_b32 s3, 0
	s_wait_alu 0xfffe
	s_sub_co_i32 s11, s2, s4
	s_mov_b32 s30, s3
	s_abs_i32 s10, s11
	s_delay_alu instid0(SALU_CYCLE_1) | instskip(SKIP_1) | instid1(SALU_CYCLE_2)
	s_cvt_f32_u32 s2, s10
	s_wait_alu 0xfffe
	v_rcp_iflag_f32_e32 v1, s2
	s_delay_alu instid0(TRANS32_DEP_1) | instskip(SKIP_2) | instid1(SALU_CYCLE_2)
	v_readfirstlane_b32 s2, v1
	s_mul_f32 s2, s2, 0x4f7ffffe
	s_wait_alu 0xfffe
	s_cvt_u32_f32 s4, s2
	s_sub_co_i32 s2, 0, s10
	s_wait_alu 0xfffe
	s_delay_alu instid0(SALU_CYCLE_1)
	s_mul_i32 s2, s2, s4
	s_wait_alu 0xfffe
	s_mul_hi_u32 s5, s4, s2
	s_abs_i32 s2, ttmp9
	s_add_co_i32 s4, s4, s5
	s_mov_b32 s5, s3
	s_wait_kmcnt 0x0
	s_cmp_eq_u64 s[8:9], 0
	s_cbranch_scc1 .LBB209_3
; %bb.2:
	s_mov_b32 s12, ttmp9
	s_ashr_i32 s13, ttmp9, 31
	s_delay_alu instid0(SALU_CYCLE_1) | instskip(NEXT) | instid1(SALU_CYCLE_1)
	s_lshl_b64 s[12:13], s[12:13], 2
	s_add_nc_u64 s[8:9], s[8:9], s[12:13]
	s_load_b32 s30, s[8:9], 0x0
.LBB209_3:
	s_load_b96 s[16:18], s[0:1], 0x58
	v_and_b32_e32 v1, 1, v0
	v_lshlrev_b32_e32 v5, 2, v0
	s_mul_u64 s[4:5], s[2:3], s[4:5]
	s_ashr_i32 s3, ttmp9, 31
	s_ashr_i32 s4, s11, 31
	s_mul_i32 s20, ttmp9, 0x50
	s_mov_b32 s8, exec_lo
	v_cmpx_gt_u32_e32 40, v0
	s_cbranch_execz .LBB209_5
; %bb.4:
	s_load_b64 s[12:13], s[0:1], 0x18
	s_wait_kmcnt 0x0
	s_mul_i32 s14, s16, s19
	s_ashr_i32 s21, s20, 31
	s_ashr_i32 s15, s14, 31
	v_lshlrev_b32_e32 v2, 3, v0
	s_lshl_b64 s[14:15], s[14:15], 2
	v_and_b32_e32 v4, 0xff8, v5
	s_delay_alu instid0(VALU_DEP_1) | instskip(SKIP_2) | instid1(SALU_CYCLE_1)
	v_mad_u32_u24 v4, 0xa0, v1, v4
	s_add_nc_u64 s[12:13], s[12:13], s[14:15]
	s_lshl_b64 s[14:15], s[20:21], 2
	s_add_nc_u64 s[12:13], s[12:13], s[14:15]
	global_load_b64 v[2:3], v2, s[12:13]
	s_wait_loadcnt 0x0
	ds_store_b64 v4, v[2:3]
.LBB209_5:
	s_or_b32 exec_lo, exec_lo, s8
	s_load_b128 s[12:15], s[0:1], 0x78
	s_mul_i32 s8, s5, s10
	s_xor_b32 s3, s3, s4
	s_sub_co_i32 s2, s2, s8
	s_add_co_i32 s4, s5, 1
	s_wait_alu 0xfffe
	s_sub_co_i32 s8, s2, s10
	s_cmp_ge_u32 s2, s10
                                        ; implicit-def: $sgpr21
	s_cselect_b32 s4, s4, s5
	s_cselect_b32 s2, s8, s2
	s_add_co_i32 s5, s4, 1
	s_wait_alu 0xfffe
	s_cmp_ge_u32 s2, s10
	s_load_b32 s8, s[0:1], 0x88
	s_cselect_b32 s2, s5, s4
	s_add_co_i32 s9, s34, -1
	s_wait_alu 0xfffe
	s_xor_b32 s2, s2, s3
	s_mov_b32 s10, -1
	s_wait_alu 0xfffe
	s_sub_co_i32 s28, s2, s3
	s_wait_dscnt 0x0
	s_barrier_signal -1
	s_wait_kmcnt 0x0
	s_abs_i32 s16, s15
	s_barrier_wait -1
	s_cvt_f32_u32 s4, s16
	global_inv scope:SCOPE_SE
	v_rcp_iflag_f32_e32 v2, s4
	s_delay_alu instid0(TRANS32_DEP_1) | instskip(SKIP_2) | instid1(SALU_CYCLE_2)
	v_readfirstlane_b32 s4, v2
	s_mul_f32 s2, s4, 0x4f7ffffe
	s_wait_alu 0xfffe
	s_cvt_u32_f32 s4, s2
	s_sub_co_i32 s2, 0, s16
	s_wait_alu 0xfffe
	s_delay_alu instid0(SALU_CYCLE_1)
	s_mul_i32 s3, s2, s4
	s_abs_i32 s2, s9
	s_wait_alu 0xfffe
	s_mul_hi_u32 s5, s4, s3
	s_mov_b32 s3, 0
	s_wait_alu 0xfffe
	s_add_co_i32 s22, s4, s5
	s_cmp_lt_i32 s8, 0
	s_mov_b32 s23, s3
	s_cbranch_scc0 .LBB209_7
; %bb.6:
	s_mul_i32 s4, s12, s6
	s_mov_b32 s10, s3
	s_wait_alu 0xfffe
	s_add_co_i32 s4, s28, s4
	s_wait_alu 0xfffe
	s_mul_i32 s4, s4, s8
	s_wait_alu 0xfffe
	s_sub_co_i32 s21, 1, s4
.LBB209_7:
	s_mul_u64 s[4:5], s[2:3], s[22:23]
	s_ashr_i32 s3, s9, 31
	s_and_not1_b32 vcc_lo, exec_lo, s10
	s_ashr_i32 s15, s15, 31
	s_cbranch_vccnz .LBB209_9
; %bb.8:
	s_mul_i32 s4, s35, s12
	s_wait_alu 0xfffe
	s_add_co_i32 s4, s4, ttmp9
	s_wait_alu 0xfffe
	s_mul_i32 s4, s4, s8
	s_wait_alu 0xfffe
	s_add_co_i32 s21, s4, 1
.LBB209_9:
	s_clause 0x3
	s_load_b32 s4, s[0:1], 0x48
	s_load_b64 s[24:25], s[0:1], 0x38
	s_load_b32 s12, s[0:1], 0x98
	s_load_b128 s[8:11], s[0:1], 0x68
	s_mul_i32 s6, s5, s16
	s_xor_b32 s3, s3, s15
	s_sub_co_i32 s2, s2, s6
	s_add_co_i32 s23, s5, 1
	v_lshrrev_b32_e32 v11, 5, v0
	v_mbcnt_lo_u32_b32 v7, -1, 0
	s_mul_i32 s28, s28, s18
	s_delay_alu instid0(VALU_DEP_2)
	v_lshl_add_u32 v12, v11, 4, s36
	s_wait_kmcnt 0x0
	s_mul_i32 s26, s4, s19
	s_wait_alu 0xfffe
	s_sub_co_i32 s4, s2, s16
	s_ashr_i32 s27, s26, 31
	s_cmp_ge_u32 s2, s16
	s_cselect_b32 s5, s23, s5
	s_wait_alu 0xfffe
	s_cselect_b32 s2, s4, s2
	s_add_co_i32 s4, s5, 1
	s_wait_alu 0xfffe
	s_cmp_ge_u32 s2, s16
	s_cselect_b32 s2, s4, s5
	s_add_co_i32 s4, s34, 15
	s_lshl_b32 s39, s33, 5
	s_wait_alu 0xfffe
	s_ashr_i32 s5, s4, 31
	v_or_b32_e32 v13, s39, v11
	s_wait_alu 0xfffe
	s_lshr_b32 s5, s5, 28
	v_mov_b32_e32 v9, 0xff7fffff
	s_wait_alu 0xfffe
	s_add_co_i32 s4, s4, s5
	s_add_co_i32 s5, s39, 32
	s_wait_alu 0xfffe
	s_ashr_i32 s37, s4, 4
	s_xor_b32 s4, s2, s3
	s_wait_alu 0xfffe
	s_min_i32 s23, s5, s37
	v_lshlrev_b32_e32 v6, 2, v13
	v_cmp_gt_i32_e64 s2, s23, v13
	s_sub_co_i32 s38, s4, s3
	s_and_saveexec_b32 s6, s2
	s_cbranch_execz .LBB209_21
; %bb.10:
	s_wait_alu 0xfffe
	s_sub_co_i32 s18, s38, s13
	s_ashr_i32 s29, s28, 31
	s_cmp_neq_f32 s30, 0
	s_load_b64 s[4:5], s[0:1], 0x20
	v_bfe_u32 v8, v0, 1, 4
	v_lshlrev_b32_e32 v3, 1, v1
	s_cselect_b32 vcc_lo, -1, 0
	s_abs_i32 s31, s14
	v_mul_u32_u24_e32 v10, 0xa0, v1
	s_cvt_f32_u32 s3, s31
	v_dual_mov_b32 v17, 0xff7fffff :: v_dual_lshlrev_b32 v4, 2, v8
	s_lshl_b64 s[42:43], s[26:27], 2
	s_wait_alu 0xfffe
	v_rcp_iflag_f32_e32 v2, s3
	v_cmp_eq_u32_e64 s3, 0, v1
	v_lshlrev_b32_e32 v1, 4, v8
	v_subrev_nc_u32_e32 v9, s34, v8
	v_lshl_or_b32 v16, v11, 6, v4
	s_add_nc_u64 s[42:43], s[24:25], s[42:43]
	s_sub_co_i32 s44, 0, s31
	v_lshl_add_u32 v14, v11, 4, s36
	v_add_nc_u32_e32 v15, 1, v9
	v_dual_mov_b32 v19, v13 :: v_dual_add_nc_u32 v16, 0x160, v16
	v_readfirstlane_b32 s41, v2
	s_wait_kmcnt 0x0
	s_add_nc_u64 s[4:5], s[4:5], s[28:29]
	v_xor_b32_e32 v18, 1, v7
	s_wait_alu 0xfffe
	v_add_co_u32 v1, s4, s4, v1
	s_mul_f32 s29, s41, 0x4f7ffffe
	s_wait_alu 0xf1ff
	v_add_co_ci_u32_e64 v2, null, s5, 0, s4
	v_add_co_u32 v1, s4, v1, v3
	s_cvt_u32_f32 s5, s29
	s_wait_alu 0xf1ff
	v_add_co_ci_u32_e64 v2, null, 0, v2, s4
	v_add_co_u32 v3, s4, s42, v6
	s_wait_alu 0xfffe
	s_mul_i32 s44, s44, s5
	v_add_co_ci_u32_e64 v4, null, s43, 0, s4
	v_mov_b32_e32 v9, 0xff7fffff
	s_mul_hi_u32 s4, s5, s44
	s_mov_b32 s40, 0
	s_mov_b32 s29, s17
	s_wait_alu 0xfffe
	s_add_co_i32 s41, s5, s4
	s_branch .LBB209_13
.LBB209_11:                             ;   in Loop: Header=BB209_13 Depth=1
	s_wait_alu 0xfffe
	s_or_b32 exec_lo, exec_lo, s42
.LBB209_12:                             ;   in Loop: Header=BB209_13 Depth=1
	s_wait_alu 0xfffe
	s_or_b32 exec_lo, exec_lo, s5
	v_add_nc_u32_e32 v19, 4, v19
	v_add_co_u32 v3, s5, v3, 16
	s_wait_alu 0xf1ff
	v_add_co_ci_u32_e64 v4, null, 0, v4, s5
	s_delay_alu instid0(VALU_DEP_3)
	v_cmp_le_i32_e64 s4, s23, v19
	v_add_nc_u32_e32 v14, 64, v14
	v_add_nc_u32_e32 v16, 0x100, v16
	s_or_b32 s40, s4, s40
	s_wait_alu 0xfffe
	s_and_not1_b32 exec_lo, exec_lo, s40
	s_cbranch_execz .LBB209_20
.LBB209_13:                             ; =>This Inner Loop Header: Depth=1
	v_sub_nc_u32_e32 v20, 0, v14
	s_delay_alu instid0(VALU_DEP_1) | instskip(SKIP_1) | instid1(VALU_DEP_1)
	v_max_i32_e32 v20, v14, v20
	s_wait_dscnt 0x0
	v_mul_hi_u32 v21, v20, s22
	s_delay_alu instid0(VALU_DEP_1) | instskip(NEXT) | instid1(VALU_DEP_1)
	v_mul_lo_u32 v22, v21, s16
	v_sub_nc_u32_e32 v20, v20, v22
	v_add_nc_u32_e32 v22, 1, v21
	s_delay_alu instid0(VALU_DEP_2) | instskip(SKIP_2) | instid1(VALU_DEP_1)
	v_subrev_nc_u32_e32 v23, s16, v20
	v_cmp_le_u32_e64 s4, s16, v20
	s_wait_alu 0xf1ff
	v_cndmask_b32_e64 v21, v21, v22, s4
	s_delay_alu instid0(VALU_DEP_3) | instskip(SKIP_1) | instid1(VALU_DEP_3)
	v_cndmask_b32_e64 v20, v20, v23, s4
	v_ashrrev_i32_e32 v22, 31, v14
	v_add_nc_u32_e32 v23, 1, v21
	s_delay_alu instid0(VALU_DEP_3) | instskip(NEXT) | instid1(VALU_DEP_3)
	v_cmp_le_u32_e64 s4, s16, v20
	v_xor_b32_e32 v22, s15, v22
	s_wait_alu 0xf1ff
	s_delay_alu instid0(VALU_DEP_2) | instskip(NEXT) | instid1(VALU_DEP_1)
	v_cndmask_b32_e64 v20, v21, v23, s4
	v_xor_b32_e32 v20, v20, v22
	s_delay_alu instid0(VALU_DEP_1) | instskip(NEXT) | instid1(VALU_DEP_1)
	v_sub_nc_u32_e32 v20, v20, v22
	v_add_nc_u32_e32 v21, s21, v20
	v_cmp_ge_i32_e64 s5, s18, v20
	s_delay_alu instid0(VALU_DEP_2) | instskip(NEXT) | instid1(VALU_DEP_1)
	v_sub_nc_u32_e32 v22, 0, v21
	v_max_i32_e32 v22, v21, v22
	v_ashrrev_i32_e32 v21, 31, v21
	s_delay_alu instid0(VALU_DEP_2) | instskip(NEXT) | instid1(VALU_DEP_1)
	v_mul_hi_u32 v23, v22, s41
	v_mul_lo_u32 v23, v23, s31
	s_delay_alu instid0(VALU_DEP_1) | instskip(NEXT) | instid1(VALU_DEP_1)
	v_sub_nc_u32_e32 v22, v22, v23
	v_subrev_nc_u32_e32 v23, s31, v22
	v_cmp_le_u32_e64 s4, s31, v22
	s_wait_alu 0xf1ff
	s_delay_alu instid0(VALU_DEP_1) | instskip(NEXT) | instid1(VALU_DEP_1)
	v_cndmask_b32_e64 v22, v22, v23, s4
	v_subrev_nc_u32_e32 v23, s31, v22
	v_cmp_le_u32_e64 s4, s31, v22
	s_wait_alu 0xf1ff
	s_delay_alu instid0(VALU_DEP_1) | instskip(NEXT) | instid1(VALU_DEP_1)
	v_cndmask_b32_e64 v22, v22, v23, s4
	v_xor_b32_e32 v22, v22, v21
	s_delay_alu instid0(VALU_DEP_1) | instskip(NEXT) | instid1(VALU_DEP_1)
	v_sub_nc_u32_e32 v21, v22, v21
	v_cmp_ne_u32_e64 s4, 0, v21
	s_and_b32 s4, s4, s5
	s_wait_alu 0xfffe
	s_and_saveexec_b32 s5, s4
	s_wait_alu 0xfffe
	s_xor_b32 s4, exec_lo, s5
	s_cbranch_execz .LBB209_17
; %bb.14:                               ;   in Loop: Header=BB209_13 Depth=1
	s_and_saveexec_b32 s5, s3
; %bb.15:                               ;   in Loop: Header=BB209_13 Depth=1
	ds_store_b32 v16, v17
; %bb.16:                               ;   in Loop: Header=BB209_13 Depth=1
	s_wait_alu 0xfffe
	s_or_b32 exec_lo, exec_lo, s5
.LBB209_17:                             ;   in Loop: Header=BB209_13 Depth=1
	s_wait_alu 0xfffe
	s_and_not1_saveexec_b32 s5, s4
	s_cbranch_execz .LBB209_12
; %bb.18:                               ;   in Loop: Header=BB209_13 Depth=1
	global_load_b32 v20, v[3:4], off
	s_wait_loadcnt 0x0
	v_mad_co_i64_i32 v[20:21], null, v20, s29, v[1:2]
	s_clause 0x13
	global_load_u16 v44, v[20:21], off offset:4
	global_load_u16 v52, v[20:21], off
	global_load_u16 v64, v[20:21], off offset:8
	global_load_u16 v65, v[20:21], off offset:12
	;; [unrolled: 1-line block ×18, first 2 shown]
	s_load_b32 s4, s[8:9], 0x0
	ds_load_b128 v[20:23], v10
	ds_load_b128 v[24:27], v10 offset:16
	ds_load_b128 v[28:31], v10 offset:32
	;; [unrolled: 1-line block ×5, first 2 shown]
	s_wait_loadcnt 0x13
	v_cvt_pk_f32_fp8_e32 v[60:61], v44
	s_wait_loadcnt 0x12
	v_cvt_pk_f32_fp8_e32 v[62:63], v52
	ds_load_b128 v[44:47], v10 offset:96
	ds_load_b128 v[48:51], v10 offset:112
	;; [unrolled: 1-line block ×4, first 2 shown]
	s_wait_kmcnt 0x0
	v_dual_mul_f32 v82, s4, v60 :: v_dual_mul_f32 v83, s4, v61
	s_wait_loadcnt 0x11
	v_cvt_pk_f32_fp8_e32 v[60:61], v64
	v_dual_mul_f32 v63, s4, v63 :: v_dual_mul_f32 v62, s4, v62
	s_wait_dscnt 0x9
	v_mul_f32_e32 v64, v22, v82
	v_mul_f32_e32 v82, v23, v83
	s_wait_loadcnt 0x10
	v_cvt_pk_f32_fp8_e32 v[22:23], v65
	s_delay_alu instid0(VALU_DEP_3) | instskip(NEXT) | instid1(VALU_DEP_3)
	v_dual_mul_f32 v61, s4, v61 :: v_dual_fmac_f32 v64, v20, v62
	v_fmac_f32_e32 v82, v21, v63
	s_wait_loadcnt 0xf
	v_cvt_pk_f32_fp8_e32 v[20:21], v66
	v_dual_mul_f32 v62, s4, v23 :: v_dual_mul_f32 v63, s4, v22
	s_wait_loadcnt 0xe
	v_cvt_pk_f32_fp8_e32 v[22:23], v67
	v_mul_f32_e32 v60, s4, v60
	s_wait_dscnt 0x8
	v_dual_fmac_f32 v82, v25, v61 :: v_dual_mul_f32 v25, s4, v20
	s_delay_alu instid0(VALU_DEP_1) | instskip(NEXT) | instid1(VALU_DEP_3)
	v_fmac_f32_e32 v82, v27, v62
	v_dual_mul_f32 v27, s4, v22 :: v_dual_fmac_f32 v64, v24, v60
	v_mul_f32_e32 v24, s4, v21
	s_wait_loadcnt 0xd
	v_cvt_pk_f32_fp8_e32 v[20:21], v68
	s_delay_alu instid0(VALU_DEP_3)
	v_fmac_f32_e32 v64, v26, v63
	v_mul_f32_e32 v26, s4, v23
	s_wait_dscnt 0x7
	v_fmac_f32_e32 v82, v29, v24
	s_wait_loadcnt 0xc
	v_cvt_pk_f32_fp8_e32 v[22:23], v69
	v_mul_f32_e32 v24, s4, v21
	v_dual_fmac_f32 v64, v28, v25 :: v_dual_mul_f32 v25, s4, v20
	v_fmac_f32_e32 v82, v31, v26
	s_wait_loadcnt 0xb
	v_cvt_pk_f32_fp8_e32 v[20:21], v70
	v_mul_f32_e32 v26, s4, v23
	v_dual_fmac_f32 v64, v30, v27 :: v_dual_mul_f32 v27, s4, v22
	s_wait_dscnt 0x6
	v_fmac_f32_e32 v82, v33, v24
	s_wait_loadcnt 0xa
	v_cvt_pk_f32_fp8_e32 v[22:23], v71
	v_mul_f32_e32 v24, s4, v21
	v_dual_fmac_f32 v64, v32, v25 :: v_dual_mul_f32 v25, s4, v20
	v_fmac_f32_e32 v82, v35, v26
	s_wait_loadcnt 0x9
	v_cvt_pk_f32_fp8_e32 v[20:21], v72
	v_mul_f32_e32 v26, s4, v23
	v_dual_fmac_f32 v64, v34, v27 :: v_dual_mul_f32 v27, s4, v22
	;; [unrolled: 11-line block ×6, first 2 shown]
	s_wait_dscnt 0x1
	v_fmac_f32_e32 v82, v53, v24
	s_wait_loadcnt 0x0
	v_cvt_pk_f32_fp8_e32 v[22:23], v81
	v_mul_f32_e32 v21, s4, v21
	v_fmac_f32_e32 v64, v52, v25
	v_mul_f32_e32 v20, s4, v20
	s_delay_alu instid0(VALU_DEP_4) | instskip(SKIP_1) | instid1(VALU_DEP_4)
	v_dual_fmac_f32 v82, v55, v26 :: v_dual_mul_f32 v23, s4, v23
	v_mul_f32_e32 v22, s4, v22
	v_fmac_f32_e32 v64, v54, v27
	v_cmp_gt_i32_e64 s4, 32, v18
	s_wait_dscnt 0x0
	v_fmac_f32_e32 v82, v57, v21
	s_delay_alu instid0(VALU_DEP_3) | instskip(SKIP_2) | instid1(VALU_DEP_3)
	v_fmac_f32_e32 v64, v56, v20
	s_wait_alu 0xf1ff
	v_cndmask_b32_e64 v20, v7, v18, s4
	v_fmac_f32_e32 v82, v59, v23
	s_delay_alu instid0(VALU_DEP_2) | instskip(NEXT) | instid1(VALU_DEP_1)
	v_dual_fmac_f32 v64, v58, v22 :: v_dual_lshlrev_b32 v21, 2, v20
	v_add_f32_e32 v20, v64, v82
	ds_bpermute_b32 v21, v21, v20
	s_and_saveexec_b32 s42, s3
	s_cbranch_execz .LBB209_11
; %bb.19:                               ;   in Loop: Header=BB209_13 Depth=1
	s_wait_dscnt 0x0
	v_add_f32_e32 v20, v20, v21
	v_add_nc_u32_e32 v22, v15, v14
	s_delay_alu instid0(VALU_DEP_1) | instskip(NEXT) | instid1(VALU_DEP_1)
	v_cvt_f32_i32_e32 v22, v22
	v_mul_f32_e32 v22, s30, v22
	s_delay_alu instid0(VALU_DEP_1) | instskip(NEXT) | instid1(VALU_DEP_1)
	v_dual_cndmask_b32 v21, 0, v22 :: v_dual_max_num_f32 v22, v9, v9
	v_dual_fmac_f32 v21, s7, v20 :: v_dual_add_nc_u32 v20, v8, v14
	s_delay_alu instid0(VALU_DEP_1) | instskip(NEXT) | instid1(VALU_DEP_2)
	v_max_num_f32_e32 v22, v22, v21
	v_cmp_gt_i32_e64 s4, s34, v20
	s_wait_alu 0xf1ff
	s_delay_alu instid0(VALU_DEP_1) | instskip(NEXT) | instid1(VALU_DEP_3)
	v_cndmask_b32_e64 v20, 0, v21, s4
	v_cndmask_b32_e64 v9, v9, v22, s4
	ds_store_b32 v16, v20
	s_branch .LBB209_11
.LBB209_20:
	s_or_b32 exec_lo, exec_lo, s40
.LBB209_21:
	s_delay_alu instid0(SALU_CYCLE_1)
	s_or_b32 exec_lo, exec_lo, s6
	v_xor_b32_e32 v1, 16, v7
	v_xor_b32_e32 v3, 8, v7
	;; [unrolled: 1-line block ×3, first 2 shown]
	s_clause 0x2
	s_load_b128 s[4:7], s[0:1], 0x0
	s_load_b64 s[8:9], s[0:1], 0x10
	s_load_b64 s[30:31], s[0:1], 0x28
	v_and_b32_e32 v14, 31, v0
	v_cmp_gt_i32_e32 vcc_lo, 32, v1
	s_wait_alu 0xfffd
	v_cndmask_b32_e32 v1, v7, v1, vcc_lo
	v_cmp_gt_i32_e32 vcc_lo, 32, v3
	s_wait_alu 0xfffd
	s_delay_alu instid0(VALU_DEP_2)
	v_dual_cndmask_b32 v3, v7, v3 :: v_dual_lshlrev_b32 v2, 2, v1
	v_max_num_f32_e32 v4, v9, v9
	v_cmp_gt_i32_e32 vcc_lo, 32, v8
	ds_bpermute_b32 v1, v2, v9
	v_lshlrev_b32_e32 v3, 2, v3
	v_xor_b32_e32 v9, 2, v7
	s_wait_alu 0xfffd
	v_cndmask_b32_e32 v8, v7, v8, vcc_lo
	s_delay_alu instid0(VALU_DEP_2) | instskip(SKIP_1) | instid1(VALU_DEP_2)
	v_cmp_gt_i32_e32 vcc_lo, 32, v9
	s_wait_alu 0xfffd
	v_dual_cndmask_b32 v9, v7, v9 :: v_dual_lshlrev_b32 v8, 2, v8
	v_cmp_eq_u32_e32 vcc_lo, 0, v14
	s_delay_alu instid0(VALU_DEP_2) | instskip(SKIP_3) | instid1(VALU_DEP_1)
	v_lshlrev_b32_e32 v15, 2, v9
	v_lshlrev_b32_e32 v9, 2, v11
	s_wait_dscnt 0x0
	v_max_num_f32_e32 v1, v1, v1
	v_max_num_f32_e32 v1, v4, v1
	ds_bpermute_b32 v4, v3, v1
	s_wait_dscnt 0x0
	v_max_num_f32_e32 v4, v4, v4
	s_delay_alu instid0(VALU_DEP_1) | instskip(SKIP_3) | instid1(VALU_DEP_1)
	v_max_num_f32_e32 v1, v1, v4
	ds_bpermute_b32 v4, v8, v1
	s_wait_dscnt 0x0
	v_max_num_f32_e32 v4, v4, v4
	v_max_num_f32_e32 v1, v1, v4
	ds_bpermute_b32 v4, v15, v1
	s_and_saveexec_b32 s0, vcc_lo
	s_cbranch_execz .LBB209_23
; %bb.22:
	s_wait_dscnt 0x0
	v_dual_max_num_f32 v4, v4, v4 :: v_dual_max_num_f32 v1, v1, v1
	s_delay_alu instid0(VALU_DEP_1)
	v_max_num_f32_e32 v1, v1, v4
	ds_store_b32 v9, v1 offset:320
.LBB209_23:
	s_or_b32 exec_lo, exec_lo, s0
	v_cmp_gt_u32_e64 s0, 4, v14
	v_dual_mov_b32 v1, 0xff7fffff :: v_dual_lshlrev_b32 v10, 2, v14
	s_wait_loadcnt_dscnt 0x0
	s_barrier_signal -1
	s_barrier_wait -1
	global_inv scope:SCOPE_SE
	s_and_saveexec_b32 s1, s0
; %bb.24:
	ds_load_b32 v1, v10 offset:320
; %bb.25:
	s_or_b32 exec_lo, exec_lo, s1
	s_wait_dscnt 0x0
	ds_bpermute_b32 v4, v15, v1
	v_xor_b32_e32 v16, 1, v7
	v_max_num_f32_e32 v1, v1, v1
	s_delay_alu instid0(VALU_DEP_2) | instskip(NEXT) | instid1(VALU_DEP_1)
	v_cmp_gt_i32_e64 s1, 32, v16
	v_cndmask_b32_e64 v7, v7, v16, s1
	s_sub_co_i32 s1, s23, s39
	s_wait_alu 0xfffe
	s_lshl_b32 s1, s1, 4
	s_wait_alu 0xfffe
	s_add_co_i32 s1, s1, s36
	s_wait_alu 0xfffe
	s_min_i32 s1, s1, s34
	s_wait_alu 0xfffe
	s_sub_co_i32 s18, s1, s36
	s_wait_dscnt 0x0
	v_max_num_f32_e32 v4, v4, v4
	v_lshlrev_b32_e32 v16, 2, v7
	s_wait_alu 0xfffe
	v_cmp_gt_i32_e64 s1, s18, v0
	v_mov_b32_e32 v7, 0
	v_max_num_f32_e32 v1, v1, v4
	ds_bpermute_b32 v4, v16, v1
	s_wait_dscnt 0x0
	v_max_num_f32_e32 v4, v4, v4
	s_delay_alu instid0(VALU_DEP_1)
	v_max_num_f32_e32 v1, v1, v4
	v_lshl_add_u32 v4, v0, 2, 0x160
	ds_bpermute_b32 v1, v7, v1
	s_and_saveexec_b32 s29, s1
	s_cbranch_execz .LBB209_29
; %bb.26:
	v_lshl_add_u32 v17, v0, 2, 0x160
	v_dual_mov_b32 v7, 0 :: v_dual_mov_b32 v18, v0
	s_mov_b32 s36, 0
.LBB209_27:                             ; =>This Inner Loop Header: Depth=1
	ds_load_b32 v19, v17
	v_add_nc_u32_e32 v18, 0x80, v18
	s_delay_alu instid0(VALU_DEP_1) | instskip(SKIP_4) | instid1(VALU_DEP_1)
	v_cmp_le_i32_e64 s3, s18, v18
	s_wait_alu 0xfffe
	s_or_b32 s36, s3, s36
	s_wait_dscnt 0x0
	v_sub_f32_e32 v19, v19, v1
	v_mul_f32_e32 v19, 0x3fb8aa3b, v19
	s_delay_alu instid0(VALU_DEP_1)
	v_exp_f32_e32 v19, v19
	ds_store_b32 v17, v19
	v_add_f32_e32 v7, v7, v19
	v_add_nc_u32_e32 v17, 0x200, v17
	s_wait_alu 0xfffe
	s_and_not1_b32 exec_lo, exec_lo, s36
	s_cbranch_execnz .LBB209_27
; %bb.28:
	s_or_b32 exec_lo, exec_lo, s36
.LBB209_29:
	s_wait_alu 0xfffe
	s_or_b32 exec_lo, exec_lo, s29
	ds_bpermute_b32 v2, v2, v7
	s_wait_dscnt 0x0
	v_add_f32_e32 v2, v7, v2
	ds_bpermute_b32 v3, v3, v2
	s_wait_dscnt 0x0
	v_add_f32_e32 v2, v2, v3
	;; [unrolled: 3-line block ×5, first 2 shown]
	s_and_saveexec_b32 s3, vcc_lo
; %bb.30:
	ds_store_b32 v9, v2 offset:336
; %bb.31:
	s_wait_alu 0xfffe
	s_or_b32 exec_lo, exec_lo, s3
	s_wait_loadcnt_dscnt 0x0
	s_barrier_signal -1
	s_barrier_wait -1
	global_inv scope:SCOPE_SE
	s_and_saveexec_b32 s3, s0
; %bb.32:
	ds_load_b32 v2, v10 offset:336
; %bb.33:
	s_wait_alu 0xfffe
	s_or_b32 exec_lo, exec_lo, s3
	s_wait_dscnt 0x0
	ds_bpermute_b32 v3, v15, v2
	s_wait_dscnt 0x0
	v_add_f32_e32 v2, v2, v3
	ds_bpermute_b32 v3, v16, v2
	s_wait_dscnt 0x0
	v_dual_add_f32 v2, v2, v3 :: v_dual_mov_b32 v3, 0
	ds_bpermute_b32 v2, v3, v2
	s_and_saveexec_b32 s0, s1
	s_cbranch_execz .LBB209_36
; %bb.34:
	s_wait_dscnt 0x0
	v_add_f32_e32 v3, 0x358637bd, v2
	s_mov_b32 s1, 0
	s_delay_alu instid0(VALU_DEP_1) | instskip(NEXT) | instid1(VALU_DEP_1)
	v_div_scale_f32 v7, null, v3, v3, 1.0
	v_rcp_f32_e32 v8, v7
	s_delay_alu instid0(TRANS32_DEP_1) | instskip(NEXT) | instid1(VALU_DEP_1)
	v_fma_f32 v9, -v7, v8, 1.0
	v_fmac_f32_e32 v8, v9, v8
	v_div_scale_f32 v10, vcc_lo, 1.0, v3, 1.0
	s_delay_alu instid0(VALU_DEP_1) | instskip(NEXT) | instid1(VALU_DEP_1)
	v_mul_f32_e32 v9, v10, v8
	v_fma_f32 v17, -v7, v9, v10
	s_delay_alu instid0(VALU_DEP_1) | instskip(NEXT) | instid1(VALU_DEP_1)
	v_fmac_f32_e32 v9, v17, v8
	v_fma_f32 v7, -v7, v9, v10
	s_wait_alu 0xfffd
	s_delay_alu instid0(VALU_DEP_1) | instskip(NEXT) | instid1(VALU_DEP_1)
	v_div_fmas_f32 v7, v7, v8, v9
	v_div_fixup_f32 v3, v7, v3, 1.0
	v_mov_b32_e32 v7, v0
.LBB209_35:                             ; =>This Inner Loop Header: Depth=1
	ds_load_b32 v8, v4
	s_wait_dscnt 0x0
	v_dual_mul_f32 v8, v3, v8 :: v_dual_add_nc_u32 v7, 0x80, v7
	s_delay_alu instid0(VALU_DEP_1)
	v_cmp_le_i32_e32 vcc_lo, s18, v7
	ds_store_b32 v4, v8
	v_add_nc_u32_e32 v4, 0x200, v4
	s_wait_alu 0xfffe
	s_or_b32 s1, vcc_lo, s1
	s_wait_alu 0xfffe
	s_and_not1_b32 exec_lo, exec_lo, s1
	s_cbranch_execnz .LBB209_35
.LBB209_36:
	s_wait_alu 0xfffe
	s_or_b32 exec_lo, exec_lo, s0
	s_mul_i32 s0, s12, s19
	s_wait_loadcnt_dscnt 0x0
	s_wait_alu 0xfffe
	s_mul_i32 s18, s0, s35
	s_mov_b32 s0, exec_lo
	s_barrier_signal -1
	s_barrier_wait -1
	global_inv scope:SCOPE_SE
	v_cmpx_eq_u32_e32 0, v0
	s_cbranch_execz .LBB209_38
; %bb.37:
	s_wait_alu 0xfffe
	s_ashr_i32 s19, s18, 31
	s_mul_i32 s40, s12, ttmp9
	s_lshl_b32 s1, s33, 2
	s_wait_alu 0xfffe
	s_lshl_b64 s[42:43], s[18:19], 2
	s_ashr_i32 s41, s40, 31
	v_mov_b32_e32 v3, s1
	s_wait_kmcnt 0x0
	s_wait_alu 0xfffe
	s_add_nc_u64 s[6:7], s[6:7], s[42:43]
	s_lshl_b64 s[40:41], s[40:41], 2
	s_add_nc_u64 s[4:5], s[4:5], s[42:43]
	s_wait_alu 0xfffe
	s_add_nc_u64 s[6:7], s[6:7], s[40:41]
	s_add_nc_u64 s[4:5], s[4:5], s[40:41]
	s_clause 0x1
	global_store_b32 v3, v1, s[6:7]
	global_store_b32 v3, v2, s[4:5]
.LBB209_38:
	s_wait_alu 0xfffe
	s_or_b32 exec_lo, exec_lo, s0
	v_dual_mov_b32 v26, 0 :: v_dual_and_b32 v17, 3, v0
	v_dual_mov_b32 v27, 0 :: v_dual_mov_b32 v24, 0
	v_dual_mov_b32 v25, 0 :: v_dual_mov_b32 v22, 0
	v_dual_mov_b32 v23, 0 :: v_dual_mov_b32 v20, 0
	v_dual_mov_b32 v21, 0 :: v_dual_mov_b32 v18, 0
	v_mov_b32_e32 v19, 0
	s_and_saveexec_b32 s1, s2
	s_cbranch_execz .LBB209_64
; %bb.39:
	s_abs_i32 s2, s14
	v_dual_mov_b32 v18, 0 :: v_dual_lshlrev_b32 v3, 4, v17
	s_wait_alu 0xfffe
	s_cvt_f32_u32 s0, s2
	s_wait_kmcnt 0x0
	s_lshl_b64 s[6:7], s[26:27], 2
	v_dual_mov_b32 v21, 0 :: v_dual_and_b32 v2, 0x7c, v5
	s_wait_alu 0xfffe
	v_rcp_iflag_f32_e32 v1, s0
	s_ashr_i32 s29, s28, 31
	s_add_nc_u64 s[6:7], s[24:25], s[6:7]
	v_dual_mov_b32 v19, 0 :: v_dual_and_b32 v28, 12, v5
	s_wait_alu 0xfffe
	s_add_nc_u64 s[26:27], s[30:31], s[28:29]
	v_add_co_u32 v5, s6, s6, v6
	s_sub_co_i32 s5, 0, s2
	v_add_co_ci_u32_e64 v6, null, s7, 0, s6
	s_delay_alu instid0(TRANS32_DEP_1)
	v_readfirstlane_b32 s0, v1
	v_lshl_or_b32 v1, v11, 6, v3
	v_add_co_u32 v7, s6, s26, v2
	s_wait_alu 0xf1ff
	v_add_co_ci_u32_e64 v8, null, s27, 0, s6
	s_mul_f32 s0, s0, 0x4f7ffffe
	v_dual_mov_b32 v20, 0 :: v_dual_add_nc_u32 v29, 0x160, v1
	v_dual_mov_b32 v22, 0 :: v_dual_mov_b32 v23, 0
	s_wait_alu 0xfffe
	s_cvt_u32_f32 s0, s0
	v_dual_mov_b32 v24, 0 :: v_dual_mov_b32 v25, 0
	v_dual_mov_b32 v27, 0 :: v_dual_mov_b32 v26, 0
	s_wait_alu 0xfffe
	s_mul_i32 s5, s5, s0
	s_sub_co_i32 s3, s38, s13
	s_wait_alu 0xfffe
	s_mul_hi_u32 s6, s0, s5
	s_mov_b32 s4, s17
	s_add_co_i32 s37, s37, -1
	s_mov_b32 s5, 0
	s_wait_alu 0xfffe
	s_add_co_i32 s6, s0, s6
	s_branch .LBB209_42
.LBB209_40:                             ;   in Loop: Header=BB209_42 Depth=1
	s_wait_alu 0xfffe
	s_or_b32 exec_lo, exec_lo, s0
	s_wait_dscnt 0x0
	v_mul_f32_e32 v44, v1, v57
	v_mul_f32_e32 v43, v1, v61
	s_delay_alu instid0(VALU_DEP_2) | instskip(NEXT) | instid1(VALU_DEP_2)
	v_dual_mul_f32 v33, v1, v33 :: v_dual_fmac_f32 v44, v2, v56
	v_dual_mul_f32 v42, v1, v66 :: v_dual_fmac_f32 v43, v2, v60
	v_mul_f32_e32 v41, v1, v71
	s_delay_alu instid0(VALU_DEP_3) | instskip(NEXT) | instid1(VALU_DEP_3)
	v_dual_fmac_f32 v33, v2, v32 :: v_dual_fmac_f32 v44, v3, v55
	v_dual_fmac_f32 v42, v2, v64 :: v_dual_mul_f32 v53, v1, v53
	s_delay_alu instid0(VALU_DEP_3) | instskip(NEXT) | instid1(VALU_DEP_3)
	v_fmac_f32_e32 v41, v2, v70
	v_fmac_f32_e32 v33, v3, v31
	s_delay_alu instid0(VALU_DEP_4) | instskip(NEXT) | instid1(VALU_DEP_4)
	v_dual_fmac_f32 v43, v3, v59 :: v_dual_fmac_f32 v44, v4, v54
	v_dual_fmac_f32 v42, v3, v63 :: v_dual_fmac_f32 v53, v2, v52
	s_delay_alu instid0(VALU_DEP_4) | instskip(NEXT) | instid1(VALU_DEP_4)
	v_fmac_f32_e32 v41, v3, v69
	v_fmac_f32_e32 v33, v4, v30
	s_delay_alu instid0(VALU_DEP_4) | instskip(NEXT) | instid1(VALU_DEP_4)
	v_dual_fmac_f32 v43, v4, v58 :: v_dual_add_f32 v22, v22, v44
	v_dual_fmac_f32 v42, v4, v62 :: v_dual_fmac_f32 v53, v3, v51
	s_delay_alu instid0(VALU_DEP_3) | instskip(NEXT) | instid1(VALU_DEP_2)
	v_dual_fmac_f32 v41, v4, v68 :: v_dual_add_f32 v26, v26, v33
	v_add_f32_e32 v20, v20, v42
	s_delay_alu instid0(VALU_DEP_3) | instskip(NEXT) | instid1(VALU_DEP_1)
	v_dual_mul_f32 v42, v1, v45 :: v_dual_fmac_f32 v53, v4, v50
	v_dual_fmac_f32 v42, v2, v40 :: v_dual_mul_f32 v37, v1, v37
	s_delay_alu instid0(VALU_DEP_2) | instskip(NEXT) | instid1(VALU_DEP_2)
	v_add_f32_e32 v23, v23, v53
	v_fmac_f32_e32 v42, v3, v39
	v_add_f32_e32 v19, v19, v41
	v_mul_f32_e32 v41, v1, v49
	v_mul_f32_e32 v1, v1, v67
	s_delay_alu instid0(VALU_DEP_4) | instskip(NEXT) | instid1(VALU_DEP_3)
	v_dual_fmac_f32 v37, v2, v36 :: v_dual_fmac_f32 v42, v4, v38
	v_fmac_f32_e32 v41, v2, v48
	s_delay_alu instid0(VALU_DEP_3) | instskip(NEXT) | instid1(VALU_DEP_3)
	v_fmac_f32_e32 v1, v2, v65
	v_fmac_f32_e32 v37, v3, v35
	s_delay_alu instid0(VALU_DEP_4) | instskip(NEXT) | instid1(VALU_DEP_3)
	v_add_f32_e32 v25, v25, v42
	v_fmac_f32_e32 v1, v3, v10
	s_delay_alu instid0(VALU_DEP_3) | instskip(NEXT) | instid1(VALU_DEP_2)
	v_fmac_f32_e32 v37, v4, v34
	v_fmac_f32_e32 v1, v4, v9
	;; [unrolled: 1-line block ×3, first 2 shown]
	s_delay_alu instid0(VALU_DEP_3) | instskip(NEXT) | instid1(VALU_DEP_2)
	v_add_f32_e32 v27, v27, v37
	v_dual_add_f32 v18, v18, v1 :: v_dual_fmac_f32 v41, v4, v46
	s_delay_alu instid0(VALU_DEP_1)
	v_dual_add_f32 v21, v21, v43 :: v_dual_add_f32 v24, v24, v41
.LBB209_41:                             ;   in Loop: Header=BB209_42 Depth=1
	s_wait_alu 0xfffe
	s_or_b32 exec_lo, exec_lo, s7
	v_add_nc_u32_e32 v13, 4, v13
	v_add_co_u32 v5, s0, v5, 16
	s_wait_alu 0xf1ff
	v_add_co_ci_u32_e64 v6, null, 0, v6, s0
	s_delay_alu instid0(VALU_DEP_3)
	v_cmp_le_i32_e32 vcc_lo, s23, v13
	v_add_nc_u32_e32 v12, 64, v12
	v_add_nc_u32_e32 v29, 0x100, v29
	s_or_b32 s5, vcc_lo, s5
	s_wait_alu 0xfffe
	s_and_not1_b32 exec_lo, exec_lo, s5
	s_cbranch_execz .LBB209_63
.LBB209_42:                             ; =>This Inner Loop Header: Depth=1
	v_sub_nc_u32_e32 v1, 0, v12
	s_delay_alu instid0(VALU_DEP_1) | instskip(NEXT) | instid1(VALU_DEP_1)
	v_max_i32_e32 v1, v12, v1
	v_mul_hi_u32 v2, v1, s22
	s_delay_alu instid0(VALU_DEP_1) | instskip(NEXT) | instid1(VALU_DEP_1)
	v_mul_lo_u32 v3, v2, s16
	v_sub_nc_u32_e32 v1, v1, v3
	v_add_nc_u32_e32 v3, 1, v2
	s_delay_alu instid0(VALU_DEP_2) | instskip(SKIP_2) | instid1(VALU_DEP_2)
	v_subrev_nc_u32_e32 v4, s16, v1
	v_cmp_le_u32_e32 vcc_lo, s16, v1
	s_wait_alu 0xfffd
	v_dual_cndmask_b32 v2, v2, v3 :: v_dual_cndmask_b32 v1, v1, v4
	v_ashrrev_i32_e32 v3, 31, v12
	s_delay_alu instid0(VALU_DEP_2) | instskip(NEXT) | instid1(VALU_DEP_3)
	v_add_nc_u32_e32 v4, 1, v2
	v_cmp_le_u32_e32 vcc_lo, s16, v1
	s_delay_alu instid0(VALU_DEP_3) | instskip(SKIP_1) | instid1(VALU_DEP_3)
	v_xor_b32_e32 v3, s15, v3
	s_wait_alu 0xfffd
	v_cndmask_b32_e32 v1, v2, v4, vcc_lo
	s_delay_alu instid0(VALU_DEP_1) | instskip(NEXT) | instid1(VALU_DEP_1)
	v_xor_b32_e32 v1, v1, v3
	v_sub_nc_u32_e32 v1, v1, v3
	s_delay_alu instid0(VALU_DEP_1) | instskip(SKIP_1) | instid1(VALU_DEP_2)
	v_add_nc_u32_e32 v2, s21, v1
	v_cmp_lt_i32_e64 s0, s3, v1
	v_sub_nc_u32_e32 v3, 0, v2
	s_delay_alu instid0(VALU_DEP_1) | instskip(SKIP_1) | instid1(VALU_DEP_1)
	v_max_i32_e32 v3, v2, v3
	s_wait_alu 0xfffe
	v_mul_hi_u32 v4, v3, s6
	s_delay_alu instid0(VALU_DEP_1) | instskip(NEXT) | instid1(VALU_DEP_1)
	v_mul_lo_u32 v4, v4, s2
	v_sub_nc_u32_e32 v3, v3, v4
	s_delay_alu instid0(VALU_DEP_1) | instskip(SKIP_2) | instid1(VALU_DEP_2)
	v_subrev_nc_u32_e32 v4, s2, v3
	v_cmp_le_u32_e32 vcc_lo, s2, v3
	s_wait_alu 0xfffd
	v_cndmask_b32_e32 v3, v3, v4, vcc_lo
	v_ashrrev_i32_e32 v2, 31, v2
	s_delay_alu instid0(VALU_DEP_2) | instskip(SKIP_2) | instid1(VALU_DEP_2)
	v_subrev_nc_u32_e32 v4, s2, v3
	v_cmp_le_u32_e32 vcc_lo, s2, v3
	s_wait_alu 0xfffd
	v_cndmask_b32_e32 v3, v3, v4, vcc_lo
	s_delay_alu instid0(VALU_DEP_1) | instskip(NEXT) | instid1(VALU_DEP_1)
	v_xor_b32_e32 v3, v3, v2
	v_sub_nc_u32_e32 v2, v3, v2
	s_delay_alu instid0(VALU_DEP_1)
	v_cmp_eq_u32_e32 vcc_lo, 0, v2
	s_or_b32 s0, vcc_lo, s0
	s_wait_alu 0xfffe
	s_and_saveexec_b32 s7, s0
	s_cbranch_execz .LBB209_41
; %bb.43:                               ;   in Loop: Header=BB209_42 Depth=1
	global_load_b32 v1, v[5:6], off
	s_load_b32 s13, s[10:11], 0x0
	v_cmp_eq_u32_e32 vcc_lo, s37, v13
	s_wait_loadcnt 0x0
	v_mad_co_i64_i32 v[9:10], null, v1, s4, v[7:8]
	ds_load_b128 v[1:4], v29
	global_load_b32 v30, v[9:10], off
	s_wait_loadcnt 0x0
	v_lshrrev_b32_e32 v32, 16, v30
	s_delay_alu instid0(VALU_DEP_1) | instskip(SKIP_1) | instid1(VALU_DEP_1)
	v_cvt_pk_f32_fp8_e32 v[34:35], v32
	v_and_b32_e32 v31, 0xffff, v30
	v_cvt_pk_f32_fp8_e32 v[30:31], v31
	s_wait_kmcnt 0x0
	s_delay_alu instid0(VALU_DEP_1) | instskip(NEXT) | instid1(VALU_DEP_1)
	v_dual_mul_f32 v32, s13, v31 :: v_dual_add_nc_u32 v41, v28, v12
	v_add_nc_u32_e32 v43, 1, v41
	s_delay_alu instid0(VALU_DEP_3)
	v_dual_mul_f32 v33, s13, v30 :: v_dual_add_nc_u32 v42, 2, v41
	v_dual_mul_f32 v31, s13, v34 :: v_dual_add_nc_u32 v44, 3, v41
	v_mul_f32_e32 v30, s13, v35
	s_and_saveexec_b32 s14, vcc_lo
	s_cbranch_execz .LBB209_45
; %bb.44:                               ;   in Loop: Header=BB209_42 Depth=1
	v_cmp_gt_i32_e64 s0, s34, v41
	s_wait_alu 0xf1ff
	s_delay_alu instid0(VALU_DEP_1) | instskip(SKIP_2) | instid1(VALU_DEP_1)
	v_cndmask_b32_e64 v33, 0, v33, s0
	v_cmp_gt_i32_e64 s0, s34, v43
	s_wait_alu 0xf1ff
	v_cndmask_b32_e64 v32, 0, v32, s0
	v_cmp_gt_i32_e64 s0, s34, v42
	s_wait_alu 0xf1ff
	s_delay_alu instid0(VALU_DEP_1) | instskip(SKIP_2) | instid1(VALU_DEP_1)
	v_cndmask_b32_e64 v31, 0, v31, s0
	v_cmp_gt_i32_e64 s0, s34, v44
	s_wait_alu 0xf1ff
	v_cndmask_b32_e64 v30, 0, v30, s0
.LBB209_45:                             ;   in Loop: Header=BB209_42 Depth=1
	s_wait_alu 0xfffe
	s_or_b32 exec_lo, exec_lo, s14
	global_load_b32 v34, v[9:10], off offset:128
	s_mov_b32 s14, s13
	s_wait_loadcnt 0x0
	v_lshrrev_b32_e32 v36, 16, v34
	s_delay_alu instid0(VALU_DEP_1) | instskip(SKIP_1) | instid1(VALU_DEP_1)
	v_cvt_pk_f32_fp8_e32 v[38:39], v36
	v_and_b32_e32 v35, 0xffff, v34
	v_cvt_pk_f32_fp8_e32 v[34:35], v35
	s_wait_alu 0xfffe
	s_delay_alu instid0(VALU_DEP_1)
	v_dual_mul_f32 v37, s13, v34 :: v_dual_mul_f32 v36, s14, v35
	v_dual_mul_f32 v35, s13, v38 :: v_dual_mul_f32 v34, s14, v39
	s_and_saveexec_b32 s17, vcc_lo
	s_cbranch_execz .LBB209_47
; %bb.46:                               ;   in Loop: Header=BB209_42 Depth=1
	v_cmp_gt_i32_e64 s0, s34, v41
	s_wait_alu 0xf1ff
	s_delay_alu instid0(VALU_DEP_1) | instskip(SKIP_2) | instid1(VALU_DEP_1)
	v_cndmask_b32_e64 v37, 0, v37, s0
	v_cmp_gt_i32_e64 s0, s34, v43
	s_wait_alu 0xf1ff
	v_cndmask_b32_e64 v36, 0, v36, s0
	v_cmp_gt_i32_e64 s0, s34, v42
	s_wait_alu 0xf1ff
	s_delay_alu instid0(VALU_DEP_1) | instskip(SKIP_2) | instid1(VALU_DEP_1)
	v_cndmask_b32_e64 v35, 0, v35, s0
	v_cmp_gt_i32_e64 s0, s34, v44
	s_wait_alu 0xf1ff
	v_cndmask_b32_e64 v34, 0, v34, s0
.LBB209_47:                             ;   in Loop: Header=BB209_42 Depth=1
	s_wait_alu 0xfffe
	s_or_b32 exec_lo, exec_lo, s17
	global_load_b32 v38, v[9:10], off offset:256
	s_wait_loadcnt 0x0
	v_lshrrev_b32_e32 v40, 16, v38
	s_delay_alu instid0(VALU_DEP_1) | instskip(SKIP_1) | instid1(VALU_DEP_1)
	v_cvt_pk_f32_fp8_e32 v[46:47], v40
	v_and_b32_e32 v39, 0xffff, v38
	v_cvt_pk_f32_fp8_e32 v[38:39], v39
	s_delay_alu instid0(VALU_DEP_1) | instskip(NEXT) | instid1(VALU_DEP_4)
	v_dual_mul_f32 v45, s13, v38 :: v_dual_mul_f32 v40, s14, v39
	v_dual_mul_f32 v39, s13, v46 :: v_dual_mul_f32 v38, s14, v47
	s_and_saveexec_b32 s17, vcc_lo
	s_cbranch_execz .LBB209_49
; %bb.48:                               ;   in Loop: Header=BB209_42 Depth=1
	v_cmp_gt_i32_e64 s0, s34, v41
	s_wait_alu 0xf1ff
	s_delay_alu instid0(VALU_DEP_1) | instskip(SKIP_2) | instid1(VALU_DEP_1)
	v_cndmask_b32_e64 v45, 0, v45, s0
	v_cmp_gt_i32_e64 s0, s34, v43
	s_wait_alu 0xf1ff
	v_cndmask_b32_e64 v40, 0, v40, s0
	v_cmp_gt_i32_e64 s0, s34, v42
	s_wait_alu 0xf1ff
	s_delay_alu instid0(VALU_DEP_1) | instskip(SKIP_2) | instid1(VALU_DEP_1)
	v_cndmask_b32_e64 v39, 0, v39, s0
	v_cmp_gt_i32_e64 s0, s34, v44
	s_wait_alu 0xf1ff
	v_cndmask_b32_e64 v38, 0, v38, s0
.LBB209_49:                             ;   in Loop: Header=BB209_42 Depth=1
	s_wait_alu 0xfffe
	s_or_b32 exec_lo, exec_lo, s17
	global_load_b32 v46, v[9:10], off offset:384
	s_wait_loadcnt 0x0
	v_lshrrev_b32_e32 v48, 16, v46
	s_delay_alu instid0(VALU_DEP_1) | instskip(SKIP_1) | instid1(VALU_DEP_1)
	v_cvt_pk_f32_fp8_e32 v[50:51], v48
	v_and_b32_e32 v47, 0xffff, v46
	v_cvt_pk_f32_fp8_e32 v[46:47], v47
	s_delay_alu instid0(VALU_DEP_1) | instskip(NEXT) | instid1(VALU_DEP_4)
	;; [unrolled: 30-line block ×5, first 2 shown]
	v_dual_mul_f32 v61, s13, v58 :: v_dual_mul_f32 v60, s14, v59
	v_dual_mul_f32 v59, s13, v62 :: v_dual_mul_f32 v58, s14, v63
	s_and_saveexec_b32 s17, vcc_lo
	s_cbranch_execz .LBB209_57
; %bb.56:                               ;   in Loop: Header=BB209_42 Depth=1
	v_cmp_gt_i32_e64 s0, s34, v41
	s_wait_alu 0xf1ff
	s_delay_alu instid0(VALU_DEP_1) | instskip(SKIP_2) | instid1(VALU_DEP_1)
	v_cndmask_b32_e64 v61, 0, v61, s0
	v_cmp_gt_i32_e64 s0, s34, v43
	s_wait_alu 0xf1ff
	v_cndmask_b32_e64 v60, 0, v60, s0
	v_cmp_gt_i32_e64 s0, s34, v42
	s_wait_alu 0xf1ff
	s_delay_alu instid0(VALU_DEP_1) | instskip(SKIP_2) | instid1(VALU_DEP_1)
	v_cndmask_b32_e64 v59, 0, v59, s0
	v_cmp_gt_i32_e64 s0, s34, v44
	s_wait_alu 0xf1ff
	v_cndmask_b32_e64 v58, 0, v58, s0
.LBB209_57:                             ;   in Loop: Header=BB209_42 Depth=1
	s_wait_alu 0xfffe
	s_or_b32 exec_lo, exec_lo, s17
	global_load_b32 v62, v[9:10], off offset:896
	s_wait_loadcnt 0x0
	v_lshrrev_b32_e32 v64, 16, v62
	s_delay_alu instid0(VALU_DEP_1) | instskip(SKIP_1) | instid1(VALU_DEP_1)
	v_cvt_pk_f32_fp8_e32 v[67:68], v64
	v_and_b32_e32 v63, 0xffff, v62
	v_cvt_pk_f32_fp8_e32 v[62:63], v63
	s_delay_alu instid0(VALU_DEP_1) | instskip(NEXT) | instid1(VALU_DEP_2)
	v_mul_f32_e32 v66, s13, v62
	v_mul_f32_e32 v64, s14, v63
	v_dual_mul_f32 v63, s13, v67 :: v_dual_mul_f32 v62, s14, v68
	s_and_saveexec_b32 s17, vcc_lo
	s_cbranch_execz .LBB209_59
; %bb.58:                               ;   in Loop: Header=BB209_42 Depth=1
	v_cmp_gt_i32_e64 s0, s34, v41
	s_wait_alu 0xf1ff
	s_delay_alu instid0(VALU_DEP_1) | instskip(SKIP_2) | instid1(VALU_DEP_1)
	v_cndmask_b32_e64 v66, 0, v66, s0
	v_cmp_gt_i32_e64 s0, s34, v43
	s_wait_alu 0xf1ff
	v_cndmask_b32_e64 v64, 0, v64, s0
	v_cmp_gt_i32_e64 s0, s34, v42
	s_wait_alu 0xf1ff
	s_delay_alu instid0(VALU_DEP_1) | instskip(SKIP_2) | instid1(VALU_DEP_1)
	v_cndmask_b32_e64 v63, 0, v63, s0
	v_cmp_gt_i32_e64 s0, s34, v44
	s_wait_alu 0xf1ff
	v_cndmask_b32_e64 v62, 0, v62, s0
.LBB209_59:                             ;   in Loop: Header=BB209_42 Depth=1
	s_wait_alu 0xfffe
	s_or_b32 exec_lo, exec_lo, s17
	global_load_b32 v65, v[9:10], off offset:1024
	s_wait_loadcnt 0x0
	v_and_b32_e32 v67, 0xffff, v65
	v_lshrrev_b32_e32 v65, 16, v65
	s_delay_alu instid0(VALU_DEP_2) | instskip(NEXT) | instid1(VALU_DEP_2)
	v_cvt_pk_f32_fp8_e32 v[67:68], v67
	v_cvt_pk_f32_fp8_e32 v[72:73], v65
	s_delay_alu instid0(VALU_DEP_2) | instskip(NEXT) | instid1(VALU_DEP_2)
	v_dual_mul_f32 v71, s13, v67 :: v_dual_mul_f32 v70, s14, v68
	v_dual_mul_f32 v69, s13, v72 :: v_dual_mul_f32 v68, s14, v73
	s_and_saveexec_b32 s17, vcc_lo
	s_cbranch_execz .LBB209_61
; %bb.60:                               ;   in Loop: Header=BB209_42 Depth=1
	v_cmp_gt_i32_e64 s0, s34, v41
	s_wait_alu 0xf1ff
	s_delay_alu instid0(VALU_DEP_1) | instskip(SKIP_2) | instid1(VALU_DEP_1)
	v_cndmask_b32_e64 v71, 0, v71, s0
	v_cmp_gt_i32_e64 s0, s34, v43
	s_wait_alu 0xf1ff
	v_cndmask_b32_e64 v70, 0, v70, s0
	v_cmp_gt_i32_e64 s0, s34, v42
	s_wait_alu 0xf1ff
	s_delay_alu instid0(VALU_DEP_1) | instskip(SKIP_2) | instid1(VALU_DEP_1)
	v_cndmask_b32_e64 v69, 0, v69, s0
	v_cmp_gt_i32_e64 s0, s34, v44
	s_wait_alu 0xf1ff
	v_cndmask_b32_e64 v68, 0, v68, s0
.LBB209_61:                             ;   in Loop: Header=BB209_42 Depth=1
	s_wait_alu 0xfffe
	s_or_b32 exec_lo, exec_lo, s17
	global_load_b32 v9, v[9:10], off offset:1152
	s_wait_loadcnt 0x0
	v_and_b32_e32 v10, 0xffff, v9
	v_lshrrev_b32_e32 v65, 16, v9
	s_delay_alu instid0(VALU_DEP_2) | instskip(NEXT) | instid1(VALU_DEP_2)
	v_cvt_pk_f32_fp8_e32 v[9:10], v10
	v_cvt_pk_f32_fp8_e32 v[72:73], v65
	s_delay_alu instid0(VALU_DEP_2) | instskip(NEXT) | instid1(VALU_DEP_2)
	v_mul_f32_e32 v67, s13, v9
	v_dual_mul_f32 v65, s14, v10 :: v_dual_mul_f32 v10, s13, v72
	s_delay_alu instid0(VALU_DEP_3)
	v_mul_f32_e32 v9, s14, v73
	s_and_saveexec_b32 s0, vcc_lo
	s_cbranch_execz .LBB209_40
; %bb.62:                               ;   in Loop: Header=BB209_42 Depth=1
	v_cmp_gt_i32_e32 vcc_lo, s34, v41
	s_wait_alu 0xfffd
	v_cndmask_b32_e32 v67, 0, v67, vcc_lo
	v_cmp_gt_i32_e32 vcc_lo, s34, v43
	s_wait_alu 0xfffd
	v_cndmask_b32_e32 v65, 0, v65, vcc_lo
	v_cmp_gt_i32_e32 vcc_lo, s34, v42
	s_wait_alu 0xfffd
	v_cndmask_b32_e32 v10, 0, v10, vcc_lo
	v_cmp_gt_i32_e32 vcc_lo, s34, v44
	s_wait_alu 0xfffd
	v_cndmask_b32_e32 v9, 0, v9, vcc_lo
	s_branch .LBB209_40
.LBB209_63:
	s_or_b32 exec_lo, exec_lo, s5
.LBB209_64:
	s_wait_alu 0xfffe
	s_or_b32 exec_lo, exec_lo, s1
	ds_bpermute_b32 v1, v15, v26
	ds_bpermute_b32 v2, v15, v27
	;; [unrolled: 1-line block ×10, first 2 shown]
	v_lshrrev_b32_e32 v13, 2, v14
	v_mul_u32_u24_e32 v11, 0x140, v11
	s_mov_b32 s0, exec_lo
	s_wait_storecnt 0x0
	s_wait_loadcnt_dscnt 0x0
	s_barrier_signal -1
	s_barrier_wait -1
	global_inv scope:SCOPE_SE
	v_dual_add_f32 v1, v26, v1 :: v_dual_add_f32 v2, v27, v2
	v_dual_add_f32 v3, v25, v3 :: v_dual_add_f32 v4, v24, v4
	;; [unrolled: 1-line block ×5, first 2 shown]
	ds_bpermute_b32 v15, v16, v1
	ds_bpermute_b32 v18, v16, v2
	;; [unrolled: 1-line block ×10, first 2 shown]
	v_and_b32_e32 v12, 28, v14
	s_wait_dscnt 0x9
	v_dual_add_f32 v1, v1, v15 :: v_dual_and_b32 v14, 0x3c3, v0
	s_delay_alu instid0(VALU_DEP_2)
	v_add_nc_u32_e32 v12, 0x160, v12
	s_wait_dscnt 0x7
	v_dual_add_f32 v2, v2, v18 :: v_dual_add_f32 v3, v3, v19
	s_wait_dscnt 0x5
	v_dual_add_f32 v4, v4, v20 :: v_dual_add_f32 v5, v5, v21
	;; [unrolled: 2-line block ×4, first 2 shown]
	s_wait_dscnt 0x0
	v_add_f32_e32 v10, v10, v16
	v_cmpx_eq_u32_e32 64, v14
	s_cbranch_execz .LBB209_66
; %bb.65:
	v_add_nc_u32_e32 v14, v12, v11
	s_delay_alu instid0(VALU_DEP_1)
	v_add_nc_u32_e32 v15, 0xfffffd80, v14
	v_add_nc_u32_e32 v16, 0xfffffda0, v14
	;; [unrolled: 1-line block ×10, first 2 shown]
	ds_store_b32 v15, v1
	ds_store_b32 v16, v2
	;; [unrolled: 1-line block ×10, first 2 shown]
.LBB209_66:
	s_wait_alu 0xfffe
	s_or_b32 exec_lo, exec_lo, s0
	v_lshlrev_b32_e32 v13, 2, v13
	s_mov_b32 s1, exec_lo
	v_cmp_eq_u32_e32 vcc_lo, 0, v17
	s_wait_loadcnt_dscnt 0x0
	s_barrier_signal -1
	v_add3_u32 v11, 0x160, v11, v13
	s_barrier_wait -1
	global_inv scope:SCOPE_SE
	v_cmpx_gt_u32_e32 64, v0
	s_cbranch_execz .LBB209_79
; %bb.67:
	s_and_saveexec_b32 s0, vcc_lo
	s_cbranch_execnz .LBB209_97
; %bb.68:
	s_wait_alu 0xfffe
	s_or_b32 exec_lo, exec_lo, s0
	s_and_saveexec_b32 s0, vcc_lo
	s_cbranch_execnz .LBB209_98
.LBB209_69:
	s_wait_alu 0xfffe
	s_or_b32 exec_lo, exec_lo, s0
	s_and_saveexec_b32 s0, vcc_lo
	s_cbranch_execnz .LBB209_99
.LBB209_70:
	s_wait_alu 0xfffe
	s_or_b32 exec_lo, exec_lo, s0
	s_and_saveexec_b32 s0, vcc_lo
	s_cbranch_execnz .LBB209_100
.LBB209_71:
	s_wait_alu 0xfffe
	s_or_b32 exec_lo, exec_lo, s0
	s_and_saveexec_b32 s0, vcc_lo
	s_cbranch_execnz .LBB209_101
.LBB209_72:
	s_wait_alu 0xfffe
	s_or_b32 exec_lo, exec_lo, s0
	s_and_saveexec_b32 s0, vcc_lo
	s_cbranch_execnz .LBB209_102
.LBB209_73:
	s_wait_alu 0xfffe
	s_or_b32 exec_lo, exec_lo, s0
	s_and_saveexec_b32 s0, vcc_lo
	s_cbranch_execnz .LBB209_103
.LBB209_74:
	s_wait_alu 0xfffe
	s_or_b32 exec_lo, exec_lo, s0
	s_and_saveexec_b32 s0, vcc_lo
	s_cbranch_execnz .LBB209_104
.LBB209_75:
	s_wait_alu 0xfffe
	s_or_b32 exec_lo, exec_lo, s0
	s_and_saveexec_b32 s0, vcc_lo
	s_cbranch_execnz .LBB209_105
.LBB209_76:
	s_wait_alu 0xfffe
	s_or_b32 exec_lo, exec_lo, s0
	s_and_saveexec_b32 s0, vcc_lo
	s_cbranch_execz .LBB209_78
.LBB209_77:
	ds_load_b32 v13, v11 offset:288
	s_wait_dscnt 0x0
	v_add_f32_e32 v10, v10, v13
.LBB209_78:
	s_wait_alu 0xfffe
	s_or_b32 exec_lo, exec_lo, s0
.LBB209_79:
	s_wait_alu 0xfffe
	s_or_b32 exec_lo, exec_lo, s1
	v_and_b32_e32 v13, 0x3e3, v0
	s_mov_b32 s1, exec_lo
	s_wait_loadcnt 0x0
	s_barrier_signal -1
	s_barrier_wait -1
	global_inv scope:SCOPE_SE
	v_cmpx_eq_u32_e32 32, v13
	s_cbranch_execz .LBB209_81
; %bb.80:
	ds_store_2addr_b32 v12, v1, v2 offset1:8
	ds_store_2addr_b32 v12, v3, v4 offset0:16 offset1:24
	ds_store_2addr_b32 v12, v5, v6 offset0:32 offset1:40
	;; [unrolled: 1-line block ×4, first 2 shown]
.LBB209_81:
	s_wait_alu 0xfffe
	s_or_b32 exec_lo, exec_lo, s1
	s_delay_alu instid0(SALU_CYCLE_1)
	s_mov_b32 s1, exec_lo
	s_wait_loadcnt_dscnt 0x0
	s_barrier_signal -1
	s_barrier_wait -1
	global_inv scope:SCOPE_SE
	v_cmpx_gt_u32_e32 32, v0
	s_cbranch_execz .LBB209_94
; %bb.82:
	s_and_saveexec_b32 s0, vcc_lo
	s_cbranch_execnz .LBB209_106
; %bb.83:
	s_wait_alu 0xfffe
	s_or_b32 exec_lo, exec_lo, s0
	s_and_saveexec_b32 s0, vcc_lo
	s_cbranch_execnz .LBB209_107
.LBB209_84:
	s_wait_alu 0xfffe
	s_or_b32 exec_lo, exec_lo, s0
	s_and_saveexec_b32 s0, vcc_lo
	s_cbranch_execnz .LBB209_108
.LBB209_85:
	s_wait_alu 0xfffe
	s_or_b32 exec_lo, exec_lo, s0
	s_and_saveexec_b32 s0, vcc_lo
	s_cbranch_execnz .LBB209_109
.LBB209_86:
	s_wait_alu 0xfffe
	s_or_b32 exec_lo, exec_lo, s0
	s_and_saveexec_b32 s0, vcc_lo
	s_cbranch_execnz .LBB209_110
.LBB209_87:
	s_wait_alu 0xfffe
	s_or_b32 exec_lo, exec_lo, s0
	s_and_saveexec_b32 s0, vcc_lo
	s_cbranch_execnz .LBB209_111
.LBB209_88:
	s_wait_alu 0xfffe
	s_or_b32 exec_lo, exec_lo, s0
	s_and_saveexec_b32 s0, vcc_lo
	s_cbranch_execnz .LBB209_112
.LBB209_89:
	s_wait_alu 0xfffe
	s_or_b32 exec_lo, exec_lo, s0
	s_and_saveexec_b32 s0, vcc_lo
	s_cbranch_execnz .LBB209_113
.LBB209_90:
	s_wait_alu 0xfffe
	s_or_b32 exec_lo, exec_lo, s0
	s_and_saveexec_b32 s0, vcc_lo
	s_cbranch_execnz .LBB209_114
.LBB209_91:
	s_wait_alu 0xfffe
	s_or_b32 exec_lo, exec_lo, s0
	s_and_saveexec_b32 s0, vcc_lo
	s_cbranch_execz .LBB209_93
.LBB209_92:
	ds_load_b32 v11, v11 offset:288
	s_wait_dscnt 0x0
	v_add_f32_e32 v10, v10, v11
.LBB209_93:
	s_wait_alu 0xfffe
	s_or_b32 exec_lo, exec_lo, s0
.LBB209_94:
	s_wait_alu 0xfffe
	s_or_b32 exec_lo, exec_lo, s1
	s_mov_b32 s1, 0
	s_wait_loadcnt 0x0
	s_barrier_signal -1
	s_barrier_wait -1
	global_inv scope:SCOPE_SE
	s_mov_b32 s0, exec_lo
	v_cmpx_eq_u32_e32 0, v13
	s_cbranch_execz .LBB209_96
; %bb.95:
	s_mul_i32 s2, s18, 0x50
	s_wait_kmcnt 0x0
	s_mul_i32 s4, s12, s20
	s_wait_alu 0xfffe
	s_ashr_i32 s3, s2, 31
	s_ashr_i32 s5, s4, 31
	s_wait_alu 0xfffe
	s_lshl_b64 s[2:3], s[2:3], 2
	s_lshl_b64 s[4:5], s[4:5], 2
	s_wait_alu 0xfffe
	s_add_nc_u64 s[2:3], s[8:9], s[2:3]
	s_mul_i32 s0, s33, 0x140
	s_wait_alu 0xfffe
	s_add_nc_u64 s[2:3], s[2:3], s[4:5]
	s_wait_alu 0xfffe
	s_add_nc_u64 s[0:1], s[2:3], s[0:1]
	s_clause 0x9
	global_store_b32 v0, v1, s[0:1]
	global_store_b32 v0, v2, s[0:1] offset:32
	global_store_b32 v0, v3, s[0:1] offset:64
	;; [unrolled: 1-line block ×9, first 2 shown]
.LBB209_96:
	s_endpgm
.LBB209_97:
	ds_load_b32 v13, v11
	s_wait_dscnt 0x0
	v_add_f32_e32 v1, v1, v13
	s_wait_alu 0xfffe
	s_or_b32 exec_lo, exec_lo, s0
	s_and_saveexec_b32 s0, vcc_lo
	s_cbranch_execz .LBB209_69
.LBB209_98:
	ds_load_b32 v13, v11 offset:32
	s_wait_dscnt 0x0
	v_add_f32_e32 v2, v2, v13
	s_wait_alu 0xfffe
	s_or_b32 exec_lo, exec_lo, s0
	s_and_saveexec_b32 s0, vcc_lo
	s_cbranch_execz .LBB209_70
.LBB209_99:
	ds_load_b32 v13, v11 offset:64
	s_wait_dscnt 0x0
	v_add_f32_e32 v3, v3, v13
	s_wait_alu 0xfffe
	s_or_b32 exec_lo, exec_lo, s0
	s_and_saveexec_b32 s0, vcc_lo
	s_cbranch_execz .LBB209_71
.LBB209_100:
	ds_load_b32 v13, v11 offset:96
	s_wait_dscnt 0x0
	v_add_f32_e32 v4, v4, v13
	s_wait_alu 0xfffe
	s_or_b32 exec_lo, exec_lo, s0
	s_and_saveexec_b32 s0, vcc_lo
	s_cbranch_execz .LBB209_72
.LBB209_101:
	ds_load_b32 v13, v11 offset:128
	s_wait_dscnt 0x0
	v_add_f32_e32 v5, v5, v13
	s_wait_alu 0xfffe
	s_or_b32 exec_lo, exec_lo, s0
	s_and_saveexec_b32 s0, vcc_lo
	s_cbranch_execz .LBB209_73
.LBB209_102:
	ds_load_b32 v13, v11 offset:160
	s_wait_dscnt 0x0
	v_add_f32_e32 v6, v6, v13
	s_wait_alu 0xfffe
	s_or_b32 exec_lo, exec_lo, s0
	s_and_saveexec_b32 s0, vcc_lo
	s_cbranch_execz .LBB209_74
.LBB209_103:
	ds_load_b32 v13, v11 offset:192
	s_wait_dscnt 0x0
	v_add_f32_e32 v7, v7, v13
	s_wait_alu 0xfffe
	s_or_b32 exec_lo, exec_lo, s0
	s_and_saveexec_b32 s0, vcc_lo
	s_cbranch_execz .LBB209_75
.LBB209_104:
	ds_load_b32 v13, v11 offset:224
	s_wait_dscnt 0x0
	v_add_f32_e32 v8, v8, v13
	s_wait_alu 0xfffe
	s_or_b32 exec_lo, exec_lo, s0
	s_and_saveexec_b32 s0, vcc_lo
	s_cbranch_execz .LBB209_76
.LBB209_105:
	ds_load_b32 v13, v11 offset:256
	s_wait_dscnt 0x0
	v_add_f32_e32 v9, v9, v13
	s_wait_alu 0xfffe
	s_or_b32 exec_lo, exec_lo, s0
	s_and_saveexec_b32 s0, vcc_lo
	s_cbranch_execnz .LBB209_77
	s_branch .LBB209_78
.LBB209_106:
	ds_load_b32 v12, v11
	s_wait_dscnt 0x0
	v_add_f32_e32 v1, v1, v12
	s_wait_alu 0xfffe
	s_or_b32 exec_lo, exec_lo, s0
	s_and_saveexec_b32 s0, vcc_lo
	s_cbranch_execz .LBB209_84
.LBB209_107:
	ds_load_b32 v12, v11 offset:32
	s_wait_dscnt 0x0
	v_add_f32_e32 v2, v2, v12
	s_wait_alu 0xfffe
	s_or_b32 exec_lo, exec_lo, s0
	s_and_saveexec_b32 s0, vcc_lo
	s_cbranch_execz .LBB209_85
.LBB209_108:
	ds_load_b32 v12, v11 offset:64
	s_wait_dscnt 0x0
	v_add_f32_e32 v3, v3, v12
	s_wait_alu 0xfffe
	s_or_b32 exec_lo, exec_lo, s0
	s_and_saveexec_b32 s0, vcc_lo
	s_cbranch_execz .LBB209_86
.LBB209_109:
	ds_load_b32 v12, v11 offset:96
	s_wait_dscnt 0x0
	v_add_f32_e32 v4, v4, v12
	s_wait_alu 0xfffe
	s_or_b32 exec_lo, exec_lo, s0
	s_and_saveexec_b32 s0, vcc_lo
	s_cbranch_execz .LBB209_87
.LBB209_110:
	ds_load_b32 v12, v11 offset:128
	s_wait_dscnt 0x0
	v_add_f32_e32 v5, v5, v12
	s_wait_alu 0xfffe
	s_or_b32 exec_lo, exec_lo, s0
	s_and_saveexec_b32 s0, vcc_lo
	s_cbranch_execz .LBB209_88
.LBB209_111:
	ds_load_b32 v12, v11 offset:160
	s_wait_dscnt 0x0
	v_add_f32_e32 v6, v6, v12
	s_wait_alu 0xfffe
	s_or_b32 exec_lo, exec_lo, s0
	s_and_saveexec_b32 s0, vcc_lo
	s_cbranch_execz .LBB209_89
.LBB209_112:
	ds_load_b32 v12, v11 offset:192
	s_wait_dscnt 0x0
	v_add_f32_e32 v7, v7, v12
	s_wait_alu 0xfffe
	s_or_b32 exec_lo, exec_lo, s0
	s_and_saveexec_b32 s0, vcc_lo
	s_cbranch_execz .LBB209_90
.LBB209_113:
	ds_load_b32 v12, v11 offset:224
	s_wait_dscnt 0x0
	v_add_f32_e32 v8, v8, v12
	s_wait_alu 0xfffe
	s_or_b32 exec_lo, exec_lo, s0
	s_and_saveexec_b32 s0, vcc_lo
	s_cbranch_execz .LBB209_91
.LBB209_114:
	ds_load_b32 v12, v11 offset:256
	s_wait_dscnt 0x0
	v_add_f32_e32 v9, v9, v12
	s_wait_alu 0xfffe
	s_or_b32 exec_lo, exec_lo, s0
	s_and_saveexec_b32 s0, vcc_lo
	s_cbranch_execnz .LBB209_92
	s_branch .LBB209_93
	.section	.rodata,"a",@progbits
	.p2align	6, 0x0
	.amdhsa_kernel _ZN4vllm25paged_attention_v2_kernelIfhLi80ELi16ELi128ELNS_18Fp8KVCacheDataTypeE1ELb1ELi512EEEvPfS2_PT_PKS3_PKT0_S9_ifPKiSB_iPKfiiiSD_SD_iiiii
		.amdhsa_group_segment_fixed_size 352
		.amdhsa_private_segment_fixed_size 0
		.amdhsa_kernarg_size 400
		.amdhsa_user_sgpr_count 2
		.amdhsa_user_sgpr_dispatch_ptr 0
		.amdhsa_user_sgpr_queue_ptr 0
		.amdhsa_user_sgpr_kernarg_segment_ptr 1
		.amdhsa_user_sgpr_dispatch_id 0
		.amdhsa_user_sgpr_private_segment_size 0
		.amdhsa_wavefront_size32 1
		.amdhsa_uses_dynamic_stack 0
		.amdhsa_enable_private_segment 0
		.amdhsa_system_sgpr_workgroup_id_x 1
		.amdhsa_system_sgpr_workgroup_id_y 1
		.amdhsa_system_sgpr_workgroup_id_z 1
		.amdhsa_system_sgpr_workgroup_info 0
		.amdhsa_system_vgpr_workitem_id 0
		.amdhsa_next_free_vgpr 84
		.amdhsa_next_free_sgpr 45
		.amdhsa_reserve_vcc 1
		.amdhsa_float_round_mode_32 0
		.amdhsa_float_round_mode_16_64 0
		.amdhsa_float_denorm_mode_32 3
		.amdhsa_float_denorm_mode_16_64 3
		.amdhsa_fp16_overflow 0
		.amdhsa_workgroup_processor_mode 1
		.amdhsa_memory_ordered 1
		.amdhsa_forward_progress 1
		.amdhsa_inst_pref_size 66
		.amdhsa_round_robin_scheduling 0
		.amdhsa_exception_fp_ieee_invalid_op 0
		.amdhsa_exception_fp_denorm_src 0
		.amdhsa_exception_fp_ieee_div_zero 0
		.amdhsa_exception_fp_ieee_overflow 0
		.amdhsa_exception_fp_ieee_underflow 0
		.amdhsa_exception_fp_ieee_inexact 0
		.amdhsa_exception_int_div_zero 0
	.end_amdhsa_kernel
	.section	.text._ZN4vllm25paged_attention_v2_kernelIfhLi80ELi16ELi128ELNS_18Fp8KVCacheDataTypeE1ELb1ELi512EEEvPfS2_PT_PKS3_PKT0_S9_ifPKiSB_iPKfiiiSD_SD_iiiii,"axG",@progbits,_ZN4vllm25paged_attention_v2_kernelIfhLi80ELi16ELi128ELNS_18Fp8KVCacheDataTypeE1ELb1ELi512EEEvPfS2_PT_PKS3_PKT0_S9_ifPKiSB_iPKfiiiSD_SD_iiiii,comdat
.Lfunc_end209:
	.size	_ZN4vllm25paged_attention_v2_kernelIfhLi80ELi16ELi128ELNS_18Fp8KVCacheDataTypeE1ELb1ELi512EEEvPfS2_PT_PKS3_PKT0_S9_ifPKiSB_iPKfiiiSD_SD_iiiii, .Lfunc_end209-_ZN4vllm25paged_attention_v2_kernelIfhLi80ELi16ELi128ELNS_18Fp8KVCacheDataTypeE1ELb1ELi512EEEvPfS2_PT_PKS3_PKT0_S9_ifPKiSB_iPKfiiiSD_SD_iiiii
                                        ; -- End function
	.set _ZN4vllm25paged_attention_v2_kernelIfhLi80ELi16ELi128ELNS_18Fp8KVCacheDataTypeE1ELb1ELi512EEEvPfS2_PT_PKS3_PKT0_S9_ifPKiSB_iPKfiiiSD_SD_iiiii.num_vgpr, 84
	.set _ZN4vllm25paged_attention_v2_kernelIfhLi80ELi16ELi128ELNS_18Fp8KVCacheDataTypeE1ELb1ELi512EEEvPfS2_PT_PKS3_PKT0_S9_ifPKiSB_iPKfiiiSD_SD_iiiii.num_agpr, 0
	.set _ZN4vllm25paged_attention_v2_kernelIfhLi80ELi16ELi128ELNS_18Fp8KVCacheDataTypeE1ELb1ELi512EEEvPfS2_PT_PKS3_PKT0_S9_ifPKiSB_iPKfiiiSD_SD_iiiii.numbered_sgpr, 45
	.set _ZN4vllm25paged_attention_v2_kernelIfhLi80ELi16ELi128ELNS_18Fp8KVCacheDataTypeE1ELb1ELi512EEEvPfS2_PT_PKS3_PKT0_S9_ifPKiSB_iPKfiiiSD_SD_iiiii.num_named_barrier, 0
	.set _ZN4vllm25paged_attention_v2_kernelIfhLi80ELi16ELi128ELNS_18Fp8KVCacheDataTypeE1ELb1ELi512EEEvPfS2_PT_PKS3_PKT0_S9_ifPKiSB_iPKfiiiSD_SD_iiiii.private_seg_size, 0
	.set _ZN4vllm25paged_attention_v2_kernelIfhLi80ELi16ELi128ELNS_18Fp8KVCacheDataTypeE1ELb1ELi512EEEvPfS2_PT_PKS3_PKT0_S9_ifPKiSB_iPKfiiiSD_SD_iiiii.uses_vcc, 1
	.set _ZN4vllm25paged_attention_v2_kernelIfhLi80ELi16ELi128ELNS_18Fp8KVCacheDataTypeE1ELb1ELi512EEEvPfS2_PT_PKS3_PKT0_S9_ifPKiSB_iPKfiiiSD_SD_iiiii.uses_flat_scratch, 0
	.set _ZN4vllm25paged_attention_v2_kernelIfhLi80ELi16ELi128ELNS_18Fp8KVCacheDataTypeE1ELb1ELi512EEEvPfS2_PT_PKS3_PKT0_S9_ifPKiSB_iPKfiiiSD_SD_iiiii.has_dyn_sized_stack, 0
	.set _ZN4vllm25paged_attention_v2_kernelIfhLi80ELi16ELi128ELNS_18Fp8KVCacheDataTypeE1ELb1ELi512EEEvPfS2_PT_PKS3_PKT0_S9_ifPKiSB_iPKfiiiSD_SD_iiiii.has_recursion, 0
	.set _ZN4vllm25paged_attention_v2_kernelIfhLi80ELi16ELi128ELNS_18Fp8KVCacheDataTypeE1ELb1ELi512EEEvPfS2_PT_PKS3_PKT0_S9_ifPKiSB_iPKfiiiSD_SD_iiiii.has_indirect_call, 0
	.section	.AMDGPU.csdata,"",@progbits
; Kernel info:
; codeLenInByte = 8324
; TotalNumSgprs: 47
; NumVgprs: 84
; ScratchSize: 0
; MemoryBound: 0
; FloatMode: 240
; IeeeMode: 1
; LDSByteSize: 352 bytes/workgroup (compile time only)
; SGPRBlocks: 0
; VGPRBlocks: 10
; NumSGPRsForWavesPerEU: 47
; NumVGPRsForWavesPerEU: 84
; Occupancy: 16
; WaveLimiterHint : 1
; COMPUTE_PGM_RSRC2:SCRATCH_EN: 0
; COMPUTE_PGM_RSRC2:USER_SGPR: 2
; COMPUTE_PGM_RSRC2:TRAP_HANDLER: 0
; COMPUTE_PGM_RSRC2:TGID_X_EN: 1
; COMPUTE_PGM_RSRC2:TGID_Y_EN: 1
; COMPUTE_PGM_RSRC2:TGID_Z_EN: 1
; COMPUTE_PGM_RSRC2:TIDIG_COMP_CNT: 0
	.section	.text._ZN4vllm25paged_attention_v2_kernelIfhLi96ELi16ELi128ELNS_18Fp8KVCacheDataTypeE1ELb1ELi512EEEvPfS2_PT_PKS3_PKT0_S9_ifPKiSB_iPKfiiiSD_SD_iiiii,"axG",@progbits,_ZN4vllm25paged_attention_v2_kernelIfhLi96ELi16ELi128ELNS_18Fp8KVCacheDataTypeE1ELb1ELi512EEEvPfS2_PT_PKS3_PKT0_S9_ifPKiSB_iPKfiiiSD_SD_iiiii,comdat
	.protected	_ZN4vllm25paged_attention_v2_kernelIfhLi96ELi16ELi128ELNS_18Fp8KVCacheDataTypeE1ELb1ELi512EEEvPfS2_PT_PKS3_PKT0_S9_ifPKiSB_iPKfiiiSD_SD_iiiii ; -- Begin function _ZN4vllm25paged_attention_v2_kernelIfhLi96ELi16ELi128ELNS_18Fp8KVCacheDataTypeE1ELb1ELi512EEEvPfS2_PT_PKS3_PKT0_S9_ifPKiSB_iPKfiiiSD_SD_iiiii
	.globl	_ZN4vllm25paged_attention_v2_kernelIfhLi96ELi16ELi128ELNS_18Fp8KVCacheDataTypeE1ELb1ELi512EEEvPfS2_PT_PKS3_PKT0_S9_ifPKiSB_iPKfiiiSD_SD_iiiii
	.p2align	8
	.type	_ZN4vllm25paged_attention_v2_kernelIfhLi96ELi16ELi128ELNS_18Fp8KVCacheDataTypeE1ELb1ELi512EEEvPfS2_PT_PKS3_PKT0_S9_ifPKiSB_iPKfiiiSD_SD_iiiii,@function
_ZN4vllm25paged_attention_v2_kernelIfhLi96ELi16ELi128ELNS_18Fp8KVCacheDataTypeE1ELb1ELi512EEEvPfS2_PT_PKS3_PKT0_S9_ifPKiSB_iPKfiiiSD_SD_iiiii: ; @_ZN4vllm25paged_attention_v2_kernelIfhLi96ELi16ELi128ELNS_18Fp8KVCacheDataTypeE1ELb1ELi512EEEvPfS2_PT_PKS3_PKT0_S9_ifPKiSB_iPKfiiiSD_SD_iiiii
; %bb.0:
	s_load_b64 s[2:3], s[0:1], 0x40
	s_and_b32 s19, ttmp7, 0xffff
	s_lshr_b32 s33, ttmp7, 16
	s_lshl_b32 s4, s19, 2
	s_lshl_b32 s36, s33, 9
	s_wait_kmcnt 0x0
	s_load_b32 s34, s[2:3], s4 offset:0x0
	s_wait_kmcnt 0x0
	s_cmp_ge_i32 s36, s34
	s_cbranch_scc1 .LBB210_104
; %bb.1:
	s_clause 0x1
	s_load_b32 s35, s[0:1], 0x90
	s_load_b64 s[6:7], s[0:1], 0x30
	s_wait_kmcnt 0x0
	s_abs_i32 s5, s35
	s_abs_i32 s2, s6
	s_delay_alu instid0(SALU_CYCLE_1) | instskip(SKIP_1) | instid1(SALU_CYCLE_2)
	s_cvt_f32_u32 s3, s2
	s_sub_co_i32 s4, 0, s2
	v_rcp_iflag_f32_e32 v1, s3
	s_delay_alu instid0(TRANS32_DEP_1) | instskip(SKIP_2) | instid1(SALU_CYCLE_2)
	v_readfirstlane_b32 s3, v1
	s_mul_f32 s3, s3, 0x4f7ffffe
	s_wait_alu 0xfffe
	s_cvt_u32_f32 s3, s3
	s_wait_alu 0xfffe
	s_delay_alu instid0(SALU_CYCLE_2) | instskip(NEXT) | instid1(SALU_CYCLE_1)
	s_mul_i32 s4, s4, s3
	s_mul_hi_u32 s4, s3, s4
	s_delay_alu instid0(SALU_CYCLE_1)
	s_add_co_i32 s3, s3, s4
	s_xor_b32 s4, s35, s6
	s_wait_alu 0xfffe
	s_mul_hi_u32 s3, s5, s3
	s_ashr_i32 s4, s4, 31
	s_wait_alu 0xfffe
	s_mul_i32 s8, s3, s2
	s_delay_alu instid0(SALU_CYCLE_1)
	s_sub_co_i32 s5, s5, s8
	s_add_co_i32 s8, s3, 1
	s_sub_co_i32 s9, s5, s2
	s_cmp_ge_u32 s5, s2
	s_cselect_b32 s3, s8, s3
	s_cselect_b32 s5, s9, s5
	s_wait_alu 0xfffe
	s_add_co_i32 s8, s3, 1
	s_cmp_ge_u32 s5, s2
	s_cselect_b32 s2, s8, s3
	s_load_b64 s[8:9], s[0:1], 0x50
	s_xor_b32 s2, s2, s4
	s_mov_b32 s3, 0
	s_wait_alu 0xfffe
	s_sub_co_i32 s11, s2, s4
	s_mov_b32 s30, s3
	s_abs_i32 s10, s11
	s_delay_alu instid0(SALU_CYCLE_1) | instskip(SKIP_1) | instid1(SALU_CYCLE_2)
	s_cvt_f32_u32 s2, s10
	s_wait_alu 0xfffe
	v_rcp_iflag_f32_e32 v1, s2
	s_delay_alu instid0(TRANS32_DEP_1) | instskip(SKIP_2) | instid1(SALU_CYCLE_2)
	v_readfirstlane_b32 s2, v1
	s_mul_f32 s2, s2, 0x4f7ffffe
	s_wait_alu 0xfffe
	s_cvt_u32_f32 s4, s2
	s_sub_co_i32 s2, 0, s10
	s_wait_alu 0xfffe
	s_delay_alu instid0(SALU_CYCLE_1)
	s_mul_i32 s2, s2, s4
	s_wait_alu 0xfffe
	s_mul_hi_u32 s5, s4, s2
	s_abs_i32 s2, ttmp9
	s_add_co_i32 s4, s4, s5
	s_mov_b32 s5, s3
	s_wait_kmcnt 0x0
	s_cmp_eq_u64 s[8:9], 0
	s_cbranch_scc1 .LBB210_3
; %bb.2:
	s_mov_b32 s12, ttmp9
	s_ashr_i32 s13, ttmp9, 31
	s_delay_alu instid0(SALU_CYCLE_1) | instskip(NEXT) | instid1(SALU_CYCLE_1)
	s_lshl_b64 s[12:13], s[12:13], 2
	s_add_nc_u64 s[8:9], s[8:9], s[12:13]
	s_load_b32 s30, s[8:9], 0x0
.LBB210_3:
	s_load_b96 s[16:18], s[0:1], 0x58
	v_and_b32_e32 v1, 1, v0
	v_lshlrev_b32_e32 v5, 2, v0
	s_mul_u64 s[4:5], s[2:3], s[4:5]
	s_ashr_i32 s3, ttmp9, 31
	s_ashr_i32 s4, s11, 31
	s_mul_i32 s20, ttmp9, 0x60
	s_mov_b32 s8, exec_lo
	v_cmpx_gt_u32_e32 48, v0
	s_cbranch_execz .LBB210_5
; %bb.4:
	s_load_b64 s[12:13], s[0:1], 0x18
	s_wait_kmcnt 0x0
	s_mul_i32 s14, s16, s19
	s_ashr_i32 s21, s20, 31
	s_ashr_i32 s15, s14, 31
	v_lshlrev_b32_e32 v2, 3, v0
	s_lshl_b64 s[14:15], s[14:15], 2
	v_and_b32_e32 v4, 0xff8, v5
	s_delay_alu instid0(VALU_DEP_1) | instskip(SKIP_2) | instid1(SALU_CYCLE_1)
	v_mad_u32_u24 v4, 0xc0, v1, v4
	s_add_nc_u64 s[12:13], s[12:13], s[14:15]
	s_lshl_b64 s[14:15], s[20:21], 2
	s_add_nc_u64 s[12:13], s[12:13], s[14:15]
	global_load_b64 v[2:3], v2, s[12:13]
	s_wait_loadcnt 0x0
	ds_store_b64 v4, v[2:3]
.LBB210_5:
	s_or_b32 exec_lo, exec_lo, s8
	s_load_b128 s[12:15], s[0:1], 0x78
	s_mul_i32 s8, s5, s10
	s_xor_b32 s3, s3, s4
	s_sub_co_i32 s2, s2, s8
	s_add_co_i32 s4, s5, 1
	s_wait_alu 0xfffe
	s_sub_co_i32 s8, s2, s10
	s_cmp_ge_u32 s2, s10
                                        ; implicit-def: $sgpr21
	s_cselect_b32 s4, s4, s5
	s_cselect_b32 s2, s8, s2
	s_add_co_i32 s5, s4, 1
	s_wait_alu 0xfffe
	s_cmp_ge_u32 s2, s10
	s_load_b32 s8, s[0:1], 0x88
	s_cselect_b32 s2, s5, s4
	s_add_co_i32 s9, s34, -1
	s_wait_alu 0xfffe
	s_xor_b32 s2, s2, s3
	s_mov_b32 s10, -1
	s_wait_alu 0xfffe
	s_sub_co_i32 s28, s2, s3
	s_wait_dscnt 0x0
	s_barrier_signal -1
	s_wait_kmcnt 0x0
	s_abs_i32 s16, s15
	s_barrier_wait -1
	s_cvt_f32_u32 s4, s16
	global_inv scope:SCOPE_SE
	v_rcp_iflag_f32_e32 v2, s4
	s_delay_alu instid0(TRANS32_DEP_1) | instskip(SKIP_2) | instid1(SALU_CYCLE_2)
	v_readfirstlane_b32 s4, v2
	s_mul_f32 s2, s4, 0x4f7ffffe
	s_wait_alu 0xfffe
	s_cvt_u32_f32 s4, s2
	s_sub_co_i32 s2, 0, s16
	s_wait_alu 0xfffe
	s_delay_alu instid0(SALU_CYCLE_1)
	s_mul_i32 s3, s2, s4
	s_abs_i32 s2, s9
	s_wait_alu 0xfffe
	s_mul_hi_u32 s5, s4, s3
	s_mov_b32 s3, 0
	s_wait_alu 0xfffe
	s_add_co_i32 s22, s4, s5
	s_cmp_lt_i32 s8, 0
	s_mov_b32 s23, s3
	s_cbranch_scc0 .LBB210_7
; %bb.6:
	s_mul_i32 s4, s12, s6
	s_mov_b32 s10, s3
	s_wait_alu 0xfffe
	s_add_co_i32 s4, s28, s4
	s_wait_alu 0xfffe
	s_mul_i32 s4, s4, s8
	s_wait_alu 0xfffe
	s_sub_co_i32 s21, 1, s4
.LBB210_7:
	s_mul_u64 s[4:5], s[2:3], s[22:23]
	s_ashr_i32 s3, s9, 31
	s_and_not1_b32 vcc_lo, exec_lo, s10
	s_ashr_i32 s15, s15, 31
	s_cbranch_vccnz .LBB210_9
; %bb.8:
	s_mul_i32 s4, s35, s12
	s_wait_alu 0xfffe
	s_add_co_i32 s4, s4, ttmp9
	s_wait_alu 0xfffe
	s_mul_i32 s4, s4, s8
	s_wait_alu 0xfffe
	s_add_co_i32 s21, s4, 1
.LBB210_9:
	s_clause 0x3
	s_load_b32 s4, s[0:1], 0x48
	s_load_b64 s[24:25], s[0:1], 0x38
	s_load_b32 s12, s[0:1], 0x98
	s_load_b128 s[8:11], s[0:1], 0x68
	s_mul_i32 s6, s5, s16
	s_xor_b32 s3, s3, s15
	s_sub_co_i32 s2, s2, s6
	s_add_co_i32 s23, s5, 1
	v_lshrrev_b32_e32 v11, 5, v0
	v_mbcnt_lo_u32_b32 v7, -1, 0
	s_mul_i32 s28, s28, s18
	s_delay_alu instid0(VALU_DEP_2)
	v_lshl_add_u32 v12, v11, 4, s36
	s_wait_kmcnt 0x0
	s_mul_i32 s26, s4, s19
	s_wait_alu 0xfffe
	s_sub_co_i32 s4, s2, s16
	s_ashr_i32 s27, s26, 31
	s_cmp_ge_u32 s2, s16
	s_cselect_b32 s5, s23, s5
	s_wait_alu 0xfffe
	s_cselect_b32 s2, s4, s2
	s_add_co_i32 s4, s5, 1
	s_wait_alu 0xfffe
	s_cmp_ge_u32 s2, s16
	s_cselect_b32 s2, s4, s5
	s_add_co_i32 s4, s34, 15
	s_lshl_b32 s39, s33, 5
	s_wait_alu 0xfffe
	s_ashr_i32 s5, s4, 31
	v_or_b32_e32 v13, s39, v11
	s_wait_alu 0xfffe
	s_lshr_b32 s5, s5, 28
	v_mov_b32_e32 v9, 0xff7fffff
	s_wait_alu 0xfffe
	s_add_co_i32 s4, s4, s5
	s_add_co_i32 s5, s39, 32
	s_wait_alu 0xfffe
	s_ashr_i32 s37, s4, 4
	s_xor_b32 s4, s2, s3
	s_wait_alu 0xfffe
	s_min_i32 s23, s5, s37
	v_lshlrev_b32_e32 v6, 2, v13
	v_cmp_gt_i32_e64 s2, s23, v13
	s_sub_co_i32 s38, s4, s3
	s_and_saveexec_b32 s6, s2
	s_cbranch_execz .LBB210_21
; %bb.10:
	s_wait_alu 0xfffe
	s_sub_co_i32 s18, s38, s13
	s_ashr_i32 s29, s28, 31
	s_cmp_neq_f32 s30, 0
	s_load_b64 s[4:5], s[0:1], 0x20
	v_bfe_u32 v8, v0, 1, 4
	v_lshlrev_b32_e32 v3, 1, v1
	s_cselect_b32 vcc_lo, -1, 0
	s_abs_i32 s31, s14
	v_mul_u32_u24_e32 v10, 0xc0, v1
	s_cvt_f32_u32 s3, s31
	v_dual_mov_b32 v17, 0xff7fffff :: v_dual_lshlrev_b32 v4, 2, v8
	s_lshl_b64 s[42:43], s[26:27], 2
	s_wait_alu 0xfffe
	v_rcp_iflag_f32_e32 v2, s3
	v_cmp_eq_u32_e64 s3, 0, v1
	v_lshlrev_b32_e32 v1, 4, v8
	v_subrev_nc_u32_e32 v9, s34, v8
	v_lshl_or_b32 v16, v11, 6, v4
	s_add_nc_u64 s[42:43], s[24:25], s[42:43]
	s_sub_co_i32 s44, 0, s31
	v_lshl_add_u32 v14, v11, 4, s36
	v_add_nc_u32_e32 v15, 1, v9
	v_dual_mov_b32 v19, v13 :: v_dual_add_nc_u32 v16, 0x1a0, v16
	v_readfirstlane_b32 s41, v2
	s_wait_kmcnt 0x0
	s_add_nc_u64 s[4:5], s[4:5], s[28:29]
	v_xor_b32_e32 v18, 1, v7
	s_wait_alu 0xfffe
	v_add_co_u32 v1, s4, s4, v1
	s_mul_f32 s29, s41, 0x4f7ffffe
	s_wait_alu 0xf1ff
	v_add_co_ci_u32_e64 v2, null, s5, 0, s4
	v_add_co_u32 v1, s4, v1, v3
	s_cvt_u32_f32 s5, s29
	s_wait_alu 0xf1ff
	v_add_co_ci_u32_e64 v2, null, 0, v2, s4
	v_add_co_u32 v3, s4, s42, v6
	s_wait_alu 0xfffe
	s_mul_i32 s44, s44, s5
	v_add_co_ci_u32_e64 v4, null, s43, 0, s4
	v_mov_b32_e32 v9, 0xff7fffff
	s_mul_hi_u32 s4, s5, s44
	s_mov_b32 s40, 0
	s_mov_b32 s29, s17
	s_wait_alu 0xfffe
	s_add_co_i32 s41, s5, s4
	s_branch .LBB210_13
.LBB210_11:                             ;   in Loop: Header=BB210_13 Depth=1
	s_wait_alu 0xfffe
	s_or_b32 exec_lo, exec_lo, s42
.LBB210_12:                             ;   in Loop: Header=BB210_13 Depth=1
	s_wait_alu 0xfffe
	s_or_b32 exec_lo, exec_lo, s5
	v_add_nc_u32_e32 v19, 4, v19
	v_add_co_u32 v3, s5, v3, 16
	s_wait_alu 0xf1ff
	v_add_co_ci_u32_e64 v4, null, 0, v4, s5
	s_delay_alu instid0(VALU_DEP_3)
	v_cmp_le_i32_e64 s4, s23, v19
	v_add_nc_u32_e32 v14, 64, v14
	v_add_nc_u32_e32 v16, 0x100, v16
	s_or_b32 s40, s4, s40
	s_wait_alu 0xfffe
	s_and_not1_b32 exec_lo, exec_lo, s40
	s_cbranch_execz .LBB210_20
.LBB210_13:                             ; =>This Inner Loop Header: Depth=1
	v_sub_nc_u32_e32 v20, 0, v14
	s_delay_alu instid0(VALU_DEP_1) | instskip(SKIP_1) | instid1(VALU_DEP_1)
	v_max_i32_e32 v20, v14, v20
	s_wait_dscnt 0x0
	v_mul_hi_u32 v21, v20, s22
	s_delay_alu instid0(VALU_DEP_1) | instskip(NEXT) | instid1(VALU_DEP_1)
	v_mul_lo_u32 v22, v21, s16
	v_sub_nc_u32_e32 v20, v20, v22
	v_add_nc_u32_e32 v22, 1, v21
	s_delay_alu instid0(VALU_DEP_2) | instskip(SKIP_2) | instid1(VALU_DEP_1)
	v_subrev_nc_u32_e32 v23, s16, v20
	v_cmp_le_u32_e64 s4, s16, v20
	s_wait_alu 0xf1ff
	v_cndmask_b32_e64 v21, v21, v22, s4
	s_delay_alu instid0(VALU_DEP_3) | instskip(SKIP_1) | instid1(VALU_DEP_3)
	v_cndmask_b32_e64 v20, v20, v23, s4
	v_ashrrev_i32_e32 v22, 31, v14
	v_add_nc_u32_e32 v23, 1, v21
	s_delay_alu instid0(VALU_DEP_3) | instskip(NEXT) | instid1(VALU_DEP_3)
	v_cmp_le_u32_e64 s4, s16, v20
	v_xor_b32_e32 v22, s15, v22
	s_wait_alu 0xf1ff
	s_delay_alu instid0(VALU_DEP_2) | instskip(NEXT) | instid1(VALU_DEP_1)
	v_cndmask_b32_e64 v20, v21, v23, s4
	v_xor_b32_e32 v20, v20, v22
	s_delay_alu instid0(VALU_DEP_1) | instskip(NEXT) | instid1(VALU_DEP_1)
	v_sub_nc_u32_e32 v20, v20, v22
	v_add_nc_u32_e32 v21, s21, v20
	v_cmp_ge_i32_e64 s5, s18, v20
	s_delay_alu instid0(VALU_DEP_2) | instskip(NEXT) | instid1(VALU_DEP_1)
	v_sub_nc_u32_e32 v22, 0, v21
	v_max_i32_e32 v22, v21, v22
	v_ashrrev_i32_e32 v21, 31, v21
	s_delay_alu instid0(VALU_DEP_2) | instskip(NEXT) | instid1(VALU_DEP_1)
	v_mul_hi_u32 v23, v22, s41
	v_mul_lo_u32 v23, v23, s31
	s_delay_alu instid0(VALU_DEP_1) | instskip(NEXT) | instid1(VALU_DEP_1)
	v_sub_nc_u32_e32 v22, v22, v23
	v_subrev_nc_u32_e32 v23, s31, v22
	v_cmp_le_u32_e64 s4, s31, v22
	s_wait_alu 0xf1ff
	s_delay_alu instid0(VALU_DEP_1) | instskip(NEXT) | instid1(VALU_DEP_1)
	v_cndmask_b32_e64 v22, v22, v23, s4
	v_subrev_nc_u32_e32 v23, s31, v22
	v_cmp_le_u32_e64 s4, s31, v22
	s_wait_alu 0xf1ff
	s_delay_alu instid0(VALU_DEP_1) | instskip(NEXT) | instid1(VALU_DEP_1)
	v_cndmask_b32_e64 v22, v22, v23, s4
	v_xor_b32_e32 v22, v22, v21
	s_delay_alu instid0(VALU_DEP_1) | instskip(NEXT) | instid1(VALU_DEP_1)
	v_sub_nc_u32_e32 v21, v22, v21
	v_cmp_ne_u32_e64 s4, 0, v21
	s_and_b32 s4, s4, s5
	s_wait_alu 0xfffe
	s_and_saveexec_b32 s5, s4
	s_wait_alu 0xfffe
	s_xor_b32 s4, exec_lo, s5
	s_cbranch_execz .LBB210_17
; %bb.14:                               ;   in Loop: Header=BB210_13 Depth=1
	s_and_saveexec_b32 s5, s3
; %bb.15:                               ;   in Loop: Header=BB210_13 Depth=1
	ds_store_b32 v16, v17
; %bb.16:                               ;   in Loop: Header=BB210_13 Depth=1
	s_wait_alu 0xfffe
	s_or_b32 exec_lo, exec_lo, s5
.LBB210_17:                             ;   in Loop: Header=BB210_13 Depth=1
	s_wait_alu 0xfffe
	s_and_not1_saveexec_b32 s5, s4
	s_cbranch_execz .LBB210_12
; %bb.18:                               ;   in Loop: Header=BB210_13 Depth=1
	global_load_b32 v20, v[3:4], off
	s_wait_loadcnt 0x0
	v_mad_co_i64_i32 v[20:21], null, v20, s29, v[1:2]
	s_clause 0x17
	global_load_u16 v52, v[20:21], off offset:4
	global_load_u16 v60, v[20:21], off
	global_load_u16 v72, v[20:21], off offset:8
	global_load_u16 v73, v[20:21], off offset:12
	;; [unrolled: 1-line block ×22, first 2 shown]
	s_load_b32 s4, s[8:9], 0x0
	ds_load_b128 v[20:23], v10
	ds_load_b128 v[24:27], v10 offset:16
	ds_load_b128 v[28:31], v10 offset:32
	;; [unrolled: 1-line block ×7, first 2 shown]
	s_wait_loadcnt 0x17
	v_cvt_pk_f32_fp8_e32 v[68:69], v52
	s_wait_loadcnt 0x16
	v_cvt_pk_f32_fp8_e32 v[70:71], v60
	ds_load_b128 v[52:55], v10 offset:128
	ds_load_b128 v[56:59], v10 offset:144
	;; [unrolled: 1-line block ×4, first 2 shown]
	s_wait_kmcnt 0x0
	v_dual_mul_f32 v94, s4, v68 :: v_dual_mul_f32 v95, s4, v69
	s_wait_loadcnt 0x15
	v_cvt_pk_f32_fp8_e32 v[68:69], v72
	v_dual_mul_f32 v71, s4, v71 :: v_dual_mul_f32 v70, s4, v70
	s_wait_dscnt 0xb
	v_mul_f32_e32 v72, v22, v94
	v_mul_f32_e32 v94, v23, v95
	s_wait_loadcnt 0x14
	v_cvt_pk_f32_fp8_e32 v[22:23], v73
	s_delay_alu instid0(VALU_DEP_3) | instskip(NEXT) | instid1(VALU_DEP_3)
	v_dual_mul_f32 v69, s4, v69 :: v_dual_fmac_f32 v72, v20, v70
	v_fmac_f32_e32 v94, v21, v71
	s_wait_loadcnt 0x13
	v_cvt_pk_f32_fp8_e32 v[20:21], v74
	v_dual_mul_f32 v70, s4, v23 :: v_dual_mul_f32 v71, s4, v22
	s_wait_loadcnt 0x12
	v_cvt_pk_f32_fp8_e32 v[22:23], v75
	v_mul_f32_e32 v68, s4, v68
	s_wait_dscnt 0xa
	v_dual_fmac_f32 v94, v25, v69 :: v_dual_mul_f32 v25, s4, v20
	s_delay_alu instid0(VALU_DEP_1) | instskip(NEXT) | instid1(VALU_DEP_3)
	v_fmac_f32_e32 v94, v27, v70
	v_dual_mul_f32 v27, s4, v22 :: v_dual_fmac_f32 v72, v24, v68
	v_mul_f32_e32 v24, s4, v21
	s_wait_loadcnt 0x11
	v_cvt_pk_f32_fp8_e32 v[20:21], v76
	s_delay_alu instid0(VALU_DEP_3)
	v_fmac_f32_e32 v72, v26, v71
	v_mul_f32_e32 v26, s4, v23
	s_wait_dscnt 0x9
	v_fmac_f32_e32 v94, v29, v24
	s_wait_loadcnt 0x10
	v_cvt_pk_f32_fp8_e32 v[22:23], v77
	v_mul_f32_e32 v24, s4, v21
	v_dual_fmac_f32 v72, v28, v25 :: v_dual_mul_f32 v25, s4, v20
	v_fmac_f32_e32 v94, v31, v26
	s_wait_loadcnt 0xf
	v_cvt_pk_f32_fp8_e32 v[20:21], v78
	v_mul_f32_e32 v26, s4, v23
	v_dual_fmac_f32 v72, v30, v27 :: v_dual_mul_f32 v27, s4, v22
	s_wait_dscnt 0x8
	v_fmac_f32_e32 v94, v33, v24
	s_wait_loadcnt 0xe
	v_cvt_pk_f32_fp8_e32 v[22:23], v79
	v_mul_f32_e32 v24, s4, v21
	v_dual_fmac_f32 v72, v32, v25 :: v_dual_mul_f32 v25, s4, v20
	v_fmac_f32_e32 v94, v35, v26
	s_wait_loadcnt 0xd
	v_cvt_pk_f32_fp8_e32 v[20:21], v80
	v_mul_f32_e32 v26, s4, v23
	v_dual_fmac_f32 v72, v34, v27 :: v_dual_mul_f32 v27, s4, v22
	;; [unrolled: 11-line block ×8, first 2 shown]
	s_wait_dscnt 0x1
	v_fmac_f32_e32 v94, v61, v24
	s_wait_loadcnt 0x0
	v_cvt_pk_f32_fp8_e32 v[22:23], v93
	v_mul_f32_e32 v21, s4, v21
	v_fmac_f32_e32 v72, v60, v25
	v_mul_f32_e32 v20, s4, v20
	s_delay_alu instid0(VALU_DEP_4) | instskip(SKIP_1) | instid1(VALU_DEP_4)
	v_dual_fmac_f32 v94, v63, v26 :: v_dual_mul_f32 v23, s4, v23
	v_mul_f32_e32 v22, s4, v22
	v_fmac_f32_e32 v72, v62, v27
	v_cmp_gt_i32_e64 s4, 32, v18
	s_wait_dscnt 0x0
	v_fmac_f32_e32 v94, v65, v21
	s_delay_alu instid0(VALU_DEP_3) | instskip(SKIP_2) | instid1(VALU_DEP_3)
	v_fmac_f32_e32 v72, v64, v20
	s_wait_alu 0xf1ff
	v_cndmask_b32_e64 v20, v7, v18, s4
	v_fmac_f32_e32 v94, v67, v23
	s_delay_alu instid0(VALU_DEP_2) | instskip(NEXT) | instid1(VALU_DEP_1)
	v_dual_fmac_f32 v72, v66, v22 :: v_dual_lshlrev_b32 v21, 2, v20
	v_add_f32_e32 v20, v72, v94
	ds_bpermute_b32 v21, v21, v20
	s_and_saveexec_b32 s42, s3
	s_cbranch_execz .LBB210_11
; %bb.19:                               ;   in Loop: Header=BB210_13 Depth=1
	s_wait_dscnt 0x0
	v_add_f32_e32 v20, v20, v21
	v_add_nc_u32_e32 v22, v15, v14
	s_delay_alu instid0(VALU_DEP_1) | instskip(NEXT) | instid1(VALU_DEP_1)
	v_cvt_f32_i32_e32 v22, v22
	v_mul_f32_e32 v22, s30, v22
	s_delay_alu instid0(VALU_DEP_1) | instskip(NEXT) | instid1(VALU_DEP_1)
	v_dual_cndmask_b32 v21, 0, v22 :: v_dual_max_num_f32 v22, v9, v9
	v_dual_fmac_f32 v21, s7, v20 :: v_dual_add_nc_u32 v20, v8, v14
	s_delay_alu instid0(VALU_DEP_1) | instskip(NEXT) | instid1(VALU_DEP_2)
	v_max_num_f32_e32 v22, v22, v21
	v_cmp_gt_i32_e64 s4, s34, v20
	s_wait_alu 0xf1ff
	s_delay_alu instid0(VALU_DEP_1) | instskip(NEXT) | instid1(VALU_DEP_3)
	v_cndmask_b32_e64 v20, 0, v21, s4
	v_cndmask_b32_e64 v9, v9, v22, s4
	ds_store_b32 v16, v20
	s_branch .LBB210_11
.LBB210_20:
	s_or_b32 exec_lo, exec_lo, s40
.LBB210_21:
	s_delay_alu instid0(SALU_CYCLE_1)
	s_or_b32 exec_lo, exec_lo, s6
	v_xor_b32_e32 v1, 16, v7
	v_xor_b32_e32 v3, 8, v7
	;; [unrolled: 1-line block ×3, first 2 shown]
	s_clause 0x2
	s_load_b128 s[4:7], s[0:1], 0x0
	s_load_b64 s[8:9], s[0:1], 0x10
	s_load_b64 s[30:31], s[0:1], 0x28
	v_and_b32_e32 v14, 31, v0
	v_cmp_gt_i32_e32 vcc_lo, 32, v1
	s_wait_alu 0xfffd
	v_cndmask_b32_e32 v1, v7, v1, vcc_lo
	v_cmp_gt_i32_e32 vcc_lo, 32, v3
	s_wait_alu 0xfffd
	s_delay_alu instid0(VALU_DEP_2)
	v_dual_cndmask_b32 v3, v7, v3 :: v_dual_lshlrev_b32 v2, 2, v1
	v_max_num_f32_e32 v4, v9, v9
	v_cmp_gt_i32_e32 vcc_lo, 32, v8
	ds_bpermute_b32 v1, v2, v9
	v_lshlrev_b32_e32 v3, 2, v3
	v_xor_b32_e32 v9, 2, v7
	s_wait_alu 0xfffd
	v_cndmask_b32_e32 v8, v7, v8, vcc_lo
	s_delay_alu instid0(VALU_DEP_2) | instskip(SKIP_1) | instid1(VALU_DEP_2)
	v_cmp_gt_i32_e32 vcc_lo, 32, v9
	s_wait_alu 0xfffd
	v_dual_cndmask_b32 v9, v7, v9 :: v_dual_lshlrev_b32 v8, 2, v8
	v_cmp_eq_u32_e32 vcc_lo, 0, v14
	s_delay_alu instid0(VALU_DEP_2) | instskip(SKIP_3) | instid1(VALU_DEP_1)
	v_lshlrev_b32_e32 v15, 2, v9
	v_lshlrev_b32_e32 v9, 2, v11
	s_wait_dscnt 0x0
	v_max_num_f32_e32 v1, v1, v1
	v_max_num_f32_e32 v1, v4, v1
	ds_bpermute_b32 v4, v3, v1
	s_wait_dscnt 0x0
	v_max_num_f32_e32 v4, v4, v4
	s_delay_alu instid0(VALU_DEP_1) | instskip(SKIP_3) | instid1(VALU_DEP_1)
	v_max_num_f32_e32 v1, v1, v4
	ds_bpermute_b32 v4, v8, v1
	s_wait_dscnt 0x0
	v_max_num_f32_e32 v4, v4, v4
	v_max_num_f32_e32 v1, v1, v4
	ds_bpermute_b32 v4, v15, v1
	s_and_saveexec_b32 s0, vcc_lo
	s_cbranch_execz .LBB210_23
; %bb.22:
	s_wait_dscnt 0x0
	v_dual_max_num_f32 v4, v4, v4 :: v_dual_max_num_f32 v1, v1, v1
	s_delay_alu instid0(VALU_DEP_1)
	v_max_num_f32_e32 v1, v1, v4
	ds_store_b32 v9, v1 offset:384
.LBB210_23:
	s_or_b32 exec_lo, exec_lo, s0
	v_cmp_gt_u32_e64 s0, 4, v14
	v_dual_mov_b32 v1, 0xff7fffff :: v_dual_lshlrev_b32 v10, 2, v14
	s_wait_loadcnt_dscnt 0x0
	s_barrier_signal -1
	s_barrier_wait -1
	global_inv scope:SCOPE_SE
	s_and_saveexec_b32 s1, s0
; %bb.24:
	ds_load_b32 v1, v10 offset:384
; %bb.25:
	s_or_b32 exec_lo, exec_lo, s1
	s_wait_dscnt 0x0
	ds_bpermute_b32 v4, v15, v1
	v_xor_b32_e32 v16, 1, v7
	v_max_num_f32_e32 v1, v1, v1
	s_delay_alu instid0(VALU_DEP_2) | instskip(NEXT) | instid1(VALU_DEP_1)
	v_cmp_gt_i32_e64 s1, 32, v16
	v_cndmask_b32_e64 v7, v7, v16, s1
	s_sub_co_i32 s1, s23, s39
	s_wait_alu 0xfffe
	s_lshl_b32 s1, s1, 4
	s_wait_alu 0xfffe
	s_add_co_i32 s1, s1, s36
	s_wait_alu 0xfffe
	s_min_i32 s1, s1, s34
	s_wait_alu 0xfffe
	s_sub_co_i32 s18, s1, s36
	s_wait_dscnt 0x0
	v_max_num_f32_e32 v4, v4, v4
	v_lshlrev_b32_e32 v16, 2, v7
	s_wait_alu 0xfffe
	v_cmp_gt_i32_e64 s1, s18, v0
	v_mov_b32_e32 v7, 0
	v_max_num_f32_e32 v1, v1, v4
	ds_bpermute_b32 v4, v16, v1
	s_wait_dscnt 0x0
	v_max_num_f32_e32 v4, v4, v4
	s_delay_alu instid0(VALU_DEP_1)
	v_max_num_f32_e32 v1, v1, v4
	v_lshl_add_u32 v4, v0, 2, 0x1a0
	ds_bpermute_b32 v1, v7, v1
	s_and_saveexec_b32 s29, s1
	s_cbranch_execz .LBB210_29
; %bb.26:
	v_lshl_add_u32 v17, v0, 2, 0x1a0
	v_dual_mov_b32 v7, 0 :: v_dual_mov_b32 v18, v0
	s_mov_b32 s36, 0
.LBB210_27:                             ; =>This Inner Loop Header: Depth=1
	ds_load_b32 v19, v17
	v_add_nc_u32_e32 v18, 0x80, v18
	s_delay_alu instid0(VALU_DEP_1) | instskip(SKIP_4) | instid1(VALU_DEP_1)
	v_cmp_le_i32_e64 s3, s18, v18
	s_wait_alu 0xfffe
	s_or_b32 s36, s3, s36
	s_wait_dscnt 0x0
	v_sub_f32_e32 v19, v19, v1
	v_mul_f32_e32 v19, 0x3fb8aa3b, v19
	s_delay_alu instid0(VALU_DEP_1)
	v_exp_f32_e32 v19, v19
	ds_store_b32 v17, v19
	v_add_f32_e32 v7, v7, v19
	v_add_nc_u32_e32 v17, 0x200, v17
	s_wait_alu 0xfffe
	s_and_not1_b32 exec_lo, exec_lo, s36
	s_cbranch_execnz .LBB210_27
; %bb.28:
	s_or_b32 exec_lo, exec_lo, s36
.LBB210_29:
	s_wait_alu 0xfffe
	s_or_b32 exec_lo, exec_lo, s29
	ds_bpermute_b32 v2, v2, v7
	s_wait_dscnt 0x0
	v_add_f32_e32 v2, v7, v2
	ds_bpermute_b32 v3, v3, v2
	s_wait_dscnt 0x0
	v_add_f32_e32 v2, v2, v3
	;; [unrolled: 3-line block ×5, first 2 shown]
	s_and_saveexec_b32 s3, vcc_lo
; %bb.30:
	ds_store_b32 v9, v2 offset:400
; %bb.31:
	s_wait_alu 0xfffe
	s_or_b32 exec_lo, exec_lo, s3
	s_wait_loadcnt_dscnt 0x0
	s_barrier_signal -1
	s_barrier_wait -1
	global_inv scope:SCOPE_SE
	s_and_saveexec_b32 s3, s0
; %bb.32:
	ds_load_b32 v2, v10 offset:400
; %bb.33:
	s_wait_alu 0xfffe
	s_or_b32 exec_lo, exec_lo, s3
	s_wait_dscnt 0x0
	ds_bpermute_b32 v3, v15, v2
	s_wait_dscnt 0x0
	v_add_f32_e32 v2, v2, v3
	ds_bpermute_b32 v3, v16, v2
	s_wait_dscnt 0x0
	v_dual_add_f32 v2, v2, v3 :: v_dual_mov_b32 v3, 0
	ds_bpermute_b32 v2, v3, v2
	s_and_saveexec_b32 s0, s1
	s_cbranch_execz .LBB210_36
; %bb.34:
	s_wait_dscnt 0x0
	v_add_f32_e32 v3, 0x358637bd, v2
	s_mov_b32 s1, 0
	s_delay_alu instid0(VALU_DEP_1) | instskip(NEXT) | instid1(VALU_DEP_1)
	v_div_scale_f32 v7, null, v3, v3, 1.0
	v_rcp_f32_e32 v8, v7
	s_delay_alu instid0(TRANS32_DEP_1) | instskip(NEXT) | instid1(VALU_DEP_1)
	v_fma_f32 v9, -v7, v8, 1.0
	v_fmac_f32_e32 v8, v9, v8
	v_div_scale_f32 v10, vcc_lo, 1.0, v3, 1.0
	s_delay_alu instid0(VALU_DEP_1) | instskip(NEXT) | instid1(VALU_DEP_1)
	v_mul_f32_e32 v9, v10, v8
	v_fma_f32 v17, -v7, v9, v10
	s_delay_alu instid0(VALU_DEP_1) | instskip(NEXT) | instid1(VALU_DEP_1)
	v_fmac_f32_e32 v9, v17, v8
	v_fma_f32 v7, -v7, v9, v10
	s_wait_alu 0xfffd
	s_delay_alu instid0(VALU_DEP_1) | instskip(NEXT) | instid1(VALU_DEP_1)
	v_div_fmas_f32 v7, v7, v8, v9
	v_div_fixup_f32 v3, v7, v3, 1.0
	v_mov_b32_e32 v7, v0
.LBB210_35:                             ; =>This Inner Loop Header: Depth=1
	ds_load_b32 v8, v4
	s_wait_dscnt 0x0
	v_dual_mul_f32 v8, v3, v8 :: v_dual_add_nc_u32 v7, 0x80, v7
	s_delay_alu instid0(VALU_DEP_1)
	v_cmp_le_i32_e32 vcc_lo, s18, v7
	ds_store_b32 v4, v8
	v_add_nc_u32_e32 v4, 0x200, v4
	s_wait_alu 0xfffe
	s_or_b32 s1, vcc_lo, s1
	s_wait_alu 0xfffe
	s_and_not1_b32 exec_lo, exec_lo, s1
	s_cbranch_execnz .LBB210_35
.LBB210_36:
	s_wait_alu 0xfffe
	s_or_b32 exec_lo, exec_lo, s0
	s_mul_i32 s0, s12, s19
	s_wait_loadcnt_dscnt 0x0
	s_wait_alu 0xfffe
	s_mul_i32 s18, s0, s35
	s_mov_b32 s0, exec_lo
	s_barrier_signal -1
	s_barrier_wait -1
	global_inv scope:SCOPE_SE
	v_cmpx_eq_u32_e32 0, v0
	s_cbranch_execz .LBB210_38
; %bb.37:
	s_wait_alu 0xfffe
	s_ashr_i32 s19, s18, 31
	s_mul_i32 s40, s12, ttmp9
	s_lshl_b32 s1, s33, 2
	s_wait_alu 0xfffe
	s_lshl_b64 s[42:43], s[18:19], 2
	s_ashr_i32 s41, s40, 31
	v_mov_b32_e32 v3, s1
	s_wait_kmcnt 0x0
	s_wait_alu 0xfffe
	s_add_nc_u64 s[6:7], s[6:7], s[42:43]
	s_lshl_b64 s[40:41], s[40:41], 2
	s_add_nc_u64 s[4:5], s[4:5], s[42:43]
	s_wait_alu 0xfffe
	s_add_nc_u64 s[6:7], s[6:7], s[40:41]
	s_add_nc_u64 s[4:5], s[4:5], s[40:41]
	s_clause 0x1
	global_store_b32 v3, v1, s[6:7]
	global_store_b32 v3, v2, s[4:5]
.LBB210_38:
	s_wait_alu 0xfffe
	s_or_b32 exec_lo, exec_lo, s0
	v_dual_mov_b32 v28, 0 :: v_dual_and_b32 v17, 3, v0
	v_dual_mov_b32 v29, 0 :: v_dual_mov_b32 v26, 0
	v_dual_mov_b32 v27, 0 :: v_dual_mov_b32 v24, 0
	;; [unrolled: 1-line block ×5, first 2 shown]
	v_mov_b32_e32 v19, 0
	s_and_saveexec_b32 s1, s2
	s_cbranch_execz .LBB210_68
; %bb.39:
	s_abs_i32 s2, s14
	v_dual_mov_b32 v18, 0 :: v_dual_lshlrev_b32 v3, 4, v17
	s_wait_alu 0xfffe
	s_cvt_f32_u32 s0, s2
	s_wait_kmcnt 0x0
	s_lshl_b64 s[6:7], s[26:27], 2
	v_dual_mov_b32 v21, 0 :: v_dual_and_b32 v2, 0x7c, v5
	s_wait_alu 0xfffe
	v_rcp_iflag_f32_e32 v1, s0
	s_ashr_i32 s29, s28, 31
	s_add_nc_u64 s[6:7], s[24:25], s[6:7]
	v_dual_mov_b32 v19, 0 :: v_dual_and_b32 v30, 12, v5
	s_wait_alu 0xfffe
	s_add_nc_u64 s[26:27], s[30:31], s[28:29]
	v_add_co_u32 v5, s6, s6, v6
	s_sub_co_i32 s5, 0, s2
	v_add_co_ci_u32_e64 v6, null, s7, 0, s6
	s_delay_alu instid0(TRANS32_DEP_1)
	v_readfirstlane_b32 s0, v1
	v_lshl_or_b32 v1, v11, 6, v3
	v_add_co_u32 v7, s6, s26, v2
	s_wait_alu 0xf1ff
	v_add_co_ci_u32_e64 v8, null, s27, 0, s6
	s_mul_f32 s0, s0, 0x4f7ffffe
	v_dual_mov_b32 v20, 0 :: v_dual_add_nc_u32 v31, 0x1a0, v1
	v_dual_mov_b32 v22, 0 :: v_dual_mov_b32 v23, 0
	s_wait_alu 0xfffe
	s_cvt_u32_f32 s0, s0
	v_dual_mov_b32 v24, 0 :: v_dual_mov_b32 v25, 0
	v_dual_mov_b32 v26, 0 :: v_dual_mov_b32 v27, 0
	s_wait_alu 0xfffe
	s_mul_i32 s5, s5, s0
	v_dual_mov_b32 v29, 0 :: v_dual_mov_b32 v28, 0
	s_wait_alu 0xfffe
	s_mul_hi_u32 s6, s0, s5
	s_sub_co_i32 s3, s38, s13
	s_mov_b32 s4, s17
	s_add_co_i32 s37, s37, -1
	s_mov_b32 s5, 0
	s_wait_alu 0xfffe
	s_add_co_i32 s6, s0, s6
	s_branch .LBB210_42
.LBB210_40:                             ;   in Loop: Header=BB210_42 Depth=1
	s_wait_alu 0xfffe
	s_or_b32 exec_lo, exec_lo, s0
	s_wait_dscnt 0x0
	v_mul_f32_e32 v47, v1, v79
	v_mul_f32_e32 v46, v1, v81
	;; [unrolled: 1-line block ×5, first 2 shown]
	v_fmac_f32_e32 v47, v2, v76
	v_mul_f32_e32 v50, v1, v68
	v_dual_fmac_f32 v46, v2, v80 :: v_dual_mul_f32 v49, v1, v71
	v_fmac_f32_e32 v35, v2, v34
	s_delay_alu instid0(VALU_DEP_4) | instskip(NEXT) | instid1(VALU_DEP_4)
	v_fmac_f32_e32 v47, v3, v73
	v_dual_mul_f32 v63, v1, v63 :: v_dual_fmac_f32 v50, v2, v66
	s_delay_alu instid0(VALU_DEP_4) | instskip(SKIP_2) | instid1(VALU_DEP_4)
	v_dual_mul_f32 v55, v1, v55 :: v_dual_fmac_f32 v46, v3, v78
	v_mul_f32_e32 v59, v1, v59
	v_fmac_f32_e32 v35, v3, v33
	v_dual_fmac_f32 v50, v3, v65 :: v_dual_fmac_f32 v63, v2, v62
	s_delay_alu instid0(VALU_DEP_3) | instskip(NEXT) | instid1(VALU_DEP_3)
	v_dual_fmac_f32 v46, v4, v77 :: v_dual_fmac_f32 v59, v2, v58
	v_fmac_f32_e32 v35, v4, v32
	s_delay_alu instid0(VALU_DEP_3) | instskip(SKIP_1) | instid1(VALU_DEP_4)
	v_fmac_f32_e32 v50, v4, v64
	v_fmac_f32_e32 v47, v4, v72
	v_dual_add_f32 v19, v19, v46 :: v_dual_mul_f32 v46, v1, v51
	s_delay_alu instid0(VALU_DEP_4) | instskip(NEXT) | instid1(VALU_DEP_4)
	v_dual_fmac_f32 v59, v3, v57 :: v_dual_add_f32 v28, v28, v35
	v_add_f32_e32 v22, v22, v50
	s_delay_alu instid0(VALU_DEP_4) | instskip(NEXT) | instid1(VALU_DEP_4)
	v_dual_fmac_f32 v49, v2, v70 :: v_dual_add_f32 v20, v20, v47
	v_dual_mul_f32 v1, v1, v75 :: v_dual_fmac_f32 v46, v2, v48
	s_delay_alu instid0(VALU_DEP_4) | instskip(NEXT) | instid1(VALU_DEP_3)
	v_fmac_f32_e32 v59, v4, v56
	v_fmac_f32_e32 v49, v3, v69
	;; [unrolled: 1-line block ×6, first 2 shown]
	v_dual_fmac_f32 v49, v4, v67 :: v_dual_fmac_f32 v46, v3, v45
	v_dual_add_f32 v24, v24, v59 :: v_dual_fmac_f32 v55, v3, v53
	v_fmac_f32_e32 v43, v3, v41
	v_fmac_f32_e32 v39, v3, v37
	s_delay_alu instid0(VALU_DEP_4)
	v_dual_fmac_f32 v1, v3, v10 :: v_dual_fmac_f32 v46, v4, v44
	v_fmac_f32_e32 v63, v3, v61
	v_fmac_f32_e32 v55, v4, v52
	;; [unrolled: 1-line block ×4, first 2 shown]
	v_dual_fmac_f32 v1, v4, v9 :: v_dual_add_f32 v26, v26, v46
	v_fmac_f32_e32 v63, v4, v60
	v_add_f32_e32 v21, v21, v49
	v_add_f32_e32 v25, v25, v55
	v_add_f32_e32 v27, v27, v43
	v_dual_add_f32 v29, v29, v39 :: v_dual_add_f32 v18, v18, v1
	v_add_f32_e32 v23, v23, v63
.LBB210_41:                             ;   in Loop: Header=BB210_42 Depth=1
	s_wait_alu 0xfffe
	s_or_b32 exec_lo, exec_lo, s7
	v_add_nc_u32_e32 v13, 4, v13
	v_add_co_u32 v5, s0, v5, 16
	s_wait_alu 0xf1ff
	v_add_co_ci_u32_e64 v6, null, 0, v6, s0
	s_delay_alu instid0(VALU_DEP_3)
	v_cmp_le_i32_e32 vcc_lo, s23, v13
	v_add_nc_u32_e32 v12, 64, v12
	v_add_nc_u32_e32 v31, 0x100, v31
	s_or_b32 s5, vcc_lo, s5
	s_wait_alu 0xfffe
	s_and_not1_b32 exec_lo, exec_lo, s5
	s_cbranch_execz .LBB210_67
.LBB210_42:                             ; =>This Inner Loop Header: Depth=1
	v_sub_nc_u32_e32 v1, 0, v12
	s_delay_alu instid0(VALU_DEP_1) | instskip(NEXT) | instid1(VALU_DEP_1)
	v_max_i32_e32 v1, v12, v1
	v_mul_hi_u32 v2, v1, s22
	s_delay_alu instid0(VALU_DEP_1) | instskip(NEXT) | instid1(VALU_DEP_1)
	v_mul_lo_u32 v3, v2, s16
	v_sub_nc_u32_e32 v1, v1, v3
	v_add_nc_u32_e32 v3, 1, v2
	s_delay_alu instid0(VALU_DEP_2) | instskip(SKIP_2) | instid1(VALU_DEP_2)
	v_subrev_nc_u32_e32 v4, s16, v1
	v_cmp_le_u32_e32 vcc_lo, s16, v1
	s_wait_alu 0xfffd
	v_dual_cndmask_b32 v2, v2, v3 :: v_dual_cndmask_b32 v1, v1, v4
	v_ashrrev_i32_e32 v3, 31, v12
	s_delay_alu instid0(VALU_DEP_2) | instskip(NEXT) | instid1(VALU_DEP_3)
	v_add_nc_u32_e32 v4, 1, v2
	v_cmp_le_u32_e32 vcc_lo, s16, v1
	s_delay_alu instid0(VALU_DEP_3) | instskip(SKIP_1) | instid1(VALU_DEP_3)
	v_xor_b32_e32 v3, s15, v3
	s_wait_alu 0xfffd
	v_cndmask_b32_e32 v1, v2, v4, vcc_lo
	s_delay_alu instid0(VALU_DEP_1) | instskip(NEXT) | instid1(VALU_DEP_1)
	v_xor_b32_e32 v1, v1, v3
	v_sub_nc_u32_e32 v1, v1, v3
	s_delay_alu instid0(VALU_DEP_1) | instskip(SKIP_1) | instid1(VALU_DEP_2)
	v_add_nc_u32_e32 v2, s21, v1
	v_cmp_lt_i32_e64 s0, s3, v1
	v_sub_nc_u32_e32 v3, 0, v2
	s_delay_alu instid0(VALU_DEP_1) | instskip(SKIP_1) | instid1(VALU_DEP_1)
	v_max_i32_e32 v3, v2, v3
	s_wait_alu 0xfffe
	v_mul_hi_u32 v4, v3, s6
	s_delay_alu instid0(VALU_DEP_1) | instskip(NEXT) | instid1(VALU_DEP_1)
	v_mul_lo_u32 v4, v4, s2
	v_sub_nc_u32_e32 v3, v3, v4
	s_delay_alu instid0(VALU_DEP_1) | instskip(SKIP_2) | instid1(VALU_DEP_2)
	v_subrev_nc_u32_e32 v4, s2, v3
	v_cmp_le_u32_e32 vcc_lo, s2, v3
	s_wait_alu 0xfffd
	v_cndmask_b32_e32 v3, v3, v4, vcc_lo
	v_ashrrev_i32_e32 v2, 31, v2
	s_delay_alu instid0(VALU_DEP_2) | instskip(SKIP_2) | instid1(VALU_DEP_2)
	v_subrev_nc_u32_e32 v4, s2, v3
	v_cmp_le_u32_e32 vcc_lo, s2, v3
	s_wait_alu 0xfffd
	v_cndmask_b32_e32 v3, v3, v4, vcc_lo
	s_delay_alu instid0(VALU_DEP_1) | instskip(NEXT) | instid1(VALU_DEP_1)
	v_xor_b32_e32 v3, v3, v2
	v_sub_nc_u32_e32 v2, v3, v2
	s_delay_alu instid0(VALU_DEP_1)
	v_cmp_eq_u32_e32 vcc_lo, 0, v2
	s_or_b32 s0, vcc_lo, s0
	s_wait_alu 0xfffe
	s_and_saveexec_b32 s7, s0
	s_cbranch_execz .LBB210_41
; %bb.43:                               ;   in Loop: Header=BB210_42 Depth=1
	global_load_b32 v1, v[5:6], off
	s_load_b32 s13, s[10:11], 0x0
	v_add_nc_u32_e32 v46, v30, v12
	v_cmp_eq_u32_e32 vcc_lo, s37, v13
	s_delay_alu instid0(VALU_DEP_2)
	v_add_nc_u32_e32 v47, 2, v46
	v_add_nc_u32_e32 v50, 3, v46
	s_wait_loadcnt 0x0
	v_mad_co_i64_i32 v[9:10], null, v1, s4, v[7:8]
	ds_load_b128 v[1:4], v31
	global_load_b32 v32, v[9:10], off
	s_wait_loadcnt 0x0
	v_lshrrev_b32_e32 v34, 16, v32
	s_delay_alu instid0(VALU_DEP_1) | instskip(SKIP_1) | instid1(VALU_DEP_1)
	v_cvt_pk_f32_fp8_e32 v[36:37], v34
	v_and_b32_e32 v33, 0xffff, v32
	v_cvt_pk_f32_fp8_e32 v[32:33], v33
	s_wait_kmcnt 0x0
	s_delay_alu instid0(VALU_DEP_1) | instskip(NEXT) | instid1(VALU_DEP_2)
	v_dual_mul_f32 v34, s13, v33 :: v_dual_add_nc_u32 v49, 1, v46
	v_mul_f32_e32 v35, s13, v32
	v_dual_mul_f32 v33, s13, v36 :: v_dual_mul_f32 v32, s13, v37
	s_and_saveexec_b32 s14, vcc_lo
	s_cbranch_execz .LBB210_45
; %bb.44:                               ;   in Loop: Header=BB210_42 Depth=1
	v_cmp_gt_i32_e64 s0, s34, v46
	s_wait_alu 0xf1ff
	s_delay_alu instid0(VALU_DEP_1) | instskip(SKIP_2) | instid1(VALU_DEP_1)
	v_cndmask_b32_e64 v35, 0, v35, s0
	v_cmp_gt_i32_e64 s0, s34, v49
	s_wait_alu 0xf1ff
	v_cndmask_b32_e64 v34, 0, v34, s0
	v_cmp_gt_i32_e64 s0, s34, v47
	s_wait_alu 0xf1ff
	s_delay_alu instid0(VALU_DEP_1) | instskip(SKIP_2) | instid1(VALU_DEP_1)
	v_cndmask_b32_e64 v33, 0, v33, s0
	v_cmp_gt_i32_e64 s0, s34, v50
	s_wait_alu 0xf1ff
	v_cndmask_b32_e64 v32, 0, v32, s0
.LBB210_45:                             ;   in Loop: Header=BB210_42 Depth=1
	s_wait_alu 0xfffe
	s_or_b32 exec_lo, exec_lo, s14
	global_load_b32 v36, v[9:10], off offset:128
	s_mov_b32 s14, s13
	s_wait_loadcnt 0x0
	v_lshrrev_b32_e32 v38, 16, v36
	s_delay_alu instid0(VALU_DEP_1) | instskip(SKIP_1) | instid1(VALU_DEP_1)
	v_cvt_pk_f32_fp8_e32 v[40:41], v38
	v_and_b32_e32 v37, 0xffff, v36
	v_cvt_pk_f32_fp8_e32 v[36:37], v37
	s_wait_alu 0xfffe
	s_delay_alu instid0(VALU_DEP_1)
	v_dual_mul_f32 v39, s13, v36 :: v_dual_mul_f32 v38, s14, v37
	v_dual_mul_f32 v37, s13, v40 :: v_dual_mul_f32 v36, s14, v41
	s_and_saveexec_b32 s17, vcc_lo
	s_cbranch_execz .LBB210_47
; %bb.46:                               ;   in Loop: Header=BB210_42 Depth=1
	v_cmp_gt_i32_e64 s0, s34, v46
	s_wait_alu 0xf1ff
	s_delay_alu instid0(VALU_DEP_1) | instskip(SKIP_2) | instid1(VALU_DEP_1)
	v_cndmask_b32_e64 v39, 0, v39, s0
	v_cmp_gt_i32_e64 s0, s34, v49
	s_wait_alu 0xf1ff
	v_cndmask_b32_e64 v38, 0, v38, s0
	v_cmp_gt_i32_e64 s0, s34, v47
	s_wait_alu 0xf1ff
	s_delay_alu instid0(VALU_DEP_1) | instskip(SKIP_2) | instid1(VALU_DEP_1)
	v_cndmask_b32_e64 v37, 0, v37, s0
	v_cmp_gt_i32_e64 s0, s34, v50
	s_wait_alu 0xf1ff
	v_cndmask_b32_e64 v36, 0, v36, s0
.LBB210_47:                             ;   in Loop: Header=BB210_42 Depth=1
	s_wait_alu 0xfffe
	s_or_b32 exec_lo, exec_lo, s17
	global_load_b32 v40, v[9:10], off offset:256
	s_wait_loadcnt 0x0
	v_lshrrev_b32_e32 v42, 16, v40
	s_delay_alu instid0(VALU_DEP_1) | instskip(SKIP_1) | instid1(VALU_DEP_1)
	v_cvt_pk_f32_fp8_e32 v[44:45], v42
	v_and_b32_e32 v41, 0xffff, v40
	v_cvt_pk_f32_fp8_e32 v[40:41], v41
	s_delay_alu instid0(VALU_DEP_1) | instskip(NEXT) | instid1(VALU_DEP_4)
	v_dual_mul_f32 v43, s13, v40 :: v_dual_mul_f32 v42, s14, v41
	v_dual_mul_f32 v41, s13, v44 :: v_dual_mul_f32 v40, s14, v45
	s_and_saveexec_b32 s17, vcc_lo
	s_cbranch_execz .LBB210_49
; %bb.48:                               ;   in Loop: Header=BB210_42 Depth=1
	v_cmp_gt_i32_e64 s0, s34, v46
	s_wait_alu 0xf1ff
	s_delay_alu instid0(VALU_DEP_1) | instskip(SKIP_2) | instid1(VALU_DEP_1)
	v_cndmask_b32_e64 v43, 0, v43, s0
	v_cmp_gt_i32_e64 s0, s34, v49
	s_wait_alu 0xf1ff
	v_cndmask_b32_e64 v42, 0, v42, s0
	v_cmp_gt_i32_e64 s0, s34, v47
	s_wait_alu 0xf1ff
	s_delay_alu instid0(VALU_DEP_1) | instskip(SKIP_2) | instid1(VALU_DEP_1)
	v_cndmask_b32_e64 v41, 0, v41, s0
	v_cmp_gt_i32_e64 s0, s34, v50
	s_wait_alu 0xf1ff
	v_cndmask_b32_e64 v40, 0, v40, s0
.LBB210_49:                             ;   in Loop: Header=BB210_42 Depth=1
	s_wait_alu 0xfffe
	s_or_b32 exec_lo, exec_lo, s17
	global_load_b32 v44, v[9:10], off offset:384
	s_wait_loadcnt 0x0
	v_lshrrev_b32_e32 v48, 16, v44
	s_delay_alu instid0(VALU_DEP_1) | instskip(SKIP_1) | instid1(VALU_DEP_1)
	v_cvt_pk_f32_fp8_e32 v[52:53], v48
	v_and_b32_e32 v45, 0xffff, v44
	v_cvt_pk_f32_fp8_e32 v[44:45], v45
	s_delay_alu instid0(VALU_DEP_1) | instskip(NEXT) | instid1(VALU_DEP_4)
	;; [unrolled: 30-line block ×5, first 2 shown]
	v_dual_mul_f32 v63, s13, v60 :: v_dual_mul_f32 v62, s14, v61
	v_dual_mul_f32 v61, s13, v64 :: v_dual_mul_f32 v60, s14, v65
	s_and_saveexec_b32 s17, vcc_lo
	s_cbranch_execz .LBB210_57
; %bb.56:                               ;   in Loop: Header=BB210_42 Depth=1
	v_cmp_gt_i32_e64 s0, s34, v46
	s_wait_alu 0xf1ff
	s_delay_alu instid0(VALU_DEP_1) | instskip(SKIP_2) | instid1(VALU_DEP_1)
	v_cndmask_b32_e64 v63, 0, v63, s0
	v_cmp_gt_i32_e64 s0, s34, v49
	s_wait_alu 0xf1ff
	v_cndmask_b32_e64 v62, 0, v62, s0
	v_cmp_gt_i32_e64 s0, s34, v47
	s_wait_alu 0xf1ff
	s_delay_alu instid0(VALU_DEP_1) | instskip(SKIP_2) | instid1(VALU_DEP_1)
	v_cndmask_b32_e64 v61, 0, v61, s0
	v_cmp_gt_i32_e64 s0, s34, v50
	s_wait_alu 0xf1ff
	v_cndmask_b32_e64 v60, 0, v60, s0
.LBB210_57:                             ;   in Loop: Header=BB210_42 Depth=1
	s_wait_alu 0xfffe
	s_or_b32 exec_lo, exec_lo, s17
	global_load_b32 v64, v[9:10], off offset:896
	s_wait_loadcnt 0x0
	v_lshrrev_b32_e32 v66, 16, v64
	s_delay_alu instid0(VALU_DEP_1) | instskip(SKIP_1) | instid1(VALU_DEP_1)
	v_cvt_pk_f32_fp8_e32 v[69:70], v66
	v_and_b32_e32 v65, 0xffff, v64
	v_cvt_pk_f32_fp8_e32 v[64:65], v65
	s_delay_alu instid0(VALU_DEP_1) | instskip(NEXT) | instid1(VALU_DEP_2)
	v_mul_f32_e32 v68, s13, v64
	v_mul_f32_e32 v66, s14, v65
	v_dual_mul_f32 v65, s13, v69 :: v_dual_mul_f32 v64, s14, v70
	s_and_saveexec_b32 s17, vcc_lo
	s_cbranch_execz .LBB210_59
; %bb.58:                               ;   in Loop: Header=BB210_42 Depth=1
	v_cmp_gt_i32_e64 s0, s34, v46
	s_wait_alu 0xf1ff
	s_delay_alu instid0(VALU_DEP_1) | instskip(SKIP_2) | instid1(VALU_DEP_1)
	v_cndmask_b32_e64 v68, 0, v68, s0
	v_cmp_gt_i32_e64 s0, s34, v49
	s_wait_alu 0xf1ff
	v_cndmask_b32_e64 v66, 0, v66, s0
	v_cmp_gt_i32_e64 s0, s34, v47
	s_wait_alu 0xf1ff
	s_delay_alu instid0(VALU_DEP_1) | instskip(SKIP_2) | instid1(VALU_DEP_1)
	v_cndmask_b32_e64 v65, 0, v65, s0
	v_cmp_gt_i32_e64 s0, s34, v50
	s_wait_alu 0xf1ff
	v_cndmask_b32_e64 v64, 0, v64, s0
.LBB210_59:                             ;   in Loop: Header=BB210_42 Depth=1
	s_wait_alu 0xfffe
	s_or_b32 exec_lo, exec_lo, s17
	global_load_b32 v67, v[9:10], off offset:1024
	s_wait_loadcnt 0x0
	v_and_b32_e32 v69, 0xffff, v67
	v_lshrrev_b32_e32 v67, 16, v67
	s_delay_alu instid0(VALU_DEP_2) | instskip(NEXT) | instid1(VALU_DEP_2)
	v_cvt_pk_f32_fp8_e32 v[69:70], v69
	v_cvt_pk_f32_fp8_e32 v[72:73], v67
	s_delay_alu instid0(VALU_DEP_2) | instskip(NEXT) | instid1(VALU_DEP_2)
	v_dual_mul_f32 v71, s13, v69 :: v_dual_mul_f32 v70, s14, v70
	v_mul_f32_e32 v69, s13, v72
	s_delay_alu instid0(VALU_DEP_3)
	v_mul_f32_e32 v67, s14, v73
	s_and_saveexec_b32 s17, vcc_lo
	s_cbranch_execz .LBB210_61
; %bb.60:                               ;   in Loop: Header=BB210_42 Depth=1
	v_cmp_gt_i32_e64 s0, s34, v46
	s_wait_alu 0xf1ff
	s_delay_alu instid0(VALU_DEP_1) | instskip(SKIP_2) | instid1(VALU_DEP_1)
	v_cndmask_b32_e64 v71, 0, v71, s0
	v_cmp_gt_i32_e64 s0, s34, v49
	s_wait_alu 0xf1ff
	v_cndmask_b32_e64 v70, 0, v70, s0
	v_cmp_gt_i32_e64 s0, s34, v47
	s_wait_alu 0xf1ff
	s_delay_alu instid0(VALU_DEP_1) | instskip(SKIP_2) | instid1(VALU_DEP_1)
	v_cndmask_b32_e64 v69, 0, v69, s0
	v_cmp_gt_i32_e64 s0, s34, v50
	s_wait_alu 0xf1ff
	v_cndmask_b32_e64 v67, 0, v67, s0
.LBB210_61:                             ;   in Loop: Header=BB210_42 Depth=1
	s_wait_alu 0xfffe
	s_or_b32 exec_lo, exec_lo, s17
	global_load_b32 v72, v[9:10], off offset:1152
	s_wait_loadcnt 0x0
	v_lshrrev_b32_e32 v74, 16, v72
	s_delay_alu instid0(VALU_DEP_1) | instskip(SKIP_1) | instid1(VALU_DEP_1)
	v_cvt_pk_f32_fp8_e32 v[74:75], v74
	v_and_b32_e32 v73, 0xffff, v72
	v_cvt_pk_f32_fp8_e32 v[72:73], v73
	s_delay_alu instid0(VALU_DEP_1) | instskip(NEXT) | instid1(VALU_DEP_4)
	v_dual_mul_f32 v79, s13, v72 :: v_dual_mul_f32 v76, s14, v73
	v_dual_mul_f32 v73, s13, v74 :: v_dual_mul_f32 v72, s14, v75
	s_and_saveexec_b32 s17, vcc_lo
	s_cbranch_execz .LBB210_63
; %bb.62:                               ;   in Loop: Header=BB210_42 Depth=1
	v_cmp_gt_i32_e64 s0, s34, v46
	s_wait_alu 0xf1ff
	s_delay_alu instid0(VALU_DEP_1) | instskip(SKIP_2) | instid1(VALU_DEP_1)
	v_cndmask_b32_e64 v79, 0, v79, s0
	v_cmp_gt_i32_e64 s0, s34, v49
	s_wait_alu 0xf1ff
	v_cndmask_b32_e64 v76, 0, v76, s0
	v_cmp_gt_i32_e64 s0, s34, v47
	s_wait_alu 0xf1ff
	s_delay_alu instid0(VALU_DEP_1) | instskip(SKIP_2) | instid1(VALU_DEP_1)
	v_cndmask_b32_e64 v73, 0, v73, s0
	v_cmp_gt_i32_e64 s0, s34, v50
	s_wait_alu 0xf1ff
	v_cndmask_b32_e64 v72, 0, v72, s0
.LBB210_63:                             ;   in Loop: Header=BB210_42 Depth=1
	s_wait_alu 0xfffe
	s_or_b32 exec_lo, exec_lo, s17
	global_load_b32 v74, v[9:10], off offset:1280
	s_wait_loadcnt 0x0
	v_and_b32_e32 v75, 0xffff, v74
	v_lshrrev_b32_e32 v77, 16, v74
	s_delay_alu instid0(VALU_DEP_2) | instskip(NEXT) | instid1(VALU_DEP_2)
	v_cvt_pk_f32_fp8_e32 v[74:75], v75
	v_cvt_pk_f32_fp8_e32 v[82:83], v77
	s_delay_alu instid0(VALU_DEP_2) | instskip(NEXT) | instid1(VALU_DEP_2)
	v_dual_mul_f32 v81, s13, v74 :: v_dual_mul_f32 v80, s14, v75
	v_dual_mul_f32 v78, s13, v82 :: v_dual_mul_f32 v77, s14, v83
	s_and_saveexec_b32 s17, vcc_lo
	s_cbranch_execz .LBB210_65
; %bb.64:                               ;   in Loop: Header=BB210_42 Depth=1
	v_cmp_gt_i32_e64 s0, s34, v46
	s_wait_alu 0xf1ff
	s_delay_alu instid0(VALU_DEP_1) | instskip(SKIP_2) | instid1(VALU_DEP_1)
	v_cndmask_b32_e64 v81, 0, v81, s0
	v_cmp_gt_i32_e64 s0, s34, v49
	s_wait_alu 0xf1ff
	v_cndmask_b32_e64 v80, 0, v80, s0
	v_cmp_gt_i32_e64 s0, s34, v47
	s_wait_alu 0xf1ff
	s_delay_alu instid0(VALU_DEP_1) | instskip(SKIP_2) | instid1(VALU_DEP_1)
	v_cndmask_b32_e64 v78, 0, v78, s0
	v_cmp_gt_i32_e64 s0, s34, v50
	s_wait_alu 0xf1ff
	v_cndmask_b32_e64 v77, 0, v77, s0
.LBB210_65:                             ;   in Loop: Header=BB210_42 Depth=1
	s_wait_alu 0xfffe
	s_or_b32 exec_lo, exec_lo, s17
	global_load_b32 v9, v[9:10], off offset:1408
	s_wait_loadcnt 0x0
	v_lshrrev_b32_e32 v74, 16, v9
	s_delay_alu instid0(VALU_DEP_1) | instskip(SKIP_1) | instid1(VALU_DEP_1)
	v_cvt_pk_f32_fp8_e32 v[82:83], v74
	v_and_b32_e32 v10, 0xffff, v9
	v_cvt_pk_f32_fp8_e32 v[9:10], v10
	s_delay_alu instid0(VALU_DEP_1) | instskip(NEXT) | instid1(VALU_DEP_4)
	v_dual_mul_f32 v75, s13, v9 :: v_dual_mul_f32 v74, s14, v10
	v_dual_mul_f32 v10, s13, v82 :: v_dual_mul_f32 v9, s14, v83
	s_and_saveexec_b32 s0, vcc_lo
	s_cbranch_execz .LBB210_40
; %bb.66:                               ;   in Loop: Header=BB210_42 Depth=1
	v_cmp_gt_i32_e32 vcc_lo, s34, v46
	s_wait_alu 0xfffd
	v_cndmask_b32_e32 v75, 0, v75, vcc_lo
	v_cmp_gt_i32_e32 vcc_lo, s34, v49
	s_wait_alu 0xfffd
	v_cndmask_b32_e32 v74, 0, v74, vcc_lo
	v_cmp_gt_i32_e32 vcc_lo, s34, v47
	s_wait_alu 0xfffd
	v_cndmask_b32_e32 v10, 0, v10, vcc_lo
	v_cmp_gt_i32_e32 vcc_lo, s34, v50
	s_wait_alu 0xfffd
	v_cndmask_b32_e32 v9, 0, v9, vcc_lo
	s_branch .LBB210_40
.LBB210_67:
	s_or_b32 exec_lo, exec_lo, s5
.LBB210_68:
	s_wait_alu 0xfffe
	s_or_b32 exec_lo, exec_lo, s1
	ds_bpermute_b32 v1, v15, v28
	ds_bpermute_b32 v2, v15, v29
	;; [unrolled: 1-line block ×12, first 2 shown]
	v_mul_u32_u24_e32 v11, 0x180, v11
	s_mov_b32 s0, exec_lo
	s_wait_storecnt 0x0
	s_wait_loadcnt_dscnt 0x0
	s_barrier_signal -1
	s_barrier_wait -1
	global_inv scope:SCOPE_SE
	v_dual_add_f32 v1, v28, v1 :: v_dual_add_f32 v2, v29, v2
	v_dual_add_f32 v3, v27, v3 :: v_dual_add_f32 v4, v26, v4
	;; [unrolled: 1-line block ×6, first 2 shown]
	ds_bpermute_b32 v15, v16, v1
	ds_bpermute_b32 v18, v16, v2
	;; [unrolled: 1-line block ×12, first 2 shown]
	s_wait_dscnt 0xa
	v_dual_add_f32 v1, v1, v15 :: v_dual_add_f32 v2, v2, v18
	s_wait_dscnt 0x9
	v_dual_add_f32 v3, v3, v19 :: v_dual_and_b32 v18, 28, v14
	s_wait_dscnt 0x7
	v_dual_add_f32 v4, v4, v20 :: v_dual_add_f32 v5, v5, v21
	s_wait_dscnt 0x5
	v_dual_add_f32 v6, v6, v22 :: v_dual_add_f32 v7, v7, v23
	;; [unrolled: 2-line block ×3, first 2 shown]
	s_wait_dscnt 0x2
	v_add_f32_e32 v10, v10, v26
	s_wait_dscnt 0x1
	v_dual_add_f32 v12, v12, v27 :: v_dual_and_b32 v19, 0x3c3, v0
	s_wait_dscnt 0x0
	v_add_f32_e32 v13, v13, v16
	v_lshrrev_b32_e32 v15, 2, v14
	v_add_nc_u32_e32 v14, 0x1a0, v18
	v_cmpx_eq_u32_e32 64, v19
	s_cbranch_execz .LBB210_70
; %bb.69:
	s_delay_alu instid0(VALU_DEP_2) | instskip(NEXT) | instid1(VALU_DEP_1)
	v_add_nc_u32_e32 v16, v14, v11
	v_add_nc_u32_e32 v18, 0xfffffd00, v16
	v_add_nc_u32_e32 v19, 0xfffffd20, v16
	v_add_nc_u32_e32 v20, 0xfffffd40, v16
	v_add_nc_u32_e32 v21, 0xfffffd60, v16
	v_add_nc_u32_e32 v22, 0xfffffd80, v16
	v_add_nc_u32_e32 v23, 0xfffffda0, v16
	v_add_nc_u32_e32 v24, 0xfffffdc0, v16
	v_add_nc_u32_e32 v25, 0xfffffde0, v16
	v_add_nc_u32_e32 v26, 0xfffffe00, v16
	v_add_nc_u32_e32 v27, 0xfffffe20, v16
	v_add_nc_u32_e32 v28, 0xfffffe40, v16
	v_add_nc_u32_e32 v16, 0xfffffe60, v16
	ds_store_b32 v18, v1
	ds_store_b32 v19, v2
	;; [unrolled: 1-line block ×12, first 2 shown]
.LBB210_70:
	s_wait_alu 0xfffe
	s_or_b32 exec_lo, exec_lo, s0
	v_lshlrev_b32_e32 v15, 2, v15
	s_mov_b32 s1, exec_lo
	v_cmp_eq_u32_e32 vcc_lo, 0, v17
	s_wait_loadcnt_dscnt 0x0
	s_barrier_signal -1
	v_add3_u32 v11, 0x1a0, v11, v15
	s_barrier_wait -1
	global_inv scope:SCOPE_SE
	v_cmpx_gt_u32_e32 64, v0
	s_cbranch_execz .LBB210_85
; %bb.71:
	s_and_saveexec_b32 s0, vcc_lo
	s_cbranch_execnz .LBB210_105
; %bb.72:
	s_wait_alu 0xfffe
	s_or_b32 exec_lo, exec_lo, s0
	s_and_saveexec_b32 s0, vcc_lo
	s_cbranch_execnz .LBB210_106
.LBB210_73:
	s_wait_alu 0xfffe
	s_or_b32 exec_lo, exec_lo, s0
	s_and_saveexec_b32 s0, vcc_lo
	s_cbranch_execnz .LBB210_107
.LBB210_74:
	s_wait_alu 0xfffe
	s_or_b32 exec_lo, exec_lo, s0
	s_and_saveexec_b32 s0, vcc_lo
	s_cbranch_execnz .LBB210_108
.LBB210_75:
	s_wait_alu 0xfffe
	s_or_b32 exec_lo, exec_lo, s0
	s_and_saveexec_b32 s0, vcc_lo
	s_cbranch_execnz .LBB210_109
.LBB210_76:
	s_wait_alu 0xfffe
	s_or_b32 exec_lo, exec_lo, s0
	s_and_saveexec_b32 s0, vcc_lo
	s_cbranch_execnz .LBB210_110
.LBB210_77:
	s_wait_alu 0xfffe
	s_or_b32 exec_lo, exec_lo, s0
	s_and_saveexec_b32 s0, vcc_lo
	s_cbranch_execnz .LBB210_111
.LBB210_78:
	s_wait_alu 0xfffe
	s_or_b32 exec_lo, exec_lo, s0
	s_and_saveexec_b32 s0, vcc_lo
	s_cbranch_execnz .LBB210_112
.LBB210_79:
	s_wait_alu 0xfffe
	s_or_b32 exec_lo, exec_lo, s0
	s_and_saveexec_b32 s0, vcc_lo
	s_cbranch_execnz .LBB210_113
.LBB210_80:
	s_wait_alu 0xfffe
	s_or_b32 exec_lo, exec_lo, s0
	s_and_saveexec_b32 s0, vcc_lo
	s_cbranch_execnz .LBB210_114
.LBB210_81:
	s_wait_alu 0xfffe
	s_or_b32 exec_lo, exec_lo, s0
	s_and_saveexec_b32 s0, vcc_lo
	s_cbranch_execnz .LBB210_115
.LBB210_82:
	s_wait_alu 0xfffe
	s_or_b32 exec_lo, exec_lo, s0
	s_and_saveexec_b32 s0, vcc_lo
	s_cbranch_execz .LBB210_84
.LBB210_83:
	ds_load_b32 v15, v11 offset:352
	s_wait_dscnt 0x0
	v_add_f32_e32 v13, v13, v15
.LBB210_84:
	s_wait_alu 0xfffe
	s_or_b32 exec_lo, exec_lo, s0
.LBB210_85:
	s_wait_alu 0xfffe
	s_or_b32 exec_lo, exec_lo, s1
	v_and_b32_e32 v15, 0x3e3, v0
	s_mov_b32 s1, exec_lo
	s_wait_loadcnt 0x0
	s_barrier_signal -1
	s_barrier_wait -1
	global_inv scope:SCOPE_SE
	v_cmpx_eq_u32_e32 32, v15
	s_cbranch_execz .LBB210_87
; %bb.86:
	ds_store_2addr_b32 v14, v1, v2 offset1:8
	ds_store_2addr_b32 v14, v3, v4 offset0:16 offset1:24
	ds_store_2addr_b32 v14, v5, v6 offset0:32 offset1:40
	;; [unrolled: 1-line block ×5, first 2 shown]
.LBB210_87:
	s_wait_alu 0xfffe
	s_or_b32 exec_lo, exec_lo, s1
	s_delay_alu instid0(SALU_CYCLE_1)
	s_mov_b32 s1, exec_lo
	s_wait_loadcnt_dscnt 0x0
	s_barrier_signal -1
	s_barrier_wait -1
	global_inv scope:SCOPE_SE
	v_cmpx_gt_u32_e32 32, v0
	s_cbranch_execz .LBB210_102
; %bb.88:
	s_and_saveexec_b32 s0, vcc_lo
	s_cbranch_execnz .LBB210_116
; %bb.89:
	s_wait_alu 0xfffe
	s_or_b32 exec_lo, exec_lo, s0
	s_and_saveexec_b32 s0, vcc_lo
	s_cbranch_execnz .LBB210_117
.LBB210_90:
	s_wait_alu 0xfffe
	s_or_b32 exec_lo, exec_lo, s0
	s_and_saveexec_b32 s0, vcc_lo
	s_cbranch_execnz .LBB210_118
.LBB210_91:
	s_wait_alu 0xfffe
	s_or_b32 exec_lo, exec_lo, s0
	s_and_saveexec_b32 s0, vcc_lo
	s_cbranch_execnz .LBB210_119
.LBB210_92:
	s_wait_alu 0xfffe
	s_or_b32 exec_lo, exec_lo, s0
	s_and_saveexec_b32 s0, vcc_lo
	s_cbranch_execnz .LBB210_120
.LBB210_93:
	s_wait_alu 0xfffe
	s_or_b32 exec_lo, exec_lo, s0
	s_and_saveexec_b32 s0, vcc_lo
	s_cbranch_execnz .LBB210_121
.LBB210_94:
	s_wait_alu 0xfffe
	s_or_b32 exec_lo, exec_lo, s0
	s_and_saveexec_b32 s0, vcc_lo
	s_cbranch_execnz .LBB210_122
.LBB210_95:
	s_wait_alu 0xfffe
	s_or_b32 exec_lo, exec_lo, s0
	s_and_saveexec_b32 s0, vcc_lo
	s_cbranch_execnz .LBB210_123
.LBB210_96:
	s_wait_alu 0xfffe
	s_or_b32 exec_lo, exec_lo, s0
	s_and_saveexec_b32 s0, vcc_lo
	s_cbranch_execnz .LBB210_124
.LBB210_97:
	s_wait_alu 0xfffe
	s_or_b32 exec_lo, exec_lo, s0
	s_and_saveexec_b32 s0, vcc_lo
	s_cbranch_execnz .LBB210_125
.LBB210_98:
	s_wait_alu 0xfffe
	s_or_b32 exec_lo, exec_lo, s0
	s_and_saveexec_b32 s0, vcc_lo
	s_cbranch_execnz .LBB210_126
.LBB210_99:
	s_wait_alu 0xfffe
	s_or_b32 exec_lo, exec_lo, s0
	s_and_saveexec_b32 s0, vcc_lo
	s_cbranch_execz .LBB210_101
.LBB210_100:
	ds_load_b32 v11, v11 offset:352
	s_wait_dscnt 0x0
	v_add_f32_e32 v13, v13, v11
.LBB210_101:
	s_wait_alu 0xfffe
	s_or_b32 exec_lo, exec_lo, s0
.LBB210_102:
	s_wait_alu 0xfffe
	s_or_b32 exec_lo, exec_lo, s1
	s_mov_b32 s1, 0
	s_wait_loadcnt 0x0
	s_barrier_signal -1
	s_barrier_wait -1
	global_inv scope:SCOPE_SE
	s_mov_b32 s0, exec_lo
	v_cmpx_eq_u32_e32 0, v15
	s_cbranch_execz .LBB210_104
; %bb.103:
	s_mul_i32 s2, s18, 0x60
	s_wait_kmcnt 0x0
	s_mul_i32 s4, s12, s20
	s_wait_alu 0xfffe
	s_ashr_i32 s3, s2, 31
	s_ashr_i32 s5, s4, 31
	s_wait_alu 0xfffe
	s_lshl_b64 s[2:3], s[2:3], 2
	s_lshl_b64 s[4:5], s[4:5], 2
	s_wait_alu 0xfffe
	s_add_nc_u64 s[2:3], s[8:9], s[2:3]
	s_mul_i32 s0, s33, 0x180
	s_wait_alu 0xfffe
	s_add_nc_u64 s[2:3], s[2:3], s[4:5]
	s_wait_alu 0xfffe
	s_add_nc_u64 s[0:1], s[2:3], s[0:1]
	s_clause 0xb
	global_store_b32 v0, v1, s[0:1]
	global_store_b32 v0, v2, s[0:1] offset:32
	global_store_b32 v0, v3, s[0:1] offset:64
	;; [unrolled: 1-line block ×11, first 2 shown]
.LBB210_104:
	s_endpgm
.LBB210_105:
	ds_load_b32 v15, v11
	s_wait_dscnt 0x0
	v_add_f32_e32 v1, v1, v15
	s_wait_alu 0xfffe
	s_or_b32 exec_lo, exec_lo, s0
	s_and_saveexec_b32 s0, vcc_lo
	s_cbranch_execz .LBB210_73
.LBB210_106:
	ds_load_b32 v15, v11 offset:32
	s_wait_dscnt 0x0
	v_add_f32_e32 v2, v2, v15
	s_wait_alu 0xfffe
	s_or_b32 exec_lo, exec_lo, s0
	s_and_saveexec_b32 s0, vcc_lo
	s_cbranch_execz .LBB210_74
.LBB210_107:
	ds_load_b32 v15, v11 offset:64
	s_wait_dscnt 0x0
	v_add_f32_e32 v3, v3, v15
	s_wait_alu 0xfffe
	s_or_b32 exec_lo, exec_lo, s0
	s_and_saveexec_b32 s0, vcc_lo
	s_cbranch_execz .LBB210_75
.LBB210_108:
	ds_load_b32 v15, v11 offset:96
	s_wait_dscnt 0x0
	v_add_f32_e32 v4, v4, v15
	s_wait_alu 0xfffe
	s_or_b32 exec_lo, exec_lo, s0
	s_and_saveexec_b32 s0, vcc_lo
	s_cbranch_execz .LBB210_76
.LBB210_109:
	ds_load_b32 v15, v11 offset:128
	s_wait_dscnt 0x0
	v_add_f32_e32 v5, v5, v15
	s_wait_alu 0xfffe
	s_or_b32 exec_lo, exec_lo, s0
	s_and_saveexec_b32 s0, vcc_lo
	s_cbranch_execz .LBB210_77
.LBB210_110:
	ds_load_b32 v15, v11 offset:160
	s_wait_dscnt 0x0
	v_add_f32_e32 v6, v6, v15
	s_wait_alu 0xfffe
	s_or_b32 exec_lo, exec_lo, s0
	s_and_saveexec_b32 s0, vcc_lo
	s_cbranch_execz .LBB210_78
.LBB210_111:
	ds_load_b32 v15, v11 offset:192
	s_wait_dscnt 0x0
	v_add_f32_e32 v7, v7, v15
	s_wait_alu 0xfffe
	s_or_b32 exec_lo, exec_lo, s0
	s_and_saveexec_b32 s0, vcc_lo
	s_cbranch_execz .LBB210_79
.LBB210_112:
	ds_load_b32 v15, v11 offset:224
	s_wait_dscnt 0x0
	v_add_f32_e32 v8, v8, v15
	s_wait_alu 0xfffe
	s_or_b32 exec_lo, exec_lo, s0
	s_and_saveexec_b32 s0, vcc_lo
	s_cbranch_execz .LBB210_80
.LBB210_113:
	ds_load_b32 v15, v11 offset:256
	s_wait_dscnt 0x0
	v_add_f32_e32 v9, v9, v15
	s_wait_alu 0xfffe
	s_or_b32 exec_lo, exec_lo, s0
	s_and_saveexec_b32 s0, vcc_lo
	s_cbranch_execz .LBB210_81
.LBB210_114:
	ds_load_b32 v15, v11 offset:288
	s_wait_dscnt 0x0
	v_add_f32_e32 v10, v10, v15
	s_wait_alu 0xfffe
	s_or_b32 exec_lo, exec_lo, s0
	s_and_saveexec_b32 s0, vcc_lo
	s_cbranch_execz .LBB210_82
.LBB210_115:
	ds_load_b32 v15, v11 offset:320
	s_wait_dscnt 0x0
	v_add_f32_e32 v12, v12, v15
	s_wait_alu 0xfffe
	s_or_b32 exec_lo, exec_lo, s0
	s_and_saveexec_b32 s0, vcc_lo
	s_cbranch_execnz .LBB210_83
	s_branch .LBB210_84
.LBB210_116:
	ds_load_b32 v14, v11
	s_wait_dscnt 0x0
	v_add_f32_e32 v1, v1, v14
	s_wait_alu 0xfffe
	s_or_b32 exec_lo, exec_lo, s0
	s_and_saveexec_b32 s0, vcc_lo
	s_cbranch_execz .LBB210_90
.LBB210_117:
	ds_load_b32 v14, v11 offset:32
	s_wait_dscnt 0x0
	v_add_f32_e32 v2, v2, v14
	s_wait_alu 0xfffe
	s_or_b32 exec_lo, exec_lo, s0
	s_and_saveexec_b32 s0, vcc_lo
	s_cbranch_execz .LBB210_91
.LBB210_118:
	ds_load_b32 v14, v11 offset:64
	s_wait_dscnt 0x0
	v_add_f32_e32 v3, v3, v14
	s_wait_alu 0xfffe
	s_or_b32 exec_lo, exec_lo, s0
	s_and_saveexec_b32 s0, vcc_lo
	s_cbranch_execz .LBB210_92
.LBB210_119:
	ds_load_b32 v14, v11 offset:96
	s_wait_dscnt 0x0
	v_add_f32_e32 v4, v4, v14
	s_wait_alu 0xfffe
	s_or_b32 exec_lo, exec_lo, s0
	s_and_saveexec_b32 s0, vcc_lo
	s_cbranch_execz .LBB210_93
.LBB210_120:
	ds_load_b32 v14, v11 offset:128
	s_wait_dscnt 0x0
	v_add_f32_e32 v5, v5, v14
	s_wait_alu 0xfffe
	s_or_b32 exec_lo, exec_lo, s0
	s_and_saveexec_b32 s0, vcc_lo
	s_cbranch_execz .LBB210_94
.LBB210_121:
	ds_load_b32 v14, v11 offset:160
	s_wait_dscnt 0x0
	v_add_f32_e32 v6, v6, v14
	s_wait_alu 0xfffe
	s_or_b32 exec_lo, exec_lo, s0
	s_and_saveexec_b32 s0, vcc_lo
	s_cbranch_execz .LBB210_95
.LBB210_122:
	ds_load_b32 v14, v11 offset:192
	s_wait_dscnt 0x0
	v_add_f32_e32 v7, v7, v14
	s_wait_alu 0xfffe
	s_or_b32 exec_lo, exec_lo, s0
	s_and_saveexec_b32 s0, vcc_lo
	s_cbranch_execz .LBB210_96
.LBB210_123:
	ds_load_b32 v14, v11 offset:224
	s_wait_dscnt 0x0
	v_add_f32_e32 v8, v8, v14
	s_wait_alu 0xfffe
	s_or_b32 exec_lo, exec_lo, s0
	s_and_saveexec_b32 s0, vcc_lo
	s_cbranch_execz .LBB210_97
.LBB210_124:
	ds_load_b32 v14, v11 offset:256
	s_wait_dscnt 0x0
	v_add_f32_e32 v9, v9, v14
	s_wait_alu 0xfffe
	s_or_b32 exec_lo, exec_lo, s0
	s_and_saveexec_b32 s0, vcc_lo
	s_cbranch_execz .LBB210_98
.LBB210_125:
	ds_load_b32 v14, v11 offset:288
	s_wait_dscnt 0x0
	v_add_f32_e32 v10, v10, v14
	s_wait_alu 0xfffe
	s_or_b32 exec_lo, exec_lo, s0
	s_and_saveexec_b32 s0, vcc_lo
	s_cbranch_execz .LBB210_99
.LBB210_126:
	ds_load_b32 v14, v11 offset:320
	s_wait_dscnt 0x0
	v_add_f32_e32 v12, v12, v14
	s_wait_alu 0xfffe
	s_or_b32 exec_lo, exec_lo, s0
	s_and_saveexec_b32 s0, vcc_lo
	s_cbranch_execnz .LBB210_100
	s_branch .LBB210_101
	.section	.rodata,"a",@progbits
	.p2align	6, 0x0
	.amdhsa_kernel _ZN4vllm25paged_attention_v2_kernelIfhLi96ELi16ELi128ELNS_18Fp8KVCacheDataTypeE1ELb1ELi512EEEvPfS2_PT_PKS3_PKT0_S9_ifPKiSB_iPKfiiiSD_SD_iiiii
		.amdhsa_group_segment_fixed_size 416
		.amdhsa_private_segment_fixed_size 0
		.amdhsa_kernarg_size 400
		.amdhsa_user_sgpr_count 2
		.amdhsa_user_sgpr_dispatch_ptr 0
		.amdhsa_user_sgpr_queue_ptr 0
		.amdhsa_user_sgpr_kernarg_segment_ptr 1
		.amdhsa_user_sgpr_dispatch_id 0
		.amdhsa_user_sgpr_private_segment_size 0
		.amdhsa_wavefront_size32 1
		.amdhsa_uses_dynamic_stack 0
		.amdhsa_enable_private_segment 0
		.amdhsa_system_sgpr_workgroup_id_x 1
		.amdhsa_system_sgpr_workgroup_id_y 1
		.amdhsa_system_sgpr_workgroup_id_z 1
		.amdhsa_system_sgpr_workgroup_info 0
		.amdhsa_system_vgpr_workitem_id 0
		.amdhsa_next_free_vgpr 96
		.amdhsa_next_free_sgpr 45
		.amdhsa_reserve_vcc 1
		.amdhsa_float_round_mode_32 0
		.amdhsa_float_round_mode_16_64 0
		.amdhsa_float_denorm_mode_32 3
		.amdhsa_float_denorm_mode_16_64 3
		.amdhsa_fp16_overflow 0
		.amdhsa_workgroup_processor_mode 1
		.amdhsa_memory_ordered 1
		.amdhsa_forward_progress 1
		.amdhsa_inst_pref_size 72
		.amdhsa_round_robin_scheduling 0
		.amdhsa_exception_fp_ieee_invalid_op 0
		.amdhsa_exception_fp_denorm_src 0
		.amdhsa_exception_fp_ieee_div_zero 0
		.amdhsa_exception_fp_ieee_overflow 0
		.amdhsa_exception_fp_ieee_underflow 0
		.amdhsa_exception_fp_ieee_inexact 0
		.amdhsa_exception_int_div_zero 0
	.end_amdhsa_kernel
	.section	.text._ZN4vllm25paged_attention_v2_kernelIfhLi96ELi16ELi128ELNS_18Fp8KVCacheDataTypeE1ELb1ELi512EEEvPfS2_PT_PKS3_PKT0_S9_ifPKiSB_iPKfiiiSD_SD_iiiii,"axG",@progbits,_ZN4vllm25paged_attention_v2_kernelIfhLi96ELi16ELi128ELNS_18Fp8KVCacheDataTypeE1ELb1ELi512EEEvPfS2_PT_PKS3_PKT0_S9_ifPKiSB_iPKfiiiSD_SD_iiiii,comdat
.Lfunc_end210:
	.size	_ZN4vllm25paged_attention_v2_kernelIfhLi96ELi16ELi128ELNS_18Fp8KVCacheDataTypeE1ELb1ELi512EEEvPfS2_PT_PKS3_PKT0_S9_ifPKiSB_iPKfiiiSD_SD_iiiii, .Lfunc_end210-_ZN4vllm25paged_attention_v2_kernelIfhLi96ELi16ELi128ELNS_18Fp8KVCacheDataTypeE1ELb1ELi512EEEvPfS2_PT_PKS3_PKT0_S9_ifPKiSB_iPKfiiiSD_SD_iiiii
                                        ; -- End function
	.set _ZN4vllm25paged_attention_v2_kernelIfhLi96ELi16ELi128ELNS_18Fp8KVCacheDataTypeE1ELb1ELi512EEEvPfS2_PT_PKS3_PKT0_S9_ifPKiSB_iPKfiiiSD_SD_iiiii.num_vgpr, 96
	.set _ZN4vllm25paged_attention_v2_kernelIfhLi96ELi16ELi128ELNS_18Fp8KVCacheDataTypeE1ELb1ELi512EEEvPfS2_PT_PKS3_PKT0_S9_ifPKiSB_iPKfiiiSD_SD_iiiii.num_agpr, 0
	.set _ZN4vllm25paged_attention_v2_kernelIfhLi96ELi16ELi128ELNS_18Fp8KVCacheDataTypeE1ELb1ELi512EEEvPfS2_PT_PKS3_PKT0_S9_ifPKiSB_iPKfiiiSD_SD_iiiii.numbered_sgpr, 45
	.set _ZN4vllm25paged_attention_v2_kernelIfhLi96ELi16ELi128ELNS_18Fp8KVCacheDataTypeE1ELb1ELi512EEEvPfS2_PT_PKS3_PKT0_S9_ifPKiSB_iPKfiiiSD_SD_iiiii.num_named_barrier, 0
	.set _ZN4vllm25paged_attention_v2_kernelIfhLi96ELi16ELi128ELNS_18Fp8KVCacheDataTypeE1ELb1ELi512EEEvPfS2_PT_PKS3_PKT0_S9_ifPKiSB_iPKfiiiSD_SD_iiiii.private_seg_size, 0
	.set _ZN4vllm25paged_attention_v2_kernelIfhLi96ELi16ELi128ELNS_18Fp8KVCacheDataTypeE1ELb1ELi512EEEvPfS2_PT_PKS3_PKT0_S9_ifPKiSB_iPKfiiiSD_SD_iiiii.uses_vcc, 1
	.set _ZN4vllm25paged_attention_v2_kernelIfhLi96ELi16ELi128ELNS_18Fp8KVCacheDataTypeE1ELb1ELi512EEEvPfS2_PT_PKS3_PKT0_S9_ifPKiSB_iPKfiiiSD_SD_iiiii.uses_flat_scratch, 0
	.set _ZN4vllm25paged_attention_v2_kernelIfhLi96ELi16ELi128ELNS_18Fp8KVCacheDataTypeE1ELb1ELi512EEEvPfS2_PT_PKS3_PKT0_S9_ifPKiSB_iPKfiiiSD_SD_iiiii.has_dyn_sized_stack, 0
	.set _ZN4vllm25paged_attention_v2_kernelIfhLi96ELi16ELi128ELNS_18Fp8KVCacheDataTypeE1ELb1ELi512EEEvPfS2_PT_PKS3_PKT0_S9_ifPKiSB_iPKfiiiSD_SD_iiiii.has_recursion, 0
	.set _ZN4vllm25paged_attention_v2_kernelIfhLi96ELi16ELi128ELNS_18Fp8KVCacheDataTypeE1ELb1ELi512EEEvPfS2_PT_PKS3_PKT0_S9_ifPKiSB_iPKfiiiSD_SD_iiiii.has_indirect_call, 0
	.section	.AMDGPU.csdata,"",@progbits
; Kernel info:
; codeLenInByte = 9156
; TotalNumSgprs: 47
; NumVgprs: 96
; ScratchSize: 0
; MemoryBound: 0
; FloatMode: 240
; IeeeMode: 1
; LDSByteSize: 416 bytes/workgroup (compile time only)
; SGPRBlocks: 0
; VGPRBlocks: 11
; NumSGPRsForWavesPerEU: 47
; NumVGPRsForWavesPerEU: 96
; Occupancy: 16
; WaveLimiterHint : 1
; COMPUTE_PGM_RSRC2:SCRATCH_EN: 0
; COMPUTE_PGM_RSRC2:USER_SGPR: 2
; COMPUTE_PGM_RSRC2:TRAP_HANDLER: 0
; COMPUTE_PGM_RSRC2:TGID_X_EN: 1
; COMPUTE_PGM_RSRC2:TGID_Y_EN: 1
; COMPUTE_PGM_RSRC2:TGID_Z_EN: 1
; COMPUTE_PGM_RSRC2:TIDIG_COMP_CNT: 0
	.section	.text._ZN4vllm25paged_attention_v2_kernelIfhLi112ELi16ELi128ELNS_18Fp8KVCacheDataTypeE1ELb1ELi512EEEvPfS2_PT_PKS3_PKT0_S9_ifPKiSB_iPKfiiiSD_SD_iiiii,"axG",@progbits,_ZN4vllm25paged_attention_v2_kernelIfhLi112ELi16ELi128ELNS_18Fp8KVCacheDataTypeE1ELb1ELi512EEEvPfS2_PT_PKS3_PKT0_S9_ifPKiSB_iPKfiiiSD_SD_iiiii,comdat
	.protected	_ZN4vllm25paged_attention_v2_kernelIfhLi112ELi16ELi128ELNS_18Fp8KVCacheDataTypeE1ELb1ELi512EEEvPfS2_PT_PKS3_PKT0_S9_ifPKiSB_iPKfiiiSD_SD_iiiii ; -- Begin function _ZN4vllm25paged_attention_v2_kernelIfhLi112ELi16ELi128ELNS_18Fp8KVCacheDataTypeE1ELb1ELi512EEEvPfS2_PT_PKS3_PKT0_S9_ifPKiSB_iPKfiiiSD_SD_iiiii
	.globl	_ZN4vllm25paged_attention_v2_kernelIfhLi112ELi16ELi128ELNS_18Fp8KVCacheDataTypeE1ELb1ELi512EEEvPfS2_PT_PKS3_PKT0_S9_ifPKiSB_iPKfiiiSD_SD_iiiii
	.p2align	8
	.type	_ZN4vllm25paged_attention_v2_kernelIfhLi112ELi16ELi128ELNS_18Fp8KVCacheDataTypeE1ELb1ELi512EEEvPfS2_PT_PKS3_PKT0_S9_ifPKiSB_iPKfiiiSD_SD_iiiii,@function
_ZN4vllm25paged_attention_v2_kernelIfhLi112ELi16ELi128ELNS_18Fp8KVCacheDataTypeE1ELb1ELi512EEEvPfS2_PT_PKS3_PKT0_S9_ifPKiSB_iPKfiiiSD_SD_iiiii: ; @_ZN4vllm25paged_attention_v2_kernelIfhLi112ELi16ELi128ELNS_18Fp8KVCacheDataTypeE1ELb1ELi512EEEvPfS2_PT_PKS3_PKT0_S9_ifPKiSB_iPKfiiiSD_SD_iiiii
; %bb.0:
	s_load_b64 s[2:3], s[0:1], 0x40
	s_and_b32 s19, ttmp7, 0xffff
	s_lshr_b32 s33, ttmp7, 16
	s_lshl_b32 s4, s19, 2
	s_lshl_b32 s36, s33, 9
	s_wait_kmcnt 0x0
	s_load_b32 s34, s[2:3], s4 offset:0x0
	s_wait_kmcnt 0x0
	s_cmp_ge_i32 s36, s34
	s_cbranch_scc1 .LBB211_112
; %bb.1:
	s_clause 0x1
	s_load_b32 s35, s[0:1], 0x90
	s_load_b64 s[6:7], s[0:1], 0x30
	s_wait_kmcnt 0x0
	s_abs_i32 s5, s35
	s_abs_i32 s2, s6
	s_delay_alu instid0(SALU_CYCLE_1) | instskip(SKIP_1) | instid1(SALU_CYCLE_2)
	s_cvt_f32_u32 s3, s2
	s_sub_co_i32 s4, 0, s2
	v_rcp_iflag_f32_e32 v1, s3
	s_delay_alu instid0(TRANS32_DEP_1) | instskip(SKIP_2) | instid1(SALU_CYCLE_2)
	v_readfirstlane_b32 s3, v1
	s_mul_f32 s3, s3, 0x4f7ffffe
	s_wait_alu 0xfffe
	s_cvt_u32_f32 s3, s3
	s_wait_alu 0xfffe
	s_delay_alu instid0(SALU_CYCLE_2) | instskip(NEXT) | instid1(SALU_CYCLE_1)
	s_mul_i32 s4, s4, s3
	s_mul_hi_u32 s4, s3, s4
	s_delay_alu instid0(SALU_CYCLE_1)
	s_add_co_i32 s3, s3, s4
	s_xor_b32 s4, s35, s6
	s_wait_alu 0xfffe
	s_mul_hi_u32 s3, s5, s3
	s_ashr_i32 s4, s4, 31
	s_wait_alu 0xfffe
	s_mul_i32 s8, s3, s2
	s_delay_alu instid0(SALU_CYCLE_1)
	s_sub_co_i32 s5, s5, s8
	s_add_co_i32 s8, s3, 1
	s_sub_co_i32 s9, s5, s2
	s_cmp_ge_u32 s5, s2
	s_cselect_b32 s3, s8, s3
	s_cselect_b32 s5, s9, s5
	s_wait_alu 0xfffe
	s_add_co_i32 s8, s3, 1
	s_cmp_ge_u32 s5, s2
	s_cselect_b32 s2, s8, s3
	s_load_b64 s[8:9], s[0:1], 0x50
	s_xor_b32 s2, s2, s4
	s_mov_b32 s3, 0
	s_wait_alu 0xfffe
	s_sub_co_i32 s11, s2, s4
	s_mov_b32 s30, s3
	s_abs_i32 s10, s11
	s_delay_alu instid0(SALU_CYCLE_1) | instskip(SKIP_1) | instid1(SALU_CYCLE_2)
	s_cvt_f32_u32 s2, s10
	s_wait_alu 0xfffe
	v_rcp_iflag_f32_e32 v1, s2
	s_delay_alu instid0(TRANS32_DEP_1) | instskip(SKIP_2) | instid1(SALU_CYCLE_2)
	v_readfirstlane_b32 s2, v1
	s_mul_f32 s2, s2, 0x4f7ffffe
	s_wait_alu 0xfffe
	s_cvt_u32_f32 s4, s2
	s_sub_co_i32 s2, 0, s10
	s_wait_alu 0xfffe
	s_delay_alu instid0(SALU_CYCLE_1)
	s_mul_i32 s2, s2, s4
	s_wait_alu 0xfffe
	s_mul_hi_u32 s5, s4, s2
	s_abs_i32 s2, ttmp9
	s_add_co_i32 s4, s4, s5
	s_mov_b32 s5, s3
	s_wait_kmcnt 0x0
	s_cmp_eq_u64 s[8:9], 0
	s_cbranch_scc1 .LBB211_3
; %bb.2:
	s_mov_b32 s12, ttmp9
	s_ashr_i32 s13, ttmp9, 31
	s_delay_alu instid0(SALU_CYCLE_1) | instskip(NEXT) | instid1(SALU_CYCLE_1)
	s_lshl_b64 s[12:13], s[12:13], 2
	s_add_nc_u64 s[8:9], s[8:9], s[12:13]
	s_load_b32 s30, s[8:9], 0x0
.LBB211_3:
	s_load_b96 s[16:18], s[0:1], 0x58
	v_and_b32_e32 v1, 1, v0
	v_lshlrev_b32_e32 v5, 2, v0
	s_mul_u64 s[4:5], s[2:3], s[4:5]
	s_ashr_i32 s3, ttmp9, 31
	s_ashr_i32 s4, s11, 31
	s_mul_i32 s20, ttmp9, 0x70
	s_mov_b32 s8, exec_lo
	v_cmpx_gt_u32_e32 56, v0
	s_cbranch_execz .LBB211_5
; %bb.4:
	s_load_b64 s[12:13], s[0:1], 0x18
	s_wait_kmcnt 0x0
	s_mul_i32 s14, s16, s19
	s_ashr_i32 s21, s20, 31
	s_ashr_i32 s15, s14, 31
	v_lshlrev_b32_e32 v2, 3, v0
	s_lshl_b64 s[14:15], s[14:15], 2
	v_and_b32_e32 v4, 0xff8, v5
	s_delay_alu instid0(VALU_DEP_1) | instskip(SKIP_2) | instid1(SALU_CYCLE_1)
	v_mad_u32_u24 v4, 0xe0, v1, v4
	s_add_nc_u64 s[12:13], s[12:13], s[14:15]
	s_lshl_b64 s[14:15], s[20:21], 2
	s_add_nc_u64 s[12:13], s[12:13], s[14:15]
	global_load_b64 v[2:3], v2, s[12:13]
	s_wait_loadcnt 0x0
	ds_store_b64 v4, v[2:3]
.LBB211_5:
	s_or_b32 exec_lo, exec_lo, s8
	s_load_b128 s[12:15], s[0:1], 0x78
	s_mul_i32 s8, s5, s10
	s_xor_b32 s3, s3, s4
	s_sub_co_i32 s2, s2, s8
	s_add_co_i32 s4, s5, 1
	s_wait_alu 0xfffe
	s_sub_co_i32 s8, s2, s10
	s_cmp_ge_u32 s2, s10
                                        ; implicit-def: $sgpr21
	s_cselect_b32 s4, s4, s5
	s_cselect_b32 s2, s8, s2
	s_add_co_i32 s5, s4, 1
	s_wait_alu 0xfffe
	s_cmp_ge_u32 s2, s10
	s_load_b32 s8, s[0:1], 0x88
	s_cselect_b32 s2, s5, s4
	s_add_co_i32 s9, s34, -1
	s_wait_alu 0xfffe
	s_xor_b32 s2, s2, s3
	s_mov_b32 s10, -1
	s_wait_alu 0xfffe
	s_sub_co_i32 s28, s2, s3
	s_wait_dscnt 0x0
	s_barrier_signal -1
	s_wait_kmcnt 0x0
	s_abs_i32 s16, s15
	s_barrier_wait -1
	s_cvt_f32_u32 s4, s16
	global_inv scope:SCOPE_SE
	v_rcp_iflag_f32_e32 v2, s4
	s_delay_alu instid0(TRANS32_DEP_1) | instskip(SKIP_2) | instid1(SALU_CYCLE_2)
	v_readfirstlane_b32 s4, v2
	s_mul_f32 s2, s4, 0x4f7ffffe
	s_wait_alu 0xfffe
	s_cvt_u32_f32 s4, s2
	s_sub_co_i32 s2, 0, s16
	s_wait_alu 0xfffe
	s_delay_alu instid0(SALU_CYCLE_1)
	s_mul_i32 s3, s2, s4
	s_abs_i32 s2, s9
	s_wait_alu 0xfffe
	s_mul_hi_u32 s5, s4, s3
	s_mov_b32 s3, 0
	s_wait_alu 0xfffe
	s_add_co_i32 s22, s4, s5
	s_cmp_lt_i32 s8, 0
	s_mov_b32 s23, s3
	s_cbranch_scc0 .LBB211_7
; %bb.6:
	s_mul_i32 s4, s12, s6
	s_mov_b32 s10, s3
	s_wait_alu 0xfffe
	s_add_co_i32 s4, s28, s4
	s_wait_alu 0xfffe
	s_mul_i32 s4, s4, s8
	s_wait_alu 0xfffe
	s_sub_co_i32 s21, 1, s4
.LBB211_7:
	s_mul_u64 s[4:5], s[2:3], s[22:23]
	s_ashr_i32 s3, s9, 31
	s_and_not1_b32 vcc_lo, exec_lo, s10
	s_ashr_i32 s15, s15, 31
	s_cbranch_vccnz .LBB211_9
; %bb.8:
	s_mul_i32 s4, s35, s12
	s_wait_alu 0xfffe
	s_add_co_i32 s4, s4, ttmp9
	s_wait_alu 0xfffe
	s_mul_i32 s4, s4, s8
	s_wait_alu 0xfffe
	s_add_co_i32 s21, s4, 1
.LBB211_9:
	s_clause 0x3
	s_load_b32 s4, s[0:1], 0x48
	s_load_b64 s[24:25], s[0:1], 0x38
	s_load_b32 s12, s[0:1], 0x98
	s_load_b128 s[8:11], s[0:1], 0x68
	s_mul_i32 s6, s5, s16
	s_xor_b32 s3, s3, s15
	s_sub_co_i32 s2, s2, s6
	s_add_co_i32 s23, s5, 1
	v_lshrrev_b32_e32 v11, 5, v0
	v_mbcnt_lo_u32_b32 v7, -1, 0
	s_mul_i32 s28, s28, s18
	s_delay_alu instid0(VALU_DEP_2)
	v_lshl_add_u32 v12, v11, 4, s36
	s_wait_kmcnt 0x0
	s_mul_i32 s26, s4, s19
	s_wait_alu 0xfffe
	s_sub_co_i32 s4, s2, s16
	s_ashr_i32 s27, s26, 31
	s_cmp_ge_u32 s2, s16
	s_cselect_b32 s5, s23, s5
	s_wait_alu 0xfffe
	s_cselect_b32 s2, s4, s2
	s_add_co_i32 s4, s5, 1
	s_wait_alu 0xfffe
	s_cmp_ge_u32 s2, s16
	s_cselect_b32 s2, s4, s5
	s_add_co_i32 s4, s34, 15
	s_lshl_b32 s39, s33, 5
	s_wait_alu 0xfffe
	s_ashr_i32 s5, s4, 31
	v_or_b32_e32 v13, s39, v11
	s_wait_alu 0xfffe
	s_lshr_b32 s5, s5, 28
	v_mov_b32_e32 v9, 0xff7fffff
	s_wait_alu 0xfffe
	s_add_co_i32 s4, s4, s5
	s_add_co_i32 s5, s39, 32
	s_wait_alu 0xfffe
	s_ashr_i32 s37, s4, 4
	s_xor_b32 s4, s2, s3
	s_wait_alu 0xfffe
	s_min_i32 s23, s5, s37
	v_lshlrev_b32_e32 v6, 2, v13
	v_cmp_gt_i32_e64 s2, s23, v13
	s_sub_co_i32 s38, s4, s3
	s_and_saveexec_b32 s6, s2
	s_cbranch_execz .LBB211_21
; %bb.10:
	s_wait_alu 0xfffe
	s_sub_co_i32 s18, s38, s13
	s_ashr_i32 s29, s28, 31
	s_cmp_neq_f32 s30, 0
	s_load_b64 s[4:5], s[0:1], 0x20
	v_bfe_u32 v8, v0, 1, 4
	v_lshlrev_b32_e32 v3, 1, v1
	s_cselect_b32 vcc_lo, -1, 0
	s_abs_i32 s31, s14
	v_mul_u32_u24_e32 v10, 0xe0, v1
	s_cvt_f32_u32 s3, s31
	v_dual_mov_b32 v17, 0xff7fffff :: v_dual_lshlrev_b32 v4, 2, v8
	s_lshl_b64 s[42:43], s[26:27], 2
	s_wait_alu 0xfffe
	v_rcp_iflag_f32_e32 v2, s3
	v_cmp_eq_u32_e64 s3, 0, v1
	v_lshlrev_b32_e32 v1, 4, v8
	v_subrev_nc_u32_e32 v9, s34, v8
	v_lshl_or_b32 v16, v11, 6, v4
	s_add_nc_u64 s[42:43], s[24:25], s[42:43]
	s_sub_co_i32 s44, 0, s31
	v_lshl_add_u32 v14, v11, 4, s36
	v_add_nc_u32_e32 v15, 1, v9
	v_dual_mov_b32 v19, v13 :: v_dual_add_nc_u32 v16, 0x1e0, v16
	v_readfirstlane_b32 s41, v2
	s_wait_kmcnt 0x0
	s_add_nc_u64 s[4:5], s[4:5], s[28:29]
	v_xor_b32_e32 v18, 1, v7
	s_wait_alu 0xfffe
	v_add_co_u32 v1, s4, s4, v1
	s_mul_f32 s29, s41, 0x4f7ffffe
	s_wait_alu 0xf1ff
	v_add_co_ci_u32_e64 v2, null, s5, 0, s4
	v_add_co_u32 v1, s4, v1, v3
	s_cvt_u32_f32 s5, s29
	s_wait_alu 0xf1ff
	v_add_co_ci_u32_e64 v2, null, 0, v2, s4
	v_add_co_u32 v3, s4, s42, v6
	s_wait_alu 0xfffe
	s_mul_i32 s44, s44, s5
	v_add_co_ci_u32_e64 v4, null, s43, 0, s4
	v_mov_b32_e32 v9, 0xff7fffff
	s_mul_hi_u32 s4, s5, s44
	s_mov_b32 s40, 0
	s_mov_b32 s29, s17
	s_wait_alu 0xfffe
	s_add_co_i32 s41, s5, s4
	s_branch .LBB211_13
.LBB211_11:                             ;   in Loop: Header=BB211_13 Depth=1
	s_wait_alu 0xfffe
	s_or_b32 exec_lo, exec_lo, s42
.LBB211_12:                             ;   in Loop: Header=BB211_13 Depth=1
	s_wait_alu 0xfffe
	s_or_b32 exec_lo, exec_lo, s5
	v_add_nc_u32_e32 v19, 4, v19
	v_add_co_u32 v3, s5, v3, 16
	s_wait_alu 0xf1ff
	v_add_co_ci_u32_e64 v4, null, 0, v4, s5
	s_delay_alu instid0(VALU_DEP_3)
	v_cmp_le_i32_e64 s4, s23, v19
	v_add_nc_u32_e32 v14, 64, v14
	v_add_nc_u32_e32 v16, 0x100, v16
	s_or_b32 s40, s4, s40
	s_wait_alu 0xfffe
	s_and_not1_b32 exec_lo, exec_lo, s40
	s_cbranch_execz .LBB211_20
.LBB211_13:                             ; =>This Inner Loop Header: Depth=1
	v_sub_nc_u32_e32 v20, 0, v14
	s_delay_alu instid0(VALU_DEP_1) | instskip(SKIP_1) | instid1(VALU_DEP_1)
	v_max_i32_e32 v20, v14, v20
	s_wait_dscnt 0x0
	v_mul_hi_u32 v21, v20, s22
	s_delay_alu instid0(VALU_DEP_1) | instskip(NEXT) | instid1(VALU_DEP_1)
	v_mul_lo_u32 v22, v21, s16
	v_sub_nc_u32_e32 v20, v20, v22
	v_add_nc_u32_e32 v22, 1, v21
	s_delay_alu instid0(VALU_DEP_2) | instskip(SKIP_2) | instid1(VALU_DEP_1)
	v_subrev_nc_u32_e32 v23, s16, v20
	v_cmp_le_u32_e64 s4, s16, v20
	s_wait_alu 0xf1ff
	v_cndmask_b32_e64 v21, v21, v22, s4
	s_delay_alu instid0(VALU_DEP_3) | instskip(SKIP_1) | instid1(VALU_DEP_3)
	v_cndmask_b32_e64 v20, v20, v23, s4
	v_ashrrev_i32_e32 v22, 31, v14
	v_add_nc_u32_e32 v23, 1, v21
	s_delay_alu instid0(VALU_DEP_3) | instskip(NEXT) | instid1(VALU_DEP_3)
	v_cmp_le_u32_e64 s4, s16, v20
	v_xor_b32_e32 v22, s15, v22
	s_wait_alu 0xf1ff
	s_delay_alu instid0(VALU_DEP_2) | instskip(NEXT) | instid1(VALU_DEP_1)
	v_cndmask_b32_e64 v20, v21, v23, s4
	v_xor_b32_e32 v20, v20, v22
	s_delay_alu instid0(VALU_DEP_1) | instskip(NEXT) | instid1(VALU_DEP_1)
	v_sub_nc_u32_e32 v20, v20, v22
	v_add_nc_u32_e32 v21, s21, v20
	v_cmp_ge_i32_e64 s5, s18, v20
	s_delay_alu instid0(VALU_DEP_2) | instskip(NEXT) | instid1(VALU_DEP_1)
	v_sub_nc_u32_e32 v22, 0, v21
	v_max_i32_e32 v22, v21, v22
	v_ashrrev_i32_e32 v21, 31, v21
	s_delay_alu instid0(VALU_DEP_2) | instskip(NEXT) | instid1(VALU_DEP_1)
	v_mul_hi_u32 v23, v22, s41
	v_mul_lo_u32 v23, v23, s31
	s_delay_alu instid0(VALU_DEP_1) | instskip(NEXT) | instid1(VALU_DEP_1)
	v_sub_nc_u32_e32 v22, v22, v23
	v_subrev_nc_u32_e32 v23, s31, v22
	v_cmp_le_u32_e64 s4, s31, v22
	s_wait_alu 0xf1ff
	s_delay_alu instid0(VALU_DEP_1) | instskip(NEXT) | instid1(VALU_DEP_1)
	v_cndmask_b32_e64 v22, v22, v23, s4
	v_subrev_nc_u32_e32 v23, s31, v22
	v_cmp_le_u32_e64 s4, s31, v22
	s_wait_alu 0xf1ff
	s_delay_alu instid0(VALU_DEP_1) | instskip(NEXT) | instid1(VALU_DEP_1)
	v_cndmask_b32_e64 v22, v22, v23, s4
	v_xor_b32_e32 v22, v22, v21
	s_delay_alu instid0(VALU_DEP_1) | instskip(NEXT) | instid1(VALU_DEP_1)
	v_sub_nc_u32_e32 v21, v22, v21
	v_cmp_ne_u32_e64 s4, 0, v21
	s_and_b32 s4, s4, s5
	s_wait_alu 0xfffe
	s_and_saveexec_b32 s5, s4
	s_wait_alu 0xfffe
	s_xor_b32 s4, exec_lo, s5
	s_cbranch_execz .LBB211_17
; %bb.14:                               ;   in Loop: Header=BB211_13 Depth=1
	s_and_saveexec_b32 s5, s3
; %bb.15:                               ;   in Loop: Header=BB211_13 Depth=1
	ds_store_b32 v16, v17
; %bb.16:                               ;   in Loop: Header=BB211_13 Depth=1
	s_wait_alu 0xfffe
	s_or_b32 exec_lo, exec_lo, s5
.LBB211_17:                             ;   in Loop: Header=BB211_13 Depth=1
	s_wait_alu 0xfffe
	s_and_not1_saveexec_b32 s5, s4
	s_cbranch_execz .LBB211_12
; %bb.18:                               ;   in Loop: Header=BB211_13 Depth=1
	global_load_b32 v20, v[3:4], off
	s_wait_loadcnt 0x0
	v_mad_co_i64_i32 v[46:47], null, v20, s29, v[1:2]
	s_clause 0x1b
	global_load_u16 v86, v[46:47], off offset:4
	global_load_u16 v45, v[46:47], off offset:8
	;; [unrolled: 1-line block ×7, first 2 shown]
	global_load_u16 v94, v[46:47], off
	global_load_u16 v40, v[46:47], off offset:512
	global_load_u16 v38, v[46:47], off offset:516
	;; [unrolled: 1-line block ×20, first 2 shown]
	s_load_b32 s4, s[8:9], 0x0
	ds_load_b128 v[46:49], v10
	ds_load_b128 v[50:53], v10 offset:16
	ds_load_b128 v[54:57], v10 offset:32
	;; [unrolled: 1-line block ×9, first 2 shown]
	s_wait_loadcnt 0x1b
	v_cvt_pk_f32_fp8_e32 v[102:103], v86
	ds_load_b128 v[86:89], v10 offset:160
	ds_load_b128 v[90:93], v10 offset:176
	s_wait_kmcnt 0x0
	v_dual_mul_f32 v106, s4, v102 :: v_dual_mul_f32 v107, s4, v103
	s_wait_loadcnt 0x14
	v_cvt_pk_f32_fp8_e32 v[104:105], v94
	v_cvt_pk_f32_fp8_e32 v[102:103], v45
	v_cvt_pk_f32_fp8_e32 v[44:45], v44
	s_wait_dscnt 0xb
	v_dual_mul_f32 v48, v48, v106 :: v_dual_mul_f32 v49, v49, v107
	v_dual_mul_f32 v105, s4, v105 :: v_dual_mul_f32 v104, s4, v104
	;; [unrolled: 1-line block ×4, first 2 shown]
	s_delay_alu instid0(VALU_DEP_3)
	v_dual_fmac_f32 v48, v46, v104 :: v_dual_fmac_f32 v49, v47, v105
	v_cvt_pk_f32_fp8_e32 v[46:47], v43
	v_cvt_pk_f32_fp8_e32 v[42:43], v42
	ds_load_b128 v[94:97], v10 offset:192
	ds_load_b128 v[98:101], v10 offset:208
	s_wait_dscnt 0xc
	v_dual_fmac_f32 v48, v50, v102 :: v_dual_fmac_f32 v49, v51, v103
	v_dual_mul_f32 v46, s4, v46 :: v_dual_mul_f32 v47, s4, v47
	v_dual_mul_f32 v43, s4, v43 :: v_dual_mul_f32 v50, s4, v42
	s_delay_alu instid0(VALU_DEP_3)
	v_dual_fmac_f32 v48, v52, v44 :: v_dual_fmac_f32 v49, v53, v45
	v_cvt_pk_f32_fp8_e32 v[44:45], v41
	v_cvt_pk_f32_fp8_e32 v[41:42], v39
	s_wait_loadcnt 0x13
	v_cvt_pk_f32_fp8_e32 v[39:40], v40
	s_wait_dscnt 0xb
	v_dual_fmac_f32 v48, v54, v46 :: v_dual_fmac_f32 v49, v55, v47
	v_dual_mul_f32 v45, s4, v45 :: v_dual_mul_f32 v44, s4, v44
	v_mul_f32_e32 v46, s4, v41
	s_delay_alu instid0(VALU_DEP_3)
	v_dual_fmac_f32 v48, v56, v50 :: v_dual_fmac_f32 v49, v57, v43
	v_mul_f32_e32 v43, s4, v42
	s_wait_loadcnt 0x12
	v_cvt_pk_f32_fp8_e32 v[41:42], v38
	v_dual_mul_f32 v40, s4, v40 :: v_dual_mul_f32 v39, s4, v39
	s_wait_dscnt 0xa
	v_dual_fmac_f32 v48, v58, v44 :: v_dual_fmac_f32 v49, v59, v45
	s_wait_loadcnt 0x11
	v_cvt_pk_f32_fp8_e32 v[37:38], v37
	v_dual_mul_f32 v42, s4, v42 :: v_dual_mul_f32 v41, s4, v41
	s_delay_alu instid0(VALU_DEP_3) | instskip(NEXT) | instid1(VALU_DEP_3)
	v_dual_fmac_f32 v48, v60, v46 :: v_dual_fmac_f32 v49, v61, v43
	v_dual_mul_f32 v38, s4, v38 :: v_dual_mul_f32 v37, s4, v37
	s_wait_dscnt 0x9
	s_delay_alu instid0(VALU_DEP_2)
	v_dual_fmac_f32 v48, v62, v39 :: v_dual_fmac_f32 v49, v63, v40
	s_wait_loadcnt 0x10
	v_cvt_pk_f32_fp8_e32 v[39:40], v36
	s_wait_loadcnt 0xf
	v_cvt_pk_f32_fp8_e32 v[35:36], v35
	v_dual_fmac_f32 v48, v64, v41 :: v_dual_fmac_f32 v49, v65, v42
	s_delay_alu instid0(VALU_DEP_3) | instskip(NEXT) | instid1(VALU_DEP_3)
	v_dual_mul_f32 v40, s4, v40 :: v_dual_mul_f32 v39, s4, v39
	v_dual_mul_f32 v36, s4, v36 :: v_dual_mul_f32 v35, s4, v35
	s_wait_dscnt 0x8
	s_delay_alu instid0(VALU_DEP_3)
	v_dual_fmac_f32 v48, v66, v37 :: v_dual_fmac_f32 v49, v67, v38
	s_wait_loadcnt 0xe
	v_cvt_pk_f32_fp8_e32 v[37:38], v34
	s_wait_loadcnt 0xd
	v_cvt_pk_f32_fp8_e32 v[33:34], v33
	v_dual_fmac_f32 v48, v68, v39 :: v_dual_fmac_f32 v49, v69, v40
	s_delay_alu instid0(VALU_DEP_3) | instskip(NEXT) | instid1(VALU_DEP_3)
	v_dual_mul_f32 v38, s4, v38 :: v_dual_mul_f32 v37, s4, v37
	v_dual_mul_f32 v34, s4, v34 :: v_dual_mul_f32 v33, s4, v33
	s_wait_dscnt 0x7
	s_delay_alu instid0(VALU_DEP_3)
	;; [unrolled: 11-line block ×7, first 2 shown]
	v_dual_fmac_f32 v48, v90, v25 :: v_dual_fmac_f32 v49, v91, v26
	s_wait_loadcnt 0x2
	v_cvt_pk_f32_fp8_e32 v[25:26], v22
	s_wait_loadcnt 0x1
	v_cvt_pk_f32_fp8_e32 v[21:22], v21
	v_dual_fmac_f32 v48, v92, v27 :: v_dual_fmac_f32 v49, v93, v28
	s_delay_alu instid0(VALU_DEP_3) | instskip(SKIP_1) | instid1(VALU_DEP_2)
	v_dual_mul_f32 v26, s4, v26 :: v_dual_mul_f32 v25, s4, v25
	s_wait_dscnt 0x1
	v_dual_mul_f32 v21, s4, v21 :: v_dual_fmac_f32 v48, v94, v23
	s_delay_alu instid0(VALU_DEP_3) | instskip(SKIP_3) | instid1(VALU_DEP_3)
	v_fmac_f32_e32 v49, v95, v24
	s_wait_loadcnt 0x0
	v_cvt_pk_f32_fp8_e32 v[23:24], v20
	v_mul_f32_e32 v20, s4, v22
	v_dual_fmac_f32 v48, v25, v96 :: v_dual_fmac_f32 v49, v26, v97
	s_delay_alu instid0(VALU_DEP_3) | instskip(SKIP_2) | instid1(VALU_DEP_3)
	v_dual_mul_f32 v22, s4, v24 :: v_dual_mul_f32 v23, s4, v23
	v_cmp_gt_i32_e64 s4, 32, v18
	s_wait_dscnt 0x0
	v_dual_fmac_f32 v48, v21, v98 :: v_dual_fmac_f32 v49, v20, v99
	s_wait_alu 0xf1ff
	s_delay_alu instid0(VALU_DEP_2) | instskip(NEXT) | instid1(VALU_DEP_2)
	v_cndmask_b32_e64 v20, v7, v18, s4
	v_dual_fmac_f32 v48, v23, v100 :: v_dual_fmac_f32 v49, v22, v101
	s_delay_alu instid0(VALU_DEP_1)
	v_dual_add_f32 v20, v48, v49 :: v_dual_lshlrev_b32 v21, 2, v20
	ds_bpermute_b32 v21, v21, v20
	s_and_saveexec_b32 s42, s3
	s_cbranch_execz .LBB211_11
; %bb.19:                               ;   in Loop: Header=BB211_13 Depth=1
	s_wait_dscnt 0x0
	v_add_f32_e32 v20, v20, v21
	v_add_nc_u32_e32 v22, v15, v14
	s_delay_alu instid0(VALU_DEP_1) | instskip(NEXT) | instid1(VALU_DEP_1)
	v_cvt_f32_i32_e32 v22, v22
	v_mul_f32_e32 v22, s30, v22
	s_delay_alu instid0(VALU_DEP_1) | instskip(NEXT) | instid1(VALU_DEP_1)
	v_dual_cndmask_b32 v21, 0, v22 :: v_dual_max_num_f32 v22, v9, v9
	v_dual_fmac_f32 v21, s7, v20 :: v_dual_add_nc_u32 v20, v8, v14
	s_delay_alu instid0(VALU_DEP_1) | instskip(NEXT) | instid1(VALU_DEP_2)
	v_max_num_f32_e32 v22, v22, v21
	v_cmp_gt_i32_e64 s4, s34, v20
	s_wait_alu 0xf1ff
	s_delay_alu instid0(VALU_DEP_1) | instskip(NEXT) | instid1(VALU_DEP_3)
	v_cndmask_b32_e64 v20, 0, v21, s4
	v_cndmask_b32_e64 v9, v9, v22, s4
	ds_store_b32 v16, v20
	s_branch .LBB211_11
.LBB211_20:
	s_or_b32 exec_lo, exec_lo, s40
.LBB211_21:
	s_delay_alu instid0(SALU_CYCLE_1)
	s_or_b32 exec_lo, exec_lo, s6
	v_xor_b32_e32 v1, 16, v7
	v_xor_b32_e32 v3, 8, v7
	;; [unrolled: 1-line block ×3, first 2 shown]
	s_clause 0x2
	s_load_b128 s[4:7], s[0:1], 0x0
	s_load_b64 s[8:9], s[0:1], 0x10
	s_load_b64 s[30:31], s[0:1], 0x28
	v_and_b32_e32 v14, 31, v0
	v_cmp_gt_i32_e32 vcc_lo, 32, v1
	s_wait_alu 0xfffd
	v_cndmask_b32_e32 v1, v7, v1, vcc_lo
	v_cmp_gt_i32_e32 vcc_lo, 32, v3
	s_wait_alu 0xfffd
	s_delay_alu instid0(VALU_DEP_2)
	v_dual_cndmask_b32 v3, v7, v3 :: v_dual_lshlrev_b32 v2, 2, v1
	v_max_num_f32_e32 v4, v9, v9
	v_cmp_gt_i32_e32 vcc_lo, 32, v8
	ds_bpermute_b32 v1, v2, v9
	v_lshlrev_b32_e32 v3, 2, v3
	v_xor_b32_e32 v9, 2, v7
	s_wait_alu 0xfffd
	v_cndmask_b32_e32 v8, v7, v8, vcc_lo
	s_delay_alu instid0(VALU_DEP_2) | instskip(SKIP_1) | instid1(VALU_DEP_2)
	v_cmp_gt_i32_e32 vcc_lo, 32, v9
	s_wait_alu 0xfffd
	v_dual_cndmask_b32 v9, v7, v9 :: v_dual_lshlrev_b32 v8, 2, v8
	v_cmp_eq_u32_e32 vcc_lo, 0, v14
	s_delay_alu instid0(VALU_DEP_2) | instskip(SKIP_3) | instid1(VALU_DEP_1)
	v_lshlrev_b32_e32 v15, 2, v9
	v_lshlrev_b32_e32 v9, 2, v11
	s_wait_dscnt 0x0
	v_max_num_f32_e32 v1, v1, v1
	v_max_num_f32_e32 v1, v4, v1
	ds_bpermute_b32 v4, v3, v1
	s_wait_dscnt 0x0
	v_max_num_f32_e32 v4, v4, v4
	s_delay_alu instid0(VALU_DEP_1) | instskip(SKIP_3) | instid1(VALU_DEP_1)
	v_max_num_f32_e32 v1, v1, v4
	ds_bpermute_b32 v4, v8, v1
	s_wait_dscnt 0x0
	v_max_num_f32_e32 v4, v4, v4
	v_max_num_f32_e32 v1, v1, v4
	ds_bpermute_b32 v4, v15, v1
	s_and_saveexec_b32 s0, vcc_lo
	s_cbranch_execz .LBB211_23
; %bb.22:
	s_wait_dscnt 0x0
	v_dual_max_num_f32 v4, v4, v4 :: v_dual_max_num_f32 v1, v1, v1
	s_delay_alu instid0(VALU_DEP_1)
	v_max_num_f32_e32 v1, v1, v4
	ds_store_b32 v9, v1 offset:448
.LBB211_23:
	s_or_b32 exec_lo, exec_lo, s0
	v_cmp_gt_u32_e64 s0, 4, v14
	v_dual_mov_b32 v1, 0xff7fffff :: v_dual_lshlrev_b32 v10, 2, v14
	s_wait_loadcnt_dscnt 0x0
	s_barrier_signal -1
	s_barrier_wait -1
	global_inv scope:SCOPE_SE
	s_and_saveexec_b32 s1, s0
; %bb.24:
	ds_load_b32 v1, v10 offset:448
; %bb.25:
	s_or_b32 exec_lo, exec_lo, s1
	s_wait_dscnt 0x0
	ds_bpermute_b32 v4, v15, v1
	v_xor_b32_e32 v16, 1, v7
	v_max_num_f32_e32 v1, v1, v1
	s_delay_alu instid0(VALU_DEP_2) | instskip(NEXT) | instid1(VALU_DEP_1)
	v_cmp_gt_i32_e64 s1, 32, v16
	v_cndmask_b32_e64 v7, v7, v16, s1
	s_sub_co_i32 s1, s23, s39
	s_wait_alu 0xfffe
	s_lshl_b32 s1, s1, 4
	s_wait_alu 0xfffe
	s_add_co_i32 s1, s1, s36
	s_wait_alu 0xfffe
	s_min_i32 s1, s1, s34
	s_wait_alu 0xfffe
	s_sub_co_i32 s18, s1, s36
	s_wait_dscnt 0x0
	v_max_num_f32_e32 v4, v4, v4
	v_lshlrev_b32_e32 v16, 2, v7
	s_wait_alu 0xfffe
	v_cmp_gt_i32_e64 s1, s18, v0
	v_mov_b32_e32 v7, 0
	v_max_num_f32_e32 v1, v1, v4
	ds_bpermute_b32 v4, v16, v1
	s_wait_dscnt 0x0
	v_max_num_f32_e32 v4, v4, v4
	s_delay_alu instid0(VALU_DEP_1)
	v_max_num_f32_e32 v1, v1, v4
	v_lshl_add_u32 v4, v0, 2, 0x1e0
	ds_bpermute_b32 v1, v7, v1
	s_and_saveexec_b32 s29, s1
	s_cbranch_execz .LBB211_29
; %bb.26:
	v_lshl_add_u32 v17, v0, 2, 0x1e0
	v_dual_mov_b32 v7, 0 :: v_dual_mov_b32 v18, v0
	s_mov_b32 s36, 0
.LBB211_27:                             ; =>This Inner Loop Header: Depth=1
	ds_load_b32 v19, v17
	v_add_nc_u32_e32 v18, 0x80, v18
	s_delay_alu instid0(VALU_DEP_1) | instskip(SKIP_4) | instid1(VALU_DEP_1)
	v_cmp_le_i32_e64 s3, s18, v18
	s_wait_alu 0xfffe
	s_or_b32 s36, s3, s36
	s_wait_dscnt 0x0
	v_sub_f32_e32 v19, v19, v1
	v_mul_f32_e32 v19, 0x3fb8aa3b, v19
	s_delay_alu instid0(VALU_DEP_1)
	v_exp_f32_e32 v19, v19
	ds_store_b32 v17, v19
	v_add_f32_e32 v7, v7, v19
	v_add_nc_u32_e32 v17, 0x200, v17
	s_wait_alu 0xfffe
	s_and_not1_b32 exec_lo, exec_lo, s36
	s_cbranch_execnz .LBB211_27
; %bb.28:
	s_or_b32 exec_lo, exec_lo, s36
.LBB211_29:
	s_wait_alu 0xfffe
	s_or_b32 exec_lo, exec_lo, s29
	ds_bpermute_b32 v2, v2, v7
	s_wait_dscnt 0x0
	v_add_f32_e32 v2, v7, v2
	ds_bpermute_b32 v3, v3, v2
	s_wait_dscnt 0x0
	v_add_f32_e32 v2, v2, v3
	;; [unrolled: 3-line block ×5, first 2 shown]
	s_and_saveexec_b32 s3, vcc_lo
; %bb.30:
	ds_store_b32 v9, v2 offset:464
; %bb.31:
	s_wait_alu 0xfffe
	s_or_b32 exec_lo, exec_lo, s3
	s_wait_loadcnt_dscnt 0x0
	s_barrier_signal -1
	s_barrier_wait -1
	global_inv scope:SCOPE_SE
	s_and_saveexec_b32 s3, s0
; %bb.32:
	ds_load_b32 v2, v10 offset:464
; %bb.33:
	s_wait_alu 0xfffe
	s_or_b32 exec_lo, exec_lo, s3
	s_wait_dscnt 0x0
	ds_bpermute_b32 v3, v15, v2
	s_wait_dscnt 0x0
	v_add_f32_e32 v2, v2, v3
	ds_bpermute_b32 v3, v16, v2
	s_wait_dscnt 0x0
	v_dual_add_f32 v2, v2, v3 :: v_dual_mov_b32 v3, 0
	ds_bpermute_b32 v2, v3, v2
	s_and_saveexec_b32 s0, s1
	s_cbranch_execz .LBB211_36
; %bb.34:
	s_wait_dscnt 0x0
	v_add_f32_e32 v3, 0x358637bd, v2
	s_mov_b32 s1, 0
	s_delay_alu instid0(VALU_DEP_1) | instskip(NEXT) | instid1(VALU_DEP_1)
	v_div_scale_f32 v7, null, v3, v3, 1.0
	v_rcp_f32_e32 v8, v7
	s_delay_alu instid0(TRANS32_DEP_1) | instskip(NEXT) | instid1(VALU_DEP_1)
	v_fma_f32 v9, -v7, v8, 1.0
	v_fmac_f32_e32 v8, v9, v8
	v_div_scale_f32 v10, vcc_lo, 1.0, v3, 1.0
	s_delay_alu instid0(VALU_DEP_1) | instskip(NEXT) | instid1(VALU_DEP_1)
	v_mul_f32_e32 v9, v10, v8
	v_fma_f32 v17, -v7, v9, v10
	s_delay_alu instid0(VALU_DEP_1) | instskip(NEXT) | instid1(VALU_DEP_1)
	v_fmac_f32_e32 v9, v17, v8
	v_fma_f32 v7, -v7, v9, v10
	s_wait_alu 0xfffd
	s_delay_alu instid0(VALU_DEP_1) | instskip(NEXT) | instid1(VALU_DEP_1)
	v_div_fmas_f32 v7, v7, v8, v9
	v_div_fixup_f32 v3, v7, v3, 1.0
	v_mov_b32_e32 v7, v0
.LBB211_35:                             ; =>This Inner Loop Header: Depth=1
	ds_load_b32 v8, v4
	s_wait_dscnt 0x0
	v_dual_mul_f32 v8, v3, v8 :: v_dual_add_nc_u32 v7, 0x80, v7
	s_delay_alu instid0(VALU_DEP_1)
	v_cmp_le_i32_e32 vcc_lo, s18, v7
	ds_store_b32 v4, v8
	v_add_nc_u32_e32 v4, 0x200, v4
	s_wait_alu 0xfffe
	s_or_b32 s1, vcc_lo, s1
	s_wait_alu 0xfffe
	s_and_not1_b32 exec_lo, exec_lo, s1
	s_cbranch_execnz .LBB211_35
.LBB211_36:
	s_wait_alu 0xfffe
	s_or_b32 exec_lo, exec_lo, s0
	s_mul_i32 s0, s12, s19
	s_wait_loadcnt_dscnt 0x0
	s_wait_alu 0xfffe
	s_mul_i32 s18, s0, s35
	s_mov_b32 s0, exec_lo
	s_barrier_signal -1
	s_barrier_wait -1
	global_inv scope:SCOPE_SE
	v_cmpx_eq_u32_e32 0, v0
	s_cbranch_execz .LBB211_38
; %bb.37:
	s_wait_alu 0xfffe
	s_ashr_i32 s19, s18, 31
	s_mul_i32 s40, s12, ttmp9
	s_lshl_b32 s1, s33, 2
	s_wait_alu 0xfffe
	s_lshl_b64 s[42:43], s[18:19], 2
	s_ashr_i32 s41, s40, 31
	v_mov_b32_e32 v3, s1
	s_wait_kmcnt 0x0
	s_wait_alu 0xfffe
	s_add_nc_u64 s[6:7], s[6:7], s[42:43]
	s_lshl_b64 s[40:41], s[40:41], 2
	s_add_nc_u64 s[4:5], s[4:5], s[42:43]
	s_wait_alu 0xfffe
	s_add_nc_u64 s[6:7], s[6:7], s[40:41]
	s_add_nc_u64 s[4:5], s[4:5], s[40:41]
	s_clause 0x1
	global_store_b32 v3, v1, s[6:7]
	global_store_b32 v3, v2, s[4:5]
.LBB211_38:
	s_wait_alu 0xfffe
	s_or_b32 exec_lo, exec_lo, s0
	v_dual_mov_b32 v30, 0 :: v_dual_and_b32 v17, 3, v0
	v_dual_mov_b32 v31, 0 :: v_dual_mov_b32 v28, 0
	v_dual_mov_b32 v29, 0 :: v_dual_mov_b32 v26, 0
	;; [unrolled: 1-line block ×6, first 2 shown]
	v_mov_b32_e32 v19, 0
	s_and_saveexec_b32 s1, s2
	s_cbranch_execz .LBB211_72
; %bb.39:
	s_abs_i32 s2, s14
	v_dual_mov_b32 v18, 0 :: v_dual_lshlrev_b32 v3, 4, v17
	s_wait_alu 0xfffe
	s_cvt_f32_u32 s0, s2
	s_wait_kmcnt 0x0
	s_lshl_b64 s[6:7], s[26:27], 2
	v_dual_mov_b32 v21, 0 :: v_dual_and_b32 v2, 0x7c, v5
	s_wait_alu 0xfffe
	v_rcp_iflag_f32_e32 v1, s0
	s_ashr_i32 s29, s28, 31
	s_add_nc_u64 s[6:7], s[24:25], s[6:7]
	v_dual_mov_b32 v19, 0 :: v_dual_and_b32 v32, 12, v5
	s_wait_alu 0xfffe
	s_add_nc_u64 s[26:27], s[30:31], s[28:29]
	v_add_co_u32 v5, s6, s6, v6
	s_sub_co_i32 s5, 0, s2
	v_add_co_ci_u32_e64 v6, null, s7, 0, s6
	s_delay_alu instid0(TRANS32_DEP_1)
	v_readfirstlane_b32 s0, v1
	v_lshl_or_b32 v1, v11, 6, v3
	v_add_co_u32 v7, s6, s26, v2
	s_wait_alu 0xf1ff
	v_add_co_ci_u32_e64 v8, null, s27, 0, s6
	s_mul_f32 s0, s0, 0x4f7ffffe
	v_dual_mov_b32 v20, 0 :: v_dual_add_nc_u32 v33, 0x1e0, v1
	v_dual_mov_b32 v22, 0 :: v_dual_mov_b32 v23, 0
	s_wait_alu 0xfffe
	s_cvt_u32_f32 s0, s0
	v_dual_mov_b32 v24, 0 :: v_dual_mov_b32 v25, 0
	v_dual_mov_b32 v26, 0 :: v_dual_mov_b32 v27, 0
	s_wait_alu 0xfffe
	s_mul_i32 s5, s5, s0
	v_dual_mov_b32 v28, 0 :: v_dual_mov_b32 v29, 0
	v_dual_mov_b32 v31, 0 :: v_dual_mov_b32 v30, 0
	s_wait_alu 0xfffe
	s_mul_hi_u32 s6, s0, s5
	s_sub_co_i32 s3, s38, s13
	s_mov_b32 s4, s17
	s_add_co_i32 s37, s37, -1
	s_mov_b32 s5, 0
	s_wait_alu 0xfffe
	s_add_co_i32 s6, s0, s6
	s_branch .LBB211_42
.LBB211_40:                             ;   in Loop: Header=BB211_42 Depth=1
	s_wait_alu 0xfffe
	s_or_b32 exec_lo, exec_lo, s0
	s_wait_dscnt 0x0
	v_mul_f32_e32 v50, v1, v87
	v_mul_f32_e32 v49, v1, v91
	;; [unrolled: 1-line block ×4, first 2 shown]
	s_delay_alu instid0(VALU_DEP_4) | instskip(NEXT) | instid1(VALU_DEP_4)
	v_dual_mul_f32 v37, v1, v37 :: v_dual_fmac_f32 v50, v2, v86
	v_fmac_f32_e32 v49, v2, v90
	s_delay_alu instid0(VALU_DEP_4) | instskip(NEXT) | instid1(VALU_DEP_4)
	v_fmac_f32_e32 v52, v2, v76
	v_fmac_f32_e32 v51, v2, v80
	s_delay_alu instid0(VALU_DEP_4) | instskip(NEXT) | instid1(VALU_DEP_4)
	v_dual_fmac_f32 v37, v2, v36 :: v_dual_fmac_f32 v50, v3, v85
	v_fmac_f32_e32 v49, v3, v89
	s_delay_alu instid0(VALU_DEP_4) | instskip(NEXT) | instid1(VALU_DEP_4)
	v_fmac_f32_e32 v52, v3, v75
	v_fmac_f32_e32 v51, v3, v79
	s_delay_alu instid0(VALU_DEP_4) | instskip(NEXT) | instid1(VALU_DEP_4)
	v_dual_fmac_f32 v37, v3, v35 :: v_dual_fmac_f32 v50, v4, v84
	v_fmac_f32_e32 v49, v4, v88
	s_delay_alu instid0(VALU_DEP_4) | instskip(NEXT) | instid1(VALU_DEP_4)
	v_fmac_f32_e32 v52, v4, v74
	v_fmac_f32_e32 v51, v4, v78
	s_delay_alu instid0(VALU_DEP_4) | instskip(NEXT) | instid1(VALU_DEP_3)
	v_dual_mul_f32 v73, v1, v73 :: v_dual_add_f32 v20, v20, v50
	v_dual_add_f32 v19, v19, v49 :: v_dual_add_f32 v22, v22, v52
	s_delay_alu instid0(VALU_DEP_2) | instskip(SKIP_2) | instid1(VALU_DEP_3)
	v_dual_mul_f32 v50, v1, v65 :: v_dual_fmac_f32 v73, v2, v72
	v_mul_f32_e32 v52, v1, v57
	v_mul_f32_e32 v49, v1, v69
	v_dual_add_f32 v21, v21, v51 :: v_dual_fmac_f32 v50, v2, v64
	s_delay_alu instid0(VALU_DEP_3) | instskip(NEXT) | instid1(VALU_DEP_3)
	v_dual_mul_f32 v51, v1, v61 :: v_dual_fmac_f32 v52, v2, v56
	v_fmac_f32_e32 v49, v2, v68
	s_delay_alu instid0(VALU_DEP_3) | instskip(NEXT) | instid1(VALU_DEP_3)
	v_dual_fmac_f32 v37, v4, v34 :: v_dual_fmac_f32 v50, v3, v63
	v_dual_fmac_f32 v51, v2, v60 :: v_dual_fmac_f32 v52, v3, v55
	s_delay_alu instid0(VALU_DEP_3)
	v_fmac_f32_e32 v49, v3, v67
	v_mul_f32_e32 v45, v1, v45
	v_mul_f32_e32 v41, v1, v41
	v_add_f32_e32 v30, v30, v37
	v_fmac_f32_e32 v52, v4, v54
	v_fmac_f32_e32 v49, v4, v66
	;; [unrolled: 1-line block ×5, first 2 shown]
	v_dual_fmac_f32 v73, v3, v71 :: v_dual_fmac_f32 v50, v4, v62
	v_add_f32_e32 v24, v24, v49
	v_mul_f32_e32 v49, v1, v53
	v_mul_f32_e32 v1, v1, v83
	v_fmac_f32_e32 v45, v3, v43
	v_fmac_f32_e32 v41, v3, v39
	v_add_f32_e32 v27, v27, v52
	v_fmac_f32_e32 v49, v2, v48
	v_fmac_f32_e32 v1, v2, v81
	v_fmac_f32_e32 v45, v4, v42
	v_fmac_f32_e32 v41, v4, v38
	s_delay_alu instid0(VALU_DEP_4) | instskip(NEXT) | instid1(VALU_DEP_4)
	v_fmac_f32_e32 v49, v3, v47
	v_fmac_f32_e32 v1, v3, v10
	s_delay_alu instid0(VALU_DEP_4) | instskip(NEXT) | instid1(VALU_DEP_4)
	v_add_f32_e32 v29, v29, v45
	v_add_f32_e32 v31, v31, v41
	s_delay_alu instid0(VALU_DEP_4) | instskip(NEXT) | instid1(VALU_DEP_4)
	v_fmac_f32_e32 v49, v4, v46
	v_fmac_f32_e32 v1, v4, v9
	;; [unrolled: 1-line block ×3, first 2 shown]
	s_delay_alu instid0(VALU_DEP_3) | instskip(NEXT) | instid1(VALU_DEP_3)
	v_dual_add_f32 v25, v25, v50 :: v_dual_add_f32 v28, v28, v49
	v_dual_add_f32 v18, v18, v1 :: v_dual_fmac_f32 v73, v4, v70
	s_delay_alu instid0(VALU_DEP_1)
	v_dual_add_f32 v26, v26, v51 :: v_dual_add_f32 v23, v23, v73
.LBB211_41:                             ;   in Loop: Header=BB211_42 Depth=1
	s_wait_alu 0xfffe
	s_or_b32 exec_lo, exec_lo, s7
	v_add_nc_u32_e32 v13, 4, v13
	v_add_co_u32 v5, s0, v5, 16
	s_wait_alu 0xf1ff
	v_add_co_ci_u32_e64 v6, null, 0, v6, s0
	s_delay_alu instid0(VALU_DEP_3)
	v_cmp_le_i32_e32 vcc_lo, s23, v13
	v_add_nc_u32_e32 v12, 64, v12
	v_add_nc_u32_e32 v33, 0x100, v33
	s_or_b32 s5, vcc_lo, s5
	s_wait_alu 0xfffe
	s_and_not1_b32 exec_lo, exec_lo, s5
	s_cbranch_execz .LBB211_71
.LBB211_42:                             ; =>This Inner Loop Header: Depth=1
	v_sub_nc_u32_e32 v1, 0, v12
	s_delay_alu instid0(VALU_DEP_1) | instskip(NEXT) | instid1(VALU_DEP_1)
	v_max_i32_e32 v1, v12, v1
	v_mul_hi_u32 v2, v1, s22
	s_delay_alu instid0(VALU_DEP_1) | instskip(NEXT) | instid1(VALU_DEP_1)
	v_mul_lo_u32 v3, v2, s16
	v_sub_nc_u32_e32 v1, v1, v3
	v_add_nc_u32_e32 v3, 1, v2
	s_delay_alu instid0(VALU_DEP_2) | instskip(SKIP_2) | instid1(VALU_DEP_2)
	v_subrev_nc_u32_e32 v4, s16, v1
	v_cmp_le_u32_e32 vcc_lo, s16, v1
	s_wait_alu 0xfffd
	v_dual_cndmask_b32 v2, v2, v3 :: v_dual_cndmask_b32 v1, v1, v4
	v_ashrrev_i32_e32 v3, 31, v12
	s_delay_alu instid0(VALU_DEP_2) | instskip(NEXT) | instid1(VALU_DEP_3)
	v_add_nc_u32_e32 v4, 1, v2
	v_cmp_le_u32_e32 vcc_lo, s16, v1
	s_delay_alu instid0(VALU_DEP_3) | instskip(SKIP_1) | instid1(VALU_DEP_3)
	v_xor_b32_e32 v3, s15, v3
	s_wait_alu 0xfffd
	v_cndmask_b32_e32 v1, v2, v4, vcc_lo
	s_delay_alu instid0(VALU_DEP_1) | instskip(NEXT) | instid1(VALU_DEP_1)
	v_xor_b32_e32 v1, v1, v3
	v_sub_nc_u32_e32 v1, v1, v3
	s_delay_alu instid0(VALU_DEP_1) | instskip(SKIP_1) | instid1(VALU_DEP_2)
	v_add_nc_u32_e32 v2, s21, v1
	v_cmp_lt_i32_e64 s0, s3, v1
	v_sub_nc_u32_e32 v3, 0, v2
	s_delay_alu instid0(VALU_DEP_1) | instskip(SKIP_1) | instid1(VALU_DEP_1)
	v_max_i32_e32 v3, v2, v3
	s_wait_alu 0xfffe
	v_mul_hi_u32 v4, v3, s6
	s_delay_alu instid0(VALU_DEP_1) | instskip(NEXT) | instid1(VALU_DEP_1)
	v_mul_lo_u32 v4, v4, s2
	v_sub_nc_u32_e32 v3, v3, v4
	s_delay_alu instid0(VALU_DEP_1) | instskip(SKIP_2) | instid1(VALU_DEP_2)
	v_subrev_nc_u32_e32 v4, s2, v3
	v_cmp_le_u32_e32 vcc_lo, s2, v3
	s_wait_alu 0xfffd
	v_cndmask_b32_e32 v3, v3, v4, vcc_lo
	v_ashrrev_i32_e32 v2, 31, v2
	s_delay_alu instid0(VALU_DEP_2) | instskip(SKIP_2) | instid1(VALU_DEP_2)
	v_subrev_nc_u32_e32 v4, s2, v3
	v_cmp_le_u32_e32 vcc_lo, s2, v3
	s_wait_alu 0xfffd
	v_cndmask_b32_e32 v3, v3, v4, vcc_lo
	s_delay_alu instid0(VALU_DEP_1) | instskip(NEXT) | instid1(VALU_DEP_1)
	v_xor_b32_e32 v3, v3, v2
	v_sub_nc_u32_e32 v2, v3, v2
	s_delay_alu instid0(VALU_DEP_1)
	v_cmp_eq_u32_e32 vcc_lo, 0, v2
	s_or_b32 s0, vcc_lo, s0
	s_wait_alu 0xfffe
	s_and_saveexec_b32 s7, s0
	s_cbranch_execz .LBB211_41
; %bb.43:                               ;   in Loop: Header=BB211_42 Depth=1
	global_load_b32 v1, v[5:6], off
	s_load_b32 s13, s[10:11], 0x0
	v_cmp_eq_u32_e32 vcc_lo, s37, v13
	s_wait_loadcnt 0x0
	v_mad_co_i64_i32 v[9:10], null, v1, s4, v[7:8]
	ds_load_b128 v[1:4], v33
	global_load_b32 v34, v[9:10], off
	s_wait_loadcnt 0x0
	v_lshrrev_b32_e32 v36, 16, v34
	s_delay_alu instid0(VALU_DEP_1) | instskip(SKIP_1) | instid1(VALU_DEP_1)
	v_cvt_pk_f32_fp8_e32 v[38:39], v36
	v_and_b32_e32 v35, 0xffff, v34
	v_cvt_pk_f32_fp8_e32 v[34:35], v35
	s_wait_kmcnt 0x0
	s_delay_alu instid0(VALU_DEP_1) | instskip(NEXT) | instid1(VALU_DEP_1)
	v_dual_mul_f32 v36, s13, v35 :: v_dual_add_nc_u32 v49, v32, v12
	v_add_nc_u32_e32 v51, 1, v49
	s_delay_alu instid0(VALU_DEP_3)
	v_dual_mul_f32 v37, s13, v34 :: v_dual_add_nc_u32 v50, 2, v49
	v_dual_mul_f32 v35, s13, v38 :: v_dual_add_nc_u32 v52, 3, v49
	v_mul_f32_e32 v34, s13, v39
	s_and_saveexec_b32 s14, vcc_lo
	s_cbranch_execz .LBB211_45
; %bb.44:                               ;   in Loop: Header=BB211_42 Depth=1
	v_cmp_gt_i32_e64 s0, s34, v49
	s_wait_alu 0xf1ff
	s_delay_alu instid0(VALU_DEP_1) | instskip(SKIP_2) | instid1(VALU_DEP_1)
	v_cndmask_b32_e64 v37, 0, v37, s0
	v_cmp_gt_i32_e64 s0, s34, v51
	s_wait_alu 0xf1ff
	v_cndmask_b32_e64 v36, 0, v36, s0
	v_cmp_gt_i32_e64 s0, s34, v50
	s_wait_alu 0xf1ff
	s_delay_alu instid0(VALU_DEP_1) | instskip(SKIP_2) | instid1(VALU_DEP_1)
	v_cndmask_b32_e64 v35, 0, v35, s0
	v_cmp_gt_i32_e64 s0, s34, v52
	s_wait_alu 0xf1ff
	v_cndmask_b32_e64 v34, 0, v34, s0
.LBB211_45:                             ;   in Loop: Header=BB211_42 Depth=1
	s_wait_alu 0xfffe
	s_or_b32 exec_lo, exec_lo, s14
	global_load_b32 v38, v[9:10], off offset:128
	s_mov_b32 s14, s13
	s_wait_loadcnt 0x0
	v_lshrrev_b32_e32 v40, 16, v38
	s_delay_alu instid0(VALU_DEP_1) | instskip(SKIP_1) | instid1(VALU_DEP_1)
	v_cvt_pk_f32_fp8_e32 v[42:43], v40
	v_and_b32_e32 v39, 0xffff, v38
	v_cvt_pk_f32_fp8_e32 v[38:39], v39
	s_wait_alu 0xfffe
	s_delay_alu instid0(VALU_DEP_1)
	v_dual_mul_f32 v41, s13, v38 :: v_dual_mul_f32 v40, s14, v39
	v_dual_mul_f32 v39, s13, v42 :: v_dual_mul_f32 v38, s14, v43
	s_and_saveexec_b32 s17, vcc_lo
	s_cbranch_execz .LBB211_47
; %bb.46:                               ;   in Loop: Header=BB211_42 Depth=1
	v_cmp_gt_i32_e64 s0, s34, v49
	s_wait_alu 0xf1ff
	s_delay_alu instid0(VALU_DEP_1) | instskip(SKIP_2) | instid1(VALU_DEP_1)
	v_cndmask_b32_e64 v41, 0, v41, s0
	v_cmp_gt_i32_e64 s0, s34, v51
	s_wait_alu 0xf1ff
	v_cndmask_b32_e64 v40, 0, v40, s0
	v_cmp_gt_i32_e64 s0, s34, v50
	s_wait_alu 0xf1ff
	s_delay_alu instid0(VALU_DEP_1) | instskip(SKIP_2) | instid1(VALU_DEP_1)
	v_cndmask_b32_e64 v39, 0, v39, s0
	v_cmp_gt_i32_e64 s0, s34, v52
	s_wait_alu 0xf1ff
	v_cndmask_b32_e64 v38, 0, v38, s0
.LBB211_47:                             ;   in Loop: Header=BB211_42 Depth=1
	s_wait_alu 0xfffe
	s_or_b32 exec_lo, exec_lo, s17
	global_load_b32 v42, v[9:10], off offset:256
	s_wait_loadcnt 0x0
	v_lshrrev_b32_e32 v44, 16, v42
	s_delay_alu instid0(VALU_DEP_1) | instskip(SKIP_1) | instid1(VALU_DEP_1)
	v_cvt_pk_f32_fp8_e32 v[46:47], v44
	v_and_b32_e32 v43, 0xffff, v42
	v_cvt_pk_f32_fp8_e32 v[42:43], v43
	s_delay_alu instid0(VALU_DEP_1) | instskip(NEXT) | instid1(VALU_DEP_4)
	v_dual_mul_f32 v45, s13, v42 :: v_dual_mul_f32 v44, s14, v43
	v_dual_mul_f32 v43, s13, v46 :: v_dual_mul_f32 v42, s14, v47
	s_and_saveexec_b32 s17, vcc_lo
	s_cbranch_execz .LBB211_49
; %bb.48:                               ;   in Loop: Header=BB211_42 Depth=1
	v_cmp_gt_i32_e64 s0, s34, v49
	s_wait_alu 0xf1ff
	s_delay_alu instid0(VALU_DEP_1) | instskip(SKIP_2) | instid1(VALU_DEP_1)
	v_cndmask_b32_e64 v45, 0, v45, s0
	v_cmp_gt_i32_e64 s0, s34, v51
	s_wait_alu 0xf1ff
	v_cndmask_b32_e64 v44, 0, v44, s0
	v_cmp_gt_i32_e64 s0, s34, v50
	s_wait_alu 0xf1ff
	s_delay_alu instid0(VALU_DEP_1) | instskip(SKIP_2) | instid1(VALU_DEP_1)
	v_cndmask_b32_e64 v43, 0, v43, s0
	v_cmp_gt_i32_e64 s0, s34, v52
	s_wait_alu 0xf1ff
	v_cndmask_b32_e64 v42, 0, v42, s0
.LBB211_49:                             ;   in Loop: Header=BB211_42 Depth=1
	s_wait_alu 0xfffe
	s_or_b32 exec_lo, exec_lo, s17
	global_load_b32 v46, v[9:10], off offset:384
	s_wait_loadcnt 0x0
	v_lshrrev_b32_e32 v48, 16, v46
	s_delay_alu instid0(VALU_DEP_1) | instskip(SKIP_1) | instid1(VALU_DEP_1)
	v_cvt_pk_f32_fp8_e32 v[54:55], v48
	v_and_b32_e32 v47, 0xffff, v46
	v_cvt_pk_f32_fp8_e32 v[46:47], v47
	s_delay_alu instid0(VALU_DEP_1) | instskip(NEXT) | instid1(VALU_DEP_4)
	;; [unrolled: 30-line block ×8, first 2 shown]
	v_dual_mul_f32 v77, s13, v74 :: v_dual_mul_f32 v76, s14, v75
	v_dual_mul_f32 v75, s13, v78 :: v_dual_mul_f32 v74, s14, v79
	s_and_saveexec_b32 s17, vcc_lo
	s_cbranch_execz .LBB211_63
; %bb.62:                               ;   in Loop: Header=BB211_42 Depth=1
	v_cmp_gt_i32_e64 s0, s34, v49
	s_wait_alu 0xf1ff
	s_delay_alu instid0(VALU_DEP_1) | instskip(SKIP_2) | instid1(VALU_DEP_1)
	v_cndmask_b32_e64 v77, 0, v77, s0
	v_cmp_gt_i32_e64 s0, s34, v51
	s_wait_alu 0xf1ff
	v_cndmask_b32_e64 v76, 0, v76, s0
	v_cmp_gt_i32_e64 s0, s34, v50
	s_wait_alu 0xf1ff
	s_delay_alu instid0(VALU_DEP_1) | instskip(SKIP_2) | instid1(VALU_DEP_1)
	v_cndmask_b32_e64 v75, 0, v75, s0
	v_cmp_gt_i32_e64 s0, s34, v52
	s_wait_alu 0xf1ff
	v_cndmask_b32_e64 v74, 0, v74, s0
.LBB211_63:                             ;   in Loop: Header=BB211_42 Depth=1
	s_wait_alu 0xfffe
	s_or_b32 exec_lo, exec_lo, s17
	global_load_b32 v78, v[9:10], off offset:1280
	s_wait_loadcnt 0x0
	v_lshrrev_b32_e32 v80, 16, v78
	s_delay_alu instid0(VALU_DEP_1) | instskip(SKIP_1) | instid1(VALU_DEP_1)
	v_cvt_pk_f32_fp8_e32 v[83:84], v80
	v_and_b32_e32 v79, 0xffff, v78
	v_cvt_pk_f32_fp8_e32 v[78:79], v79
	s_delay_alu instid0(VALU_DEP_1) | instskip(NEXT) | instid1(VALU_DEP_2)
	v_mul_f32_e32 v82, s13, v78
	v_mul_f32_e32 v80, s14, v79
	v_dual_mul_f32 v79, s13, v83 :: v_dual_mul_f32 v78, s14, v84
	s_and_saveexec_b32 s17, vcc_lo
	s_cbranch_execz .LBB211_65
; %bb.64:                               ;   in Loop: Header=BB211_42 Depth=1
	v_cmp_gt_i32_e64 s0, s34, v49
	s_wait_alu 0xf1ff
	s_delay_alu instid0(VALU_DEP_1) | instskip(SKIP_2) | instid1(VALU_DEP_1)
	v_cndmask_b32_e64 v82, 0, v82, s0
	v_cmp_gt_i32_e64 s0, s34, v51
	s_wait_alu 0xf1ff
	v_cndmask_b32_e64 v80, 0, v80, s0
	v_cmp_gt_i32_e64 s0, s34, v50
	s_wait_alu 0xf1ff
	s_delay_alu instid0(VALU_DEP_1) | instskip(SKIP_2) | instid1(VALU_DEP_1)
	v_cndmask_b32_e64 v79, 0, v79, s0
	v_cmp_gt_i32_e64 s0, s34, v52
	s_wait_alu 0xf1ff
	v_cndmask_b32_e64 v78, 0, v78, s0
.LBB211_65:                             ;   in Loop: Header=BB211_42 Depth=1
	s_wait_alu 0xfffe
	s_or_b32 exec_lo, exec_lo, s17
	global_load_b32 v81, v[9:10], off offset:1408
	s_wait_loadcnt 0x0
	v_and_b32_e32 v83, 0xffff, v81
	v_lshrrev_b32_e32 v81, 16, v81
	s_delay_alu instid0(VALU_DEP_2) | instskip(NEXT) | instid1(VALU_DEP_2)
	v_cvt_pk_f32_fp8_e32 v[83:84], v83
	v_cvt_pk_f32_fp8_e32 v[88:89], v81
	s_delay_alu instid0(VALU_DEP_2) | instskip(NEXT) | instid1(VALU_DEP_2)
	v_dual_mul_f32 v87, s13, v83 :: v_dual_mul_f32 v86, s14, v84
	v_dual_mul_f32 v85, s13, v88 :: v_dual_mul_f32 v84, s14, v89
	s_and_saveexec_b32 s17, vcc_lo
	s_cbranch_execz .LBB211_67
; %bb.66:                               ;   in Loop: Header=BB211_42 Depth=1
	v_cmp_gt_i32_e64 s0, s34, v49
	s_wait_alu 0xf1ff
	s_delay_alu instid0(VALU_DEP_1) | instskip(SKIP_2) | instid1(VALU_DEP_1)
	v_cndmask_b32_e64 v87, 0, v87, s0
	v_cmp_gt_i32_e64 s0, s34, v51
	s_wait_alu 0xf1ff
	v_cndmask_b32_e64 v86, 0, v86, s0
	v_cmp_gt_i32_e64 s0, s34, v50
	s_wait_alu 0xf1ff
	s_delay_alu instid0(VALU_DEP_1) | instskip(SKIP_2) | instid1(VALU_DEP_1)
	v_cndmask_b32_e64 v85, 0, v85, s0
	v_cmp_gt_i32_e64 s0, s34, v52
	s_wait_alu 0xf1ff
	v_cndmask_b32_e64 v84, 0, v84, s0
.LBB211_67:                             ;   in Loop: Header=BB211_42 Depth=1
	s_wait_alu 0xfffe
	s_or_b32 exec_lo, exec_lo, s17
	global_load_b32 v81, v[9:10], off offset:1536
	s_wait_loadcnt 0x0
	v_and_b32_e32 v83, 0xffff, v81
	v_lshrrev_b32_e32 v81, 16, v81
	s_delay_alu instid0(VALU_DEP_2) | instskip(NEXT) | instid1(VALU_DEP_2)
	v_cvt_pk_f32_fp8_e32 v[88:89], v83
	v_cvt_pk_f32_fp8_e32 v[92:93], v81
	s_delay_alu instid0(VALU_DEP_2) | instskip(NEXT) | instid1(VALU_DEP_2)
	v_dual_mul_f32 v91, s13, v88 :: v_dual_mul_f32 v90, s14, v89
	v_dual_mul_f32 v89, s13, v92 :: v_dual_mul_f32 v88, s14, v93
	s_and_saveexec_b32 s17, vcc_lo
	s_cbranch_execz .LBB211_69
; %bb.68:                               ;   in Loop: Header=BB211_42 Depth=1
	v_cmp_gt_i32_e64 s0, s34, v49
	s_wait_alu 0xf1ff
	s_delay_alu instid0(VALU_DEP_1) | instskip(SKIP_2) | instid1(VALU_DEP_1)
	v_cndmask_b32_e64 v91, 0, v91, s0
	v_cmp_gt_i32_e64 s0, s34, v51
	s_wait_alu 0xf1ff
	v_cndmask_b32_e64 v90, 0, v90, s0
	v_cmp_gt_i32_e64 s0, s34, v50
	s_wait_alu 0xf1ff
	s_delay_alu instid0(VALU_DEP_1) | instskip(SKIP_2) | instid1(VALU_DEP_1)
	v_cndmask_b32_e64 v89, 0, v89, s0
	v_cmp_gt_i32_e64 s0, s34, v52
	s_wait_alu 0xf1ff
	v_cndmask_b32_e64 v88, 0, v88, s0
.LBB211_69:                             ;   in Loop: Header=BB211_42 Depth=1
	s_wait_alu 0xfffe
	s_or_b32 exec_lo, exec_lo, s17
	global_load_b32 v9, v[9:10], off offset:1664
	s_wait_loadcnt 0x0
	v_and_b32_e32 v10, 0xffff, v9
	v_lshrrev_b32_e32 v81, 16, v9
	s_delay_alu instid0(VALU_DEP_2) | instskip(NEXT) | instid1(VALU_DEP_2)
	v_cvt_pk_f32_fp8_e32 v[9:10], v10
	v_cvt_pk_f32_fp8_e32 v[92:93], v81
	s_delay_alu instid0(VALU_DEP_2) | instskip(NEXT) | instid1(VALU_DEP_2)
	v_mul_f32_e32 v83, s13, v9
	v_dual_mul_f32 v81, s14, v10 :: v_dual_mul_f32 v10, s13, v92
	s_delay_alu instid0(VALU_DEP_3)
	v_mul_f32_e32 v9, s14, v93
	s_and_saveexec_b32 s0, vcc_lo
	s_cbranch_execz .LBB211_40
; %bb.70:                               ;   in Loop: Header=BB211_42 Depth=1
	v_cmp_gt_i32_e32 vcc_lo, s34, v49
	s_wait_alu 0xfffd
	v_cndmask_b32_e32 v83, 0, v83, vcc_lo
	v_cmp_gt_i32_e32 vcc_lo, s34, v51
	s_wait_alu 0xfffd
	v_cndmask_b32_e32 v81, 0, v81, vcc_lo
	;; [unrolled: 3-line block ×4, first 2 shown]
	s_branch .LBB211_40
.LBB211_71:
	s_or_b32 exec_lo, exec_lo, s5
.LBB211_72:
	s_wait_alu 0xfffe
	s_or_b32 exec_lo, exec_lo, s1
	ds_bpermute_b32 v9, v15, v23
	ds_bpermute_b32 v10, v15, v22
	;; [unrolled: 1-line block ×14, first 2 shown]
	v_mul_u32_u24_e32 v11, 0x1c0, v11
	s_mov_b32 s0, exec_lo
	s_wait_storecnt 0x0
	s_wait_loadcnt_dscnt 0x0
	s_barrier_signal -1
	s_barrier_wait -1
	global_inv scope:SCOPE_SE
	v_dual_add_f32 v9, v23, v9 :: v_dual_add_f32 v10, v22, v10
	v_dual_add_f32 v1, v30, v1 :: v_dual_add_f32 v2, v31, v2
	;; [unrolled: 1-line block ×6, first 2 shown]
	ds_bpermute_b32 v21, v16, v9
	ds_bpermute_b32 v20, v16, v10
	v_dual_add_f32 v19, v19, v32 :: v_dual_add_f32 v18, v18, v15
	ds_bpermute_b32 v25, v16, v1
	ds_bpermute_b32 v26, v16, v2
	;; [unrolled: 1-line block ×12, first 2 shown]
	s_wait_dscnt 0xc
	v_dual_add_f32 v9, v9, v21 :: v_dual_add_f32 v10, v10, v20
	s_wait_dscnt 0xb
	v_dual_add_f32 v1, v1, v25 :: v_dual_and_b32 v20, 28, v14
	s_wait_dscnt 0x9
	v_dual_add_f32 v2, v2, v26 :: v_dual_add_f32 v3, v3, v27
	s_wait_dscnt 0x7
	v_dual_add_f32 v4, v4, v28 :: v_dual_add_f32 v5, v5, v29
	;; [unrolled: 2-line block ×3, first 2 shown]
	s_wait_dscnt 0x4
	v_add_f32_e32 v8, v8, v22
	s_wait_dscnt 0x2
	v_dual_add_f32 v12, v12, v30 :: v_dual_add_f32 v13, v13, v15
	s_wait_dscnt 0x1
	v_add_f32_e32 v15, v19, v31
	v_and_b32_e32 v19, 0x3c3, v0
	s_wait_dscnt 0x0
	v_add_f32_e32 v16, v18, v16
	v_lshrrev_b32_e32 v18, 2, v14
	v_add_nc_u32_e32 v14, 0x1e0, v20
	v_cmpx_eq_u32_e32 64, v19
	s_cbranch_execz .LBB211_74
; %bb.73:
	s_delay_alu instid0(VALU_DEP_2) | instskip(NEXT) | instid1(VALU_DEP_1)
	v_add_nc_u32_e32 v19, v14, v11
	v_add_nc_u32_e32 v20, 0xfffffc80, v19
	;; [unrolled: 1-line block ×9, first 2 shown]
	ds_store_b32 v20, v1
	ds_store_b32 v21, v2
	ds_store_b32 v22, v3
	ds_store_b32 v23, v4
	ds_store_b32 v24, v5
	ds_store_b32 v25, v6
	ds_store_b32 v26, v7
	ds_store_b32 v27, v8
	v_add_nc_u32_e32 v20, 0xfffffd80, v19
	v_add_nc_u32_e32 v21, 0xfffffda0, v19
	;; [unrolled: 1-line block ×6, first 2 shown]
	ds_store_b32 v20, v9
	ds_store_b32 v21, v10
	;; [unrolled: 1-line block ×6, first 2 shown]
.LBB211_74:
	s_wait_alu 0xfffe
	s_or_b32 exec_lo, exec_lo, s0
	v_lshlrev_b32_e32 v18, 2, v18
	s_mov_b32 s1, exec_lo
	v_cmp_eq_u32_e32 vcc_lo, 0, v17
	s_wait_loadcnt_dscnt 0x0
	s_barrier_signal -1
	v_add3_u32 v11, 0x1e0, v11, v18
	s_barrier_wait -1
	global_inv scope:SCOPE_SE
	v_cmpx_gt_u32_e32 64, v0
	s_cbranch_execz .LBB211_91
; %bb.75:
	s_and_saveexec_b32 s0, vcc_lo
	s_cbranch_execnz .LBB211_113
; %bb.76:
	s_wait_alu 0xfffe
	s_or_b32 exec_lo, exec_lo, s0
	s_and_saveexec_b32 s0, vcc_lo
	s_cbranch_execnz .LBB211_114
.LBB211_77:
	s_wait_alu 0xfffe
	s_or_b32 exec_lo, exec_lo, s0
	s_and_saveexec_b32 s0, vcc_lo
	s_cbranch_execnz .LBB211_115
.LBB211_78:
	s_wait_alu 0xfffe
	s_or_b32 exec_lo, exec_lo, s0
	s_and_saveexec_b32 s0, vcc_lo
	s_cbranch_execnz .LBB211_116
.LBB211_79:
	s_wait_alu 0xfffe
	s_or_b32 exec_lo, exec_lo, s0
	s_and_saveexec_b32 s0, vcc_lo
	s_cbranch_execnz .LBB211_117
.LBB211_80:
	s_wait_alu 0xfffe
	s_or_b32 exec_lo, exec_lo, s0
	s_and_saveexec_b32 s0, vcc_lo
	s_cbranch_execnz .LBB211_118
.LBB211_81:
	s_wait_alu 0xfffe
	s_or_b32 exec_lo, exec_lo, s0
	s_and_saveexec_b32 s0, vcc_lo
	s_cbranch_execnz .LBB211_119
.LBB211_82:
	s_wait_alu 0xfffe
	s_or_b32 exec_lo, exec_lo, s0
	s_and_saveexec_b32 s0, vcc_lo
	s_cbranch_execnz .LBB211_120
.LBB211_83:
	s_wait_alu 0xfffe
	s_or_b32 exec_lo, exec_lo, s0
	s_and_saveexec_b32 s0, vcc_lo
	s_cbranch_execnz .LBB211_121
.LBB211_84:
	s_wait_alu 0xfffe
	s_or_b32 exec_lo, exec_lo, s0
	s_and_saveexec_b32 s0, vcc_lo
	s_cbranch_execnz .LBB211_122
.LBB211_85:
	s_wait_alu 0xfffe
	s_or_b32 exec_lo, exec_lo, s0
	s_and_saveexec_b32 s0, vcc_lo
	s_cbranch_execnz .LBB211_123
.LBB211_86:
	s_wait_alu 0xfffe
	s_or_b32 exec_lo, exec_lo, s0
	s_and_saveexec_b32 s0, vcc_lo
	s_cbranch_execnz .LBB211_124
.LBB211_87:
	s_wait_alu 0xfffe
	s_or_b32 exec_lo, exec_lo, s0
	s_and_saveexec_b32 s0, vcc_lo
	s_cbranch_execnz .LBB211_125
.LBB211_88:
	s_wait_alu 0xfffe
	s_or_b32 exec_lo, exec_lo, s0
	s_and_saveexec_b32 s0, vcc_lo
	s_cbranch_execz .LBB211_90
.LBB211_89:
	ds_load_b32 v17, v11 offset:416
	s_wait_dscnt 0x0
	v_add_f32_e32 v16, v16, v17
.LBB211_90:
	s_wait_alu 0xfffe
	s_or_b32 exec_lo, exec_lo, s0
.LBB211_91:
	s_wait_alu 0xfffe
	s_or_b32 exec_lo, exec_lo, s1
	v_and_b32_e32 v17, 0x3e3, v0
	s_mov_b32 s1, exec_lo
	s_wait_loadcnt 0x0
	s_barrier_signal -1
	s_barrier_wait -1
	global_inv scope:SCOPE_SE
	v_cmpx_eq_u32_e32 32, v17
	s_cbranch_execz .LBB211_93
; %bb.92:
	ds_store_2addr_b32 v14, v1, v2 offset1:8
	ds_store_2addr_b32 v14, v3, v4 offset0:16 offset1:24
	ds_store_2addr_b32 v14, v5, v6 offset0:32 offset1:40
	;; [unrolled: 1-line block ×6, first 2 shown]
.LBB211_93:
	s_wait_alu 0xfffe
	s_or_b32 exec_lo, exec_lo, s1
	s_delay_alu instid0(SALU_CYCLE_1)
	s_mov_b32 s1, exec_lo
	s_wait_loadcnt_dscnt 0x0
	s_barrier_signal -1
	s_barrier_wait -1
	global_inv scope:SCOPE_SE
	v_cmpx_gt_u32_e32 32, v0
	s_cbranch_execz .LBB211_110
; %bb.94:
	s_and_saveexec_b32 s0, vcc_lo
	s_cbranch_execnz .LBB211_126
; %bb.95:
	s_wait_alu 0xfffe
	s_or_b32 exec_lo, exec_lo, s0
	s_and_saveexec_b32 s0, vcc_lo
	s_cbranch_execnz .LBB211_127
.LBB211_96:
	s_wait_alu 0xfffe
	s_or_b32 exec_lo, exec_lo, s0
	s_and_saveexec_b32 s0, vcc_lo
	s_cbranch_execnz .LBB211_128
.LBB211_97:
	s_wait_alu 0xfffe
	s_or_b32 exec_lo, exec_lo, s0
	s_and_saveexec_b32 s0, vcc_lo
	s_cbranch_execnz .LBB211_129
.LBB211_98:
	s_wait_alu 0xfffe
	s_or_b32 exec_lo, exec_lo, s0
	s_and_saveexec_b32 s0, vcc_lo
	s_cbranch_execnz .LBB211_130
.LBB211_99:
	s_wait_alu 0xfffe
	s_or_b32 exec_lo, exec_lo, s0
	s_and_saveexec_b32 s0, vcc_lo
	s_cbranch_execnz .LBB211_131
.LBB211_100:
	s_wait_alu 0xfffe
	s_or_b32 exec_lo, exec_lo, s0
	s_and_saveexec_b32 s0, vcc_lo
	s_cbranch_execnz .LBB211_132
.LBB211_101:
	s_wait_alu 0xfffe
	s_or_b32 exec_lo, exec_lo, s0
	s_and_saveexec_b32 s0, vcc_lo
	s_cbranch_execnz .LBB211_133
.LBB211_102:
	s_wait_alu 0xfffe
	s_or_b32 exec_lo, exec_lo, s0
	s_and_saveexec_b32 s0, vcc_lo
	s_cbranch_execnz .LBB211_134
.LBB211_103:
	s_wait_alu 0xfffe
	s_or_b32 exec_lo, exec_lo, s0
	s_and_saveexec_b32 s0, vcc_lo
	s_cbranch_execnz .LBB211_135
.LBB211_104:
	s_wait_alu 0xfffe
	s_or_b32 exec_lo, exec_lo, s0
	s_and_saveexec_b32 s0, vcc_lo
	s_cbranch_execnz .LBB211_136
.LBB211_105:
	s_wait_alu 0xfffe
	s_or_b32 exec_lo, exec_lo, s0
	s_and_saveexec_b32 s0, vcc_lo
	s_cbranch_execnz .LBB211_137
.LBB211_106:
	s_wait_alu 0xfffe
	s_or_b32 exec_lo, exec_lo, s0
	s_and_saveexec_b32 s0, vcc_lo
	s_cbranch_execnz .LBB211_138
.LBB211_107:
	s_wait_alu 0xfffe
	s_or_b32 exec_lo, exec_lo, s0
	s_and_saveexec_b32 s0, vcc_lo
	s_cbranch_execz .LBB211_109
.LBB211_108:
	ds_load_b32 v11, v11 offset:416
	s_wait_dscnt 0x0
	v_add_f32_e32 v16, v16, v11
.LBB211_109:
	s_wait_alu 0xfffe
	s_or_b32 exec_lo, exec_lo, s0
.LBB211_110:
	s_wait_alu 0xfffe
	s_or_b32 exec_lo, exec_lo, s1
	s_mov_b32 s1, 0
	s_wait_loadcnt 0x0
	s_barrier_signal -1
	s_barrier_wait -1
	global_inv scope:SCOPE_SE
	s_mov_b32 s0, exec_lo
	v_cmpx_eq_u32_e32 0, v17
	s_cbranch_execz .LBB211_112
; %bb.111:
	s_mul_i32 s2, s18, 0x70
	s_wait_kmcnt 0x0
	s_mul_i32 s4, s12, s20
	s_wait_alu 0xfffe
	s_ashr_i32 s3, s2, 31
	s_ashr_i32 s5, s4, 31
	s_wait_alu 0xfffe
	s_lshl_b64 s[2:3], s[2:3], 2
	s_lshl_b64 s[4:5], s[4:5], 2
	s_wait_alu 0xfffe
	s_add_nc_u64 s[2:3], s[8:9], s[2:3]
	s_mul_i32 s0, s33, 0x1c0
	s_wait_alu 0xfffe
	s_add_nc_u64 s[2:3], s[2:3], s[4:5]
	s_wait_alu 0xfffe
	s_add_nc_u64 s[0:1], s[2:3], s[0:1]
	s_clause 0xd
	global_store_b32 v0, v1, s[0:1]
	global_store_b32 v0, v2, s[0:1] offset:32
	global_store_b32 v0, v3, s[0:1] offset:64
	;; [unrolled: 1-line block ×13, first 2 shown]
.LBB211_112:
	s_nop 0
	s_sendmsg sendmsg(MSG_DEALLOC_VGPRS)
	s_endpgm
.LBB211_113:
	ds_load_b32 v17, v11
	s_wait_dscnt 0x0
	v_add_f32_e32 v1, v1, v17
	s_wait_alu 0xfffe
	s_or_b32 exec_lo, exec_lo, s0
	s_and_saveexec_b32 s0, vcc_lo
	s_cbranch_execz .LBB211_77
.LBB211_114:
	ds_load_b32 v17, v11 offset:32
	s_wait_dscnt 0x0
	v_add_f32_e32 v2, v2, v17
	s_wait_alu 0xfffe
	s_or_b32 exec_lo, exec_lo, s0
	s_and_saveexec_b32 s0, vcc_lo
	s_cbranch_execz .LBB211_78
.LBB211_115:
	ds_load_b32 v17, v11 offset:64
	s_wait_dscnt 0x0
	v_add_f32_e32 v3, v3, v17
	s_wait_alu 0xfffe
	s_or_b32 exec_lo, exec_lo, s0
	s_and_saveexec_b32 s0, vcc_lo
	s_cbranch_execz .LBB211_79
.LBB211_116:
	ds_load_b32 v17, v11 offset:96
	s_wait_dscnt 0x0
	v_add_f32_e32 v4, v4, v17
	s_wait_alu 0xfffe
	s_or_b32 exec_lo, exec_lo, s0
	s_and_saveexec_b32 s0, vcc_lo
	s_cbranch_execz .LBB211_80
.LBB211_117:
	ds_load_b32 v17, v11 offset:128
	s_wait_dscnt 0x0
	v_add_f32_e32 v5, v5, v17
	s_wait_alu 0xfffe
	s_or_b32 exec_lo, exec_lo, s0
	s_and_saveexec_b32 s0, vcc_lo
	s_cbranch_execz .LBB211_81
.LBB211_118:
	ds_load_b32 v17, v11 offset:160
	s_wait_dscnt 0x0
	v_add_f32_e32 v6, v6, v17
	s_wait_alu 0xfffe
	s_or_b32 exec_lo, exec_lo, s0
	s_and_saveexec_b32 s0, vcc_lo
	s_cbranch_execz .LBB211_82
.LBB211_119:
	ds_load_b32 v17, v11 offset:192
	s_wait_dscnt 0x0
	v_add_f32_e32 v7, v7, v17
	s_wait_alu 0xfffe
	s_or_b32 exec_lo, exec_lo, s0
	s_and_saveexec_b32 s0, vcc_lo
	s_cbranch_execz .LBB211_83
.LBB211_120:
	ds_load_b32 v17, v11 offset:224
	s_wait_dscnt 0x0
	v_add_f32_e32 v8, v8, v17
	s_wait_alu 0xfffe
	s_or_b32 exec_lo, exec_lo, s0
	s_and_saveexec_b32 s0, vcc_lo
	s_cbranch_execz .LBB211_84
.LBB211_121:
	ds_load_b32 v17, v11 offset:256
	s_wait_dscnt 0x0
	v_add_f32_e32 v9, v9, v17
	s_wait_alu 0xfffe
	s_or_b32 exec_lo, exec_lo, s0
	s_and_saveexec_b32 s0, vcc_lo
	s_cbranch_execz .LBB211_85
.LBB211_122:
	ds_load_b32 v17, v11 offset:288
	s_wait_dscnt 0x0
	v_add_f32_e32 v10, v10, v17
	s_wait_alu 0xfffe
	s_or_b32 exec_lo, exec_lo, s0
	s_and_saveexec_b32 s0, vcc_lo
	s_cbranch_execz .LBB211_86
.LBB211_123:
	ds_load_b32 v17, v11 offset:320
	s_wait_dscnt 0x0
	v_add_f32_e32 v12, v12, v17
	s_wait_alu 0xfffe
	s_or_b32 exec_lo, exec_lo, s0
	s_and_saveexec_b32 s0, vcc_lo
	s_cbranch_execz .LBB211_87
.LBB211_124:
	ds_load_b32 v17, v11 offset:352
	s_wait_dscnt 0x0
	v_add_f32_e32 v13, v13, v17
	s_wait_alu 0xfffe
	s_or_b32 exec_lo, exec_lo, s0
	s_and_saveexec_b32 s0, vcc_lo
	s_cbranch_execz .LBB211_88
.LBB211_125:
	ds_load_b32 v17, v11 offset:384
	s_wait_dscnt 0x0
	v_add_f32_e32 v15, v15, v17
	s_wait_alu 0xfffe
	s_or_b32 exec_lo, exec_lo, s0
	s_and_saveexec_b32 s0, vcc_lo
	s_cbranch_execnz .LBB211_89
	s_branch .LBB211_90
.LBB211_126:
	ds_load_b32 v14, v11
	s_wait_dscnt 0x0
	v_add_f32_e32 v1, v1, v14
	s_wait_alu 0xfffe
	s_or_b32 exec_lo, exec_lo, s0
	s_and_saveexec_b32 s0, vcc_lo
	s_cbranch_execz .LBB211_96
.LBB211_127:
	ds_load_b32 v14, v11 offset:32
	s_wait_dscnt 0x0
	v_add_f32_e32 v2, v2, v14
	s_wait_alu 0xfffe
	s_or_b32 exec_lo, exec_lo, s0
	s_and_saveexec_b32 s0, vcc_lo
	s_cbranch_execz .LBB211_97
.LBB211_128:
	ds_load_b32 v14, v11 offset:64
	s_wait_dscnt 0x0
	v_add_f32_e32 v3, v3, v14
	s_wait_alu 0xfffe
	s_or_b32 exec_lo, exec_lo, s0
	s_and_saveexec_b32 s0, vcc_lo
	s_cbranch_execz .LBB211_98
.LBB211_129:
	ds_load_b32 v14, v11 offset:96
	s_wait_dscnt 0x0
	v_add_f32_e32 v4, v4, v14
	s_wait_alu 0xfffe
	s_or_b32 exec_lo, exec_lo, s0
	s_and_saveexec_b32 s0, vcc_lo
	s_cbranch_execz .LBB211_99
.LBB211_130:
	ds_load_b32 v14, v11 offset:128
	s_wait_dscnt 0x0
	v_add_f32_e32 v5, v5, v14
	s_wait_alu 0xfffe
	s_or_b32 exec_lo, exec_lo, s0
	s_and_saveexec_b32 s0, vcc_lo
	s_cbranch_execz .LBB211_100
.LBB211_131:
	ds_load_b32 v14, v11 offset:160
	s_wait_dscnt 0x0
	v_add_f32_e32 v6, v6, v14
	s_wait_alu 0xfffe
	s_or_b32 exec_lo, exec_lo, s0
	s_and_saveexec_b32 s0, vcc_lo
	s_cbranch_execz .LBB211_101
.LBB211_132:
	ds_load_b32 v14, v11 offset:192
	s_wait_dscnt 0x0
	v_add_f32_e32 v7, v7, v14
	s_wait_alu 0xfffe
	s_or_b32 exec_lo, exec_lo, s0
	s_and_saveexec_b32 s0, vcc_lo
	s_cbranch_execz .LBB211_102
.LBB211_133:
	ds_load_b32 v14, v11 offset:224
	s_wait_dscnt 0x0
	v_add_f32_e32 v8, v8, v14
	s_wait_alu 0xfffe
	s_or_b32 exec_lo, exec_lo, s0
	s_and_saveexec_b32 s0, vcc_lo
	s_cbranch_execz .LBB211_103
.LBB211_134:
	ds_load_b32 v14, v11 offset:256
	s_wait_dscnt 0x0
	v_add_f32_e32 v9, v9, v14
	s_wait_alu 0xfffe
	s_or_b32 exec_lo, exec_lo, s0
	s_and_saveexec_b32 s0, vcc_lo
	s_cbranch_execz .LBB211_104
.LBB211_135:
	ds_load_b32 v14, v11 offset:288
	s_wait_dscnt 0x0
	v_add_f32_e32 v10, v10, v14
	s_wait_alu 0xfffe
	s_or_b32 exec_lo, exec_lo, s0
	s_and_saveexec_b32 s0, vcc_lo
	s_cbranch_execz .LBB211_105
.LBB211_136:
	ds_load_b32 v14, v11 offset:320
	s_wait_dscnt 0x0
	v_add_f32_e32 v12, v12, v14
	s_wait_alu 0xfffe
	s_or_b32 exec_lo, exec_lo, s0
	s_and_saveexec_b32 s0, vcc_lo
	s_cbranch_execz .LBB211_106
.LBB211_137:
	ds_load_b32 v14, v11 offset:352
	s_wait_dscnt 0x0
	v_add_f32_e32 v13, v13, v14
	s_wait_alu 0xfffe
	s_or_b32 exec_lo, exec_lo, s0
	s_and_saveexec_b32 s0, vcc_lo
	s_cbranch_execz .LBB211_107
.LBB211_138:
	ds_load_b32 v14, v11 offset:384
	s_wait_dscnt 0x0
	v_add_f32_e32 v15, v15, v14
	s_wait_alu 0xfffe
	s_or_b32 exec_lo, exec_lo, s0
	s_and_saveexec_b32 s0, vcc_lo
	s_cbranch_execnz .LBB211_108
	s_branch .LBB211_109
	.section	.rodata,"a",@progbits
	.p2align	6, 0x0
	.amdhsa_kernel _ZN4vllm25paged_attention_v2_kernelIfhLi112ELi16ELi128ELNS_18Fp8KVCacheDataTypeE1ELb1ELi512EEEvPfS2_PT_PKS3_PKT0_S9_ifPKiSB_iPKfiiiSD_SD_iiiii
		.amdhsa_group_segment_fixed_size 480
		.amdhsa_private_segment_fixed_size 0
		.amdhsa_kernarg_size 400
		.amdhsa_user_sgpr_count 2
		.amdhsa_user_sgpr_dispatch_ptr 0
		.amdhsa_user_sgpr_queue_ptr 0
		.amdhsa_user_sgpr_kernarg_segment_ptr 1
		.amdhsa_user_sgpr_dispatch_id 0
		.amdhsa_user_sgpr_private_segment_size 0
		.amdhsa_wavefront_size32 1
		.amdhsa_uses_dynamic_stack 0
		.amdhsa_enable_private_segment 0
		.amdhsa_system_sgpr_workgroup_id_x 1
		.amdhsa_system_sgpr_workgroup_id_y 1
		.amdhsa_system_sgpr_workgroup_id_z 1
		.amdhsa_system_sgpr_workgroup_info 0
		.amdhsa_system_vgpr_workitem_id 0
		.amdhsa_next_free_vgpr 108
		.amdhsa_next_free_sgpr 45
		.amdhsa_reserve_vcc 1
		.amdhsa_float_round_mode_32 0
		.amdhsa_float_round_mode_16_64 0
		.amdhsa_float_denorm_mode_32 3
		.amdhsa_float_denorm_mode_16_64 3
		.amdhsa_fp16_overflow 0
		.amdhsa_workgroup_processor_mode 1
		.amdhsa_memory_ordered 1
		.amdhsa_forward_progress 1
		.amdhsa_inst_pref_size 79
		.amdhsa_round_robin_scheduling 0
		.amdhsa_exception_fp_ieee_invalid_op 0
		.amdhsa_exception_fp_denorm_src 0
		.amdhsa_exception_fp_ieee_div_zero 0
		.amdhsa_exception_fp_ieee_overflow 0
		.amdhsa_exception_fp_ieee_underflow 0
		.amdhsa_exception_fp_ieee_inexact 0
		.amdhsa_exception_int_div_zero 0
	.end_amdhsa_kernel
	.section	.text._ZN4vllm25paged_attention_v2_kernelIfhLi112ELi16ELi128ELNS_18Fp8KVCacheDataTypeE1ELb1ELi512EEEvPfS2_PT_PKS3_PKT0_S9_ifPKiSB_iPKfiiiSD_SD_iiiii,"axG",@progbits,_ZN4vllm25paged_attention_v2_kernelIfhLi112ELi16ELi128ELNS_18Fp8KVCacheDataTypeE1ELb1ELi512EEEvPfS2_PT_PKS3_PKT0_S9_ifPKiSB_iPKfiiiSD_SD_iiiii,comdat
.Lfunc_end211:
	.size	_ZN4vllm25paged_attention_v2_kernelIfhLi112ELi16ELi128ELNS_18Fp8KVCacheDataTypeE1ELb1ELi512EEEvPfS2_PT_PKS3_PKT0_S9_ifPKiSB_iPKfiiiSD_SD_iiiii, .Lfunc_end211-_ZN4vllm25paged_attention_v2_kernelIfhLi112ELi16ELi128ELNS_18Fp8KVCacheDataTypeE1ELb1ELi512EEEvPfS2_PT_PKS3_PKT0_S9_ifPKiSB_iPKfiiiSD_SD_iiiii
                                        ; -- End function
	.set _ZN4vllm25paged_attention_v2_kernelIfhLi112ELi16ELi128ELNS_18Fp8KVCacheDataTypeE1ELb1ELi512EEEvPfS2_PT_PKS3_PKT0_S9_ifPKiSB_iPKfiiiSD_SD_iiiii.num_vgpr, 108
	.set _ZN4vllm25paged_attention_v2_kernelIfhLi112ELi16ELi128ELNS_18Fp8KVCacheDataTypeE1ELb1ELi512EEEvPfS2_PT_PKS3_PKT0_S9_ifPKiSB_iPKfiiiSD_SD_iiiii.num_agpr, 0
	.set _ZN4vllm25paged_attention_v2_kernelIfhLi112ELi16ELi128ELNS_18Fp8KVCacheDataTypeE1ELb1ELi512EEEvPfS2_PT_PKS3_PKT0_S9_ifPKiSB_iPKfiiiSD_SD_iiiii.numbered_sgpr, 45
	.set _ZN4vllm25paged_attention_v2_kernelIfhLi112ELi16ELi128ELNS_18Fp8KVCacheDataTypeE1ELb1ELi512EEEvPfS2_PT_PKS3_PKT0_S9_ifPKiSB_iPKfiiiSD_SD_iiiii.num_named_barrier, 0
	.set _ZN4vllm25paged_attention_v2_kernelIfhLi112ELi16ELi128ELNS_18Fp8KVCacheDataTypeE1ELb1ELi512EEEvPfS2_PT_PKS3_PKT0_S9_ifPKiSB_iPKfiiiSD_SD_iiiii.private_seg_size, 0
	.set _ZN4vllm25paged_attention_v2_kernelIfhLi112ELi16ELi128ELNS_18Fp8KVCacheDataTypeE1ELb1ELi512EEEvPfS2_PT_PKS3_PKT0_S9_ifPKiSB_iPKfiiiSD_SD_iiiii.uses_vcc, 1
	.set _ZN4vllm25paged_attention_v2_kernelIfhLi112ELi16ELi128ELNS_18Fp8KVCacheDataTypeE1ELb1ELi512EEEvPfS2_PT_PKS3_PKT0_S9_ifPKiSB_iPKfiiiSD_SD_iiiii.uses_flat_scratch, 0
	.set _ZN4vllm25paged_attention_v2_kernelIfhLi112ELi16ELi128ELNS_18Fp8KVCacheDataTypeE1ELb1ELi512EEEvPfS2_PT_PKS3_PKT0_S9_ifPKiSB_iPKfiiiSD_SD_iiiii.has_dyn_sized_stack, 0
	.set _ZN4vllm25paged_attention_v2_kernelIfhLi112ELi16ELi128ELNS_18Fp8KVCacheDataTypeE1ELb1ELi512EEEvPfS2_PT_PKS3_PKT0_S9_ifPKiSB_iPKfiiiSD_SD_iiiii.has_recursion, 0
	.set _ZN4vllm25paged_attention_v2_kernelIfhLi112ELi16ELi128ELNS_18Fp8KVCacheDataTypeE1ELb1ELi512EEEvPfS2_PT_PKS3_PKT0_S9_ifPKiSB_iPKfiiiSD_SD_iiiii.has_indirect_call, 0
	.section	.AMDGPU.csdata,"",@progbits
; Kernel info:
; codeLenInByte = 10104
; TotalNumSgprs: 47
; NumVgprs: 108
; ScratchSize: 0
; MemoryBound: 0
; FloatMode: 240
; IeeeMode: 1
; LDSByteSize: 480 bytes/workgroup (compile time only)
; SGPRBlocks: 0
; VGPRBlocks: 13
; NumSGPRsForWavesPerEU: 47
; NumVGPRsForWavesPerEU: 108
; Occupancy: 12
; WaveLimiterHint : 1
; COMPUTE_PGM_RSRC2:SCRATCH_EN: 0
; COMPUTE_PGM_RSRC2:USER_SGPR: 2
; COMPUTE_PGM_RSRC2:TRAP_HANDLER: 0
; COMPUTE_PGM_RSRC2:TGID_X_EN: 1
; COMPUTE_PGM_RSRC2:TGID_Y_EN: 1
; COMPUTE_PGM_RSRC2:TGID_Z_EN: 1
; COMPUTE_PGM_RSRC2:TIDIG_COMP_CNT: 0
	.section	.text._ZN4vllm25paged_attention_v2_kernelIfhLi120ELi16ELi128ELNS_18Fp8KVCacheDataTypeE1ELb1ELi512EEEvPfS2_PT_PKS3_PKT0_S9_ifPKiSB_iPKfiiiSD_SD_iiiii,"axG",@progbits,_ZN4vllm25paged_attention_v2_kernelIfhLi120ELi16ELi128ELNS_18Fp8KVCacheDataTypeE1ELb1ELi512EEEvPfS2_PT_PKS3_PKT0_S9_ifPKiSB_iPKfiiiSD_SD_iiiii,comdat
	.protected	_ZN4vllm25paged_attention_v2_kernelIfhLi120ELi16ELi128ELNS_18Fp8KVCacheDataTypeE1ELb1ELi512EEEvPfS2_PT_PKS3_PKT0_S9_ifPKiSB_iPKfiiiSD_SD_iiiii ; -- Begin function _ZN4vllm25paged_attention_v2_kernelIfhLi120ELi16ELi128ELNS_18Fp8KVCacheDataTypeE1ELb1ELi512EEEvPfS2_PT_PKS3_PKT0_S9_ifPKiSB_iPKfiiiSD_SD_iiiii
	.globl	_ZN4vllm25paged_attention_v2_kernelIfhLi120ELi16ELi128ELNS_18Fp8KVCacheDataTypeE1ELb1ELi512EEEvPfS2_PT_PKS3_PKT0_S9_ifPKiSB_iPKfiiiSD_SD_iiiii
	.p2align	8
	.type	_ZN4vllm25paged_attention_v2_kernelIfhLi120ELi16ELi128ELNS_18Fp8KVCacheDataTypeE1ELb1ELi512EEEvPfS2_PT_PKS3_PKT0_S9_ifPKiSB_iPKfiiiSD_SD_iiiii,@function
_ZN4vllm25paged_attention_v2_kernelIfhLi120ELi16ELi128ELNS_18Fp8KVCacheDataTypeE1ELb1ELi512EEEvPfS2_PT_PKS3_PKT0_S9_ifPKiSB_iPKfiiiSD_SD_iiiii: ; @_ZN4vllm25paged_attention_v2_kernelIfhLi120ELi16ELi128ELNS_18Fp8KVCacheDataTypeE1ELb1ELi512EEEvPfS2_PT_PKS3_PKT0_S9_ifPKiSB_iPKfiiiSD_SD_iiiii
; %bb.0:
	s_load_b64 s[2:3], s[0:1], 0x40
	s_and_b32 s19, ttmp7, 0xffff
	s_lshr_b32 s33, ttmp7, 16
	s_lshl_b32 s4, s19, 2
	s_lshl_b32 s36, s33, 9
	s_wait_kmcnt 0x0
	s_load_b32 s34, s[2:3], s4 offset:0x0
	s_wait_kmcnt 0x0
	s_cmp_ge_i32 s36, s34
	s_cbranch_scc1 .LBB212_116
; %bb.1:
	s_clause 0x1
	s_load_b32 s35, s[0:1], 0x90
	s_load_b64 s[6:7], s[0:1], 0x30
	s_wait_kmcnt 0x0
	s_abs_i32 s5, s35
	s_abs_i32 s2, s6
	s_delay_alu instid0(SALU_CYCLE_1) | instskip(SKIP_1) | instid1(SALU_CYCLE_2)
	s_cvt_f32_u32 s3, s2
	s_sub_co_i32 s4, 0, s2
	v_rcp_iflag_f32_e32 v1, s3
	s_delay_alu instid0(TRANS32_DEP_1) | instskip(SKIP_2) | instid1(SALU_CYCLE_2)
	v_readfirstlane_b32 s3, v1
	s_mul_f32 s3, s3, 0x4f7ffffe
	s_wait_alu 0xfffe
	s_cvt_u32_f32 s3, s3
	s_wait_alu 0xfffe
	s_delay_alu instid0(SALU_CYCLE_2) | instskip(NEXT) | instid1(SALU_CYCLE_1)
	s_mul_i32 s4, s4, s3
	s_mul_hi_u32 s4, s3, s4
	s_delay_alu instid0(SALU_CYCLE_1)
	s_add_co_i32 s3, s3, s4
	s_xor_b32 s4, s35, s6
	s_wait_alu 0xfffe
	s_mul_hi_u32 s3, s5, s3
	s_ashr_i32 s4, s4, 31
	s_wait_alu 0xfffe
	s_mul_i32 s8, s3, s2
	s_delay_alu instid0(SALU_CYCLE_1)
	s_sub_co_i32 s5, s5, s8
	s_add_co_i32 s8, s3, 1
	s_sub_co_i32 s9, s5, s2
	s_cmp_ge_u32 s5, s2
	s_cselect_b32 s3, s8, s3
	s_cselect_b32 s5, s9, s5
	s_wait_alu 0xfffe
	s_add_co_i32 s8, s3, 1
	s_cmp_ge_u32 s5, s2
	s_cselect_b32 s2, s8, s3
	s_load_b64 s[8:9], s[0:1], 0x50
	s_xor_b32 s2, s2, s4
	s_mov_b32 s3, 0
	s_wait_alu 0xfffe
	s_sub_co_i32 s11, s2, s4
	s_mov_b32 s30, s3
	s_abs_i32 s10, s11
	s_delay_alu instid0(SALU_CYCLE_1) | instskip(SKIP_1) | instid1(SALU_CYCLE_2)
	s_cvt_f32_u32 s2, s10
	s_wait_alu 0xfffe
	v_rcp_iflag_f32_e32 v1, s2
	s_delay_alu instid0(TRANS32_DEP_1) | instskip(SKIP_2) | instid1(SALU_CYCLE_2)
	v_readfirstlane_b32 s2, v1
	s_mul_f32 s2, s2, 0x4f7ffffe
	s_wait_alu 0xfffe
	s_cvt_u32_f32 s4, s2
	s_sub_co_i32 s2, 0, s10
	s_wait_alu 0xfffe
	s_delay_alu instid0(SALU_CYCLE_1)
	s_mul_i32 s2, s2, s4
	s_wait_alu 0xfffe
	s_mul_hi_u32 s5, s4, s2
	s_abs_i32 s2, ttmp9
	s_add_co_i32 s4, s4, s5
	s_mov_b32 s5, s3
	s_wait_kmcnt 0x0
	s_cmp_eq_u64 s[8:9], 0
	s_cbranch_scc1 .LBB212_3
; %bb.2:
	s_mov_b32 s12, ttmp9
	s_ashr_i32 s13, ttmp9, 31
	s_delay_alu instid0(SALU_CYCLE_1) | instskip(NEXT) | instid1(SALU_CYCLE_1)
	s_lshl_b64 s[12:13], s[12:13], 2
	s_add_nc_u64 s[8:9], s[8:9], s[12:13]
	s_load_b32 s30, s[8:9], 0x0
.LBB212_3:
	s_load_b96 s[16:18], s[0:1], 0x58
	v_and_b32_e32 v1, 1, v0
	v_lshlrev_b32_e32 v5, 2, v0
	s_mul_u64 s[4:5], s[2:3], s[4:5]
	s_ashr_i32 s3, ttmp9, 31
	s_ashr_i32 s4, s11, 31
	s_mul_i32 s20, ttmp9, 0x78
	s_mov_b32 s8, exec_lo
	v_cmpx_gt_u32_e32 60, v0
	s_cbranch_execz .LBB212_5
; %bb.4:
	s_load_b64 s[12:13], s[0:1], 0x18
	s_wait_kmcnt 0x0
	s_mul_i32 s14, s16, s19
	s_ashr_i32 s21, s20, 31
	s_ashr_i32 s15, s14, 31
	v_lshlrev_b32_e32 v2, 3, v0
	s_lshl_b64 s[14:15], s[14:15], 2
	v_and_b32_e32 v4, 0xff8, v5
	s_delay_alu instid0(VALU_DEP_1) | instskip(SKIP_2) | instid1(SALU_CYCLE_1)
	v_mad_u32_u24 v4, 0xf0, v1, v4
	s_add_nc_u64 s[12:13], s[12:13], s[14:15]
	s_lshl_b64 s[14:15], s[20:21], 2
	s_add_nc_u64 s[12:13], s[12:13], s[14:15]
	global_load_b64 v[2:3], v2, s[12:13]
	s_wait_loadcnt 0x0
	ds_store_b64 v4, v[2:3]
.LBB212_5:
	s_or_b32 exec_lo, exec_lo, s8
	s_load_b128 s[12:15], s[0:1], 0x78
	s_mul_i32 s8, s5, s10
	s_xor_b32 s3, s3, s4
	s_sub_co_i32 s2, s2, s8
	s_add_co_i32 s4, s5, 1
	s_wait_alu 0xfffe
	s_sub_co_i32 s8, s2, s10
	s_cmp_ge_u32 s2, s10
                                        ; implicit-def: $sgpr21
	s_cselect_b32 s4, s4, s5
	s_cselect_b32 s2, s8, s2
	s_add_co_i32 s5, s4, 1
	s_wait_alu 0xfffe
	s_cmp_ge_u32 s2, s10
	s_load_b32 s8, s[0:1], 0x88
	s_cselect_b32 s2, s5, s4
	s_add_co_i32 s9, s34, -1
	s_wait_alu 0xfffe
	s_xor_b32 s2, s2, s3
	s_mov_b32 s10, -1
	s_wait_alu 0xfffe
	s_sub_co_i32 s28, s2, s3
	s_wait_dscnt 0x0
	s_barrier_signal -1
	s_wait_kmcnt 0x0
	s_abs_i32 s16, s15
	s_barrier_wait -1
	s_cvt_f32_u32 s4, s16
	global_inv scope:SCOPE_SE
	v_rcp_iflag_f32_e32 v2, s4
	s_delay_alu instid0(TRANS32_DEP_1) | instskip(SKIP_2) | instid1(SALU_CYCLE_2)
	v_readfirstlane_b32 s4, v2
	s_mul_f32 s2, s4, 0x4f7ffffe
	s_wait_alu 0xfffe
	s_cvt_u32_f32 s4, s2
	s_sub_co_i32 s2, 0, s16
	s_wait_alu 0xfffe
	s_delay_alu instid0(SALU_CYCLE_1)
	s_mul_i32 s3, s2, s4
	s_abs_i32 s2, s9
	s_wait_alu 0xfffe
	s_mul_hi_u32 s5, s4, s3
	s_mov_b32 s3, 0
	s_wait_alu 0xfffe
	s_add_co_i32 s22, s4, s5
	s_cmp_lt_i32 s8, 0
	s_mov_b32 s23, s3
	s_cbranch_scc0 .LBB212_7
; %bb.6:
	s_mul_i32 s4, s12, s6
	s_mov_b32 s10, s3
	s_wait_alu 0xfffe
	s_add_co_i32 s4, s28, s4
	s_wait_alu 0xfffe
	s_mul_i32 s4, s4, s8
	s_wait_alu 0xfffe
	s_sub_co_i32 s21, 1, s4
.LBB212_7:
	s_mul_u64 s[4:5], s[2:3], s[22:23]
	s_ashr_i32 s3, s9, 31
	s_and_not1_b32 vcc_lo, exec_lo, s10
	s_ashr_i32 s15, s15, 31
	s_cbranch_vccnz .LBB212_9
; %bb.8:
	s_mul_i32 s4, s35, s12
	s_wait_alu 0xfffe
	s_add_co_i32 s4, s4, ttmp9
	s_wait_alu 0xfffe
	s_mul_i32 s4, s4, s8
	s_wait_alu 0xfffe
	s_add_co_i32 s21, s4, 1
.LBB212_9:
	s_clause 0x3
	s_load_b32 s4, s[0:1], 0x48
	s_load_b64 s[24:25], s[0:1], 0x38
	s_load_b32 s12, s[0:1], 0x98
	s_load_b128 s[8:11], s[0:1], 0x68
	s_mul_i32 s6, s5, s16
	s_xor_b32 s3, s3, s15
	s_sub_co_i32 s2, s2, s6
	s_add_co_i32 s23, s5, 1
	v_lshrrev_b32_e32 v11, 5, v0
	v_mbcnt_lo_u32_b32 v7, -1, 0
	s_mul_i32 s28, s28, s18
	s_delay_alu instid0(VALU_DEP_2)
	v_lshl_add_u32 v12, v11, 4, s36
	s_wait_kmcnt 0x0
	s_mul_i32 s26, s4, s19
	s_wait_alu 0xfffe
	s_sub_co_i32 s4, s2, s16
	s_ashr_i32 s27, s26, 31
	s_cmp_ge_u32 s2, s16
	s_cselect_b32 s5, s23, s5
	s_wait_alu 0xfffe
	s_cselect_b32 s2, s4, s2
	s_add_co_i32 s4, s5, 1
	s_wait_alu 0xfffe
	s_cmp_ge_u32 s2, s16
	s_cselect_b32 s2, s4, s5
	s_add_co_i32 s4, s34, 15
	s_lshl_b32 s39, s33, 5
	s_wait_alu 0xfffe
	s_ashr_i32 s5, s4, 31
	v_or_b32_e32 v13, s39, v11
	s_wait_alu 0xfffe
	s_lshr_b32 s5, s5, 28
	v_mov_b32_e32 v9, 0xff7fffff
	s_wait_alu 0xfffe
	s_add_co_i32 s4, s4, s5
	s_add_co_i32 s5, s39, 32
	s_wait_alu 0xfffe
	s_ashr_i32 s37, s4, 4
	s_xor_b32 s4, s2, s3
	s_wait_alu 0xfffe
	s_min_i32 s23, s5, s37
	v_lshlrev_b32_e32 v6, 2, v13
	v_cmp_gt_i32_e64 s2, s23, v13
	s_sub_co_i32 s38, s4, s3
	s_and_saveexec_b32 s6, s2
	s_cbranch_execz .LBB212_21
; %bb.10:
	s_wait_alu 0xfffe
	s_sub_co_i32 s18, s38, s13
	s_ashr_i32 s29, s28, 31
	s_cmp_neq_f32 s30, 0
	s_load_b64 s[4:5], s[0:1], 0x20
	v_bfe_u32 v8, v0, 1, 4
	v_lshlrev_b32_e32 v3, 1, v1
	s_cselect_b32 vcc_lo, -1, 0
	s_abs_i32 s31, s14
	v_mul_u32_u24_e32 v10, 0xf0, v1
	s_cvt_f32_u32 s3, s31
	v_dual_mov_b32 v17, 0xff7fffff :: v_dual_lshlrev_b32 v4, 2, v8
	s_lshl_b64 s[42:43], s[26:27], 2
	s_wait_alu 0xfffe
	v_rcp_iflag_f32_e32 v2, s3
	v_cmp_eq_u32_e64 s3, 0, v1
	v_lshlrev_b32_e32 v1, 4, v8
	v_subrev_nc_u32_e32 v9, s34, v8
	v_lshl_or_b32 v16, v11, 6, v4
	s_add_nc_u64 s[42:43], s[24:25], s[42:43]
	s_sub_co_i32 s44, 0, s31
	v_lshl_add_u32 v14, v11, 4, s36
	v_add_nc_u32_e32 v15, 1, v9
	v_dual_mov_b32 v19, v13 :: v_dual_add_nc_u32 v16, 0x200, v16
	v_readfirstlane_b32 s41, v2
	s_wait_kmcnt 0x0
	s_add_nc_u64 s[4:5], s[4:5], s[28:29]
	v_xor_b32_e32 v18, 1, v7
	s_wait_alu 0xfffe
	v_add_co_u32 v1, s4, s4, v1
	s_mul_f32 s29, s41, 0x4f7ffffe
	s_wait_alu 0xf1ff
	v_add_co_ci_u32_e64 v2, null, s5, 0, s4
	v_add_co_u32 v1, s4, v1, v3
	s_cvt_u32_f32 s5, s29
	s_wait_alu 0xf1ff
	v_add_co_ci_u32_e64 v2, null, 0, v2, s4
	v_add_co_u32 v3, s4, s42, v6
	s_wait_alu 0xfffe
	s_mul_i32 s44, s44, s5
	v_add_co_ci_u32_e64 v4, null, s43, 0, s4
	v_mov_b32_e32 v9, 0xff7fffff
	s_mul_hi_u32 s4, s5, s44
	s_mov_b32 s40, 0
	s_mov_b32 s29, s17
	s_wait_alu 0xfffe
	s_add_co_i32 s41, s5, s4
	s_branch .LBB212_13
.LBB212_11:                             ;   in Loop: Header=BB212_13 Depth=1
	s_wait_alu 0xfffe
	s_or_b32 exec_lo, exec_lo, s42
.LBB212_12:                             ;   in Loop: Header=BB212_13 Depth=1
	s_wait_alu 0xfffe
	s_or_b32 exec_lo, exec_lo, s5
	v_add_nc_u32_e32 v19, 4, v19
	v_add_co_u32 v3, s5, v3, 16
	s_wait_alu 0xf1ff
	v_add_co_ci_u32_e64 v4, null, 0, v4, s5
	s_delay_alu instid0(VALU_DEP_3)
	v_cmp_le_i32_e64 s4, s23, v19
	v_add_nc_u32_e32 v14, 64, v14
	v_add_nc_u32_e32 v16, 0x100, v16
	s_or_b32 s40, s4, s40
	s_wait_alu 0xfffe
	s_and_not1_b32 exec_lo, exec_lo, s40
	s_cbranch_execz .LBB212_20
.LBB212_13:                             ; =>This Inner Loop Header: Depth=1
	v_sub_nc_u32_e32 v20, 0, v14
	s_delay_alu instid0(VALU_DEP_1) | instskip(SKIP_1) | instid1(VALU_DEP_1)
	v_max_i32_e32 v20, v14, v20
	s_wait_dscnt 0x0
	v_mul_hi_u32 v21, v20, s22
	s_delay_alu instid0(VALU_DEP_1) | instskip(NEXT) | instid1(VALU_DEP_1)
	v_mul_lo_u32 v22, v21, s16
	v_sub_nc_u32_e32 v20, v20, v22
	v_add_nc_u32_e32 v22, 1, v21
	s_delay_alu instid0(VALU_DEP_2) | instskip(SKIP_2) | instid1(VALU_DEP_1)
	v_subrev_nc_u32_e32 v23, s16, v20
	v_cmp_le_u32_e64 s4, s16, v20
	s_wait_alu 0xf1ff
	v_cndmask_b32_e64 v21, v21, v22, s4
	s_delay_alu instid0(VALU_DEP_3) | instskip(SKIP_1) | instid1(VALU_DEP_3)
	v_cndmask_b32_e64 v20, v20, v23, s4
	v_ashrrev_i32_e32 v22, 31, v14
	v_add_nc_u32_e32 v23, 1, v21
	s_delay_alu instid0(VALU_DEP_3) | instskip(NEXT) | instid1(VALU_DEP_3)
	v_cmp_le_u32_e64 s4, s16, v20
	v_xor_b32_e32 v22, s15, v22
	s_wait_alu 0xf1ff
	s_delay_alu instid0(VALU_DEP_2) | instskip(NEXT) | instid1(VALU_DEP_1)
	v_cndmask_b32_e64 v20, v21, v23, s4
	v_xor_b32_e32 v20, v20, v22
	s_delay_alu instid0(VALU_DEP_1) | instskip(NEXT) | instid1(VALU_DEP_1)
	v_sub_nc_u32_e32 v20, v20, v22
	v_add_nc_u32_e32 v21, s21, v20
	v_cmp_ge_i32_e64 s5, s18, v20
	s_delay_alu instid0(VALU_DEP_2) | instskip(NEXT) | instid1(VALU_DEP_1)
	v_sub_nc_u32_e32 v22, 0, v21
	v_max_i32_e32 v22, v21, v22
	v_ashrrev_i32_e32 v21, 31, v21
	s_delay_alu instid0(VALU_DEP_2) | instskip(NEXT) | instid1(VALU_DEP_1)
	v_mul_hi_u32 v23, v22, s41
	v_mul_lo_u32 v23, v23, s31
	s_delay_alu instid0(VALU_DEP_1) | instskip(NEXT) | instid1(VALU_DEP_1)
	v_sub_nc_u32_e32 v22, v22, v23
	v_subrev_nc_u32_e32 v23, s31, v22
	v_cmp_le_u32_e64 s4, s31, v22
	s_wait_alu 0xf1ff
	s_delay_alu instid0(VALU_DEP_1) | instskip(NEXT) | instid1(VALU_DEP_1)
	v_cndmask_b32_e64 v22, v22, v23, s4
	v_subrev_nc_u32_e32 v23, s31, v22
	v_cmp_le_u32_e64 s4, s31, v22
	s_wait_alu 0xf1ff
	s_delay_alu instid0(VALU_DEP_1) | instskip(NEXT) | instid1(VALU_DEP_1)
	v_cndmask_b32_e64 v22, v22, v23, s4
	v_xor_b32_e32 v22, v22, v21
	s_delay_alu instid0(VALU_DEP_1) | instskip(NEXT) | instid1(VALU_DEP_1)
	v_sub_nc_u32_e32 v21, v22, v21
	v_cmp_ne_u32_e64 s4, 0, v21
	s_and_b32 s4, s4, s5
	s_wait_alu 0xfffe
	s_and_saveexec_b32 s5, s4
	s_wait_alu 0xfffe
	s_xor_b32 s4, exec_lo, s5
	s_cbranch_execz .LBB212_17
; %bb.14:                               ;   in Loop: Header=BB212_13 Depth=1
	s_and_saveexec_b32 s5, s3
; %bb.15:                               ;   in Loop: Header=BB212_13 Depth=1
	ds_store_b32 v16, v17
; %bb.16:                               ;   in Loop: Header=BB212_13 Depth=1
	s_wait_alu 0xfffe
	s_or_b32 exec_lo, exec_lo, s5
.LBB212_17:                             ;   in Loop: Header=BB212_13 Depth=1
	s_wait_alu 0xfffe
	s_and_not1_saveexec_b32 s5, s4
	s_cbranch_execz .LBB212_12
; %bb.18:                               ;   in Loop: Header=BB212_13 Depth=1
	global_load_b32 v20, v[3:4], off
	s_wait_loadcnt 0x0
	v_mad_co_i64_i32 v[49:50], null, v20, s29, v[1:2]
	s_clause 0x1d
	global_load_u16 v97, v[49:50], off offset:4
	global_load_u16 v47, v[49:50], off offset:8
	;; [unrolled: 1-line block ×7, first 2 shown]
	global_load_u16 v48, v[49:50], off
	global_load_u16 v42, v[49:50], off offset:512
	global_load_u16 v40, v[49:50], off offset:516
	;; [unrolled: 1-line block ×22, first 2 shown]
	s_load_b32 s4, s[8:9], 0x0
	ds_load_b128 v[49:52], v10
	ds_load_b128 v[53:56], v10 offset:16
	ds_load_b128 v[57:60], v10 offset:32
	ds_load_b128 v[61:64], v10 offset:48
	ds_load_b128 v[65:68], v10 offset:64
	ds_load_b128 v[69:72], v10 offset:80
	ds_load_b128 v[73:76], v10 offset:96
	ds_load_b128 v[77:80], v10 offset:112
	ds_load_b128 v[81:84], v10 offset:128
	ds_load_b128 v[85:88], v10 offset:144
	ds_load_b128 v[89:92], v10 offset:160
	ds_load_b128 v[93:96], v10 offset:176
	s_wait_loadcnt 0x1d
	v_cvt_pk_f32_fp8_e32 v[109:110], v97
	ds_load_b128 v[97:100], v10 offset:192
	ds_load_b128 v[101:104], v10 offset:208
	;; [unrolled: 1-line block ×3, first 2 shown]
	s_wait_kmcnt 0x0
	v_dual_mul_f32 v109, s4, v109 :: v_dual_mul_f32 v110, s4, v110
	s_wait_loadcnt 0x16
	v_cvt_pk_f32_fp8_e32 v[111:112], v48
	v_cvt_pk_f32_fp8_e32 v[47:48], v47
	s_wait_dscnt 0xe
	v_dual_mul_f32 v109, v51, v109 :: v_dual_mul_f32 v110, v52, v110
	s_delay_alu instid0(VALU_DEP_3) | instskip(SKIP_2) | instid1(VALU_DEP_3)
	v_dual_mul_f32 v112, s4, v112 :: v_dual_mul_f32 v111, s4, v111
	v_cvt_pk_f32_fp8_e32 v[51:52], v46
	v_dual_mul_f32 v47, s4, v47 :: v_dual_mul_f32 v48, s4, v48
	v_dual_fmac_f32 v110, v50, v112 :: v_dual_fmac_f32 v109, v49, v111
	v_cvt_pk_f32_fp8_e32 v[45:46], v45
	s_delay_alu instid0(VALU_DEP_4) | instskip(SKIP_1) | instid1(VALU_DEP_3)
	v_dual_mul_f32 v49, s4, v52 :: v_dual_mul_f32 v50, s4, v51
	s_wait_dscnt 0xd
	v_dual_fmac_f32 v110, v54, v48 :: v_dual_fmac_f32 v109, v53, v47
	v_cvt_pk_f32_fp8_e32 v[47:48], v44
	v_dual_mul_f32 v45, s4, v45 :: v_dual_mul_f32 v46, s4, v46
	s_delay_alu instid0(VALU_DEP_3) | instskip(SKIP_1) | instid1(VALU_DEP_4)
	v_dual_fmac_f32 v110, v56, v49 :: v_dual_fmac_f32 v109, v55, v50
	v_cvt_pk_f32_fp8_e32 v[43:44], v43
	v_dual_mul_f32 v48, s4, v48 :: v_dual_mul_f32 v47, s4, v47
	s_wait_dscnt 0xc
	s_delay_alu instid0(VALU_DEP_3) | instskip(SKIP_2) | instid1(VALU_DEP_3)
	v_dual_fmac_f32 v110, v58, v46 :: v_dual_fmac_f32 v109, v57, v45
	v_cvt_pk_f32_fp8_e32 v[45:46], v41
	v_dual_mul_f32 v43, s4, v43 :: v_dual_mul_f32 v44, s4, v44
	v_dual_fmac_f32 v110, v60, v48 :: v_dual_fmac_f32 v109, v59, v47
	s_wait_loadcnt 0x15
	v_cvt_pk_f32_fp8_e32 v[41:42], v42
	v_dual_mul_f32 v46, s4, v46 :: v_dual_mul_f32 v45, s4, v45
	s_wait_dscnt 0xb
	v_dual_fmac_f32 v110, v62, v44 :: v_dual_fmac_f32 v109, v61, v43
	s_wait_loadcnt 0x14
	v_cvt_pk_f32_fp8_e32 v[43:44], v40
	v_dual_mul_f32 v42, s4, v42 :: v_dual_mul_f32 v41, s4, v41
	s_delay_alu instid0(VALU_DEP_3)
	v_dual_fmac_f32 v110, v64, v46 :: v_dual_fmac_f32 v109, v63, v45
	s_wait_loadcnt 0x13
	v_cvt_pk_f32_fp8_e32 v[39:40], v39
	v_dual_mul_f32 v44, s4, v44 :: v_dual_mul_f32 v43, s4, v43
	s_wait_dscnt 0xa
	v_dual_fmac_f32 v110, v66, v42 :: v_dual_fmac_f32 v109, v65, v41
	s_wait_loadcnt 0x12
	v_cvt_pk_f32_fp8_e32 v[41:42], v38
	v_dual_mul_f32 v40, s4, v40 :: v_dual_mul_f32 v39, s4, v39
	s_delay_alu instid0(VALU_DEP_3)
	;; [unrolled: 10-line block ×10, first 2 shown]
	v_dual_fmac_f32 v110, v28, v100 :: v_dual_fmac_f32 v109, v27, v99
	s_wait_loadcnt 0x1
	v_cvt_pk_f32_fp8_e32 v[21:22], v21
	v_dual_mul_f32 v26, s4, v26 :: v_dual_mul_f32 v25, s4, v25
	s_wait_dscnt 0x1
	v_dual_fmac_f32 v110, v24, v102 :: v_dual_fmac_f32 v109, v23, v101
	s_wait_loadcnt 0x0
	v_cvt_pk_f32_fp8_e32 v[23:24], v20
	v_dual_mul_f32 v20, s4, v22 :: v_dual_mul_f32 v21, s4, v21
	s_delay_alu instid0(VALU_DEP_3) | instskip(NEXT) | instid1(VALU_DEP_3)
	v_dual_fmac_f32 v110, v26, v104 :: v_dual_fmac_f32 v109, v25, v103
	v_dual_mul_f32 v22, s4, v24 :: v_dual_mul_f32 v23, s4, v23
	v_cmp_gt_i32_e64 s4, 32, v18
	s_wait_dscnt 0x0
	s_delay_alu instid0(VALU_DEP_3) | instskip(SKIP_1) | instid1(VALU_DEP_2)
	v_dual_fmac_f32 v110, v20, v106 :: v_dual_fmac_f32 v109, v21, v105
	s_wait_alu 0xf1ff
	v_cndmask_b32_e64 v20, v7, v18, s4
	s_delay_alu instid0(VALU_DEP_2) | instskip(NEXT) | instid1(VALU_DEP_1)
	v_dual_fmac_f32 v110, v22, v108 :: v_dual_fmac_f32 v109, v23, v107
	v_dual_add_f32 v20, v109, v110 :: v_dual_lshlrev_b32 v21, 2, v20
	ds_bpermute_b32 v21, v21, v20
	s_and_saveexec_b32 s42, s3
	s_cbranch_execz .LBB212_11
; %bb.19:                               ;   in Loop: Header=BB212_13 Depth=1
	s_wait_dscnt 0x0
	v_add_f32_e32 v20, v20, v21
	v_add_nc_u32_e32 v22, v15, v14
	s_delay_alu instid0(VALU_DEP_1) | instskip(NEXT) | instid1(VALU_DEP_1)
	v_cvt_f32_i32_e32 v22, v22
	v_mul_f32_e32 v22, s30, v22
	s_delay_alu instid0(VALU_DEP_1) | instskip(NEXT) | instid1(VALU_DEP_1)
	v_dual_cndmask_b32 v21, 0, v22 :: v_dual_max_num_f32 v22, v9, v9
	v_dual_fmac_f32 v21, s7, v20 :: v_dual_add_nc_u32 v20, v8, v14
	s_delay_alu instid0(VALU_DEP_1) | instskip(NEXT) | instid1(VALU_DEP_2)
	v_max_num_f32_e32 v22, v22, v21
	v_cmp_gt_i32_e64 s4, s34, v20
	s_wait_alu 0xf1ff
	s_delay_alu instid0(VALU_DEP_1) | instskip(NEXT) | instid1(VALU_DEP_3)
	v_cndmask_b32_e64 v20, 0, v21, s4
	v_cndmask_b32_e64 v9, v9, v22, s4
	ds_store_b32 v16, v20
	s_branch .LBB212_11
.LBB212_20:
	s_or_b32 exec_lo, exec_lo, s40
.LBB212_21:
	s_delay_alu instid0(SALU_CYCLE_1)
	s_or_b32 exec_lo, exec_lo, s6
	v_xor_b32_e32 v1, 16, v7
	v_xor_b32_e32 v3, 8, v7
	;; [unrolled: 1-line block ×3, first 2 shown]
	s_clause 0x2
	s_load_b128 s[4:7], s[0:1], 0x0
	s_load_b64 s[8:9], s[0:1], 0x10
	s_load_b64 s[30:31], s[0:1], 0x28
	v_and_b32_e32 v14, 31, v0
	v_cmp_gt_i32_e32 vcc_lo, 32, v1
	s_wait_alu 0xfffd
	v_cndmask_b32_e32 v1, v7, v1, vcc_lo
	v_cmp_gt_i32_e32 vcc_lo, 32, v3
	s_wait_alu 0xfffd
	s_delay_alu instid0(VALU_DEP_2)
	v_dual_cndmask_b32 v3, v7, v3 :: v_dual_lshlrev_b32 v2, 2, v1
	v_max_num_f32_e32 v4, v9, v9
	v_cmp_gt_i32_e32 vcc_lo, 32, v8
	ds_bpermute_b32 v1, v2, v9
	v_lshlrev_b32_e32 v3, 2, v3
	v_xor_b32_e32 v9, 2, v7
	s_wait_alu 0xfffd
	v_cndmask_b32_e32 v8, v7, v8, vcc_lo
	s_delay_alu instid0(VALU_DEP_2) | instskip(SKIP_1) | instid1(VALU_DEP_2)
	v_cmp_gt_i32_e32 vcc_lo, 32, v9
	s_wait_alu 0xfffd
	v_dual_cndmask_b32 v9, v7, v9 :: v_dual_lshlrev_b32 v8, 2, v8
	v_cmp_eq_u32_e32 vcc_lo, 0, v14
	s_delay_alu instid0(VALU_DEP_2) | instskip(SKIP_3) | instid1(VALU_DEP_1)
	v_lshlrev_b32_e32 v15, 2, v9
	v_lshlrev_b32_e32 v9, 2, v11
	s_wait_dscnt 0x0
	v_max_num_f32_e32 v1, v1, v1
	v_max_num_f32_e32 v1, v4, v1
	ds_bpermute_b32 v4, v3, v1
	s_wait_dscnt 0x0
	v_max_num_f32_e32 v4, v4, v4
	s_delay_alu instid0(VALU_DEP_1) | instskip(SKIP_3) | instid1(VALU_DEP_1)
	v_max_num_f32_e32 v1, v1, v4
	ds_bpermute_b32 v4, v8, v1
	s_wait_dscnt 0x0
	v_max_num_f32_e32 v4, v4, v4
	v_max_num_f32_e32 v1, v1, v4
	ds_bpermute_b32 v4, v15, v1
	s_and_saveexec_b32 s0, vcc_lo
	s_cbranch_execz .LBB212_23
; %bb.22:
	s_wait_dscnt 0x0
	v_dual_max_num_f32 v4, v4, v4 :: v_dual_max_num_f32 v1, v1, v1
	s_delay_alu instid0(VALU_DEP_1)
	v_max_num_f32_e32 v1, v1, v4
	ds_store_b32 v9, v1 offset:480
.LBB212_23:
	s_or_b32 exec_lo, exec_lo, s0
	v_cmp_gt_u32_e64 s0, 4, v14
	v_dual_mov_b32 v1, 0xff7fffff :: v_dual_lshlrev_b32 v10, 2, v14
	s_wait_loadcnt_dscnt 0x0
	s_barrier_signal -1
	s_barrier_wait -1
	global_inv scope:SCOPE_SE
	s_and_saveexec_b32 s1, s0
; %bb.24:
	ds_load_b32 v1, v10 offset:480
; %bb.25:
	s_or_b32 exec_lo, exec_lo, s1
	s_wait_dscnt 0x0
	ds_bpermute_b32 v4, v15, v1
	v_xor_b32_e32 v16, 1, v7
	v_max_num_f32_e32 v1, v1, v1
	s_delay_alu instid0(VALU_DEP_2) | instskip(NEXT) | instid1(VALU_DEP_1)
	v_cmp_gt_i32_e64 s1, 32, v16
	v_cndmask_b32_e64 v7, v7, v16, s1
	s_sub_co_i32 s1, s23, s39
	s_wait_alu 0xfffe
	s_lshl_b32 s1, s1, 4
	s_wait_alu 0xfffe
	s_add_co_i32 s1, s1, s36
	s_wait_alu 0xfffe
	s_min_i32 s1, s1, s34
	s_wait_alu 0xfffe
	s_sub_co_i32 s18, s1, s36
	s_wait_dscnt 0x0
	v_max_num_f32_e32 v4, v4, v4
	v_lshlrev_b32_e32 v16, 2, v7
	s_wait_alu 0xfffe
	v_cmp_gt_i32_e64 s1, s18, v0
	v_mov_b32_e32 v7, 0
	v_max_num_f32_e32 v1, v1, v4
	ds_bpermute_b32 v4, v16, v1
	s_wait_dscnt 0x0
	v_max_num_f32_e32 v4, v4, v4
	s_delay_alu instid0(VALU_DEP_1)
	v_max_num_f32_e32 v1, v1, v4
	v_lshl_add_u32 v4, v0, 2, 0x200
	ds_bpermute_b32 v1, v7, v1
	s_and_saveexec_b32 s29, s1
	s_cbranch_execz .LBB212_29
; %bb.26:
	v_lshl_add_u32 v17, v0, 2, 0x200
	v_dual_mov_b32 v7, 0 :: v_dual_mov_b32 v18, v0
	s_mov_b32 s36, 0
.LBB212_27:                             ; =>This Inner Loop Header: Depth=1
	ds_load_b32 v19, v17
	v_add_nc_u32_e32 v18, 0x80, v18
	s_delay_alu instid0(VALU_DEP_1) | instskip(SKIP_4) | instid1(VALU_DEP_1)
	v_cmp_le_i32_e64 s3, s18, v18
	s_wait_alu 0xfffe
	s_or_b32 s36, s3, s36
	s_wait_dscnt 0x0
	v_sub_f32_e32 v19, v19, v1
	v_mul_f32_e32 v19, 0x3fb8aa3b, v19
	s_delay_alu instid0(VALU_DEP_1)
	v_exp_f32_e32 v19, v19
	ds_store_b32 v17, v19
	v_add_f32_e32 v7, v7, v19
	v_add_nc_u32_e32 v17, 0x200, v17
	s_wait_alu 0xfffe
	s_and_not1_b32 exec_lo, exec_lo, s36
	s_cbranch_execnz .LBB212_27
; %bb.28:
	s_or_b32 exec_lo, exec_lo, s36
.LBB212_29:
	s_wait_alu 0xfffe
	s_or_b32 exec_lo, exec_lo, s29
	ds_bpermute_b32 v2, v2, v7
	s_wait_dscnt 0x0
	v_add_f32_e32 v2, v7, v2
	ds_bpermute_b32 v3, v3, v2
	s_wait_dscnt 0x0
	v_add_f32_e32 v2, v2, v3
	;; [unrolled: 3-line block ×5, first 2 shown]
	s_and_saveexec_b32 s3, vcc_lo
; %bb.30:
	ds_store_b32 v9, v2 offset:496
; %bb.31:
	s_wait_alu 0xfffe
	s_or_b32 exec_lo, exec_lo, s3
	s_wait_loadcnt_dscnt 0x0
	s_barrier_signal -1
	s_barrier_wait -1
	global_inv scope:SCOPE_SE
	s_and_saveexec_b32 s3, s0
; %bb.32:
	ds_load_b32 v2, v10 offset:496
; %bb.33:
	s_wait_alu 0xfffe
	s_or_b32 exec_lo, exec_lo, s3
	s_wait_dscnt 0x0
	ds_bpermute_b32 v3, v15, v2
	s_wait_dscnt 0x0
	v_add_f32_e32 v2, v2, v3
	ds_bpermute_b32 v3, v16, v2
	s_wait_dscnt 0x0
	v_dual_add_f32 v2, v2, v3 :: v_dual_mov_b32 v3, 0
	ds_bpermute_b32 v2, v3, v2
	s_and_saveexec_b32 s0, s1
	s_cbranch_execz .LBB212_36
; %bb.34:
	s_wait_dscnt 0x0
	v_add_f32_e32 v3, 0x358637bd, v2
	s_mov_b32 s1, 0
	s_delay_alu instid0(VALU_DEP_1) | instskip(NEXT) | instid1(VALU_DEP_1)
	v_div_scale_f32 v7, null, v3, v3, 1.0
	v_rcp_f32_e32 v8, v7
	s_delay_alu instid0(TRANS32_DEP_1) | instskip(NEXT) | instid1(VALU_DEP_1)
	v_fma_f32 v9, -v7, v8, 1.0
	v_fmac_f32_e32 v8, v9, v8
	v_div_scale_f32 v10, vcc_lo, 1.0, v3, 1.0
	s_delay_alu instid0(VALU_DEP_1) | instskip(NEXT) | instid1(VALU_DEP_1)
	v_mul_f32_e32 v9, v10, v8
	v_fma_f32 v17, -v7, v9, v10
	s_delay_alu instid0(VALU_DEP_1) | instskip(NEXT) | instid1(VALU_DEP_1)
	v_fmac_f32_e32 v9, v17, v8
	v_fma_f32 v7, -v7, v9, v10
	s_wait_alu 0xfffd
	s_delay_alu instid0(VALU_DEP_1) | instskip(NEXT) | instid1(VALU_DEP_1)
	v_div_fmas_f32 v7, v7, v8, v9
	v_div_fixup_f32 v3, v7, v3, 1.0
	v_mov_b32_e32 v7, v0
.LBB212_35:                             ; =>This Inner Loop Header: Depth=1
	ds_load_b32 v8, v4
	s_wait_dscnt 0x0
	v_dual_mul_f32 v8, v3, v8 :: v_dual_add_nc_u32 v7, 0x80, v7
	s_delay_alu instid0(VALU_DEP_1)
	v_cmp_le_i32_e32 vcc_lo, s18, v7
	ds_store_b32 v4, v8
	v_add_nc_u32_e32 v4, 0x200, v4
	s_wait_alu 0xfffe
	s_or_b32 s1, vcc_lo, s1
	s_wait_alu 0xfffe
	s_and_not1_b32 exec_lo, exec_lo, s1
	s_cbranch_execnz .LBB212_35
.LBB212_36:
	s_wait_alu 0xfffe
	s_or_b32 exec_lo, exec_lo, s0
	s_mul_i32 s0, s12, s19
	s_wait_loadcnt_dscnt 0x0
	s_wait_alu 0xfffe
	s_mul_i32 s18, s0, s35
	s_mov_b32 s0, exec_lo
	s_barrier_signal -1
	s_barrier_wait -1
	global_inv scope:SCOPE_SE
	v_cmpx_eq_u32_e32 0, v0
	s_cbranch_execz .LBB212_38
; %bb.37:
	s_wait_alu 0xfffe
	s_ashr_i32 s19, s18, 31
	s_mul_i32 s40, s12, ttmp9
	s_lshl_b32 s1, s33, 2
	s_wait_alu 0xfffe
	s_lshl_b64 s[42:43], s[18:19], 2
	s_ashr_i32 s41, s40, 31
	v_mov_b32_e32 v3, s1
	s_wait_kmcnt 0x0
	s_wait_alu 0xfffe
	s_add_nc_u64 s[6:7], s[6:7], s[42:43]
	s_lshl_b64 s[40:41], s[40:41], 2
	s_add_nc_u64 s[4:5], s[4:5], s[42:43]
	s_wait_alu 0xfffe
	s_add_nc_u64 s[6:7], s[6:7], s[40:41]
	s_add_nc_u64 s[4:5], s[4:5], s[40:41]
	s_clause 0x1
	global_store_b32 v3, v1, s[6:7]
	global_store_b32 v3, v2, s[4:5]
.LBB212_38:
	s_wait_alu 0xfffe
	s_or_b32 exec_lo, exec_lo, s0
	v_dual_mov_b32 v31, 0 :: v_dual_mov_b32 v32, 0
	v_dual_mov_b32 v30, 0 :: v_dual_and_b32 v17, 3, v0
	v_dual_mov_b32 v29, 0 :: v_dual_mov_b32 v28, 0
	v_dual_mov_b32 v27, 0 :: v_dual_mov_b32 v26, 0
	;; [unrolled: 1-line block ×6, first 2 shown]
	s_and_saveexec_b32 s1, s2
	s_cbranch_execz .LBB212_74
; %bb.39:
	s_abs_i32 s2, s14
	v_dual_mov_b32 v20, 0 :: v_dual_lshlrev_b32 v3, 4, v17
	s_wait_alu 0xfffe
	s_cvt_f32_u32 s0, s2
	s_wait_kmcnt 0x0
	s_lshl_b64 s[6:7], s[26:27], 2
	v_dual_mov_b32 v19, 0 :: v_dual_and_b32 v2, 0x7c, v5
	s_wait_alu 0xfffe
	v_rcp_iflag_f32_e32 v1, s0
	s_ashr_i32 s29, s28, 31
	s_add_nc_u64 s[6:7], s[24:25], s[6:7]
	v_dual_mov_b32 v18, 0 :: v_dual_and_b32 v33, 12, v5
	s_wait_alu 0xfffe
	s_add_nc_u64 s[26:27], s[30:31], s[28:29]
	v_add_co_u32 v5, s6, s6, v6
	s_sub_co_i32 s5, 0, s2
	v_add_co_ci_u32_e64 v6, null, s7, 0, s6
	s_delay_alu instid0(TRANS32_DEP_1)
	v_readfirstlane_b32 s0, v1
	v_lshl_or_b32 v1, v11, 6, v3
	v_add_co_u32 v7, s6, s26, v2
	s_wait_alu 0xf1ff
	v_add_co_ci_u32_e64 v8, null, s27, 0, s6
	s_mul_f32 s0, s0, 0x4f7ffffe
	v_dual_mov_b32 v21, 0 :: v_dual_add_nc_u32 v34, 0x200, v1
	v_dual_mov_b32 v22, 0 :: v_dual_mov_b32 v23, 0
	s_wait_alu 0xfffe
	s_cvt_u32_f32 s0, s0
	v_dual_mov_b32 v24, 0 :: v_dual_mov_b32 v25, 0
	v_dual_mov_b32 v26, 0 :: v_dual_mov_b32 v27, 0
	s_wait_alu 0xfffe
	s_mul_i32 s5, s5, s0
	v_dual_mov_b32 v28, 0 :: v_dual_mov_b32 v29, 0
	v_dual_mov_b32 v30, 0 :: v_dual_mov_b32 v31, 0
	v_mov_b32_e32 v32, 0
	s_wait_alu 0xfffe
	s_mul_hi_u32 s6, s0, s5
	s_sub_co_i32 s3, s38, s13
	s_mov_b32 s4, s17
	s_add_co_i32 s37, s37, -1
	s_mov_b32 s5, 0
	s_wait_alu 0xfffe
	s_add_co_i32 s6, s0, s6
	s_branch .LBB212_42
.LBB212_40:                             ;   in Loop: Header=BB212_42 Depth=1
	s_wait_alu 0xfffe
	s_or_b32 exec_lo, exec_lo, s0
	s_wait_dscnt 0x0
	v_mul_f32_e32 v51, v1, v92
	v_mul_f32_e32 v54, v1, v82
	;; [unrolled: 1-line block ×4, first 2 shown]
	s_delay_alu instid0(VALU_DEP_4) | instskip(NEXT) | instid1(VALU_DEP_4)
	v_dual_mul_f32 v46, v1, v46 :: v_dual_fmac_f32 v51, v2, v91
	v_fmac_f32_e32 v54, v2, v81
	s_delay_alu instid0(VALU_DEP_4) | instskip(NEXT) | instid1(VALU_DEP_3)
	v_dual_fmac_f32 v53, v2, v85 :: v_dual_mul_f32 v78, v1, v78
	v_dual_fmac_f32 v50, v2, v95 :: v_dual_fmac_f32 v51, v3, v90
	s_delay_alu instid0(VALU_DEP_2) | instskip(NEXT) | instid1(VALU_DEP_3)
	v_dual_mul_f32 v42, v1, v42 :: v_dual_fmac_f32 v53, v3, v84
	v_fmac_f32_e32 v78, v2, v77
	s_delay_alu instid0(VALU_DEP_3) | instskip(NEXT) | instid1(VALU_DEP_3)
	v_dual_fmac_f32 v50, v3, v94 :: v_dual_fmac_f32 v51, v4, v89
	v_dual_fmac_f32 v54, v3, v80 :: v_dual_fmac_f32 v53, v4, v83
	s_delay_alu instid0(VALU_DEP_3) | instskip(SKIP_1) | instid1(VALU_DEP_4)
	v_fmac_f32_e32 v78, v3, v76
	v_mul_f32_e32 v38, v1, v38
	v_dual_add_f32 v20, v20, v51 :: v_dual_mul_f32 v51, v1, v70
	s_delay_alu instid0(VALU_DEP_3) | instskip(SKIP_1) | instid1(VALU_DEP_3)
	v_dual_add_f32 v21, v21, v53 :: v_dual_fmac_f32 v78, v4, v75
	v_dual_fmac_f32 v50, v4, v93 :: v_dual_mul_f32 v53, v1, v66
	v_fmac_f32_e32 v51, v2, v69
	s_delay_alu instid0(VALU_DEP_3) | instskip(NEXT) | instid1(VALU_DEP_3)
	v_dual_fmac_f32 v46, v2, v45 :: v_dual_add_f32 v23, v23, v78
	v_dual_fmac_f32 v54, v4, v79 :: v_dual_add_f32 v19, v19, v50
	s_delay_alu instid0(VALU_DEP_3) | instskip(SKIP_1) | instid1(VALU_DEP_3)
	v_dual_mul_f32 v50, v1, v74 :: v_dual_fmac_f32 v51, v3, v68
	v_fmac_f32_e32 v53, v2, v65
	v_add_f32_e32 v22, v22, v54
	v_mul_f32_e32 v54, v1, v62
	s_delay_alu instid0(VALU_DEP_4) | instskip(NEXT) | instid1(VALU_DEP_4)
	v_dual_fmac_f32 v50, v2, v73 :: v_dual_fmac_f32 v51, v4, v67
	v_dual_mul_f32 v58, v1, v58 :: v_dual_fmac_f32 v53, v3, v64
	s_delay_alu instid0(VALU_DEP_3) | instskip(NEXT) | instid1(VALU_DEP_3)
	v_fmac_f32_e32 v54, v2, v61
	v_fmac_f32_e32 v50, v3, v72
	;; [unrolled: 1-line block ×3, first 2 shown]
	s_delay_alu instid0(VALU_DEP_4) | instskip(SKIP_1) | instid1(VALU_DEP_4)
	v_dual_fmac_f32 v58, v2, v57 :: v_dual_add_f32 v25, v25, v51
	v_fmac_f32_e32 v53, v4, v63
	v_fmac_f32_e32 v50, v4, v71
	v_fmac_f32_e32 v38, v2, v37
	v_fmac_f32_e32 v46, v3, v44
	v_fmac_f32_e32 v42, v3, v40
	s_delay_alu instid0(VALU_DEP_4) | instskip(SKIP_4) | instid1(VALU_DEP_4)
	v_add_f32_e32 v24, v24, v50
	v_mul_f32_e32 v50, v1, v52
	v_dual_mul_f32 v1, v1, v87 :: v_dual_fmac_f32 v54, v3, v60
	v_fmac_f32_e32 v38, v3, v36
	v_fmac_f32_e32 v46, v4, v43
	;; [unrolled: 1-line block ×3, first 2 shown]
	s_delay_alu instid0(VALU_DEP_4) | instskip(SKIP_2) | instid1(VALU_DEP_4)
	v_dual_fmac_f32 v1, v2, v86 :: v_dual_fmac_f32 v54, v4, v59
	v_fmac_f32_e32 v42, v4, v39
	v_fmac_f32_e32 v38, v4, v35
	;; [unrolled: 1-line block ×3, first 2 shown]
	s_delay_alu instid0(VALU_DEP_4) | instskip(SKIP_1) | instid1(VALU_DEP_4)
	v_fmac_f32_e32 v1, v3, v10
	v_fmac_f32_e32 v58, v3, v56
	v_dual_add_f32 v26, v26, v53 :: v_dual_add_f32 v31, v31, v38
	s_delay_alu instid0(VALU_DEP_4) | instskip(NEXT) | instid1(VALU_DEP_4)
	v_fmac_f32_e32 v50, v4, v47
	v_fmac_f32_e32 v1, v4, v9
	s_delay_alu instid0(VALU_DEP_4) | instskip(SKIP_1) | instid1(VALU_DEP_4)
	v_dual_fmac_f32 v58, v4, v55 :: v_dual_add_f32 v27, v27, v54
	v_add_f32_e32 v30, v30, v46
	v_add_f32_e32 v29, v29, v50
	;; [unrolled: 1-line block ×3, first 2 shown]
	s_delay_alu instid0(VALU_DEP_4)
	v_add_f32_e32 v28, v28, v58
	v_add_f32_e32 v18, v18, v1
.LBB212_41:                             ;   in Loop: Header=BB212_42 Depth=1
	s_wait_alu 0xfffe
	s_or_b32 exec_lo, exec_lo, s7
	v_add_nc_u32_e32 v13, 4, v13
	v_add_co_u32 v5, s0, v5, 16
	s_wait_alu 0xf1ff
	v_add_co_ci_u32_e64 v6, null, 0, v6, s0
	s_delay_alu instid0(VALU_DEP_3)
	v_cmp_le_i32_e32 vcc_lo, s23, v13
	v_add_nc_u32_e32 v12, 64, v12
	v_add_nc_u32_e32 v34, 0x100, v34
	s_or_b32 s5, vcc_lo, s5
	s_wait_alu 0xfffe
	s_and_not1_b32 exec_lo, exec_lo, s5
	s_cbranch_execz .LBB212_73
.LBB212_42:                             ; =>This Inner Loop Header: Depth=1
	v_sub_nc_u32_e32 v1, 0, v12
	s_delay_alu instid0(VALU_DEP_1) | instskip(NEXT) | instid1(VALU_DEP_1)
	v_max_i32_e32 v1, v12, v1
	v_mul_hi_u32 v2, v1, s22
	s_delay_alu instid0(VALU_DEP_1) | instskip(NEXT) | instid1(VALU_DEP_1)
	v_mul_lo_u32 v3, v2, s16
	v_sub_nc_u32_e32 v1, v1, v3
	v_add_nc_u32_e32 v3, 1, v2
	s_delay_alu instid0(VALU_DEP_2) | instskip(SKIP_2) | instid1(VALU_DEP_2)
	v_subrev_nc_u32_e32 v4, s16, v1
	v_cmp_le_u32_e32 vcc_lo, s16, v1
	s_wait_alu 0xfffd
	v_dual_cndmask_b32 v2, v2, v3 :: v_dual_cndmask_b32 v1, v1, v4
	v_ashrrev_i32_e32 v3, 31, v12
	s_delay_alu instid0(VALU_DEP_2) | instskip(NEXT) | instid1(VALU_DEP_3)
	v_add_nc_u32_e32 v4, 1, v2
	v_cmp_le_u32_e32 vcc_lo, s16, v1
	s_delay_alu instid0(VALU_DEP_3) | instskip(SKIP_1) | instid1(VALU_DEP_3)
	v_xor_b32_e32 v3, s15, v3
	s_wait_alu 0xfffd
	v_cndmask_b32_e32 v1, v2, v4, vcc_lo
	s_delay_alu instid0(VALU_DEP_1) | instskip(NEXT) | instid1(VALU_DEP_1)
	v_xor_b32_e32 v1, v1, v3
	v_sub_nc_u32_e32 v1, v1, v3
	s_delay_alu instid0(VALU_DEP_1) | instskip(SKIP_1) | instid1(VALU_DEP_2)
	v_add_nc_u32_e32 v2, s21, v1
	v_cmp_lt_i32_e64 s0, s3, v1
	v_sub_nc_u32_e32 v3, 0, v2
	s_delay_alu instid0(VALU_DEP_1) | instskip(SKIP_1) | instid1(VALU_DEP_1)
	v_max_i32_e32 v3, v2, v3
	s_wait_alu 0xfffe
	v_mul_hi_u32 v4, v3, s6
	s_delay_alu instid0(VALU_DEP_1) | instskip(NEXT) | instid1(VALU_DEP_1)
	v_mul_lo_u32 v4, v4, s2
	v_sub_nc_u32_e32 v3, v3, v4
	s_delay_alu instid0(VALU_DEP_1) | instskip(SKIP_2) | instid1(VALU_DEP_2)
	v_subrev_nc_u32_e32 v4, s2, v3
	v_cmp_le_u32_e32 vcc_lo, s2, v3
	s_wait_alu 0xfffd
	v_cndmask_b32_e32 v3, v3, v4, vcc_lo
	v_ashrrev_i32_e32 v2, 31, v2
	s_delay_alu instid0(VALU_DEP_2) | instskip(SKIP_2) | instid1(VALU_DEP_2)
	v_subrev_nc_u32_e32 v4, s2, v3
	v_cmp_le_u32_e32 vcc_lo, s2, v3
	s_wait_alu 0xfffd
	v_cndmask_b32_e32 v3, v3, v4, vcc_lo
	s_delay_alu instid0(VALU_DEP_1) | instskip(NEXT) | instid1(VALU_DEP_1)
	v_xor_b32_e32 v3, v3, v2
	v_sub_nc_u32_e32 v2, v3, v2
	s_delay_alu instid0(VALU_DEP_1)
	v_cmp_eq_u32_e32 vcc_lo, 0, v2
	s_or_b32 s0, vcc_lo, s0
	s_wait_alu 0xfffe
	s_and_saveexec_b32 s7, s0
	s_cbranch_execz .LBB212_41
; %bb.43:                               ;   in Loop: Header=BB212_42 Depth=1
	global_load_b32 v1, v[5:6], off
	s_load_b32 s13, s[10:11], 0x0
	v_add_nc_u32_e32 v50, v33, v12
	v_cmp_eq_u32_e32 vcc_lo, s37, v13
	s_delay_alu instid0(VALU_DEP_2)
	v_add_nc_u32_e32 v54, 3, v50
	s_wait_loadcnt 0x0
	v_mad_co_i64_i32 v[9:10], null, v1, s4, v[7:8]
	ds_load_b128 v[1:4], v34
	global_load_b32 v35, v[9:10], off
	s_wait_loadcnt 0x0
	v_lshrrev_b32_e32 v37, 16, v35
	s_delay_alu instid0(VALU_DEP_1) | instskip(SKIP_2) | instid1(VALU_DEP_2)
	v_cvt_pk_f32_fp8_e32 v[39:40], v37
	v_and_b32_e32 v36, 0xffff, v35
	v_add_nc_u32_e32 v51, 2, v50
	v_cvt_pk_f32_fp8_e32 v[35:36], v36
	s_wait_kmcnt 0x0
	s_delay_alu instid0(VALU_DEP_1) | instskip(NEXT) | instid1(VALU_DEP_2)
	v_dual_mul_f32 v38, s13, v35 :: v_dual_add_nc_u32 v53, 1, v50
	v_dual_mul_f32 v37, s13, v36 :: v_dual_mul_f32 v36, s13, v39
	v_mul_f32_e32 v35, s13, v40
	s_and_saveexec_b32 s14, vcc_lo
	s_cbranch_execz .LBB212_45
; %bb.44:                               ;   in Loop: Header=BB212_42 Depth=1
	v_cmp_gt_i32_e64 s0, s34, v50
	s_wait_alu 0xf1ff
	s_delay_alu instid0(VALU_DEP_1) | instskip(SKIP_2) | instid1(VALU_DEP_1)
	v_cndmask_b32_e64 v38, 0, v38, s0
	v_cmp_gt_i32_e64 s0, s34, v53
	s_wait_alu 0xf1ff
	v_cndmask_b32_e64 v37, 0, v37, s0
	v_cmp_gt_i32_e64 s0, s34, v51
	s_wait_alu 0xf1ff
	s_delay_alu instid0(VALU_DEP_1) | instskip(SKIP_2) | instid1(VALU_DEP_1)
	v_cndmask_b32_e64 v36, 0, v36, s0
	v_cmp_gt_i32_e64 s0, s34, v54
	s_wait_alu 0xf1ff
	v_cndmask_b32_e64 v35, 0, v35, s0
.LBB212_45:                             ;   in Loop: Header=BB212_42 Depth=1
	s_wait_alu 0xfffe
	s_or_b32 exec_lo, exec_lo, s14
	global_load_b32 v39, v[9:10], off offset:128
	s_mov_b32 s14, s13
	s_wait_loadcnt 0x0
	v_lshrrev_b32_e32 v41, 16, v39
	s_delay_alu instid0(VALU_DEP_1) | instskip(SKIP_1) | instid1(VALU_DEP_1)
	v_cvt_pk_f32_fp8_e32 v[43:44], v41
	v_and_b32_e32 v40, 0xffff, v39
	v_cvt_pk_f32_fp8_e32 v[39:40], v40
	s_wait_alu 0xfffe
	s_delay_alu instid0(VALU_DEP_1)
	v_dual_mul_f32 v42, s13, v39 :: v_dual_mul_f32 v41, s14, v40
	v_dual_mul_f32 v40, s13, v43 :: v_dual_mul_f32 v39, s14, v44
	s_and_saveexec_b32 s17, vcc_lo
	s_cbranch_execz .LBB212_47
; %bb.46:                               ;   in Loop: Header=BB212_42 Depth=1
	v_cmp_gt_i32_e64 s0, s34, v50
	s_wait_alu 0xf1ff
	s_delay_alu instid0(VALU_DEP_1) | instskip(SKIP_2) | instid1(VALU_DEP_1)
	v_cndmask_b32_e64 v42, 0, v42, s0
	v_cmp_gt_i32_e64 s0, s34, v53
	s_wait_alu 0xf1ff
	v_cndmask_b32_e64 v41, 0, v41, s0
	v_cmp_gt_i32_e64 s0, s34, v51
	s_wait_alu 0xf1ff
	s_delay_alu instid0(VALU_DEP_1) | instskip(SKIP_2) | instid1(VALU_DEP_1)
	v_cndmask_b32_e64 v40, 0, v40, s0
	v_cmp_gt_i32_e64 s0, s34, v54
	s_wait_alu 0xf1ff
	v_cndmask_b32_e64 v39, 0, v39, s0
.LBB212_47:                             ;   in Loop: Header=BB212_42 Depth=1
	s_wait_alu 0xfffe
	s_or_b32 exec_lo, exec_lo, s17
	global_load_b32 v43, v[9:10], off offset:256
	s_wait_loadcnt 0x0
	v_lshrrev_b32_e32 v45, 16, v43
	s_delay_alu instid0(VALU_DEP_1) | instskip(SKIP_1) | instid1(VALU_DEP_1)
	v_cvt_pk_f32_fp8_e32 v[47:48], v45
	v_and_b32_e32 v44, 0xffff, v43
	v_cvt_pk_f32_fp8_e32 v[43:44], v44
	s_delay_alu instid0(VALU_DEP_1) | instskip(NEXT) | instid1(VALU_DEP_4)
	v_dual_mul_f32 v46, s13, v43 :: v_dual_mul_f32 v45, s14, v44
	v_dual_mul_f32 v44, s13, v47 :: v_dual_mul_f32 v43, s14, v48
	s_and_saveexec_b32 s17, vcc_lo
	s_cbranch_execz .LBB212_49
; %bb.48:                               ;   in Loop: Header=BB212_42 Depth=1
	v_cmp_gt_i32_e64 s0, s34, v50
	s_wait_alu 0xf1ff
	s_delay_alu instid0(VALU_DEP_1) | instskip(SKIP_2) | instid1(VALU_DEP_1)
	v_cndmask_b32_e64 v46, 0, v46, s0
	v_cmp_gt_i32_e64 s0, s34, v53
	s_wait_alu 0xf1ff
	v_cndmask_b32_e64 v45, 0, v45, s0
	v_cmp_gt_i32_e64 s0, s34, v51
	s_wait_alu 0xf1ff
	s_delay_alu instid0(VALU_DEP_1) | instskip(SKIP_2) | instid1(VALU_DEP_1)
	v_cndmask_b32_e64 v44, 0, v44, s0
	v_cmp_gt_i32_e64 s0, s34, v54
	s_wait_alu 0xf1ff
	v_cndmask_b32_e64 v43, 0, v43, s0
.LBB212_49:                             ;   in Loop: Header=BB212_42 Depth=1
	s_wait_alu 0xfffe
	s_or_b32 exec_lo, exec_lo, s17
	global_load_b32 v47, v[9:10], off offset:384
	s_wait_loadcnt 0x0
	v_lshrrev_b32_e32 v49, 16, v47
	s_delay_alu instid0(VALU_DEP_1) | instskip(SKIP_1) | instid1(VALU_DEP_1)
	v_cvt_pk_f32_fp8_e32 v[55:56], v49
	v_and_b32_e32 v48, 0xffff, v47
	v_cvt_pk_f32_fp8_e32 v[47:48], v48
	s_delay_alu instid0(VALU_DEP_1) | instskip(NEXT) | instid1(VALU_DEP_4)
	;; [unrolled: 30-line block ×9, first 2 shown]
	v_dual_mul_f32 v82, s13, v79 :: v_dual_mul_f32 v81, s14, v80
	v_dual_mul_f32 v80, s13, v83 :: v_dual_mul_f32 v79, s14, v84
	s_and_saveexec_b32 s17, vcc_lo
	s_cbranch_execz .LBB212_65
; %bb.64:                               ;   in Loop: Header=BB212_42 Depth=1
	v_cmp_gt_i32_e64 s0, s34, v50
	s_wait_alu 0xf1ff
	s_delay_alu instid0(VALU_DEP_1) | instskip(SKIP_2) | instid1(VALU_DEP_1)
	v_cndmask_b32_e64 v82, 0, v82, s0
	v_cmp_gt_i32_e64 s0, s34, v53
	s_wait_alu 0xf1ff
	v_cndmask_b32_e64 v81, 0, v81, s0
	v_cmp_gt_i32_e64 s0, s34, v51
	s_wait_alu 0xf1ff
	s_delay_alu instid0(VALU_DEP_1) | instskip(SKIP_2) | instid1(VALU_DEP_1)
	v_cndmask_b32_e64 v80, 0, v80, s0
	v_cmp_gt_i32_e64 s0, s34, v54
	s_wait_alu 0xf1ff
	v_cndmask_b32_e64 v79, 0, v79, s0
.LBB212_65:                             ;   in Loop: Header=BB212_42 Depth=1
	s_wait_alu 0xfffe
	s_or_b32 exec_lo, exec_lo, s17
	global_load_b32 v83, v[9:10], off offset:1408
	s_wait_loadcnt 0x0
	v_and_b32_e32 v84, 0xffff, v83
	v_lshrrev_b32_e32 v85, 16, v83
	s_delay_alu instid0(VALU_DEP_2) | instskip(NEXT) | instid1(VALU_DEP_2)
	v_cvt_pk_f32_fp8_e32 v[83:84], v84
	v_cvt_pk_f32_fp8_e32 v[86:87], v85
	s_delay_alu instid0(VALU_DEP_2) | instskip(NEXT) | instid1(VALU_DEP_2)
	v_dual_mul_f32 v88, s13, v83 :: v_dual_mul_f32 v85, s14, v84
	v_dual_mul_f32 v84, s13, v86 :: v_dual_mul_f32 v83, s14, v87
	s_and_saveexec_b32 s17, vcc_lo
	s_cbranch_execz .LBB212_67
; %bb.66:                               ;   in Loop: Header=BB212_42 Depth=1
	v_cmp_gt_i32_e64 s0, s34, v50
	s_wait_alu 0xf1ff
	s_delay_alu instid0(VALU_DEP_1) | instskip(SKIP_2) | instid1(VALU_DEP_1)
	v_cndmask_b32_e64 v88, 0, v88, s0
	v_cmp_gt_i32_e64 s0, s34, v53
	s_wait_alu 0xf1ff
	v_cndmask_b32_e64 v85, 0, v85, s0
	v_cmp_gt_i32_e64 s0, s34, v51
	s_wait_alu 0xf1ff
	s_delay_alu instid0(VALU_DEP_1) | instskip(SKIP_2) | instid1(VALU_DEP_1)
	v_cndmask_b32_e64 v84, 0, v84, s0
	v_cmp_gt_i32_e64 s0, s34, v54
	s_wait_alu 0xf1ff
	v_cndmask_b32_e64 v83, 0, v83, s0
.LBB212_67:                             ;   in Loop: Header=BB212_42 Depth=1
	s_wait_alu 0xfffe
	s_or_b32 exec_lo, exec_lo, s17
	global_load_b32 v86, v[9:10], off offset:1536
	s_wait_loadcnt 0x0
	v_lshrrev_b32_e32 v89, 16, v86
	s_delay_alu instid0(VALU_DEP_1) | instskip(NEXT) | instid1(VALU_DEP_1)
	v_cvt_pk_f32_fp8_e32 v[93:94], v89
	v_dual_mul_f32 v90, s13, v93 :: v_dual_and_b32 v87, 0xffff, v86
	s_delay_alu instid0(VALU_DEP_1) | instskip(NEXT) | instid1(VALU_DEP_3)
	v_cvt_pk_f32_fp8_e32 v[86:87], v87
	v_mul_f32_e32 v89, s14, v94
	s_delay_alu instid0(VALU_DEP_2)
	v_dual_mul_f32 v92, s13, v86 :: v_dual_mul_f32 v91, s14, v87
	s_and_saveexec_b32 s17, vcc_lo
	s_cbranch_execz .LBB212_69
; %bb.68:                               ;   in Loop: Header=BB212_42 Depth=1
	v_cmp_gt_i32_e64 s0, s34, v50
	s_wait_alu 0xf1ff
	s_delay_alu instid0(VALU_DEP_1) | instskip(SKIP_2) | instid1(VALU_DEP_1)
	v_cndmask_b32_e64 v92, 0, v92, s0
	v_cmp_gt_i32_e64 s0, s34, v53
	s_wait_alu 0xf1ff
	v_cndmask_b32_e64 v91, 0, v91, s0
	v_cmp_gt_i32_e64 s0, s34, v51
	s_wait_alu 0xf1ff
	s_delay_alu instid0(VALU_DEP_1) | instskip(SKIP_2) | instid1(VALU_DEP_1)
	v_cndmask_b32_e64 v90, 0, v90, s0
	v_cmp_gt_i32_e64 s0, s34, v54
	s_wait_alu 0xf1ff
	v_cndmask_b32_e64 v89, 0, v89, s0
.LBB212_69:                             ;   in Loop: Header=BB212_42 Depth=1
	s_wait_alu 0xfffe
	s_or_b32 exec_lo, exec_lo, s17
	global_load_b32 v86, v[9:10], off offset:1664
	s_wait_loadcnt 0x0
	v_lshrrev_b32_e32 v93, 16, v86
	s_delay_alu instid0(VALU_DEP_1) | instskip(NEXT) | instid1(VALU_DEP_1)
	v_cvt_pk_f32_fp8_e32 v[97:98], v93
	v_dual_mul_f32 v94, s13, v97 :: v_dual_and_b32 v87, 0xffff, v86
	s_delay_alu instid0(VALU_DEP_1) | instskip(NEXT) | instid1(VALU_DEP_3)
	v_cvt_pk_f32_fp8_e32 v[86:87], v87
	v_mul_f32_e32 v93, s14, v98
	s_delay_alu instid0(VALU_DEP_2)
	v_dual_mul_f32 v96, s13, v86 :: v_dual_mul_f32 v95, s14, v87
	s_and_saveexec_b32 s17, vcc_lo
	s_cbranch_execz .LBB212_71
; %bb.70:                               ;   in Loop: Header=BB212_42 Depth=1
	v_cmp_gt_i32_e64 s0, s34, v50
	s_wait_alu 0xf1ff
	s_delay_alu instid0(VALU_DEP_1) | instskip(SKIP_2) | instid1(VALU_DEP_1)
	v_cndmask_b32_e64 v96, 0, v96, s0
	v_cmp_gt_i32_e64 s0, s34, v53
	s_wait_alu 0xf1ff
	v_cndmask_b32_e64 v95, 0, v95, s0
	v_cmp_gt_i32_e64 s0, s34, v51
	s_wait_alu 0xf1ff
	s_delay_alu instid0(VALU_DEP_1) | instskip(SKIP_2) | instid1(VALU_DEP_1)
	v_cndmask_b32_e64 v94, 0, v94, s0
	v_cmp_gt_i32_e64 s0, s34, v54
	s_wait_alu 0xf1ff
	v_cndmask_b32_e64 v93, 0, v93, s0
.LBB212_71:                             ;   in Loop: Header=BB212_42 Depth=1
	s_wait_alu 0xfffe
	s_or_b32 exec_lo, exec_lo, s17
	global_load_b32 v9, v[9:10], off offset:1792
	s_wait_loadcnt 0x0
	v_lshrrev_b32_e32 v86, 16, v9
	s_delay_alu instid0(VALU_DEP_1) | instskip(SKIP_1) | instid1(VALU_DEP_1)
	v_cvt_pk_f32_fp8_e32 v[97:98], v86
	v_and_b32_e32 v10, 0xffff, v9
	v_cvt_pk_f32_fp8_e32 v[9:10], v10
	s_delay_alu instid0(VALU_DEP_1) | instskip(NEXT) | instid1(VALU_DEP_4)
	v_dual_mul_f32 v87, s13, v9 :: v_dual_mul_f32 v86, s14, v10
	v_dual_mul_f32 v10, s13, v97 :: v_dual_mul_f32 v9, s14, v98
	s_and_saveexec_b32 s0, vcc_lo
	s_cbranch_execz .LBB212_40
; %bb.72:                               ;   in Loop: Header=BB212_42 Depth=1
	v_cmp_gt_i32_e32 vcc_lo, s34, v50
	s_wait_alu 0xfffd
	v_cndmask_b32_e32 v87, 0, v87, vcc_lo
	v_cmp_gt_i32_e32 vcc_lo, s34, v53
	s_wait_alu 0xfffd
	v_cndmask_b32_e32 v86, 0, v86, vcc_lo
	;; [unrolled: 3-line block ×4, first 2 shown]
	s_branch .LBB212_40
.LBB212_73:
	s_or_b32 exec_lo, exec_lo, s5
.LBB212_74:
	s_wait_alu 0xfffe
	s_or_b32 exec_lo, exec_lo, s1
	ds_bpermute_b32 v1, v15, v31
	ds_bpermute_b32 v2, v15, v32
	ds_bpermute_b32 v7, v15, v26
	ds_bpermute_b32 v33, v15, v20
	ds_bpermute_b32 v3, v15, v30
	ds_bpermute_b32 v4, v15, v29
	ds_bpermute_b32 v5, v15, v28
	ds_bpermute_b32 v6, v15, v27
	ds_bpermute_b32 v8, v15, v25
	ds_bpermute_b32 v9, v15, v24
	ds_bpermute_b32 v10, v15, v23
	ds_bpermute_b32 v12, v15, v22
	ds_bpermute_b32 v13, v15, v21
	ds_bpermute_b32 v34, v15, v19
	ds_bpermute_b32 v15, v15, v18
	v_mul_u32_u24_e32 v11, 0x1e0, v11
	s_mov_b32 s0, exec_lo
	s_wait_storecnt 0x0
	s_wait_loadcnt_dscnt 0x0
	s_barrier_signal -1
	s_barrier_wait -1
	v_dual_add_f32 v1, v31, v1 :: v_dual_add_f32 v2, v32, v2
	v_dual_add_f32 v7, v26, v7 :: v_dual_add_f32 v20, v20, v33
	;; [unrolled: 1-line block ×3, first 2 shown]
	ds_bpermute_b32 v26, v16, v1
	v_dual_add_f32 v5, v28, v5 :: v_dual_add_f32 v6, v27, v6
	v_dual_add_f32 v8, v25, v8 :: v_dual_add_f32 v9, v24, v9
	v_add_f32_e32 v10, v23, v10
	v_dual_add_f32 v12, v22, v12 :: v_dual_add_f32 v13, v21, v13
	v_dual_add_f32 v19, v19, v34 :: v_dual_add_f32 v18, v18, v15
	ds_bpermute_b32 v15, v16, v20
	ds_bpermute_b32 v27, v16, v2
	;; [unrolled: 1-line block ×13, first 2 shown]
	s_wait_dscnt 0xd
	v_add_f32_e32 v1, v1, v26
	ds_bpermute_b32 v34, v16, v18
	s_wait_dscnt 0x0
	global_inv scope:SCOPE_SE
	v_dual_add_f32 v15, v20, v15 :: v_dual_and_b32 v20, 28, v14
	v_dual_add_f32 v2, v2, v27 :: v_dual_add_f32 v3, v3, v28
	v_dual_add_f32 v4, v4, v29 :: v_dual_add_f32 v5, v5, v30
	;; [unrolled: 1-line block ×5, first 2 shown]
	v_dual_add_f32 v12, v12, v31 :: v_dual_and_b32 v21, 0x3c3, v0
	v_add_f32_e32 v16, v19, v33
	v_add_f32_e32 v18, v18, v34
	v_lshrrev_b32_e32 v19, 2, v14
	v_add_nc_u32_e32 v14, 0x200, v20
	v_cmpx_eq_u32_e32 64, v21
	s_cbranch_execz .LBB212_76
; %bb.75:
	s_delay_alu instid0(VALU_DEP_2) | instskip(NEXT) | instid1(VALU_DEP_1)
	v_add_nc_u32_e32 v20, v14, v11
	v_add_nc_u32_e32 v21, 0xfffffc40, v20
	;; [unrolled: 1-line block ×9, first 2 shown]
	ds_store_b32 v21, v1
	ds_store_b32 v22, v2
	;; [unrolled: 1-line block ×8, first 2 shown]
	v_add_nc_u32_e32 v21, 0xfffffd40, v20
	v_add_nc_u32_e32 v22, 0xfffffd60, v20
	;; [unrolled: 1-line block ×7, first 2 shown]
	ds_store_b32 v21, v9
	ds_store_b32 v22, v10
	;; [unrolled: 1-line block ×7, first 2 shown]
.LBB212_76:
	s_wait_alu 0xfffe
	s_or_b32 exec_lo, exec_lo, s0
	v_lshlrev_b32_e32 v19, 2, v19
	s_mov_b32 s1, exec_lo
	v_cmp_eq_u32_e32 vcc_lo, 0, v17
	s_wait_loadcnt_dscnt 0x0
	s_barrier_signal -1
	v_add3_u32 v11, 0x200, v11, v19
	s_barrier_wait -1
	global_inv scope:SCOPE_SE
	v_cmpx_gt_u32_e32 64, v0
	s_cbranch_execz .LBB212_94
; %bb.77:
	s_and_saveexec_b32 s0, vcc_lo
	s_cbranch_execnz .LBB212_117
; %bb.78:
	s_wait_alu 0xfffe
	s_or_b32 exec_lo, exec_lo, s0
	s_and_saveexec_b32 s0, vcc_lo
	s_cbranch_execnz .LBB212_118
.LBB212_79:
	s_wait_alu 0xfffe
	s_or_b32 exec_lo, exec_lo, s0
	s_and_saveexec_b32 s0, vcc_lo
	s_cbranch_execnz .LBB212_119
.LBB212_80:
	s_wait_alu 0xfffe
	s_or_b32 exec_lo, exec_lo, s0
	s_and_saveexec_b32 s0, vcc_lo
	s_cbranch_execnz .LBB212_120
.LBB212_81:
	s_wait_alu 0xfffe
	s_or_b32 exec_lo, exec_lo, s0
	s_and_saveexec_b32 s0, vcc_lo
	s_cbranch_execnz .LBB212_121
.LBB212_82:
	s_wait_alu 0xfffe
	s_or_b32 exec_lo, exec_lo, s0
	s_and_saveexec_b32 s0, vcc_lo
	s_cbranch_execnz .LBB212_122
.LBB212_83:
	s_wait_alu 0xfffe
	s_or_b32 exec_lo, exec_lo, s0
	s_and_saveexec_b32 s0, vcc_lo
	s_cbranch_execnz .LBB212_123
.LBB212_84:
	s_wait_alu 0xfffe
	s_or_b32 exec_lo, exec_lo, s0
	s_and_saveexec_b32 s0, vcc_lo
	s_cbranch_execnz .LBB212_124
.LBB212_85:
	s_wait_alu 0xfffe
	s_or_b32 exec_lo, exec_lo, s0
	s_and_saveexec_b32 s0, vcc_lo
	s_cbranch_execnz .LBB212_125
.LBB212_86:
	s_wait_alu 0xfffe
	s_or_b32 exec_lo, exec_lo, s0
	s_and_saveexec_b32 s0, vcc_lo
	s_cbranch_execnz .LBB212_126
.LBB212_87:
	s_wait_alu 0xfffe
	s_or_b32 exec_lo, exec_lo, s0
	s_and_saveexec_b32 s0, vcc_lo
	s_cbranch_execnz .LBB212_127
.LBB212_88:
	s_wait_alu 0xfffe
	s_or_b32 exec_lo, exec_lo, s0
	s_and_saveexec_b32 s0, vcc_lo
	s_cbranch_execnz .LBB212_128
.LBB212_89:
	s_wait_alu 0xfffe
	s_or_b32 exec_lo, exec_lo, s0
	s_and_saveexec_b32 s0, vcc_lo
	s_cbranch_execnz .LBB212_129
.LBB212_90:
	s_wait_alu 0xfffe
	s_or_b32 exec_lo, exec_lo, s0
	s_and_saveexec_b32 s0, vcc_lo
	s_cbranch_execnz .LBB212_130
.LBB212_91:
	s_wait_alu 0xfffe
	s_or_b32 exec_lo, exec_lo, s0
	s_and_saveexec_b32 s0, vcc_lo
	s_cbranch_execz .LBB212_93
.LBB212_92:
	ds_load_b32 v17, v11 offset:448
	s_wait_dscnt 0x0
	v_add_f32_e32 v18, v18, v17
.LBB212_93:
	s_wait_alu 0xfffe
	s_or_b32 exec_lo, exec_lo, s0
.LBB212_94:
	s_wait_alu 0xfffe
	s_or_b32 exec_lo, exec_lo, s1
	v_and_b32_e32 v17, 0x3e3, v0
	s_mov_b32 s1, exec_lo
	s_wait_loadcnt 0x0
	s_barrier_signal -1
	s_barrier_wait -1
	global_inv scope:SCOPE_SE
	v_cmpx_eq_u32_e32 32, v17
	s_cbranch_execz .LBB212_96
; %bb.95:
	ds_store_2addr_b32 v14, v1, v2 offset1:8
	ds_store_2addr_b32 v14, v3, v4 offset0:16 offset1:24
	ds_store_2addr_b32 v14, v5, v6 offset0:32 offset1:40
	;; [unrolled: 1-line block ×6, first 2 shown]
	ds_store_b32 v14, v18 offset:448
.LBB212_96:
	s_wait_alu 0xfffe
	s_or_b32 exec_lo, exec_lo, s1
	s_delay_alu instid0(SALU_CYCLE_1)
	s_mov_b32 s1, exec_lo
	s_wait_loadcnt_dscnt 0x0
	s_barrier_signal -1
	s_barrier_wait -1
	global_inv scope:SCOPE_SE
	v_cmpx_gt_u32_e32 32, v0
	s_cbranch_execz .LBB212_114
; %bb.97:
	s_and_saveexec_b32 s0, vcc_lo
	s_cbranch_execnz .LBB212_131
; %bb.98:
	s_wait_alu 0xfffe
	s_or_b32 exec_lo, exec_lo, s0
	s_and_saveexec_b32 s0, vcc_lo
	s_cbranch_execnz .LBB212_132
.LBB212_99:
	s_wait_alu 0xfffe
	s_or_b32 exec_lo, exec_lo, s0
	s_and_saveexec_b32 s0, vcc_lo
	s_cbranch_execnz .LBB212_133
.LBB212_100:
	s_wait_alu 0xfffe
	s_or_b32 exec_lo, exec_lo, s0
	s_and_saveexec_b32 s0, vcc_lo
	s_cbranch_execnz .LBB212_134
.LBB212_101:
	s_wait_alu 0xfffe
	s_or_b32 exec_lo, exec_lo, s0
	s_and_saveexec_b32 s0, vcc_lo
	s_cbranch_execnz .LBB212_135
.LBB212_102:
	s_wait_alu 0xfffe
	s_or_b32 exec_lo, exec_lo, s0
	s_and_saveexec_b32 s0, vcc_lo
	s_cbranch_execnz .LBB212_136
.LBB212_103:
	s_wait_alu 0xfffe
	s_or_b32 exec_lo, exec_lo, s0
	s_and_saveexec_b32 s0, vcc_lo
	s_cbranch_execnz .LBB212_137
.LBB212_104:
	s_wait_alu 0xfffe
	s_or_b32 exec_lo, exec_lo, s0
	s_and_saveexec_b32 s0, vcc_lo
	s_cbranch_execnz .LBB212_138
.LBB212_105:
	s_wait_alu 0xfffe
	s_or_b32 exec_lo, exec_lo, s0
	s_and_saveexec_b32 s0, vcc_lo
	s_cbranch_execnz .LBB212_139
.LBB212_106:
	s_wait_alu 0xfffe
	s_or_b32 exec_lo, exec_lo, s0
	s_and_saveexec_b32 s0, vcc_lo
	s_cbranch_execnz .LBB212_140
.LBB212_107:
	s_wait_alu 0xfffe
	s_or_b32 exec_lo, exec_lo, s0
	s_and_saveexec_b32 s0, vcc_lo
	s_cbranch_execnz .LBB212_141
.LBB212_108:
	s_wait_alu 0xfffe
	s_or_b32 exec_lo, exec_lo, s0
	s_and_saveexec_b32 s0, vcc_lo
	s_cbranch_execnz .LBB212_142
.LBB212_109:
	s_wait_alu 0xfffe
	s_or_b32 exec_lo, exec_lo, s0
	s_and_saveexec_b32 s0, vcc_lo
	s_cbranch_execnz .LBB212_143
.LBB212_110:
	s_wait_alu 0xfffe
	s_or_b32 exec_lo, exec_lo, s0
	s_and_saveexec_b32 s0, vcc_lo
	s_cbranch_execnz .LBB212_144
.LBB212_111:
	s_wait_alu 0xfffe
	s_or_b32 exec_lo, exec_lo, s0
	s_and_saveexec_b32 s0, vcc_lo
	s_cbranch_execz .LBB212_113
.LBB212_112:
	ds_load_b32 v11, v11 offset:448
	s_wait_dscnt 0x0
	v_add_f32_e32 v18, v18, v11
.LBB212_113:
	s_wait_alu 0xfffe
	s_or_b32 exec_lo, exec_lo, s0
.LBB212_114:
	s_wait_alu 0xfffe
	s_or_b32 exec_lo, exec_lo, s1
	s_mov_b32 s1, 0
	s_wait_loadcnt 0x0
	s_barrier_signal -1
	s_barrier_wait -1
	global_inv scope:SCOPE_SE
	s_mov_b32 s0, exec_lo
	v_cmpx_eq_u32_e32 0, v17
	s_cbranch_execz .LBB212_116
; %bb.115:
	s_mul_i32 s2, s18, 0x78
	s_wait_kmcnt 0x0
	s_mul_i32 s4, s12, s20
	s_wait_alu 0xfffe
	s_ashr_i32 s3, s2, 31
	s_ashr_i32 s5, s4, 31
	s_wait_alu 0xfffe
	s_lshl_b64 s[2:3], s[2:3], 2
	s_lshl_b64 s[4:5], s[4:5], 2
	s_wait_alu 0xfffe
	s_add_nc_u64 s[2:3], s[8:9], s[2:3]
	s_mul_i32 s0, s33, 0x1e0
	s_wait_alu 0xfffe
	s_add_nc_u64 s[2:3], s[2:3], s[4:5]
	s_wait_alu 0xfffe
	s_add_nc_u64 s[0:1], s[2:3], s[0:1]
	s_clause 0xe
	global_store_b32 v0, v1, s[0:1]
	global_store_b32 v0, v2, s[0:1] offset:32
	global_store_b32 v0, v3, s[0:1] offset:64
	;; [unrolled: 1-line block ×14, first 2 shown]
.LBB212_116:
	s_nop 0
	s_sendmsg sendmsg(MSG_DEALLOC_VGPRS)
	s_endpgm
.LBB212_117:
	ds_load_b32 v17, v11
	s_wait_dscnt 0x0
	v_add_f32_e32 v1, v1, v17
	s_wait_alu 0xfffe
	s_or_b32 exec_lo, exec_lo, s0
	s_and_saveexec_b32 s0, vcc_lo
	s_cbranch_execz .LBB212_79
.LBB212_118:
	ds_load_b32 v17, v11 offset:32
	s_wait_dscnt 0x0
	v_add_f32_e32 v2, v2, v17
	s_wait_alu 0xfffe
	s_or_b32 exec_lo, exec_lo, s0
	s_and_saveexec_b32 s0, vcc_lo
	s_cbranch_execz .LBB212_80
.LBB212_119:
	ds_load_b32 v17, v11 offset:64
	s_wait_dscnt 0x0
	v_add_f32_e32 v3, v3, v17
	s_wait_alu 0xfffe
	s_or_b32 exec_lo, exec_lo, s0
	s_and_saveexec_b32 s0, vcc_lo
	s_cbranch_execz .LBB212_81
.LBB212_120:
	ds_load_b32 v17, v11 offset:96
	s_wait_dscnt 0x0
	v_add_f32_e32 v4, v4, v17
	s_wait_alu 0xfffe
	s_or_b32 exec_lo, exec_lo, s0
	s_and_saveexec_b32 s0, vcc_lo
	s_cbranch_execz .LBB212_82
.LBB212_121:
	ds_load_b32 v17, v11 offset:128
	s_wait_dscnt 0x0
	v_add_f32_e32 v5, v5, v17
	s_wait_alu 0xfffe
	s_or_b32 exec_lo, exec_lo, s0
	s_and_saveexec_b32 s0, vcc_lo
	s_cbranch_execz .LBB212_83
.LBB212_122:
	ds_load_b32 v17, v11 offset:160
	s_wait_dscnt 0x0
	v_add_f32_e32 v6, v6, v17
	s_wait_alu 0xfffe
	s_or_b32 exec_lo, exec_lo, s0
	s_and_saveexec_b32 s0, vcc_lo
	s_cbranch_execz .LBB212_84
.LBB212_123:
	ds_load_b32 v17, v11 offset:192
	s_wait_dscnt 0x0
	v_add_f32_e32 v7, v7, v17
	s_wait_alu 0xfffe
	s_or_b32 exec_lo, exec_lo, s0
	s_and_saveexec_b32 s0, vcc_lo
	s_cbranch_execz .LBB212_85
.LBB212_124:
	ds_load_b32 v17, v11 offset:224
	s_wait_dscnt 0x0
	v_add_f32_e32 v8, v8, v17
	s_wait_alu 0xfffe
	s_or_b32 exec_lo, exec_lo, s0
	s_and_saveexec_b32 s0, vcc_lo
	s_cbranch_execz .LBB212_86
.LBB212_125:
	ds_load_b32 v17, v11 offset:256
	s_wait_dscnt 0x0
	v_add_f32_e32 v9, v9, v17
	s_wait_alu 0xfffe
	s_or_b32 exec_lo, exec_lo, s0
	s_and_saveexec_b32 s0, vcc_lo
	s_cbranch_execz .LBB212_87
.LBB212_126:
	ds_load_b32 v17, v11 offset:288
	s_wait_dscnt 0x0
	v_add_f32_e32 v10, v10, v17
	s_wait_alu 0xfffe
	s_or_b32 exec_lo, exec_lo, s0
	s_and_saveexec_b32 s0, vcc_lo
	s_cbranch_execz .LBB212_88
.LBB212_127:
	ds_load_b32 v17, v11 offset:320
	s_wait_dscnt 0x0
	v_add_f32_e32 v12, v12, v17
	s_wait_alu 0xfffe
	s_or_b32 exec_lo, exec_lo, s0
	s_and_saveexec_b32 s0, vcc_lo
	s_cbranch_execz .LBB212_89
.LBB212_128:
	ds_load_b32 v17, v11 offset:352
	s_wait_dscnt 0x0
	v_add_f32_e32 v13, v13, v17
	s_wait_alu 0xfffe
	s_or_b32 exec_lo, exec_lo, s0
	s_and_saveexec_b32 s0, vcc_lo
	s_cbranch_execz .LBB212_90
.LBB212_129:
	ds_load_b32 v17, v11 offset:384
	s_wait_dscnt 0x0
	v_add_f32_e32 v15, v15, v17
	s_wait_alu 0xfffe
	s_or_b32 exec_lo, exec_lo, s0
	s_and_saveexec_b32 s0, vcc_lo
	s_cbranch_execz .LBB212_91
.LBB212_130:
	ds_load_b32 v17, v11 offset:416
	s_wait_dscnt 0x0
	v_add_f32_e32 v16, v16, v17
	s_wait_alu 0xfffe
	s_or_b32 exec_lo, exec_lo, s0
	s_and_saveexec_b32 s0, vcc_lo
	s_cbranch_execnz .LBB212_92
	s_branch .LBB212_93
.LBB212_131:
	ds_load_b32 v14, v11
	s_wait_dscnt 0x0
	v_add_f32_e32 v1, v1, v14
	s_wait_alu 0xfffe
	s_or_b32 exec_lo, exec_lo, s0
	s_and_saveexec_b32 s0, vcc_lo
	s_cbranch_execz .LBB212_99
.LBB212_132:
	ds_load_b32 v14, v11 offset:32
	s_wait_dscnt 0x0
	v_add_f32_e32 v2, v2, v14
	s_wait_alu 0xfffe
	s_or_b32 exec_lo, exec_lo, s0
	s_and_saveexec_b32 s0, vcc_lo
	s_cbranch_execz .LBB212_100
.LBB212_133:
	ds_load_b32 v14, v11 offset:64
	s_wait_dscnt 0x0
	v_add_f32_e32 v3, v3, v14
	s_wait_alu 0xfffe
	s_or_b32 exec_lo, exec_lo, s0
	s_and_saveexec_b32 s0, vcc_lo
	s_cbranch_execz .LBB212_101
.LBB212_134:
	ds_load_b32 v14, v11 offset:96
	s_wait_dscnt 0x0
	v_add_f32_e32 v4, v4, v14
	s_wait_alu 0xfffe
	s_or_b32 exec_lo, exec_lo, s0
	s_and_saveexec_b32 s0, vcc_lo
	s_cbranch_execz .LBB212_102
.LBB212_135:
	ds_load_b32 v14, v11 offset:128
	s_wait_dscnt 0x0
	v_add_f32_e32 v5, v5, v14
	s_wait_alu 0xfffe
	s_or_b32 exec_lo, exec_lo, s0
	s_and_saveexec_b32 s0, vcc_lo
	s_cbranch_execz .LBB212_103
.LBB212_136:
	ds_load_b32 v14, v11 offset:160
	s_wait_dscnt 0x0
	v_add_f32_e32 v6, v6, v14
	s_wait_alu 0xfffe
	s_or_b32 exec_lo, exec_lo, s0
	s_and_saveexec_b32 s0, vcc_lo
	s_cbranch_execz .LBB212_104
.LBB212_137:
	ds_load_b32 v14, v11 offset:192
	s_wait_dscnt 0x0
	v_add_f32_e32 v7, v7, v14
	s_wait_alu 0xfffe
	s_or_b32 exec_lo, exec_lo, s0
	s_and_saveexec_b32 s0, vcc_lo
	s_cbranch_execz .LBB212_105
.LBB212_138:
	ds_load_b32 v14, v11 offset:224
	s_wait_dscnt 0x0
	v_add_f32_e32 v8, v8, v14
	s_wait_alu 0xfffe
	s_or_b32 exec_lo, exec_lo, s0
	s_and_saveexec_b32 s0, vcc_lo
	s_cbranch_execz .LBB212_106
.LBB212_139:
	ds_load_b32 v14, v11 offset:256
	s_wait_dscnt 0x0
	v_add_f32_e32 v9, v9, v14
	s_wait_alu 0xfffe
	s_or_b32 exec_lo, exec_lo, s0
	s_and_saveexec_b32 s0, vcc_lo
	s_cbranch_execz .LBB212_107
.LBB212_140:
	ds_load_b32 v14, v11 offset:288
	s_wait_dscnt 0x0
	v_add_f32_e32 v10, v10, v14
	s_wait_alu 0xfffe
	s_or_b32 exec_lo, exec_lo, s0
	s_and_saveexec_b32 s0, vcc_lo
	s_cbranch_execz .LBB212_108
.LBB212_141:
	ds_load_b32 v14, v11 offset:320
	s_wait_dscnt 0x0
	v_add_f32_e32 v12, v12, v14
	s_wait_alu 0xfffe
	s_or_b32 exec_lo, exec_lo, s0
	s_and_saveexec_b32 s0, vcc_lo
	s_cbranch_execz .LBB212_109
.LBB212_142:
	ds_load_b32 v14, v11 offset:352
	s_wait_dscnt 0x0
	v_add_f32_e32 v13, v13, v14
	s_wait_alu 0xfffe
	s_or_b32 exec_lo, exec_lo, s0
	s_and_saveexec_b32 s0, vcc_lo
	s_cbranch_execz .LBB212_110
.LBB212_143:
	ds_load_b32 v14, v11 offset:384
	s_wait_dscnt 0x0
	v_add_f32_e32 v15, v15, v14
	s_wait_alu 0xfffe
	s_or_b32 exec_lo, exec_lo, s0
	s_and_saveexec_b32 s0, vcc_lo
	s_cbranch_execz .LBB212_111
.LBB212_144:
	ds_load_b32 v14, v11 offset:416
	s_wait_dscnt 0x0
	v_add_f32_e32 v16, v16, v14
	s_wait_alu 0xfffe
	s_or_b32 exec_lo, exec_lo, s0
	s_and_saveexec_b32 s0, vcc_lo
	s_cbranch_execnz .LBB212_112
	s_branch .LBB212_113
	.section	.rodata,"a",@progbits
	.p2align	6, 0x0
	.amdhsa_kernel _ZN4vllm25paged_attention_v2_kernelIfhLi120ELi16ELi128ELNS_18Fp8KVCacheDataTypeE1ELb1ELi512EEEvPfS2_PT_PKS3_PKT0_S9_ifPKiSB_iPKfiiiSD_SD_iiiii
		.amdhsa_group_segment_fixed_size 512
		.amdhsa_private_segment_fixed_size 0
		.amdhsa_kernarg_size 400
		.amdhsa_user_sgpr_count 2
		.amdhsa_user_sgpr_dispatch_ptr 0
		.amdhsa_user_sgpr_queue_ptr 0
		.amdhsa_user_sgpr_kernarg_segment_ptr 1
		.amdhsa_user_sgpr_dispatch_id 0
		.amdhsa_user_sgpr_private_segment_size 0
		.amdhsa_wavefront_size32 1
		.amdhsa_uses_dynamic_stack 0
		.amdhsa_enable_private_segment 0
		.amdhsa_system_sgpr_workgroup_id_x 1
		.amdhsa_system_sgpr_workgroup_id_y 1
		.amdhsa_system_sgpr_workgroup_id_z 1
		.amdhsa_system_sgpr_workgroup_info 0
		.amdhsa_system_vgpr_workitem_id 0
		.amdhsa_next_free_vgpr 113
		.amdhsa_next_free_sgpr 45
		.amdhsa_reserve_vcc 1
		.amdhsa_float_round_mode_32 0
		.amdhsa_float_round_mode_16_64 0
		.amdhsa_float_denorm_mode_32 3
		.amdhsa_float_denorm_mode_16_64 3
		.amdhsa_fp16_overflow 0
		.amdhsa_workgroup_processor_mode 1
		.amdhsa_memory_ordered 1
		.amdhsa_forward_progress 1
		.amdhsa_inst_pref_size 82
		.amdhsa_round_robin_scheduling 0
		.amdhsa_exception_fp_ieee_invalid_op 0
		.amdhsa_exception_fp_denorm_src 0
		.amdhsa_exception_fp_ieee_div_zero 0
		.amdhsa_exception_fp_ieee_overflow 0
		.amdhsa_exception_fp_ieee_underflow 0
		.amdhsa_exception_fp_ieee_inexact 0
		.amdhsa_exception_int_div_zero 0
	.end_amdhsa_kernel
	.section	.text._ZN4vllm25paged_attention_v2_kernelIfhLi120ELi16ELi128ELNS_18Fp8KVCacheDataTypeE1ELb1ELi512EEEvPfS2_PT_PKS3_PKT0_S9_ifPKiSB_iPKfiiiSD_SD_iiiii,"axG",@progbits,_ZN4vllm25paged_attention_v2_kernelIfhLi120ELi16ELi128ELNS_18Fp8KVCacheDataTypeE1ELb1ELi512EEEvPfS2_PT_PKS3_PKT0_S9_ifPKiSB_iPKfiiiSD_SD_iiiii,comdat
.Lfunc_end212:
	.size	_ZN4vllm25paged_attention_v2_kernelIfhLi120ELi16ELi128ELNS_18Fp8KVCacheDataTypeE1ELb1ELi512EEEvPfS2_PT_PKS3_PKT0_S9_ifPKiSB_iPKfiiiSD_SD_iiiii, .Lfunc_end212-_ZN4vllm25paged_attention_v2_kernelIfhLi120ELi16ELi128ELNS_18Fp8KVCacheDataTypeE1ELb1ELi512EEEvPfS2_PT_PKS3_PKT0_S9_ifPKiSB_iPKfiiiSD_SD_iiiii
                                        ; -- End function
	.set _ZN4vllm25paged_attention_v2_kernelIfhLi120ELi16ELi128ELNS_18Fp8KVCacheDataTypeE1ELb1ELi512EEEvPfS2_PT_PKS3_PKT0_S9_ifPKiSB_iPKfiiiSD_SD_iiiii.num_vgpr, 113
	.set _ZN4vllm25paged_attention_v2_kernelIfhLi120ELi16ELi128ELNS_18Fp8KVCacheDataTypeE1ELb1ELi512EEEvPfS2_PT_PKS3_PKT0_S9_ifPKiSB_iPKfiiiSD_SD_iiiii.num_agpr, 0
	.set _ZN4vllm25paged_attention_v2_kernelIfhLi120ELi16ELi128ELNS_18Fp8KVCacheDataTypeE1ELb1ELi512EEEvPfS2_PT_PKS3_PKT0_S9_ifPKiSB_iPKfiiiSD_SD_iiiii.numbered_sgpr, 45
	.set _ZN4vllm25paged_attention_v2_kernelIfhLi120ELi16ELi128ELNS_18Fp8KVCacheDataTypeE1ELb1ELi512EEEvPfS2_PT_PKS3_PKT0_S9_ifPKiSB_iPKfiiiSD_SD_iiiii.num_named_barrier, 0
	.set _ZN4vllm25paged_attention_v2_kernelIfhLi120ELi16ELi128ELNS_18Fp8KVCacheDataTypeE1ELb1ELi512EEEvPfS2_PT_PKS3_PKT0_S9_ifPKiSB_iPKfiiiSD_SD_iiiii.private_seg_size, 0
	.set _ZN4vllm25paged_attention_v2_kernelIfhLi120ELi16ELi128ELNS_18Fp8KVCacheDataTypeE1ELb1ELi512EEEvPfS2_PT_PKS3_PKT0_S9_ifPKiSB_iPKfiiiSD_SD_iiiii.uses_vcc, 1
	.set _ZN4vllm25paged_attention_v2_kernelIfhLi120ELi16ELi128ELNS_18Fp8KVCacheDataTypeE1ELb1ELi512EEEvPfS2_PT_PKS3_PKT0_S9_ifPKiSB_iPKfiiiSD_SD_iiiii.uses_flat_scratch, 0
	.set _ZN4vllm25paged_attention_v2_kernelIfhLi120ELi16ELi128ELNS_18Fp8KVCacheDataTypeE1ELb1ELi512EEEvPfS2_PT_PKS3_PKT0_S9_ifPKiSB_iPKfiiiSD_SD_iiiii.has_dyn_sized_stack, 0
	.set _ZN4vllm25paged_attention_v2_kernelIfhLi120ELi16ELi128ELNS_18Fp8KVCacheDataTypeE1ELb1ELi512EEEvPfS2_PT_PKS3_PKT0_S9_ifPKiSB_iPKfiiiSD_SD_iiiii.has_recursion, 0
	.set _ZN4vllm25paged_attention_v2_kernelIfhLi120ELi16ELi128ELNS_18Fp8KVCacheDataTypeE1ELb1ELi512EEEvPfS2_PT_PKS3_PKT0_S9_ifPKiSB_iPKfiiiSD_SD_iiiii.has_indirect_call, 0
	.section	.AMDGPU.csdata,"",@progbits
; Kernel info:
; codeLenInByte = 10488
; TotalNumSgprs: 47
; NumVgprs: 113
; ScratchSize: 0
; MemoryBound: 0
; FloatMode: 240
; IeeeMode: 1
; LDSByteSize: 512 bytes/workgroup (compile time only)
; SGPRBlocks: 0
; VGPRBlocks: 14
; NumSGPRsForWavesPerEU: 47
; NumVGPRsForWavesPerEU: 113
; Occupancy: 12
; WaveLimiterHint : 1
; COMPUTE_PGM_RSRC2:SCRATCH_EN: 0
; COMPUTE_PGM_RSRC2:USER_SGPR: 2
; COMPUTE_PGM_RSRC2:TRAP_HANDLER: 0
; COMPUTE_PGM_RSRC2:TGID_X_EN: 1
; COMPUTE_PGM_RSRC2:TGID_Y_EN: 1
; COMPUTE_PGM_RSRC2:TGID_Z_EN: 1
; COMPUTE_PGM_RSRC2:TIDIG_COMP_CNT: 0
	.section	.text._ZN4vllm25paged_attention_v2_kernelIfhLi128ELi16ELi128ELNS_18Fp8KVCacheDataTypeE1ELb1ELi512EEEvPfS2_PT_PKS3_PKT0_S9_ifPKiSB_iPKfiiiSD_SD_iiiii,"axG",@progbits,_ZN4vllm25paged_attention_v2_kernelIfhLi128ELi16ELi128ELNS_18Fp8KVCacheDataTypeE1ELb1ELi512EEEvPfS2_PT_PKS3_PKT0_S9_ifPKiSB_iPKfiiiSD_SD_iiiii,comdat
	.protected	_ZN4vllm25paged_attention_v2_kernelIfhLi128ELi16ELi128ELNS_18Fp8KVCacheDataTypeE1ELb1ELi512EEEvPfS2_PT_PKS3_PKT0_S9_ifPKiSB_iPKfiiiSD_SD_iiiii ; -- Begin function _ZN4vllm25paged_attention_v2_kernelIfhLi128ELi16ELi128ELNS_18Fp8KVCacheDataTypeE1ELb1ELi512EEEvPfS2_PT_PKS3_PKT0_S9_ifPKiSB_iPKfiiiSD_SD_iiiii
	.globl	_ZN4vllm25paged_attention_v2_kernelIfhLi128ELi16ELi128ELNS_18Fp8KVCacheDataTypeE1ELb1ELi512EEEvPfS2_PT_PKS3_PKT0_S9_ifPKiSB_iPKfiiiSD_SD_iiiii
	.p2align	8
	.type	_ZN4vllm25paged_attention_v2_kernelIfhLi128ELi16ELi128ELNS_18Fp8KVCacheDataTypeE1ELb1ELi512EEEvPfS2_PT_PKS3_PKT0_S9_ifPKiSB_iPKfiiiSD_SD_iiiii,@function
_ZN4vllm25paged_attention_v2_kernelIfhLi128ELi16ELi128ELNS_18Fp8KVCacheDataTypeE1ELb1ELi512EEEvPfS2_PT_PKS3_PKT0_S9_ifPKiSB_iPKfiiiSD_SD_iiiii: ; @_ZN4vllm25paged_attention_v2_kernelIfhLi128ELi16ELi128ELNS_18Fp8KVCacheDataTypeE1ELb1ELi512EEEvPfS2_PT_PKS3_PKT0_S9_ifPKiSB_iPKfiiiSD_SD_iiiii
; %bb.0:
	s_load_b64 s[2:3], s[0:1], 0x40
	s_and_b32 s36, ttmp7, 0xffff
	s_lshr_b32 s33, ttmp7, 16
	s_lshl_b32 s4, s36, 2
	s_lshl_b32 s24, s33, 9
	s_wait_kmcnt 0x0
	s_load_b32 s25, s[2:3], s4 offset:0x0
	s_wait_kmcnt 0x0
	s_cmp_ge_i32 s24, s25
	s_cbranch_scc1 .LBB213_120
; %bb.1:
	s_clause 0x1
	s_load_b32 s37, s[0:1], 0x90
	s_load_b64 s[6:7], s[0:1], 0x30
	s_wait_kmcnt 0x0
	s_abs_i32 s5, s37
	s_abs_i32 s2, s6
	s_delay_alu instid0(SALU_CYCLE_1) | instskip(SKIP_1) | instid1(SALU_CYCLE_2)
	s_cvt_f32_u32 s3, s2
	s_sub_co_i32 s4, 0, s2
	v_rcp_iflag_f32_e32 v1, s3
	s_delay_alu instid0(TRANS32_DEP_1) | instskip(SKIP_2) | instid1(SALU_CYCLE_2)
	v_readfirstlane_b32 s3, v1
	s_mul_f32 s3, s3, 0x4f7ffffe
	s_wait_alu 0xfffe
	s_cvt_u32_f32 s3, s3
	s_wait_alu 0xfffe
	s_delay_alu instid0(SALU_CYCLE_2) | instskip(NEXT) | instid1(SALU_CYCLE_1)
	s_mul_i32 s4, s4, s3
	s_mul_hi_u32 s4, s3, s4
	s_delay_alu instid0(SALU_CYCLE_1)
	s_add_co_i32 s3, s3, s4
	s_xor_b32 s4, s37, s6
	s_wait_alu 0xfffe
	s_mul_hi_u32 s3, s5, s3
	s_ashr_i32 s4, s4, 31
	s_wait_alu 0xfffe
	s_mul_i32 s8, s3, s2
	s_delay_alu instid0(SALU_CYCLE_1)
	s_sub_co_i32 s5, s5, s8
	s_add_co_i32 s8, s3, 1
	s_sub_co_i32 s9, s5, s2
	s_cmp_ge_u32 s5, s2
	s_cselect_b32 s3, s8, s3
	s_cselect_b32 s5, s9, s5
	s_wait_alu 0xfffe
	s_add_co_i32 s8, s3, 1
	s_cmp_ge_u32 s5, s2
	s_mov_b32 s5, 0
	s_cselect_b32 s2, s8, s3
	s_load_b64 s[8:9], s[0:1], 0x50
	s_xor_b32 s2, s2, s4
	s_mov_b32 s18, s5
	s_wait_alu 0xfffe
	s_sub_co_i32 s11, s2, s4
	s_abs_i32 s4, ttmp9
	s_abs_i32 s10, s11
	s_delay_alu instid0(SALU_CYCLE_1) | instskip(SKIP_2) | instid1(SALU_CYCLE_1)
	s_cvt_f32_u32 s2, s10
	s_sub_co_i32 s3, 0, s10
	s_wait_alu 0xfffe
	v_rcp_iflag_f32_e32 v1, s2
	s_delay_alu instid0(TRANS32_DEP_1) | instskip(SKIP_2) | instid1(SALU_CYCLE_2)
	v_readfirstlane_b32 s2, v1
	s_mul_f32 s2, s2, 0x4f7ffffe
	s_wait_alu 0xfffe
	s_cvt_u32_f32 s2, s2
	s_wait_alu 0xfffe
	s_delay_alu instid0(SALU_CYCLE_2)
	s_mul_i32 s3, s3, s2
	s_wait_alu 0xfffe
	s_mul_hi_u32 s3, s2, s3
	s_wait_alu 0xfffe
	s_add_co_i32 s2, s2, s3
	s_mov_b32 s3, s5
	s_wait_kmcnt 0x0
	s_cmp_eq_u64 s[8:9], 0
	s_cbranch_scc1 .LBB213_3
; %bb.2:
	s_mov_b32 s12, ttmp9
	s_ashr_i32 s13, ttmp9, 31
	s_delay_alu instid0(SALU_CYCLE_1) | instskip(NEXT) | instid1(SALU_CYCLE_1)
	s_lshl_b64 s[12:13], s[12:13], 2
	s_add_nc_u64 s[8:9], s[8:9], s[12:13]
	s_load_b32 s18, s[8:9], 0x0
.LBB213_3:
	s_load_b96 s[20:22], s[0:1], 0x58
	s_mul_u64 s[2:3], s[4:5], s[2:3]
	v_and_b32_e32 v1, 1, v0
	v_cmp_gt_u32_e64 s2, 64, v0
	v_lshlrev_b32_e32 v5, 2, v0
	s_ashr_i32 s5, ttmp9, 31
	s_ashr_i32 s8, s11, 31
	s_lshl_b32 s26, ttmp9, 7
	s_wait_alu 0xfffe
	s_and_saveexec_b32 s9, s2
	s_cbranch_execz .LBB213_5
; %bb.4:
	s_load_b64 s[12:13], s[0:1], 0x18
	s_wait_kmcnt 0x0
	s_mul_i32 s14, s20, s36
	s_ashr_i32 s27, s26, 31
	s_ashr_i32 s15, s14, 31
	v_lshlrev_b32_e32 v2, 3, v0
	s_lshl_b64 s[14:15], s[14:15], 2
	v_and_b32_e32 v4, 0xff8, v5
	s_delay_alu instid0(VALU_DEP_1) | instskip(SKIP_2) | instid1(SALU_CYCLE_1)
	v_lshl_add_u32 v4, v1, 8, v4
	s_add_nc_u64 s[12:13], s[12:13], s[14:15]
	s_lshl_b64 s[14:15], s[26:27], 2
	s_add_nc_u64 s[12:13], s[12:13], s[14:15]
	global_load_b64 v[2:3], v2, s[12:13]
	s_wait_loadcnt 0x0
	ds_store_b64 v4, v[2:3]
.LBB213_5:
	s_or_b32 exec_lo, exec_lo, s9
	s_load_b128 s[12:15], s[0:1], 0x78
	s_mul_i32 s9, s3, s10
	s_xor_b32 s5, s5, s8
	s_sub_co_i32 s4, s4, s9
	s_add_co_i32 s8, s3, 1
	s_sub_co_i32 s9, s4, s10
	s_cmp_ge_u32 s4, s10
                                        ; implicit-def: $sgpr27
	s_cselect_b32 s3, s8, s3
	s_cselect_b32 s4, s9, s4
	s_wait_alu 0xfffe
	s_add_co_i32 s8, s3, 1
	s_cmp_ge_u32 s4, s10
	s_mov_b32 s9, -1
	s_cselect_b32 s4, s8, s3
	s_load_b32 s3, s[0:1], 0x88
	s_xor_b32 s4, s4, s5
	s_wait_dscnt 0x0
	s_sub_co_i32 s19, s4, s5
	s_barrier_signal -1
	s_barrier_wait -1
	s_wait_kmcnt 0x0
	s_abs_i32 s20, s15
	global_inv scope:SCOPE_SE
	s_cvt_f32_u32 s8, s20
	s_delay_alu instid0(SALU_CYCLE_3) | instskip(NEXT) | instid1(TRANS32_DEP_1)
	v_rcp_iflag_f32_e32 v2, s8
	v_readfirstlane_b32 s8, v2
	s_mul_f32 s4, s8, 0x4f7ffffe
	s_add_co_i32 s8, s25, -1
	s_delay_alu instid0(SALU_CYCLE_2) | instskip(SKIP_1) | instid1(SALU_CYCLE_2)
	s_cvt_u32_f32 s10, s4
	s_sub_co_i32 s4, 0, s20
	s_mul_i32 s5, s4, s10
	s_wait_alu 0xfffe
	s_abs_i32 s4, s8
	s_mul_hi_u32 s11, s10, s5
	s_mov_b32 s5, 0
	s_add_co_i32 s28, s10, s11
	s_cmp_lt_i32 s3, 0
	s_mov_b32 s29, s5
	s_cbranch_scc0 .LBB213_7
; %bb.6:
	s_mul_i32 s6, s12, s6
	s_mov_b32 s9, s5
	s_add_co_i32 s6, s19, s6
	s_delay_alu instid0(SALU_CYCLE_1) | instskip(NEXT) | instid1(SALU_CYCLE_1)
	s_mul_i32 s6, s6, s3
	s_sub_co_i32 s27, 1, s6
.LBB213_7:
	s_mul_u64 s[16:17], s[4:5], s[28:29]
	s_ashr_i32 s5, s8, 31
	s_wait_alu 0xfffe
	s_and_not1_b32 vcc_lo, exec_lo, s9
	s_ashr_i32 s15, s15, 31
	s_cbranch_vccnz .LBB213_9
; %bb.8:
	s_mul_i32 s6, s37, s12
	s_delay_alu instid0(SALU_CYCLE_1) | instskip(NEXT) | instid1(SALU_CYCLE_1)
	s_add_co_i32 s6, s6, ttmp9
	s_mul_i32 s3, s6, s3
	s_wait_alu 0xfffe
	s_add_co_i32 s27, s3, 1
.LBB213_9:
	s_clause 0x3
	s_load_b32 s3, s[0:1], 0x48
	s_load_b64 s[30:31], s[0:1], 0x38
	s_load_b32 s12, s[0:1], 0x98
	s_load_b128 s[8:11], s[0:1], 0x68
	s_mul_i32 s6, s17, s20
	s_xor_b32 s5, s5, s15
	s_sub_co_i32 s4, s4, s6
	s_add_co_i32 s16, s17, 1
	v_lshrrev_b32_e32 v11, 5, v0
	v_mbcnt_lo_u32_b32 v7, -1, 0
	s_mul_i32 s22, s19, s22
	s_delay_alu instid0(VALU_DEP_2)
	v_lshl_add_u32 v12, v11, 4, s24
	s_wait_kmcnt 0x0
	s_mul_i32 s34, s3, s36
	s_sub_co_i32 s3, s4, s20
	s_ashr_i32 s35, s34, 31
	s_cmp_ge_u32 s4, s20
	s_cselect_b32 s6, s16, s17
	s_wait_alu 0xfffe
	s_cselect_b32 s3, s3, s4
	s_add_co_i32 s4, s6, 1
	s_wait_alu 0xfffe
	s_cmp_ge_u32 s3, s20
	s_cselect_b32 s3, s4, s6
	s_add_co_i32 s4, s25, 15
	s_lshl_b32 s40, s33, 5
	s_ashr_i32 s6, s4, 31
	v_or_b32_e32 v13, s40, v11
	s_lshr_b32 s6, s6, 28
	v_mov_b32_e32 v9, 0xff7fffff
	s_add_co_i32 s4, s4, s6
	s_add_co_i32 s6, s40, 32
	s_ashr_i32 s38, s4, 4
	s_wait_alu 0xfffe
	s_xor_b32 s4, s3, s5
	s_min_i32 s29, s6, s38
	v_lshlrev_b32_e32 v6, 2, v13
	v_cmp_gt_i32_e64 s3, s29, v13
	s_sub_co_i32 s39, s4, s5
	s_and_saveexec_b32 s16, s3
	s_cbranch_execz .LBB213_21
; %bb.10:
	s_sub_co_i32 s17, s39, s13
	s_ashr_i32 s23, s22, 31
	s_cmp_neq_f32 s18, 0
	s_load_b64 s[42:43], s[0:1], 0x20
	v_bfe_u32 v8, v0, 1, 4
	v_lshlrev_b32_e32 v3, 1, v1
	s_cselect_b32 vcc_lo, -1, 0
	s_abs_i32 s19, s14
	v_dual_mov_b32 v17, 0xff7fffff :: v_dual_lshlrev_b32 v10, 8, v1
	s_cvt_f32_u32 s4, s19
	v_lshlrev_b32_e32 v4, 2, v8
	v_subrev_nc_u32_e32 v9, s25, v8
	s_lshl_b64 s[44:45], s[34:35], 2
	v_rcp_iflag_f32_e32 v2, s4
	v_cmp_eq_u32_e64 s4, 0, v1
	v_lshlrev_b32_e32 v1, 4, v8
	v_add_nc_u32_e32 v15, 1, v9
	v_mov_b32_e32 v9, 0xff7fffff
	v_lshl_or_b32 v16, v11, 6, v4
	s_add_nc_u64 s[44:45], s[30:31], s[44:45]
	s_sub_co_i32 s6, 0, s19
	v_lshl_add_u32 v14, v11, 4, s24
	s_wait_kmcnt 0x0
	s_add_nc_u64 s[42:43], s[42:43], s[22:23]
	v_readfirstlane_b32 s5, v2
	v_add_co_u32 v1, s23, s42, v1
	s_delay_alu instid0(VALU_DEP_1)
	v_add_co_ci_u32_e64 v2, null, s43, 0, s23
	s_mul_f32 s5, s5, 0x4f7ffffe
	v_dual_mov_b32 v19, v13 :: v_dual_add_nc_u32 v16, 0x220, v16
	v_xor_b32_e32 v18, 1, v7
	s_wait_alu 0xfffe
	s_cvt_u32_f32 s42, s5
	v_add_co_u32 v1, s5, v1, v3
	s_wait_alu 0xf1ff
	v_add_co_ci_u32_e64 v2, null, 0, v2, s5
	v_add_co_u32 v3, s5, s44, v6
	s_wait_alu 0xfffe
	s_mul_i32 s6, s6, s42
	v_add_co_ci_u32_e64 v4, null, s45, 0, s5
	s_mul_hi_u32 s5, s42, s6
	s_mov_b32 s41, 0
	s_mov_b32 s23, s21
	s_wait_alu 0xfffe
	s_add_co_i32 s42, s42, s5
	s_branch .LBB213_13
.LBB213_11:                             ;   in Loop: Header=BB213_13 Depth=1
	s_wait_alu 0xfffe
	s_or_b32 exec_lo, exec_lo, s43
.LBB213_12:                             ;   in Loop: Header=BB213_13 Depth=1
	s_wait_alu 0xfffe
	s_or_b32 exec_lo, exec_lo, s6
	v_add_nc_u32_e32 v19, 4, v19
	v_add_co_u32 v3, s6, v3, 16
	s_wait_alu 0xf1ff
	v_add_co_ci_u32_e64 v4, null, 0, v4, s6
	s_delay_alu instid0(VALU_DEP_3)
	v_cmp_le_i32_e64 s5, s29, v19
	v_add_nc_u32_e32 v14, 64, v14
	v_add_nc_u32_e32 v16, 0x100, v16
	s_or_b32 s41, s5, s41
	s_wait_alu 0xfffe
	s_and_not1_b32 exec_lo, exec_lo, s41
	s_cbranch_execz .LBB213_20
.LBB213_13:                             ; =>This Inner Loop Header: Depth=1
	v_sub_nc_u32_e32 v20, 0, v14
	s_delay_alu instid0(VALU_DEP_1) | instskip(SKIP_1) | instid1(VALU_DEP_1)
	v_max_i32_e32 v20, v14, v20
	s_wait_dscnt 0x0
	v_mul_hi_u32 v21, v20, s28
	s_delay_alu instid0(VALU_DEP_1) | instskip(NEXT) | instid1(VALU_DEP_1)
	v_mul_lo_u32 v22, v21, s20
	v_sub_nc_u32_e32 v20, v20, v22
	v_add_nc_u32_e32 v22, 1, v21
	s_delay_alu instid0(VALU_DEP_2) | instskip(SKIP_2) | instid1(VALU_DEP_1)
	v_subrev_nc_u32_e32 v23, s20, v20
	v_cmp_le_u32_e64 s5, s20, v20
	s_wait_alu 0xf1ff
	v_cndmask_b32_e64 v21, v21, v22, s5
	s_delay_alu instid0(VALU_DEP_3) | instskip(SKIP_1) | instid1(VALU_DEP_3)
	v_cndmask_b32_e64 v20, v20, v23, s5
	v_ashrrev_i32_e32 v22, 31, v14
	v_add_nc_u32_e32 v23, 1, v21
	s_delay_alu instid0(VALU_DEP_3) | instskip(NEXT) | instid1(VALU_DEP_3)
	v_cmp_le_u32_e64 s5, s20, v20
	v_xor_b32_e32 v22, s15, v22
	s_wait_alu 0xf1ff
	s_delay_alu instid0(VALU_DEP_2) | instskip(NEXT) | instid1(VALU_DEP_1)
	v_cndmask_b32_e64 v20, v21, v23, s5
	v_xor_b32_e32 v20, v20, v22
	s_delay_alu instid0(VALU_DEP_1) | instskip(NEXT) | instid1(VALU_DEP_1)
	v_sub_nc_u32_e32 v20, v20, v22
	v_add_nc_u32_e32 v21, s27, v20
	v_cmp_ge_i32_e64 s6, s17, v20
	s_delay_alu instid0(VALU_DEP_2) | instskip(NEXT) | instid1(VALU_DEP_1)
	v_sub_nc_u32_e32 v22, 0, v21
	v_max_i32_e32 v22, v21, v22
	v_ashrrev_i32_e32 v21, 31, v21
	s_wait_alu 0xfffe
	s_delay_alu instid0(VALU_DEP_2) | instskip(NEXT) | instid1(VALU_DEP_1)
	v_mul_hi_u32 v23, v22, s42
	v_mul_lo_u32 v23, v23, s19
	s_delay_alu instid0(VALU_DEP_1) | instskip(NEXT) | instid1(VALU_DEP_1)
	v_sub_nc_u32_e32 v22, v22, v23
	v_subrev_nc_u32_e32 v23, s19, v22
	v_cmp_le_u32_e64 s5, s19, v22
	s_wait_alu 0xf1ff
	s_delay_alu instid0(VALU_DEP_1) | instskip(NEXT) | instid1(VALU_DEP_1)
	v_cndmask_b32_e64 v22, v22, v23, s5
	v_subrev_nc_u32_e32 v23, s19, v22
	v_cmp_le_u32_e64 s5, s19, v22
	s_wait_alu 0xf1ff
	s_delay_alu instid0(VALU_DEP_1) | instskip(NEXT) | instid1(VALU_DEP_1)
	v_cndmask_b32_e64 v22, v22, v23, s5
	v_xor_b32_e32 v22, v22, v21
	s_delay_alu instid0(VALU_DEP_1) | instskip(NEXT) | instid1(VALU_DEP_1)
	v_sub_nc_u32_e32 v21, v22, v21
	v_cmp_ne_u32_e64 s5, 0, v21
	s_and_b32 s5, s5, s6
	s_wait_alu 0xfffe
	s_and_saveexec_b32 s6, s5
	s_wait_alu 0xfffe
	s_xor_b32 s5, exec_lo, s6
	s_cbranch_execz .LBB213_17
; %bb.14:                               ;   in Loop: Header=BB213_13 Depth=1
	s_and_saveexec_b32 s6, s4
; %bb.15:                               ;   in Loop: Header=BB213_13 Depth=1
	ds_store_b32 v16, v17
; %bb.16:                               ;   in Loop: Header=BB213_13 Depth=1
	s_wait_alu 0xfffe
	s_or_b32 exec_lo, exec_lo, s6
.LBB213_17:                             ;   in Loop: Header=BB213_13 Depth=1
	s_wait_alu 0xfffe
	s_and_not1_saveexec_b32 s6, s5
	s_cbranch_execz .LBB213_12
; %bb.18:                               ;   in Loop: Header=BB213_13 Depth=1
	global_load_b32 v20, v[3:4], off
	s_wait_loadcnt 0x0
	v_mad_co_i64_i32 v[51:52], null, v20, s23, v[1:2]
	s_clause 0x1f
	global_load_u16 v99, v[51:52], off offset:4
	global_load_u16 v49, v[51:52], off offset:8
	;; [unrolled: 1-line block ×7, first 2 shown]
	global_load_u16 v50, v[51:52], off
	global_load_u16 v44, v[51:52], off offset:512
	global_load_u16 v42, v[51:52], off offset:516
	;; [unrolled: 1-line block ×24, first 2 shown]
	s_load_b32 s5, s[8:9], 0x0
	ds_load_b128 v[51:54], v10
	ds_load_b128 v[55:58], v10 offset:16
	ds_load_b128 v[59:62], v10 offset:32
	;; [unrolled: 1-line block ×11, first 2 shown]
	s_wait_loadcnt 0x1f
	v_cvt_pk_f32_fp8_e32 v[115:116], v99
	ds_load_b128 v[99:102], v10 offset:192
	ds_load_b128 v[103:106], v10 offset:208
	ds_load_b128 v[107:110], v10 offset:224
	ds_load_b128 v[111:114], v10 offset:240
	s_wait_kmcnt 0x0
	v_dual_mul_f32 v115, s5, v115 :: v_dual_mul_f32 v116, s5, v116
	s_wait_loadcnt 0x18
	v_cvt_pk_f32_fp8_e32 v[117:118], v50
	v_cvt_pk_f32_fp8_e32 v[49:50], v49
	s_wait_dscnt 0xf
	v_dual_mul_f32 v115, v53, v115 :: v_dual_mul_f32 v116, v54, v116
	s_delay_alu instid0(VALU_DEP_3) | instskip(SKIP_2) | instid1(VALU_DEP_3)
	v_dual_mul_f32 v118, s5, v118 :: v_dual_mul_f32 v117, s5, v117
	v_cvt_pk_f32_fp8_e32 v[53:54], v48
	v_dual_mul_f32 v50, s5, v50 :: v_dual_mul_f32 v49, s5, v49
	v_dual_fmac_f32 v116, v52, v118 :: v_dual_fmac_f32 v115, v51, v117
	v_cvt_pk_f32_fp8_e32 v[47:48], v47
	s_delay_alu instid0(VALU_DEP_4) | instskip(SKIP_1) | instid1(VALU_DEP_3)
	v_dual_mul_f32 v51, s5, v54 :: v_dual_mul_f32 v52, s5, v53
	s_wait_dscnt 0xe
	v_dual_fmac_f32 v116, v56, v50 :: v_dual_fmac_f32 v115, v55, v49
	v_cvt_pk_f32_fp8_e32 v[49:50], v46
	v_dual_mul_f32 v47, s5, v47 :: v_dual_mul_f32 v48, s5, v48
	s_delay_alu instid0(VALU_DEP_3) | instskip(SKIP_1) | instid1(VALU_DEP_4)
	v_dual_fmac_f32 v116, v58, v51 :: v_dual_fmac_f32 v115, v57, v52
	v_cvt_pk_f32_fp8_e32 v[45:46], v45
	v_dual_mul_f32 v50, s5, v50 :: v_dual_mul_f32 v49, s5, v49
	s_wait_dscnt 0xd
	s_delay_alu instid0(VALU_DEP_3) | instskip(SKIP_2) | instid1(VALU_DEP_3)
	v_dual_fmac_f32 v116, v60, v48 :: v_dual_fmac_f32 v115, v59, v47
	v_cvt_pk_f32_fp8_e32 v[47:48], v43
	v_dual_mul_f32 v45, s5, v45 :: v_dual_mul_f32 v46, s5, v46
	v_dual_fmac_f32 v116, v62, v50 :: v_dual_fmac_f32 v115, v61, v49
	s_wait_loadcnt 0x17
	v_cvt_pk_f32_fp8_e32 v[43:44], v44
	v_dual_mul_f32 v48, s5, v48 :: v_dual_mul_f32 v47, s5, v47
	s_wait_dscnt 0xc
	v_dual_fmac_f32 v116, v64, v46 :: v_dual_fmac_f32 v115, v63, v45
	s_wait_loadcnt 0x16
	v_cvt_pk_f32_fp8_e32 v[45:46], v42
	v_dual_mul_f32 v43, s5, v43 :: v_dual_mul_f32 v44, s5, v44
	s_delay_alu instid0(VALU_DEP_3)
	v_dual_fmac_f32 v116, v66, v48 :: v_dual_fmac_f32 v115, v65, v47
	s_wait_loadcnt 0x15
	v_cvt_pk_f32_fp8_e32 v[41:42], v41
	v_dual_mul_f32 v46, s5, v46 :: v_dual_mul_f32 v45, s5, v45
	s_wait_dscnt 0xb
	v_dual_fmac_f32 v116, v68, v44 :: v_dual_fmac_f32 v115, v67, v43
	s_wait_loadcnt 0x14
	v_cvt_pk_f32_fp8_e32 v[43:44], v40
	v_dual_mul_f32 v42, s5, v42 :: v_dual_mul_f32 v41, s5, v41
	s_delay_alu instid0(VALU_DEP_3)
	;; [unrolled: 10-line block ×11, first 2 shown]
	v_dual_fmac_f32 v116, v28, v106 :: v_dual_fmac_f32 v115, v27, v105
	s_wait_loadcnt 0x1
	v_cvt_pk_f32_fp8_e32 v[21:22], v21
	v_dual_mul_f32 v26, s5, v26 :: v_dual_mul_f32 v25, s5, v25
	s_wait_dscnt 0x1
	v_dual_fmac_f32 v116, v24, v108 :: v_dual_fmac_f32 v115, v23, v107
	s_wait_loadcnt 0x0
	v_cvt_pk_f32_fp8_e32 v[23:24], v20
	v_dual_mul_f32 v20, s5, v22 :: v_dual_mul_f32 v21, s5, v21
	s_delay_alu instid0(VALU_DEP_3) | instskip(NEXT) | instid1(VALU_DEP_3)
	v_dual_fmac_f32 v116, v26, v110 :: v_dual_fmac_f32 v115, v25, v109
	v_dual_mul_f32 v22, s5, v24 :: v_dual_mul_f32 v23, s5, v23
	v_cmp_gt_i32_e64 s5, 32, v18
	s_wait_dscnt 0x0
	s_delay_alu instid0(VALU_DEP_3) | instskip(SKIP_1) | instid1(VALU_DEP_2)
	v_dual_fmac_f32 v116, v20, v112 :: v_dual_fmac_f32 v115, v21, v111
	s_wait_alu 0xf1ff
	v_cndmask_b32_e64 v20, v7, v18, s5
	s_delay_alu instid0(VALU_DEP_2) | instskip(NEXT) | instid1(VALU_DEP_2)
	v_dual_fmac_f32 v116, v22, v114 :: v_dual_fmac_f32 v115, v23, v113
	v_lshlrev_b32_e32 v21, 2, v20
	s_delay_alu instid0(VALU_DEP_2)
	v_add_f32_e32 v20, v115, v116
	ds_bpermute_b32 v21, v21, v20
	s_and_saveexec_b32 s43, s4
	s_cbranch_execz .LBB213_11
; %bb.19:                               ;   in Loop: Header=BB213_13 Depth=1
	s_wait_dscnt 0x0
	v_add_f32_e32 v20, v20, v21
	v_add_nc_u32_e32 v22, v15, v14
	s_delay_alu instid0(VALU_DEP_1) | instskip(NEXT) | instid1(VALU_DEP_1)
	v_cvt_f32_i32_e32 v22, v22
	v_mul_f32_e32 v22, s18, v22
	s_delay_alu instid0(VALU_DEP_1) | instskip(NEXT) | instid1(VALU_DEP_1)
	v_dual_cndmask_b32 v21, 0, v22 :: v_dual_max_num_f32 v22, v9, v9
	v_dual_fmac_f32 v21, s7, v20 :: v_dual_add_nc_u32 v20, v8, v14
	s_delay_alu instid0(VALU_DEP_1) | instskip(NEXT) | instid1(VALU_DEP_2)
	v_max_num_f32_e32 v22, v22, v21
	v_cmp_gt_i32_e64 s5, s25, v20
	s_wait_alu 0xf1ff
	s_delay_alu instid0(VALU_DEP_1) | instskip(NEXT) | instid1(VALU_DEP_3)
	v_cndmask_b32_e64 v20, 0, v21, s5
	v_cndmask_b32_e64 v9, v9, v22, s5
	ds_store_b32 v16, v20
	s_branch .LBB213_11
.LBB213_20:
	s_or_b32 exec_lo, exec_lo, s41
.LBB213_21:
	s_delay_alu instid0(SALU_CYCLE_1)
	s_or_b32 exec_lo, exec_lo, s16
	v_xor_b32_e32 v1, 16, v7
	v_xor_b32_e32 v3, 8, v7
	;; [unrolled: 1-line block ×3, first 2 shown]
	s_clause 0x2
	s_load_b128 s[16:19], s[0:1], 0x0
	s_load_b64 s[6:7], s[0:1], 0x10
	s_load_b64 s[8:9], s[0:1], 0x28
	v_and_b32_e32 v14, 31, v0
	v_cmp_gt_i32_e32 vcc_lo, 32, v1
	s_wait_alu 0xfffd
	v_cndmask_b32_e32 v1, v7, v1, vcc_lo
	v_cmp_gt_i32_e32 vcc_lo, 32, v3
	s_wait_alu 0xfffd
	s_delay_alu instid0(VALU_DEP_2)
	v_dual_cndmask_b32 v3, v7, v3 :: v_dual_lshlrev_b32 v2, 2, v1
	v_max_num_f32_e32 v4, v9, v9
	v_cmp_gt_i32_e32 vcc_lo, 32, v8
	ds_bpermute_b32 v1, v2, v9
	v_lshlrev_b32_e32 v3, 2, v3
	v_xor_b32_e32 v9, 2, v7
	s_wait_alu 0xfffd
	v_cndmask_b32_e32 v8, v7, v8, vcc_lo
	s_delay_alu instid0(VALU_DEP_2) | instskip(SKIP_1) | instid1(VALU_DEP_2)
	v_cmp_gt_i32_e32 vcc_lo, 32, v9
	s_wait_alu 0xfffd
	v_dual_cndmask_b32 v9, v7, v9 :: v_dual_lshlrev_b32 v8, 2, v8
	v_cmp_eq_u32_e32 vcc_lo, 0, v14
	s_delay_alu instid0(VALU_DEP_2) | instskip(SKIP_3) | instid1(VALU_DEP_1)
	v_lshlrev_b32_e32 v15, 2, v9
	v_lshlrev_b32_e32 v9, 2, v11
	s_wait_dscnt 0x0
	v_max_num_f32_e32 v1, v1, v1
	v_max_num_f32_e32 v1, v4, v1
	ds_bpermute_b32 v4, v3, v1
	s_wait_dscnt 0x0
	v_max_num_f32_e32 v4, v4, v4
	s_delay_alu instid0(VALU_DEP_1) | instskip(SKIP_3) | instid1(VALU_DEP_1)
	v_max_num_f32_e32 v1, v1, v4
	ds_bpermute_b32 v4, v8, v1
	s_wait_dscnt 0x0
	v_max_num_f32_e32 v4, v4, v4
	v_max_num_f32_e32 v1, v1, v4
	ds_bpermute_b32 v4, v15, v1
	s_and_saveexec_b32 s0, vcc_lo
	s_cbranch_execz .LBB213_23
; %bb.22:
	s_wait_dscnt 0x0
	v_dual_max_num_f32 v4, v4, v4 :: v_dual_max_num_f32 v1, v1, v1
	s_delay_alu instid0(VALU_DEP_1)
	v_max_num_f32_e32 v1, v1, v4
	ds_store_b32 v9, v1 offset:512
.LBB213_23:
	s_or_b32 exec_lo, exec_lo, s0
	v_cmp_gt_u32_e64 s0, 4, v14
	v_dual_mov_b32 v1, 0xff7fffff :: v_dual_lshlrev_b32 v10, 2, v14
	s_wait_loadcnt_dscnt 0x0
	s_barrier_signal -1
	s_barrier_wait -1
	global_inv scope:SCOPE_SE
	s_and_saveexec_b32 s1, s0
; %bb.24:
	ds_load_b32 v1, v10 offset:512
; %bb.25:
	s_or_b32 exec_lo, exec_lo, s1
	s_wait_dscnt 0x0
	ds_bpermute_b32 v4, v15, v1
	v_xor_b32_e32 v16, 1, v7
	v_max_num_f32_e32 v1, v1, v1
	s_delay_alu instid0(VALU_DEP_2) | instskip(NEXT) | instid1(VALU_DEP_1)
	v_cmp_gt_i32_e64 s1, 32, v16
	v_cndmask_b32_e64 v7, v7, v16, s1
	s_sub_co_i32 s1, s29, s40
	s_wait_alu 0xfffe
	s_lshl_b32 s1, s1, 4
	s_wait_alu 0xfffe
	s_add_co_i32 s1, s1, s24
	s_wait_alu 0xfffe
	s_min_i32 s1, s1, s25
	s_wait_alu 0xfffe
	s_sub_co_i32 s5, s1, s24
	s_wait_dscnt 0x0
	v_max_num_f32_e32 v4, v4, v4
	v_lshlrev_b32_e32 v16, 2, v7
	s_wait_alu 0xfffe
	v_cmp_gt_i32_e64 s1, s5, v0
	v_mov_b32_e32 v7, 0
	v_max_num_f32_e32 v1, v1, v4
	ds_bpermute_b32 v4, v16, v1
	s_wait_dscnt 0x0
	v_max_num_f32_e32 v4, v4, v4
	s_delay_alu instid0(VALU_DEP_1)
	v_max_num_f32_e32 v1, v1, v4
	v_lshl_add_u32 v4, v0, 2, 0x220
	ds_bpermute_b32 v1, v7, v1
	s_and_saveexec_b32 s23, s1
	s_cbranch_execz .LBB213_29
; %bb.26:
	v_lshl_add_u32 v17, v0, 2, 0x220
	v_dual_mov_b32 v7, 0 :: v_dual_mov_b32 v18, v0
	s_mov_b32 s40, 0
.LBB213_27:                             ; =>This Inner Loop Header: Depth=1
	ds_load_b32 v19, v17
	v_add_nc_u32_e32 v18, 0x80, v18
	s_delay_alu instid0(VALU_DEP_1) | instskip(SKIP_4) | instid1(VALU_DEP_1)
	v_cmp_le_i32_e64 s4, s5, v18
	s_wait_alu 0xfffe
	s_or_b32 s40, s4, s40
	s_wait_dscnt 0x0
	v_sub_f32_e32 v19, v19, v1
	v_mul_f32_e32 v19, 0x3fb8aa3b, v19
	s_delay_alu instid0(VALU_DEP_1)
	v_exp_f32_e32 v19, v19
	ds_store_b32 v17, v19
	v_add_f32_e32 v7, v7, v19
	v_add_nc_u32_e32 v17, 0x200, v17
	s_wait_alu 0xfffe
	s_and_not1_b32 exec_lo, exec_lo, s40
	s_cbranch_execnz .LBB213_27
; %bb.28:
	s_or_b32 exec_lo, exec_lo, s40
.LBB213_29:
	s_wait_alu 0xfffe
	s_or_b32 exec_lo, exec_lo, s23
	ds_bpermute_b32 v2, v2, v7
	s_wait_dscnt 0x0
	v_add_f32_e32 v2, v7, v2
	ds_bpermute_b32 v3, v3, v2
	s_wait_dscnt 0x0
	v_add_f32_e32 v2, v2, v3
	;; [unrolled: 3-line block ×5, first 2 shown]
	s_and_saveexec_b32 s4, vcc_lo
; %bb.30:
	ds_store_b32 v9, v2 offset:528
; %bb.31:
	s_wait_alu 0xfffe
	s_or_b32 exec_lo, exec_lo, s4
	s_wait_loadcnt_dscnt 0x0
	s_barrier_signal -1
	s_barrier_wait -1
	global_inv scope:SCOPE_SE
	s_and_saveexec_b32 s4, s0
; %bb.32:
	ds_load_b32 v2, v10 offset:528
; %bb.33:
	s_wait_alu 0xfffe
	s_or_b32 exec_lo, exec_lo, s4
	s_wait_dscnt 0x0
	ds_bpermute_b32 v3, v15, v2
	s_wait_dscnt 0x0
	v_add_f32_e32 v2, v2, v3
	ds_bpermute_b32 v3, v16, v2
	s_wait_dscnt 0x0
	v_dual_add_f32 v2, v2, v3 :: v_dual_mov_b32 v3, 0
	ds_bpermute_b32 v2, v3, v2
	s_and_saveexec_b32 s0, s1
	s_cbranch_execz .LBB213_36
; %bb.34:
	s_wait_dscnt 0x0
	v_add_f32_e32 v3, 0x358637bd, v2
	s_mov_b32 s1, 0
	s_delay_alu instid0(VALU_DEP_1) | instskip(NEXT) | instid1(VALU_DEP_1)
	v_div_scale_f32 v7, null, v3, v3, 1.0
	v_rcp_f32_e32 v8, v7
	s_delay_alu instid0(TRANS32_DEP_1) | instskip(NEXT) | instid1(VALU_DEP_1)
	v_fma_f32 v9, -v7, v8, 1.0
	v_fmac_f32_e32 v8, v9, v8
	v_div_scale_f32 v10, vcc_lo, 1.0, v3, 1.0
	s_delay_alu instid0(VALU_DEP_1) | instskip(NEXT) | instid1(VALU_DEP_1)
	v_mul_f32_e32 v9, v10, v8
	v_fma_f32 v17, -v7, v9, v10
	s_delay_alu instid0(VALU_DEP_1) | instskip(NEXT) | instid1(VALU_DEP_1)
	v_fmac_f32_e32 v9, v17, v8
	v_fma_f32 v7, -v7, v9, v10
	s_wait_alu 0xfffd
	s_delay_alu instid0(VALU_DEP_1) | instskip(NEXT) | instid1(VALU_DEP_1)
	v_div_fmas_f32 v7, v7, v8, v9
	v_div_fixup_f32 v3, v7, v3, 1.0
	v_mov_b32_e32 v7, v0
.LBB213_35:                             ; =>This Inner Loop Header: Depth=1
	ds_load_b32 v8, v4
	s_wait_dscnt 0x0
	v_dual_mul_f32 v8, v3, v8 :: v_dual_add_nc_u32 v7, 0x80, v7
	s_delay_alu instid0(VALU_DEP_1)
	v_cmp_le_i32_e32 vcc_lo, s5, v7
	ds_store_b32 v4, v8
	v_add_nc_u32_e32 v4, 0x200, v4
	s_wait_alu 0xfffe
	s_or_b32 s1, vcc_lo, s1
	s_wait_alu 0xfffe
	s_and_not1_b32 exec_lo, exec_lo, s1
	s_cbranch_execnz .LBB213_35
.LBB213_36:
	s_wait_alu 0xfffe
	s_or_b32 exec_lo, exec_lo, s0
	s_mul_i32 s0, s12, s36
	s_wait_loadcnt_dscnt 0x0
	s_wait_alu 0xfffe
	s_mul_i32 s4, s0, s37
	s_mov_b32 s0, exec_lo
	s_barrier_signal -1
	s_barrier_wait -1
	global_inv scope:SCOPE_SE
	v_cmpx_eq_u32_e32 0, v0
	s_cbranch_execz .LBB213_38
; %bb.37:
	s_wait_alu 0xfffe
	s_ashr_i32 s5, s4, 31
	s_mul_i32 s36, s12, ttmp9
	s_lshl_b32 s1, s33, 2
	s_wait_alu 0xfffe
	s_lshl_b64 s[40:41], s[4:5], 2
	s_ashr_i32 s37, s36, 31
	v_mov_b32_e32 v3, s1
	s_wait_kmcnt 0x0
	s_wait_alu 0xfffe
	s_add_nc_u64 s[18:19], s[18:19], s[40:41]
	s_lshl_b64 s[36:37], s[36:37], 2
	s_add_nc_u64 s[16:17], s[16:17], s[40:41]
	s_wait_alu 0xfffe
	s_add_nc_u64 s[18:19], s[18:19], s[36:37]
	s_add_nc_u64 s[16:17], s[16:17], s[36:37]
	s_clause 0x1
	global_store_b32 v3, v1, s[18:19]
	global_store_b32 v3, v2, s[16:17]
.LBB213_38:
	s_wait_alu 0xfffe
	s_or_b32 exec_lo, exec_lo, s0
	v_dual_mov_b32 v32, 0 :: v_dual_and_b32 v17, 3, v0
	v_dual_mov_b32 v33, 0 :: v_dual_mov_b32 v30, 0
	v_dual_mov_b32 v31, 0 :: v_dual_mov_b32 v28, 0
	;; [unrolled: 1-line block ×7, first 2 shown]
	v_mov_b32_e32 v19, 0
	s_and_saveexec_b32 s1, s3
	s_cbranch_execz .LBB213_76
; %bb.39:
	s_abs_i32 s3, s14
	v_dual_mov_b32 v18, 0 :: v_dual_lshlrev_b32 v3, 4, v17
	s_wait_alu 0xfffe
	s_cvt_f32_u32 s0, s3
	v_dual_mov_b32 v21, 0 :: v_dual_and_b32 v2, 0x7c, v5
	s_ashr_i32 s23, s22, 31
	s_wait_alu 0xfffe
	v_rcp_iflag_f32_e32 v1, s0
	s_wait_kmcnt 0x0
	s_lshl_b64 s[16:17], s[34:35], 2
	s_add_nc_u64 s[8:9], s[8:9], s[22:23]
	s_wait_alu 0xfffe
	s_add_nc_u64 s[16:17], s[30:31], s[16:17]
	s_sub_co_i32 s14, 0, s3
	v_dual_mov_b32 v19, 0 :: v_dual_and_b32 v34, 12, v5
	s_wait_alu 0xfffe
	v_add_co_u32 v5, s16, s16, v6
	v_add_co_u32 v7, s8, s8, v2
	v_readfirstlane_b32 s0, v1
	v_lshl_or_b32 v1, v11, 6, v3
	s_wait_alu 0xf1ff
	v_add_co_ci_u32_e64 v6, null, s17, 0, s16
	v_add_co_ci_u32_e64 v8, null, s9, 0, s8
	s_mul_f32 s0, s0, 0x4f7ffffe
	v_dual_mov_b32 v20, 0 :: v_dual_add_nc_u32 v35, 0x220, v1
	v_dual_mov_b32 v22, 0 :: v_dual_mov_b32 v23, 0
	s_wait_alu 0xfffe
	s_cvt_u32_f32 s0, s0
	v_dual_mov_b32 v24, 0 :: v_dual_mov_b32 v25, 0
	v_dual_mov_b32 v26, 0 :: v_dual_mov_b32 v27, 0
	s_wait_alu 0xfffe
	s_mul_i32 s14, s14, s0
	v_dual_mov_b32 v28, 0 :: v_dual_mov_b32 v29, 0
	v_dual_mov_b32 v30, 0 :: v_dual_mov_b32 v31, 0
	;; [unrolled: 1-line block ×3, first 2 shown]
	s_wait_alu 0xfffe
	s_mul_hi_u32 s9, s0, s14
	s_sub_co_i32 s5, s39, s13
	s_mov_b32 s13, s21
	s_add_co_i32 s38, s38, -1
	s_mov_b32 s8, 0
	s_wait_alu 0xfffe
	s_add_co_i32 s9, s0, s9
	s_branch .LBB213_42
.LBB213_40:                             ;   in Loop: Header=BB213_42 Depth=1
	s_wait_alu 0xfffe
	s_or_b32 exec_lo, exec_lo, s0
	s_wait_dscnt 0x0
	v_mul_f32_e32 v53, v1, v97
	v_mul_f32_e32 v52, v1, v101
	;; [unrolled: 1-line block ×5, first 2 shown]
	v_fmac_f32_e32 v53, v2, v96
	v_fmac_f32_e32 v52, v2, v100
	;; [unrolled: 1-line block ×3, first 2 shown]
	v_dual_fmac_f32 v54, v2, v90 :: v_dual_mul_f32 v83, v1, v83
	v_mul_f32_e32 v51, v1, v51
	v_mul_f32_e32 v47, v1, v47
	s_delay_alu instid0(VALU_DEP_3) | instskip(NEXT) | instid1(VALU_DEP_4)
	v_dual_mul_f32 v43, v1, v43 :: v_dual_fmac_f32 v54, v3, v89
	v_dual_fmac_f32 v52, v3, v99 :: v_dual_fmac_f32 v83, v2, v82
	v_mul_f32_e32 v79, v1, v79
	s_delay_alu instid0(VALU_DEP_3) | instskip(NEXT) | instid1(VALU_DEP_3)
	v_dual_mul_f32 v39, v1, v39 :: v_dual_fmac_f32 v54, v4, v88
	v_fmac_f32_e32 v52, v4, v98
	v_fmac_f32_e32 v51, v2, v50
	s_delay_alu instid0(VALU_DEP_4) | instskip(NEXT) | instid1(VALU_DEP_4)
	v_fmac_f32_e32 v79, v2, v78
	v_fmac_f32_e32 v39, v2, v38
	v_add_f32_e32 v21, v21, v54
	v_dual_add_f32 v19, v19, v52 :: v_dual_mul_f32 v52, v1, v75
	s_delay_alu instid0(VALU_DEP_4) | instskip(SKIP_2) | instid1(VALU_DEP_3)
	v_fmac_f32_e32 v79, v3, v77
	v_fmac_f32_e32 v53, v3, v95
	v_dual_mul_f32 v54, v1, v67 :: v_dual_fmac_f32 v51, v3, v49
	v_dual_fmac_f32 v52, v2, v74 :: v_dual_fmac_f32 v79, v4, v76
	v_fmac_f32_e32 v55, v3, v85
	s_delay_alu instid0(VALU_DEP_4) | instskip(NEXT) | instid1(VALU_DEP_4)
	v_fmac_f32_e32 v53, v4, v94
	v_dual_fmac_f32 v54, v2, v66 :: v_dual_fmac_f32 v51, v4, v48
	s_delay_alu instid0(VALU_DEP_4) | instskip(NEXT) | instid1(VALU_DEP_4)
	v_add_f32_e32 v24, v24, v79
	v_fmac_f32_e32 v55, v4, v84
	v_fmac_f32_e32 v83, v3, v81
	v_dual_add_f32 v20, v20, v53 :: v_dual_mul_f32 v53, v1, v71
	s_delay_alu instid0(VALU_DEP_3)
	v_dual_fmac_f32 v39, v3, v37 :: v_dual_add_f32 v22, v22, v55
	v_mul_f32_e32 v55, v1, v63
	v_mul_f32_e32 v1, v1, v92
	v_fmac_f32_e32 v59, v2, v58
	v_fmac_f32_e32 v47, v2, v46
	;; [unrolled: 1-line block ×5, first 2 shown]
	v_dual_fmac_f32 v83, v4, v80 :: v_dual_fmac_f32 v52, v3, v73
	v_fmac_f32_e32 v54, v3, v65
	v_fmac_f32_e32 v59, v3, v57
	s_delay_alu instid0(VALU_DEP_4) | instskip(SKIP_3) | instid1(VALU_DEP_4)
	v_fmac_f32_e32 v1, v3, v10
	v_fmac_f32_e32 v47, v3, v45
	;; [unrolled: 1-line block ×3, first 2 shown]
	v_dual_add_f32 v23, v23, v83 :: v_dual_fmac_f32 v54, v4, v64
	v_dual_fmac_f32 v1, v4, v9 :: v_dual_add_f32 v30, v30, v51
	v_fmac_f32_e32 v52, v4, v72
	v_fmac_f32_e32 v59, v4, v56
	s_delay_alu instid0(VALU_DEP_3)
	v_dual_fmac_f32 v47, v4, v44 :: v_dual_add_f32 v18, v18, v1
	v_fmac_f32_e32 v53, v2, v70
	v_fmac_f32_e32 v43, v4, v40
	v_add_f32_e32 v25, v25, v52
	v_add_f32_e32 v27, v27, v54
	;; [unrolled: 1-line block ×3, first 2 shown]
	v_dual_fmac_f32 v53, v3, v69 :: v_dual_add_f32 v32, v32, v39
	v_add_f32_e32 v31, v31, v47
	v_add_f32_e32 v33, v33, v43
	s_delay_alu instid0(VALU_DEP_3) | instskip(NEXT) | instid1(VALU_DEP_1)
	v_fmac_f32_e32 v53, v4, v68
	v_add_f32_e32 v26, v26, v53
	v_fmac_f32_e32 v55, v2, v62
	s_delay_alu instid0(VALU_DEP_1) | instskip(NEXT) | instid1(VALU_DEP_1)
	v_fmac_f32_e32 v55, v3, v61
	v_fmac_f32_e32 v55, v4, v60
	s_delay_alu instid0(VALU_DEP_1)
	v_add_f32_e32 v28, v28, v55
.LBB213_41:                             ;   in Loop: Header=BB213_42 Depth=1
	s_wait_alu 0xfffe
	s_or_b32 exec_lo, exec_lo, s14
	v_add_nc_u32_e32 v13, 4, v13
	v_add_co_u32 v5, s0, v5, 16
	s_wait_alu 0xf1ff
	v_add_co_ci_u32_e64 v6, null, 0, v6, s0
	s_delay_alu instid0(VALU_DEP_3)
	v_cmp_le_i32_e32 vcc_lo, s29, v13
	v_add_nc_u32_e32 v12, 64, v12
	v_add_nc_u32_e32 v35, 0x100, v35
	s_or_b32 s8, vcc_lo, s8
	s_wait_alu 0xfffe
	s_and_not1_b32 exec_lo, exec_lo, s8
	s_cbranch_execz .LBB213_75
.LBB213_42:                             ; =>This Inner Loop Header: Depth=1
	v_sub_nc_u32_e32 v1, 0, v12
	s_delay_alu instid0(VALU_DEP_1) | instskip(NEXT) | instid1(VALU_DEP_1)
	v_max_i32_e32 v1, v12, v1
	v_mul_hi_u32 v2, v1, s28
	s_delay_alu instid0(VALU_DEP_1) | instskip(NEXT) | instid1(VALU_DEP_1)
	v_mul_lo_u32 v3, v2, s20
	v_sub_nc_u32_e32 v1, v1, v3
	v_add_nc_u32_e32 v3, 1, v2
	s_delay_alu instid0(VALU_DEP_2) | instskip(SKIP_2) | instid1(VALU_DEP_2)
	v_subrev_nc_u32_e32 v4, s20, v1
	v_cmp_le_u32_e32 vcc_lo, s20, v1
	s_wait_alu 0xfffd
	v_dual_cndmask_b32 v2, v2, v3 :: v_dual_cndmask_b32 v1, v1, v4
	v_ashrrev_i32_e32 v3, 31, v12
	s_delay_alu instid0(VALU_DEP_2) | instskip(NEXT) | instid1(VALU_DEP_3)
	v_add_nc_u32_e32 v4, 1, v2
	v_cmp_le_u32_e32 vcc_lo, s20, v1
	s_delay_alu instid0(VALU_DEP_3) | instskip(SKIP_1) | instid1(VALU_DEP_3)
	v_xor_b32_e32 v3, s15, v3
	s_wait_alu 0xfffd
	v_cndmask_b32_e32 v1, v2, v4, vcc_lo
	s_delay_alu instid0(VALU_DEP_1) | instskip(NEXT) | instid1(VALU_DEP_1)
	v_xor_b32_e32 v1, v1, v3
	v_sub_nc_u32_e32 v1, v1, v3
	s_delay_alu instid0(VALU_DEP_1) | instskip(SKIP_1) | instid1(VALU_DEP_2)
	v_add_nc_u32_e32 v2, s27, v1
	v_cmp_lt_i32_e64 s0, s5, v1
	v_sub_nc_u32_e32 v3, 0, v2
	s_delay_alu instid0(VALU_DEP_1) | instskip(SKIP_1) | instid1(VALU_DEP_1)
	v_max_i32_e32 v3, v2, v3
	s_wait_alu 0xfffe
	v_mul_hi_u32 v4, v3, s9
	s_delay_alu instid0(VALU_DEP_1) | instskip(NEXT) | instid1(VALU_DEP_1)
	v_mul_lo_u32 v4, v4, s3
	v_sub_nc_u32_e32 v3, v3, v4
	s_delay_alu instid0(VALU_DEP_1) | instskip(SKIP_2) | instid1(VALU_DEP_2)
	v_subrev_nc_u32_e32 v4, s3, v3
	v_cmp_le_u32_e32 vcc_lo, s3, v3
	s_wait_alu 0xfffd
	v_cndmask_b32_e32 v3, v3, v4, vcc_lo
	v_ashrrev_i32_e32 v2, 31, v2
	s_delay_alu instid0(VALU_DEP_2) | instskip(SKIP_2) | instid1(VALU_DEP_2)
	v_subrev_nc_u32_e32 v4, s3, v3
	v_cmp_le_u32_e32 vcc_lo, s3, v3
	s_wait_alu 0xfffd
	v_cndmask_b32_e32 v3, v3, v4, vcc_lo
	s_delay_alu instid0(VALU_DEP_1) | instskip(NEXT) | instid1(VALU_DEP_1)
	v_xor_b32_e32 v3, v3, v2
	v_sub_nc_u32_e32 v2, v3, v2
	s_delay_alu instid0(VALU_DEP_1)
	v_cmp_eq_u32_e32 vcc_lo, 0, v2
	s_or_b32 s0, vcc_lo, s0
	s_wait_alu 0xfffe
	s_and_saveexec_b32 s14, s0
	s_cbranch_execz .LBB213_41
; %bb.43:                               ;   in Loop: Header=BB213_42 Depth=1
	global_load_b32 v1, v[5:6], off
	s_load_b32 s16, s[10:11], 0x0
	v_add_nc_u32_e32 v52, v34, v12
	v_cmp_eq_u32_e32 vcc_lo, s38, v13
	s_delay_alu instid0(VALU_DEP_2)
	v_add_nc_u32_e32 v54, 1, v52
	v_add_nc_u32_e32 v55, 3, v52
	s_wait_loadcnt 0x0
	v_mad_co_i64_i32 v[9:10], null, v1, s13, v[7:8]
	ds_load_b128 v[1:4], v35
	global_load_b32 v36, v[9:10], off
	s_wait_loadcnt 0x0
	v_lshrrev_b32_e32 v38, 16, v36
	s_delay_alu instid0(VALU_DEP_1) | instskip(SKIP_1) | instid1(VALU_DEP_1)
	v_cvt_pk_f32_fp8_e32 v[40:41], v38
	v_and_b32_e32 v37, 0xffff, v36
	v_cvt_pk_f32_fp8_e32 v[36:37], v37
	s_wait_kmcnt 0x0
	s_delay_alu instid0(VALU_DEP_1) | instskip(NEXT) | instid1(VALU_DEP_2)
	v_dual_mul_f32 v38, s16, v37 :: v_dual_add_nc_u32 v53, 2, v52
	v_mul_f32_e32 v39, s16, v36
	v_dual_mul_f32 v37, s16, v40 :: v_dual_mul_f32 v36, s16, v41
	s_and_saveexec_b32 s17, vcc_lo
	s_cbranch_execz .LBB213_45
; %bb.44:                               ;   in Loop: Header=BB213_42 Depth=1
	v_cmp_gt_i32_e64 s0, s25, v52
	s_wait_alu 0xf1ff
	s_delay_alu instid0(VALU_DEP_1) | instskip(SKIP_2) | instid1(VALU_DEP_1)
	v_cndmask_b32_e64 v39, 0, v39, s0
	v_cmp_gt_i32_e64 s0, s25, v54
	s_wait_alu 0xf1ff
	v_cndmask_b32_e64 v38, 0, v38, s0
	v_cmp_gt_i32_e64 s0, s25, v53
	s_wait_alu 0xf1ff
	s_delay_alu instid0(VALU_DEP_1) | instskip(SKIP_2) | instid1(VALU_DEP_1)
	v_cndmask_b32_e64 v37, 0, v37, s0
	v_cmp_gt_i32_e64 s0, s25, v55
	s_wait_alu 0xf1ff
	v_cndmask_b32_e64 v36, 0, v36, s0
.LBB213_45:                             ;   in Loop: Header=BB213_42 Depth=1
	s_wait_alu 0xfffe
	s_or_b32 exec_lo, exec_lo, s17
	global_load_b32 v40, v[9:10], off offset:128
	s_mov_b32 s17, s16
	s_wait_loadcnt 0x0
	v_lshrrev_b32_e32 v42, 16, v40
	s_delay_alu instid0(VALU_DEP_1) | instskip(SKIP_1) | instid1(VALU_DEP_1)
	v_cvt_pk_f32_fp8_e32 v[44:45], v42
	v_and_b32_e32 v41, 0xffff, v40
	v_cvt_pk_f32_fp8_e32 v[40:41], v41
	s_wait_alu 0xfffe
	s_delay_alu instid0(VALU_DEP_1)
	v_dual_mul_f32 v43, s16, v40 :: v_dual_mul_f32 v42, s17, v41
	v_dual_mul_f32 v41, s16, v44 :: v_dual_mul_f32 v40, s17, v45
	s_and_saveexec_b32 s18, vcc_lo
	s_cbranch_execz .LBB213_47
; %bb.46:                               ;   in Loop: Header=BB213_42 Depth=1
	v_cmp_gt_i32_e64 s0, s25, v52
	s_wait_alu 0xf1ff
	s_delay_alu instid0(VALU_DEP_1) | instskip(SKIP_2) | instid1(VALU_DEP_1)
	v_cndmask_b32_e64 v43, 0, v43, s0
	v_cmp_gt_i32_e64 s0, s25, v54
	s_wait_alu 0xf1ff
	v_cndmask_b32_e64 v42, 0, v42, s0
	v_cmp_gt_i32_e64 s0, s25, v53
	s_wait_alu 0xf1ff
	s_delay_alu instid0(VALU_DEP_1) | instskip(SKIP_2) | instid1(VALU_DEP_1)
	v_cndmask_b32_e64 v41, 0, v41, s0
	v_cmp_gt_i32_e64 s0, s25, v55
	s_wait_alu 0xf1ff
	v_cndmask_b32_e64 v40, 0, v40, s0
.LBB213_47:                             ;   in Loop: Header=BB213_42 Depth=1
	s_wait_alu 0xfffe
	s_or_b32 exec_lo, exec_lo, s18
	global_load_b32 v44, v[9:10], off offset:256
	s_wait_loadcnt 0x0
	v_lshrrev_b32_e32 v46, 16, v44
	s_delay_alu instid0(VALU_DEP_1) | instskip(SKIP_1) | instid1(VALU_DEP_1)
	v_cvt_pk_f32_fp8_e32 v[48:49], v46
	v_and_b32_e32 v45, 0xffff, v44
	v_cvt_pk_f32_fp8_e32 v[44:45], v45
	s_delay_alu instid0(VALU_DEP_1) | instskip(NEXT) | instid1(VALU_DEP_4)
	v_dual_mul_f32 v47, s16, v44 :: v_dual_mul_f32 v46, s17, v45
	v_dual_mul_f32 v45, s16, v48 :: v_dual_mul_f32 v44, s17, v49
	s_and_saveexec_b32 s18, vcc_lo
	s_cbranch_execz .LBB213_49
; %bb.48:                               ;   in Loop: Header=BB213_42 Depth=1
	v_cmp_gt_i32_e64 s0, s25, v52
	s_wait_alu 0xf1ff
	s_delay_alu instid0(VALU_DEP_1) | instskip(SKIP_2) | instid1(VALU_DEP_1)
	v_cndmask_b32_e64 v47, 0, v47, s0
	v_cmp_gt_i32_e64 s0, s25, v54
	s_wait_alu 0xf1ff
	v_cndmask_b32_e64 v46, 0, v46, s0
	v_cmp_gt_i32_e64 s0, s25, v53
	s_wait_alu 0xf1ff
	s_delay_alu instid0(VALU_DEP_1) | instskip(SKIP_2) | instid1(VALU_DEP_1)
	v_cndmask_b32_e64 v45, 0, v45, s0
	v_cmp_gt_i32_e64 s0, s25, v55
	s_wait_alu 0xf1ff
	v_cndmask_b32_e64 v44, 0, v44, s0
.LBB213_49:                             ;   in Loop: Header=BB213_42 Depth=1
	s_wait_alu 0xfffe
	s_or_b32 exec_lo, exec_lo, s18
	global_load_b32 v48, v[9:10], off offset:384
	s_wait_loadcnt 0x0
	v_lshrrev_b32_e32 v50, 16, v48
	s_delay_alu instid0(VALU_DEP_1) | instskip(SKIP_1) | instid1(VALU_DEP_1)
	v_cvt_pk_f32_fp8_e32 v[56:57], v50
	v_and_b32_e32 v49, 0xffff, v48
	v_cvt_pk_f32_fp8_e32 v[48:49], v49
	s_delay_alu instid0(VALU_DEP_1) | instskip(NEXT) | instid1(VALU_DEP_4)
	;; [unrolled: 30-line block ×10, first 2 shown]
	v_dual_mul_f32 v87, s16, v84 :: v_dual_mul_f32 v86, s17, v85
	v_dual_mul_f32 v85, s16, v88 :: v_dual_mul_f32 v84, s17, v89
	s_and_saveexec_b32 s18, vcc_lo
	s_cbranch_execz .LBB213_67
; %bb.66:                               ;   in Loop: Header=BB213_42 Depth=1
	v_cmp_gt_i32_e64 s0, s25, v52
	s_wait_alu 0xf1ff
	s_delay_alu instid0(VALU_DEP_1) | instskip(SKIP_2) | instid1(VALU_DEP_1)
	v_cndmask_b32_e64 v87, 0, v87, s0
	v_cmp_gt_i32_e64 s0, s25, v54
	s_wait_alu 0xf1ff
	v_cndmask_b32_e64 v86, 0, v86, s0
	v_cmp_gt_i32_e64 s0, s25, v53
	s_wait_alu 0xf1ff
	s_delay_alu instid0(VALU_DEP_1) | instskip(SKIP_2) | instid1(VALU_DEP_1)
	v_cndmask_b32_e64 v85, 0, v85, s0
	v_cmp_gt_i32_e64 s0, s25, v55
	s_wait_alu 0xf1ff
	v_cndmask_b32_e64 v84, 0, v84, s0
.LBB213_67:                             ;   in Loop: Header=BB213_42 Depth=1
	s_wait_alu 0xfffe
	s_or_b32 exec_lo, exec_lo, s18
	global_load_b32 v88, v[9:10], off offset:1536
	s_wait_loadcnt 0x0
	v_and_b32_e32 v89, 0xffff, v88
	v_lshrrev_b32_e32 v90, 16, v88
	s_delay_alu instid0(VALU_DEP_2) | instskip(NEXT) | instid1(VALU_DEP_2)
	v_cvt_pk_f32_fp8_e32 v[88:89], v89
	v_cvt_pk_f32_fp8_e32 v[91:92], v90
	s_delay_alu instid0(VALU_DEP_2) | instskip(NEXT) | instid1(VALU_DEP_2)
	v_dual_mul_f32 v93, s16, v88 :: v_dual_mul_f32 v90, s17, v89
	v_dual_mul_f32 v89, s16, v91 :: v_dual_mul_f32 v88, s17, v92
	s_and_saveexec_b32 s18, vcc_lo
	s_cbranch_execz .LBB213_69
; %bb.68:                               ;   in Loop: Header=BB213_42 Depth=1
	v_cmp_gt_i32_e64 s0, s25, v52
	s_wait_alu 0xf1ff
	s_delay_alu instid0(VALU_DEP_1) | instskip(SKIP_2) | instid1(VALU_DEP_1)
	v_cndmask_b32_e64 v93, 0, v93, s0
	v_cmp_gt_i32_e64 s0, s25, v54
	s_wait_alu 0xf1ff
	v_cndmask_b32_e64 v90, 0, v90, s0
	v_cmp_gt_i32_e64 s0, s25, v53
	s_wait_alu 0xf1ff
	s_delay_alu instid0(VALU_DEP_1) | instskip(SKIP_2) | instid1(VALU_DEP_1)
	v_cndmask_b32_e64 v89, 0, v89, s0
	v_cmp_gt_i32_e64 s0, s25, v55
	s_wait_alu 0xf1ff
	v_cndmask_b32_e64 v88, 0, v88, s0
.LBB213_69:                             ;   in Loop: Header=BB213_42 Depth=1
	s_wait_alu 0xfffe
	s_or_b32 exec_lo, exec_lo, s18
	global_load_b32 v91, v[9:10], off offset:1664
	s_wait_loadcnt 0x0
	v_lshrrev_b32_e32 v94, 16, v91
	s_delay_alu instid0(VALU_DEP_1) | instskip(NEXT) | instid1(VALU_DEP_1)
	v_cvt_pk_f32_fp8_e32 v[98:99], v94
	v_dual_mul_f32 v95, s16, v98 :: v_dual_and_b32 v92, 0xffff, v91
	s_delay_alu instid0(VALU_DEP_1) | instskip(NEXT) | instid1(VALU_DEP_3)
	v_cvt_pk_f32_fp8_e32 v[91:92], v92
	v_mul_f32_e32 v94, s17, v99
	s_delay_alu instid0(VALU_DEP_2)
	v_dual_mul_f32 v97, s16, v91 :: v_dual_mul_f32 v96, s17, v92
	s_and_saveexec_b32 s18, vcc_lo
	s_cbranch_execz .LBB213_71
; %bb.70:                               ;   in Loop: Header=BB213_42 Depth=1
	v_cmp_gt_i32_e64 s0, s25, v52
	s_wait_alu 0xf1ff
	s_delay_alu instid0(VALU_DEP_1) | instskip(SKIP_2) | instid1(VALU_DEP_1)
	v_cndmask_b32_e64 v97, 0, v97, s0
	v_cmp_gt_i32_e64 s0, s25, v54
	s_wait_alu 0xf1ff
	v_cndmask_b32_e64 v96, 0, v96, s0
	v_cmp_gt_i32_e64 s0, s25, v53
	s_wait_alu 0xf1ff
	s_delay_alu instid0(VALU_DEP_1) | instskip(SKIP_2) | instid1(VALU_DEP_1)
	v_cndmask_b32_e64 v95, 0, v95, s0
	v_cmp_gt_i32_e64 s0, s25, v55
	s_wait_alu 0xf1ff
	v_cndmask_b32_e64 v94, 0, v94, s0
.LBB213_71:                             ;   in Loop: Header=BB213_42 Depth=1
	s_wait_alu 0xfffe
	s_or_b32 exec_lo, exec_lo, s18
	global_load_b32 v91, v[9:10], off offset:1792
	s_wait_loadcnt 0x0
	v_lshrrev_b32_e32 v98, 16, v91
	s_delay_alu instid0(VALU_DEP_1) | instskip(NEXT) | instid1(VALU_DEP_1)
	v_cvt_pk_f32_fp8_e32 v[102:103], v98
	v_dual_mul_f32 v99, s16, v102 :: v_dual_and_b32 v92, 0xffff, v91
	s_delay_alu instid0(VALU_DEP_1) | instskip(NEXT) | instid1(VALU_DEP_3)
	v_cvt_pk_f32_fp8_e32 v[91:92], v92
	v_mul_f32_e32 v98, s17, v103
	s_delay_alu instid0(VALU_DEP_2)
	v_dual_mul_f32 v101, s16, v91 :: v_dual_mul_f32 v100, s17, v92
	s_and_saveexec_b32 s18, vcc_lo
	s_cbranch_execz .LBB213_73
; %bb.72:                               ;   in Loop: Header=BB213_42 Depth=1
	v_cmp_gt_i32_e64 s0, s25, v52
	s_wait_alu 0xf1ff
	s_delay_alu instid0(VALU_DEP_1) | instskip(SKIP_2) | instid1(VALU_DEP_1)
	v_cndmask_b32_e64 v101, 0, v101, s0
	v_cmp_gt_i32_e64 s0, s25, v54
	s_wait_alu 0xf1ff
	v_cndmask_b32_e64 v100, 0, v100, s0
	v_cmp_gt_i32_e64 s0, s25, v53
	s_wait_alu 0xf1ff
	s_delay_alu instid0(VALU_DEP_1) | instskip(SKIP_2) | instid1(VALU_DEP_1)
	v_cndmask_b32_e64 v99, 0, v99, s0
	v_cmp_gt_i32_e64 s0, s25, v55
	s_wait_alu 0xf1ff
	v_cndmask_b32_e64 v98, 0, v98, s0
.LBB213_73:                             ;   in Loop: Header=BB213_42 Depth=1
	s_wait_alu 0xfffe
	s_or_b32 exec_lo, exec_lo, s18
	global_load_b32 v9, v[9:10], off offset:1920
	s_wait_loadcnt 0x0
	v_lshrrev_b32_e32 v91, 16, v9
	s_delay_alu instid0(VALU_DEP_1) | instskip(SKIP_1) | instid1(VALU_DEP_1)
	v_cvt_pk_f32_fp8_e32 v[102:103], v91
	v_and_b32_e32 v10, 0xffff, v9
	v_cvt_pk_f32_fp8_e32 v[9:10], v10
	s_delay_alu instid0(VALU_DEP_1) | instskip(NEXT) | instid1(VALU_DEP_4)
	v_dual_mul_f32 v92, s16, v9 :: v_dual_mul_f32 v91, s17, v10
	v_dual_mul_f32 v10, s16, v102 :: v_dual_mul_f32 v9, s17, v103
	s_and_saveexec_b32 s0, vcc_lo
	s_cbranch_execz .LBB213_40
; %bb.74:                               ;   in Loop: Header=BB213_42 Depth=1
	v_cmp_gt_i32_e32 vcc_lo, s25, v52
	s_wait_alu 0xfffd
	v_cndmask_b32_e32 v92, 0, v92, vcc_lo
	v_cmp_gt_i32_e32 vcc_lo, s25, v54
	s_wait_alu 0xfffd
	v_cndmask_b32_e32 v91, 0, v91, vcc_lo
	;; [unrolled: 3-line block ×4, first 2 shown]
	s_branch .LBB213_40
.LBB213_75:
	s_or_b32 exec_lo, exec_lo, s8
.LBB213_76:
	s_wait_alu 0xfffe
	s_or_b32 exec_lo, exec_lo, s1
	ds_bpermute_b32 v1, v15, v32
	ds_bpermute_b32 v2, v15, v33
	;; [unrolled: 1-line block ×16, first 2 shown]
	v_lshlrev_b32_e32 v11, 9, v11
	s_mov_b32 s0, exec_lo
	s_wait_storecnt 0x0
	s_wait_loadcnt_dscnt 0x0
	s_barrier_signal -1
	v_dual_add_f32 v1, v32, v1 :: v_dual_add_f32 v2, v33, v2
	v_dual_add_f32 v7, v27, v7 :: v_dual_add_f32 v8, v26, v8
	v_add_f32_e32 v5, v29, v5
	v_dual_add_f32 v9, v25, v9 :: v_dual_add_f32 v10, v24, v10
	ds_bpermute_b32 v29, v16, v2
	ds_bpermute_b32 v24, v16, v8
	v_add_f32_e32 v21, v21, v34
	v_dual_add_f32 v3, v31, v3 :: v_dual_add_f32 v4, v30, v4
	v_add_f32_e32 v6, v28, v6
	v_dual_add_f32 v12, v23, v12 :: v_dual_add_f32 v13, v22, v13
	v_dual_add_f32 v20, v20, v35 :: v_dual_add_f32 v19, v19, v36
	ds_bpermute_b32 v34, v16, v21
	v_add_f32_e32 v35, v18, v15
	ds_bpermute_b32 v28, v16, v1
	ds_bpermute_b32 v30, v16, v3
	;; [unrolled: 1-line block ×11, first 2 shown]
	s_wait_dscnt 0xd
	v_add_f32_e32 v2, v2, v29
	ds_bpermute_b32 v36, v16, v19
	s_wait_dscnt 0xd
	v_add_f32_e32 v8, v8, v24
	ds_bpermute_b32 v37, v16, v35
	s_barrier_wait -1
	s_wait_dscnt 0x0
	global_inv scope:SCOPE_SE
	v_add_f32_e32 v15, v21, v34
	v_and_b32_e32 v21, 28, v14
	v_add_f32_e32 v1, v1, v28
	v_dual_add_f32 v3, v3, v30 :: v_dual_add_f32 v4, v4, v31
	v_dual_add_f32 v5, v5, v27 :: v_dual_add_f32 v6, v6, v26
	v_add_f32_e32 v7, v7, v25
	v_dual_add_f32 v9, v9, v23 :: v_dual_add_f32 v10, v10, v22
	v_dual_add_f32 v12, v12, v32 :: v_dual_add_f32 v13, v13, v33
	v_add_f32_e32 v16, v20, v18
	v_and_b32_e32 v22, 0x3c3, v0
	v_add_f32_e32 v18, v19, v36
	v_lshrrev_b32_e32 v20, 2, v14
	v_add_f32_e32 v19, v35, v37
	v_add_nc_u32_e32 v14, 0x220, v21
	v_cmpx_eq_u32_e32 64, v22
	s_cbranch_execz .LBB213_78
; %bb.77:
	s_delay_alu instid0(VALU_DEP_2) | instskip(NEXT) | instid1(VALU_DEP_1)
	v_add_nc_u32_e32 v21, v14, v11
	v_add_nc_u32_e32 v22, 0xfffffc00, v21
	;; [unrolled: 1-line block ×9, first 2 shown]
	ds_store_b32 v22, v1
	ds_store_b32 v23, v2
	;; [unrolled: 1-line block ×8, first 2 shown]
	v_add_nc_u32_e32 v22, 0xfffffd00, v21
	v_add_nc_u32_e32 v23, 0xfffffd20, v21
	;; [unrolled: 1-line block ×8, first 2 shown]
	ds_store_b32 v22, v9
	ds_store_b32 v23, v10
	;; [unrolled: 1-line block ×8, first 2 shown]
.LBB213_78:
	s_wait_alu 0xfffe
	s_or_b32 exec_lo, exec_lo, s0
	v_lshlrev_b32_e32 v20, 2, v20
	v_cmp_eq_u32_e32 vcc_lo, 0, v17
	s_wait_loadcnt_dscnt 0x0
	s_barrier_signal -1
	s_barrier_wait -1
	v_add3_u32 v11, 0x220, v11, v20
	global_inv scope:SCOPE_SE
	s_and_saveexec_b32 s0, s2
	s_cbranch_execz .LBB213_97
; %bb.79:
	s_and_saveexec_b32 s1, vcc_lo
	s_cbranch_execnz .LBB213_121
; %bb.80:
	s_wait_alu 0xfffe
	s_or_b32 exec_lo, exec_lo, s1
	s_and_saveexec_b32 s1, vcc_lo
	s_cbranch_execnz .LBB213_122
.LBB213_81:
	s_wait_alu 0xfffe
	s_or_b32 exec_lo, exec_lo, s1
	s_and_saveexec_b32 s1, vcc_lo
	s_cbranch_execnz .LBB213_123
.LBB213_82:
	s_wait_alu 0xfffe
	s_or_b32 exec_lo, exec_lo, s1
	s_and_saveexec_b32 s1, vcc_lo
	s_cbranch_execnz .LBB213_124
.LBB213_83:
	s_wait_alu 0xfffe
	s_or_b32 exec_lo, exec_lo, s1
	s_and_saveexec_b32 s1, vcc_lo
	s_cbranch_execnz .LBB213_125
.LBB213_84:
	s_wait_alu 0xfffe
	s_or_b32 exec_lo, exec_lo, s1
	s_and_saveexec_b32 s1, vcc_lo
	s_cbranch_execnz .LBB213_126
.LBB213_85:
	s_wait_alu 0xfffe
	s_or_b32 exec_lo, exec_lo, s1
	s_and_saveexec_b32 s1, vcc_lo
	s_cbranch_execnz .LBB213_127
.LBB213_86:
	s_wait_alu 0xfffe
	s_or_b32 exec_lo, exec_lo, s1
	s_and_saveexec_b32 s1, vcc_lo
	s_cbranch_execnz .LBB213_128
.LBB213_87:
	s_wait_alu 0xfffe
	s_or_b32 exec_lo, exec_lo, s1
	s_and_saveexec_b32 s1, vcc_lo
	s_cbranch_execnz .LBB213_129
.LBB213_88:
	s_wait_alu 0xfffe
	s_or_b32 exec_lo, exec_lo, s1
	s_and_saveexec_b32 s1, vcc_lo
	s_cbranch_execnz .LBB213_130
.LBB213_89:
	s_wait_alu 0xfffe
	s_or_b32 exec_lo, exec_lo, s1
	s_and_saveexec_b32 s1, vcc_lo
	s_cbranch_execnz .LBB213_131
.LBB213_90:
	s_wait_alu 0xfffe
	s_or_b32 exec_lo, exec_lo, s1
	s_and_saveexec_b32 s1, vcc_lo
	s_cbranch_execnz .LBB213_132
.LBB213_91:
	s_wait_alu 0xfffe
	s_or_b32 exec_lo, exec_lo, s1
	s_and_saveexec_b32 s1, vcc_lo
	s_cbranch_execnz .LBB213_133
.LBB213_92:
	s_wait_alu 0xfffe
	s_or_b32 exec_lo, exec_lo, s1
	s_and_saveexec_b32 s1, vcc_lo
	s_cbranch_execnz .LBB213_134
.LBB213_93:
	s_wait_alu 0xfffe
	s_or_b32 exec_lo, exec_lo, s1
	s_and_saveexec_b32 s1, vcc_lo
	s_cbranch_execnz .LBB213_135
.LBB213_94:
	s_wait_alu 0xfffe
	s_or_b32 exec_lo, exec_lo, s1
	s_and_saveexec_b32 s1, vcc_lo
	s_cbranch_execz .LBB213_96
.LBB213_95:
	ds_load_b32 v17, v11 offset:480
	s_wait_dscnt 0x0
	v_add_f32_e32 v19, v19, v17
.LBB213_96:
	s_wait_alu 0xfffe
	s_or_b32 exec_lo, exec_lo, s1
.LBB213_97:
	s_wait_alu 0xfffe
	s_or_b32 exec_lo, exec_lo, s0
	v_and_b32_e32 v17, 0x3e3, v0
	s_mov_b32 s1, exec_lo
	s_wait_loadcnt 0x0
	s_barrier_signal -1
	s_barrier_wait -1
	global_inv scope:SCOPE_SE
	v_cmpx_eq_u32_e32 32, v17
	s_cbranch_execz .LBB213_99
; %bb.98:
	ds_store_2addr_b32 v14, v1, v2 offset1:8
	ds_store_2addr_b32 v14, v3, v4 offset0:16 offset1:24
	ds_store_2addr_b32 v14, v5, v6 offset0:32 offset1:40
	;; [unrolled: 1-line block ×7, first 2 shown]
.LBB213_99:
	s_wait_alu 0xfffe
	s_or_b32 exec_lo, exec_lo, s1
	s_delay_alu instid0(SALU_CYCLE_1)
	s_mov_b32 s1, exec_lo
	s_wait_loadcnt_dscnt 0x0
	s_barrier_signal -1
	s_barrier_wait -1
	global_inv scope:SCOPE_SE
	v_cmpx_gt_u32_e32 32, v0
	s_cbranch_execz .LBB213_118
; %bb.100:
	s_and_saveexec_b32 s0, vcc_lo
	s_cbranch_execnz .LBB213_136
; %bb.101:
	s_wait_alu 0xfffe
	s_or_b32 exec_lo, exec_lo, s0
	s_and_saveexec_b32 s0, vcc_lo
	s_cbranch_execnz .LBB213_137
.LBB213_102:
	s_wait_alu 0xfffe
	s_or_b32 exec_lo, exec_lo, s0
	s_and_saveexec_b32 s0, vcc_lo
	s_cbranch_execnz .LBB213_138
.LBB213_103:
	s_wait_alu 0xfffe
	s_or_b32 exec_lo, exec_lo, s0
	s_and_saveexec_b32 s0, vcc_lo
	s_cbranch_execnz .LBB213_139
.LBB213_104:
	s_wait_alu 0xfffe
	s_or_b32 exec_lo, exec_lo, s0
	s_and_saveexec_b32 s0, vcc_lo
	s_cbranch_execnz .LBB213_140
.LBB213_105:
	s_wait_alu 0xfffe
	s_or_b32 exec_lo, exec_lo, s0
	s_and_saveexec_b32 s0, vcc_lo
	s_cbranch_execnz .LBB213_141
.LBB213_106:
	s_wait_alu 0xfffe
	s_or_b32 exec_lo, exec_lo, s0
	s_and_saveexec_b32 s0, vcc_lo
	s_cbranch_execnz .LBB213_142
.LBB213_107:
	s_wait_alu 0xfffe
	s_or_b32 exec_lo, exec_lo, s0
	s_and_saveexec_b32 s0, vcc_lo
	s_cbranch_execnz .LBB213_143
.LBB213_108:
	s_wait_alu 0xfffe
	s_or_b32 exec_lo, exec_lo, s0
	s_and_saveexec_b32 s0, vcc_lo
	s_cbranch_execnz .LBB213_144
.LBB213_109:
	s_wait_alu 0xfffe
	s_or_b32 exec_lo, exec_lo, s0
	s_and_saveexec_b32 s0, vcc_lo
	s_cbranch_execnz .LBB213_145
.LBB213_110:
	s_wait_alu 0xfffe
	s_or_b32 exec_lo, exec_lo, s0
	s_and_saveexec_b32 s0, vcc_lo
	s_cbranch_execnz .LBB213_146
.LBB213_111:
	s_wait_alu 0xfffe
	s_or_b32 exec_lo, exec_lo, s0
	s_and_saveexec_b32 s0, vcc_lo
	s_cbranch_execnz .LBB213_147
.LBB213_112:
	s_wait_alu 0xfffe
	s_or_b32 exec_lo, exec_lo, s0
	s_and_saveexec_b32 s0, vcc_lo
	s_cbranch_execnz .LBB213_148
.LBB213_113:
	s_wait_alu 0xfffe
	s_or_b32 exec_lo, exec_lo, s0
	s_and_saveexec_b32 s0, vcc_lo
	s_cbranch_execnz .LBB213_149
.LBB213_114:
	s_wait_alu 0xfffe
	s_or_b32 exec_lo, exec_lo, s0
	s_and_saveexec_b32 s0, vcc_lo
	s_cbranch_execnz .LBB213_150
.LBB213_115:
	s_wait_alu 0xfffe
	s_or_b32 exec_lo, exec_lo, s0
	s_and_saveexec_b32 s0, vcc_lo
	s_cbranch_execz .LBB213_117
.LBB213_116:
	ds_load_b32 v11, v11 offset:480
	s_wait_dscnt 0x0
	v_add_f32_e32 v19, v19, v11
.LBB213_117:
	s_wait_alu 0xfffe
	s_or_b32 exec_lo, exec_lo, s0
.LBB213_118:
	s_wait_alu 0xfffe
	s_or_b32 exec_lo, exec_lo, s1
	s_mov_b32 s25, 0
	s_wait_loadcnt 0x0
	s_barrier_signal -1
	s_barrier_wait -1
	global_inv scope:SCOPE_SE
	s_mov_b32 s0, exec_lo
	v_cmpx_eq_u32_e32 0, v17
	s_cbranch_execz .LBB213_120
; %bb.119:
	s_lshl_b32 s0, s4, 7
	s_mul_i32 s2, s12, s26
	s_wait_alu 0xfffe
	s_ashr_i32 s1, s0, 31
	s_ashr_i32 s3, s2, 31
	s_wait_alu 0xfffe
	s_lshl_b64 s[0:1], s[0:1], 2
	s_lshl_b64 s[2:3], s[2:3], 2
	s_wait_kmcnt 0x0
	s_wait_alu 0xfffe
	s_add_nc_u64 s[0:1], s[6:7], s[0:1]
	s_wait_alu 0xfffe
	s_add_nc_u64 s[0:1], s[0:1], s[2:3]
	;; [unrolled: 2-line block ×3, first 2 shown]
	s_clause 0xf
	global_store_b32 v0, v1, s[0:1]
	global_store_b32 v0, v2, s[0:1] offset:32
	global_store_b32 v0, v3, s[0:1] offset:64
	;; [unrolled: 1-line block ×15, first 2 shown]
.LBB213_120:
	s_nop 0
	s_sendmsg sendmsg(MSG_DEALLOC_VGPRS)
	s_endpgm
.LBB213_121:
	ds_load_b32 v17, v11
	s_wait_dscnt 0x0
	v_add_f32_e32 v1, v1, v17
	s_wait_alu 0xfffe
	s_or_b32 exec_lo, exec_lo, s1
	s_and_saveexec_b32 s1, vcc_lo
	s_cbranch_execz .LBB213_81
.LBB213_122:
	ds_load_b32 v17, v11 offset:32
	s_wait_dscnt 0x0
	v_add_f32_e32 v2, v2, v17
	s_wait_alu 0xfffe
	s_or_b32 exec_lo, exec_lo, s1
	s_and_saveexec_b32 s1, vcc_lo
	s_cbranch_execz .LBB213_82
.LBB213_123:
	ds_load_b32 v17, v11 offset:64
	s_wait_dscnt 0x0
	v_add_f32_e32 v3, v3, v17
	s_wait_alu 0xfffe
	s_or_b32 exec_lo, exec_lo, s1
	s_and_saveexec_b32 s1, vcc_lo
	s_cbranch_execz .LBB213_83
.LBB213_124:
	ds_load_b32 v17, v11 offset:96
	s_wait_dscnt 0x0
	v_add_f32_e32 v4, v4, v17
	s_wait_alu 0xfffe
	s_or_b32 exec_lo, exec_lo, s1
	s_and_saveexec_b32 s1, vcc_lo
	s_cbranch_execz .LBB213_84
.LBB213_125:
	ds_load_b32 v17, v11 offset:128
	s_wait_dscnt 0x0
	v_add_f32_e32 v5, v5, v17
	s_wait_alu 0xfffe
	s_or_b32 exec_lo, exec_lo, s1
	s_and_saveexec_b32 s1, vcc_lo
	s_cbranch_execz .LBB213_85
.LBB213_126:
	ds_load_b32 v17, v11 offset:160
	s_wait_dscnt 0x0
	v_add_f32_e32 v6, v6, v17
	s_wait_alu 0xfffe
	s_or_b32 exec_lo, exec_lo, s1
	s_and_saveexec_b32 s1, vcc_lo
	s_cbranch_execz .LBB213_86
.LBB213_127:
	ds_load_b32 v17, v11 offset:192
	s_wait_dscnt 0x0
	v_add_f32_e32 v7, v7, v17
	s_wait_alu 0xfffe
	s_or_b32 exec_lo, exec_lo, s1
	s_and_saveexec_b32 s1, vcc_lo
	s_cbranch_execz .LBB213_87
.LBB213_128:
	ds_load_b32 v17, v11 offset:224
	s_wait_dscnt 0x0
	v_add_f32_e32 v8, v8, v17
	s_wait_alu 0xfffe
	s_or_b32 exec_lo, exec_lo, s1
	s_and_saveexec_b32 s1, vcc_lo
	s_cbranch_execz .LBB213_88
.LBB213_129:
	ds_load_b32 v17, v11 offset:256
	s_wait_dscnt 0x0
	v_add_f32_e32 v9, v9, v17
	s_wait_alu 0xfffe
	s_or_b32 exec_lo, exec_lo, s1
	s_and_saveexec_b32 s1, vcc_lo
	s_cbranch_execz .LBB213_89
.LBB213_130:
	ds_load_b32 v17, v11 offset:288
	s_wait_dscnt 0x0
	v_add_f32_e32 v10, v10, v17
	s_wait_alu 0xfffe
	s_or_b32 exec_lo, exec_lo, s1
	s_and_saveexec_b32 s1, vcc_lo
	s_cbranch_execz .LBB213_90
.LBB213_131:
	ds_load_b32 v17, v11 offset:320
	s_wait_dscnt 0x0
	v_add_f32_e32 v12, v12, v17
	s_wait_alu 0xfffe
	s_or_b32 exec_lo, exec_lo, s1
	s_and_saveexec_b32 s1, vcc_lo
	s_cbranch_execz .LBB213_91
.LBB213_132:
	ds_load_b32 v17, v11 offset:352
	s_wait_dscnt 0x0
	v_add_f32_e32 v13, v13, v17
	s_wait_alu 0xfffe
	s_or_b32 exec_lo, exec_lo, s1
	s_and_saveexec_b32 s1, vcc_lo
	s_cbranch_execz .LBB213_92
.LBB213_133:
	ds_load_b32 v17, v11 offset:384
	s_wait_dscnt 0x0
	v_add_f32_e32 v15, v15, v17
	s_wait_alu 0xfffe
	s_or_b32 exec_lo, exec_lo, s1
	s_and_saveexec_b32 s1, vcc_lo
	s_cbranch_execz .LBB213_93
.LBB213_134:
	ds_load_b32 v17, v11 offset:416
	s_wait_dscnt 0x0
	v_add_f32_e32 v16, v16, v17
	s_wait_alu 0xfffe
	s_or_b32 exec_lo, exec_lo, s1
	s_and_saveexec_b32 s1, vcc_lo
	s_cbranch_execz .LBB213_94
.LBB213_135:
	ds_load_b32 v17, v11 offset:448
	s_wait_dscnt 0x0
	v_add_f32_e32 v18, v18, v17
	s_wait_alu 0xfffe
	s_or_b32 exec_lo, exec_lo, s1
	s_and_saveexec_b32 s1, vcc_lo
	s_cbranch_execnz .LBB213_95
	s_branch .LBB213_96
.LBB213_136:
	ds_load_b32 v14, v11
	s_wait_dscnt 0x0
	v_add_f32_e32 v1, v1, v14
	s_wait_alu 0xfffe
	s_or_b32 exec_lo, exec_lo, s0
	s_and_saveexec_b32 s0, vcc_lo
	s_cbranch_execz .LBB213_102
.LBB213_137:
	ds_load_b32 v14, v11 offset:32
	s_wait_dscnt 0x0
	v_add_f32_e32 v2, v2, v14
	s_wait_alu 0xfffe
	s_or_b32 exec_lo, exec_lo, s0
	s_and_saveexec_b32 s0, vcc_lo
	s_cbranch_execz .LBB213_103
.LBB213_138:
	ds_load_b32 v14, v11 offset:64
	s_wait_dscnt 0x0
	v_add_f32_e32 v3, v3, v14
	s_wait_alu 0xfffe
	s_or_b32 exec_lo, exec_lo, s0
	s_and_saveexec_b32 s0, vcc_lo
	s_cbranch_execz .LBB213_104
.LBB213_139:
	ds_load_b32 v14, v11 offset:96
	s_wait_dscnt 0x0
	v_add_f32_e32 v4, v4, v14
	s_wait_alu 0xfffe
	s_or_b32 exec_lo, exec_lo, s0
	s_and_saveexec_b32 s0, vcc_lo
	s_cbranch_execz .LBB213_105
.LBB213_140:
	ds_load_b32 v14, v11 offset:128
	s_wait_dscnt 0x0
	v_add_f32_e32 v5, v5, v14
	s_wait_alu 0xfffe
	s_or_b32 exec_lo, exec_lo, s0
	s_and_saveexec_b32 s0, vcc_lo
	s_cbranch_execz .LBB213_106
.LBB213_141:
	ds_load_b32 v14, v11 offset:160
	s_wait_dscnt 0x0
	v_add_f32_e32 v6, v6, v14
	s_wait_alu 0xfffe
	s_or_b32 exec_lo, exec_lo, s0
	s_and_saveexec_b32 s0, vcc_lo
	s_cbranch_execz .LBB213_107
.LBB213_142:
	ds_load_b32 v14, v11 offset:192
	s_wait_dscnt 0x0
	v_add_f32_e32 v7, v7, v14
	s_wait_alu 0xfffe
	s_or_b32 exec_lo, exec_lo, s0
	s_and_saveexec_b32 s0, vcc_lo
	s_cbranch_execz .LBB213_108
.LBB213_143:
	ds_load_b32 v14, v11 offset:224
	s_wait_dscnt 0x0
	v_add_f32_e32 v8, v8, v14
	s_wait_alu 0xfffe
	s_or_b32 exec_lo, exec_lo, s0
	s_and_saveexec_b32 s0, vcc_lo
	s_cbranch_execz .LBB213_109
.LBB213_144:
	ds_load_b32 v14, v11 offset:256
	s_wait_dscnt 0x0
	v_add_f32_e32 v9, v9, v14
	s_wait_alu 0xfffe
	s_or_b32 exec_lo, exec_lo, s0
	s_and_saveexec_b32 s0, vcc_lo
	s_cbranch_execz .LBB213_110
.LBB213_145:
	ds_load_b32 v14, v11 offset:288
	s_wait_dscnt 0x0
	v_add_f32_e32 v10, v10, v14
	s_wait_alu 0xfffe
	s_or_b32 exec_lo, exec_lo, s0
	s_and_saveexec_b32 s0, vcc_lo
	s_cbranch_execz .LBB213_111
.LBB213_146:
	ds_load_b32 v14, v11 offset:320
	s_wait_dscnt 0x0
	v_add_f32_e32 v12, v12, v14
	s_wait_alu 0xfffe
	s_or_b32 exec_lo, exec_lo, s0
	s_and_saveexec_b32 s0, vcc_lo
	s_cbranch_execz .LBB213_112
.LBB213_147:
	ds_load_b32 v14, v11 offset:352
	s_wait_dscnt 0x0
	v_add_f32_e32 v13, v13, v14
	s_wait_alu 0xfffe
	s_or_b32 exec_lo, exec_lo, s0
	s_and_saveexec_b32 s0, vcc_lo
	s_cbranch_execz .LBB213_113
.LBB213_148:
	ds_load_b32 v14, v11 offset:384
	s_wait_dscnt 0x0
	v_add_f32_e32 v15, v15, v14
	s_wait_alu 0xfffe
	s_or_b32 exec_lo, exec_lo, s0
	s_and_saveexec_b32 s0, vcc_lo
	s_cbranch_execz .LBB213_114
.LBB213_149:
	ds_load_b32 v14, v11 offset:416
	s_wait_dscnt 0x0
	v_add_f32_e32 v16, v16, v14
	s_wait_alu 0xfffe
	s_or_b32 exec_lo, exec_lo, s0
	s_and_saveexec_b32 s0, vcc_lo
	s_cbranch_execz .LBB213_115
.LBB213_150:
	ds_load_b32 v14, v11 offset:448
	s_wait_dscnt 0x0
	v_add_f32_e32 v18, v18, v14
	s_wait_alu 0xfffe
	s_or_b32 exec_lo, exec_lo, s0
	s_and_saveexec_b32 s0, vcc_lo
	s_cbranch_execnz .LBB213_116
	s_branch .LBB213_117
	.section	.rodata,"a",@progbits
	.p2align	6, 0x0
	.amdhsa_kernel _ZN4vllm25paged_attention_v2_kernelIfhLi128ELi16ELi128ELNS_18Fp8KVCacheDataTypeE1ELb1ELi512EEEvPfS2_PT_PKS3_PKT0_S9_ifPKiSB_iPKfiiiSD_SD_iiiii
		.amdhsa_group_segment_fixed_size 544
		.amdhsa_private_segment_fixed_size 0
		.amdhsa_kernarg_size 400
		.amdhsa_user_sgpr_count 2
		.amdhsa_user_sgpr_dispatch_ptr 0
		.amdhsa_user_sgpr_queue_ptr 0
		.amdhsa_user_sgpr_kernarg_segment_ptr 1
		.amdhsa_user_sgpr_dispatch_id 0
		.amdhsa_user_sgpr_private_segment_size 0
		.amdhsa_wavefront_size32 1
		.amdhsa_uses_dynamic_stack 0
		.amdhsa_enable_private_segment 0
		.amdhsa_system_sgpr_workgroup_id_x 1
		.amdhsa_system_sgpr_workgroup_id_y 1
		.amdhsa_system_sgpr_workgroup_id_z 1
		.amdhsa_system_sgpr_workgroup_info 0
		.amdhsa_system_vgpr_workitem_id 0
		.amdhsa_next_free_vgpr 119
		.amdhsa_next_free_sgpr 46
		.amdhsa_reserve_vcc 1
		.amdhsa_float_round_mode_32 0
		.amdhsa_float_round_mode_16_64 0
		.amdhsa_float_denorm_mode_32 3
		.amdhsa_float_denorm_mode_16_64 3
		.amdhsa_fp16_overflow 0
		.amdhsa_workgroup_processor_mode 1
		.amdhsa_memory_ordered 1
		.amdhsa_forward_progress 1
		.amdhsa_inst_pref_size 85
		.amdhsa_round_robin_scheduling 0
		.amdhsa_exception_fp_ieee_invalid_op 0
		.amdhsa_exception_fp_denorm_src 0
		.amdhsa_exception_fp_ieee_div_zero 0
		.amdhsa_exception_fp_ieee_overflow 0
		.amdhsa_exception_fp_ieee_underflow 0
		.amdhsa_exception_fp_ieee_inexact 0
		.amdhsa_exception_int_div_zero 0
	.end_amdhsa_kernel
	.section	.text._ZN4vllm25paged_attention_v2_kernelIfhLi128ELi16ELi128ELNS_18Fp8KVCacheDataTypeE1ELb1ELi512EEEvPfS2_PT_PKS3_PKT0_S9_ifPKiSB_iPKfiiiSD_SD_iiiii,"axG",@progbits,_ZN4vllm25paged_attention_v2_kernelIfhLi128ELi16ELi128ELNS_18Fp8KVCacheDataTypeE1ELb1ELi512EEEvPfS2_PT_PKS3_PKT0_S9_ifPKiSB_iPKfiiiSD_SD_iiiii,comdat
.Lfunc_end213:
	.size	_ZN4vllm25paged_attention_v2_kernelIfhLi128ELi16ELi128ELNS_18Fp8KVCacheDataTypeE1ELb1ELi512EEEvPfS2_PT_PKS3_PKT0_S9_ifPKiSB_iPKfiiiSD_SD_iiiii, .Lfunc_end213-_ZN4vllm25paged_attention_v2_kernelIfhLi128ELi16ELi128ELNS_18Fp8KVCacheDataTypeE1ELb1ELi512EEEvPfS2_PT_PKS3_PKT0_S9_ifPKiSB_iPKfiiiSD_SD_iiiii
                                        ; -- End function
	.set _ZN4vllm25paged_attention_v2_kernelIfhLi128ELi16ELi128ELNS_18Fp8KVCacheDataTypeE1ELb1ELi512EEEvPfS2_PT_PKS3_PKT0_S9_ifPKiSB_iPKfiiiSD_SD_iiiii.num_vgpr, 119
	.set _ZN4vllm25paged_attention_v2_kernelIfhLi128ELi16ELi128ELNS_18Fp8KVCacheDataTypeE1ELb1ELi512EEEvPfS2_PT_PKS3_PKT0_S9_ifPKiSB_iPKfiiiSD_SD_iiiii.num_agpr, 0
	.set _ZN4vllm25paged_attention_v2_kernelIfhLi128ELi16ELi128ELNS_18Fp8KVCacheDataTypeE1ELb1ELi512EEEvPfS2_PT_PKS3_PKT0_S9_ifPKiSB_iPKfiiiSD_SD_iiiii.numbered_sgpr, 46
	.set _ZN4vllm25paged_attention_v2_kernelIfhLi128ELi16ELi128ELNS_18Fp8KVCacheDataTypeE1ELb1ELi512EEEvPfS2_PT_PKS3_PKT0_S9_ifPKiSB_iPKfiiiSD_SD_iiiii.num_named_barrier, 0
	.set _ZN4vllm25paged_attention_v2_kernelIfhLi128ELi16ELi128ELNS_18Fp8KVCacheDataTypeE1ELb1ELi512EEEvPfS2_PT_PKS3_PKT0_S9_ifPKiSB_iPKfiiiSD_SD_iiiii.private_seg_size, 0
	.set _ZN4vllm25paged_attention_v2_kernelIfhLi128ELi16ELi128ELNS_18Fp8KVCacheDataTypeE1ELb1ELi512EEEvPfS2_PT_PKS3_PKT0_S9_ifPKiSB_iPKfiiiSD_SD_iiiii.uses_vcc, 1
	.set _ZN4vllm25paged_attention_v2_kernelIfhLi128ELi16ELi128ELNS_18Fp8KVCacheDataTypeE1ELb1ELi512EEEvPfS2_PT_PKS3_PKT0_S9_ifPKiSB_iPKfiiiSD_SD_iiiii.uses_flat_scratch, 0
	.set _ZN4vllm25paged_attention_v2_kernelIfhLi128ELi16ELi128ELNS_18Fp8KVCacheDataTypeE1ELb1ELi512EEEvPfS2_PT_PKS3_PKT0_S9_ifPKiSB_iPKfiiiSD_SD_iiiii.has_dyn_sized_stack, 0
	.set _ZN4vllm25paged_attention_v2_kernelIfhLi128ELi16ELi128ELNS_18Fp8KVCacheDataTypeE1ELb1ELi512EEEvPfS2_PT_PKS3_PKT0_S9_ifPKiSB_iPKfiiiSD_SD_iiiii.has_recursion, 0
	.set _ZN4vllm25paged_attention_v2_kernelIfhLi128ELi16ELi128ELNS_18Fp8KVCacheDataTypeE1ELb1ELi512EEEvPfS2_PT_PKS3_PKT0_S9_ifPKiSB_iPKfiiiSD_SD_iiiii.has_indirect_call, 0
	.section	.AMDGPU.csdata,"",@progbits
; Kernel info:
; codeLenInByte = 10828
; TotalNumSgprs: 48
; NumVgprs: 119
; ScratchSize: 0
; MemoryBound: 0
; FloatMode: 240
; IeeeMode: 1
; LDSByteSize: 544 bytes/workgroup (compile time only)
; SGPRBlocks: 0
; VGPRBlocks: 14
; NumSGPRsForWavesPerEU: 48
; NumVGPRsForWavesPerEU: 119
; Occupancy: 12
; WaveLimiterHint : 1
; COMPUTE_PGM_RSRC2:SCRATCH_EN: 0
; COMPUTE_PGM_RSRC2:USER_SGPR: 2
; COMPUTE_PGM_RSRC2:TRAP_HANDLER: 0
; COMPUTE_PGM_RSRC2:TGID_X_EN: 1
; COMPUTE_PGM_RSRC2:TGID_Y_EN: 1
; COMPUTE_PGM_RSRC2:TGID_Z_EN: 1
; COMPUTE_PGM_RSRC2:TIDIG_COMP_CNT: 0
	.section	.text._ZN4vllm25paged_attention_v2_kernelIfhLi192ELi16ELi128ELNS_18Fp8KVCacheDataTypeE1ELb1ELi512EEEvPfS2_PT_PKS3_PKT0_S9_ifPKiSB_iPKfiiiSD_SD_iiiii,"axG",@progbits,_ZN4vllm25paged_attention_v2_kernelIfhLi192ELi16ELi128ELNS_18Fp8KVCacheDataTypeE1ELb1ELi512EEEvPfS2_PT_PKS3_PKT0_S9_ifPKiSB_iPKfiiiSD_SD_iiiii,comdat
	.protected	_ZN4vllm25paged_attention_v2_kernelIfhLi192ELi16ELi128ELNS_18Fp8KVCacheDataTypeE1ELb1ELi512EEEvPfS2_PT_PKS3_PKT0_S9_ifPKiSB_iPKfiiiSD_SD_iiiii ; -- Begin function _ZN4vllm25paged_attention_v2_kernelIfhLi192ELi16ELi128ELNS_18Fp8KVCacheDataTypeE1ELb1ELi512EEEvPfS2_PT_PKS3_PKT0_S9_ifPKiSB_iPKfiiiSD_SD_iiiii
	.globl	_ZN4vllm25paged_attention_v2_kernelIfhLi192ELi16ELi128ELNS_18Fp8KVCacheDataTypeE1ELb1ELi512EEEvPfS2_PT_PKS3_PKT0_S9_ifPKiSB_iPKfiiiSD_SD_iiiii
	.p2align	8
	.type	_ZN4vllm25paged_attention_v2_kernelIfhLi192ELi16ELi128ELNS_18Fp8KVCacheDataTypeE1ELb1ELi512EEEvPfS2_PT_PKS3_PKT0_S9_ifPKiSB_iPKfiiiSD_SD_iiiii,@function
_ZN4vllm25paged_attention_v2_kernelIfhLi192ELi16ELi128ELNS_18Fp8KVCacheDataTypeE1ELb1ELi512EEEvPfS2_PT_PKS3_PKT0_S9_ifPKiSB_iPKfiiiSD_SD_iiiii: ; @_ZN4vllm25paged_attention_v2_kernelIfhLi192ELi16ELi128ELNS_18Fp8KVCacheDataTypeE1ELb1ELi512EEEvPfS2_PT_PKS3_PKT0_S9_ifPKiSB_iPKfiiiSD_SD_iiiii
; %bb.0:
	s_load_b64 s[2:3], s[0:1], 0x40
	s_and_b32 s19, ttmp7, 0xffff
	s_lshr_b32 s33, ttmp7, 16
	s_lshl_b32 s4, s19, 2
	s_lshl_b32 s36, s33, 9
	s_wait_kmcnt 0x0
	s_load_b32 s34, s[2:3], s4 offset:0x0
	s_wait_kmcnt 0x0
	s_cmp_ge_i32 s36, s34
	s_cbranch_scc1 .LBB214_152
; %bb.1:
	s_clause 0x1
	s_load_b32 s35, s[0:1], 0x90
	s_load_b64 s[6:7], s[0:1], 0x30
	s_wait_kmcnt 0x0
	s_abs_i32 s5, s35
	s_abs_i32 s2, s6
	s_delay_alu instid0(SALU_CYCLE_1) | instskip(SKIP_1) | instid1(SALU_CYCLE_2)
	s_cvt_f32_u32 s3, s2
	s_sub_co_i32 s4, 0, s2
	v_rcp_iflag_f32_e32 v1, s3
	s_delay_alu instid0(TRANS32_DEP_1) | instskip(SKIP_2) | instid1(SALU_CYCLE_2)
	v_readfirstlane_b32 s3, v1
	s_mul_f32 s3, s3, 0x4f7ffffe
	s_wait_alu 0xfffe
	s_cvt_u32_f32 s3, s3
	s_wait_alu 0xfffe
	s_delay_alu instid0(SALU_CYCLE_2) | instskip(NEXT) | instid1(SALU_CYCLE_1)
	s_mul_i32 s4, s4, s3
	s_mul_hi_u32 s4, s3, s4
	s_delay_alu instid0(SALU_CYCLE_1)
	s_add_co_i32 s3, s3, s4
	s_xor_b32 s4, s35, s6
	s_wait_alu 0xfffe
	s_mul_hi_u32 s3, s5, s3
	s_ashr_i32 s4, s4, 31
	s_wait_alu 0xfffe
	s_mul_i32 s8, s3, s2
	s_delay_alu instid0(SALU_CYCLE_1)
	s_sub_co_i32 s5, s5, s8
	s_add_co_i32 s8, s3, 1
	s_sub_co_i32 s9, s5, s2
	s_cmp_ge_u32 s5, s2
	s_cselect_b32 s3, s8, s3
	s_cselect_b32 s5, s9, s5
	s_wait_alu 0xfffe
	s_add_co_i32 s8, s3, 1
	s_cmp_ge_u32 s5, s2
	s_cselect_b32 s2, s8, s3
	s_load_b64 s[8:9], s[0:1], 0x50
	s_xor_b32 s2, s2, s4
	s_mov_b32 s3, 0
	s_wait_alu 0xfffe
	s_sub_co_i32 s11, s2, s4
	s_mov_b32 s30, s3
	s_abs_i32 s10, s11
	s_delay_alu instid0(SALU_CYCLE_1) | instskip(SKIP_1) | instid1(SALU_CYCLE_2)
	s_cvt_f32_u32 s2, s10
	s_wait_alu 0xfffe
	v_rcp_iflag_f32_e32 v1, s2
	s_delay_alu instid0(TRANS32_DEP_1) | instskip(SKIP_2) | instid1(SALU_CYCLE_2)
	v_readfirstlane_b32 s2, v1
	s_mul_f32 s2, s2, 0x4f7ffffe
	s_wait_alu 0xfffe
	s_cvt_u32_f32 s4, s2
	s_sub_co_i32 s2, 0, s10
	s_wait_alu 0xfffe
	s_delay_alu instid0(SALU_CYCLE_1)
	s_mul_i32 s2, s2, s4
	s_wait_alu 0xfffe
	s_mul_hi_u32 s5, s4, s2
	s_abs_i32 s2, ttmp9
	s_add_co_i32 s4, s4, s5
	s_mov_b32 s5, s3
	s_wait_kmcnt 0x0
	s_cmp_eq_u64 s[8:9], 0
	s_cbranch_scc1 .LBB214_3
; %bb.2:
	s_mov_b32 s12, ttmp9
	s_ashr_i32 s13, ttmp9, 31
	s_delay_alu instid0(SALU_CYCLE_1) | instskip(NEXT) | instid1(SALU_CYCLE_1)
	s_lshl_b64 s[12:13], s[12:13], 2
	s_add_nc_u64 s[8:9], s[8:9], s[12:13]
	s_load_b32 s30, s[8:9], 0x0
.LBB214_3:
	s_load_b96 s[16:18], s[0:1], 0x58
	v_and_b32_e32 v1, 1, v0
	v_lshlrev_b32_e32 v5, 2, v0
	s_mul_u64 s[4:5], s[2:3], s[4:5]
	s_ashr_i32 s3, ttmp9, 31
	s_ashr_i32 s4, s11, 31
	s_mul_i32 s20, ttmp9, 0xc0
	s_mov_b32 s8, exec_lo
	v_cmpx_gt_u32_e32 0x60, v0
	s_cbranch_execz .LBB214_5
; %bb.4:
	s_load_b64 s[12:13], s[0:1], 0x18
	s_wait_kmcnt 0x0
	s_mul_i32 s14, s16, s19
	s_ashr_i32 s21, s20, 31
	s_ashr_i32 s15, s14, 31
	v_lshlrev_b32_e32 v2, 3, v0
	s_lshl_b64 s[14:15], s[14:15], 2
	v_and_b32_e32 v4, 0xff8, v5
	s_delay_alu instid0(VALU_DEP_1) | instskip(SKIP_2) | instid1(SALU_CYCLE_1)
	v_mad_u32_u24 v4, 0x180, v1, v4
	s_add_nc_u64 s[12:13], s[12:13], s[14:15]
	s_lshl_b64 s[14:15], s[20:21], 2
	s_add_nc_u64 s[12:13], s[12:13], s[14:15]
	global_load_b64 v[2:3], v2, s[12:13]
	s_wait_loadcnt 0x0
	ds_store_b64 v4, v[2:3]
.LBB214_5:
	s_or_b32 exec_lo, exec_lo, s8
	s_load_b128 s[12:15], s[0:1], 0x78
	s_mul_i32 s8, s5, s10
	s_xor_b32 s3, s3, s4
	s_sub_co_i32 s2, s2, s8
	s_add_co_i32 s4, s5, 1
	s_wait_alu 0xfffe
	s_sub_co_i32 s8, s2, s10
	s_cmp_ge_u32 s2, s10
                                        ; implicit-def: $sgpr21
	s_cselect_b32 s4, s4, s5
	s_cselect_b32 s2, s8, s2
	s_add_co_i32 s5, s4, 1
	s_wait_alu 0xfffe
	s_cmp_ge_u32 s2, s10
	s_load_b32 s8, s[0:1], 0x88
	s_cselect_b32 s2, s5, s4
	s_add_co_i32 s9, s34, -1
	s_wait_alu 0xfffe
	s_xor_b32 s2, s2, s3
	s_mov_b32 s10, -1
	s_wait_alu 0xfffe
	s_sub_co_i32 s28, s2, s3
	s_wait_dscnt 0x0
	s_barrier_signal -1
	s_wait_kmcnt 0x0
	s_abs_i32 s16, s15
	s_barrier_wait -1
	s_cvt_f32_u32 s4, s16
	global_inv scope:SCOPE_SE
	v_rcp_iflag_f32_e32 v2, s4
	s_delay_alu instid0(TRANS32_DEP_1) | instskip(SKIP_2) | instid1(SALU_CYCLE_2)
	v_readfirstlane_b32 s4, v2
	s_mul_f32 s2, s4, 0x4f7ffffe
	s_wait_alu 0xfffe
	s_cvt_u32_f32 s4, s2
	s_sub_co_i32 s2, 0, s16
	s_wait_alu 0xfffe
	s_delay_alu instid0(SALU_CYCLE_1)
	s_mul_i32 s3, s2, s4
	s_abs_i32 s2, s9
	s_wait_alu 0xfffe
	s_mul_hi_u32 s5, s4, s3
	s_mov_b32 s3, 0
	s_wait_alu 0xfffe
	s_add_co_i32 s22, s4, s5
	s_cmp_lt_i32 s8, 0
	s_mov_b32 s23, s3
	s_cbranch_scc0 .LBB214_7
; %bb.6:
	s_mul_i32 s4, s12, s6
	s_mov_b32 s10, s3
	s_wait_alu 0xfffe
	s_add_co_i32 s4, s28, s4
	s_wait_alu 0xfffe
	s_mul_i32 s4, s4, s8
	s_wait_alu 0xfffe
	s_sub_co_i32 s21, 1, s4
.LBB214_7:
	s_mul_u64 s[4:5], s[2:3], s[22:23]
	s_ashr_i32 s3, s9, 31
	s_and_not1_b32 vcc_lo, exec_lo, s10
	s_ashr_i32 s15, s15, 31
	s_cbranch_vccnz .LBB214_9
; %bb.8:
	s_mul_i32 s4, s35, s12
	s_wait_alu 0xfffe
	s_add_co_i32 s4, s4, ttmp9
	s_wait_alu 0xfffe
	s_mul_i32 s4, s4, s8
	s_wait_alu 0xfffe
	s_add_co_i32 s21, s4, 1
.LBB214_9:
	s_clause 0x3
	s_load_b32 s4, s[0:1], 0x48
	s_load_b64 s[24:25], s[0:1], 0x38
	s_load_b32 s12, s[0:1], 0x98
	s_load_b128 s[8:11], s[0:1], 0x68
	s_mul_i32 s6, s5, s16
	s_xor_b32 s3, s3, s15
	s_sub_co_i32 s2, s2, s6
	s_add_co_i32 s23, s5, 1
	v_lshrrev_b32_e32 v11, 5, v0
	v_mbcnt_lo_u32_b32 v7, -1, 0
	s_mul_i32 s28, s28, s18
	s_delay_alu instid0(VALU_DEP_2)
	v_lshl_add_u32 v12, v11, 4, s36
	s_wait_kmcnt 0x0
	s_mul_i32 s26, s4, s19
	s_wait_alu 0xfffe
	s_sub_co_i32 s4, s2, s16
	s_ashr_i32 s27, s26, 31
	s_cmp_ge_u32 s2, s16
	s_cselect_b32 s5, s23, s5
	s_wait_alu 0xfffe
	s_cselect_b32 s2, s4, s2
	s_add_co_i32 s4, s5, 1
	s_wait_alu 0xfffe
	s_cmp_ge_u32 s2, s16
	s_cselect_b32 s2, s4, s5
	s_add_co_i32 s4, s34, 15
	s_lshl_b32 s39, s33, 5
	s_wait_alu 0xfffe
	s_ashr_i32 s5, s4, 31
	v_or_b32_e32 v13, s39, v11
	s_wait_alu 0xfffe
	s_lshr_b32 s5, s5, 28
	v_mov_b32_e32 v9, 0xff7fffff
	s_wait_alu 0xfffe
	s_add_co_i32 s4, s4, s5
	s_add_co_i32 s5, s39, 32
	s_wait_alu 0xfffe
	s_ashr_i32 s37, s4, 4
	s_xor_b32 s4, s2, s3
	s_wait_alu 0xfffe
	s_min_i32 s23, s5, s37
	v_lshlrev_b32_e32 v6, 2, v13
	v_cmp_gt_i32_e64 s2, s23, v13
	s_sub_co_i32 s38, s4, s3
	s_and_saveexec_b32 s6, s2
	s_cbranch_execz .LBB214_21
; %bb.10:
	s_wait_alu 0xfffe
	s_sub_co_i32 s18, s38, s13
	s_ashr_i32 s29, s28, 31
	s_cmp_neq_f32 s30, 0
	s_load_b64 s[4:5], s[0:1], 0x20
	v_bfe_u32 v8, v0, 1, 4
	v_lshlrev_b32_e32 v3, 1, v1
	s_cselect_b32 vcc_lo, -1, 0
	s_abs_i32 s31, s14
	v_mul_u32_u24_e32 v10, 0x180, v1
	s_cvt_f32_u32 s3, s31
	v_dual_mov_b32 v17, 0xff7fffff :: v_dual_lshlrev_b32 v4, 2, v8
	s_lshl_b64 s[42:43], s[26:27], 2
	s_wait_alu 0xfffe
	v_rcp_iflag_f32_e32 v2, s3
	v_cmp_eq_u32_e64 s3, 0, v1
	v_lshlrev_b32_e32 v1, 4, v8
	v_subrev_nc_u32_e32 v9, s34, v8
	v_lshl_or_b32 v16, v11, 6, v4
	s_add_nc_u64 s[42:43], s[24:25], s[42:43]
	s_sub_co_i32 s44, 0, s31
	v_lshl_add_u32 v14, v11, 4, s36
	v_add_nc_u32_e32 v15, 1, v9
	v_dual_mov_b32 v19, v13 :: v_dual_add_nc_u32 v16, 0x320, v16
	v_readfirstlane_b32 s41, v2
	s_wait_kmcnt 0x0
	s_add_nc_u64 s[4:5], s[4:5], s[28:29]
	v_xor_b32_e32 v18, 1, v7
	s_wait_alu 0xfffe
	v_add_co_u32 v1, s4, s4, v1
	s_mul_f32 s29, s41, 0x4f7ffffe
	s_wait_alu 0xf1ff
	v_add_co_ci_u32_e64 v2, null, s5, 0, s4
	v_add_co_u32 v1, s4, v1, v3
	s_cvt_u32_f32 s5, s29
	s_wait_alu 0xf1ff
	v_add_co_ci_u32_e64 v2, null, 0, v2, s4
	v_add_co_u32 v3, s4, s42, v6
	s_wait_alu 0xfffe
	s_mul_i32 s44, s44, s5
	v_add_co_ci_u32_e64 v4, null, s43, 0, s4
	v_mov_b32_e32 v9, 0xff7fffff
	s_mul_hi_u32 s4, s5, s44
	s_mov_b32 s40, 0
	s_mov_b32 s29, s17
	s_wait_alu 0xfffe
	s_add_co_i32 s41, s5, s4
	s_branch .LBB214_13
.LBB214_11:                             ;   in Loop: Header=BB214_13 Depth=1
	s_wait_alu 0xfffe
	s_or_b32 exec_lo, exec_lo, s42
.LBB214_12:                             ;   in Loop: Header=BB214_13 Depth=1
	s_wait_alu 0xfffe
	s_or_b32 exec_lo, exec_lo, s5
	v_add_nc_u32_e32 v19, 4, v19
	v_add_co_u32 v3, s5, v3, 16
	s_wait_alu 0xf1ff
	v_add_co_ci_u32_e64 v4, null, 0, v4, s5
	s_delay_alu instid0(VALU_DEP_3)
	v_cmp_le_i32_e64 s4, s23, v19
	v_add_nc_u32_e32 v14, 64, v14
	v_add_nc_u32_e32 v16, 0x100, v16
	s_or_b32 s40, s4, s40
	s_wait_alu 0xfffe
	s_and_not1_b32 exec_lo, exec_lo, s40
	s_cbranch_execz .LBB214_20
.LBB214_13:                             ; =>This Inner Loop Header: Depth=1
	v_sub_nc_u32_e32 v20, 0, v14
	s_delay_alu instid0(VALU_DEP_1) | instskip(SKIP_1) | instid1(VALU_DEP_1)
	v_max_i32_e32 v20, v14, v20
	s_wait_dscnt 0x0
	v_mul_hi_u32 v21, v20, s22
	s_delay_alu instid0(VALU_DEP_1) | instskip(NEXT) | instid1(VALU_DEP_1)
	v_mul_lo_u32 v22, v21, s16
	v_sub_nc_u32_e32 v20, v20, v22
	v_add_nc_u32_e32 v22, 1, v21
	s_delay_alu instid0(VALU_DEP_2) | instskip(SKIP_2) | instid1(VALU_DEP_1)
	v_subrev_nc_u32_e32 v23, s16, v20
	v_cmp_le_u32_e64 s4, s16, v20
	s_wait_alu 0xf1ff
	v_cndmask_b32_e64 v21, v21, v22, s4
	s_delay_alu instid0(VALU_DEP_3) | instskip(SKIP_1) | instid1(VALU_DEP_3)
	v_cndmask_b32_e64 v20, v20, v23, s4
	v_ashrrev_i32_e32 v22, 31, v14
	v_add_nc_u32_e32 v23, 1, v21
	s_delay_alu instid0(VALU_DEP_3) | instskip(NEXT) | instid1(VALU_DEP_3)
	v_cmp_le_u32_e64 s4, s16, v20
	v_xor_b32_e32 v22, s15, v22
	s_wait_alu 0xf1ff
	s_delay_alu instid0(VALU_DEP_2) | instskip(NEXT) | instid1(VALU_DEP_1)
	v_cndmask_b32_e64 v20, v21, v23, s4
	v_xor_b32_e32 v20, v20, v22
	s_delay_alu instid0(VALU_DEP_1) | instskip(NEXT) | instid1(VALU_DEP_1)
	v_sub_nc_u32_e32 v20, v20, v22
	v_add_nc_u32_e32 v21, s21, v20
	v_cmp_ge_i32_e64 s5, s18, v20
	s_delay_alu instid0(VALU_DEP_2) | instskip(NEXT) | instid1(VALU_DEP_1)
	v_sub_nc_u32_e32 v22, 0, v21
	v_max_i32_e32 v22, v21, v22
	v_ashrrev_i32_e32 v21, 31, v21
	s_delay_alu instid0(VALU_DEP_2) | instskip(NEXT) | instid1(VALU_DEP_1)
	v_mul_hi_u32 v23, v22, s41
	v_mul_lo_u32 v23, v23, s31
	s_delay_alu instid0(VALU_DEP_1) | instskip(NEXT) | instid1(VALU_DEP_1)
	v_sub_nc_u32_e32 v22, v22, v23
	v_subrev_nc_u32_e32 v23, s31, v22
	v_cmp_le_u32_e64 s4, s31, v22
	s_wait_alu 0xf1ff
	s_delay_alu instid0(VALU_DEP_1) | instskip(NEXT) | instid1(VALU_DEP_1)
	v_cndmask_b32_e64 v22, v22, v23, s4
	v_subrev_nc_u32_e32 v23, s31, v22
	v_cmp_le_u32_e64 s4, s31, v22
	s_wait_alu 0xf1ff
	s_delay_alu instid0(VALU_DEP_1) | instskip(NEXT) | instid1(VALU_DEP_1)
	v_cndmask_b32_e64 v22, v22, v23, s4
	v_xor_b32_e32 v22, v22, v21
	s_delay_alu instid0(VALU_DEP_1) | instskip(NEXT) | instid1(VALU_DEP_1)
	v_sub_nc_u32_e32 v21, v22, v21
	v_cmp_ne_u32_e64 s4, 0, v21
	s_and_b32 s4, s4, s5
	s_wait_alu 0xfffe
	s_and_saveexec_b32 s5, s4
	s_wait_alu 0xfffe
	s_xor_b32 s4, exec_lo, s5
	s_cbranch_execz .LBB214_17
; %bb.14:                               ;   in Loop: Header=BB214_13 Depth=1
	s_and_saveexec_b32 s5, s3
; %bb.15:                               ;   in Loop: Header=BB214_13 Depth=1
	ds_store_b32 v16, v17
; %bb.16:                               ;   in Loop: Header=BB214_13 Depth=1
	s_wait_alu 0xfffe
	s_or_b32 exec_lo, exec_lo, s5
.LBB214_17:                             ;   in Loop: Header=BB214_13 Depth=1
	s_wait_alu 0xfffe
	s_and_not1_saveexec_b32 s5, s4
	s_cbranch_execz .LBB214_12
; %bb.18:                               ;   in Loop: Header=BB214_13 Depth=1
	global_load_b32 v20, v[3:4], off
	s_wait_loadcnt 0x0
	v_mad_co_i64_i32 v[68:69], null, v20, s29, v[1:2]
	s_clause 0x1f
	global_load_u16 v66, v[68:69], off offset:4
	global_load_u16 v65, v[68:69], off offset:8
	;; [unrolled: 1-line block ×7, first 2 shown]
	global_load_u16 v67, v[68:69], off
	global_load_u16 v59, v[68:69], off offset:512
	global_load_u16 v58, v[68:69], off offset:516
	;; [unrolled: 1-line block ×24, first 2 shown]
	s_clause 0xf
	global_load_u16 v35, v[68:69], off offset:2048
	global_load_u16 v34, v[68:69], off offset:2052
	;; [unrolled: 1-line block ×16, first 2 shown]
	s_load_b32 s4, s[8:9], 0x0
	ds_load_b128 v[68:71], v10
	ds_load_b128 v[72:75], v10 offset:16
	ds_load_b128 v[76:79], v10 offset:32
	;; [unrolled: 1-line block ×17, first 2 shown]
	s_wait_loadcnt 0x2f
	v_cvt_pk_f32_fp8_e32 v[140:141], v66
	s_wait_kmcnt 0x0
	s_delay_alu instid0(VALU_DEP_1)
	v_dual_mul_f32 v142, s4, v140 :: v_dual_mul_f32 v143, s4, v141
	s_wait_loadcnt 0x28
	v_cvt_pk_f32_fp8_e32 v[66:67], v67
	v_cvt_pk_f32_fp8_e32 v[140:141], v65
	;; [unrolled: 1-line block ×3, first 2 shown]
	s_wait_dscnt 0x11
	v_dual_mul_f32 v150, v70, v142 :: v_dual_mul_f32 v151, v71, v143
	v_dual_mul_f32 v67, s4, v67 :: v_dual_mul_f32 v66, s4, v66
	;; [unrolled: 1-line block ×3, first 2 shown]
	v_cvt_pk_f32_fp8_e32 v[148:149], v60
	s_delay_alu instid0(VALU_DEP_3) | instskip(SKIP_3) | instid1(VALU_DEP_3)
	v_dual_fmac_f32 v151, v69, v67 :: v_dual_fmac_f32 v150, v68, v66
	v_cvt_pk_f32_fp8_e32 v[66:67], v63
	v_dual_mul_f32 v63, s4, v65 :: v_dual_mul_f32 v64, s4, v64
	s_wait_dscnt 0x10
	v_dual_fmac_f32 v151, v73, v70 :: v_dual_fmac_f32 v150, v72, v71
	v_cvt_pk_f32_fp8_e32 v[70:71], v62
	v_dual_mul_f32 v72, s4, v67 :: v_dual_mul_f32 v73, s4, v66
	s_delay_alu instid0(VALU_DEP_3) | instskip(NEXT) | instid1(VALU_DEP_3)
	v_dual_fmac_f32 v151, v75, v63 :: v_dual_fmac_f32 v150, v74, v64
	v_dual_mul_f32 v140, s4, v71 :: v_dual_mul_f32 v141, s4, v70
	v_cvt_pk_f32_fp8_e32 v[60:61], v61
	s_wait_dscnt 0xf
	s_delay_alu instid0(VALU_DEP_3) | instskip(SKIP_1) | instid1(VALU_DEP_3)
	v_dual_fmac_f32 v151, v77, v72 :: v_dual_fmac_f32 v150, v76, v73
	v_dual_mul_f32 v148, s4, v148 :: v_dual_mul_f32 v149, s4, v149
	v_dual_mul_f32 v61, s4, v61 :: v_dual_mul_f32 v60, s4, v60
	s_delay_alu instid0(VALU_DEP_3)
	v_dual_fmac_f32 v150, v78, v141 :: v_dual_fmac_f32 v151, v79, v140
	s_wait_loadcnt 0x27
	v_cvt_pk_f32_fp8_e32 v[78:79], v59
	s_wait_loadcnt 0x26
	v_cvt_pk_f32_fp8_e32 v[58:59], v58
	ds_load_b128 v[62:65], v10 offset:288
	ds_load_b128 v[66:69], v10 offset:304
	s_wait_dscnt 0x10
	v_dual_fmac_f32 v150, v80, v148 :: v_dual_fmac_f32 v151, v81, v149
	v_dual_mul_f32 v79, s4, v79 :: v_dual_mul_f32 v78, s4, v78
	v_dual_mul_f32 v59, s4, v59 :: v_dual_mul_f32 v58, s4, v58
	s_delay_alu instid0(VALU_DEP_3)
	v_dual_fmac_f32 v150, v82, v60 :: v_dual_fmac_f32 v151, v83, v61
	s_wait_loadcnt 0x25
	v_cvt_pk_f32_fp8_e32 v[60:61], v57
	s_wait_loadcnt 0x24
	v_cvt_pk_f32_fp8_e32 v[56:57], v56
	ds_load_b128 v[70:73], v10 offset:320
	ds_load_b128 v[74:77], v10 offset:336
	s_wait_dscnt 0x11
	;; [unrolled: 12-line block ×3, first 2 shown]
	v_dual_fmac_f32 v150, v88, v60 :: v_dual_fmac_f32 v151, v89, v61
	v_dual_mul_f32 v59, s4, v59 :: v_dual_mul_f32 v58, s4, v58
	v_dual_mul_f32 v55, s4, v55 :: v_dual_mul_f32 v54, s4, v54
	s_delay_alu instid0(VALU_DEP_3)
	v_dual_fmac_f32 v150, v90, v56 :: v_dual_fmac_f32 v151, v91, v57
	s_wait_loadcnt 0x21
	v_cvt_pk_f32_fp8_e32 v[56:57], v53
	s_wait_loadcnt 0x20
	v_cvt_pk_f32_fp8_e32 v[52:53], v52
	s_wait_dscnt 0x11
	v_dual_fmac_f32 v150, v92, v58 :: v_dual_fmac_f32 v151, v93, v59
	v_dual_mul_f32 v56, s4, v56 :: v_dual_mul_f32 v57, s4, v57
	s_delay_alu instid0(VALU_DEP_3) | instskip(NEXT) | instid1(VALU_DEP_3)
	v_dual_mul_f32 v53, s4, v53 :: v_dual_mul_f32 v52, s4, v52
	v_dual_fmac_f32 v150, v94, v54 :: v_dual_fmac_f32 v151, v95, v55
	s_wait_loadcnt 0x1f
	v_cvt_pk_f32_fp8_e32 v[54:55], v51
	s_wait_loadcnt 0x1e
	v_cvt_pk_f32_fp8_e32 v[50:51], v50
	s_wait_dscnt 0x10
	v_dual_fmac_f32 v150, v96, v56 :: v_dual_fmac_f32 v151, v97, v57
	v_dual_mul_f32 v55, s4, v55 :: v_dual_mul_f32 v54, s4, v54
	s_delay_alu instid0(VALU_DEP_3) | instskip(NEXT) | instid1(VALU_DEP_3)
	v_dual_mul_f32 v51, s4, v51 :: v_dual_mul_f32 v50, s4, v50
	;; [unrolled: 10-line block ×17, first 2 shown]
	v_dual_fmac_f32 v150, v22, v142 :: v_dual_fmac_f32 v151, v23, v143
	v_cmp_gt_i32_e64 s4, 32, v18
	s_wait_dscnt 0x0
	s_delay_alu instid0(VALU_DEP_2) | instskip(SKIP_1) | instid1(VALU_DEP_2)
	v_dual_fmac_f32 v150, v24, v144 :: v_dual_fmac_f32 v151, v25, v145
	s_wait_alu 0xf1ff
	v_cndmask_b32_e64 v22, v7, v18, s4
	s_delay_alu instid0(VALU_DEP_2) | instskip(NEXT) | instid1(VALU_DEP_1)
	v_dual_fmac_f32 v150, v20, v146 :: v_dual_fmac_f32 v151, v21, v147
	v_dual_add_f32 v20, v150, v151 :: v_dual_lshlrev_b32 v21, 2, v22
	ds_bpermute_b32 v21, v21, v20
	s_and_saveexec_b32 s42, s3
	s_cbranch_execz .LBB214_11
; %bb.19:                               ;   in Loop: Header=BB214_13 Depth=1
	s_wait_dscnt 0x0
	v_add_f32_e32 v20, v20, v21
	v_add_nc_u32_e32 v22, v15, v14
	s_delay_alu instid0(VALU_DEP_1) | instskip(NEXT) | instid1(VALU_DEP_1)
	v_cvt_f32_i32_e32 v22, v22
	v_mul_f32_e32 v22, s30, v22
	s_delay_alu instid0(VALU_DEP_1) | instskip(NEXT) | instid1(VALU_DEP_1)
	v_dual_cndmask_b32 v21, 0, v22 :: v_dual_max_num_f32 v22, v9, v9
	v_dual_fmac_f32 v21, s7, v20 :: v_dual_add_nc_u32 v20, v8, v14
	s_delay_alu instid0(VALU_DEP_1) | instskip(NEXT) | instid1(VALU_DEP_2)
	v_max_num_f32_e32 v22, v22, v21
	v_cmp_gt_i32_e64 s4, s34, v20
	s_wait_alu 0xf1ff
	s_delay_alu instid0(VALU_DEP_1) | instskip(NEXT) | instid1(VALU_DEP_3)
	v_cndmask_b32_e64 v20, 0, v21, s4
	v_cndmask_b32_e64 v9, v9, v22, s4
	ds_store_b32 v16, v20
	s_branch .LBB214_11
.LBB214_20:
	s_or_b32 exec_lo, exec_lo, s40
.LBB214_21:
	s_delay_alu instid0(SALU_CYCLE_1)
	s_or_b32 exec_lo, exec_lo, s6
	v_xor_b32_e32 v1, 16, v7
	v_xor_b32_e32 v3, 8, v7
	;; [unrolled: 1-line block ×3, first 2 shown]
	s_clause 0x2
	s_load_b128 s[4:7], s[0:1], 0x0
	s_load_b64 s[8:9], s[0:1], 0x10
	s_load_b64 s[30:31], s[0:1], 0x28
	v_and_b32_e32 v14, 31, v0
	v_cmp_gt_i32_e32 vcc_lo, 32, v1
	s_wait_alu 0xfffd
	v_cndmask_b32_e32 v1, v7, v1, vcc_lo
	v_cmp_gt_i32_e32 vcc_lo, 32, v3
	s_wait_alu 0xfffd
	s_delay_alu instid0(VALU_DEP_2)
	v_dual_cndmask_b32 v3, v7, v3 :: v_dual_lshlrev_b32 v2, 2, v1
	v_max_num_f32_e32 v4, v9, v9
	v_cmp_gt_i32_e32 vcc_lo, 32, v8
	ds_bpermute_b32 v1, v2, v9
	v_lshlrev_b32_e32 v3, 2, v3
	v_xor_b32_e32 v9, 2, v7
	s_wait_alu 0xfffd
	v_cndmask_b32_e32 v8, v7, v8, vcc_lo
	s_delay_alu instid0(VALU_DEP_2) | instskip(SKIP_1) | instid1(VALU_DEP_2)
	v_cmp_gt_i32_e32 vcc_lo, 32, v9
	s_wait_alu 0xfffd
	v_dual_cndmask_b32 v9, v7, v9 :: v_dual_lshlrev_b32 v8, 2, v8
	v_cmp_eq_u32_e32 vcc_lo, 0, v14
	s_delay_alu instid0(VALU_DEP_2) | instskip(SKIP_3) | instid1(VALU_DEP_1)
	v_lshlrev_b32_e32 v15, 2, v9
	v_lshlrev_b32_e32 v9, 2, v11
	s_wait_dscnt 0x0
	v_max_num_f32_e32 v1, v1, v1
	v_max_num_f32_e32 v1, v4, v1
	ds_bpermute_b32 v4, v3, v1
	s_wait_dscnt 0x0
	v_max_num_f32_e32 v4, v4, v4
	s_delay_alu instid0(VALU_DEP_1) | instskip(SKIP_3) | instid1(VALU_DEP_1)
	v_max_num_f32_e32 v1, v1, v4
	ds_bpermute_b32 v4, v8, v1
	s_wait_dscnt 0x0
	v_max_num_f32_e32 v4, v4, v4
	v_max_num_f32_e32 v1, v1, v4
	ds_bpermute_b32 v4, v15, v1
	s_and_saveexec_b32 s0, vcc_lo
	s_cbranch_execz .LBB214_23
; %bb.22:
	s_wait_dscnt 0x0
	v_dual_max_num_f32 v4, v4, v4 :: v_dual_max_num_f32 v1, v1, v1
	s_delay_alu instid0(VALU_DEP_1)
	v_max_num_f32_e32 v1, v1, v4
	ds_store_b32 v9, v1 offset:768
.LBB214_23:
	s_or_b32 exec_lo, exec_lo, s0
	v_cmp_gt_u32_e64 s0, 4, v14
	v_dual_mov_b32 v1, 0xff7fffff :: v_dual_lshlrev_b32 v10, 2, v14
	s_wait_loadcnt_dscnt 0x0
	s_barrier_signal -1
	s_barrier_wait -1
	global_inv scope:SCOPE_SE
	s_and_saveexec_b32 s1, s0
; %bb.24:
	ds_load_b32 v1, v10 offset:768
; %bb.25:
	s_or_b32 exec_lo, exec_lo, s1
	s_wait_dscnt 0x0
	ds_bpermute_b32 v4, v15, v1
	v_xor_b32_e32 v16, 1, v7
	v_max_num_f32_e32 v1, v1, v1
	s_delay_alu instid0(VALU_DEP_2) | instskip(NEXT) | instid1(VALU_DEP_1)
	v_cmp_gt_i32_e64 s1, 32, v16
	v_cndmask_b32_e64 v7, v7, v16, s1
	s_sub_co_i32 s1, s23, s39
	s_wait_alu 0xfffe
	s_lshl_b32 s1, s1, 4
	s_wait_alu 0xfffe
	s_add_co_i32 s1, s1, s36
	s_wait_alu 0xfffe
	s_min_i32 s1, s1, s34
	s_wait_alu 0xfffe
	s_sub_co_i32 s18, s1, s36
	s_wait_dscnt 0x0
	v_max_num_f32_e32 v4, v4, v4
	v_lshlrev_b32_e32 v16, 2, v7
	s_wait_alu 0xfffe
	v_cmp_gt_i32_e64 s1, s18, v0
	v_mov_b32_e32 v7, 0
	v_max_num_f32_e32 v1, v1, v4
	ds_bpermute_b32 v4, v16, v1
	s_wait_dscnt 0x0
	v_max_num_f32_e32 v4, v4, v4
	s_delay_alu instid0(VALU_DEP_1)
	v_max_num_f32_e32 v1, v1, v4
	v_lshl_add_u32 v4, v0, 2, 0x320
	ds_bpermute_b32 v1, v7, v1
	s_and_saveexec_b32 s29, s1
	s_cbranch_execz .LBB214_29
; %bb.26:
	v_lshl_add_u32 v17, v0, 2, 0x320
	v_dual_mov_b32 v7, 0 :: v_dual_mov_b32 v18, v0
	s_mov_b32 s36, 0
.LBB214_27:                             ; =>This Inner Loop Header: Depth=1
	ds_load_b32 v19, v17
	v_add_nc_u32_e32 v18, 0x80, v18
	s_delay_alu instid0(VALU_DEP_1) | instskip(SKIP_4) | instid1(VALU_DEP_1)
	v_cmp_le_i32_e64 s3, s18, v18
	s_wait_alu 0xfffe
	s_or_b32 s36, s3, s36
	s_wait_dscnt 0x0
	v_sub_f32_e32 v19, v19, v1
	v_mul_f32_e32 v19, 0x3fb8aa3b, v19
	s_delay_alu instid0(VALU_DEP_1)
	v_exp_f32_e32 v19, v19
	ds_store_b32 v17, v19
	v_add_f32_e32 v7, v7, v19
	v_add_nc_u32_e32 v17, 0x200, v17
	s_wait_alu 0xfffe
	s_and_not1_b32 exec_lo, exec_lo, s36
	s_cbranch_execnz .LBB214_27
; %bb.28:
	s_or_b32 exec_lo, exec_lo, s36
.LBB214_29:
	s_wait_alu 0xfffe
	s_or_b32 exec_lo, exec_lo, s29
	ds_bpermute_b32 v2, v2, v7
	s_wait_dscnt 0x0
	v_add_f32_e32 v2, v7, v2
	ds_bpermute_b32 v3, v3, v2
	s_wait_dscnt 0x0
	v_add_f32_e32 v2, v2, v3
	;; [unrolled: 3-line block ×5, first 2 shown]
	s_and_saveexec_b32 s3, vcc_lo
; %bb.30:
	ds_store_b32 v9, v2 offset:784
; %bb.31:
	s_wait_alu 0xfffe
	s_or_b32 exec_lo, exec_lo, s3
	s_wait_loadcnt_dscnt 0x0
	s_barrier_signal -1
	s_barrier_wait -1
	global_inv scope:SCOPE_SE
	s_and_saveexec_b32 s3, s0
; %bb.32:
	ds_load_b32 v2, v10 offset:784
; %bb.33:
	s_wait_alu 0xfffe
	s_or_b32 exec_lo, exec_lo, s3
	s_wait_dscnt 0x0
	ds_bpermute_b32 v3, v15, v2
	s_wait_dscnt 0x0
	v_add_f32_e32 v2, v2, v3
	ds_bpermute_b32 v3, v16, v2
	s_wait_dscnt 0x0
	v_dual_add_f32 v2, v2, v3 :: v_dual_mov_b32 v3, 0
	ds_bpermute_b32 v2, v3, v2
	s_and_saveexec_b32 s0, s1
	s_cbranch_execz .LBB214_36
; %bb.34:
	s_wait_dscnt 0x0
	v_add_f32_e32 v3, 0x358637bd, v2
	s_mov_b32 s1, 0
	s_delay_alu instid0(VALU_DEP_1) | instskip(NEXT) | instid1(VALU_DEP_1)
	v_div_scale_f32 v7, null, v3, v3, 1.0
	v_rcp_f32_e32 v8, v7
	s_delay_alu instid0(TRANS32_DEP_1) | instskip(NEXT) | instid1(VALU_DEP_1)
	v_fma_f32 v9, -v7, v8, 1.0
	v_fmac_f32_e32 v8, v9, v8
	v_div_scale_f32 v10, vcc_lo, 1.0, v3, 1.0
	s_delay_alu instid0(VALU_DEP_1) | instskip(NEXT) | instid1(VALU_DEP_1)
	v_mul_f32_e32 v9, v10, v8
	v_fma_f32 v17, -v7, v9, v10
	s_delay_alu instid0(VALU_DEP_1) | instskip(NEXT) | instid1(VALU_DEP_1)
	v_fmac_f32_e32 v9, v17, v8
	v_fma_f32 v7, -v7, v9, v10
	s_wait_alu 0xfffd
	s_delay_alu instid0(VALU_DEP_1) | instskip(NEXT) | instid1(VALU_DEP_1)
	v_div_fmas_f32 v7, v7, v8, v9
	v_div_fixup_f32 v3, v7, v3, 1.0
	v_mov_b32_e32 v7, v0
.LBB214_35:                             ; =>This Inner Loop Header: Depth=1
	ds_load_b32 v8, v4
	s_wait_dscnt 0x0
	v_dual_mul_f32 v8, v3, v8 :: v_dual_add_nc_u32 v7, 0x80, v7
	s_delay_alu instid0(VALU_DEP_1)
	v_cmp_le_i32_e32 vcc_lo, s18, v7
	ds_store_b32 v4, v8
	v_add_nc_u32_e32 v4, 0x200, v4
	s_wait_alu 0xfffe
	s_or_b32 s1, vcc_lo, s1
	s_wait_alu 0xfffe
	s_and_not1_b32 exec_lo, exec_lo, s1
	s_cbranch_execnz .LBB214_35
.LBB214_36:
	s_wait_alu 0xfffe
	s_or_b32 exec_lo, exec_lo, s0
	s_mul_i32 s0, s12, s19
	s_wait_loadcnt_dscnt 0x0
	s_wait_alu 0xfffe
	s_mul_i32 s18, s0, s35
	s_mov_b32 s0, exec_lo
	s_barrier_signal -1
	s_barrier_wait -1
	global_inv scope:SCOPE_SE
	v_cmpx_eq_u32_e32 0, v0
	s_cbranch_execz .LBB214_38
; %bb.37:
	s_wait_alu 0xfffe
	s_ashr_i32 s19, s18, 31
	s_mul_i32 s40, s12, ttmp9
	s_lshl_b32 s1, s33, 2
	s_wait_alu 0xfffe
	s_lshl_b64 s[42:43], s[18:19], 2
	s_ashr_i32 s41, s40, 31
	v_mov_b32_e32 v3, s1
	s_wait_kmcnt 0x0
	s_wait_alu 0xfffe
	s_add_nc_u64 s[6:7], s[6:7], s[42:43]
	s_lshl_b64 s[40:41], s[40:41], 2
	s_add_nc_u64 s[4:5], s[4:5], s[42:43]
	s_wait_alu 0xfffe
	s_add_nc_u64 s[6:7], s[6:7], s[40:41]
	s_add_nc_u64 s[4:5], s[4:5], s[40:41]
	s_clause 0x1
	global_store_b32 v3, v1, s[6:7]
	global_store_b32 v3, v2, s[4:5]
.LBB214_38:
	s_wait_alu 0xfffe
	s_or_b32 exec_lo, exec_lo, s0
	v_dual_mov_b32 v40, 0 :: v_dual_mov_b32 v41, 0
	v_dual_mov_b32 v39, 0 :: v_dual_and_b32 v144, 3, v0
	v_dual_mov_b32 v38, 0 :: v_dual_mov_b32 v37, 0
	v_dual_mov_b32 v36, 0 :: v_dual_mov_b32 v35, 0
	;; [unrolled: 1-line block ×10, first 2 shown]
	v_mov_b32_e32 v18, 0
	s_and_saveexec_b32 s1, s2
	s_cbranch_execz .LBB214_92
; %bb.39:
	s_abs_i32 s2, s14
	v_dual_mov_b32 v18, 0 :: v_dual_lshlrev_b32 v3, 4, v144
	s_wait_alu 0xfffe
	s_cvt_f32_u32 s0, s2
	s_wait_kmcnt 0x0
	s_lshl_b64 s[6:7], s[26:27], 2
	v_dual_mov_b32 v21, 0 :: v_dual_and_b32 v2, 0x7c, v5
	s_wait_alu 0xfffe
	v_rcp_iflag_f32_e32 v1, s0
	s_ashr_i32 s29, s28, 31
	s_add_nc_u64 s[6:7], s[24:25], s[6:7]
	v_dual_mov_b32 v19, 0 :: v_dual_and_b32 v42, 12, v5
	s_wait_alu 0xfffe
	s_add_nc_u64 s[26:27], s[30:31], s[28:29]
	v_add_co_u32 v5, s6, s6, v6
	s_sub_co_i32 s3, s38, s13
	s_sub_co_i32 s13, 0, s2
	s_delay_alu instid0(TRANS32_DEP_1)
	v_readfirstlane_b32 s0, v1
	v_lshl_or_b32 v1, v11, 6, v3
	v_add_co_ci_u32_e64 v6, null, s7, 0, s6
	v_add_co_u32 v7, s6, s26, v2
	s_mul_f32 s0, s0, 0x4f7ffffe
	v_add_co_ci_u32_e64 v8, null, s27, 0, s6
	v_dual_mov_b32 v20, 0 :: v_dual_add_nc_u32 v43, 0x320, v1
	s_wait_alu 0xfffe
	s_cvt_u32_f32 s0, s0
	v_dual_mov_b32 v22, 0 :: v_dual_mov_b32 v23, 0
	v_dual_mov_b32 v24, 0 :: v_dual_mov_b32 v25, 0
	s_wait_alu 0xfffe
	s_mul_i32 s13, s13, s0
	v_dual_mov_b32 v26, 0 :: v_dual_mov_b32 v27, 0
	v_dual_mov_b32 v28, 0 :: v_dual_mov_b32 v29, 0
	;; [unrolled: 1-line block ×8, first 2 shown]
	s_mul_hi_u32 s7, s0, s13
	s_mov_b32 s4, s17
	s_add_co_i32 s5, s37, -1
	s_mov_b32 s6, 0
	s_wait_alu 0xfffe
	s_add_co_i32 s7, s0, s7
	s_branch .LBB214_42
.LBB214_40:                             ;   in Loop: Header=BB214_42 Depth=1
	s_wait_alu 0xfffe
	s_or_b32 exec_lo, exec_lo, s0
	s_wait_dscnt 0x0
	v_mul_f32_e32 v66, v1, v137
	v_mul_f32_e32 v17, v1, v141
	;; [unrolled: 1-line block ×4, first 2 shown]
	s_delay_alu instid0(VALU_DEP_4) | instskip(SKIP_4) | instid1(VALU_DEP_4)
	v_dual_mul_f32 v55, v1, v55 :: v_dual_fmac_f32 v66, v2, v136
	v_mul_f32_e32 v67, v1, v133
	v_fmac_f32_e32 v17, v2, v140
	v_fmac_f32_e32 v47, v2, v46
	v_mul_f32_e32 v51, v1, v51
	v_dual_fmac_f32 v66, v3, v135 :: v_dual_fmac_f32 v67, v2, v132
	v_mul_f32_e32 v70, v1, v125
	v_mul_f32_e32 v69, v1, v129
	s_delay_alu instid0(VALU_DEP_3) | instskip(NEXT) | instid1(VALU_DEP_3)
	v_dual_fmac_f32 v47, v3, v45 :: v_dual_fmac_f32 v66, v4, v134
	v_dual_fmac_f32 v67, v3, v131 :: v_dual_fmac_f32 v70, v2, v122
	s_delay_alu instid0(VALU_DEP_3) | instskip(NEXT) | instid1(VALU_DEP_3)
	v_fmac_f32_e32 v69, v2, v128
	v_fmac_f32_e32 v47, v4, v44
	s_delay_alu instid0(VALU_DEP_4) | instskip(NEXT) | instid1(VALU_DEP_4)
	v_add_f32_e32 v20, v20, v66
	v_dual_fmac_f32 v67, v4, v130 :: v_dual_mul_f32 v66, v1, v115
	s_delay_alu instid0(VALU_DEP_4)
	v_fmac_f32_e32 v69, v3, v127
	v_fmac_f32_e32 v63, v2, v62
	;; [unrolled: 1-line block ×10, first 2 shown]
	v_dual_fmac_f32 v17, v3, v139 :: v_dual_add_f32 v22, v22, v69
	v_dual_fmac_f32 v70, v3, v121 :: v_dual_add_f32 v21, v21, v67
	s_delay_alu instid0(VALU_DEP_3) | instskip(NEXT) | instid1(VALU_DEP_3)
	v_fmac_f32_e32 v66, v4, v112
	v_fmac_f32_e32 v17, v4, v138
	;; [unrolled: 1-line block ×3, first 2 shown]
	s_delay_alu instid0(VALU_DEP_4)
	v_fmac_f32_e32 v70, v4, v120
	v_fmac_f32_e32 v55, v4, v52
	v_add_f32_e32 v25, v25, v66
	v_add_f32_e32 v19, v19, v17
	v_fmac_f32_e32 v51, v4, v48
	v_dual_add_f32 v23, v23, v70 :: v_dual_mul_f32 v66, v1, v99
	v_mul_f32_e32 v17, v1, v119
	v_add_f32_e32 v37, v37, v63
	v_add_f32_e32 v39, v39, v55
	v_mul_f32_e32 v70, v1, v87
	v_fmac_f32_e32 v66, v2, v98
	v_fmac_f32_e32 v17, v2, v118
	v_mul_f32_e32 v69, v1, v107
	s_delay_alu instid0(VALU_DEP_4) | instskip(NEXT) | instid1(VALU_DEP_4)
	v_dual_add_f32 v41, v41, v51 :: v_dual_fmac_f32 v70, v2, v86
	v_fmac_f32_e32 v66, v3, v97
	s_delay_alu instid0(VALU_DEP_4) | instskip(NEXT) | instid1(VALU_DEP_4)
	v_fmac_f32_e32 v17, v3, v117
	v_dual_fmac_f32 v69, v2, v106 :: v_dual_add_f32 v40, v40, v47
	s_delay_alu instid0(VALU_DEP_4) | instskip(NEXT) | instid1(VALU_DEP_4)
	v_fmac_f32_e32 v70, v3, v85
	v_fmac_f32_e32 v66, v4, v96
	s_delay_alu instid0(VALU_DEP_4) | instskip(SKIP_1) | instid1(VALU_DEP_4)
	v_fmac_f32_e32 v17, v4, v116
	v_mul_f32_e32 v67, v1, v111
	v_dual_fmac_f32 v69, v3, v105 :: v_dual_fmac_f32 v70, v4, v84
	s_delay_alu instid0(VALU_DEP_3) | instskip(NEXT) | instid1(VALU_DEP_3)
	v_dual_add_f32 v29, v29, v66 :: v_dual_add_f32 v24, v24, v17
	v_dual_fmac_f32 v67, v2, v110 :: v_dual_mul_f32 v66, v1, v79
	s_delay_alu instid0(VALU_DEP_3) | instskip(NEXT) | instid1(VALU_DEP_2)
	v_fmac_f32_e32 v69, v4, v104
	v_dual_add_f32 v32, v32, v70 :: v_dual_fmac_f32 v67, v3, v109
	s_delay_alu instid0(VALU_DEP_3) | instskip(NEXT) | instid1(VALU_DEP_3)
	v_dual_fmac_f32 v66, v2, v78 :: v_dual_mul_f32 v17, v1, v103
	v_add_f32_e32 v27, v27, v69
	s_delay_alu instid0(VALU_DEP_2) | instskip(NEXT) | instid1(VALU_DEP_1)
	v_dual_fmac_f32 v67, v4, v108 :: v_dual_fmac_f32 v66, v3, v77
	v_add_f32_e32 v26, v26, v67
	s_delay_alu instid0(VALU_DEP_2) | instskip(SKIP_1) | instid1(VALU_DEP_2)
	v_dual_mul_f32 v67, v1, v95 :: v_dual_fmac_f32 v66, v4, v76
	v_mul_f32_e32 v69, v1, v91
	v_fmac_f32_e32 v67, v2, v94
	s_delay_alu instid0(VALU_DEP_3) | instskip(NEXT) | instid1(VALU_DEP_3)
	v_add_f32_e32 v34, v34, v66
	v_fmac_f32_e32 v69, v2, v90
	s_delay_alu instid0(VALU_DEP_3) | instskip(NEXT) | instid1(VALU_DEP_2)
	v_fmac_f32_e32 v67, v3, v93
	v_fmac_f32_e32 v69, v3, v89
	s_delay_alu instid0(VALU_DEP_1) | instskip(NEXT) | instid1(VALU_DEP_1)
	v_fmac_f32_e32 v69, v4, v88
	v_add_f32_e32 v31, v31, v69
	v_mul_f32_e32 v69, v1, v71
	s_delay_alu instid0(VALU_DEP_1) | instskip(NEXT) | instid1(VALU_DEP_1)
	v_fmac_f32_e32 v69, v2, v68
	v_fmac_f32_e32 v69, v3, v65
	s_delay_alu instid0(VALU_DEP_1) | instskip(NEXT) | instid1(VALU_DEP_1)
	v_fmac_f32_e32 v69, v4, v64
	v_dual_fmac_f32 v17, v2, v102 :: v_dual_add_f32 v36, v36, v69
	s_delay_alu instid0(VALU_DEP_1) | instskip(NEXT) | instid1(VALU_DEP_1)
	v_fmac_f32_e32 v17, v3, v101
	v_fmac_f32_e32 v17, v4, v100
	s_delay_alu instid0(VALU_DEP_1) | instskip(NEXT) | instid1(VALU_DEP_1)
	v_dual_add_f32 v28, v28, v17 :: v_dual_mul_f32 v17, v1, v83
	v_fmac_f32_e32 v17, v2, v82
	s_delay_alu instid0(VALU_DEP_1) | instskip(NEXT) | instid1(VALU_DEP_1)
	v_fmac_f32_e32 v17, v3, v81
	v_fmac_f32_e32 v17, v4, v80
	s_delay_alu instid0(VALU_DEP_1) | instskip(SKIP_1) | instid1(VALU_DEP_1)
	v_add_f32_e32 v33, v33, v17
	v_mul_f32_e32 v17, v1, v59
	v_fmac_f32_e32 v17, v2, v58
	s_delay_alu instid0(VALU_DEP_1) | instskip(NEXT) | instid1(VALU_DEP_1)
	v_fmac_f32_e32 v17, v3, v57
	v_fmac_f32_e32 v17, v4, v56
	s_delay_alu instid0(VALU_DEP_1) | instskip(NEXT) | instid1(VALU_DEP_1)
	v_dual_fmac_f32 v67, v4, v92 :: v_dual_add_f32 v38, v38, v17
	v_add_f32_e32 v30, v30, v67
	v_mul_f32_e32 v67, v1, v75
	v_mul_f32_e32 v1, v1, v124
	s_delay_alu instid0(VALU_DEP_2) | instskip(NEXT) | instid1(VALU_DEP_2)
	v_fmac_f32_e32 v67, v2, v74
	v_fmac_f32_e32 v1, v2, v123
	s_delay_alu instid0(VALU_DEP_2) | instskip(NEXT) | instid1(VALU_DEP_2)
	v_fmac_f32_e32 v67, v3, v73
	v_fmac_f32_e32 v1, v3, v10
	;; [unrolled: 3-line block ×3, first 2 shown]
	s_delay_alu instid0(VALU_DEP_1)
	v_dual_add_f32 v35, v35, v67 :: v_dual_add_f32 v18, v18, v1
.LBB214_41:                             ;   in Loop: Header=BB214_42 Depth=1
	s_or_b32 exec_lo, exec_lo, s13
	v_add_nc_u32_e32 v13, 4, v13
	v_add_co_u32 v5, s0, v5, 16
	s_wait_alu 0xf1ff
	v_add_co_ci_u32_e64 v6, null, 0, v6, s0
	s_delay_alu instid0(VALU_DEP_3)
	v_cmp_le_i32_e32 vcc_lo, s23, v13
	v_add_nc_u32_e32 v12, 64, v12
	v_add_nc_u32_e32 v43, 0x100, v43
	s_or_b32 s6, vcc_lo, s6
	s_wait_alu 0xfffe
	s_and_not1_b32 exec_lo, exec_lo, s6
	s_cbranch_execz .LBB214_91
.LBB214_42:                             ; =>This Inner Loop Header: Depth=1
	v_sub_nc_u32_e32 v1, 0, v12
	s_delay_alu instid0(VALU_DEP_1) | instskip(NEXT) | instid1(VALU_DEP_1)
	v_max_i32_e32 v1, v12, v1
	v_mul_hi_u32 v2, v1, s22
	s_delay_alu instid0(VALU_DEP_1) | instskip(NEXT) | instid1(VALU_DEP_1)
	v_mul_lo_u32 v3, v2, s16
	v_sub_nc_u32_e32 v1, v1, v3
	v_add_nc_u32_e32 v3, 1, v2
	s_delay_alu instid0(VALU_DEP_2) | instskip(SKIP_2) | instid1(VALU_DEP_2)
	v_subrev_nc_u32_e32 v4, s16, v1
	v_cmp_le_u32_e32 vcc_lo, s16, v1
	s_wait_alu 0xfffd
	v_dual_cndmask_b32 v2, v2, v3 :: v_dual_cndmask_b32 v1, v1, v4
	v_ashrrev_i32_e32 v3, 31, v12
	s_delay_alu instid0(VALU_DEP_2) | instskip(NEXT) | instid1(VALU_DEP_3)
	v_add_nc_u32_e32 v4, 1, v2
	v_cmp_le_u32_e32 vcc_lo, s16, v1
	s_delay_alu instid0(VALU_DEP_3) | instskip(SKIP_1) | instid1(VALU_DEP_3)
	v_xor_b32_e32 v3, s15, v3
	s_wait_alu 0xfffd
	v_cndmask_b32_e32 v1, v2, v4, vcc_lo
	s_delay_alu instid0(VALU_DEP_1) | instskip(NEXT) | instid1(VALU_DEP_1)
	v_xor_b32_e32 v1, v1, v3
	v_sub_nc_u32_e32 v1, v1, v3
	s_delay_alu instid0(VALU_DEP_1) | instskip(SKIP_1) | instid1(VALU_DEP_2)
	v_add_nc_u32_e32 v2, s21, v1
	v_cmp_lt_i32_e64 s0, s3, v1
	v_sub_nc_u32_e32 v3, 0, v2
	s_delay_alu instid0(VALU_DEP_1) | instskip(SKIP_1) | instid1(VALU_DEP_1)
	v_max_i32_e32 v3, v2, v3
	s_wait_alu 0xfffe
	v_mul_hi_u32 v4, v3, s7
	s_delay_alu instid0(VALU_DEP_1) | instskip(NEXT) | instid1(VALU_DEP_1)
	v_mul_lo_u32 v4, v4, s2
	v_sub_nc_u32_e32 v3, v3, v4
	s_delay_alu instid0(VALU_DEP_1) | instskip(SKIP_2) | instid1(VALU_DEP_2)
	v_subrev_nc_u32_e32 v4, s2, v3
	v_cmp_le_u32_e32 vcc_lo, s2, v3
	s_wait_alu 0xfffd
	v_cndmask_b32_e32 v3, v3, v4, vcc_lo
	v_ashrrev_i32_e32 v2, 31, v2
	s_delay_alu instid0(VALU_DEP_2) | instskip(SKIP_2) | instid1(VALU_DEP_2)
	v_subrev_nc_u32_e32 v4, s2, v3
	v_cmp_le_u32_e32 vcc_lo, s2, v3
	s_wait_alu 0xfffd
	v_cndmask_b32_e32 v3, v3, v4, vcc_lo
	s_delay_alu instid0(VALU_DEP_1) | instskip(NEXT) | instid1(VALU_DEP_1)
	v_xor_b32_e32 v3, v3, v2
	v_sub_nc_u32_e32 v2, v3, v2
	s_delay_alu instid0(VALU_DEP_1)
	v_cmp_eq_u32_e32 vcc_lo, 0, v2
	s_or_b32 s0, vcc_lo, s0
	s_wait_alu 0xfffe
	s_and_saveexec_b32 s13, s0
	s_cbranch_execz .LBB214_41
; %bb.43:                               ;   in Loop: Header=BB214_42 Depth=1
	global_load_b32 v1, v[5:6], off
	s_load_b32 s14, s[10:11], 0x0
	v_add_nc_u32_e32 v66, v42, v12
	v_cmp_eq_u32_e32 vcc_lo, s5, v13
	s_delay_alu instid0(VALU_DEP_2)
	v_add_nc_u32_e32 v67, 2, v66
	v_add_nc_u32_e32 v70, 3, v66
	s_wait_loadcnt 0x0
	v_mad_co_i64_i32 v[9:10], null, v1, s4, v[7:8]
	ds_load_b128 v[1:4], v43
	global_load_b32 v44, v[9:10], off
	s_wait_loadcnt 0x0
	v_lshrrev_b32_e32 v46, 16, v44
	s_delay_alu instid0(VALU_DEP_1) | instskip(SKIP_1) | instid1(VALU_DEP_1)
	v_cvt_pk_f32_fp8_e32 v[48:49], v46
	v_and_b32_e32 v45, 0xffff, v44
	v_cvt_pk_f32_fp8_e32 v[44:45], v45
	s_wait_kmcnt 0x0
	s_delay_alu instid0(VALU_DEP_1) | instskip(NEXT) | instid1(VALU_DEP_2)
	v_dual_mul_f32 v46, s14, v45 :: v_dual_add_nc_u32 v69, 1, v66
	v_mul_f32_e32 v47, s14, v44
	v_dual_mul_f32 v45, s14, v48 :: v_dual_mul_f32 v44, s14, v49
	s_and_saveexec_b32 s17, vcc_lo
	s_cbranch_execz .LBB214_45
; %bb.44:                               ;   in Loop: Header=BB214_42 Depth=1
	v_cmp_gt_i32_e64 s0, s34, v66
	s_wait_alu 0xf1ff
	s_delay_alu instid0(VALU_DEP_1) | instskip(SKIP_2) | instid1(VALU_DEP_1)
	v_cndmask_b32_e64 v47, 0, v47, s0
	v_cmp_gt_i32_e64 s0, s34, v69
	s_wait_alu 0xf1ff
	v_cndmask_b32_e64 v46, 0, v46, s0
	v_cmp_gt_i32_e64 s0, s34, v67
	s_wait_alu 0xf1ff
	s_delay_alu instid0(VALU_DEP_1) | instskip(SKIP_2) | instid1(VALU_DEP_1)
	v_cndmask_b32_e64 v45, 0, v45, s0
	v_cmp_gt_i32_e64 s0, s34, v70
	s_wait_alu 0xf1ff
	v_cndmask_b32_e64 v44, 0, v44, s0
.LBB214_45:                             ;   in Loop: Header=BB214_42 Depth=1
	s_wait_alu 0xfffe
	s_or_b32 exec_lo, exec_lo, s17
	global_load_b32 v48, v[9:10], off offset:128
	s_mov_b32 s17, s14
	s_wait_loadcnt 0x0
	v_lshrrev_b32_e32 v50, 16, v48
	s_delay_alu instid0(VALU_DEP_1) | instskip(SKIP_1) | instid1(VALU_DEP_1)
	v_cvt_pk_f32_fp8_e32 v[52:53], v50
	v_and_b32_e32 v49, 0xffff, v48
	v_cvt_pk_f32_fp8_e32 v[48:49], v49
	s_wait_alu 0xfffe
	s_delay_alu instid0(VALU_DEP_1)
	v_dual_mul_f32 v51, s14, v48 :: v_dual_mul_f32 v50, s17, v49
	v_dual_mul_f32 v49, s14, v52 :: v_dual_mul_f32 v48, s17, v53
	s_and_saveexec_b32 s19, vcc_lo
	s_cbranch_execz .LBB214_47
; %bb.46:                               ;   in Loop: Header=BB214_42 Depth=1
	v_cmp_gt_i32_e64 s0, s34, v66
	s_wait_alu 0xf1ff
	s_delay_alu instid0(VALU_DEP_1) | instskip(SKIP_2) | instid1(VALU_DEP_1)
	v_cndmask_b32_e64 v51, 0, v51, s0
	v_cmp_gt_i32_e64 s0, s34, v69
	s_wait_alu 0xf1ff
	v_cndmask_b32_e64 v50, 0, v50, s0
	v_cmp_gt_i32_e64 s0, s34, v67
	s_wait_alu 0xf1ff
	s_delay_alu instid0(VALU_DEP_1) | instskip(SKIP_2) | instid1(VALU_DEP_1)
	v_cndmask_b32_e64 v49, 0, v49, s0
	v_cmp_gt_i32_e64 s0, s34, v70
	s_wait_alu 0xf1ff
	v_cndmask_b32_e64 v48, 0, v48, s0
.LBB214_47:                             ;   in Loop: Header=BB214_42 Depth=1
	s_wait_alu 0xfffe
	s_or_b32 exec_lo, exec_lo, s19
	global_load_b32 v52, v[9:10], off offset:256
	s_wait_loadcnt 0x0
	v_lshrrev_b32_e32 v54, 16, v52
	s_delay_alu instid0(VALU_DEP_1) | instskip(SKIP_1) | instid1(VALU_DEP_1)
	v_cvt_pk_f32_fp8_e32 v[56:57], v54
	v_and_b32_e32 v53, 0xffff, v52
	v_cvt_pk_f32_fp8_e32 v[52:53], v53
	s_delay_alu instid0(VALU_DEP_1) | instskip(NEXT) | instid1(VALU_DEP_4)
	v_dual_mul_f32 v55, s14, v52 :: v_dual_mul_f32 v54, s17, v53
	v_dual_mul_f32 v53, s14, v56 :: v_dual_mul_f32 v52, s17, v57
	s_and_saveexec_b32 s19, vcc_lo
	s_cbranch_execz .LBB214_49
; %bb.48:                               ;   in Loop: Header=BB214_42 Depth=1
	v_cmp_gt_i32_e64 s0, s34, v66
	s_wait_alu 0xf1ff
	s_delay_alu instid0(VALU_DEP_1) | instskip(SKIP_2) | instid1(VALU_DEP_1)
	v_cndmask_b32_e64 v55, 0, v55, s0
	v_cmp_gt_i32_e64 s0, s34, v69
	s_wait_alu 0xf1ff
	v_cndmask_b32_e64 v54, 0, v54, s0
	v_cmp_gt_i32_e64 s0, s34, v67
	s_wait_alu 0xf1ff
	s_delay_alu instid0(VALU_DEP_1) | instskip(SKIP_2) | instid1(VALU_DEP_1)
	v_cndmask_b32_e64 v53, 0, v53, s0
	v_cmp_gt_i32_e64 s0, s34, v70
	s_wait_alu 0xf1ff
	v_cndmask_b32_e64 v52, 0, v52, s0
.LBB214_49:                             ;   in Loop: Header=BB214_42 Depth=1
	s_wait_alu 0xfffe
	s_or_b32 exec_lo, exec_lo, s19
	global_load_b32 v56, v[9:10], off offset:384
	s_wait_loadcnt 0x0
	v_lshrrev_b32_e32 v58, 16, v56
	s_delay_alu instid0(VALU_DEP_1) | instskip(SKIP_1) | instid1(VALU_DEP_1)
	v_cvt_pk_f32_fp8_e32 v[60:61], v58
	v_and_b32_e32 v57, 0xffff, v56
	v_cvt_pk_f32_fp8_e32 v[56:57], v57
	s_delay_alu instid0(VALU_DEP_1) | instskip(NEXT) | instid1(VALU_DEP_4)
	;; [unrolled: 30-line block ×16, first 2 shown]
	v_dual_mul_f32 v119, s14, v116 :: v_dual_mul_f32 v118, s17, v117
	v_dual_mul_f32 v117, s14, v120 :: v_dual_mul_f32 v116, s17, v121
	s_and_saveexec_b32 s19, vcc_lo
	s_cbranch_execz .LBB214_79
; %bb.78:                               ;   in Loop: Header=BB214_42 Depth=1
	v_cmp_gt_i32_e64 s0, s34, v66
	s_wait_alu 0xf1ff
	s_delay_alu instid0(VALU_DEP_1) | instskip(SKIP_2) | instid1(VALU_DEP_1)
	v_cndmask_b32_e64 v119, 0, v119, s0
	v_cmp_gt_i32_e64 s0, s34, v69
	s_wait_alu 0xf1ff
	v_cndmask_b32_e64 v118, 0, v118, s0
	v_cmp_gt_i32_e64 s0, s34, v67
	s_wait_alu 0xf1ff
	s_delay_alu instid0(VALU_DEP_1) | instskip(SKIP_2) | instid1(VALU_DEP_1)
	v_cndmask_b32_e64 v117, 0, v117, s0
	v_cmp_gt_i32_e64 s0, s34, v70
	s_wait_alu 0xf1ff
	v_cndmask_b32_e64 v116, 0, v116, s0
.LBB214_79:                             ;   in Loop: Header=BB214_42 Depth=1
	s_wait_alu 0xfffe
	s_or_b32 exec_lo, exec_lo, s19
	global_load_b32 v120, v[9:10], off offset:2304
	s_wait_loadcnt 0x0
	v_and_b32_e32 v121, 0xffff, v120
	v_lshrrev_b32_e32 v122, 16, v120
	s_delay_alu instid0(VALU_DEP_2) | instskip(NEXT) | instid1(VALU_DEP_2)
	v_cvt_pk_f32_fp8_e32 v[120:121], v121
	v_cvt_pk_f32_fp8_e32 v[123:124], v122
	s_delay_alu instid0(VALU_DEP_2) | instskip(NEXT) | instid1(VALU_DEP_2)
	v_dual_mul_f32 v125, s14, v120 :: v_dual_mul_f32 v122, s17, v121
	v_dual_mul_f32 v121, s14, v123 :: v_dual_mul_f32 v120, s17, v124
	s_and_saveexec_b32 s19, vcc_lo
	s_cbranch_execz .LBB214_81
; %bb.80:                               ;   in Loop: Header=BB214_42 Depth=1
	v_cmp_gt_i32_e64 s0, s34, v66
	s_wait_alu 0xf1ff
	s_delay_alu instid0(VALU_DEP_1) | instskip(SKIP_2) | instid1(VALU_DEP_1)
	v_cndmask_b32_e64 v125, 0, v125, s0
	v_cmp_gt_i32_e64 s0, s34, v69
	s_wait_alu 0xf1ff
	v_cndmask_b32_e64 v122, 0, v122, s0
	v_cmp_gt_i32_e64 s0, s34, v67
	s_wait_alu 0xf1ff
	s_delay_alu instid0(VALU_DEP_1) | instskip(SKIP_2) | instid1(VALU_DEP_1)
	v_cndmask_b32_e64 v121, 0, v121, s0
	v_cmp_gt_i32_e64 s0, s34, v70
	s_wait_alu 0xf1ff
	v_cndmask_b32_e64 v120, 0, v120, s0
.LBB214_81:                             ;   in Loop: Header=BB214_42 Depth=1
	s_wait_alu 0xfffe
	s_or_b32 exec_lo, exec_lo, s19
	global_load_b32 v123, v[9:10], off offset:2432
	s_wait_loadcnt 0x0
	v_lshrrev_b32_e32 v126, 16, v123
	s_delay_alu instid0(VALU_DEP_1) | instskip(NEXT) | instid1(VALU_DEP_1)
	v_cvt_pk_f32_fp8_e32 v[130:131], v126
	v_dual_mul_f32 v127, s14, v130 :: v_dual_and_b32 v124, 0xffff, v123
	s_delay_alu instid0(VALU_DEP_1) | instskip(NEXT) | instid1(VALU_DEP_3)
	v_cvt_pk_f32_fp8_e32 v[123:124], v124
	v_mul_f32_e32 v126, s17, v131
	s_delay_alu instid0(VALU_DEP_2)
	v_dual_mul_f32 v129, s14, v123 :: v_dual_mul_f32 v128, s17, v124
	s_and_saveexec_b32 s19, vcc_lo
	s_cbranch_execz .LBB214_83
; %bb.82:                               ;   in Loop: Header=BB214_42 Depth=1
	v_cmp_gt_i32_e64 s0, s34, v66
	s_wait_alu 0xf1ff
	s_delay_alu instid0(VALU_DEP_1) | instskip(SKIP_2) | instid1(VALU_DEP_1)
	v_cndmask_b32_e64 v129, 0, v129, s0
	v_cmp_gt_i32_e64 s0, s34, v69
	s_wait_alu 0xf1ff
	v_cndmask_b32_e64 v128, 0, v128, s0
	v_cmp_gt_i32_e64 s0, s34, v67
	s_wait_alu 0xf1ff
	s_delay_alu instid0(VALU_DEP_1) | instskip(SKIP_2) | instid1(VALU_DEP_1)
	v_cndmask_b32_e64 v127, 0, v127, s0
	v_cmp_gt_i32_e64 s0, s34, v70
	s_wait_alu 0xf1ff
	v_cndmask_b32_e64 v126, 0, v126, s0
.LBB214_83:                             ;   in Loop: Header=BB214_42 Depth=1
	s_wait_alu 0xfffe
	s_or_b32 exec_lo, exec_lo, s19
	global_load_b32 v123, v[9:10], off offset:2560
	s_wait_loadcnt 0x0
	v_lshrrev_b32_e32 v17, 16, v123
	s_delay_alu instid0(VALU_DEP_1) | instskip(NEXT) | instid1(VALU_DEP_1)
	v_cvt_pk_f32_fp8_e32 v[134:135], v17
	v_dual_mul_f32 v131, s14, v134 :: v_dual_and_b32 v124, 0xffff, v123
	s_delay_alu instid0(VALU_DEP_1) | instskip(NEXT) | instid1(VALU_DEP_3)
	v_cvt_pk_f32_fp8_e32 v[123:124], v124
	v_mul_f32_e32 v130, s17, v135
	s_delay_alu instid0(VALU_DEP_2)
	v_dual_mul_f32 v133, s14, v123 :: v_dual_mul_f32 v132, s17, v124
	s_and_saveexec_b32 s19, vcc_lo
	s_cbranch_execz .LBB214_85
; %bb.84:                               ;   in Loop: Header=BB214_42 Depth=1
	v_cmp_gt_i32_e64 s0, s34, v66
	s_wait_alu 0xf1ff
	s_delay_alu instid0(VALU_DEP_1) | instskip(SKIP_2) | instid1(VALU_DEP_1)
	v_cndmask_b32_e64 v133, 0, v133, s0
	v_cmp_gt_i32_e64 s0, s34, v69
	s_wait_alu 0xf1ff
	v_cndmask_b32_e64 v132, 0, v132, s0
	v_cmp_gt_i32_e64 s0, s34, v67
	s_wait_alu 0xf1ff
	s_delay_alu instid0(VALU_DEP_1) | instskip(SKIP_2) | instid1(VALU_DEP_1)
	v_cndmask_b32_e64 v131, 0, v131, s0
	v_cmp_gt_i32_e64 s0, s34, v70
	s_wait_alu 0xf1ff
	v_cndmask_b32_e64 v130, 0, v130, s0
.LBB214_85:                             ;   in Loop: Header=BB214_42 Depth=1
	s_wait_alu 0xfffe
	s_or_b32 exec_lo, exec_lo, s19
	global_load_b32 v17, v[9:10], off offset:2688
	s_wait_loadcnt 0x0
	v_and_b32_e32 v123, 0xffff, v17
	v_lshrrev_b32_e32 v17, 16, v17
	s_delay_alu instid0(VALU_DEP_2) | instskip(NEXT) | instid1(VALU_DEP_2)
	v_cvt_pk_f32_fp8_e32 v[123:124], v123
	v_cvt_pk_f32_fp8_e32 v[138:139], v17
	s_delay_alu instid0(VALU_DEP_2) | instskip(NEXT) | instid1(VALU_DEP_2)
	v_dual_mul_f32 v137, s14, v123 :: v_dual_mul_f32 v136, s17, v124
	v_dual_mul_f32 v135, s14, v138 :: v_dual_mul_f32 v134, s17, v139
	s_and_saveexec_b32 s19, vcc_lo
	s_cbranch_execz .LBB214_87
; %bb.86:                               ;   in Loop: Header=BB214_42 Depth=1
	v_cmp_gt_i32_e64 s0, s34, v66
	s_wait_alu 0xf1ff
	s_delay_alu instid0(VALU_DEP_1) | instskip(SKIP_2) | instid1(VALU_DEP_1)
	v_cndmask_b32_e64 v137, 0, v137, s0
	v_cmp_gt_i32_e64 s0, s34, v69
	s_wait_alu 0xf1ff
	v_cndmask_b32_e64 v136, 0, v136, s0
	v_cmp_gt_i32_e64 s0, s34, v67
	s_wait_alu 0xf1ff
	s_delay_alu instid0(VALU_DEP_1) | instskip(SKIP_2) | instid1(VALU_DEP_1)
	v_cndmask_b32_e64 v135, 0, v135, s0
	v_cmp_gt_i32_e64 s0, s34, v70
	s_wait_alu 0xf1ff
	v_cndmask_b32_e64 v134, 0, v134, s0
.LBB214_87:                             ;   in Loop: Header=BB214_42 Depth=1
	s_wait_alu 0xfffe
	s_or_b32 exec_lo, exec_lo, s19
	global_load_b32 v17, v[9:10], off offset:2816
	s_wait_loadcnt 0x0
	v_and_b32_e32 v123, 0xffff, v17
	v_lshrrev_b32_e32 v17, 16, v17
	s_delay_alu instid0(VALU_DEP_2) | instskip(NEXT) | instid1(VALU_DEP_2)
	v_cvt_pk_f32_fp8_e32 v[123:124], v123
	v_cvt_pk_f32_fp8_e32 v[142:143], v17
	s_delay_alu instid0(VALU_DEP_2) | instskip(NEXT) | instid1(VALU_DEP_2)
	v_dual_mul_f32 v141, s14, v123 :: v_dual_mul_f32 v140, s17, v124
	v_dual_mul_f32 v139, s14, v142 :: v_dual_mul_f32 v138, s17, v143
	s_and_saveexec_b32 s19, vcc_lo
	s_cbranch_execz .LBB214_89
; %bb.88:                               ;   in Loop: Header=BB214_42 Depth=1
	v_cmp_gt_i32_e64 s0, s34, v66
	s_wait_alu 0xf1ff
	s_delay_alu instid0(VALU_DEP_1) | instskip(SKIP_2) | instid1(VALU_DEP_1)
	v_cndmask_b32_e64 v141, 0, v141, s0
	v_cmp_gt_i32_e64 s0, s34, v69
	s_wait_alu 0xf1ff
	v_cndmask_b32_e64 v140, 0, v140, s0
	v_cmp_gt_i32_e64 s0, s34, v67
	s_wait_alu 0xf1ff
	s_delay_alu instid0(VALU_DEP_1) | instskip(SKIP_2) | instid1(VALU_DEP_1)
	v_cndmask_b32_e64 v139, 0, v139, s0
	v_cmp_gt_i32_e64 s0, s34, v70
	s_wait_alu 0xf1ff
	v_cndmask_b32_e64 v138, 0, v138, s0
.LBB214_89:                             ;   in Loop: Header=BB214_42 Depth=1
	s_wait_alu 0xfffe
	s_or_b32 exec_lo, exec_lo, s19
	global_load_b32 v9, v[9:10], off offset:2944
	s_wait_loadcnt 0x0
	v_lshrrev_b32_e32 v17, 16, v9
	s_delay_alu instid0(VALU_DEP_1) | instskip(SKIP_1) | instid1(VALU_DEP_1)
	v_cvt_pk_f32_fp8_e32 v[142:143], v17
	v_and_b32_e32 v10, 0xffff, v9
	v_cvt_pk_f32_fp8_e32 v[9:10], v10
	s_delay_alu instid0(VALU_DEP_1) | instskip(NEXT) | instid1(VALU_DEP_4)
	v_dual_mul_f32 v124, s14, v9 :: v_dual_mul_f32 v123, s17, v10
	v_dual_mul_f32 v10, s14, v142 :: v_dual_mul_f32 v9, s17, v143
	s_and_saveexec_b32 s0, vcc_lo
	s_cbranch_execz .LBB214_40
; %bb.90:                               ;   in Loop: Header=BB214_42 Depth=1
	v_cmp_gt_i32_e32 vcc_lo, s34, v66
	s_wait_alu 0xfffd
	v_cndmask_b32_e32 v124, 0, v124, vcc_lo
	v_cmp_gt_i32_e32 vcc_lo, s34, v69
	s_wait_alu 0xfffd
	v_cndmask_b32_e32 v123, 0, v123, vcc_lo
	;; [unrolled: 3-line block ×4, first 2 shown]
	s_branch .LBB214_40
.LBB214_91:
	s_or_b32 exec_lo, exec_lo, s6
.LBB214_92:
	s_wait_alu 0xfffe
	s_or_b32 exec_lo, exec_lo, s1
	ds_bpermute_b32 v1, v15, v40
	ds_bpermute_b32 v2, v15, v41
	;; [unrolled: 1-line block ×19, first 2 shown]
	v_mul_u32_u24_e32 v11, 0x300, v11
	s_wait_dscnt 0x11
	v_dual_add_f32 v1, v40, v1 :: v_dual_add_f32 v2, v41, v2
	s_wait_dscnt 0xf
	v_dual_add_f32 v3, v39, v3 :: v_dual_add_f32 v4, v38, v4
	ds_bpermute_b32 v38, v15, v24
	ds_bpermute_b32 v39, v16, v1
	ds_bpermute_b32 v40, v16, v2
	ds_bpermute_b32 v41, v16, v3
	ds_bpermute_b32 v47, v16, v4
	s_wait_dscnt 0x12
	v_dual_add_f32 v5, v37, v5 :: v_dual_add_f32 v6, v36, v6
	s_wait_dscnt 0xe
	v_dual_add_f32 v7, v35, v7 :: v_dual_add_f32 v8, v34, v8
	;; [unrolled: 2-line block ×3, first 2 shown]
	s_wait_dscnt 0xc
	v_add_f32_e32 v10, v32, v10
	ds_bpermute_b32 v31, v16, v5
	ds_bpermute_b32 v32, v16, v6
	;; [unrolled: 1-line block ×3, first 2 shown]
	s_wait_dscnt 0xb
	v_dual_add_f32 v29, v29, v42 :: v_dual_add_f32 v28, v28, v43
	s_wait_dscnt 0xa
	v_dual_add_f32 v27, v27, v44 :: v_dual_add_f32 v26, v26, v45
	;; [unrolled: 2-line block ×5, first 2 shown]
	v_add_f32_e32 v13, v30, v13
	ds_bpermute_b32 v39, v15, v21
	ds_bpermute_b32 v30, v15, v20
	;; [unrolled: 1-line block ×6, first 2 shown]
	v_dual_add_f32 v25, v25, v46 :: v_dual_add_f32 v46, v22, v49
	ds_bpermute_b32 v44, v16, v27
	ds_bpermute_b32 v22, v16, v24
	;; [unrolled: 1-line block ×11, first 2 shown]
	s_wait_dscnt 0x13
	v_add_f32_e32 v5, v5, v31
	s_wait_dscnt 0xf
	v_dual_add_f32 v39, v21, v39 :: v_dual_add_f32 v30, v20, v30
	s_wait_dscnt 0xe
	v_add_f32_e32 v40, v19, v40
	s_wait_dscnt 0xd
	v_dual_add_f32 v50, v18, v15 :: v_dual_add_f32 v7, v7, v33
	ds_bpermute_b32 v49, v16, v39
	ds_bpermute_b32 v51, v16, v30
	;; [unrolled: 1-line block ×3, first 2 shown]
	v_add_f32_e32 v6, v6, v32
	ds_bpermute_b32 v32, v16, v50
	s_wait_dscnt 0xf
	v_dual_add_f32 v10, v10, v36 :: v_dual_add_f32 v15, v29, v42
	s_wait_dscnt 0xd
	v_dual_add_f32 v18, v27, v44 :: v_dual_add_f32 v21, v24, v22
	s_wait_dscnt 0xc
	v_dual_add_f32 v22, v23, v47 :: v_dual_and_b32 v29, 28, v14
	s_wait_dscnt 0x8
	v_dual_add_f32 v8, v8, v34 :: v_dual_add_f32 v13, v13, v41
	v_dual_add_f32 v9, v9, v35 :: v_dual_add_f32 v12, v12, v37
	s_wait_dscnt 0x6
	v_dual_add_f32 v19, v26, v38 :: v_dual_add_f32 v16, v28, v43
	s_wait_dscnt 0x4
	v_dual_add_f32 v23, v46, v48 :: v_dual_add_f32 v20, v25, v45
	v_lshrrev_b32_e32 v28, 2, v14
	s_wait_dscnt 0x2
	v_dual_add_f32 v24, v39, v49 :: v_dual_add_f32 v25, v30, v51
	s_wait_dscnt 0x1
	v_add_f32_e32 v26, v40, v31
	v_and_b32_e32 v30, 0x3c3, v0
	s_wait_dscnt 0x0
	v_dual_add_f32 v27, v50, v32 :: v_dual_add_nc_u32 v14, 0x320, v29
	s_mov_b32 s0, exec_lo
	s_wait_loadcnt 0x0
	s_wait_storecnt 0x0
	s_barrier_signal -1
	s_barrier_wait -1
	global_inv scope:SCOPE_SE
	v_cmpx_eq_u32_e32 64, v30
	s_cbranch_execz .LBB214_94
; %bb.93:
	v_add_nc_u32_e32 v17, v14, v11
	s_delay_alu instid0(VALU_DEP_1)
	v_add_nc_u32_e32 v29, 0xfffffa00, v17
	v_add_nc_u32_e32 v30, 0xfffffa20, v17
	v_add_nc_u32_e32 v31, 0xfffffa40, v17
	v_add_nc_u32_e32 v32, 0xfffffa60, v17
	v_add_nc_u32_e32 v33, 0xfffffa80, v17
	v_add_nc_u32_e32 v34, 0xfffffaa0, v17
	v_add_nc_u32_e32 v35, 0xfffffac0, v17
	v_add_nc_u32_e32 v36, 0xfffffae0, v17
	ds_store_b32 v29, v1
	ds_store_b32 v30, v2
	ds_store_b32 v31, v3
	ds_store_b32 v32, v4
	ds_store_b32 v33, v5
	ds_store_b32 v34, v6
	ds_store_b32 v35, v7
	ds_store_b32 v36, v8
	v_add_nc_u32_e32 v29, 0xfffffb00, v17
	v_add_nc_u32_e32 v30, 0xfffffb20, v17
	v_add_nc_u32_e32 v31, 0xfffffb40, v17
	v_add_nc_u32_e32 v32, 0xfffffb60, v17
	v_add_nc_u32_e32 v33, 0xfffffb80, v17
	v_add_nc_u32_e32 v34, 0xfffffba0, v17
	v_add_nc_u32_e32 v35, 0xfffffbc0, v17
	v_add_nc_u32_e32 v36, 0xfffffbe0, v17
	ds_store_b32 v29, v9
	ds_store_b32 v30, v10
	ds_store_b32 v31, v12
	ds_store_b32 v32, v13
	ds_store_b32 v33, v15
	ds_store_b32 v34, v16
	ds_store_b32 v35, v18
	ds_store_b32 v36, v19
	v_add_nc_u32_e32 v29, 0xfffffc00, v17
	v_add_nc_u32_e32 v30, 0xfffffc20, v17
	v_add_nc_u32_e32 v31, 0xfffffc40, v17
	v_add_nc_u32_e32 v32, 0xfffffc60, v17
	v_add_nc_u32_e32 v33, 0xfffffc80, v17
	v_add_nc_u32_e32 v34, 0xfffffca0, v17
	v_add_nc_u32_e32 v35, 0xfffffcc0, v17
	v_add_nc_u32_e32 v17, 0xfffffce0, v17
	ds_store_b32 v29, v20
	ds_store_b32 v30, v21
	ds_store_b32 v31, v22
	ds_store_b32 v32, v23
	ds_store_b32 v33, v24
	ds_store_b32 v34, v25
	ds_store_b32 v35, v26
	ds_store_b32 v17, v27
.LBB214_94:
	s_wait_alu 0xfffe
	s_or_b32 exec_lo, exec_lo, s0
	v_lshlrev_b32_e32 v17, 2, v28
	s_mov_b32 s1, exec_lo
	v_cmp_eq_u32_e32 vcc_lo, 0, v144
	s_wait_loadcnt_dscnt 0x0
	s_barrier_signal -1
	v_add3_u32 v11, 0x320, v11, v17
	s_barrier_wait -1
	global_inv scope:SCOPE_SE
	v_cmpx_gt_u32_e32 64, v0
	s_cbranch_execz .LBB214_121
; %bb.95:
	s_and_saveexec_b32 s0, vcc_lo
	s_cbranch_execnz .LBB214_153
; %bb.96:
	s_wait_alu 0xfffe
	s_or_b32 exec_lo, exec_lo, s0
	s_and_saveexec_b32 s0, vcc_lo
	s_cbranch_execnz .LBB214_154
.LBB214_97:
	s_wait_alu 0xfffe
	s_or_b32 exec_lo, exec_lo, s0
	s_and_saveexec_b32 s0, vcc_lo
	s_cbranch_execnz .LBB214_155
.LBB214_98:
	s_wait_alu 0xfffe
	s_or_b32 exec_lo, exec_lo, s0
	s_and_saveexec_b32 s0, vcc_lo
	s_cbranch_execnz .LBB214_156
.LBB214_99:
	s_wait_alu 0xfffe
	s_or_b32 exec_lo, exec_lo, s0
	s_and_saveexec_b32 s0, vcc_lo
	s_cbranch_execnz .LBB214_157
.LBB214_100:
	s_wait_alu 0xfffe
	s_or_b32 exec_lo, exec_lo, s0
	s_and_saveexec_b32 s0, vcc_lo
	s_cbranch_execnz .LBB214_158
.LBB214_101:
	s_wait_alu 0xfffe
	s_or_b32 exec_lo, exec_lo, s0
	s_and_saveexec_b32 s0, vcc_lo
	s_cbranch_execnz .LBB214_159
.LBB214_102:
	s_wait_alu 0xfffe
	s_or_b32 exec_lo, exec_lo, s0
	s_and_saveexec_b32 s0, vcc_lo
	s_cbranch_execnz .LBB214_160
.LBB214_103:
	s_wait_alu 0xfffe
	s_or_b32 exec_lo, exec_lo, s0
	s_and_saveexec_b32 s0, vcc_lo
	s_cbranch_execnz .LBB214_161
.LBB214_104:
	s_wait_alu 0xfffe
	s_or_b32 exec_lo, exec_lo, s0
	s_and_saveexec_b32 s0, vcc_lo
	s_cbranch_execnz .LBB214_162
.LBB214_105:
	s_wait_alu 0xfffe
	s_or_b32 exec_lo, exec_lo, s0
	s_and_saveexec_b32 s0, vcc_lo
	s_cbranch_execnz .LBB214_163
.LBB214_106:
	s_wait_alu 0xfffe
	s_or_b32 exec_lo, exec_lo, s0
	s_and_saveexec_b32 s0, vcc_lo
	s_cbranch_execnz .LBB214_164
.LBB214_107:
	s_wait_alu 0xfffe
	s_or_b32 exec_lo, exec_lo, s0
	s_and_saveexec_b32 s0, vcc_lo
	s_cbranch_execnz .LBB214_165
.LBB214_108:
	s_wait_alu 0xfffe
	s_or_b32 exec_lo, exec_lo, s0
	s_and_saveexec_b32 s0, vcc_lo
	s_cbranch_execnz .LBB214_166
.LBB214_109:
	s_wait_alu 0xfffe
	s_or_b32 exec_lo, exec_lo, s0
	s_and_saveexec_b32 s0, vcc_lo
	s_cbranch_execnz .LBB214_167
.LBB214_110:
	s_wait_alu 0xfffe
	s_or_b32 exec_lo, exec_lo, s0
	s_and_saveexec_b32 s0, vcc_lo
	s_cbranch_execnz .LBB214_168
.LBB214_111:
	s_wait_alu 0xfffe
	s_or_b32 exec_lo, exec_lo, s0
	s_and_saveexec_b32 s0, vcc_lo
	s_cbranch_execnz .LBB214_169
.LBB214_112:
	s_wait_alu 0xfffe
	s_or_b32 exec_lo, exec_lo, s0
	s_and_saveexec_b32 s0, vcc_lo
	s_cbranch_execnz .LBB214_170
.LBB214_113:
	s_wait_alu 0xfffe
	s_or_b32 exec_lo, exec_lo, s0
	s_and_saveexec_b32 s0, vcc_lo
	s_cbranch_execnz .LBB214_171
.LBB214_114:
	s_wait_alu 0xfffe
	s_or_b32 exec_lo, exec_lo, s0
	s_and_saveexec_b32 s0, vcc_lo
	s_cbranch_execnz .LBB214_172
.LBB214_115:
	s_wait_alu 0xfffe
	s_or_b32 exec_lo, exec_lo, s0
	s_and_saveexec_b32 s0, vcc_lo
	s_cbranch_execnz .LBB214_173
.LBB214_116:
	s_wait_alu 0xfffe
	s_or_b32 exec_lo, exec_lo, s0
	s_and_saveexec_b32 s0, vcc_lo
	s_cbranch_execnz .LBB214_174
.LBB214_117:
	s_wait_alu 0xfffe
	s_or_b32 exec_lo, exec_lo, s0
	s_and_saveexec_b32 s0, vcc_lo
	s_cbranch_execnz .LBB214_175
.LBB214_118:
	s_wait_alu 0xfffe
	s_or_b32 exec_lo, exec_lo, s0
	s_and_saveexec_b32 s0, vcc_lo
	s_cbranch_execz .LBB214_120
.LBB214_119:
	ds_load_b32 v17, v11 offset:736
	s_wait_dscnt 0x0
	v_add_f32_e32 v27, v27, v17
.LBB214_120:
	s_wait_alu 0xfffe
	s_or_b32 exec_lo, exec_lo, s0
.LBB214_121:
	s_wait_alu 0xfffe
	s_or_b32 exec_lo, exec_lo, s1
	v_and_b32_e32 v17, 0x3e3, v0
	s_mov_b32 s1, exec_lo
	s_wait_loadcnt 0x0
	s_barrier_signal -1
	s_barrier_wait -1
	global_inv scope:SCOPE_SE
	v_cmpx_eq_u32_e32 32, v17
	s_cbranch_execz .LBB214_123
; %bb.122:
	ds_store_2addr_b32 v14, v1, v2 offset1:8
	ds_store_2addr_b32 v14, v3, v4 offset0:16 offset1:24
	ds_store_2addr_b32 v14, v5, v6 offset0:32 offset1:40
	;; [unrolled: 1-line block ×11, first 2 shown]
.LBB214_123:
	s_wait_alu 0xfffe
	s_or_b32 exec_lo, exec_lo, s1
	s_delay_alu instid0(SALU_CYCLE_1)
	s_mov_b32 s1, exec_lo
	s_wait_loadcnt_dscnt 0x0
	s_barrier_signal -1
	s_barrier_wait -1
	global_inv scope:SCOPE_SE
	v_cmpx_gt_u32_e32 32, v0
	s_cbranch_execz .LBB214_150
; %bb.124:
	s_and_saveexec_b32 s0, vcc_lo
	s_cbranch_execnz .LBB214_176
; %bb.125:
	s_wait_alu 0xfffe
	s_or_b32 exec_lo, exec_lo, s0
	s_and_saveexec_b32 s0, vcc_lo
	s_cbranch_execnz .LBB214_177
.LBB214_126:
	s_wait_alu 0xfffe
	s_or_b32 exec_lo, exec_lo, s0
	s_and_saveexec_b32 s0, vcc_lo
	s_cbranch_execnz .LBB214_178
.LBB214_127:
	s_wait_alu 0xfffe
	s_or_b32 exec_lo, exec_lo, s0
	s_and_saveexec_b32 s0, vcc_lo
	s_cbranch_execnz .LBB214_179
.LBB214_128:
	s_wait_alu 0xfffe
	s_or_b32 exec_lo, exec_lo, s0
	s_and_saveexec_b32 s0, vcc_lo
	s_cbranch_execnz .LBB214_180
.LBB214_129:
	s_wait_alu 0xfffe
	s_or_b32 exec_lo, exec_lo, s0
	s_and_saveexec_b32 s0, vcc_lo
	s_cbranch_execnz .LBB214_181
.LBB214_130:
	s_wait_alu 0xfffe
	s_or_b32 exec_lo, exec_lo, s0
	s_and_saveexec_b32 s0, vcc_lo
	s_cbranch_execnz .LBB214_182
.LBB214_131:
	s_wait_alu 0xfffe
	s_or_b32 exec_lo, exec_lo, s0
	s_and_saveexec_b32 s0, vcc_lo
	s_cbranch_execnz .LBB214_183
.LBB214_132:
	s_wait_alu 0xfffe
	s_or_b32 exec_lo, exec_lo, s0
	s_and_saveexec_b32 s0, vcc_lo
	s_cbranch_execnz .LBB214_184
.LBB214_133:
	s_wait_alu 0xfffe
	s_or_b32 exec_lo, exec_lo, s0
	s_and_saveexec_b32 s0, vcc_lo
	s_cbranch_execnz .LBB214_185
.LBB214_134:
	s_wait_alu 0xfffe
	s_or_b32 exec_lo, exec_lo, s0
	s_and_saveexec_b32 s0, vcc_lo
	s_cbranch_execnz .LBB214_186
.LBB214_135:
	s_wait_alu 0xfffe
	s_or_b32 exec_lo, exec_lo, s0
	s_and_saveexec_b32 s0, vcc_lo
	s_cbranch_execnz .LBB214_187
.LBB214_136:
	s_wait_alu 0xfffe
	s_or_b32 exec_lo, exec_lo, s0
	s_and_saveexec_b32 s0, vcc_lo
	s_cbranch_execnz .LBB214_188
.LBB214_137:
	s_wait_alu 0xfffe
	s_or_b32 exec_lo, exec_lo, s0
	s_and_saveexec_b32 s0, vcc_lo
	s_cbranch_execnz .LBB214_189
.LBB214_138:
	s_wait_alu 0xfffe
	s_or_b32 exec_lo, exec_lo, s0
	s_and_saveexec_b32 s0, vcc_lo
	s_cbranch_execnz .LBB214_190
.LBB214_139:
	s_wait_alu 0xfffe
	s_or_b32 exec_lo, exec_lo, s0
	s_and_saveexec_b32 s0, vcc_lo
	s_cbranch_execnz .LBB214_191
.LBB214_140:
	s_wait_alu 0xfffe
	s_or_b32 exec_lo, exec_lo, s0
	s_and_saveexec_b32 s0, vcc_lo
	s_cbranch_execnz .LBB214_192
.LBB214_141:
	s_wait_alu 0xfffe
	s_or_b32 exec_lo, exec_lo, s0
	s_and_saveexec_b32 s0, vcc_lo
	s_cbranch_execnz .LBB214_193
.LBB214_142:
	s_wait_alu 0xfffe
	s_or_b32 exec_lo, exec_lo, s0
	s_and_saveexec_b32 s0, vcc_lo
	s_cbranch_execnz .LBB214_194
.LBB214_143:
	s_wait_alu 0xfffe
	s_or_b32 exec_lo, exec_lo, s0
	s_and_saveexec_b32 s0, vcc_lo
	s_cbranch_execnz .LBB214_195
.LBB214_144:
	s_wait_alu 0xfffe
	s_or_b32 exec_lo, exec_lo, s0
	s_and_saveexec_b32 s0, vcc_lo
	s_cbranch_execnz .LBB214_196
.LBB214_145:
	s_wait_alu 0xfffe
	s_or_b32 exec_lo, exec_lo, s0
	s_and_saveexec_b32 s0, vcc_lo
	s_cbranch_execnz .LBB214_197
.LBB214_146:
	s_wait_alu 0xfffe
	s_or_b32 exec_lo, exec_lo, s0
	s_and_saveexec_b32 s0, vcc_lo
	s_cbranch_execnz .LBB214_198
.LBB214_147:
	s_wait_alu 0xfffe
	s_or_b32 exec_lo, exec_lo, s0
	s_and_saveexec_b32 s0, vcc_lo
	s_cbranch_execz .LBB214_149
.LBB214_148:
	ds_load_b32 v11, v11 offset:736
	s_wait_dscnt 0x0
	v_add_f32_e32 v27, v27, v11
.LBB214_149:
	s_wait_alu 0xfffe
	s_or_b32 exec_lo, exec_lo, s0
.LBB214_150:
	s_wait_alu 0xfffe
	s_or_b32 exec_lo, exec_lo, s1
	s_mov_b32 s1, 0
	s_wait_loadcnt 0x0
	s_barrier_signal -1
	s_barrier_wait -1
	global_inv scope:SCOPE_SE
	s_mov_b32 s0, exec_lo
	v_cmpx_eq_u32_e32 0, v17
	s_cbranch_execz .LBB214_152
; %bb.151:
	s_mul_i32 s2, s18, 0xc0
	s_wait_kmcnt 0x0
	s_mul_i32 s4, s12, s20
	s_wait_alu 0xfffe
	s_ashr_i32 s3, s2, 31
	s_ashr_i32 s5, s4, 31
	s_wait_alu 0xfffe
	s_lshl_b64 s[2:3], s[2:3], 2
	s_lshl_b64 s[4:5], s[4:5], 2
	s_wait_alu 0xfffe
	s_add_nc_u64 s[2:3], s[8:9], s[2:3]
	s_mul_i32 s0, s33, 0x300
	s_wait_alu 0xfffe
	s_add_nc_u64 s[2:3], s[2:3], s[4:5]
	s_wait_alu 0xfffe
	s_add_nc_u64 s[0:1], s[2:3], s[0:1]
	s_clause 0x17
	global_store_b32 v0, v1, s[0:1]
	global_store_b32 v0, v2, s[0:1] offset:32
	global_store_b32 v0, v3, s[0:1] offset:64
	;; [unrolled: 1-line block ×23, first 2 shown]
.LBB214_152:
	s_nop 0
	s_sendmsg sendmsg(MSG_DEALLOC_VGPRS)
	s_endpgm
.LBB214_153:
	ds_load_b32 v17, v11
	s_wait_dscnt 0x0
	v_add_f32_e32 v1, v1, v17
	s_wait_alu 0xfffe
	s_or_b32 exec_lo, exec_lo, s0
	s_and_saveexec_b32 s0, vcc_lo
	s_cbranch_execz .LBB214_97
.LBB214_154:
	ds_load_b32 v17, v11 offset:32
	s_wait_dscnt 0x0
	v_add_f32_e32 v2, v2, v17
	s_wait_alu 0xfffe
	s_or_b32 exec_lo, exec_lo, s0
	s_and_saveexec_b32 s0, vcc_lo
	s_cbranch_execz .LBB214_98
.LBB214_155:
	ds_load_b32 v17, v11 offset:64
	s_wait_dscnt 0x0
	v_add_f32_e32 v3, v3, v17
	s_wait_alu 0xfffe
	s_or_b32 exec_lo, exec_lo, s0
	s_and_saveexec_b32 s0, vcc_lo
	s_cbranch_execz .LBB214_99
.LBB214_156:
	ds_load_b32 v17, v11 offset:96
	s_wait_dscnt 0x0
	v_add_f32_e32 v4, v4, v17
	s_wait_alu 0xfffe
	s_or_b32 exec_lo, exec_lo, s0
	s_and_saveexec_b32 s0, vcc_lo
	s_cbranch_execz .LBB214_100
.LBB214_157:
	ds_load_b32 v17, v11 offset:128
	s_wait_dscnt 0x0
	v_add_f32_e32 v5, v5, v17
	s_wait_alu 0xfffe
	s_or_b32 exec_lo, exec_lo, s0
	s_and_saveexec_b32 s0, vcc_lo
	s_cbranch_execz .LBB214_101
.LBB214_158:
	ds_load_b32 v17, v11 offset:160
	s_wait_dscnt 0x0
	v_add_f32_e32 v6, v6, v17
	s_wait_alu 0xfffe
	s_or_b32 exec_lo, exec_lo, s0
	s_and_saveexec_b32 s0, vcc_lo
	s_cbranch_execz .LBB214_102
.LBB214_159:
	ds_load_b32 v17, v11 offset:192
	s_wait_dscnt 0x0
	v_add_f32_e32 v7, v7, v17
	s_wait_alu 0xfffe
	s_or_b32 exec_lo, exec_lo, s0
	s_and_saveexec_b32 s0, vcc_lo
	s_cbranch_execz .LBB214_103
.LBB214_160:
	ds_load_b32 v17, v11 offset:224
	s_wait_dscnt 0x0
	v_add_f32_e32 v8, v8, v17
	s_wait_alu 0xfffe
	s_or_b32 exec_lo, exec_lo, s0
	s_and_saveexec_b32 s0, vcc_lo
	s_cbranch_execz .LBB214_104
.LBB214_161:
	ds_load_b32 v17, v11 offset:256
	s_wait_dscnt 0x0
	v_add_f32_e32 v9, v9, v17
	s_wait_alu 0xfffe
	s_or_b32 exec_lo, exec_lo, s0
	s_and_saveexec_b32 s0, vcc_lo
	s_cbranch_execz .LBB214_105
.LBB214_162:
	ds_load_b32 v17, v11 offset:288
	s_wait_dscnt 0x0
	v_add_f32_e32 v10, v10, v17
	s_wait_alu 0xfffe
	s_or_b32 exec_lo, exec_lo, s0
	s_and_saveexec_b32 s0, vcc_lo
	s_cbranch_execz .LBB214_106
.LBB214_163:
	ds_load_b32 v17, v11 offset:320
	s_wait_dscnt 0x0
	v_add_f32_e32 v12, v12, v17
	s_wait_alu 0xfffe
	s_or_b32 exec_lo, exec_lo, s0
	s_and_saveexec_b32 s0, vcc_lo
	s_cbranch_execz .LBB214_107
.LBB214_164:
	ds_load_b32 v17, v11 offset:352
	s_wait_dscnt 0x0
	v_add_f32_e32 v13, v13, v17
	s_wait_alu 0xfffe
	s_or_b32 exec_lo, exec_lo, s0
	s_and_saveexec_b32 s0, vcc_lo
	s_cbranch_execz .LBB214_108
.LBB214_165:
	ds_load_b32 v17, v11 offset:384
	s_wait_dscnt 0x0
	v_add_f32_e32 v15, v15, v17
	s_wait_alu 0xfffe
	s_or_b32 exec_lo, exec_lo, s0
	s_and_saveexec_b32 s0, vcc_lo
	s_cbranch_execz .LBB214_109
.LBB214_166:
	ds_load_b32 v17, v11 offset:416
	s_wait_dscnt 0x0
	v_add_f32_e32 v16, v16, v17
	s_wait_alu 0xfffe
	s_or_b32 exec_lo, exec_lo, s0
	s_and_saveexec_b32 s0, vcc_lo
	s_cbranch_execz .LBB214_110
.LBB214_167:
	ds_load_b32 v17, v11 offset:448
	s_wait_dscnt 0x0
	v_add_f32_e32 v18, v18, v17
	s_wait_alu 0xfffe
	s_or_b32 exec_lo, exec_lo, s0
	s_and_saveexec_b32 s0, vcc_lo
	s_cbranch_execz .LBB214_111
.LBB214_168:
	ds_load_b32 v17, v11 offset:480
	s_wait_dscnt 0x0
	v_add_f32_e32 v19, v19, v17
	s_wait_alu 0xfffe
	s_or_b32 exec_lo, exec_lo, s0
	s_and_saveexec_b32 s0, vcc_lo
	s_cbranch_execz .LBB214_112
.LBB214_169:
	ds_load_b32 v17, v11 offset:512
	s_wait_dscnt 0x0
	v_add_f32_e32 v20, v20, v17
	s_wait_alu 0xfffe
	s_or_b32 exec_lo, exec_lo, s0
	s_and_saveexec_b32 s0, vcc_lo
	s_cbranch_execz .LBB214_113
.LBB214_170:
	ds_load_b32 v17, v11 offset:544
	s_wait_dscnt 0x0
	v_add_f32_e32 v21, v21, v17
	s_wait_alu 0xfffe
	s_or_b32 exec_lo, exec_lo, s0
	s_and_saveexec_b32 s0, vcc_lo
	s_cbranch_execz .LBB214_114
.LBB214_171:
	ds_load_b32 v17, v11 offset:576
	s_wait_dscnt 0x0
	v_add_f32_e32 v22, v22, v17
	s_wait_alu 0xfffe
	s_or_b32 exec_lo, exec_lo, s0
	s_and_saveexec_b32 s0, vcc_lo
	s_cbranch_execz .LBB214_115
.LBB214_172:
	ds_load_b32 v17, v11 offset:608
	s_wait_dscnt 0x0
	v_add_f32_e32 v23, v23, v17
	s_wait_alu 0xfffe
	s_or_b32 exec_lo, exec_lo, s0
	s_and_saveexec_b32 s0, vcc_lo
	s_cbranch_execz .LBB214_116
.LBB214_173:
	ds_load_b32 v17, v11 offset:640
	s_wait_dscnt 0x0
	v_add_f32_e32 v24, v24, v17
	s_wait_alu 0xfffe
	s_or_b32 exec_lo, exec_lo, s0
	s_and_saveexec_b32 s0, vcc_lo
	s_cbranch_execz .LBB214_117
.LBB214_174:
	ds_load_b32 v17, v11 offset:672
	s_wait_dscnt 0x0
	v_add_f32_e32 v25, v25, v17
	s_wait_alu 0xfffe
	s_or_b32 exec_lo, exec_lo, s0
	s_and_saveexec_b32 s0, vcc_lo
	s_cbranch_execz .LBB214_118
.LBB214_175:
	ds_load_b32 v17, v11 offset:704
	s_wait_dscnt 0x0
	v_add_f32_e32 v26, v26, v17
	s_wait_alu 0xfffe
	s_or_b32 exec_lo, exec_lo, s0
	s_and_saveexec_b32 s0, vcc_lo
	s_cbranch_execnz .LBB214_119
	s_branch .LBB214_120
.LBB214_176:
	ds_load_b32 v14, v11
	s_wait_dscnt 0x0
	v_add_f32_e32 v1, v1, v14
	s_wait_alu 0xfffe
	s_or_b32 exec_lo, exec_lo, s0
	s_and_saveexec_b32 s0, vcc_lo
	s_cbranch_execz .LBB214_126
.LBB214_177:
	ds_load_b32 v14, v11 offset:32
	s_wait_dscnt 0x0
	v_add_f32_e32 v2, v2, v14
	s_wait_alu 0xfffe
	s_or_b32 exec_lo, exec_lo, s0
	s_and_saveexec_b32 s0, vcc_lo
	s_cbranch_execz .LBB214_127
.LBB214_178:
	ds_load_b32 v14, v11 offset:64
	s_wait_dscnt 0x0
	v_add_f32_e32 v3, v3, v14
	s_wait_alu 0xfffe
	s_or_b32 exec_lo, exec_lo, s0
	s_and_saveexec_b32 s0, vcc_lo
	s_cbranch_execz .LBB214_128
.LBB214_179:
	ds_load_b32 v14, v11 offset:96
	s_wait_dscnt 0x0
	v_add_f32_e32 v4, v4, v14
	s_wait_alu 0xfffe
	s_or_b32 exec_lo, exec_lo, s0
	s_and_saveexec_b32 s0, vcc_lo
	s_cbranch_execz .LBB214_129
.LBB214_180:
	ds_load_b32 v14, v11 offset:128
	s_wait_dscnt 0x0
	v_add_f32_e32 v5, v5, v14
	s_wait_alu 0xfffe
	s_or_b32 exec_lo, exec_lo, s0
	s_and_saveexec_b32 s0, vcc_lo
	s_cbranch_execz .LBB214_130
.LBB214_181:
	ds_load_b32 v14, v11 offset:160
	s_wait_dscnt 0x0
	v_add_f32_e32 v6, v6, v14
	s_wait_alu 0xfffe
	s_or_b32 exec_lo, exec_lo, s0
	s_and_saveexec_b32 s0, vcc_lo
	s_cbranch_execz .LBB214_131
.LBB214_182:
	ds_load_b32 v14, v11 offset:192
	s_wait_dscnt 0x0
	v_add_f32_e32 v7, v7, v14
	s_wait_alu 0xfffe
	s_or_b32 exec_lo, exec_lo, s0
	s_and_saveexec_b32 s0, vcc_lo
	s_cbranch_execz .LBB214_132
.LBB214_183:
	ds_load_b32 v14, v11 offset:224
	s_wait_dscnt 0x0
	v_add_f32_e32 v8, v8, v14
	s_wait_alu 0xfffe
	s_or_b32 exec_lo, exec_lo, s0
	s_and_saveexec_b32 s0, vcc_lo
	s_cbranch_execz .LBB214_133
.LBB214_184:
	ds_load_b32 v14, v11 offset:256
	s_wait_dscnt 0x0
	v_add_f32_e32 v9, v9, v14
	s_wait_alu 0xfffe
	s_or_b32 exec_lo, exec_lo, s0
	s_and_saveexec_b32 s0, vcc_lo
	s_cbranch_execz .LBB214_134
.LBB214_185:
	ds_load_b32 v14, v11 offset:288
	s_wait_dscnt 0x0
	v_add_f32_e32 v10, v10, v14
	s_wait_alu 0xfffe
	s_or_b32 exec_lo, exec_lo, s0
	s_and_saveexec_b32 s0, vcc_lo
	s_cbranch_execz .LBB214_135
.LBB214_186:
	ds_load_b32 v14, v11 offset:320
	s_wait_dscnt 0x0
	v_add_f32_e32 v12, v12, v14
	s_wait_alu 0xfffe
	s_or_b32 exec_lo, exec_lo, s0
	s_and_saveexec_b32 s0, vcc_lo
	s_cbranch_execz .LBB214_136
.LBB214_187:
	ds_load_b32 v14, v11 offset:352
	s_wait_dscnt 0x0
	v_add_f32_e32 v13, v13, v14
	s_wait_alu 0xfffe
	s_or_b32 exec_lo, exec_lo, s0
	s_and_saveexec_b32 s0, vcc_lo
	s_cbranch_execz .LBB214_137
.LBB214_188:
	ds_load_b32 v14, v11 offset:384
	s_wait_dscnt 0x0
	v_add_f32_e32 v15, v15, v14
	s_wait_alu 0xfffe
	s_or_b32 exec_lo, exec_lo, s0
	s_and_saveexec_b32 s0, vcc_lo
	s_cbranch_execz .LBB214_138
.LBB214_189:
	ds_load_b32 v14, v11 offset:416
	s_wait_dscnt 0x0
	v_add_f32_e32 v16, v16, v14
	s_wait_alu 0xfffe
	s_or_b32 exec_lo, exec_lo, s0
	s_and_saveexec_b32 s0, vcc_lo
	s_cbranch_execz .LBB214_139
.LBB214_190:
	ds_load_b32 v14, v11 offset:448
	s_wait_dscnt 0x0
	v_add_f32_e32 v18, v18, v14
	s_wait_alu 0xfffe
	s_or_b32 exec_lo, exec_lo, s0
	s_and_saveexec_b32 s0, vcc_lo
	s_cbranch_execz .LBB214_140
.LBB214_191:
	ds_load_b32 v14, v11 offset:480
	s_wait_dscnt 0x0
	v_add_f32_e32 v19, v19, v14
	s_wait_alu 0xfffe
	s_or_b32 exec_lo, exec_lo, s0
	s_and_saveexec_b32 s0, vcc_lo
	s_cbranch_execz .LBB214_141
.LBB214_192:
	ds_load_b32 v14, v11 offset:512
	s_wait_dscnt 0x0
	v_add_f32_e32 v20, v20, v14
	s_wait_alu 0xfffe
	s_or_b32 exec_lo, exec_lo, s0
	s_and_saveexec_b32 s0, vcc_lo
	s_cbranch_execz .LBB214_142
.LBB214_193:
	ds_load_b32 v14, v11 offset:544
	s_wait_dscnt 0x0
	v_add_f32_e32 v21, v21, v14
	s_wait_alu 0xfffe
	s_or_b32 exec_lo, exec_lo, s0
	s_and_saveexec_b32 s0, vcc_lo
	s_cbranch_execz .LBB214_143
.LBB214_194:
	ds_load_b32 v14, v11 offset:576
	s_wait_dscnt 0x0
	v_add_f32_e32 v22, v22, v14
	s_wait_alu 0xfffe
	s_or_b32 exec_lo, exec_lo, s0
	s_and_saveexec_b32 s0, vcc_lo
	s_cbranch_execz .LBB214_144
.LBB214_195:
	ds_load_b32 v14, v11 offset:608
	s_wait_dscnt 0x0
	v_add_f32_e32 v23, v23, v14
	s_wait_alu 0xfffe
	s_or_b32 exec_lo, exec_lo, s0
	s_and_saveexec_b32 s0, vcc_lo
	s_cbranch_execz .LBB214_145
.LBB214_196:
	ds_load_b32 v14, v11 offset:640
	s_wait_dscnt 0x0
	v_add_f32_e32 v24, v24, v14
	s_wait_alu 0xfffe
	s_or_b32 exec_lo, exec_lo, s0
	s_and_saveexec_b32 s0, vcc_lo
	s_cbranch_execz .LBB214_146
.LBB214_197:
	ds_load_b32 v14, v11 offset:672
	s_wait_dscnt 0x0
	v_add_f32_e32 v25, v25, v14
	s_wait_alu 0xfffe
	s_or_b32 exec_lo, exec_lo, s0
	s_and_saveexec_b32 s0, vcc_lo
	s_cbranch_execz .LBB214_147
.LBB214_198:
	ds_load_b32 v14, v11 offset:704
	s_wait_dscnt 0x0
	v_add_f32_e32 v26, v26, v14
	s_wait_alu 0xfffe
	s_or_b32 exec_lo, exec_lo, s0
	s_and_saveexec_b32 s0, vcc_lo
	s_cbranch_execnz .LBB214_148
	s_branch .LBB214_149
	.section	.rodata,"a",@progbits
	.p2align	6, 0x0
	.amdhsa_kernel _ZN4vllm25paged_attention_v2_kernelIfhLi192ELi16ELi128ELNS_18Fp8KVCacheDataTypeE1ELb1ELi512EEEvPfS2_PT_PKS3_PKT0_S9_ifPKiSB_iPKfiiiSD_SD_iiiii
		.amdhsa_group_segment_fixed_size 800
		.amdhsa_private_segment_fixed_size 0
		.amdhsa_kernarg_size 400
		.amdhsa_user_sgpr_count 2
		.amdhsa_user_sgpr_dispatch_ptr 0
		.amdhsa_user_sgpr_queue_ptr 0
		.amdhsa_user_sgpr_kernarg_segment_ptr 1
		.amdhsa_user_sgpr_dispatch_id 0
		.amdhsa_user_sgpr_private_segment_size 0
		.amdhsa_wavefront_size32 1
		.amdhsa_uses_dynamic_stack 0
		.amdhsa_enable_private_segment 0
		.amdhsa_system_sgpr_workgroup_id_x 1
		.amdhsa_system_sgpr_workgroup_id_y 1
		.amdhsa_system_sgpr_workgroup_id_z 1
		.amdhsa_system_sgpr_workgroup_info 0
		.amdhsa_system_vgpr_workitem_id 0
		.amdhsa_next_free_vgpr 152
		.amdhsa_next_free_sgpr 45
		.amdhsa_reserve_vcc 1
		.amdhsa_float_round_mode_32 0
		.amdhsa_float_round_mode_16_64 0
		.amdhsa_float_denorm_mode_32 3
		.amdhsa_float_denorm_mode_16_64 3
		.amdhsa_fp16_overflow 0
		.amdhsa_workgroup_processor_mode 1
		.amdhsa_memory_ordered 1
		.amdhsa_forward_progress 1
		.amdhsa_inst_pref_size 114
		.amdhsa_round_robin_scheduling 0
		.amdhsa_exception_fp_ieee_invalid_op 0
		.amdhsa_exception_fp_denorm_src 0
		.amdhsa_exception_fp_ieee_div_zero 0
		.amdhsa_exception_fp_ieee_overflow 0
		.amdhsa_exception_fp_ieee_underflow 0
		.amdhsa_exception_fp_ieee_inexact 0
		.amdhsa_exception_int_div_zero 0
	.end_amdhsa_kernel
	.section	.text._ZN4vllm25paged_attention_v2_kernelIfhLi192ELi16ELi128ELNS_18Fp8KVCacheDataTypeE1ELb1ELi512EEEvPfS2_PT_PKS3_PKT0_S9_ifPKiSB_iPKfiiiSD_SD_iiiii,"axG",@progbits,_ZN4vllm25paged_attention_v2_kernelIfhLi192ELi16ELi128ELNS_18Fp8KVCacheDataTypeE1ELb1ELi512EEEvPfS2_PT_PKS3_PKT0_S9_ifPKiSB_iPKfiiiSD_SD_iiiii,comdat
.Lfunc_end214:
	.size	_ZN4vllm25paged_attention_v2_kernelIfhLi192ELi16ELi128ELNS_18Fp8KVCacheDataTypeE1ELb1ELi512EEEvPfS2_PT_PKS3_PKT0_S9_ifPKiSB_iPKfiiiSD_SD_iiiii, .Lfunc_end214-_ZN4vllm25paged_attention_v2_kernelIfhLi192ELi16ELi128ELNS_18Fp8KVCacheDataTypeE1ELb1ELi512EEEvPfS2_PT_PKS3_PKT0_S9_ifPKiSB_iPKfiiiSD_SD_iiiii
                                        ; -- End function
	.set _ZN4vllm25paged_attention_v2_kernelIfhLi192ELi16ELi128ELNS_18Fp8KVCacheDataTypeE1ELb1ELi512EEEvPfS2_PT_PKS3_PKT0_S9_ifPKiSB_iPKfiiiSD_SD_iiiii.num_vgpr, 152
	.set _ZN4vllm25paged_attention_v2_kernelIfhLi192ELi16ELi128ELNS_18Fp8KVCacheDataTypeE1ELb1ELi512EEEvPfS2_PT_PKS3_PKT0_S9_ifPKiSB_iPKfiiiSD_SD_iiiii.num_agpr, 0
	.set _ZN4vllm25paged_attention_v2_kernelIfhLi192ELi16ELi128ELNS_18Fp8KVCacheDataTypeE1ELb1ELi512EEEvPfS2_PT_PKS3_PKT0_S9_ifPKiSB_iPKfiiiSD_SD_iiiii.numbered_sgpr, 45
	.set _ZN4vllm25paged_attention_v2_kernelIfhLi192ELi16ELi128ELNS_18Fp8KVCacheDataTypeE1ELb1ELi512EEEvPfS2_PT_PKS3_PKT0_S9_ifPKiSB_iPKfiiiSD_SD_iiiii.num_named_barrier, 0
	.set _ZN4vllm25paged_attention_v2_kernelIfhLi192ELi16ELi128ELNS_18Fp8KVCacheDataTypeE1ELb1ELi512EEEvPfS2_PT_PKS3_PKT0_S9_ifPKiSB_iPKfiiiSD_SD_iiiii.private_seg_size, 0
	.set _ZN4vllm25paged_attention_v2_kernelIfhLi192ELi16ELi128ELNS_18Fp8KVCacheDataTypeE1ELb1ELi512EEEvPfS2_PT_PKS3_PKT0_S9_ifPKiSB_iPKfiiiSD_SD_iiiii.uses_vcc, 1
	.set _ZN4vllm25paged_attention_v2_kernelIfhLi192ELi16ELi128ELNS_18Fp8KVCacheDataTypeE1ELb1ELi512EEEvPfS2_PT_PKS3_PKT0_S9_ifPKiSB_iPKfiiiSD_SD_iiiii.uses_flat_scratch, 0
	.set _ZN4vllm25paged_attention_v2_kernelIfhLi192ELi16ELi128ELNS_18Fp8KVCacheDataTypeE1ELb1ELi512EEEvPfS2_PT_PKS3_PKT0_S9_ifPKiSB_iPKfiiiSD_SD_iiiii.has_dyn_sized_stack, 0
	.set _ZN4vllm25paged_attention_v2_kernelIfhLi192ELi16ELi128ELNS_18Fp8KVCacheDataTypeE1ELb1ELi512EEEvPfS2_PT_PKS3_PKT0_S9_ifPKiSB_iPKfiiiSD_SD_iiiii.has_recursion, 0
	.set _ZN4vllm25paged_attention_v2_kernelIfhLi192ELi16ELi128ELNS_18Fp8KVCacheDataTypeE1ELb1ELi512EEEvPfS2_PT_PKS3_PKT0_S9_ifPKiSB_iPKfiiiSD_SD_iiiii.has_indirect_call, 0
	.section	.AMDGPU.csdata,"",@progbits
; Kernel info:
; codeLenInByte = 14516
; TotalNumSgprs: 47
; NumVgprs: 152
; ScratchSize: 0
; MemoryBound: 0
; FloatMode: 240
; IeeeMode: 1
; LDSByteSize: 800 bytes/workgroup (compile time only)
; SGPRBlocks: 0
; VGPRBlocks: 18
; NumSGPRsForWavesPerEU: 47
; NumVGPRsForWavesPerEU: 152
; Occupancy: 9
; WaveLimiterHint : 1
; COMPUTE_PGM_RSRC2:SCRATCH_EN: 0
; COMPUTE_PGM_RSRC2:USER_SGPR: 2
; COMPUTE_PGM_RSRC2:TRAP_HANDLER: 0
; COMPUTE_PGM_RSRC2:TGID_X_EN: 1
; COMPUTE_PGM_RSRC2:TGID_Y_EN: 1
; COMPUTE_PGM_RSRC2:TGID_Z_EN: 1
; COMPUTE_PGM_RSRC2:TIDIG_COMP_CNT: 0
	.section	.text._ZN4vllm25paged_attention_v2_kernelIfhLi256ELi16ELi128ELNS_18Fp8KVCacheDataTypeE1ELb1ELi512EEEvPfS2_PT_PKS3_PKT0_S9_ifPKiSB_iPKfiiiSD_SD_iiiii,"axG",@progbits,_ZN4vllm25paged_attention_v2_kernelIfhLi256ELi16ELi128ELNS_18Fp8KVCacheDataTypeE1ELb1ELi512EEEvPfS2_PT_PKS3_PKT0_S9_ifPKiSB_iPKfiiiSD_SD_iiiii,comdat
	.protected	_ZN4vllm25paged_attention_v2_kernelIfhLi256ELi16ELi128ELNS_18Fp8KVCacheDataTypeE1ELb1ELi512EEEvPfS2_PT_PKS3_PKT0_S9_ifPKiSB_iPKfiiiSD_SD_iiiii ; -- Begin function _ZN4vllm25paged_attention_v2_kernelIfhLi256ELi16ELi128ELNS_18Fp8KVCacheDataTypeE1ELb1ELi512EEEvPfS2_PT_PKS3_PKT0_S9_ifPKiSB_iPKfiiiSD_SD_iiiii
	.globl	_ZN4vllm25paged_attention_v2_kernelIfhLi256ELi16ELi128ELNS_18Fp8KVCacheDataTypeE1ELb1ELi512EEEvPfS2_PT_PKS3_PKT0_S9_ifPKiSB_iPKfiiiSD_SD_iiiii
	.p2align	8
	.type	_ZN4vllm25paged_attention_v2_kernelIfhLi256ELi16ELi128ELNS_18Fp8KVCacheDataTypeE1ELb1ELi512EEEvPfS2_PT_PKS3_PKT0_S9_ifPKiSB_iPKfiiiSD_SD_iiiii,@function
_ZN4vllm25paged_attention_v2_kernelIfhLi256ELi16ELi128ELNS_18Fp8KVCacheDataTypeE1ELb1ELi512EEEvPfS2_PT_PKS3_PKT0_S9_ifPKiSB_iPKfiiiSD_SD_iiiii: ; @_ZN4vllm25paged_attention_v2_kernelIfhLi256ELi16ELi128ELNS_18Fp8KVCacheDataTypeE1ELb1ELi512EEEvPfS2_PT_PKS3_PKT0_S9_ifPKiSB_iPKfiiiSD_SD_iiiii
; %bb.0:
	s_load_b64 s[2:3], s[0:1], 0x40
	s_and_b32 s19, ttmp7, 0xffff
	s_lshr_b32 s33, ttmp7, 16
	s_lshl_b32 s4, s19, 2
	s_lshl_b32 s36, s33, 9
	s_wait_kmcnt 0x0
	s_load_b32 s34, s[2:3], s4 offset:0x0
	s_wait_kmcnt 0x0
	s_cmp_ge_i32 s36, s34
	s_cbranch_scc1 .LBB215_184
; %bb.1:
	s_clause 0x1
	s_load_b32 s35, s[0:1], 0x90
	s_load_b64 s[6:7], s[0:1], 0x30
	s_wait_kmcnt 0x0
	s_abs_i32 s5, s35
	s_abs_i32 s2, s6
	s_delay_alu instid0(SALU_CYCLE_1) | instskip(SKIP_1) | instid1(SALU_CYCLE_2)
	s_cvt_f32_u32 s3, s2
	s_sub_co_i32 s4, 0, s2
	v_rcp_iflag_f32_e32 v1, s3
	s_delay_alu instid0(TRANS32_DEP_1) | instskip(SKIP_2) | instid1(SALU_CYCLE_2)
	v_readfirstlane_b32 s3, v1
	s_mul_f32 s3, s3, 0x4f7ffffe
	s_wait_alu 0xfffe
	s_cvt_u32_f32 s3, s3
	s_wait_alu 0xfffe
	s_delay_alu instid0(SALU_CYCLE_2) | instskip(NEXT) | instid1(SALU_CYCLE_1)
	s_mul_i32 s4, s4, s3
	s_mul_hi_u32 s4, s3, s4
	s_delay_alu instid0(SALU_CYCLE_1)
	s_add_co_i32 s3, s3, s4
	s_xor_b32 s4, s35, s6
	s_wait_alu 0xfffe
	s_mul_hi_u32 s3, s5, s3
	s_ashr_i32 s4, s4, 31
	s_wait_alu 0xfffe
	s_mul_i32 s8, s3, s2
	s_delay_alu instid0(SALU_CYCLE_1)
	s_sub_co_i32 s5, s5, s8
	s_add_co_i32 s8, s3, 1
	s_sub_co_i32 s9, s5, s2
	s_cmp_ge_u32 s5, s2
	s_cselect_b32 s3, s8, s3
	s_cselect_b32 s5, s9, s5
	s_wait_alu 0xfffe
	s_add_co_i32 s8, s3, 1
	s_cmp_ge_u32 s5, s2
	s_cselect_b32 s2, s8, s3
	s_load_b64 s[8:9], s[0:1], 0x50
	s_xor_b32 s2, s2, s4
	s_mov_b32 s3, 0
	s_wait_alu 0xfffe
	s_sub_co_i32 s11, s2, s4
	s_mov_b32 s30, s3
	s_abs_i32 s10, s11
	s_delay_alu instid0(SALU_CYCLE_1) | instskip(SKIP_1) | instid1(SALU_CYCLE_2)
	s_cvt_f32_u32 s2, s10
	s_wait_alu 0xfffe
	v_rcp_iflag_f32_e32 v1, s2
	s_delay_alu instid0(TRANS32_DEP_1) | instskip(SKIP_2) | instid1(SALU_CYCLE_2)
	v_readfirstlane_b32 s2, v1
	s_mul_f32 s2, s2, 0x4f7ffffe
	s_wait_alu 0xfffe
	s_cvt_u32_f32 s4, s2
	s_sub_co_i32 s2, 0, s10
	s_wait_alu 0xfffe
	s_delay_alu instid0(SALU_CYCLE_1)
	s_mul_i32 s2, s2, s4
	s_wait_alu 0xfffe
	s_mul_hi_u32 s5, s4, s2
	s_abs_i32 s2, ttmp9
	s_add_co_i32 s4, s4, s5
	s_mov_b32 s5, s3
	s_wait_kmcnt 0x0
	s_cmp_eq_u64 s[8:9], 0
	s_cbranch_scc1 .LBB215_3
; %bb.2:
	s_mov_b32 s12, ttmp9
	s_ashr_i32 s13, ttmp9, 31
	s_delay_alu instid0(SALU_CYCLE_1) | instskip(NEXT) | instid1(SALU_CYCLE_1)
	s_lshl_b64 s[12:13], s[12:13], 2
	s_add_nc_u64 s[8:9], s[8:9], s[12:13]
	s_load_b32 s30, s[8:9], 0x0
.LBB215_3:
	s_load_b96 s[16:18], s[0:1], 0x58
	v_and_b32_e32 v1, 1, v0
	v_lshlrev_b32_e32 v50, 2, v0
	s_mul_u64 s[4:5], s[2:3], s[4:5]
	s_ashr_i32 s3, ttmp9, 31
	s_ashr_i32 s4, s11, 31
	s_lshl_b32 s20, ttmp9, 8
	s_mov_b32 s8, exec_lo
	v_cmpx_gt_u32_e32 0x80, v0
	s_cbranch_execz .LBB215_5
; %bb.4:
	s_load_b64 s[12:13], s[0:1], 0x18
	s_wait_kmcnt 0x0
	s_mul_i32 s14, s16, s19
	s_ashr_i32 s21, s20, 31
	s_ashr_i32 s15, s14, 31
	v_lshlrev_b32_e32 v2, 3, v0
	s_lshl_b64 s[14:15], s[14:15], 2
	v_and_b32_e32 v4, 0xff8, v50
	s_delay_alu instid0(VALU_DEP_1) | instskip(SKIP_2) | instid1(SALU_CYCLE_1)
	v_lshl_add_u32 v4, v1, 9, v4
	s_add_nc_u64 s[12:13], s[12:13], s[14:15]
	s_lshl_b64 s[14:15], s[20:21], 2
	s_add_nc_u64 s[12:13], s[12:13], s[14:15]
	global_load_b64 v[2:3], v2, s[12:13]
	s_wait_loadcnt 0x0
	ds_store_b64 v4, v[2:3]
.LBB215_5:
	s_or_b32 exec_lo, exec_lo, s8
	s_load_b128 s[12:15], s[0:1], 0x78
	s_mul_i32 s8, s5, s10
	s_xor_b32 s3, s3, s4
	s_sub_co_i32 s2, s2, s8
	s_add_co_i32 s4, s5, 1
	s_wait_alu 0xfffe
	s_sub_co_i32 s8, s2, s10
	s_cmp_ge_u32 s2, s10
                                        ; implicit-def: $sgpr21
	s_cselect_b32 s4, s4, s5
	s_cselect_b32 s2, s8, s2
	s_add_co_i32 s5, s4, 1
	s_wait_alu 0xfffe
	s_cmp_ge_u32 s2, s10
	s_load_b32 s8, s[0:1], 0x88
	s_cselect_b32 s2, s5, s4
	s_add_co_i32 s9, s34, -1
	s_wait_alu 0xfffe
	s_xor_b32 s2, s2, s3
	s_mov_b32 s10, -1
	s_wait_alu 0xfffe
	s_sub_co_i32 s28, s2, s3
	s_wait_dscnt 0x0
	s_barrier_signal -1
	s_wait_kmcnt 0x0
	s_abs_i32 s16, s15
	s_barrier_wait -1
	s_cvt_f32_u32 s4, s16
	global_inv scope:SCOPE_SE
	v_rcp_iflag_f32_e32 v2, s4
	s_delay_alu instid0(TRANS32_DEP_1) | instskip(SKIP_2) | instid1(SALU_CYCLE_2)
	v_readfirstlane_b32 s4, v2
	s_mul_f32 s2, s4, 0x4f7ffffe
	s_wait_alu 0xfffe
	s_cvt_u32_f32 s4, s2
	s_sub_co_i32 s2, 0, s16
	s_wait_alu 0xfffe
	s_delay_alu instid0(SALU_CYCLE_1)
	s_mul_i32 s3, s2, s4
	s_abs_i32 s2, s9
	s_wait_alu 0xfffe
	s_mul_hi_u32 s5, s4, s3
	s_mov_b32 s3, 0
	s_wait_alu 0xfffe
	s_add_co_i32 s22, s4, s5
	s_cmp_lt_i32 s8, 0
	s_mov_b32 s23, s3
	s_cbranch_scc0 .LBB215_7
; %bb.6:
	s_mul_i32 s4, s12, s6
	s_mov_b32 s10, s3
	s_wait_alu 0xfffe
	s_add_co_i32 s4, s28, s4
	s_wait_alu 0xfffe
	s_mul_i32 s4, s4, s8
	s_wait_alu 0xfffe
	s_sub_co_i32 s21, 1, s4
.LBB215_7:
	s_mul_u64 s[4:5], s[2:3], s[22:23]
	s_ashr_i32 s3, s9, 31
	s_and_not1_b32 vcc_lo, exec_lo, s10
	s_ashr_i32 s15, s15, 31
	s_cbranch_vccnz .LBB215_9
; %bb.8:
	s_mul_i32 s4, s35, s12
	s_wait_alu 0xfffe
	s_add_co_i32 s4, s4, ttmp9
	s_wait_alu 0xfffe
	s_mul_i32 s4, s4, s8
	s_wait_alu 0xfffe
	s_add_co_i32 s21, s4, 1
.LBB215_9:
	s_clause 0x3
	s_load_b32 s4, s[0:1], 0x48
	s_load_b64 s[24:25], s[0:1], 0x38
	s_load_b32 s12, s[0:1], 0x98
	s_load_b128 s[8:11], s[0:1], 0x68
	s_mul_i32 s6, s5, s16
	s_xor_b32 s3, s3, s15
	s_sub_co_i32 s2, s2, s6
	s_add_co_i32 s23, s5, 1
	v_lshrrev_b32_e32 v185, 5, v0
	v_mbcnt_lo_u32_b32 v36, -1, 0
	s_mul_i32 s28, s28, s18
	s_delay_alu instid0(VALU_DEP_2)
	v_lshl_add_u32 v34, v185, 4, s36
	s_wait_kmcnt 0x0
	s_mul_i32 s26, s4, s19
	s_wait_alu 0xfffe
	s_sub_co_i32 s4, s2, s16
	s_ashr_i32 s27, s26, 31
	s_cmp_ge_u32 s2, s16
	s_cselect_b32 s5, s23, s5
	s_wait_alu 0xfffe
	s_cselect_b32 s2, s4, s2
	s_add_co_i32 s4, s5, 1
	s_wait_alu 0xfffe
	s_cmp_ge_u32 s2, s16
	s_cselect_b32 s2, s4, s5
	s_add_co_i32 s4, s34, 15
	s_lshl_b32 s39, s33, 5
	s_wait_alu 0xfffe
	s_ashr_i32 s5, s4, 31
	v_or_b32_e32 v35, s39, v185
	s_wait_alu 0xfffe
	s_lshr_b32 s5, s5, 28
	v_mov_b32_e32 v38, 0xff7fffff
	s_wait_alu 0xfffe
	s_add_co_i32 s4, s4, s5
	s_add_co_i32 s5, s39, 32
	s_wait_alu 0xfffe
	s_ashr_i32 s37, s4, 4
	s_xor_b32 s4, s2, s3
	s_wait_alu 0xfffe
	s_min_i32 s23, s5, s37
	v_lshlrev_b32_e32 v53, 2, v35
	v_cmp_gt_i32_e64 s2, s23, v35
	s_sub_co_i32 s38, s4, s3
	s_and_saveexec_b32 s6, s2
	s_cbranch_execz .LBB215_21
; %bb.10:
	s_wait_alu 0xfffe
	s_sub_co_i32 s18, s38, s13
	s_ashr_i32 s29, s28, 31
	s_cmp_neq_f32 s30, 0
	s_load_b64 s[4:5], s[0:1], 0x20
	v_bfe_u32 v37, v0, 1, 4
	v_dual_mov_b32 v38, 0xff7fffff :: v_dual_lshlrev_b32 v3, 1, v1
	s_cselect_b32 vcc_lo, -1, 0
	s_abs_i32 s31, s14
	v_lshlrev_b32_e32 v39, 9, v1
	s_cvt_f32_u32 s3, s31
	v_dual_mov_b32 v43, 0xff7fffff :: v_dual_lshlrev_b32 v4, 2, v37
	s_lshl_b64 s[42:43], s[26:27], 2
	s_wait_alu 0xfffe
	v_rcp_iflag_f32_e32 v2, s3
	v_cmp_eq_u32_e64 s3, 0, v1
	v_lshlrev_b32_e32 v1, 4, v37
	v_subrev_nc_u32_e32 v5, s34, v37
	s_add_nc_u64 s[42:43], s[24:25], s[42:43]
	s_sub_co_i32 s44, 0, s31
	v_lshl_add_u32 v40, v185, 4, s36
	v_xor_b32_e32 v44, 1, v36
	v_add_nc_u32_e32 v41, 1, v5
	s_wait_kmcnt 0x0
	s_add_nc_u64 s[4:5], s[4:5], s[28:29]
	v_readfirstlane_b32 s41, v2
	s_wait_alu 0xfffe
	v_add_co_u32 v1, s4, s4, v1
	v_lshl_or_b32 v2, v185, 6, v4
	s_wait_alu 0xf1ff
	v_add_co_ci_u32_e64 v4, null, s5, 0, s4
	s_mul_f32 s29, s41, 0x4f7ffffe
	v_add_co_u32 v29, s4, v1, v3
	s_wait_alu 0xf1ff
	v_add_co_ci_u32_e64 v30, null, 0, v4, s4
	s_cvt_u32_f32 s5, s29
	v_add_co_u32 v31, s4, s42, v53
	s_wait_alu 0xf1ff
	v_add_co_ci_u32_e64 v32, null, s43, 0, s4
	s_wait_alu 0xfffe
	s_mul_i32 s44, s44, s5
	v_dual_mov_b32 v45, v35 :: v_dual_add_nc_u32 v42, 0x420, v2
	s_mul_hi_u32 s4, s5, s44
	s_mov_b32 s40, 0
	s_mov_b32 s29, s17
	s_wait_alu 0xfffe
	s_add_co_i32 s41, s5, s4
	s_branch .LBB215_13
.LBB215_11:                             ;   in Loop: Header=BB215_13 Depth=1
	s_wait_alu 0xfffe
	s_or_b32 exec_lo, exec_lo, s42
.LBB215_12:                             ;   in Loop: Header=BB215_13 Depth=1
	s_wait_alu 0xfffe
	s_or_b32 exec_lo, exec_lo, s5
	v_add_nc_u32_e32 v45, 4, v45
	v_add_co_u32 v31, s5, v31, 16
	s_wait_alu 0xf1ff
	v_add_co_ci_u32_e64 v32, null, 0, v32, s5
	s_delay_alu instid0(VALU_DEP_3)
	v_cmp_le_i32_e64 s4, s23, v45
	v_add_nc_u32_e32 v40, 64, v40
	v_add_nc_u32_e32 v42, 0x100, v42
	s_or_b32 s40, s4, s40
	s_wait_alu 0xfffe
	s_and_not1_b32 exec_lo, exec_lo, s40
	s_cbranch_execz .LBB215_20
.LBB215_13:                             ; =>This Inner Loop Header: Depth=1
	v_sub_nc_u32_e32 v1, 0, v40
	s_delay_alu instid0(VALU_DEP_1) | instskip(SKIP_1) | instid1(VALU_DEP_1)
	v_max_i32_e32 v1, v40, v1
	s_wait_dscnt 0x0
	v_mul_hi_u32 v2, v1, s22
	s_delay_alu instid0(VALU_DEP_1) | instskip(NEXT) | instid1(VALU_DEP_1)
	v_mul_lo_u32 v3, v2, s16
	v_sub_nc_u32_e32 v1, v1, v3
	v_add_nc_u32_e32 v3, 1, v2
	s_delay_alu instid0(VALU_DEP_2) | instskip(SKIP_2) | instid1(VALU_DEP_1)
	v_subrev_nc_u32_e32 v4, s16, v1
	v_cmp_le_u32_e64 s4, s16, v1
	s_wait_alu 0xf1ff
	v_cndmask_b32_e64 v2, v2, v3, s4
	s_delay_alu instid0(VALU_DEP_3) | instskip(SKIP_1) | instid1(VALU_DEP_3)
	v_cndmask_b32_e64 v1, v1, v4, s4
	v_ashrrev_i32_e32 v3, 31, v40
	v_add_nc_u32_e32 v4, 1, v2
	s_delay_alu instid0(VALU_DEP_3) | instskip(NEXT) | instid1(VALU_DEP_3)
	v_cmp_le_u32_e64 s4, s16, v1
	v_xor_b32_e32 v3, s15, v3
	s_wait_alu 0xf1ff
	s_delay_alu instid0(VALU_DEP_2) | instskip(NEXT) | instid1(VALU_DEP_1)
	v_cndmask_b32_e64 v1, v2, v4, s4
	v_xor_b32_e32 v1, v1, v3
	s_delay_alu instid0(VALU_DEP_1) | instskip(NEXT) | instid1(VALU_DEP_1)
	v_sub_nc_u32_e32 v1, v1, v3
	v_add_nc_u32_e32 v2, s21, v1
	v_cmp_ge_i32_e64 s5, s18, v1
	s_delay_alu instid0(VALU_DEP_2) | instskip(NEXT) | instid1(VALU_DEP_1)
	v_sub_nc_u32_e32 v3, 0, v2
	v_max_i32_e32 v3, v2, v3
	v_ashrrev_i32_e32 v2, 31, v2
	s_delay_alu instid0(VALU_DEP_2) | instskip(NEXT) | instid1(VALU_DEP_1)
	v_mul_hi_u32 v4, v3, s41
	v_mul_lo_u32 v4, v4, s31
	s_delay_alu instid0(VALU_DEP_1) | instskip(NEXT) | instid1(VALU_DEP_1)
	v_sub_nc_u32_e32 v3, v3, v4
	v_subrev_nc_u32_e32 v4, s31, v3
	v_cmp_le_u32_e64 s4, s31, v3
	s_wait_alu 0xf1ff
	s_delay_alu instid0(VALU_DEP_1) | instskip(NEXT) | instid1(VALU_DEP_1)
	v_cndmask_b32_e64 v3, v3, v4, s4
	v_subrev_nc_u32_e32 v4, s31, v3
	v_cmp_le_u32_e64 s4, s31, v3
	s_wait_alu 0xf1ff
	s_delay_alu instid0(VALU_DEP_1) | instskip(NEXT) | instid1(VALU_DEP_1)
	v_cndmask_b32_e64 v3, v3, v4, s4
	v_xor_b32_e32 v3, v3, v2
	s_delay_alu instid0(VALU_DEP_1) | instskip(NEXT) | instid1(VALU_DEP_1)
	v_sub_nc_u32_e32 v2, v3, v2
	v_cmp_ne_u32_e64 s4, 0, v2
	s_and_b32 s4, s4, s5
	s_wait_alu 0xfffe
	s_and_saveexec_b32 s5, s4
	s_wait_alu 0xfffe
	s_xor_b32 s4, exec_lo, s5
	s_cbranch_execz .LBB215_17
; %bb.14:                               ;   in Loop: Header=BB215_13 Depth=1
	s_and_saveexec_b32 s5, s3
; %bb.15:                               ;   in Loop: Header=BB215_13 Depth=1
	ds_store_b32 v42, v43
; %bb.16:                               ;   in Loop: Header=BB215_13 Depth=1
	s_wait_alu 0xfffe
	s_or_b32 exec_lo, exec_lo, s5
.LBB215_17:                             ;   in Loop: Header=BB215_13 Depth=1
	s_wait_alu 0xfffe
	s_and_not1_saveexec_b32 s5, s4
	s_cbranch_execz .LBB215_12
; %bb.18:                               ;   in Loop: Header=BB215_13 Depth=1
	global_load_b32 v1, v[31:32], off
	s_wait_loadcnt 0x0
	v_mad_co_i64_i32 v[27:28], null, v1, s29, v[29:30]
	s_clause 0x1f
	global_load_u16 v46, v[27:28], off
	global_load_u16 v48, v[27:28], off offset:4
	global_load_u16 v100, v[27:28], off offset:8
	;; [unrolled: 1-line block ×31, first 2 shown]
	s_clause 0x1a
	global_load_u16 v81, v[27:28], off offset:2048
	global_load_u16 v80, v[27:28], off offset:2052
	global_load_u16 v79, v[27:28], off offset:2056
	global_load_u16 v78, v[27:28], off offset:2060
	global_load_u16 v77, v[27:28], off offset:2304
	global_load_u16 v76, v[27:28], off offset:2308
	global_load_u16 v74, v[27:28], off offset:2312
	global_load_u16 v75, v[27:28], off offset:2316
	global_load_u16 v73, v[27:28], off offset:2560
	global_load_u16 v72, v[27:28], off offset:2564
	global_load_u16 v71, v[27:28], off offset:2568
	global_load_u16 v70, v[27:28], off offset:2572
	global_load_u16 v69, v[27:28], off offset:2816
	global_load_u16 v68, v[27:28], off offset:2820
	global_load_u16 v67, v[27:28], off offset:2824
	global_load_u16 v66, v[27:28], off offset:2828
	global_load_u16 v65, v[27:28], off offset:3072
	global_load_u16 v64, v[27:28], off offset:3076
	global_load_u16 v63, v[27:28], off offset:3080
	global_load_u16 v60, v[27:28], off offset:3084
	global_load_u16 v59, v[27:28], off offset:3328
	global_load_u16 v57, v[27:28], off offset:3332
	global_load_u16 v55, v[27:28], off offset:3336
	global_load_u16 v52, v[27:28], off offset:3340
	global_load_u16 v56, v[27:28], off offset:3584
	global_load_u16 v58, v[27:28], off offset:3588
	global_load_u16 v61, v[27:28], off offset:3592
	s_load_b32 s4, s[8:9], 0x0
	ds_load_b128 v[82:85], v39
	ds_load_b128 v[86:89], v39 offset:16
	ds_load_b128 v[90:93], v39 offset:32
	;; [unrolled: 1-line block ×3, first 2 shown]
	s_wait_loadcnt 0x3a
	v_cvt_pk_f32_fp8_e32 v[46:47], v46
	s_wait_loadcnt 0x39
	v_cvt_pk_f32_fp8_e32 v[98:99], v48
	s_clause 0x4
	global_load_u16 v62, v[27:28], off offset:3596
	global_load_u16 v54, v[27:28], off offset:3840
	;; [unrolled: 1-line block ×5, first 2 shown]
	s_wait_loadcnt 0x3d
	v_cvt_pk_f32_fp8_e32 v[27:28], v100
	s_wait_kmcnt 0x0
	v_mul_f32_e32 v100, s4, v47
	v_dual_mul_f32 v98, s4, v98 :: v_dual_mul_f32 v99, s4, v99
	v_mul_f32_e32 v104, s4, v46
	s_wait_dscnt 0x3
	s_delay_alu instid0(VALU_DEP_2)
	v_dual_mul_f32 v46, v84, v98 :: v_dual_mul_f32 v47, v85, v99
	s_wait_loadcnt 0x3c
	v_cvt_pk_f32_fp8_e32 v[84:85], v101
	v_dual_mul_f32 v98, s4, v28 :: v_dual_mul_f32 v99, s4, v27
	s_wait_loadcnt 0x3b
	v_cvt_pk_f32_fp8_e32 v[27:28], v102
	s_delay_alu instid0(VALU_DEP_3)
	v_mul_f32_e32 v85, s4, v85
	v_fmac_f32_e32 v47, v83, v100
	s_wait_loadcnt 0x38
	v_cvt_pk_f32_fp8_e32 v[100:101], v26
	v_dual_mul_f32 v27, s4, v27 :: v_dual_fmac_f32 v46, v82, v104
	v_cvt_pk_f32_fp8_e32 v[82:83], v103
	s_wait_dscnt 0x2
	v_dual_fmac_f32 v47, v87, v98 :: v_dual_mul_f32 v84, s4, v84
	v_mul_f32_e32 v28, s4, v28
	s_delay_alu instid0(VALU_DEP_3) | instskip(NEXT) | instid1(VALU_DEP_3)
	v_dual_fmac_f32 v46, v86, v99 :: v_dual_mul_f32 v103, s4, v82
	v_dual_fmac_f32 v47, v89, v85 :: v_dual_mul_f32 v102, s4, v83
	v_cvt_pk_f32_fp8_e32 v[98:99], v25
	v_mul_f32_e32 v101, s4, v101
	s_wait_dscnt 0x1
	s_delay_alu instid0(VALU_DEP_3)
	v_fmac_f32_e32 v47, v91, v28
	v_fmac_f32_e32 v46, v88, v84
	ds_load_b128 v[82:85], v39 offset:64
	ds_load_b128 v[86:89], v39 offset:80
	v_dual_fmac_f32 v47, v93, v102 :: v_dual_fmac_f32 v46, v90, v27
	v_mul_f32_e32 v102, s4, v98
	s_delay_alu instid0(VALU_DEP_2)
	v_fmac_f32_e32 v46, v92, v103
	v_dual_mul_f32 v103, s4, v99 :: v_dual_mul_f32 v100, s4, v100
	s_wait_loadcnt 0x37
	v_cvt_pk_f32_fp8_e32 v[98:99], v24
	s_wait_loadcnt 0x36
	v_cvt_pk_f32_fp8_e32 v[23:24], v23
	ds_load_b128 v[25:28], v39 offset:96
	ds_load_b128 v[90:93], v39 offset:112
	s_wait_dscnt 0x4
	v_fmac_f32_e32 v47, v95, v103
	v_dual_mul_f32 v99, s4, v99 :: v_dual_mul_f32 v98, s4, v98
	v_mul_f32_e32 v23, s4, v23
	s_delay_alu instid0(VALU_DEP_3)
	v_dual_fmac_f32 v47, v97, v101 :: v_dual_fmac_f32 v46, v94, v102
	s_wait_loadcnt 0x35
	v_cvt_pk_f32_fp8_e32 v[94:95], v20
	v_mul_f32_e32 v24, s4, v24
	s_wait_loadcnt 0x34
	v_cvt_pk_f32_fp8_e32 v[19:20], v19
	s_wait_dscnt 0x3
	v_dual_fmac_f32 v47, v83, v99 :: v_dual_fmac_f32 v46, v96, v100
	v_mul_f32_e32 v83, s4, v94
	s_wait_loadcnt 0x31
	v_cvt_pk_f32_fp8_e32 v[102:103], v15
	s_wait_loadcnt 0x30
	v_cvt_pk_f32_fp8_e32 v[15:16], v16
	v_dual_fmac_f32 v47, v85, v24 :: v_dual_fmac_f32 v46, v82, v98
	s_delay_alu instid0(VALU_DEP_3) | instskip(NEXT) | instid1(VALU_DEP_3)
	v_dual_mul_f32 v19, s4, v19 :: v_dual_mul_f32 v102, s4, v102
	v_dual_mul_f32 v103, s4, v103 :: v_dual_mul_f32 v16, s4, v16
	s_delay_alu instid0(VALU_DEP_4) | instskip(NEXT) | instid1(VALU_DEP_4)
	v_mul_f32_e32 v15, s4, v15
	v_fmac_f32_e32 v46, v84, v23
	v_cvt_pk_f32_fp8_e32 v[23:24], v18
	v_mul_f32_e32 v18, s4, v20
	v_mul_f32_e32 v82, s4, v95
	s_delay_alu instid0(VALU_DEP_3) | instskip(SKIP_1) | instid1(VALU_DEP_2)
	v_dual_mul_f32 v24, s4, v24 :: v_dual_mul_f32 v23, s4, v23
	s_wait_dscnt 0x2
	v_dual_fmac_f32 v47, v87, v82 :: v_dual_fmac_f32 v46, v86, v83
	v_cvt_pk_f32_fp8_e32 v[86:87], v17
	s_delay_alu instid0(VALU_DEP_2) | instskip(NEXT) | instid1(VALU_DEP_2)
	v_fmac_f32_e32 v47, v89, v18
	v_dual_mul_f32 v95, s4, v86 :: v_dual_fmac_f32 v46, v88, v19
	s_wait_dscnt 0x1
	s_delay_alu instid0(VALU_DEP_2)
	v_dual_mul_f32 v94, s4, v87 :: v_dual_fmac_f32 v47, v26, v24
	ds_load_b128 v[17:20], v39 offset:128
	ds_load_b128 v[82:85], v39 offset:144
	v_fmac_f32_e32 v46, v25, v23
	ds_load_b128 v[23:26], v39 offset:160
	ds_load_b128 v[86:89], v39 offset:176
	v_dual_fmac_f32 v47, v28, v94 :: v_dual_fmac_f32 v46, v27, v95
	s_wait_loadcnt 0x2f
	v_cvt_pk_f32_fp8_e32 v[27:28], v14
	s_wait_loadcnt 0x2e
	v_cvt_pk_f32_fp8_e32 v[13:14], v13
	s_wait_dscnt 0x4
	v_fmac_f32_e32 v47, v91, v103
	ds_load_b128 v[94:97], v39 offset:192
	ds_load_b128 v[98:101], v39 offset:208
	v_dual_mul_f32 v28, s4, v28 :: v_dual_mul_f32 v27, s4, v27
	v_dual_mul_f32 v13, s4, v13 :: v_dual_fmac_f32 v46, v90, v102
	s_delay_alu instid0(VALU_DEP_1) | instskip(SKIP_1) | instid1(VALU_DEP_1)
	v_dual_fmac_f32 v47, v93, v16 :: v_dual_fmac_f32 v46, v92, v15
	s_wait_dscnt 0x5
	v_fmac_f32_e32 v47, v18, v28
	s_wait_loadcnt 0x2d
	v_cvt_pk_f32_fp8_e32 v[15:16], v12
	v_mul_f32_e32 v14, s4, v14
	s_wait_loadcnt 0x2c
	v_cvt_pk_f32_fp8_e32 v[11:12], v11
	s_delay_alu instid0(VALU_DEP_3) | instskip(NEXT) | instid1(VALU_DEP_3)
	v_dual_mul_f32 v16, s4, v16 :: v_dual_mul_f32 v15, s4, v15
	v_dual_fmac_f32 v46, v17, v27 :: v_dual_fmac_f32 v47, v20, v14
	s_delay_alu instid0(VALU_DEP_3) | instskip(SKIP_1) | instid1(VALU_DEP_2)
	v_dual_mul_f32 v12, s4, v12 :: v_dual_mul_f32 v11, s4, v11
	s_wait_dscnt 0x4
	v_fmac_f32_e32 v47, v83, v16
	s_delay_alu instid0(VALU_DEP_3) | instskip(SKIP_4) | instid1(VALU_DEP_2)
	v_fmac_f32_e32 v46, v19, v13
	s_wait_loadcnt 0x2b
	v_cvt_pk_f32_fp8_e32 v[13:14], v4
	s_wait_loadcnt 0x2a
	v_cvt_pk_f32_fp8_e32 v[3:4], v3
	v_dual_mul_f32 v14, s4, v14 :: v_dual_mul_f32 v13, s4, v13
	v_dual_fmac_f32 v47, v85, v12 :: v_dual_fmac_f32 v46, v82, v15
	s_delay_alu instid0(VALU_DEP_3) | instskip(SKIP_1) | instid1(VALU_DEP_2)
	v_dual_mul_f32 v4, s4, v4 :: v_dual_mul_f32 v3, s4, v3
	s_wait_dscnt 0x3
	v_fmac_f32_e32 v47, v24, v14
	s_delay_alu instid0(VALU_DEP_3)
	v_fmac_f32_e32 v46, v84, v11
	s_wait_loadcnt 0x29
	v_cvt_pk_f32_fp8_e32 v[11:12], v1
	ds_load_b128 v[82:85], v39 offset:224
	ds_load_b128 v[90:93], v39 offset:240
	;; [unrolled: 1-line block ×4, first 2 shown]
	v_dual_fmac_f32 v47, v26, v4 :: v_dual_fmac_f32 v46, v23, v13
	v_mul_f32_e32 v15, s4, v11
	s_wait_loadcnt 0x28
	v_cvt_pk_f32_fp8_e32 v[13:14], v2
	s_wait_loadcnt 0x27
	v_cvt_pk_f32_fp8_e32 v[10:11], v10
	s_delay_alu instid0(VALU_DEP_1) | instskip(SKIP_1) | instid1(VALU_DEP_1)
	v_dual_mul_f32 v12, s4, v12 :: v_dual_mul_f32 v11, s4, v11
	s_wait_dscnt 0x6
	v_dual_fmac_f32 v46, v25, v3 :: v_dual_fmac_f32 v47, v87, v12
	v_mul_f32_e32 v16, s4, v13
	s_wait_loadcnt 0x26
	v_cvt_pk_f32_fp8_e32 v[12:13], v9
	v_mul_f32_e32 v14, s4, v14
	s_wait_loadcnt 0x25
	v_cvt_pk_f32_fp8_e32 v[8:9], v8
	v_fmac_f32_e32 v46, v86, v15
	s_wait_loadcnt 0x20
	v_cvt_pk_f32_fp8_e32 v[86:87], v22
	v_mul_f32_e32 v13, s4, v13
	v_fmac_f32_e32 v47, v89, v14
	v_dual_mul_f32 v10, s4, v10 :: v_dual_mul_f32 v9, s4, v9
	ds_load_b128 v[110:113], v39 offset:288
	ds_load_b128 v[1:4], v39 offset:304
	s_wait_dscnt 0x7
	v_dual_fmac_f32 v47, v95, v11 :: v_dual_fmac_f32 v46, v88, v16
	s_delay_alu instid0(VALU_DEP_1)
	v_dual_fmac_f32 v47, v13, v97 :: v_dual_fmac_f32 v46, v94, v10
	v_cvt_pk_f32_fp8_e32 v[10:11], v7
	v_mul_f32_e32 v12, s4, v12
	v_cvt_pk_f32_fp8_e32 v[6:7], v6
	s_wait_dscnt 0x6
	v_dual_fmac_f32 v47, v9, v99 :: v_dual_mul_f32 v8, s4, v8
	s_delay_alu instid0(VALU_DEP_3) | instskip(SKIP_2) | instid1(VALU_DEP_3)
	v_dual_mul_f32 v11, s4, v11 :: v_dual_fmac_f32 v46, v12, v96
	v_cvt_pk_f32_fp8_e32 v[13:14], v5
	v_dual_mul_f32 v15, s4, v7 :: v_dual_mul_f32 v16, s4, v6
	v_dual_fmac_f32 v47, v11, v101 :: v_dual_mul_f32 v10, s4, v10
	s_delay_alu instid0(VALU_DEP_3) | instskip(SKIP_1) | instid1(VALU_DEP_2)
	v_dual_mul_f32 v23, s4, v14 :: v_dual_mul_f32 v24, s4, v13
	s_wait_dscnt 0x5
	v_dual_fmac_f32 v47, v15, v83 :: v_dual_fmac_f32 v46, v8, v98
	s_delay_alu instid0(VALU_DEP_1)
	v_dual_fmac_f32 v47, v23, v85 :: v_dual_fmac_f32 v46, v10, v100
	v_mul_f32_e32 v85, s4, v87
	s_wait_loadcnt 0x19
	v_cvt_pk_f32_fp8_e32 v[100:101], v74
	s_wait_loadcnt 0x18
	v_cvt_pk_f32_fp8_e32 v[74:75], v75
	ds_load_b128 v[9:12], v39 offset:320
	ds_load_b128 v[5:8], v39 offset:336
	v_fmac_f32_e32 v46, v16, v82
	v_cvt_pk_f32_fp8_e32 v[82:83], v21
	ds_load_b128 v[17:20], v39 offset:352
	ds_load_b128 v[13:16], v39 offset:368
	v_mul_f32_e32 v83, s4, v83
	s_wait_dscnt 0x8
	s_delay_alu instid0(VALU_DEP_1)
	v_dual_fmac_f32 v47, v83, v91 :: v_dual_fmac_f32 v46, v24, v84
	v_mul_f32_e32 v84, s4, v82
	v_cvt_pk_f32_fp8_e32 v[81:82], v81
	ds_load_b128 v[25:28], v39 offset:384
	ds_load_b128 v[21:24], v39 offset:400
	v_dual_fmac_f32 v47, v85, v93 :: v_dual_mul_f32 v82, s4, v82
	v_dual_mul_f32 v81, s4, v81 :: v_dual_fmac_f32 v46, v84, v90
	v_cvt_pk_f32_fp8_e32 v[83:84], v80
	v_mul_f32_e32 v86, s4, v86
	v_cvt_pk_f32_fp8_e32 v[79:80], v79
	s_delay_alu instid0(VALU_DEP_3) | instskip(NEXT) | instid1(VALU_DEP_2)
	v_dual_mul_f32 v84, s4, v84 :: v_dual_mul_f32 v83, s4, v83
	v_mul_f32_e32 v79, s4, v79
	s_wait_dscnt 0x9
	v_fmac_f32_e32 v47, v82, v103
	v_fmac_f32_e32 v46, v86, v92
	v_dual_mul_f32 v80, s4, v80 :: v_dual_mul_f32 v103, s4, v101
	s_delay_alu instid0(VALU_DEP_2)
	v_dual_fmac_f32 v47, v84, v105 :: v_dual_fmac_f32 v46, v81, v102
	v_cvt_pk_f32_fp8_e32 v[81:82], v78
	v_cvt_pk_f32_fp8_e32 v[77:78], v77
	;; [unrolled: 1-line block ×3, first 2 shown]
	v_mul_f32_e32 v102, s4, v100
	s_wait_loadcnt 0x17
	v_cvt_pk_f32_fp8_e32 v[100:101], v73
	v_dual_mul_f32 v82, s4, v82 :: v_dual_mul_f32 v87, s4, v77
	s_wait_dscnt 0x8
	v_fmac_f32_e32 v47, v80, v107
	v_mul_f32_e32 v93, s4, v84
	v_dual_fmac_f32 v46, v83, v104 :: v_dual_mul_f32 v81, s4, v81
	v_dual_mul_f32 v92, s4, v85 :: v_dual_mul_f32 v73, s4, v75
	s_delay_alu instid0(VALU_DEP_4) | instskip(NEXT) | instid1(VALU_DEP_3)
	v_dual_mul_f32 v86, s4, v78 :: v_dual_fmac_f32 v47, v82, v109
	v_dual_fmac_f32 v46, v79, v106 :: v_dual_mul_f32 v75, s4, v100
	s_wait_dscnt 0x7
	s_delay_alu instid0(VALU_DEP_1)
	v_dual_fmac_f32 v47, v86, v111 :: v_dual_fmac_f32 v46, v81, v108
	ds_load_b128 v[76:79], v39 offset:416
	ds_load_b128 v[80:83], v39 offset:432
	v_dual_fmac_f32 v47, v92, v113 :: v_dual_fmac_f32 v46, v87, v110
	ds_load_b128 v[84:87], v39 offset:448
	ds_load_b128 v[88:91], v39 offset:464
	s_wait_dscnt 0xa
	v_dual_fmac_f32 v47, v103, v2 :: v_dual_fmac_f32 v46, v93, v112
	v_mul_f32_e32 v74, s4, v74
	ds_load_b128 v[92:95], v39 offset:480
	ds_load_b128 v[96:99], v39 offset:496
	v_dual_fmac_f32 v47, v73, v4 :: v_dual_fmac_f32 v46, v102, v1
	s_wait_loadcnt 0x16
	v_cvt_pk_f32_fp8_e32 v[1:2], v72
	v_mul_f32_e32 v72, s4, v101
	s_delay_alu instid0(VALU_DEP_2) | instskip(SKIP_1) | instid1(VALU_DEP_2)
	v_mul_f32_e32 v73, s4, v1
	s_wait_dscnt 0xb
	v_dual_fmac_f32 v47, v72, v10 :: v_dual_fmac_f32 v46, v74, v3
	s_wait_loadcnt 0x15
	v_cvt_pk_f32_fp8_e32 v[3:4], v71
	v_mul_f32_e32 v71, s4, v2
	s_wait_loadcnt 0x14
	v_cvt_pk_f32_fp8_e32 v[1:2], v70
	s_delay_alu instid0(VALU_DEP_3) | instskip(NEXT) | instid1(VALU_DEP_3)
	v_dual_fmac_f32 v46, v75, v9 :: v_dual_mul_f32 v9, s4, v4
	v_dual_mul_f32 v10, s4, v3 :: v_dual_fmac_f32 v47, v71, v12
	s_wait_loadcnt 0x13
	v_cvt_pk_f32_fp8_e32 v[3:4], v69
	s_delay_alu instid0(VALU_DEP_3)
	v_dual_fmac_f32 v46, v73, v11 :: v_dual_mul_f32 v11, s4, v2
	s_wait_dscnt 0xa
	v_dual_mul_f32 v12, s4, v1 :: v_dual_fmac_f32 v47, v9, v6
	s_wait_loadcnt 0x12
	v_cvt_pk_f32_fp8_e32 v[1:2], v68
	v_dual_fmac_f32 v46, v10, v5 :: v_dual_mul_f32 v5, s4, v4
	s_delay_alu instid0(VALU_DEP_3) | instskip(SKIP_2) | instid1(VALU_DEP_3)
	v_dual_mul_f32 v6, s4, v3 :: v_dual_fmac_f32 v47, v11, v8
	s_wait_loadcnt 0x11
	v_cvt_pk_f32_fp8_e32 v[3:4], v67
	v_dual_fmac_f32 v46, v12, v7 :: v_dual_mul_f32 v7, s4, v2
	s_wait_dscnt 0x9
	v_dual_mul_f32 v8, s4, v1 :: v_dual_fmac_f32 v47, v5, v18
	s_wait_loadcnt 0x10
	v_cvt_pk_f32_fp8_e32 v[1:2], v66
	v_dual_fmac_f32 v46, v6, v17 :: v_dual_mul_f32 v5, s4, v4
	s_delay_alu instid0(VALU_DEP_3) | instskip(SKIP_2) | instid1(VALU_DEP_3)
	v_dual_mul_f32 v6, s4, v3 :: v_dual_fmac_f32 v47, v7, v20
	s_wait_loadcnt 0xf
	v_cvt_pk_f32_fp8_e32 v[3:4], v65
	;; [unrolled: 10-line block ×5, first 2 shown]
	v_dual_fmac_f32 v46, v8, v23 :: v_dual_mul_f32 v7, s4, v2
	v_mul_f32_e32 v8, s4, v1
	s_wait_dscnt 0x5
	v_fmac_f32_e32 v47, v5, v77
	s_wait_loadcnt 0x8
	v_cvt_pk_f32_fp8_e32 v[1:2], v52
	v_fmac_f32_e32 v46, v6, v76
	v_dual_mul_f32 v5, s4, v4 :: v_dual_mul_f32 v6, s4, v3
	v_fmac_f32_e32 v47, v7, v79
	s_wait_loadcnt 0x7
	v_cvt_pk_f32_fp8_e32 v[3:4], v56
	v_fmac_f32_e32 v46, v8, v78
	v_dual_mul_f32 v7, s4, v2 :: v_dual_mul_f32 v8, s4, v1
	s_wait_dscnt 0x4
	v_fmac_f32_e32 v47, v5, v81
	s_wait_loadcnt 0x6
	v_cvt_pk_f32_fp8_e32 v[1:2], v58
	v_fmac_f32_e32 v46, v6, v80
	v_dual_mul_f32 v5, s4, v4 :: v_dual_mul_f32 v6, s4, v3
	v_fmac_f32_e32 v47, v7, v83
	s_wait_loadcnt 0x5
	v_cvt_pk_f32_fp8_e32 v[3:4], v61
	v_fmac_f32_e32 v46, v8, v82
	v_dual_mul_f32 v7, s4, v2 :: v_dual_mul_f32 v8, s4, v1
	;; [unrolled: 11-line block ×4, first 2 shown]
	s_wait_dscnt 0x1
	v_fmac_f32_e32 v47, v5, v93
	s_wait_loadcnt 0x0
	v_cvt_pk_f32_fp8_e32 v[1:2], v48
	v_fmac_f32_e32 v46, v6, v92
	v_dual_mul_f32 v4, s4, v4 :: v_dual_mul_f32 v3, s4, v3
	v_fmac_f32_e32 v47, v7, v95
	s_delay_alu instid0(VALU_DEP_4) | instskip(SKIP_2) | instid1(VALU_DEP_3)
	v_dual_mul_f32 v1, s4, v1 :: v_dual_mul_f32 v2, s4, v2
	v_cmp_gt_i32_e64 s4, 32, v44
	s_wait_dscnt 0x0
	v_fmac_f32_e32 v47, v4, v97
	s_delay_alu instid0(VALU_DEP_1) | instskip(NEXT) | instid1(VALU_DEP_1)
	v_dual_fmac_f32 v46, v8, v94 :: v_dual_fmac_f32 v47, v2, v99
	v_fmac_f32_e32 v46, v3, v96
	s_wait_alu 0xf1ff
	v_cndmask_b32_e64 v3, v36, v44, s4
	s_delay_alu instid0(VALU_DEP_2) | instskip(NEXT) | instid1(VALU_DEP_2)
	v_fmac_f32_e32 v46, v1, v98
	v_lshlrev_b32_e32 v2, 2, v3
	s_delay_alu instid0(VALU_DEP_2)
	v_add_f32_e32 v1, v46, v47
	ds_bpermute_b32 v2, v2, v1
	s_and_saveexec_b32 s42, s3
	s_cbranch_execz .LBB215_11
; %bb.19:                               ;   in Loop: Header=BB215_13 Depth=1
	s_wait_dscnt 0x0
	v_add_f32_e32 v1, v1, v2
	v_add_nc_u32_e32 v3, v41, v40
	s_delay_alu instid0(VALU_DEP_1) | instskip(NEXT) | instid1(VALU_DEP_1)
	v_cvt_f32_i32_e32 v3, v3
	v_mul_f32_e32 v3, s30, v3
	s_delay_alu instid0(VALU_DEP_1) | instskip(NEXT) | instid1(VALU_DEP_1)
	v_dual_cndmask_b32 v2, 0, v3 :: v_dual_max_num_f32 v3, v38, v38
	v_dual_fmac_f32 v2, s7, v1 :: v_dual_add_nc_u32 v1, v37, v40
	s_delay_alu instid0(VALU_DEP_1) | instskip(NEXT) | instid1(VALU_DEP_2)
	v_max_num_f32_e32 v3, v3, v2
	v_cmp_gt_i32_e64 s4, s34, v1
	s_wait_alu 0xf1ff
	s_delay_alu instid0(VALU_DEP_1) | instskip(NEXT) | instid1(VALU_DEP_3)
	v_cndmask_b32_e64 v1, 0, v2, s4
	v_cndmask_b32_e64 v38, v38, v3, s4
	ds_store_b32 v42, v1
	s_branch .LBB215_11
.LBB215_20:
	s_or_b32 exec_lo, exec_lo, s40
.LBB215_21:
	s_delay_alu instid0(SALU_CYCLE_1)
	s_or_b32 exec_lo, exec_lo, s6
	v_xor_b32_e32 v1, 16, v36
	v_xor_b32_e32 v3, 8, v36
	;; [unrolled: 1-line block ×4, first 2 shown]
	s_clause 0x2
	s_load_b128 s[4:7], s[0:1], 0x0
	s_load_b64 s[8:9], s[0:1], 0x10
	s_load_b64 s[30:31], s[0:1], 0x28
	v_cmp_gt_i32_e32 vcc_lo, 32, v1
	v_dual_max_num_f32 v4, v38, v38 :: v_dual_and_b32 v11, 31, v0
	s_wait_alu 0xfffd
	v_cndmask_b32_e32 v1, v36, v1, vcc_lo
	v_cmp_gt_i32_e32 vcc_lo, 32, v3
	s_wait_dscnt 0x0
	s_wait_alu 0xfffd
	s_delay_alu instid0(VALU_DEP_2)
	v_dual_cndmask_b32 v3, v36, v3 :: v_dual_lshlrev_b32 v2, 2, v1
	v_cmp_gt_i32_e32 vcc_lo, 32, v5
	ds_bpermute_b32 v1, v2, v38
	v_lshlrev_b32_e32 v3, 2, v3
	s_wait_alu 0xfffd
	v_cndmask_b32_e32 v5, v36, v5, vcc_lo
	v_cmp_gt_i32_e32 vcc_lo, 32, v6
	s_wait_alu 0xfffd
	s_delay_alu instid0(VALU_DEP_2) | instskip(SKIP_1) | instid1(VALU_DEP_2)
	v_dual_cndmask_b32 v6, v36, v6 :: v_dual_lshlrev_b32 v5, 2, v5
	v_cmp_eq_u32_e32 vcc_lo, 0, v11
	v_lshlrev_b32_e32 v12, 2, v6
	v_lshlrev_b32_e32 v6, 2, v185
	s_wait_dscnt 0x0
	v_max_num_f32_e32 v1, v1, v1
	s_delay_alu instid0(VALU_DEP_1) | instskip(SKIP_3) | instid1(VALU_DEP_1)
	v_max_num_f32_e32 v1, v4, v1
	ds_bpermute_b32 v4, v3, v1
	s_wait_dscnt 0x0
	v_max_num_f32_e32 v4, v4, v4
	v_max_num_f32_e32 v1, v1, v4
	ds_bpermute_b32 v4, v5, v1
	s_wait_dscnt 0x0
	v_max_num_f32_e32 v4, v4, v4
	s_delay_alu instid0(VALU_DEP_1)
	v_max_num_f32_e32 v1, v1, v4
	ds_bpermute_b32 v4, v12, v1
	s_and_saveexec_b32 s0, vcc_lo
	s_cbranch_execz .LBB215_23
; %bb.22:
	s_wait_dscnt 0x0
	v_dual_max_num_f32 v4, v4, v4 :: v_dual_max_num_f32 v1, v1, v1
	s_delay_alu instid0(VALU_DEP_1)
	v_max_num_f32_e32 v1, v1, v4
	ds_store_b32 v6, v1 offset:1024
.LBB215_23:
	s_or_b32 exec_lo, exec_lo, s0
	v_cmp_gt_u32_e64 s0, 4, v11
	v_mov_b32_e32 v1, 0xff7fffff
	v_lshlrev_b32_e32 v7, 2, v11
	s_wait_loadcnt_dscnt 0x0
	s_barrier_signal -1
	s_barrier_wait -1
	global_inv scope:SCOPE_SE
	s_and_saveexec_b32 s1, s0
; %bb.24:
	ds_load_b32 v1, v7 offset:1024
; %bb.25:
	s_or_b32 exec_lo, exec_lo, s1
	s_wait_dscnt 0x0
	ds_bpermute_b32 v4, v12, v1
	v_xor_b32_e32 v8, 1, v36
	v_max_num_f32_e32 v1, v1, v1
	s_delay_alu instid0(VALU_DEP_2) | instskip(NEXT) | instid1(VALU_DEP_1)
	v_cmp_gt_i32_e64 s1, 32, v8
	v_cndmask_b32_e64 v8, v36, v8, s1
	s_sub_co_i32 s1, s23, s39
	s_wait_alu 0xfffe
	s_lshl_b32 s1, s1, 4
	s_delay_alu instid0(VALU_DEP_1)
	v_dual_mov_b32 v8, 0 :: v_dual_lshlrev_b32 v13, 2, v8
	s_wait_alu 0xfffe
	s_add_co_i32 s1, s1, s36
	s_wait_alu 0xfffe
	s_min_i32 s1, s1, s34
	s_wait_dscnt 0x0
	v_max_num_f32_e32 v4, v4, v4
	s_wait_alu 0xfffe
	s_sub_co_i32 s18, s1, s36
	s_wait_alu 0xfffe
	v_cmp_gt_i32_e64 s1, s18, v0
	v_max_num_f32_e32 v1, v1, v4
	ds_bpermute_b32 v4, v13, v1
	s_wait_dscnt 0x0
	v_max_num_f32_e32 v4, v4, v4
	s_delay_alu instid0(VALU_DEP_1)
	v_max_num_f32_e32 v1, v1, v4
	v_lshl_add_u32 v4, v0, 2, 0x420
	ds_bpermute_b32 v1, v8, v1
	s_and_saveexec_b32 s29, s1
	s_cbranch_execz .LBB215_29
; %bb.26:
	v_lshl_add_u32 v9, v0, 2, 0x420
	v_mov_b32_e32 v8, 0
	v_mov_b32_e32 v10, v0
	s_mov_b32 s36, 0
.LBB215_27:                             ; =>This Inner Loop Header: Depth=1
	ds_load_b32 v14, v9
	v_add_nc_u32_e32 v10, 0x80, v10
	s_delay_alu instid0(VALU_DEP_1) | instskip(SKIP_4) | instid1(VALU_DEP_1)
	v_cmp_le_i32_e64 s3, s18, v10
	s_wait_alu 0xfffe
	s_or_b32 s36, s3, s36
	s_wait_dscnt 0x0
	v_sub_f32_e32 v14, v14, v1
	v_mul_f32_e32 v14, 0x3fb8aa3b, v14
	s_delay_alu instid0(VALU_DEP_1)
	v_exp_f32_e32 v14, v14
	ds_store_b32 v9, v14
	v_dual_add_f32 v8, v8, v14 :: v_dual_add_nc_u32 v9, 0x200, v9
	s_wait_alu 0xfffe
	s_and_not1_b32 exec_lo, exec_lo, s36
	s_cbranch_execnz .LBB215_27
; %bb.28:
	s_or_b32 exec_lo, exec_lo, s36
.LBB215_29:
	s_wait_alu 0xfffe
	s_or_b32 exec_lo, exec_lo, s29
	ds_bpermute_b32 v2, v2, v8
	s_wait_dscnt 0x0
	v_add_f32_e32 v2, v8, v2
	ds_bpermute_b32 v3, v3, v2
	s_wait_dscnt 0x0
	v_add_f32_e32 v2, v2, v3
	;; [unrolled: 3-line block ×5, first 2 shown]
	s_and_saveexec_b32 s3, vcc_lo
; %bb.30:
	ds_store_b32 v6, v2 offset:1040
; %bb.31:
	s_wait_alu 0xfffe
	s_or_b32 exec_lo, exec_lo, s3
	s_wait_loadcnt_dscnt 0x0
	s_barrier_signal -1
	s_barrier_wait -1
	global_inv scope:SCOPE_SE
	s_and_saveexec_b32 s3, s0
; %bb.32:
	ds_load_b32 v2, v7 offset:1040
; %bb.33:
	s_wait_alu 0xfffe
	s_or_b32 exec_lo, exec_lo, s3
	s_wait_dscnt 0x0
	ds_bpermute_b32 v3, v12, v2
	s_wait_dscnt 0x0
	v_add_f32_e32 v2, v2, v3
	ds_bpermute_b32 v3, v13, v2
	s_wait_dscnt 0x0
	v_dual_add_f32 v2, v2, v3 :: v_dual_mov_b32 v3, 0
	ds_bpermute_b32 v2, v3, v2
	s_and_saveexec_b32 s0, s1
	s_cbranch_execz .LBB215_36
; %bb.34:
	s_wait_dscnt 0x0
	v_add_f32_e32 v3, 0x358637bd, v2
	s_mov_b32 s1, 0
	s_delay_alu instid0(VALU_DEP_1) | instskip(SKIP_1) | instid1(VALU_DEP_2)
	v_div_scale_f32 v5, null, v3, v3, 1.0
	v_div_scale_f32 v8, vcc_lo, 1.0, v3, 1.0
	v_rcp_f32_e32 v6, v5
	s_delay_alu instid0(TRANS32_DEP_1) | instskip(NEXT) | instid1(VALU_DEP_1)
	v_fma_f32 v7, -v5, v6, 1.0
	v_fmac_f32_e32 v6, v7, v6
	s_delay_alu instid0(VALU_DEP_1) | instskip(NEXT) | instid1(VALU_DEP_1)
	v_mul_f32_e32 v7, v8, v6
	v_fma_f32 v9, -v5, v7, v8
	s_delay_alu instid0(VALU_DEP_1) | instskip(NEXT) | instid1(VALU_DEP_1)
	v_fmac_f32_e32 v7, v9, v6
	v_fma_f32 v5, -v5, v7, v8
	s_wait_alu 0xfffd
	s_delay_alu instid0(VALU_DEP_1) | instskip(NEXT) | instid1(VALU_DEP_1)
	v_div_fmas_f32 v5, v5, v6, v7
	v_div_fixup_f32 v3, v5, v3, 1.0
	v_mov_b32_e32 v5, v0
.LBB215_35:                             ; =>This Inner Loop Header: Depth=1
	ds_load_b32 v6, v4
	s_wait_dscnt 0x0
	v_dual_mul_f32 v6, v3, v6 :: v_dual_add_nc_u32 v5, 0x80, v5
	s_delay_alu instid0(VALU_DEP_1)
	v_cmp_le_i32_e32 vcc_lo, s18, v5
	ds_store_b32 v4, v6
	v_add_nc_u32_e32 v4, 0x200, v4
	s_wait_alu 0xfffe
	s_or_b32 s1, vcc_lo, s1
	s_wait_alu 0xfffe
	s_and_not1_b32 exec_lo, exec_lo, s1
	s_cbranch_execnz .LBB215_35
.LBB215_36:
	s_wait_alu 0xfffe
	s_or_b32 exec_lo, exec_lo, s0
	s_mul_i32 s0, s12, s19
	s_wait_loadcnt_dscnt 0x0
	s_wait_alu 0xfffe
	s_mul_i32 s18, s0, s35
	s_mov_b32 s0, exec_lo
	s_barrier_signal -1
	s_barrier_wait -1
	global_inv scope:SCOPE_SE
	v_cmpx_eq_u32_e32 0, v0
	s_cbranch_execz .LBB215_38
; %bb.37:
	s_wait_alu 0xfffe
	s_ashr_i32 s19, s18, 31
	s_mul_i32 s40, s12, ttmp9
	s_lshl_b32 s1, s33, 2
	s_wait_alu 0xfffe
	s_lshl_b64 s[42:43], s[18:19], 2
	s_ashr_i32 s41, s40, 31
	v_mov_b32_e32 v3, s1
	s_wait_kmcnt 0x0
	s_wait_alu 0xfffe
	s_add_nc_u64 s[6:7], s[6:7], s[42:43]
	s_lshl_b64 s[40:41], s[40:41], 2
	s_add_nc_u64 s[4:5], s[4:5], s[42:43]
	s_wait_alu 0xfffe
	s_add_nc_u64 s[6:7], s[6:7], s[40:41]
	s_add_nc_u64 s[4:5], s[4:5], s[40:41]
	s_clause 0x1
	global_store_b32 v3, v1, s[6:7]
	global_store_b32 v3, v2, s[4:5]
.LBB215_38:
	s_wait_alu 0xfffe
	s_or_b32 exec_lo, exec_lo, s0
	v_dual_mov_b32 v48, 0 :: v_dual_mov_b32 v49, 0
	v_dual_mov_b32 v47, 0 :: v_dual_and_b32 v184, 3, v0
	v_dual_mov_b32 v46, 0 :: v_dual_mov_b32 v45, 0
	v_dual_mov_b32 v44, 0 :: v_dual_mov_b32 v43, 0
	;; [unrolled: 1-line block ×14, first 2 shown]
	v_mov_b32_e32 v16, 0
	s_and_saveexec_b32 s1, s2
	s_cbranch_execz .LBB215_108
; %bb.39:
	s_wait_kmcnt 0x0
	s_abs_i32 s4, s14
	v_dual_mov_b32 v17, 0 :: v_dual_lshlrev_b32 v2, 4, v184
	s_wait_alu 0xfffe
	s_cvt_f32_u32 s0, s4
	s_lshl_b64 s[26:27], s[26:27], 2
	s_sub_co_i32 s5, s38, s13
	s_add_nc_u64 s[24:25], s[24:25], s[26:27]
	s_wait_alu 0xfffe
	v_rcp_iflag_f32_e32 v1, s0
	s_sub_co_i32 s13, 0, s4
	v_add_co_u32 v5, s14, s24, v53
	v_dual_mov_b32 v16, 0 :: v_dual_and_b32 v51, 12, v50
	v_dual_mov_b32 v15, 0 :: v_dual_and_b32 v52, 0x7c, v50
	v_or_b32_e32 v50, 0xf80, v50
	v_dual_mov_b32 v18, 0 :: v_dual_mov_b32 v19, 0
	s_delay_alu instid0(TRANS32_DEP_1)
	v_readfirstlane_b32 s0, v1
	v_lshl_or_b32 v1, v185, 6, v2
	s_wait_alu 0xf1ff
	v_add_co_ci_u32_e64 v6, null, s25, 0, s14
	v_mov_b32_e32 v20, 0
	s_mul_f32 s0, s0, 0x4f7ffffe
	v_add_nc_u32_e32 v53, 0x420, v1
	v_dual_mov_b32 v21, 0 :: v_dual_mov_b32 v22, 0
	s_wait_alu 0xfffe
	s_cvt_u32_f32 s0, s0
	v_dual_mov_b32 v23, 0 :: v_dual_mov_b32 v24, 0
	v_dual_mov_b32 v25, 0 :: v_dual_mov_b32 v26, 0
	s_wait_alu 0xfffe
	s_mul_i32 s13, s13, s0
	v_dual_mov_b32 v27, 0 :: v_dual_mov_b32 v28, 0
	v_dual_mov_b32 v29, 0 :: v_dual_mov_b32 v30, 0
	;; [unrolled: 1-line block ×10, first 2 shown]
	s_ashr_i32 s29, s28, 31
	s_mul_hi_u32 s14, s0, s13
	s_mov_b32 s6, s17
	s_add_co_i32 s7, s37, -1
	s_wait_alu 0xfffe
	s_add_nc_u64 s[2:3], s[30:31], s[28:29]
	s_mov_b32 s13, 0
	s_add_co_i32 s14, s0, s14
	s_branch .LBB215_42
.LBB215_40:                             ;   in Loop: Header=BB215_42 Depth=1
	s_wait_alu 0xfffe
	s_or_b32 exec_lo, exec_lo, s0
	s_wait_dscnt 0x0
	v_mul_f32_e32 v33, v1, v179
	v_mul_f32_e32 v14, v1, v181
	;; [unrolled: 1-line block ×5, first 2 shown]
	v_fmac_f32_e32 v33, v2, v176
	v_dual_fmac_f32 v14, v2, v180 :: v_dual_mul_f32 v85, v1, v173
	v_dual_mul_f32 v86, v1, v170 :: v_dual_fmac_f32 v77, v2, v76
	s_delay_alu instid0(VALU_DEP_3) | instskip(NEXT) | instid1(VALU_DEP_3)
	v_fmac_f32_e32 v33, v3, v175
	v_dual_mul_f32 v87, v1, v165 :: v_dual_fmac_f32 v14, v3, v178
	s_delay_alu instid0(VALU_DEP_4) | instskip(NEXT) | instid1(VALU_DEP_4)
	v_dual_mul_f32 v88, v1, v161 :: v_dual_fmac_f32 v85, v2, v172
	v_dual_mul_f32 v157, v1, v157 :: v_dual_fmac_f32 v86, v2, v168
	s_delay_alu instid0(VALU_DEP_3) | instskip(NEXT) | instid1(VALU_DEP_3)
	v_dual_fmac_f32 v87, v2, v164 :: v_dual_fmac_f32 v14, v4, v177
	v_dual_fmac_f32 v33, v4, v174 :: v_dual_fmac_f32 v88, v2, v160
	s_delay_alu instid0(VALU_DEP_3) | instskip(NEXT) | instid1(VALU_DEP_3)
	v_dual_fmac_f32 v157, v2, v156 :: v_dual_fmac_f32 v86, v3, v167
	v_dual_fmac_f32 v85, v3, v171 :: v_dual_add_f32 v16, v16, v14
	s_delay_alu instid0(VALU_DEP_3) | instskip(SKIP_3) | instid1(VALU_DEP_3)
	v_dual_add_f32 v17, v17, v33 :: v_dual_fmac_f32 v88, v3, v159
	v_mul_f32_e32 v33, v1, v149
	v_mul_f32_e32 v14, v1, v153
	v_dual_fmac_f32 v86, v4, v166 :: v_dual_fmac_f32 v87, v3, v163
	v_dual_fmac_f32 v88, v4, v158 :: v_dual_fmac_f32 v33, v2, v148
	s_delay_alu instid0(VALU_DEP_3) | instskip(SKIP_1) | instid1(VALU_DEP_4)
	v_dual_fmac_f32 v85, v4, v169 :: v_dual_fmac_f32 v14, v2, v152
	v_fmac_f32_e32 v157, v3, v155
	v_dual_add_f32 v19, v19, v86 :: v_dual_mul_f32 v86, v1, v141
	s_delay_alu instid0(VALU_DEP_3) | instskip(NEXT) | instid1(VALU_DEP_3)
	v_dual_add_f32 v18, v18, v85 :: v_dual_add_f32 v21, v21, v88
	v_dual_fmac_f32 v14, v3, v151 :: v_dual_fmac_f32 v157, v4, v154
	s_delay_alu instid0(VALU_DEP_3) | instskip(NEXT) | instid1(VALU_DEP_2)
	v_dual_fmac_f32 v87, v4, v162 :: v_dual_fmac_f32 v86, v2, v140
	v_dual_mul_f32 v85, v1, v145 :: v_dual_fmac_f32 v14, v4, v150
	s_delay_alu instid0(VALU_DEP_3) | instskip(NEXT) | instid1(VALU_DEP_3)
	v_add_f32_e32 v22, v22, v157
	v_dual_add_f32 v20, v20, v87 :: v_dual_mul_f32 v87, v1, v137
	s_delay_alu instid0(VALU_DEP_3) | instskip(NEXT) | instid1(VALU_DEP_4)
	v_dual_fmac_f32 v86, v3, v139 :: v_dual_fmac_f32 v85, v2, v144
	v_dual_add_f32 v23, v23, v14 :: v_dual_mul_f32 v14, v1, v133
	s_delay_alu instid0(VALU_DEP_2) | instskip(SKIP_1) | instid1(VALU_DEP_3)
	v_dual_fmac_f32 v77, v3, v75 :: v_dual_fmac_f32 v86, v4, v138
	v_fmac_f32_e32 v33, v3, v147
	v_dual_fmac_f32 v85, v3, v143 :: v_dual_fmac_f32 v14, v2, v132
	s_delay_alu instid0(VALU_DEP_3) | instskip(NEXT) | instid1(VALU_DEP_4)
	v_fmac_f32_e32 v77, v4, v74
	v_add_f32_e32 v26, v26, v86
	s_delay_alu instid0(VALU_DEP_4) | instskip(SKIP_2) | instid1(VALU_DEP_2)
	v_fmac_f32_e32 v33, v4, v146
	v_dual_fmac_f32 v87, v2, v136 :: v_dual_mul_f32 v86, v1, v121
	v_dual_fmac_f32 v85, v4, v142 :: v_dual_fmac_f32 v14, v3, v131
	v_dual_add_f32 v24, v24, v33 :: v_dual_fmac_f32 v87, v3, v135
	s_delay_alu instid0(VALU_DEP_2) | instskip(NEXT) | instid1(VALU_DEP_3)
	v_dual_fmac_f32 v86, v2, v120 :: v_dual_add_f32 v25, v25, v85
	v_dual_fmac_f32 v14, v4, v130 :: v_dual_mul_f32 v85, v1, v125
	s_delay_alu instid0(VALU_DEP_2) | instskip(NEXT) | instid1(VALU_DEP_2)
	v_dual_fmac_f32 v87, v4, v134 :: v_dual_fmac_f32 v86, v3, v119
	v_dual_mul_f32 v33, v1, v129 :: v_dual_add_f32 v28, v28, v14
	s_delay_alu instid0(VALU_DEP_3) | instskip(NEXT) | instid1(VALU_DEP_3)
	v_dual_fmac_f32 v85, v2, v124 :: v_dual_mul_f32 v14, v1, v113
	v_add_f32_e32 v27, v27, v87
	s_delay_alu instid0(VALU_DEP_4) | instskip(SKIP_1) | instid1(VALU_DEP_4)
	v_dual_mul_f32 v87, v1, v117 :: v_dual_fmac_f32 v86, v4, v118
	v_fmac_f32_e32 v57, v2, v56
	v_dual_fmac_f32 v14, v2, v112 :: v_dual_mul_f32 v73, v1, v73
	s_delay_alu instid0(VALU_DEP_3) | instskip(NEXT) | instid1(VALU_DEP_4)
	v_fmac_f32_e32 v87, v2, v116
	v_dual_add_f32 v31, v31, v86 :: v_dual_mul_f32 v86, v1, v101
	s_delay_alu instid0(VALU_DEP_4) | instskip(SKIP_1) | instid1(VALU_DEP_4)
	v_fmac_f32_e32 v57, v3, v55
	v_mul_f32_e32 v61, v1, v61
	v_fmac_f32_e32 v87, v3, v115
	v_fmac_f32_e32 v81, v2, v80
	s_delay_alu instid0(VALU_DEP_4) | instskip(SKIP_1) | instid1(VALU_DEP_4)
	v_dual_fmac_f32 v86, v2, v100 :: v_dual_fmac_f32 v57, v4, v54
	v_fmac_f32_e32 v73, v2, v72
	v_fmac_f32_e32 v87, v4, v114
	v_dual_fmac_f32 v33, v2, v128 :: v_dual_fmac_f32 v14, v3, v111
	v_fmac_f32_e32 v85, v3, v123
	s_delay_alu instid0(VALU_DEP_3) | instskip(NEXT) | instid1(VALU_DEP_3)
	v_dual_fmac_f32 v61, v2, v60 :: v_dual_add_f32 v32, v32, v87
	v_fmac_f32_e32 v33, v3, v127
	v_fmac_f32_e32 v86, v3, v99
	;; [unrolled: 1-line block ×7, first 2 shown]
	v_add_f32_e32 v36, v36, v14
	v_dual_add_f32 v30, v30, v85 :: v_dual_fmac_f32 v73, v3, v71
	s_delay_alu instid0(VALU_DEP_4) | instskip(NEXT) | instid1(VALU_DEP_4)
	v_add_f32_e32 v29, v29, v33
	v_dual_add_f32 v39, v39, v86 :: v_dual_mul_f32 v14, v1, v93
	v_mul_f32_e32 v33, v1, v109
	v_fmac_f32_e32 v61, v3, v59
	v_fmac_f32_e32 v81, v4, v78
	v_add_f32_e32 v44, v44, v77
	v_dual_fmac_f32 v14, v2, v92 :: v_dual_mul_f32 v85, v1, v105
	v_fmac_f32_e32 v33, v2, v108
	v_fmac_f32_e32 v73, v4, v70
	s_delay_alu instid0(VALU_DEP_3) | instskip(SKIP_3) | instid1(VALU_DEP_4)
	v_dual_fmac_f32 v61, v4, v58 :: v_dual_fmac_f32 v14, v3, v91
	v_mul_f32_e32 v87, v1, v97
	v_fmac_f32_e32 v85, v2, v104
	v_add_f32_e32 v43, v43, v81
	v_dual_add_f32 v45, v45, v73 :: v_dual_fmac_f32 v14, v4, v90
	v_add_f32_e32 v49, v49, v61
	s_delay_alu instid0(VALU_DEP_2) | instskip(SKIP_1) | instid1(VALU_DEP_1)
	v_dual_add_f32 v48, v48, v57 :: v_dual_add_f32 v41, v41, v14
	v_dual_mul_f32 v14, v1, v69 :: v_dual_fmac_f32 v33, v3, v107
	v_fmac_f32_e32 v14, v2, v68
	v_fmac_f32_e32 v87, v2, v96
	s_delay_alu instid0(VALU_DEP_2) | instskip(NEXT) | instid1(VALU_DEP_1)
	v_dual_fmac_f32 v33, v4, v106 :: v_dual_fmac_f32 v14, v3, v67
	v_dual_fmac_f32 v87, v3, v95 :: v_dual_fmac_f32 v14, v4, v66
	s_delay_alu instid0(VALU_DEP_2) | instskip(SKIP_1) | instid1(VALU_DEP_3)
	v_add_f32_e32 v37, v37, v33
	v_mul_f32_e32 v33, v1, v89
	v_fmac_f32_e32 v87, v4, v94
	s_delay_alu instid0(VALU_DEP_4) | instskip(NEXT) | instid1(VALU_DEP_2)
	v_add_f32_e32 v46, v46, v14
	v_dual_fmac_f32 v33, v2, v84 :: v_dual_add_f32 v40, v40, v87
	s_delay_alu instid0(VALU_DEP_1) | instskip(NEXT) | instid1(VALU_DEP_1)
	v_fmac_f32_e32 v33, v3, v83
	v_fmac_f32_e32 v33, v4, v82
	s_delay_alu instid0(VALU_DEP_1) | instskip(SKIP_2) | instid1(VALU_DEP_3)
	v_dual_fmac_f32 v85, v3, v103 :: v_dual_add_f32 v42, v42, v33
	v_mul_f32_e32 v33, v1, v65
	v_mul_f32_e32 v1, v1, v10
	v_fmac_f32_e32 v85, v4, v102
	s_delay_alu instid0(VALU_DEP_3) | instskip(NEXT) | instid1(VALU_DEP_3)
	v_fmac_f32_e32 v33, v2, v64
	v_fmac_f32_e32 v1, v2, v9
	s_delay_alu instid0(VALU_DEP_2) | instskip(NEXT) | instid1(VALU_DEP_2)
	v_dual_add_f32 v38, v38, v85 :: v_dual_fmac_f32 v33, v3, v63
	v_fmac_f32_e32 v1, v3, v8
	s_delay_alu instid0(VALU_DEP_2) | instskip(NEXT) | instid1(VALU_DEP_2)
	v_fmac_f32_e32 v33, v4, v62
	v_fmac_f32_e32 v1, v4, v7
	s_delay_alu instid0(VALU_DEP_2) | instskip(NEXT) | instid1(VALU_DEP_2)
	v_add_f32_e32 v47, v47, v33
	v_add_f32_e32 v15, v15, v1
.LBB215_41:                             ;   in Loop: Header=BB215_42 Depth=1
	s_wait_alu 0xfffe
	s_or_b32 exec_lo, exec_lo, s17
	v_add_nc_u32_e32 v35, 4, v35
	v_add_co_u32 v5, s0, v5, 16
	s_wait_alu 0xf1ff
	v_add_co_ci_u32_e64 v6, null, 0, v6, s0
	s_delay_alu instid0(VALU_DEP_3) | instskip(SKIP_3) | instid1(SALU_CYCLE_1)
	v_cmp_le_i32_e32 vcc_lo, s23, v35
	v_add_nc_u32_e32 v34, 64, v34
	v_add_nc_u32_e32 v53, 0x100, v53
	s_or_b32 s13, vcc_lo, s13
	s_and_not1_b32 exec_lo, exec_lo, s13
	s_cbranch_execz .LBB215_107
.LBB215_42:                             ; =>This Inner Loop Header: Depth=1
	v_sub_nc_u32_e32 v1, 0, v34
	s_delay_alu instid0(VALU_DEP_1) | instskip(NEXT) | instid1(VALU_DEP_1)
	v_max_i32_e32 v1, v34, v1
	v_mul_hi_u32 v2, v1, s22
	s_delay_alu instid0(VALU_DEP_1) | instskip(NEXT) | instid1(VALU_DEP_1)
	v_mul_lo_u32 v3, v2, s16
	v_sub_nc_u32_e32 v1, v1, v3
	v_add_nc_u32_e32 v3, 1, v2
	s_delay_alu instid0(VALU_DEP_2) | instskip(SKIP_2) | instid1(VALU_DEP_2)
	v_subrev_nc_u32_e32 v4, s16, v1
	v_cmp_le_u32_e32 vcc_lo, s16, v1
	s_wait_alu 0xfffd
	v_dual_cndmask_b32 v2, v2, v3 :: v_dual_cndmask_b32 v1, v1, v4
	v_ashrrev_i32_e32 v3, 31, v34
	s_delay_alu instid0(VALU_DEP_2) | instskip(NEXT) | instid1(VALU_DEP_3)
	v_add_nc_u32_e32 v4, 1, v2
	v_cmp_le_u32_e32 vcc_lo, s16, v1
	s_delay_alu instid0(VALU_DEP_3) | instskip(SKIP_1) | instid1(VALU_DEP_3)
	v_xor_b32_e32 v3, s15, v3
	s_wait_alu 0xfffd
	v_cndmask_b32_e32 v1, v2, v4, vcc_lo
	s_delay_alu instid0(VALU_DEP_1) | instskip(NEXT) | instid1(VALU_DEP_1)
	v_xor_b32_e32 v1, v1, v3
	v_sub_nc_u32_e32 v1, v1, v3
	s_delay_alu instid0(VALU_DEP_1) | instskip(SKIP_1) | instid1(VALU_DEP_2)
	v_add_nc_u32_e32 v2, s21, v1
	v_cmp_lt_i32_e64 s0, s5, v1
	v_sub_nc_u32_e32 v3, 0, v2
	s_delay_alu instid0(VALU_DEP_1) | instskip(SKIP_1) | instid1(VALU_DEP_1)
	v_max_i32_e32 v3, v2, v3
	s_wait_alu 0xfffe
	v_mul_hi_u32 v4, v3, s14
	s_delay_alu instid0(VALU_DEP_1) | instskip(NEXT) | instid1(VALU_DEP_1)
	v_mul_lo_u32 v4, v4, s4
	v_sub_nc_u32_e32 v3, v3, v4
	s_delay_alu instid0(VALU_DEP_1) | instskip(SKIP_2) | instid1(VALU_DEP_2)
	v_subrev_nc_u32_e32 v4, s4, v3
	v_cmp_le_u32_e32 vcc_lo, s4, v3
	s_wait_alu 0xfffd
	v_cndmask_b32_e32 v3, v3, v4, vcc_lo
	v_ashrrev_i32_e32 v2, 31, v2
	s_delay_alu instid0(VALU_DEP_2) | instskip(SKIP_2) | instid1(VALU_DEP_2)
	v_subrev_nc_u32_e32 v4, s4, v3
	v_cmp_le_u32_e32 vcc_lo, s4, v3
	s_wait_alu 0xfffd
	v_cndmask_b32_e32 v3, v3, v4, vcc_lo
	s_delay_alu instid0(VALU_DEP_1) | instskip(NEXT) | instid1(VALU_DEP_1)
	v_xor_b32_e32 v3, v3, v2
	v_sub_nc_u32_e32 v2, v3, v2
	s_delay_alu instid0(VALU_DEP_1)
	v_cmp_eq_u32_e32 vcc_lo, 0, v2
	s_or_b32 s0, vcc_lo, s0
	s_wait_alu 0xfffe
	s_and_saveexec_b32 s17, s0
	s_cbranch_execz .LBB215_41
; %bb.43:                               ;   in Loop: Header=BB215_42 Depth=1
	global_load_b32 v1, v[5:6], off
	s_load_b32 s19, s[10:11], 0x0
	s_wait_loadcnt 0x0
	v_mad_co_i64_i32 v[7:8], null, v1, s6, s[2:3]
	ds_load_b128 v[1:4], v53
	v_add_co_u32 v9, vcc_lo, v7, v52
	s_wait_alu 0xfffd
	v_add_co_ci_u32_e64 v10, null, 0, v8, vcc_lo
	v_cmp_eq_u32_e32 vcc_lo, s7, v35
	global_load_b32 v54, v[9:10], off
	s_wait_loadcnt 0x0
	v_lshrrev_b32_e32 v56, 16, v54
	s_delay_alu instid0(VALU_DEP_1) | instskip(SKIP_1) | instid1(VALU_DEP_1)
	v_cvt_pk_f32_fp8_e32 v[58:59], v56
	v_and_b32_e32 v55, 0xffff, v54
	v_cvt_pk_f32_fp8_e32 v[54:55], v55
	s_wait_kmcnt 0x0
	s_delay_alu instid0(VALU_DEP_1) | instskip(NEXT) | instid1(VALU_DEP_1)
	v_dual_mul_f32 v56, s19, v55 :: v_dual_add_nc_u32 v85, v51, v34
	v_add_nc_u32_e32 v87, 1, v85
	s_delay_alu instid0(VALU_DEP_3)
	v_dual_mul_f32 v57, s19, v54 :: v_dual_add_nc_u32 v86, 2, v85
	v_dual_mul_f32 v55, s19, v58 :: v_dual_add_nc_u32 v88, 3, v85
	v_mul_f32_e32 v54, s19, v59
	s_and_saveexec_b32 s24, vcc_lo
	s_cbranch_execz .LBB215_45
; %bb.44:                               ;   in Loop: Header=BB215_42 Depth=1
	v_cmp_gt_i32_e64 s0, s34, v85
	s_wait_alu 0xf1ff
	s_delay_alu instid0(VALU_DEP_1) | instskip(SKIP_2) | instid1(VALU_DEP_1)
	v_cndmask_b32_e64 v57, 0, v57, s0
	v_cmp_gt_i32_e64 s0, s34, v87
	s_wait_alu 0xf1ff
	v_cndmask_b32_e64 v56, 0, v56, s0
	v_cmp_gt_i32_e64 s0, s34, v86
	s_wait_alu 0xf1ff
	s_delay_alu instid0(VALU_DEP_1) | instskip(SKIP_2) | instid1(VALU_DEP_1)
	v_cndmask_b32_e64 v55, 0, v55, s0
	v_cmp_gt_i32_e64 s0, s34, v88
	s_wait_alu 0xf1ff
	v_cndmask_b32_e64 v54, 0, v54, s0
.LBB215_45:                             ;   in Loop: Header=BB215_42 Depth=1
	s_wait_alu 0xfffe
	s_or_b32 exec_lo, exec_lo, s24
	global_load_b32 v58, v[9:10], off offset:128
	s_mov_b32 s24, s19
	s_wait_loadcnt 0x0
	v_lshrrev_b32_e32 v60, 16, v58
	s_delay_alu instid0(VALU_DEP_1) | instskip(SKIP_1) | instid1(VALU_DEP_1)
	v_cvt_pk_f32_fp8_e32 v[62:63], v60
	v_and_b32_e32 v59, 0xffff, v58
	v_cvt_pk_f32_fp8_e32 v[58:59], v59
	s_wait_alu 0xfffe
	s_delay_alu instid0(VALU_DEP_1)
	v_dual_mul_f32 v61, s19, v58 :: v_dual_mul_f32 v60, s24, v59
	v_dual_mul_f32 v59, s19, v62 :: v_dual_mul_f32 v58, s24, v63
	s_and_saveexec_b32 s25, vcc_lo
	s_cbranch_execz .LBB215_47
; %bb.46:                               ;   in Loop: Header=BB215_42 Depth=1
	v_cmp_gt_i32_e64 s0, s34, v85
	s_wait_alu 0xf1ff
	s_delay_alu instid0(VALU_DEP_1) | instskip(SKIP_2) | instid1(VALU_DEP_1)
	v_cndmask_b32_e64 v61, 0, v61, s0
	v_cmp_gt_i32_e64 s0, s34, v87
	s_wait_alu 0xf1ff
	v_cndmask_b32_e64 v60, 0, v60, s0
	v_cmp_gt_i32_e64 s0, s34, v86
	s_wait_alu 0xf1ff
	s_delay_alu instid0(VALU_DEP_1) | instskip(SKIP_2) | instid1(VALU_DEP_1)
	v_cndmask_b32_e64 v59, 0, v59, s0
	v_cmp_gt_i32_e64 s0, s34, v88
	s_wait_alu 0xf1ff
	v_cndmask_b32_e64 v58, 0, v58, s0
.LBB215_47:                             ;   in Loop: Header=BB215_42 Depth=1
	s_wait_alu 0xfffe
	s_or_b32 exec_lo, exec_lo, s25
	global_load_b32 v62, v[9:10], off offset:256
	s_wait_loadcnt 0x0
	v_lshrrev_b32_e32 v64, 16, v62
	s_delay_alu instid0(VALU_DEP_1) | instskip(SKIP_1) | instid1(VALU_DEP_1)
	v_cvt_pk_f32_fp8_e32 v[66:67], v64
	v_and_b32_e32 v63, 0xffff, v62
	v_cvt_pk_f32_fp8_e32 v[62:63], v63
	s_delay_alu instid0(VALU_DEP_1) | instskip(NEXT) | instid1(VALU_DEP_4)
	v_dual_mul_f32 v65, s19, v62 :: v_dual_mul_f32 v64, s24, v63
	v_dual_mul_f32 v63, s19, v66 :: v_dual_mul_f32 v62, s24, v67
	s_and_saveexec_b32 s25, vcc_lo
	s_cbranch_execz .LBB215_49
; %bb.48:                               ;   in Loop: Header=BB215_42 Depth=1
	v_cmp_gt_i32_e64 s0, s34, v85
	s_wait_alu 0xf1ff
	s_delay_alu instid0(VALU_DEP_1) | instskip(SKIP_2) | instid1(VALU_DEP_1)
	v_cndmask_b32_e64 v65, 0, v65, s0
	v_cmp_gt_i32_e64 s0, s34, v87
	s_wait_alu 0xf1ff
	v_cndmask_b32_e64 v64, 0, v64, s0
	v_cmp_gt_i32_e64 s0, s34, v86
	s_wait_alu 0xf1ff
	s_delay_alu instid0(VALU_DEP_1) | instskip(SKIP_2) | instid1(VALU_DEP_1)
	v_cndmask_b32_e64 v63, 0, v63, s0
	v_cmp_gt_i32_e64 s0, s34, v88
	s_wait_alu 0xf1ff
	v_cndmask_b32_e64 v62, 0, v62, s0
.LBB215_49:                             ;   in Loop: Header=BB215_42 Depth=1
	s_wait_alu 0xfffe
	s_or_b32 exec_lo, exec_lo, s25
	global_load_b32 v66, v[9:10], off offset:384
	s_wait_loadcnt 0x0
	v_lshrrev_b32_e32 v68, 16, v66
	s_delay_alu instid0(VALU_DEP_1) | instskip(SKIP_1) | instid1(VALU_DEP_1)
	v_cvt_pk_f32_fp8_e32 v[70:71], v68
	v_and_b32_e32 v67, 0xffff, v66
	v_cvt_pk_f32_fp8_e32 v[66:67], v67
	s_delay_alu instid0(VALU_DEP_1) | instskip(NEXT) | instid1(VALU_DEP_4)
	;; [unrolled: 30-line block ×16, first 2 shown]
	v_dual_mul_f32 v129, s19, v126 :: v_dual_mul_f32 v128, s24, v127
	v_dual_mul_f32 v127, s19, v130 :: v_dual_mul_f32 v126, s24, v131
	s_and_saveexec_b32 s25, vcc_lo
	s_cbranch_execz .LBB215_79
; %bb.78:                               ;   in Loop: Header=BB215_42 Depth=1
	v_cmp_gt_i32_e64 s0, s34, v85
	s_wait_alu 0xf1ff
	s_delay_alu instid0(VALU_DEP_1) | instskip(SKIP_2) | instid1(VALU_DEP_1)
	v_cndmask_b32_e64 v129, 0, v129, s0
	v_cmp_gt_i32_e64 s0, s34, v87
	s_wait_alu 0xf1ff
	v_cndmask_b32_e64 v128, 0, v128, s0
	v_cmp_gt_i32_e64 s0, s34, v86
	s_wait_alu 0xf1ff
	s_delay_alu instid0(VALU_DEP_1) | instskip(SKIP_2) | instid1(VALU_DEP_1)
	v_cndmask_b32_e64 v127, 0, v127, s0
	v_cmp_gt_i32_e64 s0, s34, v88
	s_wait_alu 0xf1ff
	v_cndmask_b32_e64 v126, 0, v126, s0
.LBB215_79:                             ;   in Loop: Header=BB215_42 Depth=1
	s_wait_alu 0xfffe
	s_or_b32 exec_lo, exec_lo, s25
	global_load_b32 v14, v[9:10], off offset:2304
	s_wait_loadcnt 0x0
	v_and_b32_e32 v33, 0xffff, v14
	v_lshrrev_b32_e32 v14, 16, v14
	s_delay_alu instid0(VALU_DEP_2) | instskip(NEXT) | instid1(VALU_DEP_2)
	v_cvt_pk_f32_fp8_e32 v[130:131], v33
	v_cvt_pk_f32_fp8_e32 v[134:135], v14
	s_delay_alu instid0(VALU_DEP_1) | instskip(NEXT) | instid1(VALU_DEP_2)
	v_dual_mul_f32 v133, s19, v130 :: v_dual_mul_f32 v130, s24, v135
	v_dual_mul_f32 v132, s24, v131 :: v_dual_mul_f32 v131, s19, v134
	s_and_saveexec_b32 s25, vcc_lo
	s_cbranch_execz .LBB215_81
; %bb.80:                               ;   in Loop: Header=BB215_42 Depth=1
	v_cmp_gt_i32_e64 s0, s34, v85
	s_wait_alu 0xf1ff
	s_delay_alu instid0(VALU_DEP_1) | instskip(SKIP_2) | instid1(VALU_DEP_1)
	v_cndmask_b32_e64 v133, 0, v133, s0
	v_cmp_gt_i32_e64 s0, s34, v87
	s_wait_alu 0xf1ff
	v_cndmask_b32_e64 v132, 0, v132, s0
	v_cmp_gt_i32_e64 s0, s34, v86
	s_wait_alu 0xf1ff
	s_delay_alu instid0(VALU_DEP_1) | instskip(SKIP_2) | instid1(VALU_DEP_1)
	v_cndmask_b32_e64 v131, 0, v131, s0
	v_cmp_gt_i32_e64 s0, s34, v88
	s_wait_alu 0xf1ff
	v_cndmask_b32_e64 v130, 0, v130, s0
.LBB215_81:                             ;   in Loop: Header=BB215_42 Depth=1
	s_wait_alu 0xfffe
	s_or_b32 exec_lo, exec_lo, s25
	global_load_b32 v14, v[9:10], off offset:2432
	s_wait_loadcnt 0x0
	v_and_b32_e32 v33, 0xffff, v14
	v_lshrrev_b32_e32 v14, 16, v14
	s_delay_alu instid0(VALU_DEP_2) | instskip(NEXT) | instid1(VALU_DEP_2)
	v_cvt_pk_f32_fp8_e32 v[134:135], v33
	v_cvt_pk_f32_fp8_e32 v[138:139], v14
	s_delay_alu instid0(VALU_DEP_1) | instskip(NEXT) | instid1(VALU_DEP_2)
	;; [unrolled: 30-line block ×9, first 2 shown]
	v_dual_mul_f32 v165, s19, v162 :: v_dual_mul_f32 v162, s24, v167
	v_dual_mul_f32 v164, s24, v163 :: v_dual_mul_f32 v163, s19, v166
	s_and_saveexec_b32 s25, vcc_lo
	s_cbranch_execz .LBB215_97
; %bb.96:                               ;   in Loop: Header=BB215_42 Depth=1
	v_cmp_gt_i32_e64 s0, s34, v85
	s_wait_alu 0xf1ff
	s_delay_alu instid0(VALU_DEP_1) | instskip(SKIP_2) | instid1(VALU_DEP_1)
	v_cndmask_b32_e64 v165, 0, v165, s0
	v_cmp_gt_i32_e64 s0, s34, v87
	s_wait_alu 0xf1ff
	v_cndmask_b32_e64 v164, 0, v164, s0
	v_cmp_gt_i32_e64 s0, s34, v86
	s_wait_alu 0xf1ff
	s_delay_alu instid0(VALU_DEP_1) | instskip(SKIP_2) | instid1(VALU_DEP_1)
	v_cndmask_b32_e64 v163, 0, v163, s0
	v_cmp_gt_i32_e64 s0, s34, v88
	s_wait_alu 0xf1ff
	v_cndmask_b32_e64 v162, 0, v162, s0
.LBB215_97:                             ;   in Loop: Header=BB215_42 Depth=1
	s_wait_alu 0xfffe
	s_or_b32 exec_lo, exec_lo, s25
	global_load_b32 v14, v[9:10], off offset:3456
	s_wait_loadcnt 0x0
	v_and_b32_e32 v33, 0xffff, v14
	v_lshrrev_b32_e32 v14, 16, v14
	s_delay_alu instid0(VALU_DEP_2) | instskip(NEXT) | instid1(VALU_DEP_2)
	v_cvt_pk_f32_fp8_e32 v[166:167], v33
	v_cvt_pk_f32_fp8_e32 v[171:172], v14
	s_delay_alu instid0(VALU_DEP_2) | instskip(NEXT) | instid1(VALU_DEP_3)
	v_mul_f32_e32 v170, s19, v166
	v_mul_f32_e32 v168, s24, v167
	s_delay_alu instid0(VALU_DEP_3)
	v_dual_mul_f32 v167, s19, v171 :: v_dual_mul_f32 v166, s24, v172
	s_and_saveexec_b32 s25, vcc_lo
	s_cbranch_execz .LBB215_99
; %bb.98:                               ;   in Loop: Header=BB215_42 Depth=1
	v_cmp_gt_i32_e64 s0, s34, v85
	s_wait_alu 0xf1ff
	s_delay_alu instid0(VALU_DEP_1) | instskip(SKIP_2) | instid1(VALU_DEP_1)
	v_cndmask_b32_e64 v170, 0, v170, s0
	v_cmp_gt_i32_e64 s0, s34, v87
	s_wait_alu 0xf1ff
	v_cndmask_b32_e64 v168, 0, v168, s0
	v_cmp_gt_i32_e64 s0, s34, v86
	s_wait_alu 0xf1ff
	s_delay_alu instid0(VALU_DEP_1) | instskip(SKIP_2) | instid1(VALU_DEP_1)
	v_cndmask_b32_e64 v167, 0, v167, s0
	v_cmp_gt_i32_e64 s0, s34, v88
	s_wait_alu 0xf1ff
	v_cndmask_b32_e64 v166, 0, v166, s0
.LBB215_99:                             ;   in Loop: Header=BB215_42 Depth=1
	s_wait_alu 0xfffe
	s_or_b32 exec_lo, exec_lo, s25
	global_load_b32 v14, v[9:10], off offset:3584
	s_wait_loadcnt 0x0
	v_and_b32_e32 v33, 0xffff, v14
	v_lshrrev_b32_e32 v14, 16, v14
	s_delay_alu instid0(VALU_DEP_2) | instskip(NEXT) | instid1(VALU_DEP_2)
	v_cvt_pk_f32_fp8_e32 v[171:172], v33
	v_cvt_pk_f32_fp8_e32 v[174:175], v14
	s_delay_alu instid0(VALU_DEP_2) | instskip(NEXT) | instid1(VALU_DEP_2)
	v_dual_mul_f32 v173, s19, v171 :: v_dual_mul_f32 v172, s24, v172
	v_mul_f32_e32 v171, s19, v174
	s_delay_alu instid0(VALU_DEP_3)
	v_mul_f32_e32 v169, s24, v175
	s_and_saveexec_b32 s25, vcc_lo
	s_cbranch_execz .LBB215_101
; %bb.100:                              ;   in Loop: Header=BB215_42 Depth=1
	v_cmp_gt_i32_e64 s0, s34, v85
	s_wait_alu 0xf1ff
	s_delay_alu instid0(VALU_DEP_1) | instskip(SKIP_2) | instid1(VALU_DEP_1)
	v_cndmask_b32_e64 v173, 0, v173, s0
	v_cmp_gt_i32_e64 s0, s34, v87
	s_wait_alu 0xf1ff
	v_cndmask_b32_e64 v172, 0, v172, s0
	v_cmp_gt_i32_e64 s0, s34, v86
	s_wait_alu 0xf1ff
	s_delay_alu instid0(VALU_DEP_1) | instskip(SKIP_2) | instid1(VALU_DEP_1)
	v_cndmask_b32_e64 v171, 0, v171, s0
	v_cmp_gt_i32_e64 s0, s34, v88
	s_wait_alu 0xf1ff
	v_cndmask_b32_e64 v169, 0, v169, s0
.LBB215_101:                            ;   in Loop: Header=BB215_42 Depth=1
	s_wait_alu 0xfffe
	s_or_b32 exec_lo, exec_lo, s25
	global_load_b32 v14, v[9:10], off offset:3712
	s_wait_loadcnt 0x0
	v_and_b32_e32 v33, 0xffff, v14
	v_lshrrev_b32_e32 v14, 16, v14
	s_delay_alu instid0(VALU_DEP_2) | instskip(NEXT) | instid1(VALU_DEP_2)
	v_cvt_pk_f32_fp8_e32 v[174:175], v33
	v_cvt_pk_f32_fp8_e32 v[177:178], v14
	s_delay_alu instid0(VALU_DEP_2) | instskip(NEXT) | instid1(VALU_DEP_2)
	v_dual_mul_f32 v179, s19, v174 :: v_dual_mul_f32 v176, s24, v175
	v_dual_mul_f32 v175, s19, v177 :: v_dual_mul_f32 v174, s24, v178
	s_and_saveexec_b32 s25, vcc_lo
	s_cbranch_execz .LBB215_103
; %bb.102:                              ;   in Loop: Header=BB215_42 Depth=1
	v_cmp_gt_i32_e64 s0, s34, v85
	s_wait_alu 0xf1ff
	s_delay_alu instid0(VALU_DEP_1) | instskip(SKIP_2) | instid1(VALU_DEP_1)
	v_cndmask_b32_e64 v179, 0, v179, s0
	v_cmp_gt_i32_e64 s0, s34, v87
	s_wait_alu 0xf1ff
	v_cndmask_b32_e64 v176, 0, v176, s0
	v_cmp_gt_i32_e64 s0, s34, v86
	s_wait_alu 0xf1ff
	s_delay_alu instid0(VALU_DEP_1) | instskip(SKIP_2) | instid1(VALU_DEP_1)
	v_cndmask_b32_e64 v175, 0, v175, s0
	v_cmp_gt_i32_e64 s0, s34, v88
	s_wait_alu 0xf1ff
	v_cndmask_b32_e64 v174, 0, v174, s0
.LBB215_103:                            ;   in Loop: Header=BB215_42 Depth=1
	s_wait_alu 0xfffe
	s_or_b32 exec_lo, exec_lo, s25
	global_load_b32 v9, v[9:10], off offset:3840
	s_wait_loadcnt 0x0
	v_lshrrev_b32_e32 v14, 16, v9
	s_delay_alu instid0(VALU_DEP_1) | instskip(NEXT) | instid1(VALU_DEP_1)
	v_cvt_pk_f32_fp8_e32 v[182:183], v14
	v_dual_mul_f32 v177, s24, v183 :: v_dual_and_b32 v10, 0xffff, v9
	s_delay_alu instid0(VALU_DEP_1) | instskip(NEXT) | instid1(VALU_DEP_1)
	v_cvt_pk_f32_fp8_e32 v[9:10], v10
	v_dual_mul_f32 v178, s19, v182 :: v_dual_mul_f32 v181, s19, v9
	s_delay_alu instid0(VALU_DEP_2)
	v_mul_f32_e32 v180, s24, v10
	s_and_saveexec_b32 s25, vcc_lo
	s_cbranch_execz .LBB215_105
; %bb.104:                              ;   in Loop: Header=BB215_42 Depth=1
	v_cmp_gt_i32_e64 s0, s34, v85
	s_wait_alu 0xf1ff
	s_delay_alu instid0(VALU_DEP_1) | instskip(SKIP_2) | instid1(VALU_DEP_1)
	v_cndmask_b32_e64 v181, 0, v181, s0
	v_cmp_gt_i32_e64 s0, s34, v87
	s_wait_alu 0xf1ff
	v_cndmask_b32_e64 v180, 0, v180, s0
	v_cmp_gt_i32_e64 s0, s34, v86
	s_wait_alu 0xf1ff
	s_delay_alu instid0(VALU_DEP_1) | instskip(SKIP_2) | instid1(VALU_DEP_1)
	v_cndmask_b32_e64 v178, 0, v178, s0
	v_cmp_gt_i32_e64 s0, s34, v88
	s_wait_alu 0xf1ff
	v_cndmask_b32_e64 v177, 0, v177, s0
.LBB215_105:                            ;   in Loop: Header=BB215_42 Depth=1
	s_wait_alu 0xfffe
	s_or_b32 exec_lo, exec_lo, s25
	v_add_co_u32 v7, s0, v7, v50
	s_wait_alu 0xf1ff
	v_add_co_ci_u32_e64 v8, null, 0, v8, s0
	global_load_b32 v7, v[7:8], off
	s_wait_loadcnt 0x0
	v_and_b32_e32 v8, 0xffff, v7
	v_lshrrev_b32_e32 v9, 16, v7
	s_delay_alu instid0(VALU_DEP_2) | instskip(NEXT) | instid1(VALU_DEP_2)
	v_cvt_pk_f32_fp8_e32 v[7:8], v8
	v_cvt_pk_f32_fp8_e32 v[182:183], v9
	s_delay_alu instid0(VALU_DEP_2) | instskip(NEXT) | instid1(VALU_DEP_2)
	v_dual_mul_f32 v10, s19, v7 :: v_dual_mul_f32 v9, s24, v8
	v_dual_mul_f32 v8, s19, v182 :: v_dual_mul_f32 v7, s24, v183
	s_and_saveexec_b32 s0, vcc_lo
	s_cbranch_execz .LBB215_40
; %bb.106:                              ;   in Loop: Header=BB215_42 Depth=1
	v_cmp_gt_i32_e32 vcc_lo, s34, v85
	s_wait_alu 0xfffd
	v_cndmask_b32_e32 v10, 0, v10, vcc_lo
	v_cmp_gt_i32_e32 vcc_lo, s34, v87
	s_wait_alu 0xfffd
	v_cndmask_b32_e32 v9, 0, v9, vcc_lo
	;; [unrolled: 3-line block ×4, first 2 shown]
	s_branch .LBB215_40
.LBB215_107:
	s_or_b32 exec_lo, exec_lo, s13
.LBB215_108:
	s_wait_alu 0xfffe
	s_or_b32 exec_lo, exec_lo, s1
	ds_bpermute_b32 v1, v12, v48
	ds_bpermute_b32 v2, v12, v49
	;; [unrolled: 1-line block ×17, first 2 shown]
	s_mov_b32 s0, exec_lo
	s_wait_storecnt 0x0
	s_wait_loadcnt_dscnt 0x0
	s_barrier_signal -1
	v_dual_add_f32 v1, v48, v1 :: v_dual_add_f32 v2, v49, v2
	v_add_f32_e32 v3, v47, v3
	v_dual_add_f32 v7, v43, v7 :: v_dual_add_f32 v8, v42, v8
	v_dual_add_f32 v9, v41, v9 :: v_dual_add_f32 v10, v40, v10
	v_add_f32_e32 v4, v46, v4
	ds_bpermute_b32 v41, v13, v1
	ds_bpermute_b32 v42, v13, v2
	;; [unrolled: 1-line block ×5, first 2 shown]
	v_dual_add_f32 v34, v39, v34 :: v_dual_add_f32 v35, v38, v35
	ds_bpermute_b32 v39, v13, v10
	v_dual_add_f32 v5, v45, v5 :: v_dual_add_f32 v6, v44, v6
	ds_bpermute_b32 v44, v13, v4
	ds_bpermute_b32 v38, v13, v9
	;; [unrolled: 1-line block ×5, first 2 shown]
	v_add_f32_e32 v37, v37, v50
	ds_bpermute_b32 v46, v13, v6
	v_add_f32_e32 v36, v36, v51
	v_dual_add_f32 v32, v32, v52 :: v_dual_add_f32 v31, v31, v53
	s_wait_dscnt 0xa
	v_dual_add_f32 v1, v1, v41 :: v_dual_add_f32 v2, v2, v42
	s_wait_dscnt 0x9
	v_add_f32_e32 v3, v3, v43
	s_wait_dscnt 0x7
	v_dual_add_f32 v7, v7, v47 :: v_dual_add_f32 v8, v8, v40
	ds_bpermute_b32 v41, v12, v30
	ds_bpermute_b32 v40, v12, v29
	;; [unrolled: 1-line block ×3, first 2 shown]
	s_wait_dscnt 0x9
	v_add_f32_e32 v10, v10, v39
	ds_bpermute_b32 v39, v12, v27
	ds_bpermute_b32 v43, v12, v26
	s_wait_dscnt 0x8
	v_dual_add_f32 v9, v9, v38 :: v_dual_add_f32 v34, v34, v48
	s_wait_dscnt 0x7
	v_add_f32_e32 v5, v5, v45
	s_wait_dscnt 0x6
	v_add_f32_e32 v35, v35, v49
	ds_bpermute_b32 v45, v12, v25
	ds_bpermute_b32 v48, v12, v24
	;; [unrolled: 1-line block ×4, first 2 shown]
	v_add_f32_e32 v4, v4, v44
	ds_bpermute_b32 v38, v13, v37
	ds_bpermute_b32 v44, v13, v36
	s_wait_dscnt 0xb
	v_add_f32_e32 v6, v6, v46
	ds_bpermute_b32 v46, v13, v32
	v_add_f32_e32 v54, v18, v54
	s_wait_dscnt 0xa
	v_dual_add_f32 v30, v30, v41 :: v_dual_add_f32 v29, v29, v40
	ds_bpermute_b32 v41, v12, v23
	ds_bpermute_b32 v40, v12, v22
	s_wait_dscnt 0xa
	v_dual_add_f32 v28, v28, v42 :: v_dual_add_f32 v27, v27, v39
	ds_bpermute_b32 v42, v12, v21
	ds_bpermute_b32 v39, v12, v17
	s_wait_dscnt 0xb
	v_add_f32_e32 v26, v26, v43
	ds_bpermute_b32 v43, v12, v16
	ds_bpermute_b32 v12, v12, v15
	;; [unrolled: 1-line block ×4, first 2 shown]
	s_wait_dscnt 0xd
	v_dual_add_f32 v25, v25, v45 :: v_dual_add_f32 v24, v24, v48
	s_wait_dscnt 0xc
	v_add_f32_e32 v50, v20, v50
	s_wait_dscnt 0xb
	v_add_f32_e32 v52, v19, v52
	ds_bpermute_b32 v47, v13, v31
	ds_bpermute_b32 v51, v13, v29
	;; [unrolled: 1-line block ×5, first 2 shown]
	s_wait_dscnt 0xb
	v_dual_add_f32 v41, v23, v41 :: v_dual_add_f32 v40, v22, v40
	ds_bpermute_b32 v23, v13, v25
	ds_bpermute_b32 v55, v13, v24
	s_wait_dscnt 0xc
	v_add_f32_e32 v42, v21, v42
	s_wait_dscnt 0xb
	v_add_f32_e32 v39, v17, v39
	ds_bpermute_b32 v56, v13, v41
	s_wait_dscnt 0xa
	v_dual_add_f32 v43, v16, v43 :: v_dual_add_f32 v62, v15, v12
	ds_bpermute_b32 v57, v13, v40
	ds_bpermute_b32 v58, v13, v42
	;; [unrolled: 1-line block ×3, first 2 shown]
	v_add_f32_e32 v12, v37, v38
	ds_bpermute_b32 v37, v13, v43
	v_add_f32_e32 v15, v36, v44
	ds_bpermute_b32 v61, v13, v54
	s_wait_dscnt 0xe
	v_add_f32_e32 v17, v30, v49
	ds_bpermute_b32 v59, v13, v50
	s_wait_dscnt 0xe
	v_add_f32_e32 v19, v28, v53
	ds_bpermute_b32 v36, v13, v62
	v_dual_add_f32 v13, v32, v46 :: v_dual_and_b32 v38, 28, v11
	s_wait_dscnt 0xe
	v_add_f32_e32 v16, v31, v47
	s_wait_dscnt 0xd
	v_add_f32_e32 v18, v29, v51
	s_wait_dscnt 0xb
	v_dual_add_f32 v20, v27, v45 :: v_dual_add_f32 v21, v26, v48
	s_wait_dscnt 0x9
	v_add_f32_e32 v22, v25, v23
	s_wait_dscnt 0x7
	v_dual_add_f32 v23, v24, v55 :: v_dual_add_f32 v24, v41, v56
	s_wait_dscnt 0x5
	v_dual_add_f32 v25, v40, v57 :: v_dual_add_f32 v26, v42, v58
	v_dual_add_f32 v28, v52, v60 :: v_dual_lshlrev_b32 v33, 10, v185
	s_wait_dscnt 0x4
	v_add_f32_e32 v30, v39, v63
	s_wait_dscnt 0x3
	v_add_f32_e32 v31, v43, v37
	;; [unrolled: 2-line block ×3, first 2 shown]
	v_and_b32_e32 v37, 0x3c3, v0
	s_wait_dscnt 0x1
	v_add_f32_e32 v27, v50, v59
	v_lshrrev_b32_e32 v11, 2, v11
	s_wait_dscnt 0x0
	v_add_f32_e32 v32, v62, v36
	v_add_nc_u32_e32 v36, 0x420, v38
	s_barrier_wait -1
	global_inv scope:SCOPE_SE
	v_cmpx_eq_u32_e32 64, v37
	s_cbranch_execz .LBB215_110
; %bb.109:
	v_add_nc_u32_e32 v14, v36, v33
	s_delay_alu instid0(VALU_DEP_1)
	v_add_nc_u32_e32 v37, 0xfffff800, v14
	v_add_nc_u32_e32 v38, 0xfffff820, v14
	v_add_nc_u32_e32 v39, 0xfffff840, v14
	v_add_nc_u32_e32 v40, 0xfffff860, v14
	v_add_nc_u32_e32 v41, 0xfffff880, v14
	v_add_nc_u32_e32 v42, 0xfffff8a0, v14
	v_add_nc_u32_e32 v43, 0xfffff8c0, v14
	v_add_nc_u32_e32 v44, 0xfffff8e0, v14
	ds_store_b32 v37, v1
	ds_store_b32 v38, v2
	ds_store_b32 v39, v3
	ds_store_b32 v40, v4
	ds_store_b32 v41, v5
	ds_store_b32 v42, v6
	ds_store_b32 v43, v7
	ds_store_b32 v44, v8
	v_add_nc_u32_e32 v37, 0xfffff900, v14
	v_add_nc_u32_e32 v38, 0xfffff920, v14
	v_add_nc_u32_e32 v39, 0xfffff940, v14
	v_add_nc_u32_e32 v40, 0xfffff960, v14
	v_add_nc_u32_e32 v41, 0xfffff980, v14
	v_add_nc_u32_e32 v42, 0xfffff9a0, v14
	v_add_nc_u32_e32 v43, 0xfffff9c0, v14
	v_add_nc_u32_e32 v44, 0xfffff9e0, v14
	ds_store_b32 v37, v9
	ds_store_b32 v38, v10
	ds_store_b32 v39, v34
	ds_store_b32 v40, v35
	ds_store_b32 v41, v12
	ds_store_b32 v42, v15
	ds_store_b32 v43, v13
	ds_store_b32 v44, v16
	;; [unrolled: 16-line block ×4, first 2 shown]
.LBB215_110:
	s_wait_alu 0xfffe
	s_or_b32 exec_lo, exec_lo, s0
	v_lshlrev_b32_e32 v11, 2, v11
	s_mov_b32 s1, exec_lo
	v_cmp_eq_u32_e32 vcc_lo, 0, v184
	s_wait_loadcnt_dscnt 0x0
	s_barrier_signal -1
	v_add3_u32 v11, 0x420, v33, v11
	s_barrier_wait -1
	global_inv scope:SCOPE_SE
	v_cmpx_gt_u32_e32 64, v0
	s_cbranch_execz .LBB215_145
; %bb.111:
	s_and_saveexec_b32 s0, vcc_lo
	s_cbranch_execnz .LBB215_185
; %bb.112:
	s_wait_alu 0xfffe
	s_or_b32 exec_lo, exec_lo, s0
	s_and_saveexec_b32 s0, vcc_lo
	s_cbranch_execnz .LBB215_186
.LBB215_113:
	s_wait_alu 0xfffe
	s_or_b32 exec_lo, exec_lo, s0
	s_and_saveexec_b32 s0, vcc_lo
	s_cbranch_execnz .LBB215_187
.LBB215_114:
	s_wait_alu 0xfffe
	s_or_b32 exec_lo, exec_lo, s0
	s_and_saveexec_b32 s0, vcc_lo
	s_cbranch_execnz .LBB215_188
.LBB215_115:
	s_wait_alu 0xfffe
	s_or_b32 exec_lo, exec_lo, s0
	s_and_saveexec_b32 s0, vcc_lo
	s_cbranch_execnz .LBB215_189
.LBB215_116:
	s_wait_alu 0xfffe
	s_or_b32 exec_lo, exec_lo, s0
	s_and_saveexec_b32 s0, vcc_lo
	s_cbranch_execnz .LBB215_190
.LBB215_117:
	s_wait_alu 0xfffe
	s_or_b32 exec_lo, exec_lo, s0
	s_and_saveexec_b32 s0, vcc_lo
	s_cbranch_execnz .LBB215_191
.LBB215_118:
	s_wait_alu 0xfffe
	s_or_b32 exec_lo, exec_lo, s0
	s_and_saveexec_b32 s0, vcc_lo
	s_cbranch_execnz .LBB215_192
.LBB215_119:
	s_wait_alu 0xfffe
	s_or_b32 exec_lo, exec_lo, s0
	s_and_saveexec_b32 s0, vcc_lo
	s_cbranch_execnz .LBB215_193
.LBB215_120:
	s_wait_alu 0xfffe
	s_or_b32 exec_lo, exec_lo, s0
	s_and_saveexec_b32 s0, vcc_lo
	s_cbranch_execnz .LBB215_194
.LBB215_121:
	s_wait_alu 0xfffe
	s_or_b32 exec_lo, exec_lo, s0
	s_and_saveexec_b32 s0, vcc_lo
	s_cbranch_execnz .LBB215_195
.LBB215_122:
	s_wait_alu 0xfffe
	s_or_b32 exec_lo, exec_lo, s0
	s_and_saveexec_b32 s0, vcc_lo
	s_cbranch_execnz .LBB215_196
.LBB215_123:
	s_wait_alu 0xfffe
	s_or_b32 exec_lo, exec_lo, s0
	s_and_saveexec_b32 s0, vcc_lo
	s_cbranch_execnz .LBB215_197
.LBB215_124:
	s_wait_alu 0xfffe
	s_or_b32 exec_lo, exec_lo, s0
	s_and_saveexec_b32 s0, vcc_lo
	s_cbranch_execnz .LBB215_198
.LBB215_125:
	s_wait_alu 0xfffe
	s_or_b32 exec_lo, exec_lo, s0
	s_and_saveexec_b32 s0, vcc_lo
	s_cbranch_execnz .LBB215_199
.LBB215_126:
	s_wait_alu 0xfffe
	s_or_b32 exec_lo, exec_lo, s0
	s_and_saveexec_b32 s0, vcc_lo
	s_cbranch_execnz .LBB215_200
.LBB215_127:
	s_wait_alu 0xfffe
	s_or_b32 exec_lo, exec_lo, s0
	s_and_saveexec_b32 s0, vcc_lo
	s_cbranch_execnz .LBB215_201
.LBB215_128:
	s_wait_alu 0xfffe
	s_or_b32 exec_lo, exec_lo, s0
	s_and_saveexec_b32 s0, vcc_lo
	s_cbranch_execnz .LBB215_202
.LBB215_129:
	s_wait_alu 0xfffe
	s_or_b32 exec_lo, exec_lo, s0
	s_and_saveexec_b32 s0, vcc_lo
	s_cbranch_execnz .LBB215_203
.LBB215_130:
	s_wait_alu 0xfffe
	s_or_b32 exec_lo, exec_lo, s0
	s_and_saveexec_b32 s0, vcc_lo
	s_cbranch_execnz .LBB215_204
.LBB215_131:
	s_wait_alu 0xfffe
	s_or_b32 exec_lo, exec_lo, s0
	s_and_saveexec_b32 s0, vcc_lo
	s_cbranch_execnz .LBB215_205
.LBB215_132:
	s_wait_alu 0xfffe
	s_or_b32 exec_lo, exec_lo, s0
	s_and_saveexec_b32 s0, vcc_lo
	s_cbranch_execnz .LBB215_206
.LBB215_133:
	s_wait_alu 0xfffe
	s_or_b32 exec_lo, exec_lo, s0
	s_and_saveexec_b32 s0, vcc_lo
	s_cbranch_execnz .LBB215_207
.LBB215_134:
	s_wait_alu 0xfffe
	s_or_b32 exec_lo, exec_lo, s0
	s_and_saveexec_b32 s0, vcc_lo
	s_cbranch_execnz .LBB215_208
.LBB215_135:
	s_wait_alu 0xfffe
	s_or_b32 exec_lo, exec_lo, s0
	s_and_saveexec_b32 s0, vcc_lo
	s_cbranch_execnz .LBB215_209
.LBB215_136:
	s_wait_alu 0xfffe
	s_or_b32 exec_lo, exec_lo, s0
	s_and_saveexec_b32 s0, vcc_lo
	s_cbranch_execnz .LBB215_210
.LBB215_137:
	s_wait_alu 0xfffe
	s_or_b32 exec_lo, exec_lo, s0
	s_and_saveexec_b32 s0, vcc_lo
	s_cbranch_execnz .LBB215_211
.LBB215_138:
	s_wait_alu 0xfffe
	s_or_b32 exec_lo, exec_lo, s0
	s_and_saveexec_b32 s0, vcc_lo
	s_cbranch_execnz .LBB215_212
.LBB215_139:
	s_wait_alu 0xfffe
	s_or_b32 exec_lo, exec_lo, s0
	s_and_saveexec_b32 s0, vcc_lo
	s_cbranch_execnz .LBB215_213
.LBB215_140:
	s_wait_alu 0xfffe
	s_or_b32 exec_lo, exec_lo, s0
	s_and_saveexec_b32 s0, vcc_lo
	s_cbranch_execnz .LBB215_214
.LBB215_141:
	s_wait_alu 0xfffe
	s_or_b32 exec_lo, exec_lo, s0
	s_and_saveexec_b32 s0, vcc_lo
	s_cbranch_execnz .LBB215_215
.LBB215_142:
	s_wait_alu 0xfffe
	s_or_b32 exec_lo, exec_lo, s0
	s_and_saveexec_b32 s0, vcc_lo
	s_cbranch_execz .LBB215_144
.LBB215_143:
	ds_load_b32 v14, v11 offset:992
	s_wait_dscnt 0x0
	v_add_f32_e32 v32, v32, v14
.LBB215_144:
	s_wait_alu 0xfffe
	s_or_b32 exec_lo, exec_lo, s0
.LBB215_145:
	s_wait_alu 0xfffe
	s_or_b32 exec_lo, exec_lo, s1
	v_and_b32_e32 v14, 0x3e3, v0
	s_mov_b32 s1, exec_lo
	s_wait_loadcnt 0x0
	s_barrier_signal -1
	s_barrier_wait -1
	global_inv scope:SCOPE_SE
	v_cmpx_eq_u32_e32 32, v14
	s_cbranch_execz .LBB215_147
; %bb.146:
	ds_store_2addr_b32 v36, v1, v2 offset1:8
	ds_store_2addr_b32 v36, v3, v4 offset0:16 offset1:24
	ds_store_2addr_b32 v36, v5, v6 offset0:32 offset1:40
	;; [unrolled: 1-line block ×15, first 2 shown]
.LBB215_147:
	s_wait_alu 0xfffe
	s_or_b32 exec_lo, exec_lo, s1
	s_delay_alu instid0(SALU_CYCLE_1)
	s_mov_b32 s1, exec_lo
	s_wait_loadcnt_dscnt 0x0
	s_barrier_signal -1
	s_barrier_wait -1
	global_inv scope:SCOPE_SE
	v_cmpx_gt_u32_e32 32, v0
	s_cbranch_execz .LBB215_182
; %bb.148:
	s_and_saveexec_b32 s0, vcc_lo
	s_cbranch_execnz .LBB215_216
; %bb.149:
	s_wait_alu 0xfffe
	s_or_b32 exec_lo, exec_lo, s0
	s_and_saveexec_b32 s0, vcc_lo
	s_cbranch_execnz .LBB215_217
.LBB215_150:
	s_wait_alu 0xfffe
	s_or_b32 exec_lo, exec_lo, s0
	s_and_saveexec_b32 s0, vcc_lo
	s_cbranch_execnz .LBB215_218
.LBB215_151:
	s_wait_alu 0xfffe
	s_or_b32 exec_lo, exec_lo, s0
	s_and_saveexec_b32 s0, vcc_lo
	s_cbranch_execnz .LBB215_219
.LBB215_152:
	s_wait_alu 0xfffe
	s_or_b32 exec_lo, exec_lo, s0
	s_and_saveexec_b32 s0, vcc_lo
	s_cbranch_execnz .LBB215_220
.LBB215_153:
	s_wait_alu 0xfffe
	s_or_b32 exec_lo, exec_lo, s0
	s_and_saveexec_b32 s0, vcc_lo
	s_cbranch_execnz .LBB215_221
.LBB215_154:
	s_wait_alu 0xfffe
	s_or_b32 exec_lo, exec_lo, s0
	s_and_saveexec_b32 s0, vcc_lo
	s_cbranch_execnz .LBB215_222
.LBB215_155:
	s_wait_alu 0xfffe
	s_or_b32 exec_lo, exec_lo, s0
	s_and_saveexec_b32 s0, vcc_lo
	s_cbranch_execnz .LBB215_223
.LBB215_156:
	s_wait_alu 0xfffe
	s_or_b32 exec_lo, exec_lo, s0
	s_and_saveexec_b32 s0, vcc_lo
	s_cbranch_execnz .LBB215_224
.LBB215_157:
	s_wait_alu 0xfffe
	s_or_b32 exec_lo, exec_lo, s0
	s_and_saveexec_b32 s0, vcc_lo
	s_cbranch_execnz .LBB215_225
.LBB215_158:
	s_wait_alu 0xfffe
	s_or_b32 exec_lo, exec_lo, s0
	s_and_saveexec_b32 s0, vcc_lo
	s_cbranch_execnz .LBB215_226
.LBB215_159:
	s_wait_alu 0xfffe
	s_or_b32 exec_lo, exec_lo, s0
	s_and_saveexec_b32 s0, vcc_lo
	s_cbranch_execnz .LBB215_227
.LBB215_160:
	s_wait_alu 0xfffe
	s_or_b32 exec_lo, exec_lo, s0
	s_and_saveexec_b32 s0, vcc_lo
	s_cbranch_execnz .LBB215_228
.LBB215_161:
	s_wait_alu 0xfffe
	s_or_b32 exec_lo, exec_lo, s0
	s_and_saveexec_b32 s0, vcc_lo
	s_cbranch_execnz .LBB215_229
.LBB215_162:
	s_wait_alu 0xfffe
	s_or_b32 exec_lo, exec_lo, s0
	s_and_saveexec_b32 s0, vcc_lo
	s_cbranch_execnz .LBB215_230
.LBB215_163:
	s_wait_alu 0xfffe
	s_or_b32 exec_lo, exec_lo, s0
	s_and_saveexec_b32 s0, vcc_lo
	s_cbranch_execnz .LBB215_231
.LBB215_164:
	s_wait_alu 0xfffe
	s_or_b32 exec_lo, exec_lo, s0
	s_and_saveexec_b32 s0, vcc_lo
	s_cbranch_execnz .LBB215_232
.LBB215_165:
	s_wait_alu 0xfffe
	s_or_b32 exec_lo, exec_lo, s0
	s_and_saveexec_b32 s0, vcc_lo
	s_cbranch_execnz .LBB215_233
.LBB215_166:
	s_wait_alu 0xfffe
	s_or_b32 exec_lo, exec_lo, s0
	s_and_saveexec_b32 s0, vcc_lo
	s_cbranch_execnz .LBB215_234
.LBB215_167:
	s_wait_alu 0xfffe
	s_or_b32 exec_lo, exec_lo, s0
	s_and_saveexec_b32 s0, vcc_lo
	s_cbranch_execnz .LBB215_235
.LBB215_168:
	s_wait_alu 0xfffe
	s_or_b32 exec_lo, exec_lo, s0
	s_and_saveexec_b32 s0, vcc_lo
	s_cbranch_execnz .LBB215_236
.LBB215_169:
	s_wait_alu 0xfffe
	s_or_b32 exec_lo, exec_lo, s0
	s_and_saveexec_b32 s0, vcc_lo
	s_cbranch_execnz .LBB215_237
.LBB215_170:
	s_wait_alu 0xfffe
	s_or_b32 exec_lo, exec_lo, s0
	s_and_saveexec_b32 s0, vcc_lo
	s_cbranch_execnz .LBB215_238
.LBB215_171:
	s_wait_alu 0xfffe
	s_or_b32 exec_lo, exec_lo, s0
	s_and_saveexec_b32 s0, vcc_lo
	s_cbranch_execnz .LBB215_239
.LBB215_172:
	s_wait_alu 0xfffe
	s_or_b32 exec_lo, exec_lo, s0
	s_and_saveexec_b32 s0, vcc_lo
	s_cbranch_execnz .LBB215_240
.LBB215_173:
	s_wait_alu 0xfffe
	s_or_b32 exec_lo, exec_lo, s0
	s_and_saveexec_b32 s0, vcc_lo
	s_cbranch_execnz .LBB215_241
.LBB215_174:
	s_wait_alu 0xfffe
	s_or_b32 exec_lo, exec_lo, s0
	s_and_saveexec_b32 s0, vcc_lo
	s_cbranch_execnz .LBB215_242
.LBB215_175:
	s_wait_alu 0xfffe
	s_or_b32 exec_lo, exec_lo, s0
	s_and_saveexec_b32 s0, vcc_lo
	s_cbranch_execnz .LBB215_243
.LBB215_176:
	s_wait_alu 0xfffe
	s_or_b32 exec_lo, exec_lo, s0
	s_and_saveexec_b32 s0, vcc_lo
	s_cbranch_execnz .LBB215_244
.LBB215_177:
	s_wait_alu 0xfffe
	s_or_b32 exec_lo, exec_lo, s0
	s_and_saveexec_b32 s0, vcc_lo
	s_cbranch_execnz .LBB215_245
.LBB215_178:
	s_wait_alu 0xfffe
	s_or_b32 exec_lo, exec_lo, s0
	s_and_saveexec_b32 s0, vcc_lo
	s_cbranch_execnz .LBB215_246
.LBB215_179:
	s_wait_alu 0xfffe
	s_or_b32 exec_lo, exec_lo, s0
	s_and_saveexec_b32 s0, vcc_lo
	s_cbranch_execz .LBB215_181
.LBB215_180:
	ds_load_b32 v11, v11 offset:992
	s_wait_dscnt 0x0
	v_add_f32_e32 v32, v32, v11
.LBB215_181:
	s_wait_alu 0xfffe
	s_or_b32 exec_lo, exec_lo, s0
.LBB215_182:
	s_wait_alu 0xfffe
	s_or_b32 exec_lo, exec_lo, s1
	s_mov_b32 s1, 0
	s_wait_loadcnt 0x0
	s_barrier_signal -1
	s_barrier_wait -1
	global_inv scope:SCOPE_SE
	s_mov_b32 s0, exec_lo
	v_cmpx_eq_u32_e32 0, v14
	s_cbranch_execz .LBB215_184
; %bb.183:
	s_lshl_b32 s2, s18, 8
	s_wait_kmcnt 0x0
	s_mul_i32 s4, s12, s20
	s_wait_alu 0xfffe
	s_ashr_i32 s3, s2, 31
	s_ashr_i32 s5, s4, 31
	s_wait_alu 0xfffe
	s_lshl_b64 s[2:3], s[2:3], 2
	s_lshl_b64 s[4:5], s[4:5], 2
	s_wait_alu 0xfffe
	s_add_nc_u64 s[2:3], s[8:9], s[2:3]
	s_lshl_b32 s0, s33, 10
	s_wait_alu 0xfffe
	s_add_nc_u64 s[2:3], s[2:3], s[4:5]
	s_wait_alu 0xfffe
	s_add_nc_u64 s[0:1], s[2:3], s[0:1]
	s_clause 0x1f
	global_store_b32 v0, v1, s[0:1]
	global_store_b32 v0, v2, s[0:1] offset:32
	global_store_b32 v0, v3, s[0:1] offset:64
	;; [unrolled: 1-line block ×31, first 2 shown]
.LBB215_184:
	s_nop 0
	s_sendmsg sendmsg(MSG_DEALLOC_VGPRS)
	s_endpgm
.LBB215_185:
	ds_load_b32 v14, v11
	s_wait_dscnt 0x0
	v_add_f32_e32 v1, v1, v14
	s_wait_alu 0xfffe
	s_or_b32 exec_lo, exec_lo, s0
	s_and_saveexec_b32 s0, vcc_lo
	s_cbranch_execz .LBB215_113
.LBB215_186:
	ds_load_b32 v14, v11 offset:32
	s_wait_dscnt 0x0
	v_add_f32_e32 v2, v2, v14
	s_wait_alu 0xfffe
	s_or_b32 exec_lo, exec_lo, s0
	s_and_saveexec_b32 s0, vcc_lo
	s_cbranch_execz .LBB215_114
.LBB215_187:
	ds_load_b32 v14, v11 offset:64
	s_wait_dscnt 0x0
	v_add_f32_e32 v3, v3, v14
	s_wait_alu 0xfffe
	s_or_b32 exec_lo, exec_lo, s0
	s_and_saveexec_b32 s0, vcc_lo
	s_cbranch_execz .LBB215_115
.LBB215_188:
	ds_load_b32 v14, v11 offset:96
	s_wait_dscnt 0x0
	v_add_f32_e32 v4, v4, v14
	s_wait_alu 0xfffe
	s_or_b32 exec_lo, exec_lo, s0
	s_and_saveexec_b32 s0, vcc_lo
	s_cbranch_execz .LBB215_116
.LBB215_189:
	ds_load_b32 v14, v11 offset:128
	s_wait_dscnt 0x0
	v_add_f32_e32 v5, v5, v14
	s_wait_alu 0xfffe
	s_or_b32 exec_lo, exec_lo, s0
	s_and_saveexec_b32 s0, vcc_lo
	s_cbranch_execz .LBB215_117
.LBB215_190:
	ds_load_b32 v14, v11 offset:160
	s_wait_dscnt 0x0
	v_add_f32_e32 v6, v6, v14
	s_wait_alu 0xfffe
	s_or_b32 exec_lo, exec_lo, s0
	s_and_saveexec_b32 s0, vcc_lo
	s_cbranch_execz .LBB215_118
.LBB215_191:
	ds_load_b32 v14, v11 offset:192
	s_wait_dscnt 0x0
	v_add_f32_e32 v7, v7, v14
	s_wait_alu 0xfffe
	s_or_b32 exec_lo, exec_lo, s0
	s_and_saveexec_b32 s0, vcc_lo
	s_cbranch_execz .LBB215_119
.LBB215_192:
	ds_load_b32 v14, v11 offset:224
	s_wait_dscnt 0x0
	v_add_f32_e32 v8, v8, v14
	s_wait_alu 0xfffe
	s_or_b32 exec_lo, exec_lo, s0
	s_and_saveexec_b32 s0, vcc_lo
	s_cbranch_execz .LBB215_120
.LBB215_193:
	ds_load_b32 v14, v11 offset:256
	s_wait_dscnt 0x0
	v_add_f32_e32 v9, v9, v14
	s_wait_alu 0xfffe
	s_or_b32 exec_lo, exec_lo, s0
	s_and_saveexec_b32 s0, vcc_lo
	s_cbranch_execz .LBB215_121
.LBB215_194:
	ds_load_b32 v14, v11 offset:288
	s_wait_dscnt 0x0
	v_add_f32_e32 v10, v10, v14
	s_wait_alu 0xfffe
	s_or_b32 exec_lo, exec_lo, s0
	s_and_saveexec_b32 s0, vcc_lo
	s_cbranch_execz .LBB215_122
.LBB215_195:
	ds_load_b32 v14, v11 offset:320
	s_wait_dscnt 0x0
	v_add_f32_e32 v34, v34, v14
	s_wait_alu 0xfffe
	s_or_b32 exec_lo, exec_lo, s0
	s_and_saveexec_b32 s0, vcc_lo
	s_cbranch_execz .LBB215_123
.LBB215_196:
	ds_load_b32 v14, v11 offset:352
	s_wait_dscnt 0x0
	v_add_f32_e32 v35, v35, v14
	s_wait_alu 0xfffe
	s_or_b32 exec_lo, exec_lo, s0
	s_and_saveexec_b32 s0, vcc_lo
	s_cbranch_execz .LBB215_124
.LBB215_197:
	ds_load_b32 v14, v11 offset:384
	s_wait_dscnt 0x0
	v_add_f32_e32 v12, v12, v14
	s_wait_alu 0xfffe
	s_or_b32 exec_lo, exec_lo, s0
	s_and_saveexec_b32 s0, vcc_lo
	s_cbranch_execz .LBB215_125
.LBB215_198:
	ds_load_b32 v14, v11 offset:416
	s_wait_dscnt 0x0
	v_add_f32_e32 v15, v15, v14
	s_wait_alu 0xfffe
	s_or_b32 exec_lo, exec_lo, s0
	s_and_saveexec_b32 s0, vcc_lo
	s_cbranch_execz .LBB215_126
.LBB215_199:
	ds_load_b32 v14, v11 offset:448
	s_wait_dscnt 0x0
	v_add_f32_e32 v13, v13, v14
	s_wait_alu 0xfffe
	s_or_b32 exec_lo, exec_lo, s0
	s_and_saveexec_b32 s0, vcc_lo
	s_cbranch_execz .LBB215_127
.LBB215_200:
	ds_load_b32 v14, v11 offset:480
	s_wait_dscnt 0x0
	v_add_f32_e32 v16, v16, v14
	s_wait_alu 0xfffe
	s_or_b32 exec_lo, exec_lo, s0
	s_and_saveexec_b32 s0, vcc_lo
	s_cbranch_execz .LBB215_128
.LBB215_201:
	ds_load_b32 v14, v11 offset:512
	s_wait_dscnt 0x0
	v_add_f32_e32 v17, v17, v14
	s_wait_alu 0xfffe
	s_or_b32 exec_lo, exec_lo, s0
	s_and_saveexec_b32 s0, vcc_lo
	s_cbranch_execz .LBB215_129
.LBB215_202:
	ds_load_b32 v14, v11 offset:544
	s_wait_dscnt 0x0
	v_add_f32_e32 v18, v18, v14
	s_wait_alu 0xfffe
	s_or_b32 exec_lo, exec_lo, s0
	s_and_saveexec_b32 s0, vcc_lo
	s_cbranch_execz .LBB215_130
.LBB215_203:
	ds_load_b32 v14, v11 offset:576
	s_wait_dscnt 0x0
	v_add_f32_e32 v19, v19, v14
	s_wait_alu 0xfffe
	s_or_b32 exec_lo, exec_lo, s0
	s_and_saveexec_b32 s0, vcc_lo
	s_cbranch_execz .LBB215_131
.LBB215_204:
	ds_load_b32 v14, v11 offset:608
	s_wait_dscnt 0x0
	v_add_f32_e32 v20, v20, v14
	s_wait_alu 0xfffe
	s_or_b32 exec_lo, exec_lo, s0
	s_and_saveexec_b32 s0, vcc_lo
	s_cbranch_execz .LBB215_132
.LBB215_205:
	ds_load_b32 v14, v11 offset:640
	s_wait_dscnt 0x0
	v_add_f32_e32 v21, v21, v14
	s_wait_alu 0xfffe
	s_or_b32 exec_lo, exec_lo, s0
	s_and_saveexec_b32 s0, vcc_lo
	s_cbranch_execz .LBB215_133
.LBB215_206:
	ds_load_b32 v14, v11 offset:672
	s_wait_dscnt 0x0
	v_add_f32_e32 v22, v22, v14
	s_wait_alu 0xfffe
	s_or_b32 exec_lo, exec_lo, s0
	s_and_saveexec_b32 s0, vcc_lo
	s_cbranch_execz .LBB215_134
.LBB215_207:
	ds_load_b32 v14, v11 offset:704
	s_wait_dscnt 0x0
	v_add_f32_e32 v23, v23, v14
	s_wait_alu 0xfffe
	s_or_b32 exec_lo, exec_lo, s0
	s_and_saveexec_b32 s0, vcc_lo
	s_cbranch_execz .LBB215_135
.LBB215_208:
	ds_load_b32 v14, v11 offset:736
	s_wait_dscnt 0x0
	v_add_f32_e32 v24, v24, v14
	s_wait_alu 0xfffe
	s_or_b32 exec_lo, exec_lo, s0
	s_and_saveexec_b32 s0, vcc_lo
	s_cbranch_execz .LBB215_136
.LBB215_209:
	ds_load_b32 v14, v11 offset:768
	s_wait_dscnt 0x0
	v_add_f32_e32 v25, v25, v14
	s_wait_alu 0xfffe
	s_or_b32 exec_lo, exec_lo, s0
	s_and_saveexec_b32 s0, vcc_lo
	s_cbranch_execz .LBB215_137
.LBB215_210:
	ds_load_b32 v14, v11 offset:800
	s_wait_dscnt 0x0
	v_add_f32_e32 v26, v26, v14
	s_wait_alu 0xfffe
	s_or_b32 exec_lo, exec_lo, s0
	s_and_saveexec_b32 s0, vcc_lo
	s_cbranch_execz .LBB215_138
.LBB215_211:
	ds_load_b32 v14, v11 offset:832
	s_wait_dscnt 0x0
	v_add_f32_e32 v27, v27, v14
	s_wait_alu 0xfffe
	s_or_b32 exec_lo, exec_lo, s0
	s_and_saveexec_b32 s0, vcc_lo
	s_cbranch_execz .LBB215_139
.LBB215_212:
	ds_load_b32 v14, v11 offset:864
	s_wait_dscnt 0x0
	v_add_f32_e32 v28, v28, v14
	s_wait_alu 0xfffe
	s_or_b32 exec_lo, exec_lo, s0
	s_and_saveexec_b32 s0, vcc_lo
	s_cbranch_execz .LBB215_140
.LBB215_213:
	ds_load_b32 v14, v11 offset:896
	s_wait_dscnt 0x0
	v_add_f32_e32 v29, v29, v14
	s_wait_alu 0xfffe
	s_or_b32 exec_lo, exec_lo, s0
	s_and_saveexec_b32 s0, vcc_lo
	s_cbranch_execz .LBB215_141
.LBB215_214:
	ds_load_b32 v14, v11 offset:928
	s_wait_dscnt 0x0
	v_add_f32_e32 v30, v30, v14
	s_wait_alu 0xfffe
	s_or_b32 exec_lo, exec_lo, s0
	s_and_saveexec_b32 s0, vcc_lo
	s_cbranch_execz .LBB215_142
.LBB215_215:
	ds_load_b32 v14, v11 offset:960
	s_wait_dscnt 0x0
	v_add_f32_e32 v31, v31, v14
	s_wait_alu 0xfffe
	s_or_b32 exec_lo, exec_lo, s0
	s_and_saveexec_b32 s0, vcc_lo
	s_cbranch_execnz .LBB215_143
	s_branch .LBB215_144
.LBB215_216:
	ds_load_b32 v33, v11
	s_wait_dscnt 0x0
	v_add_f32_e32 v1, v1, v33
	s_wait_alu 0xfffe
	s_or_b32 exec_lo, exec_lo, s0
	s_and_saveexec_b32 s0, vcc_lo
	s_cbranch_execz .LBB215_150
.LBB215_217:
	ds_load_b32 v33, v11 offset:32
	s_wait_dscnt 0x0
	v_add_f32_e32 v2, v2, v33
	s_wait_alu 0xfffe
	s_or_b32 exec_lo, exec_lo, s0
	s_and_saveexec_b32 s0, vcc_lo
	s_cbranch_execz .LBB215_151
.LBB215_218:
	ds_load_b32 v33, v11 offset:64
	s_wait_dscnt 0x0
	v_add_f32_e32 v3, v3, v33
	s_wait_alu 0xfffe
	s_or_b32 exec_lo, exec_lo, s0
	s_and_saveexec_b32 s0, vcc_lo
	s_cbranch_execz .LBB215_152
.LBB215_219:
	ds_load_b32 v33, v11 offset:96
	s_wait_dscnt 0x0
	v_add_f32_e32 v4, v4, v33
	s_wait_alu 0xfffe
	s_or_b32 exec_lo, exec_lo, s0
	s_and_saveexec_b32 s0, vcc_lo
	s_cbranch_execz .LBB215_153
.LBB215_220:
	ds_load_b32 v33, v11 offset:128
	s_wait_dscnt 0x0
	v_add_f32_e32 v5, v5, v33
	s_wait_alu 0xfffe
	s_or_b32 exec_lo, exec_lo, s0
	s_and_saveexec_b32 s0, vcc_lo
	s_cbranch_execz .LBB215_154
.LBB215_221:
	ds_load_b32 v33, v11 offset:160
	s_wait_dscnt 0x0
	v_add_f32_e32 v6, v6, v33
	s_wait_alu 0xfffe
	s_or_b32 exec_lo, exec_lo, s0
	s_and_saveexec_b32 s0, vcc_lo
	s_cbranch_execz .LBB215_155
.LBB215_222:
	ds_load_b32 v33, v11 offset:192
	s_wait_dscnt 0x0
	v_add_f32_e32 v7, v7, v33
	s_wait_alu 0xfffe
	s_or_b32 exec_lo, exec_lo, s0
	s_and_saveexec_b32 s0, vcc_lo
	s_cbranch_execz .LBB215_156
.LBB215_223:
	ds_load_b32 v33, v11 offset:224
	s_wait_dscnt 0x0
	v_add_f32_e32 v8, v8, v33
	s_wait_alu 0xfffe
	s_or_b32 exec_lo, exec_lo, s0
	s_and_saveexec_b32 s0, vcc_lo
	s_cbranch_execz .LBB215_157
.LBB215_224:
	ds_load_b32 v33, v11 offset:256
	s_wait_dscnt 0x0
	v_add_f32_e32 v9, v9, v33
	s_wait_alu 0xfffe
	s_or_b32 exec_lo, exec_lo, s0
	s_and_saveexec_b32 s0, vcc_lo
	s_cbranch_execz .LBB215_158
.LBB215_225:
	ds_load_b32 v33, v11 offset:288
	s_wait_dscnt 0x0
	v_add_f32_e32 v10, v10, v33
	s_wait_alu 0xfffe
	s_or_b32 exec_lo, exec_lo, s0
	s_and_saveexec_b32 s0, vcc_lo
	s_cbranch_execz .LBB215_159
.LBB215_226:
	ds_load_b32 v33, v11 offset:320
	s_wait_dscnt 0x0
	v_add_f32_e32 v34, v34, v33
	s_wait_alu 0xfffe
	s_or_b32 exec_lo, exec_lo, s0
	s_and_saveexec_b32 s0, vcc_lo
	s_cbranch_execz .LBB215_160
.LBB215_227:
	ds_load_b32 v33, v11 offset:352
	s_wait_dscnt 0x0
	v_add_f32_e32 v35, v35, v33
	s_wait_alu 0xfffe
	s_or_b32 exec_lo, exec_lo, s0
	s_and_saveexec_b32 s0, vcc_lo
	s_cbranch_execz .LBB215_161
.LBB215_228:
	ds_load_b32 v33, v11 offset:384
	s_wait_dscnt 0x0
	v_add_f32_e32 v12, v12, v33
	s_wait_alu 0xfffe
	s_or_b32 exec_lo, exec_lo, s0
	s_and_saveexec_b32 s0, vcc_lo
	s_cbranch_execz .LBB215_162
.LBB215_229:
	ds_load_b32 v33, v11 offset:416
	s_wait_dscnt 0x0
	v_add_f32_e32 v15, v15, v33
	s_wait_alu 0xfffe
	s_or_b32 exec_lo, exec_lo, s0
	s_and_saveexec_b32 s0, vcc_lo
	s_cbranch_execz .LBB215_163
.LBB215_230:
	ds_load_b32 v33, v11 offset:448
	s_wait_dscnt 0x0
	v_add_f32_e32 v13, v13, v33
	s_wait_alu 0xfffe
	s_or_b32 exec_lo, exec_lo, s0
	s_and_saveexec_b32 s0, vcc_lo
	s_cbranch_execz .LBB215_164
.LBB215_231:
	ds_load_b32 v33, v11 offset:480
	s_wait_dscnt 0x0
	v_add_f32_e32 v16, v16, v33
	s_wait_alu 0xfffe
	s_or_b32 exec_lo, exec_lo, s0
	s_and_saveexec_b32 s0, vcc_lo
	s_cbranch_execz .LBB215_165
.LBB215_232:
	ds_load_b32 v33, v11 offset:512
	s_wait_dscnt 0x0
	v_add_f32_e32 v17, v17, v33
	s_wait_alu 0xfffe
	s_or_b32 exec_lo, exec_lo, s0
	s_and_saveexec_b32 s0, vcc_lo
	s_cbranch_execz .LBB215_166
.LBB215_233:
	ds_load_b32 v33, v11 offset:544
	s_wait_dscnt 0x0
	v_add_f32_e32 v18, v18, v33
	s_wait_alu 0xfffe
	s_or_b32 exec_lo, exec_lo, s0
	s_and_saveexec_b32 s0, vcc_lo
	s_cbranch_execz .LBB215_167
.LBB215_234:
	ds_load_b32 v33, v11 offset:576
	s_wait_dscnt 0x0
	v_add_f32_e32 v19, v19, v33
	s_wait_alu 0xfffe
	s_or_b32 exec_lo, exec_lo, s0
	s_and_saveexec_b32 s0, vcc_lo
	s_cbranch_execz .LBB215_168
.LBB215_235:
	ds_load_b32 v33, v11 offset:608
	s_wait_dscnt 0x0
	v_add_f32_e32 v20, v20, v33
	s_wait_alu 0xfffe
	s_or_b32 exec_lo, exec_lo, s0
	s_and_saveexec_b32 s0, vcc_lo
	s_cbranch_execz .LBB215_169
.LBB215_236:
	ds_load_b32 v33, v11 offset:640
	s_wait_dscnt 0x0
	v_add_f32_e32 v21, v21, v33
	s_wait_alu 0xfffe
	s_or_b32 exec_lo, exec_lo, s0
	s_and_saveexec_b32 s0, vcc_lo
	s_cbranch_execz .LBB215_170
.LBB215_237:
	ds_load_b32 v33, v11 offset:672
	s_wait_dscnt 0x0
	v_add_f32_e32 v22, v22, v33
	s_wait_alu 0xfffe
	s_or_b32 exec_lo, exec_lo, s0
	s_and_saveexec_b32 s0, vcc_lo
	s_cbranch_execz .LBB215_171
.LBB215_238:
	ds_load_b32 v33, v11 offset:704
	s_wait_dscnt 0x0
	v_add_f32_e32 v23, v23, v33
	s_wait_alu 0xfffe
	s_or_b32 exec_lo, exec_lo, s0
	s_and_saveexec_b32 s0, vcc_lo
	s_cbranch_execz .LBB215_172
.LBB215_239:
	ds_load_b32 v33, v11 offset:736
	s_wait_dscnt 0x0
	v_add_f32_e32 v24, v24, v33
	s_wait_alu 0xfffe
	s_or_b32 exec_lo, exec_lo, s0
	s_and_saveexec_b32 s0, vcc_lo
	s_cbranch_execz .LBB215_173
.LBB215_240:
	ds_load_b32 v33, v11 offset:768
	s_wait_dscnt 0x0
	v_add_f32_e32 v25, v25, v33
	s_wait_alu 0xfffe
	s_or_b32 exec_lo, exec_lo, s0
	s_and_saveexec_b32 s0, vcc_lo
	s_cbranch_execz .LBB215_174
.LBB215_241:
	ds_load_b32 v33, v11 offset:800
	s_wait_dscnt 0x0
	v_add_f32_e32 v26, v26, v33
	s_wait_alu 0xfffe
	s_or_b32 exec_lo, exec_lo, s0
	s_and_saveexec_b32 s0, vcc_lo
	s_cbranch_execz .LBB215_175
.LBB215_242:
	ds_load_b32 v33, v11 offset:832
	s_wait_dscnt 0x0
	v_add_f32_e32 v27, v27, v33
	s_wait_alu 0xfffe
	s_or_b32 exec_lo, exec_lo, s0
	s_and_saveexec_b32 s0, vcc_lo
	s_cbranch_execz .LBB215_176
.LBB215_243:
	ds_load_b32 v33, v11 offset:864
	s_wait_dscnt 0x0
	v_add_f32_e32 v28, v28, v33
	s_wait_alu 0xfffe
	s_or_b32 exec_lo, exec_lo, s0
	s_and_saveexec_b32 s0, vcc_lo
	s_cbranch_execz .LBB215_177
.LBB215_244:
	ds_load_b32 v33, v11 offset:896
	s_wait_dscnt 0x0
	v_add_f32_e32 v29, v29, v33
	s_wait_alu 0xfffe
	s_or_b32 exec_lo, exec_lo, s0
	s_and_saveexec_b32 s0, vcc_lo
	s_cbranch_execz .LBB215_178
.LBB215_245:
	ds_load_b32 v33, v11 offset:928
	s_wait_dscnt 0x0
	v_add_f32_e32 v30, v30, v33
	s_wait_alu 0xfffe
	s_or_b32 exec_lo, exec_lo, s0
	s_and_saveexec_b32 s0, vcc_lo
	s_cbranch_execz .LBB215_179
.LBB215_246:
	ds_load_b32 v33, v11 offset:960
	s_wait_dscnt 0x0
	v_add_f32_e32 v31, v31, v33
	s_wait_alu 0xfffe
	s_or_b32 exec_lo, exec_lo, s0
	s_and_saveexec_b32 s0, vcc_lo
	s_cbranch_execnz .LBB215_180
	s_branch .LBB215_181
	.section	.rodata,"a",@progbits
	.p2align	6, 0x0
	.amdhsa_kernel _ZN4vllm25paged_attention_v2_kernelIfhLi256ELi16ELi128ELNS_18Fp8KVCacheDataTypeE1ELb1ELi512EEEvPfS2_PT_PKS3_PKT0_S9_ifPKiSB_iPKfiiiSD_SD_iiiii
		.amdhsa_group_segment_fixed_size 1056
		.amdhsa_private_segment_fixed_size 0
		.amdhsa_kernarg_size 400
		.amdhsa_user_sgpr_count 2
		.amdhsa_user_sgpr_dispatch_ptr 0
		.amdhsa_user_sgpr_queue_ptr 0
		.amdhsa_user_sgpr_kernarg_segment_ptr 1
		.amdhsa_user_sgpr_dispatch_id 0
		.amdhsa_user_sgpr_private_segment_size 0
		.amdhsa_wavefront_size32 1
		.amdhsa_uses_dynamic_stack 0
		.amdhsa_enable_private_segment 0
		.amdhsa_system_sgpr_workgroup_id_x 1
		.amdhsa_system_sgpr_workgroup_id_y 1
		.amdhsa_system_sgpr_workgroup_id_z 1
		.amdhsa_system_sgpr_workgroup_info 0
		.amdhsa_system_vgpr_workitem_id 0
		.amdhsa_next_free_vgpr 186
		.amdhsa_next_free_sgpr 45
		.amdhsa_reserve_vcc 1
		.amdhsa_float_round_mode_32 0
		.amdhsa_float_round_mode_16_64 0
		.amdhsa_float_denorm_mode_32 3
		.amdhsa_float_denorm_mode_16_64 3
		.amdhsa_fp16_overflow 0
		.amdhsa_workgroup_processor_mode 1
		.amdhsa_memory_ordered 1
		.amdhsa_forward_progress 1
		.amdhsa_inst_pref_size 141
		.amdhsa_round_robin_scheduling 0
		.amdhsa_exception_fp_ieee_invalid_op 0
		.amdhsa_exception_fp_denorm_src 0
		.amdhsa_exception_fp_ieee_div_zero 0
		.amdhsa_exception_fp_ieee_overflow 0
		.amdhsa_exception_fp_ieee_underflow 0
		.amdhsa_exception_fp_ieee_inexact 0
		.amdhsa_exception_int_div_zero 0
	.end_amdhsa_kernel
	.section	.text._ZN4vllm25paged_attention_v2_kernelIfhLi256ELi16ELi128ELNS_18Fp8KVCacheDataTypeE1ELb1ELi512EEEvPfS2_PT_PKS3_PKT0_S9_ifPKiSB_iPKfiiiSD_SD_iiiii,"axG",@progbits,_ZN4vllm25paged_attention_v2_kernelIfhLi256ELi16ELi128ELNS_18Fp8KVCacheDataTypeE1ELb1ELi512EEEvPfS2_PT_PKS3_PKT0_S9_ifPKiSB_iPKfiiiSD_SD_iiiii,comdat
.Lfunc_end215:
	.size	_ZN4vllm25paged_attention_v2_kernelIfhLi256ELi16ELi128ELNS_18Fp8KVCacheDataTypeE1ELb1ELi512EEEvPfS2_PT_PKS3_PKT0_S9_ifPKiSB_iPKfiiiSD_SD_iiiii, .Lfunc_end215-_ZN4vllm25paged_attention_v2_kernelIfhLi256ELi16ELi128ELNS_18Fp8KVCacheDataTypeE1ELb1ELi512EEEvPfS2_PT_PKS3_PKT0_S9_ifPKiSB_iPKfiiiSD_SD_iiiii
                                        ; -- End function
	.set _ZN4vllm25paged_attention_v2_kernelIfhLi256ELi16ELi128ELNS_18Fp8KVCacheDataTypeE1ELb1ELi512EEEvPfS2_PT_PKS3_PKT0_S9_ifPKiSB_iPKfiiiSD_SD_iiiii.num_vgpr, 186
	.set _ZN4vllm25paged_attention_v2_kernelIfhLi256ELi16ELi128ELNS_18Fp8KVCacheDataTypeE1ELb1ELi512EEEvPfS2_PT_PKS3_PKT0_S9_ifPKiSB_iPKfiiiSD_SD_iiiii.num_agpr, 0
	.set _ZN4vllm25paged_attention_v2_kernelIfhLi256ELi16ELi128ELNS_18Fp8KVCacheDataTypeE1ELb1ELi512EEEvPfS2_PT_PKS3_PKT0_S9_ifPKiSB_iPKfiiiSD_SD_iiiii.numbered_sgpr, 45
	.set _ZN4vllm25paged_attention_v2_kernelIfhLi256ELi16ELi128ELNS_18Fp8KVCacheDataTypeE1ELb1ELi512EEEvPfS2_PT_PKS3_PKT0_S9_ifPKiSB_iPKfiiiSD_SD_iiiii.num_named_barrier, 0
	.set _ZN4vllm25paged_attention_v2_kernelIfhLi256ELi16ELi128ELNS_18Fp8KVCacheDataTypeE1ELb1ELi512EEEvPfS2_PT_PKS3_PKT0_S9_ifPKiSB_iPKfiiiSD_SD_iiiii.private_seg_size, 0
	.set _ZN4vllm25paged_attention_v2_kernelIfhLi256ELi16ELi128ELNS_18Fp8KVCacheDataTypeE1ELb1ELi512EEEvPfS2_PT_PKS3_PKT0_S9_ifPKiSB_iPKfiiiSD_SD_iiiii.uses_vcc, 1
	.set _ZN4vllm25paged_attention_v2_kernelIfhLi256ELi16ELi128ELNS_18Fp8KVCacheDataTypeE1ELb1ELi512EEEvPfS2_PT_PKS3_PKT0_S9_ifPKiSB_iPKfiiiSD_SD_iiiii.uses_flat_scratch, 0
	.set _ZN4vllm25paged_attention_v2_kernelIfhLi256ELi16ELi128ELNS_18Fp8KVCacheDataTypeE1ELb1ELi512EEEvPfS2_PT_PKS3_PKT0_S9_ifPKiSB_iPKfiiiSD_SD_iiiii.has_dyn_sized_stack, 0
	.set _ZN4vllm25paged_attention_v2_kernelIfhLi256ELi16ELi128ELNS_18Fp8KVCacheDataTypeE1ELb1ELi512EEEvPfS2_PT_PKS3_PKT0_S9_ifPKiSB_iPKfiiiSD_SD_iiiii.has_recursion, 0
	.set _ZN4vllm25paged_attention_v2_kernelIfhLi256ELi16ELi128ELNS_18Fp8KVCacheDataTypeE1ELb1ELi512EEEvPfS2_PT_PKS3_PKT0_S9_ifPKiSB_iPKfiiiSD_SD_iiiii.has_indirect_call, 0
	.section	.AMDGPU.csdata,"",@progbits
; Kernel info:
; codeLenInByte = 18020
; TotalNumSgprs: 47
; NumVgprs: 186
; ScratchSize: 0
; MemoryBound: 0
; FloatMode: 240
; IeeeMode: 1
; LDSByteSize: 1056 bytes/workgroup (compile time only)
; SGPRBlocks: 0
; VGPRBlocks: 23
; NumSGPRsForWavesPerEU: 47
; NumVGPRsForWavesPerEU: 186
; Occupancy: 8
; WaveLimiterHint : 1
; COMPUTE_PGM_RSRC2:SCRATCH_EN: 0
; COMPUTE_PGM_RSRC2:USER_SGPR: 2
; COMPUTE_PGM_RSRC2:TRAP_HANDLER: 0
; COMPUTE_PGM_RSRC2:TGID_X_EN: 1
; COMPUTE_PGM_RSRC2:TGID_Y_EN: 1
; COMPUTE_PGM_RSRC2:TGID_Z_EN: 1
; COMPUTE_PGM_RSRC2:TIDIG_COMP_CNT: 0
	.section	.text._ZN4vllm25paged_attention_v2_kernelIfhLi32ELi16ELi128ELNS_18Fp8KVCacheDataTypeE1ELb0ELi512EEEvPfS2_PT_PKS3_PKT0_S9_ifPKiSB_iPKfiiiSD_SD_iiiii,"axG",@progbits,_ZN4vllm25paged_attention_v2_kernelIfhLi32ELi16ELi128ELNS_18Fp8KVCacheDataTypeE1ELb0ELi512EEEvPfS2_PT_PKS3_PKT0_S9_ifPKiSB_iPKfiiiSD_SD_iiiii,comdat
	.protected	_ZN4vllm25paged_attention_v2_kernelIfhLi32ELi16ELi128ELNS_18Fp8KVCacheDataTypeE1ELb0ELi512EEEvPfS2_PT_PKS3_PKT0_S9_ifPKiSB_iPKfiiiSD_SD_iiiii ; -- Begin function _ZN4vllm25paged_attention_v2_kernelIfhLi32ELi16ELi128ELNS_18Fp8KVCacheDataTypeE1ELb0ELi512EEEvPfS2_PT_PKS3_PKT0_S9_ifPKiSB_iPKfiiiSD_SD_iiiii
	.globl	_ZN4vllm25paged_attention_v2_kernelIfhLi32ELi16ELi128ELNS_18Fp8KVCacheDataTypeE1ELb0ELi512EEEvPfS2_PT_PKS3_PKT0_S9_ifPKiSB_iPKfiiiSD_SD_iiiii
	.p2align	8
	.type	_ZN4vllm25paged_attention_v2_kernelIfhLi32ELi16ELi128ELNS_18Fp8KVCacheDataTypeE1ELb0ELi512EEEvPfS2_PT_PKS3_PKT0_S9_ifPKiSB_iPKfiiiSD_SD_iiiii,@function
_ZN4vllm25paged_attention_v2_kernelIfhLi32ELi16ELi128ELNS_18Fp8KVCacheDataTypeE1ELb0ELi512EEEvPfS2_PT_PKS3_PKT0_S9_ifPKiSB_iPKfiiiSD_SD_iiiii: ; @_ZN4vllm25paged_attention_v2_kernelIfhLi32ELi16ELi128ELNS_18Fp8KVCacheDataTypeE1ELb0ELi512EEEvPfS2_PT_PKS3_PKT0_S9_ifPKiSB_iPKfiiiSD_SD_iiiii
; %bb.0:
	s_load_b64 s[2:3], s[0:1], 0x40
	s_and_b32 s15, ttmp7, 0xffff
	s_lshr_b32 s29, ttmp7, 16
	s_lshl_b32 s4, s15, 2
	s_lshl_b32 s28, s29, 9
	s_wait_kmcnt 0x0
	s_load_b32 s26, s[2:3], s4 offset:0x0
	s_wait_kmcnt 0x0
	s_cmp_ge_i32 s28, s26
	s_cbranch_scc1 .LBB216_62
; %bb.1:
	s_clause 0x1
	s_load_b32 s30, s[0:1], 0x90
	s_load_b64 s[8:9], s[0:1], 0x30
	s_wait_kmcnt 0x0
	s_abs_i32 s5, s30
	s_abs_i32 s2, s8
	s_delay_alu instid0(SALU_CYCLE_1) | instskip(SKIP_1) | instid1(SALU_CYCLE_2)
	s_cvt_f32_u32 s3, s2
	s_sub_co_i32 s4, 0, s2
	v_rcp_iflag_f32_e32 v1, s3
	s_delay_alu instid0(TRANS32_DEP_1) | instskip(SKIP_2) | instid1(SALU_CYCLE_2)
	v_readfirstlane_b32 s3, v1
	s_mul_f32 s3, s3, 0x4f7ffffe
	s_wait_alu 0xfffe
	s_cvt_u32_f32 s3, s3
	s_wait_alu 0xfffe
	s_delay_alu instid0(SALU_CYCLE_2) | instskip(NEXT) | instid1(SALU_CYCLE_1)
	s_mul_i32 s4, s4, s3
	s_mul_hi_u32 s4, s3, s4
	s_delay_alu instid0(SALU_CYCLE_1)
	s_add_co_i32 s3, s3, s4
	s_xor_b32 s4, s30, s8
	s_wait_alu 0xfffe
	s_mul_hi_u32 s3, s5, s3
	s_ashr_i32 s4, s4, 31
	s_wait_alu 0xfffe
	s_mul_i32 s6, s3, s2
	s_delay_alu instid0(SALU_CYCLE_1)
	s_sub_co_i32 s5, s5, s6
	s_add_co_i32 s6, s3, 1
	s_sub_co_i32 s7, s5, s2
	s_cmp_ge_u32 s5, s2
	s_cselect_b32 s3, s6, s3
	s_cselect_b32 s5, s7, s5
	s_wait_alu 0xfffe
	s_add_co_i32 s6, s3, 1
	s_cmp_ge_u32 s5, s2
	s_cselect_b32 s2, s6, s3
	s_load_b64 s[6:7], s[0:1], 0x50
	s_xor_b32 s2, s2, s4
	s_mov_b32 s3, 0
	s_wait_alu 0xfffe
	s_sub_co_i32 s11, s2, s4
	s_mov_b32 s8, s3
	s_abs_i32 s10, s11
	s_delay_alu instid0(SALU_CYCLE_1) | instskip(SKIP_1) | instid1(SALU_CYCLE_2)
	s_cvt_f32_u32 s2, s10
	s_wait_alu 0xfffe
	v_rcp_iflag_f32_e32 v1, s2
	s_delay_alu instid0(TRANS32_DEP_1) | instskip(SKIP_2) | instid1(SALU_CYCLE_2)
	v_readfirstlane_b32 s2, v1
	s_mul_f32 s2, s2, 0x4f7ffffe
	s_wait_alu 0xfffe
	s_cvt_u32_f32 s4, s2
	s_sub_co_i32 s2, 0, s10
	s_wait_alu 0xfffe
	s_delay_alu instid0(SALU_CYCLE_1)
	s_mul_i32 s2, s2, s4
	s_wait_alu 0xfffe
	s_mul_hi_u32 s5, s4, s2
	s_abs_i32 s2, ttmp9
	s_add_co_i32 s4, s4, s5
	s_mov_b32 s5, s3
	s_wait_kmcnt 0x0
	s_cmp_eq_u64 s[6:7], 0
	s_cbranch_scc1 .LBB216_3
; %bb.2:
	s_mov_b32 s12, ttmp9
	s_ashr_i32 s13, ttmp9, 31
	s_delay_alu instid0(SALU_CYCLE_1) | instskip(NEXT) | instid1(SALU_CYCLE_1)
	s_lshl_b64 s[12:13], s[12:13], 2
	s_add_nc_u64 s[6:7], s[6:7], s[12:13]
	s_load_b32 s8, s[6:7], 0x0
.LBB216_3:
	s_load_b96 s[12:14], s[0:1], 0x58
	v_and_b32_e32 v17, 1, v0
	v_lshlrev_b32_e32 v23, 2, v0
	s_mul_u64 s[4:5], s[2:3], s[4:5]
	s_ashr_i32 s3, ttmp9, 31
	s_ashr_i32 s4, s11, 31
	s_lshl_b32 s16, ttmp9, 5
	s_mov_b32 s6, exec_lo
	v_cmpx_gt_u32_e32 16, v0
	s_cbranch_execz .LBB216_5
; %bb.4:
	s_load_b64 s[18:19], s[0:1], 0x18
	s_wait_kmcnt 0x0
	s_mul_i32 s20, s12, s15
	s_ashr_i32 s17, s16, 31
	s_ashr_i32 s21, s20, 31
	v_lshlrev_b32_e32 v1, 3, v0
	s_lshl_b64 s[20:21], s[20:21], 2
	v_and_b32_e32 v3, 0xff8, v23
	s_delay_alu instid0(VALU_DEP_1) | instskip(SKIP_2) | instid1(SALU_CYCLE_1)
	v_lshl_add_u32 v3, v17, 6, v3
	s_add_nc_u64 s[18:19], s[18:19], s[20:21]
	s_lshl_b64 s[20:21], s[16:17], 2
	s_add_nc_u64 s[18:19], s[18:19], s[20:21]
	global_load_b64 v[1:2], v1, s[18:19]
	s_wait_loadcnt 0x0
	ds_store_b64 v3, v[1:2]
.LBB216_5:
	s_or_b32 exec_lo, exec_lo, s6
	s_add_co_i32 s6, s26, 15
	s_wait_alu 0xfffe
	s_xor_b32 s3, s3, s4
	s_ashr_i32 s7, s6, 31
	s_wait_kmcnt 0x0
	s_lshl_b32 s12, s29, 5
	s_lshr_b32 s4, s7, 28
	s_mul_i32 s7, s5, s10
	s_add_co_i32 s6, s6, s4
	s_add_co_i32 s4, s12, 32
	s_ashr_i32 s31, s6, 4
	s_load_b32 s6, s[0:1], 0x48
	s_sub_co_i32 s2, s2, s7
	s_min_i32 s27, s4, s31
	s_add_co_i32 s4, s5, 1
	s_wait_alu 0xfffe
	s_sub_co_i32 s7, s2, s10
	s_cmp_ge_u32 s2, s10
	v_lshrrev_b32_e32 v21, 5, v0
	s_cselect_b32 s4, s4, s5
	s_cselect_b32 s2, s7, s2
	s_add_co_i32 s5, s4, 1
	s_wait_alu 0xfffe
	s_cmp_ge_u32 s2, s10
	v_or_b32_e32 v22, s12, v21
	s_cselect_b32 s2, s5, s4
	v_mbcnt_lo_u32_b32 v25, -1, 0
	s_wait_alu 0xfffe
	s_xor_b32 s2, s2, s3
	s_mov_b32 s4, exec_lo
	s_wait_alu 0xfffe
	s_sub_co_i32 s3, s2, s3
	v_cmp_gt_i32_e64 s2, s27, v22
	s_wait_dscnt 0x0
	s_barrier_signal -1
	s_wait_kmcnt 0x0
	s_mul_i32 s18, s6, s15
	s_barrier_wait -1
	s_ashr_i32 s19, s18, 31
	global_inv scope:SCOPE_SE
                                        ; implicit-def: $vgpr26
                                        ; implicit-def: $vgpr27
	v_cmpx_le_i32_e64 s27, v22
	s_xor_b32 s4, exec_lo, s4
; %bb.6:
	v_dual_mov_b32 v26, 0 :: v_dual_mov_b32 v27, 32
	v_mbcnt_lo_u32_b32 v25, -1, 0
                                        ; implicit-def: $vgpr17
; %bb.7:
	s_or_saveexec_b32 s10, s4
	s_clause 0x2
	s_load_b32 s17, s[0:1], 0x98
	s_load_b64 s[20:21], s[0:1], 0x38
	s_load_b128 s[4:7], s[0:1], 0x68
	v_mov_b32_e32 v28, 0xff7fffff
	v_lshlrev_b32_e32 v24, 2, v22
	s_mul_i32 s22, s3, s14
	s_xor_b32 exec_lo, exec_lo, s10
	s_cbranch_execz .LBB216_13
; %bb.8:
	s_load_b64 s[24:25], s[0:1], 0x20
	v_bfe_u32 v19, v0, 1, 4
	v_xor_b32_e32 v1, 1, v25
	v_dual_mov_b32 v26, 0 :: v_dual_lshlrev_b32 v13, 6, v17
	s_ashr_i32 s23, s22, 31
	s_delay_alu instid0(VALU_DEP_3) | instskip(NEXT) | instid1(VALU_DEP_3)
	v_lshlrev_b32_e32 v30, 2, v19
	v_cmp_gt_i32_e32 vcc_lo, 32, v1
	v_lshlrev_b32_e32 v20, 4, v19
	v_lshlrev_b32_e32 v31, 4, v21
	v_dual_mov_b32 v27, 32 :: v_dual_lshlrev_b32 v18, 1, v17
	v_lshl_or_b32 v32, v21, 6, v30
	v_cndmask_b32_e32 v28, v25, v1, vcc_lo
	ds_load_b128 v[1:4], v13
	ds_load_b128 v[5:8], v13 offset:16
	ds_load_b128 v[9:12], v13 offset:32
	;; [unrolled: 1-line block ×3, first 2 shown]
	s_wait_kmcnt 0x0
	s_load_b32 s14, s[4:5], 0x0
	v_add3_u32 v30, s28, v31, v19
	v_add_nc_u32_e32 v31, 0xa0, v32
	v_lshlrev_b32_e32 v29, 2, v28
	s_cmp_neq_f32 s8, 0
	s_add_nc_u64 s[24:25], s[24:25], s[22:23]
	v_cmp_eq_u32_e32 vcc_lo, 0, v17
	v_add_co_u32 v20, s3, s24, v20
	s_wait_alu 0xf1ff
	v_add_co_ci_u32_e64 v28, null, s25, 0, s3
	s_cselect_b32 s3, -1, 0
	v_add_co_u32 v17, s4, v20, v18
	s_delay_alu instid0(VALU_DEP_1)
	v_add_co_ci_u32_e64 v18, null, 0, v28, s4
	s_lshl_b64 s[4:5], s[18:19], 2
	v_mov_b32_e32 v28, 0xff7fffff
	s_wait_alu 0xfffe
	s_add_nc_u64 s[4:5], s[20:21], s[4:5]
	v_mov_b32_e32 v32, v22
	s_wait_alu 0xfffe
	v_add_co_u32 v19, s4, s4, v24
	s_wait_alu 0xf1ff
	v_add_co_ci_u32_e64 v20, null, s5, 0, s4
	s_mov_b32 s11, s13
	s_mov_b32 s23, 0
	s_wait_kmcnt 0x0
	s_mov_b32 s24, s14
	s_sub_co_i32 s25, 1, s26
	s_branch .LBB216_10
.LBB216_9:                              ;   in Loop: Header=BB216_10 Depth=1
	s_wait_alu 0xfffe
	s_or_b32 exec_lo, exec_lo, s5
	v_add_nc_u32_e32 v32, 4, v32
	v_add_co_u32 v19, s5, v19, 16
	v_add_nc_u32_e32 v30, 64, v30
	v_add_nc_u32_e32 v31, 0x100, v31
	s_delay_alu instid0(VALU_DEP_4) | instskip(SKIP_3) | instid1(SALU_CYCLE_1)
	v_cmp_le_i32_e64 s4, s27, v32
	s_wait_alu 0xf1ff
	v_add_co_ci_u32_e64 v20, null, 0, v20, s5
	s_or_b32 s23, s4, s23
	s_and_not1_b32 exec_lo, exec_lo, s23
	s_cbranch_execz .LBB216_12
.LBB216_10:                             ; =>This Inner Loop Header: Depth=1
	global_load_b32 v33, v[19:20], off
	s_wait_loadcnt_dscnt 0x0
	v_mad_co_i64_i32 v[33:34], null, v33, s11, v[17:18]
	s_clause 0x7
	global_load_u16 v35, v[33:34], off offset:4
	global_load_u16 v36, v[33:34], off
	global_load_u16 v37, v[33:34], off offset:8
	global_load_u16 v38, v[33:34], off offset:12
	global_load_u16 v39, v[33:34], off offset:256
	global_load_u16 v40, v[33:34], off offset:260
	global_load_u16 v41, v[33:34], off offset:264
	global_load_u16 v42, v[33:34], off offset:268
	s_wait_loadcnt 0x7
	v_cvt_pk_f32_fp8_e32 v[33:34], v35
	s_wait_loadcnt 0x6
	v_cvt_pk_f32_fp8_e32 v[35:36], v36
	s_wait_alu 0xfffe
	s_delay_alu instid0(VALU_DEP_2)
	v_dual_mul_f32 v43, s14, v33 :: v_dual_mul_f32 v44, s24, v34
	s_wait_loadcnt 0x5
	v_cvt_pk_f32_fp8_e32 v[33:34], v37
	v_mul_f32_e32 v37, s24, v36
	v_mul_f32_e32 v45, s14, v35
	s_wait_dscnt 0x3
	v_dual_mul_f32 v43, v3, v43 :: v_dual_mul_f32 v44, v4, v44
	s_wait_loadcnt 0x4
	v_cvt_pk_f32_fp8_e32 v[35:36], v38
	v_mul_f32_e32 v38, s24, v34
	v_mul_f32_e32 v46, s14, v33
	s_wait_loadcnt 0x3
	v_cvt_pk_f32_fp8_e32 v[33:34], v39
	v_dual_fmac_f32 v44, v2, v37 :: v_dual_mul_f32 v37, s24, v36
	v_fmac_f32_e32 v43, v1, v45
	v_mul_f32_e32 v39, s14, v35
	s_wait_loadcnt 0x2
	v_cvt_pk_f32_fp8_e32 v[35:36], v40
	s_wait_dscnt 0x2
	v_fmac_f32_e32 v44, v6, v38
	v_mul_f32_e32 v38, s24, v34
	v_dual_fmac_f32 v43, v5, v46 :: v_dual_mul_f32 v40, s14, v33
	s_wait_loadcnt 0x1
	v_cvt_pk_f32_fp8_e32 v[33:34], v41
	v_dual_fmac_f32 v44, v8, v37 :: v_dual_mul_f32 v37, s24, v36
	s_delay_alu instid0(VALU_DEP_3) | instskip(NEXT) | instid1(VALU_DEP_3)
	v_fmac_f32_e32 v43, v7, v39
	v_dual_mul_f32 v39, s14, v35 :: v_dual_mul_f32 v34, s24, v34
	s_wait_dscnt 0x1
	s_delay_alu instid0(VALU_DEP_3)
	v_fmac_f32_e32 v44, v10, v38
	s_wait_loadcnt 0x0
	v_cvt_pk_f32_fp8_e32 v[35:36], v42
	v_fmac_f32_e32 v43, v9, v40
	v_mul_f32_e32 v33, s14, v33
	v_fmac_f32_e32 v44, v12, v37
	s_delay_alu instid0(VALU_DEP_3) | instskip(SKIP_1) | instid1(VALU_DEP_2)
	v_dual_mul_f32 v36, s24, v36 :: v_dual_fmac_f32 v43, v11, v39
	s_wait_dscnt 0x0
	v_dual_fmac_f32 v44, v14, v34 :: v_dual_mul_f32 v35, s14, v35
	s_delay_alu instid0(VALU_DEP_1) | instskip(NEXT) | instid1(VALU_DEP_1)
	v_dual_fmac_f32 v43, v13, v33 :: v_dual_fmac_f32 v44, v16, v36
	v_fmac_f32_e32 v43, v15, v35
	s_delay_alu instid0(VALU_DEP_1)
	v_add_f32_e32 v33, v43, v44
	ds_bpermute_b32 v34, v29, v33
	s_and_saveexec_b32 s5, vcc_lo
	s_cbranch_execz .LBB216_9
; %bb.11:                               ;   in Loop: Header=BB216_10 Depth=1
	s_wait_dscnt 0x0
	v_add_f32_e32 v33, v33, v34
	v_add_nc_u32_e32 v35, s25, v30
	v_cmp_gt_i32_e64 s4, s26, v30
	s_delay_alu instid0(VALU_DEP_2) | instskip(NEXT) | instid1(VALU_DEP_1)
	v_cvt_f32_i32_e32 v35, v35
	v_mul_f32_e32 v35, s8, v35
	s_delay_alu instid0(VALU_DEP_1) | instskip(NEXT) | instid1(VALU_DEP_1)
	v_cndmask_b32_e64 v34, 0, v35, s3
	v_dual_max_num_f32 v35, v28, v28 :: v_dual_fmac_f32 v34, s9, v33
	s_delay_alu instid0(VALU_DEP_1) | instskip(SKIP_2) | instid1(VALU_DEP_2)
	v_max_num_f32_e32 v33, v35, v34
	s_wait_alu 0xf1ff
	v_cndmask_b32_e64 v34, 0, v34, s4
	v_cndmask_b32_e64 v28, v28, v33, s4
	ds_store_b32 v31, v34
	s_branch .LBB216_9
.LBB216_12:
	s_or_b32 exec_lo, exec_lo, s23
.LBB216_13:
	s_delay_alu instid0(SALU_CYCLE_1)
	s_or_b32 exec_lo, exec_lo, s10
	v_xor_b32_e32 v1, 16, v25
	v_xor_b32_e32 v3, 8, v25
	;; [unrolled: 1-line block ×3, first 2 shown]
	s_load_b128 s[8:11], s[0:1], 0x0
	s_wait_kmcnt 0x0
	s_clause 0x1
	s_load_b64 s[4:5], s[0:1], 0x10
	s_load_b64 s[24:25], s[0:1], 0x28
	v_and_b32_e32 v11, 31, v0
	v_cmp_lt_i32_e32 vcc_lo, v1, v27
	v_max_num_f32_e32 v5, v28, v28
	s_wait_alu 0xfffd
	v_cndmask_b32_e32 v1, v25, v1, vcc_lo
	v_cmp_lt_i32_e32 vcc_lo, v3, v27
	s_wait_alu 0xfffd
	v_cndmask_b32_e32 v3, v25, v3, vcc_lo
	s_delay_alu instid0(VALU_DEP_1) | instskip(SKIP_4) | instid1(VALU_DEP_1)
	v_lshlrev_b32_e32 v4, 2, v3
	v_lshlrev_b32_e32 v2, 2, v1
	ds_bpermute_b32 v1, v2, v28
	s_wait_dscnt 0x0
	v_max_num_f32_e32 v1, v1, v1
	v_max_num_f32_e32 v1, v5, v1
	v_xor_b32_e32 v5, 4, v25
	ds_bpermute_b32 v3, v4, v1
	v_cmp_lt_i32_e32 vcc_lo, v5, v27
	s_wait_alu 0xfffd
	v_cndmask_b32_e32 v5, v25, v5, vcc_lo
	v_cmp_lt_i32_e32 vcc_lo, v6, v27
	s_wait_alu 0xfffd
	s_delay_alu instid0(VALU_DEP_2) | instskip(SKIP_1) | instid1(VALU_DEP_2)
	v_dual_cndmask_b32 v6, v25, v6 :: v_dual_lshlrev_b32 v5, 2, v5
	v_cmp_eq_u32_e32 vcc_lo, 0, v11
	v_lshlrev_b32_e32 v12, 2, v6
	s_wait_dscnt 0x0
	v_dual_max_num_f32 v3, v3, v3 :: v_dual_lshlrev_b32 v6, 2, v21
	s_delay_alu instid0(VALU_DEP_1) | instskip(SKIP_3) | instid1(VALU_DEP_1)
	v_max_num_f32_e32 v1, v1, v3
	ds_bpermute_b32 v3, v5, v1
	s_wait_dscnt 0x0
	v_max_num_f32_e32 v3, v3, v3
	v_max_num_f32_e32 v1, v1, v3
	ds_bpermute_b32 v3, v12, v1
	s_and_saveexec_b32 s0, vcc_lo
	s_cbranch_execz .LBB216_15
; %bb.14:
	s_wait_dscnt 0x0
	v_max_num_f32_e32 v3, v3, v3
	v_max_num_f32_e32 v1, v1, v1
	s_delay_alu instid0(VALU_DEP_1)
	v_max_num_f32_e32 v1, v1, v3
	ds_store_b32 v6, v1 offset:128
.LBB216_15:
	s_or_b32 exec_lo, exec_lo, s0
	v_cmp_gt_u32_e64 s0, 4, v11
	v_mov_b32_e32 v1, 0xff7fffff
	v_lshlrev_b32_e32 v7, 2, v11
	s_wait_loadcnt_dscnt 0x0
	s_barrier_signal -1
	s_barrier_wait -1
	global_inv scope:SCOPE_SE
	s_and_saveexec_b32 s1, s0
; %bb.16:
	ds_load_b32 v1, v7 offset:128
; %bb.17:
	s_or_b32 exec_lo, exec_lo, s1
	s_wait_dscnt 0x0
	ds_bpermute_b32 v3, v12, v1
	v_xor_b32_e32 v8, 1, v25
	v_max_num_f32_e32 v1, v1, v1
	s_delay_alu instid0(VALU_DEP_2) | instskip(NEXT) | instid1(VALU_DEP_1)
	v_cmp_lt_i32_e64 s1, v8, v27
	v_cndmask_b32_e64 v8, v25, v8, s1
	s_sub_co_i32 s1, s27, s12
	s_wait_alu 0xfffe
	s_lshl_b32 s1, s1, 4
	s_delay_alu instid0(VALU_DEP_1)
	v_dual_mov_b32 v8, 0 :: v_dual_lshlrev_b32 v13, 2, v8
	s_wait_alu 0xfffe
	s_add_co_i32 s1, s1, s28
	s_wait_alu 0xfffe
	s_min_i32 s1, s1, s26
	s_wait_dscnt 0x0
	v_max_num_f32_e32 v3, v3, v3
	s_wait_alu 0xfffe
	s_sub_co_i32 s14, s1, s28
	s_wait_alu 0xfffe
	v_cmp_gt_i32_e64 s1, s14, v0
	v_max_num_f32_e32 v1, v1, v3
	ds_bpermute_b32 v3, v13, v1
	s_wait_dscnt 0x0
	v_max_num_f32_e32 v3, v3, v3
	s_delay_alu instid0(VALU_DEP_1)
	v_max_num_f32_e32 v1, v1, v3
	v_lshlrev_b32_e32 v3, 2, v26
	ds_bpermute_b32 v1, v3, v1
	v_lshl_add_u32 v3, v0, 2, 0xa0
	s_and_saveexec_b32 s23, s1
	s_cbranch_execz .LBB216_21
; %bb.18:
	v_lshl_add_u32 v9, v0, 2, 0xa0
	v_mov_b32_e32 v8, 0
	v_mov_b32_e32 v10, v0
	s_mov_b32 s33, 0
.LBB216_19:                             ; =>This Inner Loop Header: Depth=1
	ds_load_b32 v14, v9
	v_add_nc_u32_e32 v10, 0x80, v10
	s_delay_alu instid0(VALU_DEP_1) | instskip(SKIP_3) | instid1(VALU_DEP_1)
	v_cmp_le_i32_e64 s3, s14, v10
	s_or_b32 s33, s3, s33
	s_wait_dscnt 0x0
	v_sub_f32_e32 v14, v14, v1
	v_mul_f32_e32 v14, 0x3fb8aa3b, v14
	s_delay_alu instid0(VALU_DEP_1)
	v_exp_f32_e32 v14, v14
	ds_store_b32 v9, v14
	v_dual_add_f32 v8, v8, v14 :: v_dual_add_nc_u32 v9, 0x200, v9
	s_and_not1_b32 exec_lo, exec_lo, s33
	s_cbranch_execnz .LBB216_19
; %bb.20:
	s_or_b32 exec_lo, exec_lo, s33
.LBB216_21:
	s_delay_alu instid0(SALU_CYCLE_1)
	s_or_b32 exec_lo, exec_lo, s23
	ds_bpermute_b32 v2, v2, v8
	s_wait_dscnt 0x0
	v_add_f32_e32 v2, v8, v2
	ds_bpermute_b32 v4, v4, v2
	s_wait_dscnt 0x0
	v_add_f32_e32 v2, v2, v4
	;; [unrolled: 3-line block ×5, first 2 shown]
	s_and_saveexec_b32 s3, vcc_lo
; %bb.22:
	ds_store_b32 v6, v2 offset:144
; %bb.23:
	s_wait_alu 0xfffe
	s_or_b32 exec_lo, exec_lo, s3
	s_wait_loadcnt_dscnt 0x0
	s_barrier_signal -1
	s_barrier_wait -1
	global_inv scope:SCOPE_SE
	s_and_saveexec_b32 s3, s0
; %bb.24:
	ds_load_b32 v2, v7 offset:144
; %bb.25:
	s_wait_alu 0xfffe
	s_or_b32 exec_lo, exec_lo, s3
	s_wait_dscnt 0x0
	ds_bpermute_b32 v4, v12, v2
	s_wait_dscnt 0x0
	v_dual_add_f32 v2, v2, v4 :: v_dual_lshlrev_b32 v5, 2, v25
	ds_bpermute_b32 v4, v13, v2
	s_wait_dscnt 0x0
	v_add_f32_e32 v2, v2, v4
	v_and_b32_e32 v4, 0xffffff80, v5
	ds_bpermute_b32 v2, v4, v2
	s_and_saveexec_b32 s0, s1
	s_cbranch_execz .LBB216_28
; %bb.26:
	s_wait_dscnt 0x0
	v_add_f32_e32 v4, 0x358637bd, v2
	s_mov_b32 s1, 0
	s_delay_alu instid0(VALU_DEP_1) | instskip(SKIP_1) | instid1(VALU_DEP_2)
	v_div_scale_f32 v5, null, v4, v4, 1.0
	v_div_scale_f32 v8, vcc_lo, 1.0, v4, 1.0
	v_rcp_f32_e32 v6, v5
	s_delay_alu instid0(TRANS32_DEP_1) | instskip(NEXT) | instid1(VALU_DEP_1)
	v_fma_f32 v7, -v5, v6, 1.0
	v_fmac_f32_e32 v6, v7, v6
	s_delay_alu instid0(VALU_DEP_1) | instskip(NEXT) | instid1(VALU_DEP_1)
	v_mul_f32_e32 v7, v8, v6
	v_fma_f32 v9, -v5, v7, v8
	s_delay_alu instid0(VALU_DEP_1) | instskip(NEXT) | instid1(VALU_DEP_1)
	v_fmac_f32_e32 v7, v9, v6
	v_fma_f32 v5, -v5, v7, v8
	s_wait_alu 0xfffd
	s_delay_alu instid0(VALU_DEP_1) | instskip(NEXT) | instid1(VALU_DEP_1)
	v_div_fmas_f32 v5, v5, v6, v7
	v_div_fixup_f32 v4, v5, v4, 1.0
	v_mov_b32_e32 v5, v0
.LBB216_27:                             ; =>This Inner Loop Header: Depth=1
	ds_load_b32 v6, v3
	s_wait_dscnt 0x0
	v_dual_mul_f32 v6, v4, v6 :: v_dual_add_nc_u32 v5, 0x80, v5
	s_delay_alu instid0(VALU_DEP_1)
	v_cmp_le_i32_e32 vcc_lo, s14, v5
	ds_store_b32 v3, v6
	v_add_nc_u32_e32 v3, 0x200, v3
	s_wait_alu 0xfffe
	s_or_b32 s1, vcc_lo, s1
	s_wait_alu 0xfffe
	s_and_not1_b32 exec_lo, exec_lo, s1
	s_cbranch_execnz .LBB216_27
.LBB216_28:
	s_wait_alu 0xfffe
	s_or_b32 exec_lo, exec_lo, s0
	s_mul_i32 s0, s17, s15
	s_wait_loadcnt_dscnt 0x0
	s_wait_alu 0xfffe
	s_mul_i32 s14, s0, s30
	s_mov_b32 s0, exec_lo
	s_barrier_signal -1
	s_barrier_wait -1
	global_inv scope:SCOPE_SE
	v_cmpx_eq_u32_e32 0, v0
	s_cbranch_execz .LBB216_30
; %bb.29:
	s_wait_alu 0xfffe
	s_ashr_i32 s15, s14, 31
	s_mul_i32 s34, s17, ttmp9
	s_lshl_b32 s1, s29, 2
	s_wait_alu 0xfffe
	s_lshl_b64 s[36:37], s[14:15], 2
	s_ashr_i32 s35, s34, 31
	v_mov_b32_e32 v3, s1
	s_add_nc_u64 s[10:11], s[10:11], s[36:37]
	s_lshl_b64 s[34:35], s[34:35], 2
	s_add_nc_u64 s[8:9], s[8:9], s[36:37]
	s_wait_alu 0xfffe
	s_add_nc_u64 s[10:11], s[10:11], s[34:35]
	s_add_nc_u64 s[8:9], s[8:9], s[34:35]
	s_clause 0x1
	global_store_b32 v3, v1, s[10:11]
	global_store_b32 v3, v2, s[8:9]
.LBB216_30:
	s_wait_alu 0xfffe
	s_or_b32 exec_lo, exec_lo, s0
	v_dual_mov_b32 v16, 0 :: v_dual_mov_b32 v17, 0
	v_dual_mov_b32 v15, 0 :: v_dual_and_b32 v14, 3, v0
	v_mov_b32_e32 v18, 0
	s_and_saveexec_b32 s1, s2
	s_cbranch_execz .LBB216_42
; %bb.31:
	s_load_b32 s3, s[6:7], 0x0
	v_dual_mov_b32 v15, 0 :: v_dual_lshlrev_b32 v2, 4, v14
	v_dual_mov_b32 v16, 0 :: v_dual_and_b32 v3, 0x7c, v23
	s_ashr_i32 s23, s22, 31
	s_lshl_b64 s[6:7], s[18:19], 2
	s_wait_kmcnt 0x0
	s_add_nc_u64 s[8:9], s[24:25], s[22:23]
	v_dual_mov_b32 v18, 0 :: v_dual_and_b32 v1, 12, v23
	v_lshl_add_u32 v4, v21, 4, s28
	v_lshl_or_b32 v2, v21, 6, v2
	s_wait_alu 0xfffe
	v_add_co_u32 v5, s0, s8, v3
	s_add_nc_u64 s[6:7], s[20:21], s[6:7]
	s_wait_alu 0xf1ff
	v_add_co_ci_u32_e64 v6, null, s9, 0, s0
	v_add_co_u32 v7, s0, s6, v24
	v_add3_u32 v19, v4, v1, 3
	v_dual_mov_b32 v17, 0 :: v_dual_add_nc_u32 v20, 0xa0, v2
	s_wait_alu 0xf1ff
	v_add_co_ci_u32_e64 v8, null, s7, 0, s0
	s_mov_b32 s2, s13
	s_mov_b32 s6, s3
	s_add_co_i32 s31, s31, -1
	s_mov_b32 s7, 0
	s_branch .LBB216_33
.LBB216_32:                             ;   in Loop: Header=BB216_33 Depth=1
	s_wait_alu 0xfffe
	s_or_b32 exec_lo, exec_lo, s0
	s_wait_dscnt 0x0
	v_mul_f32_e32 v28, v1, v37
	v_mul_f32_e32 v30, v1, v33
	v_mul_f32_e32 v26, v1, v26
	v_dual_mul_f32 v1, v1, v39 :: v_dual_add_nc_u32 v22, 4, v22
	v_add_co_u32 v7, s0, v7, 16
	s_delay_alu instid0(VALU_DEP_2) | instskip(SKIP_1) | instid1(VALU_DEP_4)
	v_dual_fmac_f32 v1, v2, v38 :: v_dual_add_nc_u32 v20, 0x100, v20
	v_fmac_f32_e32 v28, v2, v36
	v_cmp_le_i32_e32 vcc_lo, s27, v22
	s_wait_alu 0xf1ff
	v_add_co_ci_u32_e64 v8, null, 0, v8, s0
	v_fmac_f32_e32 v1, v3, v10
	v_fmac_f32_e32 v28, v3, v35
	v_add_nc_u32_e32 v19, 64, v19
	s_or_b32 s7, vcc_lo, s7
	s_delay_alu instid0(VALU_DEP_3) | instskip(SKIP_1) | instid1(VALU_DEP_2)
	v_fmac_f32_e32 v1, v4, v9
	v_fmac_f32_e32 v26, v2, v25
	v_dual_fmac_f32 v28, v4, v34 :: v_dual_add_f32 v15, v15, v1
	s_delay_alu instid0(VALU_DEP_1) | instskip(NEXT) | instid1(VALU_DEP_3)
	v_dual_fmac_f32 v30, v2, v31 :: v_dual_add_f32 v17, v17, v28
	v_fmac_f32_e32 v26, v3, v24
	s_delay_alu instid0(VALU_DEP_2) | instskip(NEXT) | instid1(VALU_DEP_2)
	v_fmac_f32_e32 v30, v3, v29
	v_fmac_f32_e32 v26, v4, v23
	s_delay_alu instid0(VALU_DEP_2) | instskip(NEXT) | instid1(VALU_DEP_2)
	v_fmac_f32_e32 v30, v4, v27
	v_add_f32_e32 v16, v16, v26
	s_delay_alu instid0(VALU_DEP_2)
	v_add_f32_e32 v18, v18, v30
	s_wait_alu 0xfffe
	s_and_not1_b32 exec_lo, exec_lo, s7
	s_cbranch_execz .LBB216_41
.LBB216_33:                             ; =>This Inner Loop Header: Depth=1
	global_load_b32 v1, v[7:8], off
	v_cmp_eq_u32_e32 vcc_lo, s31, v22
	v_add_nc_u32_e32 v30, -2, v19
	s_wait_loadcnt 0x0
	s_wait_alu 0xfffe
	v_mad_co_i64_i32 v[9:10], null, v1, s2, v[5:6]
	ds_load_b128 v[1:4], v20
	global_load_b32 v23, v[9:10], off
	s_wait_loadcnt 0x0
	v_lshrrev_b32_e32 v25, 16, v23
	s_delay_alu instid0(VALU_DEP_1) | instskip(SKIP_1) | instid1(VALU_DEP_1)
	v_cvt_pk_f32_fp8_e32 v[31:32], v25
	v_and_b32_e32 v24, 0xffff, v23
	v_cvt_pk_f32_fp8_e32 v[23:24], v24
	s_delay_alu instid0(VALU_DEP_1) | instskip(NEXT) | instid1(VALU_DEP_2)
	v_dual_mul_f32 v25, s6, v24 :: v_dual_add_nc_u32 v28, -3, v19
	v_mul_f32_e32 v26, s3, v23
	v_dual_mul_f32 v24, s3, v31 :: v_dual_mul_f32 v23, s6, v32
	v_add_nc_u32_e32 v32, -1, v19
	s_and_saveexec_b32 s8, vcc_lo
	s_cbranch_execz .LBB216_35
; %bb.34:                               ;   in Loop: Header=BB216_33 Depth=1
	v_cmp_gt_i32_e64 s0, s26, v28
	s_wait_alu 0xf1ff
	s_delay_alu instid0(VALU_DEP_1) | instskip(SKIP_2) | instid1(VALU_DEP_1)
	v_cndmask_b32_e64 v26, 0, v26, s0
	v_cmp_gt_i32_e64 s0, s26, v30
	s_wait_alu 0xf1ff
	v_cndmask_b32_e64 v25, 0, v25, s0
	v_cmp_gt_i32_e64 s0, s26, v32
	s_wait_alu 0xf1ff
	s_delay_alu instid0(VALU_DEP_1) | instskip(SKIP_2) | instid1(VALU_DEP_1)
	v_cndmask_b32_e64 v24, 0, v24, s0
	v_cmp_gt_i32_e64 s0, s26, v19
	s_wait_alu 0xf1ff
	v_cndmask_b32_e64 v23, 0, v23, s0
.LBB216_35:                             ;   in Loop: Header=BB216_33 Depth=1
	s_wait_alu 0xfffe
	s_or_b32 exec_lo, exec_lo, s8
	global_load_b32 v27, v[9:10], off offset:128
	s_wait_loadcnt 0x0
	v_and_b32_e32 v29, 0xffff, v27
	v_lshrrev_b32_e32 v27, 16, v27
	s_delay_alu instid0(VALU_DEP_2) | instskip(NEXT) | instid1(VALU_DEP_2)
	v_cvt_pk_f32_fp8_e32 v[33:34], v29
	v_cvt_pk_f32_fp8_e32 v[35:36], v27
	s_delay_alu instid0(VALU_DEP_2) | instskip(NEXT) | instid1(VALU_DEP_3)
	v_mul_f32_e32 v33, s3, v33
	v_mul_f32_e32 v31, s6, v34
	s_delay_alu instid0(VALU_DEP_3) | instskip(NEXT) | instid1(VALU_DEP_4)
	v_mul_f32_e32 v29, s3, v35
	v_mul_f32_e32 v27, s6, v36
	s_and_saveexec_b32 s8, vcc_lo
	s_cbranch_execz .LBB216_37
; %bb.36:                               ;   in Loop: Header=BB216_33 Depth=1
	v_cmp_gt_i32_e64 s0, s26, v28
	s_wait_alu 0xf1ff
	s_delay_alu instid0(VALU_DEP_1) | instskip(SKIP_2) | instid1(VALU_DEP_1)
	v_cndmask_b32_e64 v33, 0, v33, s0
	v_cmp_gt_i32_e64 s0, s26, v30
	s_wait_alu 0xf1ff
	v_cndmask_b32_e64 v31, 0, v31, s0
	v_cmp_gt_i32_e64 s0, s26, v32
	s_wait_alu 0xf1ff
	s_delay_alu instid0(VALU_DEP_1) | instskip(SKIP_2) | instid1(VALU_DEP_1)
	v_cndmask_b32_e64 v29, 0, v29, s0
	v_cmp_gt_i32_e64 s0, s26, v19
	s_wait_alu 0xf1ff
	v_cndmask_b32_e64 v27, 0, v27, s0
.LBB216_37:                             ;   in Loop: Header=BB216_33 Depth=1
	s_wait_alu 0xfffe
	s_or_b32 exec_lo, exec_lo, s8
	global_load_b32 v34, v[9:10], off offset:256
	s_wait_loadcnt 0x0
	v_lshrrev_b32_e32 v36, 16, v34
	s_delay_alu instid0(VALU_DEP_1) | instskip(SKIP_1) | instid1(VALU_DEP_1)
	v_cvt_pk_f32_fp8_e32 v[38:39], v36
	v_and_b32_e32 v35, 0xffff, v34
	v_cvt_pk_f32_fp8_e32 v[34:35], v35
	s_delay_alu instid0(VALU_DEP_1) | instskip(NEXT) | instid1(VALU_DEP_4)
	v_dual_mul_f32 v37, s3, v34 :: v_dual_mul_f32 v36, s6, v35
	v_dual_mul_f32 v35, s3, v38 :: v_dual_mul_f32 v34, s6, v39
	s_and_saveexec_b32 s8, vcc_lo
	s_cbranch_execz .LBB216_39
; %bb.38:                               ;   in Loop: Header=BB216_33 Depth=1
	v_cmp_gt_i32_e64 s0, s26, v28
	s_wait_alu 0xf1ff
	s_delay_alu instid0(VALU_DEP_1) | instskip(SKIP_2) | instid1(VALU_DEP_1)
	v_cndmask_b32_e64 v37, 0, v37, s0
	v_cmp_gt_i32_e64 s0, s26, v30
	s_wait_alu 0xf1ff
	v_cndmask_b32_e64 v36, 0, v36, s0
	v_cmp_gt_i32_e64 s0, s26, v32
	s_wait_alu 0xf1ff
	s_delay_alu instid0(VALU_DEP_1) | instskip(SKIP_2) | instid1(VALU_DEP_1)
	v_cndmask_b32_e64 v35, 0, v35, s0
	v_cmp_gt_i32_e64 s0, s26, v19
	s_wait_alu 0xf1ff
	v_cndmask_b32_e64 v34, 0, v34, s0
.LBB216_39:                             ;   in Loop: Header=BB216_33 Depth=1
	s_wait_alu 0xfffe
	s_or_b32 exec_lo, exec_lo, s8
	global_load_b32 v9, v[9:10], off offset:384
	s_wait_loadcnt 0x0
	v_and_b32_e32 v10, 0xffff, v9
	v_lshrrev_b32_e32 v38, 16, v9
	s_delay_alu instid0(VALU_DEP_2) | instskip(NEXT) | instid1(VALU_DEP_2)
	v_cvt_pk_f32_fp8_e32 v[9:10], v10
	v_cvt_pk_f32_fp8_e32 v[40:41], v38
	s_delay_alu instid0(VALU_DEP_2) | instskip(NEXT) | instid1(VALU_DEP_2)
	v_dual_mul_f32 v39, s3, v9 :: v_dual_mul_f32 v38, s6, v10
	v_dual_mul_f32 v10, s3, v40 :: v_dual_mul_f32 v9, s6, v41
	s_and_saveexec_b32 s0, vcc_lo
	s_cbranch_execz .LBB216_32
; %bb.40:                               ;   in Loop: Header=BB216_33 Depth=1
	v_cmp_gt_i32_e32 vcc_lo, s26, v28
	s_wait_alu 0xfffd
	v_cndmask_b32_e32 v39, 0, v39, vcc_lo
	v_cmp_gt_i32_e32 vcc_lo, s26, v30
	s_wait_alu 0xfffd
	v_cndmask_b32_e32 v38, 0, v38, vcc_lo
	;; [unrolled: 3-line block ×4, first 2 shown]
	s_branch .LBB216_32
.LBB216_41:
	s_or_b32 exec_lo, exec_lo, s7
.LBB216_42:
	s_wait_alu 0xfffe
	s_or_b32 exec_lo, exec_lo, s1
	ds_bpermute_b32 v1, v12, v16
	ds_bpermute_b32 v2, v12, v18
	;; [unrolled: 1-line block ×4, first 2 shown]
	v_lshrrev_b32_e32 v5, 2, v11
	s_mov_b32 s0, exec_lo
	s_wait_storecnt 0x0
	s_wait_loadcnt_dscnt 0x0
	s_barrier_signal -1
	s_barrier_wait -1
	global_inv scope:SCOPE_SE
	v_dual_add_f32 v1, v16, v1 :: v_dual_add_f32 v2, v18, v2
	v_dual_add_f32 v3, v17, v3 :: v_dual_add_f32 v4, v15, v4
	ds_bpermute_b32 v7, v13, v1
	ds_bpermute_b32 v8, v13, v2
	ds_bpermute_b32 v9, v13, v3
	ds_bpermute_b32 v10, v13, v4
	v_and_b32_e32 v6, 28, v11
	v_and_b32_e32 v11, 0x3c3, v0
	s_wait_dscnt 0x2
	v_dual_add_f32 v1, v1, v7 :: v_dual_add_f32 v2, v2, v8
	s_wait_dscnt 0x1
	v_dual_add_f32 v3, v3, v9 :: v_dual_add_nc_u32 v6, 0xa0, v6
	s_wait_dscnt 0x0
	v_add_f32_e32 v4, v4, v10
	v_cmpx_eq_u32_e32 64, v11
	s_cbranch_execz .LBB216_44
; %bb.43:
	v_lshl_add_u32 v7, v21, 7, v6
	s_delay_alu instid0(VALU_DEP_1)
	v_add_nc_u32_e32 v8, 0xffffff00, v7
	v_add_nc_u32_e32 v9, 0xffffff20, v7
	;; [unrolled: 1-line block ×4, first 2 shown]
	ds_store_b32 v8, v1
	ds_store_b32 v9, v2
	;; [unrolled: 1-line block ×4, first 2 shown]
.LBB216_44:
	s_wait_alu 0xfffe
	s_or_b32 exec_lo, exec_lo, s0
	v_and_b32_e32 v7, 0x3e0, v0
	v_lshlrev_b32_e32 v5, 2, v5
	s_mov_b32 s1, exec_lo
	v_cmp_eq_u32_e32 vcc_lo, 0, v14
	s_wait_loadcnt_dscnt 0x0
	v_lshlrev_b32_e32 v7, 2, v7
	s_barrier_signal -1
	s_barrier_wait -1
	global_inv scope:SCOPE_SE
	v_add3_u32 v5, 0xa0, v7, v5
	v_cmpx_gt_u32_e32 64, v0
	s_cbranch_execz .LBB216_51
; %bb.45:
	s_and_saveexec_b32 s0, vcc_lo
	s_cbranch_execnz .LBB216_63
; %bb.46:
	s_wait_alu 0xfffe
	s_or_b32 exec_lo, exec_lo, s0
	s_and_saveexec_b32 s0, vcc_lo
	s_cbranch_execnz .LBB216_64
.LBB216_47:
	s_wait_alu 0xfffe
	s_or_b32 exec_lo, exec_lo, s0
	s_and_saveexec_b32 s0, vcc_lo
	s_cbranch_execnz .LBB216_65
.LBB216_48:
	s_wait_alu 0xfffe
	s_or_b32 exec_lo, exec_lo, s0
	s_and_saveexec_b32 s0, vcc_lo
	s_cbranch_execz .LBB216_50
.LBB216_49:
	ds_load_b32 v7, v5 offset:96
	s_wait_dscnt 0x0
	v_add_f32_e32 v4, v4, v7
.LBB216_50:
	s_wait_alu 0xfffe
	s_or_b32 exec_lo, exec_lo, s0
.LBB216_51:
	s_wait_alu 0xfffe
	s_or_b32 exec_lo, exec_lo, s1
	v_and_b32_e32 v7, 0x3e3, v0
	s_mov_b32 s1, exec_lo
	s_wait_loadcnt 0x0
	s_barrier_signal -1
	s_barrier_wait -1
	global_inv scope:SCOPE_SE
	v_cmpx_eq_u32_e32 32, v7
	s_cbranch_execz .LBB216_53
; %bb.52:
	ds_store_2addr_b32 v6, v1, v2 offset1:8
	ds_store_2addr_b32 v6, v3, v4 offset0:16 offset1:24
.LBB216_53:
	s_wait_alu 0xfffe
	s_or_b32 exec_lo, exec_lo, s1
	s_delay_alu instid0(SALU_CYCLE_1)
	s_mov_b32 s1, exec_lo
	s_wait_loadcnt_dscnt 0x0
	s_barrier_signal -1
	s_barrier_wait -1
	global_inv scope:SCOPE_SE
	v_cmpx_gt_u32_e32 32, v0
	s_cbranch_execz .LBB216_60
; %bb.54:
	s_and_saveexec_b32 s0, vcc_lo
	s_cbranch_execnz .LBB216_66
; %bb.55:
	s_wait_alu 0xfffe
	s_or_b32 exec_lo, exec_lo, s0
	s_and_saveexec_b32 s0, vcc_lo
	s_cbranch_execnz .LBB216_67
.LBB216_56:
	s_wait_alu 0xfffe
	s_or_b32 exec_lo, exec_lo, s0
	s_and_saveexec_b32 s0, vcc_lo
	s_cbranch_execnz .LBB216_68
.LBB216_57:
	s_wait_alu 0xfffe
	s_or_b32 exec_lo, exec_lo, s0
	s_and_saveexec_b32 s0, vcc_lo
	s_cbranch_execz .LBB216_59
.LBB216_58:
	ds_load_b32 v5, v5 offset:96
	s_wait_dscnt 0x0
	v_add_f32_e32 v4, v4, v5
.LBB216_59:
	s_wait_alu 0xfffe
	s_or_b32 exec_lo, exec_lo, s0
.LBB216_60:
	s_wait_alu 0xfffe
	s_or_b32 exec_lo, exec_lo, s1
	s_mov_b32 s1, 0
	s_wait_loadcnt 0x0
	s_barrier_signal -1
	s_barrier_wait -1
	global_inv scope:SCOPE_SE
	s_mov_b32 s0, exec_lo
	v_cmpx_eq_u32_e32 0, v7
	s_cbranch_execz .LBB216_62
; %bb.61:
	s_lshl_b32 s2, s14, 5
	s_mul_i32 s6, s17, s16
	s_wait_alu 0xfffe
	s_ashr_i32 s3, s2, 31
	s_ashr_i32 s7, s6, 31
	s_wait_alu 0xfffe
	s_lshl_b64 s[2:3], s[2:3], 2
	s_lshl_b64 s[6:7], s[6:7], 2
	s_wait_kmcnt 0x0
	s_wait_alu 0xfffe
	s_add_nc_u64 s[2:3], s[4:5], s[2:3]
	s_lshl_b32 s0, s12, 2
	s_wait_alu 0xfffe
	s_add_nc_u64 s[2:3], s[2:3], s[6:7]
	s_wait_alu 0xfffe
	s_add_nc_u64 s[0:1], s[2:3], s[0:1]
	s_clause 0x3
	global_store_b32 v0, v1, s[0:1]
	global_store_b32 v0, v2, s[0:1] offset:32
	global_store_b32 v0, v3, s[0:1] offset:64
	;; [unrolled: 1-line block ×3, first 2 shown]
.LBB216_62:
	s_endpgm
.LBB216_63:
	ds_load_b32 v7, v5
	s_wait_dscnt 0x0
	v_add_f32_e32 v1, v1, v7
	s_wait_alu 0xfffe
	s_or_b32 exec_lo, exec_lo, s0
	s_and_saveexec_b32 s0, vcc_lo
	s_cbranch_execz .LBB216_47
.LBB216_64:
	ds_load_b32 v7, v5 offset:32
	s_wait_dscnt 0x0
	v_add_f32_e32 v2, v2, v7
	s_wait_alu 0xfffe
	s_or_b32 exec_lo, exec_lo, s0
	s_and_saveexec_b32 s0, vcc_lo
	s_cbranch_execz .LBB216_48
.LBB216_65:
	ds_load_b32 v7, v5 offset:64
	s_wait_dscnt 0x0
	v_add_f32_e32 v3, v3, v7
	s_wait_alu 0xfffe
	s_or_b32 exec_lo, exec_lo, s0
	s_and_saveexec_b32 s0, vcc_lo
	s_cbranch_execnz .LBB216_49
	s_branch .LBB216_50
.LBB216_66:
	ds_load_b32 v6, v5
	s_wait_dscnt 0x0
	v_add_f32_e32 v1, v1, v6
	s_wait_alu 0xfffe
	s_or_b32 exec_lo, exec_lo, s0
	s_and_saveexec_b32 s0, vcc_lo
	s_cbranch_execz .LBB216_56
.LBB216_67:
	ds_load_b32 v6, v5 offset:32
	s_wait_dscnt 0x0
	v_add_f32_e32 v2, v2, v6
	s_wait_alu 0xfffe
	s_or_b32 exec_lo, exec_lo, s0
	s_and_saveexec_b32 s0, vcc_lo
	s_cbranch_execz .LBB216_57
.LBB216_68:
	ds_load_b32 v6, v5 offset:64
	s_wait_dscnt 0x0
	v_add_f32_e32 v3, v3, v6
	s_wait_alu 0xfffe
	s_or_b32 exec_lo, exec_lo, s0
	s_and_saveexec_b32 s0, vcc_lo
	s_cbranch_execnz .LBB216_58
	s_branch .LBB216_59
	.section	.rodata,"a",@progbits
	.p2align	6, 0x0
	.amdhsa_kernel _ZN4vllm25paged_attention_v2_kernelIfhLi32ELi16ELi128ELNS_18Fp8KVCacheDataTypeE1ELb0ELi512EEEvPfS2_PT_PKS3_PKT0_S9_ifPKiSB_iPKfiiiSD_SD_iiiii
		.amdhsa_group_segment_fixed_size 160
		.amdhsa_private_segment_fixed_size 0
		.amdhsa_kernarg_size 400
		.amdhsa_user_sgpr_count 2
		.amdhsa_user_sgpr_dispatch_ptr 0
		.amdhsa_user_sgpr_queue_ptr 0
		.amdhsa_user_sgpr_kernarg_segment_ptr 1
		.amdhsa_user_sgpr_dispatch_id 0
		.amdhsa_user_sgpr_private_segment_size 0
		.amdhsa_wavefront_size32 1
		.amdhsa_uses_dynamic_stack 0
		.amdhsa_enable_private_segment 0
		.amdhsa_system_sgpr_workgroup_id_x 1
		.amdhsa_system_sgpr_workgroup_id_y 1
		.amdhsa_system_sgpr_workgroup_id_z 1
		.amdhsa_system_sgpr_workgroup_info 0
		.amdhsa_system_vgpr_workitem_id 0
		.amdhsa_next_free_vgpr 47
		.amdhsa_next_free_sgpr 38
		.amdhsa_reserve_vcc 1
		.amdhsa_float_round_mode_32 0
		.amdhsa_float_round_mode_16_64 0
		.amdhsa_float_denorm_mode_32 3
		.amdhsa_float_denorm_mode_16_64 3
		.amdhsa_fp16_overflow 0
		.amdhsa_workgroup_processor_mode 1
		.amdhsa_memory_ordered 1
		.amdhsa_forward_progress 1
		.amdhsa_inst_pref_size 37
		.amdhsa_round_robin_scheduling 0
		.amdhsa_exception_fp_ieee_invalid_op 0
		.amdhsa_exception_fp_denorm_src 0
		.amdhsa_exception_fp_ieee_div_zero 0
		.amdhsa_exception_fp_ieee_overflow 0
		.amdhsa_exception_fp_ieee_underflow 0
		.amdhsa_exception_fp_ieee_inexact 0
		.amdhsa_exception_int_div_zero 0
	.end_amdhsa_kernel
	.section	.text._ZN4vllm25paged_attention_v2_kernelIfhLi32ELi16ELi128ELNS_18Fp8KVCacheDataTypeE1ELb0ELi512EEEvPfS2_PT_PKS3_PKT0_S9_ifPKiSB_iPKfiiiSD_SD_iiiii,"axG",@progbits,_ZN4vllm25paged_attention_v2_kernelIfhLi32ELi16ELi128ELNS_18Fp8KVCacheDataTypeE1ELb0ELi512EEEvPfS2_PT_PKS3_PKT0_S9_ifPKiSB_iPKfiiiSD_SD_iiiii,comdat
.Lfunc_end216:
	.size	_ZN4vllm25paged_attention_v2_kernelIfhLi32ELi16ELi128ELNS_18Fp8KVCacheDataTypeE1ELb0ELi512EEEvPfS2_PT_PKS3_PKT0_S9_ifPKiSB_iPKfiiiSD_SD_iiiii, .Lfunc_end216-_ZN4vllm25paged_attention_v2_kernelIfhLi32ELi16ELi128ELNS_18Fp8KVCacheDataTypeE1ELb0ELi512EEEvPfS2_PT_PKS3_PKT0_S9_ifPKiSB_iPKfiiiSD_SD_iiiii
                                        ; -- End function
	.set _ZN4vllm25paged_attention_v2_kernelIfhLi32ELi16ELi128ELNS_18Fp8KVCacheDataTypeE1ELb0ELi512EEEvPfS2_PT_PKS3_PKT0_S9_ifPKiSB_iPKfiiiSD_SD_iiiii.num_vgpr, 47
	.set _ZN4vllm25paged_attention_v2_kernelIfhLi32ELi16ELi128ELNS_18Fp8KVCacheDataTypeE1ELb0ELi512EEEvPfS2_PT_PKS3_PKT0_S9_ifPKiSB_iPKfiiiSD_SD_iiiii.num_agpr, 0
	.set _ZN4vllm25paged_attention_v2_kernelIfhLi32ELi16ELi128ELNS_18Fp8KVCacheDataTypeE1ELb0ELi512EEEvPfS2_PT_PKS3_PKT0_S9_ifPKiSB_iPKfiiiSD_SD_iiiii.numbered_sgpr, 38
	.set _ZN4vllm25paged_attention_v2_kernelIfhLi32ELi16ELi128ELNS_18Fp8KVCacheDataTypeE1ELb0ELi512EEEvPfS2_PT_PKS3_PKT0_S9_ifPKiSB_iPKfiiiSD_SD_iiiii.num_named_barrier, 0
	.set _ZN4vllm25paged_attention_v2_kernelIfhLi32ELi16ELi128ELNS_18Fp8KVCacheDataTypeE1ELb0ELi512EEEvPfS2_PT_PKS3_PKT0_S9_ifPKiSB_iPKfiiiSD_SD_iiiii.private_seg_size, 0
	.set _ZN4vllm25paged_attention_v2_kernelIfhLi32ELi16ELi128ELNS_18Fp8KVCacheDataTypeE1ELb0ELi512EEEvPfS2_PT_PKS3_PKT0_S9_ifPKiSB_iPKfiiiSD_SD_iiiii.uses_vcc, 1
	.set _ZN4vllm25paged_attention_v2_kernelIfhLi32ELi16ELi128ELNS_18Fp8KVCacheDataTypeE1ELb0ELi512EEEvPfS2_PT_PKS3_PKT0_S9_ifPKiSB_iPKfiiiSD_SD_iiiii.uses_flat_scratch, 0
	.set _ZN4vllm25paged_attention_v2_kernelIfhLi32ELi16ELi128ELNS_18Fp8KVCacheDataTypeE1ELb0ELi512EEEvPfS2_PT_PKS3_PKT0_S9_ifPKiSB_iPKfiiiSD_SD_iiiii.has_dyn_sized_stack, 0
	.set _ZN4vllm25paged_attention_v2_kernelIfhLi32ELi16ELi128ELNS_18Fp8KVCacheDataTypeE1ELb0ELi512EEEvPfS2_PT_PKS3_PKT0_S9_ifPKiSB_iPKfiiiSD_SD_iiiii.has_recursion, 0
	.set _ZN4vllm25paged_attention_v2_kernelIfhLi32ELi16ELi128ELNS_18Fp8KVCacheDataTypeE1ELb0ELi512EEEvPfS2_PT_PKS3_PKT0_S9_ifPKiSB_iPKfiiiSD_SD_iiiii.has_indirect_call, 0
	.section	.AMDGPU.csdata,"",@progbits
; Kernel info:
; codeLenInByte = 4720
; TotalNumSgprs: 40
; NumVgprs: 47
; ScratchSize: 0
; MemoryBound: 0
; FloatMode: 240
; IeeeMode: 1
; LDSByteSize: 160 bytes/workgroup (compile time only)
; SGPRBlocks: 0
; VGPRBlocks: 5
; NumSGPRsForWavesPerEU: 40
; NumVGPRsForWavesPerEU: 47
; Occupancy: 16
; WaveLimiterHint : 1
; COMPUTE_PGM_RSRC2:SCRATCH_EN: 0
; COMPUTE_PGM_RSRC2:USER_SGPR: 2
; COMPUTE_PGM_RSRC2:TRAP_HANDLER: 0
; COMPUTE_PGM_RSRC2:TGID_X_EN: 1
; COMPUTE_PGM_RSRC2:TGID_Y_EN: 1
; COMPUTE_PGM_RSRC2:TGID_Z_EN: 1
; COMPUTE_PGM_RSRC2:TIDIG_COMP_CNT: 0
	.section	.text._ZN4vllm25paged_attention_v2_kernelIfhLi64ELi16ELi128ELNS_18Fp8KVCacheDataTypeE1ELb0ELi512EEEvPfS2_PT_PKS3_PKT0_S9_ifPKiSB_iPKfiiiSD_SD_iiiii,"axG",@progbits,_ZN4vllm25paged_attention_v2_kernelIfhLi64ELi16ELi128ELNS_18Fp8KVCacheDataTypeE1ELb0ELi512EEEvPfS2_PT_PKS3_PKT0_S9_ifPKiSB_iPKfiiiSD_SD_iiiii,comdat
	.protected	_ZN4vllm25paged_attention_v2_kernelIfhLi64ELi16ELi128ELNS_18Fp8KVCacheDataTypeE1ELb0ELi512EEEvPfS2_PT_PKS3_PKT0_S9_ifPKiSB_iPKfiiiSD_SD_iiiii ; -- Begin function _ZN4vllm25paged_attention_v2_kernelIfhLi64ELi16ELi128ELNS_18Fp8KVCacheDataTypeE1ELb0ELi512EEEvPfS2_PT_PKS3_PKT0_S9_ifPKiSB_iPKfiiiSD_SD_iiiii
	.globl	_ZN4vllm25paged_attention_v2_kernelIfhLi64ELi16ELi128ELNS_18Fp8KVCacheDataTypeE1ELb0ELi512EEEvPfS2_PT_PKS3_PKT0_S9_ifPKiSB_iPKfiiiSD_SD_iiiii
	.p2align	8
	.type	_ZN4vllm25paged_attention_v2_kernelIfhLi64ELi16ELi128ELNS_18Fp8KVCacheDataTypeE1ELb0ELi512EEEvPfS2_PT_PKS3_PKT0_S9_ifPKiSB_iPKfiiiSD_SD_iiiii,@function
_ZN4vllm25paged_attention_v2_kernelIfhLi64ELi16ELi128ELNS_18Fp8KVCacheDataTypeE1ELb0ELi512EEEvPfS2_PT_PKS3_PKT0_S9_ifPKiSB_iPKfiiiSD_SD_iiiii: ; @_ZN4vllm25paged_attention_v2_kernelIfhLi64ELi16ELi128ELNS_18Fp8KVCacheDataTypeE1ELb0ELi512EEEvPfS2_PT_PKS3_PKT0_S9_ifPKiSB_iPKfiiiSD_SD_iiiii
; %bb.0:
	s_load_b64 s[2:3], s[0:1], 0x40
	s_and_b32 s29, ttmp7, 0xffff
	s_lshr_b32 s26, ttmp7, 16
	s_lshl_b32 s4, s29, 2
	s_lshl_b32 s28, s26, 9
	s_wait_kmcnt 0x0
	s_load_b32 s27, s[2:3], s4 offset:0x0
	s_wait_kmcnt 0x0
	s_cmp_ge_i32 s28, s27
	s_cbranch_scc1 .LBB217_78
; %bb.1:
	s_clause 0x1
	s_load_b32 s30, s[0:1], 0x90
	s_load_b64 s[6:7], s[0:1], 0x30
	s_wait_kmcnt 0x0
	s_abs_i32 s5, s30
	s_abs_i32 s2, s6
	s_delay_alu instid0(SALU_CYCLE_1) | instskip(SKIP_1) | instid1(SALU_CYCLE_2)
	s_cvt_f32_u32 s3, s2
	s_sub_co_i32 s4, 0, s2
	v_rcp_iflag_f32_e32 v1, s3
	s_delay_alu instid0(TRANS32_DEP_1) | instskip(SKIP_2) | instid1(SALU_CYCLE_2)
	v_readfirstlane_b32 s3, v1
	s_mul_f32 s3, s3, 0x4f7ffffe
	s_wait_alu 0xfffe
	s_cvt_u32_f32 s3, s3
	s_wait_alu 0xfffe
	s_delay_alu instid0(SALU_CYCLE_2) | instskip(NEXT) | instid1(SALU_CYCLE_1)
	s_mul_i32 s4, s4, s3
	s_mul_hi_u32 s4, s3, s4
	s_delay_alu instid0(SALU_CYCLE_1)
	s_add_co_i32 s3, s3, s4
	s_xor_b32 s4, s30, s6
	s_wait_alu 0xfffe
	s_mul_hi_u32 s3, s5, s3
	s_ashr_i32 s4, s4, 31
	s_wait_alu 0xfffe
	s_mul_i32 s6, s3, s2
	s_delay_alu instid0(SALU_CYCLE_1)
	s_sub_co_i32 s5, s5, s6
	s_add_co_i32 s6, s3, 1
	s_sub_co_i32 s8, s5, s2
	s_cmp_ge_u32 s5, s2
	s_cselect_b32 s3, s6, s3
	s_cselect_b32 s5, s8, s5
	s_wait_alu 0xfffe
	s_add_co_i32 s6, s3, 1
	s_cmp_ge_u32 s5, s2
	s_load_b64 s[8:9], s[0:1], 0x50
	s_cselect_b32 s2, s6, s3
	s_mov_b32 s5, 0
	s_wait_alu 0xfffe
	s_xor_b32 s2, s2, s4
	s_mov_b32 s12, s5
	s_wait_alu 0xfffe
	s_sub_co_i32 s10, s2, s4
	s_abs_i32 s4, ttmp9
	s_abs_i32 s6, s10
	s_delay_alu instid0(SALU_CYCLE_1) | instskip(SKIP_2) | instid1(SALU_CYCLE_1)
	s_cvt_f32_u32 s2, s6
	s_sub_co_i32 s3, 0, s6
	s_wait_alu 0xfffe
	v_rcp_iflag_f32_e32 v1, s2
	s_delay_alu instid0(TRANS32_DEP_1) | instskip(SKIP_2) | instid1(SALU_CYCLE_2)
	v_readfirstlane_b32 s2, v1
	s_mul_f32 s2, s2, 0x4f7ffffe
	s_wait_alu 0xfffe
	s_cvt_u32_f32 s2, s2
	s_wait_alu 0xfffe
	s_delay_alu instid0(SALU_CYCLE_2)
	s_mul_i32 s3, s3, s2
	s_wait_alu 0xfffe
	s_mul_hi_u32 s3, s2, s3
	s_wait_alu 0xfffe
	s_add_co_i32 s2, s2, s3
	s_mov_b32 s3, s5
	s_wait_kmcnt 0x0
	s_cmp_eq_u64 s[8:9], 0
	s_cbranch_scc1 .LBB217_3
; %bb.2:
	s_mov_b32 s12, ttmp9
	s_ashr_i32 s13, ttmp9, 31
	s_delay_alu instid0(SALU_CYCLE_1) | instskip(NEXT) | instid1(SALU_CYCLE_1)
	s_lshl_b64 s[12:13], s[12:13], 2
	s_add_nc_u64 s[8:9], s[8:9], s[12:13]
	s_load_b32 s12, s[8:9], 0x0
.LBB217_3:
	s_load_b96 s[16:18], s[0:1], 0x58
	s_mul_u64 s[2:3], s[4:5], s[2:3]
	v_and_b32_e32 v33, 1, v0
	v_cmp_gt_u32_e64 s2, 32, v0
	v_lshlrev_b32_e32 v39, 2, v0
	s_ashr_i32 s5, ttmp9, 31
	s_ashr_i32 s8, s10, 31
	s_lshl_b32 s20, ttmp9, 6
	s_wait_alu 0xfffe
	s_and_saveexec_b32 s9, s2
	s_cbranch_execz .LBB217_5
; %bb.4:
	s_load_b64 s[10:11], s[0:1], 0x18
	s_wait_kmcnt 0x0
	s_mul_i32 s14, s16, s29
	s_ashr_i32 s21, s20, 31
	s_ashr_i32 s15, s14, 31
	v_lshlrev_b32_e32 v1, 3, v0
	s_lshl_b64 s[14:15], s[14:15], 2
	v_and_b32_e32 v3, 0xff8, v39
	s_delay_alu instid0(VALU_DEP_1) | instskip(SKIP_2) | instid1(SALU_CYCLE_1)
	v_lshl_add_u32 v3, v33, 7, v3
	s_add_nc_u64 s[10:11], s[10:11], s[14:15]
	s_lshl_b64 s[14:15], s[20:21], 2
	s_add_nc_u64 s[10:11], s[10:11], s[14:15]
	global_load_b64 v[1:2], v1, s[10:11]
	s_wait_loadcnt 0x0
	ds_store_b64 v3, v[1:2]
.LBB217_5:
	s_or_b32 exec_lo, exec_lo, s9
	s_add_co_i32 s9, s27, 15
	s_xor_b32 s5, s5, s8
	s_ashr_i32 s10, s9, 31
	s_lshl_b32 s33, s26, 5
	s_lshr_b32 s8, s10, 28
	s_mul_i32 s10, s3, s6
	s_add_co_i32 s9, s9, s8
	s_add_co_i32 s8, s33, 32
	s_ashr_i32 s31, s9, 4
	s_load_b32 s9, s[0:1], 0x48
	s_sub_co_i32 s4, s4, s10
	s_min_i32 s21, s8, s31
	s_add_co_i32 s8, s3, 1
	s_sub_co_i32 s10, s4, s6
	s_cmp_ge_u32 s4, s6
	v_lshrrev_b32_e32 v37, 5, v0
	s_cselect_b32 s3, s8, s3
	s_cselect_b32 s4, s10, s4
	s_wait_alu 0xfffe
	s_add_co_i32 s8, s3, 1
	s_cmp_ge_u32 s4, s6
	v_or_b32_e32 v38, s33, v37
	s_cselect_b32 s3, s8, s3
	v_mbcnt_lo_u32_b32 v41, -1, 0
	s_wait_alu 0xfffe
	s_xor_b32 s3, s3, s5
	s_wait_dscnt 0x0
	s_wait_alu 0xfffe
	s_sub_co_i32 s4, s3, s5
	v_cmp_gt_i32_e64 s3, s21, v38
	s_mov_b32 s5, exec_lo
	s_barrier_signal -1
	s_wait_kmcnt 0x0
	s_mul_i32 s22, s9, s29
	s_barrier_wait -1
	s_ashr_i32 s23, s22, 31
	global_inv scope:SCOPE_SE
                                        ; implicit-def: $vgpr42
                                        ; implicit-def: $vgpr43
	v_cmpx_le_i32_e64 s21, v38
	s_xor_b32 s5, exec_lo, s5
; %bb.6:
	v_dual_mov_b32 v42, 0 :: v_dual_mov_b32 v43, 32
	v_mbcnt_lo_u32_b32 v41, -1, 0
                                        ; implicit-def: $vgpr33
; %bb.7:
	s_or_saveexec_b32 s13, s5
	s_clause 0x2
	s_load_b32 s16, s[0:1], 0x98
	s_load_b64 s[24:25], s[0:1], 0x38
	s_load_b128 s[8:11], s[0:1], 0x68
	v_mov_b32_e32 v44, 0xff7fffff
	v_lshlrev_b32_e32 v40, 2, v38
	s_mul_i32 s18, s4, s18
	s_xor_b32 exec_lo, exec_lo, s13
	s_cbranch_execz .LBB217_13
; %bb.8:
	s_load_b64 s[4:5], s[0:1], 0x20
	v_bfe_u32 v35, v0, 1, 4
	v_xor_b32_e32 v25, 1, v41
	v_dual_mov_b32 v42, 0 :: v_dual_lshlrev_b32 v29, 7, v33
	s_ashr_i32 s19, s18, 31
	s_delay_alu instid0(VALU_DEP_3) | instskip(NEXT) | instid1(VALU_DEP_3)
	v_lshlrev_b32_e32 v26, 4, v35
	v_cmp_gt_i32_e32 vcc_lo, 32, v25
	ds_load_b128 v[1:4], v29
	ds_load_b128 v[5:8], v29 offset:16
	ds_load_b128 v[9:12], v29 offset:32
	;; [unrolled: 1-line block ×5, first 2 shown]
	s_cmp_neq_f32 s12, 0
	v_dual_mov_b32 v43, 32 :: v_dual_lshlrev_b32 v34, 1, v33
	v_cndmask_b32_e32 v36, v41, v25, vcc_lo
	v_dual_mov_b32 v48, v38 :: v_dual_lshlrev_b32 v47, 4, v37
	v_cmp_eq_u32_e32 vcc_lo, 0, v33
	s_mov_b32 s14, s17
	s_delay_alu instid0(VALU_DEP_3) | instskip(SKIP_3) | instid1(SALU_CYCLE_1)
	v_lshlrev_b32_e32 v45, 2, v36
	v_lshlrev_b32_e32 v36, 2, v35
	s_wait_kmcnt 0x0
	s_add_nc_u64 s[4:5], s[4:5], s[18:19]
	v_add_co_u32 v44, s4, s4, v26
	ds_load_b128 v[25:28], v29 offset:96
	ds_load_b128 v[29:32], v29 offset:112
	s_load_b32 s8, s[8:9], 0x0
	v_add_co_ci_u32_e64 v46, null, s5, 0, s4
	s_cselect_b32 s4, -1, 0
	s_lshl_b64 s[34:35], s[22:23], 2
	v_lshl_or_b32 v36, v37, 6, v36
	v_add_co_u32 v33, s5, v44, v34
	s_add_nc_u64 s[34:35], s[24:25], s[34:35]
	s_wait_alu 0xf1ff
	v_add_co_ci_u32_e64 v34, null, 0, v46, s5
	v_add3_u32 v46, s28, v47, v35
	v_add_co_u32 v35, s5, s34, v40
	v_add_nc_u32_e32 v47, 0x120, v36
	s_wait_alu 0xf1ff
	v_add_co_ci_u32_e64 v36, null, s35, 0, s5
	v_mov_b32_e32 v44, 0xff7fffff
	s_mov_b32 s9, 0
	s_sub_co_i32 s19, 1, s27
	s_wait_kmcnt 0x0
	s_mov_b32 s15, s8
	s_branch .LBB217_10
.LBB217_9:                              ;   in Loop: Header=BB217_10 Depth=1
	s_wait_alu 0xfffe
	s_or_b32 exec_lo, exec_lo, s6
	v_add_nc_u32_e32 v48, 4, v48
	v_add_co_u32 v35, s6, v35, 16
	v_add_nc_u32_e32 v46, 64, v46
	v_add_nc_u32_e32 v47, 0x100, v47
	s_delay_alu instid0(VALU_DEP_4)
	v_cmp_le_i32_e64 s5, s21, v48
	s_wait_alu 0xf1ff
	v_add_co_ci_u32_e64 v36, null, 0, v36, s6
	s_or_b32 s9, s5, s9
	s_wait_alu 0xfffe
	s_and_not1_b32 exec_lo, exec_lo, s9
	s_cbranch_execz .LBB217_12
.LBB217_10:                             ; =>This Inner Loop Header: Depth=1
	global_load_b32 v49, v[35:36], off
	s_wait_loadcnt_dscnt 0x0
	v_mad_co_i64_i32 v[49:50], null, v49, s14, v[33:34]
	s_clause 0xf
	global_load_u16 v51, v[49:50], off offset:4
	global_load_u16 v52, v[49:50], off
	global_load_u16 v53, v[49:50], off offset:8
	global_load_u16 v54, v[49:50], off offset:12
	;; [unrolled: 1-line block ×14, first 2 shown]
	s_wait_loadcnt 0xf
	v_cvt_pk_f32_fp8_e32 v[49:50], v51
	s_wait_loadcnt 0xe
	v_cvt_pk_f32_fp8_e32 v[51:52], v52
	s_delay_alu instid0(VALU_DEP_2) | instskip(SKIP_2) | instid1(VALU_DEP_3)
	v_dual_mul_f32 v67, s8, v49 :: v_dual_mul_f32 v68, s15, v50
	s_wait_loadcnt 0xd
	v_cvt_pk_f32_fp8_e32 v[49:50], v53
	v_mul_f32_e32 v53, s15, v52
	v_mul_f32_e32 v69, s8, v51
	s_wait_dscnt 0x7
	v_dual_mul_f32 v67, v3, v67 :: v_dual_mul_f32 v68, v4, v68
	s_wait_loadcnt 0xc
	v_cvt_pk_f32_fp8_e32 v[51:52], v54
	v_mul_f32_e32 v54, s15, v50
	v_mul_f32_e32 v70, s8, v49
	s_wait_loadcnt 0xb
	v_cvt_pk_f32_fp8_e32 v[49:50], v55
	v_dual_fmac_f32 v68, v2, v53 :: v_dual_mul_f32 v53, s15, v52
	v_fmac_f32_e32 v67, v1, v69
	v_mul_f32_e32 v55, s8, v51
	s_wait_loadcnt 0xa
	v_cvt_pk_f32_fp8_e32 v[51:52], v56
	s_wait_dscnt 0x6
	v_fmac_f32_e32 v68, v6, v54
	v_mul_f32_e32 v54, s15, v50
	v_dual_fmac_f32 v67, v5, v70 :: v_dual_mul_f32 v56, s8, v49
	s_wait_loadcnt 0x9
	v_cvt_pk_f32_fp8_e32 v[49:50], v57
	v_dual_fmac_f32 v68, v8, v53 :: v_dual_mul_f32 v53, s15, v52
	s_delay_alu instid0(VALU_DEP_3)
	v_fmac_f32_e32 v67, v7, v55
	v_mul_f32_e32 v55, s8, v51
	s_wait_loadcnt 0x8
	v_cvt_pk_f32_fp8_e32 v[51:52], v58
	s_wait_dscnt 0x5
	v_fmac_f32_e32 v68, v10, v54
	v_dual_mul_f32 v54, s15, v50 :: v_dual_fmac_f32 v67, v9, v56
	v_mul_f32_e32 v56, s8, v49
	s_wait_loadcnt 0x7
	v_cvt_pk_f32_fp8_e32 v[49:50], v59
	v_dual_fmac_f32 v68, v12, v53 :: v_dual_mul_f32 v53, s15, v52
	v_fmac_f32_e32 v67, v11, v55
	v_mul_f32_e32 v55, s8, v51
	s_wait_loadcnt 0x6
	v_cvt_pk_f32_fp8_e32 v[51:52], v60
	s_wait_dscnt 0x4
	v_fmac_f32_e32 v68, v14, v54
	v_dual_mul_f32 v54, s15, v50 :: v_dual_fmac_f32 v67, v13, v56
	v_mul_f32_e32 v56, s8, v49
	s_wait_loadcnt 0x5
	v_cvt_pk_f32_fp8_e32 v[49:50], v61
	v_dual_fmac_f32 v68, v16, v53 :: v_dual_mul_f32 v53, s15, v52
	;; [unrolled: 11-line block ×4, first 2 shown]
	v_fmac_f32_e32 v67, v23, v55
	s_delay_alu instid0(VALU_DEP_3) | instskip(SKIP_1) | instid1(VALU_DEP_3)
	v_dual_mul_f32 v55, s8, v51 :: v_dual_mul_f32 v50, s15, v50
	s_wait_dscnt 0x1
	v_fmac_f32_e32 v68, v26, v54
	s_wait_loadcnt 0x0
	v_cvt_pk_f32_fp8_e32 v[51:52], v66
	v_fmac_f32_e32 v67, v25, v56
	v_mul_f32_e32 v49, s8, v49
	v_fmac_f32_e32 v68, v28, v53
	s_delay_alu instid0(VALU_DEP_3) | instskip(SKIP_1) | instid1(VALU_DEP_2)
	v_dual_mul_f32 v52, s15, v52 :: v_dual_fmac_f32 v67, v27, v55
	s_wait_dscnt 0x0
	v_dual_fmac_f32 v68, v30, v50 :: v_dual_mul_f32 v51, s8, v51
	s_delay_alu instid0(VALU_DEP_1) | instskip(NEXT) | instid1(VALU_DEP_1)
	v_dual_fmac_f32 v67, v29, v49 :: v_dual_fmac_f32 v68, v32, v52
	v_fmac_f32_e32 v67, v31, v51
	s_delay_alu instid0(VALU_DEP_1)
	v_add_f32_e32 v49, v67, v68
	ds_bpermute_b32 v50, v45, v49
	s_and_saveexec_b32 s6, vcc_lo
	s_cbranch_execz .LBB217_9
; %bb.11:                               ;   in Loop: Header=BB217_10 Depth=1
	s_wait_dscnt 0x0
	v_add_f32_e32 v49, v49, v50
	v_add_nc_u32_e32 v51, s19, v46
	v_cmp_gt_i32_e64 s5, s27, v46
	s_delay_alu instid0(VALU_DEP_2) | instskip(NEXT) | instid1(VALU_DEP_1)
	v_cvt_f32_i32_e32 v51, v51
	v_mul_f32_e32 v51, s12, v51
	s_wait_alu 0xfffe
	s_delay_alu instid0(VALU_DEP_1) | instskip(NEXT) | instid1(VALU_DEP_1)
	v_cndmask_b32_e64 v50, 0, v51, s4
	v_dual_max_num_f32 v51, v44, v44 :: v_dual_fmac_f32 v50, s7, v49
	s_delay_alu instid0(VALU_DEP_1) | instskip(SKIP_2) | instid1(VALU_DEP_2)
	v_max_num_f32_e32 v49, v51, v50
	s_wait_alu 0xf1ff
	v_cndmask_b32_e64 v50, 0, v50, s5
	v_cndmask_b32_e64 v44, v44, v49, s5
	ds_store_b32 v47, v50
	s_branch .LBB217_9
.LBB217_12:
	s_or_b32 exec_lo, exec_lo, s9
.LBB217_13:
	s_delay_alu instid0(SALU_CYCLE_1)
	s_or_b32 exec_lo, exec_lo, s13
	v_xor_b32_e32 v1, 16, v41
	v_xor_b32_e32 v3, 8, v41
	;; [unrolled: 1-line block ×3, first 2 shown]
	s_clause 0x1
	s_load_b128 s[12:15], s[0:1], 0x0
	s_load_b64 s[6:7], s[0:1], 0x10
	s_wait_kmcnt 0x0
	s_load_b64 s[8:9], s[0:1], 0x28
	v_and_b32_e32 v11, 31, v0
	v_cmp_lt_i32_e32 vcc_lo, v1, v43
	v_max_num_f32_e32 v5, v44, v44
	s_wait_alu 0xfffd
	v_cndmask_b32_e32 v1, v41, v1, vcc_lo
	v_cmp_lt_i32_e32 vcc_lo, v3, v43
	s_wait_alu 0xfffd
	v_cndmask_b32_e32 v3, v41, v3, vcc_lo
	s_delay_alu instid0(VALU_DEP_1) | instskip(SKIP_4) | instid1(VALU_DEP_1)
	v_lshlrev_b32_e32 v4, 2, v3
	v_lshlrev_b32_e32 v2, 2, v1
	ds_bpermute_b32 v1, v2, v44
	s_wait_dscnt 0x0
	v_max_num_f32_e32 v1, v1, v1
	v_max_num_f32_e32 v1, v5, v1
	v_xor_b32_e32 v5, 4, v41
	ds_bpermute_b32 v3, v4, v1
	v_cmp_lt_i32_e32 vcc_lo, v5, v43
	s_wait_alu 0xfffd
	v_cndmask_b32_e32 v5, v41, v5, vcc_lo
	v_cmp_lt_i32_e32 vcc_lo, v6, v43
	s_wait_alu 0xfffd
	s_delay_alu instid0(VALU_DEP_2) | instskip(SKIP_1) | instid1(VALU_DEP_2)
	v_dual_cndmask_b32 v6, v41, v6 :: v_dual_lshlrev_b32 v5, 2, v5
	v_cmp_eq_u32_e32 vcc_lo, 0, v11
	v_lshlrev_b32_e32 v12, 2, v6
	s_wait_dscnt 0x0
	v_dual_max_num_f32 v3, v3, v3 :: v_dual_lshlrev_b32 v6, 2, v37
	s_delay_alu instid0(VALU_DEP_1) | instskip(SKIP_3) | instid1(VALU_DEP_1)
	v_max_num_f32_e32 v1, v1, v3
	ds_bpermute_b32 v3, v5, v1
	s_wait_dscnt 0x0
	v_max_num_f32_e32 v3, v3, v3
	v_max_num_f32_e32 v1, v1, v3
	ds_bpermute_b32 v3, v12, v1
	s_and_saveexec_b32 s0, vcc_lo
	s_cbranch_execz .LBB217_15
; %bb.14:
	s_wait_dscnt 0x0
	v_max_num_f32_e32 v3, v3, v3
	v_max_num_f32_e32 v1, v1, v1
	s_delay_alu instid0(VALU_DEP_1)
	v_max_num_f32_e32 v1, v1, v3
	ds_store_b32 v6, v1 offset:256
.LBB217_15:
	s_or_b32 exec_lo, exec_lo, s0
	v_cmp_gt_u32_e64 s0, 4, v11
	v_mov_b32_e32 v1, 0xff7fffff
	v_lshlrev_b32_e32 v7, 2, v11
	s_wait_loadcnt_dscnt 0x0
	s_barrier_signal -1
	s_barrier_wait -1
	global_inv scope:SCOPE_SE
	s_and_saveexec_b32 s1, s0
; %bb.16:
	ds_load_b32 v1, v7 offset:256
; %bb.17:
	s_or_b32 exec_lo, exec_lo, s1
	s_wait_dscnt 0x0
	ds_bpermute_b32 v3, v12, v1
	v_xor_b32_e32 v8, 1, v41
	v_max_num_f32_e32 v1, v1, v1
	s_delay_alu instid0(VALU_DEP_2) | instskip(NEXT) | instid1(VALU_DEP_1)
	v_cmp_lt_i32_e64 s1, v8, v43
	v_cndmask_b32_e64 v8, v41, v8, s1
	s_sub_co_i32 s1, s21, s33
	s_wait_alu 0xfffe
	s_lshl_b32 s1, s1, 4
	s_delay_alu instid0(VALU_DEP_1)
	v_dual_mov_b32 v8, 0 :: v_dual_lshlrev_b32 v13, 2, v8
	s_wait_alu 0xfffe
	s_add_co_i32 s1, s1, s28
	s_wait_alu 0xfffe
	s_min_i32 s1, s1, s27
	s_wait_dscnt 0x0
	v_max_num_f32_e32 v3, v3, v3
	s_wait_alu 0xfffe
	s_sub_co_i32 s5, s1, s28
	s_wait_alu 0xfffe
	v_cmp_gt_i32_e64 s1, s5, v0
	v_max_num_f32_e32 v1, v1, v3
	ds_bpermute_b32 v3, v13, v1
	s_wait_dscnt 0x0
	v_max_num_f32_e32 v3, v3, v3
	s_delay_alu instid0(VALU_DEP_1)
	v_max_num_f32_e32 v1, v1, v3
	v_lshlrev_b32_e32 v3, 2, v42
	ds_bpermute_b32 v1, v3, v1
	v_lshl_add_u32 v3, v0, 2, 0x120
	s_and_saveexec_b32 s19, s1
	s_cbranch_execz .LBB217_21
; %bb.18:
	v_lshl_add_u32 v9, v0, 2, 0x120
	v_mov_b32_e32 v8, 0
	v_mov_b32_e32 v10, v0
	s_mov_b32 s33, 0
.LBB217_19:                             ; =>This Inner Loop Header: Depth=1
	ds_load_b32 v14, v9
	v_add_nc_u32_e32 v10, 0x80, v10
	s_delay_alu instid0(VALU_DEP_1) | instskip(SKIP_4) | instid1(VALU_DEP_1)
	v_cmp_le_i32_e64 s4, s5, v10
	s_wait_alu 0xfffe
	s_or_b32 s33, s4, s33
	s_wait_dscnt 0x0
	v_sub_f32_e32 v14, v14, v1
	v_mul_f32_e32 v14, 0x3fb8aa3b, v14
	s_delay_alu instid0(VALU_DEP_1)
	v_exp_f32_e32 v14, v14
	ds_store_b32 v9, v14
	v_dual_add_f32 v8, v8, v14 :: v_dual_add_nc_u32 v9, 0x200, v9
	s_wait_alu 0xfffe
	s_and_not1_b32 exec_lo, exec_lo, s33
	s_cbranch_execnz .LBB217_19
; %bb.20:
	s_or_b32 exec_lo, exec_lo, s33
.LBB217_21:
	s_wait_alu 0xfffe
	s_or_b32 exec_lo, exec_lo, s19
	ds_bpermute_b32 v2, v2, v8
	s_wait_dscnt 0x0
	v_add_f32_e32 v2, v8, v2
	ds_bpermute_b32 v4, v4, v2
	s_wait_dscnt 0x0
	v_add_f32_e32 v2, v2, v4
	;; [unrolled: 3-line block ×5, first 2 shown]
	s_and_saveexec_b32 s4, vcc_lo
; %bb.22:
	ds_store_b32 v6, v2 offset:272
; %bb.23:
	s_wait_alu 0xfffe
	s_or_b32 exec_lo, exec_lo, s4
	s_wait_loadcnt_dscnt 0x0
	s_barrier_signal -1
	s_barrier_wait -1
	global_inv scope:SCOPE_SE
	s_and_saveexec_b32 s4, s0
; %bb.24:
	ds_load_b32 v2, v7 offset:272
; %bb.25:
	s_wait_alu 0xfffe
	s_or_b32 exec_lo, exec_lo, s4
	s_wait_dscnt 0x0
	ds_bpermute_b32 v4, v12, v2
	s_wait_dscnt 0x0
	v_dual_add_f32 v2, v2, v4 :: v_dual_lshlrev_b32 v5, 2, v41
	ds_bpermute_b32 v4, v13, v2
	s_wait_dscnt 0x0
	v_add_f32_e32 v2, v2, v4
	v_and_b32_e32 v4, 0xffffff80, v5
	ds_bpermute_b32 v2, v4, v2
	s_and_saveexec_b32 s0, s1
	s_cbranch_execz .LBB217_28
; %bb.26:
	s_wait_dscnt 0x0
	v_add_f32_e32 v4, 0x358637bd, v2
	s_mov_b32 s1, 0
	s_delay_alu instid0(VALU_DEP_1) | instskip(SKIP_1) | instid1(VALU_DEP_2)
	v_div_scale_f32 v5, null, v4, v4, 1.0
	v_div_scale_f32 v8, vcc_lo, 1.0, v4, 1.0
	v_rcp_f32_e32 v6, v5
	s_delay_alu instid0(TRANS32_DEP_1) | instskip(NEXT) | instid1(VALU_DEP_1)
	v_fma_f32 v7, -v5, v6, 1.0
	v_fmac_f32_e32 v6, v7, v6
	s_delay_alu instid0(VALU_DEP_1) | instskip(NEXT) | instid1(VALU_DEP_1)
	v_mul_f32_e32 v7, v8, v6
	v_fma_f32 v9, -v5, v7, v8
	s_delay_alu instid0(VALU_DEP_1) | instskip(NEXT) | instid1(VALU_DEP_1)
	v_fmac_f32_e32 v7, v9, v6
	v_fma_f32 v5, -v5, v7, v8
	s_wait_alu 0xfffd
	s_delay_alu instid0(VALU_DEP_1) | instskip(NEXT) | instid1(VALU_DEP_1)
	v_div_fmas_f32 v5, v5, v6, v7
	v_div_fixup_f32 v4, v5, v4, 1.0
	v_mov_b32_e32 v5, v0
.LBB217_27:                             ; =>This Inner Loop Header: Depth=1
	ds_load_b32 v6, v3
	s_wait_dscnt 0x0
	v_dual_mul_f32 v6, v4, v6 :: v_dual_add_nc_u32 v5, 0x80, v5
	s_delay_alu instid0(VALU_DEP_1)
	v_cmp_le_i32_e32 vcc_lo, s5, v5
	ds_store_b32 v3, v6
	v_add_nc_u32_e32 v3, 0x200, v3
	s_wait_alu 0xfffe
	s_or_b32 s1, vcc_lo, s1
	s_wait_alu 0xfffe
	s_and_not1_b32 exec_lo, exec_lo, s1
	s_cbranch_execnz .LBB217_27
.LBB217_28:
	s_wait_alu 0xfffe
	s_or_b32 exec_lo, exec_lo, s0
	s_mul_i32 s0, s16, s29
	s_wait_loadcnt_dscnt 0x0
	s_wait_alu 0xfffe
	s_mul_i32 s4, s0, s30
	s_mov_b32 s0, exec_lo
	s_barrier_signal -1
	s_barrier_wait -1
	global_inv scope:SCOPE_SE
	v_cmpx_eq_u32_e32 0, v0
	s_cbranch_execz .LBB217_30
; %bb.29:
	s_wait_alu 0xfffe
	s_ashr_i32 s5, s4, 31
	s_mul_i32 s34, s16, ttmp9
	s_lshl_b32 s1, s26, 2
	s_wait_alu 0xfffe
	s_lshl_b64 s[36:37], s[4:5], 2
	s_ashr_i32 s35, s34, 31
	v_mov_b32_e32 v3, s1
	s_add_nc_u64 s[14:15], s[14:15], s[36:37]
	s_wait_alu 0xfffe
	s_lshl_b64 s[34:35], s[34:35], 2
	s_add_nc_u64 s[12:13], s[12:13], s[36:37]
	s_wait_alu 0xfffe
	s_add_nc_u64 s[14:15], s[14:15], s[34:35]
	s_add_nc_u64 s[12:13], s[12:13], s[34:35]
	s_clause 0x1
	global_store_b32 v3, v1, s[14:15]
	global_store_b32 v3, v2, s[12:13]
.LBB217_30:
	s_wait_alu 0xfffe
	s_or_b32 exec_lo, exec_lo, s0
	v_dual_mov_b32 v20, 0 :: v_dual_mov_b32 v21, 0
	v_dual_mov_b32 v19, 0 :: v_dual_and_b32 v14, 3, v0
	v_dual_mov_b32 v22, 0 :: v_dual_mov_b32 v17, 0
	v_dual_mov_b32 v18, 0 :: v_dual_mov_b32 v15, 0
	v_mov_b32_e32 v16, 0
	s_and_saveexec_b32 s1, s3
	s_cbranch_execz .LBB217_50
; %bb.31:
	s_load_b32 s5, s[10:11], 0x0
	v_dual_mov_b32 v18, 0 :: v_dual_and_b32 v3, 0x7c, v39
	s_ashr_i32 s19, s18, 31
	v_dual_mov_b32 v15, 0 :: v_dual_lshlrev_b32 v2, 4, v14
	s_wait_kmcnt 0x0
	s_wait_alu 0xfffe
	s_add_nc_u64 s[8:9], s[8:9], s[18:19]
	v_dual_mov_b32 v16, 0 :: v_dual_and_b32 v1, 12, v39
	s_wait_alu 0xfffe
	v_add_co_u32 v5, s0, s8, v3
	s_wait_alu 0xf1ff
	v_add_co_ci_u32_e64 v6, null, s9, 0, s0
	s_lshl_b64 s[8:9], s[22:23], 2
	v_lshl_add_u32 v4, v37, 4, s28
	v_lshl_or_b32 v2, v37, 6, v2
	s_wait_alu 0xfffe
	s_add_nc_u64 s[8:9], s[24:25], s[8:9]
	v_mov_b32_e32 v17, 0
	s_wait_alu 0xfffe
	v_add_co_u32 v7, s0, s8, v40
	v_add3_u32 v23, v4, v1, 3
	v_add_nc_u32_e32 v24, 0x120, v2
	s_wait_alu 0xf1ff
	v_add_co_ci_u32_e64 v8, null, s9, 0, s0
	v_dual_mov_b32 v19, 0 :: v_dual_mov_b32 v22, 0
	v_dual_mov_b32 v21, 0 :: v_dual_mov_b32 v20, 0
	s_mov_b32 s3, s17
	s_mov_b32 s8, s5
	s_add_co_i32 s31, s31, -1
	s_mov_b32 s9, 0
	s_branch .LBB217_33
.LBB217_32:                             ;   in Loop: Header=BB217_33 Depth=1
	s_wait_alu 0xfffe
	s_or_b32 exec_lo, exec_lo, s0
	s_wait_dscnt 0x0
	v_mul_f32_e32 v40, v1, v49
	v_mul_f32_e32 v35, v1, v59
	v_add_co_u32 v7, s0, v7, 16
	s_delay_alu instid0(VALU_DEP_3) | instskip(SKIP_1) | instid1(VALU_DEP_4)
	v_dual_fmac_f32 v40, v2, v48 :: v_dual_add_nc_u32 v23, 64, v23
	v_mul_f32_e32 v39, v1, v54
	v_fmac_f32_e32 v35, v2, v58
	s_wait_alu 0xf1ff
	v_add_co_ci_u32_e64 v8, null, 0, v8, s0
	s_delay_alu instid0(VALU_DEP_3) | instskip(NEXT) | instid1(VALU_DEP_3)
	v_dual_fmac_f32 v40, v3, v47 :: v_dual_fmac_f32 v39, v2, v52
	v_dual_fmac_f32 v35, v3, v55 :: v_dual_mul_f32 v32, v1, v32
	v_mul_f32_e32 v28, v1, v28
	s_delay_alu instid0(VALU_DEP_3) | instskip(SKIP_1) | instid1(VALU_DEP_4)
	v_dual_fmac_f32 v40, v4, v46 :: v_dual_fmac_f32 v39, v3, v51
	v_mul_f32_e32 v41, v1, v41
	v_dual_fmac_f32 v35, v4, v53 :: v_dual_fmac_f32 v32, v2, v31
	v_mul_f32_e32 v45, v1, v45
	s_delay_alu instid0(VALU_DEP_4) | instskip(NEXT) | instid1(VALU_DEP_3)
	v_dual_fmac_f32 v39, v4, v50 :: v_dual_fmac_f32 v28, v2, v27
	v_dual_mul_f32 v1, v1, v57 :: v_dual_fmac_f32 v32, v3, v30
	s_delay_alu instid0(VALU_DEP_3) | instskip(NEXT) | instid1(VALU_DEP_3)
	v_dual_add_f32 v16, v16, v35 :: v_dual_fmac_f32 v45, v2, v44
	v_fmac_f32_e32 v28, v3, v26
	v_add_f32_e32 v18, v18, v40
	v_fmac_f32_e32 v41, v2, v36
	v_dual_fmac_f32 v1, v2, v56 :: v_dual_add_nc_u32 v38, 4, v38
	v_dual_add_f32 v17, v17, v39 :: v_dual_fmac_f32 v32, v4, v29
	v_fmac_f32_e32 v45, v3, v43
	s_delay_alu instid0(VALU_DEP_3) | instskip(NEXT) | instid1(VALU_DEP_3)
	v_dual_fmac_f32 v1, v3, v10 :: v_dual_fmac_f32 v28, v4, v25
	v_dual_fmac_f32 v41, v3, v34 :: v_dual_add_f32 v22, v22, v32
	s_delay_alu instid0(VALU_DEP_3) | instskip(NEXT) | instid1(VALU_DEP_3)
	v_dual_fmac_f32 v45, v4, v42 :: v_dual_add_nc_u32 v24, 0x100, v24
	v_fmac_f32_e32 v1, v4, v9
	s_delay_alu instid0(VALU_DEP_4) | instskip(NEXT) | instid1(VALU_DEP_4)
	v_add_f32_e32 v20, v20, v28
	v_fmac_f32_e32 v41, v4, v33
	v_cmp_le_i32_e32 vcc_lo, s21, v38
	v_add_f32_e32 v19, v19, v45
	v_add_f32_e32 v15, v15, v1
	s_delay_alu instid0(VALU_DEP_4)
	v_add_f32_e32 v21, v21, v41
	s_or_b32 s9, vcc_lo, s9
	s_wait_alu 0xfffe
	s_and_not1_b32 exec_lo, exec_lo, s9
	s_cbranch_execz .LBB217_49
.LBB217_33:                             ; =>This Inner Loop Header: Depth=1
	global_load_b32 v1, v[7:8], off
	v_cmp_eq_u32_e32 vcc_lo, s31, v38
	v_add_nc_u32_e32 v40, -1, v23
	s_wait_loadcnt 0x0
	s_wait_alu 0xfffe
	v_mad_co_i64_i32 v[9:10], null, v1, s3, v[5:6]
	ds_load_b128 v[1:4], v24
	global_load_b32 v25, v[9:10], off
	s_wait_loadcnt 0x0
	v_lshrrev_b32_e32 v27, 16, v25
	s_delay_alu instid0(VALU_DEP_1) | instskip(SKIP_2) | instid1(VALU_DEP_2)
	v_cvt_pk_f32_fp8_e32 v[29:30], v27
	v_and_b32_e32 v26, 0xffff, v25
	v_add_nc_u32_e32 v39, -2, v23
	v_cvt_pk_f32_fp8_e32 v[25:26], v26
	s_delay_alu instid0(VALU_DEP_1) | instskip(NEXT) | instid1(VALU_DEP_2)
	v_dual_mul_f32 v28, s5, v25 :: v_dual_add_nc_u32 v35, -3, v23
	v_dual_mul_f32 v27, s8, v26 :: v_dual_mul_f32 v26, s5, v29
	v_mul_f32_e32 v25, s8, v30
	s_and_saveexec_b32 s10, vcc_lo
	s_cbranch_execz .LBB217_35
; %bb.34:                               ;   in Loop: Header=BB217_33 Depth=1
	v_cmp_gt_i32_e64 s0, s27, v35
	s_wait_alu 0xf1ff
	s_delay_alu instid0(VALU_DEP_1) | instskip(SKIP_2) | instid1(VALU_DEP_1)
	v_cndmask_b32_e64 v28, 0, v28, s0
	v_cmp_gt_i32_e64 s0, s27, v39
	s_wait_alu 0xf1ff
	v_cndmask_b32_e64 v27, 0, v27, s0
	v_cmp_gt_i32_e64 s0, s27, v40
	s_wait_alu 0xf1ff
	s_delay_alu instid0(VALU_DEP_1) | instskip(SKIP_2) | instid1(VALU_DEP_1)
	v_cndmask_b32_e64 v26, 0, v26, s0
	v_cmp_gt_i32_e64 s0, s27, v23
	s_wait_alu 0xf1ff
	v_cndmask_b32_e64 v25, 0, v25, s0
.LBB217_35:                             ;   in Loop: Header=BB217_33 Depth=1
	s_or_b32 exec_lo, exec_lo, s10
	global_load_b32 v29, v[9:10], off offset:128
	s_wait_loadcnt 0x0
	v_lshrrev_b32_e32 v31, 16, v29
	s_delay_alu instid0(VALU_DEP_1) | instskip(SKIP_1) | instid1(VALU_DEP_1)
	v_cvt_pk_f32_fp8_e32 v[33:34], v31
	v_and_b32_e32 v30, 0xffff, v29
	v_cvt_pk_f32_fp8_e32 v[29:30], v30
	s_delay_alu instid0(VALU_DEP_1) | instskip(NEXT) | instid1(VALU_DEP_4)
	v_dual_mul_f32 v32, s5, v29 :: v_dual_mul_f32 v31, s8, v30
	v_dual_mul_f32 v30, s5, v33 :: v_dual_mul_f32 v29, s8, v34
	s_and_saveexec_b32 s10, vcc_lo
	s_cbranch_execz .LBB217_37
; %bb.36:                               ;   in Loop: Header=BB217_33 Depth=1
	v_cmp_gt_i32_e64 s0, s27, v35
	s_wait_alu 0xf1ff
	s_delay_alu instid0(VALU_DEP_1) | instskip(SKIP_2) | instid1(VALU_DEP_1)
	v_cndmask_b32_e64 v32, 0, v32, s0
	v_cmp_gt_i32_e64 s0, s27, v39
	s_wait_alu 0xf1ff
	v_cndmask_b32_e64 v31, 0, v31, s0
	v_cmp_gt_i32_e64 s0, s27, v40
	s_wait_alu 0xf1ff
	s_delay_alu instid0(VALU_DEP_1) | instskip(SKIP_2) | instid1(VALU_DEP_1)
	v_cndmask_b32_e64 v30, 0, v30, s0
	v_cmp_gt_i32_e64 s0, s27, v23
	s_wait_alu 0xf1ff
	v_cndmask_b32_e64 v29, 0, v29, s0
.LBB217_37:                             ;   in Loop: Header=BB217_33 Depth=1
	s_or_b32 exec_lo, exec_lo, s10
	global_load_b32 v33, v[9:10], off offset:256
	s_wait_loadcnt 0x0
	v_lshrrev_b32_e32 v36, 16, v33
	s_delay_alu instid0(VALU_DEP_1) | instskip(SKIP_1) | instid1(VALU_DEP_1)
	v_cvt_pk_f32_fp8_e32 v[42:43], v36
	v_and_b32_e32 v34, 0xffff, v33
	v_cvt_pk_f32_fp8_e32 v[33:34], v34
	s_delay_alu instid0(VALU_DEP_1) | instskip(NEXT) | instid1(VALU_DEP_4)
	v_dual_mul_f32 v41, s5, v33 :: v_dual_mul_f32 v36, s8, v34
	v_dual_mul_f32 v34, s5, v42 :: v_dual_mul_f32 v33, s8, v43
	;; [unrolled: 29-line block ×4, first 2 shown]
	s_and_saveexec_b32 s10, vcc_lo
	s_cbranch_execz .LBB217_43
; %bb.42:                               ;   in Loop: Header=BB217_33 Depth=1
	v_cmp_gt_i32_e64 s0, s27, v35
	s_wait_alu 0xf1ff
	s_delay_alu instid0(VALU_DEP_1) | instskip(SKIP_2) | instid1(VALU_DEP_1)
	v_cndmask_b32_e64 v49, 0, v49, s0
	v_cmp_gt_i32_e64 s0, s27, v39
	s_wait_alu 0xf1ff
	v_cndmask_b32_e64 v48, 0, v48, s0
	v_cmp_gt_i32_e64 s0, s27, v40
	s_wait_alu 0xf1ff
	s_delay_alu instid0(VALU_DEP_1) | instskip(SKIP_2) | instid1(VALU_DEP_1)
	v_cndmask_b32_e64 v47, 0, v47, s0
	v_cmp_gt_i32_e64 s0, s27, v23
	s_wait_alu 0xf1ff
	v_cndmask_b32_e64 v46, 0, v46, s0
.LBB217_43:                             ;   in Loop: Header=BB217_33 Depth=1
	s_or_b32 exec_lo, exec_lo, s10
	global_load_b32 v50, v[9:10], off offset:640
	s_wait_loadcnt 0x0
	v_lshrrev_b32_e32 v52, 16, v50
	s_delay_alu instid0(VALU_DEP_1) | instskip(SKIP_1) | instid1(VALU_DEP_1)
	v_cvt_pk_f32_fp8_e32 v[55:56], v52
	v_and_b32_e32 v51, 0xffff, v50
	v_cvt_pk_f32_fp8_e32 v[50:51], v51
	s_delay_alu instid0(VALU_DEP_1) | instskip(NEXT) | instid1(VALU_DEP_2)
	v_mul_f32_e32 v54, s5, v50
	v_mul_f32_e32 v52, s8, v51
	v_dual_mul_f32 v51, s5, v55 :: v_dual_mul_f32 v50, s8, v56
	s_and_saveexec_b32 s10, vcc_lo
	s_cbranch_execz .LBB217_45
; %bb.44:                               ;   in Loop: Header=BB217_33 Depth=1
	v_cmp_gt_i32_e64 s0, s27, v35
	s_wait_alu 0xf1ff
	s_delay_alu instid0(VALU_DEP_1) | instskip(SKIP_2) | instid1(VALU_DEP_1)
	v_cndmask_b32_e64 v54, 0, v54, s0
	v_cmp_gt_i32_e64 s0, s27, v39
	s_wait_alu 0xf1ff
	v_cndmask_b32_e64 v52, 0, v52, s0
	v_cmp_gt_i32_e64 s0, s27, v40
	s_wait_alu 0xf1ff
	s_delay_alu instid0(VALU_DEP_1) | instskip(SKIP_2) | instid1(VALU_DEP_1)
	v_cndmask_b32_e64 v51, 0, v51, s0
	v_cmp_gt_i32_e64 s0, s27, v23
	s_wait_alu 0xf1ff
	v_cndmask_b32_e64 v50, 0, v50, s0
.LBB217_45:                             ;   in Loop: Header=BB217_33 Depth=1
	s_or_b32 exec_lo, exec_lo, s10
	global_load_b32 v53, v[9:10], off offset:768
	s_wait_loadcnt 0x0
	v_and_b32_e32 v55, 0xffff, v53
	v_lshrrev_b32_e32 v53, 16, v53
	s_delay_alu instid0(VALU_DEP_2) | instskip(NEXT) | instid1(VALU_DEP_2)
	v_cvt_pk_f32_fp8_e32 v[55:56], v55
	v_cvt_pk_f32_fp8_e32 v[60:61], v53
	s_delay_alu instid0(VALU_DEP_2) | instskip(NEXT) | instid1(VALU_DEP_2)
	v_dual_mul_f32 v59, s5, v55 :: v_dual_mul_f32 v58, s8, v56
	v_mul_f32_e32 v55, s5, v60
	s_delay_alu instid0(VALU_DEP_3)
	v_mul_f32_e32 v53, s8, v61
	s_and_saveexec_b32 s10, vcc_lo
	s_cbranch_execz .LBB217_47
; %bb.46:                               ;   in Loop: Header=BB217_33 Depth=1
	v_cmp_gt_i32_e64 s0, s27, v35
	s_wait_alu 0xf1ff
	s_delay_alu instid0(VALU_DEP_1) | instskip(SKIP_2) | instid1(VALU_DEP_1)
	v_cndmask_b32_e64 v59, 0, v59, s0
	v_cmp_gt_i32_e64 s0, s27, v39
	s_wait_alu 0xf1ff
	v_cndmask_b32_e64 v58, 0, v58, s0
	v_cmp_gt_i32_e64 s0, s27, v40
	s_wait_alu 0xf1ff
	s_delay_alu instid0(VALU_DEP_1) | instskip(SKIP_2) | instid1(VALU_DEP_1)
	v_cndmask_b32_e64 v55, 0, v55, s0
	v_cmp_gt_i32_e64 s0, s27, v23
	s_wait_alu 0xf1ff
	v_cndmask_b32_e64 v53, 0, v53, s0
.LBB217_47:                             ;   in Loop: Header=BB217_33 Depth=1
	s_or_b32 exec_lo, exec_lo, s10
	global_load_b32 v9, v[9:10], off offset:896
	s_wait_loadcnt 0x0
	v_and_b32_e32 v10, 0xffff, v9
	v_lshrrev_b32_e32 v56, 16, v9
	s_delay_alu instid0(VALU_DEP_2) | instskip(NEXT) | instid1(VALU_DEP_2)
	v_cvt_pk_f32_fp8_e32 v[9:10], v10
	v_cvt_pk_f32_fp8_e32 v[60:61], v56
	s_delay_alu instid0(VALU_DEP_2) | instskip(NEXT) | instid1(VALU_DEP_2)
	v_dual_mul_f32 v57, s5, v9 :: v_dual_mul_f32 v56, s8, v10
	v_dual_mul_f32 v10, s5, v60 :: v_dual_mul_f32 v9, s8, v61
	s_and_saveexec_b32 s0, vcc_lo
	s_cbranch_execz .LBB217_32
; %bb.48:                               ;   in Loop: Header=BB217_33 Depth=1
	v_cmp_gt_i32_e32 vcc_lo, s27, v35
	s_wait_alu 0xfffd
	v_cndmask_b32_e32 v57, 0, v57, vcc_lo
	v_cmp_gt_i32_e32 vcc_lo, s27, v39
	s_wait_alu 0xfffd
	v_cndmask_b32_e32 v56, 0, v56, vcc_lo
	v_cmp_gt_i32_e32 vcc_lo, s27, v40
	s_wait_alu 0xfffd
	v_cndmask_b32_e32 v10, 0, v10, vcc_lo
	v_cmp_gt_i32_e32 vcc_lo, s27, v23
	s_wait_alu 0xfffd
	v_cndmask_b32_e32 v9, 0, v9, vcc_lo
	s_branch .LBB217_32
.LBB217_49:
	s_or_b32 exec_lo, exec_lo, s9
.LBB217_50:
	s_wait_alu 0xfffe
	s_or_b32 exec_lo, exec_lo, s1
	ds_bpermute_b32 v1, v12, v20
	ds_bpermute_b32 v2, v12, v22
	;; [unrolled: 1-line block ×8, first 2 shown]
	v_lshrrev_b32_e32 v9, 2, v11
	s_mov_b32 s0, exec_lo
	s_wait_storecnt 0x0
	s_wait_loadcnt_dscnt 0x0
	s_barrier_signal -1
	s_barrier_wait -1
	global_inv scope:SCOPE_SE
	v_dual_add_f32 v1, v20, v1 :: v_dual_add_f32 v2, v22, v2
	v_dual_add_f32 v3, v21, v3 :: v_dual_add_f32 v4, v19, v4
	;; [unrolled: 1-line block ×4, first 2 shown]
	ds_bpermute_b32 v12, v13, v1
	ds_bpermute_b32 v15, v13, v2
	;; [unrolled: 1-line block ×8, first 2 shown]
	v_and_b32_e32 v10, 28, v11
	v_lshlrev_b32_e32 v11, 8, v37
	v_and_b32_e32 v21, 0x3c3, v0
	s_wait_dscnt 0x7
	s_delay_alu instid0(VALU_DEP_3)
	v_dual_add_f32 v1, v1, v12 :: v_dual_add_nc_u32 v10, 0x120, v10
	s_wait_dscnt 0x5
	v_dual_add_f32 v3, v3, v16 :: v_dual_add_f32 v2, v2, v15
	s_wait_dscnt 0x3
	v_dual_add_f32 v4, v4, v17 :: v_dual_add_f32 v5, v5, v18
	;; [unrolled: 2-line block ×3, first 2 shown]
	s_wait_dscnt 0x0
	v_add_f32_e32 v8, v8, v13
	v_cmpx_eq_u32_e32 64, v21
	s_cbranch_execz .LBB217_52
; %bb.51:
	v_add_nc_u32_e32 v12, v10, v11
	s_delay_alu instid0(VALU_DEP_1)
	v_add_nc_u32_e32 v13, 0xfffffe00, v12
	v_add_nc_u32_e32 v15, 0xfffffe20, v12
	;; [unrolled: 1-line block ×8, first 2 shown]
	ds_store_b32 v13, v1
	ds_store_b32 v15, v2
	ds_store_b32 v16, v3
	ds_store_b32 v17, v4
	ds_store_b32 v18, v5
	ds_store_b32 v19, v6
	ds_store_b32 v20, v7
	ds_store_b32 v12, v8
.LBB217_52:
	s_wait_alu 0xfffe
	s_or_b32 exec_lo, exec_lo, s0
	v_lshlrev_b32_e32 v9, 2, v9
	s_mov_b32 s1, exec_lo
	v_cmp_eq_u32_e32 vcc_lo, 0, v14
	s_wait_loadcnt_dscnt 0x0
	s_barrier_signal -1
	v_add3_u32 v9, 0x120, v11, v9
	s_barrier_wait -1
	global_inv scope:SCOPE_SE
	v_cmpx_gt_u32_e32 64, v0
	s_cbranch_execz .LBB217_63
; %bb.53:
	s_and_saveexec_b32 s0, vcc_lo
	s_cbranch_execnz .LBB217_79
; %bb.54:
	s_wait_alu 0xfffe
	s_or_b32 exec_lo, exec_lo, s0
	s_and_saveexec_b32 s0, vcc_lo
	s_cbranch_execnz .LBB217_80
.LBB217_55:
	s_wait_alu 0xfffe
	s_or_b32 exec_lo, exec_lo, s0
	s_and_saveexec_b32 s0, vcc_lo
	s_cbranch_execnz .LBB217_81
.LBB217_56:
	s_wait_alu 0xfffe
	s_or_b32 exec_lo, exec_lo, s0
	s_and_saveexec_b32 s0, vcc_lo
	s_cbranch_execnz .LBB217_82
.LBB217_57:
	s_wait_alu 0xfffe
	s_or_b32 exec_lo, exec_lo, s0
	s_and_saveexec_b32 s0, vcc_lo
	s_cbranch_execnz .LBB217_83
.LBB217_58:
	s_wait_alu 0xfffe
	s_or_b32 exec_lo, exec_lo, s0
	s_and_saveexec_b32 s0, vcc_lo
	s_cbranch_execnz .LBB217_84
.LBB217_59:
	s_wait_alu 0xfffe
	s_or_b32 exec_lo, exec_lo, s0
	s_and_saveexec_b32 s0, vcc_lo
	s_cbranch_execnz .LBB217_85
.LBB217_60:
	s_wait_alu 0xfffe
	s_or_b32 exec_lo, exec_lo, s0
	s_and_saveexec_b32 s0, vcc_lo
	s_cbranch_execz .LBB217_62
.LBB217_61:
	ds_load_b32 v11, v9 offset:224
	s_wait_dscnt 0x0
	v_add_f32_e32 v8, v8, v11
.LBB217_62:
	s_wait_alu 0xfffe
	s_or_b32 exec_lo, exec_lo, s0
.LBB217_63:
	s_wait_alu 0xfffe
	s_or_b32 exec_lo, exec_lo, s1
	v_and_b32_e32 v11, 0x3e3, v0
	s_mov_b32 s1, exec_lo
	s_wait_loadcnt 0x0
	s_barrier_signal -1
	s_barrier_wait -1
	global_inv scope:SCOPE_SE
	v_cmpx_eq_u32_e32 32, v11
	s_cbranch_execz .LBB217_65
; %bb.64:
	ds_store_2addr_b32 v10, v1, v2 offset1:8
	ds_store_2addr_b32 v10, v3, v4 offset0:16 offset1:24
	ds_store_2addr_b32 v10, v5, v6 offset0:32 offset1:40
	;; [unrolled: 1-line block ×3, first 2 shown]
.LBB217_65:
	s_wait_alu 0xfffe
	s_or_b32 exec_lo, exec_lo, s1
	s_wait_loadcnt_dscnt 0x0
	s_barrier_signal -1
	s_barrier_wait -1
	global_inv scope:SCOPE_SE
	s_and_saveexec_b32 s0, s2
	s_cbranch_execz .LBB217_76
; %bb.66:
	s_and_saveexec_b32 s1, vcc_lo
	s_cbranch_execnz .LBB217_86
; %bb.67:
	s_wait_alu 0xfffe
	s_or_b32 exec_lo, exec_lo, s1
	s_and_saveexec_b32 s1, vcc_lo
	s_cbranch_execnz .LBB217_87
.LBB217_68:
	s_wait_alu 0xfffe
	s_or_b32 exec_lo, exec_lo, s1
	s_and_saveexec_b32 s1, vcc_lo
	s_cbranch_execnz .LBB217_88
.LBB217_69:
	s_wait_alu 0xfffe
	s_or_b32 exec_lo, exec_lo, s1
	s_and_saveexec_b32 s1, vcc_lo
	s_cbranch_execnz .LBB217_89
.LBB217_70:
	s_wait_alu 0xfffe
	s_or_b32 exec_lo, exec_lo, s1
	s_and_saveexec_b32 s1, vcc_lo
	s_cbranch_execnz .LBB217_90
.LBB217_71:
	s_wait_alu 0xfffe
	s_or_b32 exec_lo, exec_lo, s1
	s_and_saveexec_b32 s1, vcc_lo
	s_cbranch_execnz .LBB217_91
.LBB217_72:
	s_wait_alu 0xfffe
	s_or_b32 exec_lo, exec_lo, s1
	s_and_saveexec_b32 s1, vcc_lo
	s_cbranch_execnz .LBB217_92
.LBB217_73:
	s_wait_alu 0xfffe
	s_or_b32 exec_lo, exec_lo, s1
	s_and_saveexec_b32 s1, vcc_lo
	s_cbranch_execz .LBB217_75
.LBB217_74:
	ds_load_b32 v9, v9 offset:224
	s_wait_dscnt 0x0
	v_add_f32_e32 v8, v8, v9
.LBB217_75:
	s_wait_alu 0xfffe
	s_or_b32 exec_lo, exec_lo, s1
.LBB217_76:
	s_wait_alu 0xfffe
	s_or_b32 exec_lo, exec_lo, s0
	s_mov_b32 s1, 0
	s_wait_loadcnt 0x0
	s_barrier_signal -1
	s_barrier_wait -1
	global_inv scope:SCOPE_SE
	s_mov_b32 s0, exec_lo
	v_cmpx_eq_u32_e32 0, v11
	s_cbranch_execz .LBB217_78
; %bb.77:
	s_lshl_b32 s2, s4, 6
	s_mul_i32 s4, s16, s20
	s_wait_alu 0xfffe
	s_ashr_i32 s3, s2, 31
	s_ashr_i32 s5, s4, 31
	s_wait_alu 0xfffe
	s_lshl_b64 s[2:3], s[2:3], 2
	s_lshl_b64 s[4:5], s[4:5], 2
	s_wait_alu 0xfffe
	s_add_nc_u64 s[2:3], s[6:7], s[2:3]
	s_lshl_b32 s0, s26, 8
	s_wait_alu 0xfffe
	s_add_nc_u64 s[2:3], s[2:3], s[4:5]
	s_wait_alu 0xfffe
	s_add_nc_u64 s[0:1], s[2:3], s[0:1]
	s_clause 0x7
	global_store_b32 v0, v1, s[0:1]
	global_store_b32 v0, v2, s[0:1] offset:32
	global_store_b32 v0, v3, s[0:1] offset:64
	;; [unrolled: 1-line block ×7, first 2 shown]
.LBB217_78:
	s_endpgm
.LBB217_79:
	ds_load_b32 v11, v9
	s_wait_dscnt 0x0
	v_add_f32_e32 v1, v1, v11
	s_wait_alu 0xfffe
	s_or_b32 exec_lo, exec_lo, s0
	s_and_saveexec_b32 s0, vcc_lo
	s_cbranch_execz .LBB217_55
.LBB217_80:
	ds_load_b32 v11, v9 offset:32
	s_wait_dscnt 0x0
	v_add_f32_e32 v2, v2, v11
	s_wait_alu 0xfffe
	s_or_b32 exec_lo, exec_lo, s0
	s_and_saveexec_b32 s0, vcc_lo
	s_cbranch_execz .LBB217_56
.LBB217_81:
	ds_load_b32 v11, v9 offset:64
	s_wait_dscnt 0x0
	v_add_f32_e32 v3, v3, v11
	s_wait_alu 0xfffe
	s_or_b32 exec_lo, exec_lo, s0
	s_and_saveexec_b32 s0, vcc_lo
	s_cbranch_execz .LBB217_57
.LBB217_82:
	ds_load_b32 v11, v9 offset:96
	s_wait_dscnt 0x0
	v_add_f32_e32 v4, v4, v11
	s_wait_alu 0xfffe
	s_or_b32 exec_lo, exec_lo, s0
	s_and_saveexec_b32 s0, vcc_lo
	s_cbranch_execz .LBB217_58
.LBB217_83:
	ds_load_b32 v11, v9 offset:128
	s_wait_dscnt 0x0
	v_add_f32_e32 v5, v5, v11
	s_wait_alu 0xfffe
	s_or_b32 exec_lo, exec_lo, s0
	s_and_saveexec_b32 s0, vcc_lo
	s_cbranch_execz .LBB217_59
.LBB217_84:
	ds_load_b32 v11, v9 offset:160
	s_wait_dscnt 0x0
	v_add_f32_e32 v6, v6, v11
	s_wait_alu 0xfffe
	s_or_b32 exec_lo, exec_lo, s0
	s_and_saveexec_b32 s0, vcc_lo
	s_cbranch_execz .LBB217_60
.LBB217_85:
	ds_load_b32 v11, v9 offset:192
	s_wait_dscnt 0x0
	v_add_f32_e32 v7, v7, v11
	s_wait_alu 0xfffe
	s_or_b32 exec_lo, exec_lo, s0
	s_and_saveexec_b32 s0, vcc_lo
	s_cbranch_execnz .LBB217_61
	s_branch .LBB217_62
.LBB217_86:
	ds_load_b32 v10, v9
	s_wait_dscnt 0x0
	v_add_f32_e32 v1, v1, v10
	s_wait_alu 0xfffe
	s_or_b32 exec_lo, exec_lo, s1
	s_and_saveexec_b32 s1, vcc_lo
	s_cbranch_execz .LBB217_68
.LBB217_87:
	ds_load_b32 v10, v9 offset:32
	s_wait_dscnt 0x0
	v_add_f32_e32 v2, v2, v10
	s_wait_alu 0xfffe
	s_or_b32 exec_lo, exec_lo, s1
	s_and_saveexec_b32 s1, vcc_lo
	s_cbranch_execz .LBB217_69
.LBB217_88:
	ds_load_b32 v10, v9 offset:64
	s_wait_dscnt 0x0
	v_add_f32_e32 v3, v3, v10
	s_wait_alu 0xfffe
	s_or_b32 exec_lo, exec_lo, s1
	s_and_saveexec_b32 s1, vcc_lo
	s_cbranch_execz .LBB217_70
.LBB217_89:
	ds_load_b32 v10, v9 offset:96
	s_wait_dscnt 0x0
	v_add_f32_e32 v4, v4, v10
	s_wait_alu 0xfffe
	s_or_b32 exec_lo, exec_lo, s1
	s_and_saveexec_b32 s1, vcc_lo
	s_cbranch_execz .LBB217_71
.LBB217_90:
	ds_load_b32 v10, v9 offset:128
	s_wait_dscnt 0x0
	v_add_f32_e32 v5, v5, v10
	s_wait_alu 0xfffe
	s_or_b32 exec_lo, exec_lo, s1
	s_and_saveexec_b32 s1, vcc_lo
	s_cbranch_execz .LBB217_72
.LBB217_91:
	ds_load_b32 v10, v9 offset:160
	s_wait_dscnt 0x0
	v_add_f32_e32 v6, v6, v10
	s_wait_alu 0xfffe
	s_or_b32 exec_lo, exec_lo, s1
	s_and_saveexec_b32 s1, vcc_lo
	s_cbranch_execz .LBB217_73
.LBB217_92:
	ds_load_b32 v10, v9 offset:192
	s_wait_dscnt 0x0
	v_add_f32_e32 v7, v7, v10
	s_wait_alu 0xfffe
	s_or_b32 exec_lo, exec_lo, s1
	s_and_saveexec_b32 s1, vcc_lo
	s_cbranch_execnz .LBB217_74
	s_branch .LBB217_75
	.section	.rodata,"a",@progbits
	.p2align	6, 0x0
	.amdhsa_kernel _ZN4vllm25paged_attention_v2_kernelIfhLi64ELi16ELi128ELNS_18Fp8KVCacheDataTypeE1ELb0ELi512EEEvPfS2_PT_PKS3_PKT0_S9_ifPKiSB_iPKfiiiSD_SD_iiiii
		.amdhsa_group_segment_fixed_size 288
		.amdhsa_private_segment_fixed_size 0
		.amdhsa_kernarg_size 400
		.amdhsa_user_sgpr_count 2
		.amdhsa_user_sgpr_dispatch_ptr 0
		.amdhsa_user_sgpr_queue_ptr 0
		.amdhsa_user_sgpr_kernarg_segment_ptr 1
		.amdhsa_user_sgpr_dispatch_id 0
		.amdhsa_user_sgpr_private_segment_size 0
		.amdhsa_wavefront_size32 1
		.amdhsa_uses_dynamic_stack 0
		.amdhsa_enable_private_segment 0
		.amdhsa_system_sgpr_workgroup_id_x 1
		.amdhsa_system_sgpr_workgroup_id_y 1
		.amdhsa_system_sgpr_workgroup_id_z 1
		.amdhsa_system_sgpr_workgroup_info 0
		.amdhsa_system_vgpr_workitem_id 0
		.amdhsa_next_free_vgpr 71
		.amdhsa_next_free_sgpr 38
		.amdhsa_reserve_vcc 1
		.amdhsa_float_round_mode_32 0
		.amdhsa_float_round_mode_16_64 0
		.amdhsa_float_denorm_mode_32 3
		.amdhsa_float_denorm_mode_16_64 3
		.amdhsa_fp16_overflow 0
		.amdhsa_workgroup_processor_mode 1
		.amdhsa_memory_ordered 1
		.amdhsa_forward_progress 1
		.amdhsa_inst_pref_size 51
		.amdhsa_round_robin_scheduling 0
		.amdhsa_exception_fp_ieee_invalid_op 0
		.amdhsa_exception_fp_denorm_src 0
		.amdhsa_exception_fp_ieee_div_zero 0
		.amdhsa_exception_fp_ieee_overflow 0
		.amdhsa_exception_fp_ieee_underflow 0
		.amdhsa_exception_fp_ieee_inexact 0
		.amdhsa_exception_int_div_zero 0
	.end_amdhsa_kernel
	.section	.text._ZN4vllm25paged_attention_v2_kernelIfhLi64ELi16ELi128ELNS_18Fp8KVCacheDataTypeE1ELb0ELi512EEEvPfS2_PT_PKS3_PKT0_S9_ifPKiSB_iPKfiiiSD_SD_iiiii,"axG",@progbits,_ZN4vllm25paged_attention_v2_kernelIfhLi64ELi16ELi128ELNS_18Fp8KVCacheDataTypeE1ELb0ELi512EEEvPfS2_PT_PKS3_PKT0_S9_ifPKiSB_iPKfiiiSD_SD_iiiii,comdat
.Lfunc_end217:
	.size	_ZN4vllm25paged_attention_v2_kernelIfhLi64ELi16ELi128ELNS_18Fp8KVCacheDataTypeE1ELb0ELi512EEEvPfS2_PT_PKS3_PKT0_S9_ifPKiSB_iPKfiiiSD_SD_iiiii, .Lfunc_end217-_ZN4vllm25paged_attention_v2_kernelIfhLi64ELi16ELi128ELNS_18Fp8KVCacheDataTypeE1ELb0ELi512EEEvPfS2_PT_PKS3_PKT0_S9_ifPKiSB_iPKfiiiSD_SD_iiiii
                                        ; -- End function
	.set _ZN4vllm25paged_attention_v2_kernelIfhLi64ELi16ELi128ELNS_18Fp8KVCacheDataTypeE1ELb0ELi512EEEvPfS2_PT_PKS3_PKT0_S9_ifPKiSB_iPKfiiiSD_SD_iiiii.num_vgpr, 71
	.set _ZN4vllm25paged_attention_v2_kernelIfhLi64ELi16ELi128ELNS_18Fp8KVCacheDataTypeE1ELb0ELi512EEEvPfS2_PT_PKS3_PKT0_S9_ifPKiSB_iPKfiiiSD_SD_iiiii.num_agpr, 0
	.set _ZN4vllm25paged_attention_v2_kernelIfhLi64ELi16ELi128ELNS_18Fp8KVCacheDataTypeE1ELb0ELi512EEEvPfS2_PT_PKS3_PKT0_S9_ifPKiSB_iPKfiiiSD_SD_iiiii.numbered_sgpr, 38
	.set _ZN4vllm25paged_attention_v2_kernelIfhLi64ELi16ELi128ELNS_18Fp8KVCacheDataTypeE1ELb0ELi512EEEvPfS2_PT_PKS3_PKT0_S9_ifPKiSB_iPKfiiiSD_SD_iiiii.num_named_barrier, 0
	.set _ZN4vllm25paged_attention_v2_kernelIfhLi64ELi16ELi128ELNS_18Fp8KVCacheDataTypeE1ELb0ELi512EEEvPfS2_PT_PKS3_PKT0_S9_ifPKiSB_iPKfiiiSD_SD_iiiii.private_seg_size, 0
	.set _ZN4vllm25paged_attention_v2_kernelIfhLi64ELi16ELi128ELNS_18Fp8KVCacheDataTypeE1ELb0ELi512EEEvPfS2_PT_PKS3_PKT0_S9_ifPKiSB_iPKfiiiSD_SD_iiiii.uses_vcc, 1
	.set _ZN4vllm25paged_attention_v2_kernelIfhLi64ELi16ELi128ELNS_18Fp8KVCacheDataTypeE1ELb0ELi512EEEvPfS2_PT_PKS3_PKT0_S9_ifPKiSB_iPKfiiiSD_SD_iiiii.uses_flat_scratch, 0
	.set _ZN4vllm25paged_attention_v2_kernelIfhLi64ELi16ELi128ELNS_18Fp8KVCacheDataTypeE1ELb0ELi512EEEvPfS2_PT_PKS3_PKT0_S9_ifPKiSB_iPKfiiiSD_SD_iiiii.has_dyn_sized_stack, 0
	.set _ZN4vllm25paged_attention_v2_kernelIfhLi64ELi16ELi128ELNS_18Fp8KVCacheDataTypeE1ELb0ELi512EEEvPfS2_PT_PKS3_PKT0_S9_ifPKiSB_iPKfiiiSD_SD_iiiii.has_recursion, 0
	.set _ZN4vllm25paged_attention_v2_kernelIfhLi64ELi16ELi128ELNS_18Fp8KVCacheDataTypeE1ELb0ELi512EEEvPfS2_PT_PKS3_PKT0_S9_ifPKiSB_iPKfiiiSD_SD_iiiii.has_indirect_call, 0
	.section	.AMDGPU.csdata,"",@progbits
; Kernel info:
; codeLenInByte = 6428
; TotalNumSgprs: 40
; NumVgprs: 71
; ScratchSize: 0
; MemoryBound: 0
; FloatMode: 240
; IeeeMode: 1
; LDSByteSize: 288 bytes/workgroup (compile time only)
; SGPRBlocks: 0
; VGPRBlocks: 8
; NumSGPRsForWavesPerEU: 40
; NumVGPRsForWavesPerEU: 71
; Occupancy: 16
; WaveLimiterHint : 1
; COMPUTE_PGM_RSRC2:SCRATCH_EN: 0
; COMPUTE_PGM_RSRC2:USER_SGPR: 2
; COMPUTE_PGM_RSRC2:TRAP_HANDLER: 0
; COMPUTE_PGM_RSRC2:TGID_X_EN: 1
; COMPUTE_PGM_RSRC2:TGID_Y_EN: 1
; COMPUTE_PGM_RSRC2:TGID_Z_EN: 1
; COMPUTE_PGM_RSRC2:TIDIG_COMP_CNT: 0
	.section	.text._ZN4vllm25paged_attention_v2_kernelIfhLi80ELi16ELi128ELNS_18Fp8KVCacheDataTypeE1ELb0ELi512EEEvPfS2_PT_PKS3_PKT0_S9_ifPKiSB_iPKfiiiSD_SD_iiiii,"axG",@progbits,_ZN4vllm25paged_attention_v2_kernelIfhLi80ELi16ELi128ELNS_18Fp8KVCacheDataTypeE1ELb0ELi512EEEvPfS2_PT_PKS3_PKT0_S9_ifPKiSB_iPKfiiiSD_SD_iiiii,comdat
	.protected	_ZN4vllm25paged_attention_v2_kernelIfhLi80ELi16ELi128ELNS_18Fp8KVCacheDataTypeE1ELb0ELi512EEEvPfS2_PT_PKS3_PKT0_S9_ifPKiSB_iPKfiiiSD_SD_iiiii ; -- Begin function _ZN4vllm25paged_attention_v2_kernelIfhLi80ELi16ELi128ELNS_18Fp8KVCacheDataTypeE1ELb0ELi512EEEvPfS2_PT_PKS3_PKT0_S9_ifPKiSB_iPKfiiiSD_SD_iiiii
	.globl	_ZN4vllm25paged_attention_v2_kernelIfhLi80ELi16ELi128ELNS_18Fp8KVCacheDataTypeE1ELb0ELi512EEEvPfS2_PT_PKS3_PKT0_S9_ifPKiSB_iPKfiiiSD_SD_iiiii
	.p2align	8
	.type	_ZN4vllm25paged_attention_v2_kernelIfhLi80ELi16ELi128ELNS_18Fp8KVCacheDataTypeE1ELb0ELi512EEEvPfS2_PT_PKS3_PKT0_S9_ifPKiSB_iPKfiiiSD_SD_iiiii,@function
_ZN4vllm25paged_attention_v2_kernelIfhLi80ELi16ELi128ELNS_18Fp8KVCacheDataTypeE1ELb0ELi512EEEvPfS2_PT_PKS3_PKT0_S9_ifPKiSB_iPKfiiiSD_SD_iiiii: ; @_ZN4vllm25paged_attention_v2_kernelIfhLi80ELi16ELi128ELNS_18Fp8KVCacheDataTypeE1ELb0ELi512EEEvPfS2_PT_PKS3_PKT0_S9_ifPKiSB_iPKfiiiSD_SD_iiiii
; %bb.0:
	s_load_b64 s[2:3], s[0:1], 0x40
	s_and_b32 s15, ttmp7, 0xffff
	s_lshr_b32 s26, ttmp7, 16
	s_lshl_b32 s4, s15, 2
	s_lshl_b32 s28, s26, 9
	s_wait_kmcnt 0x0
	s_load_b32 s27, s[2:3], s4 offset:0x0
	s_wait_kmcnt 0x0
	s_cmp_ge_i32 s28, s27
	s_cbranch_scc1 .LBB218_86
; %bb.1:
	s_clause 0x1
	s_load_b32 s29, s[0:1], 0x90
	s_load_b64 s[8:9], s[0:1], 0x30
	s_wait_kmcnt 0x0
	s_abs_i32 s5, s29
	s_abs_i32 s2, s8
	s_delay_alu instid0(SALU_CYCLE_1) | instskip(SKIP_1) | instid1(SALU_CYCLE_2)
	s_cvt_f32_u32 s3, s2
	s_sub_co_i32 s4, 0, s2
	v_rcp_iflag_f32_e32 v1, s3
	s_delay_alu instid0(TRANS32_DEP_1) | instskip(SKIP_2) | instid1(SALU_CYCLE_2)
	v_readfirstlane_b32 s3, v1
	s_mul_f32 s3, s3, 0x4f7ffffe
	s_wait_alu 0xfffe
	s_cvt_u32_f32 s3, s3
	s_wait_alu 0xfffe
	s_delay_alu instid0(SALU_CYCLE_2) | instskip(NEXT) | instid1(SALU_CYCLE_1)
	s_mul_i32 s4, s4, s3
	s_mul_hi_u32 s4, s3, s4
	s_delay_alu instid0(SALU_CYCLE_1)
	s_add_co_i32 s3, s3, s4
	s_xor_b32 s4, s29, s8
	s_wait_alu 0xfffe
	s_mul_hi_u32 s3, s5, s3
	s_ashr_i32 s4, s4, 31
	s_wait_alu 0xfffe
	s_mul_i32 s6, s3, s2
	s_delay_alu instid0(SALU_CYCLE_1)
	s_sub_co_i32 s5, s5, s6
	s_add_co_i32 s6, s3, 1
	s_sub_co_i32 s7, s5, s2
	s_cmp_ge_u32 s5, s2
	s_cselect_b32 s3, s6, s3
	s_cselect_b32 s5, s7, s5
	s_wait_alu 0xfffe
	s_add_co_i32 s6, s3, 1
	s_cmp_ge_u32 s5, s2
	s_cselect_b32 s2, s6, s3
	s_load_b64 s[6:7], s[0:1], 0x50
	s_xor_b32 s2, s2, s4
	s_mov_b32 s3, 0
	s_wait_alu 0xfffe
	s_sub_co_i32 s11, s2, s4
	s_mov_b32 s8, s3
	s_abs_i32 s10, s11
	s_delay_alu instid0(SALU_CYCLE_1) | instskip(SKIP_1) | instid1(SALU_CYCLE_2)
	s_cvt_f32_u32 s2, s10
	s_wait_alu 0xfffe
	v_rcp_iflag_f32_e32 v1, s2
	s_delay_alu instid0(TRANS32_DEP_1) | instskip(SKIP_2) | instid1(SALU_CYCLE_2)
	v_readfirstlane_b32 s2, v1
	s_mul_f32 s2, s2, 0x4f7ffffe
	s_wait_alu 0xfffe
	s_cvt_u32_f32 s4, s2
	s_sub_co_i32 s2, 0, s10
	s_wait_alu 0xfffe
	s_delay_alu instid0(SALU_CYCLE_1)
	s_mul_i32 s2, s2, s4
	s_wait_alu 0xfffe
	s_mul_hi_u32 s5, s4, s2
	s_abs_i32 s2, ttmp9
	s_add_co_i32 s4, s4, s5
	s_mov_b32 s5, s3
	s_wait_kmcnt 0x0
	s_cmp_eq_u64 s[6:7], 0
	s_cbranch_scc1 .LBB218_3
; %bb.2:
	s_mov_b32 s12, ttmp9
	s_ashr_i32 s13, ttmp9, 31
	s_delay_alu instid0(SALU_CYCLE_1) | instskip(NEXT) | instid1(SALU_CYCLE_1)
	s_lshl_b64 s[12:13], s[12:13], 2
	s_add_nc_u64 s[6:7], s[6:7], s[12:13]
	s_load_b32 s8, s[6:7], 0x0
.LBB218_3:
	s_load_b96 s[12:14], s[0:1], 0x58
	v_and_b32_e32 v41, 1, v0
	v_lshlrev_b32_e32 v47, 2, v0
	s_mul_u64 s[4:5], s[2:3], s[4:5]
	s_ashr_i32 s3, ttmp9, 31
	s_ashr_i32 s4, s11, 31
	s_mul_i32 s16, ttmp9, 0x50
	s_mov_b32 s6, exec_lo
	v_cmpx_gt_u32_e32 40, v0
	s_cbranch_execz .LBB218_5
; %bb.4:
	s_load_b64 s[18:19], s[0:1], 0x18
	s_wait_kmcnt 0x0
	s_mul_i32 s20, s12, s15
	s_ashr_i32 s17, s16, 31
	s_ashr_i32 s21, s20, 31
	v_lshlrev_b32_e32 v1, 3, v0
	s_lshl_b64 s[20:21], s[20:21], 2
	v_and_b32_e32 v3, 0xff8, v47
	s_delay_alu instid0(VALU_DEP_1) | instskip(SKIP_2) | instid1(SALU_CYCLE_1)
	v_mad_u32_u24 v3, 0xa0, v41, v3
	s_add_nc_u64 s[18:19], s[18:19], s[20:21]
	s_lshl_b64 s[20:21], s[16:17], 2
	s_add_nc_u64 s[18:19], s[18:19], s[20:21]
	global_load_b64 v[1:2], v1, s[18:19]
	s_wait_loadcnt 0x0
	ds_store_b64 v3, v[1:2]
.LBB218_5:
	s_or_b32 exec_lo, exec_lo, s6
	s_add_co_i32 s6, s27, 15
	s_wait_alu 0xfffe
	s_xor_b32 s3, s3, s4
	s_ashr_i32 s7, s6, 31
	s_lshl_b32 s31, s26, 5
	s_lshr_b32 s4, s7, 28
	s_mul_i32 s7, s5, s10
	s_add_co_i32 s6, s6, s4
	s_add_co_i32 s4, s31, 32
	s_ashr_i32 s30, s6, 4
	s_load_b32 s6, s[0:1], 0x48
	s_sub_co_i32 s2, s2, s7
	s_min_i32 s17, s4, s30
	s_add_co_i32 s4, s5, 1
	s_wait_alu 0xfffe
	s_sub_co_i32 s7, s2, s10
	s_cmp_ge_u32 s2, s10
	v_lshrrev_b32_e32 v45, 5, v0
	s_cselect_b32 s4, s4, s5
	s_cselect_b32 s2, s7, s2
	s_add_co_i32 s5, s4, 1
	s_wait_alu 0xfffe
	s_cmp_ge_u32 s2, s10
	v_or_b32_e32 v46, s31, v45
	s_cselect_b32 s2, s5, s4
	v_mbcnt_lo_u32_b32 v49, -1, 0
	s_wait_alu 0xfffe
	s_xor_b32 s2, s2, s3
	s_mov_b32 s4, exec_lo
	s_wait_alu 0xfffe
	s_sub_co_i32 s3, s2, s3
	v_cmp_gt_i32_e64 s2, s17, v46
	s_wait_dscnt 0x0
	s_barrier_signal -1
	s_wait_kmcnt 0x0
	s_mul_i32 s18, s6, s15
	s_barrier_wait -1
	s_ashr_i32 s19, s18, 31
	global_inv scope:SCOPE_SE
                                        ; implicit-def: $vgpr50
                                        ; implicit-def: $vgpr51
	v_cmpx_le_i32_e64 s17, v46
	s_xor_b32 s4, exec_lo, s4
; %bb.6:
	v_dual_mov_b32 v50, 0 :: v_dual_mov_b32 v51, 32
	v_mbcnt_lo_u32_b32 v49, -1, 0
                                        ; implicit-def: $vgpr41
; %bb.7:
	s_or_saveexec_b32 s10, s4
	s_clause 0x2
	s_load_b32 s12, s[0:1], 0x98
	s_load_b64 s[20:21], s[0:1], 0x38
	s_load_b128 s[4:7], s[0:1], 0x68
	v_mov_b32_e32 v52, 0xff7fffff
	v_lshlrev_b32_e32 v48, 2, v46
	s_mul_i32 s22, s3, s14
	s_xor_b32 exec_lo, exec_lo, s10
	s_cbranch_execz .LBB218_13
; %bb.8:
	s_load_b64 s[24:25], s[0:1], 0x20
	v_bfe_u32 v43, v0, 1, 4
	v_xor_b32_e32 v25, 1, v49
	v_mul_u32_u24_e32 v37, 0xa0, v41
	s_ashr_i32 s23, s22, 31
	ds_load_b128 v[1:4], v37
	ds_load_b128 v[5:8], v37 offset:16
	ds_load_b128 v[9:12], v37 offset:32
	;; [unrolled: 1-line block ×5, first 2 shown]
	v_lshlrev_b32_e32 v26, 4, v43
	v_cmp_gt_i32_e32 vcc_lo, 32, v25
	v_lshlrev_b32_e32 v42, 1, v41
	s_cmp_neq_f32 s8, 0
	v_dual_mov_b32 v56, v46 :: v_dual_lshlrev_b32 v55, 4, v45
	v_cndmask_b32_e32 v44, v49, v25, vcc_lo
	v_cmp_eq_u32_e32 vcc_lo, 0, v41
	v_dual_mov_b32 v50, 0 :: v_dual_mov_b32 v51, 32
	s_mov_b32 s11, s13
	s_wait_kmcnt 0x0
	s_add_nc_u64 s[24:25], s[24:25], s[22:23]
	v_lshlrev_b32_e32 v53, 2, v44
	v_add_co_u32 v52, s3, s24, v26
	ds_load_b128 v[25:28], v37 offset:96
	ds_load_b128 v[29:32], v37 offset:112
	;; [unrolled: 1-line block ×4, first 2 shown]
	s_load_b32 s14, s[4:5], 0x0
	v_add_co_ci_u32_e64 v54, null, s25, 0, s3
	v_lshlrev_b32_e32 v44, 2, v43
	v_add_co_u32 v41, s4, v52, v42
	s_cselect_b32 s3, -1, 0
	v_add_co_ci_u32_e64 v42, null, 0, v54, s4
	s_lshl_b64 s[4:5], s[18:19], 2
	v_lshl_or_b32 v44, v45, 6, v44
	s_wait_alu 0xfffe
	s_add_nc_u64 s[4:5], s[20:21], s[4:5]
	v_add3_u32 v54, s28, v55, v43
	s_wait_alu 0xfffe
	v_add_co_u32 v43, s4, s4, v48
	v_add_nc_u32_e32 v55, 0x160, v44
	s_wait_alu 0xf1ff
	v_add_co_ci_u32_e64 v44, null, s5, 0, s4
	v_mov_b32_e32 v52, 0xff7fffff
	s_mov_b32 s23, 0
	s_wait_kmcnt 0x0
	s_mov_b32 s24, s14
	s_sub_co_i32 s25, 1, s27
	s_branch .LBB218_10
.LBB218_9:                              ;   in Loop: Header=BB218_10 Depth=1
	s_wait_alu 0xfffe
	s_or_b32 exec_lo, exec_lo, s5
	v_add_nc_u32_e32 v56, 4, v56
	v_add_co_u32 v43, s5, v43, 16
	v_add_nc_u32_e32 v54, 64, v54
	v_add_nc_u32_e32 v55, 0x100, v55
	s_delay_alu instid0(VALU_DEP_4) | instskip(SKIP_3) | instid1(SALU_CYCLE_1)
	v_cmp_le_i32_e64 s4, s17, v56
	s_wait_alu 0xf1ff
	v_add_co_ci_u32_e64 v44, null, 0, v44, s5
	s_or_b32 s23, s4, s23
	s_and_not1_b32 exec_lo, exec_lo, s23
	s_cbranch_execz .LBB218_12
.LBB218_10:                             ; =>This Inner Loop Header: Depth=1
	global_load_b32 v57, v[43:44], off
	s_wait_loadcnt_dscnt 0x0
	v_mad_co_i64_i32 v[57:58], null, v57, s11, v[41:42]
	s_clause 0x13
	global_load_u16 v59, v[57:58], off offset:4
	global_load_u16 v60, v[57:58], off
	global_load_u16 v61, v[57:58], off offset:8
	global_load_u16 v62, v[57:58], off offset:12
	;; [unrolled: 1-line block ×18, first 2 shown]
	s_wait_loadcnt 0x13
	v_cvt_pk_f32_fp8_e32 v[57:58], v59
	s_wait_loadcnt 0x12
	v_cvt_pk_f32_fp8_e32 v[59:60], v60
	s_wait_alu 0xfffe
	s_delay_alu instid0(VALU_DEP_2)
	v_dual_mul_f32 v79, s14, v57 :: v_dual_mul_f32 v80, s24, v58
	s_wait_loadcnt 0x11
	v_cvt_pk_f32_fp8_e32 v[57:58], v61
	v_mul_f32_e32 v61, s24, v60
	v_mul_f32_e32 v81, s14, v59
	s_wait_dscnt 0x9
	v_dual_mul_f32 v79, v3, v79 :: v_dual_mul_f32 v80, v4, v80
	s_wait_loadcnt 0x10
	v_cvt_pk_f32_fp8_e32 v[59:60], v62
	v_mul_f32_e32 v62, s24, v58
	v_mul_f32_e32 v82, s14, v57
	s_wait_loadcnt 0xf
	v_cvt_pk_f32_fp8_e32 v[57:58], v63
	v_dual_fmac_f32 v80, v2, v61 :: v_dual_mul_f32 v61, s24, v60
	v_fmac_f32_e32 v79, v1, v81
	v_mul_f32_e32 v63, s14, v59
	s_wait_loadcnt 0xe
	v_cvt_pk_f32_fp8_e32 v[59:60], v64
	s_wait_dscnt 0x8
	v_fmac_f32_e32 v80, v6, v62
	v_mul_f32_e32 v62, s24, v58
	v_dual_fmac_f32 v79, v5, v82 :: v_dual_mul_f32 v64, s14, v57
	s_wait_loadcnt 0xd
	v_cvt_pk_f32_fp8_e32 v[57:58], v65
	v_dual_fmac_f32 v80, v8, v61 :: v_dual_mul_f32 v61, s24, v60
	s_delay_alu instid0(VALU_DEP_3)
	v_fmac_f32_e32 v79, v7, v63
	v_mul_f32_e32 v63, s14, v59
	s_wait_loadcnt 0xc
	v_cvt_pk_f32_fp8_e32 v[59:60], v66
	s_wait_dscnt 0x7
	v_fmac_f32_e32 v80, v10, v62
	v_dual_mul_f32 v62, s24, v58 :: v_dual_fmac_f32 v79, v9, v64
	v_mul_f32_e32 v64, s14, v57
	s_wait_loadcnt 0xb
	v_cvt_pk_f32_fp8_e32 v[57:58], v67
	v_dual_fmac_f32 v80, v12, v61 :: v_dual_mul_f32 v61, s24, v60
	v_fmac_f32_e32 v79, v11, v63
	v_mul_f32_e32 v63, s14, v59
	s_wait_loadcnt 0xa
	v_cvt_pk_f32_fp8_e32 v[59:60], v68
	s_wait_dscnt 0x6
	v_fmac_f32_e32 v80, v14, v62
	v_dual_mul_f32 v62, s24, v58 :: v_dual_fmac_f32 v79, v13, v64
	v_mul_f32_e32 v64, s14, v57
	s_wait_loadcnt 0x9
	v_cvt_pk_f32_fp8_e32 v[57:58], v69
	v_dual_fmac_f32 v80, v16, v61 :: v_dual_mul_f32 v61, s24, v60
	;; [unrolled: 11-line block ×6, first 2 shown]
	v_fmac_f32_e32 v79, v31, v63
	s_delay_alu instid0(VALU_DEP_3) | instskip(SKIP_1) | instid1(VALU_DEP_3)
	v_dual_mul_f32 v63, s14, v59 :: v_dual_mul_f32 v58, s24, v58
	s_wait_dscnt 0x1
	v_fmac_f32_e32 v80, v34, v62
	s_wait_loadcnt 0x0
	v_cvt_pk_f32_fp8_e32 v[59:60], v78
	v_fmac_f32_e32 v79, v33, v64
	v_mul_f32_e32 v57, s14, v57
	v_fmac_f32_e32 v80, v36, v61
	s_delay_alu instid0(VALU_DEP_3) | instskip(SKIP_1) | instid1(VALU_DEP_2)
	v_dual_mul_f32 v60, s24, v60 :: v_dual_fmac_f32 v79, v35, v63
	s_wait_dscnt 0x0
	v_dual_fmac_f32 v80, v38, v58 :: v_dual_mul_f32 v59, s14, v59
	s_delay_alu instid0(VALU_DEP_1) | instskip(NEXT) | instid1(VALU_DEP_1)
	v_dual_fmac_f32 v79, v37, v57 :: v_dual_fmac_f32 v80, v40, v60
	v_fmac_f32_e32 v79, v39, v59
	s_delay_alu instid0(VALU_DEP_1)
	v_add_f32_e32 v57, v79, v80
	ds_bpermute_b32 v58, v53, v57
	s_and_saveexec_b32 s5, vcc_lo
	s_cbranch_execz .LBB218_9
; %bb.11:                               ;   in Loop: Header=BB218_10 Depth=1
	s_wait_dscnt 0x0
	v_add_f32_e32 v57, v57, v58
	v_add_nc_u32_e32 v59, s25, v54
	v_cmp_gt_i32_e64 s4, s27, v54
	s_delay_alu instid0(VALU_DEP_2) | instskip(NEXT) | instid1(VALU_DEP_1)
	v_cvt_f32_i32_e32 v59, v59
	v_mul_f32_e32 v59, s8, v59
	s_delay_alu instid0(VALU_DEP_1) | instskip(NEXT) | instid1(VALU_DEP_1)
	v_cndmask_b32_e64 v58, 0, v59, s3
	v_dual_max_num_f32 v59, v52, v52 :: v_dual_fmac_f32 v58, s9, v57
	s_delay_alu instid0(VALU_DEP_1) | instskip(SKIP_2) | instid1(VALU_DEP_2)
	v_max_num_f32_e32 v57, v59, v58
	s_wait_alu 0xf1ff
	v_cndmask_b32_e64 v58, 0, v58, s4
	v_cndmask_b32_e64 v52, v52, v57, s4
	ds_store_b32 v55, v58
	s_branch .LBB218_9
.LBB218_12:
	s_or_b32 exec_lo, exec_lo, s23
.LBB218_13:
	s_delay_alu instid0(SALU_CYCLE_1)
	s_or_b32 exec_lo, exec_lo, s10
	v_xor_b32_e32 v1, 16, v49
	v_xor_b32_e32 v3, 8, v49
	;; [unrolled: 1-line block ×3, first 2 shown]
	s_load_b128 s[8:11], s[0:1], 0x0
	s_wait_kmcnt 0x0
	s_clause 0x1
	s_load_b64 s[4:5], s[0:1], 0x10
	s_load_b64 s[24:25], s[0:1], 0x28
	v_and_b32_e32 v11, 31, v0
	v_cmp_lt_i32_e32 vcc_lo, v1, v51
	v_max_num_f32_e32 v5, v52, v52
	s_wait_alu 0xfffd
	v_cndmask_b32_e32 v1, v49, v1, vcc_lo
	v_cmp_lt_i32_e32 vcc_lo, v3, v51
	s_wait_alu 0xfffd
	v_cndmask_b32_e32 v3, v49, v3, vcc_lo
	s_delay_alu instid0(VALU_DEP_1) | instskip(SKIP_4) | instid1(VALU_DEP_1)
	v_lshlrev_b32_e32 v4, 2, v3
	v_lshlrev_b32_e32 v2, 2, v1
	ds_bpermute_b32 v1, v2, v52
	s_wait_dscnt 0x0
	v_max_num_f32_e32 v1, v1, v1
	v_max_num_f32_e32 v1, v5, v1
	v_xor_b32_e32 v5, 4, v49
	ds_bpermute_b32 v3, v4, v1
	v_cmp_lt_i32_e32 vcc_lo, v5, v51
	s_wait_alu 0xfffd
	v_cndmask_b32_e32 v5, v49, v5, vcc_lo
	v_cmp_lt_i32_e32 vcc_lo, v6, v51
	s_wait_alu 0xfffd
	s_delay_alu instid0(VALU_DEP_2) | instskip(SKIP_1) | instid1(VALU_DEP_2)
	v_dual_cndmask_b32 v6, v49, v6 :: v_dual_lshlrev_b32 v5, 2, v5
	v_cmp_eq_u32_e32 vcc_lo, 0, v11
	v_lshlrev_b32_e32 v12, 2, v6
	s_wait_dscnt 0x0
	v_dual_max_num_f32 v3, v3, v3 :: v_dual_lshlrev_b32 v6, 2, v45
	s_delay_alu instid0(VALU_DEP_1) | instskip(SKIP_3) | instid1(VALU_DEP_1)
	v_max_num_f32_e32 v1, v1, v3
	ds_bpermute_b32 v3, v5, v1
	s_wait_dscnt 0x0
	v_max_num_f32_e32 v3, v3, v3
	v_max_num_f32_e32 v1, v1, v3
	ds_bpermute_b32 v3, v12, v1
	s_and_saveexec_b32 s0, vcc_lo
	s_cbranch_execz .LBB218_15
; %bb.14:
	s_wait_dscnt 0x0
	v_max_num_f32_e32 v3, v3, v3
	v_max_num_f32_e32 v1, v1, v1
	s_delay_alu instid0(VALU_DEP_1)
	v_max_num_f32_e32 v1, v1, v3
	ds_store_b32 v6, v1 offset:320
.LBB218_15:
	s_or_b32 exec_lo, exec_lo, s0
	v_cmp_gt_u32_e64 s0, 4, v11
	v_mov_b32_e32 v1, 0xff7fffff
	v_lshlrev_b32_e32 v7, 2, v11
	s_wait_loadcnt_dscnt 0x0
	s_barrier_signal -1
	s_barrier_wait -1
	global_inv scope:SCOPE_SE
	s_and_saveexec_b32 s1, s0
; %bb.16:
	ds_load_b32 v1, v7 offset:320
; %bb.17:
	s_or_b32 exec_lo, exec_lo, s1
	s_wait_dscnt 0x0
	ds_bpermute_b32 v3, v12, v1
	v_xor_b32_e32 v8, 1, v49
	v_max_num_f32_e32 v1, v1, v1
	s_delay_alu instid0(VALU_DEP_2) | instskip(NEXT) | instid1(VALU_DEP_1)
	v_cmp_lt_i32_e64 s1, v8, v51
	v_cndmask_b32_e64 v8, v49, v8, s1
	s_sub_co_i32 s1, s17, s31
	s_wait_alu 0xfffe
	s_lshl_b32 s1, s1, 4
	s_delay_alu instid0(VALU_DEP_1)
	v_dual_mov_b32 v8, 0 :: v_dual_lshlrev_b32 v13, 2, v8
	s_wait_alu 0xfffe
	s_add_co_i32 s1, s1, s28
	s_wait_alu 0xfffe
	s_min_i32 s1, s1, s27
	s_wait_dscnt 0x0
	v_max_num_f32_e32 v3, v3, v3
	s_wait_alu 0xfffe
	s_sub_co_i32 s14, s1, s28
	s_wait_alu 0xfffe
	v_cmp_gt_i32_e64 s1, s14, v0
	v_max_num_f32_e32 v1, v1, v3
	ds_bpermute_b32 v3, v13, v1
	s_wait_dscnt 0x0
	v_max_num_f32_e32 v3, v3, v3
	s_delay_alu instid0(VALU_DEP_1)
	v_max_num_f32_e32 v1, v1, v3
	v_lshlrev_b32_e32 v3, 2, v50
	ds_bpermute_b32 v1, v3, v1
	v_lshl_add_u32 v3, v0, 2, 0x160
	s_and_saveexec_b32 s23, s1
	s_cbranch_execz .LBB218_21
; %bb.18:
	v_lshl_add_u32 v9, v0, 2, 0x160
	v_mov_b32_e32 v8, 0
	v_mov_b32_e32 v10, v0
	s_mov_b32 s31, 0
.LBB218_19:                             ; =>This Inner Loop Header: Depth=1
	ds_load_b32 v14, v9
	v_add_nc_u32_e32 v10, 0x80, v10
	s_delay_alu instid0(VALU_DEP_1) | instskip(SKIP_4) | instid1(VALU_DEP_1)
	v_cmp_le_i32_e64 s3, s14, v10
	s_wait_alu 0xfffe
	s_or_b32 s31, s3, s31
	s_wait_dscnt 0x0
	v_sub_f32_e32 v14, v14, v1
	v_mul_f32_e32 v14, 0x3fb8aa3b, v14
	s_delay_alu instid0(VALU_DEP_1)
	v_exp_f32_e32 v14, v14
	ds_store_b32 v9, v14
	v_dual_add_f32 v8, v8, v14 :: v_dual_add_nc_u32 v9, 0x200, v9
	s_wait_alu 0xfffe
	s_and_not1_b32 exec_lo, exec_lo, s31
	s_cbranch_execnz .LBB218_19
; %bb.20:
	s_or_b32 exec_lo, exec_lo, s31
.LBB218_21:
	s_delay_alu instid0(SALU_CYCLE_1)
	s_or_b32 exec_lo, exec_lo, s23
	ds_bpermute_b32 v2, v2, v8
	s_wait_dscnt 0x0
	v_add_f32_e32 v2, v8, v2
	ds_bpermute_b32 v4, v4, v2
	s_wait_dscnt 0x0
	v_add_f32_e32 v2, v2, v4
	;; [unrolled: 3-line block ×5, first 2 shown]
	s_and_saveexec_b32 s3, vcc_lo
; %bb.22:
	ds_store_b32 v6, v2 offset:336
; %bb.23:
	s_wait_alu 0xfffe
	s_or_b32 exec_lo, exec_lo, s3
	s_wait_loadcnt_dscnt 0x0
	s_barrier_signal -1
	s_barrier_wait -1
	global_inv scope:SCOPE_SE
	s_and_saveexec_b32 s3, s0
; %bb.24:
	ds_load_b32 v2, v7 offset:336
; %bb.25:
	s_wait_alu 0xfffe
	s_or_b32 exec_lo, exec_lo, s3
	s_wait_dscnt 0x0
	ds_bpermute_b32 v4, v12, v2
	s_wait_dscnt 0x0
	v_dual_add_f32 v2, v2, v4 :: v_dual_lshlrev_b32 v5, 2, v49
	ds_bpermute_b32 v4, v13, v2
	s_wait_dscnt 0x0
	v_add_f32_e32 v2, v2, v4
	v_and_b32_e32 v4, 0xffffff80, v5
	ds_bpermute_b32 v2, v4, v2
	s_and_saveexec_b32 s0, s1
	s_cbranch_execz .LBB218_28
; %bb.26:
	s_wait_dscnt 0x0
	v_add_f32_e32 v4, 0x358637bd, v2
	s_mov_b32 s1, 0
	s_delay_alu instid0(VALU_DEP_1) | instskip(SKIP_1) | instid1(VALU_DEP_2)
	v_div_scale_f32 v5, null, v4, v4, 1.0
	v_div_scale_f32 v8, vcc_lo, 1.0, v4, 1.0
	v_rcp_f32_e32 v6, v5
	s_delay_alu instid0(TRANS32_DEP_1) | instskip(NEXT) | instid1(VALU_DEP_1)
	v_fma_f32 v7, -v5, v6, 1.0
	v_fmac_f32_e32 v6, v7, v6
	s_delay_alu instid0(VALU_DEP_1) | instskip(NEXT) | instid1(VALU_DEP_1)
	v_mul_f32_e32 v7, v8, v6
	v_fma_f32 v9, -v5, v7, v8
	s_delay_alu instid0(VALU_DEP_1) | instskip(NEXT) | instid1(VALU_DEP_1)
	v_fmac_f32_e32 v7, v9, v6
	v_fma_f32 v5, -v5, v7, v8
	s_wait_alu 0xfffd
	s_delay_alu instid0(VALU_DEP_1) | instskip(NEXT) | instid1(VALU_DEP_1)
	v_div_fmas_f32 v5, v5, v6, v7
	v_div_fixup_f32 v4, v5, v4, 1.0
	v_mov_b32_e32 v5, v0
.LBB218_27:                             ; =>This Inner Loop Header: Depth=1
	ds_load_b32 v6, v3
	s_wait_dscnt 0x0
	v_dual_mul_f32 v6, v4, v6 :: v_dual_add_nc_u32 v5, 0x80, v5
	s_delay_alu instid0(VALU_DEP_1)
	v_cmp_le_i32_e32 vcc_lo, s14, v5
	ds_store_b32 v3, v6
	v_add_nc_u32_e32 v3, 0x200, v3
	s_wait_alu 0xfffe
	s_or_b32 s1, vcc_lo, s1
	s_wait_alu 0xfffe
	s_and_not1_b32 exec_lo, exec_lo, s1
	s_cbranch_execnz .LBB218_27
.LBB218_28:
	s_wait_alu 0xfffe
	s_or_b32 exec_lo, exec_lo, s0
	s_mul_i32 s0, s12, s15
	s_wait_loadcnt_dscnt 0x0
	s_wait_alu 0xfffe
	s_mul_i32 s14, s0, s29
	s_mov_b32 s0, exec_lo
	s_barrier_signal -1
	s_barrier_wait -1
	global_inv scope:SCOPE_SE
	v_cmpx_eq_u32_e32 0, v0
	s_cbranch_execz .LBB218_30
; %bb.29:
	s_wait_alu 0xfffe
	s_ashr_i32 s15, s14, 31
	s_mul_i32 s34, s12, ttmp9
	s_lshl_b32 s1, s26, 2
	s_wait_alu 0xfffe
	s_lshl_b64 s[36:37], s[14:15], 2
	s_ashr_i32 s35, s34, 31
	v_mov_b32_e32 v3, s1
	s_add_nc_u64 s[10:11], s[10:11], s[36:37]
	s_lshl_b64 s[34:35], s[34:35], 2
	s_add_nc_u64 s[8:9], s[8:9], s[36:37]
	s_wait_alu 0xfffe
	s_add_nc_u64 s[10:11], s[10:11], s[34:35]
	s_add_nc_u64 s[8:9], s[8:9], s[34:35]
	s_clause 0x1
	global_store_b32 v3, v1, s[10:11]
	global_store_b32 v3, v2, s[8:9]
.LBB218_30:
	s_wait_alu 0xfffe
	s_or_b32 exec_lo, exec_lo, s0
	v_dual_mov_b32 v22, 0 :: v_dual_mov_b32 v23, 0
	v_dual_mov_b32 v21, 0 :: v_dual_and_b32 v14, 3, v0
	v_dual_mov_b32 v24, 0 :: v_dual_mov_b32 v19, 0
	v_dual_mov_b32 v20, 0 :: v_dual_mov_b32 v17, 0
	;; [unrolled: 1-line block ×3, first 2 shown]
	v_mov_b32_e32 v16, 0
	s_and_saveexec_b32 s1, s2
	s_cbranch_execz .LBB218_54
; %bb.31:
	s_load_b32 s3, s[6:7], 0x0
	v_dual_mov_b32 v15, 0 :: v_dual_lshlrev_b32 v2, 4, v14
	v_dual_mov_b32 v18, 0 :: v_dual_and_b32 v3, 0x7c, v47
	s_ashr_i32 s23, s22, 31
	s_lshl_b64 s[6:7], s[18:19], 2
	s_wait_kmcnt 0x0
	s_add_nc_u64 s[8:9], s[24:25], s[22:23]
	v_dual_mov_b32 v16, 0 :: v_dual_and_b32 v1, 12, v47
	v_lshl_add_u32 v4, v45, 4, s28
	v_lshl_or_b32 v2, v45, 6, v2
	s_wait_alu 0xfffe
	v_add_co_u32 v5, s0, s8, v3
	s_add_nc_u64 s[6:7], s[20:21], s[6:7]
	s_wait_alu 0xf1ff
	v_add_co_ci_u32_e64 v6, null, s9, 0, s0
	v_add_co_u32 v7, s0, s6, v48
	v_add3_u32 v25, v4, v1, 3
	v_dual_mov_b32 v17, 0 :: v_dual_add_nc_u32 v26, 0x160, v2
	s_wait_alu 0xf1ff
	v_add_co_ci_u32_e64 v8, null, s7, 0, s0
	v_dual_mov_b32 v19, 0 :: v_dual_mov_b32 v20, 0
	v_dual_mov_b32 v21, 0 :: v_dual_mov_b32 v24, 0
	;; [unrolled: 1-line block ×3, first 2 shown]
	s_mov_b32 s2, s13
	s_mov_b32 s6, s3
	s_add_co_i32 s30, s30, -1
	s_mov_b32 s7, 0
	s_branch .LBB218_33
.LBB218_32:                             ;   in Loop: Header=BB218_33 Depth=1
	s_wait_alu 0xfffe
	s_or_b32 exec_lo, exec_lo, s0
	s_wait_dscnt 0x0
	v_mul_f32_e32 v39, v1, v65
	v_mul_f32_e32 v38, v1, v69
	v_add_co_u32 v7, s0, v7, 16
	v_add_nc_u32_e32 v25, 64, v25
	s_delay_alu instid0(VALU_DEP_4) | instskip(NEXT) | instid1(VALU_DEP_4)
	v_fmac_f32_e32 v39, v2, v62
	v_fmac_f32_e32 v38, v2, v68
	s_wait_alu 0xf1ff
	v_add_co_ci_u32_e64 v8, null, 0, v8, s0
	s_delay_alu instid0(VALU_DEP_3) | instskip(NEXT) | instid1(VALU_DEP_3)
	v_dual_mul_f32 v34, v1, v34 :: v_dual_fmac_f32 v39, v3, v61
	v_fmac_f32_e32 v38, v3, v67
	v_add_nc_u32_e32 v46, 4, v46
	v_mul_f32_e32 v30, v1, v30
	s_delay_alu instid0(VALU_DEP_4) | instskip(NEXT) | instid1(VALU_DEP_4)
	v_dual_fmac_f32 v34, v2, v33 :: v_dual_fmac_f32 v39, v4, v60
	v_dual_mul_f32 v41, v1, v59 :: v_dual_fmac_f32 v38, v4, v66
	s_delay_alu instid0(VALU_DEP_2) | instskip(NEXT) | instid1(VALU_DEP_3)
	v_dual_mul_f32 v55, v1, v55 :: v_dual_fmac_f32 v34, v3, v32
	v_add_f32_e32 v17, v17, v39
	s_delay_alu instid0(VALU_DEP_3) | instskip(NEXT) | instid1(VALU_DEP_4)
	v_fmac_f32_e32 v41, v2, v58
	v_add_f32_e32 v16, v16, v38
	v_mul_f32_e32 v38, v1, v47
	v_dual_mul_f32 v39, v1, v40 :: v_dual_fmac_f32 v34, v4, v31
	s_delay_alu instid0(VALU_DEP_4) | instskip(SKIP_1) | instid1(VALU_DEP_4)
	v_fmac_f32_e32 v41, v3, v57
	v_cmp_le_i32_e32 vcc_lo, s17, v46
	v_fmac_f32_e32 v38, v2, v44
	v_fmac_f32_e32 v30, v2, v29
	;; [unrolled: 1-line block ×4, first 2 shown]
	v_mul_f32_e32 v51, v1, v51
	v_fmac_f32_e32 v38, v3, v43
	s_or_b32 s7, vcc_lo, s7
	v_fmac_f32_e32 v30, v3, v28
	v_add_f32_e32 v18, v18, v41
	v_fmac_f32_e32 v51, v2, v50
	v_dual_fmac_f32 v38, v4, v42 :: v_dual_mul_f32 v1, v1, v64
	s_delay_alu instid0(VALU_DEP_4) | instskip(NEXT) | instid1(VALU_DEP_3)
	v_dual_fmac_f32 v30, v4, v27 :: v_dual_fmac_f32 v39, v3, v36
	v_dual_fmac_f32 v51, v3, v49 :: v_dual_add_nc_u32 v26, 0x100, v26
	s_delay_alu instid0(VALU_DEP_3) | instskip(NEXT) | instid1(VALU_DEP_4)
	v_fmac_f32_e32 v1, v2, v63
	v_add_f32_e32 v21, v21, v38
	v_add_f32_e32 v24, v24, v34
	s_delay_alu instid0(VALU_DEP_4) | instskip(SKIP_3) | instid1(VALU_DEP_3)
	v_fmac_f32_e32 v51, v4, v48
	v_fmac_f32_e32 v55, v2, v54
	;; [unrolled: 1-line block ×3, first 2 shown]
	v_dual_add_f32 v22, v22, v30 :: v_dual_fmac_f32 v39, v4, v35
	v_dual_add_f32 v20, v20, v51 :: v_dual_fmac_f32 v55, v3, v53
	s_delay_alu instid0(VALU_DEP_3) | instskip(NEXT) | instid1(VALU_DEP_3)
	v_fmac_f32_e32 v1, v4, v9
	v_add_f32_e32 v23, v23, v39
	s_delay_alu instid0(VALU_DEP_3) | instskip(NEXT) | instid1(VALU_DEP_3)
	v_fmac_f32_e32 v55, v4, v52
	v_add_f32_e32 v15, v15, v1
	s_delay_alu instid0(VALU_DEP_2)
	v_add_f32_e32 v19, v19, v55
	s_wait_alu 0xfffe
	s_and_not1_b32 exec_lo, exec_lo, s7
	s_cbranch_execz .LBB218_53
.LBB218_33:                             ; =>This Inner Loop Header: Depth=1
	global_load_b32 v1, v[7:8], off
	s_wait_alu 0xfffe
	v_cmp_eq_u32_e32 vcc_lo, s30, v46
	v_add_nc_u32_e32 v41, -1, v25
	s_wait_loadcnt 0x0
	v_mad_co_i64_i32 v[9:10], null, v1, s2, v[5:6]
	ds_load_b128 v[1:4], v26
	global_load_b32 v27, v[9:10], off
	s_wait_loadcnt 0x0
	v_lshrrev_b32_e32 v29, 16, v27
	s_delay_alu instid0(VALU_DEP_1) | instskip(SKIP_1) | instid1(VALU_DEP_1)
	v_cvt_pk_f32_fp8_e32 v[31:32], v29
	v_and_b32_e32 v28, 0xffff, v27
	v_cvt_pk_f32_fp8_e32 v[27:28], v28
	v_add_nc_u32_e32 v38, -3, v25
	s_delay_alu instid0(VALU_DEP_2) | instskip(NEXT) | instid1(VALU_DEP_3)
	v_dual_mul_f32 v30, s3, v27 :: v_dual_add_nc_u32 v39, -2, v25
	v_dual_mul_f32 v29, s6, v28 :: v_dual_mul_f32 v28, s3, v31
	v_mul_f32_e32 v27, s6, v32
	s_and_saveexec_b32 s8, vcc_lo
	s_cbranch_execz .LBB218_35
; %bb.34:                               ;   in Loop: Header=BB218_33 Depth=1
	v_cmp_gt_i32_e64 s0, s27, v38
	s_wait_alu 0xf1ff
	s_delay_alu instid0(VALU_DEP_1) | instskip(SKIP_2) | instid1(VALU_DEP_1)
	v_cndmask_b32_e64 v30, 0, v30, s0
	v_cmp_gt_i32_e64 s0, s27, v39
	s_wait_alu 0xf1ff
	v_cndmask_b32_e64 v29, 0, v29, s0
	v_cmp_gt_i32_e64 s0, s27, v41
	s_wait_alu 0xf1ff
	s_delay_alu instid0(VALU_DEP_1) | instskip(SKIP_2) | instid1(VALU_DEP_1)
	v_cndmask_b32_e64 v28, 0, v28, s0
	v_cmp_gt_i32_e64 s0, s27, v25
	s_wait_alu 0xf1ff
	v_cndmask_b32_e64 v27, 0, v27, s0
.LBB218_35:                             ;   in Loop: Header=BB218_33 Depth=1
	s_wait_alu 0xfffe
	s_or_b32 exec_lo, exec_lo, s8
	global_load_b32 v31, v[9:10], off offset:128
	s_wait_loadcnt 0x0
	v_lshrrev_b32_e32 v33, 16, v31
	s_delay_alu instid0(VALU_DEP_1) | instskip(SKIP_1) | instid1(VALU_DEP_1)
	v_cvt_pk_f32_fp8_e32 v[35:36], v33
	v_and_b32_e32 v32, 0xffff, v31
	v_cvt_pk_f32_fp8_e32 v[31:32], v32
	s_delay_alu instid0(VALU_DEP_1) | instskip(NEXT) | instid1(VALU_DEP_4)
	v_dual_mul_f32 v34, s3, v31 :: v_dual_mul_f32 v33, s6, v32
	v_dual_mul_f32 v32, s3, v35 :: v_dual_mul_f32 v31, s6, v36
	s_and_saveexec_b32 s8, vcc_lo
	s_cbranch_execz .LBB218_37
; %bb.36:                               ;   in Loop: Header=BB218_33 Depth=1
	v_cmp_gt_i32_e64 s0, s27, v38
	s_wait_alu 0xf1ff
	s_delay_alu instid0(VALU_DEP_1) | instskip(SKIP_2) | instid1(VALU_DEP_1)
	v_cndmask_b32_e64 v34, 0, v34, s0
	v_cmp_gt_i32_e64 s0, s27, v39
	s_wait_alu 0xf1ff
	v_cndmask_b32_e64 v33, 0, v33, s0
	v_cmp_gt_i32_e64 s0, s27, v41
	s_wait_alu 0xf1ff
	s_delay_alu instid0(VALU_DEP_1) | instskip(SKIP_2) | instid1(VALU_DEP_1)
	v_cndmask_b32_e64 v32, 0, v32, s0
	v_cmp_gt_i32_e64 s0, s27, v25
	s_wait_alu 0xf1ff
	v_cndmask_b32_e64 v31, 0, v31, s0
.LBB218_37:                             ;   in Loop: Header=BB218_33 Depth=1
	s_wait_alu 0xfffe
	s_or_b32 exec_lo, exec_lo, s8
	global_load_b32 v35, v[9:10], off offset:256
	s_wait_loadcnt 0x0
	v_and_b32_e32 v36, 0xffff, v35
	v_lshrrev_b32_e32 v37, 16, v35
	s_delay_alu instid0(VALU_DEP_2) | instskip(NEXT) | instid1(VALU_DEP_2)
	v_cvt_pk_f32_fp8_e32 v[35:36], v36
	v_cvt_pk_f32_fp8_e32 v[42:43], v37
	s_delay_alu instid0(VALU_DEP_2) | instskip(NEXT) | instid1(VALU_DEP_2)
	v_dual_mul_f32 v40, s3, v35 :: v_dual_mul_f32 v37, s6, v36
	v_dual_mul_f32 v36, s3, v42 :: v_dual_mul_f32 v35, s6, v43
	s_and_saveexec_b32 s8, vcc_lo
	s_cbranch_execz .LBB218_39
; %bb.38:                               ;   in Loop: Header=BB218_33 Depth=1
	v_cmp_gt_i32_e64 s0, s27, v38
	s_wait_alu 0xf1ff
	s_delay_alu instid0(VALU_DEP_1) | instskip(SKIP_2) | instid1(VALU_DEP_1)
	v_cndmask_b32_e64 v40, 0, v40, s0
	v_cmp_gt_i32_e64 s0, s27, v39
	s_wait_alu 0xf1ff
	v_cndmask_b32_e64 v37, 0, v37, s0
	v_cmp_gt_i32_e64 s0, s27, v41
	s_wait_alu 0xf1ff
	s_delay_alu instid0(VALU_DEP_1) | instskip(SKIP_2) | instid1(VALU_DEP_1)
	v_cndmask_b32_e64 v36, 0, v36, s0
	v_cmp_gt_i32_e64 s0, s27, v25
	s_wait_alu 0xf1ff
	v_cndmask_b32_e64 v35, 0, v35, s0
.LBB218_39:                             ;   in Loop: Header=BB218_33 Depth=1
	s_wait_alu 0xfffe
	s_or_b32 exec_lo, exec_lo, s8
	global_load_b32 v42, v[9:10], off offset:384
	s_wait_loadcnt 0x0
	v_lshrrev_b32_e32 v44, 16, v42
	s_delay_alu instid0(VALU_DEP_1) | instskip(SKIP_1) | instid1(VALU_DEP_1)
	v_cvt_pk_f32_fp8_e32 v[48:49], v44
	v_and_b32_e32 v43, 0xffff, v42
	v_cvt_pk_f32_fp8_e32 v[42:43], v43
	s_delay_alu instid0(VALU_DEP_1) | instskip(NEXT) | instid1(VALU_DEP_4)
	v_dual_mul_f32 v47, s3, v42 :: v_dual_mul_f32 v44, s6, v43
	v_dual_mul_f32 v43, s3, v48 :: v_dual_mul_f32 v42, s6, v49
	s_and_saveexec_b32 s8, vcc_lo
	s_cbranch_execz .LBB218_41
; %bb.40:                               ;   in Loop: Header=BB218_33 Depth=1
	v_cmp_gt_i32_e64 s0, s27, v38
	s_wait_alu 0xf1ff
	s_delay_alu instid0(VALU_DEP_1) | instskip(SKIP_2) | instid1(VALU_DEP_1)
	v_cndmask_b32_e64 v47, 0, v47, s0
	v_cmp_gt_i32_e64 s0, s27, v39
	s_wait_alu 0xf1ff
	v_cndmask_b32_e64 v44, 0, v44, s0
	v_cmp_gt_i32_e64 s0, s27, v41
	s_wait_alu 0xf1ff
	s_delay_alu instid0(VALU_DEP_1) | instskip(SKIP_2) | instid1(VALU_DEP_1)
	v_cndmask_b32_e64 v43, 0, v43, s0
	v_cmp_gt_i32_e64 s0, s27, v25
	s_wait_alu 0xf1ff
	v_cndmask_b32_e64 v42, 0, v42, s0
.LBB218_41:                             ;   in Loop: Header=BB218_33 Depth=1
	s_wait_alu 0xfffe
	s_or_b32 exec_lo, exec_lo, s8
	global_load_b32 v48, v[9:10], off offset:512
	s_wait_loadcnt 0x0
	v_lshrrev_b32_e32 v50, 16, v48
	s_delay_alu instid0(VALU_DEP_1) | instskip(SKIP_1) | instid1(VALU_DEP_1)
	v_cvt_pk_f32_fp8_e32 v[52:53], v50
	v_and_b32_e32 v49, 0xffff, v48
	v_cvt_pk_f32_fp8_e32 v[48:49], v49
	s_delay_alu instid0(VALU_DEP_1) | instskip(NEXT) | instid1(VALU_DEP_4)
	;; [unrolled: 30-line block ×4, first 2 shown]
	v_dual_mul_f32 v59, s3, v56 :: v_dual_mul_f32 v58, s6, v57
	v_dual_mul_f32 v57, s3, v60 :: v_dual_mul_f32 v56, s6, v61
	s_and_saveexec_b32 s8, vcc_lo
	s_cbranch_execz .LBB218_47
; %bb.46:                               ;   in Loop: Header=BB218_33 Depth=1
	v_cmp_gt_i32_e64 s0, s27, v38
	s_wait_alu 0xf1ff
	s_delay_alu instid0(VALU_DEP_1) | instskip(SKIP_2) | instid1(VALU_DEP_1)
	v_cndmask_b32_e64 v59, 0, v59, s0
	v_cmp_gt_i32_e64 s0, s27, v39
	s_wait_alu 0xf1ff
	v_cndmask_b32_e64 v58, 0, v58, s0
	v_cmp_gt_i32_e64 s0, s27, v41
	s_wait_alu 0xf1ff
	s_delay_alu instid0(VALU_DEP_1) | instskip(SKIP_2) | instid1(VALU_DEP_1)
	v_cndmask_b32_e64 v57, 0, v57, s0
	v_cmp_gt_i32_e64 s0, s27, v25
	s_wait_alu 0xf1ff
	v_cndmask_b32_e64 v56, 0, v56, s0
.LBB218_47:                             ;   in Loop: Header=BB218_33 Depth=1
	s_wait_alu 0xfffe
	s_or_b32 exec_lo, exec_lo, s8
	global_load_b32 v60, v[9:10], off offset:896
	s_wait_loadcnt 0x0
	v_and_b32_e32 v61, 0xffff, v60
	v_lshrrev_b32_e32 v62, 16, v60
	s_delay_alu instid0(VALU_DEP_2) | instskip(NEXT) | instid1(VALU_DEP_2)
	v_cvt_pk_f32_fp8_e32 v[60:61], v61
	v_cvt_pk_f32_fp8_e32 v[63:64], v62
	s_delay_alu instid0(VALU_DEP_2) | instskip(NEXT) | instid1(VALU_DEP_2)
	v_dual_mul_f32 v65, s3, v60 :: v_dual_mul_f32 v62, s6, v61
	v_dual_mul_f32 v61, s3, v63 :: v_dual_mul_f32 v60, s6, v64
	s_and_saveexec_b32 s8, vcc_lo
	s_cbranch_execz .LBB218_49
; %bb.48:                               ;   in Loop: Header=BB218_33 Depth=1
	v_cmp_gt_i32_e64 s0, s27, v38
	s_wait_alu 0xf1ff
	s_delay_alu instid0(VALU_DEP_1) | instskip(SKIP_2) | instid1(VALU_DEP_1)
	v_cndmask_b32_e64 v65, 0, v65, s0
	v_cmp_gt_i32_e64 s0, s27, v39
	s_wait_alu 0xf1ff
	v_cndmask_b32_e64 v62, 0, v62, s0
	v_cmp_gt_i32_e64 s0, s27, v41
	s_wait_alu 0xf1ff
	s_delay_alu instid0(VALU_DEP_1) | instskip(SKIP_2) | instid1(VALU_DEP_1)
	v_cndmask_b32_e64 v61, 0, v61, s0
	v_cmp_gt_i32_e64 s0, s27, v25
	s_wait_alu 0xf1ff
	v_cndmask_b32_e64 v60, 0, v60, s0
.LBB218_49:                             ;   in Loop: Header=BB218_33 Depth=1
	s_wait_alu 0xfffe
	s_or_b32 exec_lo, exec_lo, s8
	global_load_b32 v63, v[9:10], off offset:1024
	s_wait_loadcnt 0x0
	v_lshrrev_b32_e32 v66, 16, v63
	s_delay_alu instid0(VALU_DEP_1) | instskip(NEXT) | instid1(VALU_DEP_1)
	v_cvt_pk_f32_fp8_e32 v[70:71], v66
	v_dual_mul_f32 v67, s3, v70 :: v_dual_and_b32 v64, 0xffff, v63
	s_delay_alu instid0(VALU_DEP_1) | instskip(NEXT) | instid1(VALU_DEP_3)
	v_cvt_pk_f32_fp8_e32 v[63:64], v64
	v_mul_f32_e32 v66, s6, v71
	s_delay_alu instid0(VALU_DEP_2)
	v_dual_mul_f32 v69, s3, v63 :: v_dual_mul_f32 v68, s6, v64
	s_and_saveexec_b32 s8, vcc_lo
	s_cbranch_execz .LBB218_51
; %bb.50:                               ;   in Loop: Header=BB218_33 Depth=1
	v_cmp_gt_i32_e64 s0, s27, v38
	s_wait_alu 0xf1ff
	s_delay_alu instid0(VALU_DEP_1) | instskip(SKIP_2) | instid1(VALU_DEP_1)
	v_cndmask_b32_e64 v69, 0, v69, s0
	v_cmp_gt_i32_e64 s0, s27, v39
	s_wait_alu 0xf1ff
	v_cndmask_b32_e64 v68, 0, v68, s0
	v_cmp_gt_i32_e64 s0, s27, v41
	s_wait_alu 0xf1ff
	s_delay_alu instid0(VALU_DEP_1) | instskip(SKIP_2) | instid1(VALU_DEP_1)
	v_cndmask_b32_e64 v67, 0, v67, s0
	v_cmp_gt_i32_e64 s0, s27, v25
	s_wait_alu 0xf1ff
	v_cndmask_b32_e64 v66, 0, v66, s0
.LBB218_51:                             ;   in Loop: Header=BB218_33 Depth=1
	s_wait_alu 0xfffe
	s_or_b32 exec_lo, exec_lo, s8
	global_load_b32 v9, v[9:10], off offset:1152
	s_wait_loadcnt 0x0
	v_lshrrev_b32_e32 v63, 16, v9
	s_delay_alu instid0(VALU_DEP_1) | instskip(SKIP_1) | instid1(VALU_DEP_1)
	v_cvt_pk_f32_fp8_e32 v[70:71], v63
	v_and_b32_e32 v10, 0xffff, v9
	v_cvt_pk_f32_fp8_e32 v[9:10], v10
	s_delay_alu instid0(VALU_DEP_1) | instskip(NEXT) | instid1(VALU_DEP_4)
	v_dual_mul_f32 v64, s3, v9 :: v_dual_mul_f32 v63, s6, v10
	v_dual_mul_f32 v10, s3, v70 :: v_dual_mul_f32 v9, s6, v71
	s_and_saveexec_b32 s0, vcc_lo
	s_cbranch_execz .LBB218_32
; %bb.52:                               ;   in Loop: Header=BB218_33 Depth=1
	v_cmp_gt_i32_e32 vcc_lo, s27, v38
	s_wait_alu 0xfffd
	v_cndmask_b32_e32 v64, 0, v64, vcc_lo
	v_cmp_gt_i32_e32 vcc_lo, s27, v39
	s_wait_alu 0xfffd
	v_cndmask_b32_e32 v63, 0, v63, vcc_lo
	;; [unrolled: 3-line block ×4, first 2 shown]
	s_branch .LBB218_32
.LBB218_53:
	s_or_b32 exec_lo, exec_lo, s7
.LBB218_54:
	s_wait_alu 0xfffe
	s_or_b32 exec_lo, exec_lo, s1
	ds_bpermute_b32 v1, v12, v22
	ds_bpermute_b32 v2, v12, v24
	;; [unrolled: 1-line block ×10, first 2 shown]
	s_mov_b32 s0, exec_lo
	s_wait_storecnt 0x0
	s_wait_loadcnt_dscnt 0x0
	s_barrier_signal -1
	s_barrier_wait -1
	global_inv scope:SCOPE_SE
	v_dual_add_f32 v1, v22, v1 :: v_dual_add_f32 v2, v24, v2
	v_dual_add_f32 v3, v23, v3 :: v_dual_add_f32 v4, v21, v4
	;; [unrolled: 1-line block ×5, first 2 shown]
	ds_bpermute_b32 v15, v13, v1
	ds_bpermute_b32 v16, v13, v2
	;; [unrolled: 1-line block ×10, first 2 shown]
	v_and_b32_e32 v12, 28, v11
	v_lshrrev_b32_e32 v11, 2, v11
	v_mul_u32_u24_e32 v13, 0x140, v45
	v_and_b32_e32 v25, 0x3c3, v0
	s_wait_dscnt 0x8
	v_dual_add_f32 v1, v1, v15 :: v_dual_add_f32 v2, v2, v16
	s_wait_dscnt 0x7
	v_dual_add_f32 v3, v3, v17 :: v_dual_add_nc_u32 v12, 0x160, v12
	s_wait_dscnt 0x5
	v_dual_add_f32 v4, v4, v18 :: v_dual_add_f32 v5, v5, v19
	s_wait_dscnt 0x3
	v_dual_add_f32 v6, v6, v20 :: v_dual_add_f32 v7, v7, v21
	;; [unrolled: 2-line block ×3, first 2 shown]
	s_wait_dscnt 0x0
	v_add_f32_e32 v10, v10, v24
	v_cmpx_eq_u32_e32 64, v25
	s_cbranch_execz .LBB218_56
; %bb.55:
	v_add_nc_u32_e32 v15, v12, v13
	s_delay_alu instid0(VALU_DEP_1)
	v_add_nc_u32_e32 v16, 0xfffffd80, v15
	v_add_nc_u32_e32 v17, 0xfffffda0, v15
	v_add_nc_u32_e32 v18, 0xfffffdc0, v15
	v_add_nc_u32_e32 v19, 0xfffffde0, v15
	v_add_nc_u32_e32 v20, 0xfffffe00, v15
	v_add_nc_u32_e32 v21, 0xfffffe20, v15
	v_add_nc_u32_e32 v22, 0xfffffe40, v15
	v_add_nc_u32_e32 v23, 0xfffffe60, v15
	v_add_nc_u32_e32 v24, 0xfffffe80, v15
	v_add_nc_u32_e32 v15, 0xfffffea0, v15
	ds_store_b32 v16, v1
	ds_store_b32 v17, v2
	;; [unrolled: 1-line block ×10, first 2 shown]
.LBB218_56:
	s_wait_alu 0xfffe
	s_or_b32 exec_lo, exec_lo, s0
	v_lshlrev_b32_e32 v11, 2, v11
	s_mov_b32 s1, exec_lo
	v_cmp_eq_u32_e32 vcc_lo, 0, v14
	s_wait_loadcnt_dscnt 0x0
	s_barrier_signal -1
	v_add3_u32 v11, 0x160, v13, v11
	s_barrier_wait -1
	global_inv scope:SCOPE_SE
	v_cmpx_gt_u32_e32 64, v0
	s_cbranch_execz .LBB218_69
; %bb.57:
	s_and_saveexec_b32 s0, vcc_lo
	s_cbranch_execnz .LBB218_87
; %bb.58:
	s_wait_alu 0xfffe
	s_or_b32 exec_lo, exec_lo, s0
	s_and_saveexec_b32 s0, vcc_lo
	s_cbranch_execnz .LBB218_88
.LBB218_59:
	s_wait_alu 0xfffe
	s_or_b32 exec_lo, exec_lo, s0
	s_and_saveexec_b32 s0, vcc_lo
	s_cbranch_execnz .LBB218_89
.LBB218_60:
	s_wait_alu 0xfffe
	s_or_b32 exec_lo, exec_lo, s0
	s_and_saveexec_b32 s0, vcc_lo
	s_cbranch_execnz .LBB218_90
.LBB218_61:
	s_wait_alu 0xfffe
	s_or_b32 exec_lo, exec_lo, s0
	s_and_saveexec_b32 s0, vcc_lo
	s_cbranch_execnz .LBB218_91
.LBB218_62:
	s_wait_alu 0xfffe
	s_or_b32 exec_lo, exec_lo, s0
	s_and_saveexec_b32 s0, vcc_lo
	s_cbranch_execnz .LBB218_92
.LBB218_63:
	s_wait_alu 0xfffe
	s_or_b32 exec_lo, exec_lo, s0
	s_and_saveexec_b32 s0, vcc_lo
	s_cbranch_execnz .LBB218_93
.LBB218_64:
	s_wait_alu 0xfffe
	s_or_b32 exec_lo, exec_lo, s0
	s_and_saveexec_b32 s0, vcc_lo
	s_cbranch_execnz .LBB218_94
.LBB218_65:
	s_wait_alu 0xfffe
	s_or_b32 exec_lo, exec_lo, s0
	s_and_saveexec_b32 s0, vcc_lo
	s_cbranch_execnz .LBB218_95
.LBB218_66:
	s_wait_alu 0xfffe
	s_or_b32 exec_lo, exec_lo, s0
	s_and_saveexec_b32 s0, vcc_lo
	s_cbranch_execz .LBB218_68
.LBB218_67:
	ds_load_b32 v13, v11 offset:288
	s_wait_dscnt 0x0
	v_add_f32_e32 v10, v10, v13
.LBB218_68:
	s_wait_alu 0xfffe
	s_or_b32 exec_lo, exec_lo, s0
.LBB218_69:
	s_wait_alu 0xfffe
	s_or_b32 exec_lo, exec_lo, s1
	v_and_b32_e32 v13, 0x3e3, v0
	s_mov_b32 s1, exec_lo
	s_wait_loadcnt 0x0
	s_barrier_signal -1
	s_barrier_wait -1
	global_inv scope:SCOPE_SE
	v_cmpx_eq_u32_e32 32, v13
	s_cbranch_execz .LBB218_71
; %bb.70:
	ds_store_2addr_b32 v12, v1, v2 offset1:8
	ds_store_2addr_b32 v12, v3, v4 offset0:16 offset1:24
	ds_store_2addr_b32 v12, v5, v6 offset0:32 offset1:40
	;; [unrolled: 1-line block ×4, first 2 shown]
.LBB218_71:
	s_wait_alu 0xfffe
	s_or_b32 exec_lo, exec_lo, s1
	s_delay_alu instid0(SALU_CYCLE_1)
	s_mov_b32 s1, exec_lo
	s_wait_loadcnt_dscnt 0x0
	s_barrier_signal -1
	s_barrier_wait -1
	global_inv scope:SCOPE_SE
	v_cmpx_gt_u32_e32 32, v0
	s_cbranch_execz .LBB218_84
; %bb.72:
	s_and_saveexec_b32 s0, vcc_lo
	s_cbranch_execnz .LBB218_96
; %bb.73:
	s_wait_alu 0xfffe
	s_or_b32 exec_lo, exec_lo, s0
	s_and_saveexec_b32 s0, vcc_lo
	s_cbranch_execnz .LBB218_97
.LBB218_74:
	s_wait_alu 0xfffe
	s_or_b32 exec_lo, exec_lo, s0
	s_and_saveexec_b32 s0, vcc_lo
	s_cbranch_execnz .LBB218_98
.LBB218_75:
	s_wait_alu 0xfffe
	s_or_b32 exec_lo, exec_lo, s0
	s_and_saveexec_b32 s0, vcc_lo
	s_cbranch_execnz .LBB218_99
.LBB218_76:
	s_wait_alu 0xfffe
	s_or_b32 exec_lo, exec_lo, s0
	s_and_saveexec_b32 s0, vcc_lo
	s_cbranch_execnz .LBB218_100
.LBB218_77:
	s_wait_alu 0xfffe
	s_or_b32 exec_lo, exec_lo, s0
	s_and_saveexec_b32 s0, vcc_lo
	s_cbranch_execnz .LBB218_101
.LBB218_78:
	s_wait_alu 0xfffe
	s_or_b32 exec_lo, exec_lo, s0
	s_and_saveexec_b32 s0, vcc_lo
	s_cbranch_execnz .LBB218_102
.LBB218_79:
	s_wait_alu 0xfffe
	s_or_b32 exec_lo, exec_lo, s0
	s_and_saveexec_b32 s0, vcc_lo
	s_cbranch_execnz .LBB218_103
.LBB218_80:
	s_wait_alu 0xfffe
	s_or_b32 exec_lo, exec_lo, s0
	s_and_saveexec_b32 s0, vcc_lo
	s_cbranch_execnz .LBB218_104
.LBB218_81:
	s_wait_alu 0xfffe
	s_or_b32 exec_lo, exec_lo, s0
	s_and_saveexec_b32 s0, vcc_lo
	s_cbranch_execz .LBB218_83
.LBB218_82:
	ds_load_b32 v11, v11 offset:288
	s_wait_dscnt 0x0
	v_add_f32_e32 v10, v10, v11
.LBB218_83:
	s_wait_alu 0xfffe
	s_or_b32 exec_lo, exec_lo, s0
.LBB218_84:
	s_wait_alu 0xfffe
	s_or_b32 exec_lo, exec_lo, s1
	s_mov_b32 s1, 0
	s_wait_loadcnt 0x0
	s_barrier_signal -1
	s_barrier_wait -1
	global_inv scope:SCOPE_SE
	s_mov_b32 s0, exec_lo
	v_cmpx_eq_u32_e32 0, v13
	s_cbranch_execz .LBB218_86
; %bb.85:
	s_mul_i32 s2, s14, 0x50
	s_mul_i32 s6, s12, s16
	s_wait_alu 0xfffe
	s_ashr_i32 s3, s2, 31
	s_ashr_i32 s7, s6, 31
	s_wait_alu 0xfffe
	s_lshl_b64 s[2:3], s[2:3], 2
	s_lshl_b64 s[6:7], s[6:7], 2
	s_wait_kmcnt 0x0
	s_wait_alu 0xfffe
	s_add_nc_u64 s[2:3], s[4:5], s[2:3]
	s_mul_i32 s0, s26, 0x140
	s_wait_alu 0xfffe
	s_add_nc_u64 s[2:3], s[2:3], s[6:7]
	s_wait_alu 0xfffe
	s_add_nc_u64 s[0:1], s[2:3], s[0:1]
	s_clause 0x9
	global_store_b32 v0, v1, s[0:1]
	global_store_b32 v0, v2, s[0:1] offset:32
	global_store_b32 v0, v3, s[0:1] offset:64
	global_store_b32 v0, v4, s[0:1] offset:96
	global_store_b32 v0, v5, s[0:1] offset:128
	global_store_b32 v0, v6, s[0:1] offset:160
	global_store_b32 v0, v7, s[0:1] offset:192
	global_store_b32 v0, v8, s[0:1] offset:224
	global_store_b32 v0, v9, s[0:1] offset:256
	global_store_b32 v0, v10, s[0:1] offset:288
.LBB218_86:
	s_endpgm
.LBB218_87:
	ds_load_b32 v13, v11
	s_wait_dscnt 0x0
	v_add_f32_e32 v1, v1, v13
	s_wait_alu 0xfffe
	s_or_b32 exec_lo, exec_lo, s0
	s_and_saveexec_b32 s0, vcc_lo
	s_cbranch_execz .LBB218_59
.LBB218_88:
	ds_load_b32 v13, v11 offset:32
	s_wait_dscnt 0x0
	v_add_f32_e32 v2, v2, v13
	s_wait_alu 0xfffe
	s_or_b32 exec_lo, exec_lo, s0
	s_and_saveexec_b32 s0, vcc_lo
	s_cbranch_execz .LBB218_60
.LBB218_89:
	ds_load_b32 v13, v11 offset:64
	s_wait_dscnt 0x0
	v_add_f32_e32 v3, v3, v13
	s_wait_alu 0xfffe
	s_or_b32 exec_lo, exec_lo, s0
	s_and_saveexec_b32 s0, vcc_lo
	s_cbranch_execz .LBB218_61
.LBB218_90:
	ds_load_b32 v13, v11 offset:96
	s_wait_dscnt 0x0
	v_add_f32_e32 v4, v4, v13
	s_wait_alu 0xfffe
	s_or_b32 exec_lo, exec_lo, s0
	s_and_saveexec_b32 s0, vcc_lo
	s_cbranch_execz .LBB218_62
.LBB218_91:
	ds_load_b32 v13, v11 offset:128
	s_wait_dscnt 0x0
	v_add_f32_e32 v5, v5, v13
	s_wait_alu 0xfffe
	s_or_b32 exec_lo, exec_lo, s0
	s_and_saveexec_b32 s0, vcc_lo
	s_cbranch_execz .LBB218_63
.LBB218_92:
	ds_load_b32 v13, v11 offset:160
	s_wait_dscnt 0x0
	v_add_f32_e32 v6, v6, v13
	s_wait_alu 0xfffe
	s_or_b32 exec_lo, exec_lo, s0
	s_and_saveexec_b32 s0, vcc_lo
	s_cbranch_execz .LBB218_64
.LBB218_93:
	ds_load_b32 v13, v11 offset:192
	s_wait_dscnt 0x0
	v_add_f32_e32 v7, v7, v13
	s_wait_alu 0xfffe
	s_or_b32 exec_lo, exec_lo, s0
	s_and_saveexec_b32 s0, vcc_lo
	s_cbranch_execz .LBB218_65
.LBB218_94:
	ds_load_b32 v13, v11 offset:224
	s_wait_dscnt 0x0
	v_add_f32_e32 v8, v8, v13
	s_wait_alu 0xfffe
	s_or_b32 exec_lo, exec_lo, s0
	s_and_saveexec_b32 s0, vcc_lo
	s_cbranch_execz .LBB218_66
.LBB218_95:
	ds_load_b32 v13, v11 offset:256
	s_wait_dscnt 0x0
	v_add_f32_e32 v9, v9, v13
	s_wait_alu 0xfffe
	s_or_b32 exec_lo, exec_lo, s0
	s_and_saveexec_b32 s0, vcc_lo
	s_cbranch_execnz .LBB218_67
	s_branch .LBB218_68
.LBB218_96:
	ds_load_b32 v12, v11
	s_wait_dscnt 0x0
	v_add_f32_e32 v1, v1, v12
	s_wait_alu 0xfffe
	s_or_b32 exec_lo, exec_lo, s0
	s_and_saveexec_b32 s0, vcc_lo
	s_cbranch_execz .LBB218_74
.LBB218_97:
	ds_load_b32 v12, v11 offset:32
	s_wait_dscnt 0x0
	v_add_f32_e32 v2, v2, v12
	s_wait_alu 0xfffe
	s_or_b32 exec_lo, exec_lo, s0
	s_and_saveexec_b32 s0, vcc_lo
	s_cbranch_execz .LBB218_75
.LBB218_98:
	ds_load_b32 v12, v11 offset:64
	s_wait_dscnt 0x0
	v_add_f32_e32 v3, v3, v12
	s_wait_alu 0xfffe
	s_or_b32 exec_lo, exec_lo, s0
	s_and_saveexec_b32 s0, vcc_lo
	s_cbranch_execz .LBB218_76
.LBB218_99:
	ds_load_b32 v12, v11 offset:96
	s_wait_dscnt 0x0
	v_add_f32_e32 v4, v4, v12
	s_wait_alu 0xfffe
	s_or_b32 exec_lo, exec_lo, s0
	s_and_saveexec_b32 s0, vcc_lo
	s_cbranch_execz .LBB218_77
.LBB218_100:
	ds_load_b32 v12, v11 offset:128
	s_wait_dscnt 0x0
	v_add_f32_e32 v5, v5, v12
	s_wait_alu 0xfffe
	s_or_b32 exec_lo, exec_lo, s0
	s_and_saveexec_b32 s0, vcc_lo
	s_cbranch_execz .LBB218_78
.LBB218_101:
	ds_load_b32 v12, v11 offset:160
	s_wait_dscnt 0x0
	v_add_f32_e32 v6, v6, v12
	s_wait_alu 0xfffe
	s_or_b32 exec_lo, exec_lo, s0
	s_and_saveexec_b32 s0, vcc_lo
	s_cbranch_execz .LBB218_79
.LBB218_102:
	ds_load_b32 v12, v11 offset:192
	s_wait_dscnt 0x0
	v_add_f32_e32 v7, v7, v12
	s_wait_alu 0xfffe
	s_or_b32 exec_lo, exec_lo, s0
	s_and_saveexec_b32 s0, vcc_lo
	s_cbranch_execz .LBB218_80
.LBB218_103:
	ds_load_b32 v12, v11 offset:224
	s_wait_dscnt 0x0
	v_add_f32_e32 v8, v8, v12
	s_wait_alu 0xfffe
	s_or_b32 exec_lo, exec_lo, s0
	s_and_saveexec_b32 s0, vcc_lo
	s_cbranch_execz .LBB218_81
.LBB218_104:
	ds_load_b32 v12, v11 offset:256
	s_wait_dscnt 0x0
	v_add_f32_e32 v9, v9, v12
	s_wait_alu 0xfffe
	s_or_b32 exec_lo, exec_lo, s0
	s_and_saveexec_b32 s0, vcc_lo
	s_cbranch_execnz .LBB218_82
	s_branch .LBB218_83
	.section	.rodata,"a",@progbits
	.p2align	6, 0x0
	.amdhsa_kernel _ZN4vllm25paged_attention_v2_kernelIfhLi80ELi16ELi128ELNS_18Fp8KVCacheDataTypeE1ELb0ELi512EEEvPfS2_PT_PKS3_PKT0_S9_ifPKiSB_iPKfiiiSD_SD_iiiii
		.amdhsa_group_segment_fixed_size 352
		.amdhsa_private_segment_fixed_size 0
		.amdhsa_kernarg_size 400
		.amdhsa_user_sgpr_count 2
		.amdhsa_user_sgpr_dispatch_ptr 0
		.amdhsa_user_sgpr_queue_ptr 0
		.amdhsa_user_sgpr_kernarg_segment_ptr 1
		.amdhsa_user_sgpr_dispatch_id 0
		.amdhsa_user_sgpr_private_segment_size 0
		.amdhsa_wavefront_size32 1
		.amdhsa_uses_dynamic_stack 0
		.amdhsa_enable_private_segment 0
		.amdhsa_system_sgpr_workgroup_id_x 1
		.amdhsa_system_sgpr_workgroup_id_y 1
		.amdhsa_system_sgpr_workgroup_id_z 1
		.amdhsa_system_sgpr_workgroup_info 0
		.amdhsa_system_vgpr_workitem_id 0
		.amdhsa_next_free_vgpr 83
		.amdhsa_next_free_sgpr 38
		.amdhsa_reserve_vcc 1
		.amdhsa_float_round_mode_32 0
		.amdhsa_float_round_mode_16_64 0
		.amdhsa_float_denorm_mode_32 3
		.amdhsa_float_denorm_mode_16_64 3
		.amdhsa_fp16_overflow 0
		.amdhsa_workgroup_processor_mode 1
		.amdhsa_memory_ordered 1
		.amdhsa_forward_progress 1
		.amdhsa_inst_pref_size 58
		.amdhsa_round_robin_scheduling 0
		.amdhsa_exception_fp_ieee_invalid_op 0
		.amdhsa_exception_fp_denorm_src 0
		.amdhsa_exception_fp_ieee_div_zero 0
		.amdhsa_exception_fp_ieee_overflow 0
		.amdhsa_exception_fp_ieee_underflow 0
		.amdhsa_exception_fp_ieee_inexact 0
		.amdhsa_exception_int_div_zero 0
	.end_amdhsa_kernel
	.section	.text._ZN4vllm25paged_attention_v2_kernelIfhLi80ELi16ELi128ELNS_18Fp8KVCacheDataTypeE1ELb0ELi512EEEvPfS2_PT_PKS3_PKT0_S9_ifPKiSB_iPKfiiiSD_SD_iiiii,"axG",@progbits,_ZN4vllm25paged_attention_v2_kernelIfhLi80ELi16ELi128ELNS_18Fp8KVCacheDataTypeE1ELb0ELi512EEEvPfS2_PT_PKS3_PKT0_S9_ifPKiSB_iPKfiiiSD_SD_iiiii,comdat
.Lfunc_end218:
	.size	_ZN4vllm25paged_attention_v2_kernelIfhLi80ELi16ELi128ELNS_18Fp8KVCacheDataTypeE1ELb0ELi512EEEvPfS2_PT_PKS3_PKT0_S9_ifPKiSB_iPKfiiiSD_SD_iiiii, .Lfunc_end218-_ZN4vllm25paged_attention_v2_kernelIfhLi80ELi16ELi128ELNS_18Fp8KVCacheDataTypeE1ELb0ELi512EEEvPfS2_PT_PKS3_PKT0_S9_ifPKiSB_iPKfiiiSD_SD_iiiii
                                        ; -- End function
	.set _ZN4vllm25paged_attention_v2_kernelIfhLi80ELi16ELi128ELNS_18Fp8KVCacheDataTypeE1ELb0ELi512EEEvPfS2_PT_PKS3_PKT0_S9_ifPKiSB_iPKfiiiSD_SD_iiiii.num_vgpr, 83
	.set _ZN4vllm25paged_attention_v2_kernelIfhLi80ELi16ELi128ELNS_18Fp8KVCacheDataTypeE1ELb0ELi512EEEvPfS2_PT_PKS3_PKT0_S9_ifPKiSB_iPKfiiiSD_SD_iiiii.num_agpr, 0
	.set _ZN4vllm25paged_attention_v2_kernelIfhLi80ELi16ELi128ELNS_18Fp8KVCacheDataTypeE1ELb0ELi512EEEvPfS2_PT_PKS3_PKT0_S9_ifPKiSB_iPKfiiiSD_SD_iiiii.numbered_sgpr, 38
	.set _ZN4vllm25paged_attention_v2_kernelIfhLi80ELi16ELi128ELNS_18Fp8KVCacheDataTypeE1ELb0ELi512EEEvPfS2_PT_PKS3_PKT0_S9_ifPKiSB_iPKfiiiSD_SD_iiiii.num_named_barrier, 0
	.set _ZN4vllm25paged_attention_v2_kernelIfhLi80ELi16ELi128ELNS_18Fp8KVCacheDataTypeE1ELb0ELi512EEEvPfS2_PT_PKS3_PKT0_S9_ifPKiSB_iPKfiiiSD_SD_iiiii.private_seg_size, 0
	.set _ZN4vllm25paged_attention_v2_kernelIfhLi80ELi16ELi128ELNS_18Fp8KVCacheDataTypeE1ELb0ELi512EEEvPfS2_PT_PKS3_PKT0_S9_ifPKiSB_iPKfiiiSD_SD_iiiii.uses_vcc, 1
	.set _ZN4vllm25paged_attention_v2_kernelIfhLi80ELi16ELi128ELNS_18Fp8KVCacheDataTypeE1ELb0ELi512EEEvPfS2_PT_PKS3_PKT0_S9_ifPKiSB_iPKfiiiSD_SD_iiiii.uses_flat_scratch, 0
	.set _ZN4vllm25paged_attention_v2_kernelIfhLi80ELi16ELi128ELNS_18Fp8KVCacheDataTypeE1ELb0ELi512EEEvPfS2_PT_PKS3_PKT0_S9_ifPKiSB_iPKfiiiSD_SD_iiiii.has_dyn_sized_stack, 0
	.set _ZN4vllm25paged_attention_v2_kernelIfhLi80ELi16ELi128ELNS_18Fp8KVCacheDataTypeE1ELb0ELi512EEEvPfS2_PT_PKS3_PKT0_S9_ifPKiSB_iPKfiiiSD_SD_iiiii.has_recursion, 0
	.set _ZN4vllm25paged_attention_v2_kernelIfhLi80ELi16ELi128ELNS_18Fp8KVCacheDataTypeE1ELb0ELi512EEEvPfS2_PT_PKS3_PKT0_S9_ifPKiSB_iPKfiiiSD_SD_iiiii.has_indirect_call, 0
	.section	.AMDGPU.csdata,"",@progbits
; Kernel info:
; codeLenInByte = 7328
; TotalNumSgprs: 40
; NumVgprs: 83
; ScratchSize: 0
; MemoryBound: 0
; FloatMode: 240
; IeeeMode: 1
; LDSByteSize: 352 bytes/workgroup (compile time only)
; SGPRBlocks: 0
; VGPRBlocks: 10
; NumSGPRsForWavesPerEU: 40
; NumVGPRsForWavesPerEU: 83
; Occupancy: 16
; WaveLimiterHint : 1
; COMPUTE_PGM_RSRC2:SCRATCH_EN: 0
; COMPUTE_PGM_RSRC2:USER_SGPR: 2
; COMPUTE_PGM_RSRC2:TRAP_HANDLER: 0
; COMPUTE_PGM_RSRC2:TGID_X_EN: 1
; COMPUTE_PGM_RSRC2:TGID_Y_EN: 1
; COMPUTE_PGM_RSRC2:TGID_Z_EN: 1
; COMPUTE_PGM_RSRC2:TIDIG_COMP_CNT: 0
	.section	.text._ZN4vllm25paged_attention_v2_kernelIfhLi96ELi16ELi128ELNS_18Fp8KVCacheDataTypeE1ELb0ELi512EEEvPfS2_PT_PKS3_PKT0_S9_ifPKiSB_iPKfiiiSD_SD_iiiii,"axG",@progbits,_ZN4vllm25paged_attention_v2_kernelIfhLi96ELi16ELi128ELNS_18Fp8KVCacheDataTypeE1ELb0ELi512EEEvPfS2_PT_PKS3_PKT0_S9_ifPKiSB_iPKfiiiSD_SD_iiiii,comdat
	.protected	_ZN4vllm25paged_attention_v2_kernelIfhLi96ELi16ELi128ELNS_18Fp8KVCacheDataTypeE1ELb0ELi512EEEvPfS2_PT_PKS3_PKT0_S9_ifPKiSB_iPKfiiiSD_SD_iiiii ; -- Begin function _ZN4vllm25paged_attention_v2_kernelIfhLi96ELi16ELi128ELNS_18Fp8KVCacheDataTypeE1ELb0ELi512EEEvPfS2_PT_PKS3_PKT0_S9_ifPKiSB_iPKfiiiSD_SD_iiiii
	.globl	_ZN4vllm25paged_attention_v2_kernelIfhLi96ELi16ELi128ELNS_18Fp8KVCacheDataTypeE1ELb0ELi512EEEvPfS2_PT_PKS3_PKT0_S9_ifPKiSB_iPKfiiiSD_SD_iiiii
	.p2align	8
	.type	_ZN4vllm25paged_attention_v2_kernelIfhLi96ELi16ELi128ELNS_18Fp8KVCacheDataTypeE1ELb0ELi512EEEvPfS2_PT_PKS3_PKT0_S9_ifPKiSB_iPKfiiiSD_SD_iiiii,@function
_ZN4vllm25paged_attention_v2_kernelIfhLi96ELi16ELi128ELNS_18Fp8KVCacheDataTypeE1ELb0ELi512EEEvPfS2_PT_PKS3_PKT0_S9_ifPKiSB_iPKfiiiSD_SD_iiiii: ; @_ZN4vllm25paged_attention_v2_kernelIfhLi96ELi16ELi128ELNS_18Fp8KVCacheDataTypeE1ELb0ELi512EEEvPfS2_PT_PKS3_PKT0_S9_ifPKiSB_iPKfiiiSD_SD_iiiii
; %bb.0:
	s_load_b64 s[2:3], s[0:1], 0x40
	s_and_b32 s15, ttmp7, 0xffff
	s_lshr_b32 s26, ttmp7, 16
	s_lshl_b32 s4, s15, 2
	s_lshl_b32 s28, s26, 9
	s_wait_kmcnt 0x0
	s_load_b32 s27, s[2:3], s4 offset:0x0
	s_wait_kmcnt 0x0
	s_cmp_ge_i32 s28, s27
	s_cbranch_scc1 .LBB219_94
; %bb.1:
	s_clause 0x1
	s_load_b32 s29, s[0:1], 0x90
	s_load_b64 s[8:9], s[0:1], 0x30
	s_wait_kmcnt 0x0
	s_abs_i32 s5, s29
	s_abs_i32 s2, s8
	s_delay_alu instid0(SALU_CYCLE_1) | instskip(SKIP_1) | instid1(SALU_CYCLE_2)
	s_cvt_f32_u32 s3, s2
	s_sub_co_i32 s4, 0, s2
	v_rcp_iflag_f32_e32 v1, s3
	s_delay_alu instid0(TRANS32_DEP_1) | instskip(SKIP_2) | instid1(SALU_CYCLE_2)
	v_readfirstlane_b32 s3, v1
	s_mul_f32 s3, s3, 0x4f7ffffe
	s_wait_alu 0xfffe
	s_cvt_u32_f32 s3, s3
	s_wait_alu 0xfffe
	s_delay_alu instid0(SALU_CYCLE_2) | instskip(NEXT) | instid1(SALU_CYCLE_1)
	s_mul_i32 s4, s4, s3
	s_mul_hi_u32 s4, s3, s4
	s_delay_alu instid0(SALU_CYCLE_1)
	s_add_co_i32 s3, s3, s4
	s_xor_b32 s4, s29, s8
	s_wait_alu 0xfffe
	s_mul_hi_u32 s3, s5, s3
	s_ashr_i32 s4, s4, 31
	s_wait_alu 0xfffe
	s_mul_i32 s6, s3, s2
	s_delay_alu instid0(SALU_CYCLE_1)
	s_sub_co_i32 s5, s5, s6
	s_add_co_i32 s6, s3, 1
	s_sub_co_i32 s7, s5, s2
	s_cmp_ge_u32 s5, s2
	s_cselect_b32 s3, s6, s3
	s_cselect_b32 s5, s7, s5
	s_wait_alu 0xfffe
	s_add_co_i32 s6, s3, 1
	s_cmp_ge_u32 s5, s2
	s_cselect_b32 s2, s6, s3
	s_load_b64 s[6:7], s[0:1], 0x50
	s_xor_b32 s2, s2, s4
	s_mov_b32 s3, 0
	s_wait_alu 0xfffe
	s_sub_co_i32 s11, s2, s4
	s_mov_b32 s8, s3
	s_abs_i32 s10, s11
	s_delay_alu instid0(SALU_CYCLE_1) | instskip(SKIP_1) | instid1(SALU_CYCLE_2)
	s_cvt_f32_u32 s2, s10
	s_wait_alu 0xfffe
	v_rcp_iflag_f32_e32 v1, s2
	s_delay_alu instid0(TRANS32_DEP_1) | instskip(SKIP_2) | instid1(SALU_CYCLE_2)
	v_readfirstlane_b32 s2, v1
	s_mul_f32 s2, s2, 0x4f7ffffe
	s_wait_alu 0xfffe
	s_cvt_u32_f32 s4, s2
	s_sub_co_i32 s2, 0, s10
	s_wait_alu 0xfffe
	s_delay_alu instid0(SALU_CYCLE_1)
	s_mul_i32 s2, s2, s4
	s_wait_alu 0xfffe
	s_mul_hi_u32 s5, s4, s2
	s_abs_i32 s2, ttmp9
	s_add_co_i32 s4, s4, s5
	s_mov_b32 s5, s3
	s_wait_kmcnt 0x0
	s_cmp_eq_u64 s[6:7], 0
	s_cbranch_scc1 .LBB219_3
; %bb.2:
	s_mov_b32 s12, ttmp9
	s_ashr_i32 s13, ttmp9, 31
	s_delay_alu instid0(SALU_CYCLE_1) | instskip(NEXT) | instid1(SALU_CYCLE_1)
	s_lshl_b64 s[12:13], s[12:13], 2
	s_add_nc_u64 s[6:7], s[6:7], s[12:13]
	s_load_b32 s8, s[6:7], 0x0
.LBB219_3:
	s_load_b96 s[12:14], s[0:1], 0x58
	v_and_b32_e32 v49, 1, v0
	v_lshlrev_b32_e32 v55, 2, v0
	s_mul_u64 s[4:5], s[2:3], s[4:5]
	s_ashr_i32 s3, ttmp9, 31
	s_ashr_i32 s4, s11, 31
	s_mul_i32 s16, ttmp9, 0x60
	s_mov_b32 s6, exec_lo
	v_cmpx_gt_u32_e32 48, v0
	s_cbranch_execz .LBB219_5
; %bb.4:
	s_load_b64 s[18:19], s[0:1], 0x18
	s_wait_kmcnt 0x0
	s_mul_i32 s20, s12, s15
	s_ashr_i32 s17, s16, 31
	s_ashr_i32 s21, s20, 31
	v_lshlrev_b32_e32 v1, 3, v0
	s_lshl_b64 s[20:21], s[20:21], 2
	v_and_b32_e32 v3, 0xff8, v55
	s_delay_alu instid0(VALU_DEP_1) | instskip(SKIP_2) | instid1(SALU_CYCLE_1)
	v_mad_u32_u24 v3, 0xc0, v49, v3
	s_add_nc_u64 s[18:19], s[18:19], s[20:21]
	s_lshl_b64 s[20:21], s[16:17], 2
	s_add_nc_u64 s[18:19], s[18:19], s[20:21]
	global_load_b64 v[1:2], v1, s[18:19]
	s_wait_loadcnt 0x0
	ds_store_b64 v3, v[1:2]
.LBB219_5:
	s_or_b32 exec_lo, exec_lo, s6
	s_add_co_i32 s6, s27, 15
	s_wait_alu 0xfffe
	s_xor_b32 s3, s3, s4
	s_ashr_i32 s7, s6, 31
	s_lshl_b32 s31, s26, 5
	s_lshr_b32 s4, s7, 28
	s_mul_i32 s7, s5, s10
	s_add_co_i32 s6, s6, s4
	s_add_co_i32 s4, s31, 32
	s_ashr_i32 s30, s6, 4
	s_load_b32 s6, s[0:1], 0x48
	s_sub_co_i32 s2, s2, s7
	s_min_i32 s17, s4, s30
	s_add_co_i32 s4, s5, 1
	s_wait_alu 0xfffe
	s_sub_co_i32 s7, s2, s10
	s_cmp_ge_u32 s2, s10
	v_lshrrev_b32_e32 v53, 5, v0
	s_cselect_b32 s4, s4, s5
	s_cselect_b32 s2, s7, s2
	s_add_co_i32 s5, s4, 1
	s_wait_alu 0xfffe
	s_cmp_ge_u32 s2, s10
	v_or_b32_e32 v54, s31, v53
	s_cselect_b32 s2, s5, s4
	v_mbcnt_lo_u32_b32 v57, -1, 0
	s_wait_alu 0xfffe
	s_xor_b32 s2, s2, s3
	s_mov_b32 s4, exec_lo
	s_wait_alu 0xfffe
	s_sub_co_i32 s3, s2, s3
	v_cmp_gt_i32_e64 s2, s17, v54
	s_wait_dscnt 0x0
	s_barrier_signal -1
	s_wait_kmcnt 0x0
	s_mul_i32 s18, s6, s15
	s_barrier_wait -1
	s_ashr_i32 s19, s18, 31
	global_inv scope:SCOPE_SE
                                        ; implicit-def: $vgpr58
                                        ; implicit-def: $vgpr59
	v_cmpx_le_i32_e64 s17, v54
	s_xor_b32 s4, exec_lo, s4
; %bb.6:
	v_dual_mov_b32 v58, 0 :: v_dual_mov_b32 v59, 32
	v_mbcnt_lo_u32_b32 v57, -1, 0
                                        ; implicit-def: $vgpr49
; %bb.7:
	s_or_saveexec_b32 s10, s4
	s_clause 0x2
	s_load_b32 s12, s[0:1], 0x98
	s_load_b64 s[20:21], s[0:1], 0x38
	s_load_b128 s[4:7], s[0:1], 0x68
	v_mov_b32_e32 v60, 0xff7fffff
	v_lshlrev_b32_e32 v56, 2, v54
	s_mul_i32 s22, s3, s14
	s_xor_b32 exec_lo, exec_lo, s10
	s_cbranch_execz .LBB219_13
; %bb.8:
	s_load_b64 s[24:25], s[0:1], 0x20
	v_bfe_u32 v51, v0, 1, 4
	v_xor_b32_e32 v33, 1, v57
	v_mul_u32_u24_e32 v45, 0xc0, v49
	s_ashr_i32 s23, s22, 31
	ds_load_b128 v[1:4], v45
	ds_load_b128 v[5:8], v45 offset:16
	ds_load_b128 v[9:12], v45 offset:32
	;; [unrolled: 1-line block ×7, first 2 shown]
	v_lshlrev_b32_e32 v34, 4, v51
	v_cmp_gt_i32_e32 vcc_lo, 32, v33
	v_mov_b32_e32 v58, 0
	v_dual_mov_b32 v59, 32 :: v_dual_lshlrev_b32 v50, 1, v49
	s_cmp_neq_f32 s8, 0
	v_dual_cndmask_b32 v61, v57, v33 :: v_dual_lshlrev_b32 v62, 2, v51
	v_cmp_eq_u32_e32 vcc_lo, 0, v49
	v_lshlrev_b32_e32 v63, 4, v53
	s_mov_b32 s11, s13
	s_wait_kmcnt 0x0
	s_add_nc_u64 s[24:25], s[24:25], s[22:23]
	v_lshl_or_b32 v64, v53, 6, v62
	v_add_co_u32 v52, s3, s24, v34
	ds_load_b128 v[33:36], v45 offset:128
	ds_load_b128 v[37:40], v45 offset:144
	;; [unrolled: 1-line block ×4, first 2 shown]
	s_load_b32 s14, s[4:5], 0x0
	v_add_co_ci_u32_e64 v60, null, s25, 0, s3
	v_add_co_u32 v49, s4, v52, v50
	s_cselect_b32 s3, -1, 0
	v_add_co_ci_u32_e64 v50, null, 0, v60, s4
	s_lshl_b64 s[4:5], s[18:19], 2
	v_add3_u32 v62, s28, v63, v51
	s_wait_alu 0xfffe
	s_add_nc_u64 s[4:5], s[20:21], s[4:5]
	v_dual_mov_b32 v60, 0xff7fffff :: v_dual_lshlrev_b32 v61, 2, v61
	s_wait_alu 0xfffe
	v_add_co_u32 v51, s4, s4, v56
	v_add_nc_u32_e32 v63, 0x1a0, v64
	s_wait_alu 0xf1ff
	v_add_co_ci_u32_e64 v52, null, s5, 0, s4
	v_mov_b32_e32 v64, v54
	s_mov_b32 s23, 0
	s_wait_kmcnt 0x0
	s_mov_b32 s24, s14
	s_sub_co_i32 s25, 1, s27
	s_branch .LBB219_10
.LBB219_9:                              ;   in Loop: Header=BB219_10 Depth=1
	s_wait_alu 0xfffe
	s_or_b32 exec_lo, exec_lo, s5
	v_add_nc_u32_e32 v64, 4, v64
	v_add_co_u32 v51, s5, v51, 16
	v_add_nc_u32_e32 v62, 64, v62
	v_add_nc_u32_e32 v63, 0x100, v63
	s_delay_alu instid0(VALU_DEP_4) | instskip(SKIP_3) | instid1(SALU_CYCLE_1)
	v_cmp_le_i32_e64 s4, s17, v64
	s_wait_alu 0xf1ff
	v_add_co_ci_u32_e64 v52, null, 0, v52, s5
	s_or_b32 s23, s4, s23
	s_and_not1_b32 exec_lo, exec_lo, s23
	s_cbranch_execz .LBB219_12
.LBB219_10:                             ; =>This Inner Loop Header: Depth=1
	global_load_b32 v65, v[51:52], off
	s_wait_loadcnt_dscnt 0x0
	v_mad_co_i64_i32 v[65:66], null, v65, s11, v[49:50]
	s_clause 0x17
	global_load_u16 v67, v[65:66], off offset:4
	global_load_u16 v68, v[65:66], off
	global_load_u16 v69, v[65:66], off offset:8
	global_load_u16 v70, v[65:66], off offset:12
	;; [unrolled: 1-line block ×22, first 2 shown]
	s_wait_loadcnt 0x17
	v_cvt_pk_f32_fp8_e32 v[65:66], v67
	s_wait_loadcnt 0x16
	v_cvt_pk_f32_fp8_e32 v[67:68], v68
	s_wait_alu 0xfffe
	s_delay_alu instid0(VALU_DEP_2)
	v_dual_mul_f32 v91, s14, v65 :: v_dual_mul_f32 v92, s24, v66
	s_wait_loadcnt 0x15
	v_cvt_pk_f32_fp8_e32 v[65:66], v69
	v_mul_f32_e32 v69, s24, v68
	v_mul_f32_e32 v93, s14, v67
	s_wait_dscnt 0xb
	v_dual_mul_f32 v91, v3, v91 :: v_dual_mul_f32 v92, v4, v92
	s_wait_loadcnt 0x14
	v_cvt_pk_f32_fp8_e32 v[67:68], v70
	v_mul_f32_e32 v70, s24, v66
	v_mul_f32_e32 v94, s14, v65
	s_wait_loadcnt 0x13
	v_cvt_pk_f32_fp8_e32 v[65:66], v71
	v_dual_fmac_f32 v92, v2, v69 :: v_dual_mul_f32 v69, s24, v68
	v_fmac_f32_e32 v91, v1, v93
	v_mul_f32_e32 v71, s14, v67
	s_wait_loadcnt 0x12
	v_cvt_pk_f32_fp8_e32 v[67:68], v72
	s_wait_dscnt 0xa
	v_fmac_f32_e32 v92, v6, v70
	v_mul_f32_e32 v70, s24, v66
	v_dual_fmac_f32 v91, v5, v94 :: v_dual_mul_f32 v72, s14, v65
	s_wait_loadcnt 0x11
	v_cvt_pk_f32_fp8_e32 v[65:66], v73
	v_dual_fmac_f32 v92, v8, v69 :: v_dual_mul_f32 v69, s24, v68
	s_delay_alu instid0(VALU_DEP_3)
	v_fmac_f32_e32 v91, v7, v71
	v_mul_f32_e32 v71, s14, v67
	s_wait_loadcnt 0x10
	v_cvt_pk_f32_fp8_e32 v[67:68], v74
	s_wait_dscnt 0x9
	v_fmac_f32_e32 v92, v10, v70
	v_dual_mul_f32 v70, s24, v66 :: v_dual_fmac_f32 v91, v9, v72
	v_mul_f32_e32 v72, s14, v65
	s_wait_loadcnt 0xf
	v_cvt_pk_f32_fp8_e32 v[65:66], v75
	v_dual_fmac_f32 v92, v12, v69 :: v_dual_mul_f32 v69, s24, v68
	v_fmac_f32_e32 v91, v11, v71
	v_mul_f32_e32 v71, s14, v67
	s_wait_loadcnt 0xe
	v_cvt_pk_f32_fp8_e32 v[67:68], v76
	s_wait_dscnt 0x8
	v_fmac_f32_e32 v92, v14, v70
	v_dual_mul_f32 v70, s24, v66 :: v_dual_fmac_f32 v91, v13, v72
	v_mul_f32_e32 v72, s14, v65
	s_wait_loadcnt 0xd
	v_cvt_pk_f32_fp8_e32 v[65:66], v77
	v_dual_fmac_f32 v92, v16, v69 :: v_dual_mul_f32 v69, s24, v68
	;; [unrolled: 11-line block ×8, first 2 shown]
	v_fmac_f32_e32 v91, v39, v71
	s_delay_alu instid0(VALU_DEP_3) | instskip(SKIP_1) | instid1(VALU_DEP_3)
	v_dual_mul_f32 v71, s14, v67 :: v_dual_mul_f32 v66, s24, v66
	s_wait_dscnt 0x1
	v_fmac_f32_e32 v92, v42, v70
	s_wait_loadcnt 0x0
	v_cvt_pk_f32_fp8_e32 v[67:68], v90
	v_fmac_f32_e32 v91, v41, v72
	v_mul_f32_e32 v65, s14, v65
	v_fmac_f32_e32 v92, v44, v69
	s_delay_alu instid0(VALU_DEP_3) | instskip(SKIP_1) | instid1(VALU_DEP_2)
	v_dual_mul_f32 v68, s24, v68 :: v_dual_fmac_f32 v91, v43, v71
	s_wait_dscnt 0x0
	v_dual_fmac_f32 v92, v46, v66 :: v_dual_mul_f32 v67, s14, v67
	s_delay_alu instid0(VALU_DEP_1) | instskip(NEXT) | instid1(VALU_DEP_1)
	v_dual_fmac_f32 v91, v45, v65 :: v_dual_fmac_f32 v92, v48, v68
	v_fmac_f32_e32 v91, v47, v67
	s_delay_alu instid0(VALU_DEP_1)
	v_add_f32_e32 v65, v91, v92
	ds_bpermute_b32 v66, v61, v65
	s_and_saveexec_b32 s5, vcc_lo
	s_cbranch_execz .LBB219_9
; %bb.11:                               ;   in Loop: Header=BB219_10 Depth=1
	s_wait_dscnt 0x0
	v_add_f32_e32 v65, v65, v66
	v_add_nc_u32_e32 v67, s25, v62
	v_cmp_gt_i32_e64 s4, s27, v62
	s_delay_alu instid0(VALU_DEP_2) | instskip(NEXT) | instid1(VALU_DEP_1)
	v_cvt_f32_i32_e32 v67, v67
	v_mul_f32_e32 v67, s8, v67
	s_delay_alu instid0(VALU_DEP_1) | instskip(NEXT) | instid1(VALU_DEP_1)
	v_cndmask_b32_e64 v66, 0, v67, s3
	v_dual_max_num_f32 v67, v60, v60 :: v_dual_fmac_f32 v66, s9, v65
	s_delay_alu instid0(VALU_DEP_1) | instskip(SKIP_2) | instid1(VALU_DEP_2)
	v_max_num_f32_e32 v65, v67, v66
	s_wait_alu 0xf1ff
	v_cndmask_b32_e64 v66, 0, v66, s4
	v_cndmask_b32_e64 v60, v60, v65, s4
	ds_store_b32 v63, v66
	s_branch .LBB219_9
.LBB219_12:
	s_or_b32 exec_lo, exec_lo, s23
.LBB219_13:
	s_delay_alu instid0(SALU_CYCLE_1)
	s_or_b32 exec_lo, exec_lo, s10
	v_xor_b32_e32 v1, 16, v57
	v_xor_b32_e32 v3, 8, v57
	;; [unrolled: 1-line block ×3, first 2 shown]
	s_load_b128 s[8:11], s[0:1], 0x0
	s_wait_kmcnt 0x0
	s_clause 0x1
	s_load_b64 s[4:5], s[0:1], 0x10
	s_load_b64 s[24:25], s[0:1], 0x28
	v_and_b32_e32 v11, 31, v0
	v_cmp_lt_i32_e32 vcc_lo, v1, v59
	v_max_num_f32_e32 v5, v60, v60
	s_wait_alu 0xfffd
	v_cndmask_b32_e32 v1, v57, v1, vcc_lo
	v_cmp_lt_i32_e32 vcc_lo, v3, v59
	s_wait_alu 0xfffd
	v_cndmask_b32_e32 v3, v57, v3, vcc_lo
	s_delay_alu instid0(VALU_DEP_1) | instskip(SKIP_4) | instid1(VALU_DEP_1)
	v_lshlrev_b32_e32 v4, 2, v3
	v_lshlrev_b32_e32 v2, 2, v1
	ds_bpermute_b32 v1, v2, v60
	s_wait_dscnt 0x0
	v_max_num_f32_e32 v1, v1, v1
	v_max_num_f32_e32 v1, v5, v1
	v_xor_b32_e32 v5, 4, v57
	ds_bpermute_b32 v3, v4, v1
	v_cmp_lt_i32_e32 vcc_lo, v5, v59
	s_wait_alu 0xfffd
	v_cndmask_b32_e32 v5, v57, v5, vcc_lo
	v_cmp_lt_i32_e32 vcc_lo, v6, v59
	s_wait_alu 0xfffd
	s_delay_alu instid0(VALU_DEP_2) | instskip(SKIP_1) | instid1(VALU_DEP_2)
	v_dual_cndmask_b32 v6, v57, v6 :: v_dual_lshlrev_b32 v5, 2, v5
	v_cmp_eq_u32_e32 vcc_lo, 0, v11
	v_lshlrev_b32_e32 v12, 2, v6
	s_wait_dscnt 0x0
	v_dual_max_num_f32 v3, v3, v3 :: v_dual_lshlrev_b32 v6, 2, v53
	s_delay_alu instid0(VALU_DEP_1) | instskip(SKIP_3) | instid1(VALU_DEP_1)
	v_max_num_f32_e32 v1, v1, v3
	ds_bpermute_b32 v3, v5, v1
	s_wait_dscnt 0x0
	v_max_num_f32_e32 v3, v3, v3
	v_max_num_f32_e32 v1, v1, v3
	ds_bpermute_b32 v3, v12, v1
	s_and_saveexec_b32 s0, vcc_lo
	s_cbranch_execz .LBB219_15
; %bb.14:
	s_wait_dscnt 0x0
	v_max_num_f32_e32 v3, v3, v3
	v_max_num_f32_e32 v1, v1, v1
	s_delay_alu instid0(VALU_DEP_1)
	v_max_num_f32_e32 v1, v1, v3
	ds_store_b32 v6, v1 offset:384
.LBB219_15:
	s_or_b32 exec_lo, exec_lo, s0
	v_cmp_gt_u32_e64 s0, 4, v11
	v_mov_b32_e32 v1, 0xff7fffff
	v_lshlrev_b32_e32 v7, 2, v11
	s_wait_loadcnt_dscnt 0x0
	s_barrier_signal -1
	s_barrier_wait -1
	global_inv scope:SCOPE_SE
	s_and_saveexec_b32 s1, s0
; %bb.16:
	ds_load_b32 v1, v7 offset:384
; %bb.17:
	s_or_b32 exec_lo, exec_lo, s1
	s_wait_dscnt 0x0
	ds_bpermute_b32 v3, v12, v1
	v_xor_b32_e32 v8, 1, v57
	v_max_num_f32_e32 v1, v1, v1
	s_delay_alu instid0(VALU_DEP_2) | instskip(NEXT) | instid1(VALU_DEP_1)
	v_cmp_lt_i32_e64 s1, v8, v59
	v_cndmask_b32_e64 v8, v57, v8, s1
	s_sub_co_i32 s1, s17, s31
	s_wait_alu 0xfffe
	s_lshl_b32 s1, s1, 4
	s_delay_alu instid0(VALU_DEP_1)
	v_dual_mov_b32 v8, 0 :: v_dual_lshlrev_b32 v13, 2, v8
	s_wait_alu 0xfffe
	s_add_co_i32 s1, s1, s28
	s_wait_alu 0xfffe
	s_min_i32 s1, s1, s27
	s_wait_dscnt 0x0
	v_max_num_f32_e32 v3, v3, v3
	s_wait_alu 0xfffe
	s_sub_co_i32 s14, s1, s28
	s_wait_alu 0xfffe
	v_cmp_gt_i32_e64 s1, s14, v0
	v_max_num_f32_e32 v1, v1, v3
	ds_bpermute_b32 v3, v13, v1
	s_wait_dscnt 0x0
	v_max_num_f32_e32 v3, v3, v3
	s_delay_alu instid0(VALU_DEP_1)
	v_max_num_f32_e32 v1, v1, v3
	v_lshlrev_b32_e32 v3, 2, v58
	ds_bpermute_b32 v1, v3, v1
	v_lshl_add_u32 v3, v0, 2, 0x1a0
	s_and_saveexec_b32 s23, s1
	s_cbranch_execz .LBB219_21
; %bb.18:
	v_lshl_add_u32 v9, v0, 2, 0x1a0
	v_mov_b32_e32 v8, 0
	v_mov_b32_e32 v10, v0
	s_mov_b32 s31, 0
.LBB219_19:                             ; =>This Inner Loop Header: Depth=1
	ds_load_b32 v14, v9
	v_add_nc_u32_e32 v10, 0x80, v10
	s_delay_alu instid0(VALU_DEP_1) | instskip(SKIP_4) | instid1(VALU_DEP_1)
	v_cmp_le_i32_e64 s3, s14, v10
	s_wait_alu 0xfffe
	s_or_b32 s31, s3, s31
	s_wait_dscnt 0x0
	v_sub_f32_e32 v14, v14, v1
	v_mul_f32_e32 v14, 0x3fb8aa3b, v14
	s_delay_alu instid0(VALU_DEP_1)
	v_exp_f32_e32 v14, v14
	ds_store_b32 v9, v14
	v_dual_add_f32 v8, v8, v14 :: v_dual_add_nc_u32 v9, 0x200, v9
	s_wait_alu 0xfffe
	s_and_not1_b32 exec_lo, exec_lo, s31
	s_cbranch_execnz .LBB219_19
; %bb.20:
	s_or_b32 exec_lo, exec_lo, s31
.LBB219_21:
	s_delay_alu instid0(SALU_CYCLE_1)
	s_or_b32 exec_lo, exec_lo, s23
	ds_bpermute_b32 v2, v2, v8
	s_wait_dscnt 0x0
	v_add_f32_e32 v2, v8, v2
	ds_bpermute_b32 v4, v4, v2
	s_wait_dscnt 0x0
	v_add_f32_e32 v2, v2, v4
	;; [unrolled: 3-line block ×5, first 2 shown]
	s_and_saveexec_b32 s3, vcc_lo
; %bb.22:
	ds_store_b32 v6, v2 offset:400
; %bb.23:
	s_wait_alu 0xfffe
	s_or_b32 exec_lo, exec_lo, s3
	s_wait_loadcnt_dscnt 0x0
	s_barrier_signal -1
	s_barrier_wait -1
	global_inv scope:SCOPE_SE
	s_and_saveexec_b32 s3, s0
; %bb.24:
	ds_load_b32 v2, v7 offset:400
; %bb.25:
	s_wait_alu 0xfffe
	s_or_b32 exec_lo, exec_lo, s3
	s_wait_dscnt 0x0
	ds_bpermute_b32 v4, v12, v2
	s_wait_dscnt 0x0
	v_dual_add_f32 v2, v2, v4 :: v_dual_lshlrev_b32 v5, 2, v57
	ds_bpermute_b32 v4, v13, v2
	s_wait_dscnt 0x0
	v_add_f32_e32 v2, v2, v4
	v_and_b32_e32 v4, 0xffffff80, v5
	ds_bpermute_b32 v2, v4, v2
	s_and_saveexec_b32 s0, s1
	s_cbranch_execz .LBB219_28
; %bb.26:
	s_wait_dscnt 0x0
	v_add_f32_e32 v4, 0x358637bd, v2
	s_mov_b32 s1, 0
	s_delay_alu instid0(VALU_DEP_1) | instskip(SKIP_1) | instid1(VALU_DEP_2)
	v_div_scale_f32 v5, null, v4, v4, 1.0
	v_div_scale_f32 v8, vcc_lo, 1.0, v4, 1.0
	v_rcp_f32_e32 v6, v5
	s_delay_alu instid0(TRANS32_DEP_1) | instskip(NEXT) | instid1(VALU_DEP_1)
	v_fma_f32 v7, -v5, v6, 1.0
	v_fmac_f32_e32 v6, v7, v6
	s_delay_alu instid0(VALU_DEP_1) | instskip(NEXT) | instid1(VALU_DEP_1)
	v_mul_f32_e32 v7, v8, v6
	v_fma_f32 v9, -v5, v7, v8
	s_delay_alu instid0(VALU_DEP_1) | instskip(NEXT) | instid1(VALU_DEP_1)
	v_fmac_f32_e32 v7, v9, v6
	v_fma_f32 v5, -v5, v7, v8
	s_wait_alu 0xfffd
	s_delay_alu instid0(VALU_DEP_1) | instskip(NEXT) | instid1(VALU_DEP_1)
	v_div_fmas_f32 v5, v5, v6, v7
	v_div_fixup_f32 v4, v5, v4, 1.0
	v_mov_b32_e32 v5, v0
.LBB219_27:                             ; =>This Inner Loop Header: Depth=1
	ds_load_b32 v6, v3
	s_wait_dscnt 0x0
	v_dual_mul_f32 v6, v4, v6 :: v_dual_add_nc_u32 v5, 0x80, v5
	s_delay_alu instid0(VALU_DEP_1)
	v_cmp_le_i32_e32 vcc_lo, s14, v5
	ds_store_b32 v3, v6
	v_add_nc_u32_e32 v3, 0x200, v3
	s_wait_alu 0xfffe
	s_or_b32 s1, vcc_lo, s1
	s_wait_alu 0xfffe
	s_and_not1_b32 exec_lo, exec_lo, s1
	s_cbranch_execnz .LBB219_27
.LBB219_28:
	s_wait_alu 0xfffe
	s_or_b32 exec_lo, exec_lo, s0
	s_mul_i32 s0, s12, s15
	s_wait_loadcnt_dscnt 0x0
	s_wait_alu 0xfffe
	s_mul_i32 s14, s0, s29
	s_mov_b32 s0, exec_lo
	s_barrier_signal -1
	s_barrier_wait -1
	global_inv scope:SCOPE_SE
	v_cmpx_eq_u32_e32 0, v0
	s_cbranch_execz .LBB219_30
; %bb.29:
	s_wait_alu 0xfffe
	s_ashr_i32 s15, s14, 31
	s_mul_i32 s34, s12, ttmp9
	s_lshl_b32 s1, s26, 2
	s_wait_alu 0xfffe
	s_lshl_b64 s[36:37], s[14:15], 2
	s_ashr_i32 s35, s34, 31
	v_mov_b32_e32 v3, s1
	s_add_nc_u64 s[10:11], s[10:11], s[36:37]
	s_lshl_b64 s[34:35], s[34:35], 2
	s_add_nc_u64 s[8:9], s[8:9], s[36:37]
	s_wait_alu 0xfffe
	s_add_nc_u64 s[10:11], s[10:11], s[34:35]
	s_add_nc_u64 s[8:9], s[8:9], s[34:35]
	s_clause 0x1
	global_store_b32 v3, v1, s[10:11]
	global_store_b32 v3, v2, s[8:9]
.LBB219_30:
	s_wait_alu 0xfffe
	s_or_b32 exec_lo, exec_lo, s0
	v_dual_mov_b32 v24, 0 :: v_dual_mov_b32 v25, 0
	v_dual_mov_b32 v23, 0 :: v_dual_and_b32 v14, 3, v0
	v_dual_mov_b32 v26, 0 :: v_dual_mov_b32 v21, 0
	v_dual_mov_b32 v22, 0 :: v_dual_mov_b32 v19, 0
	;; [unrolled: 1-line block ×4, first 2 shown]
	v_mov_b32_e32 v16, 0
	s_and_saveexec_b32 s1, s2
	s_cbranch_execz .LBB219_58
; %bb.31:
	s_load_b32 s3, s[6:7], 0x0
	v_dual_mov_b32 v15, 0 :: v_dual_lshlrev_b32 v2, 4, v14
	v_dual_mov_b32 v18, 0 :: v_dual_and_b32 v3, 0x7c, v55
	s_ashr_i32 s23, s22, 31
	s_lshl_b64 s[6:7], s[18:19], 2
	s_wait_kmcnt 0x0
	s_add_nc_u64 s[8:9], s[24:25], s[22:23]
	v_dual_mov_b32 v16, 0 :: v_dual_and_b32 v1, 12, v55
	v_lshl_add_u32 v4, v53, 4, s28
	v_lshl_or_b32 v2, v53, 6, v2
	s_wait_alu 0xfffe
	v_add_co_u32 v5, s0, s8, v3
	s_add_nc_u64 s[6:7], s[20:21], s[6:7]
	s_wait_alu 0xf1ff
	v_add_co_ci_u32_e64 v6, null, s9, 0, s0
	v_add_co_u32 v7, s0, s6, v56
	v_add3_u32 v27, v4, v1, 3
	v_dual_mov_b32 v17, 0 :: v_dual_add_nc_u32 v28, 0x1a0, v2
	s_wait_alu 0xf1ff
	v_add_co_ci_u32_e64 v8, null, s7, 0, s0
	v_dual_mov_b32 v19, 0 :: v_dual_mov_b32 v20, 0
	v_dual_mov_b32 v21, 0 :: v_dual_mov_b32 v22, 0
	;; [unrolled: 1-line block ×4, first 2 shown]
	s_mov_b32 s2, s13
	s_mov_b32 s6, s3
	s_add_co_i32 s30, s30, -1
	s_mov_b32 s7, 0
	s_branch .LBB219_33
.LBB219_32:                             ;   in Loop: Header=BB219_33 Depth=1
	s_wait_alu 0xfffe
	s_or_b32 exec_lo, exec_lo, s0
	s_wait_dscnt 0x0
	v_mul_f32_e32 v44, v1, v77
	v_mul_f32_e32 v43, v1, v79
	v_add_co_u32 v7, s0, v7, 16
	s_delay_alu instid0(VALU_DEP_3) | instskip(NEXT) | instid1(VALU_DEP_3)
	v_dual_fmac_f32 v44, v2, v74 :: v_dual_add_nc_u32 v27, 64, v27
	v_fmac_f32_e32 v43, v2, v78
	v_mul_f32_e32 v45, v1, v69
	s_wait_alu 0xf1ff
	v_add_co_ci_u32_e64 v8, null, 0, v8, s0
	v_fmac_f32_e32 v44, v3, v71
	v_fmac_f32_e32 v43, v3, v76
	v_mul_f32_e32 v65, v1, v65
	v_mul_f32_e32 v40, v1, v40
	;; [unrolled: 1-line block ×3, first 2 shown]
	v_fmac_f32_e32 v44, v4, v70
	v_fmac_f32_e32 v43, v4, v75
	s_delay_alu instid0(VALU_DEP_4) | instskip(SKIP_1) | instid1(VALU_DEP_3)
	v_dual_mul_f32 v61, v1, v61 :: v_dual_fmac_f32 v40, v2, v39
	v_fmac_f32_e32 v45, v2, v68
	v_dual_add_f32 v17, v17, v44 :: v_dual_add_f32 v16, v16, v43
	s_delay_alu instid0(VALU_DEP_3) | instskip(NEXT) | instid1(VALU_DEP_3)
	v_dual_mul_f32 v43, v1, v47 :: v_dual_fmac_f32 v40, v3, v38
	v_dual_fmac_f32 v45, v3, v67 :: v_dual_mul_f32 v36, v1, v36
	v_fmac_f32_e32 v32, v2, v31
	v_fmac_f32_e32 v61, v2, v60
	s_delay_alu instid0(VALU_DEP_4) | instskip(NEXT) | instid1(VALU_DEP_4)
	v_fmac_f32_e32 v43, v2, v46
	v_dual_fmac_f32 v45, v4, v66 :: v_dual_fmac_f32 v36, v2, v35
	v_mul_f32_e32 v51, v1, v51
	v_fmac_f32_e32 v65, v2, v64
	s_delay_alu instid0(VALU_DEP_3) | instskip(NEXT) | instid1(VALU_DEP_4)
	v_dual_fmac_f32 v43, v3, v42 :: v_dual_add_f32 v18, v18, v45
	v_fmac_f32_e32 v36, v3, v34
	s_delay_alu instid0(VALU_DEP_4) | instskip(NEXT) | instid1(VALU_DEP_4)
	v_fmac_f32_e32 v51, v2, v50
	v_fmac_f32_e32 v65, v3, v63
	;; [unrolled: 1-line block ×8, first 2 shown]
	v_dual_fmac_f32 v65, v4, v62 :: v_dual_add_nc_u32 v28, 0x100, v28
	s_delay_alu instid0(VALU_DEP_4) | instskip(SKIP_3) | instid1(VALU_DEP_4)
	v_fmac_f32_e32 v51, v4, v48
	v_mul_f32_e32 v57, v1, v57
	v_mul_f32_e32 v1, v1, v73
	v_fmac_f32_e32 v32, v4, v29
	v_dual_fmac_f32 v61, v4, v58 :: v_dual_add_f32 v22, v22, v51
	s_delay_alu instid0(VALU_DEP_4) | instskip(NEXT) | instid1(VALU_DEP_4)
	v_fmac_f32_e32 v57, v2, v56
	v_fmac_f32_e32 v1, v2, v72
	v_dual_add_f32 v23, v23, v43 :: v_dual_add_f32 v26, v26, v36
	v_dual_add_f32 v19, v19, v65 :: v_dual_add_f32 v24, v24, v32
	s_delay_alu instid0(VALU_DEP_4) | instskip(NEXT) | instid1(VALU_DEP_4)
	v_fmac_f32_e32 v57, v3, v55
	v_fmac_f32_e32 v1, v3, v10
	v_add_nc_u32_e32 v54, 4, v54
	v_dual_add_f32 v20, v20, v61 :: v_dual_add_f32 v25, v25, v40
	s_delay_alu instid0(VALU_DEP_4) | instskip(NEXT) | instid1(VALU_DEP_4)
	v_fmac_f32_e32 v57, v4, v52
	v_fmac_f32_e32 v1, v4, v9
	s_delay_alu instid0(VALU_DEP_4) | instskip(NEXT) | instid1(VALU_DEP_3)
	v_cmp_le_i32_e32 vcc_lo, s17, v54
	v_add_f32_e32 v21, v21, v57
	s_delay_alu instid0(VALU_DEP_3)
	v_add_f32_e32 v15, v15, v1
	s_or_b32 s7, vcc_lo, s7
	s_wait_alu 0xfffe
	s_and_not1_b32 exec_lo, exec_lo, s7
	s_cbranch_execz .LBB219_57
.LBB219_33:                             ; =>This Inner Loop Header: Depth=1
	global_load_b32 v1, v[7:8], off
	s_wait_alu 0xfffe
	v_cmp_eq_u32_e32 vcc_lo, s30, v54
	v_add_nc_u32_e32 v45, -1, v27
	s_wait_loadcnt 0x0
	v_mad_co_i64_i32 v[9:10], null, v1, s2, v[5:6]
	ds_load_b128 v[1:4], v28
	global_load_b32 v29, v[9:10], off
	s_wait_loadcnt 0x0
	v_lshrrev_b32_e32 v31, 16, v29
	s_delay_alu instid0(VALU_DEP_1) | instskip(SKIP_1) | instid1(VALU_DEP_1)
	v_cvt_pk_f32_fp8_e32 v[33:34], v31
	v_and_b32_e32 v30, 0xffff, v29
	v_cvt_pk_f32_fp8_e32 v[29:30], v30
	v_add_nc_u32_e32 v43, -3, v27
	s_delay_alu instid0(VALU_DEP_2) | instskip(NEXT) | instid1(VALU_DEP_3)
	v_dual_mul_f32 v31, s6, v30 :: v_dual_add_nc_u32 v44, -2, v27
	v_mul_f32_e32 v32, s3, v29
	v_dual_mul_f32 v30, s3, v33 :: v_dual_mul_f32 v29, s6, v34
	s_and_saveexec_b32 s8, vcc_lo
	s_cbranch_execz .LBB219_35
; %bb.34:                               ;   in Loop: Header=BB219_33 Depth=1
	v_cmp_gt_i32_e64 s0, s27, v43
	s_wait_alu 0xf1ff
	s_delay_alu instid0(VALU_DEP_1) | instskip(SKIP_2) | instid1(VALU_DEP_1)
	v_cndmask_b32_e64 v32, 0, v32, s0
	v_cmp_gt_i32_e64 s0, s27, v44
	s_wait_alu 0xf1ff
	v_cndmask_b32_e64 v31, 0, v31, s0
	v_cmp_gt_i32_e64 s0, s27, v45
	s_wait_alu 0xf1ff
	s_delay_alu instid0(VALU_DEP_1) | instskip(SKIP_2) | instid1(VALU_DEP_1)
	v_cndmask_b32_e64 v30, 0, v30, s0
	v_cmp_gt_i32_e64 s0, s27, v27
	s_wait_alu 0xf1ff
	v_cndmask_b32_e64 v29, 0, v29, s0
.LBB219_35:                             ;   in Loop: Header=BB219_33 Depth=1
	s_wait_alu 0xfffe
	s_or_b32 exec_lo, exec_lo, s8
	global_load_b32 v33, v[9:10], off offset:128
	s_wait_loadcnt 0x0
	v_lshrrev_b32_e32 v35, 16, v33
	s_delay_alu instid0(VALU_DEP_1) | instskip(SKIP_1) | instid1(VALU_DEP_1)
	v_cvt_pk_f32_fp8_e32 v[37:38], v35
	v_and_b32_e32 v34, 0xffff, v33
	v_cvt_pk_f32_fp8_e32 v[33:34], v34
	s_delay_alu instid0(VALU_DEP_1) | instskip(NEXT) | instid1(VALU_DEP_4)
	v_dual_mul_f32 v36, s3, v33 :: v_dual_mul_f32 v35, s6, v34
	v_dual_mul_f32 v34, s3, v37 :: v_dual_mul_f32 v33, s6, v38
	s_and_saveexec_b32 s8, vcc_lo
	s_cbranch_execz .LBB219_37
; %bb.36:                               ;   in Loop: Header=BB219_33 Depth=1
	v_cmp_gt_i32_e64 s0, s27, v43
	s_wait_alu 0xf1ff
	s_delay_alu instid0(VALU_DEP_1) | instskip(SKIP_2) | instid1(VALU_DEP_1)
	v_cndmask_b32_e64 v36, 0, v36, s0
	v_cmp_gt_i32_e64 s0, s27, v44
	s_wait_alu 0xf1ff
	v_cndmask_b32_e64 v35, 0, v35, s0
	v_cmp_gt_i32_e64 s0, s27, v45
	s_wait_alu 0xf1ff
	s_delay_alu instid0(VALU_DEP_1) | instskip(SKIP_2) | instid1(VALU_DEP_1)
	v_cndmask_b32_e64 v34, 0, v34, s0
	v_cmp_gt_i32_e64 s0, s27, v27
	s_wait_alu 0xf1ff
	v_cndmask_b32_e64 v33, 0, v33, s0
.LBB219_37:                             ;   in Loop: Header=BB219_33 Depth=1
	s_wait_alu 0xfffe
	s_or_b32 exec_lo, exec_lo, s8
	global_load_b32 v37, v[9:10], off offset:256
	s_wait_loadcnt 0x0
	v_lshrrev_b32_e32 v39, 16, v37
	s_delay_alu instid0(VALU_DEP_1) | instskip(SKIP_1) | instid1(VALU_DEP_1)
	v_cvt_pk_f32_fp8_e32 v[41:42], v39
	v_and_b32_e32 v38, 0xffff, v37
	v_cvt_pk_f32_fp8_e32 v[37:38], v38
	s_delay_alu instid0(VALU_DEP_1) | instskip(NEXT) | instid1(VALU_DEP_4)
	v_dual_mul_f32 v40, s3, v37 :: v_dual_mul_f32 v39, s6, v38
	v_dual_mul_f32 v38, s3, v41 :: v_dual_mul_f32 v37, s6, v42
	s_and_saveexec_b32 s8, vcc_lo
	s_cbranch_execz .LBB219_39
; %bb.38:                               ;   in Loop: Header=BB219_33 Depth=1
	v_cmp_gt_i32_e64 s0, s27, v43
	s_wait_alu 0xf1ff
	s_delay_alu instid0(VALU_DEP_1) | instskip(SKIP_2) | instid1(VALU_DEP_1)
	v_cndmask_b32_e64 v40, 0, v40, s0
	v_cmp_gt_i32_e64 s0, s27, v44
	s_wait_alu 0xf1ff
	v_cndmask_b32_e64 v39, 0, v39, s0
	v_cmp_gt_i32_e64 s0, s27, v45
	s_wait_alu 0xf1ff
	s_delay_alu instid0(VALU_DEP_1) | instskip(SKIP_2) | instid1(VALU_DEP_1)
	v_cndmask_b32_e64 v38, 0, v38, s0
	v_cmp_gt_i32_e64 s0, s27, v27
	s_wait_alu 0xf1ff
	v_cndmask_b32_e64 v37, 0, v37, s0
.LBB219_39:                             ;   in Loop: Header=BB219_33 Depth=1
	s_wait_alu 0xfffe
	s_or_b32 exec_lo, exec_lo, s8
	global_load_b32 v41, v[9:10], off offset:384
	s_wait_loadcnt 0x0
	v_and_b32_e32 v42, 0xffff, v41
	v_lshrrev_b32_e32 v46, 16, v41
	s_delay_alu instid0(VALU_DEP_2) | instskip(NEXT) | instid1(VALU_DEP_2)
	v_cvt_pk_f32_fp8_e32 v[41:42], v42
	v_cvt_pk_f32_fp8_e32 v[48:49], v46
	s_delay_alu instid0(VALU_DEP_2) | instskip(NEXT) | instid1(VALU_DEP_2)
	v_dual_mul_f32 v47, s3, v41 :: v_dual_mul_f32 v46, s6, v42
	v_dual_mul_f32 v42, s3, v48 :: v_dual_mul_f32 v41, s6, v49
	s_and_saveexec_b32 s8, vcc_lo
	s_cbranch_execz .LBB219_41
; %bb.40:                               ;   in Loop: Header=BB219_33 Depth=1
	v_cmp_gt_i32_e64 s0, s27, v43
	s_wait_alu 0xf1ff
	s_delay_alu instid0(VALU_DEP_1) | instskip(SKIP_2) | instid1(VALU_DEP_1)
	v_cndmask_b32_e64 v47, 0, v47, s0
	v_cmp_gt_i32_e64 s0, s27, v44
	s_wait_alu 0xf1ff
	v_cndmask_b32_e64 v46, 0, v46, s0
	v_cmp_gt_i32_e64 s0, s27, v45
	s_wait_alu 0xf1ff
	s_delay_alu instid0(VALU_DEP_1) | instskip(SKIP_2) | instid1(VALU_DEP_1)
	v_cndmask_b32_e64 v42, 0, v42, s0
	v_cmp_gt_i32_e64 s0, s27, v27
	s_wait_alu 0xf1ff
	v_cndmask_b32_e64 v41, 0, v41, s0
.LBB219_41:                             ;   in Loop: Header=BB219_33 Depth=1
	s_wait_alu 0xfffe
	s_or_b32 exec_lo, exec_lo, s8
	global_load_b32 v48, v[9:10], off offset:512
	s_wait_loadcnt 0x0
	v_and_b32_e32 v49, 0xffff, v48
	v_lshrrev_b32_e32 v50, 16, v48
	s_delay_alu instid0(VALU_DEP_2) | instskip(NEXT) | instid1(VALU_DEP_2)
	v_cvt_pk_f32_fp8_e32 v[48:49], v49
	v_cvt_pk_f32_fp8_e32 v[55:56], v50
	s_delay_alu instid0(VALU_DEP_2) | instskip(NEXT) | instid1(VALU_DEP_2)
	v_dual_mul_f32 v51, s3, v48 :: v_dual_mul_f32 v50, s6, v49
	v_dual_mul_f32 v49, s3, v55 :: v_dual_mul_f32 v48, s6, v56
	s_and_saveexec_b32 s8, vcc_lo
	s_cbranch_execz .LBB219_43
; %bb.42:                               ;   in Loop: Header=BB219_33 Depth=1
	v_cmp_gt_i32_e64 s0, s27, v43
	s_wait_alu 0xf1ff
	s_delay_alu instid0(VALU_DEP_1) | instskip(SKIP_2) | instid1(VALU_DEP_1)
	v_cndmask_b32_e64 v51, 0, v51, s0
	v_cmp_gt_i32_e64 s0, s27, v44
	s_wait_alu 0xf1ff
	v_cndmask_b32_e64 v50, 0, v50, s0
	v_cmp_gt_i32_e64 s0, s27, v45
	s_wait_alu 0xf1ff
	s_delay_alu instid0(VALU_DEP_1) | instskip(SKIP_2) | instid1(VALU_DEP_1)
	v_cndmask_b32_e64 v49, 0, v49, s0
	v_cmp_gt_i32_e64 s0, s27, v27
	s_wait_alu 0xf1ff
	v_cndmask_b32_e64 v48, 0, v48, s0
.LBB219_43:                             ;   in Loop: Header=BB219_33 Depth=1
	s_wait_alu 0xfffe
	s_or_b32 exec_lo, exec_lo, s8
	global_load_b32 v52, v[9:10], off offset:640
	s_wait_loadcnt 0x0
	v_and_b32_e32 v55, 0xffff, v52
	v_lshrrev_b32_e32 v52, 16, v52
	s_delay_alu instid0(VALU_DEP_1) | instskip(NEXT) | instid1(VALU_DEP_1)
	v_cvt_pk_f32_fp8_e32 v[58:59], v52
	v_mul_f32_e32 v52, s6, v59
	s_delay_alu instid0(VALU_DEP_4) | instskip(NEXT) | instid1(VALU_DEP_1)
	v_cvt_pk_f32_fp8_e32 v[55:56], v55
	v_dual_mul_f32 v57, s3, v55 :: v_dual_mul_f32 v56, s6, v56
	s_delay_alu instid0(VALU_DEP_4)
	v_mul_f32_e32 v55, s3, v58
	s_and_saveexec_b32 s8, vcc_lo
	s_cbranch_execz .LBB219_45
; %bb.44:                               ;   in Loop: Header=BB219_33 Depth=1
	v_cmp_gt_i32_e64 s0, s27, v43
	s_wait_alu 0xf1ff
	s_delay_alu instid0(VALU_DEP_1) | instskip(SKIP_2) | instid1(VALU_DEP_1)
	v_cndmask_b32_e64 v57, 0, v57, s0
	v_cmp_gt_i32_e64 s0, s27, v44
	s_wait_alu 0xf1ff
	v_cndmask_b32_e64 v56, 0, v56, s0
	v_cmp_gt_i32_e64 s0, s27, v45
	s_wait_alu 0xf1ff
	s_delay_alu instid0(VALU_DEP_1) | instskip(SKIP_2) | instid1(VALU_DEP_1)
	v_cndmask_b32_e64 v55, 0, v55, s0
	v_cmp_gt_i32_e64 s0, s27, v27
	s_wait_alu 0xf1ff
	v_cndmask_b32_e64 v52, 0, v52, s0
.LBB219_45:                             ;   in Loop: Header=BB219_33 Depth=1
	s_wait_alu 0xfffe
	s_or_b32 exec_lo, exec_lo, s8
	global_load_b32 v58, v[9:10], off offset:768
	s_wait_loadcnt 0x0
	v_lshrrev_b32_e32 v60, 16, v58
	s_delay_alu instid0(VALU_DEP_1) | instskip(SKIP_1) | instid1(VALU_DEP_1)
	v_cvt_pk_f32_fp8_e32 v[62:63], v60
	v_and_b32_e32 v59, 0xffff, v58
	v_cvt_pk_f32_fp8_e32 v[58:59], v59
	s_delay_alu instid0(VALU_DEP_1) | instskip(NEXT) | instid1(VALU_DEP_4)
	v_dual_mul_f32 v61, s3, v58 :: v_dual_mul_f32 v60, s6, v59
	v_dual_mul_f32 v59, s3, v62 :: v_dual_mul_f32 v58, s6, v63
	s_and_saveexec_b32 s8, vcc_lo
	s_cbranch_execz .LBB219_47
; %bb.46:                               ;   in Loop: Header=BB219_33 Depth=1
	v_cmp_gt_i32_e64 s0, s27, v43
	s_wait_alu 0xf1ff
	s_delay_alu instid0(VALU_DEP_1) | instskip(SKIP_2) | instid1(VALU_DEP_1)
	v_cndmask_b32_e64 v61, 0, v61, s0
	v_cmp_gt_i32_e64 s0, s27, v44
	s_wait_alu 0xf1ff
	v_cndmask_b32_e64 v60, 0, v60, s0
	v_cmp_gt_i32_e64 s0, s27, v45
	s_wait_alu 0xf1ff
	s_delay_alu instid0(VALU_DEP_1) | instskip(SKIP_2) | instid1(VALU_DEP_1)
	v_cndmask_b32_e64 v59, 0, v59, s0
	v_cmp_gt_i32_e64 s0, s27, v27
	s_wait_alu 0xf1ff
	v_cndmask_b32_e64 v58, 0, v58, s0
.LBB219_47:                             ;   in Loop: Header=BB219_33 Depth=1
	s_wait_alu 0xfffe
	s_or_b32 exec_lo, exec_lo, s8
	global_load_b32 v62, v[9:10], off offset:896
	s_wait_loadcnt 0x0
	v_lshrrev_b32_e32 v64, 16, v62
	s_delay_alu instid0(VALU_DEP_1) | instskip(SKIP_1) | instid1(VALU_DEP_1)
	v_cvt_pk_f32_fp8_e32 v[66:67], v64
	v_and_b32_e32 v63, 0xffff, v62
	v_cvt_pk_f32_fp8_e32 v[62:63], v63
	s_delay_alu instid0(VALU_DEP_1) | instskip(NEXT) | instid1(VALU_DEP_4)
	v_dual_mul_f32 v65, s3, v62 :: v_dual_mul_f32 v64, s6, v63
	v_dual_mul_f32 v63, s3, v66 :: v_dual_mul_f32 v62, s6, v67
	;; [unrolled: 30-line block ×4, first 2 shown]
	s_and_saveexec_b32 s8, vcc_lo
	s_cbranch_execz .LBB219_53
; %bb.52:                               ;   in Loop: Header=BB219_33 Depth=1
	v_cmp_gt_i32_e64 s0, s27, v43
	s_wait_alu 0xf1ff
	s_delay_alu instid0(VALU_DEP_1) | instskip(SKIP_2) | instid1(VALU_DEP_1)
	v_cndmask_b32_e64 v77, 0, v77, s0
	v_cmp_gt_i32_e64 s0, s27, v44
	s_wait_alu 0xf1ff
	v_cndmask_b32_e64 v74, 0, v74, s0
	v_cmp_gt_i32_e64 s0, s27, v45
	s_wait_alu 0xf1ff
	s_delay_alu instid0(VALU_DEP_1) | instskip(SKIP_2) | instid1(VALU_DEP_1)
	v_cndmask_b32_e64 v71, 0, v71, s0
	v_cmp_gt_i32_e64 s0, s27, v27
	s_wait_alu 0xf1ff
	v_cndmask_b32_e64 v70, 0, v70, s0
.LBB219_53:                             ;   in Loop: Header=BB219_33 Depth=1
	s_wait_alu 0xfffe
	s_or_b32 exec_lo, exec_lo, s8
	global_load_b32 v72, v[9:10], off offset:1280
	s_wait_loadcnt 0x0
	v_and_b32_e32 v73, 0xffff, v72
	v_lshrrev_b32_e32 v75, 16, v72
	s_delay_alu instid0(VALU_DEP_2) | instskip(NEXT) | instid1(VALU_DEP_2)
	v_cvt_pk_f32_fp8_e32 v[72:73], v73
	v_cvt_pk_f32_fp8_e32 v[80:81], v75
	s_delay_alu instid0(VALU_DEP_2) | instskip(NEXT) | instid1(VALU_DEP_2)
	v_dual_mul_f32 v79, s3, v72 :: v_dual_mul_f32 v78, s6, v73
	v_dual_mul_f32 v76, s3, v80 :: v_dual_mul_f32 v75, s6, v81
	s_and_saveexec_b32 s8, vcc_lo
	s_cbranch_execz .LBB219_55
; %bb.54:                               ;   in Loop: Header=BB219_33 Depth=1
	v_cmp_gt_i32_e64 s0, s27, v43
	s_wait_alu 0xf1ff
	s_delay_alu instid0(VALU_DEP_1) | instskip(SKIP_2) | instid1(VALU_DEP_1)
	v_cndmask_b32_e64 v79, 0, v79, s0
	v_cmp_gt_i32_e64 s0, s27, v44
	s_wait_alu 0xf1ff
	v_cndmask_b32_e64 v78, 0, v78, s0
	v_cmp_gt_i32_e64 s0, s27, v45
	s_wait_alu 0xf1ff
	s_delay_alu instid0(VALU_DEP_1) | instskip(SKIP_2) | instid1(VALU_DEP_1)
	v_cndmask_b32_e64 v76, 0, v76, s0
	v_cmp_gt_i32_e64 s0, s27, v27
	s_wait_alu 0xf1ff
	v_cndmask_b32_e64 v75, 0, v75, s0
.LBB219_55:                             ;   in Loop: Header=BB219_33 Depth=1
	s_wait_alu 0xfffe
	s_or_b32 exec_lo, exec_lo, s8
	global_load_b32 v9, v[9:10], off offset:1408
	s_wait_loadcnt 0x0
	v_and_b32_e32 v10, 0xffff, v9
	v_lshrrev_b32_e32 v72, 16, v9
	s_delay_alu instid0(VALU_DEP_2) | instskip(NEXT) | instid1(VALU_DEP_2)
	v_cvt_pk_f32_fp8_e32 v[9:10], v10
	v_cvt_pk_f32_fp8_e32 v[80:81], v72
	s_delay_alu instid0(VALU_DEP_2) | instskip(NEXT) | instid1(VALU_DEP_2)
	v_dual_mul_f32 v73, s3, v9 :: v_dual_mul_f32 v72, s6, v10
	v_dual_mul_f32 v10, s3, v80 :: v_dual_mul_f32 v9, s6, v81
	s_and_saveexec_b32 s0, vcc_lo
	s_cbranch_execz .LBB219_32
; %bb.56:                               ;   in Loop: Header=BB219_33 Depth=1
	v_cmp_gt_i32_e32 vcc_lo, s27, v43
	s_wait_alu 0xfffd
	v_cndmask_b32_e32 v73, 0, v73, vcc_lo
	v_cmp_gt_i32_e32 vcc_lo, s27, v44
	s_wait_alu 0xfffd
	v_cndmask_b32_e32 v72, 0, v72, vcc_lo
	;; [unrolled: 3-line block ×4, first 2 shown]
	s_branch .LBB219_32
.LBB219_57:
	s_or_b32 exec_lo, exec_lo, s7
.LBB219_58:
	s_wait_alu 0xfffe
	s_or_b32 exec_lo, exec_lo, s1
	ds_bpermute_b32 v1, v12, v24
	ds_bpermute_b32 v2, v12, v26
	;; [unrolled: 1-line block ×12, first 2 shown]
	s_mov_b32 s0, exec_lo
	s_wait_storecnt 0x0
	s_wait_loadcnt_dscnt 0x0
	s_barrier_signal -1
	s_barrier_wait -1
	global_inv scope:SCOPE_SE
	v_dual_add_f32 v1, v24, v1 :: v_dual_add_f32 v2, v26, v2
	v_dual_add_f32 v3, v25, v3 :: v_dual_add_f32 v4, v23, v4
	;; [unrolled: 1-line block ×6, first 2 shown]
	ds_bpermute_b32 v12, v13, v1
	ds_bpermute_b32 v17, v13, v2
	;; [unrolled: 1-line block ×12, first 2 shown]
	s_wait_dscnt 0xa
	v_dual_add_f32 v1, v1, v12 :: v_dual_add_f32 v2, v2, v17
	v_and_b32_e32 v17, 28, v11
	s_wait_dscnt 0x8
	v_dual_add_f32 v3, v3, v18 :: v_dual_add_f32 v4, v4, v19
	s_wait_dscnt 0x6
	v_dual_add_f32 v5, v5, v20 :: v_dual_add_f32 v6, v6, v21
	;; [unrolled: 2-line block ×4, first 2 shown]
	s_wait_dscnt 0x1
	v_add_f32_e32 v12, v16, v26
	s_wait_dscnt 0x0
	v_dual_add_f32 v13, v15, v13 :: v_dual_and_b32 v18, 0x3c3, v0
	v_lshrrev_b32_e32 v11, 2, v11
	v_add_nc_u32_e32 v15, 0x1a0, v17
	v_mul_u32_u24_e32 v16, 0x180, v53
	s_delay_alu instid0(VALU_DEP_4)
	v_cmpx_eq_u32_e32 64, v18
	s_cbranch_execz .LBB219_60
; %bb.59:
	s_delay_alu instid0(VALU_DEP_2) | instskip(NEXT) | instid1(VALU_DEP_1)
	v_add_nc_u32_e32 v17, v15, v16
	v_add_nc_u32_e32 v18, 0xfffffd00, v17
	;; [unrolled: 1-line block ×13, first 2 shown]
	ds_store_b32 v18, v1
	ds_store_b32 v19, v2
	ds_store_b32 v20, v3
	ds_store_b32 v21, v4
	ds_store_b32 v22, v5
	ds_store_b32 v23, v6
	ds_store_b32 v24, v7
	ds_store_b32 v25, v8
	ds_store_b32 v26, v9
	ds_store_b32 v27, v10
	ds_store_b32 v28, v12
	ds_store_b32 v17, v13
.LBB219_60:
	s_wait_alu 0xfffe
	s_or_b32 exec_lo, exec_lo, s0
	v_lshlrev_b32_e32 v11, 2, v11
	s_mov_b32 s1, exec_lo
	v_cmp_eq_u32_e32 vcc_lo, 0, v14
	s_wait_loadcnt_dscnt 0x0
	s_barrier_signal -1
	v_add3_u32 v11, 0x1a0, v16, v11
	s_barrier_wait -1
	global_inv scope:SCOPE_SE
	v_cmpx_gt_u32_e32 64, v0
	s_cbranch_execz .LBB219_75
; %bb.61:
	s_and_saveexec_b32 s0, vcc_lo
	s_cbranch_execnz .LBB219_95
; %bb.62:
	s_wait_alu 0xfffe
	s_or_b32 exec_lo, exec_lo, s0
	s_and_saveexec_b32 s0, vcc_lo
	s_cbranch_execnz .LBB219_96
.LBB219_63:
	s_wait_alu 0xfffe
	s_or_b32 exec_lo, exec_lo, s0
	s_and_saveexec_b32 s0, vcc_lo
	s_cbranch_execnz .LBB219_97
.LBB219_64:
	s_wait_alu 0xfffe
	s_or_b32 exec_lo, exec_lo, s0
	s_and_saveexec_b32 s0, vcc_lo
	s_cbranch_execnz .LBB219_98
.LBB219_65:
	s_wait_alu 0xfffe
	s_or_b32 exec_lo, exec_lo, s0
	s_and_saveexec_b32 s0, vcc_lo
	s_cbranch_execnz .LBB219_99
.LBB219_66:
	s_wait_alu 0xfffe
	s_or_b32 exec_lo, exec_lo, s0
	s_and_saveexec_b32 s0, vcc_lo
	s_cbranch_execnz .LBB219_100
.LBB219_67:
	s_wait_alu 0xfffe
	s_or_b32 exec_lo, exec_lo, s0
	s_and_saveexec_b32 s0, vcc_lo
	s_cbranch_execnz .LBB219_101
.LBB219_68:
	s_wait_alu 0xfffe
	s_or_b32 exec_lo, exec_lo, s0
	s_and_saveexec_b32 s0, vcc_lo
	s_cbranch_execnz .LBB219_102
.LBB219_69:
	s_wait_alu 0xfffe
	s_or_b32 exec_lo, exec_lo, s0
	s_and_saveexec_b32 s0, vcc_lo
	s_cbranch_execnz .LBB219_103
.LBB219_70:
	s_wait_alu 0xfffe
	s_or_b32 exec_lo, exec_lo, s0
	s_and_saveexec_b32 s0, vcc_lo
	s_cbranch_execnz .LBB219_104
.LBB219_71:
	s_wait_alu 0xfffe
	s_or_b32 exec_lo, exec_lo, s0
	s_and_saveexec_b32 s0, vcc_lo
	s_cbranch_execnz .LBB219_105
.LBB219_72:
	s_wait_alu 0xfffe
	s_or_b32 exec_lo, exec_lo, s0
	s_and_saveexec_b32 s0, vcc_lo
	s_cbranch_execz .LBB219_74
.LBB219_73:
	ds_load_b32 v14, v11 offset:352
	s_wait_dscnt 0x0
	v_add_f32_e32 v13, v13, v14
.LBB219_74:
	s_wait_alu 0xfffe
	s_or_b32 exec_lo, exec_lo, s0
.LBB219_75:
	s_wait_alu 0xfffe
	s_or_b32 exec_lo, exec_lo, s1
	v_and_b32_e32 v14, 0x3e3, v0
	s_mov_b32 s1, exec_lo
	s_wait_loadcnt 0x0
	s_barrier_signal -1
	s_barrier_wait -1
	global_inv scope:SCOPE_SE
	v_cmpx_eq_u32_e32 32, v14
	s_cbranch_execz .LBB219_77
; %bb.76:
	ds_store_2addr_b32 v15, v1, v2 offset1:8
	ds_store_2addr_b32 v15, v3, v4 offset0:16 offset1:24
	ds_store_2addr_b32 v15, v5, v6 offset0:32 offset1:40
	;; [unrolled: 1-line block ×5, first 2 shown]
.LBB219_77:
	s_wait_alu 0xfffe
	s_or_b32 exec_lo, exec_lo, s1
	s_delay_alu instid0(SALU_CYCLE_1)
	s_mov_b32 s1, exec_lo
	s_wait_loadcnt_dscnt 0x0
	s_barrier_signal -1
	s_barrier_wait -1
	global_inv scope:SCOPE_SE
	v_cmpx_gt_u32_e32 32, v0
	s_cbranch_execz .LBB219_92
; %bb.78:
	s_and_saveexec_b32 s0, vcc_lo
	s_cbranch_execnz .LBB219_106
; %bb.79:
	s_wait_alu 0xfffe
	s_or_b32 exec_lo, exec_lo, s0
	s_and_saveexec_b32 s0, vcc_lo
	s_cbranch_execnz .LBB219_107
.LBB219_80:
	s_wait_alu 0xfffe
	s_or_b32 exec_lo, exec_lo, s0
	s_and_saveexec_b32 s0, vcc_lo
	s_cbranch_execnz .LBB219_108
.LBB219_81:
	s_wait_alu 0xfffe
	s_or_b32 exec_lo, exec_lo, s0
	s_and_saveexec_b32 s0, vcc_lo
	s_cbranch_execnz .LBB219_109
.LBB219_82:
	s_wait_alu 0xfffe
	s_or_b32 exec_lo, exec_lo, s0
	s_and_saveexec_b32 s0, vcc_lo
	s_cbranch_execnz .LBB219_110
.LBB219_83:
	s_wait_alu 0xfffe
	s_or_b32 exec_lo, exec_lo, s0
	s_and_saveexec_b32 s0, vcc_lo
	s_cbranch_execnz .LBB219_111
.LBB219_84:
	s_wait_alu 0xfffe
	s_or_b32 exec_lo, exec_lo, s0
	s_and_saveexec_b32 s0, vcc_lo
	s_cbranch_execnz .LBB219_112
.LBB219_85:
	s_wait_alu 0xfffe
	s_or_b32 exec_lo, exec_lo, s0
	s_and_saveexec_b32 s0, vcc_lo
	s_cbranch_execnz .LBB219_113
.LBB219_86:
	s_wait_alu 0xfffe
	s_or_b32 exec_lo, exec_lo, s0
	s_and_saveexec_b32 s0, vcc_lo
	s_cbranch_execnz .LBB219_114
.LBB219_87:
	s_wait_alu 0xfffe
	s_or_b32 exec_lo, exec_lo, s0
	s_and_saveexec_b32 s0, vcc_lo
	s_cbranch_execnz .LBB219_115
.LBB219_88:
	s_wait_alu 0xfffe
	s_or_b32 exec_lo, exec_lo, s0
	s_and_saveexec_b32 s0, vcc_lo
	s_cbranch_execnz .LBB219_116
.LBB219_89:
	s_wait_alu 0xfffe
	s_or_b32 exec_lo, exec_lo, s0
	s_and_saveexec_b32 s0, vcc_lo
	s_cbranch_execz .LBB219_91
.LBB219_90:
	ds_load_b32 v11, v11 offset:352
	s_wait_dscnt 0x0
	v_add_f32_e32 v13, v13, v11
.LBB219_91:
	s_wait_alu 0xfffe
	s_or_b32 exec_lo, exec_lo, s0
.LBB219_92:
	s_wait_alu 0xfffe
	s_or_b32 exec_lo, exec_lo, s1
	s_mov_b32 s1, 0
	s_wait_loadcnt 0x0
	s_barrier_signal -1
	s_barrier_wait -1
	global_inv scope:SCOPE_SE
	s_mov_b32 s0, exec_lo
	v_cmpx_eq_u32_e32 0, v14
	s_cbranch_execz .LBB219_94
; %bb.93:
	s_mul_i32 s2, s14, 0x60
	s_mul_i32 s6, s12, s16
	s_wait_alu 0xfffe
	s_ashr_i32 s3, s2, 31
	s_ashr_i32 s7, s6, 31
	s_wait_alu 0xfffe
	s_lshl_b64 s[2:3], s[2:3], 2
	s_lshl_b64 s[6:7], s[6:7], 2
	s_wait_kmcnt 0x0
	s_wait_alu 0xfffe
	s_add_nc_u64 s[2:3], s[4:5], s[2:3]
	s_mul_i32 s0, s26, 0x180
	s_wait_alu 0xfffe
	s_add_nc_u64 s[2:3], s[2:3], s[6:7]
	s_wait_alu 0xfffe
	s_add_nc_u64 s[0:1], s[2:3], s[0:1]
	s_clause 0xb
	global_store_b32 v0, v1, s[0:1]
	global_store_b32 v0, v2, s[0:1] offset:32
	global_store_b32 v0, v3, s[0:1] offset:64
	;; [unrolled: 1-line block ×11, first 2 shown]
.LBB219_94:
	s_endpgm
.LBB219_95:
	ds_load_b32 v14, v11
	s_wait_dscnt 0x0
	v_add_f32_e32 v1, v1, v14
	s_wait_alu 0xfffe
	s_or_b32 exec_lo, exec_lo, s0
	s_and_saveexec_b32 s0, vcc_lo
	s_cbranch_execz .LBB219_63
.LBB219_96:
	ds_load_b32 v14, v11 offset:32
	s_wait_dscnt 0x0
	v_add_f32_e32 v2, v2, v14
	s_wait_alu 0xfffe
	s_or_b32 exec_lo, exec_lo, s0
	s_and_saveexec_b32 s0, vcc_lo
	s_cbranch_execz .LBB219_64
.LBB219_97:
	ds_load_b32 v14, v11 offset:64
	s_wait_dscnt 0x0
	v_add_f32_e32 v3, v3, v14
	s_wait_alu 0xfffe
	s_or_b32 exec_lo, exec_lo, s0
	s_and_saveexec_b32 s0, vcc_lo
	s_cbranch_execz .LBB219_65
.LBB219_98:
	ds_load_b32 v14, v11 offset:96
	s_wait_dscnt 0x0
	v_add_f32_e32 v4, v4, v14
	s_wait_alu 0xfffe
	s_or_b32 exec_lo, exec_lo, s0
	s_and_saveexec_b32 s0, vcc_lo
	s_cbranch_execz .LBB219_66
.LBB219_99:
	ds_load_b32 v14, v11 offset:128
	s_wait_dscnt 0x0
	v_add_f32_e32 v5, v5, v14
	s_wait_alu 0xfffe
	s_or_b32 exec_lo, exec_lo, s0
	s_and_saveexec_b32 s0, vcc_lo
	s_cbranch_execz .LBB219_67
.LBB219_100:
	ds_load_b32 v14, v11 offset:160
	s_wait_dscnt 0x0
	v_add_f32_e32 v6, v6, v14
	s_wait_alu 0xfffe
	s_or_b32 exec_lo, exec_lo, s0
	s_and_saveexec_b32 s0, vcc_lo
	s_cbranch_execz .LBB219_68
.LBB219_101:
	ds_load_b32 v14, v11 offset:192
	s_wait_dscnt 0x0
	v_add_f32_e32 v7, v7, v14
	s_wait_alu 0xfffe
	s_or_b32 exec_lo, exec_lo, s0
	s_and_saveexec_b32 s0, vcc_lo
	s_cbranch_execz .LBB219_69
.LBB219_102:
	ds_load_b32 v14, v11 offset:224
	s_wait_dscnt 0x0
	v_add_f32_e32 v8, v8, v14
	s_wait_alu 0xfffe
	s_or_b32 exec_lo, exec_lo, s0
	s_and_saveexec_b32 s0, vcc_lo
	s_cbranch_execz .LBB219_70
.LBB219_103:
	ds_load_b32 v14, v11 offset:256
	s_wait_dscnt 0x0
	v_add_f32_e32 v9, v9, v14
	s_wait_alu 0xfffe
	s_or_b32 exec_lo, exec_lo, s0
	s_and_saveexec_b32 s0, vcc_lo
	s_cbranch_execz .LBB219_71
.LBB219_104:
	ds_load_b32 v14, v11 offset:288
	s_wait_dscnt 0x0
	v_add_f32_e32 v10, v10, v14
	s_wait_alu 0xfffe
	s_or_b32 exec_lo, exec_lo, s0
	s_and_saveexec_b32 s0, vcc_lo
	s_cbranch_execz .LBB219_72
.LBB219_105:
	ds_load_b32 v14, v11 offset:320
	s_wait_dscnt 0x0
	v_add_f32_e32 v12, v12, v14
	s_wait_alu 0xfffe
	s_or_b32 exec_lo, exec_lo, s0
	s_and_saveexec_b32 s0, vcc_lo
	s_cbranch_execnz .LBB219_73
	s_branch .LBB219_74
.LBB219_106:
	ds_load_b32 v15, v11
	s_wait_dscnt 0x0
	v_add_f32_e32 v1, v1, v15
	s_wait_alu 0xfffe
	s_or_b32 exec_lo, exec_lo, s0
	s_and_saveexec_b32 s0, vcc_lo
	s_cbranch_execz .LBB219_80
.LBB219_107:
	ds_load_b32 v15, v11 offset:32
	s_wait_dscnt 0x0
	v_add_f32_e32 v2, v2, v15
	s_wait_alu 0xfffe
	s_or_b32 exec_lo, exec_lo, s0
	s_and_saveexec_b32 s0, vcc_lo
	s_cbranch_execz .LBB219_81
.LBB219_108:
	ds_load_b32 v15, v11 offset:64
	s_wait_dscnt 0x0
	v_add_f32_e32 v3, v3, v15
	s_wait_alu 0xfffe
	s_or_b32 exec_lo, exec_lo, s0
	s_and_saveexec_b32 s0, vcc_lo
	s_cbranch_execz .LBB219_82
.LBB219_109:
	ds_load_b32 v15, v11 offset:96
	s_wait_dscnt 0x0
	v_add_f32_e32 v4, v4, v15
	s_wait_alu 0xfffe
	s_or_b32 exec_lo, exec_lo, s0
	s_and_saveexec_b32 s0, vcc_lo
	s_cbranch_execz .LBB219_83
.LBB219_110:
	ds_load_b32 v15, v11 offset:128
	s_wait_dscnt 0x0
	v_add_f32_e32 v5, v5, v15
	s_wait_alu 0xfffe
	s_or_b32 exec_lo, exec_lo, s0
	s_and_saveexec_b32 s0, vcc_lo
	s_cbranch_execz .LBB219_84
.LBB219_111:
	ds_load_b32 v15, v11 offset:160
	s_wait_dscnt 0x0
	v_add_f32_e32 v6, v6, v15
	s_wait_alu 0xfffe
	s_or_b32 exec_lo, exec_lo, s0
	s_and_saveexec_b32 s0, vcc_lo
	s_cbranch_execz .LBB219_85
.LBB219_112:
	ds_load_b32 v15, v11 offset:192
	s_wait_dscnt 0x0
	v_add_f32_e32 v7, v7, v15
	s_wait_alu 0xfffe
	s_or_b32 exec_lo, exec_lo, s0
	s_and_saveexec_b32 s0, vcc_lo
	s_cbranch_execz .LBB219_86
.LBB219_113:
	ds_load_b32 v15, v11 offset:224
	s_wait_dscnt 0x0
	v_add_f32_e32 v8, v8, v15
	s_wait_alu 0xfffe
	s_or_b32 exec_lo, exec_lo, s0
	s_and_saveexec_b32 s0, vcc_lo
	s_cbranch_execz .LBB219_87
.LBB219_114:
	ds_load_b32 v15, v11 offset:256
	s_wait_dscnt 0x0
	v_add_f32_e32 v9, v9, v15
	s_wait_alu 0xfffe
	s_or_b32 exec_lo, exec_lo, s0
	s_and_saveexec_b32 s0, vcc_lo
	s_cbranch_execz .LBB219_88
.LBB219_115:
	ds_load_b32 v15, v11 offset:288
	s_wait_dscnt 0x0
	v_add_f32_e32 v10, v10, v15
	s_wait_alu 0xfffe
	s_or_b32 exec_lo, exec_lo, s0
	s_and_saveexec_b32 s0, vcc_lo
	s_cbranch_execz .LBB219_89
.LBB219_116:
	ds_load_b32 v15, v11 offset:320
	s_wait_dscnt 0x0
	v_add_f32_e32 v12, v12, v15
	s_wait_alu 0xfffe
	s_or_b32 exec_lo, exec_lo, s0
	s_and_saveexec_b32 s0, vcc_lo
	s_cbranch_execnz .LBB219_90
	s_branch .LBB219_91
	.section	.rodata,"a",@progbits
	.p2align	6, 0x0
	.amdhsa_kernel _ZN4vllm25paged_attention_v2_kernelIfhLi96ELi16ELi128ELNS_18Fp8KVCacheDataTypeE1ELb0ELi512EEEvPfS2_PT_PKS3_PKT0_S9_ifPKiSB_iPKfiiiSD_SD_iiiii
		.amdhsa_group_segment_fixed_size 416
		.amdhsa_private_segment_fixed_size 0
		.amdhsa_kernarg_size 400
		.amdhsa_user_sgpr_count 2
		.amdhsa_user_sgpr_dispatch_ptr 0
		.amdhsa_user_sgpr_queue_ptr 0
		.amdhsa_user_sgpr_kernarg_segment_ptr 1
		.amdhsa_user_sgpr_dispatch_id 0
		.amdhsa_user_sgpr_private_segment_size 0
		.amdhsa_wavefront_size32 1
		.amdhsa_uses_dynamic_stack 0
		.amdhsa_enable_private_segment 0
		.amdhsa_system_sgpr_workgroup_id_x 1
		.amdhsa_system_sgpr_workgroup_id_y 1
		.amdhsa_system_sgpr_workgroup_id_z 1
		.amdhsa_system_sgpr_workgroup_info 0
		.amdhsa_system_vgpr_workitem_id 0
		.amdhsa_next_free_vgpr 95
		.amdhsa_next_free_sgpr 38
		.amdhsa_reserve_vcc 1
		.amdhsa_float_round_mode_32 0
		.amdhsa_float_round_mode_16_64 0
		.amdhsa_float_denorm_mode_32 3
		.amdhsa_float_denorm_mode_16_64 3
		.amdhsa_fp16_overflow 0
		.amdhsa_workgroup_processor_mode 1
		.amdhsa_memory_ordered 1
		.amdhsa_forward_progress 1
		.amdhsa_inst_pref_size 64
		.amdhsa_round_robin_scheduling 0
		.amdhsa_exception_fp_ieee_invalid_op 0
		.amdhsa_exception_fp_denorm_src 0
		.amdhsa_exception_fp_ieee_div_zero 0
		.amdhsa_exception_fp_ieee_overflow 0
		.amdhsa_exception_fp_ieee_underflow 0
		.amdhsa_exception_fp_ieee_inexact 0
		.amdhsa_exception_int_div_zero 0
	.end_amdhsa_kernel
	.section	.text._ZN4vllm25paged_attention_v2_kernelIfhLi96ELi16ELi128ELNS_18Fp8KVCacheDataTypeE1ELb0ELi512EEEvPfS2_PT_PKS3_PKT0_S9_ifPKiSB_iPKfiiiSD_SD_iiiii,"axG",@progbits,_ZN4vllm25paged_attention_v2_kernelIfhLi96ELi16ELi128ELNS_18Fp8KVCacheDataTypeE1ELb0ELi512EEEvPfS2_PT_PKS3_PKT0_S9_ifPKiSB_iPKfiiiSD_SD_iiiii,comdat
.Lfunc_end219:
	.size	_ZN4vllm25paged_attention_v2_kernelIfhLi96ELi16ELi128ELNS_18Fp8KVCacheDataTypeE1ELb0ELi512EEEvPfS2_PT_PKS3_PKT0_S9_ifPKiSB_iPKfiiiSD_SD_iiiii, .Lfunc_end219-_ZN4vllm25paged_attention_v2_kernelIfhLi96ELi16ELi128ELNS_18Fp8KVCacheDataTypeE1ELb0ELi512EEEvPfS2_PT_PKS3_PKT0_S9_ifPKiSB_iPKfiiiSD_SD_iiiii
                                        ; -- End function
	.set _ZN4vllm25paged_attention_v2_kernelIfhLi96ELi16ELi128ELNS_18Fp8KVCacheDataTypeE1ELb0ELi512EEEvPfS2_PT_PKS3_PKT0_S9_ifPKiSB_iPKfiiiSD_SD_iiiii.num_vgpr, 95
	.set _ZN4vllm25paged_attention_v2_kernelIfhLi96ELi16ELi128ELNS_18Fp8KVCacheDataTypeE1ELb0ELi512EEEvPfS2_PT_PKS3_PKT0_S9_ifPKiSB_iPKfiiiSD_SD_iiiii.num_agpr, 0
	.set _ZN4vllm25paged_attention_v2_kernelIfhLi96ELi16ELi128ELNS_18Fp8KVCacheDataTypeE1ELb0ELi512EEEvPfS2_PT_PKS3_PKT0_S9_ifPKiSB_iPKfiiiSD_SD_iiiii.numbered_sgpr, 38
	.set _ZN4vllm25paged_attention_v2_kernelIfhLi96ELi16ELi128ELNS_18Fp8KVCacheDataTypeE1ELb0ELi512EEEvPfS2_PT_PKS3_PKT0_S9_ifPKiSB_iPKfiiiSD_SD_iiiii.num_named_barrier, 0
	.set _ZN4vllm25paged_attention_v2_kernelIfhLi96ELi16ELi128ELNS_18Fp8KVCacheDataTypeE1ELb0ELi512EEEvPfS2_PT_PKS3_PKT0_S9_ifPKiSB_iPKfiiiSD_SD_iiiii.private_seg_size, 0
	.set _ZN4vllm25paged_attention_v2_kernelIfhLi96ELi16ELi128ELNS_18Fp8KVCacheDataTypeE1ELb0ELi512EEEvPfS2_PT_PKS3_PKT0_S9_ifPKiSB_iPKfiiiSD_SD_iiiii.uses_vcc, 1
	.set _ZN4vllm25paged_attention_v2_kernelIfhLi96ELi16ELi128ELNS_18Fp8KVCacheDataTypeE1ELb0ELi512EEEvPfS2_PT_PKS3_PKT0_S9_ifPKiSB_iPKfiiiSD_SD_iiiii.uses_flat_scratch, 0
	.set _ZN4vllm25paged_attention_v2_kernelIfhLi96ELi16ELi128ELNS_18Fp8KVCacheDataTypeE1ELb0ELi512EEEvPfS2_PT_PKS3_PKT0_S9_ifPKiSB_iPKfiiiSD_SD_iiiii.has_dyn_sized_stack, 0
	.set _ZN4vllm25paged_attention_v2_kernelIfhLi96ELi16ELi128ELNS_18Fp8KVCacheDataTypeE1ELb0ELi512EEEvPfS2_PT_PKS3_PKT0_S9_ifPKiSB_iPKfiiiSD_SD_iiiii.has_recursion, 0
	.set _ZN4vllm25paged_attention_v2_kernelIfhLi96ELi16ELi128ELNS_18Fp8KVCacheDataTypeE1ELb0ELi512EEEvPfS2_PT_PKS3_PKT0_S9_ifPKiSB_iPKfiiiSD_SD_iiiii.has_indirect_call, 0
	.section	.AMDGPU.csdata,"",@progbits
; Kernel info:
; codeLenInByte = 8192
; TotalNumSgprs: 40
; NumVgprs: 95
; ScratchSize: 0
; MemoryBound: 0
; FloatMode: 240
; IeeeMode: 1
; LDSByteSize: 416 bytes/workgroup (compile time only)
; SGPRBlocks: 0
; VGPRBlocks: 11
; NumSGPRsForWavesPerEU: 40
; NumVGPRsForWavesPerEU: 95
; Occupancy: 16
; WaveLimiterHint : 1
; COMPUTE_PGM_RSRC2:SCRATCH_EN: 0
; COMPUTE_PGM_RSRC2:USER_SGPR: 2
; COMPUTE_PGM_RSRC2:TRAP_HANDLER: 0
; COMPUTE_PGM_RSRC2:TGID_X_EN: 1
; COMPUTE_PGM_RSRC2:TGID_Y_EN: 1
; COMPUTE_PGM_RSRC2:TGID_Z_EN: 1
; COMPUTE_PGM_RSRC2:TIDIG_COMP_CNT: 0
	.section	.text._ZN4vllm25paged_attention_v2_kernelIfhLi112ELi16ELi128ELNS_18Fp8KVCacheDataTypeE1ELb0ELi512EEEvPfS2_PT_PKS3_PKT0_S9_ifPKiSB_iPKfiiiSD_SD_iiiii,"axG",@progbits,_ZN4vllm25paged_attention_v2_kernelIfhLi112ELi16ELi128ELNS_18Fp8KVCacheDataTypeE1ELb0ELi512EEEvPfS2_PT_PKS3_PKT0_S9_ifPKiSB_iPKfiiiSD_SD_iiiii,comdat
	.protected	_ZN4vllm25paged_attention_v2_kernelIfhLi112ELi16ELi128ELNS_18Fp8KVCacheDataTypeE1ELb0ELi512EEEvPfS2_PT_PKS3_PKT0_S9_ifPKiSB_iPKfiiiSD_SD_iiiii ; -- Begin function _ZN4vllm25paged_attention_v2_kernelIfhLi112ELi16ELi128ELNS_18Fp8KVCacheDataTypeE1ELb0ELi512EEEvPfS2_PT_PKS3_PKT0_S9_ifPKiSB_iPKfiiiSD_SD_iiiii
	.globl	_ZN4vllm25paged_attention_v2_kernelIfhLi112ELi16ELi128ELNS_18Fp8KVCacheDataTypeE1ELb0ELi512EEEvPfS2_PT_PKS3_PKT0_S9_ifPKiSB_iPKfiiiSD_SD_iiiii
	.p2align	8
	.type	_ZN4vllm25paged_attention_v2_kernelIfhLi112ELi16ELi128ELNS_18Fp8KVCacheDataTypeE1ELb0ELi512EEEvPfS2_PT_PKS3_PKT0_S9_ifPKiSB_iPKfiiiSD_SD_iiiii,@function
_ZN4vllm25paged_attention_v2_kernelIfhLi112ELi16ELi128ELNS_18Fp8KVCacheDataTypeE1ELb0ELi512EEEvPfS2_PT_PKS3_PKT0_S9_ifPKiSB_iPKfiiiSD_SD_iiiii: ; @_ZN4vllm25paged_attention_v2_kernelIfhLi112ELi16ELi128ELNS_18Fp8KVCacheDataTypeE1ELb0ELi512EEEvPfS2_PT_PKS3_PKT0_S9_ifPKiSB_iPKfiiiSD_SD_iiiii
; %bb.0:
	s_load_b64 s[2:3], s[0:1], 0x40
	s_and_b32 s15, ttmp7, 0xffff
	s_lshr_b32 s26, ttmp7, 16
	s_lshl_b32 s4, s15, 2
	s_lshl_b32 s28, s26, 9
	s_wait_kmcnt 0x0
	s_load_b32 s27, s[2:3], s4 offset:0x0
	s_wait_kmcnt 0x0
	s_cmp_ge_i32 s28, s27
	s_cbranch_scc1 .LBB220_102
; %bb.1:
	s_clause 0x1
	s_load_b32 s29, s[0:1], 0x90
	s_load_b64 s[8:9], s[0:1], 0x30
	s_wait_kmcnt 0x0
	s_abs_i32 s5, s29
	s_abs_i32 s2, s8
	s_delay_alu instid0(SALU_CYCLE_1) | instskip(SKIP_1) | instid1(SALU_CYCLE_2)
	s_cvt_f32_u32 s3, s2
	s_sub_co_i32 s4, 0, s2
	v_rcp_iflag_f32_e32 v1, s3
	s_delay_alu instid0(TRANS32_DEP_1) | instskip(SKIP_2) | instid1(SALU_CYCLE_2)
	v_readfirstlane_b32 s3, v1
	s_mul_f32 s3, s3, 0x4f7ffffe
	s_wait_alu 0xfffe
	s_cvt_u32_f32 s3, s3
	s_wait_alu 0xfffe
	s_delay_alu instid0(SALU_CYCLE_2) | instskip(NEXT) | instid1(SALU_CYCLE_1)
	s_mul_i32 s4, s4, s3
	s_mul_hi_u32 s4, s3, s4
	s_delay_alu instid0(SALU_CYCLE_1)
	s_add_co_i32 s3, s3, s4
	s_xor_b32 s4, s29, s8
	s_wait_alu 0xfffe
	s_mul_hi_u32 s3, s5, s3
	s_ashr_i32 s4, s4, 31
	s_wait_alu 0xfffe
	s_mul_i32 s6, s3, s2
	s_delay_alu instid0(SALU_CYCLE_1)
	s_sub_co_i32 s5, s5, s6
	s_add_co_i32 s6, s3, 1
	s_sub_co_i32 s7, s5, s2
	s_cmp_ge_u32 s5, s2
	s_cselect_b32 s3, s6, s3
	s_cselect_b32 s5, s7, s5
	s_wait_alu 0xfffe
	s_add_co_i32 s6, s3, 1
	s_cmp_ge_u32 s5, s2
	s_cselect_b32 s2, s6, s3
	s_load_b64 s[6:7], s[0:1], 0x50
	s_xor_b32 s2, s2, s4
	s_mov_b32 s3, 0
	s_wait_alu 0xfffe
	s_sub_co_i32 s11, s2, s4
	s_mov_b32 s8, s3
	s_abs_i32 s10, s11
	s_delay_alu instid0(SALU_CYCLE_1) | instskip(SKIP_1) | instid1(SALU_CYCLE_2)
	s_cvt_f32_u32 s2, s10
	s_wait_alu 0xfffe
	v_rcp_iflag_f32_e32 v1, s2
	s_delay_alu instid0(TRANS32_DEP_1) | instskip(SKIP_2) | instid1(SALU_CYCLE_2)
	v_readfirstlane_b32 s2, v1
	s_mul_f32 s2, s2, 0x4f7ffffe
	s_wait_alu 0xfffe
	s_cvt_u32_f32 s4, s2
	s_sub_co_i32 s2, 0, s10
	s_wait_alu 0xfffe
	s_delay_alu instid0(SALU_CYCLE_1)
	s_mul_i32 s2, s2, s4
	s_wait_alu 0xfffe
	s_mul_hi_u32 s5, s4, s2
	s_abs_i32 s2, ttmp9
	s_add_co_i32 s4, s4, s5
	s_mov_b32 s5, s3
	s_wait_kmcnt 0x0
	s_cmp_eq_u64 s[6:7], 0
	s_cbranch_scc1 .LBB220_3
; %bb.2:
	s_mov_b32 s12, ttmp9
	s_ashr_i32 s13, ttmp9, 31
	s_delay_alu instid0(SALU_CYCLE_1) | instskip(NEXT) | instid1(SALU_CYCLE_1)
	s_lshl_b64 s[12:13], s[12:13], 2
	s_add_nc_u64 s[6:7], s[6:7], s[12:13]
	s_load_b32 s8, s[6:7], 0x0
.LBB220_3:
	s_load_b96 s[12:14], s[0:1], 0x58
	v_and_b32_e32 v49, 1, v0
	v_lshlrev_b32_e32 v63, 2, v0
	s_mul_u64 s[4:5], s[2:3], s[4:5]
	s_ashr_i32 s3, ttmp9, 31
	s_ashr_i32 s4, s11, 31
	s_mul_i32 s16, ttmp9, 0x70
	s_mov_b32 s6, exec_lo
	v_cmpx_gt_u32_e32 56, v0
	s_cbranch_execz .LBB220_5
; %bb.4:
	s_load_b64 s[18:19], s[0:1], 0x18
	s_wait_kmcnt 0x0
	s_mul_i32 s20, s12, s15
	s_ashr_i32 s17, s16, 31
	s_ashr_i32 s21, s20, 31
	v_lshlrev_b32_e32 v1, 3, v0
	s_lshl_b64 s[20:21], s[20:21], 2
	v_and_b32_e32 v3, 0xff8, v63
	s_delay_alu instid0(VALU_DEP_1) | instskip(SKIP_2) | instid1(SALU_CYCLE_1)
	v_mad_u32_u24 v3, 0xe0, v49, v3
	s_add_nc_u64 s[18:19], s[18:19], s[20:21]
	s_lshl_b64 s[20:21], s[16:17], 2
	s_add_nc_u64 s[18:19], s[18:19], s[20:21]
	global_load_b64 v[1:2], v1, s[18:19]
	s_wait_loadcnt 0x0
	ds_store_b64 v3, v[1:2]
.LBB220_5:
	s_or_b32 exec_lo, exec_lo, s6
	s_add_co_i32 s6, s27, 15
	s_wait_alu 0xfffe
	s_xor_b32 s3, s3, s4
	s_ashr_i32 s7, s6, 31
	s_lshl_b32 s31, s26, 5
	s_lshr_b32 s4, s7, 28
	s_mul_i32 s7, s5, s10
	s_add_co_i32 s6, s6, s4
	s_add_co_i32 s4, s31, 32
	s_ashr_i32 s30, s6, 4
	s_load_b32 s6, s[0:1], 0x48
	s_sub_co_i32 s2, s2, s7
	s_min_i32 s17, s4, s30
	s_add_co_i32 s4, s5, 1
	s_wait_alu 0xfffe
	s_sub_co_i32 s7, s2, s10
	s_cmp_ge_u32 s2, s10
	v_lshrrev_b32_e32 v61, 5, v0
	s_cselect_b32 s4, s4, s5
	s_cselect_b32 s2, s7, s2
	s_add_co_i32 s5, s4, 1
	s_wait_alu 0xfffe
	s_cmp_ge_u32 s2, s10
	v_or_b32_e32 v62, s31, v61
	s_cselect_b32 s2, s5, s4
	v_mbcnt_lo_u32_b32 v65, -1, 0
	s_wait_alu 0xfffe
	s_xor_b32 s2, s2, s3
	s_mov_b32 s4, exec_lo
	s_wait_alu 0xfffe
	s_sub_co_i32 s3, s2, s3
	v_cmp_gt_i32_e64 s2, s17, v62
	s_wait_dscnt 0x0
	s_barrier_signal -1
	s_wait_kmcnt 0x0
	s_mul_i32 s18, s6, s15
	s_barrier_wait -1
	s_ashr_i32 s19, s18, 31
	global_inv scope:SCOPE_SE
                                        ; implicit-def: $vgpr66
                                        ; implicit-def: $vgpr67
	v_cmpx_le_i32_e64 s17, v62
	s_xor_b32 s4, exec_lo, s4
; %bb.6:
	v_dual_mov_b32 v66, 0 :: v_dual_mov_b32 v67, 32
	v_mbcnt_lo_u32_b32 v65, -1, 0
                                        ; implicit-def: $vgpr49
; %bb.7:
	s_or_saveexec_b32 s10, s4
	s_clause 0x2
	s_load_b32 s12, s[0:1], 0x98
	s_load_b64 s[20:21], s[0:1], 0x38
	s_load_b128 s[4:7], s[0:1], 0x68
	v_mov_b32_e32 v68, 0xff7fffff
	v_lshlrev_b32_e32 v64, 2, v62
	s_mul_i32 s22, s3, s14
	s_xor_b32 exec_lo, exec_lo, s10
	s_cbranch_execz .LBB220_13
; %bb.8:
	s_load_b64 s[24:25], s[0:1], 0x20
	v_xor_b32_e32 v41, 1, v65
	v_bfe_u32 v59, v0, 1, 4
	v_mul_u32_u24_e32 v53, 0xe0, v49
	s_ashr_i32 s23, s22, 31
	ds_load_b128 v[1:4], v53
	ds_load_b128 v[5:8], v53 offset:16
	ds_load_b128 v[9:12], v53 offset:32
	;; [unrolled: 1-line block ×7, first 2 shown]
	v_cmp_gt_i32_e32 vcc_lo, 32, v41
	v_dual_mov_b32 v66, 0 :: v_dual_lshlrev_b32 v33, 4, v59
	v_lshlrev_b32_e32 v57, 1, v49
	s_cmp_neq_f32 s8, 0
	v_cndmask_b32_e32 v50, v65, v41, vcc_lo
	v_cmp_eq_u32_e32 vcc_lo, 0, v49
	v_dual_mov_b32 v67, 32 :: v_dual_lshlrev_b32 v68, 2, v59
	v_lshlrev_b32_e32 v70, 4, v61
	s_delay_alu instid0(VALU_DEP_4)
	v_lshlrev_b32_e32 v69, 2, v50
	s_wait_kmcnt 0x0
	s_add_nc_u64 s[24:25], s[24:25], s[22:23]
	v_mov_b32_e32 v72, v62
	v_add_co_u32 v58, s3, s24, v33
	ds_load_b128 v[33:36], v53 offset:128
	ds_load_b128 v[37:40], v53 offset:144
	;; [unrolled: 1-line block ×4, first 2 shown]
	s_load_b32 s14, s[4:5], 0x0
	ds_load_b128 v[49:52], v53 offset:192
	ds_load_b128 v[53:56], v53 offset:208
	v_add_co_ci_u32_e64 v60, null, s25, 0, s3
	v_add_co_u32 v57, s4, v58, v57
	s_cselect_b32 s3, -1, 0
	v_add_co_ci_u32_e64 v58, null, 0, v60, s4
	s_lshl_b64 s[4:5], s[18:19], 2
	v_lshl_or_b32 v68, v61, 6, v68
	s_wait_alu 0xfffe
	s_add_nc_u64 s[4:5], s[20:21], s[4:5]
	v_add3_u32 v70, s28, v70, v59
	s_wait_alu 0xfffe
	v_add_co_u32 v59, s4, s4, v64
	v_add_nc_u32_e32 v71, 0x1e0, v68
	s_wait_alu 0xf1ff
	v_add_co_ci_u32_e64 v60, null, s5, 0, s4
	v_mov_b32_e32 v68, 0xff7fffff
	s_mov_b32 s11, s13
	s_mov_b32 s23, 0
	s_wait_kmcnt 0x0
	s_mov_b32 s24, s14
	s_sub_co_i32 s25, 1, s27
	s_branch .LBB220_10
.LBB220_9:                              ;   in Loop: Header=BB220_10 Depth=1
	s_wait_alu 0xfffe
	s_or_b32 exec_lo, exec_lo, s5
	v_add_nc_u32_e32 v72, 4, v72
	v_add_co_u32 v59, s5, v59, 16
	v_add_nc_u32_e32 v70, 64, v70
	v_add_nc_u32_e32 v71, 0x100, v71
	s_delay_alu instid0(VALU_DEP_4) | instskip(SKIP_3) | instid1(SALU_CYCLE_1)
	v_cmp_le_i32_e64 s4, s17, v72
	s_wait_alu 0xf1ff
	v_add_co_ci_u32_e64 v60, null, 0, v60, s5
	s_or_b32 s23, s4, s23
	s_and_not1_b32 exec_lo, exec_lo, s23
	s_cbranch_execz .LBB220_12
.LBB220_10:                             ; =>This Inner Loop Header: Depth=1
	global_load_b32 v73, v[59:60], off
	s_wait_loadcnt_dscnt 0x0
	v_mad_co_i64_i32 v[73:74], null, v73, s11, v[57:58]
	s_clause 0x1b
	global_load_u16 v75, v[73:74], off offset:4
	global_load_u16 v76, v[73:74], off
	global_load_u16 v77, v[73:74], off offset:8
	global_load_u16 v78, v[73:74], off offset:12
	;; [unrolled: 1-line block ×26, first 2 shown]
	s_wait_loadcnt 0x1b
	v_cvt_pk_f32_fp8_e32 v[73:74], v75
	s_wait_loadcnt 0x1a
	v_cvt_pk_f32_fp8_e32 v[75:76], v76
	s_wait_alu 0xfffe
	s_delay_alu instid0(VALU_DEP_2)
	v_dual_mul_f32 v103, s14, v73 :: v_dual_mul_f32 v104, s24, v74
	s_wait_loadcnt 0x19
	v_cvt_pk_f32_fp8_e32 v[73:74], v77
	v_mul_f32_e32 v77, s24, v76
	v_mul_f32_e32 v105, s14, v75
	s_wait_dscnt 0xd
	v_dual_mul_f32 v103, v3, v103 :: v_dual_mul_f32 v104, v4, v104
	s_wait_loadcnt 0x18
	v_cvt_pk_f32_fp8_e32 v[75:76], v78
	v_mul_f32_e32 v78, s24, v74
	v_mul_f32_e32 v106, s14, v73
	s_wait_loadcnt 0x17
	v_cvt_pk_f32_fp8_e32 v[73:74], v79
	v_dual_fmac_f32 v104, v2, v77 :: v_dual_mul_f32 v77, s24, v76
	v_fmac_f32_e32 v103, v1, v105
	v_mul_f32_e32 v79, s14, v75
	s_wait_loadcnt 0x16
	v_cvt_pk_f32_fp8_e32 v[75:76], v80
	s_wait_dscnt 0xc
	v_fmac_f32_e32 v104, v6, v78
	v_mul_f32_e32 v78, s24, v74
	v_dual_fmac_f32 v103, v5, v106 :: v_dual_mul_f32 v80, s14, v73
	s_wait_loadcnt 0x15
	v_cvt_pk_f32_fp8_e32 v[73:74], v81
	v_dual_fmac_f32 v104, v8, v77 :: v_dual_mul_f32 v77, s24, v76
	s_delay_alu instid0(VALU_DEP_3)
	v_fmac_f32_e32 v103, v7, v79
	v_mul_f32_e32 v79, s14, v75
	s_wait_loadcnt 0x14
	v_cvt_pk_f32_fp8_e32 v[75:76], v82
	s_wait_dscnt 0xb
	v_fmac_f32_e32 v104, v10, v78
	v_dual_mul_f32 v78, s24, v74 :: v_dual_fmac_f32 v103, v9, v80
	v_mul_f32_e32 v80, s14, v73
	s_wait_loadcnt 0x13
	v_cvt_pk_f32_fp8_e32 v[73:74], v83
	v_dual_fmac_f32 v104, v12, v77 :: v_dual_mul_f32 v77, s24, v76
	v_fmac_f32_e32 v103, v11, v79
	v_mul_f32_e32 v79, s14, v75
	s_wait_loadcnt 0x12
	v_cvt_pk_f32_fp8_e32 v[75:76], v84
	s_wait_dscnt 0xa
	v_fmac_f32_e32 v104, v14, v78
	v_dual_mul_f32 v78, s24, v74 :: v_dual_fmac_f32 v103, v13, v80
	v_mul_f32_e32 v80, s14, v73
	s_wait_loadcnt 0x11
	v_cvt_pk_f32_fp8_e32 v[73:74], v85
	v_dual_fmac_f32 v104, v16, v77 :: v_dual_mul_f32 v77, s24, v76
	;; [unrolled: 11-line block ×10, first 2 shown]
	v_fmac_f32_e32 v103, v47, v79
	s_delay_alu instid0(VALU_DEP_3) | instskip(SKIP_1) | instid1(VALU_DEP_3)
	v_dual_mul_f32 v79, s14, v75 :: v_dual_mul_f32 v74, s24, v74
	s_wait_dscnt 0x1
	v_fmac_f32_e32 v104, v50, v78
	s_wait_loadcnt 0x0
	v_cvt_pk_f32_fp8_e32 v[75:76], v102
	v_fmac_f32_e32 v103, v49, v80
	v_mul_f32_e32 v73, s14, v73
	v_fmac_f32_e32 v104, v52, v77
	s_delay_alu instid0(VALU_DEP_3) | instskip(SKIP_1) | instid1(VALU_DEP_2)
	v_dual_mul_f32 v76, s24, v76 :: v_dual_fmac_f32 v103, v51, v79
	s_wait_dscnt 0x0
	v_dual_fmac_f32 v104, v54, v74 :: v_dual_mul_f32 v75, s14, v75
	s_delay_alu instid0(VALU_DEP_1) | instskip(NEXT) | instid1(VALU_DEP_1)
	v_dual_fmac_f32 v103, v53, v73 :: v_dual_fmac_f32 v104, v56, v76
	v_fmac_f32_e32 v103, v55, v75
	s_delay_alu instid0(VALU_DEP_1)
	v_add_f32_e32 v73, v103, v104
	ds_bpermute_b32 v74, v69, v73
	s_and_saveexec_b32 s5, vcc_lo
	s_cbranch_execz .LBB220_9
; %bb.11:                               ;   in Loop: Header=BB220_10 Depth=1
	s_wait_dscnt 0x0
	v_add_f32_e32 v73, v73, v74
	v_add_nc_u32_e32 v75, s25, v70
	v_cmp_gt_i32_e64 s4, s27, v70
	s_delay_alu instid0(VALU_DEP_2) | instskip(NEXT) | instid1(VALU_DEP_1)
	v_cvt_f32_i32_e32 v75, v75
	v_mul_f32_e32 v75, s8, v75
	s_delay_alu instid0(VALU_DEP_1) | instskip(NEXT) | instid1(VALU_DEP_1)
	v_cndmask_b32_e64 v74, 0, v75, s3
	v_dual_max_num_f32 v75, v68, v68 :: v_dual_fmac_f32 v74, s9, v73
	s_delay_alu instid0(VALU_DEP_1) | instskip(SKIP_2) | instid1(VALU_DEP_2)
	v_max_num_f32_e32 v73, v75, v74
	s_wait_alu 0xf1ff
	v_cndmask_b32_e64 v74, 0, v74, s4
	v_cndmask_b32_e64 v68, v68, v73, s4
	ds_store_b32 v71, v74
	s_branch .LBB220_9
.LBB220_12:
	s_or_b32 exec_lo, exec_lo, s23
.LBB220_13:
	s_delay_alu instid0(SALU_CYCLE_1)
	s_or_b32 exec_lo, exec_lo, s10
	v_xor_b32_e32 v1, 16, v65
	v_xor_b32_e32 v3, 8, v65
	;; [unrolled: 1-line block ×3, first 2 shown]
	s_load_b128 s[8:11], s[0:1], 0x0
	s_wait_kmcnt 0x0
	s_clause 0x1
	s_load_b64 s[4:5], s[0:1], 0x10
	s_load_b64 s[24:25], s[0:1], 0x28
	v_and_b32_e32 v11, 31, v0
	v_cmp_lt_i32_e32 vcc_lo, v1, v67
	v_max_num_f32_e32 v5, v68, v68
	s_wait_alu 0xfffd
	v_cndmask_b32_e32 v1, v65, v1, vcc_lo
	v_cmp_lt_i32_e32 vcc_lo, v3, v67
	s_wait_alu 0xfffd
	v_cndmask_b32_e32 v3, v65, v3, vcc_lo
	s_delay_alu instid0(VALU_DEP_1) | instskip(SKIP_4) | instid1(VALU_DEP_1)
	v_lshlrev_b32_e32 v4, 2, v3
	v_lshlrev_b32_e32 v2, 2, v1
	ds_bpermute_b32 v1, v2, v68
	s_wait_dscnt 0x0
	v_max_num_f32_e32 v1, v1, v1
	v_max_num_f32_e32 v1, v5, v1
	v_xor_b32_e32 v5, 4, v65
	ds_bpermute_b32 v3, v4, v1
	v_cmp_lt_i32_e32 vcc_lo, v5, v67
	s_wait_alu 0xfffd
	v_cndmask_b32_e32 v5, v65, v5, vcc_lo
	v_cmp_lt_i32_e32 vcc_lo, v6, v67
	s_wait_alu 0xfffd
	s_delay_alu instid0(VALU_DEP_2) | instskip(SKIP_1) | instid1(VALU_DEP_2)
	v_dual_cndmask_b32 v6, v65, v6 :: v_dual_lshlrev_b32 v5, 2, v5
	v_cmp_eq_u32_e32 vcc_lo, 0, v11
	v_lshlrev_b32_e32 v12, 2, v6
	s_wait_dscnt 0x0
	v_dual_max_num_f32 v3, v3, v3 :: v_dual_lshlrev_b32 v6, 2, v61
	s_delay_alu instid0(VALU_DEP_1) | instskip(SKIP_3) | instid1(VALU_DEP_1)
	v_max_num_f32_e32 v1, v1, v3
	ds_bpermute_b32 v3, v5, v1
	s_wait_dscnt 0x0
	v_max_num_f32_e32 v3, v3, v3
	v_max_num_f32_e32 v1, v1, v3
	ds_bpermute_b32 v3, v12, v1
	s_and_saveexec_b32 s0, vcc_lo
	s_cbranch_execz .LBB220_15
; %bb.14:
	s_wait_dscnt 0x0
	v_max_num_f32_e32 v3, v3, v3
	v_max_num_f32_e32 v1, v1, v1
	s_delay_alu instid0(VALU_DEP_1)
	v_max_num_f32_e32 v1, v1, v3
	ds_store_b32 v6, v1 offset:448
.LBB220_15:
	s_or_b32 exec_lo, exec_lo, s0
	v_cmp_gt_u32_e64 s0, 4, v11
	v_mov_b32_e32 v1, 0xff7fffff
	v_lshlrev_b32_e32 v7, 2, v11
	s_wait_loadcnt_dscnt 0x0
	s_barrier_signal -1
	s_barrier_wait -1
	global_inv scope:SCOPE_SE
	s_and_saveexec_b32 s1, s0
; %bb.16:
	ds_load_b32 v1, v7 offset:448
; %bb.17:
	s_or_b32 exec_lo, exec_lo, s1
	s_wait_dscnt 0x0
	ds_bpermute_b32 v3, v12, v1
	v_xor_b32_e32 v8, 1, v65
	v_max_num_f32_e32 v1, v1, v1
	s_delay_alu instid0(VALU_DEP_2) | instskip(NEXT) | instid1(VALU_DEP_1)
	v_cmp_lt_i32_e64 s1, v8, v67
	v_cndmask_b32_e64 v8, v65, v8, s1
	s_sub_co_i32 s1, s17, s31
	s_wait_alu 0xfffe
	s_lshl_b32 s1, s1, 4
	s_delay_alu instid0(VALU_DEP_1)
	v_dual_mov_b32 v8, 0 :: v_dual_lshlrev_b32 v13, 2, v8
	s_wait_alu 0xfffe
	s_add_co_i32 s1, s1, s28
	s_wait_alu 0xfffe
	s_min_i32 s1, s1, s27
	s_wait_dscnt 0x0
	v_max_num_f32_e32 v3, v3, v3
	s_wait_alu 0xfffe
	s_sub_co_i32 s14, s1, s28
	s_wait_alu 0xfffe
	v_cmp_gt_i32_e64 s1, s14, v0
	v_max_num_f32_e32 v1, v1, v3
	ds_bpermute_b32 v3, v13, v1
	s_wait_dscnt 0x0
	v_max_num_f32_e32 v3, v3, v3
	s_delay_alu instid0(VALU_DEP_1)
	v_max_num_f32_e32 v1, v1, v3
	v_lshlrev_b32_e32 v3, 2, v66
	ds_bpermute_b32 v1, v3, v1
	v_lshl_add_u32 v3, v0, 2, 0x1e0
	s_and_saveexec_b32 s23, s1
	s_cbranch_execz .LBB220_21
; %bb.18:
	v_lshl_add_u32 v9, v0, 2, 0x1e0
	v_mov_b32_e32 v8, 0
	v_mov_b32_e32 v10, v0
	s_mov_b32 s31, 0
.LBB220_19:                             ; =>This Inner Loop Header: Depth=1
	ds_load_b32 v14, v9
	v_add_nc_u32_e32 v10, 0x80, v10
	s_delay_alu instid0(VALU_DEP_1) | instskip(SKIP_4) | instid1(VALU_DEP_1)
	v_cmp_le_i32_e64 s3, s14, v10
	s_wait_alu 0xfffe
	s_or_b32 s31, s3, s31
	s_wait_dscnt 0x0
	v_sub_f32_e32 v14, v14, v1
	v_mul_f32_e32 v14, 0x3fb8aa3b, v14
	s_delay_alu instid0(VALU_DEP_1)
	v_exp_f32_e32 v14, v14
	ds_store_b32 v9, v14
	v_dual_add_f32 v8, v8, v14 :: v_dual_add_nc_u32 v9, 0x200, v9
	s_wait_alu 0xfffe
	s_and_not1_b32 exec_lo, exec_lo, s31
	s_cbranch_execnz .LBB220_19
; %bb.20:
	s_or_b32 exec_lo, exec_lo, s31
.LBB220_21:
	s_delay_alu instid0(SALU_CYCLE_1)
	s_or_b32 exec_lo, exec_lo, s23
	ds_bpermute_b32 v2, v2, v8
	s_wait_dscnt 0x0
	v_add_f32_e32 v2, v8, v2
	ds_bpermute_b32 v4, v4, v2
	s_wait_dscnt 0x0
	v_add_f32_e32 v2, v2, v4
	;; [unrolled: 3-line block ×5, first 2 shown]
	s_and_saveexec_b32 s3, vcc_lo
; %bb.22:
	ds_store_b32 v6, v2 offset:464
; %bb.23:
	s_wait_alu 0xfffe
	s_or_b32 exec_lo, exec_lo, s3
	s_wait_loadcnt_dscnt 0x0
	s_barrier_signal -1
	s_barrier_wait -1
	global_inv scope:SCOPE_SE
	s_and_saveexec_b32 s3, s0
; %bb.24:
	ds_load_b32 v2, v7 offset:464
; %bb.25:
	s_wait_alu 0xfffe
	s_or_b32 exec_lo, exec_lo, s3
	s_wait_dscnt 0x0
	ds_bpermute_b32 v4, v12, v2
	s_wait_dscnt 0x0
	v_dual_add_f32 v2, v2, v4 :: v_dual_lshlrev_b32 v5, 2, v65
	ds_bpermute_b32 v4, v13, v2
	s_wait_dscnt 0x0
	v_add_f32_e32 v2, v2, v4
	v_and_b32_e32 v4, 0xffffff80, v5
	ds_bpermute_b32 v2, v4, v2
	s_and_saveexec_b32 s0, s1
	s_cbranch_execz .LBB220_28
; %bb.26:
	s_wait_dscnt 0x0
	v_add_f32_e32 v4, 0x358637bd, v2
	s_mov_b32 s1, 0
	s_delay_alu instid0(VALU_DEP_1) | instskip(SKIP_1) | instid1(VALU_DEP_2)
	v_div_scale_f32 v5, null, v4, v4, 1.0
	v_div_scale_f32 v8, vcc_lo, 1.0, v4, 1.0
	v_rcp_f32_e32 v6, v5
	s_delay_alu instid0(TRANS32_DEP_1) | instskip(NEXT) | instid1(VALU_DEP_1)
	v_fma_f32 v7, -v5, v6, 1.0
	v_fmac_f32_e32 v6, v7, v6
	s_delay_alu instid0(VALU_DEP_1) | instskip(NEXT) | instid1(VALU_DEP_1)
	v_mul_f32_e32 v7, v8, v6
	v_fma_f32 v9, -v5, v7, v8
	s_delay_alu instid0(VALU_DEP_1) | instskip(NEXT) | instid1(VALU_DEP_1)
	v_fmac_f32_e32 v7, v9, v6
	v_fma_f32 v5, -v5, v7, v8
	s_wait_alu 0xfffd
	s_delay_alu instid0(VALU_DEP_1) | instskip(NEXT) | instid1(VALU_DEP_1)
	v_div_fmas_f32 v5, v5, v6, v7
	v_div_fixup_f32 v4, v5, v4, 1.0
	v_mov_b32_e32 v5, v0
.LBB220_27:                             ; =>This Inner Loop Header: Depth=1
	ds_load_b32 v6, v3
	s_wait_dscnt 0x0
	v_dual_mul_f32 v6, v4, v6 :: v_dual_add_nc_u32 v5, 0x80, v5
	s_delay_alu instid0(VALU_DEP_1)
	v_cmp_le_i32_e32 vcc_lo, s14, v5
	ds_store_b32 v3, v6
	v_add_nc_u32_e32 v3, 0x200, v3
	s_wait_alu 0xfffe
	s_or_b32 s1, vcc_lo, s1
	s_wait_alu 0xfffe
	s_and_not1_b32 exec_lo, exec_lo, s1
	s_cbranch_execnz .LBB220_27
.LBB220_28:
	s_wait_alu 0xfffe
	s_or_b32 exec_lo, exec_lo, s0
	s_mul_i32 s0, s12, s15
	s_wait_loadcnt_dscnt 0x0
	s_wait_alu 0xfffe
	s_mul_i32 s14, s0, s29
	s_mov_b32 s0, exec_lo
	s_barrier_signal -1
	s_barrier_wait -1
	global_inv scope:SCOPE_SE
	v_cmpx_eq_u32_e32 0, v0
	s_cbranch_execz .LBB220_30
; %bb.29:
	s_wait_alu 0xfffe
	s_ashr_i32 s15, s14, 31
	s_mul_i32 s34, s12, ttmp9
	s_lshl_b32 s1, s26, 2
	s_wait_alu 0xfffe
	s_lshl_b64 s[36:37], s[14:15], 2
	s_ashr_i32 s35, s34, 31
	v_mov_b32_e32 v3, s1
	s_add_nc_u64 s[10:11], s[10:11], s[36:37]
	s_lshl_b64 s[34:35], s[34:35], 2
	s_add_nc_u64 s[8:9], s[8:9], s[36:37]
	s_wait_alu 0xfffe
	s_add_nc_u64 s[10:11], s[10:11], s[34:35]
	s_add_nc_u64 s[8:9], s[8:9], s[34:35]
	s_clause 0x1
	global_store_b32 v3, v1, s[10:11]
	global_store_b32 v3, v2, s[8:9]
.LBB220_30:
	s_wait_alu 0xfffe
	s_or_b32 exec_lo, exec_lo, s0
	v_dual_mov_b32 v26, 0 :: v_dual_mov_b32 v27, 0
	v_dual_mov_b32 v25, 0 :: v_dual_and_b32 v14, 3, v0
	v_dual_mov_b32 v28, 0 :: v_dual_mov_b32 v23, 0
	v_dual_mov_b32 v24, 0 :: v_dual_mov_b32 v21, 0
	v_dual_mov_b32 v22, 0 :: v_dual_mov_b32 v19, 0
	v_dual_mov_b32 v20, 0 :: v_dual_mov_b32 v17, 0
	v_dual_mov_b32 v18, 0 :: v_dual_mov_b32 v15, 0
	v_mov_b32_e32 v16, 0
	s_and_saveexec_b32 s1, s2
	s_cbranch_execz .LBB220_62
; %bb.31:
	s_load_b32 s3, s[6:7], 0x0
	v_dual_mov_b32 v15, 0 :: v_dual_lshlrev_b32 v2, 4, v14
	v_dual_mov_b32 v18, 0 :: v_dual_and_b32 v3, 0x7c, v63
	s_ashr_i32 s23, s22, 31
	s_lshl_b64 s[6:7], s[18:19], 2
	s_wait_kmcnt 0x0
	s_add_nc_u64 s[8:9], s[24:25], s[22:23]
	v_dual_mov_b32 v16, 0 :: v_dual_and_b32 v1, 12, v63
	v_lshl_add_u32 v4, v61, 4, s28
	v_lshl_or_b32 v2, v61, 6, v2
	s_wait_alu 0xfffe
	v_add_co_u32 v5, s0, s8, v3
	s_add_nc_u64 s[6:7], s[20:21], s[6:7]
	s_wait_alu 0xf1ff
	v_add_co_ci_u32_e64 v6, null, s9, 0, s0
	v_add_co_u32 v7, s0, s6, v64
	v_add3_u32 v29, v4, v1, 3
	v_dual_mov_b32 v17, 0 :: v_dual_add_nc_u32 v30, 0x1e0, v2
	s_wait_alu 0xf1ff
	v_add_co_ci_u32_e64 v8, null, s7, 0, s0
	v_dual_mov_b32 v19, 0 :: v_dual_mov_b32 v20, 0
	v_dual_mov_b32 v21, 0 :: v_dual_mov_b32 v22, 0
	;; [unrolled: 1-line block ×5, first 2 shown]
	s_mov_b32 s2, s13
	s_mov_b32 s6, s3
	s_add_co_i32 s30, s30, -1
	s_mov_b32 s7, 0
	s_branch .LBB220_33
.LBB220_32:                             ;   in Loop: Header=BB220_33 Depth=1
	s_wait_alu 0xfffe
	s_or_b32 exec_lo, exec_lo, s0
	s_wait_dscnt 0x0
	v_mul_f32_e32 v47, v1, v85
	v_mul_f32_e32 v46, v1, v89
	;; [unrolled: 1-line block ×4, first 2 shown]
	s_delay_alu instid0(VALU_DEP_4) | instskip(NEXT) | instid1(VALU_DEP_4)
	v_dual_mul_f32 v42, v1, v42 :: v_dual_fmac_f32 v47, v2, v84
	v_fmac_f32_e32 v46, v2, v88
	s_delay_alu instid0(VALU_DEP_4) | instskip(NEXT) | instid1(VALU_DEP_4)
	v_fmac_f32_e32 v75, v2, v74
	v_fmac_f32_e32 v48, v2, v78
	s_delay_alu instid0(VALU_DEP_4) | instskip(NEXT) | instid1(VALU_DEP_4)
	v_dual_mul_f32 v38, v1, v38 :: v_dual_fmac_f32 v47, v3, v83
	v_fmac_f32_e32 v46, v3, v87
	s_delay_alu instid0(VALU_DEP_4) | instskip(NEXT) | instid1(VALU_DEP_4)
	v_fmac_f32_e32 v75, v3, v73
	v_fmac_f32_e32 v48, v3, v77
	v_mul_f32_e32 v34, v1, v34
	v_fmac_f32_e32 v47, v4, v82
	v_dual_fmac_f32 v46, v4, v86 :: v_dual_mul_f32 v71, v1, v71
	v_fmac_f32_e32 v75, v4, v72
	s_delay_alu instid0(VALU_DEP_3) | instskip(NEXT) | instid1(VALU_DEP_3)
	v_dual_fmac_f32 v48, v4, v76 :: v_dual_add_f32 v17, v17, v47
	v_add_f32_e32 v16, v16, v46
	s_delay_alu instid0(VALU_DEP_4) | instskip(NEXT) | instid1(VALU_DEP_3)
	v_dual_mul_f32 v46, v1, v67 :: v_dual_fmac_f32 v71, v2, v70
	v_dual_mul_f32 v47, v1, v63 :: v_dual_add_f32 v18, v18, v48
	v_dual_add_f32 v19, v19, v75 :: v_dual_mul_f32 v48, v1, v57
	s_delay_alu instid0(VALU_DEP_3) | instskip(NEXT) | instid1(VALU_DEP_3)
	v_dual_fmac_f32 v46, v2, v66 :: v_dual_mul_f32 v53, v1, v53
	v_dual_fmac_f32 v47, v2, v60 :: v_dual_add_nc_u32 v62, 4, v62
	s_delay_alu instid0(VALU_DEP_3) | instskip(NEXT) | instid1(VALU_DEP_3)
	v_fmac_f32_e32 v48, v2, v56
	v_fmac_f32_e32 v46, v3, v65
	;; [unrolled: 1-line block ×4, first 2 shown]
	v_cmp_le_i32_e32 vcc_lo, s17, v62
	v_fmac_f32_e32 v48, v3, v55
	v_dual_fmac_f32 v46, v4, v64 :: v_dual_fmac_f32 v47, v3, v59
	s_delay_alu instid0(VALU_DEP_4) | instskip(SKIP_1) | instid1(VALU_DEP_3)
	v_fmac_f32_e32 v53, v3, v51
	v_add_co_u32 v7, s0, v7, 16
	v_add_f32_e32 v21, v21, v46
	v_mul_f32_e32 v46, v1, v49
	v_fmac_f32_e32 v48, v4, v54
	v_fmac_f32_e32 v47, v4, v58
	v_add_nc_u32_e32 v30, 0x100, v30
	s_wait_alu 0xf1ff
	v_add_co_ci_u32_e64 v8, null, 0, v8, s0
	v_fmac_f32_e32 v46, v2, v45
	v_mul_f32_e32 v1, v1, v81
	v_dual_fmac_f32 v71, v4, v68 :: v_dual_add_f32 v22, v22, v47
	v_add_f32_e32 v23, v23, v48
	s_delay_alu instid0(VALU_DEP_3) | instskip(SKIP_1) | instid1(VALU_DEP_2)
	v_dual_fmac_f32 v46, v3, v44 :: v_dual_fmac_f32 v1, v2, v79
	v_dual_fmac_f32 v53, v4, v50 :: v_dual_fmac_f32 v42, v2, v41
	v_dual_fmac_f32 v46, v4, v43 :: v_dual_add_nc_u32 v29, 64, v29
	s_delay_alu instid0(VALU_DEP_3) | instskip(NEXT) | instid1(VALU_DEP_3)
	v_dual_fmac_f32 v1, v3, v10 :: v_dual_add_f32 v20, v20, v71
	v_fmac_f32_e32 v42, v3, v40
	s_delay_alu instid0(VALU_DEP_3) | instskip(NEXT) | instid1(VALU_DEP_3)
	v_dual_add_f32 v24, v24, v53 :: v_dual_add_f32 v25, v25, v46
	v_fmac_f32_e32 v1, v4, v9
	v_fmac_f32_e32 v38, v2, v37
	s_delay_alu instid0(VALU_DEP_4) | instskip(SKIP_1) | instid1(VALU_DEP_3)
	v_fmac_f32_e32 v42, v4, v39
	s_or_b32 s7, vcc_lo, s7
	v_add_f32_e32 v15, v15, v1
	s_delay_alu instid0(VALU_DEP_2) | instskip(SKIP_1) | instid1(VALU_DEP_2)
	v_dual_fmac_f32 v34, v2, v33 :: v_dual_add_f32 v27, v27, v42
	v_fmac_f32_e32 v38, v3, v36
	v_fmac_f32_e32 v34, v3, v32
	s_delay_alu instid0(VALU_DEP_2) | instskip(NEXT) | instid1(VALU_DEP_2)
	v_fmac_f32_e32 v38, v4, v35
	v_fmac_f32_e32 v34, v4, v31
	s_delay_alu instid0(VALU_DEP_2) | instskip(NEXT) | instid1(VALU_DEP_2)
	v_add_f32_e32 v28, v28, v38
	v_add_f32_e32 v26, v26, v34
	s_wait_alu 0xfffe
	s_and_not1_b32 exec_lo, exec_lo, s7
	s_cbranch_execz .LBB220_61
.LBB220_33:                             ; =>This Inner Loop Header: Depth=1
	global_load_b32 v1, v[7:8], off
	s_wait_alu 0xfffe
	v_cmp_eq_u32_e32 vcc_lo, s30, v62
	v_add_nc_u32_e32 v48, -1, v29
	s_wait_loadcnt 0x0
	v_mad_co_i64_i32 v[9:10], null, v1, s2, v[5:6]
	ds_load_b128 v[1:4], v30
	global_load_b32 v31, v[9:10], off
	s_wait_loadcnt 0x0
	v_lshrrev_b32_e32 v33, 16, v31
	s_delay_alu instid0(VALU_DEP_1) | instskip(SKIP_1) | instid1(VALU_DEP_1)
	v_cvt_pk_f32_fp8_e32 v[35:36], v33
	v_and_b32_e32 v32, 0xffff, v31
	v_cvt_pk_f32_fp8_e32 v[31:32], v32
	v_add_nc_u32_e32 v46, -3, v29
	s_delay_alu instid0(VALU_DEP_2) | instskip(NEXT) | instid1(VALU_DEP_3)
	v_dual_mul_f32 v34, s3, v31 :: v_dual_add_nc_u32 v47, -2, v29
	v_dual_mul_f32 v33, s6, v32 :: v_dual_mul_f32 v32, s3, v35
	v_mul_f32_e32 v31, s6, v36
	s_and_saveexec_b32 s8, vcc_lo
	s_cbranch_execz .LBB220_35
; %bb.34:                               ;   in Loop: Header=BB220_33 Depth=1
	v_cmp_gt_i32_e64 s0, s27, v46
	s_wait_alu 0xf1ff
	s_delay_alu instid0(VALU_DEP_1) | instskip(SKIP_2) | instid1(VALU_DEP_1)
	v_cndmask_b32_e64 v34, 0, v34, s0
	v_cmp_gt_i32_e64 s0, s27, v47
	s_wait_alu 0xf1ff
	v_cndmask_b32_e64 v33, 0, v33, s0
	v_cmp_gt_i32_e64 s0, s27, v48
	s_wait_alu 0xf1ff
	s_delay_alu instid0(VALU_DEP_1) | instskip(SKIP_2) | instid1(VALU_DEP_1)
	v_cndmask_b32_e64 v32, 0, v32, s0
	v_cmp_gt_i32_e64 s0, s27, v29
	s_wait_alu 0xf1ff
	v_cndmask_b32_e64 v31, 0, v31, s0
.LBB220_35:                             ;   in Loop: Header=BB220_33 Depth=1
	s_wait_alu 0xfffe
	s_or_b32 exec_lo, exec_lo, s8
	global_load_b32 v35, v[9:10], off offset:128
	s_wait_loadcnt 0x0
	v_lshrrev_b32_e32 v37, 16, v35
	s_delay_alu instid0(VALU_DEP_1) | instskip(SKIP_1) | instid1(VALU_DEP_1)
	v_cvt_pk_f32_fp8_e32 v[39:40], v37
	v_and_b32_e32 v36, 0xffff, v35
	v_cvt_pk_f32_fp8_e32 v[35:36], v36
	s_delay_alu instid0(VALU_DEP_1) | instskip(NEXT) | instid1(VALU_DEP_4)
	v_dual_mul_f32 v38, s3, v35 :: v_dual_mul_f32 v37, s6, v36
	v_dual_mul_f32 v36, s3, v39 :: v_dual_mul_f32 v35, s6, v40
	s_and_saveexec_b32 s8, vcc_lo
	s_cbranch_execz .LBB220_37
; %bb.36:                               ;   in Loop: Header=BB220_33 Depth=1
	v_cmp_gt_i32_e64 s0, s27, v46
	s_wait_alu 0xf1ff
	s_delay_alu instid0(VALU_DEP_1) | instskip(SKIP_2) | instid1(VALU_DEP_1)
	v_cndmask_b32_e64 v38, 0, v38, s0
	v_cmp_gt_i32_e64 s0, s27, v47
	s_wait_alu 0xf1ff
	v_cndmask_b32_e64 v37, 0, v37, s0
	v_cmp_gt_i32_e64 s0, s27, v48
	s_wait_alu 0xf1ff
	s_delay_alu instid0(VALU_DEP_1) | instskip(SKIP_2) | instid1(VALU_DEP_1)
	v_cndmask_b32_e64 v36, 0, v36, s0
	v_cmp_gt_i32_e64 s0, s27, v29
	s_wait_alu 0xf1ff
	v_cndmask_b32_e64 v35, 0, v35, s0
.LBB220_37:                             ;   in Loop: Header=BB220_33 Depth=1
	s_wait_alu 0xfffe
	s_or_b32 exec_lo, exec_lo, s8
	global_load_b32 v39, v[9:10], off offset:256
	s_wait_loadcnt 0x0
	v_lshrrev_b32_e32 v41, 16, v39
	s_delay_alu instid0(VALU_DEP_1) | instskip(SKIP_1) | instid1(VALU_DEP_1)
	v_cvt_pk_f32_fp8_e32 v[43:44], v41
	v_and_b32_e32 v40, 0xffff, v39
	v_cvt_pk_f32_fp8_e32 v[39:40], v40
	s_delay_alu instid0(VALU_DEP_1) | instskip(NEXT) | instid1(VALU_DEP_4)
	v_dual_mul_f32 v42, s3, v39 :: v_dual_mul_f32 v41, s6, v40
	v_dual_mul_f32 v40, s3, v43 :: v_dual_mul_f32 v39, s6, v44
	s_and_saveexec_b32 s8, vcc_lo
	s_cbranch_execz .LBB220_39
; %bb.38:                               ;   in Loop: Header=BB220_33 Depth=1
	v_cmp_gt_i32_e64 s0, s27, v46
	s_wait_alu 0xf1ff
	s_delay_alu instid0(VALU_DEP_1) | instskip(SKIP_2) | instid1(VALU_DEP_1)
	v_cndmask_b32_e64 v42, 0, v42, s0
	v_cmp_gt_i32_e64 s0, s27, v47
	s_wait_alu 0xf1ff
	v_cndmask_b32_e64 v41, 0, v41, s0
	v_cmp_gt_i32_e64 s0, s27, v48
	s_wait_alu 0xf1ff
	s_delay_alu instid0(VALU_DEP_1) | instskip(SKIP_2) | instid1(VALU_DEP_1)
	v_cndmask_b32_e64 v40, 0, v40, s0
	v_cmp_gt_i32_e64 s0, s27, v29
	s_wait_alu 0xf1ff
	v_cndmask_b32_e64 v39, 0, v39, s0
.LBB220_39:                             ;   in Loop: Header=BB220_33 Depth=1
	s_wait_alu 0xfffe
	s_or_b32 exec_lo, exec_lo, s8
	global_load_b32 v43, v[9:10], off offset:384
	s_wait_loadcnt 0x0
	v_and_b32_e32 v44, 0xffff, v43
	v_lshrrev_b32_e32 v45, 16, v43
	s_delay_alu instid0(VALU_DEP_2) | instskip(NEXT) | instid1(VALU_DEP_2)
	v_cvt_pk_f32_fp8_e32 v[43:44], v44
	v_cvt_pk_f32_fp8_e32 v[50:51], v45
	s_delay_alu instid0(VALU_DEP_2) | instskip(NEXT) | instid1(VALU_DEP_2)
	v_mul_f32_e32 v49, s3, v43
	v_dual_mul_f32 v45, s6, v44 :: v_dual_mul_f32 v44, s3, v50
	s_delay_alu instid0(VALU_DEP_3)
	v_mul_f32_e32 v43, s6, v51
	s_and_saveexec_b32 s8, vcc_lo
	s_cbranch_execz .LBB220_41
; %bb.40:                               ;   in Loop: Header=BB220_33 Depth=1
	v_cmp_gt_i32_e64 s0, s27, v46
	s_wait_alu 0xf1ff
	s_delay_alu instid0(VALU_DEP_1) | instskip(SKIP_2) | instid1(VALU_DEP_1)
	v_cndmask_b32_e64 v49, 0, v49, s0
	v_cmp_gt_i32_e64 s0, s27, v47
	s_wait_alu 0xf1ff
	v_cndmask_b32_e64 v45, 0, v45, s0
	v_cmp_gt_i32_e64 s0, s27, v48
	s_wait_alu 0xf1ff
	s_delay_alu instid0(VALU_DEP_1) | instskip(SKIP_2) | instid1(VALU_DEP_1)
	v_cndmask_b32_e64 v44, 0, v44, s0
	v_cmp_gt_i32_e64 s0, s27, v29
	s_wait_alu 0xf1ff
	v_cndmask_b32_e64 v43, 0, v43, s0
.LBB220_41:                             ;   in Loop: Header=BB220_33 Depth=1
	s_wait_alu 0xfffe
	s_or_b32 exec_lo, exec_lo, s8
	global_load_b32 v50, v[9:10], off offset:512
	s_wait_loadcnt 0x0
	v_lshrrev_b32_e32 v52, 16, v50
	s_delay_alu instid0(VALU_DEP_1) | instskip(SKIP_1) | instid1(VALU_DEP_1)
	v_cvt_pk_f32_fp8_e32 v[54:55], v52
	v_and_b32_e32 v51, 0xffff, v50
	v_cvt_pk_f32_fp8_e32 v[50:51], v51
	s_delay_alu instid0(VALU_DEP_1) | instskip(NEXT) | instid1(VALU_DEP_4)
	v_dual_mul_f32 v53, s3, v50 :: v_dual_mul_f32 v52, s6, v51
	v_dual_mul_f32 v51, s3, v54 :: v_dual_mul_f32 v50, s6, v55
	s_and_saveexec_b32 s8, vcc_lo
	s_cbranch_execz .LBB220_43
; %bb.42:                               ;   in Loop: Header=BB220_33 Depth=1
	v_cmp_gt_i32_e64 s0, s27, v46
	s_wait_alu 0xf1ff
	s_delay_alu instid0(VALU_DEP_1) | instskip(SKIP_2) | instid1(VALU_DEP_1)
	v_cndmask_b32_e64 v53, 0, v53, s0
	v_cmp_gt_i32_e64 s0, s27, v47
	s_wait_alu 0xf1ff
	v_cndmask_b32_e64 v52, 0, v52, s0
	v_cmp_gt_i32_e64 s0, s27, v48
	s_wait_alu 0xf1ff
	s_delay_alu instid0(VALU_DEP_1) | instskip(SKIP_2) | instid1(VALU_DEP_1)
	v_cndmask_b32_e64 v51, 0, v51, s0
	v_cmp_gt_i32_e64 s0, s27, v29
	s_wait_alu 0xf1ff
	v_cndmask_b32_e64 v50, 0, v50, s0
.LBB220_43:                             ;   in Loop: Header=BB220_33 Depth=1
	s_wait_alu 0xfffe
	s_or_b32 exec_lo, exec_lo, s8
	global_load_b32 v54, v[9:10], off offset:640
	s_wait_loadcnt 0x0
	v_lshrrev_b32_e32 v56, 16, v54
	s_delay_alu instid0(VALU_DEP_1) | instskip(SKIP_1) | instid1(VALU_DEP_1)
	v_cvt_pk_f32_fp8_e32 v[58:59], v56
	v_and_b32_e32 v55, 0xffff, v54
	v_cvt_pk_f32_fp8_e32 v[54:55], v55
	s_delay_alu instid0(VALU_DEP_1) | instskip(NEXT) | instid1(VALU_DEP_4)
	v_dual_mul_f32 v57, s3, v54 :: v_dual_mul_f32 v56, s6, v55
	v_dual_mul_f32 v55, s3, v58 :: v_dual_mul_f32 v54, s6, v59
	;; [unrolled: 30-line block ×6, first 2 shown]
	s_and_saveexec_b32 s8, vcc_lo
	s_cbranch_execz .LBB220_53
; %bb.52:                               ;   in Loop: Header=BB220_33 Depth=1
	v_cmp_gt_i32_e64 s0, s27, v46
	s_wait_alu 0xf1ff
	s_delay_alu instid0(VALU_DEP_1) | instskip(SKIP_2) | instid1(VALU_DEP_1)
	v_cndmask_b32_e64 v75, 0, v75, s0
	v_cmp_gt_i32_e64 s0, s27, v47
	s_wait_alu 0xf1ff
	v_cndmask_b32_e64 v74, 0, v74, s0
	v_cmp_gt_i32_e64 s0, s27, v48
	s_wait_alu 0xf1ff
	s_delay_alu instid0(VALU_DEP_1) | instskip(SKIP_2) | instid1(VALU_DEP_1)
	v_cndmask_b32_e64 v73, 0, v73, s0
	v_cmp_gt_i32_e64 s0, s27, v29
	s_wait_alu 0xf1ff
	v_cndmask_b32_e64 v72, 0, v72, s0
.LBB220_53:                             ;   in Loop: Header=BB220_33 Depth=1
	s_wait_alu 0xfffe
	s_or_b32 exec_lo, exec_lo, s8
	global_load_b32 v76, v[9:10], off offset:1280
	s_wait_loadcnt 0x0
	v_lshrrev_b32_e32 v78, 16, v76
	s_delay_alu instid0(VALU_DEP_1) | instskip(SKIP_1) | instid1(VALU_DEP_1)
	v_cvt_pk_f32_fp8_e32 v[81:82], v78
	v_and_b32_e32 v77, 0xffff, v76
	v_cvt_pk_f32_fp8_e32 v[76:77], v77
	s_delay_alu instid0(VALU_DEP_1) | instskip(NEXT) | instid1(VALU_DEP_2)
	v_mul_f32_e32 v80, s3, v76
	v_mul_f32_e32 v78, s6, v77
	v_dual_mul_f32 v77, s3, v81 :: v_dual_mul_f32 v76, s6, v82
	s_and_saveexec_b32 s8, vcc_lo
	s_cbranch_execz .LBB220_55
; %bb.54:                               ;   in Loop: Header=BB220_33 Depth=1
	v_cmp_gt_i32_e64 s0, s27, v46
	s_wait_alu 0xf1ff
	s_delay_alu instid0(VALU_DEP_1) | instskip(SKIP_2) | instid1(VALU_DEP_1)
	v_cndmask_b32_e64 v80, 0, v80, s0
	v_cmp_gt_i32_e64 s0, s27, v47
	s_wait_alu 0xf1ff
	v_cndmask_b32_e64 v78, 0, v78, s0
	v_cmp_gt_i32_e64 s0, s27, v48
	s_wait_alu 0xf1ff
	s_delay_alu instid0(VALU_DEP_1) | instskip(SKIP_2) | instid1(VALU_DEP_1)
	v_cndmask_b32_e64 v77, 0, v77, s0
	v_cmp_gt_i32_e64 s0, s27, v29
	s_wait_alu 0xf1ff
	v_cndmask_b32_e64 v76, 0, v76, s0
.LBB220_55:                             ;   in Loop: Header=BB220_33 Depth=1
	s_wait_alu 0xfffe
	s_or_b32 exec_lo, exec_lo, s8
	global_load_b32 v79, v[9:10], off offset:1408
	s_wait_loadcnt 0x0
	v_and_b32_e32 v81, 0xffff, v79
	v_lshrrev_b32_e32 v79, 16, v79
	s_delay_alu instid0(VALU_DEP_2) | instskip(NEXT) | instid1(VALU_DEP_2)
	v_cvt_pk_f32_fp8_e32 v[81:82], v81
	v_cvt_pk_f32_fp8_e32 v[86:87], v79
	s_delay_alu instid0(VALU_DEP_2) | instskip(NEXT) | instid1(VALU_DEP_2)
	v_dual_mul_f32 v85, s3, v81 :: v_dual_mul_f32 v84, s6, v82
	v_dual_mul_f32 v83, s3, v86 :: v_dual_mul_f32 v82, s6, v87
	s_and_saveexec_b32 s8, vcc_lo
	s_cbranch_execz .LBB220_57
; %bb.56:                               ;   in Loop: Header=BB220_33 Depth=1
	v_cmp_gt_i32_e64 s0, s27, v46
	s_wait_alu 0xf1ff
	s_delay_alu instid0(VALU_DEP_1) | instskip(SKIP_2) | instid1(VALU_DEP_1)
	v_cndmask_b32_e64 v85, 0, v85, s0
	v_cmp_gt_i32_e64 s0, s27, v47
	s_wait_alu 0xf1ff
	v_cndmask_b32_e64 v84, 0, v84, s0
	v_cmp_gt_i32_e64 s0, s27, v48
	s_wait_alu 0xf1ff
	s_delay_alu instid0(VALU_DEP_1) | instskip(SKIP_2) | instid1(VALU_DEP_1)
	v_cndmask_b32_e64 v83, 0, v83, s0
	v_cmp_gt_i32_e64 s0, s27, v29
	s_wait_alu 0xf1ff
	v_cndmask_b32_e64 v82, 0, v82, s0
.LBB220_57:                             ;   in Loop: Header=BB220_33 Depth=1
	s_wait_alu 0xfffe
	s_or_b32 exec_lo, exec_lo, s8
	global_load_b32 v79, v[9:10], off offset:1536
	s_wait_loadcnt 0x0
	v_and_b32_e32 v81, 0xffff, v79
	v_lshrrev_b32_e32 v79, 16, v79
	s_delay_alu instid0(VALU_DEP_2) | instskip(NEXT) | instid1(VALU_DEP_2)
	v_cvt_pk_f32_fp8_e32 v[86:87], v81
	v_cvt_pk_f32_fp8_e32 v[90:91], v79
	s_delay_alu instid0(VALU_DEP_2) | instskip(NEXT) | instid1(VALU_DEP_2)
	v_dual_mul_f32 v89, s3, v86 :: v_dual_mul_f32 v88, s6, v87
	v_dual_mul_f32 v87, s3, v90 :: v_dual_mul_f32 v86, s6, v91
	s_and_saveexec_b32 s8, vcc_lo
	s_cbranch_execz .LBB220_59
; %bb.58:                               ;   in Loop: Header=BB220_33 Depth=1
	v_cmp_gt_i32_e64 s0, s27, v46
	s_wait_alu 0xf1ff
	s_delay_alu instid0(VALU_DEP_1) | instskip(SKIP_2) | instid1(VALU_DEP_1)
	v_cndmask_b32_e64 v89, 0, v89, s0
	v_cmp_gt_i32_e64 s0, s27, v47
	s_wait_alu 0xf1ff
	v_cndmask_b32_e64 v88, 0, v88, s0
	v_cmp_gt_i32_e64 s0, s27, v48
	s_wait_alu 0xf1ff
	s_delay_alu instid0(VALU_DEP_1) | instskip(SKIP_2) | instid1(VALU_DEP_1)
	v_cndmask_b32_e64 v87, 0, v87, s0
	v_cmp_gt_i32_e64 s0, s27, v29
	s_wait_alu 0xf1ff
	v_cndmask_b32_e64 v86, 0, v86, s0
.LBB220_59:                             ;   in Loop: Header=BB220_33 Depth=1
	s_wait_alu 0xfffe
	s_or_b32 exec_lo, exec_lo, s8
	global_load_b32 v9, v[9:10], off offset:1664
	s_wait_loadcnt 0x0
	v_lshrrev_b32_e32 v79, 16, v9
	s_delay_alu instid0(VALU_DEP_1) | instskip(SKIP_1) | instid1(VALU_DEP_1)
	v_cvt_pk_f32_fp8_e32 v[90:91], v79
	v_and_b32_e32 v10, 0xffff, v9
	v_cvt_pk_f32_fp8_e32 v[9:10], v10
	s_delay_alu instid0(VALU_DEP_1) | instskip(NEXT) | instid1(VALU_DEP_2)
	v_mul_f32_e32 v81, s3, v9
	v_mul_f32_e32 v79, s6, v10
	v_dual_mul_f32 v10, s3, v90 :: v_dual_mul_f32 v9, s6, v91
	s_and_saveexec_b32 s0, vcc_lo
	s_cbranch_execz .LBB220_32
; %bb.60:                               ;   in Loop: Header=BB220_33 Depth=1
	v_cmp_gt_i32_e32 vcc_lo, s27, v46
	s_wait_alu 0xfffd
	v_cndmask_b32_e32 v81, 0, v81, vcc_lo
	v_cmp_gt_i32_e32 vcc_lo, s27, v47
	s_wait_alu 0xfffd
	v_cndmask_b32_e32 v79, 0, v79, vcc_lo
	;; [unrolled: 3-line block ×4, first 2 shown]
	s_branch .LBB220_32
.LBB220_61:
	s_or_b32 exec_lo, exec_lo, s7
.LBB220_62:
	s_wait_alu 0xfffe
	s_or_b32 exec_lo, exec_lo, s1
	ds_bpermute_b32 v1, v12, v26
	ds_bpermute_b32 v5, v12, v24
	;; [unrolled: 1-line block ×14, first 2 shown]
	s_mov_b32 s0, exec_lo
	s_wait_storecnt 0x0
	s_wait_loadcnt_dscnt 0x0
	s_barrier_signal -1
	s_barrier_wait -1
	global_inv scope:SCOPE_SE
	v_add_f32_e32 v1, v26, v1
	v_add_f32_e32 v5, v24, v5
	;; [unrolled: 1-line block ×3, first 2 shown]
	v_dual_add_f32 v6, v23, v6 :: v_dual_add_f32 v7, v22, v7
	ds_bpermute_b32 v22, v13, v1
	ds_bpermute_b32 v26, v13, v5
	v_dual_add_f32 v9, v20, v9 :: v_dual_add_f32 v10, v19, v10
	v_dual_add_f32 v18, v18, v29 :: v_dual_add_f32 v17, v17, v30
	;; [unrolled: 1-line block ×3, first 2 shown]
	v_add_f32_e32 v8, v21, v8
	ds_bpermute_b32 v28, v13, v10
	v_add_f32_e32 v16, v16, v31
	ds_bpermute_b32 v29, v13, v18
	;; [unrolled: 2-line block ×3, first 2 shown]
	ds_bpermute_b32 v23, v13, v2
	ds_bpermute_b32 v24, v13, v3
	;; [unrolled: 1-line block ×7, first 2 shown]
	s_wait_dscnt 0xb
	v_add_f32_e32 v1, v1, v22
	ds_bpermute_b32 v31, v13, v16
	s_wait_dscnt 0xb
	v_add_f32_e32 v5, v5, v26
	ds_bpermute_b32 v32, v13, v30
	s_wait_dscnt 0xb
	v_add_f32_e32 v10, v10, v28
	s_wait_dscnt 0xa
	v_add_f32_e32 v12, v18, v29
	v_mul_u32_u24_e32 v18, 0x1c0, v61
	s_wait_dscnt 0x9
	v_add_f32_e32 v13, v17, v15
	v_and_b32_e32 v17, 28, v11
	s_wait_dscnt 0x7
	v_dual_add_f32 v2, v2, v23 :: v_dual_add_f32 v3, v3, v24
	s_wait_dscnt 0x4
	v_dual_add_f32 v4, v4, v25 :: v_dual_add_f32 v7, v7, v20
	;; [unrolled: 2-line block ×3, first 2 shown]
	v_dual_add_f32 v8, v8, v19 :: v_dual_and_b32 v19, 0x3c3, v0
	s_wait_dscnt 0x0
	v_dual_add_f32 v15, v16, v31 :: v_dual_add_f32 v16, v30, v32
	v_lshrrev_b32_e32 v11, 2, v11
	v_add_nc_u32_e32 v17, 0x1e0, v17
	v_cmpx_eq_u32_e32 64, v19
	s_cbranch_execz .LBB220_64
; %bb.63:
	s_delay_alu instid0(VALU_DEP_2) | instskip(NEXT) | instid1(VALU_DEP_1)
	v_add_nc_u32_e32 v19, v17, v18
	v_add_nc_u32_e32 v20, 0xfffffc80, v19
	;; [unrolled: 1-line block ×9, first 2 shown]
	ds_store_b32 v20, v1
	ds_store_b32 v21, v2
	;; [unrolled: 1-line block ×8, first 2 shown]
	v_add_nc_u32_e32 v20, 0xfffffd80, v19
	v_add_nc_u32_e32 v21, 0xfffffda0, v19
	;; [unrolled: 1-line block ×6, first 2 shown]
	ds_store_b32 v20, v9
	ds_store_b32 v21, v10
	;; [unrolled: 1-line block ×6, first 2 shown]
.LBB220_64:
	s_wait_alu 0xfffe
	s_or_b32 exec_lo, exec_lo, s0
	v_lshlrev_b32_e32 v11, 2, v11
	s_mov_b32 s1, exec_lo
	v_cmp_eq_u32_e32 vcc_lo, 0, v14
	s_wait_loadcnt_dscnt 0x0
	s_barrier_signal -1
	v_add3_u32 v11, 0x1e0, v18, v11
	s_barrier_wait -1
	global_inv scope:SCOPE_SE
	v_cmpx_gt_u32_e32 64, v0
	s_cbranch_execz .LBB220_81
; %bb.65:
	s_and_saveexec_b32 s0, vcc_lo
	s_cbranch_execnz .LBB220_103
; %bb.66:
	s_wait_alu 0xfffe
	s_or_b32 exec_lo, exec_lo, s0
	s_and_saveexec_b32 s0, vcc_lo
	s_cbranch_execnz .LBB220_104
.LBB220_67:
	s_wait_alu 0xfffe
	s_or_b32 exec_lo, exec_lo, s0
	s_and_saveexec_b32 s0, vcc_lo
	s_cbranch_execnz .LBB220_105
.LBB220_68:
	s_wait_alu 0xfffe
	s_or_b32 exec_lo, exec_lo, s0
	s_and_saveexec_b32 s0, vcc_lo
	s_cbranch_execnz .LBB220_106
.LBB220_69:
	s_wait_alu 0xfffe
	s_or_b32 exec_lo, exec_lo, s0
	s_and_saveexec_b32 s0, vcc_lo
	s_cbranch_execnz .LBB220_107
.LBB220_70:
	s_wait_alu 0xfffe
	s_or_b32 exec_lo, exec_lo, s0
	s_and_saveexec_b32 s0, vcc_lo
	s_cbranch_execnz .LBB220_108
.LBB220_71:
	s_wait_alu 0xfffe
	s_or_b32 exec_lo, exec_lo, s0
	s_and_saveexec_b32 s0, vcc_lo
	s_cbranch_execnz .LBB220_109
.LBB220_72:
	s_wait_alu 0xfffe
	s_or_b32 exec_lo, exec_lo, s0
	s_and_saveexec_b32 s0, vcc_lo
	s_cbranch_execnz .LBB220_110
.LBB220_73:
	s_wait_alu 0xfffe
	s_or_b32 exec_lo, exec_lo, s0
	s_and_saveexec_b32 s0, vcc_lo
	s_cbranch_execnz .LBB220_111
.LBB220_74:
	s_wait_alu 0xfffe
	s_or_b32 exec_lo, exec_lo, s0
	s_and_saveexec_b32 s0, vcc_lo
	s_cbranch_execnz .LBB220_112
.LBB220_75:
	s_wait_alu 0xfffe
	s_or_b32 exec_lo, exec_lo, s0
	s_and_saveexec_b32 s0, vcc_lo
	s_cbranch_execnz .LBB220_113
.LBB220_76:
	s_wait_alu 0xfffe
	s_or_b32 exec_lo, exec_lo, s0
	s_and_saveexec_b32 s0, vcc_lo
	s_cbranch_execnz .LBB220_114
.LBB220_77:
	s_wait_alu 0xfffe
	s_or_b32 exec_lo, exec_lo, s0
	s_and_saveexec_b32 s0, vcc_lo
	s_cbranch_execnz .LBB220_115
.LBB220_78:
	s_wait_alu 0xfffe
	s_or_b32 exec_lo, exec_lo, s0
	s_and_saveexec_b32 s0, vcc_lo
	s_cbranch_execz .LBB220_80
.LBB220_79:
	ds_load_b32 v14, v11 offset:416
	s_wait_dscnt 0x0
	v_add_f32_e32 v16, v16, v14
.LBB220_80:
	s_wait_alu 0xfffe
	s_or_b32 exec_lo, exec_lo, s0
.LBB220_81:
	s_wait_alu 0xfffe
	s_or_b32 exec_lo, exec_lo, s1
	v_and_b32_e32 v14, 0x3e3, v0
	s_mov_b32 s1, exec_lo
	s_wait_loadcnt 0x0
	s_barrier_signal -1
	s_barrier_wait -1
	global_inv scope:SCOPE_SE
	v_cmpx_eq_u32_e32 32, v14
	s_cbranch_execz .LBB220_83
; %bb.82:
	ds_store_2addr_b32 v17, v1, v2 offset1:8
	ds_store_2addr_b32 v17, v3, v4 offset0:16 offset1:24
	ds_store_2addr_b32 v17, v5, v6 offset0:32 offset1:40
	;; [unrolled: 1-line block ×6, first 2 shown]
.LBB220_83:
	s_wait_alu 0xfffe
	s_or_b32 exec_lo, exec_lo, s1
	s_delay_alu instid0(SALU_CYCLE_1)
	s_mov_b32 s1, exec_lo
	s_wait_loadcnt_dscnt 0x0
	s_barrier_signal -1
	s_barrier_wait -1
	global_inv scope:SCOPE_SE
	v_cmpx_gt_u32_e32 32, v0
	s_cbranch_execz .LBB220_100
; %bb.84:
	s_and_saveexec_b32 s0, vcc_lo
	s_cbranch_execnz .LBB220_116
; %bb.85:
	s_wait_alu 0xfffe
	s_or_b32 exec_lo, exec_lo, s0
	s_and_saveexec_b32 s0, vcc_lo
	s_cbranch_execnz .LBB220_117
.LBB220_86:
	s_wait_alu 0xfffe
	s_or_b32 exec_lo, exec_lo, s0
	s_and_saveexec_b32 s0, vcc_lo
	s_cbranch_execnz .LBB220_118
.LBB220_87:
	s_wait_alu 0xfffe
	s_or_b32 exec_lo, exec_lo, s0
	s_and_saveexec_b32 s0, vcc_lo
	s_cbranch_execnz .LBB220_119
.LBB220_88:
	s_wait_alu 0xfffe
	s_or_b32 exec_lo, exec_lo, s0
	s_and_saveexec_b32 s0, vcc_lo
	s_cbranch_execnz .LBB220_120
.LBB220_89:
	s_wait_alu 0xfffe
	s_or_b32 exec_lo, exec_lo, s0
	s_and_saveexec_b32 s0, vcc_lo
	s_cbranch_execnz .LBB220_121
.LBB220_90:
	s_wait_alu 0xfffe
	s_or_b32 exec_lo, exec_lo, s0
	s_and_saveexec_b32 s0, vcc_lo
	s_cbranch_execnz .LBB220_122
.LBB220_91:
	s_wait_alu 0xfffe
	s_or_b32 exec_lo, exec_lo, s0
	s_and_saveexec_b32 s0, vcc_lo
	s_cbranch_execnz .LBB220_123
.LBB220_92:
	s_wait_alu 0xfffe
	s_or_b32 exec_lo, exec_lo, s0
	s_and_saveexec_b32 s0, vcc_lo
	s_cbranch_execnz .LBB220_124
.LBB220_93:
	s_wait_alu 0xfffe
	s_or_b32 exec_lo, exec_lo, s0
	s_and_saveexec_b32 s0, vcc_lo
	s_cbranch_execnz .LBB220_125
.LBB220_94:
	s_wait_alu 0xfffe
	s_or_b32 exec_lo, exec_lo, s0
	s_and_saveexec_b32 s0, vcc_lo
	s_cbranch_execnz .LBB220_126
.LBB220_95:
	s_wait_alu 0xfffe
	s_or_b32 exec_lo, exec_lo, s0
	s_and_saveexec_b32 s0, vcc_lo
	s_cbranch_execnz .LBB220_127
.LBB220_96:
	s_wait_alu 0xfffe
	s_or_b32 exec_lo, exec_lo, s0
	s_and_saveexec_b32 s0, vcc_lo
	s_cbranch_execnz .LBB220_128
.LBB220_97:
	s_wait_alu 0xfffe
	s_or_b32 exec_lo, exec_lo, s0
	s_and_saveexec_b32 s0, vcc_lo
	s_cbranch_execz .LBB220_99
.LBB220_98:
	ds_load_b32 v11, v11 offset:416
	s_wait_dscnt 0x0
	v_add_f32_e32 v16, v16, v11
.LBB220_99:
	s_wait_alu 0xfffe
	s_or_b32 exec_lo, exec_lo, s0
.LBB220_100:
	s_wait_alu 0xfffe
	s_or_b32 exec_lo, exec_lo, s1
	s_mov_b32 s1, 0
	s_wait_loadcnt 0x0
	s_barrier_signal -1
	s_barrier_wait -1
	global_inv scope:SCOPE_SE
	s_mov_b32 s0, exec_lo
	v_cmpx_eq_u32_e32 0, v14
	s_cbranch_execz .LBB220_102
; %bb.101:
	s_mul_i32 s2, s14, 0x70
	s_mul_i32 s6, s12, s16
	s_wait_alu 0xfffe
	s_ashr_i32 s3, s2, 31
	s_ashr_i32 s7, s6, 31
	s_wait_alu 0xfffe
	s_lshl_b64 s[2:3], s[2:3], 2
	s_lshl_b64 s[6:7], s[6:7], 2
	s_wait_kmcnt 0x0
	s_wait_alu 0xfffe
	s_add_nc_u64 s[2:3], s[4:5], s[2:3]
	s_mul_i32 s0, s26, 0x1c0
	s_wait_alu 0xfffe
	s_add_nc_u64 s[2:3], s[2:3], s[6:7]
	s_wait_alu 0xfffe
	s_add_nc_u64 s[0:1], s[2:3], s[0:1]
	s_clause 0xd
	global_store_b32 v0, v1, s[0:1]
	global_store_b32 v0, v2, s[0:1] offset:32
	global_store_b32 v0, v3, s[0:1] offset:64
	;; [unrolled: 1-line block ×13, first 2 shown]
.LBB220_102:
	s_nop 0
	s_sendmsg sendmsg(MSG_DEALLOC_VGPRS)
	s_endpgm
.LBB220_103:
	ds_load_b32 v14, v11
	s_wait_dscnt 0x0
	v_add_f32_e32 v1, v1, v14
	s_wait_alu 0xfffe
	s_or_b32 exec_lo, exec_lo, s0
	s_and_saveexec_b32 s0, vcc_lo
	s_cbranch_execz .LBB220_67
.LBB220_104:
	ds_load_b32 v14, v11 offset:32
	s_wait_dscnt 0x0
	v_add_f32_e32 v2, v2, v14
	s_wait_alu 0xfffe
	s_or_b32 exec_lo, exec_lo, s0
	s_and_saveexec_b32 s0, vcc_lo
	s_cbranch_execz .LBB220_68
.LBB220_105:
	ds_load_b32 v14, v11 offset:64
	s_wait_dscnt 0x0
	v_add_f32_e32 v3, v3, v14
	s_wait_alu 0xfffe
	s_or_b32 exec_lo, exec_lo, s0
	s_and_saveexec_b32 s0, vcc_lo
	s_cbranch_execz .LBB220_69
.LBB220_106:
	ds_load_b32 v14, v11 offset:96
	s_wait_dscnt 0x0
	v_add_f32_e32 v4, v4, v14
	s_wait_alu 0xfffe
	s_or_b32 exec_lo, exec_lo, s0
	s_and_saveexec_b32 s0, vcc_lo
	s_cbranch_execz .LBB220_70
.LBB220_107:
	ds_load_b32 v14, v11 offset:128
	s_wait_dscnt 0x0
	v_add_f32_e32 v5, v5, v14
	s_wait_alu 0xfffe
	s_or_b32 exec_lo, exec_lo, s0
	s_and_saveexec_b32 s0, vcc_lo
	s_cbranch_execz .LBB220_71
.LBB220_108:
	ds_load_b32 v14, v11 offset:160
	s_wait_dscnt 0x0
	v_add_f32_e32 v6, v6, v14
	s_wait_alu 0xfffe
	s_or_b32 exec_lo, exec_lo, s0
	s_and_saveexec_b32 s0, vcc_lo
	s_cbranch_execz .LBB220_72
.LBB220_109:
	ds_load_b32 v14, v11 offset:192
	s_wait_dscnt 0x0
	v_add_f32_e32 v7, v7, v14
	s_wait_alu 0xfffe
	s_or_b32 exec_lo, exec_lo, s0
	s_and_saveexec_b32 s0, vcc_lo
	s_cbranch_execz .LBB220_73
.LBB220_110:
	ds_load_b32 v14, v11 offset:224
	s_wait_dscnt 0x0
	v_add_f32_e32 v8, v8, v14
	s_wait_alu 0xfffe
	s_or_b32 exec_lo, exec_lo, s0
	s_and_saveexec_b32 s0, vcc_lo
	s_cbranch_execz .LBB220_74
.LBB220_111:
	ds_load_b32 v14, v11 offset:256
	s_wait_dscnt 0x0
	v_add_f32_e32 v9, v9, v14
	s_wait_alu 0xfffe
	s_or_b32 exec_lo, exec_lo, s0
	s_and_saveexec_b32 s0, vcc_lo
	s_cbranch_execz .LBB220_75
.LBB220_112:
	ds_load_b32 v14, v11 offset:288
	s_wait_dscnt 0x0
	v_add_f32_e32 v10, v10, v14
	s_wait_alu 0xfffe
	s_or_b32 exec_lo, exec_lo, s0
	s_and_saveexec_b32 s0, vcc_lo
	s_cbranch_execz .LBB220_76
.LBB220_113:
	ds_load_b32 v14, v11 offset:320
	s_wait_dscnt 0x0
	v_add_f32_e32 v12, v12, v14
	s_wait_alu 0xfffe
	s_or_b32 exec_lo, exec_lo, s0
	s_and_saveexec_b32 s0, vcc_lo
	s_cbranch_execz .LBB220_77
.LBB220_114:
	ds_load_b32 v14, v11 offset:352
	s_wait_dscnt 0x0
	v_add_f32_e32 v13, v13, v14
	s_wait_alu 0xfffe
	s_or_b32 exec_lo, exec_lo, s0
	s_and_saveexec_b32 s0, vcc_lo
	s_cbranch_execz .LBB220_78
.LBB220_115:
	ds_load_b32 v14, v11 offset:384
	s_wait_dscnt 0x0
	v_add_f32_e32 v15, v15, v14
	s_wait_alu 0xfffe
	s_or_b32 exec_lo, exec_lo, s0
	s_and_saveexec_b32 s0, vcc_lo
	s_cbranch_execnz .LBB220_79
	s_branch .LBB220_80
.LBB220_116:
	ds_load_b32 v17, v11
	s_wait_dscnt 0x0
	v_add_f32_e32 v1, v1, v17
	s_wait_alu 0xfffe
	s_or_b32 exec_lo, exec_lo, s0
	s_and_saveexec_b32 s0, vcc_lo
	s_cbranch_execz .LBB220_86
.LBB220_117:
	ds_load_b32 v17, v11 offset:32
	s_wait_dscnt 0x0
	v_add_f32_e32 v2, v2, v17
	s_wait_alu 0xfffe
	s_or_b32 exec_lo, exec_lo, s0
	s_and_saveexec_b32 s0, vcc_lo
	s_cbranch_execz .LBB220_87
.LBB220_118:
	ds_load_b32 v17, v11 offset:64
	s_wait_dscnt 0x0
	v_add_f32_e32 v3, v3, v17
	s_wait_alu 0xfffe
	s_or_b32 exec_lo, exec_lo, s0
	s_and_saveexec_b32 s0, vcc_lo
	s_cbranch_execz .LBB220_88
.LBB220_119:
	ds_load_b32 v17, v11 offset:96
	s_wait_dscnt 0x0
	v_add_f32_e32 v4, v4, v17
	s_wait_alu 0xfffe
	s_or_b32 exec_lo, exec_lo, s0
	s_and_saveexec_b32 s0, vcc_lo
	s_cbranch_execz .LBB220_89
.LBB220_120:
	ds_load_b32 v17, v11 offset:128
	s_wait_dscnt 0x0
	v_add_f32_e32 v5, v5, v17
	s_wait_alu 0xfffe
	s_or_b32 exec_lo, exec_lo, s0
	s_and_saveexec_b32 s0, vcc_lo
	s_cbranch_execz .LBB220_90
.LBB220_121:
	ds_load_b32 v17, v11 offset:160
	s_wait_dscnt 0x0
	v_add_f32_e32 v6, v6, v17
	s_wait_alu 0xfffe
	s_or_b32 exec_lo, exec_lo, s0
	s_and_saveexec_b32 s0, vcc_lo
	s_cbranch_execz .LBB220_91
.LBB220_122:
	ds_load_b32 v17, v11 offset:192
	s_wait_dscnt 0x0
	v_add_f32_e32 v7, v7, v17
	s_wait_alu 0xfffe
	s_or_b32 exec_lo, exec_lo, s0
	s_and_saveexec_b32 s0, vcc_lo
	s_cbranch_execz .LBB220_92
.LBB220_123:
	ds_load_b32 v17, v11 offset:224
	s_wait_dscnt 0x0
	v_add_f32_e32 v8, v8, v17
	s_wait_alu 0xfffe
	s_or_b32 exec_lo, exec_lo, s0
	s_and_saveexec_b32 s0, vcc_lo
	s_cbranch_execz .LBB220_93
.LBB220_124:
	ds_load_b32 v17, v11 offset:256
	s_wait_dscnt 0x0
	v_add_f32_e32 v9, v9, v17
	s_wait_alu 0xfffe
	s_or_b32 exec_lo, exec_lo, s0
	s_and_saveexec_b32 s0, vcc_lo
	s_cbranch_execz .LBB220_94
.LBB220_125:
	ds_load_b32 v17, v11 offset:288
	s_wait_dscnt 0x0
	v_add_f32_e32 v10, v10, v17
	s_wait_alu 0xfffe
	s_or_b32 exec_lo, exec_lo, s0
	s_and_saveexec_b32 s0, vcc_lo
	s_cbranch_execz .LBB220_95
.LBB220_126:
	ds_load_b32 v17, v11 offset:320
	s_wait_dscnt 0x0
	v_add_f32_e32 v12, v12, v17
	s_wait_alu 0xfffe
	s_or_b32 exec_lo, exec_lo, s0
	s_and_saveexec_b32 s0, vcc_lo
	s_cbranch_execz .LBB220_96
.LBB220_127:
	ds_load_b32 v17, v11 offset:352
	s_wait_dscnt 0x0
	v_add_f32_e32 v13, v13, v17
	s_wait_alu 0xfffe
	s_or_b32 exec_lo, exec_lo, s0
	s_and_saveexec_b32 s0, vcc_lo
	s_cbranch_execz .LBB220_97
.LBB220_128:
	ds_load_b32 v17, v11 offset:384
	s_wait_dscnt 0x0
	v_add_f32_e32 v15, v15, v17
	s_wait_alu 0xfffe
	s_or_b32 exec_lo, exec_lo, s0
	s_and_saveexec_b32 s0, vcc_lo
	s_cbranch_execnz .LBB220_98
	s_branch .LBB220_99
	.section	.rodata,"a",@progbits
	.p2align	6, 0x0
	.amdhsa_kernel _ZN4vllm25paged_attention_v2_kernelIfhLi112ELi16ELi128ELNS_18Fp8KVCacheDataTypeE1ELb0ELi512EEEvPfS2_PT_PKS3_PKT0_S9_ifPKiSB_iPKfiiiSD_SD_iiiii
		.amdhsa_group_segment_fixed_size 480
		.amdhsa_private_segment_fixed_size 0
		.amdhsa_kernarg_size 400
		.amdhsa_user_sgpr_count 2
		.amdhsa_user_sgpr_dispatch_ptr 0
		.amdhsa_user_sgpr_queue_ptr 0
		.amdhsa_user_sgpr_kernarg_segment_ptr 1
		.amdhsa_user_sgpr_dispatch_id 0
		.amdhsa_user_sgpr_private_segment_size 0
		.amdhsa_wavefront_size32 1
		.amdhsa_uses_dynamic_stack 0
		.amdhsa_enable_private_segment 0
		.amdhsa_system_sgpr_workgroup_id_x 1
		.amdhsa_system_sgpr_workgroup_id_y 1
		.amdhsa_system_sgpr_workgroup_id_z 1
		.amdhsa_system_sgpr_workgroup_info 0
		.amdhsa_system_vgpr_workitem_id 0
		.amdhsa_next_free_vgpr 107
		.amdhsa_next_free_sgpr 38
		.amdhsa_reserve_vcc 1
		.amdhsa_float_round_mode_32 0
		.amdhsa_float_round_mode_16_64 0
		.amdhsa_float_denorm_mode_32 3
		.amdhsa_float_denorm_mode_16_64 3
		.amdhsa_fp16_overflow 0
		.amdhsa_workgroup_processor_mode 1
		.amdhsa_memory_ordered 1
		.amdhsa_forward_progress 1
		.amdhsa_inst_pref_size 71
		.amdhsa_round_robin_scheduling 0
		.amdhsa_exception_fp_ieee_invalid_op 0
		.amdhsa_exception_fp_denorm_src 0
		.amdhsa_exception_fp_ieee_div_zero 0
		.amdhsa_exception_fp_ieee_overflow 0
		.amdhsa_exception_fp_ieee_underflow 0
		.amdhsa_exception_fp_ieee_inexact 0
		.amdhsa_exception_int_div_zero 0
	.end_amdhsa_kernel
	.section	.text._ZN4vllm25paged_attention_v2_kernelIfhLi112ELi16ELi128ELNS_18Fp8KVCacheDataTypeE1ELb0ELi512EEEvPfS2_PT_PKS3_PKT0_S9_ifPKiSB_iPKfiiiSD_SD_iiiii,"axG",@progbits,_ZN4vllm25paged_attention_v2_kernelIfhLi112ELi16ELi128ELNS_18Fp8KVCacheDataTypeE1ELb0ELi512EEEvPfS2_PT_PKS3_PKT0_S9_ifPKiSB_iPKfiiiSD_SD_iiiii,comdat
.Lfunc_end220:
	.size	_ZN4vllm25paged_attention_v2_kernelIfhLi112ELi16ELi128ELNS_18Fp8KVCacheDataTypeE1ELb0ELi512EEEvPfS2_PT_PKS3_PKT0_S9_ifPKiSB_iPKfiiiSD_SD_iiiii, .Lfunc_end220-_ZN4vllm25paged_attention_v2_kernelIfhLi112ELi16ELi128ELNS_18Fp8KVCacheDataTypeE1ELb0ELi512EEEvPfS2_PT_PKS3_PKT0_S9_ifPKiSB_iPKfiiiSD_SD_iiiii
                                        ; -- End function
	.set _ZN4vllm25paged_attention_v2_kernelIfhLi112ELi16ELi128ELNS_18Fp8KVCacheDataTypeE1ELb0ELi512EEEvPfS2_PT_PKS3_PKT0_S9_ifPKiSB_iPKfiiiSD_SD_iiiii.num_vgpr, 107
	.set _ZN4vllm25paged_attention_v2_kernelIfhLi112ELi16ELi128ELNS_18Fp8KVCacheDataTypeE1ELb0ELi512EEEvPfS2_PT_PKS3_PKT0_S9_ifPKiSB_iPKfiiiSD_SD_iiiii.num_agpr, 0
	.set _ZN4vllm25paged_attention_v2_kernelIfhLi112ELi16ELi128ELNS_18Fp8KVCacheDataTypeE1ELb0ELi512EEEvPfS2_PT_PKS3_PKT0_S9_ifPKiSB_iPKfiiiSD_SD_iiiii.numbered_sgpr, 38
	.set _ZN4vllm25paged_attention_v2_kernelIfhLi112ELi16ELi128ELNS_18Fp8KVCacheDataTypeE1ELb0ELi512EEEvPfS2_PT_PKS3_PKT0_S9_ifPKiSB_iPKfiiiSD_SD_iiiii.num_named_barrier, 0
	.set _ZN4vllm25paged_attention_v2_kernelIfhLi112ELi16ELi128ELNS_18Fp8KVCacheDataTypeE1ELb0ELi512EEEvPfS2_PT_PKS3_PKT0_S9_ifPKiSB_iPKfiiiSD_SD_iiiii.private_seg_size, 0
	.set _ZN4vllm25paged_attention_v2_kernelIfhLi112ELi16ELi128ELNS_18Fp8KVCacheDataTypeE1ELb0ELi512EEEvPfS2_PT_PKS3_PKT0_S9_ifPKiSB_iPKfiiiSD_SD_iiiii.uses_vcc, 1
	.set _ZN4vllm25paged_attention_v2_kernelIfhLi112ELi16ELi128ELNS_18Fp8KVCacheDataTypeE1ELb0ELi512EEEvPfS2_PT_PKS3_PKT0_S9_ifPKiSB_iPKfiiiSD_SD_iiiii.uses_flat_scratch, 0
	.set _ZN4vllm25paged_attention_v2_kernelIfhLi112ELi16ELi128ELNS_18Fp8KVCacheDataTypeE1ELb0ELi512EEEvPfS2_PT_PKS3_PKT0_S9_ifPKiSB_iPKfiiiSD_SD_iiiii.has_dyn_sized_stack, 0
	.set _ZN4vllm25paged_attention_v2_kernelIfhLi112ELi16ELi128ELNS_18Fp8KVCacheDataTypeE1ELb0ELi512EEEvPfS2_PT_PKS3_PKT0_S9_ifPKiSB_iPKfiiiSD_SD_iiiii.has_recursion, 0
	.set _ZN4vllm25paged_attention_v2_kernelIfhLi112ELi16ELi128ELNS_18Fp8KVCacheDataTypeE1ELb0ELi512EEEvPfS2_PT_PKS3_PKT0_S9_ifPKiSB_iPKfiiiSD_SD_iiiii.has_indirect_call, 0
	.section	.AMDGPU.csdata,"",@progbits
; Kernel info:
; codeLenInByte = 9080
; TotalNumSgprs: 40
; NumVgprs: 107
; ScratchSize: 0
; MemoryBound: 0
; FloatMode: 240
; IeeeMode: 1
; LDSByteSize: 480 bytes/workgroup (compile time only)
; SGPRBlocks: 0
; VGPRBlocks: 13
; NumSGPRsForWavesPerEU: 40
; NumVGPRsForWavesPerEU: 107
; Occupancy: 12
; WaveLimiterHint : 1
; COMPUTE_PGM_RSRC2:SCRATCH_EN: 0
; COMPUTE_PGM_RSRC2:USER_SGPR: 2
; COMPUTE_PGM_RSRC2:TRAP_HANDLER: 0
; COMPUTE_PGM_RSRC2:TGID_X_EN: 1
; COMPUTE_PGM_RSRC2:TGID_Y_EN: 1
; COMPUTE_PGM_RSRC2:TGID_Z_EN: 1
; COMPUTE_PGM_RSRC2:TIDIG_COMP_CNT: 0
	.section	.text._ZN4vllm25paged_attention_v2_kernelIfhLi120ELi16ELi128ELNS_18Fp8KVCacheDataTypeE1ELb0ELi512EEEvPfS2_PT_PKS3_PKT0_S9_ifPKiSB_iPKfiiiSD_SD_iiiii,"axG",@progbits,_ZN4vllm25paged_attention_v2_kernelIfhLi120ELi16ELi128ELNS_18Fp8KVCacheDataTypeE1ELb0ELi512EEEvPfS2_PT_PKS3_PKT0_S9_ifPKiSB_iPKfiiiSD_SD_iiiii,comdat
	.protected	_ZN4vllm25paged_attention_v2_kernelIfhLi120ELi16ELi128ELNS_18Fp8KVCacheDataTypeE1ELb0ELi512EEEvPfS2_PT_PKS3_PKT0_S9_ifPKiSB_iPKfiiiSD_SD_iiiii ; -- Begin function _ZN4vllm25paged_attention_v2_kernelIfhLi120ELi16ELi128ELNS_18Fp8KVCacheDataTypeE1ELb0ELi512EEEvPfS2_PT_PKS3_PKT0_S9_ifPKiSB_iPKfiiiSD_SD_iiiii
	.globl	_ZN4vllm25paged_attention_v2_kernelIfhLi120ELi16ELi128ELNS_18Fp8KVCacheDataTypeE1ELb0ELi512EEEvPfS2_PT_PKS3_PKT0_S9_ifPKiSB_iPKfiiiSD_SD_iiiii
	.p2align	8
	.type	_ZN4vllm25paged_attention_v2_kernelIfhLi120ELi16ELi128ELNS_18Fp8KVCacheDataTypeE1ELb0ELi512EEEvPfS2_PT_PKS3_PKT0_S9_ifPKiSB_iPKfiiiSD_SD_iiiii,@function
_ZN4vllm25paged_attention_v2_kernelIfhLi120ELi16ELi128ELNS_18Fp8KVCacheDataTypeE1ELb0ELi512EEEvPfS2_PT_PKS3_PKT0_S9_ifPKiSB_iPKfiiiSD_SD_iiiii: ; @_ZN4vllm25paged_attention_v2_kernelIfhLi120ELi16ELi128ELNS_18Fp8KVCacheDataTypeE1ELb0ELi512EEEvPfS2_PT_PKS3_PKT0_S9_ifPKiSB_iPKfiiiSD_SD_iiiii
; %bb.0:
	s_load_b64 s[2:3], s[0:1], 0x40
	s_and_b32 s15, ttmp7, 0xffff
	s_lshr_b32 s26, ttmp7, 16
	s_lshl_b32 s4, s15, 2
	s_lshl_b32 s28, s26, 9
	s_wait_kmcnt 0x0
	s_load_b32 s27, s[2:3], s4 offset:0x0
	s_wait_kmcnt 0x0
	s_cmp_ge_i32 s28, s27
	s_cbranch_scc1 .LBB221_106
; %bb.1:
	s_clause 0x1
	s_load_b32 s29, s[0:1], 0x90
	s_load_b64 s[8:9], s[0:1], 0x30
	s_wait_kmcnt 0x0
	s_abs_i32 s5, s29
	s_abs_i32 s2, s8
	s_delay_alu instid0(SALU_CYCLE_1) | instskip(SKIP_1) | instid1(SALU_CYCLE_2)
	s_cvt_f32_u32 s3, s2
	s_sub_co_i32 s4, 0, s2
	v_rcp_iflag_f32_e32 v1, s3
	s_delay_alu instid0(TRANS32_DEP_1) | instskip(SKIP_2) | instid1(SALU_CYCLE_2)
	v_readfirstlane_b32 s3, v1
	s_mul_f32 s3, s3, 0x4f7ffffe
	s_wait_alu 0xfffe
	s_cvt_u32_f32 s3, s3
	s_wait_alu 0xfffe
	s_delay_alu instid0(SALU_CYCLE_2) | instskip(NEXT) | instid1(SALU_CYCLE_1)
	s_mul_i32 s4, s4, s3
	s_mul_hi_u32 s4, s3, s4
	s_delay_alu instid0(SALU_CYCLE_1)
	s_add_co_i32 s3, s3, s4
	s_xor_b32 s4, s29, s8
	s_wait_alu 0xfffe
	s_mul_hi_u32 s3, s5, s3
	s_ashr_i32 s4, s4, 31
	s_wait_alu 0xfffe
	s_mul_i32 s6, s3, s2
	s_delay_alu instid0(SALU_CYCLE_1)
	s_sub_co_i32 s5, s5, s6
	s_add_co_i32 s6, s3, 1
	s_sub_co_i32 s7, s5, s2
	s_cmp_ge_u32 s5, s2
	s_cselect_b32 s3, s6, s3
	s_cselect_b32 s5, s7, s5
	s_wait_alu 0xfffe
	s_add_co_i32 s6, s3, 1
	s_cmp_ge_u32 s5, s2
	s_cselect_b32 s2, s6, s3
	s_load_b64 s[6:7], s[0:1], 0x50
	s_xor_b32 s2, s2, s4
	s_mov_b32 s3, 0
	s_wait_alu 0xfffe
	s_sub_co_i32 s11, s2, s4
	s_mov_b32 s8, s3
	s_abs_i32 s10, s11
	s_delay_alu instid0(SALU_CYCLE_1) | instskip(SKIP_1) | instid1(SALU_CYCLE_2)
	s_cvt_f32_u32 s2, s10
	s_wait_alu 0xfffe
	v_rcp_iflag_f32_e32 v1, s2
	s_delay_alu instid0(TRANS32_DEP_1) | instskip(SKIP_2) | instid1(SALU_CYCLE_2)
	v_readfirstlane_b32 s2, v1
	s_mul_f32 s2, s2, 0x4f7ffffe
	s_wait_alu 0xfffe
	s_cvt_u32_f32 s4, s2
	s_sub_co_i32 s2, 0, s10
	s_wait_alu 0xfffe
	s_delay_alu instid0(SALU_CYCLE_1)
	s_mul_i32 s2, s2, s4
	s_wait_alu 0xfffe
	s_mul_hi_u32 s5, s4, s2
	s_abs_i32 s2, ttmp9
	s_add_co_i32 s4, s4, s5
	s_mov_b32 s5, s3
	s_wait_kmcnt 0x0
	s_cmp_eq_u64 s[6:7], 0
	s_cbranch_scc1 .LBB221_3
; %bb.2:
	s_mov_b32 s12, ttmp9
	s_ashr_i32 s13, ttmp9, 31
	s_delay_alu instid0(SALU_CYCLE_1) | instskip(NEXT) | instid1(SALU_CYCLE_1)
	s_lshl_b64 s[12:13], s[12:13], 2
	s_add_nc_u64 s[6:7], s[6:7], s[12:13]
	s_load_b32 s8, s[6:7], 0x0
.LBB221_3:
	s_load_b96 s[12:14], s[0:1], 0x58
	v_and_b32_e32 v49, 1, v0
	v_lshlrev_b32_e32 v67, 2, v0
	s_mul_u64 s[4:5], s[2:3], s[4:5]
	s_ashr_i32 s3, ttmp9, 31
	s_ashr_i32 s4, s11, 31
	s_mul_i32 s16, ttmp9, 0x78
	s_mov_b32 s6, exec_lo
	v_cmpx_gt_u32_e32 60, v0
	s_cbranch_execz .LBB221_5
; %bb.4:
	s_load_b64 s[18:19], s[0:1], 0x18
	s_wait_kmcnt 0x0
	s_mul_i32 s20, s12, s15
	s_ashr_i32 s17, s16, 31
	s_ashr_i32 s21, s20, 31
	v_lshlrev_b32_e32 v1, 3, v0
	s_lshl_b64 s[20:21], s[20:21], 2
	v_and_b32_e32 v3, 0xff8, v67
	s_delay_alu instid0(VALU_DEP_1) | instskip(SKIP_2) | instid1(SALU_CYCLE_1)
	v_mad_u32_u24 v3, 0xf0, v49, v3
	s_add_nc_u64 s[18:19], s[18:19], s[20:21]
	s_lshl_b64 s[20:21], s[16:17], 2
	s_add_nc_u64 s[18:19], s[18:19], s[20:21]
	global_load_b64 v[1:2], v1, s[18:19]
	s_wait_loadcnt 0x0
	ds_store_b64 v3, v[1:2]
.LBB221_5:
	s_or_b32 exec_lo, exec_lo, s6
	s_add_co_i32 s6, s27, 15
	s_wait_alu 0xfffe
	s_xor_b32 s3, s3, s4
	s_ashr_i32 s7, s6, 31
	s_lshl_b32 s31, s26, 5
	s_lshr_b32 s4, s7, 28
	s_mul_i32 s7, s5, s10
	s_add_co_i32 s6, s6, s4
	s_add_co_i32 s4, s31, 32
	s_ashr_i32 s30, s6, 4
	s_load_b32 s6, s[0:1], 0x48
	s_sub_co_i32 s2, s2, s7
	s_min_i32 s17, s4, s30
	s_add_co_i32 s4, s5, 1
	s_wait_alu 0xfffe
	s_sub_co_i32 s7, s2, s10
	s_cmp_ge_u32 s2, s10
	v_lshrrev_b32_e32 v65, 5, v0
	s_cselect_b32 s4, s4, s5
	s_cselect_b32 s2, s7, s2
	s_add_co_i32 s5, s4, 1
	s_wait_alu 0xfffe
	s_cmp_ge_u32 s2, s10
	v_or_b32_e32 v66, s31, v65
	s_cselect_b32 s2, s5, s4
	v_mbcnt_lo_u32_b32 v69, -1, 0
	s_wait_alu 0xfffe
	s_xor_b32 s2, s2, s3
	s_mov_b32 s4, exec_lo
	s_wait_alu 0xfffe
	s_sub_co_i32 s3, s2, s3
	v_cmp_gt_i32_e64 s2, s17, v66
	s_wait_dscnt 0x0
	s_barrier_signal -1
	s_wait_kmcnt 0x0
	s_mul_i32 s18, s6, s15
	s_barrier_wait -1
	s_ashr_i32 s19, s18, 31
	global_inv scope:SCOPE_SE
                                        ; implicit-def: $vgpr70
                                        ; implicit-def: $vgpr71
	v_cmpx_le_i32_e64 s17, v66
	s_xor_b32 s4, exec_lo, s4
; %bb.6:
	v_dual_mov_b32 v70, 0 :: v_dual_mov_b32 v71, 32
	v_mbcnt_lo_u32_b32 v69, -1, 0
                                        ; implicit-def: $vgpr49
; %bb.7:
	s_or_saveexec_b32 s10, s4
	s_clause 0x2
	s_load_b32 s12, s[0:1], 0x98
	s_load_b64 s[20:21], s[0:1], 0x38
	s_load_b128 s[4:7], s[0:1], 0x68
	v_mov_b32_e32 v72, 0xff7fffff
	v_lshlrev_b32_e32 v68, 2, v66
	s_mul_i32 s22, s3, s14
	s_xor_b32 exec_lo, exec_lo, s10
	s_cbranch_execz .LBB221_13
; %bb.8:
	s_load_b64 s[24:25], s[0:1], 0x20
	v_xor_b32_e32 v41, 1, v69
	v_bfe_u32 v63, v0, 1, 4
	v_mul_u32_u24_e32 v57, 0xf0, v49
	s_ashr_i32 s23, s22, 31
	ds_load_b128 v[1:4], v57
	ds_load_b128 v[5:8], v57 offset:16
	ds_load_b128 v[9:12], v57 offset:32
	;; [unrolled: 1-line block ×7, first 2 shown]
	v_cmp_gt_i32_e32 vcc_lo, 32, v41
	v_dual_mov_b32 v70, 0 :: v_dual_lshlrev_b32 v33, 4, v63
	v_lshlrev_b32_e32 v61, 1, v49
	s_cmp_neq_f32 s8, 0
	v_cndmask_b32_e32 v50, v69, v41, vcc_lo
	v_cmp_eq_u32_e32 vcc_lo, 0, v49
	v_dual_mov_b32 v71, 32 :: v_dual_lshlrev_b32 v72, 2, v63
	v_lshlrev_b32_e32 v74, 4, v65
	s_delay_alu instid0(VALU_DEP_4)
	v_lshlrev_b32_e32 v73, 2, v50
	s_wait_kmcnt 0x0
	s_add_nc_u64 s[24:25], s[24:25], s[22:23]
	v_mov_b32_e32 v76, v66
	v_add_co_u32 v62, s3, s24, v33
	ds_load_b128 v[33:36], v57 offset:128
	ds_load_b128 v[37:40], v57 offset:144
	;; [unrolled: 1-line block ×4, first 2 shown]
	s_load_b32 s14, s[4:5], 0x0
	ds_load_b128 v[49:52], v57 offset:192
	ds_load_b128 v[53:56], v57 offset:208
	;; [unrolled: 1-line block ×3, first 2 shown]
	v_add_co_ci_u32_e64 v64, null, s25, 0, s3
	v_add_co_u32 v61, s4, v62, v61
	s_cselect_b32 s3, -1, 0
	v_add_co_ci_u32_e64 v62, null, 0, v64, s4
	s_lshl_b64 s[4:5], s[18:19], 2
	v_lshl_or_b32 v72, v65, 6, v72
	s_wait_alu 0xfffe
	s_add_nc_u64 s[4:5], s[20:21], s[4:5]
	v_add3_u32 v74, s28, v74, v63
	s_wait_alu 0xfffe
	v_add_co_u32 v63, s4, s4, v68
	v_add_nc_u32_e32 v75, 0x200, v72
	s_wait_alu 0xf1ff
	v_add_co_ci_u32_e64 v64, null, s5, 0, s4
	v_mov_b32_e32 v72, 0xff7fffff
	s_mov_b32 s11, s13
	s_mov_b32 s23, 0
	s_wait_kmcnt 0x0
	s_mov_b32 s24, s14
	s_sub_co_i32 s25, 1, s27
	s_branch .LBB221_10
.LBB221_9:                              ;   in Loop: Header=BB221_10 Depth=1
	s_wait_alu 0xfffe
	s_or_b32 exec_lo, exec_lo, s5
	v_add_nc_u32_e32 v76, 4, v76
	v_add_co_u32 v63, s5, v63, 16
	v_add_nc_u32_e32 v74, 64, v74
	v_add_nc_u32_e32 v75, 0x100, v75
	s_delay_alu instid0(VALU_DEP_4) | instskip(SKIP_3) | instid1(SALU_CYCLE_1)
	v_cmp_le_i32_e64 s4, s17, v76
	s_wait_alu 0xf1ff
	v_add_co_ci_u32_e64 v64, null, 0, v64, s5
	s_or_b32 s23, s4, s23
	s_and_not1_b32 exec_lo, exec_lo, s23
	s_cbranch_execz .LBB221_12
.LBB221_10:                             ; =>This Inner Loop Header: Depth=1
	global_load_b32 v77, v[63:64], off
	s_wait_loadcnt_dscnt 0x0
	v_mad_co_i64_i32 v[77:78], null, v77, s11, v[61:62]
	s_clause 0x1d
	global_load_u16 v79, v[77:78], off offset:4
	global_load_u16 v80, v[77:78], off
	global_load_u16 v82, v[77:78], off offset:8
	global_load_u16 v83, v[77:78], off offset:12
	;; [unrolled: 1-line block ×28, first 2 shown]
	s_wait_loadcnt 0x1d
	v_cvt_pk_f32_fp8_e32 v[78:79], v79
	s_wait_loadcnt 0x1c
	v_cvt_pk_f32_fp8_e32 v[80:81], v80
	s_wait_alu 0xfffe
	s_delay_alu instid0(VALU_DEP_2)
	v_dual_mul_f32 v109, s14, v78 :: v_dual_mul_f32 v110, s24, v79
	s_wait_loadcnt 0x1b
	v_cvt_pk_f32_fp8_e32 v[78:79], v82
	v_dual_mul_f32 v82, s24, v81 :: v_dual_mul_f32 v111, s14, v80
	s_wait_dscnt 0xe
	v_dual_mul_f32 v109, v3, v109 :: v_dual_mul_f32 v110, v4, v110
	s_wait_loadcnt 0x1a
	v_cvt_pk_f32_fp8_e32 v[80:81], v83
	v_dual_mul_f32 v83, s24, v79 :: v_dual_mul_f32 v112, s14, v78
	s_delay_alu instid0(VALU_DEP_3)
	v_dual_fmac_f32 v109, v1, v111 :: v_dual_fmac_f32 v110, v2, v82
	s_wait_loadcnt 0x19
	v_cvt_pk_f32_fp8_e32 v[78:79], v84
	v_mul_f32_e32 v82, s24, v81
	v_mul_f32_e32 v84, s14, v80
	s_wait_dscnt 0xd
	v_dual_fmac_f32 v109, v5, v112 :: v_dual_fmac_f32 v110, v6, v83
	s_wait_loadcnt 0x18
	v_cvt_pk_f32_fp8_e32 v[80:81], v85
	v_mul_f32_e32 v83, s24, v79
	v_mul_f32_e32 v85, s14, v78
	v_dual_fmac_f32 v109, v7, v84 :: v_dual_fmac_f32 v110, v8, v82
	s_wait_loadcnt 0x17
	v_cvt_pk_f32_fp8_e32 v[78:79], v86
	v_mul_f32_e32 v84, s14, v80
	v_mul_f32_e32 v82, s24, v81
	s_wait_dscnt 0xc
	v_dual_fmac_f32 v109, v9, v85 :: v_dual_fmac_f32 v110, v10, v83
	v_mul_f32_e32 v85, s14, v78
	s_wait_loadcnt 0x16
	v_cvt_pk_f32_fp8_e32 v[80:81], v87
	v_mul_f32_e32 v83, s24, v79
	v_dual_fmac_f32 v109, v11, v84 :: v_dual_fmac_f32 v110, v12, v82
	s_wait_loadcnt 0x15
	v_cvt_pk_f32_fp8_e32 v[78:79], v88
	v_mul_f32_e32 v84, s14, v80
	v_mul_f32_e32 v82, s24, v81
	s_wait_dscnt 0xb
	v_dual_fmac_f32 v109, v13, v85 :: v_dual_fmac_f32 v110, v14, v83
	v_mul_f32_e32 v85, s14, v78
	s_wait_loadcnt 0x14
	v_cvt_pk_f32_fp8_e32 v[80:81], v89
	;; [unrolled: 11-line block ×11, first 2 shown]
	v_mul_f32_e32 v83, s24, v79
	v_dual_fmac_f32 v109, v51, v84 :: v_dual_fmac_f32 v110, v52, v82
	s_wait_loadcnt 0x1
	v_cvt_pk_f32_fp8_e32 v[78:79], v108
	v_mul_f32_e32 v84, s14, v80
	v_mul_f32_e32 v82, s24, v81
	s_wait_dscnt 0x1
	v_dual_fmac_f32 v109, v53, v85 :: v_dual_fmac_f32 v110, v54, v83
	s_wait_loadcnt 0x0
	v_cvt_pk_f32_fp8_e32 v[80:81], v77
	v_dual_mul_f32 v78, s14, v78 :: v_dual_mul_f32 v77, s24, v79
	s_delay_alu instid0(VALU_DEP_3) | instskip(NEXT) | instid1(VALU_DEP_3)
	v_fmac_f32_e32 v109, v55, v84
	v_dual_mul_f32 v79, s24, v81 :: v_dual_mul_f32 v80, s14, v80
	s_wait_dscnt 0x0
	s_delay_alu instid0(VALU_DEP_2) | instskip(NEXT) | instid1(VALU_DEP_1)
	v_fmac_f32_e32 v109, v57, v78
	v_dual_fmac_f32 v110, v56, v82 :: v_dual_fmac_f32 v109, v59, v80
	s_delay_alu instid0(VALU_DEP_1) | instskip(NEXT) | instid1(VALU_DEP_1)
	v_fmac_f32_e32 v110, v58, v77
	v_fmac_f32_e32 v110, v60, v79
	s_delay_alu instid0(VALU_DEP_1)
	v_add_f32_e32 v77, v109, v110
	ds_bpermute_b32 v78, v73, v77
	s_and_saveexec_b32 s5, vcc_lo
	s_cbranch_execz .LBB221_9
; %bb.11:                               ;   in Loop: Header=BB221_10 Depth=1
	s_wait_dscnt 0x0
	v_add_f32_e32 v77, v77, v78
	v_add_nc_u32_e32 v79, s25, v74
	v_cmp_gt_i32_e64 s4, s27, v74
	s_delay_alu instid0(VALU_DEP_2) | instskip(NEXT) | instid1(VALU_DEP_1)
	v_cvt_f32_i32_e32 v79, v79
	v_mul_f32_e32 v79, s8, v79
	s_delay_alu instid0(VALU_DEP_1) | instskip(NEXT) | instid1(VALU_DEP_1)
	v_cndmask_b32_e64 v78, 0, v79, s3
	v_dual_max_num_f32 v79, v72, v72 :: v_dual_fmac_f32 v78, s9, v77
	s_delay_alu instid0(VALU_DEP_1) | instskip(SKIP_2) | instid1(VALU_DEP_2)
	v_max_num_f32_e32 v77, v79, v78
	s_wait_alu 0xf1ff
	v_cndmask_b32_e64 v78, 0, v78, s4
	v_cndmask_b32_e64 v72, v72, v77, s4
	ds_store_b32 v75, v78
	s_branch .LBB221_9
.LBB221_12:
	s_or_b32 exec_lo, exec_lo, s23
.LBB221_13:
	s_delay_alu instid0(SALU_CYCLE_1)
	s_or_b32 exec_lo, exec_lo, s10
	v_xor_b32_e32 v1, 16, v69
	v_xor_b32_e32 v3, 8, v69
	;; [unrolled: 1-line block ×3, first 2 shown]
	s_load_b128 s[8:11], s[0:1], 0x0
	s_wait_kmcnt 0x0
	s_clause 0x1
	s_load_b64 s[4:5], s[0:1], 0x10
	s_load_b64 s[24:25], s[0:1], 0x28
	v_and_b32_e32 v11, 31, v0
	v_cmp_lt_i32_e32 vcc_lo, v1, v71
	v_max_num_f32_e32 v5, v72, v72
	s_wait_alu 0xfffd
	v_cndmask_b32_e32 v1, v69, v1, vcc_lo
	v_cmp_lt_i32_e32 vcc_lo, v3, v71
	s_wait_alu 0xfffd
	v_cndmask_b32_e32 v3, v69, v3, vcc_lo
	s_delay_alu instid0(VALU_DEP_1) | instskip(SKIP_4) | instid1(VALU_DEP_1)
	v_lshlrev_b32_e32 v4, 2, v3
	v_lshlrev_b32_e32 v2, 2, v1
	ds_bpermute_b32 v1, v2, v72
	s_wait_dscnt 0x0
	v_max_num_f32_e32 v1, v1, v1
	v_max_num_f32_e32 v1, v5, v1
	v_xor_b32_e32 v5, 4, v69
	ds_bpermute_b32 v3, v4, v1
	v_cmp_lt_i32_e32 vcc_lo, v5, v71
	s_wait_alu 0xfffd
	v_cndmask_b32_e32 v5, v69, v5, vcc_lo
	v_cmp_lt_i32_e32 vcc_lo, v6, v71
	s_wait_alu 0xfffd
	s_delay_alu instid0(VALU_DEP_2) | instskip(SKIP_1) | instid1(VALU_DEP_2)
	v_dual_cndmask_b32 v6, v69, v6 :: v_dual_lshlrev_b32 v5, 2, v5
	v_cmp_eq_u32_e32 vcc_lo, 0, v11
	v_lshlrev_b32_e32 v12, 2, v6
	s_wait_dscnt 0x0
	v_dual_max_num_f32 v3, v3, v3 :: v_dual_lshlrev_b32 v6, 2, v65
	s_delay_alu instid0(VALU_DEP_1) | instskip(SKIP_3) | instid1(VALU_DEP_1)
	v_max_num_f32_e32 v1, v1, v3
	ds_bpermute_b32 v3, v5, v1
	s_wait_dscnt 0x0
	v_max_num_f32_e32 v3, v3, v3
	v_max_num_f32_e32 v1, v1, v3
	ds_bpermute_b32 v3, v12, v1
	s_and_saveexec_b32 s0, vcc_lo
	s_cbranch_execz .LBB221_15
; %bb.14:
	s_wait_dscnt 0x0
	v_max_num_f32_e32 v3, v3, v3
	v_max_num_f32_e32 v1, v1, v1
	s_delay_alu instid0(VALU_DEP_1)
	v_max_num_f32_e32 v1, v1, v3
	ds_store_b32 v6, v1 offset:480
.LBB221_15:
	s_or_b32 exec_lo, exec_lo, s0
	v_cmp_gt_u32_e64 s0, 4, v11
	v_mov_b32_e32 v1, 0xff7fffff
	v_lshlrev_b32_e32 v7, 2, v11
	s_wait_loadcnt_dscnt 0x0
	s_barrier_signal -1
	s_barrier_wait -1
	global_inv scope:SCOPE_SE
	s_and_saveexec_b32 s1, s0
; %bb.16:
	ds_load_b32 v1, v7 offset:480
; %bb.17:
	s_or_b32 exec_lo, exec_lo, s1
	s_wait_dscnt 0x0
	ds_bpermute_b32 v3, v12, v1
	v_xor_b32_e32 v8, 1, v69
	v_max_num_f32_e32 v1, v1, v1
	s_delay_alu instid0(VALU_DEP_2) | instskip(NEXT) | instid1(VALU_DEP_1)
	v_cmp_lt_i32_e64 s1, v8, v71
	v_cndmask_b32_e64 v8, v69, v8, s1
	s_sub_co_i32 s1, s17, s31
	s_wait_alu 0xfffe
	s_lshl_b32 s1, s1, 4
	s_delay_alu instid0(VALU_DEP_1)
	v_dual_mov_b32 v8, 0 :: v_dual_lshlrev_b32 v13, 2, v8
	s_wait_alu 0xfffe
	s_add_co_i32 s1, s1, s28
	s_wait_alu 0xfffe
	s_min_i32 s1, s1, s27
	s_wait_dscnt 0x0
	v_max_num_f32_e32 v3, v3, v3
	s_wait_alu 0xfffe
	s_sub_co_i32 s14, s1, s28
	s_wait_alu 0xfffe
	v_cmp_gt_i32_e64 s1, s14, v0
	v_max_num_f32_e32 v1, v1, v3
	ds_bpermute_b32 v3, v13, v1
	s_wait_dscnt 0x0
	v_max_num_f32_e32 v3, v3, v3
	s_delay_alu instid0(VALU_DEP_1)
	v_max_num_f32_e32 v1, v1, v3
	v_lshlrev_b32_e32 v3, 2, v70
	ds_bpermute_b32 v1, v3, v1
	v_lshl_add_u32 v3, v0, 2, 0x200
	s_and_saveexec_b32 s23, s1
	s_cbranch_execz .LBB221_21
; %bb.18:
	v_lshl_add_u32 v9, v0, 2, 0x200
	v_mov_b32_e32 v8, 0
	v_mov_b32_e32 v10, v0
	s_mov_b32 s31, 0
.LBB221_19:                             ; =>This Inner Loop Header: Depth=1
	ds_load_b32 v14, v9
	v_add_nc_u32_e32 v10, 0x80, v10
	s_delay_alu instid0(VALU_DEP_1) | instskip(SKIP_4) | instid1(VALU_DEP_1)
	v_cmp_le_i32_e64 s3, s14, v10
	s_wait_alu 0xfffe
	s_or_b32 s31, s3, s31
	s_wait_dscnt 0x0
	v_sub_f32_e32 v14, v14, v1
	v_mul_f32_e32 v14, 0x3fb8aa3b, v14
	s_delay_alu instid0(VALU_DEP_1)
	v_exp_f32_e32 v14, v14
	ds_store_b32 v9, v14
	v_dual_add_f32 v8, v8, v14 :: v_dual_add_nc_u32 v9, 0x200, v9
	s_wait_alu 0xfffe
	s_and_not1_b32 exec_lo, exec_lo, s31
	s_cbranch_execnz .LBB221_19
; %bb.20:
	s_or_b32 exec_lo, exec_lo, s31
.LBB221_21:
	s_delay_alu instid0(SALU_CYCLE_1)
	s_or_b32 exec_lo, exec_lo, s23
	ds_bpermute_b32 v2, v2, v8
	s_wait_dscnt 0x0
	v_add_f32_e32 v2, v8, v2
	ds_bpermute_b32 v4, v4, v2
	s_wait_dscnt 0x0
	v_add_f32_e32 v2, v2, v4
	;; [unrolled: 3-line block ×5, first 2 shown]
	s_and_saveexec_b32 s3, vcc_lo
; %bb.22:
	ds_store_b32 v6, v2 offset:496
; %bb.23:
	s_wait_alu 0xfffe
	s_or_b32 exec_lo, exec_lo, s3
	s_wait_loadcnt_dscnt 0x0
	s_barrier_signal -1
	s_barrier_wait -1
	global_inv scope:SCOPE_SE
	s_and_saveexec_b32 s3, s0
; %bb.24:
	ds_load_b32 v2, v7 offset:496
; %bb.25:
	s_wait_alu 0xfffe
	s_or_b32 exec_lo, exec_lo, s3
	s_wait_dscnt 0x0
	ds_bpermute_b32 v4, v12, v2
	s_wait_dscnt 0x0
	v_dual_add_f32 v2, v2, v4 :: v_dual_lshlrev_b32 v5, 2, v69
	ds_bpermute_b32 v4, v13, v2
	s_wait_dscnt 0x0
	v_add_f32_e32 v2, v2, v4
	v_and_b32_e32 v4, 0xffffff80, v5
	ds_bpermute_b32 v2, v4, v2
	s_and_saveexec_b32 s0, s1
	s_cbranch_execz .LBB221_28
; %bb.26:
	s_wait_dscnt 0x0
	v_add_f32_e32 v4, 0x358637bd, v2
	s_mov_b32 s1, 0
	s_delay_alu instid0(VALU_DEP_1) | instskip(SKIP_1) | instid1(VALU_DEP_2)
	v_div_scale_f32 v5, null, v4, v4, 1.0
	v_div_scale_f32 v8, vcc_lo, 1.0, v4, 1.0
	v_rcp_f32_e32 v6, v5
	s_delay_alu instid0(TRANS32_DEP_1) | instskip(NEXT) | instid1(VALU_DEP_1)
	v_fma_f32 v7, -v5, v6, 1.0
	v_fmac_f32_e32 v6, v7, v6
	s_delay_alu instid0(VALU_DEP_1) | instskip(NEXT) | instid1(VALU_DEP_1)
	v_mul_f32_e32 v7, v8, v6
	v_fma_f32 v9, -v5, v7, v8
	s_delay_alu instid0(VALU_DEP_1) | instskip(NEXT) | instid1(VALU_DEP_1)
	v_fmac_f32_e32 v7, v9, v6
	v_fma_f32 v5, -v5, v7, v8
	s_wait_alu 0xfffd
	s_delay_alu instid0(VALU_DEP_1) | instskip(NEXT) | instid1(VALU_DEP_1)
	v_div_fmas_f32 v5, v5, v6, v7
	v_div_fixup_f32 v4, v5, v4, 1.0
	v_mov_b32_e32 v5, v0
.LBB221_27:                             ; =>This Inner Loop Header: Depth=1
	ds_load_b32 v6, v3
	s_wait_dscnt 0x0
	v_dual_mul_f32 v6, v4, v6 :: v_dual_add_nc_u32 v5, 0x80, v5
	s_delay_alu instid0(VALU_DEP_1)
	v_cmp_le_i32_e32 vcc_lo, s14, v5
	ds_store_b32 v3, v6
	v_add_nc_u32_e32 v3, 0x200, v3
	s_wait_alu 0xfffe
	s_or_b32 s1, vcc_lo, s1
	s_wait_alu 0xfffe
	s_and_not1_b32 exec_lo, exec_lo, s1
	s_cbranch_execnz .LBB221_27
.LBB221_28:
	s_wait_alu 0xfffe
	s_or_b32 exec_lo, exec_lo, s0
	s_mul_i32 s0, s12, s15
	s_wait_loadcnt_dscnt 0x0
	s_wait_alu 0xfffe
	s_mul_i32 s14, s0, s29
	s_mov_b32 s0, exec_lo
	s_barrier_signal -1
	s_barrier_wait -1
	global_inv scope:SCOPE_SE
	v_cmpx_eq_u32_e32 0, v0
	s_cbranch_execz .LBB221_30
; %bb.29:
	s_wait_alu 0xfffe
	s_ashr_i32 s15, s14, 31
	s_mul_i32 s34, s12, ttmp9
	s_lshl_b32 s1, s26, 2
	s_wait_alu 0xfffe
	s_lshl_b64 s[36:37], s[14:15], 2
	s_ashr_i32 s35, s34, 31
	v_mov_b32_e32 v3, s1
	s_add_nc_u64 s[10:11], s[10:11], s[36:37]
	s_lshl_b64 s[34:35], s[34:35], 2
	s_add_nc_u64 s[8:9], s[8:9], s[36:37]
	s_wait_alu 0xfffe
	s_add_nc_u64 s[10:11], s[10:11], s[34:35]
	s_add_nc_u64 s[8:9], s[8:9], s[34:35]
	s_clause 0x1
	global_store_b32 v3, v1, s[10:11]
	global_store_b32 v3, v2, s[8:9]
.LBB221_30:
	s_wait_alu 0xfffe
	s_or_b32 exec_lo, exec_lo, s0
	v_dual_mov_b32 v27, 0 :: v_dual_and_b32 v14, 3, v0
	v_dual_mov_b32 v29, 0 :: v_dual_mov_b32 v28, 0
	v_dual_mov_b32 v26, 0 :: v_dual_mov_b32 v25, 0
	;; [unrolled: 1-line block ×7, first 2 shown]
	s_and_saveexec_b32 s1, s2
	s_cbranch_execz .LBB221_64
; %bb.31:
	s_load_b32 s3, s[6:7], 0x0
	v_dual_mov_b32 v15, 0 :: v_dual_lshlrev_b32 v2, 4, v14
	v_dual_mov_b32 v18, 0 :: v_dual_and_b32 v3, 0x7c, v67
	s_ashr_i32 s23, s22, 31
	s_lshl_b64 s[6:7], s[18:19], 2
	s_wait_kmcnt 0x0
	s_add_nc_u64 s[8:9], s[24:25], s[22:23]
	v_dual_mov_b32 v16, 0 :: v_dual_and_b32 v1, 12, v67
	v_lshl_add_u32 v4, v65, 4, s28
	v_lshl_or_b32 v2, v65, 6, v2
	s_wait_alu 0xfffe
	v_add_co_u32 v5, s0, s8, v3
	s_add_nc_u64 s[6:7], s[20:21], s[6:7]
	s_wait_alu 0xf1ff
	v_add_co_ci_u32_e64 v6, null, s9, 0, s0
	v_add_co_u32 v7, s0, s6, v68
	v_add3_u32 v30, v4, v1, 3
	v_dual_mov_b32 v20, 0 :: v_dual_add_nc_u32 v31, 0x200, v2
	s_wait_alu 0xf1ff
	v_add_co_ci_u32_e64 v8, null, s7, 0, s0
	v_dual_mov_b32 v17, 0 :: v_dual_mov_b32 v22, 0
	v_dual_mov_b32 v19, 0 :: v_dual_mov_b32 v24, 0
	;; [unrolled: 1-line block ×4, first 2 shown]
	v_mov_b32_e32 v25, 0
	v_mov_b32_e32 v29, 0
	;; [unrolled: 1-line block ×3, first 2 shown]
	s_mov_b32 s2, s13
	s_mov_b32 s6, s3
	s_add_co_i32 s30, s30, -1
	s_mov_b32 s7, 0
	s_branch .LBB221_33
.LBB221_32:                             ;   in Loop: Header=BB221_33 Depth=1
	s_wait_alu 0xfffe
	s_or_b32 exec_lo, exec_lo, s0
	s_wait_dscnt 0x0
	v_mul_f32_e32 v49, v1, v90
	v_mul_f32_e32 v48, v1, v94
	;; [unrolled: 1-line block ×3, first 2 shown]
	v_add_nc_u32_e32 v66, 4, v66
	v_add_co_u32 v7, s0, v7, 16
	v_dual_fmac_f32 v49, v2, v89 :: v_dual_mul_f32 v50, v1, v86
	v_fmac_f32_e32 v48, v2, v93
	s_delay_alu instid0(VALU_DEP_4) | instskip(NEXT) | instid1(VALU_DEP_3)
	v_cmp_le_i32_e32 vcc_lo, s17, v66
	v_dual_fmac_f32 v49, v3, v88 :: v_dual_add_nc_u32 v30, 64, v30
	v_dual_mul_f32 v80, v1, v80 :: v_dual_add_nc_u32 v31, 0x100, v31
	s_wait_alu 0xf1ff
	v_add_co_ci_u32_e64 v8, null, 0, v8, s0
	s_delay_alu instid0(VALU_DEP_3)
	v_fmac_f32_e32 v49, v4, v87
	v_fmac_f32_e32 v50, v2, v83
	;; [unrolled: 1-line block ×3, first 2 shown]
	s_or_b32 s7, vcc_lo, s7
	v_mul_f32_e32 v47, v1, v47
	v_add_f32_e32 v17, v17, v49
	v_mul_f32_e32 v49, v1, v68
	v_mul_f32_e32 v76, v1, v76
	v_dual_fmac_f32 v80, v3, v78 :: v_dual_mul_f32 v43, v1, v43
	v_mul_f32_e32 v39, v1, v39
	s_delay_alu instid0(VALU_DEP_4) | instskip(NEXT) | instid1(VALU_DEP_3)
	v_fmac_f32_e32 v49, v2, v67
	v_dual_fmac_f32 v47, v2, v46 :: v_dual_fmac_f32 v80, v4, v77
	s_delay_alu instid0(VALU_DEP_4) | instskip(NEXT) | instid1(VALU_DEP_4)
	v_fmac_f32_e32 v43, v2, v42
	v_fmac_f32_e32 v39, v2, v38
	s_delay_alu instid0(VALU_DEP_4) | instskip(SKIP_3) | instid1(VALU_DEP_4)
	v_fmac_f32_e32 v49, v3, v64
	v_fmac_f32_e32 v48, v3, v92
	v_dual_fmac_f32 v76, v2, v75 :: v_dual_add_f32 v19, v19, v80
	v_fmac_f32_e32 v43, v3, v41
	v_fmac_f32_e32 v49, v4, v63
	s_delay_alu instid0(VALU_DEP_4) | instskip(NEXT) | instid1(VALU_DEP_4)
	v_fmac_f32_e32 v48, v4, v91
	v_fmac_f32_e32 v76, v3, v74
	v_dual_mul_f32 v54, v1, v54 :: v_dual_fmac_f32 v39, v3, v37
	v_fmac_f32_e32 v43, v4, v40
	s_delay_alu instid0(VALU_DEP_4) | instskip(SKIP_4) | instid1(VALU_DEP_4)
	v_add_f32_e32 v16, v16, v48
	v_mul_f32_e32 v48, v1, v72
	v_fmac_f32_e32 v76, v4, v73
	v_dual_fmac_f32 v54, v2, v53 :: v_dual_fmac_f32 v39, v4, v36
	v_add_f32_e32 v28, v28, v43
	v_fmac_f32_e32 v48, v2, v71
	s_delay_alu instid0(VALU_DEP_4) | instskip(NEXT) | instid1(VALU_DEP_4)
	v_add_f32_e32 v20, v20, v76
	v_dual_fmac_f32 v54, v3, v52 :: v_dual_add_f32 v29, v29, v39
	s_delay_alu instid0(VALU_DEP_3) | instskip(NEXT) | instid1(VALU_DEP_2)
	v_dual_mul_f32 v35, v1, v35 :: v_dual_fmac_f32 v48, v3, v70
	v_dual_fmac_f32 v47, v3, v45 :: v_dual_fmac_f32 v54, v4, v51
	s_delay_alu instid0(VALU_DEP_2) | instskip(SKIP_1) | instid1(VALU_DEP_3)
	v_dual_fmac_f32 v35, v2, v34 :: v_dual_fmac_f32 v48, v4, v69
	v_fmac_f32_e32 v50, v3, v82
	v_add_f32_e32 v25, v25, v54
	s_delay_alu instid0(VALU_DEP_4) | instskip(NEXT) | instid1(VALU_DEP_4)
	v_fmac_f32_e32 v47, v4, v44
	v_fmac_f32_e32 v35, v3, v33
	s_delay_alu instid0(VALU_DEP_4) | instskip(SKIP_1) | instid1(VALU_DEP_3)
	v_dual_add_f32 v21, v21, v48 :: v_dual_fmac_f32 v50, v4, v81
	v_add_f32_e32 v22, v22, v49
	v_dual_add_f32 v26, v26, v47 :: v_dual_fmac_f32 v35, v4, v32
	s_delay_alu instid0(VALU_DEP_3) | instskip(SKIP_2) | instid1(VALU_DEP_2)
	v_add_f32_e32 v18, v18, v50
	v_mul_f32_e32 v50, v1, v62
	v_mul_f32_e32 v1, v1, v85
	v_dual_add_f32 v27, v27, v35 :: v_dual_fmac_f32 v50, v2, v61
	s_delay_alu instid0(VALU_DEP_2) | instskip(SKIP_1) | instid1(VALU_DEP_3)
	v_fmac_f32_e32 v1, v2, v84
	v_fmac_f32_e32 v58, v2, v57
	;; [unrolled: 1-line block ×3, first 2 shown]
	s_delay_alu instid0(VALU_DEP_3) | instskip(NEXT) | instid1(VALU_DEP_3)
	v_fmac_f32_e32 v1, v3, v10
	v_fmac_f32_e32 v58, v3, v56
	s_delay_alu instid0(VALU_DEP_3) | instskip(NEXT) | instid1(VALU_DEP_3)
	v_fmac_f32_e32 v50, v4, v59
	v_fmac_f32_e32 v1, v4, v9
	s_delay_alu instid0(VALU_DEP_2) | instskip(NEXT) | instid1(VALU_DEP_1)
	v_dual_fmac_f32 v58, v4, v55 :: v_dual_add_f32 v23, v23, v50
	v_dual_add_f32 v15, v15, v1 :: v_dual_add_f32 v24, v24, v58
	s_wait_alu 0xfffe
	s_and_not1_b32 exec_lo, exec_lo, s7
	s_cbranch_execz .LBB221_63
.LBB221_33:                             ; =>This Inner Loop Header: Depth=1
	global_load_b32 v1, v[7:8], off
	s_wait_alu 0xfffe
	v_cmp_eq_u32_e32 vcc_lo, s30, v66
	v_add_nc_u32_e32 v50, -1, v30
	s_wait_loadcnt 0x0
	v_mad_co_i64_i32 v[9:10], null, v1, s2, v[5:6]
	ds_load_b128 v[1:4], v31
	global_load_b32 v32, v[9:10], off
	s_wait_loadcnt 0x0
	v_lshrrev_b32_e32 v34, 16, v32
	s_delay_alu instid0(VALU_DEP_1) | instskip(SKIP_1) | instid1(VALU_DEP_1)
	v_cvt_pk_f32_fp8_e32 v[36:37], v34
	v_and_b32_e32 v33, 0xffff, v32
	v_cvt_pk_f32_fp8_e32 v[32:33], v33
	v_add_nc_u32_e32 v48, -3, v30
	s_delay_alu instid0(VALU_DEP_2) | instskip(NEXT) | instid1(VALU_DEP_3)
	v_dual_mul_f32 v34, s6, v33 :: v_dual_add_nc_u32 v49, -2, v30
	v_mul_f32_e32 v35, s3, v32
	v_dual_mul_f32 v33, s3, v36 :: v_dual_mul_f32 v32, s6, v37
	s_and_saveexec_b32 s8, vcc_lo
	s_cbranch_execz .LBB221_35
; %bb.34:                               ;   in Loop: Header=BB221_33 Depth=1
	v_cmp_gt_i32_e64 s0, s27, v48
	s_wait_alu 0xf1ff
	s_delay_alu instid0(VALU_DEP_1) | instskip(SKIP_2) | instid1(VALU_DEP_1)
	v_cndmask_b32_e64 v35, 0, v35, s0
	v_cmp_gt_i32_e64 s0, s27, v49
	s_wait_alu 0xf1ff
	v_cndmask_b32_e64 v34, 0, v34, s0
	v_cmp_gt_i32_e64 s0, s27, v50
	s_wait_alu 0xf1ff
	s_delay_alu instid0(VALU_DEP_1) | instskip(SKIP_2) | instid1(VALU_DEP_1)
	v_cndmask_b32_e64 v33, 0, v33, s0
	v_cmp_gt_i32_e64 s0, s27, v30
	s_wait_alu 0xf1ff
	v_cndmask_b32_e64 v32, 0, v32, s0
.LBB221_35:                             ;   in Loop: Header=BB221_33 Depth=1
	s_wait_alu 0xfffe
	s_or_b32 exec_lo, exec_lo, s8
	global_load_b32 v36, v[9:10], off offset:128
	s_wait_loadcnt 0x0
	v_lshrrev_b32_e32 v38, 16, v36
	s_delay_alu instid0(VALU_DEP_1) | instskip(SKIP_1) | instid1(VALU_DEP_1)
	v_cvt_pk_f32_fp8_e32 v[40:41], v38
	v_and_b32_e32 v37, 0xffff, v36
	v_cvt_pk_f32_fp8_e32 v[36:37], v37
	s_delay_alu instid0(VALU_DEP_1) | instskip(NEXT) | instid1(VALU_DEP_4)
	v_dual_mul_f32 v39, s3, v36 :: v_dual_mul_f32 v38, s6, v37
	v_dual_mul_f32 v37, s3, v40 :: v_dual_mul_f32 v36, s6, v41
	s_and_saveexec_b32 s8, vcc_lo
	s_cbranch_execz .LBB221_37
; %bb.36:                               ;   in Loop: Header=BB221_33 Depth=1
	v_cmp_gt_i32_e64 s0, s27, v48
	s_wait_alu 0xf1ff
	s_delay_alu instid0(VALU_DEP_1) | instskip(SKIP_2) | instid1(VALU_DEP_1)
	v_cndmask_b32_e64 v39, 0, v39, s0
	v_cmp_gt_i32_e64 s0, s27, v49
	s_wait_alu 0xf1ff
	v_cndmask_b32_e64 v38, 0, v38, s0
	v_cmp_gt_i32_e64 s0, s27, v50
	s_wait_alu 0xf1ff
	s_delay_alu instid0(VALU_DEP_1) | instskip(SKIP_2) | instid1(VALU_DEP_1)
	v_cndmask_b32_e64 v37, 0, v37, s0
	v_cmp_gt_i32_e64 s0, s27, v30
	s_wait_alu 0xf1ff
	v_cndmask_b32_e64 v36, 0, v36, s0
.LBB221_37:                             ;   in Loop: Header=BB221_33 Depth=1
	s_wait_alu 0xfffe
	s_or_b32 exec_lo, exec_lo, s8
	global_load_b32 v40, v[9:10], off offset:256
	s_wait_loadcnt 0x0
	v_lshrrev_b32_e32 v42, 16, v40
	s_delay_alu instid0(VALU_DEP_1) | instskip(SKIP_1) | instid1(VALU_DEP_1)
	v_cvt_pk_f32_fp8_e32 v[44:45], v42
	v_and_b32_e32 v41, 0xffff, v40
	v_cvt_pk_f32_fp8_e32 v[40:41], v41
	s_delay_alu instid0(VALU_DEP_1) | instskip(NEXT) | instid1(VALU_DEP_4)
	v_dual_mul_f32 v43, s3, v40 :: v_dual_mul_f32 v42, s6, v41
	v_dual_mul_f32 v41, s3, v44 :: v_dual_mul_f32 v40, s6, v45
	s_and_saveexec_b32 s8, vcc_lo
	s_cbranch_execz .LBB221_39
; %bb.38:                               ;   in Loop: Header=BB221_33 Depth=1
	v_cmp_gt_i32_e64 s0, s27, v48
	s_wait_alu 0xf1ff
	s_delay_alu instid0(VALU_DEP_1) | instskip(SKIP_2) | instid1(VALU_DEP_1)
	v_cndmask_b32_e64 v43, 0, v43, s0
	v_cmp_gt_i32_e64 s0, s27, v49
	s_wait_alu 0xf1ff
	v_cndmask_b32_e64 v42, 0, v42, s0
	v_cmp_gt_i32_e64 s0, s27, v50
	s_wait_alu 0xf1ff
	s_delay_alu instid0(VALU_DEP_1) | instskip(SKIP_2) | instid1(VALU_DEP_1)
	v_cndmask_b32_e64 v41, 0, v41, s0
	v_cmp_gt_i32_e64 s0, s27, v30
	s_wait_alu 0xf1ff
	v_cndmask_b32_e64 v40, 0, v40, s0
.LBB221_39:                             ;   in Loop: Header=BB221_33 Depth=1
	s_wait_alu 0xfffe
	s_or_b32 exec_lo, exec_lo, s8
	global_load_b32 v44, v[9:10], off offset:384
	s_wait_loadcnt 0x0
	v_and_b32_e32 v45, 0xffff, v44
	v_lshrrev_b32_e32 v46, 16, v44
	s_delay_alu instid0(VALU_DEP_2) | instskip(NEXT) | instid1(VALU_DEP_2)
	v_cvt_pk_f32_fp8_e32 v[44:45], v45
	v_cvt_pk_f32_fp8_e32 v[51:52], v46
	s_delay_alu instid0(VALU_DEP_2) | instskip(NEXT) | instid1(VALU_DEP_2)
	v_dual_mul_f32 v47, s3, v44 :: v_dual_mul_f32 v46, s6, v45
	v_dual_mul_f32 v45, s3, v51 :: v_dual_mul_f32 v44, s6, v52
	s_and_saveexec_b32 s8, vcc_lo
	s_cbranch_execz .LBB221_41
; %bb.40:                               ;   in Loop: Header=BB221_33 Depth=1
	v_cmp_gt_i32_e64 s0, s27, v48
	s_wait_alu 0xf1ff
	s_delay_alu instid0(VALU_DEP_1) | instskip(SKIP_2) | instid1(VALU_DEP_1)
	v_cndmask_b32_e64 v47, 0, v47, s0
	v_cmp_gt_i32_e64 s0, s27, v49
	s_wait_alu 0xf1ff
	v_cndmask_b32_e64 v46, 0, v46, s0
	v_cmp_gt_i32_e64 s0, s27, v50
	s_wait_alu 0xf1ff
	s_delay_alu instid0(VALU_DEP_1) | instskip(SKIP_2) | instid1(VALU_DEP_1)
	v_cndmask_b32_e64 v45, 0, v45, s0
	v_cmp_gt_i32_e64 s0, s27, v30
	s_wait_alu 0xf1ff
	v_cndmask_b32_e64 v44, 0, v44, s0
.LBB221_41:                             ;   in Loop: Header=BB221_33 Depth=1
	s_wait_alu 0xfffe
	s_or_b32 exec_lo, exec_lo, s8
	global_load_b32 v51, v[9:10], off offset:512
	s_wait_loadcnt 0x0
	v_lshrrev_b32_e32 v53, 16, v51
	s_delay_alu instid0(VALU_DEP_1) | instskip(SKIP_1) | instid1(VALU_DEP_1)
	v_cvt_pk_f32_fp8_e32 v[55:56], v53
	v_and_b32_e32 v52, 0xffff, v51
	v_cvt_pk_f32_fp8_e32 v[51:52], v52
	s_delay_alu instid0(VALU_DEP_1) | instskip(NEXT) | instid1(VALU_DEP_4)
	v_dual_mul_f32 v54, s3, v51 :: v_dual_mul_f32 v53, s6, v52
	v_dual_mul_f32 v52, s3, v55 :: v_dual_mul_f32 v51, s6, v56
	s_and_saveexec_b32 s8, vcc_lo
	s_cbranch_execz .LBB221_43
; %bb.42:                               ;   in Loop: Header=BB221_33 Depth=1
	v_cmp_gt_i32_e64 s0, s27, v48
	s_wait_alu 0xf1ff
	s_delay_alu instid0(VALU_DEP_1) | instskip(SKIP_2) | instid1(VALU_DEP_1)
	v_cndmask_b32_e64 v54, 0, v54, s0
	v_cmp_gt_i32_e64 s0, s27, v49
	s_wait_alu 0xf1ff
	v_cndmask_b32_e64 v53, 0, v53, s0
	v_cmp_gt_i32_e64 s0, s27, v50
	s_wait_alu 0xf1ff
	s_delay_alu instid0(VALU_DEP_1) | instskip(SKIP_2) | instid1(VALU_DEP_1)
	v_cndmask_b32_e64 v52, 0, v52, s0
	v_cmp_gt_i32_e64 s0, s27, v30
	s_wait_alu 0xf1ff
	v_cndmask_b32_e64 v51, 0, v51, s0
.LBB221_43:                             ;   in Loop: Header=BB221_33 Depth=1
	s_wait_alu 0xfffe
	s_or_b32 exec_lo, exec_lo, s8
	global_load_b32 v55, v[9:10], off offset:640
	s_wait_loadcnt 0x0
	v_lshrrev_b32_e32 v57, 16, v55
	s_delay_alu instid0(VALU_DEP_1) | instskip(SKIP_1) | instid1(VALU_DEP_1)
	v_cvt_pk_f32_fp8_e32 v[59:60], v57
	v_and_b32_e32 v56, 0xffff, v55
	v_cvt_pk_f32_fp8_e32 v[55:56], v56
	s_delay_alu instid0(VALU_DEP_1) | instskip(NEXT) | instid1(VALU_DEP_4)
	;; [unrolled: 30-line block ×7, first 2 shown]
	v_dual_mul_f32 v80, s3, v77 :: v_dual_mul_f32 v79, s6, v78
	v_dual_mul_f32 v78, s3, v81 :: v_dual_mul_f32 v77, s6, v82
	s_and_saveexec_b32 s8, vcc_lo
	s_cbranch_execz .LBB221_55
; %bb.54:                               ;   in Loop: Header=BB221_33 Depth=1
	v_cmp_gt_i32_e64 s0, s27, v48
	s_wait_alu 0xf1ff
	s_delay_alu instid0(VALU_DEP_1) | instskip(SKIP_2) | instid1(VALU_DEP_1)
	v_cndmask_b32_e64 v80, 0, v80, s0
	v_cmp_gt_i32_e64 s0, s27, v49
	s_wait_alu 0xf1ff
	v_cndmask_b32_e64 v79, 0, v79, s0
	v_cmp_gt_i32_e64 s0, s27, v50
	s_wait_alu 0xf1ff
	s_delay_alu instid0(VALU_DEP_1) | instskip(SKIP_2) | instid1(VALU_DEP_1)
	v_cndmask_b32_e64 v78, 0, v78, s0
	v_cmp_gt_i32_e64 s0, s27, v30
	s_wait_alu 0xf1ff
	v_cndmask_b32_e64 v77, 0, v77, s0
.LBB221_55:                             ;   in Loop: Header=BB221_33 Depth=1
	s_wait_alu 0xfffe
	s_or_b32 exec_lo, exec_lo, s8
	global_load_b32 v81, v[9:10], off offset:1408
	s_wait_loadcnt 0x0
	v_and_b32_e32 v82, 0xffff, v81
	v_lshrrev_b32_e32 v83, 16, v81
	s_delay_alu instid0(VALU_DEP_2) | instskip(NEXT) | instid1(VALU_DEP_2)
	v_cvt_pk_f32_fp8_e32 v[81:82], v82
	v_cvt_pk_f32_fp8_e32 v[84:85], v83
	s_delay_alu instid0(VALU_DEP_2) | instskip(NEXT) | instid1(VALU_DEP_2)
	v_dual_mul_f32 v86, s3, v81 :: v_dual_mul_f32 v83, s6, v82
	v_dual_mul_f32 v82, s3, v84 :: v_dual_mul_f32 v81, s6, v85
	s_and_saveexec_b32 s8, vcc_lo
	s_cbranch_execz .LBB221_57
; %bb.56:                               ;   in Loop: Header=BB221_33 Depth=1
	v_cmp_gt_i32_e64 s0, s27, v48
	s_wait_alu 0xf1ff
	s_delay_alu instid0(VALU_DEP_1) | instskip(SKIP_2) | instid1(VALU_DEP_1)
	v_cndmask_b32_e64 v86, 0, v86, s0
	v_cmp_gt_i32_e64 s0, s27, v49
	s_wait_alu 0xf1ff
	v_cndmask_b32_e64 v83, 0, v83, s0
	v_cmp_gt_i32_e64 s0, s27, v50
	s_wait_alu 0xf1ff
	s_delay_alu instid0(VALU_DEP_1) | instskip(SKIP_2) | instid1(VALU_DEP_1)
	v_cndmask_b32_e64 v82, 0, v82, s0
	v_cmp_gt_i32_e64 s0, s27, v30
	s_wait_alu 0xf1ff
	v_cndmask_b32_e64 v81, 0, v81, s0
.LBB221_57:                             ;   in Loop: Header=BB221_33 Depth=1
	s_wait_alu 0xfffe
	s_or_b32 exec_lo, exec_lo, s8
	global_load_b32 v84, v[9:10], off offset:1536
	s_wait_loadcnt 0x0
	v_lshrrev_b32_e32 v87, 16, v84
	s_delay_alu instid0(VALU_DEP_1) | instskip(NEXT) | instid1(VALU_DEP_1)
	v_cvt_pk_f32_fp8_e32 v[91:92], v87
	v_dual_mul_f32 v88, s3, v91 :: v_dual_and_b32 v85, 0xffff, v84
	s_delay_alu instid0(VALU_DEP_1) | instskip(NEXT) | instid1(VALU_DEP_3)
	v_cvt_pk_f32_fp8_e32 v[84:85], v85
	v_mul_f32_e32 v87, s6, v92
	s_delay_alu instid0(VALU_DEP_2)
	v_dual_mul_f32 v90, s3, v84 :: v_dual_mul_f32 v89, s6, v85
	s_and_saveexec_b32 s8, vcc_lo
	s_cbranch_execz .LBB221_59
; %bb.58:                               ;   in Loop: Header=BB221_33 Depth=1
	v_cmp_gt_i32_e64 s0, s27, v48
	s_wait_alu 0xf1ff
	s_delay_alu instid0(VALU_DEP_1) | instskip(SKIP_2) | instid1(VALU_DEP_1)
	v_cndmask_b32_e64 v90, 0, v90, s0
	v_cmp_gt_i32_e64 s0, s27, v49
	s_wait_alu 0xf1ff
	v_cndmask_b32_e64 v89, 0, v89, s0
	v_cmp_gt_i32_e64 s0, s27, v50
	s_wait_alu 0xf1ff
	s_delay_alu instid0(VALU_DEP_1) | instskip(SKIP_2) | instid1(VALU_DEP_1)
	v_cndmask_b32_e64 v88, 0, v88, s0
	v_cmp_gt_i32_e64 s0, s27, v30
	s_wait_alu 0xf1ff
	v_cndmask_b32_e64 v87, 0, v87, s0
.LBB221_59:                             ;   in Loop: Header=BB221_33 Depth=1
	s_wait_alu 0xfffe
	s_or_b32 exec_lo, exec_lo, s8
	global_load_b32 v84, v[9:10], off offset:1664
	s_wait_loadcnt 0x0
	v_lshrrev_b32_e32 v91, 16, v84
	s_delay_alu instid0(VALU_DEP_1) | instskip(NEXT) | instid1(VALU_DEP_1)
	v_cvt_pk_f32_fp8_e32 v[95:96], v91
	v_dual_mul_f32 v92, s3, v95 :: v_dual_and_b32 v85, 0xffff, v84
	s_delay_alu instid0(VALU_DEP_1) | instskip(NEXT) | instid1(VALU_DEP_3)
	v_cvt_pk_f32_fp8_e32 v[84:85], v85
	v_mul_f32_e32 v91, s6, v96
	s_delay_alu instid0(VALU_DEP_2)
	v_dual_mul_f32 v94, s3, v84 :: v_dual_mul_f32 v93, s6, v85
	s_and_saveexec_b32 s8, vcc_lo
	s_cbranch_execz .LBB221_61
; %bb.60:                               ;   in Loop: Header=BB221_33 Depth=1
	v_cmp_gt_i32_e64 s0, s27, v48
	s_wait_alu 0xf1ff
	s_delay_alu instid0(VALU_DEP_1) | instskip(SKIP_2) | instid1(VALU_DEP_1)
	v_cndmask_b32_e64 v94, 0, v94, s0
	v_cmp_gt_i32_e64 s0, s27, v49
	s_wait_alu 0xf1ff
	v_cndmask_b32_e64 v93, 0, v93, s0
	v_cmp_gt_i32_e64 s0, s27, v50
	s_wait_alu 0xf1ff
	s_delay_alu instid0(VALU_DEP_1) | instskip(SKIP_2) | instid1(VALU_DEP_1)
	v_cndmask_b32_e64 v92, 0, v92, s0
	v_cmp_gt_i32_e64 s0, s27, v30
	s_wait_alu 0xf1ff
	v_cndmask_b32_e64 v91, 0, v91, s0
.LBB221_61:                             ;   in Loop: Header=BB221_33 Depth=1
	s_wait_alu 0xfffe
	s_or_b32 exec_lo, exec_lo, s8
	global_load_b32 v9, v[9:10], off offset:1792
	s_wait_loadcnt 0x0
	v_lshrrev_b32_e32 v84, 16, v9
	s_delay_alu instid0(VALU_DEP_1) | instskip(SKIP_1) | instid1(VALU_DEP_1)
	v_cvt_pk_f32_fp8_e32 v[95:96], v84
	v_and_b32_e32 v10, 0xffff, v9
	v_cvt_pk_f32_fp8_e32 v[9:10], v10
	s_delay_alu instid0(VALU_DEP_1) | instskip(NEXT) | instid1(VALU_DEP_4)
	v_dual_mul_f32 v85, s3, v9 :: v_dual_mul_f32 v84, s6, v10
	v_dual_mul_f32 v10, s3, v95 :: v_dual_mul_f32 v9, s6, v96
	s_and_saveexec_b32 s0, vcc_lo
	s_cbranch_execz .LBB221_32
; %bb.62:                               ;   in Loop: Header=BB221_33 Depth=1
	v_cmp_gt_i32_e32 vcc_lo, s27, v48
	s_wait_alu 0xfffd
	v_cndmask_b32_e32 v85, 0, v85, vcc_lo
	v_cmp_gt_i32_e32 vcc_lo, s27, v49
	s_wait_alu 0xfffd
	v_cndmask_b32_e32 v84, 0, v84, vcc_lo
	;; [unrolled: 3-line block ×4, first 2 shown]
	s_branch .LBB221_32
.LBB221_63:
	s_or_b32 exec_lo, exec_lo, s7
.LBB221_64:
	s_wait_alu 0xfffe
	s_or_b32 exec_lo, exec_lo, s1
	ds_bpermute_b32 v1, v12, v27
	ds_bpermute_b32 v2, v12, v29
	;; [unrolled: 1-line block ×15, first 2 shown]
	s_mov_b32 s0, exec_lo
	s_wait_storecnt 0x0
	s_wait_loadcnt_dscnt 0x0
	s_barrier_signal -1
	s_barrier_wait -1
	global_inv scope:SCOPE_SE
	v_dual_add_f32 v1, v27, v1 :: v_dual_add_f32 v2, v29, v2
	v_dual_add_f32 v7, v23, v7 :: v_dual_add_f32 v8, v22, v8
	;; [unrolled: 1-line block ×3, first 2 shown]
	ds_bpermute_b32 v23, v13, v1
	v_dual_add_f32 v3, v28, v3 :: v_dual_add_f32 v4, v26, v4
	v_dual_add_f32 v5, v25, v5 :: v_dual_add_f32 v6, v24, v6
	;; [unrolled: 1-line block ×3, first 2 shown]
	ds_bpermute_b32 v20, v13, v8
	v_dual_add_f32 v17, v17, v32 :: v_dual_add_f32 v16, v16, v33
	ds_bpermute_b32 v31, v13, v18
	v_add_f32_e32 v32, v15, v12
	ds_bpermute_b32 v24, v13, v2
	ds_bpermute_b32 v25, v13, v3
	;; [unrolled: 1-line block ×11, first 2 shown]
	s_wait_dscnt 0xd
	v_add_f32_e32 v1, v1, v23
	ds_bpermute_b32 v34, v13, v32
	s_wait_dscnt 0xd
	v_add_f32_e32 v8, v8, v20
	s_wait_dscnt 0xc
	v_dual_add_f32 v13, v18, v31 :: v_dual_and_b32 v20, 0x3c3, v0
	v_and_b32_e32 v18, 28, v11
	s_wait_dscnt 0xa
	v_dual_add_f32 v2, v2, v24 :: v_dual_add_f32 v3, v3, v25
	s_wait_dscnt 0x8
	v_dual_add_f32 v4, v4, v26 :: v_dual_add_f32 v5, v5, v27
	;; [unrolled: 2-line block ×5, first 2 shown]
	s_wait_dscnt 0x1
	v_add_f32_e32 v16, v16, v33
	v_lshrrev_b32_e32 v11, 2, v11
	s_wait_dscnt 0x0
	v_add_f32_e32 v17, v32, v34
	v_add_nc_u32_e32 v18, 0x200, v18
	v_mul_u32_u24_e32 v19, 0x1e0, v65
	v_cmpx_eq_u32_e32 64, v20
	s_cbranch_execz .LBB221_66
; %bb.65:
	s_delay_alu instid0(VALU_DEP_2) | instskip(NEXT) | instid1(VALU_DEP_1)
	v_add_nc_u32_e32 v20, v18, v19
	v_add_nc_u32_e32 v21, 0xfffffc40, v20
	;; [unrolled: 1-line block ×9, first 2 shown]
	ds_store_b32 v21, v1
	ds_store_b32 v22, v2
	;; [unrolled: 1-line block ×8, first 2 shown]
	v_add_nc_u32_e32 v21, 0xfffffd40, v20
	v_add_nc_u32_e32 v22, 0xfffffd60, v20
	;; [unrolled: 1-line block ×7, first 2 shown]
	ds_store_b32 v21, v9
	ds_store_b32 v22, v10
	;; [unrolled: 1-line block ×7, first 2 shown]
.LBB221_66:
	s_wait_alu 0xfffe
	s_or_b32 exec_lo, exec_lo, s0
	v_lshlrev_b32_e32 v11, 2, v11
	s_mov_b32 s1, exec_lo
	v_cmp_eq_u32_e32 vcc_lo, 0, v14
	s_wait_loadcnt_dscnt 0x0
	s_barrier_signal -1
	v_add3_u32 v11, 0x200, v19, v11
	s_barrier_wait -1
	global_inv scope:SCOPE_SE
	v_cmpx_gt_u32_e32 64, v0
	s_cbranch_execz .LBB221_84
; %bb.67:
	s_and_saveexec_b32 s0, vcc_lo
	s_cbranch_execnz .LBB221_107
; %bb.68:
	s_wait_alu 0xfffe
	s_or_b32 exec_lo, exec_lo, s0
	s_and_saveexec_b32 s0, vcc_lo
	s_cbranch_execnz .LBB221_108
.LBB221_69:
	s_wait_alu 0xfffe
	s_or_b32 exec_lo, exec_lo, s0
	s_and_saveexec_b32 s0, vcc_lo
	s_cbranch_execnz .LBB221_109
.LBB221_70:
	s_wait_alu 0xfffe
	s_or_b32 exec_lo, exec_lo, s0
	s_and_saveexec_b32 s0, vcc_lo
	s_cbranch_execnz .LBB221_110
.LBB221_71:
	s_wait_alu 0xfffe
	s_or_b32 exec_lo, exec_lo, s0
	s_and_saveexec_b32 s0, vcc_lo
	s_cbranch_execnz .LBB221_111
.LBB221_72:
	s_wait_alu 0xfffe
	s_or_b32 exec_lo, exec_lo, s0
	s_and_saveexec_b32 s0, vcc_lo
	s_cbranch_execnz .LBB221_112
.LBB221_73:
	s_wait_alu 0xfffe
	s_or_b32 exec_lo, exec_lo, s0
	s_and_saveexec_b32 s0, vcc_lo
	s_cbranch_execnz .LBB221_113
.LBB221_74:
	s_wait_alu 0xfffe
	s_or_b32 exec_lo, exec_lo, s0
	s_and_saveexec_b32 s0, vcc_lo
	s_cbranch_execnz .LBB221_114
.LBB221_75:
	s_wait_alu 0xfffe
	s_or_b32 exec_lo, exec_lo, s0
	s_and_saveexec_b32 s0, vcc_lo
	s_cbranch_execnz .LBB221_115
.LBB221_76:
	s_wait_alu 0xfffe
	s_or_b32 exec_lo, exec_lo, s0
	s_and_saveexec_b32 s0, vcc_lo
	s_cbranch_execnz .LBB221_116
.LBB221_77:
	s_wait_alu 0xfffe
	s_or_b32 exec_lo, exec_lo, s0
	s_and_saveexec_b32 s0, vcc_lo
	s_cbranch_execnz .LBB221_117
.LBB221_78:
	s_wait_alu 0xfffe
	s_or_b32 exec_lo, exec_lo, s0
	s_and_saveexec_b32 s0, vcc_lo
	s_cbranch_execnz .LBB221_118
.LBB221_79:
	s_wait_alu 0xfffe
	s_or_b32 exec_lo, exec_lo, s0
	s_and_saveexec_b32 s0, vcc_lo
	s_cbranch_execnz .LBB221_119
.LBB221_80:
	s_wait_alu 0xfffe
	s_or_b32 exec_lo, exec_lo, s0
	s_and_saveexec_b32 s0, vcc_lo
	s_cbranch_execnz .LBB221_120
.LBB221_81:
	s_wait_alu 0xfffe
	s_or_b32 exec_lo, exec_lo, s0
	s_and_saveexec_b32 s0, vcc_lo
	s_cbranch_execz .LBB221_83
.LBB221_82:
	ds_load_b32 v14, v11 offset:448
	s_wait_dscnt 0x0
	v_add_f32_e32 v17, v17, v14
.LBB221_83:
	s_wait_alu 0xfffe
	s_or_b32 exec_lo, exec_lo, s0
.LBB221_84:
	s_wait_alu 0xfffe
	s_or_b32 exec_lo, exec_lo, s1
	v_and_b32_e32 v14, 0x3e3, v0
	s_mov_b32 s1, exec_lo
	s_wait_loadcnt 0x0
	s_barrier_signal -1
	s_barrier_wait -1
	global_inv scope:SCOPE_SE
	v_cmpx_eq_u32_e32 32, v14
	s_cbranch_execz .LBB221_86
; %bb.85:
	ds_store_2addr_b32 v18, v1, v2 offset1:8
	ds_store_2addr_b32 v18, v3, v4 offset0:16 offset1:24
	ds_store_2addr_b32 v18, v5, v6 offset0:32 offset1:40
	;; [unrolled: 1-line block ×6, first 2 shown]
	ds_store_b32 v18, v17 offset:448
.LBB221_86:
	s_wait_alu 0xfffe
	s_or_b32 exec_lo, exec_lo, s1
	s_delay_alu instid0(SALU_CYCLE_1)
	s_mov_b32 s1, exec_lo
	s_wait_loadcnt_dscnt 0x0
	s_barrier_signal -1
	s_barrier_wait -1
	global_inv scope:SCOPE_SE
	v_cmpx_gt_u32_e32 32, v0
	s_cbranch_execz .LBB221_104
; %bb.87:
	s_and_saveexec_b32 s0, vcc_lo
	s_cbranch_execnz .LBB221_121
; %bb.88:
	s_wait_alu 0xfffe
	s_or_b32 exec_lo, exec_lo, s0
	s_and_saveexec_b32 s0, vcc_lo
	s_cbranch_execnz .LBB221_122
.LBB221_89:
	s_wait_alu 0xfffe
	s_or_b32 exec_lo, exec_lo, s0
	s_and_saveexec_b32 s0, vcc_lo
	s_cbranch_execnz .LBB221_123
.LBB221_90:
	s_wait_alu 0xfffe
	s_or_b32 exec_lo, exec_lo, s0
	s_and_saveexec_b32 s0, vcc_lo
	s_cbranch_execnz .LBB221_124
.LBB221_91:
	s_wait_alu 0xfffe
	s_or_b32 exec_lo, exec_lo, s0
	s_and_saveexec_b32 s0, vcc_lo
	s_cbranch_execnz .LBB221_125
.LBB221_92:
	s_wait_alu 0xfffe
	s_or_b32 exec_lo, exec_lo, s0
	s_and_saveexec_b32 s0, vcc_lo
	s_cbranch_execnz .LBB221_126
.LBB221_93:
	s_wait_alu 0xfffe
	s_or_b32 exec_lo, exec_lo, s0
	s_and_saveexec_b32 s0, vcc_lo
	s_cbranch_execnz .LBB221_127
.LBB221_94:
	s_wait_alu 0xfffe
	s_or_b32 exec_lo, exec_lo, s0
	s_and_saveexec_b32 s0, vcc_lo
	s_cbranch_execnz .LBB221_128
.LBB221_95:
	s_wait_alu 0xfffe
	s_or_b32 exec_lo, exec_lo, s0
	s_and_saveexec_b32 s0, vcc_lo
	s_cbranch_execnz .LBB221_129
.LBB221_96:
	s_wait_alu 0xfffe
	s_or_b32 exec_lo, exec_lo, s0
	s_and_saveexec_b32 s0, vcc_lo
	s_cbranch_execnz .LBB221_130
.LBB221_97:
	s_wait_alu 0xfffe
	s_or_b32 exec_lo, exec_lo, s0
	s_and_saveexec_b32 s0, vcc_lo
	s_cbranch_execnz .LBB221_131
.LBB221_98:
	s_wait_alu 0xfffe
	s_or_b32 exec_lo, exec_lo, s0
	s_and_saveexec_b32 s0, vcc_lo
	s_cbranch_execnz .LBB221_132
.LBB221_99:
	s_wait_alu 0xfffe
	s_or_b32 exec_lo, exec_lo, s0
	s_and_saveexec_b32 s0, vcc_lo
	s_cbranch_execnz .LBB221_133
.LBB221_100:
	s_wait_alu 0xfffe
	s_or_b32 exec_lo, exec_lo, s0
	s_and_saveexec_b32 s0, vcc_lo
	s_cbranch_execnz .LBB221_134
.LBB221_101:
	s_wait_alu 0xfffe
	s_or_b32 exec_lo, exec_lo, s0
	s_and_saveexec_b32 s0, vcc_lo
	s_cbranch_execz .LBB221_103
.LBB221_102:
	ds_load_b32 v11, v11 offset:448
	s_wait_dscnt 0x0
	v_add_f32_e32 v17, v17, v11
.LBB221_103:
	s_wait_alu 0xfffe
	s_or_b32 exec_lo, exec_lo, s0
.LBB221_104:
	s_wait_alu 0xfffe
	s_or_b32 exec_lo, exec_lo, s1
	s_mov_b32 s1, 0
	s_wait_loadcnt 0x0
	s_barrier_signal -1
	s_barrier_wait -1
	global_inv scope:SCOPE_SE
	s_mov_b32 s0, exec_lo
	v_cmpx_eq_u32_e32 0, v14
	s_cbranch_execz .LBB221_106
; %bb.105:
	s_mul_i32 s2, s14, 0x78
	s_mul_i32 s6, s12, s16
	s_wait_alu 0xfffe
	s_ashr_i32 s3, s2, 31
	s_ashr_i32 s7, s6, 31
	s_wait_alu 0xfffe
	s_lshl_b64 s[2:3], s[2:3], 2
	s_lshl_b64 s[6:7], s[6:7], 2
	s_wait_kmcnt 0x0
	s_wait_alu 0xfffe
	s_add_nc_u64 s[2:3], s[4:5], s[2:3]
	s_mul_i32 s0, s26, 0x1e0
	s_wait_alu 0xfffe
	s_add_nc_u64 s[2:3], s[2:3], s[6:7]
	s_wait_alu 0xfffe
	s_add_nc_u64 s[0:1], s[2:3], s[0:1]
	s_clause 0xe
	global_store_b32 v0, v1, s[0:1]
	global_store_b32 v0, v2, s[0:1] offset:32
	global_store_b32 v0, v3, s[0:1] offset:64
	;; [unrolled: 1-line block ×14, first 2 shown]
.LBB221_106:
	s_nop 0
	s_sendmsg sendmsg(MSG_DEALLOC_VGPRS)
	s_endpgm
.LBB221_107:
	ds_load_b32 v14, v11
	s_wait_dscnt 0x0
	v_add_f32_e32 v1, v1, v14
	s_wait_alu 0xfffe
	s_or_b32 exec_lo, exec_lo, s0
	s_and_saveexec_b32 s0, vcc_lo
	s_cbranch_execz .LBB221_69
.LBB221_108:
	ds_load_b32 v14, v11 offset:32
	s_wait_dscnt 0x0
	v_add_f32_e32 v2, v2, v14
	s_wait_alu 0xfffe
	s_or_b32 exec_lo, exec_lo, s0
	s_and_saveexec_b32 s0, vcc_lo
	s_cbranch_execz .LBB221_70
.LBB221_109:
	ds_load_b32 v14, v11 offset:64
	s_wait_dscnt 0x0
	v_add_f32_e32 v3, v3, v14
	s_wait_alu 0xfffe
	s_or_b32 exec_lo, exec_lo, s0
	s_and_saveexec_b32 s0, vcc_lo
	s_cbranch_execz .LBB221_71
.LBB221_110:
	ds_load_b32 v14, v11 offset:96
	s_wait_dscnt 0x0
	v_add_f32_e32 v4, v4, v14
	s_wait_alu 0xfffe
	s_or_b32 exec_lo, exec_lo, s0
	s_and_saveexec_b32 s0, vcc_lo
	s_cbranch_execz .LBB221_72
.LBB221_111:
	ds_load_b32 v14, v11 offset:128
	s_wait_dscnt 0x0
	v_add_f32_e32 v5, v5, v14
	s_wait_alu 0xfffe
	s_or_b32 exec_lo, exec_lo, s0
	s_and_saveexec_b32 s0, vcc_lo
	s_cbranch_execz .LBB221_73
.LBB221_112:
	ds_load_b32 v14, v11 offset:160
	s_wait_dscnt 0x0
	v_add_f32_e32 v6, v6, v14
	s_wait_alu 0xfffe
	s_or_b32 exec_lo, exec_lo, s0
	s_and_saveexec_b32 s0, vcc_lo
	s_cbranch_execz .LBB221_74
.LBB221_113:
	ds_load_b32 v14, v11 offset:192
	s_wait_dscnt 0x0
	v_add_f32_e32 v7, v7, v14
	s_wait_alu 0xfffe
	s_or_b32 exec_lo, exec_lo, s0
	s_and_saveexec_b32 s0, vcc_lo
	s_cbranch_execz .LBB221_75
.LBB221_114:
	ds_load_b32 v14, v11 offset:224
	s_wait_dscnt 0x0
	v_add_f32_e32 v8, v8, v14
	s_wait_alu 0xfffe
	s_or_b32 exec_lo, exec_lo, s0
	s_and_saveexec_b32 s0, vcc_lo
	s_cbranch_execz .LBB221_76
.LBB221_115:
	ds_load_b32 v14, v11 offset:256
	s_wait_dscnt 0x0
	v_add_f32_e32 v9, v9, v14
	s_wait_alu 0xfffe
	s_or_b32 exec_lo, exec_lo, s0
	s_and_saveexec_b32 s0, vcc_lo
	s_cbranch_execz .LBB221_77
.LBB221_116:
	ds_load_b32 v14, v11 offset:288
	s_wait_dscnt 0x0
	v_add_f32_e32 v10, v10, v14
	s_wait_alu 0xfffe
	s_or_b32 exec_lo, exec_lo, s0
	s_and_saveexec_b32 s0, vcc_lo
	s_cbranch_execz .LBB221_78
.LBB221_117:
	ds_load_b32 v14, v11 offset:320
	s_wait_dscnt 0x0
	v_add_f32_e32 v12, v12, v14
	s_wait_alu 0xfffe
	s_or_b32 exec_lo, exec_lo, s0
	s_and_saveexec_b32 s0, vcc_lo
	s_cbranch_execz .LBB221_79
.LBB221_118:
	ds_load_b32 v14, v11 offset:352
	s_wait_dscnt 0x0
	v_add_f32_e32 v13, v13, v14
	s_wait_alu 0xfffe
	s_or_b32 exec_lo, exec_lo, s0
	s_and_saveexec_b32 s0, vcc_lo
	s_cbranch_execz .LBB221_80
.LBB221_119:
	ds_load_b32 v14, v11 offset:384
	s_wait_dscnt 0x0
	v_add_f32_e32 v15, v15, v14
	s_wait_alu 0xfffe
	s_or_b32 exec_lo, exec_lo, s0
	s_and_saveexec_b32 s0, vcc_lo
	s_cbranch_execz .LBB221_81
.LBB221_120:
	ds_load_b32 v14, v11 offset:416
	s_wait_dscnt 0x0
	v_add_f32_e32 v16, v16, v14
	s_wait_alu 0xfffe
	s_or_b32 exec_lo, exec_lo, s0
	s_and_saveexec_b32 s0, vcc_lo
	s_cbranch_execnz .LBB221_82
	s_branch .LBB221_83
.LBB221_121:
	ds_load_b32 v18, v11
	s_wait_dscnt 0x0
	v_add_f32_e32 v1, v1, v18
	s_wait_alu 0xfffe
	s_or_b32 exec_lo, exec_lo, s0
	s_and_saveexec_b32 s0, vcc_lo
	s_cbranch_execz .LBB221_89
.LBB221_122:
	ds_load_b32 v18, v11 offset:32
	s_wait_dscnt 0x0
	v_add_f32_e32 v2, v2, v18
	s_wait_alu 0xfffe
	s_or_b32 exec_lo, exec_lo, s0
	s_and_saveexec_b32 s0, vcc_lo
	s_cbranch_execz .LBB221_90
.LBB221_123:
	ds_load_b32 v18, v11 offset:64
	s_wait_dscnt 0x0
	v_add_f32_e32 v3, v3, v18
	s_wait_alu 0xfffe
	s_or_b32 exec_lo, exec_lo, s0
	s_and_saveexec_b32 s0, vcc_lo
	s_cbranch_execz .LBB221_91
.LBB221_124:
	ds_load_b32 v18, v11 offset:96
	s_wait_dscnt 0x0
	v_add_f32_e32 v4, v4, v18
	s_wait_alu 0xfffe
	s_or_b32 exec_lo, exec_lo, s0
	s_and_saveexec_b32 s0, vcc_lo
	s_cbranch_execz .LBB221_92
.LBB221_125:
	ds_load_b32 v18, v11 offset:128
	s_wait_dscnt 0x0
	v_add_f32_e32 v5, v5, v18
	s_wait_alu 0xfffe
	s_or_b32 exec_lo, exec_lo, s0
	s_and_saveexec_b32 s0, vcc_lo
	s_cbranch_execz .LBB221_93
.LBB221_126:
	ds_load_b32 v18, v11 offset:160
	s_wait_dscnt 0x0
	v_add_f32_e32 v6, v6, v18
	s_wait_alu 0xfffe
	s_or_b32 exec_lo, exec_lo, s0
	s_and_saveexec_b32 s0, vcc_lo
	s_cbranch_execz .LBB221_94
.LBB221_127:
	ds_load_b32 v18, v11 offset:192
	s_wait_dscnt 0x0
	v_add_f32_e32 v7, v7, v18
	s_wait_alu 0xfffe
	s_or_b32 exec_lo, exec_lo, s0
	s_and_saveexec_b32 s0, vcc_lo
	s_cbranch_execz .LBB221_95
.LBB221_128:
	ds_load_b32 v18, v11 offset:224
	s_wait_dscnt 0x0
	v_add_f32_e32 v8, v8, v18
	s_wait_alu 0xfffe
	s_or_b32 exec_lo, exec_lo, s0
	s_and_saveexec_b32 s0, vcc_lo
	s_cbranch_execz .LBB221_96
.LBB221_129:
	ds_load_b32 v18, v11 offset:256
	s_wait_dscnt 0x0
	v_add_f32_e32 v9, v9, v18
	s_wait_alu 0xfffe
	s_or_b32 exec_lo, exec_lo, s0
	s_and_saveexec_b32 s0, vcc_lo
	s_cbranch_execz .LBB221_97
.LBB221_130:
	ds_load_b32 v18, v11 offset:288
	s_wait_dscnt 0x0
	v_add_f32_e32 v10, v10, v18
	s_wait_alu 0xfffe
	s_or_b32 exec_lo, exec_lo, s0
	s_and_saveexec_b32 s0, vcc_lo
	s_cbranch_execz .LBB221_98
.LBB221_131:
	ds_load_b32 v18, v11 offset:320
	s_wait_dscnt 0x0
	v_add_f32_e32 v12, v12, v18
	s_wait_alu 0xfffe
	s_or_b32 exec_lo, exec_lo, s0
	s_and_saveexec_b32 s0, vcc_lo
	s_cbranch_execz .LBB221_99
.LBB221_132:
	ds_load_b32 v18, v11 offset:352
	s_wait_dscnt 0x0
	v_add_f32_e32 v13, v13, v18
	s_wait_alu 0xfffe
	s_or_b32 exec_lo, exec_lo, s0
	s_and_saveexec_b32 s0, vcc_lo
	s_cbranch_execz .LBB221_100
.LBB221_133:
	ds_load_b32 v18, v11 offset:384
	s_wait_dscnt 0x0
	v_add_f32_e32 v15, v15, v18
	s_wait_alu 0xfffe
	s_or_b32 exec_lo, exec_lo, s0
	s_and_saveexec_b32 s0, vcc_lo
	s_cbranch_execz .LBB221_101
.LBB221_134:
	ds_load_b32 v18, v11 offset:416
	s_wait_dscnt 0x0
	v_add_f32_e32 v16, v16, v18
	s_wait_alu 0xfffe
	s_or_b32 exec_lo, exec_lo, s0
	s_and_saveexec_b32 s0, vcc_lo
	s_cbranch_execnz .LBB221_102
	s_branch .LBB221_103
	.section	.rodata,"a",@progbits
	.p2align	6, 0x0
	.amdhsa_kernel _ZN4vllm25paged_attention_v2_kernelIfhLi120ELi16ELi128ELNS_18Fp8KVCacheDataTypeE1ELb0ELi512EEEvPfS2_PT_PKS3_PKT0_S9_ifPKiSB_iPKfiiiSD_SD_iiiii
		.amdhsa_group_segment_fixed_size 512
		.amdhsa_private_segment_fixed_size 0
		.amdhsa_kernarg_size 400
		.amdhsa_user_sgpr_count 2
		.amdhsa_user_sgpr_dispatch_ptr 0
		.amdhsa_user_sgpr_queue_ptr 0
		.amdhsa_user_sgpr_kernarg_segment_ptr 1
		.amdhsa_user_sgpr_dispatch_id 0
		.amdhsa_user_sgpr_private_segment_size 0
		.amdhsa_wavefront_size32 1
		.amdhsa_uses_dynamic_stack 0
		.amdhsa_enable_private_segment 0
		.amdhsa_system_sgpr_workgroup_id_x 1
		.amdhsa_system_sgpr_workgroup_id_y 1
		.amdhsa_system_sgpr_workgroup_id_z 1
		.amdhsa_system_sgpr_workgroup_info 0
		.amdhsa_system_vgpr_workitem_id 0
		.amdhsa_next_free_vgpr 113
		.amdhsa_next_free_sgpr 38
		.amdhsa_reserve_vcc 1
		.amdhsa_float_round_mode_32 0
		.amdhsa_float_round_mode_16_64 0
		.amdhsa_float_denorm_mode_32 3
		.amdhsa_float_denorm_mode_16_64 3
		.amdhsa_fp16_overflow 0
		.amdhsa_workgroup_processor_mode 1
		.amdhsa_memory_ordered 1
		.amdhsa_forward_progress 1
		.amdhsa_inst_pref_size 75
		.amdhsa_round_robin_scheduling 0
		.amdhsa_exception_fp_ieee_invalid_op 0
		.amdhsa_exception_fp_denorm_src 0
		.amdhsa_exception_fp_ieee_div_zero 0
		.amdhsa_exception_fp_ieee_overflow 0
		.amdhsa_exception_fp_ieee_underflow 0
		.amdhsa_exception_fp_ieee_inexact 0
		.amdhsa_exception_int_div_zero 0
	.end_amdhsa_kernel
	.section	.text._ZN4vllm25paged_attention_v2_kernelIfhLi120ELi16ELi128ELNS_18Fp8KVCacheDataTypeE1ELb0ELi512EEEvPfS2_PT_PKS3_PKT0_S9_ifPKiSB_iPKfiiiSD_SD_iiiii,"axG",@progbits,_ZN4vllm25paged_attention_v2_kernelIfhLi120ELi16ELi128ELNS_18Fp8KVCacheDataTypeE1ELb0ELi512EEEvPfS2_PT_PKS3_PKT0_S9_ifPKiSB_iPKfiiiSD_SD_iiiii,comdat
.Lfunc_end221:
	.size	_ZN4vllm25paged_attention_v2_kernelIfhLi120ELi16ELi128ELNS_18Fp8KVCacheDataTypeE1ELb0ELi512EEEvPfS2_PT_PKS3_PKT0_S9_ifPKiSB_iPKfiiiSD_SD_iiiii, .Lfunc_end221-_ZN4vllm25paged_attention_v2_kernelIfhLi120ELi16ELi128ELNS_18Fp8KVCacheDataTypeE1ELb0ELi512EEEvPfS2_PT_PKS3_PKT0_S9_ifPKiSB_iPKfiiiSD_SD_iiiii
                                        ; -- End function
	.set _ZN4vllm25paged_attention_v2_kernelIfhLi120ELi16ELi128ELNS_18Fp8KVCacheDataTypeE1ELb0ELi512EEEvPfS2_PT_PKS3_PKT0_S9_ifPKiSB_iPKfiiiSD_SD_iiiii.num_vgpr, 113
	.set _ZN4vllm25paged_attention_v2_kernelIfhLi120ELi16ELi128ELNS_18Fp8KVCacheDataTypeE1ELb0ELi512EEEvPfS2_PT_PKS3_PKT0_S9_ifPKiSB_iPKfiiiSD_SD_iiiii.num_agpr, 0
	.set _ZN4vllm25paged_attention_v2_kernelIfhLi120ELi16ELi128ELNS_18Fp8KVCacheDataTypeE1ELb0ELi512EEEvPfS2_PT_PKS3_PKT0_S9_ifPKiSB_iPKfiiiSD_SD_iiiii.numbered_sgpr, 38
	.set _ZN4vllm25paged_attention_v2_kernelIfhLi120ELi16ELi128ELNS_18Fp8KVCacheDataTypeE1ELb0ELi512EEEvPfS2_PT_PKS3_PKT0_S9_ifPKiSB_iPKfiiiSD_SD_iiiii.num_named_barrier, 0
	.set _ZN4vllm25paged_attention_v2_kernelIfhLi120ELi16ELi128ELNS_18Fp8KVCacheDataTypeE1ELb0ELi512EEEvPfS2_PT_PKS3_PKT0_S9_ifPKiSB_iPKfiiiSD_SD_iiiii.private_seg_size, 0
	.set _ZN4vllm25paged_attention_v2_kernelIfhLi120ELi16ELi128ELNS_18Fp8KVCacheDataTypeE1ELb0ELi512EEEvPfS2_PT_PKS3_PKT0_S9_ifPKiSB_iPKfiiiSD_SD_iiiii.uses_vcc, 1
	.set _ZN4vllm25paged_attention_v2_kernelIfhLi120ELi16ELi128ELNS_18Fp8KVCacheDataTypeE1ELb0ELi512EEEvPfS2_PT_PKS3_PKT0_S9_ifPKiSB_iPKfiiiSD_SD_iiiii.uses_flat_scratch, 0
	.set _ZN4vllm25paged_attention_v2_kernelIfhLi120ELi16ELi128ELNS_18Fp8KVCacheDataTypeE1ELb0ELi512EEEvPfS2_PT_PKS3_PKT0_S9_ifPKiSB_iPKfiiiSD_SD_iiiii.has_dyn_sized_stack, 0
	.set _ZN4vllm25paged_attention_v2_kernelIfhLi120ELi16ELi128ELNS_18Fp8KVCacheDataTypeE1ELb0ELi512EEEvPfS2_PT_PKS3_PKT0_S9_ifPKiSB_iPKfiiiSD_SD_iiiii.has_recursion, 0
	.set _ZN4vllm25paged_attention_v2_kernelIfhLi120ELi16ELi128ELNS_18Fp8KVCacheDataTypeE1ELb0ELi512EEEvPfS2_PT_PKS3_PKT0_S9_ifPKiSB_iPKfiiiSD_SD_iiiii.has_indirect_call, 0
	.section	.AMDGPU.csdata,"",@progbits
; Kernel info:
; codeLenInByte = 9524
; TotalNumSgprs: 40
; NumVgprs: 113
; ScratchSize: 0
; MemoryBound: 0
; FloatMode: 240
; IeeeMode: 1
; LDSByteSize: 512 bytes/workgroup (compile time only)
; SGPRBlocks: 0
; VGPRBlocks: 14
; NumSGPRsForWavesPerEU: 40
; NumVGPRsForWavesPerEU: 113
; Occupancy: 12
; WaveLimiterHint : 1
; COMPUTE_PGM_RSRC2:SCRATCH_EN: 0
; COMPUTE_PGM_RSRC2:USER_SGPR: 2
; COMPUTE_PGM_RSRC2:TRAP_HANDLER: 0
; COMPUTE_PGM_RSRC2:TGID_X_EN: 1
; COMPUTE_PGM_RSRC2:TGID_Y_EN: 1
; COMPUTE_PGM_RSRC2:TGID_Z_EN: 1
; COMPUTE_PGM_RSRC2:TIDIG_COMP_CNT: 0
	.section	.text._ZN4vllm25paged_attention_v2_kernelIfhLi128ELi16ELi128ELNS_18Fp8KVCacheDataTypeE1ELb0ELi512EEEvPfS2_PT_PKS3_PKT0_S9_ifPKiSB_iPKfiiiSD_SD_iiiii,"axG",@progbits,_ZN4vllm25paged_attention_v2_kernelIfhLi128ELi16ELi128ELNS_18Fp8KVCacheDataTypeE1ELb0ELi512EEEvPfS2_PT_PKS3_PKT0_S9_ifPKiSB_iPKfiiiSD_SD_iiiii,comdat
	.protected	_ZN4vllm25paged_attention_v2_kernelIfhLi128ELi16ELi128ELNS_18Fp8KVCacheDataTypeE1ELb0ELi512EEEvPfS2_PT_PKS3_PKT0_S9_ifPKiSB_iPKfiiiSD_SD_iiiii ; -- Begin function _ZN4vllm25paged_attention_v2_kernelIfhLi128ELi16ELi128ELNS_18Fp8KVCacheDataTypeE1ELb0ELi512EEEvPfS2_PT_PKS3_PKT0_S9_ifPKiSB_iPKfiiiSD_SD_iiiii
	.globl	_ZN4vllm25paged_attention_v2_kernelIfhLi128ELi16ELi128ELNS_18Fp8KVCacheDataTypeE1ELb0ELi512EEEvPfS2_PT_PKS3_PKT0_S9_ifPKiSB_iPKfiiiSD_SD_iiiii
	.p2align	8
	.type	_ZN4vllm25paged_attention_v2_kernelIfhLi128ELi16ELi128ELNS_18Fp8KVCacheDataTypeE1ELb0ELi512EEEvPfS2_PT_PKS3_PKT0_S9_ifPKiSB_iPKfiiiSD_SD_iiiii,@function
_ZN4vllm25paged_attention_v2_kernelIfhLi128ELi16ELi128ELNS_18Fp8KVCacheDataTypeE1ELb0ELi512EEEvPfS2_PT_PKS3_PKT0_S9_ifPKiSB_iPKfiiiSD_SD_iiiii: ; @_ZN4vllm25paged_attention_v2_kernelIfhLi128ELi16ELi128ELNS_18Fp8KVCacheDataTypeE1ELb0ELi512EEEvPfS2_PT_PKS3_PKT0_S9_ifPKiSB_iPKfiiiSD_SD_iiiii
; %bb.0:
	s_load_b64 s[2:3], s[0:1], 0x40
	s_and_b32 s29, ttmp7, 0xffff
	s_lshr_b32 s28, ttmp7, 16
	s_lshl_b32 s4, s29, 2
	s_lshl_b32 s20, s28, 9
	s_wait_kmcnt 0x0
	s_load_b32 s21, s[2:3], s4 offset:0x0
	s_wait_kmcnt 0x0
	s_cmp_ge_i32 s20, s21
	s_cbranch_scc1 .LBB222_110
; %bb.1:
	s_clause 0x1
	s_load_b32 s30, s[0:1], 0x90
	s_load_b64 s[6:7], s[0:1], 0x30
	s_wait_kmcnt 0x0
	s_abs_i32 s5, s30
	s_abs_i32 s2, s6
	s_delay_alu instid0(SALU_CYCLE_1) | instskip(SKIP_1) | instid1(SALU_CYCLE_2)
	s_cvt_f32_u32 s3, s2
	s_sub_co_i32 s4, 0, s2
	v_rcp_iflag_f32_e32 v1, s3
	s_delay_alu instid0(TRANS32_DEP_1) | instskip(SKIP_2) | instid1(SALU_CYCLE_2)
	v_readfirstlane_b32 s3, v1
	s_mul_f32 s3, s3, 0x4f7ffffe
	s_wait_alu 0xfffe
	s_cvt_u32_f32 s3, s3
	s_wait_alu 0xfffe
	s_delay_alu instid0(SALU_CYCLE_2) | instskip(NEXT) | instid1(SALU_CYCLE_1)
	s_mul_i32 s4, s4, s3
	s_mul_hi_u32 s4, s3, s4
	s_delay_alu instid0(SALU_CYCLE_1)
	s_add_co_i32 s3, s3, s4
	s_xor_b32 s4, s30, s6
	s_wait_alu 0xfffe
	s_mul_hi_u32 s3, s5, s3
	s_ashr_i32 s4, s4, 31
	s_wait_alu 0xfffe
	s_mul_i32 s6, s3, s2
	s_delay_alu instid0(SALU_CYCLE_1)
	s_sub_co_i32 s5, s5, s6
	s_add_co_i32 s6, s3, 1
	s_sub_co_i32 s8, s5, s2
	s_cmp_ge_u32 s5, s2
	s_cselect_b32 s3, s6, s3
	s_cselect_b32 s5, s8, s5
	s_wait_alu 0xfffe
	s_add_co_i32 s6, s3, 1
	s_cmp_ge_u32 s5, s2
	s_load_b64 s[8:9], s[0:1], 0x50
	s_cselect_b32 s2, s6, s3
	s_mov_b32 s5, 0
	s_wait_alu 0xfffe
	s_xor_b32 s2, s2, s4
	s_mov_b32 s12, s5
	s_wait_alu 0xfffe
	s_sub_co_i32 s10, s2, s4
	s_abs_i32 s4, ttmp9
	s_abs_i32 s6, s10
	s_delay_alu instid0(SALU_CYCLE_1) | instskip(SKIP_2) | instid1(SALU_CYCLE_1)
	s_cvt_f32_u32 s2, s6
	s_sub_co_i32 s3, 0, s6
	s_wait_alu 0xfffe
	v_rcp_iflag_f32_e32 v1, s2
	s_delay_alu instid0(TRANS32_DEP_1) | instskip(SKIP_2) | instid1(SALU_CYCLE_2)
	v_readfirstlane_b32 s2, v1
	s_mul_f32 s2, s2, 0x4f7ffffe
	s_wait_alu 0xfffe
	s_cvt_u32_f32 s2, s2
	s_wait_alu 0xfffe
	s_delay_alu instid0(SALU_CYCLE_2)
	s_mul_i32 s3, s3, s2
	s_wait_alu 0xfffe
	s_mul_hi_u32 s3, s2, s3
	s_wait_alu 0xfffe
	s_add_co_i32 s2, s2, s3
	s_mov_b32 s3, s5
	s_wait_kmcnt 0x0
	s_cmp_eq_u64 s[8:9], 0
	s_cbranch_scc1 .LBB222_3
; %bb.2:
	s_mov_b32 s12, ttmp9
	s_ashr_i32 s13, ttmp9, 31
	s_delay_alu instid0(SALU_CYCLE_1) | instskip(NEXT) | instid1(SALU_CYCLE_1)
	s_lshl_b64 s[12:13], s[12:13], 2
	s_add_nc_u64 s[8:9], s[8:9], s[12:13]
	s_load_b32 s12, s[8:9], 0x0
.LBB222_3:
	s_load_b96 s[16:18], s[0:1], 0x58
	s_mul_u64 s[2:3], s[4:5], s[2:3]
	v_and_b32_e32 v49, 1, v0
	v_cmp_gt_u32_e64 s2, 64, v0
	v_lshlrev_b32_e32 v71, 2, v0
	s_ashr_i32 s5, ttmp9, 31
	s_ashr_i32 s8, s10, 31
	s_lshl_b32 s22, ttmp9, 7
	s_wait_alu 0xfffe
	s_and_saveexec_b32 s9, s2
	s_cbranch_execz .LBB222_5
; %bb.4:
	s_load_b64 s[10:11], s[0:1], 0x18
	s_wait_kmcnt 0x0
	s_mul_i32 s14, s16, s29
	s_ashr_i32 s23, s22, 31
	s_ashr_i32 s15, s14, 31
	v_lshlrev_b32_e32 v1, 3, v0
	s_lshl_b64 s[14:15], s[14:15], 2
	v_and_b32_e32 v3, 0xff8, v71
	s_delay_alu instid0(VALU_DEP_1) | instskip(SKIP_2) | instid1(SALU_CYCLE_1)
	v_lshl_add_u32 v3, v49, 8, v3
	s_add_nc_u64 s[10:11], s[10:11], s[14:15]
	s_lshl_b64 s[14:15], s[22:23], 2
	s_add_nc_u64 s[10:11], s[10:11], s[14:15]
	global_load_b64 v[1:2], v1, s[10:11]
	s_wait_loadcnt 0x0
	ds_store_b64 v3, v[1:2]
.LBB222_5:
	s_or_b32 exec_lo, exec_lo, s9
	s_add_co_i32 s9, s21, 15
	s_xor_b32 s5, s5, s8
	s_ashr_i32 s10, s9, 31
	s_lshl_b32 s33, s28, 5
	s_lshr_b32 s8, s10, 28
	s_mul_i32 s10, s3, s6
	s_add_co_i32 s9, s9, s8
	s_add_co_i32 s8, s33, 32
	s_ashr_i32 s31, s9, 4
	s_load_b32 s9, s[0:1], 0x48
	s_sub_co_i32 s4, s4, s10
	s_min_i32 s23, s8, s31
	s_add_co_i32 s8, s3, 1
	s_sub_co_i32 s10, s4, s6
	s_cmp_ge_u32 s4, s6
	v_lshrrev_b32_e32 v69, 5, v0
	s_cselect_b32 s3, s8, s3
	s_cselect_b32 s4, s10, s4
	s_wait_alu 0xfffe
	s_add_co_i32 s8, s3, 1
	s_cmp_ge_u32 s4, s6
	v_or_b32_e32 v70, s33, v69
	s_cselect_b32 s3, s8, s3
	v_mbcnt_lo_u32_b32 v73, -1, 0
	s_wait_alu 0xfffe
	s_xor_b32 s3, s3, s5
	s_wait_dscnt 0x0
	s_wait_alu 0xfffe
	s_sub_co_i32 s4, s3, s5
	v_cmp_gt_i32_e64 s3, s23, v70
	s_mov_b32 s5, exec_lo
	s_barrier_signal -1
	s_wait_kmcnt 0x0
	s_mul_i32 s24, s9, s29
	s_barrier_wait -1
	s_ashr_i32 s25, s24, 31
	global_inv scope:SCOPE_SE
                                        ; implicit-def: $vgpr74
                                        ; implicit-def: $vgpr75
	v_cmpx_le_i32_e64 s23, v70
	s_xor_b32 s5, exec_lo, s5
; %bb.6:
	v_dual_mov_b32 v74, 0 :: v_dual_mov_b32 v75, 32
	v_mbcnt_lo_u32_b32 v73, -1, 0
                                        ; implicit-def: $vgpr49
; %bb.7:
	s_or_saveexec_b32 s13, s5
	s_clause 0x2
	s_load_b32 s16, s[0:1], 0x98
	s_load_b64 s[26:27], s[0:1], 0x38
	s_load_b128 s[8:11], s[0:1], 0x68
	v_mov_b32_e32 v76, 0xff7fffff
	v_lshlrev_b32_e32 v72, 2, v70
	s_mul_i32 s18, s4, s18
	s_xor_b32 exec_lo, exec_lo, s13
	s_cbranch_execz .LBB222_13
; %bb.8:
	s_load_b64 s[4:5], s[0:1], 0x20
	v_xor_b32_e32 v41, 1, v73
	v_bfe_u32 v67, v0, 1, 4
	v_dual_mov_b32 v74, 0 :: v_dual_lshlrev_b32 v61, 8, v49
	s_ashr_i32 s19, s18, 31
	s_delay_alu instid0(VALU_DEP_3) | instskip(NEXT) | instid1(VALU_DEP_3)
	v_cmp_gt_i32_e32 vcc_lo, 32, v41
	v_lshlrev_b32_e32 v33, 4, v67
	ds_load_b128 v[1:4], v61
	ds_load_b128 v[5:8], v61 offset:16
	ds_load_b128 v[9:12], v61 offset:32
	;; [unrolled: 1-line block ×7, first 2 shown]
	v_lshlrev_b32_e32 v65, 1, v49
	v_dual_mov_b32 v75, 32 :: v_dual_lshlrev_b32 v76, 2, v67
	v_cndmask_b32_e32 v50, v73, v41, vcc_lo
	v_cmp_eq_u32_e32 vcc_lo, 0, v49
	s_cmp_neq_f32 s12, 0
	v_lshlrev_b32_e32 v78, 4, v69
	v_lshl_or_b32 v76, v69, 6, v76
	v_dual_mov_b32 v80, v70 :: v_dual_lshlrev_b32 v77, 2, v50
	s_mov_b32 s14, s17
	s_wait_kmcnt 0x0
	s_add_nc_u64 s[4:5], s[4:5], s[18:19]
	v_add_nc_u32_e32 v79, 0x220, v76
	v_add_co_u32 v66, s4, s4, v33
	ds_load_b128 v[33:36], v61 offset:128
	ds_load_b128 v[37:40], v61 offset:144
	;; [unrolled: 1-line block ×6, first 2 shown]
	s_load_b32 s8, s[8:9], 0x0
	ds_load_b128 v[57:60], v61 offset:224
	ds_load_b128 v[61:64], v61 offset:240
	v_add_co_ci_u32_e64 v68, null, s5, 0, s4
	s_cselect_b32 s4, -1, 0
	s_lshl_b64 s[34:35], s[24:25], 2
	v_mov_b32_e32 v76, 0xff7fffff
	v_add_co_u32 v65, s5, v66, v65
	s_add_nc_u64 s[34:35], s[26:27], s[34:35]
	s_wait_alu 0xf1ff
	v_add_co_ci_u32_e64 v66, null, 0, v68, s5
	v_add3_u32 v78, s20, v78, v67
	v_add_co_u32 v67, s5, s34, v72
	s_wait_alu 0xf1ff
	v_add_co_ci_u32_e64 v68, null, s35, 0, s5
	s_mov_b32 s9, 0
	s_sub_co_i32 s19, 1, s21
	s_wait_kmcnt 0x0
	s_mov_b32 s15, s8
	s_branch .LBB222_10
.LBB222_9:                              ;   in Loop: Header=BB222_10 Depth=1
	s_wait_alu 0xfffe
	s_or_b32 exec_lo, exec_lo, s6
	v_add_nc_u32_e32 v80, 4, v80
	v_add_co_u32 v67, s6, v67, 16
	v_add_nc_u32_e32 v78, 64, v78
	v_add_nc_u32_e32 v79, 0x100, v79
	s_delay_alu instid0(VALU_DEP_4)
	v_cmp_le_i32_e64 s5, s23, v80
	s_wait_alu 0xf1ff
	v_add_co_ci_u32_e64 v68, null, 0, v68, s6
	s_or_b32 s9, s5, s9
	s_wait_alu 0xfffe
	s_and_not1_b32 exec_lo, exec_lo, s9
	s_cbranch_execz .LBB222_12
.LBB222_10:                             ; =>This Inner Loop Header: Depth=1
	global_load_b32 v81, v[67:68], off
	s_wait_loadcnt 0x0
	v_mad_co_i64_i32 v[91:92], null, v81, s14, v[65:66]
	s_clause 0x1d
	global_load_u16 v93, v[91:92], off offset:4
	global_load_u16 v94, v[91:92], off
	global_load_u16 v95, v[91:92], off offset:8
	global_load_u16 v96, v[91:92], off offset:12
	;; [unrolled: 1-line block ×28, first 2 shown]
	s_wait_dscnt 0x0
	s_clause 0x1
	global_load_u16 v82, v[91:92], off offset:1800
	global_load_u16 v81, v[91:92], off offset:1804
	s_wait_loadcnt 0x1f
	v_cvt_pk_f32_fp8_e32 v[91:92], v93
	s_wait_loadcnt 0x1e
	v_cvt_pk_f32_fp8_e32 v[93:94], v94
	s_delay_alu instid0(VALU_DEP_2) | instskip(SKIP_2) | instid1(VALU_DEP_3)
	v_dual_mul_f32 v115, s8, v91 :: v_dual_mul_f32 v116, s15, v92
	s_wait_loadcnt 0x1d
	v_cvt_pk_f32_fp8_e32 v[91:92], v95
	v_mul_f32_e32 v95, s15, v94
	v_mul_f32_e32 v117, s8, v93
	s_wait_loadcnt 0x1c
	v_cvt_pk_f32_fp8_e32 v[93:94], v96
	s_wait_dscnt 0xf
	v_mul_f32_e32 v116, v4, v116
	v_mul_f32_e32 v96, s15, v92
	s_delay_alu instid0(VALU_DEP_2) | instskip(SKIP_1) | instid1(VALU_DEP_1)
	v_dual_fmac_f32 v116, v2, v95 :: v_dual_mul_f32 v95, s15, v94
	s_wait_dscnt 0xe
	v_dual_mul_f32 v115, v3, v115 :: v_dual_fmac_f32 v116, v6, v96
	s_delay_alu instid0(VALU_DEP_1)
	v_dual_mul_f32 v118, s8, v91 :: v_dual_fmac_f32 v115, v1, v117
	s_wait_loadcnt 0x1b
	v_cvt_pk_f32_fp8_e32 v[91:92], v97
	v_mul_f32_e32 v97, s8, v93
	s_wait_loadcnt 0x1a
	v_cvt_pk_f32_fp8_e32 v[93:94], v98
	v_dual_fmac_f32 v116, v8, v95 :: v_dual_fmac_f32 v115, v5, v118
	v_mul_f32_e32 v98, s8, v91
	v_mul_f32_e32 v96, s15, v92
	s_wait_loadcnt 0x19
	v_cvt_pk_f32_fp8_e32 v[91:92], v99
	v_mul_f32_e32 v95, s15, v94
	v_fmac_f32_e32 v115, v7, v97
	s_wait_dscnt 0xd
	v_dual_mul_f32 v97, s8, v93 :: v_dual_fmac_f32 v116, v10, v96
	s_wait_loadcnt 0x18
	v_cvt_pk_f32_fp8_e32 v[93:94], v100
	v_dual_mul_f32 v96, s15, v92 :: v_dual_fmac_f32 v115, v9, v98
	v_mul_f32_e32 v98, s8, v91
	v_fmac_f32_e32 v116, v12, v95
	s_wait_loadcnt 0x17
	v_cvt_pk_f32_fp8_e32 v[91:92], v101
	v_mul_f32_e32 v95, s15, v94
	v_fmac_f32_e32 v115, v11, v97
	s_wait_dscnt 0xc
	v_dual_mul_f32 v97, s8, v93 :: v_dual_fmac_f32 v116, v14, v96
	s_wait_loadcnt 0x16
	v_cvt_pk_f32_fp8_e32 v[93:94], v102
	v_dual_mul_f32 v96, s15, v92 :: v_dual_fmac_f32 v115, v13, v98
	v_mul_f32_e32 v98, s8, v91
	v_fmac_f32_e32 v116, v16, v95
	;; [unrolled: 11-line block ×8, first 2 shown]
	s_wait_loadcnt 0x9
	v_cvt_pk_f32_fp8_e32 v[90:91], v90
	v_dual_mul_f32 v94, s15, v94 :: v_dual_mul_f32 v95, s8, v93
	s_wait_dscnt 0x5
	v_dual_fmac_f32 v115, v39, v97 :: v_dual_fmac_f32 v116, v42, v92
	s_delay_alu instid0(VALU_DEP_3) | instskip(SKIP_2) | instid1(VALU_DEP_3)
	v_mul_f32_e32 v91, s15, v91
	s_wait_loadcnt 0x8
	v_cvt_pk_f32_fp8_e32 v[92:93], v89
	v_dual_mul_f32 v90, s8, v90 :: v_dual_fmac_f32 v115, v41, v96
	v_fmac_f32_e32 v116, v44, v94
	s_wait_loadcnt 0x7
	v_cvt_pk_f32_fp8_e32 v[88:89], v88
	v_dual_mul_f32 v93, s15, v93 :: v_dual_mul_f32 v92, s8, v92
	v_fmac_f32_e32 v115, v43, v95
	s_wait_dscnt 0x4
	s_delay_alu instid0(VALU_DEP_3) | instskip(NEXT) | instid1(VALU_DEP_2)
	v_dual_fmac_f32 v116, v46, v91 :: v_dual_mul_f32 v89, s15, v89
	v_dual_mul_f32 v88, s8, v88 :: v_dual_fmac_f32 v115, v45, v90
	s_wait_loadcnt 0x6
	v_cvt_pk_f32_fp8_e32 v[90:91], v87
	s_delay_alu instid0(VALU_DEP_3)
	v_fmac_f32_e32 v116, v48, v93
	s_wait_loadcnt 0x5
	v_cvt_pk_f32_fp8_e32 v[86:87], v86
	v_fmac_f32_e32 v115, v47, v92
	v_dual_mul_f32 v91, s15, v91 :: v_dual_mul_f32 v90, s8, v90
	s_wait_dscnt 0x3
	s_delay_alu instid0(VALU_DEP_3) | instskip(NEXT) | instid1(VALU_DEP_3)
	v_dual_fmac_f32 v116, v50, v89 :: v_dual_mul_f32 v87, s15, v87
	v_dual_mul_f32 v86, s8, v86 :: v_dual_fmac_f32 v115, v49, v88
	s_wait_loadcnt 0x4
	v_cvt_pk_f32_fp8_e32 v[88:89], v85
	s_delay_alu instid0(VALU_DEP_3)
	v_fmac_f32_e32 v116, v52, v91
	s_wait_loadcnt 0x3
	v_cvt_pk_f32_fp8_e32 v[84:85], v84
	v_fmac_f32_e32 v115, v51, v90
	v_dual_mul_f32 v89, s15, v89 :: v_dual_mul_f32 v88, s8, v88
	s_wait_dscnt 0x2
	s_delay_alu instid0(VALU_DEP_3) | instskip(NEXT) | instid1(VALU_DEP_3)
	v_dual_fmac_f32 v116, v54, v87 :: v_dual_mul_f32 v85, s15, v85
	v_dual_mul_f32 v84, s8, v84 :: v_dual_fmac_f32 v115, v53, v86
	s_wait_loadcnt 0x2
	v_cvt_pk_f32_fp8_e32 v[86:87], v83
	s_delay_alu instid0(VALU_DEP_3)
	v_fmac_f32_e32 v116, v56, v89
	s_wait_loadcnt 0x1
	v_cvt_pk_f32_fp8_e32 v[82:83], v82
	v_fmac_f32_e32 v115, v55, v88
	v_dual_mul_f32 v87, s15, v87 :: v_dual_mul_f32 v86, s8, v86
	s_wait_dscnt 0x1
	v_fmac_f32_e32 v116, v58, v85
	s_delay_alu instid0(VALU_DEP_3) | instskip(SKIP_3) | instid1(VALU_DEP_3)
	v_dual_mul_f32 v82, s8, v82 :: v_dual_fmac_f32 v115, v57, v84
	s_wait_loadcnt 0x0
	v_cvt_pk_f32_fp8_e32 v[84:85], v81
	v_mul_f32_e32 v81, s15, v83
	v_dual_fmac_f32 v116, v60, v87 :: v_dual_fmac_f32 v115, v59, v86
	s_delay_alu instid0(VALU_DEP_3) | instskip(SKIP_1) | instid1(VALU_DEP_2)
	v_dual_mul_f32 v83, s15, v85 :: v_dual_mul_f32 v84, s8, v84
	s_wait_dscnt 0x0
	v_dual_fmac_f32 v116, v62, v81 :: v_dual_fmac_f32 v115, v61, v82
	s_delay_alu instid0(VALU_DEP_1) | instskip(NEXT) | instid1(VALU_DEP_1)
	v_dual_fmac_f32 v116, v64, v83 :: v_dual_fmac_f32 v115, v63, v84
	v_add_f32_e32 v81, v115, v116
	ds_bpermute_b32 v82, v77, v81
	s_and_saveexec_b32 s6, vcc_lo
	s_cbranch_execz .LBB222_9
; %bb.11:                               ;   in Loop: Header=BB222_10 Depth=1
	s_wait_dscnt 0x0
	v_add_f32_e32 v81, v81, v82
	v_add_nc_u32_e32 v83, s19, v78
	v_cmp_gt_i32_e64 s5, s21, v78
	s_delay_alu instid0(VALU_DEP_2) | instskip(NEXT) | instid1(VALU_DEP_1)
	v_cvt_f32_i32_e32 v83, v83
	v_mul_f32_e32 v83, s12, v83
	s_wait_alu 0xfffe
	s_delay_alu instid0(VALU_DEP_1) | instskip(NEXT) | instid1(VALU_DEP_1)
	v_cndmask_b32_e64 v82, 0, v83, s4
	v_dual_max_num_f32 v83, v76, v76 :: v_dual_fmac_f32 v82, s7, v81
	s_delay_alu instid0(VALU_DEP_1) | instskip(SKIP_2) | instid1(VALU_DEP_2)
	v_max_num_f32_e32 v81, v83, v82
	s_wait_alu 0xf1ff
	v_cndmask_b32_e64 v82, 0, v82, s5
	v_cndmask_b32_e64 v76, v76, v81, s5
	ds_store_b32 v79, v82
	s_branch .LBB222_9
.LBB222_12:
	s_or_b32 exec_lo, exec_lo, s9
.LBB222_13:
	s_delay_alu instid0(SALU_CYCLE_1)
	s_or_b32 exec_lo, exec_lo, s13
	v_xor_b32_e32 v1, 16, v73
	v_xor_b32_e32 v3, 8, v73
	;; [unrolled: 1-line block ×3, first 2 shown]
	s_clause 0x1
	s_load_b128 s[12:15], s[0:1], 0x0
	s_load_b64 s[6:7], s[0:1], 0x10
	s_wait_kmcnt 0x0
	s_load_b64 s[8:9], s[0:1], 0x28
	v_and_b32_e32 v11, 31, v0
	v_cmp_lt_i32_e32 vcc_lo, v1, v75
	v_max_num_f32_e32 v5, v76, v76
	s_wait_alu 0xfffd
	v_cndmask_b32_e32 v1, v73, v1, vcc_lo
	v_cmp_lt_i32_e32 vcc_lo, v3, v75
	s_wait_alu 0xfffd
	v_cndmask_b32_e32 v3, v73, v3, vcc_lo
	s_delay_alu instid0(VALU_DEP_1) | instskip(SKIP_4) | instid1(VALU_DEP_1)
	v_lshlrev_b32_e32 v4, 2, v3
	v_lshlrev_b32_e32 v2, 2, v1
	ds_bpermute_b32 v1, v2, v76
	s_wait_dscnt 0x0
	v_max_num_f32_e32 v1, v1, v1
	v_max_num_f32_e32 v1, v5, v1
	v_xor_b32_e32 v5, 4, v73
	ds_bpermute_b32 v3, v4, v1
	v_cmp_lt_i32_e32 vcc_lo, v5, v75
	s_wait_alu 0xfffd
	v_cndmask_b32_e32 v5, v73, v5, vcc_lo
	v_cmp_lt_i32_e32 vcc_lo, v6, v75
	s_wait_alu 0xfffd
	s_delay_alu instid0(VALU_DEP_2) | instskip(SKIP_1) | instid1(VALU_DEP_2)
	v_dual_cndmask_b32 v6, v73, v6 :: v_dual_lshlrev_b32 v5, 2, v5
	v_cmp_eq_u32_e32 vcc_lo, 0, v11
	v_lshlrev_b32_e32 v12, 2, v6
	s_wait_dscnt 0x0
	v_dual_max_num_f32 v3, v3, v3 :: v_dual_lshlrev_b32 v6, 2, v69
	s_delay_alu instid0(VALU_DEP_1) | instskip(SKIP_3) | instid1(VALU_DEP_1)
	v_max_num_f32_e32 v1, v1, v3
	ds_bpermute_b32 v3, v5, v1
	s_wait_dscnt 0x0
	v_max_num_f32_e32 v3, v3, v3
	v_max_num_f32_e32 v1, v1, v3
	ds_bpermute_b32 v3, v12, v1
	s_and_saveexec_b32 s0, vcc_lo
	s_cbranch_execz .LBB222_15
; %bb.14:
	s_wait_dscnt 0x0
	v_max_num_f32_e32 v3, v3, v3
	v_max_num_f32_e32 v1, v1, v1
	s_delay_alu instid0(VALU_DEP_1)
	v_max_num_f32_e32 v1, v1, v3
	ds_store_b32 v6, v1 offset:512
.LBB222_15:
	s_or_b32 exec_lo, exec_lo, s0
	v_cmp_gt_u32_e64 s0, 4, v11
	v_mov_b32_e32 v1, 0xff7fffff
	v_lshlrev_b32_e32 v7, 2, v11
	s_wait_loadcnt_dscnt 0x0
	s_barrier_signal -1
	s_barrier_wait -1
	global_inv scope:SCOPE_SE
	s_and_saveexec_b32 s1, s0
; %bb.16:
	ds_load_b32 v1, v7 offset:512
; %bb.17:
	s_or_b32 exec_lo, exec_lo, s1
	s_wait_dscnt 0x0
	ds_bpermute_b32 v3, v12, v1
	v_xor_b32_e32 v8, 1, v73
	v_max_num_f32_e32 v1, v1, v1
	s_delay_alu instid0(VALU_DEP_2) | instskip(NEXT) | instid1(VALU_DEP_1)
	v_cmp_lt_i32_e64 s1, v8, v75
	v_cndmask_b32_e64 v8, v73, v8, s1
	s_sub_co_i32 s1, s23, s33
	s_wait_alu 0xfffe
	s_lshl_b32 s1, s1, 4
	s_delay_alu instid0(VALU_DEP_1)
	v_dual_mov_b32 v8, 0 :: v_dual_lshlrev_b32 v13, 2, v8
	s_wait_alu 0xfffe
	s_add_co_i32 s1, s1, s20
	s_wait_alu 0xfffe
	s_min_i32 s1, s1, s21
	s_wait_dscnt 0x0
	v_max_num_f32_e32 v3, v3, v3
	s_wait_alu 0xfffe
	s_sub_co_i32 s5, s1, s20
	s_wait_alu 0xfffe
	v_cmp_gt_i32_e64 s1, s5, v0
	v_max_num_f32_e32 v1, v1, v3
	ds_bpermute_b32 v3, v13, v1
	s_wait_dscnt 0x0
	v_max_num_f32_e32 v3, v3, v3
	s_delay_alu instid0(VALU_DEP_1)
	v_max_num_f32_e32 v1, v1, v3
	v_lshlrev_b32_e32 v3, 2, v74
	ds_bpermute_b32 v1, v3, v1
	v_lshl_add_u32 v3, v0, 2, 0x220
	s_and_saveexec_b32 s19, s1
	s_cbranch_execz .LBB222_21
; %bb.18:
	v_lshl_add_u32 v9, v0, 2, 0x220
	v_mov_b32_e32 v8, 0
	v_mov_b32_e32 v10, v0
	s_mov_b32 s33, 0
.LBB222_19:                             ; =>This Inner Loop Header: Depth=1
	ds_load_b32 v14, v9
	v_add_nc_u32_e32 v10, 0x80, v10
	s_delay_alu instid0(VALU_DEP_1) | instskip(SKIP_4) | instid1(VALU_DEP_1)
	v_cmp_le_i32_e64 s4, s5, v10
	s_wait_alu 0xfffe
	s_or_b32 s33, s4, s33
	s_wait_dscnt 0x0
	v_sub_f32_e32 v14, v14, v1
	v_mul_f32_e32 v14, 0x3fb8aa3b, v14
	s_delay_alu instid0(VALU_DEP_1)
	v_exp_f32_e32 v14, v14
	ds_store_b32 v9, v14
	v_dual_add_f32 v8, v8, v14 :: v_dual_add_nc_u32 v9, 0x200, v9
	s_wait_alu 0xfffe
	s_and_not1_b32 exec_lo, exec_lo, s33
	s_cbranch_execnz .LBB222_19
; %bb.20:
	s_or_b32 exec_lo, exec_lo, s33
.LBB222_21:
	s_wait_alu 0xfffe
	s_or_b32 exec_lo, exec_lo, s19
	ds_bpermute_b32 v2, v2, v8
	s_wait_dscnt 0x0
	v_add_f32_e32 v2, v8, v2
	ds_bpermute_b32 v4, v4, v2
	s_wait_dscnt 0x0
	v_add_f32_e32 v2, v2, v4
	;; [unrolled: 3-line block ×5, first 2 shown]
	s_and_saveexec_b32 s4, vcc_lo
; %bb.22:
	ds_store_b32 v6, v2 offset:528
; %bb.23:
	s_wait_alu 0xfffe
	s_or_b32 exec_lo, exec_lo, s4
	s_wait_loadcnt_dscnt 0x0
	s_barrier_signal -1
	s_barrier_wait -1
	global_inv scope:SCOPE_SE
	s_and_saveexec_b32 s4, s0
; %bb.24:
	ds_load_b32 v2, v7 offset:528
; %bb.25:
	s_wait_alu 0xfffe
	s_or_b32 exec_lo, exec_lo, s4
	s_wait_dscnt 0x0
	ds_bpermute_b32 v4, v12, v2
	s_wait_dscnt 0x0
	v_dual_add_f32 v2, v2, v4 :: v_dual_lshlrev_b32 v5, 2, v73
	ds_bpermute_b32 v4, v13, v2
	s_wait_dscnt 0x0
	v_add_f32_e32 v2, v2, v4
	v_and_b32_e32 v4, 0xffffff80, v5
	ds_bpermute_b32 v2, v4, v2
	s_and_saveexec_b32 s0, s1
	s_cbranch_execz .LBB222_28
; %bb.26:
	s_wait_dscnt 0x0
	v_add_f32_e32 v4, 0x358637bd, v2
	s_mov_b32 s1, 0
	s_delay_alu instid0(VALU_DEP_1) | instskip(SKIP_1) | instid1(VALU_DEP_2)
	v_div_scale_f32 v5, null, v4, v4, 1.0
	v_div_scale_f32 v8, vcc_lo, 1.0, v4, 1.0
	v_rcp_f32_e32 v6, v5
	s_delay_alu instid0(TRANS32_DEP_1) | instskip(NEXT) | instid1(VALU_DEP_1)
	v_fma_f32 v7, -v5, v6, 1.0
	v_fmac_f32_e32 v6, v7, v6
	s_delay_alu instid0(VALU_DEP_1) | instskip(NEXT) | instid1(VALU_DEP_1)
	v_mul_f32_e32 v7, v8, v6
	v_fma_f32 v9, -v5, v7, v8
	s_delay_alu instid0(VALU_DEP_1) | instskip(NEXT) | instid1(VALU_DEP_1)
	v_fmac_f32_e32 v7, v9, v6
	v_fma_f32 v5, -v5, v7, v8
	s_wait_alu 0xfffd
	s_delay_alu instid0(VALU_DEP_1) | instskip(NEXT) | instid1(VALU_DEP_1)
	v_div_fmas_f32 v5, v5, v6, v7
	v_div_fixup_f32 v4, v5, v4, 1.0
	v_mov_b32_e32 v5, v0
.LBB222_27:                             ; =>This Inner Loop Header: Depth=1
	ds_load_b32 v6, v3
	s_wait_dscnt 0x0
	v_dual_mul_f32 v6, v4, v6 :: v_dual_add_nc_u32 v5, 0x80, v5
	s_delay_alu instid0(VALU_DEP_1)
	v_cmp_le_i32_e32 vcc_lo, s5, v5
	ds_store_b32 v3, v6
	v_add_nc_u32_e32 v3, 0x200, v3
	s_wait_alu 0xfffe
	s_or_b32 s1, vcc_lo, s1
	s_wait_alu 0xfffe
	s_and_not1_b32 exec_lo, exec_lo, s1
	s_cbranch_execnz .LBB222_27
.LBB222_28:
	s_wait_alu 0xfffe
	s_or_b32 exec_lo, exec_lo, s0
	s_mul_i32 s0, s16, s29
	s_wait_loadcnt_dscnt 0x0
	s_wait_alu 0xfffe
	s_mul_i32 s4, s0, s30
	s_mov_b32 s0, exec_lo
	s_barrier_signal -1
	s_barrier_wait -1
	global_inv scope:SCOPE_SE
	v_cmpx_eq_u32_e32 0, v0
	s_cbranch_execz .LBB222_30
; %bb.29:
	s_wait_alu 0xfffe
	s_ashr_i32 s5, s4, 31
	s_mul_i32 s34, s16, ttmp9
	s_lshl_b32 s1, s28, 2
	s_wait_alu 0xfffe
	s_lshl_b64 s[36:37], s[4:5], 2
	s_ashr_i32 s35, s34, 31
	v_mov_b32_e32 v3, s1
	s_add_nc_u64 s[14:15], s[14:15], s[36:37]
	s_wait_alu 0xfffe
	s_lshl_b64 s[28:29], s[34:35], 2
	s_add_nc_u64 s[12:13], s[12:13], s[36:37]
	s_add_nc_u64 s[14:15], s[14:15], s[28:29]
	s_wait_alu 0xfffe
	s_add_nc_u64 s[12:13], s[12:13], s[28:29]
	s_clause 0x1
	global_store_b32 v3, v1, s[14:15]
	global_store_b32 v3, v2, s[12:13]
.LBB222_30:
	s_wait_alu 0xfffe
	s_or_b32 exec_lo, exec_lo, s0
	v_dual_mov_b32 v28, 0 :: v_dual_mov_b32 v29, 0
	v_dual_mov_b32 v27, 0 :: v_dual_and_b32 v14, 3, v0
	v_dual_mov_b32 v30, 0 :: v_dual_mov_b32 v25, 0
	v_dual_mov_b32 v26, 0 :: v_dual_mov_b32 v23, 0
	;; [unrolled: 1-line block ×6, first 2 shown]
	v_mov_b32_e32 v16, 0
	s_and_saveexec_b32 s1, s3
	s_cbranch_execz .LBB222_66
; %bb.31:
	s_load_b32 s5, s[10:11], 0x0
	v_dual_mov_b32 v18, 0 :: v_dual_and_b32 v3, 0x7c, v71
	s_ashr_i32 s19, s18, 31
	v_dual_mov_b32 v15, 0 :: v_dual_lshlrev_b32 v2, 4, v14
	s_wait_kmcnt 0x0
	s_wait_alu 0xfffe
	s_add_nc_u64 s[8:9], s[8:9], s[18:19]
	v_dual_mov_b32 v16, 0 :: v_dual_and_b32 v1, 12, v71
	s_wait_alu 0xfffe
	v_add_co_u32 v5, s0, s8, v3
	s_wait_alu 0xf1ff
	v_add_co_ci_u32_e64 v6, null, s9, 0, s0
	s_lshl_b64 s[8:9], s[24:25], 2
	v_lshl_add_u32 v4, v69, 4, s20
	v_lshl_or_b32 v2, v69, 6, v2
	s_wait_alu 0xfffe
	s_add_nc_u64 s[8:9], s[26:27], s[8:9]
	v_mov_b32_e32 v17, 0
	s_wait_alu 0xfffe
	v_add_co_u32 v7, s0, s8, v72
	v_add3_u32 v31, v4, v1, 3
	v_add_nc_u32_e32 v32, 0x220, v2
	s_wait_alu 0xf1ff
	v_add_co_ci_u32_e64 v8, null, s9, 0, s0
	v_dual_mov_b32 v19, 0 :: v_dual_mov_b32 v20, 0
	v_dual_mov_b32 v21, 0 :: v_dual_mov_b32 v22, 0
	;; [unrolled: 1-line block ×6, first 2 shown]
	s_mov_b32 s3, s17
	s_mov_b32 s8, s5
	s_add_co_i32 s31, s31, -1
	s_mov_b32 s9, 0
	s_branch .LBB222_33
.LBB222_32:                             ;   in Loop: Header=BB222_33 Depth=1
	s_wait_alu 0xfffe
	s_or_b32 exec_lo, exec_lo, s0
	s_wait_dscnt 0x0
	v_mul_f32_e32 v50, v1, v95
	v_mul_f32_e32 v49, v1, v99
	v_add_co_u32 v7, s0, v7, 16
	s_delay_alu instid0(VALU_DEP_3) | instskip(SKIP_1) | instid1(VALU_DEP_4)
	v_dual_fmac_f32 v50, v2, v94 :: v_dual_add_nc_u32 v31, 64, v31
	v_mul_f32_e32 v51, v1, v91
	v_fmac_f32_e32 v49, v2, v98
	s_wait_alu 0xf1ff
	v_add_co_ci_u32_e64 v8, null, 0, v8, s0
	v_fmac_f32_e32 v50, v3, v93
	v_mul_f32_e32 v85, v1, v85
	v_dual_fmac_f32 v51, v2, v89 :: v_dual_mul_f32 v44, v1, v44
	v_mul_f32_e32 v40, v1, v40
	s_delay_alu instid0(VALU_DEP_4) | instskip(SKIP_3) | instid1(VALU_DEP_4)
	v_fmac_f32_e32 v50, v4, v92
	v_add_nc_u32_e32 v32, 0x100, v32
	v_mul_f32_e32 v48, v1, v48
	v_fmac_f32_e32 v44, v2, v43
	v_dual_fmac_f32 v40, v2, v39 :: v_dual_add_f32 v17, v17, v50
	v_mul_f32_e32 v50, v1, v67
	v_fmac_f32_e32 v51, v3, v87
	s_delay_alu instid0(VALU_DEP_4) | instskip(NEXT) | instid1(VALU_DEP_3)
	v_dual_mul_f32 v77, v1, v77 :: v_dual_fmac_f32 v44, v3, v42
	v_dual_mul_f32 v55, v1, v55 :: v_dual_fmac_f32 v50, v2, v66
	s_delay_alu instid0(VALU_DEP_3) | instskip(SKIP_1) | instid1(VALU_DEP_4)
	v_dual_fmac_f32 v51, v4, v86 :: v_dual_fmac_f32 v48, v2, v47
	v_mul_f32_e32 v81, v1, v81
	v_fmac_f32_e32 v44, v4, v41
	s_delay_alu instid0(VALU_DEP_4) | instskip(NEXT) | instid1(VALU_DEP_4)
	v_fmac_f32_e32 v50, v3, v65
	v_add_f32_e32 v18, v18, v51
	v_fmac_f32_e32 v55, v2, v54
	v_fmac_f32_e32 v81, v2, v80
	s_delay_alu instid0(VALU_DEP_4) | instskip(NEXT) | instid1(VALU_DEP_3)
	v_dual_fmac_f32 v49, v3, v97 :: v_dual_fmac_f32 v50, v4, v64
	v_dual_mul_f32 v36, v1, v36 :: v_dual_fmac_f32 v55, v3, v53
	s_delay_alu instid0(VALU_DEP_3) | instskip(SKIP_1) | instid1(VALU_DEP_4)
	v_fmac_f32_e32 v81, v3, v79
	v_dual_mul_f32 v51, v1, v63 :: v_dual_fmac_f32 v40, v3, v38
	v_add_f32_e32 v23, v23, v50
	s_delay_alu instid0(VALU_DEP_4) | instskip(NEXT) | instid1(VALU_DEP_4)
	v_fmac_f32_e32 v55, v4, v52
	v_fmac_f32_e32 v81, v4, v78
	;; [unrolled: 1-line block ×4, first 2 shown]
	v_dual_fmac_f32 v51, v2, v62 :: v_dual_fmac_f32 v40, v4, v37
	s_delay_alu instid0(VALU_DEP_3) | instskip(SKIP_1) | instid1(VALU_DEP_4)
	v_dual_add_f32 v20, v20, v81 :: v_dual_fmac_f32 v77, v3, v75
	v_add_f32_e32 v26, v26, v55
	v_dual_fmac_f32 v85, v2, v84 :: v_dual_add_f32 v16, v16, v49
	v_dual_mul_f32 v49, v1, v73 :: v_dual_fmac_f32 v48, v3, v46
	s_delay_alu instid0(VALU_DEP_4) | instskip(NEXT) | instid1(VALU_DEP_3)
	v_fmac_f32_e32 v77, v4, v74
	v_fmac_f32_e32 v85, v3, v83
	;; [unrolled: 1-line block ×3, first 2 shown]
	s_delay_alu instid0(VALU_DEP_4) | instskip(NEXT) | instid1(VALU_DEP_4)
	v_dual_fmac_f32 v49, v2, v72 :: v_dual_fmac_f32 v48, v4, v45
	v_add_f32_e32 v21, v21, v77
	s_delay_alu instid0(VALU_DEP_4) | instskip(NEXT) | instid1(VALU_DEP_4)
	v_fmac_f32_e32 v85, v4, v82
	v_dual_mul_f32 v59, v1, v59 :: v_dual_fmac_f32 v36, v3, v34
	v_mul_f32_e32 v1, v1, v90
	v_fmac_f32_e32 v49, v3, v71
	s_delay_alu instid0(VALU_DEP_4) | instskip(SKIP_1) | instid1(VALU_DEP_4)
	v_add_f32_e32 v19, v19, v85
	v_dual_fmac_f32 v51, v3, v61 :: v_dual_add_f32 v30, v30, v40
	v_fmac_f32_e32 v1, v2, v88
	v_dual_add_f32 v29, v29, v44 :: v_dual_fmac_f32 v36, v4, v33
	v_fmac_f32_e32 v59, v2, v58
	v_dual_fmac_f32 v49, v4, v68 :: v_dual_add_nc_u32 v70, 4, v70
	s_delay_alu instid0(VALU_DEP_4) | instskip(SKIP_3) | instid1(VALU_DEP_4)
	v_fmac_f32_e32 v1, v3, v10
	v_fmac_f32_e32 v51, v4, v60
	v_add_f32_e32 v27, v27, v48
	v_dual_add_f32 v28, v28, v36 :: v_dual_fmac_f32 v59, v3, v57
	v_fmac_f32_e32 v1, v4, v9
	v_cmp_le_i32_e32 vcc_lo, s23, v70
	v_add_f32_e32 v22, v22, v49
	v_add_f32_e32 v24, v24, v51
	v_fmac_f32_e32 v59, v4, v56
	v_add_f32_e32 v15, v15, v1
	s_or_b32 s9, vcc_lo, s9
	s_delay_alu instid0(VALU_DEP_2)
	v_add_f32_e32 v25, v25, v59
	s_wait_alu 0xfffe
	s_and_not1_b32 exec_lo, exec_lo, s9
	s_cbranch_execz .LBB222_65
.LBB222_33:                             ; =>This Inner Loop Header: Depth=1
	global_load_b32 v1, v[7:8], off
	v_cmp_eq_u32_e32 vcc_lo, s31, v70
	v_add_nc_u32_e32 v51, -1, v31
	s_wait_loadcnt 0x0
	s_wait_alu 0xfffe
	v_mad_co_i64_i32 v[9:10], null, v1, s3, v[5:6]
	ds_load_b128 v[1:4], v32
	global_load_b32 v33, v[9:10], off
	s_wait_loadcnt 0x0
	v_lshrrev_b32_e32 v35, 16, v33
	s_delay_alu instid0(VALU_DEP_1) | instskip(SKIP_1) | instid1(VALU_DEP_1)
	v_cvt_pk_f32_fp8_e32 v[37:38], v35
	v_and_b32_e32 v34, 0xffff, v33
	v_cvt_pk_f32_fp8_e32 v[33:34], v34
	v_add_nc_u32_e32 v49, -3, v31
	s_delay_alu instid0(VALU_DEP_2) | instskip(NEXT) | instid1(VALU_DEP_3)
	v_dual_mul_f32 v35, s8, v34 :: v_dual_add_nc_u32 v50, -2, v31
	v_mul_f32_e32 v36, s5, v33
	v_dual_mul_f32 v34, s5, v37 :: v_dual_mul_f32 v33, s8, v38
	s_and_saveexec_b32 s10, vcc_lo
	s_cbranch_execz .LBB222_35
; %bb.34:                               ;   in Loop: Header=BB222_33 Depth=1
	v_cmp_gt_i32_e64 s0, s21, v49
	s_wait_alu 0xf1ff
	s_delay_alu instid0(VALU_DEP_1) | instskip(SKIP_2) | instid1(VALU_DEP_1)
	v_cndmask_b32_e64 v36, 0, v36, s0
	v_cmp_gt_i32_e64 s0, s21, v50
	s_wait_alu 0xf1ff
	v_cndmask_b32_e64 v35, 0, v35, s0
	v_cmp_gt_i32_e64 s0, s21, v51
	s_wait_alu 0xf1ff
	s_delay_alu instid0(VALU_DEP_1) | instskip(SKIP_2) | instid1(VALU_DEP_1)
	v_cndmask_b32_e64 v34, 0, v34, s0
	v_cmp_gt_i32_e64 s0, s21, v31
	s_wait_alu 0xf1ff
	v_cndmask_b32_e64 v33, 0, v33, s0
.LBB222_35:                             ;   in Loop: Header=BB222_33 Depth=1
	s_or_b32 exec_lo, exec_lo, s10
	global_load_b32 v37, v[9:10], off offset:128
	s_wait_loadcnt 0x0
	v_lshrrev_b32_e32 v39, 16, v37
	s_delay_alu instid0(VALU_DEP_1) | instskip(SKIP_1) | instid1(VALU_DEP_1)
	v_cvt_pk_f32_fp8_e32 v[41:42], v39
	v_and_b32_e32 v38, 0xffff, v37
	v_cvt_pk_f32_fp8_e32 v[37:38], v38
	s_delay_alu instid0(VALU_DEP_1) | instskip(NEXT) | instid1(VALU_DEP_4)
	v_dual_mul_f32 v40, s5, v37 :: v_dual_mul_f32 v39, s8, v38
	v_dual_mul_f32 v38, s5, v41 :: v_dual_mul_f32 v37, s8, v42
	s_and_saveexec_b32 s10, vcc_lo
	s_cbranch_execz .LBB222_37
; %bb.36:                               ;   in Loop: Header=BB222_33 Depth=1
	v_cmp_gt_i32_e64 s0, s21, v49
	s_wait_alu 0xf1ff
	s_delay_alu instid0(VALU_DEP_1) | instskip(SKIP_2) | instid1(VALU_DEP_1)
	v_cndmask_b32_e64 v40, 0, v40, s0
	v_cmp_gt_i32_e64 s0, s21, v50
	s_wait_alu 0xf1ff
	v_cndmask_b32_e64 v39, 0, v39, s0
	v_cmp_gt_i32_e64 s0, s21, v51
	s_wait_alu 0xf1ff
	s_delay_alu instid0(VALU_DEP_1) | instskip(SKIP_2) | instid1(VALU_DEP_1)
	v_cndmask_b32_e64 v38, 0, v38, s0
	v_cmp_gt_i32_e64 s0, s21, v31
	s_wait_alu 0xf1ff
	v_cndmask_b32_e64 v37, 0, v37, s0
.LBB222_37:                             ;   in Loop: Header=BB222_33 Depth=1
	s_or_b32 exec_lo, exec_lo, s10
	global_load_b32 v41, v[9:10], off offset:256
	s_wait_loadcnt 0x0
	v_lshrrev_b32_e32 v43, 16, v41
	s_delay_alu instid0(VALU_DEP_1) | instskip(SKIP_1) | instid1(VALU_DEP_1)
	v_cvt_pk_f32_fp8_e32 v[45:46], v43
	v_and_b32_e32 v42, 0xffff, v41
	v_cvt_pk_f32_fp8_e32 v[41:42], v42
	s_delay_alu instid0(VALU_DEP_1) | instskip(NEXT) | instid1(VALU_DEP_4)
	v_dual_mul_f32 v44, s5, v41 :: v_dual_mul_f32 v43, s8, v42
	v_dual_mul_f32 v42, s5, v45 :: v_dual_mul_f32 v41, s8, v46
	s_and_saveexec_b32 s10, vcc_lo
	s_cbranch_execz .LBB222_39
; %bb.38:                               ;   in Loop: Header=BB222_33 Depth=1
	v_cmp_gt_i32_e64 s0, s21, v49
	s_wait_alu 0xf1ff
	s_delay_alu instid0(VALU_DEP_1) | instskip(SKIP_2) | instid1(VALU_DEP_1)
	v_cndmask_b32_e64 v44, 0, v44, s0
	v_cmp_gt_i32_e64 s0, s21, v50
	s_wait_alu 0xf1ff
	v_cndmask_b32_e64 v43, 0, v43, s0
	v_cmp_gt_i32_e64 s0, s21, v51
	s_wait_alu 0xf1ff
	s_delay_alu instid0(VALU_DEP_1) | instskip(SKIP_2) | instid1(VALU_DEP_1)
	v_cndmask_b32_e64 v42, 0, v42, s0
	v_cmp_gt_i32_e64 s0, s21, v31
	s_wait_alu 0xf1ff
	v_cndmask_b32_e64 v41, 0, v41, s0
.LBB222_39:                             ;   in Loop: Header=BB222_33 Depth=1
	s_or_b32 exec_lo, exec_lo, s10
	global_load_b32 v45, v[9:10], off offset:384
	s_wait_loadcnt 0x0
	v_and_b32_e32 v46, 0xffff, v45
	v_lshrrev_b32_e32 v47, 16, v45
	s_delay_alu instid0(VALU_DEP_2) | instskip(NEXT) | instid1(VALU_DEP_2)
	v_cvt_pk_f32_fp8_e32 v[45:46], v46
	v_cvt_pk_f32_fp8_e32 v[52:53], v47
	s_delay_alu instid0(VALU_DEP_2) | instskip(NEXT) | instid1(VALU_DEP_2)
	v_dual_mul_f32 v48, s5, v45 :: v_dual_mul_f32 v47, s8, v46
	v_dual_mul_f32 v46, s5, v52 :: v_dual_mul_f32 v45, s8, v53
	s_and_saveexec_b32 s10, vcc_lo
	s_cbranch_execz .LBB222_41
; %bb.40:                               ;   in Loop: Header=BB222_33 Depth=1
	v_cmp_gt_i32_e64 s0, s21, v49
	s_wait_alu 0xf1ff
	s_delay_alu instid0(VALU_DEP_1) | instskip(SKIP_2) | instid1(VALU_DEP_1)
	v_cndmask_b32_e64 v48, 0, v48, s0
	v_cmp_gt_i32_e64 s0, s21, v50
	s_wait_alu 0xf1ff
	v_cndmask_b32_e64 v47, 0, v47, s0
	v_cmp_gt_i32_e64 s0, s21, v51
	s_wait_alu 0xf1ff
	s_delay_alu instid0(VALU_DEP_1) | instskip(SKIP_2) | instid1(VALU_DEP_1)
	v_cndmask_b32_e64 v46, 0, v46, s0
	v_cmp_gt_i32_e64 s0, s21, v31
	s_wait_alu 0xf1ff
	v_cndmask_b32_e64 v45, 0, v45, s0
.LBB222_41:                             ;   in Loop: Header=BB222_33 Depth=1
	s_or_b32 exec_lo, exec_lo, s10
	global_load_b32 v52, v[9:10], off offset:512
	s_wait_loadcnt 0x0
	v_lshrrev_b32_e32 v54, 16, v52
	s_delay_alu instid0(VALU_DEP_1) | instskip(SKIP_1) | instid1(VALU_DEP_1)
	v_cvt_pk_f32_fp8_e32 v[56:57], v54
	v_and_b32_e32 v53, 0xffff, v52
	v_cvt_pk_f32_fp8_e32 v[52:53], v53
	s_delay_alu instid0(VALU_DEP_1) | instskip(NEXT) | instid1(VALU_DEP_4)
	v_dual_mul_f32 v55, s5, v52 :: v_dual_mul_f32 v54, s8, v53
	v_dual_mul_f32 v53, s5, v56 :: v_dual_mul_f32 v52, s8, v57
	s_and_saveexec_b32 s10, vcc_lo
	s_cbranch_execz .LBB222_43
; %bb.42:                               ;   in Loop: Header=BB222_33 Depth=1
	v_cmp_gt_i32_e64 s0, s21, v49
	s_wait_alu 0xf1ff
	s_delay_alu instid0(VALU_DEP_1) | instskip(SKIP_2) | instid1(VALU_DEP_1)
	v_cndmask_b32_e64 v55, 0, v55, s0
	v_cmp_gt_i32_e64 s0, s21, v50
	s_wait_alu 0xf1ff
	v_cndmask_b32_e64 v54, 0, v54, s0
	v_cmp_gt_i32_e64 s0, s21, v51
	s_wait_alu 0xf1ff
	s_delay_alu instid0(VALU_DEP_1) | instskip(SKIP_2) | instid1(VALU_DEP_1)
	v_cndmask_b32_e64 v53, 0, v53, s0
	v_cmp_gt_i32_e64 s0, s21, v31
	s_wait_alu 0xf1ff
	v_cndmask_b32_e64 v52, 0, v52, s0
.LBB222_43:                             ;   in Loop: Header=BB222_33 Depth=1
	s_or_b32 exec_lo, exec_lo, s10
	global_load_b32 v56, v[9:10], off offset:640
	s_wait_loadcnt 0x0
	v_lshrrev_b32_e32 v58, 16, v56
	s_delay_alu instid0(VALU_DEP_1) | instskip(SKIP_1) | instid1(VALU_DEP_1)
	v_cvt_pk_f32_fp8_e32 v[60:61], v58
	v_and_b32_e32 v57, 0xffff, v56
	v_cvt_pk_f32_fp8_e32 v[56:57], v57
	s_delay_alu instid0(VALU_DEP_1) | instskip(NEXT) | instid1(VALU_DEP_4)
	;; [unrolled: 29-line block ×3, first 2 shown]
	v_dual_mul_f32 v63, s5, v60 :: v_dual_mul_f32 v62, s8, v61
	v_dual_mul_f32 v61, s5, v64 :: v_dual_mul_f32 v60, s8, v65
	s_and_saveexec_b32 s10, vcc_lo
	s_cbranch_execz .LBB222_47
; %bb.46:                               ;   in Loop: Header=BB222_33 Depth=1
	v_cmp_gt_i32_e64 s0, s21, v49
	s_wait_alu 0xf1ff
	s_delay_alu instid0(VALU_DEP_1) | instskip(SKIP_2) | instid1(VALU_DEP_1)
	v_cndmask_b32_e64 v63, 0, v63, s0
	v_cmp_gt_i32_e64 s0, s21, v50
	s_wait_alu 0xf1ff
	v_cndmask_b32_e64 v62, 0, v62, s0
	v_cmp_gt_i32_e64 s0, s21, v51
	s_wait_alu 0xf1ff
	s_delay_alu instid0(VALU_DEP_1) | instskip(SKIP_2) | instid1(VALU_DEP_1)
	v_cndmask_b32_e64 v61, 0, v61, s0
	v_cmp_gt_i32_e64 s0, s21, v31
	s_wait_alu 0xf1ff
	v_cndmask_b32_e64 v60, 0, v60, s0
.LBB222_47:                             ;   in Loop: Header=BB222_33 Depth=1
	s_or_b32 exec_lo, exec_lo, s10
	global_load_b32 v64, v[9:10], off offset:896
	s_wait_loadcnt 0x0
	v_and_b32_e32 v65, 0xffff, v64
	v_lshrrev_b32_e32 v66, 16, v64
	s_delay_alu instid0(VALU_DEP_2) | instskip(NEXT) | instid1(VALU_DEP_2)
	v_cvt_pk_f32_fp8_e32 v[64:65], v65
	v_cvt_pk_f32_fp8_e32 v[71:72], v66
	s_delay_alu instid0(VALU_DEP_2) | instskip(NEXT) | instid1(VALU_DEP_2)
	v_dual_mul_f32 v67, s5, v64 :: v_dual_mul_f32 v66, s8, v65
	v_dual_mul_f32 v65, s5, v71 :: v_dual_mul_f32 v64, s8, v72
	s_and_saveexec_b32 s10, vcc_lo
	s_cbranch_execz .LBB222_49
; %bb.48:                               ;   in Loop: Header=BB222_33 Depth=1
	v_cmp_gt_i32_e64 s0, s21, v49
	s_wait_alu 0xf1ff
	s_delay_alu instid0(VALU_DEP_1) | instskip(SKIP_2) | instid1(VALU_DEP_1)
	v_cndmask_b32_e64 v67, 0, v67, s0
	v_cmp_gt_i32_e64 s0, s21, v50
	s_wait_alu 0xf1ff
	v_cndmask_b32_e64 v66, 0, v66, s0
	v_cmp_gt_i32_e64 s0, s21, v51
	s_wait_alu 0xf1ff
	s_delay_alu instid0(VALU_DEP_1) | instskip(SKIP_2) | instid1(VALU_DEP_1)
	v_cndmask_b32_e64 v65, 0, v65, s0
	v_cmp_gt_i32_e64 s0, s21, v31
	s_wait_alu 0xf1ff
	v_cndmask_b32_e64 v64, 0, v64, s0
.LBB222_49:                             ;   in Loop: Header=BB222_33 Depth=1
	s_or_b32 exec_lo, exec_lo, s10
	global_load_b32 v68, v[9:10], off offset:1024
	s_wait_loadcnt 0x0
	v_and_b32_e32 v71, 0xffff, v68
	v_lshrrev_b32_e32 v68, 16, v68
	s_delay_alu instid0(VALU_DEP_1) | instskip(NEXT) | instid1(VALU_DEP_1)
	v_cvt_pk_f32_fp8_e32 v[74:75], v68
	v_mul_f32_e32 v68, s8, v75
	s_delay_alu instid0(VALU_DEP_4) | instskip(NEXT) | instid1(VALU_DEP_1)
	v_cvt_pk_f32_fp8_e32 v[71:72], v71
	v_dual_mul_f32 v73, s5, v71 :: v_dual_mul_f32 v72, s8, v72
	s_delay_alu instid0(VALU_DEP_4)
	v_mul_f32_e32 v71, s5, v74
	s_and_saveexec_b32 s10, vcc_lo
	s_cbranch_execz .LBB222_51
; %bb.50:                               ;   in Loop: Header=BB222_33 Depth=1
	v_cmp_gt_i32_e64 s0, s21, v49
	s_wait_alu 0xf1ff
	s_delay_alu instid0(VALU_DEP_1) | instskip(SKIP_2) | instid1(VALU_DEP_1)
	v_cndmask_b32_e64 v73, 0, v73, s0
	v_cmp_gt_i32_e64 s0, s21, v50
	s_wait_alu 0xf1ff
	v_cndmask_b32_e64 v72, 0, v72, s0
	v_cmp_gt_i32_e64 s0, s21, v51
	s_wait_alu 0xf1ff
	s_delay_alu instid0(VALU_DEP_1) | instskip(SKIP_2) | instid1(VALU_DEP_1)
	v_cndmask_b32_e64 v71, 0, v71, s0
	v_cmp_gt_i32_e64 s0, s21, v31
	s_wait_alu 0xf1ff
	v_cndmask_b32_e64 v68, 0, v68, s0
.LBB222_51:                             ;   in Loop: Header=BB222_33 Depth=1
	s_or_b32 exec_lo, exec_lo, s10
	global_load_b32 v74, v[9:10], off offset:1152
	s_wait_loadcnt 0x0
	v_lshrrev_b32_e32 v76, 16, v74
	s_delay_alu instid0(VALU_DEP_1) | instskip(SKIP_1) | instid1(VALU_DEP_1)
	v_cvt_pk_f32_fp8_e32 v[78:79], v76
	v_and_b32_e32 v75, 0xffff, v74
	v_cvt_pk_f32_fp8_e32 v[74:75], v75
	s_delay_alu instid0(VALU_DEP_1) | instskip(NEXT) | instid1(VALU_DEP_4)
	v_dual_mul_f32 v77, s5, v74 :: v_dual_mul_f32 v76, s8, v75
	v_dual_mul_f32 v75, s5, v78 :: v_dual_mul_f32 v74, s8, v79
	s_and_saveexec_b32 s10, vcc_lo
	s_cbranch_execz .LBB222_53
; %bb.52:                               ;   in Loop: Header=BB222_33 Depth=1
	v_cmp_gt_i32_e64 s0, s21, v49
	s_wait_alu 0xf1ff
	s_delay_alu instid0(VALU_DEP_1) | instskip(SKIP_2) | instid1(VALU_DEP_1)
	v_cndmask_b32_e64 v77, 0, v77, s0
	v_cmp_gt_i32_e64 s0, s21, v50
	s_wait_alu 0xf1ff
	v_cndmask_b32_e64 v76, 0, v76, s0
	v_cmp_gt_i32_e64 s0, s21, v51
	s_wait_alu 0xf1ff
	s_delay_alu instid0(VALU_DEP_1) | instskip(SKIP_2) | instid1(VALU_DEP_1)
	v_cndmask_b32_e64 v75, 0, v75, s0
	v_cmp_gt_i32_e64 s0, s21, v31
	s_wait_alu 0xf1ff
	v_cndmask_b32_e64 v74, 0, v74, s0
.LBB222_53:                             ;   in Loop: Header=BB222_33 Depth=1
	s_or_b32 exec_lo, exec_lo, s10
	global_load_b32 v78, v[9:10], off offset:1280
	s_wait_loadcnt 0x0
	v_lshrrev_b32_e32 v80, 16, v78
	s_delay_alu instid0(VALU_DEP_1) | instskip(SKIP_1) | instid1(VALU_DEP_1)
	v_cvt_pk_f32_fp8_e32 v[82:83], v80
	v_and_b32_e32 v79, 0xffff, v78
	v_cvt_pk_f32_fp8_e32 v[78:79], v79
	s_delay_alu instid0(VALU_DEP_1) | instskip(NEXT) | instid1(VALU_DEP_4)
	v_dual_mul_f32 v81, s5, v78 :: v_dual_mul_f32 v80, s8, v79
	v_dual_mul_f32 v79, s5, v82 :: v_dual_mul_f32 v78, s8, v83
	s_and_saveexec_b32 s10, vcc_lo
	s_cbranch_execz .LBB222_55
; %bb.54:                               ;   in Loop: Header=BB222_33 Depth=1
	v_cmp_gt_i32_e64 s0, s21, v49
	s_wait_alu 0xf1ff
	s_delay_alu instid0(VALU_DEP_1) | instskip(SKIP_2) | instid1(VALU_DEP_1)
	v_cndmask_b32_e64 v81, 0, v81, s0
	v_cmp_gt_i32_e64 s0, s21, v50
	s_wait_alu 0xf1ff
	v_cndmask_b32_e64 v80, 0, v80, s0
	v_cmp_gt_i32_e64 s0, s21, v51
	s_wait_alu 0xf1ff
	s_delay_alu instid0(VALU_DEP_1) | instskip(SKIP_2) | instid1(VALU_DEP_1)
	v_cndmask_b32_e64 v79, 0, v79, s0
	v_cmp_gt_i32_e64 s0, s21, v31
	s_wait_alu 0xf1ff
	v_cndmask_b32_e64 v78, 0, v78, s0
.LBB222_55:                             ;   in Loop: Header=BB222_33 Depth=1
	s_or_b32 exec_lo, exec_lo, s10
	global_load_b32 v82, v[9:10], off offset:1408
	s_wait_loadcnt 0x0
	v_lshrrev_b32_e32 v84, 16, v82
	s_delay_alu instid0(VALU_DEP_1) | instskip(SKIP_1) | instid1(VALU_DEP_1)
	v_cvt_pk_f32_fp8_e32 v[86:87], v84
	v_and_b32_e32 v83, 0xffff, v82
	v_cvt_pk_f32_fp8_e32 v[82:83], v83
	s_delay_alu instid0(VALU_DEP_1) | instskip(NEXT) | instid1(VALU_DEP_4)
	v_dual_mul_f32 v85, s5, v82 :: v_dual_mul_f32 v84, s8, v83
	v_dual_mul_f32 v83, s5, v86 :: v_dual_mul_f32 v82, s8, v87
	s_and_saveexec_b32 s10, vcc_lo
	s_cbranch_execz .LBB222_57
; %bb.56:                               ;   in Loop: Header=BB222_33 Depth=1
	v_cmp_gt_i32_e64 s0, s21, v49
	s_wait_alu 0xf1ff
	s_delay_alu instid0(VALU_DEP_1) | instskip(SKIP_2) | instid1(VALU_DEP_1)
	v_cndmask_b32_e64 v85, 0, v85, s0
	v_cmp_gt_i32_e64 s0, s21, v50
	s_wait_alu 0xf1ff
	v_cndmask_b32_e64 v84, 0, v84, s0
	v_cmp_gt_i32_e64 s0, s21, v51
	s_wait_alu 0xf1ff
	s_delay_alu instid0(VALU_DEP_1) | instskip(SKIP_2) | instid1(VALU_DEP_1)
	v_cndmask_b32_e64 v83, 0, v83, s0
	v_cmp_gt_i32_e64 s0, s21, v31
	s_wait_alu 0xf1ff
	v_cndmask_b32_e64 v82, 0, v82, s0
.LBB222_57:                             ;   in Loop: Header=BB222_33 Depth=1
	s_or_b32 exec_lo, exec_lo, s10
	global_load_b32 v86, v[9:10], off offset:1536
	s_wait_loadcnt 0x0
	v_lshrrev_b32_e32 v88, 16, v86
	s_delay_alu instid0(VALU_DEP_1) | instskip(SKIP_1) | instid1(VALU_DEP_1)
	v_cvt_pk_f32_fp8_e32 v[92:93], v88
	v_and_b32_e32 v87, 0xffff, v86
	v_cvt_pk_f32_fp8_e32 v[86:87], v87
	s_delay_alu instid0(VALU_DEP_1) | instskip(NEXT) | instid1(VALU_DEP_2)
	v_mul_f32_e32 v91, s5, v86
	v_mul_f32_e32 v89, s8, v87
	v_dual_mul_f32 v87, s5, v92 :: v_dual_mul_f32 v86, s8, v93
	s_and_saveexec_b32 s10, vcc_lo
	s_cbranch_execz .LBB222_59
; %bb.58:                               ;   in Loop: Header=BB222_33 Depth=1
	v_cmp_gt_i32_e64 s0, s21, v49
	s_wait_alu 0xf1ff
	s_delay_alu instid0(VALU_DEP_1) | instskip(SKIP_2) | instid1(VALU_DEP_1)
	v_cndmask_b32_e64 v91, 0, v91, s0
	v_cmp_gt_i32_e64 s0, s21, v50
	s_wait_alu 0xf1ff
	v_cndmask_b32_e64 v89, 0, v89, s0
	v_cmp_gt_i32_e64 s0, s21, v51
	s_wait_alu 0xf1ff
	s_delay_alu instid0(VALU_DEP_1) | instskip(SKIP_2) | instid1(VALU_DEP_1)
	v_cndmask_b32_e64 v87, 0, v87, s0
	v_cmp_gt_i32_e64 s0, s21, v31
	s_wait_alu 0xf1ff
	v_cndmask_b32_e64 v86, 0, v86, s0
.LBB222_59:                             ;   in Loop: Header=BB222_33 Depth=1
	s_or_b32 exec_lo, exec_lo, s10
	global_load_b32 v88, v[9:10], off offset:1664
	s_wait_loadcnt 0x0
	v_and_b32_e32 v90, 0xffff, v88
	v_lshrrev_b32_e32 v88, 16, v88
	s_delay_alu instid0(VALU_DEP_2) | instskip(NEXT) | instid1(VALU_DEP_2)
	v_cvt_pk_f32_fp8_e32 v[92:93], v90
	v_cvt_pk_f32_fp8_e32 v[96:97], v88
	s_delay_alu instid0(VALU_DEP_2) | instskip(NEXT) | instid1(VALU_DEP_2)
	v_dual_mul_f32 v95, s5, v92 :: v_dual_mul_f32 v94, s8, v93
	v_dual_mul_f32 v93, s5, v96 :: v_dual_mul_f32 v92, s8, v97
	s_and_saveexec_b32 s10, vcc_lo
	s_cbranch_execz .LBB222_61
; %bb.60:                               ;   in Loop: Header=BB222_33 Depth=1
	v_cmp_gt_i32_e64 s0, s21, v49
	s_wait_alu 0xf1ff
	s_delay_alu instid0(VALU_DEP_1) | instskip(SKIP_2) | instid1(VALU_DEP_1)
	v_cndmask_b32_e64 v95, 0, v95, s0
	v_cmp_gt_i32_e64 s0, s21, v50
	s_wait_alu 0xf1ff
	v_cndmask_b32_e64 v94, 0, v94, s0
	v_cmp_gt_i32_e64 s0, s21, v51
	s_wait_alu 0xf1ff
	s_delay_alu instid0(VALU_DEP_1) | instskip(SKIP_2) | instid1(VALU_DEP_1)
	v_cndmask_b32_e64 v93, 0, v93, s0
	v_cmp_gt_i32_e64 s0, s21, v31
	s_wait_alu 0xf1ff
	v_cndmask_b32_e64 v92, 0, v92, s0
.LBB222_61:                             ;   in Loop: Header=BB222_33 Depth=1
	s_or_b32 exec_lo, exec_lo, s10
	global_load_b32 v88, v[9:10], off offset:1792
	s_wait_loadcnt 0x0
	v_and_b32_e32 v90, 0xffff, v88
	v_lshrrev_b32_e32 v88, 16, v88
	s_delay_alu instid0(VALU_DEP_2) | instskip(NEXT) | instid1(VALU_DEP_2)
	v_cvt_pk_f32_fp8_e32 v[96:97], v90
	v_cvt_pk_f32_fp8_e32 v[100:101], v88
	s_delay_alu instid0(VALU_DEP_2) | instskip(NEXT) | instid1(VALU_DEP_2)
	v_dual_mul_f32 v99, s5, v96 :: v_dual_mul_f32 v98, s8, v97
	v_dual_mul_f32 v97, s5, v100 :: v_dual_mul_f32 v96, s8, v101
	s_and_saveexec_b32 s10, vcc_lo
	s_cbranch_execz .LBB222_63
; %bb.62:                               ;   in Loop: Header=BB222_33 Depth=1
	v_cmp_gt_i32_e64 s0, s21, v49
	s_wait_alu 0xf1ff
	s_delay_alu instid0(VALU_DEP_1) | instskip(SKIP_2) | instid1(VALU_DEP_1)
	v_cndmask_b32_e64 v99, 0, v99, s0
	v_cmp_gt_i32_e64 s0, s21, v50
	s_wait_alu 0xf1ff
	v_cndmask_b32_e64 v98, 0, v98, s0
	v_cmp_gt_i32_e64 s0, s21, v51
	s_wait_alu 0xf1ff
	s_delay_alu instid0(VALU_DEP_1) | instskip(SKIP_2) | instid1(VALU_DEP_1)
	v_cndmask_b32_e64 v97, 0, v97, s0
	v_cmp_gt_i32_e64 s0, s21, v31
	s_wait_alu 0xf1ff
	v_cndmask_b32_e64 v96, 0, v96, s0
.LBB222_63:                             ;   in Loop: Header=BB222_33 Depth=1
	s_or_b32 exec_lo, exec_lo, s10
	global_load_b32 v9, v[9:10], off offset:1920
	s_wait_loadcnt 0x0
	v_and_b32_e32 v10, 0xffff, v9
	v_lshrrev_b32_e32 v88, 16, v9
	s_delay_alu instid0(VALU_DEP_2) | instskip(NEXT) | instid1(VALU_DEP_2)
	v_cvt_pk_f32_fp8_e32 v[9:10], v10
	v_cvt_pk_f32_fp8_e32 v[100:101], v88
	s_delay_alu instid0(VALU_DEP_2) | instskip(NEXT) | instid1(VALU_DEP_2)
	v_mul_f32_e32 v90, s5, v9
	v_dual_mul_f32 v88, s8, v10 :: v_dual_mul_f32 v9, s8, v101
	s_delay_alu instid0(VALU_DEP_3)
	v_mul_f32_e32 v10, s5, v100
	s_and_saveexec_b32 s0, vcc_lo
	s_cbranch_execz .LBB222_32
; %bb.64:                               ;   in Loop: Header=BB222_33 Depth=1
	v_cmp_gt_i32_e32 vcc_lo, s21, v49
	s_wait_alu 0xfffd
	v_cndmask_b32_e32 v90, 0, v90, vcc_lo
	v_cmp_gt_i32_e32 vcc_lo, s21, v50
	s_wait_alu 0xfffd
	v_cndmask_b32_e32 v88, 0, v88, vcc_lo
	;; [unrolled: 3-line block ×4, first 2 shown]
	s_branch .LBB222_32
.LBB222_65:
	s_or_b32 exec_lo, exec_lo, s9
.LBB222_66:
	s_wait_alu 0xfffe
	s_or_b32 exec_lo, exec_lo, s1
	ds_bpermute_b32 v31, v12, v20
	ds_bpermute_b32 v32, v12, v19
	;; [unrolled: 1-line block ×16, first 2 shown]
	s_mov_b32 s0, exec_lo
	s_wait_storecnt 0x0
	s_wait_loadcnt_dscnt 0x0
	s_barrier_signal -1
	s_barrier_wait -1
	v_dual_add_f32 v20, v20, v31 :: v_dual_add_f32 v19, v19, v32
	v_dual_add_f32 v1, v28, v1 :: v_dual_add_f32 v2, v30, v2
	;; [unrolled: 1-line block ×7, first 2 shown]
	ds_bpermute_b32 v31, v13, v20
	ds_bpermute_b32 v32, v13, v19
	v_dual_add_f32 v33, v16, v35 :: v_dual_add_f32 v34, v15, v12
	ds_bpermute_b32 v25, v13, v1
	ds_bpermute_b32 v26, v13, v2
	;; [unrolled: 1-line block ×14, first 2 shown]
	s_wait_dscnt 0x0
	global_inv scope:SCOPE_SE
	v_dual_add_f32 v12, v20, v31 :: v_dual_add_f32 v13, v19, v32
	v_and_b32_e32 v19, 28, v11
	v_lshrrev_b32_e32 v11, 2, v11
	v_dual_add_f32 v1, v1, v25 :: v_dual_add_f32 v2, v2, v26
	v_dual_add_f32 v3, v3, v27 :: v_dual_add_f32 v4, v4, v28
	;; [unrolled: 1-line block ×6, first 2 shown]
	v_dual_add_f32 v17, v33, v36 :: v_dual_lshlrev_b32 v20, 9, v69
	v_dual_add_f32 v18, v34, v37 :: v_dual_and_b32 v21, 0x3c3, v0
	v_add_nc_u32_e32 v19, 0x220, v19
	s_delay_alu instid0(VALU_DEP_2)
	v_cmpx_eq_u32_e32 64, v21
	s_cbranch_execz .LBB222_68
; %bb.67:
	s_delay_alu instid0(VALU_DEP_2) | instskip(NEXT) | instid1(VALU_DEP_1)
	v_add_nc_u32_e32 v21, v19, v20
	v_add_nc_u32_e32 v22, 0xfffffc00, v21
	;; [unrolled: 1-line block ×9, first 2 shown]
	ds_store_b32 v22, v1
	ds_store_b32 v23, v2
	;; [unrolled: 1-line block ×8, first 2 shown]
	v_add_nc_u32_e32 v22, 0xfffffd00, v21
	v_add_nc_u32_e32 v23, 0xfffffd20, v21
	;; [unrolled: 1-line block ×8, first 2 shown]
	ds_store_b32 v22, v9
	ds_store_b32 v23, v10
	;; [unrolled: 1-line block ×8, first 2 shown]
.LBB222_68:
	s_wait_alu 0xfffe
	s_or_b32 exec_lo, exec_lo, s0
	v_lshlrev_b32_e32 v11, 2, v11
	v_cmp_eq_u32_e32 vcc_lo, 0, v14
	s_wait_loadcnt_dscnt 0x0
	s_barrier_signal -1
	s_barrier_wait -1
	v_add3_u32 v11, 0x220, v20, v11
	global_inv scope:SCOPE_SE
	s_and_saveexec_b32 s0, s2
	s_cbranch_execz .LBB222_87
; %bb.69:
	s_and_saveexec_b32 s1, vcc_lo
	s_cbranch_execnz .LBB222_111
; %bb.70:
	s_wait_alu 0xfffe
	s_or_b32 exec_lo, exec_lo, s1
	s_and_saveexec_b32 s1, vcc_lo
	s_cbranch_execnz .LBB222_112
.LBB222_71:
	s_wait_alu 0xfffe
	s_or_b32 exec_lo, exec_lo, s1
	s_and_saveexec_b32 s1, vcc_lo
	s_cbranch_execnz .LBB222_113
.LBB222_72:
	s_wait_alu 0xfffe
	s_or_b32 exec_lo, exec_lo, s1
	s_and_saveexec_b32 s1, vcc_lo
	s_cbranch_execnz .LBB222_114
.LBB222_73:
	s_wait_alu 0xfffe
	s_or_b32 exec_lo, exec_lo, s1
	s_and_saveexec_b32 s1, vcc_lo
	s_cbranch_execnz .LBB222_115
.LBB222_74:
	s_wait_alu 0xfffe
	s_or_b32 exec_lo, exec_lo, s1
	s_and_saveexec_b32 s1, vcc_lo
	s_cbranch_execnz .LBB222_116
.LBB222_75:
	s_wait_alu 0xfffe
	s_or_b32 exec_lo, exec_lo, s1
	s_and_saveexec_b32 s1, vcc_lo
	s_cbranch_execnz .LBB222_117
.LBB222_76:
	s_wait_alu 0xfffe
	s_or_b32 exec_lo, exec_lo, s1
	s_and_saveexec_b32 s1, vcc_lo
	s_cbranch_execnz .LBB222_118
.LBB222_77:
	s_wait_alu 0xfffe
	s_or_b32 exec_lo, exec_lo, s1
	s_and_saveexec_b32 s1, vcc_lo
	s_cbranch_execnz .LBB222_119
.LBB222_78:
	s_wait_alu 0xfffe
	s_or_b32 exec_lo, exec_lo, s1
	s_and_saveexec_b32 s1, vcc_lo
	s_cbranch_execnz .LBB222_120
.LBB222_79:
	s_wait_alu 0xfffe
	s_or_b32 exec_lo, exec_lo, s1
	s_and_saveexec_b32 s1, vcc_lo
	s_cbranch_execnz .LBB222_121
.LBB222_80:
	s_wait_alu 0xfffe
	s_or_b32 exec_lo, exec_lo, s1
	s_and_saveexec_b32 s1, vcc_lo
	s_cbranch_execnz .LBB222_122
.LBB222_81:
	s_wait_alu 0xfffe
	s_or_b32 exec_lo, exec_lo, s1
	s_and_saveexec_b32 s1, vcc_lo
	s_cbranch_execnz .LBB222_123
.LBB222_82:
	s_wait_alu 0xfffe
	s_or_b32 exec_lo, exec_lo, s1
	s_and_saveexec_b32 s1, vcc_lo
	s_cbranch_execnz .LBB222_124
.LBB222_83:
	s_wait_alu 0xfffe
	s_or_b32 exec_lo, exec_lo, s1
	s_and_saveexec_b32 s1, vcc_lo
	s_cbranch_execnz .LBB222_125
.LBB222_84:
	s_wait_alu 0xfffe
	s_or_b32 exec_lo, exec_lo, s1
	s_and_saveexec_b32 s1, vcc_lo
	s_cbranch_execz .LBB222_86
.LBB222_85:
	ds_load_b32 v14, v11 offset:480
	s_wait_dscnt 0x0
	v_add_f32_e32 v18, v18, v14
.LBB222_86:
	s_wait_alu 0xfffe
	s_or_b32 exec_lo, exec_lo, s1
.LBB222_87:
	s_wait_alu 0xfffe
	s_or_b32 exec_lo, exec_lo, s0
	v_and_b32_e32 v14, 0x3e3, v0
	s_mov_b32 s1, exec_lo
	s_wait_loadcnt 0x0
	s_barrier_signal -1
	s_barrier_wait -1
	global_inv scope:SCOPE_SE
	v_cmpx_eq_u32_e32 32, v14
	s_cbranch_execz .LBB222_89
; %bb.88:
	ds_store_2addr_b32 v19, v1, v2 offset1:8
	ds_store_2addr_b32 v19, v3, v4 offset0:16 offset1:24
	ds_store_2addr_b32 v19, v5, v6 offset0:32 offset1:40
	;; [unrolled: 1-line block ×7, first 2 shown]
.LBB222_89:
	s_wait_alu 0xfffe
	s_or_b32 exec_lo, exec_lo, s1
	s_delay_alu instid0(SALU_CYCLE_1)
	s_mov_b32 s1, exec_lo
	s_wait_loadcnt_dscnt 0x0
	s_barrier_signal -1
	s_barrier_wait -1
	global_inv scope:SCOPE_SE
	v_cmpx_gt_u32_e32 32, v0
	s_cbranch_execz .LBB222_108
; %bb.90:
	s_and_saveexec_b32 s0, vcc_lo
	s_cbranch_execnz .LBB222_126
; %bb.91:
	s_wait_alu 0xfffe
	s_or_b32 exec_lo, exec_lo, s0
	s_and_saveexec_b32 s0, vcc_lo
	s_cbranch_execnz .LBB222_127
.LBB222_92:
	s_wait_alu 0xfffe
	s_or_b32 exec_lo, exec_lo, s0
	s_and_saveexec_b32 s0, vcc_lo
	s_cbranch_execnz .LBB222_128
.LBB222_93:
	s_wait_alu 0xfffe
	s_or_b32 exec_lo, exec_lo, s0
	s_and_saveexec_b32 s0, vcc_lo
	s_cbranch_execnz .LBB222_129
.LBB222_94:
	s_wait_alu 0xfffe
	s_or_b32 exec_lo, exec_lo, s0
	s_and_saveexec_b32 s0, vcc_lo
	s_cbranch_execnz .LBB222_130
.LBB222_95:
	s_wait_alu 0xfffe
	s_or_b32 exec_lo, exec_lo, s0
	s_and_saveexec_b32 s0, vcc_lo
	s_cbranch_execnz .LBB222_131
.LBB222_96:
	s_wait_alu 0xfffe
	s_or_b32 exec_lo, exec_lo, s0
	s_and_saveexec_b32 s0, vcc_lo
	s_cbranch_execnz .LBB222_132
.LBB222_97:
	s_wait_alu 0xfffe
	s_or_b32 exec_lo, exec_lo, s0
	s_and_saveexec_b32 s0, vcc_lo
	s_cbranch_execnz .LBB222_133
.LBB222_98:
	s_wait_alu 0xfffe
	s_or_b32 exec_lo, exec_lo, s0
	s_and_saveexec_b32 s0, vcc_lo
	s_cbranch_execnz .LBB222_134
.LBB222_99:
	s_wait_alu 0xfffe
	s_or_b32 exec_lo, exec_lo, s0
	s_and_saveexec_b32 s0, vcc_lo
	s_cbranch_execnz .LBB222_135
.LBB222_100:
	s_wait_alu 0xfffe
	s_or_b32 exec_lo, exec_lo, s0
	s_and_saveexec_b32 s0, vcc_lo
	s_cbranch_execnz .LBB222_136
.LBB222_101:
	s_wait_alu 0xfffe
	s_or_b32 exec_lo, exec_lo, s0
	s_and_saveexec_b32 s0, vcc_lo
	s_cbranch_execnz .LBB222_137
.LBB222_102:
	s_wait_alu 0xfffe
	s_or_b32 exec_lo, exec_lo, s0
	s_and_saveexec_b32 s0, vcc_lo
	s_cbranch_execnz .LBB222_138
.LBB222_103:
	s_wait_alu 0xfffe
	s_or_b32 exec_lo, exec_lo, s0
	s_and_saveexec_b32 s0, vcc_lo
	s_cbranch_execnz .LBB222_139
.LBB222_104:
	s_wait_alu 0xfffe
	s_or_b32 exec_lo, exec_lo, s0
	s_and_saveexec_b32 s0, vcc_lo
	s_cbranch_execnz .LBB222_140
.LBB222_105:
	s_wait_alu 0xfffe
	s_or_b32 exec_lo, exec_lo, s0
	s_and_saveexec_b32 s0, vcc_lo
	s_cbranch_execz .LBB222_107
.LBB222_106:
	ds_load_b32 v11, v11 offset:480
	s_wait_dscnt 0x0
	v_add_f32_e32 v18, v18, v11
.LBB222_107:
	s_wait_alu 0xfffe
	s_or_b32 exec_lo, exec_lo, s0
.LBB222_108:
	s_wait_alu 0xfffe
	s_or_b32 exec_lo, exec_lo, s1
	s_mov_b32 s21, 0
	s_wait_loadcnt 0x0
	s_barrier_signal -1
	s_barrier_wait -1
	global_inv scope:SCOPE_SE
	s_mov_b32 s0, exec_lo
	v_cmpx_eq_u32_e32 0, v14
	s_cbranch_execz .LBB222_110
; %bb.109:
	s_lshl_b32 s0, s4, 7
	s_mul_i32 s2, s16, s22
	s_wait_alu 0xfffe
	s_ashr_i32 s1, s0, 31
	s_ashr_i32 s3, s2, 31
	s_wait_alu 0xfffe
	s_lshl_b64 s[0:1], s[0:1], 2
	s_lshl_b64 s[2:3], s[2:3], 2
	s_wait_alu 0xfffe
	s_add_nc_u64 s[0:1], s[6:7], s[0:1]
	s_wait_alu 0xfffe
	s_add_nc_u64 s[0:1], s[0:1], s[2:3]
	;; [unrolled: 2-line block ×3, first 2 shown]
	s_clause 0xf
	global_store_b32 v0, v1, s[0:1]
	global_store_b32 v0, v2, s[0:1] offset:32
	global_store_b32 v0, v3, s[0:1] offset:64
	global_store_b32 v0, v4, s[0:1] offset:96
	global_store_b32 v0, v5, s[0:1] offset:128
	global_store_b32 v0, v6, s[0:1] offset:160
	global_store_b32 v0, v7, s[0:1] offset:192
	global_store_b32 v0, v8, s[0:1] offset:224
	global_store_b32 v0, v9, s[0:1] offset:256
	global_store_b32 v0, v10, s[0:1] offset:288
	global_store_b32 v0, v12, s[0:1] offset:320
	global_store_b32 v0, v13, s[0:1] offset:352
	global_store_b32 v0, v15, s[0:1] offset:384
	global_store_b32 v0, v16, s[0:1] offset:416
	global_store_b32 v0, v17, s[0:1] offset:448
	global_store_b32 v0, v18, s[0:1] offset:480
.LBB222_110:
	s_nop 0
	s_sendmsg sendmsg(MSG_DEALLOC_VGPRS)
	s_endpgm
.LBB222_111:
	ds_load_b32 v14, v11
	s_wait_dscnt 0x0
	v_add_f32_e32 v1, v1, v14
	s_wait_alu 0xfffe
	s_or_b32 exec_lo, exec_lo, s1
	s_and_saveexec_b32 s1, vcc_lo
	s_cbranch_execz .LBB222_71
.LBB222_112:
	ds_load_b32 v14, v11 offset:32
	s_wait_dscnt 0x0
	v_add_f32_e32 v2, v2, v14
	s_wait_alu 0xfffe
	s_or_b32 exec_lo, exec_lo, s1
	s_and_saveexec_b32 s1, vcc_lo
	s_cbranch_execz .LBB222_72
.LBB222_113:
	ds_load_b32 v14, v11 offset:64
	s_wait_dscnt 0x0
	v_add_f32_e32 v3, v3, v14
	s_wait_alu 0xfffe
	s_or_b32 exec_lo, exec_lo, s1
	s_and_saveexec_b32 s1, vcc_lo
	s_cbranch_execz .LBB222_73
.LBB222_114:
	ds_load_b32 v14, v11 offset:96
	s_wait_dscnt 0x0
	v_add_f32_e32 v4, v4, v14
	s_wait_alu 0xfffe
	s_or_b32 exec_lo, exec_lo, s1
	s_and_saveexec_b32 s1, vcc_lo
	s_cbranch_execz .LBB222_74
.LBB222_115:
	ds_load_b32 v14, v11 offset:128
	s_wait_dscnt 0x0
	v_add_f32_e32 v5, v5, v14
	s_wait_alu 0xfffe
	s_or_b32 exec_lo, exec_lo, s1
	s_and_saveexec_b32 s1, vcc_lo
	s_cbranch_execz .LBB222_75
.LBB222_116:
	ds_load_b32 v14, v11 offset:160
	s_wait_dscnt 0x0
	v_add_f32_e32 v6, v6, v14
	s_wait_alu 0xfffe
	s_or_b32 exec_lo, exec_lo, s1
	s_and_saveexec_b32 s1, vcc_lo
	s_cbranch_execz .LBB222_76
.LBB222_117:
	ds_load_b32 v14, v11 offset:192
	s_wait_dscnt 0x0
	v_add_f32_e32 v7, v7, v14
	s_wait_alu 0xfffe
	s_or_b32 exec_lo, exec_lo, s1
	s_and_saveexec_b32 s1, vcc_lo
	s_cbranch_execz .LBB222_77
.LBB222_118:
	ds_load_b32 v14, v11 offset:224
	s_wait_dscnt 0x0
	v_add_f32_e32 v8, v8, v14
	s_wait_alu 0xfffe
	s_or_b32 exec_lo, exec_lo, s1
	s_and_saveexec_b32 s1, vcc_lo
	s_cbranch_execz .LBB222_78
.LBB222_119:
	ds_load_b32 v14, v11 offset:256
	s_wait_dscnt 0x0
	v_add_f32_e32 v9, v9, v14
	s_wait_alu 0xfffe
	s_or_b32 exec_lo, exec_lo, s1
	s_and_saveexec_b32 s1, vcc_lo
	s_cbranch_execz .LBB222_79
.LBB222_120:
	ds_load_b32 v14, v11 offset:288
	s_wait_dscnt 0x0
	v_add_f32_e32 v10, v10, v14
	s_wait_alu 0xfffe
	s_or_b32 exec_lo, exec_lo, s1
	s_and_saveexec_b32 s1, vcc_lo
	s_cbranch_execz .LBB222_80
.LBB222_121:
	ds_load_b32 v14, v11 offset:320
	s_wait_dscnt 0x0
	v_add_f32_e32 v12, v12, v14
	s_wait_alu 0xfffe
	s_or_b32 exec_lo, exec_lo, s1
	s_and_saveexec_b32 s1, vcc_lo
	s_cbranch_execz .LBB222_81
.LBB222_122:
	ds_load_b32 v14, v11 offset:352
	s_wait_dscnt 0x0
	v_add_f32_e32 v13, v13, v14
	s_wait_alu 0xfffe
	s_or_b32 exec_lo, exec_lo, s1
	s_and_saveexec_b32 s1, vcc_lo
	s_cbranch_execz .LBB222_82
.LBB222_123:
	ds_load_b32 v14, v11 offset:384
	s_wait_dscnt 0x0
	v_add_f32_e32 v15, v15, v14
	s_wait_alu 0xfffe
	s_or_b32 exec_lo, exec_lo, s1
	s_and_saveexec_b32 s1, vcc_lo
	s_cbranch_execz .LBB222_83
.LBB222_124:
	ds_load_b32 v14, v11 offset:416
	s_wait_dscnt 0x0
	v_add_f32_e32 v16, v16, v14
	s_wait_alu 0xfffe
	s_or_b32 exec_lo, exec_lo, s1
	s_and_saveexec_b32 s1, vcc_lo
	s_cbranch_execz .LBB222_84
.LBB222_125:
	ds_load_b32 v14, v11 offset:448
	s_wait_dscnt 0x0
	v_add_f32_e32 v17, v17, v14
	s_wait_alu 0xfffe
	s_or_b32 exec_lo, exec_lo, s1
	s_and_saveexec_b32 s1, vcc_lo
	s_cbranch_execnz .LBB222_85
	s_branch .LBB222_86
.LBB222_126:
	ds_load_b32 v19, v11
	s_wait_dscnt 0x0
	v_add_f32_e32 v1, v1, v19
	s_wait_alu 0xfffe
	s_or_b32 exec_lo, exec_lo, s0
	s_and_saveexec_b32 s0, vcc_lo
	s_cbranch_execz .LBB222_92
.LBB222_127:
	ds_load_b32 v19, v11 offset:32
	s_wait_dscnt 0x0
	v_add_f32_e32 v2, v2, v19
	s_wait_alu 0xfffe
	s_or_b32 exec_lo, exec_lo, s0
	s_and_saveexec_b32 s0, vcc_lo
	s_cbranch_execz .LBB222_93
.LBB222_128:
	ds_load_b32 v19, v11 offset:64
	s_wait_dscnt 0x0
	v_add_f32_e32 v3, v3, v19
	s_wait_alu 0xfffe
	s_or_b32 exec_lo, exec_lo, s0
	s_and_saveexec_b32 s0, vcc_lo
	s_cbranch_execz .LBB222_94
.LBB222_129:
	ds_load_b32 v19, v11 offset:96
	s_wait_dscnt 0x0
	v_add_f32_e32 v4, v4, v19
	s_wait_alu 0xfffe
	s_or_b32 exec_lo, exec_lo, s0
	s_and_saveexec_b32 s0, vcc_lo
	s_cbranch_execz .LBB222_95
.LBB222_130:
	ds_load_b32 v19, v11 offset:128
	s_wait_dscnt 0x0
	v_add_f32_e32 v5, v5, v19
	s_wait_alu 0xfffe
	s_or_b32 exec_lo, exec_lo, s0
	s_and_saveexec_b32 s0, vcc_lo
	s_cbranch_execz .LBB222_96
.LBB222_131:
	ds_load_b32 v19, v11 offset:160
	s_wait_dscnt 0x0
	v_add_f32_e32 v6, v6, v19
	s_wait_alu 0xfffe
	s_or_b32 exec_lo, exec_lo, s0
	s_and_saveexec_b32 s0, vcc_lo
	s_cbranch_execz .LBB222_97
.LBB222_132:
	ds_load_b32 v19, v11 offset:192
	s_wait_dscnt 0x0
	v_add_f32_e32 v7, v7, v19
	s_wait_alu 0xfffe
	s_or_b32 exec_lo, exec_lo, s0
	s_and_saveexec_b32 s0, vcc_lo
	s_cbranch_execz .LBB222_98
.LBB222_133:
	ds_load_b32 v19, v11 offset:224
	s_wait_dscnt 0x0
	v_add_f32_e32 v8, v8, v19
	s_wait_alu 0xfffe
	s_or_b32 exec_lo, exec_lo, s0
	s_and_saveexec_b32 s0, vcc_lo
	s_cbranch_execz .LBB222_99
.LBB222_134:
	ds_load_b32 v19, v11 offset:256
	s_wait_dscnt 0x0
	v_add_f32_e32 v9, v9, v19
	s_wait_alu 0xfffe
	s_or_b32 exec_lo, exec_lo, s0
	s_and_saveexec_b32 s0, vcc_lo
	s_cbranch_execz .LBB222_100
.LBB222_135:
	ds_load_b32 v19, v11 offset:288
	s_wait_dscnt 0x0
	v_add_f32_e32 v10, v10, v19
	s_wait_alu 0xfffe
	s_or_b32 exec_lo, exec_lo, s0
	s_and_saveexec_b32 s0, vcc_lo
	s_cbranch_execz .LBB222_101
.LBB222_136:
	ds_load_b32 v19, v11 offset:320
	s_wait_dscnt 0x0
	v_add_f32_e32 v12, v12, v19
	s_wait_alu 0xfffe
	s_or_b32 exec_lo, exec_lo, s0
	s_and_saveexec_b32 s0, vcc_lo
	s_cbranch_execz .LBB222_102
.LBB222_137:
	ds_load_b32 v19, v11 offset:352
	s_wait_dscnt 0x0
	v_add_f32_e32 v13, v13, v19
	s_wait_alu 0xfffe
	s_or_b32 exec_lo, exec_lo, s0
	s_and_saveexec_b32 s0, vcc_lo
	s_cbranch_execz .LBB222_103
.LBB222_138:
	ds_load_b32 v19, v11 offset:384
	s_wait_dscnt 0x0
	v_add_f32_e32 v15, v15, v19
	s_wait_alu 0xfffe
	s_or_b32 exec_lo, exec_lo, s0
	s_and_saveexec_b32 s0, vcc_lo
	s_cbranch_execz .LBB222_104
.LBB222_139:
	ds_load_b32 v19, v11 offset:416
	s_wait_dscnt 0x0
	v_add_f32_e32 v16, v16, v19
	s_wait_alu 0xfffe
	s_or_b32 exec_lo, exec_lo, s0
	s_and_saveexec_b32 s0, vcc_lo
	s_cbranch_execz .LBB222_105
.LBB222_140:
	ds_load_b32 v19, v11 offset:448
	s_wait_dscnt 0x0
	v_add_f32_e32 v17, v17, v19
	s_wait_alu 0xfffe
	s_or_b32 exec_lo, exec_lo, s0
	s_and_saveexec_b32 s0, vcc_lo
	s_cbranch_execnz .LBB222_106
	s_branch .LBB222_107
	.section	.rodata,"a",@progbits
	.p2align	6, 0x0
	.amdhsa_kernel _ZN4vllm25paged_attention_v2_kernelIfhLi128ELi16ELi128ELNS_18Fp8KVCacheDataTypeE1ELb0ELi512EEEvPfS2_PT_PKS3_PKT0_S9_ifPKiSB_iPKfiiiSD_SD_iiiii
		.amdhsa_group_segment_fixed_size 544
		.amdhsa_private_segment_fixed_size 0
		.amdhsa_kernarg_size 400
		.amdhsa_user_sgpr_count 2
		.amdhsa_user_sgpr_dispatch_ptr 0
		.amdhsa_user_sgpr_queue_ptr 0
		.amdhsa_user_sgpr_kernarg_segment_ptr 1
		.amdhsa_user_sgpr_dispatch_id 0
		.amdhsa_user_sgpr_private_segment_size 0
		.amdhsa_wavefront_size32 1
		.amdhsa_uses_dynamic_stack 0
		.amdhsa_enable_private_segment 0
		.amdhsa_system_sgpr_workgroup_id_x 1
		.amdhsa_system_sgpr_workgroup_id_y 1
		.amdhsa_system_sgpr_workgroup_id_z 1
		.amdhsa_system_sgpr_workgroup_info 0
		.amdhsa_system_vgpr_workitem_id 0
		.amdhsa_next_free_vgpr 119
		.amdhsa_next_free_sgpr 38
		.amdhsa_reserve_vcc 1
		.amdhsa_float_round_mode_32 0
		.amdhsa_float_round_mode_16_64 0
		.amdhsa_float_denorm_mode_32 3
		.amdhsa_float_denorm_mode_16_64 3
		.amdhsa_fp16_overflow 0
		.amdhsa_workgroup_processor_mode 1
		.amdhsa_memory_ordered 1
		.amdhsa_forward_progress 1
		.amdhsa_inst_pref_size 78
		.amdhsa_round_robin_scheduling 0
		.amdhsa_exception_fp_ieee_invalid_op 0
		.amdhsa_exception_fp_denorm_src 0
		.amdhsa_exception_fp_ieee_div_zero 0
		.amdhsa_exception_fp_ieee_overflow 0
		.amdhsa_exception_fp_ieee_underflow 0
		.amdhsa_exception_fp_ieee_inexact 0
		.amdhsa_exception_int_div_zero 0
	.end_amdhsa_kernel
	.section	.text._ZN4vllm25paged_attention_v2_kernelIfhLi128ELi16ELi128ELNS_18Fp8KVCacheDataTypeE1ELb0ELi512EEEvPfS2_PT_PKS3_PKT0_S9_ifPKiSB_iPKfiiiSD_SD_iiiii,"axG",@progbits,_ZN4vllm25paged_attention_v2_kernelIfhLi128ELi16ELi128ELNS_18Fp8KVCacheDataTypeE1ELb0ELi512EEEvPfS2_PT_PKS3_PKT0_S9_ifPKiSB_iPKfiiiSD_SD_iiiii,comdat
.Lfunc_end222:
	.size	_ZN4vllm25paged_attention_v2_kernelIfhLi128ELi16ELi128ELNS_18Fp8KVCacheDataTypeE1ELb0ELi512EEEvPfS2_PT_PKS3_PKT0_S9_ifPKiSB_iPKfiiiSD_SD_iiiii, .Lfunc_end222-_ZN4vllm25paged_attention_v2_kernelIfhLi128ELi16ELi128ELNS_18Fp8KVCacheDataTypeE1ELb0ELi512EEEvPfS2_PT_PKS3_PKT0_S9_ifPKiSB_iPKfiiiSD_SD_iiiii
                                        ; -- End function
	.set _ZN4vllm25paged_attention_v2_kernelIfhLi128ELi16ELi128ELNS_18Fp8KVCacheDataTypeE1ELb0ELi512EEEvPfS2_PT_PKS3_PKT0_S9_ifPKiSB_iPKfiiiSD_SD_iiiii.num_vgpr, 119
	.set _ZN4vllm25paged_attention_v2_kernelIfhLi128ELi16ELi128ELNS_18Fp8KVCacheDataTypeE1ELb0ELi512EEEvPfS2_PT_PKS3_PKT0_S9_ifPKiSB_iPKfiiiSD_SD_iiiii.num_agpr, 0
	.set _ZN4vllm25paged_attention_v2_kernelIfhLi128ELi16ELi128ELNS_18Fp8KVCacheDataTypeE1ELb0ELi512EEEvPfS2_PT_PKS3_PKT0_S9_ifPKiSB_iPKfiiiSD_SD_iiiii.numbered_sgpr, 38
	.set _ZN4vllm25paged_attention_v2_kernelIfhLi128ELi16ELi128ELNS_18Fp8KVCacheDataTypeE1ELb0ELi512EEEvPfS2_PT_PKS3_PKT0_S9_ifPKiSB_iPKfiiiSD_SD_iiiii.num_named_barrier, 0
	.set _ZN4vllm25paged_attention_v2_kernelIfhLi128ELi16ELi128ELNS_18Fp8KVCacheDataTypeE1ELb0ELi512EEEvPfS2_PT_PKS3_PKT0_S9_ifPKiSB_iPKfiiiSD_SD_iiiii.private_seg_size, 0
	.set _ZN4vllm25paged_attention_v2_kernelIfhLi128ELi16ELi128ELNS_18Fp8KVCacheDataTypeE1ELb0ELi512EEEvPfS2_PT_PKS3_PKT0_S9_ifPKiSB_iPKfiiiSD_SD_iiiii.uses_vcc, 1
	.set _ZN4vllm25paged_attention_v2_kernelIfhLi128ELi16ELi128ELNS_18Fp8KVCacheDataTypeE1ELb0ELi512EEEvPfS2_PT_PKS3_PKT0_S9_ifPKiSB_iPKfiiiSD_SD_iiiii.uses_flat_scratch, 0
	.set _ZN4vllm25paged_attention_v2_kernelIfhLi128ELi16ELi128ELNS_18Fp8KVCacheDataTypeE1ELb0ELi512EEEvPfS2_PT_PKS3_PKT0_S9_ifPKiSB_iPKfiiiSD_SD_iiiii.has_dyn_sized_stack, 0
	.set _ZN4vllm25paged_attention_v2_kernelIfhLi128ELi16ELi128ELNS_18Fp8KVCacheDataTypeE1ELb0ELi512EEEvPfS2_PT_PKS3_PKT0_S9_ifPKiSB_iPKfiiiSD_SD_iiiii.has_recursion, 0
	.set _ZN4vllm25paged_attention_v2_kernelIfhLi128ELi16ELi128ELNS_18Fp8KVCacheDataTypeE1ELb0ELi512EEEvPfS2_PT_PKS3_PKT0_S9_ifPKiSB_iPKfiiiSD_SD_iiiii.has_indirect_call, 0
	.section	.AMDGPU.csdata,"",@progbits
; Kernel info:
; codeLenInByte = 9872
; TotalNumSgprs: 40
; NumVgprs: 119
; ScratchSize: 0
; MemoryBound: 0
; FloatMode: 240
; IeeeMode: 1
; LDSByteSize: 544 bytes/workgroup (compile time only)
; SGPRBlocks: 0
; VGPRBlocks: 14
; NumSGPRsForWavesPerEU: 40
; NumVGPRsForWavesPerEU: 119
; Occupancy: 12
; WaveLimiterHint : 1
; COMPUTE_PGM_RSRC2:SCRATCH_EN: 0
; COMPUTE_PGM_RSRC2:USER_SGPR: 2
; COMPUTE_PGM_RSRC2:TRAP_HANDLER: 0
; COMPUTE_PGM_RSRC2:TGID_X_EN: 1
; COMPUTE_PGM_RSRC2:TGID_Y_EN: 1
; COMPUTE_PGM_RSRC2:TGID_Z_EN: 1
; COMPUTE_PGM_RSRC2:TIDIG_COMP_CNT: 0
	.section	.text._ZN4vllm25paged_attention_v2_kernelIfhLi192ELi16ELi128ELNS_18Fp8KVCacheDataTypeE1ELb0ELi512EEEvPfS2_PT_PKS3_PKT0_S9_ifPKiSB_iPKfiiiSD_SD_iiiii,"axG",@progbits,_ZN4vllm25paged_attention_v2_kernelIfhLi192ELi16ELi128ELNS_18Fp8KVCacheDataTypeE1ELb0ELi512EEEvPfS2_PT_PKS3_PKT0_S9_ifPKiSB_iPKfiiiSD_SD_iiiii,comdat
	.protected	_ZN4vllm25paged_attention_v2_kernelIfhLi192ELi16ELi128ELNS_18Fp8KVCacheDataTypeE1ELb0ELi512EEEvPfS2_PT_PKS3_PKT0_S9_ifPKiSB_iPKfiiiSD_SD_iiiii ; -- Begin function _ZN4vllm25paged_attention_v2_kernelIfhLi192ELi16ELi128ELNS_18Fp8KVCacheDataTypeE1ELb0ELi512EEEvPfS2_PT_PKS3_PKT0_S9_ifPKiSB_iPKfiiiSD_SD_iiiii
	.globl	_ZN4vllm25paged_attention_v2_kernelIfhLi192ELi16ELi128ELNS_18Fp8KVCacheDataTypeE1ELb0ELi512EEEvPfS2_PT_PKS3_PKT0_S9_ifPKiSB_iPKfiiiSD_SD_iiiii
	.p2align	8
	.type	_ZN4vllm25paged_attention_v2_kernelIfhLi192ELi16ELi128ELNS_18Fp8KVCacheDataTypeE1ELb0ELi512EEEvPfS2_PT_PKS3_PKT0_S9_ifPKiSB_iPKfiiiSD_SD_iiiii,@function
_ZN4vllm25paged_attention_v2_kernelIfhLi192ELi16ELi128ELNS_18Fp8KVCacheDataTypeE1ELb0ELi512EEEvPfS2_PT_PKS3_PKT0_S9_ifPKiSB_iPKfiiiSD_SD_iiiii: ; @_ZN4vllm25paged_attention_v2_kernelIfhLi192ELi16ELi128ELNS_18Fp8KVCacheDataTypeE1ELb0ELi512EEEvPfS2_PT_PKS3_PKT0_S9_ifPKiSB_iPKfiiiSD_SD_iiiii
; %bb.0:
	s_load_b64 s[2:3], s[0:1], 0x40
	s_and_b32 s15, ttmp7, 0xffff
	s_lshr_b32 s26, ttmp7, 16
	s_lshl_b32 s4, s15, 2
	s_lshl_b32 s28, s26, 9
	s_wait_kmcnt 0x0
	s_load_b32 s27, s[2:3], s4 offset:0x0
	s_wait_kmcnt 0x0
	s_cmp_ge_i32 s28, s27
	s_cbranch_scc1 .LBB223_142
; %bb.1:
	s_clause 0x1
	s_load_b32 s30, s[0:1], 0x90
	s_load_b64 s[8:9], s[0:1], 0x30
	s_wait_kmcnt 0x0
	s_abs_i32 s5, s30
	s_abs_i32 s2, s8
	s_delay_alu instid0(SALU_CYCLE_1) | instskip(SKIP_1) | instid1(SALU_CYCLE_2)
	s_cvt_f32_u32 s3, s2
	s_sub_co_i32 s4, 0, s2
	v_rcp_iflag_f32_e32 v1, s3
	s_delay_alu instid0(TRANS32_DEP_1) | instskip(SKIP_2) | instid1(SALU_CYCLE_2)
	v_readfirstlane_b32 s3, v1
	s_mul_f32 s3, s3, 0x4f7ffffe
	s_wait_alu 0xfffe
	s_cvt_u32_f32 s3, s3
	s_wait_alu 0xfffe
	s_delay_alu instid0(SALU_CYCLE_2) | instskip(NEXT) | instid1(SALU_CYCLE_1)
	s_mul_i32 s4, s4, s3
	s_mul_hi_u32 s4, s3, s4
	s_delay_alu instid0(SALU_CYCLE_1)
	s_add_co_i32 s3, s3, s4
	s_xor_b32 s4, s30, s8
	s_wait_alu 0xfffe
	s_mul_hi_u32 s3, s5, s3
	s_ashr_i32 s4, s4, 31
	s_wait_alu 0xfffe
	s_mul_i32 s6, s3, s2
	s_delay_alu instid0(SALU_CYCLE_1)
	s_sub_co_i32 s5, s5, s6
	s_add_co_i32 s6, s3, 1
	s_sub_co_i32 s7, s5, s2
	s_cmp_ge_u32 s5, s2
	s_cselect_b32 s3, s6, s3
	s_cselect_b32 s5, s7, s5
	s_wait_alu 0xfffe
	s_add_co_i32 s6, s3, 1
	s_cmp_ge_u32 s5, s2
	s_cselect_b32 s2, s6, s3
	s_load_b64 s[6:7], s[0:1], 0x50
	s_xor_b32 s2, s2, s4
	s_mov_b32 s3, 0
	s_wait_alu 0xfffe
	s_sub_co_i32 s11, s2, s4
	s_mov_b32 s8, s3
	s_abs_i32 s10, s11
	s_delay_alu instid0(SALU_CYCLE_1) | instskip(SKIP_1) | instid1(SALU_CYCLE_2)
	s_cvt_f32_u32 s2, s10
	s_wait_alu 0xfffe
	v_rcp_iflag_f32_e32 v1, s2
	s_delay_alu instid0(TRANS32_DEP_1) | instskip(SKIP_2) | instid1(SALU_CYCLE_2)
	v_readfirstlane_b32 s2, v1
	s_mul_f32 s2, s2, 0x4f7ffffe
	s_wait_alu 0xfffe
	s_cvt_u32_f32 s4, s2
	s_sub_co_i32 s2, 0, s10
	s_wait_alu 0xfffe
	s_delay_alu instid0(SALU_CYCLE_1)
	s_mul_i32 s2, s2, s4
	s_wait_alu 0xfffe
	s_mul_hi_u32 s5, s4, s2
	s_abs_i32 s2, ttmp9
	s_add_co_i32 s4, s4, s5
	s_mov_b32 s5, s3
	s_wait_kmcnt 0x0
	s_cmp_eq_u64 s[6:7], 0
	s_cbranch_scc1 .LBB223_3
; %bb.2:
	s_mov_b32 s12, ttmp9
	s_ashr_i32 s13, ttmp9, 31
	s_delay_alu instid0(SALU_CYCLE_1) | instskip(NEXT) | instid1(SALU_CYCLE_1)
	s_lshl_b64 s[12:13], s[12:13], 2
	s_add_nc_u64 s[6:7], s[6:7], s[12:13]
	s_load_b32 s8, s[6:7], 0x0
.LBB223_3:
	s_load_b96 s[12:14], s[0:1], 0x58
	v_and_b32_e32 v1, 1, v0
	v_lshlrev_b32_e32 v129, 2, v0
	s_mul_u64 s[4:5], s[2:3], s[4:5]
	s_ashr_i32 s3, ttmp9, 31
	s_ashr_i32 s4, s11, 31
	s_mul_i32 s16, ttmp9, 0xc0
	s_mov_b32 s6, exec_lo
	v_cmpx_gt_u32_e32 0x60, v0
	s_cbranch_execz .LBB223_5
; %bb.4:
	s_load_b64 s[18:19], s[0:1], 0x18
	s_wait_kmcnt 0x0
	s_mul_i32 s20, s12, s15
	s_ashr_i32 s17, s16, 31
	s_ashr_i32 s21, s20, 31
	v_lshlrev_b32_e32 v2, 3, v0
	s_lshl_b64 s[20:21], s[20:21], 2
	v_and_b32_e32 v4, 0xff8, v129
	s_delay_alu instid0(VALU_DEP_1) | instskip(SKIP_2) | instid1(SALU_CYCLE_1)
	v_mad_u32_u24 v4, 0x180, v1, v4
	s_add_nc_u64 s[18:19], s[18:19], s[20:21]
	s_lshl_b64 s[20:21], s[16:17], 2
	s_add_nc_u64 s[18:19], s[18:19], s[20:21]
	global_load_b64 v[2:3], v2, s[18:19]
	s_wait_loadcnt 0x0
	ds_store_b64 v4, v[2:3]
.LBB223_5:
	s_or_b32 exec_lo, exec_lo, s6
	s_add_co_i32 s6, s27, 15
	s_wait_alu 0xfffe
	s_xor_b32 s3, s3, s4
	s_ashr_i32 s7, s6, 31
	s_lshl_b32 s31, s26, 5
	s_lshr_b32 s4, s7, 28
	s_mul_i32 s7, s5, s10
	s_add_co_i32 s6, s6, s4
	s_add_co_i32 s4, s31, 32
	s_ashr_i32 s29, s6, 4
	s_load_b32 s6, s[0:1], 0x48
	s_sub_co_i32 s2, s2, s7
	s_min_i32 s17, s4, s29
	s_add_co_i32 s4, s5, 1
	s_wait_alu 0xfffe
	s_sub_co_i32 s7, s2, s10
	s_cmp_ge_u32 s2, s10
	v_lshrrev_b32_e32 v130, 5, v0
	s_cselect_b32 s4, s4, s5
	s_cselect_b32 s2, s7, s2
	s_add_co_i32 s5, s4, 1
	s_wait_alu 0xfffe
	s_cmp_ge_u32 s2, s10
	v_or_b32_e32 v138, s31, v130
	s_cselect_b32 s2, s5, s4
	v_mbcnt_lo_u32_b32 v133, -1, 0
	s_wait_alu 0xfffe
	s_xor_b32 s2, s2, s3
	s_mov_b32 s4, exec_lo
	s_wait_alu 0xfffe
	s_sub_co_i32 s3, s2, s3
	v_cmp_gt_i32_e64 s2, s17, v138
	s_wait_dscnt 0x0
	s_barrier_signal -1
	s_wait_kmcnt 0x0
	s_mul_i32 s18, s6, s15
	s_barrier_wait -1
	s_ashr_i32 s19, s18, 31
	global_inv scope:SCOPE_SE
                                        ; implicit-def: $vgpr131
                                        ; implicit-def: $vgpr132
	v_cmpx_le_i32_e64 s17, v138
	s_xor_b32 s4, exec_lo, s4
; %bb.6:
	v_dual_mov_b32 v131, 0 :: v_dual_mov_b32 v132, 32
	v_mbcnt_lo_u32_b32 v133, -1, 0
                                        ; implicit-def: $vgpr1
; %bb.7:
	s_or_saveexec_b32 s10, s4
	s_clause 0x2
	s_load_b32 s12, s[0:1], 0x98
	s_load_b64 s[20:21], s[0:1], 0x38
	s_load_b128 s[4:7], s[0:1], 0x68
	v_dual_mov_b32 v137, 0xff7fffff :: v_dual_lshlrev_b32 v128, 2, v138
	s_mul_i32 s22, s3, s14
	s_xor_b32 exec_lo, exec_lo, s10
	s_cbranch_execz .LBB223_13
; %bb.8:
	s_load_b64 s[24:25], s[0:1], 0x20
	v_mul_u32_u24_e32 v3, 0x180, v1
	v_bfe_u32 v2, v0, 1, 4
	v_xor_b32_e32 v5, 1, v133
	s_wait_kmcnt 0x0
	s_load_b32 s14, s[4:5], 0x0
	ds_load_b128 v[139:142], v3
	ds_load_b128 v[143:146], v3 offset:16
	ds_load_b128 v[147:150], v3 offset:32
	;; [unrolled: 1-line block ×23, first 2 shown]
	v_cmp_gt_i32_e32 vcc_lo, 32, v5
	v_lshlrev_b32_e32 v6, 4, v2
	s_ashr_i32 s23, s22, 31
	v_dual_mov_b32 v131, 0 :: v_dual_lshlrev_b32 v4, 1, v1
	v_cndmask_b32_e32 v5, v133, v5, vcc_lo
	s_cmp_neq_f32 s8, 0
	v_mov_b32_e32 v132, 32
	s_add_nc_u64 s[4:5], s[24:25], s[22:23]
	v_cmp_eq_u32_e32 vcc_lo, 0, v1
	v_add_co_u32 v6, s3, s4, v6
	s_wait_alu 0xf1ff
	v_add_co_ci_u32_e64 v7, null, s5, 0, s3
	v_lshlrev_b32_e32 v1, 2, v2
	s_delay_alu instid0(VALU_DEP_3)
	v_add_co_u32 v135, s4, v6, v4
	s_cselect_b32 s3, -1, 0
	s_wait_alu 0xf1ff
	v_add_co_ci_u32_e64 v136, null, 0, v7, s4
	s_lshl_b64 s[4:5], s[18:19], 2
	v_dual_mov_b32 v137, 0xff7fffff :: v_dual_lshlrev_b32 v134, 2, v5
	v_dual_mov_b32 v112, v138 :: v_dual_lshlrev_b32 v5, 4, v130
	v_lshl_or_b32 v1, v130, 6, v1
	s_wait_alu 0xfffe
	s_add_nc_u64 s[4:5], s[20:21], s[4:5]
	s_mov_b32 s11, s13
	s_wait_alu 0xfffe
	v_add_co_u32 v99, s4, s4, v128
	v_add3_u32 v110, s28, v5, v2
	v_add_nc_u32_e32 v111, 0x320, v1
	s_wait_alu 0xf1ff
	v_add_co_ci_u32_e64 v100, null, s5, 0, s4
	s_mov_b32 s23, 0
	s_wait_kmcnt 0x0
	s_mov_b32 s24, s14
	s_sub_co_i32 s25, 1, s27
	s_branch .LBB223_10
.LBB223_9:                              ;   in Loop: Header=BB223_10 Depth=1
	s_wait_alu 0xfffe
	s_or_b32 exec_lo, exec_lo, s5
	v_add_nc_u32_e32 v112, 4, v112
	v_add_co_u32 v99, s5, v99, 16
	v_add_nc_u32_e32 v110, 64, v110
	v_add_nc_u32_e32 v111, 0x100, v111
	s_delay_alu instid0(VALU_DEP_4) | instskip(SKIP_3) | instid1(SALU_CYCLE_1)
	v_cmp_le_i32_e64 s4, s17, v112
	s_wait_alu 0xf1ff
	v_add_co_ci_u32_e64 v100, null, 0, v100, s5
	s_or_b32 s23, s4, s23
	s_and_not1_b32 exec_lo, exec_lo, s23
	s_cbranch_execz .LBB223_12
.LBB223_10:                             ; =>This Inner Loop Header: Depth=1
	global_load_b32 v1, v[99:100], off
	s_wait_loadcnt 0x0
	v_mad_co_i64_i32 v[151:152], null, v1, s11, v[135:136]
	s_clause 0x15
	global_load_u16 v12, v[151:152], off offset:4
	global_load_u16 v115, v[151:152], off
	global_load_u16 v117, v[151:152], off offset:8
	global_load_u16 v13, v[151:152], off offset:12
	;; [unrolled: 1-line block ×20, first 2 shown]
	s_wait_dscnt 0x0
	s_clause 0x19
	global_load_u16 v2, v[151:152], off offset:1288
	global_load_u16 v1, v[151:152], off offset:1292
	;; [unrolled: 1-line block ×26, first 2 shown]
	s_wait_loadcnt 0x2f
	v_cvt_pk_f32_fp8_e32 v[151:152], v12
	s_wait_loadcnt 0x2e
	v_cvt_pk_f32_fp8_e32 v[153:154], v115
	s_delay_alu instid0(VALU_DEP_2) | instskip(SKIP_2) | instid1(VALU_DEP_3)
	v_dual_mul_f32 v12, s14, v151 :: v_dual_mul_f32 v23, s24, v152
	s_wait_loadcnt 0x2d
	v_cvt_pk_f32_fp8_e32 v[151:152], v117
	v_dual_mul_f32 v24, s24, v154 :: v_dual_mul_f32 v167, s14, v153
	s_wait_loadcnt 0x2c
	v_cvt_pk_f32_fp8_e32 v[153:154], v13
	s_wait_dscnt 0x17
	v_mul_f32_e32 v117, v142, v23
	v_mul_f32_e32 v115, v141, v12
	v_dual_mul_f32 v12, s24, v152 :: v_dual_mul_f32 v13, s14, v151
	s_wait_loadcnt 0x2b
	v_cvt_pk_f32_fp8_e32 v[151:152], v14
	v_dual_fmac_f32 v117, v140, v24 :: v_dual_mul_f32 v14, s24, v154
	v_mul_f32_e32 v23, s14, v153
	s_wait_loadcnt 0x2a
	v_cvt_pk_f32_fp8_e32 v[153:154], v15
	v_fmac_f32_e32 v115, v139, v167
	s_wait_dscnt 0x16
	v_fmac_f32_e32 v117, v144, v12
	s_delay_alu instid0(VALU_DEP_3) | instskip(NEXT) | instid1(VALU_DEP_2)
	v_dual_mul_f32 v12, s24, v152 :: v_dual_mul_f32 v15, s14, v153
	v_fmac_f32_e32 v117, v146, v14
	v_dual_mul_f32 v14, s24, v154 :: v_dual_fmac_f32 v115, v143, v13
	v_mul_f32_e32 v13, s14, v151
	s_wait_loadcnt 0x29
	v_cvt_pk_f32_fp8_e32 v[151:152], v16
	s_wait_dscnt 0x15
	v_fmac_f32_e32 v117, v148, v12
	s_wait_loadcnt 0x28
	v_cvt_pk_f32_fp8_e32 v[153:154], v17
	v_dual_mul_f32 v12, s24, v152 :: v_dual_fmac_f32 v115, v145, v23
	s_delay_alu instid0(VALU_DEP_3) | instskip(NEXT) | instid1(VALU_DEP_2)
	v_fmac_f32_e32 v117, v150, v14
	v_dual_mul_f32 v14, s24, v154 :: v_dual_fmac_f32 v115, v147, v13
	v_mul_f32_e32 v13, s14, v151
	s_wait_loadcnt 0x27
	v_cvt_pk_f32_fp8_e32 v[151:152], v18
	s_wait_dscnt 0x14
	v_fmac_f32_e32 v117, v156, v12
	v_fmac_f32_e32 v115, v149, v15
	v_mul_f32_e32 v15, s14, v153
	s_wait_loadcnt 0x26
	v_cvt_pk_f32_fp8_e32 v[153:154], v19
	v_dual_mul_f32 v12, s24, v152 :: v_dual_fmac_f32 v117, v158, v14
	v_fmac_f32_e32 v115, v155, v13
	v_mul_f32_e32 v13, s14, v151
	s_wait_loadcnt 0x25
	v_cvt_pk_f32_fp8_e32 v[151:152], v20
	s_wait_dscnt 0x13
	v_dual_mul_f32 v14, s24, v154 :: v_dual_fmac_f32 v117, v160, v12
	v_fmac_f32_e32 v115, v157, v15
	v_mul_f32_e32 v15, s14, v153
	s_wait_loadcnt 0x24
	v_cvt_pk_f32_fp8_e32 v[153:154], v21
	v_dual_mul_f32 v12, s24, v152 :: v_dual_fmac_f32 v117, v162, v14
	v_fmac_f32_e32 v115, v159, v13
	v_mul_f32_e32 v13, s14, v151
	s_wait_loadcnt 0x23
	v_cvt_pk_f32_fp8_e32 v[151:152], v22
	s_wait_dscnt 0x12
	v_dual_mul_f32 v14, s24, v154 :: v_dual_fmac_f32 v117, v164, v12
	v_fmac_f32_e32 v115, v161, v15
	v_mul_f32_e32 v15, s14, v153
	s_wait_loadcnt 0x22
	v_cvt_pk_f32_fp8_e32 v[11:12], v11
	v_dual_mul_f32 v16, s14, v151 :: v_dual_fmac_f32 v117, v166, v14
	v_fmac_f32_e32 v115, v163, v13
	v_mul_f32_e32 v13, s24, v152
	s_wait_loadcnt 0x21
	v_cvt_pk_f32_fp8_e32 v[151:152], v10
	v_dual_mul_f32 v12, s24, v12 :: v_dual_mul_f32 v11, s14, v11
	v_fmac_f32_e32 v115, v165, v15
	s_wait_dscnt 0x11
	v_fmac_f32_e32 v117, v26, v13
	s_wait_loadcnt 0x20
	v_cvt_pk_f32_fp8_e32 v[9:10], v9
	v_dual_mul_f32 v13, s24, v152 :: v_dual_mul_f32 v14, s14, v151
	v_fmac_f32_e32 v115, v25, v16
	s_delay_alu instid0(VALU_DEP_3) | instskip(NEXT) | instid1(VALU_DEP_4)
	v_dual_fmac_f32 v117, v28, v12 :: v_dual_mul_f32 v10, s24, v10
	v_mul_f32_e32 v9, s14, v9
	s_delay_alu instid0(VALU_DEP_3)
	v_fmac_f32_e32 v115, v27, v11
	s_wait_loadcnt 0x1f
	v_cvt_pk_f32_fp8_e32 v[11:12], v8
	s_wait_dscnt 0x10
	v_fmac_f32_e32 v117, v30, v13
	s_wait_loadcnt 0x1e
	v_cvt_pk_f32_fp8_e32 v[7:8], v7
	v_dual_fmac_f32 v115, v29, v14 :: v_dual_mul_f32 v12, s24, v12
	v_mul_f32_e32 v11, s14, v11
	s_delay_alu instid0(VALU_DEP_3) | instskip(NEXT) | instid1(VALU_DEP_3)
	v_dual_fmac_f32 v117, v32, v10 :: v_dual_mul_f32 v8, s24, v8
	v_fmac_f32_e32 v115, v31, v9
	s_wait_loadcnt 0x1d
	v_cvt_pk_f32_fp8_e32 v[9:10], v6
	v_mul_f32_e32 v7, s14, v7
	s_wait_dscnt 0xf
	v_fmac_f32_e32 v117, v34, v12
	s_wait_loadcnt 0x1c
	v_cvt_pk_f32_fp8_e32 v[5:6], v5
	v_dual_fmac_f32 v115, v33, v11 :: v_dual_mul_f32 v10, s24, v10
	v_mul_f32_e32 v9, s14, v9
	s_delay_alu instid0(VALU_DEP_3) | instskip(NEXT) | instid1(VALU_DEP_3)
	v_dual_fmac_f32 v117, v36, v8 :: v_dual_mul_f32 v6, s24, v6
	v_fmac_f32_e32 v115, v35, v7
	s_wait_loadcnt 0x1b
	v_cvt_pk_f32_fp8_e32 v[7:8], v4
	v_mul_f32_e32 v5, s14, v5
	s_wait_dscnt 0xe
	v_fmac_f32_e32 v117, v38, v10
	s_wait_loadcnt 0x1a
	v_cvt_pk_f32_fp8_e32 v[3:4], v3
	v_dual_fmac_f32 v115, v37, v9 :: v_dual_mul_f32 v8, s24, v8
	v_mul_f32_e32 v7, s14, v7
	s_delay_alu instid0(VALU_DEP_3) | instskip(NEXT) | instid1(VALU_DEP_3)
	v_dual_fmac_f32 v117, v40, v6 :: v_dual_mul_f32 v4, s24, v4
	v_fmac_f32_e32 v115, v39, v5
	s_wait_loadcnt 0x19
	v_cvt_pk_f32_fp8_e32 v[5:6], v2
	v_mul_f32_e32 v3, s14, v3
	s_wait_dscnt 0xd
	v_fmac_f32_e32 v117, v42, v8
	s_wait_loadcnt 0x18
	v_cvt_pk_f32_fp8_e32 v[1:2], v1
	v_dual_fmac_f32 v115, v41, v7 :: v_dual_mul_f32 v6, s24, v6
	v_mul_f32_e32 v5, s14, v5
	v_fmac_f32_e32 v117, v44, v4
	s_delay_alu instid0(VALU_DEP_4) | instskip(NEXT) | instid1(VALU_DEP_4)
	v_mul_f32_e32 v7, s24, v2
	v_fmac_f32_e32 v115, v43, v3
	s_wait_loadcnt 0x17
	v_cvt_pk_f32_fp8_e32 v[3:4], v102
	s_wait_dscnt 0xc
	v_dual_mul_f32 v8, s14, v1 :: v_dual_fmac_f32 v117, v46, v6
	s_wait_loadcnt 0x16
	v_cvt_pk_f32_fp8_e32 v[1:2], v109
	v_fmac_f32_e32 v115, v45, v5
	v_dual_mul_f32 v5, s24, v4 :: v_dual_mul_f32 v6, s14, v3
	v_fmac_f32_e32 v117, v48, v7
	s_wait_loadcnt 0x15
	v_cvt_pk_f32_fp8_e32 v[3:4], v98
	v_fmac_f32_e32 v115, v47, v8
	v_dual_mul_f32 v7, s24, v2 :: v_dual_mul_f32 v8, s14, v1
	s_wait_dscnt 0xb
	v_fmac_f32_e32 v117, v50, v5
	s_wait_loadcnt 0x14
	v_cvt_pk_f32_fp8_e32 v[1:2], v97
	v_fmac_f32_e32 v115, v49, v6
	v_dual_mul_f32 v5, s24, v4 :: v_dual_mul_f32 v6, s14, v3
	v_fmac_f32_e32 v117, v52, v7
	s_wait_loadcnt 0x13
	v_cvt_pk_f32_fp8_e32 v[3:4], v108
	v_fmac_f32_e32 v115, v51, v8
	v_dual_mul_f32 v7, s24, v2 :: v_dual_mul_f32 v8, s14, v1
	s_wait_dscnt 0xa
	v_fmac_f32_e32 v117, v54, v5
	;; [unrolled: 11-line block ×11, first 2 shown]
	s_wait_loadcnt 0x0
	v_cvt_pk_f32_fp8_e32 v[1:2], v113
	v_dual_fmac_f32 v115, v89, v6 :: v_dual_mul_f32 v4, s24, v4
	v_mul_f32_e32 v3, s14, v3
	s_delay_alu instid0(VALU_DEP_3) | instskip(NEXT) | instid1(VALU_DEP_3)
	v_dual_fmac_f32 v117, v92, v7 :: v_dual_mul_f32 v2, s24, v2
	v_fmac_f32_e32 v115, v91, v8
	v_mul_f32_e32 v1, s14, v1
	s_wait_dscnt 0x0
	s_delay_alu instid0(VALU_DEP_3) | instskip(NEXT) | instid1(VALU_DEP_3)
	v_fmac_f32_e32 v117, v94, v4
	v_fmac_f32_e32 v115, v93, v3
	s_delay_alu instid0(VALU_DEP_2) | instskip(NEXT) | instid1(VALU_DEP_2)
	v_fmac_f32_e32 v117, v96, v2
	v_fmac_f32_e32 v115, v95, v1
	s_delay_alu instid0(VALU_DEP_1)
	v_add_f32_e32 v1, v115, v117
	ds_bpermute_b32 v2, v134, v1
	s_and_saveexec_b32 s5, vcc_lo
	s_cbranch_execz .LBB223_9
; %bb.11:                               ;   in Loop: Header=BB223_10 Depth=1
	s_wait_dscnt 0x0
	v_add_f32_e32 v1, v1, v2
	v_add_nc_u32_e32 v3, s25, v110
	v_cmp_gt_i32_e64 s4, s27, v110
	s_delay_alu instid0(VALU_DEP_2) | instskip(NEXT) | instid1(VALU_DEP_1)
	v_cvt_f32_i32_e32 v3, v3
	v_mul_f32_e32 v3, s8, v3
	s_delay_alu instid0(VALU_DEP_1) | instskip(SKIP_1) | instid1(VALU_DEP_2)
	v_cndmask_b32_e64 v2, 0, v3, s3
	v_max_num_f32_e32 v3, v137, v137
	v_fmac_f32_e32 v2, s9, v1
	s_delay_alu instid0(VALU_DEP_1) | instskip(SKIP_2) | instid1(VALU_DEP_2)
	v_max_num_f32_e32 v1, v3, v2
	s_wait_alu 0xf1ff
	v_cndmask_b32_e64 v2, 0, v2, s4
	v_cndmask_b32_e64 v137, v137, v1, s4
	ds_store_b32 v111, v2
	s_branch .LBB223_9
.LBB223_12:
	s_or_b32 exec_lo, exec_lo, s23
.LBB223_13:
	s_delay_alu instid0(SALU_CYCLE_1)
	s_or_b32 exec_lo, exec_lo, s10
	v_xor_b32_e32 v1, 16, v133
	v_xor_b32_e32 v3, 8, v133
	v_max_num_f32_e32 v5, v137, v137
	v_xor_b32_e32 v6, 2, v133
	s_load_b128 s[8:11], s[0:1], 0x0
	s_wait_kmcnt 0x0
	s_clause 0x1
	s_load_b64 s[4:5], s[0:1], 0x10
	s_load_b64 s[24:25], s[0:1], 0x28
	v_cmp_lt_i32_e32 vcc_lo, v1, v132
	v_and_b32_e32 v11, 31, v0
	s_wait_alu 0xfffd
	v_cndmask_b32_e32 v1, v133, v1, vcc_lo
	v_cmp_lt_i32_e32 vcc_lo, v3, v132
	s_wait_alu 0xfffd
	v_cndmask_b32_e32 v3, v133, v3, vcc_lo
	s_delay_alu instid0(VALU_DEP_1)
	v_lshlrev_b32_e32 v4, 2, v3
	s_wait_dscnt 0x0
	v_lshlrev_b32_e32 v2, 2, v1
	ds_bpermute_b32 v1, v2, v137
	s_wait_dscnt 0x0
	v_max_num_f32_e32 v1, v1, v1
	s_delay_alu instid0(VALU_DEP_1)
	v_max_num_f32_e32 v1, v5, v1
	v_xor_b32_e32 v5, 4, v133
	ds_bpermute_b32 v3, v4, v1
	v_cmp_lt_i32_e32 vcc_lo, v5, v132
	s_wait_alu 0xfffd
	v_cndmask_b32_e32 v5, v133, v5, vcc_lo
	v_cmp_lt_i32_e32 vcc_lo, v6, v132
	s_wait_alu 0xfffd
	s_delay_alu instid0(VALU_DEP_2) | instskip(SKIP_1) | instid1(VALU_DEP_2)
	v_dual_cndmask_b32 v6, v133, v6 :: v_dual_lshlrev_b32 v5, 2, v5
	v_cmp_eq_u32_e32 vcc_lo, 0, v11
	v_lshlrev_b32_e32 v12, 2, v6
	s_wait_dscnt 0x0
	v_dual_max_num_f32 v3, v3, v3 :: v_dual_lshlrev_b32 v6, 2, v130
	s_delay_alu instid0(VALU_DEP_1) | instskip(SKIP_3) | instid1(VALU_DEP_1)
	v_max_num_f32_e32 v1, v1, v3
	ds_bpermute_b32 v3, v5, v1
	s_wait_dscnt 0x0
	v_max_num_f32_e32 v3, v3, v3
	v_max_num_f32_e32 v1, v1, v3
	ds_bpermute_b32 v3, v12, v1
	s_and_saveexec_b32 s0, vcc_lo
	s_cbranch_execz .LBB223_15
; %bb.14:
	s_wait_dscnt 0x0
	v_max_num_f32_e32 v3, v3, v3
	v_max_num_f32_e32 v1, v1, v1
	s_delay_alu instid0(VALU_DEP_1)
	v_max_num_f32_e32 v1, v1, v3
	ds_store_b32 v6, v1 offset:768
.LBB223_15:
	s_or_b32 exec_lo, exec_lo, s0
	v_cmp_gt_u32_e64 s0, 4, v11
	v_mov_b32_e32 v1, 0xff7fffff
	v_lshlrev_b32_e32 v7, 2, v11
	s_wait_loadcnt_dscnt 0x0
	s_barrier_signal -1
	s_barrier_wait -1
	global_inv scope:SCOPE_SE
	s_and_saveexec_b32 s1, s0
; %bb.16:
	ds_load_b32 v1, v7 offset:768
; %bb.17:
	s_or_b32 exec_lo, exec_lo, s1
	s_wait_dscnt 0x0
	ds_bpermute_b32 v3, v12, v1
	v_xor_b32_e32 v8, 1, v133
	v_max_num_f32_e32 v1, v1, v1
	s_delay_alu instid0(VALU_DEP_2) | instskip(NEXT) | instid1(VALU_DEP_1)
	v_cmp_lt_i32_e64 s1, v8, v132
	v_cndmask_b32_e64 v8, v133, v8, s1
	s_sub_co_i32 s1, s17, s31
	s_wait_alu 0xfffe
	s_lshl_b32 s1, s1, 4
	s_delay_alu instid0(VALU_DEP_1)
	v_dual_mov_b32 v8, 0 :: v_dual_lshlrev_b32 v13, 2, v8
	s_wait_alu 0xfffe
	s_add_co_i32 s1, s1, s28
	s_wait_alu 0xfffe
	s_min_i32 s1, s1, s27
	s_wait_dscnt 0x0
	v_max_num_f32_e32 v3, v3, v3
	s_wait_alu 0xfffe
	s_sub_co_i32 s14, s1, s28
	s_wait_alu 0xfffe
	v_cmp_gt_i32_e64 s1, s14, v0
	v_max_num_f32_e32 v1, v1, v3
	ds_bpermute_b32 v3, v13, v1
	s_wait_dscnt 0x0
	v_max_num_f32_e32 v3, v3, v3
	s_delay_alu instid0(VALU_DEP_1)
	v_max_num_f32_e32 v1, v1, v3
	v_lshlrev_b32_e32 v3, 2, v131
	ds_bpermute_b32 v1, v3, v1
	v_lshl_add_u32 v3, v0, 2, 0x320
	s_and_saveexec_b32 s23, s1
	s_cbranch_execz .LBB223_21
; %bb.18:
	v_lshl_add_u32 v9, v0, 2, 0x320
	v_mov_b32_e32 v8, 0
	v_mov_b32_e32 v10, v0
	s_mov_b32 s31, 0
.LBB223_19:                             ; =>This Inner Loop Header: Depth=1
	ds_load_b32 v14, v9
	v_add_nc_u32_e32 v10, 0x80, v10
	s_delay_alu instid0(VALU_DEP_1) | instskip(SKIP_4) | instid1(VALU_DEP_1)
	v_cmp_le_i32_e64 s3, s14, v10
	s_wait_alu 0xfffe
	s_or_b32 s31, s3, s31
	s_wait_dscnt 0x0
	v_sub_f32_e32 v14, v14, v1
	v_mul_f32_e32 v14, 0x3fb8aa3b, v14
	s_delay_alu instid0(VALU_DEP_1)
	v_exp_f32_e32 v14, v14
	ds_store_b32 v9, v14
	v_dual_add_f32 v8, v8, v14 :: v_dual_add_nc_u32 v9, 0x200, v9
	s_wait_alu 0xfffe
	s_and_not1_b32 exec_lo, exec_lo, s31
	s_cbranch_execnz .LBB223_19
; %bb.20:
	s_or_b32 exec_lo, exec_lo, s31
.LBB223_21:
	s_delay_alu instid0(SALU_CYCLE_1)
	s_or_b32 exec_lo, exec_lo, s23
	ds_bpermute_b32 v2, v2, v8
	s_wait_dscnt 0x0
	v_add_f32_e32 v2, v8, v2
	ds_bpermute_b32 v4, v4, v2
	s_wait_dscnt 0x0
	v_add_f32_e32 v2, v2, v4
	;; [unrolled: 3-line block ×5, first 2 shown]
	s_and_saveexec_b32 s3, vcc_lo
; %bb.22:
	ds_store_b32 v6, v2 offset:784
; %bb.23:
	s_wait_alu 0xfffe
	s_or_b32 exec_lo, exec_lo, s3
	s_wait_loadcnt_dscnt 0x0
	s_barrier_signal -1
	s_barrier_wait -1
	global_inv scope:SCOPE_SE
	s_and_saveexec_b32 s3, s0
; %bb.24:
	ds_load_b32 v2, v7 offset:784
; %bb.25:
	s_wait_alu 0xfffe
	s_or_b32 exec_lo, exec_lo, s3
	s_wait_dscnt 0x0
	ds_bpermute_b32 v4, v12, v2
	s_wait_dscnt 0x0
	v_dual_add_f32 v2, v2, v4 :: v_dual_lshlrev_b32 v5, 2, v133
	ds_bpermute_b32 v4, v13, v2
	s_wait_dscnt 0x0
	v_add_f32_e32 v2, v2, v4
	v_and_b32_e32 v4, 0xffffff80, v5
	ds_bpermute_b32 v2, v4, v2
	s_and_saveexec_b32 s0, s1
	s_cbranch_execz .LBB223_28
; %bb.26:
	s_wait_dscnt 0x0
	v_add_f32_e32 v4, 0x358637bd, v2
	s_mov_b32 s1, 0
	s_delay_alu instid0(VALU_DEP_1) | instskip(SKIP_1) | instid1(VALU_DEP_2)
	v_div_scale_f32 v5, null, v4, v4, 1.0
	v_div_scale_f32 v8, vcc_lo, 1.0, v4, 1.0
	v_rcp_f32_e32 v6, v5
	s_delay_alu instid0(TRANS32_DEP_1) | instskip(NEXT) | instid1(VALU_DEP_1)
	v_fma_f32 v7, -v5, v6, 1.0
	v_fmac_f32_e32 v6, v7, v6
	s_delay_alu instid0(VALU_DEP_1) | instskip(NEXT) | instid1(VALU_DEP_1)
	v_mul_f32_e32 v7, v8, v6
	v_fma_f32 v9, -v5, v7, v8
	s_delay_alu instid0(VALU_DEP_1) | instskip(NEXT) | instid1(VALU_DEP_1)
	v_fmac_f32_e32 v7, v9, v6
	v_fma_f32 v5, -v5, v7, v8
	s_wait_alu 0xfffd
	s_delay_alu instid0(VALU_DEP_1) | instskip(NEXT) | instid1(VALU_DEP_1)
	v_div_fmas_f32 v5, v5, v6, v7
	v_div_fixup_f32 v4, v5, v4, 1.0
	v_mov_b32_e32 v5, v0
.LBB223_27:                             ; =>This Inner Loop Header: Depth=1
	ds_load_b32 v6, v3
	s_wait_dscnt 0x0
	v_dual_mul_f32 v6, v4, v6 :: v_dual_add_nc_u32 v5, 0x80, v5
	s_delay_alu instid0(VALU_DEP_1)
	v_cmp_le_i32_e32 vcc_lo, s14, v5
	ds_store_b32 v3, v6
	v_add_nc_u32_e32 v3, 0x200, v3
	s_wait_alu 0xfffe
	s_or_b32 s1, vcc_lo, s1
	s_wait_alu 0xfffe
	s_and_not1_b32 exec_lo, exec_lo, s1
	s_cbranch_execnz .LBB223_27
.LBB223_28:
	s_wait_alu 0xfffe
	s_or_b32 exec_lo, exec_lo, s0
	s_mul_i32 s0, s12, s15
	s_wait_loadcnt_dscnt 0x0
	s_wait_alu 0xfffe
	s_mul_i32 s14, s0, s30
	s_mov_b32 s0, exec_lo
	s_barrier_signal -1
	s_barrier_wait -1
	global_inv scope:SCOPE_SE
	v_cmpx_eq_u32_e32 0, v0
	s_cbranch_execz .LBB223_30
; %bb.29:
	s_wait_alu 0xfffe
	s_ashr_i32 s15, s14, 31
	s_mul_i32 s30, s12, ttmp9
	s_lshl_b32 s1, s26, 2
	s_wait_alu 0xfffe
	s_lshl_b64 s[34:35], s[14:15], 2
	s_ashr_i32 s31, s30, 31
	v_mov_b32_e32 v3, s1
	s_add_nc_u64 s[10:11], s[10:11], s[34:35]
	s_wait_alu 0xfffe
	s_lshl_b64 s[30:31], s[30:31], 2
	s_add_nc_u64 s[8:9], s[8:9], s[34:35]
	s_wait_alu 0xfffe
	s_add_nc_u64 s[10:11], s[10:11], s[30:31]
	s_add_nc_u64 s[8:9], s[8:9], s[30:31]
	s_clause 0x1
	global_store_b32 v3, v1, s[10:11]
	global_store_b32 v3, v2, s[8:9]
.LBB223_30:
	s_wait_alu 0xfffe
	s_or_b32 exec_lo, exec_lo, s0
	v_dual_mov_b32 v36, 0 :: v_dual_mov_b32 v37, 0
	v_dual_mov_b32 v35, 0 :: v_dual_and_b32 v142, 3, v0
	v_dual_mov_b32 v38, 0 :: v_dual_mov_b32 v33, 0
	v_dual_mov_b32 v34, 0 :: v_dual_mov_b32 v31, 0
	;; [unrolled: 1-line block ×10, first 2 shown]
	v_mov_b32_e32 v16, 0
	s_and_saveexec_b32 s1, s2
	s_cbranch_execz .LBB223_82
; %bb.31:
	s_load_b32 s3, s[6:7], 0x0
	v_dual_mov_b32 v15, 0 :: v_dual_lshlrev_b32 v2, 4, v142
	v_dual_mov_b32 v18, 0 :: v_dual_and_b32 v3, 0x7c, v129
	s_ashr_i32 s23, s22, 31
	s_lshl_b64 s[6:7], s[18:19], 2
	s_wait_kmcnt 0x0
	s_add_nc_u64 s[8:9], s[24:25], s[22:23]
	v_dual_mov_b32 v16, 0 :: v_dual_and_b32 v1, 12, v129
	v_lshl_add_u32 v4, v130, 4, s28
	v_lshl_or_b32 v2, v130, 6, v2
	s_wait_alu 0xfffe
	v_add_co_u32 v5, s0, s8, v3
	s_add_nc_u64 s[6:7], s[20:21], s[6:7]
	s_wait_alu 0xf1ff
	v_add_co_ci_u32_e64 v6, null, s9, 0, s0
	v_add_co_u32 v7, s0, s6, v128
	v_add3_u32 v39, v4, v1, 3
	v_dual_mov_b32 v17, 0 :: v_dual_add_nc_u32 v40, 0x320, v2
	s_wait_alu 0xf1ff
	v_add_co_ci_u32_e64 v8, null, s7, 0, s0
	v_dual_mov_b32 v19, 0 :: v_dual_mov_b32 v20, 0
	v_dual_mov_b32 v21, 0 :: v_dual_mov_b32 v22, 0
	;; [unrolled: 1-line block ×10, first 2 shown]
	s_mov_b32 s2, s13
	s_mov_b32 s6, s3
	s_add_co_i32 s29, s29, -1
	s_mov_b32 s7, 0
	s_branch .LBB223_33
.LBB223_32:                             ;   in Loop: Header=BB223_33 Depth=1
	s_wait_alu 0xfffe
	s_or_b32 exec_lo, exec_lo, s0
	s_wait_dscnt 0x0
	v_mul_f32_e32 v65, v1, v129
	v_mul_f32_e32 v14, v1, v139
	v_mul_f32_e32 v67, v1, v125
	v_mul_f32_e32 v64, v1, v134
	v_dual_mul_f32 v52, v1, v52 :: v_dual_add_nc_u32 v39, 64, v39
	v_fmac_f32_e32 v65, v2, v128
	v_fmac_f32_e32 v14, v2, v137
	;; [unrolled: 1-line block ×4, first 2 shown]
	s_delay_alu instid0(VALU_DEP_4) | instskip(NEXT) | instid1(VALU_DEP_4)
	v_dual_mul_f32 v48, v1, v48 :: v_dual_fmac_f32 v65, v3, v127
	v_fmac_f32_e32 v14, v3, v136
	s_delay_alu instid0(VALU_DEP_4) | instskip(NEXT) | instid1(VALU_DEP_4)
	v_fmac_f32_e32 v67, v3, v123
	v_dual_fmac_f32 v64, v3, v132 :: v_dual_mul_f32 v121, v1, v121
	s_delay_alu instid0(VALU_DEP_4) | instskip(NEXT) | instid1(VALU_DEP_4)
	v_fmac_f32_e32 v65, v4, v126
	v_fmac_f32_e32 v14, v4, v135
	v_mul_f32_e32 v44, v1, v44
	s_delay_alu instid0(VALU_DEP_4) | instskip(SKIP_1) | instid1(VALU_DEP_4)
	v_dual_fmac_f32 v64, v4, v131 :: v_dual_fmac_f32 v121, v2, v118
	v_fmac_f32_e32 v52, v2, v51
	v_add_f32_e32 v16, v16, v14
	s_delay_alu instid0(VALU_DEP_3) | instskip(SKIP_3) | instid1(VALU_DEP_3)
	v_dual_fmac_f32 v48, v2, v47 :: v_dual_add_f32 v17, v17, v64
	v_dual_mul_f32 v64, v1, v101 :: v_dual_fmac_f32 v67, v4, v122
	v_add_f32_e32 v18, v18, v65
	v_mul_f32_e32 v14, v1, v102
	v_dual_mul_f32 v65, v1, v109 :: v_dual_fmac_f32 v64, v2, v112
	s_delay_alu instid0(VALU_DEP_4) | instskip(NEXT) | instid1(VALU_DEP_3)
	v_add_f32_e32 v19, v19, v67
	v_dual_mul_f32 v67, v1, v105 :: v_dual_fmac_f32 v14, v2, v115
	s_delay_alu instid0(VALU_DEP_3) | instskip(SKIP_1) | instid1(VALU_DEP_3)
	v_dual_fmac_f32 v65, v2, v108 :: v_dual_fmac_f32 v64, v3, v111
	v_fmac_f32_e32 v121, v3, v117
	v_dual_fmac_f32 v67, v2, v104 :: v_dual_fmac_f32 v14, v3, v114
	s_delay_alu instid0(VALU_DEP_3) | instskip(NEXT) | instid1(VALU_DEP_3)
	v_dual_fmac_f32 v65, v3, v107 :: v_dual_fmac_f32 v64, v4, v110
	v_dual_fmac_f32 v121, v4, v116 :: v_dual_fmac_f32 v52, v3, v50
	s_delay_alu instid0(VALU_DEP_3) | instskip(NEXT) | instid1(VALU_DEP_3)
	v_fmac_f32_e32 v14, v4, v113
	v_dual_fmac_f32 v65, v4, v106 :: v_dual_add_f32 v22, v22, v64
	v_fmac_f32_e32 v44, v2, v43
	s_delay_alu instid0(VALU_DEP_3) | instskip(SKIP_3) | instid1(VALU_DEP_2)
	v_dual_fmac_f32 v52, v4, v49 :: v_dual_add_f32 v21, v21, v14
	v_mul_f32_e32 v14, v1, v99
	v_dual_fmac_f32 v67, v3, v103 :: v_dual_add_f32 v20, v20, v121
	v_dual_mul_f32 v64, v1, v95 :: v_dual_add_f32 v23, v23, v65
	v_dual_fmac_f32 v14, v2, v98 :: v_dual_fmac_f32 v67, v4, v100
	s_delay_alu instid0(VALU_DEP_2) | instskip(NEXT) | instid1(VALU_DEP_2)
	v_dual_mul_f32 v65, v1, v91 :: v_dual_fmac_f32 v64, v2, v94
	v_dual_mul_f32 v83, v1, v83 :: v_dual_fmac_f32 v14, v3, v97
	s_delay_alu instid0(VALU_DEP_3) | instskip(NEXT) | instid1(VALU_DEP_3)
	v_add_f32_e32 v24, v24, v67
	v_dual_mul_f32 v67, v1, v87 :: v_dual_fmac_f32 v64, v3, v93
	s_delay_alu instid0(VALU_DEP_3) | instskip(NEXT) | instid1(VALU_DEP_4)
	v_dual_fmac_f32 v65, v2, v90 :: v_dual_fmac_f32 v14, v4, v96
	v_fmac_f32_e32 v83, v2, v82
	s_delay_alu instid0(VALU_DEP_3) | instskip(NEXT) | instid1(VALU_DEP_3)
	v_dual_fmac_f32 v67, v2, v86 :: v_dual_fmac_f32 v64, v4, v92
	v_fmac_f32_e32 v65, v3, v89
	s_delay_alu instid0(VALU_DEP_4) | instskip(NEXT) | instid1(VALU_DEP_3)
	v_add_f32_e32 v25, v25, v14
	v_dual_mul_f32 v14, v1, v79 :: v_dual_fmac_f32 v67, v3, v85
	s_delay_alu instid0(VALU_DEP_4) | instskip(SKIP_2) | instid1(VALU_DEP_4)
	v_add_f32_e32 v26, v26, v64
	v_mul_f32_e32 v64, v1, v75
	v_dual_mul_f32 v66, v1, v66 :: v_dual_fmac_f32 v65, v4, v88
	v_dual_fmac_f32 v14, v2, v78 :: v_dual_fmac_f32 v67, v4, v84
	s_delay_alu instid0(VALU_DEP_3) | instskip(NEXT) | instid1(VALU_DEP_3)
	v_dual_fmac_f32 v83, v3, v81 :: v_dual_fmac_f32 v64, v2, v74
	v_dual_add_f32 v27, v27, v65 :: v_dual_mul_f32 v60, v1, v60
	s_delay_alu instid0(VALU_DEP_3) | instskip(NEXT) | instid1(VALU_DEP_3)
	v_add_f32_e32 v28, v28, v67
	v_dual_fmac_f32 v83, v4, v80 :: v_dual_fmac_f32 v14, v3, v77
	s_delay_alu instid0(VALU_DEP_4) | instskip(NEXT) | instid1(VALU_DEP_2)
	v_dual_mul_f32 v65, v1, v71 :: v_dual_fmac_f32 v64, v3, v73
	v_dual_fmac_f32 v48, v3, v46 :: v_dual_add_f32 v29, v29, v83
	s_delay_alu instid0(VALU_DEP_2) | instskip(NEXT) | instid1(VALU_DEP_3)
	v_dual_fmac_f32 v14, v4, v76 :: v_dual_fmac_f32 v65, v2, v70
	v_fmac_f32_e32 v64, v4, v72
	v_fmac_f32_e32 v66, v2, v63
	;; [unrolled: 1-line block ×3, first 2 shown]
	s_delay_alu instid0(VALU_DEP_4) | instskip(SKIP_1) | instid1(VALU_DEP_4)
	v_dual_add_f32 v30, v30, v14 :: v_dual_fmac_f32 v65, v3, v69
	v_fmac_f32_e32 v60, v2, v59
	v_fmac_f32_e32 v66, v3, v62
	v_mul_f32_e32 v14, v1, v56
	v_mul_f32_e32 v1, v1, v120
	s_delay_alu instid0(VALU_DEP_4) | instskip(SKIP_1) | instid1(VALU_DEP_3)
	v_dual_fmac_f32 v65, v4, v68 :: v_dual_fmac_f32 v60, v3, v58
	v_add_nc_u32_e32 v138, 4, v138
	v_dual_fmac_f32 v48, v4, v45 :: v_dual_fmac_f32 v1, v2, v119
	v_dual_fmac_f32 v66, v4, v61 :: v_dual_add_f32 v37, v37, v52
	v_fmac_f32_e32 v44, v4, v41
	s_delay_alu instid0(VALU_DEP_4) | instskip(NEXT) | instid1(VALU_DEP_4)
	v_cmp_le_i32_e32 vcc_lo, s17, v138
	v_dual_fmac_f32 v1, v3, v10 :: v_dual_fmac_f32 v60, v4, v57
	s_delay_alu instid0(VALU_DEP_4) | instskip(SKIP_1) | instid1(VALU_DEP_3)
	v_add_f32_e32 v33, v33, v66
	v_add_co_u32 v7, s0, v7, 16
	v_dual_fmac_f32 v1, v4, v9 :: v_dual_fmac_f32 v14, v2, v55
	v_add_f32_e32 v31, v31, v64
	v_add_f32_e32 v34, v34, v60
	;; [unrolled: 1-line block ×4, first 2 shown]
	v_fmac_f32_e32 v14, v3, v54
	v_dual_add_f32 v15, v15, v1 :: v_dual_add_nc_u32 v40, 0x100, v40
	s_wait_alu 0xf1ff
	v_add_co_ci_u32_e64 v8, null, 0, v8, s0
	s_delay_alu instid0(VALU_DEP_3) | instskip(SKIP_2) | instid1(VALU_DEP_2)
	v_fmac_f32_e32 v14, v4, v53
	v_add_f32_e32 v32, v32, v65
	s_or_b32 s7, vcc_lo, s7
	v_add_f32_e32 v35, v35, v14
	s_wait_alu 0xfffe
	s_and_not1_b32 exec_lo, exec_lo, s7
	s_cbranch_execz .LBB223_81
.LBB223_33:                             ; =>This Inner Loop Header: Depth=1
	global_load_b32 v1, v[7:8], off
	s_wait_alu 0xfffe
	v_cmp_eq_u32_e32 vcc_lo, s29, v138
	v_add_nc_u32_e32 v67, -1, v39
	s_wait_loadcnt 0x0
	v_mad_co_i64_i32 v[9:10], null, v1, s2, v[5:6]
	ds_load_b128 v[1:4], v40
	global_load_b32 v41, v[9:10], off
	s_wait_loadcnt 0x0
	v_lshrrev_b32_e32 v43, 16, v41
	s_delay_alu instid0(VALU_DEP_1) | instskip(SKIP_1) | instid1(VALU_DEP_1)
	v_cvt_pk_f32_fp8_e32 v[45:46], v43
	v_and_b32_e32 v42, 0xffff, v41
	v_cvt_pk_f32_fp8_e32 v[41:42], v42
	v_add_nc_u32_e32 v64, -3, v39
	s_delay_alu instid0(VALU_DEP_2) | instskip(NEXT) | instid1(VALU_DEP_3)
	v_dual_mul_f32 v44, s3, v41 :: v_dual_add_nc_u32 v65, -2, v39
	v_dual_mul_f32 v43, s6, v42 :: v_dual_mul_f32 v42, s3, v45
	v_mul_f32_e32 v41, s6, v46
	s_and_saveexec_b32 s8, vcc_lo
	s_cbranch_execz .LBB223_35
; %bb.34:                               ;   in Loop: Header=BB223_33 Depth=1
	v_cmp_gt_i32_e64 s0, s27, v64
	s_wait_alu 0xf1ff
	s_delay_alu instid0(VALU_DEP_1) | instskip(SKIP_2) | instid1(VALU_DEP_1)
	v_cndmask_b32_e64 v44, 0, v44, s0
	v_cmp_gt_i32_e64 s0, s27, v65
	s_wait_alu 0xf1ff
	v_cndmask_b32_e64 v43, 0, v43, s0
	v_cmp_gt_i32_e64 s0, s27, v67
	s_wait_alu 0xf1ff
	s_delay_alu instid0(VALU_DEP_1) | instskip(SKIP_2) | instid1(VALU_DEP_1)
	v_cndmask_b32_e64 v42, 0, v42, s0
	v_cmp_gt_i32_e64 s0, s27, v39
	s_wait_alu 0xf1ff
	v_cndmask_b32_e64 v41, 0, v41, s0
.LBB223_35:                             ;   in Loop: Header=BB223_33 Depth=1
	s_wait_alu 0xfffe
	s_or_b32 exec_lo, exec_lo, s8
	global_load_b32 v45, v[9:10], off offset:128
	s_wait_loadcnt 0x0
	v_lshrrev_b32_e32 v47, 16, v45
	s_delay_alu instid0(VALU_DEP_1) | instskip(SKIP_1) | instid1(VALU_DEP_1)
	v_cvt_pk_f32_fp8_e32 v[49:50], v47
	v_and_b32_e32 v46, 0xffff, v45
	v_cvt_pk_f32_fp8_e32 v[45:46], v46
	s_delay_alu instid0(VALU_DEP_1) | instskip(NEXT) | instid1(VALU_DEP_4)
	v_dual_mul_f32 v48, s3, v45 :: v_dual_mul_f32 v47, s6, v46
	v_dual_mul_f32 v46, s3, v49 :: v_dual_mul_f32 v45, s6, v50
	s_and_saveexec_b32 s8, vcc_lo
	s_cbranch_execz .LBB223_37
; %bb.36:                               ;   in Loop: Header=BB223_33 Depth=1
	v_cmp_gt_i32_e64 s0, s27, v64
	s_wait_alu 0xf1ff
	s_delay_alu instid0(VALU_DEP_1) | instskip(SKIP_2) | instid1(VALU_DEP_1)
	v_cndmask_b32_e64 v48, 0, v48, s0
	v_cmp_gt_i32_e64 s0, s27, v65
	s_wait_alu 0xf1ff
	v_cndmask_b32_e64 v47, 0, v47, s0
	v_cmp_gt_i32_e64 s0, s27, v67
	s_wait_alu 0xf1ff
	s_delay_alu instid0(VALU_DEP_1) | instskip(SKIP_2) | instid1(VALU_DEP_1)
	v_cndmask_b32_e64 v46, 0, v46, s0
	v_cmp_gt_i32_e64 s0, s27, v39
	s_wait_alu 0xf1ff
	v_cndmask_b32_e64 v45, 0, v45, s0
.LBB223_37:                             ;   in Loop: Header=BB223_33 Depth=1
	s_wait_alu 0xfffe
	s_or_b32 exec_lo, exec_lo, s8
	global_load_b32 v49, v[9:10], off offset:256
	s_wait_loadcnt 0x0
	v_lshrrev_b32_e32 v51, 16, v49
	s_delay_alu instid0(VALU_DEP_1) | instskip(SKIP_1) | instid1(VALU_DEP_1)
	v_cvt_pk_f32_fp8_e32 v[53:54], v51
	v_and_b32_e32 v50, 0xffff, v49
	v_cvt_pk_f32_fp8_e32 v[49:50], v50
	s_delay_alu instid0(VALU_DEP_1) | instskip(NEXT) | instid1(VALU_DEP_4)
	v_dual_mul_f32 v52, s3, v49 :: v_dual_mul_f32 v51, s6, v50
	v_dual_mul_f32 v50, s3, v53 :: v_dual_mul_f32 v49, s6, v54
	;; [unrolled: 30-line block ×4, first 2 shown]
	s_and_saveexec_b32 s8, vcc_lo
	s_cbranch_execz .LBB223_43
; %bb.42:                               ;   in Loop: Header=BB223_33 Depth=1
	v_cmp_gt_i32_e64 s0, s27, v64
	s_wait_alu 0xf1ff
	s_delay_alu instid0(VALU_DEP_1) | instskip(SKIP_2) | instid1(VALU_DEP_1)
	v_cndmask_b32_e64 v60, 0, v60, s0
	v_cmp_gt_i32_e64 s0, s27, v65
	s_wait_alu 0xf1ff
	v_cndmask_b32_e64 v59, 0, v59, s0
	v_cmp_gt_i32_e64 s0, s27, v67
	s_wait_alu 0xf1ff
	s_delay_alu instid0(VALU_DEP_1) | instskip(SKIP_2) | instid1(VALU_DEP_1)
	v_cndmask_b32_e64 v58, 0, v58, s0
	v_cmp_gt_i32_e64 s0, s27, v39
	s_wait_alu 0xf1ff
	v_cndmask_b32_e64 v57, 0, v57, s0
.LBB223_43:                             ;   in Loop: Header=BB223_33 Depth=1
	s_wait_alu 0xfffe
	s_or_b32 exec_lo, exec_lo, s8
	global_load_b32 v61, v[9:10], off offset:640
	s_wait_loadcnt 0x0
	v_and_b32_e32 v62, 0xffff, v61
	v_lshrrev_b32_e32 v63, 16, v61
	s_delay_alu instid0(VALU_DEP_2) | instskip(NEXT) | instid1(VALU_DEP_2)
	v_cvt_pk_f32_fp8_e32 v[61:62], v62
	v_cvt_pk_f32_fp8_e32 v[68:69], v63
	s_delay_alu instid0(VALU_DEP_2) | instskip(NEXT) | instid1(VALU_DEP_2)
	v_dual_mul_f32 v66, s3, v61 :: v_dual_mul_f32 v63, s6, v62
	v_dual_mul_f32 v62, s3, v68 :: v_dual_mul_f32 v61, s6, v69
	s_and_saveexec_b32 s8, vcc_lo
	s_cbranch_execz .LBB223_45
; %bb.44:                               ;   in Loop: Header=BB223_33 Depth=1
	v_cmp_gt_i32_e64 s0, s27, v64
	s_wait_alu 0xf1ff
	s_delay_alu instid0(VALU_DEP_1) | instskip(SKIP_2) | instid1(VALU_DEP_1)
	v_cndmask_b32_e64 v66, 0, v66, s0
	v_cmp_gt_i32_e64 s0, s27, v65
	s_wait_alu 0xf1ff
	v_cndmask_b32_e64 v63, 0, v63, s0
	v_cmp_gt_i32_e64 s0, s27, v67
	s_wait_alu 0xf1ff
	s_delay_alu instid0(VALU_DEP_1) | instskip(SKIP_2) | instid1(VALU_DEP_1)
	v_cndmask_b32_e64 v62, 0, v62, s0
	v_cmp_gt_i32_e64 s0, s27, v39
	s_wait_alu 0xf1ff
	v_cndmask_b32_e64 v61, 0, v61, s0
.LBB223_45:                             ;   in Loop: Header=BB223_33 Depth=1
	s_wait_alu 0xfffe
	s_or_b32 exec_lo, exec_lo, s8
	global_load_b32 v68, v[9:10], off offset:768
	s_wait_loadcnt 0x0
	v_lshrrev_b32_e32 v70, 16, v68
	s_delay_alu instid0(VALU_DEP_1) | instskip(SKIP_1) | instid1(VALU_DEP_1)
	v_cvt_pk_f32_fp8_e32 v[72:73], v70
	v_and_b32_e32 v69, 0xffff, v68
	v_cvt_pk_f32_fp8_e32 v[68:69], v69
	s_delay_alu instid0(VALU_DEP_1) | instskip(NEXT) | instid1(VALU_DEP_4)
	v_dual_mul_f32 v71, s3, v68 :: v_dual_mul_f32 v70, s6, v69
	v_dual_mul_f32 v69, s3, v72 :: v_dual_mul_f32 v68, s6, v73
	s_and_saveexec_b32 s8, vcc_lo
	s_cbranch_execz .LBB223_47
; %bb.46:                               ;   in Loop: Header=BB223_33 Depth=1
	v_cmp_gt_i32_e64 s0, s27, v64
	s_wait_alu 0xf1ff
	s_delay_alu instid0(VALU_DEP_1) | instskip(SKIP_2) | instid1(VALU_DEP_1)
	v_cndmask_b32_e64 v71, 0, v71, s0
	v_cmp_gt_i32_e64 s0, s27, v65
	s_wait_alu 0xf1ff
	v_cndmask_b32_e64 v70, 0, v70, s0
	v_cmp_gt_i32_e64 s0, s27, v67
	s_wait_alu 0xf1ff
	s_delay_alu instid0(VALU_DEP_1) | instskip(SKIP_2) | instid1(VALU_DEP_1)
	v_cndmask_b32_e64 v69, 0, v69, s0
	v_cmp_gt_i32_e64 s0, s27, v39
	s_wait_alu 0xf1ff
	v_cndmask_b32_e64 v68, 0, v68, s0
.LBB223_47:                             ;   in Loop: Header=BB223_33 Depth=1
	s_wait_alu 0xfffe
	s_or_b32 exec_lo, exec_lo, s8
	global_load_b32 v72, v[9:10], off offset:896
	s_wait_loadcnt 0x0
	v_lshrrev_b32_e32 v74, 16, v72
	s_delay_alu instid0(VALU_DEP_1) | instskip(SKIP_1) | instid1(VALU_DEP_1)
	v_cvt_pk_f32_fp8_e32 v[76:77], v74
	v_and_b32_e32 v73, 0xffff, v72
	v_cvt_pk_f32_fp8_e32 v[72:73], v73
	s_delay_alu instid0(VALU_DEP_1) | instskip(NEXT) | instid1(VALU_DEP_4)
	;; [unrolled: 30-line block ×8, first 2 shown]
	v_dual_mul_f32 v99, s3, v96 :: v_dual_mul_f32 v98, s6, v97
	v_dual_mul_f32 v97, s3, v100 :: v_dual_mul_f32 v96, s6, v101
	s_and_saveexec_b32 s8, vcc_lo
	s_cbranch_execz .LBB223_61
; %bb.60:                               ;   in Loop: Header=BB223_33 Depth=1
	v_cmp_gt_i32_e64 s0, s27, v64
	s_wait_alu 0xf1ff
	s_delay_alu instid0(VALU_DEP_1) | instskip(SKIP_2) | instid1(VALU_DEP_1)
	v_cndmask_b32_e64 v99, 0, v99, s0
	v_cmp_gt_i32_e64 s0, s27, v65
	s_wait_alu 0xf1ff
	v_cndmask_b32_e64 v98, 0, v98, s0
	v_cmp_gt_i32_e64 s0, s27, v67
	s_wait_alu 0xf1ff
	s_delay_alu instid0(VALU_DEP_1) | instskip(SKIP_2) | instid1(VALU_DEP_1)
	v_cndmask_b32_e64 v97, 0, v97, s0
	v_cmp_gt_i32_e64 s0, s27, v39
	s_wait_alu 0xf1ff
	v_cndmask_b32_e64 v96, 0, v96, s0
.LBB223_61:                             ;   in Loop: Header=BB223_33 Depth=1
	s_wait_alu 0xfffe
	s_or_b32 exec_lo, exec_lo, s8
	global_load_b32 v100, v[9:10], off offset:1792
	s_wait_loadcnt 0x0
	v_lshrrev_b32_e32 v102, 16, v100
	s_delay_alu instid0(VALU_DEP_1) | instskip(SKIP_1) | instid1(VALU_DEP_2)
	v_cvt_pk_f32_fp8_e32 v[106:107], v102
	v_and_b32_e32 v101, 0xffff, v100
	v_mul_f32_e32 v103, s3, v106
	s_delay_alu instid0(VALU_DEP_2) | instskip(NEXT) | instid1(VALU_DEP_1)
	v_cvt_pk_f32_fp8_e32 v[100:101], v101
	v_dual_mul_f32 v105, s3, v100 :: v_dual_mul_f32 v104, s6, v101
	v_mul_f32_e32 v100, s6, v107
	s_and_saveexec_b32 s8, vcc_lo
	s_cbranch_execz .LBB223_63
; %bb.62:                               ;   in Loop: Header=BB223_33 Depth=1
	v_cmp_gt_i32_e64 s0, s27, v64
	s_wait_alu 0xf1ff
	s_delay_alu instid0(VALU_DEP_1) | instskip(SKIP_2) | instid1(VALU_DEP_1)
	v_cndmask_b32_e64 v105, 0, v105, s0
	v_cmp_gt_i32_e64 s0, s27, v65
	s_wait_alu 0xf1ff
	v_cndmask_b32_e64 v104, 0, v104, s0
	v_cmp_gt_i32_e64 s0, s27, v67
	s_wait_alu 0xf1ff
	s_delay_alu instid0(VALU_DEP_1) | instskip(SKIP_2) | instid1(VALU_DEP_1)
	v_cndmask_b32_e64 v103, 0, v103, s0
	v_cmp_gt_i32_e64 s0, s27, v39
	s_wait_alu 0xf1ff
	v_cndmask_b32_e64 v100, 0, v100, s0
.LBB223_63:                             ;   in Loop: Header=BB223_33 Depth=1
	s_wait_alu 0xfffe
	s_or_b32 exec_lo, exec_lo, s8
	global_load_b32 v101, v[9:10], off offset:1920
	s_wait_loadcnt 0x0
	v_lshrrev_b32_e32 v106, 16, v101
	s_delay_alu instid0(VALU_DEP_1) | instskip(NEXT) | instid1(VALU_DEP_1)
	v_cvt_pk_f32_fp8_e32 v[110:111], v106
	v_dual_mul_f32 v107, s3, v110 :: v_dual_and_b32 v102, 0xffff, v101
	s_delay_alu instid0(VALU_DEP_1) | instskip(NEXT) | instid1(VALU_DEP_1)
	v_cvt_pk_f32_fp8_e32 v[101:102], v102
	v_dual_mul_f32 v106, s6, v111 :: v_dual_mul_f32 v109, s3, v101
	s_delay_alu instid0(VALU_DEP_2)
	v_mul_f32_e32 v108, s6, v102
	s_and_saveexec_b32 s8, vcc_lo
	s_cbranch_execz .LBB223_65
; %bb.64:                               ;   in Loop: Header=BB223_33 Depth=1
	v_cmp_gt_i32_e64 s0, s27, v64
	s_wait_alu 0xf1ff
	s_delay_alu instid0(VALU_DEP_1) | instskip(SKIP_2) | instid1(VALU_DEP_1)
	v_cndmask_b32_e64 v109, 0, v109, s0
	v_cmp_gt_i32_e64 s0, s27, v65
	s_wait_alu 0xf1ff
	v_cndmask_b32_e64 v108, 0, v108, s0
	v_cmp_gt_i32_e64 s0, s27, v67
	s_wait_alu 0xf1ff
	s_delay_alu instid0(VALU_DEP_1) | instskip(SKIP_2) | instid1(VALU_DEP_1)
	v_cndmask_b32_e64 v107, 0, v107, s0
	v_cmp_gt_i32_e64 s0, s27, v39
	s_wait_alu 0xf1ff
	v_cndmask_b32_e64 v106, 0, v106, s0
.LBB223_65:                             ;   in Loop: Header=BB223_33 Depth=1
	s_wait_alu 0xfffe
	s_or_b32 exec_lo, exec_lo, s8
	global_load_b32 v101, v[9:10], off offset:2048
	s_wait_loadcnt 0x0
	v_and_b32_e32 v102, 0xffff, v101
	v_lshrrev_b32_e32 v110, 16, v101
	s_delay_alu instid0(VALU_DEP_2) | instskip(NEXT) | instid1(VALU_DEP_2)
	v_cvt_pk_f32_fp8_e32 v[101:102], v102
	v_cvt_pk_f32_fp8_e32 v[113:114], v110
	s_delay_alu instid0(VALU_DEP_2) | instskip(NEXT) | instid1(VALU_DEP_2)
	v_dual_mul_f32 v101, s3, v101 :: v_dual_mul_f32 v112, s6, v102
	v_dual_mul_f32 v111, s3, v113 :: v_dual_mul_f32 v110, s6, v114
	s_and_saveexec_b32 s8, vcc_lo
	s_cbranch_execz .LBB223_67
; %bb.66:                               ;   in Loop: Header=BB223_33 Depth=1
	v_cmp_gt_i32_e64 s0, s27, v64
	s_wait_alu 0xf1ff
	s_delay_alu instid0(VALU_DEP_1) | instskip(SKIP_2) | instid1(VALU_DEP_1)
	v_cndmask_b32_e64 v101, 0, v101, s0
	v_cmp_gt_i32_e64 s0, s27, v65
	s_wait_alu 0xf1ff
	v_cndmask_b32_e64 v112, 0, v112, s0
	v_cmp_gt_i32_e64 s0, s27, v67
	s_wait_alu 0xf1ff
	s_delay_alu instid0(VALU_DEP_1) | instskip(SKIP_2) | instid1(VALU_DEP_1)
	v_cndmask_b32_e64 v111, 0, v111, s0
	v_cmp_gt_i32_e64 s0, s27, v39
	s_wait_alu 0xf1ff
	v_cndmask_b32_e64 v110, 0, v110, s0
.LBB223_67:                             ;   in Loop: Header=BB223_33 Depth=1
	s_wait_alu 0xfffe
	s_or_b32 exec_lo, exec_lo, s8
	global_load_b32 v102, v[9:10], off offset:2176
	s_wait_loadcnt 0x0
	v_and_b32_e32 v113, 0xffff, v102
	v_lshrrev_b32_e32 v102, 16, v102
	s_delay_alu instid0(VALU_DEP_2) | instskip(NEXT) | instid1(VALU_DEP_2)
	v_cvt_pk_f32_fp8_e32 v[113:114], v113
	v_cvt_pk_f32_fp8_e32 v[116:117], v102
	s_delay_alu instid0(VALU_DEP_2) | instskip(NEXT) | instid1(VALU_DEP_2)
	v_dual_mul_f32 v102, s3, v113 :: v_dual_mul_f32 v115, s6, v114
	v_dual_mul_f32 v114, s3, v116 :: v_dual_mul_f32 v113, s6, v117
	;; [unrolled: 30-line block ×3, first 2 shown]
	s_and_saveexec_b32 s8, vcc_lo
	s_cbranch_execz .LBB223_71
; %bb.70:                               ;   in Loop: Header=BB223_33 Depth=1
	v_cmp_gt_i32_e64 s0, s27, v64
	s_wait_alu 0xf1ff
	s_delay_alu instid0(VALU_DEP_1) | instskip(SKIP_2) | instid1(VALU_DEP_1)
	v_cndmask_b32_e64 v121, 0, v121, s0
	v_cmp_gt_i32_e64 s0, s27, v65
	s_wait_alu 0xf1ff
	v_cndmask_b32_e64 v118, 0, v118, s0
	v_cmp_gt_i32_e64 s0, s27, v67
	s_wait_alu 0xf1ff
	s_delay_alu instid0(VALU_DEP_1) | instskip(SKIP_2) | instid1(VALU_DEP_1)
	v_cndmask_b32_e64 v117, 0, v117, s0
	v_cmp_gt_i32_e64 s0, s27, v39
	s_wait_alu 0xf1ff
	v_cndmask_b32_e64 v116, 0, v116, s0
.LBB223_71:                             ;   in Loop: Header=BB223_33 Depth=1
	s_wait_alu 0xfffe
	s_or_b32 exec_lo, exec_lo, s8
	global_load_b32 v119, v[9:10], off offset:2432
	s_wait_loadcnt 0x0
	v_lshrrev_b32_e32 v122, 16, v119
	s_delay_alu instid0(VALU_DEP_1) | instskip(NEXT) | instid1(VALU_DEP_1)
	v_cvt_pk_f32_fp8_e32 v[126:127], v122
	v_dual_mul_f32 v123, s3, v126 :: v_dual_and_b32 v120, 0xffff, v119
	s_delay_alu instid0(VALU_DEP_1) | instskip(NEXT) | instid1(VALU_DEP_3)
	v_cvt_pk_f32_fp8_e32 v[119:120], v120
	v_mul_f32_e32 v122, s6, v127
	s_delay_alu instid0(VALU_DEP_2)
	v_dual_mul_f32 v125, s3, v119 :: v_dual_mul_f32 v124, s6, v120
	s_and_saveexec_b32 s8, vcc_lo
	s_cbranch_execz .LBB223_73
; %bb.72:                               ;   in Loop: Header=BB223_33 Depth=1
	v_cmp_gt_i32_e64 s0, s27, v64
	s_wait_alu 0xf1ff
	s_delay_alu instid0(VALU_DEP_1) | instskip(SKIP_2) | instid1(VALU_DEP_1)
	v_cndmask_b32_e64 v125, 0, v125, s0
	v_cmp_gt_i32_e64 s0, s27, v65
	s_wait_alu 0xf1ff
	v_cndmask_b32_e64 v124, 0, v124, s0
	v_cmp_gt_i32_e64 s0, s27, v67
	s_wait_alu 0xf1ff
	s_delay_alu instid0(VALU_DEP_1) | instskip(SKIP_2) | instid1(VALU_DEP_1)
	v_cndmask_b32_e64 v123, 0, v123, s0
	v_cmp_gt_i32_e64 s0, s27, v39
	s_wait_alu 0xf1ff
	v_cndmask_b32_e64 v122, 0, v122, s0
.LBB223_73:                             ;   in Loop: Header=BB223_33 Depth=1
	s_wait_alu 0xfffe
	s_or_b32 exec_lo, exec_lo, s8
	global_load_b32 v119, v[9:10], off offset:2560
	s_wait_loadcnt 0x0
	v_and_b32_e32 v120, 0xffff, v119
	v_lshrrev_b32_e32 v126, 16, v119
	s_delay_alu instid0(VALU_DEP_2) | instskip(NEXT) | instid1(VALU_DEP_2)
	v_cvt_pk_f32_fp8_e32 v[119:120], v120
	v_cvt_pk_f32_fp8_e32 v[131:132], v126
	s_delay_alu instid0(VALU_DEP_2) | instskip(NEXT) | instid1(VALU_DEP_2)
	v_dual_mul_f32 v129, s3, v119 :: v_dual_mul_f32 v128, s6, v120
	v_dual_mul_f32 v127, s3, v131 :: v_dual_mul_f32 v126, s6, v132
	s_and_saveexec_b32 s8, vcc_lo
	s_cbranch_execz .LBB223_75
; %bb.74:                               ;   in Loop: Header=BB223_33 Depth=1
	v_cmp_gt_i32_e64 s0, s27, v64
	s_wait_alu 0xf1ff
	s_delay_alu instid0(VALU_DEP_1) | instskip(SKIP_2) | instid1(VALU_DEP_1)
	v_cndmask_b32_e64 v129, 0, v129, s0
	v_cmp_gt_i32_e64 s0, s27, v65
	s_wait_alu 0xf1ff
	v_cndmask_b32_e64 v128, 0, v128, s0
	v_cmp_gt_i32_e64 s0, s27, v67
	s_wait_alu 0xf1ff
	s_delay_alu instid0(VALU_DEP_1) | instskip(SKIP_2) | instid1(VALU_DEP_1)
	v_cndmask_b32_e64 v127, 0, v127, s0
	v_cmp_gt_i32_e64 s0, s27, v39
	s_wait_alu 0xf1ff
	v_cndmask_b32_e64 v126, 0, v126, s0
.LBB223_75:                             ;   in Loop: Header=BB223_33 Depth=1
	s_wait_alu 0xfffe
	s_or_b32 exec_lo, exec_lo, s8
	global_load_b32 v119, v[9:10], off offset:2688
	s_wait_loadcnt 0x0
	v_lshrrev_b32_e32 v14, 16, v119
	s_delay_alu instid0(VALU_DEP_1) | instskip(NEXT) | instid1(VALU_DEP_1)
	v_cvt_pk_f32_fp8_e32 v[135:136], v14
	v_dual_mul_f32 v131, s6, v136 :: v_dual_and_b32 v120, 0xffff, v119
	s_delay_alu instid0(VALU_DEP_1) | instskip(NEXT) | instid1(VALU_DEP_3)
	v_cvt_pk_f32_fp8_e32 v[119:120], v120
	v_mul_f32_e32 v132, s3, v135
	s_delay_alu instid0(VALU_DEP_2)
	v_dual_mul_f32 v134, s3, v119 :: v_dual_mul_f32 v133, s6, v120
	s_and_saveexec_b32 s8, vcc_lo
	s_cbranch_execz .LBB223_77
; %bb.76:                               ;   in Loop: Header=BB223_33 Depth=1
	v_cmp_gt_i32_e64 s0, s27, v64
	s_wait_alu 0xf1ff
	s_delay_alu instid0(VALU_DEP_1) | instskip(SKIP_2) | instid1(VALU_DEP_1)
	v_cndmask_b32_e64 v134, 0, v134, s0
	v_cmp_gt_i32_e64 s0, s27, v65
	s_wait_alu 0xf1ff
	v_cndmask_b32_e64 v133, 0, v133, s0
	v_cmp_gt_i32_e64 s0, s27, v67
	s_wait_alu 0xf1ff
	s_delay_alu instid0(VALU_DEP_1) | instskip(SKIP_2) | instid1(VALU_DEP_1)
	v_cndmask_b32_e64 v132, 0, v132, s0
	v_cmp_gt_i32_e64 s0, s27, v39
	s_wait_alu 0xf1ff
	v_cndmask_b32_e64 v131, 0, v131, s0
.LBB223_77:                             ;   in Loop: Header=BB223_33 Depth=1
	s_wait_alu 0xfffe
	s_or_b32 exec_lo, exec_lo, s8
	global_load_b32 v14, v[9:10], off offset:2816
	s_wait_loadcnt 0x0
	v_and_b32_e32 v119, 0xffff, v14
	v_lshrrev_b32_e32 v14, 16, v14
	s_delay_alu instid0(VALU_DEP_1) | instskip(NEXT) | instid1(VALU_DEP_1)
	v_cvt_pk_f32_fp8_e32 v[140:141], v14
	v_mul_f32_e32 v136, s3, v140
	s_delay_alu instid0(VALU_DEP_4) | instskip(NEXT) | instid1(VALU_DEP_3)
	v_cvt_pk_f32_fp8_e32 v[119:120], v119
	v_mul_f32_e32 v135, s6, v141
	s_delay_alu instid0(VALU_DEP_2) | instskip(NEXT) | instid1(VALU_DEP_3)
	v_mul_f32_e32 v139, s3, v119
	v_mul_f32_e32 v137, s6, v120
	s_and_saveexec_b32 s8, vcc_lo
	s_cbranch_execz .LBB223_79
; %bb.78:                               ;   in Loop: Header=BB223_33 Depth=1
	v_cmp_gt_i32_e64 s0, s27, v64
	s_wait_alu 0xf1ff
	s_delay_alu instid0(VALU_DEP_1) | instskip(SKIP_2) | instid1(VALU_DEP_1)
	v_cndmask_b32_e64 v139, 0, v139, s0
	v_cmp_gt_i32_e64 s0, s27, v65
	s_wait_alu 0xf1ff
	v_cndmask_b32_e64 v137, 0, v137, s0
	v_cmp_gt_i32_e64 s0, s27, v67
	s_wait_alu 0xf1ff
	s_delay_alu instid0(VALU_DEP_1) | instskip(SKIP_2) | instid1(VALU_DEP_1)
	v_cndmask_b32_e64 v136, 0, v136, s0
	v_cmp_gt_i32_e64 s0, s27, v39
	s_wait_alu 0xf1ff
	v_cndmask_b32_e64 v135, 0, v135, s0
.LBB223_79:                             ;   in Loop: Header=BB223_33 Depth=1
	s_wait_alu 0xfffe
	s_or_b32 exec_lo, exec_lo, s8
	global_load_b32 v9, v[9:10], off offset:2944
	s_wait_loadcnt 0x0
	v_and_b32_e32 v10, 0xffff, v9
	v_lshrrev_b32_e32 v14, 16, v9
	s_delay_alu instid0(VALU_DEP_2) | instskip(NEXT) | instid1(VALU_DEP_2)
	v_cvt_pk_f32_fp8_e32 v[9:10], v10
	v_cvt_pk_f32_fp8_e32 v[140:141], v14
	s_delay_alu instid0(VALU_DEP_2) | instskip(NEXT) | instid1(VALU_DEP_2)
	v_dual_mul_f32 v120, s3, v9 :: v_dual_mul_f32 v119, s6, v10
	v_dual_mul_f32 v10, s3, v140 :: v_dual_mul_f32 v9, s6, v141
	s_and_saveexec_b32 s0, vcc_lo
	s_cbranch_execz .LBB223_32
; %bb.80:                               ;   in Loop: Header=BB223_33 Depth=1
	v_cmp_gt_i32_e32 vcc_lo, s27, v64
	s_wait_alu 0xfffd
	v_cndmask_b32_e32 v120, 0, v120, vcc_lo
	v_cmp_gt_i32_e32 vcc_lo, s27, v65
	s_wait_alu 0xfffd
	v_cndmask_b32_e32 v119, 0, v119, vcc_lo
	;; [unrolled: 3-line block ×4, first 2 shown]
	s_branch .LBB223_32
.LBB223_81:
	s_or_b32 exec_lo, exec_lo, s7
.LBB223_82:
	s_wait_alu 0xfffe
	s_or_b32 exec_lo, exec_lo, s1
	ds_bpermute_b32 v1, v12, v36
	ds_bpermute_b32 v2, v12, v38
	;; [unrolled: 1-line block ×19, first 2 shown]
	s_mov_b32 s0, exec_lo
	s_wait_dscnt 0x11
	v_dual_add_f32 v1, v36, v1 :: v_dual_add_f32 v2, v38, v2
	s_wait_dscnt 0xf
	v_dual_add_f32 v3, v37, v3 :: v_dual_add_f32 v4, v35, v4
	ds_bpermute_b32 v35, v12, v21
	ds_bpermute_b32 v36, v13, v1
	;; [unrolled: 1-line block ×5, first 2 shown]
	s_wait_dscnt 0x12
	v_dual_add_f32 v5, v34, v5 :: v_dual_add_f32 v6, v33, v6
	s_wait_dscnt 0xf
	v_dual_add_f32 v9, v30, v9 :: v_dual_add_f32 v10, v29, v10
	v_add_f32_e32 v28, v28, v39
	ds_bpermute_b32 v29, v13, v5
	ds_bpermute_b32 v30, v13, v6
	;; [unrolled: 1-line block ×3, first 2 shown]
	s_wait_dscnt 0xf
	v_dual_add_f32 v24, v24, v43 :: v_dual_add_f32 v23, v23, v44
	s_wait_dscnt 0xe
	v_add_f32_e32 v22, v22, v45
	s_wait_dscnt 0xc
	v_dual_add_f32 v44, v20, v47 :: v_dual_add_f32 v45, v19, v48
	s_wait_dscnt 0xa
	v_dual_add_f32 v7, v32, v7 :: v_dual_add_f32 v8, v31, v8
	ds_bpermute_b32 v34, v13, v10
	s_wait_dscnt 0x6
	v_dual_add_f32 v1, v1, v36 :: v_dual_add_f32 v2, v2, v37
	s_wait_dscnt 0x5
	v_add_f32_e32 v3, v3, v38
	ds_bpermute_b32 v36, v12, v18
	ds_bpermute_b32 v37, v12, v17
	;; [unrolled: 1-line block ×4, first 2 shown]
	s_wait_dscnt 0x8
	v_dual_add_f32 v4, v4, v46 :: v_dual_add_f32 v27, v27, v40
	ds_bpermute_b32 v39, v13, v28
	v_dual_add_f32 v26, v26, v41 :: v_dual_add_f32 v25, v25, v42
	v_add_f32_e32 v21, v21, v35
	ds_bpermute_b32 v40, v13, v27
	ds_bpermute_b32 v20, v13, v22
	;; [unrolled: 1-line block ×10, first 2 shown]
	s_wait_dscnt 0xd
	v_dual_add_f32 v36, v18, v36 :: v_dual_add_f32 v37, v17, v37
	s_wait_dscnt 0xc
	v_dual_add_f32 v38, v16, v38 :: v_dual_add_f32 v5, v5, v29
	;; [unrolled: 2-line block ×3, first 2 shown]
	ds_bpermute_b32 v47, v13, v44
	ds_bpermute_b32 v49, v13, v36
	;; [unrolled: 1-line block ×4, first 2 shown]
	v_add_f32_e32 v6, v6, v30
	ds_bpermute_b32 v30, v13, v50
	s_wait_dscnt 0xe
	v_dual_add_f32 v10, v10, v34 :: v_dual_add_f32 v13, v27, v40
	s_wait_dscnt 0xd
	v_dual_add_f32 v12, v28, v39 :: v_dual_add_f32 v19, v22, v20
	s_wait_dscnt 0xc
	v_dual_add_f32 v22, v45, v48 :: v_dual_and_b32 v27, 28, v11
	s_wait_dscnt 0xa
	v_dual_add_f32 v7, v7, v31 :: v_dual_add_f32 v8, v8, v32
	s_wait_dscnt 0x8
	v_dual_add_f32 v15, v26, v41 :: v_dual_add_f32 v16, v25, v42
	s_wait_dscnt 0x7
	v_add_f32_e32 v17, v24, v43
	s_wait_dscnt 0x6
	v_add_f32_e32 v18, v23, v35
	s_wait_dscnt 0x5
	v_add_f32_e32 v20, v21, v46
	v_lshrrev_b32_e32 v11, 2, v11
	s_wait_dscnt 0x4
	v_add_f32_e32 v21, v44, v47
	s_wait_dscnt 0x2
	v_dual_add_f32 v23, v36, v49 :: v_dual_add_f32 v24, v37, v51
	s_wait_dscnt 0x1
	v_add_f32_e32 v25, v38, v29
	s_wait_dscnt 0x0
	v_dual_add_f32 v26, v50, v30 :: v_dual_and_b32 v29, 0x3c3, v0
	v_add_nc_u32_e32 v27, 0x320, v27
	v_mul_u32_u24_e32 v28, 0x300, v130
	s_wait_loadcnt 0x0
	s_wait_storecnt 0x0
	s_barrier_signal -1
	s_barrier_wait -1
	global_inv scope:SCOPE_SE
	v_cmpx_eq_u32_e32 64, v29
	s_cbranch_execz .LBB223_84
; %bb.83:
	v_add_nc_u32_e32 v14, v27, v28
	s_delay_alu instid0(VALU_DEP_1)
	v_add_nc_u32_e32 v29, 0xfffffa00, v14
	v_add_nc_u32_e32 v30, 0xfffffa20, v14
	v_add_nc_u32_e32 v31, 0xfffffa40, v14
	v_add_nc_u32_e32 v32, 0xfffffa60, v14
	v_add_nc_u32_e32 v33, 0xfffffa80, v14
	v_add_nc_u32_e32 v34, 0xfffffaa0, v14
	v_add_nc_u32_e32 v35, 0xfffffac0, v14
	v_add_nc_u32_e32 v36, 0xfffffae0, v14
	ds_store_b32 v29, v1
	ds_store_b32 v30, v2
	ds_store_b32 v31, v3
	ds_store_b32 v32, v4
	ds_store_b32 v33, v5
	ds_store_b32 v34, v6
	ds_store_b32 v35, v7
	ds_store_b32 v36, v8
	v_add_nc_u32_e32 v29, 0xfffffb00, v14
	v_add_nc_u32_e32 v30, 0xfffffb20, v14
	v_add_nc_u32_e32 v31, 0xfffffb40, v14
	v_add_nc_u32_e32 v32, 0xfffffb60, v14
	v_add_nc_u32_e32 v33, 0xfffffb80, v14
	v_add_nc_u32_e32 v34, 0xfffffba0, v14
	v_add_nc_u32_e32 v35, 0xfffffbc0, v14
	v_add_nc_u32_e32 v36, 0xfffffbe0, v14
	ds_store_b32 v29, v9
	ds_store_b32 v30, v10
	ds_store_b32 v31, v12
	ds_store_b32 v32, v13
	ds_store_b32 v33, v15
	ds_store_b32 v34, v16
	ds_store_b32 v35, v17
	ds_store_b32 v36, v18
	;; [unrolled: 16-line block ×3, first 2 shown]
.LBB223_84:
	s_wait_alu 0xfffe
	s_or_b32 exec_lo, exec_lo, s0
	v_lshlrev_b32_e32 v11, 2, v11
	s_mov_b32 s1, exec_lo
	v_cmp_eq_u32_e32 vcc_lo, 0, v142
	s_wait_loadcnt_dscnt 0x0
	s_barrier_signal -1
	v_add3_u32 v11, 0x320, v28, v11
	s_barrier_wait -1
	global_inv scope:SCOPE_SE
	v_cmpx_gt_u32_e32 64, v0
	s_cbranch_execz .LBB223_111
; %bb.85:
	s_and_saveexec_b32 s0, vcc_lo
	s_cbranch_execnz .LBB223_143
; %bb.86:
	s_wait_alu 0xfffe
	s_or_b32 exec_lo, exec_lo, s0
	s_and_saveexec_b32 s0, vcc_lo
	s_cbranch_execnz .LBB223_144
.LBB223_87:
	s_wait_alu 0xfffe
	s_or_b32 exec_lo, exec_lo, s0
	s_and_saveexec_b32 s0, vcc_lo
	s_cbranch_execnz .LBB223_145
.LBB223_88:
	s_wait_alu 0xfffe
	s_or_b32 exec_lo, exec_lo, s0
	s_and_saveexec_b32 s0, vcc_lo
	s_cbranch_execnz .LBB223_146
.LBB223_89:
	s_wait_alu 0xfffe
	s_or_b32 exec_lo, exec_lo, s0
	s_and_saveexec_b32 s0, vcc_lo
	s_cbranch_execnz .LBB223_147
.LBB223_90:
	s_wait_alu 0xfffe
	s_or_b32 exec_lo, exec_lo, s0
	s_and_saveexec_b32 s0, vcc_lo
	s_cbranch_execnz .LBB223_148
.LBB223_91:
	s_wait_alu 0xfffe
	s_or_b32 exec_lo, exec_lo, s0
	s_and_saveexec_b32 s0, vcc_lo
	s_cbranch_execnz .LBB223_149
.LBB223_92:
	s_wait_alu 0xfffe
	s_or_b32 exec_lo, exec_lo, s0
	s_and_saveexec_b32 s0, vcc_lo
	s_cbranch_execnz .LBB223_150
.LBB223_93:
	s_wait_alu 0xfffe
	s_or_b32 exec_lo, exec_lo, s0
	s_and_saveexec_b32 s0, vcc_lo
	s_cbranch_execnz .LBB223_151
.LBB223_94:
	s_wait_alu 0xfffe
	s_or_b32 exec_lo, exec_lo, s0
	s_and_saveexec_b32 s0, vcc_lo
	s_cbranch_execnz .LBB223_152
.LBB223_95:
	s_wait_alu 0xfffe
	s_or_b32 exec_lo, exec_lo, s0
	s_and_saveexec_b32 s0, vcc_lo
	s_cbranch_execnz .LBB223_153
.LBB223_96:
	s_wait_alu 0xfffe
	s_or_b32 exec_lo, exec_lo, s0
	s_and_saveexec_b32 s0, vcc_lo
	s_cbranch_execnz .LBB223_154
.LBB223_97:
	s_wait_alu 0xfffe
	s_or_b32 exec_lo, exec_lo, s0
	s_and_saveexec_b32 s0, vcc_lo
	s_cbranch_execnz .LBB223_155
.LBB223_98:
	s_wait_alu 0xfffe
	s_or_b32 exec_lo, exec_lo, s0
	s_and_saveexec_b32 s0, vcc_lo
	s_cbranch_execnz .LBB223_156
.LBB223_99:
	s_wait_alu 0xfffe
	s_or_b32 exec_lo, exec_lo, s0
	s_and_saveexec_b32 s0, vcc_lo
	s_cbranch_execnz .LBB223_157
.LBB223_100:
	s_wait_alu 0xfffe
	s_or_b32 exec_lo, exec_lo, s0
	s_and_saveexec_b32 s0, vcc_lo
	s_cbranch_execnz .LBB223_158
.LBB223_101:
	s_wait_alu 0xfffe
	s_or_b32 exec_lo, exec_lo, s0
	s_and_saveexec_b32 s0, vcc_lo
	s_cbranch_execnz .LBB223_159
.LBB223_102:
	s_wait_alu 0xfffe
	s_or_b32 exec_lo, exec_lo, s0
	s_and_saveexec_b32 s0, vcc_lo
	s_cbranch_execnz .LBB223_160
.LBB223_103:
	s_wait_alu 0xfffe
	s_or_b32 exec_lo, exec_lo, s0
	s_and_saveexec_b32 s0, vcc_lo
	s_cbranch_execnz .LBB223_161
.LBB223_104:
	s_wait_alu 0xfffe
	s_or_b32 exec_lo, exec_lo, s0
	s_and_saveexec_b32 s0, vcc_lo
	s_cbranch_execnz .LBB223_162
.LBB223_105:
	s_wait_alu 0xfffe
	s_or_b32 exec_lo, exec_lo, s0
	s_and_saveexec_b32 s0, vcc_lo
	s_cbranch_execnz .LBB223_163
.LBB223_106:
	s_wait_alu 0xfffe
	s_or_b32 exec_lo, exec_lo, s0
	s_and_saveexec_b32 s0, vcc_lo
	s_cbranch_execnz .LBB223_164
.LBB223_107:
	s_wait_alu 0xfffe
	s_or_b32 exec_lo, exec_lo, s0
	s_and_saveexec_b32 s0, vcc_lo
	s_cbranch_execnz .LBB223_165
.LBB223_108:
	s_wait_alu 0xfffe
	s_or_b32 exec_lo, exec_lo, s0
	s_and_saveexec_b32 s0, vcc_lo
	s_cbranch_execz .LBB223_110
.LBB223_109:
	ds_load_b32 v14, v11 offset:736
	s_wait_dscnt 0x0
	v_add_f32_e32 v26, v26, v14
.LBB223_110:
	s_wait_alu 0xfffe
	s_or_b32 exec_lo, exec_lo, s0
.LBB223_111:
	s_wait_alu 0xfffe
	s_or_b32 exec_lo, exec_lo, s1
	v_and_b32_e32 v14, 0x3e3, v0
	s_mov_b32 s1, exec_lo
	s_wait_loadcnt 0x0
	s_barrier_signal -1
	s_barrier_wait -1
	global_inv scope:SCOPE_SE
	v_cmpx_eq_u32_e32 32, v14
	s_cbranch_execz .LBB223_113
; %bb.112:
	ds_store_2addr_b32 v27, v1, v2 offset1:8
	ds_store_2addr_b32 v27, v3, v4 offset0:16 offset1:24
	ds_store_2addr_b32 v27, v5, v6 offset0:32 offset1:40
	ds_store_2addr_b32 v27, v7, v8 offset0:48 offset1:56
	ds_store_2addr_b32 v27, v9, v10 offset0:64 offset1:72
	ds_store_2addr_b32 v27, v12, v13 offset0:80 offset1:88
	ds_store_2addr_b32 v27, v15, v16 offset0:96 offset1:104
	ds_store_2addr_b32 v27, v17, v18 offset0:112 offset1:120
	ds_store_2addr_b32 v27, v19, v20 offset0:128 offset1:136
	ds_store_2addr_b32 v27, v21, v22 offset0:144 offset1:152
	ds_store_2addr_b32 v27, v23, v24 offset0:160 offset1:168
	ds_store_2addr_b32 v27, v25, v26 offset0:176 offset1:184
.LBB223_113:
	s_wait_alu 0xfffe
	s_or_b32 exec_lo, exec_lo, s1
	s_delay_alu instid0(SALU_CYCLE_1)
	s_mov_b32 s1, exec_lo
	s_wait_loadcnt_dscnt 0x0
	s_barrier_signal -1
	s_barrier_wait -1
	global_inv scope:SCOPE_SE
	v_cmpx_gt_u32_e32 32, v0
	s_cbranch_execz .LBB223_140
; %bb.114:
	s_and_saveexec_b32 s0, vcc_lo
	s_cbranch_execnz .LBB223_166
; %bb.115:
	s_wait_alu 0xfffe
	s_or_b32 exec_lo, exec_lo, s0
	s_and_saveexec_b32 s0, vcc_lo
	s_cbranch_execnz .LBB223_167
.LBB223_116:
	s_wait_alu 0xfffe
	s_or_b32 exec_lo, exec_lo, s0
	s_and_saveexec_b32 s0, vcc_lo
	s_cbranch_execnz .LBB223_168
.LBB223_117:
	s_wait_alu 0xfffe
	s_or_b32 exec_lo, exec_lo, s0
	s_and_saveexec_b32 s0, vcc_lo
	s_cbranch_execnz .LBB223_169
.LBB223_118:
	s_wait_alu 0xfffe
	s_or_b32 exec_lo, exec_lo, s0
	s_and_saveexec_b32 s0, vcc_lo
	s_cbranch_execnz .LBB223_170
.LBB223_119:
	s_wait_alu 0xfffe
	s_or_b32 exec_lo, exec_lo, s0
	s_and_saveexec_b32 s0, vcc_lo
	s_cbranch_execnz .LBB223_171
.LBB223_120:
	s_wait_alu 0xfffe
	s_or_b32 exec_lo, exec_lo, s0
	s_and_saveexec_b32 s0, vcc_lo
	s_cbranch_execnz .LBB223_172
.LBB223_121:
	s_wait_alu 0xfffe
	s_or_b32 exec_lo, exec_lo, s0
	s_and_saveexec_b32 s0, vcc_lo
	s_cbranch_execnz .LBB223_173
.LBB223_122:
	s_wait_alu 0xfffe
	s_or_b32 exec_lo, exec_lo, s0
	s_and_saveexec_b32 s0, vcc_lo
	s_cbranch_execnz .LBB223_174
.LBB223_123:
	s_wait_alu 0xfffe
	s_or_b32 exec_lo, exec_lo, s0
	s_and_saveexec_b32 s0, vcc_lo
	s_cbranch_execnz .LBB223_175
.LBB223_124:
	s_wait_alu 0xfffe
	s_or_b32 exec_lo, exec_lo, s0
	s_and_saveexec_b32 s0, vcc_lo
	s_cbranch_execnz .LBB223_176
.LBB223_125:
	s_wait_alu 0xfffe
	s_or_b32 exec_lo, exec_lo, s0
	s_and_saveexec_b32 s0, vcc_lo
	s_cbranch_execnz .LBB223_177
.LBB223_126:
	s_wait_alu 0xfffe
	s_or_b32 exec_lo, exec_lo, s0
	s_and_saveexec_b32 s0, vcc_lo
	s_cbranch_execnz .LBB223_178
.LBB223_127:
	s_wait_alu 0xfffe
	s_or_b32 exec_lo, exec_lo, s0
	s_and_saveexec_b32 s0, vcc_lo
	s_cbranch_execnz .LBB223_179
.LBB223_128:
	s_wait_alu 0xfffe
	s_or_b32 exec_lo, exec_lo, s0
	s_and_saveexec_b32 s0, vcc_lo
	s_cbranch_execnz .LBB223_180
.LBB223_129:
	s_wait_alu 0xfffe
	s_or_b32 exec_lo, exec_lo, s0
	s_and_saveexec_b32 s0, vcc_lo
	s_cbranch_execnz .LBB223_181
.LBB223_130:
	s_wait_alu 0xfffe
	s_or_b32 exec_lo, exec_lo, s0
	s_and_saveexec_b32 s0, vcc_lo
	s_cbranch_execnz .LBB223_182
.LBB223_131:
	s_wait_alu 0xfffe
	s_or_b32 exec_lo, exec_lo, s0
	s_and_saveexec_b32 s0, vcc_lo
	s_cbranch_execnz .LBB223_183
.LBB223_132:
	s_wait_alu 0xfffe
	s_or_b32 exec_lo, exec_lo, s0
	s_and_saveexec_b32 s0, vcc_lo
	s_cbranch_execnz .LBB223_184
.LBB223_133:
	s_wait_alu 0xfffe
	s_or_b32 exec_lo, exec_lo, s0
	s_and_saveexec_b32 s0, vcc_lo
	s_cbranch_execnz .LBB223_185
.LBB223_134:
	s_wait_alu 0xfffe
	s_or_b32 exec_lo, exec_lo, s0
	s_and_saveexec_b32 s0, vcc_lo
	s_cbranch_execnz .LBB223_186
.LBB223_135:
	s_wait_alu 0xfffe
	s_or_b32 exec_lo, exec_lo, s0
	s_and_saveexec_b32 s0, vcc_lo
	s_cbranch_execnz .LBB223_187
.LBB223_136:
	s_wait_alu 0xfffe
	s_or_b32 exec_lo, exec_lo, s0
	s_and_saveexec_b32 s0, vcc_lo
	s_cbranch_execnz .LBB223_188
.LBB223_137:
	s_wait_alu 0xfffe
	s_or_b32 exec_lo, exec_lo, s0
	s_and_saveexec_b32 s0, vcc_lo
	s_cbranch_execz .LBB223_139
.LBB223_138:
	ds_load_b32 v11, v11 offset:736
	s_wait_dscnt 0x0
	v_add_f32_e32 v26, v26, v11
.LBB223_139:
	s_wait_alu 0xfffe
	s_or_b32 exec_lo, exec_lo, s0
.LBB223_140:
	s_wait_alu 0xfffe
	s_or_b32 exec_lo, exec_lo, s1
	s_mov_b32 s1, 0
	s_wait_loadcnt 0x0
	s_barrier_signal -1
	s_barrier_wait -1
	global_inv scope:SCOPE_SE
	s_mov_b32 s0, exec_lo
	v_cmpx_eq_u32_e32 0, v14
	s_cbranch_execz .LBB223_142
; %bb.141:
	s_mul_i32 s2, s14, 0xc0
	s_mul_i32 s6, s12, s16
	s_wait_alu 0xfffe
	s_ashr_i32 s3, s2, 31
	s_ashr_i32 s7, s6, 31
	s_wait_alu 0xfffe
	s_lshl_b64 s[2:3], s[2:3], 2
	s_lshl_b64 s[6:7], s[6:7], 2
	s_wait_kmcnt 0x0
	s_wait_alu 0xfffe
	s_add_nc_u64 s[2:3], s[4:5], s[2:3]
	s_mul_i32 s0, s26, 0x300
	s_wait_alu 0xfffe
	s_add_nc_u64 s[2:3], s[2:3], s[6:7]
	s_wait_alu 0xfffe
	s_add_nc_u64 s[0:1], s[2:3], s[0:1]
	s_clause 0x17
	global_store_b32 v0, v1, s[0:1]
	global_store_b32 v0, v2, s[0:1] offset:32
	global_store_b32 v0, v3, s[0:1] offset:64
	;; [unrolled: 1-line block ×23, first 2 shown]
.LBB223_142:
	s_nop 0
	s_sendmsg sendmsg(MSG_DEALLOC_VGPRS)
	s_endpgm
.LBB223_143:
	ds_load_b32 v14, v11
	s_wait_dscnt 0x0
	v_add_f32_e32 v1, v1, v14
	s_wait_alu 0xfffe
	s_or_b32 exec_lo, exec_lo, s0
	s_and_saveexec_b32 s0, vcc_lo
	s_cbranch_execz .LBB223_87
.LBB223_144:
	ds_load_b32 v14, v11 offset:32
	s_wait_dscnt 0x0
	v_add_f32_e32 v2, v2, v14
	s_wait_alu 0xfffe
	s_or_b32 exec_lo, exec_lo, s0
	s_and_saveexec_b32 s0, vcc_lo
	s_cbranch_execz .LBB223_88
.LBB223_145:
	ds_load_b32 v14, v11 offset:64
	s_wait_dscnt 0x0
	v_add_f32_e32 v3, v3, v14
	s_wait_alu 0xfffe
	s_or_b32 exec_lo, exec_lo, s0
	s_and_saveexec_b32 s0, vcc_lo
	s_cbranch_execz .LBB223_89
.LBB223_146:
	ds_load_b32 v14, v11 offset:96
	s_wait_dscnt 0x0
	v_add_f32_e32 v4, v4, v14
	s_wait_alu 0xfffe
	s_or_b32 exec_lo, exec_lo, s0
	s_and_saveexec_b32 s0, vcc_lo
	s_cbranch_execz .LBB223_90
.LBB223_147:
	ds_load_b32 v14, v11 offset:128
	s_wait_dscnt 0x0
	v_add_f32_e32 v5, v5, v14
	s_wait_alu 0xfffe
	s_or_b32 exec_lo, exec_lo, s0
	s_and_saveexec_b32 s0, vcc_lo
	s_cbranch_execz .LBB223_91
.LBB223_148:
	ds_load_b32 v14, v11 offset:160
	s_wait_dscnt 0x0
	v_add_f32_e32 v6, v6, v14
	s_wait_alu 0xfffe
	s_or_b32 exec_lo, exec_lo, s0
	s_and_saveexec_b32 s0, vcc_lo
	s_cbranch_execz .LBB223_92
.LBB223_149:
	ds_load_b32 v14, v11 offset:192
	s_wait_dscnt 0x0
	v_add_f32_e32 v7, v7, v14
	s_wait_alu 0xfffe
	s_or_b32 exec_lo, exec_lo, s0
	s_and_saveexec_b32 s0, vcc_lo
	s_cbranch_execz .LBB223_93
.LBB223_150:
	ds_load_b32 v14, v11 offset:224
	s_wait_dscnt 0x0
	v_add_f32_e32 v8, v8, v14
	s_wait_alu 0xfffe
	s_or_b32 exec_lo, exec_lo, s0
	s_and_saveexec_b32 s0, vcc_lo
	s_cbranch_execz .LBB223_94
.LBB223_151:
	ds_load_b32 v14, v11 offset:256
	s_wait_dscnt 0x0
	v_add_f32_e32 v9, v9, v14
	s_wait_alu 0xfffe
	s_or_b32 exec_lo, exec_lo, s0
	s_and_saveexec_b32 s0, vcc_lo
	s_cbranch_execz .LBB223_95
.LBB223_152:
	ds_load_b32 v14, v11 offset:288
	s_wait_dscnt 0x0
	v_add_f32_e32 v10, v10, v14
	s_wait_alu 0xfffe
	s_or_b32 exec_lo, exec_lo, s0
	s_and_saveexec_b32 s0, vcc_lo
	s_cbranch_execz .LBB223_96
.LBB223_153:
	ds_load_b32 v14, v11 offset:320
	s_wait_dscnt 0x0
	v_add_f32_e32 v12, v12, v14
	s_wait_alu 0xfffe
	s_or_b32 exec_lo, exec_lo, s0
	s_and_saveexec_b32 s0, vcc_lo
	s_cbranch_execz .LBB223_97
.LBB223_154:
	ds_load_b32 v14, v11 offset:352
	s_wait_dscnt 0x0
	v_add_f32_e32 v13, v13, v14
	s_wait_alu 0xfffe
	s_or_b32 exec_lo, exec_lo, s0
	s_and_saveexec_b32 s0, vcc_lo
	s_cbranch_execz .LBB223_98
.LBB223_155:
	ds_load_b32 v14, v11 offset:384
	s_wait_dscnt 0x0
	v_add_f32_e32 v15, v15, v14
	s_wait_alu 0xfffe
	s_or_b32 exec_lo, exec_lo, s0
	s_and_saveexec_b32 s0, vcc_lo
	s_cbranch_execz .LBB223_99
.LBB223_156:
	ds_load_b32 v14, v11 offset:416
	s_wait_dscnt 0x0
	v_add_f32_e32 v16, v16, v14
	s_wait_alu 0xfffe
	s_or_b32 exec_lo, exec_lo, s0
	s_and_saveexec_b32 s0, vcc_lo
	s_cbranch_execz .LBB223_100
.LBB223_157:
	ds_load_b32 v14, v11 offset:448
	s_wait_dscnt 0x0
	v_add_f32_e32 v17, v17, v14
	s_wait_alu 0xfffe
	s_or_b32 exec_lo, exec_lo, s0
	s_and_saveexec_b32 s0, vcc_lo
	s_cbranch_execz .LBB223_101
.LBB223_158:
	ds_load_b32 v14, v11 offset:480
	s_wait_dscnt 0x0
	v_add_f32_e32 v18, v18, v14
	s_wait_alu 0xfffe
	s_or_b32 exec_lo, exec_lo, s0
	s_and_saveexec_b32 s0, vcc_lo
	s_cbranch_execz .LBB223_102
.LBB223_159:
	ds_load_b32 v14, v11 offset:512
	s_wait_dscnt 0x0
	v_add_f32_e32 v19, v19, v14
	s_wait_alu 0xfffe
	s_or_b32 exec_lo, exec_lo, s0
	s_and_saveexec_b32 s0, vcc_lo
	s_cbranch_execz .LBB223_103
.LBB223_160:
	ds_load_b32 v14, v11 offset:544
	s_wait_dscnt 0x0
	v_add_f32_e32 v20, v20, v14
	s_wait_alu 0xfffe
	s_or_b32 exec_lo, exec_lo, s0
	s_and_saveexec_b32 s0, vcc_lo
	s_cbranch_execz .LBB223_104
.LBB223_161:
	ds_load_b32 v14, v11 offset:576
	s_wait_dscnt 0x0
	v_add_f32_e32 v21, v21, v14
	s_wait_alu 0xfffe
	s_or_b32 exec_lo, exec_lo, s0
	s_and_saveexec_b32 s0, vcc_lo
	s_cbranch_execz .LBB223_105
.LBB223_162:
	ds_load_b32 v14, v11 offset:608
	s_wait_dscnt 0x0
	v_add_f32_e32 v22, v22, v14
	s_wait_alu 0xfffe
	s_or_b32 exec_lo, exec_lo, s0
	s_and_saveexec_b32 s0, vcc_lo
	s_cbranch_execz .LBB223_106
.LBB223_163:
	ds_load_b32 v14, v11 offset:640
	s_wait_dscnt 0x0
	v_add_f32_e32 v23, v23, v14
	s_wait_alu 0xfffe
	s_or_b32 exec_lo, exec_lo, s0
	s_and_saveexec_b32 s0, vcc_lo
	s_cbranch_execz .LBB223_107
.LBB223_164:
	ds_load_b32 v14, v11 offset:672
	s_wait_dscnt 0x0
	v_add_f32_e32 v24, v24, v14
	s_wait_alu 0xfffe
	s_or_b32 exec_lo, exec_lo, s0
	s_and_saveexec_b32 s0, vcc_lo
	s_cbranch_execz .LBB223_108
.LBB223_165:
	ds_load_b32 v14, v11 offset:704
	s_wait_dscnt 0x0
	v_add_f32_e32 v25, v25, v14
	s_wait_alu 0xfffe
	s_or_b32 exec_lo, exec_lo, s0
	s_and_saveexec_b32 s0, vcc_lo
	s_cbranch_execnz .LBB223_109
	s_branch .LBB223_110
.LBB223_166:
	ds_load_b32 v27, v11
	s_wait_dscnt 0x0
	v_add_f32_e32 v1, v1, v27
	s_wait_alu 0xfffe
	s_or_b32 exec_lo, exec_lo, s0
	s_and_saveexec_b32 s0, vcc_lo
	s_cbranch_execz .LBB223_116
.LBB223_167:
	ds_load_b32 v27, v11 offset:32
	s_wait_dscnt 0x0
	v_add_f32_e32 v2, v2, v27
	s_wait_alu 0xfffe
	s_or_b32 exec_lo, exec_lo, s0
	s_and_saveexec_b32 s0, vcc_lo
	s_cbranch_execz .LBB223_117
.LBB223_168:
	ds_load_b32 v27, v11 offset:64
	s_wait_dscnt 0x0
	v_add_f32_e32 v3, v3, v27
	s_wait_alu 0xfffe
	s_or_b32 exec_lo, exec_lo, s0
	s_and_saveexec_b32 s0, vcc_lo
	s_cbranch_execz .LBB223_118
.LBB223_169:
	ds_load_b32 v27, v11 offset:96
	s_wait_dscnt 0x0
	v_add_f32_e32 v4, v4, v27
	s_wait_alu 0xfffe
	s_or_b32 exec_lo, exec_lo, s0
	s_and_saveexec_b32 s0, vcc_lo
	s_cbranch_execz .LBB223_119
.LBB223_170:
	ds_load_b32 v27, v11 offset:128
	s_wait_dscnt 0x0
	v_add_f32_e32 v5, v5, v27
	s_wait_alu 0xfffe
	s_or_b32 exec_lo, exec_lo, s0
	s_and_saveexec_b32 s0, vcc_lo
	s_cbranch_execz .LBB223_120
.LBB223_171:
	ds_load_b32 v27, v11 offset:160
	s_wait_dscnt 0x0
	v_add_f32_e32 v6, v6, v27
	s_wait_alu 0xfffe
	s_or_b32 exec_lo, exec_lo, s0
	s_and_saveexec_b32 s0, vcc_lo
	s_cbranch_execz .LBB223_121
.LBB223_172:
	ds_load_b32 v27, v11 offset:192
	s_wait_dscnt 0x0
	v_add_f32_e32 v7, v7, v27
	s_wait_alu 0xfffe
	s_or_b32 exec_lo, exec_lo, s0
	s_and_saveexec_b32 s0, vcc_lo
	s_cbranch_execz .LBB223_122
.LBB223_173:
	ds_load_b32 v27, v11 offset:224
	s_wait_dscnt 0x0
	v_add_f32_e32 v8, v8, v27
	s_wait_alu 0xfffe
	s_or_b32 exec_lo, exec_lo, s0
	s_and_saveexec_b32 s0, vcc_lo
	s_cbranch_execz .LBB223_123
.LBB223_174:
	ds_load_b32 v27, v11 offset:256
	s_wait_dscnt 0x0
	v_add_f32_e32 v9, v9, v27
	s_wait_alu 0xfffe
	s_or_b32 exec_lo, exec_lo, s0
	s_and_saveexec_b32 s0, vcc_lo
	s_cbranch_execz .LBB223_124
.LBB223_175:
	ds_load_b32 v27, v11 offset:288
	s_wait_dscnt 0x0
	v_add_f32_e32 v10, v10, v27
	s_wait_alu 0xfffe
	s_or_b32 exec_lo, exec_lo, s0
	s_and_saveexec_b32 s0, vcc_lo
	s_cbranch_execz .LBB223_125
.LBB223_176:
	ds_load_b32 v27, v11 offset:320
	s_wait_dscnt 0x0
	v_add_f32_e32 v12, v12, v27
	s_wait_alu 0xfffe
	s_or_b32 exec_lo, exec_lo, s0
	s_and_saveexec_b32 s0, vcc_lo
	s_cbranch_execz .LBB223_126
.LBB223_177:
	ds_load_b32 v27, v11 offset:352
	s_wait_dscnt 0x0
	v_add_f32_e32 v13, v13, v27
	s_wait_alu 0xfffe
	s_or_b32 exec_lo, exec_lo, s0
	s_and_saveexec_b32 s0, vcc_lo
	s_cbranch_execz .LBB223_127
.LBB223_178:
	ds_load_b32 v27, v11 offset:384
	s_wait_dscnt 0x0
	v_add_f32_e32 v15, v15, v27
	s_wait_alu 0xfffe
	s_or_b32 exec_lo, exec_lo, s0
	s_and_saveexec_b32 s0, vcc_lo
	s_cbranch_execz .LBB223_128
.LBB223_179:
	ds_load_b32 v27, v11 offset:416
	s_wait_dscnt 0x0
	v_add_f32_e32 v16, v16, v27
	s_wait_alu 0xfffe
	s_or_b32 exec_lo, exec_lo, s0
	s_and_saveexec_b32 s0, vcc_lo
	s_cbranch_execz .LBB223_129
.LBB223_180:
	ds_load_b32 v27, v11 offset:448
	s_wait_dscnt 0x0
	v_add_f32_e32 v17, v17, v27
	s_wait_alu 0xfffe
	s_or_b32 exec_lo, exec_lo, s0
	s_and_saveexec_b32 s0, vcc_lo
	s_cbranch_execz .LBB223_130
.LBB223_181:
	ds_load_b32 v27, v11 offset:480
	s_wait_dscnt 0x0
	v_add_f32_e32 v18, v18, v27
	s_wait_alu 0xfffe
	s_or_b32 exec_lo, exec_lo, s0
	s_and_saveexec_b32 s0, vcc_lo
	s_cbranch_execz .LBB223_131
.LBB223_182:
	ds_load_b32 v27, v11 offset:512
	s_wait_dscnt 0x0
	v_add_f32_e32 v19, v19, v27
	s_wait_alu 0xfffe
	s_or_b32 exec_lo, exec_lo, s0
	s_and_saveexec_b32 s0, vcc_lo
	s_cbranch_execz .LBB223_132
.LBB223_183:
	ds_load_b32 v27, v11 offset:544
	s_wait_dscnt 0x0
	v_add_f32_e32 v20, v20, v27
	s_wait_alu 0xfffe
	s_or_b32 exec_lo, exec_lo, s0
	s_and_saveexec_b32 s0, vcc_lo
	s_cbranch_execz .LBB223_133
.LBB223_184:
	ds_load_b32 v27, v11 offset:576
	s_wait_dscnt 0x0
	v_add_f32_e32 v21, v21, v27
	s_wait_alu 0xfffe
	s_or_b32 exec_lo, exec_lo, s0
	s_and_saveexec_b32 s0, vcc_lo
	s_cbranch_execz .LBB223_134
.LBB223_185:
	ds_load_b32 v27, v11 offset:608
	s_wait_dscnt 0x0
	v_add_f32_e32 v22, v22, v27
	s_wait_alu 0xfffe
	s_or_b32 exec_lo, exec_lo, s0
	s_and_saveexec_b32 s0, vcc_lo
	s_cbranch_execz .LBB223_135
.LBB223_186:
	ds_load_b32 v27, v11 offset:640
	s_wait_dscnt 0x0
	v_add_f32_e32 v23, v23, v27
	s_wait_alu 0xfffe
	s_or_b32 exec_lo, exec_lo, s0
	s_and_saveexec_b32 s0, vcc_lo
	s_cbranch_execz .LBB223_136
.LBB223_187:
	ds_load_b32 v27, v11 offset:672
	s_wait_dscnt 0x0
	v_add_f32_e32 v24, v24, v27
	s_wait_alu 0xfffe
	s_or_b32 exec_lo, exec_lo, s0
	s_and_saveexec_b32 s0, vcc_lo
	s_cbranch_execz .LBB223_137
.LBB223_188:
	ds_load_b32 v27, v11 offset:704
	s_wait_dscnt 0x0
	v_add_f32_e32 v25, v25, v27
	s_wait_alu 0xfffe
	s_or_b32 exec_lo, exec_lo, s0
	s_and_saveexec_b32 s0, vcc_lo
	s_cbranch_execnz .LBB223_138
	s_branch .LBB223_139
	.section	.rodata,"a",@progbits
	.p2align	6, 0x0
	.amdhsa_kernel _ZN4vllm25paged_attention_v2_kernelIfhLi192ELi16ELi128ELNS_18Fp8KVCacheDataTypeE1ELb0ELi512EEEvPfS2_PT_PKS3_PKT0_S9_ifPKiSB_iPKfiiiSD_SD_iiiii
		.amdhsa_group_segment_fixed_size 800
		.amdhsa_private_segment_fixed_size 0
		.amdhsa_kernarg_size 400
		.amdhsa_user_sgpr_count 2
		.amdhsa_user_sgpr_dispatch_ptr 0
		.amdhsa_user_sgpr_queue_ptr 0
		.amdhsa_user_sgpr_kernarg_segment_ptr 1
		.amdhsa_user_sgpr_dispatch_id 0
		.amdhsa_user_sgpr_private_segment_size 0
		.amdhsa_wavefront_size32 1
		.amdhsa_uses_dynamic_stack 0
		.amdhsa_enable_private_segment 0
		.amdhsa_system_sgpr_workgroup_id_x 1
		.amdhsa_system_sgpr_workgroup_id_y 1
		.amdhsa_system_sgpr_workgroup_id_z 1
		.amdhsa_system_sgpr_workgroup_info 0
		.amdhsa_system_vgpr_workitem_id 0
		.amdhsa_next_free_vgpr 168
		.amdhsa_next_free_sgpr 36
		.amdhsa_reserve_vcc 1
		.amdhsa_float_round_mode_32 0
		.amdhsa_float_round_mode_16_64 0
		.amdhsa_float_denorm_mode_32 3
		.amdhsa_float_denorm_mode_16_64 3
		.amdhsa_fp16_overflow 0
		.amdhsa_workgroup_processor_mode 1
		.amdhsa_memory_ordered 1
		.amdhsa_forward_progress 1
		.amdhsa_inst_pref_size 106
		.amdhsa_round_robin_scheduling 0
		.amdhsa_exception_fp_ieee_invalid_op 0
		.amdhsa_exception_fp_denorm_src 0
		.amdhsa_exception_fp_ieee_div_zero 0
		.amdhsa_exception_fp_ieee_overflow 0
		.amdhsa_exception_fp_ieee_underflow 0
		.amdhsa_exception_fp_ieee_inexact 0
		.amdhsa_exception_int_div_zero 0
	.end_amdhsa_kernel
	.section	.text._ZN4vllm25paged_attention_v2_kernelIfhLi192ELi16ELi128ELNS_18Fp8KVCacheDataTypeE1ELb0ELi512EEEvPfS2_PT_PKS3_PKT0_S9_ifPKiSB_iPKfiiiSD_SD_iiiii,"axG",@progbits,_ZN4vllm25paged_attention_v2_kernelIfhLi192ELi16ELi128ELNS_18Fp8KVCacheDataTypeE1ELb0ELi512EEEvPfS2_PT_PKS3_PKT0_S9_ifPKiSB_iPKfiiiSD_SD_iiiii,comdat
.Lfunc_end223:
	.size	_ZN4vllm25paged_attention_v2_kernelIfhLi192ELi16ELi128ELNS_18Fp8KVCacheDataTypeE1ELb0ELi512EEEvPfS2_PT_PKS3_PKT0_S9_ifPKiSB_iPKfiiiSD_SD_iiiii, .Lfunc_end223-_ZN4vllm25paged_attention_v2_kernelIfhLi192ELi16ELi128ELNS_18Fp8KVCacheDataTypeE1ELb0ELi512EEEvPfS2_PT_PKS3_PKT0_S9_ifPKiSB_iPKfiiiSD_SD_iiiii
                                        ; -- End function
	.set _ZN4vllm25paged_attention_v2_kernelIfhLi192ELi16ELi128ELNS_18Fp8KVCacheDataTypeE1ELb0ELi512EEEvPfS2_PT_PKS3_PKT0_S9_ifPKiSB_iPKfiiiSD_SD_iiiii.num_vgpr, 168
	.set _ZN4vllm25paged_attention_v2_kernelIfhLi192ELi16ELi128ELNS_18Fp8KVCacheDataTypeE1ELb0ELi512EEEvPfS2_PT_PKS3_PKT0_S9_ifPKiSB_iPKfiiiSD_SD_iiiii.num_agpr, 0
	.set _ZN4vllm25paged_attention_v2_kernelIfhLi192ELi16ELi128ELNS_18Fp8KVCacheDataTypeE1ELb0ELi512EEEvPfS2_PT_PKS3_PKT0_S9_ifPKiSB_iPKfiiiSD_SD_iiiii.numbered_sgpr, 36
	.set _ZN4vllm25paged_attention_v2_kernelIfhLi192ELi16ELi128ELNS_18Fp8KVCacheDataTypeE1ELb0ELi512EEEvPfS2_PT_PKS3_PKT0_S9_ifPKiSB_iPKfiiiSD_SD_iiiii.num_named_barrier, 0
	.set _ZN4vllm25paged_attention_v2_kernelIfhLi192ELi16ELi128ELNS_18Fp8KVCacheDataTypeE1ELb0ELi512EEEvPfS2_PT_PKS3_PKT0_S9_ifPKiSB_iPKfiiiSD_SD_iiiii.private_seg_size, 0
	.set _ZN4vllm25paged_attention_v2_kernelIfhLi192ELi16ELi128ELNS_18Fp8KVCacheDataTypeE1ELb0ELi512EEEvPfS2_PT_PKS3_PKT0_S9_ifPKiSB_iPKfiiiSD_SD_iiiii.uses_vcc, 1
	.set _ZN4vllm25paged_attention_v2_kernelIfhLi192ELi16ELi128ELNS_18Fp8KVCacheDataTypeE1ELb0ELi512EEEvPfS2_PT_PKS3_PKT0_S9_ifPKiSB_iPKfiiiSD_SD_iiiii.uses_flat_scratch, 0
	.set _ZN4vllm25paged_attention_v2_kernelIfhLi192ELi16ELi128ELNS_18Fp8KVCacheDataTypeE1ELb0ELi512EEEvPfS2_PT_PKS3_PKT0_S9_ifPKiSB_iPKfiiiSD_SD_iiiii.has_dyn_sized_stack, 0
	.set _ZN4vllm25paged_attention_v2_kernelIfhLi192ELi16ELi128ELNS_18Fp8KVCacheDataTypeE1ELb0ELi512EEEvPfS2_PT_PKS3_PKT0_S9_ifPKiSB_iPKfiiiSD_SD_iiiii.has_recursion, 0
	.set _ZN4vllm25paged_attention_v2_kernelIfhLi192ELi16ELi128ELNS_18Fp8KVCacheDataTypeE1ELb0ELi512EEEvPfS2_PT_PKS3_PKT0_S9_ifPKiSB_iPKfiiiSD_SD_iiiii.has_indirect_call, 0
	.section	.AMDGPU.csdata,"",@progbits
; Kernel info:
; codeLenInByte = 13532
; TotalNumSgprs: 38
; NumVgprs: 168
; ScratchSize: 0
; MemoryBound: 0
; FloatMode: 240
; IeeeMode: 1
; LDSByteSize: 800 bytes/workgroup (compile time only)
; SGPRBlocks: 0
; VGPRBlocks: 20
; NumSGPRsForWavesPerEU: 38
; NumVGPRsForWavesPerEU: 168
; Occupancy: 9
; WaveLimiterHint : 1
; COMPUTE_PGM_RSRC2:SCRATCH_EN: 0
; COMPUTE_PGM_RSRC2:USER_SGPR: 2
; COMPUTE_PGM_RSRC2:TRAP_HANDLER: 0
; COMPUTE_PGM_RSRC2:TGID_X_EN: 1
; COMPUTE_PGM_RSRC2:TGID_Y_EN: 1
; COMPUTE_PGM_RSRC2:TGID_Z_EN: 1
; COMPUTE_PGM_RSRC2:TIDIG_COMP_CNT: 0
	.section	.text._ZN4vllm25paged_attention_v2_kernelIfhLi256ELi16ELi128ELNS_18Fp8KVCacheDataTypeE1ELb0ELi512EEEvPfS2_PT_PKS3_PKT0_S9_ifPKiSB_iPKfiiiSD_SD_iiiii,"axG",@progbits,_ZN4vllm25paged_attention_v2_kernelIfhLi256ELi16ELi128ELNS_18Fp8KVCacheDataTypeE1ELb0ELi512EEEvPfS2_PT_PKS3_PKT0_S9_ifPKiSB_iPKfiiiSD_SD_iiiii,comdat
	.protected	_ZN4vllm25paged_attention_v2_kernelIfhLi256ELi16ELi128ELNS_18Fp8KVCacheDataTypeE1ELb0ELi512EEEvPfS2_PT_PKS3_PKT0_S9_ifPKiSB_iPKfiiiSD_SD_iiiii ; -- Begin function _ZN4vllm25paged_attention_v2_kernelIfhLi256ELi16ELi128ELNS_18Fp8KVCacheDataTypeE1ELb0ELi512EEEvPfS2_PT_PKS3_PKT0_S9_ifPKiSB_iPKfiiiSD_SD_iiiii
	.globl	_ZN4vllm25paged_attention_v2_kernelIfhLi256ELi16ELi128ELNS_18Fp8KVCacheDataTypeE1ELb0ELi512EEEvPfS2_PT_PKS3_PKT0_S9_ifPKiSB_iPKfiiiSD_SD_iiiii
	.p2align	8
	.type	_ZN4vllm25paged_attention_v2_kernelIfhLi256ELi16ELi128ELNS_18Fp8KVCacheDataTypeE1ELb0ELi512EEEvPfS2_PT_PKS3_PKT0_S9_ifPKiSB_iPKfiiiSD_SD_iiiii,@function
_ZN4vllm25paged_attention_v2_kernelIfhLi256ELi16ELi128ELNS_18Fp8KVCacheDataTypeE1ELb0ELi512EEEvPfS2_PT_PKS3_PKT0_S9_ifPKiSB_iPKfiiiSD_SD_iiiii: ; @_ZN4vllm25paged_attention_v2_kernelIfhLi256ELi16ELi128ELNS_18Fp8KVCacheDataTypeE1ELb0ELi512EEEvPfS2_PT_PKS3_PKT0_S9_ifPKiSB_iPKfiiiSD_SD_iiiii
; %bb.0:
	s_load_b64 s[2:3], s[0:1], 0x40
	s_and_b32 s15, ttmp7, 0xffff
	s_lshr_b32 s26, ttmp7, 16
	s_lshl_b32 s4, s15, 2
	s_lshl_b32 s28, s26, 9
	s_wait_kmcnt 0x0
	s_load_b32 s27, s[2:3], s4 offset:0x0
	s_wait_kmcnt 0x0
	s_cmp_ge_i32 s28, s27
	s_cbranch_scc1 .LBB224_174
; %bb.1:
	s_clause 0x1
	s_load_b32 s30, s[0:1], 0x90
	s_load_b64 s[8:9], s[0:1], 0x30
	s_wait_kmcnt 0x0
	s_abs_i32 s5, s30
	s_abs_i32 s2, s8
	s_delay_alu instid0(SALU_CYCLE_1) | instskip(SKIP_1) | instid1(SALU_CYCLE_2)
	s_cvt_f32_u32 s3, s2
	s_sub_co_i32 s4, 0, s2
	v_rcp_iflag_f32_e32 v1, s3
	s_delay_alu instid0(TRANS32_DEP_1) | instskip(SKIP_2) | instid1(SALU_CYCLE_2)
	v_readfirstlane_b32 s3, v1
	s_mul_f32 s3, s3, 0x4f7ffffe
	s_wait_alu 0xfffe
	s_cvt_u32_f32 s3, s3
	s_wait_alu 0xfffe
	s_delay_alu instid0(SALU_CYCLE_2) | instskip(NEXT) | instid1(SALU_CYCLE_1)
	s_mul_i32 s4, s4, s3
	s_mul_hi_u32 s4, s3, s4
	s_delay_alu instid0(SALU_CYCLE_1)
	s_add_co_i32 s3, s3, s4
	s_xor_b32 s4, s30, s8
	s_wait_alu 0xfffe
	s_mul_hi_u32 s3, s5, s3
	s_ashr_i32 s4, s4, 31
	s_wait_alu 0xfffe
	s_mul_i32 s6, s3, s2
	s_delay_alu instid0(SALU_CYCLE_1)
	s_sub_co_i32 s5, s5, s6
	s_add_co_i32 s6, s3, 1
	s_sub_co_i32 s7, s5, s2
	s_cmp_ge_u32 s5, s2
	s_cselect_b32 s3, s6, s3
	s_cselect_b32 s5, s7, s5
	s_wait_alu 0xfffe
	s_add_co_i32 s6, s3, 1
	s_cmp_ge_u32 s5, s2
	s_cselect_b32 s2, s6, s3
	s_load_b64 s[6:7], s[0:1], 0x50
	s_xor_b32 s2, s2, s4
	s_mov_b32 s3, 0
	s_wait_alu 0xfffe
	s_sub_co_i32 s11, s2, s4
	s_mov_b32 s8, s3
	s_abs_i32 s10, s11
	s_delay_alu instid0(SALU_CYCLE_1) | instskip(SKIP_1) | instid1(SALU_CYCLE_2)
	s_cvt_f32_u32 s2, s10
	s_wait_alu 0xfffe
	v_rcp_iflag_f32_e32 v1, s2
	s_delay_alu instid0(TRANS32_DEP_1) | instskip(SKIP_2) | instid1(SALU_CYCLE_2)
	v_readfirstlane_b32 s2, v1
	s_mul_f32 s2, s2, 0x4f7ffffe
	s_wait_alu 0xfffe
	s_cvt_u32_f32 s4, s2
	s_sub_co_i32 s2, 0, s10
	s_wait_alu 0xfffe
	s_delay_alu instid0(SALU_CYCLE_1)
	s_mul_i32 s2, s2, s4
	s_wait_alu 0xfffe
	s_mul_hi_u32 s5, s4, s2
	s_abs_i32 s2, ttmp9
	s_add_co_i32 s4, s4, s5
	s_mov_b32 s5, s3
	s_wait_kmcnt 0x0
	s_cmp_eq_u64 s[6:7], 0
	s_cbranch_scc1 .LBB224_3
; %bb.2:
	s_mov_b32 s12, ttmp9
	s_ashr_i32 s13, ttmp9, 31
	s_delay_alu instid0(SALU_CYCLE_1) | instskip(NEXT) | instid1(SALU_CYCLE_1)
	s_lshl_b64 s[12:13], s[12:13], 2
	s_add_nc_u64 s[6:7], s[6:7], s[12:13]
	s_load_b32 s8, s[6:7], 0x0
.LBB224_3:
	s_load_b96 s[12:14], s[0:1], 0x58
	v_and_b32_e32 v1, 1, v0
	v_lshlrev_b32_e32 v135, 2, v0
	s_mul_u64 s[4:5], s[2:3], s[4:5]
	s_ashr_i32 s3, ttmp9, 31
	s_ashr_i32 s4, s11, 31
	s_lshl_b32 s16, ttmp9, 8
	s_mov_b32 s6, exec_lo
	v_cmpx_gt_u32_e32 0x80, v0
	s_cbranch_execz .LBB224_5
; %bb.4:
	s_load_b64 s[18:19], s[0:1], 0x18
	s_wait_kmcnt 0x0
	s_mul_i32 s20, s12, s15
	s_ashr_i32 s17, s16, 31
	s_ashr_i32 s21, s20, 31
	v_lshlrev_b32_e32 v2, 3, v0
	s_lshl_b64 s[20:21], s[20:21], 2
	v_and_b32_e32 v4, 0xff8, v135
	s_delay_alu instid0(VALU_DEP_1) | instskip(SKIP_2) | instid1(SALU_CYCLE_1)
	v_lshl_add_u32 v4, v1, 9, v4
	s_add_nc_u64 s[18:19], s[18:19], s[20:21]
	s_lshl_b64 s[20:21], s[16:17], 2
	s_add_nc_u64 s[18:19], s[18:19], s[20:21]
	global_load_b64 v[2:3], v2, s[18:19]
	s_wait_loadcnt 0x0
	ds_store_b64 v4, v[2:3]
.LBB224_5:
	s_or_b32 exec_lo, exec_lo, s6
	s_add_co_i32 s6, s27, 15
	s_wait_alu 0xfffe
	s_xor_b32 s3, s3, s4
	s_ashr_i32 s7, s6, 31
	s_lshl_b32 s31, s26, 5
	s_lshr_b32 s4, s7, 28
	s_mul_i32 s7, s5, s10
	s_add_co_i32 s6, s6, s4
	s_add_co_i32 s4, s31, 32
	s_ashr_i32 s29, s6, 4
	s_load_b32 s6, s[0:1], 0x48
	s_sub_co_i32 s2, s2, s7
	s_min_i32 s17, s4, s29
	s_add_co_i32 s4, s5, 1
	s_wait_alu 0xfffe
	s_sub_co_i32 s7, s2, s10
	s_cmp_ge_u32 s2, s10
	v_lshrrev_b32_e32 v133, 5, v0
	s_cselect_b32 s4, s4, s5
	s_cselect_b32 s2, s7, s2
	s_add_co_i32 s5, s4, 1
	s_wait_alu 0xfffe
	s_cmp_ge_u32 s2, s10
	v_or_b32_e32 v134, s31, v133
	s_cselect_b32 s2, s5, s4
	v_mbcnt_lo_u32_b32 v137, -1, 0
	s_wait_alu 0xfffe
	s_xor_b32 s2, s2, s3
	s_mov_b32 s4, exec_lo
	s_wait_alu 0xfffe
	s_sub_co_i32 s3, s2, s3
	v_cmp_gt_i32_e64 s2, s17, v134
	s_wait_dscnt 0x0
	s_barrier_signal -1
	s_wait_kmcnt 0x0
	s_mul_i32 s18, s6, s15
	s_barrier_wait -1
	s_ashr_i32 s19, s18, 31
	global_inv scope:SCOPE_SE
                                        ; implicit-def: $vgpr138
                                        ; implicit-def: $vgpr139
	v_cmpx_le_i32_e64 s17, v134
	s_xor_b32 s4, exec_lo, s4
; %bb.6:
	v_dual_mov_b32 v138, 0 :: v_dual_mov_b32 v139, 32
	v_mbcnt_lo_u32_b32 v137, -1, 0
                                        ; implicit-def: $vgpr1
; %bb.7:
	s_or_saveexec_b32 s10, s4
	s_clause 0x2
	s_load_b32 s12, s[0:1], 0x98
	s_load_b64 s[20:21], s[0:1], 0x38
	s_load_b128 s[4:7], s[0:1], 0x68
	v_dual_mov_b32 v141, 0xff7fffff :: v_dual_lshlrev_b32 v136, 2, v134
	s_mul_i32 s22, s3, s14
	s_xor_b32 exec_lo, exec_lo, s10
	s_cbranch_execz .LBB224_13
; %bb.8:
	s_load_b64 s[24:25], s[0:1], 0x20
	v_dual_mov_b32 v139, 32 :: v_dual_lshlrev_b32 v2, 9, v1
	s_wait_kmcnt 0x0
	s_load_b32 s14, s[4:5], 0x0
	v_dual_mov_b32 v145, v0 :: v_dual_mov_b32 v138, 0
	ds_load_b128 v[148:151], v2
	ds_load_b128 v[152:155], v2 offset:16
	ds_load_b128 v[156:159], v2 offset:32
	;; [unrolled: 1-line block ×31, first 2 shown]
	v_bfe_u32 v0, v0, 1, 4
	v_xor_b32_e32 v4, 1, v137
	s_ashr_i32 s23, s22, 31
	v_mov_b32_e32 v144, v134
	s_cmp_neq_f32 s8, 0
	v_lshlrev_b32_e32 v5, 4, v0
	v_cmp_gt_i32_e32 vcc_lo, 32, v4
	v_lshlrev_b32_e32 v3, 1, v1
	s_add_nc_u64 s[4:5], s[24:25], s[22:23]
	v_mov_b32_e32 v141, 0xff7fffff
	v_add_co_u32 v5, s3, s4, v5
	s_wait_alu 0xf1ff
	v_add_co_ci_u32_e64 v6, null, s5, 0, s3
	v_cndmask_b32_e32 v4, v137, v4, vcc_lo
	v_cmp_eq_u32_e32 vcc_lo, 0, v1
	v_lshlrev_b32_e32 v1, 2, v0
	v_add_co_u32 v129, s4, v5, v3
	s_cselect_b32 s3, -1, 0
	s_wait_alu 0xf1ff
	v_add_co_ci_u32_e64 v130, null, 0, v6, s4
	s_lshl_b64 s[4:5], s[18:19], 2
	v_lshlrev_b32_e32 v140, 2, v4
	v_lshlrev_b32_e32 v4, 4, v133
	v_lshl_or_b32 v1, v133, 6, v1
	s_wait_alu 0xfffe
	s_add_nc_u64 s[4:5], s[20:21], s[4:5]
	s_mov_b32 s11, s13
	s_wait_alu 0xfffe
	v_add_co_u32 v131, s4, s4, v136
	v_add3_u32 v142, s28, v4, v0
	v_add_nc_u32_e32 v143, 0x420, v1
	s_wait_alu 0xf1ff
	v_add_co_ci_u32_e64 v132, null, s5, 0, s4
	s_mov_b32 s23, 0
	s_wait_kmcnt 0x0
	s_mov_b32 s24, s14
	s_sub_co_i32 s25, 1, s27
	s_branch .LBB224_10
.LBB224_9:                              ;   in Loop: Header=BB224_10 Depth=1
	s_wait_alu 0xfffe
	s_or_b32 exec_lo, exec_lo, s5
	v_add_nc_u32_e32 v144, 4, v144
	v_add_co_u32 v131, s5, v131, 16
	v_add_nc_u32_e32 v142, 64, v142
	v_add_nc_u32_e32 v143, 0x100, v143
	s_delay_alu instid0(VALU_DEP_4) | instskip(SKIP_3) | instid1(SALU_CYCLE_1)
	v_cmp_le_i32_e64 s4, s17, v144
	s_wait_alu 0xf1ff
	v_add_co_ci_u32_e64 v132, null, 0, v132, s5
	s_or_b32 s23, s4, s23
	s_and_not1_b32 exec_lo, exec_lo, s23
	s_cbranch_execz .LBB224_12
.LBB224_10:                             ; =>This Inner Loop Header: Depth=1
	global_load_b32 v0, v[131:132], off
	s_wait_loadcnt 0x0
	v_mad_co_i64_i32 v[146:147], null, v0, s11, v[129:130]
	s_clause 0x1f
	global_load_u16 v36, v[146:147], off
	global_load_u16 v37, v[146:147], off offset:4
	global_load_u16 v38, v[146:147], off offset:8
	;; [unrolled: 1-line block ×31, first 2 shown]
	s_clause 0x5
	global_load_u16 v7, v[146:147], off offset:2048
	global_load_u16 v6, v[146:147], off offset:2052
	global_load_u16 v5, v[146:147], off offset:2056
	global_load_u16 v4, v[146:147], off offset:2060
	global_load_u16 v3, v[146:147], off offset:2304
	global_load_u16 v2, v[146:147], off offset:2308
	s_wait_dscnt 0x0
	s_clause 0x1
	global_load_u16 v1, v[146:147], off offset:2312
	global_load_u16 v39, v[146:147], off offset:2316
	s_wait_loadcnt 0x0
	scratch_store_b32 off, v39, off offset:96 ; 4-byte Folded Spill
	global_load_u16 v39, v[146:147], off offset:2560
	s_wait_loadcnt 0x0
	scratch_store_b32 off, v39, off offset:92 ; 4-byte Folded Spill
	global_load_u16 v39, v[146:147], off offset:2564
	s_wait_loadcnt 0x0
	scratch_store_b32 off, v39, off offset:88 ; 4-byte Folded Spill
	global_load_u16 v39, v[146:147], off offset:2568
	s_wait_loadcnt 0x0
	scratch_store_b32 off, v39, off offset:84 ; 4-byte Folded Spill
	global_load_u16 v39, v[146:147], off offset:2572
	s_wait_loadcnt 0x0
	scratch_store_b32 off, v39, off offset:80 ; 4-byte Folded Spill
	global_load_u16 v39, v[146:147], off offset:2816
	s_wait_loadcnt 0x0
	scratch_store_b32 off, v39, off offset:76 ; 4-byte Folded Spill
	global_load_u16 v39, v[146:147], off offset:2820
	s_wait_loadcnt 0x0
	scratch_store_b32 off, v39, off offset:72 ; 4-byte Folded Spill
	global_load_u16 v39, v[146:147], off offset:2824
	s_wait_loadcnt 0x0
	scratch_store_b32 off, v39, off offset:68 ; 4-byte Folded Spill
	global_load_u16 v39, v[146:147], off offset:2828
	s_wait_loadcnt 0x0
	scratch_store_b32 off, v39, off offset:64 ; 4-byte Folded Spill
	global_load_u16 v39, v[146:147], off offset:3072
	s_wait_loadcnt 0x0
	scratch_store_b32 off, v39, off offset:60 ; 4-byte Folded Spill
	global_load_u16 v39, v[146:147], off offset:3076
	s_wait_loadcnt 0x0
	scratch_store_b32 off, v39, off offset:56 ; 4-byte Folded Spill
	global_load_u16 v39, v[146:147], off offset:3080
	s_wait_loadcnt 0x0
	scratch_store_b32 off, v39, off offset:52 ; 4-byte Folded Spill
	global_load_u16 v39, v[146:147], off offset:3084
	s_wait_loadcnt 0x0
	scratch_store_b32 off, v39, off offset:48 ; 4-byte Folded Spill
	global_load_u16 v39, v[146:147], off offset:3328
	s_wait_loadcnt 0x0
	scratch_store_b32 off, v39, off offset:44 ; 4-byte Folded Spill
	global_load_u16 v39, v[146:147], off offset:3332
	s_wait_loadcnt 0x0
	scratch_store_b32 off, v39, off offset:40 ; 4-byte Folded Spill
	global_load_u16 v39, v[146:147], off offset:3336
	s_wait_loadcnt 0x0
	scratch_store_b32 off, v39, off offset:36 ; 4-byte Folded Spill
	global_load_u16 v39, v[146:147], off offset:3340
	s_wait_loadcnt 0x0
	scratch_store_b32 off, v39, off offset:32 ; 4-byte Folded Spill
	global_load_u16 v39, v[146:147], off offset:3584
	s_wait_loadcnt 0x0
	scratch_store_b32 off, v39, off offset:28 ; 4-byte Folded Spill
	global_load_u16 v39, v[146:147], off offset:3588
	s_wait_loadcnt 0x0
	scratch_store_b32 off, v39, off offset:24 ; 4-byte Folded Spill
	global_load_u16 v39, v[146:147], off offset:3592
	s_wait_loadcnt 0x0
	scratch_store_b32 off, v39, off offset:20 ; 4-byte Folded Spill
	global_load_u16 v39, v[146:147], off offset:3596
	s_wait_loadcnt 0x0
	scratch_store_b32 off, v39, off offset:16 ; 4-byte Folded Spill
	global_load_u16 v39, v[146:147], off offset:3840
	s_wait_loadcnt 0x0
	scratch_store_b32 off, v39, off offset:12 ; 4-byte Folded Spill
	global_load_u16 v39, v[146:147], off offset:3844
	s_wait_loadcnt 0x0
	scratch_store_b32 off, v39, off offset:8 ; 4-byte Folded Spill
	global_load_u16 v39, v[146:147], off offset:3848
	s_wait_loadcnt 0x0
	scratch_store_b32 off, v39, off offset:4 ; 4-byte Folded Spill
	global_load_u16 v39, v[146:147], off offset:3852
	v_cvt_pk_f32_fp8_e32 v[146:147], v36
	s_delay_alu instid0(VALU_DEP_1) | instskip(SKIP_4) | instid1(VALU_DEP_1)
	v_mul_f32_e32 v36, s24, v147
	s_wait_loadcnt 0x0
	scratch_store_b32 off, v39, off         ; 4-byte Folded Spill
	v_mul_f32_e32 v39, s14, v146
	v_cvt_pk_f32_fp8_e32 v[146:147], v37
	v_dual_mul_f32 v37, s24, v147 :: v_dual_mul_f32 v40, s14, v146
	v_cvt_pk_f32_fp8_e32 v[146:147], v38
	s_wait_dscnt 0x1f
	s_delay_alu instid0(VALU_DEP_1) | instskip(NEXT) | instid1(VALU_DEP_1)
	v_dual_mul_f32 v38, s24, v147 :: v_dual_mul_f32 v147, v151, v37
	v_dual_mul_f32 v188, s14, v146 :: v_dual_fmac_f32 v147, v149, v36
	v_cvt_pk_f32_fp8_e32 v[35:36], v35
	s_wait_dscnt 0x1e
	s_delay_alu instid0(VALU_DEP_2) | instskip(NEXT) | instid1(VALU_DEP_2)
	v_dual_mul_f32 v146, v150, v40 :: v_dual_fmac_f32 v147, v153, v38
	v_mul_f32_e32 v37, s14, v35
	s_delay_alu instid0(VALU_DEP_2) | instskip(SKIP_1) | instid1(VALU_DEP_1)
	v_fmac_f32_e32 v146, v148, v39
	v_cvt_pk_f32_fp8_e32 v[34:35], v34
	v_dual_mul_f32 v36, s24, v36 :: v_dual_mul_f32 v35, s24, v35
	s_delay_alu instid0(VALU_DEP_1) | instskip(SKIP_2) | instid1(VALU_DEP_2)
	v_dual_mul_f32 v38, s14, v34 :: v_dual_fmac_f32 v147, v155, v36
	v_cvt_pk_f32_fp8_e32 v[33:34], v33
	s_wait_dscnt 0x1d
	v_dual_fmac_f32 v146, v152, v188 :: v_dual_fmac_f32 v147, v157, v35
	s_delay_alu instid0(VALU_DEP_2) | instskip(SKIP_2) | instid1(VALU_DEP_2)
	v_mul_f32_e32 v36, s14, v33
	v_cvt_pk_f32_fp8_e32 v[32:33], v32
	v_mul_f32_e32 v34, s24, v34
	v_dual_fmac_f32 v146, v154, v37 :: v_dual_mul_f32 v35, s14, v32
	s_delay_alu instid0(VALU_DEP_3) | instskip(NEXT) | instid1(VALU_DEP_3)
	v_mul_f32_e32 v33, s24, v33
	v_fmac_f32_e32 v147, v159, v34
	v_cvt_pk_f32_fp8_e32 v[31:32], v31
	s_wait_dscnt 0x1c
	s_delay_alu instid0(VALU_DEP_2) | instskip(NEXT) | instid1(VALU_DEP_2)
	v_dual_fmac_f32 v146, v156, v38 :: v_dual_fmac_f32 v147, v161, v33
	v_mul_f32_e32 v34, s14, v31
	v_cvt_pk_f32_fp8_e32 v[30:31], v30
	s_delay_alu instid0(VALU_DEP_3) | instskip(NEXT) | instid1(VALU_DEP_2)
	v_fmac_f32_e32 v146, v158, v36
	v_dual_mul_f32 v32, s24, v32 :: v_dual_mul_f32 v33, s14, v30
	v_cvt_pk_f32_fp8_e32 v[29:30], v29
	s_delay_alu instid0(VALU_DEP_4) | instskip(NEXT) | instid1(VALU_DEP_2)
	v_mul_f32_e32 v31, s24, v31
	v_dual_fmac_f32 v147, v163, v32 :: v_dual_mul_f32 v32, s14, v29
	v_cvt_pk_f32_fp8_e32 v[28:29], v28
	v_fmac_f32_e32 v146, v160, v35
	s_wait_dscnt 0x1b
	s_delay_alu instid0(VALU_DEP_3) | instskip(NEXT) | instid1(VALU_DEP_2)
	v_dual_mul_f32 v30, s24, v30 :: v_dual_fmac_f32 v147, v165, v31
	v_dual_mul_f32 v29, s24, v29 :: v_dual_fmac_f32 v146, v162, v34
	v_mul_f32_e32 v31, s14, v28
	v_cvt_pk_f32_fp8_e32 v[27:28], v27
	s_delay_alu instid0(VALU_DEP_1) | instskip(SKIP_3) | instid1(VALU_DEP_3)
	v_dual_fmac_f32 v147, v167, v30 :: v_dual_mul_f32 v30, s14, v27
	v_cvt_pk_f32_fp8_e32 v[26:27], v26
	v_fmac_f32_e32 v146, v164, v33
	s_wait_dscnt 0x1a
	v_dual_mul_f32 v28, s24, v28 :: v_dual_fmac_f32 v147, v169, v29
	s_delay_alu instid0(VALU_DEP_2) | instskip(SKIP_2) | instid1(VALU_DEP_1)
	v_dual_mul_f32 v27, s24, v27 :: v_dual_fmac_f32 v146, v166, v32
	v_mul_f32_e32 v29, s14, v26
	v_cvt_pk_f32_fp8_e32 v[25:26], v25
	v_dual_fmac_f32 v147, v171, v28 :: v_dual_mul_f32 v28, s14, v25
	v_cvt_pk_f32_fp8_e32 v[24:25], v24
	v_fmac_f32_e32 v146, v168, v31
	s_wait_dscnt 0x19
	s_delay_alu instid0(VALU_DEP_3) | instskip(NEXT) | instid1(VALU_DEP_2)
	v_dual_mul_f32 v26, s24, v26 :: v_dual_fmac_f32 v147, v173, v27
	v_dual_mul_f32 v25, s24, v25 :: v_dual_fmac_f32 v146, v170, v30
	v_mul_f32_e32 v27, s14, v24
	v_cvt_pk_f32_fp8_e32 v[23:24], v23
	s_delay_alu instid0(VALU_DEP_1) | instskip(SKIP_3) | instid1(VALU_DEP_3)
	v_dual_fmac_f32 v147, v175, v26 :: v_dual_mul_f32 v26, s14, v23
	v_cvt_pk_f32_fp8_e32 v[22:23], v22
	v_fmac_f32_e32 v146, v172, v29
	s_wait_dscnt 0x18
	v_dual_mul_f32 v24, s24, v24 :: v_dual_fmac_f32 v147, v177, v25
	s_delay_alu instid0(VALU_DEP_2) | instskip(SKIP_2) | instid1(VALU_DEP_1)
	v_dual_mul_f32 v23, s24, v23 :: v_dual_fmac_f32 v146, v174, v28
	v_mul_f32_e32 v25, s14, v22
	v_cvt_pk_f32_fp8_e32 v[21:22], v21
	v_dual_fmac_f32 v147, v179, v24 :: v_dual_mul_f32 v24, s14, v21
	v_cvt_pk_f32_fp8_e32 v[20:21], v20
	v_fmac_f32_e32 v146, v176, v27
	s_wait_dscnt 0x17
	s_delay_alu instid0(VALU_DEP_3) | instskip(NEXT) | instid1(VALU_DEP_2)
	v_dual_mul_f32 v22, s24, v22 :: v_dual_fmac_f32 v147, v181, v23
	v_dual_mul_f32 v21, s24, v21 :: v_dual_fmac_f32 v146, v178, v26
	v_mul_f32_e32 v23, s14, v20
	v_cvt_pk_f32_fp8_e32 v[19:20], v19
	s_delay_alu instid0(VALU_DEP_1) | instskip(SKIP_3) | instid1(VALU_DEP_3)
	v_dual_fmac_f32 v147, v183, v22 :: v_dual_mul_f32 v22, s14, v19
	v_cvt_pk_f32_fp8_e32 v[18:19], v18
	v_fmac_f32_e32 v146, v180, v25
	s_wait_dscnt 0x16
	v_dual_mul_f32 v20, s24, v20 :: v_dual_fmac_f32 v147, v185, v21
	s_delay_alu instid0(VALU_DEP_2) | instskip(SKIP_1) | instid1(VALU_DEP_3)
	v_dual_mul_f32 v19, s24, v19 :: v_dual_fmac_f32 v146, v182, v24
	v_mul_f32_e32 v21, s14, v18
	v_fmac_f32_e32 v147, v187, v20
	v_cvt_pk_f32_fp8_e32 v[17:18], v17
	s_wait_dscnt 0x15
	s_delay_alu instid0(VALU_DEP_1) | instskip(NEXT) | instid1(VALU_DEP_2)
	v_dual_fmac_f32 v147, v42, v19 :: v_dual_mul_f32 v18, s24, v18
	v_mul_f32_e32 v20, s14, v17
	v_cvt_pk_f32_fp8_e32 v[16:17], v16
	v_fmac_f32_e32 v146, v184, v23
	s_delay_alu instid0(VALU_DEP_4) | instskip(NEXT) | instid1(VALU_DEP_2)
	v_fmac_f32_e32 v147, v44, v18
	v_dual_mul_f32 v17, s24, v17 :: v_dual_fmac_f32 v146, v186, v22
	s_delay_alu instid0(VALU_DEP_4) | instskip(SKIP_2) | instid1(VALU_DEP_1)
	v_mul_f32_e32 v19, s14, v16
	v_cvt_pk_f32_fp8_e32 v[15:16], v15
	s_wait_dscnt 0x14
	v_dual_fmac_f32 v147, v46, v17 :: v_dual_mul_f32 v18, s14, v15
	v_cvt_pk_f32_fp8_e32 v[14:15], v14
	v_fmac_f32_e32 v146, v41, v21
	s_delay_alu instid0(VALU_DEP_2) | instskip(NEXT) | instid1(VALU_DEP_2)
	v_dual_mul_f32 v16, s24, v16 :: v_dual_mul_f32 v17, s14, v14
	v_dual_mul_f32 v15, s24, v15 :: v_dual_fmac_f32 v146, v43, v20
	v_cvt_pk_f32_fp8_e32 v[13:14], v13
	s_delay_alu instid0(VALU_DEP_1) | instskip(SKIP_1) | instid1(VALU_DEP_4)
	v_dual_fmac_f32 v147, v48, v16 :: v_dual_mul_f32 v16, s14, v13
	v_cvt_pk_f32_fp8_e32 v[12:13], v12
	v_fmac_f32_e32 v146, v45, v19
	s_wait_dscnt 0x13
	s_delay_alu instid0(VALU_DEP_3) | instskip(NEXT) | instid1(VALU_DEP_2)
	v_dual_mul_f32 v14, s24, v14 :: v_dual_fmac_f32 v147, v50, v15
	v_dual_mul_f32 v13, s24, v13 :: v_dual_fmac_f32 v146, v47, v18
	v_mul_f32_e32 v15, s14, v12
	v_cvt_pk_f32_fp8_e32 v[11:12], v11
	s_delay_alu instid0(VALU_DEP_1) | instskip(SKIP_3) | instid1(VALU_DEP_3)
	v_dual_fmac_f32 v147, v52, v14 :: v_dual_mul_f32 v14, s14, v11
	v_cvt_pk_f32_fp8_e32 v[10:11], v10
	v_fmac_f32_e32 v146, v49, v17
	s_wait_dscnt 0x12
	v_dual_mul_f32 v12, s24, v12 :: v_dual_fmac_f32 v147, v54, v13
	s_delay_alu instid0(VALU_DEP_2) | instskip(SKIP_1) | instid1(VALU_DEP_3)
	v_dual_mul_f32 v11, s24, v11 :: v_dual_fmac_f32 v146, v51, v16
	v_mul_f32_e32 v13, s14, v10
	v_fmac_f32_e32 v147, v56, v12
	v_cvt_pk_f32_fp8_e32 v[9:10], v9
	s_wait_dscnt 0x11
	s_delay_alu instid0(VALU_DEP_1) | instskip(NEXT) | instid1(VALU_DEP_1)
	v_dual_fmac_f32 v147, v58, v11 :: v_dual_mul_f32 v12, s24, v10
	v_dual_fmac_f32 v146, v53, v15 :: v_dual_fmac_f32 v147, v60, v12
	s_delay_alu instid0(VALU_DEP_1) | instskip(SKIP_2) | instid1(VALU_DEP_1)
	v_fmac_f32_e32 v146, v55, v14
	v_mul_f32_e32 v14, s14, v9
	v_cvt_pk_f32_fp8_e32 v[9:10], v0
	v_mul_f32_e32 v0, s24, v10
	s_delay_alu instid0(VALU_DEP_2) | instskip(SKIP_2) | instid1(VALU_DEP_3)
	v_mul_f32_e32 v10, s14, v9
	v_cvt_pk_f32_fp8_e32 v[8:9], v8
	s_wait_dscnt 0x10
	v_fmac_f32_e32 v147, v62, v0
	s_delay_alu instid0(VALU_DEP_2) | instskip(NEXT) | instid1(VALU_DEP_3)
	v_mul_f32_e32 v9, s24, v9
	v_dual_fmac_f32 v146, v57, v13 :: v_dual_mul_f32 v11, s14, v8
	v_cvt_pk_f32_fp8_e32 v[7:8], v7
	s_delay_alu instid0(VALU_DEP_1) | instskip(NEXT) | instid1(VALU_DEP_2)
	v_dual_fmac_f32 v147, v64, v9 :: v_dual_mul_f32 v0, s24, v8
	v_mul_f32_e32 v8, s14, v7
	v_cvt_pk_f32_fp8_e32 v[6:7], v6
	s_delay_alu instid0(VALU_DEP_1) | instskip(NEXT) | instid1(VALU_DEP_2)
	v_mul_f32_e32 v7, s24, v7
	v_mul_f32_e32 v9, s14, v6
	s_wait_dscnt 0xf
	v_dual_fmac_f32 v146, v59, v14 :: v_dual_fmac_f32 v147, v66, v0
	v_cvt_pk_f32_fp8_e32 v[5:6], v5
	s_delay_alu instid0(VALU_DEP_2) | instskip(NEXT) | instid1(VALU_DEP_2)
	v_dual_fmac_f32 v146, v61, v10 :: v_dual_fmac_f32 v147, v68, v7
	v_mul_f32_e32 v0, s24, v6
	s_delay_alu instid0(VALU_DEP_3) | instskip(SKIP_2) | instid1(VALU_DEP_3)
	v_mul_f32_e32 v6, s14, v5
	v_cvt_pk_f32_fp8_e32 v[4:5], v4
	s_wait_dscnt 0xe
	v_dual_fmac_f32 v146, v63, v11 :: v_dual_fmac_f32 v147, v70, v0
	s_delay_alu instid0(VALU_DEP_2) | instskip(NEXT) | instid1(VALU_DEP_3)
	v_mul_f32_e32 v5, s24, v5
	v_mul_f32_e32 v7, s14, v4
	v_cvt_pk_f32_fp8_e32 v[3:4], v3
	s_delay_alu instid0(VALU_DEP_3) | instskip(NEXT) | instid1(VALU_DEP_2)
	v_dual_fmac_f32 v146, v65, v8 :: v_dual_fmac_f32 v147, v72, v5
	v_mul_f32_e32 v0, s24, v4
	s_delay_alu instid0(VALU_DEP_2) | instskip(NEXT) | instid1(VALU_DEP_4)
	v_fmac_f32_e32 v146, v67, v9
	v_mul_f32_e32 v4, s14, v3
	v_cvt_pk_f32_fp8_e32 v[2:3], v2
	s_wait_dscnt 0xd
	v_fmac_f32_e32 v147, v74, v0
	v_cvt_pk_f32_fp8_e32 v[0:1], v1
	s_delay_alu instid0(VALU_DEP_3) | instskip(NEXT) | instid1(VALU_DEP_2)
	v_dual_fmac_f32 v146, v69, v6 :: v_dual_mul_f32 v3, s24, v3
	v_dual_mul_f32 v2, s14, v2 :: v_dual_mul_f32 v5, s14, v0
	scratch_load_b32 v0, off, off offset:96 th:TH_LOAD_LU ; 4-byte Folded Reload
	v_fmac_f32_e32 v147, v76, v3
	v_fmac_f32_e32 v146, v71, v7
	s_delay_alu instid0(VALU_DEP_1) | instskip(SKIP_2) | instid1(VALU_DEP_1)
	v_fmac_f32_e32 v146, v73, v4
	v_mul_f32_e32 v4, s24, v1
	s_wait_dscnt 0xc
	v_dual_fmac_f32 v146, v75, v2 :: v_dual_fmac_f32 v147, v78, v4
	s_wait_loadcnt 0x0
	v_cvt_pk_f32_fp8_e32 v[0:1], v0
	s_delay_alu instid0(VALU_DEP_1) | instskip(SKIP_2) | instid1(VALU_DEP_1)
	v_mul_f32_e32 v3, s14, v0
	scratch_load_b32 v0, off, off offset:92 th:TH_LOAD_LU ; 4-byte Folded Reload
	v_mul_f32_e32 v2, s24, v1
	v_fmac_f32_e32 v147, v80, v2
	s_wait_loadcnt 0x0
	v_cvt_pk_f32_fp8_e32 v[0:1], v0
	s_delay_alu instid0(VALU_DEP_1) | instskip(SKIP_1) | instid1(VALU_DEP_1)
	v_mul_f32_e32 v4, s24, v1
	s_wait_dscnt 0xb
	v_dual_fmac_f32 v147, v82, v4 :: v_dual_fmac_f32 v146, v77, v5
	s_delay_alu instid0(VALU_DEP_3) | instskip(SKIP_3) | instid1(VALU_DEP_1)
	v_mul_f32_e32 v5, s14, v0
	scratch_load_b32 v0, off, off offset:88 th:TH_LOAD_LU ; 4-byte Folded Reload
	s_wait_loadcnt 0x0
	v_cvt_pk_f32_fp8_e32 v[0:1], v0
	v_mul_f32_e32 v2, s24, v1
	s_delay_alu instid0(VALU_DEP_1) | instskip(NEXT) | instid1(VALU_DEP_3)
	v_dual_fmac_f32 v147, v84, v2 :: v_dual_fmac_f32 v146, v79, v3
	v_mul_f32_e32 v3, s14, v0
	scratch_load_b32 v0, off, off offset:84 th:TH_LOAD_LU ; 4-byte Folded Reload
	s_wait_loadcnt 0x0
	v_cvt_pk_f32_fp8_e32 v[0:1], v0
	s_delay_alu instid0(VALU_DEP_1) | instskip(SKIP_1) | instid1(VALU_DEP_1)
	v_mul_f32_e32 v4, s24, v1
	s_wait_dscnt 0xa
	v_dual_fmac_f32 v147, v86, v4 :: v_dual_fmac_f32 v146, v81, v5
	s_delay_alu instid0(VALU_DEP_3) | instskip(SKIP_3) | instid1(VALU_DEP_1)
	v_mul_f32_e32 v5, s14, v0
	scratch_load_b32 v0, off, off offset:80 th:TH_LOAD_LU ; 4-byte Folded Reload
	s_wait_loadcnt 0x0
	v_cvt_pk_f32_fp8_e32 v[0:1], v0
	v_mul_f32_e32 v2, s24, v1
	s_delay_alu instid0(VALU_DEP_1) | instskip(NEXT) | instid1(VALU_DEP_3)
	v_dual_fmac_f32 v147, v88, v2 :: v_dual_fmac_f32 v146, v83, v3
	v_mul_f32_e32 v3, s14, v0
	scratch_load_b32 v0, off, off offset:76 th:TH_LOAD_LU ; 4-byte Folded Reload
	;; [unrolled: 16-line block ×11, first 2 shown]
	v_fmac_f32_e32 v146, v121, v5
	s_wait_loadcnt 0x0
	v_cvt_pk_f32_fp8_e32 v[0:1], v0
	s_delay_alu instid0(VALU_DEP_1) | instskip(SKIP_3) | instid1(VALU_DEP_1)
	v_mul_f32_e32 v5, s14, v0
	scratch_load_b32 v0, off, off th:TH_LOAD_LU ; 4-byte Folded Reload
	v_mul_f32_e32 v4, s24, v1
	s_wait_dscnt 0x0
	v_fmac_f32_e32 v147, v126, v4
	s_wait_loadcnt 0x0
	v_cvt_pk_f32_fp8_e32 v[0:1], v0
	s_delay_alu instid0(VALU_DEP_1) | instskip(NEXT) | instid1(VALU_DEP_1)
	v_dual_mul_f32 v1, s24, v1 :: v_dual_fmac_f32 v146, v123, v3
	v_dual_mul_f32 v0, s14, v0 :: v_dual_fmac_f32 v147, v128, v1
	s_delay_alu instid0(VALU_DEP_2) | instskip(NEXT) | instid1(VALU_DEP_1)
	v_fmac_f32_e32 v146, v125, v5
	v_fmac_f32_e32 v146, v127, v0
	s_delay_alu instid0(VALU_DEP_1)
	v_add_f32_e32 v0, v146, v147
	ds_bpermute_b32 v1, v140, v0
	s_and_saveexec_b32 s5, vcc_lo
	s_cbranch_execz .LBB224_9
; %bb.11:                               ;   in Loop: Header=BB224_10 Depth=1
	s_wait_dscnt 0x0
	v_add_f32_e32 v0, v0, v1
	v_add_nc_u32_e32 v2, s25, v142
	v_cmp_gt_i32_e64 s4, s27, v142
	s_delay_alu instid0(VALU_DEP_2) | instskip(NEXT) | instid1(VALU_DEP_1)
	v_cvt_f32_i32_e32 v2, v2
	v_mul_f32_e32 v2, s8, v2
	s_delay_alu instid0(VALU_DEP_1) | instskip(NEXT) | instid1(VALU_DEP_1)
	v_cndmask_b32_e64 v1, 0, v2, s3
	v_dual_max_num_f32 v2, v141, v141 :: v_dual_fmac_f32 v1, s9, v0
	s_delay_alu instid0(VALU_DEP_1) | instskip(SKIP_2) | instid1(VALU_DEP_2)
	v_max_num_f32_e32 v0, v2, v1
	s_wait_alu 0xf1ff
	v_cndmask_b32_e64 v1, 0, v1, s4
	v_cndmask_b32_e64 v141, v141, v0, s4
	ds_store_b32 v143, v1
	s_branch .LBB224_9
.LBB224_12:
	s_or_b32 exec_lo, exec_lo, s23
	v_mov_b32_e32 v0, v145
.LBB224_13:
	s_or_b32 exec_lo, exec_lo, s10
	s_wait_dscnt 0x0
	v_xor_b32_e32 v1, 16, v137
	v_xor_b32_e32 v3, 8, v137
	v_max_num_f32_e32 v5, v141, v141
	v_xor_b32_e32 v6, 2, v137
	s_load_b128 s[8:11], s[0:1], 0x0
	s_wait_kmcnt 0x0
	s_clause 0x1
	s_load_b64 s[4:5], s[0:1], 0x10
	s_load_b64 s[24:25], s[0:1], 0x28
	v_cmp_lt_i32_e32 vcc_lo, v1, v139
	v_and_b32_e32 v183, 31, v0
	s_wait_alu 0xfffd
	v_cndmask_b32_e32 v1, v137, v1, vcc_lo
	v_cmp_lt_i32_e32 vcc_lo, v3, v139
	s_wait_alu 0xfffd
	v_cndmask_b32_e32 v3, v137, v3, vcc_lo
	s_delay_alu instid0(VALU_DEP_1) | instskip(SKIP_4) | instid1(VALU_DEP_1)
	v_lshlrev_b32_e32 v4, 2, v3
	v_lshlrev_b32_e32 v2, 2, v1
	ds_bpermute_b32 v1, v2, v141
	s_wait_dscnt 0x0
	v_max_num_f32_e32 v1, v1, v1
	v_max_num_f32_e32 v1, v5, v1
	v_xor_b32_e32 v5, 4, v137
	ds_bpermute_b32 v3, v4, v1
	v_cmp_lt_i32_e32 vcc_lo, v5, v139
	s_wait_alu 0xfffd
	v_cndmask_b32_e32 v5, v137, v5, vcc_lo
	v_cmp_lt_i32_e32 vcc_lo, v6, v139
	s_wait_alu 0xfffd
	s_delay_alu instid0(VALU_DEP_2) | instskip(SKIP_1) | instid1(VALU_DEP_2)
	v_dual_cndmask_b32 v6, v137, v6 :: v_dual_lshlrev_b32 v5, 2, v5
	v_cmp_eq_u32_e32 vcc_lo, 0, v183
	v_lshlrev_b32_e32 v12, 2, v6
	s_wait_dscnt 0x0
	v_dual_max_num_f32 v3, v3, v3 :: v_dual_lshlrev_b32 v6, 2, v133
	s_delay_alu instid0(VALU_DEP_1) | instskip(SKIP_3) | instid1(VALU_DEP_1)
	v_max_num_f32_e32 v1, v1, v3
	ds_bpermute_b32 v3, v5, v1
	s_wait_dscnt 0x0
	v_max_num_f32_e32 v3, v3, v3
	v_max_num_f32_e32 v1, v1, v3
	ds_bpermute_b32 v3, v12, v1
	s_and_saveexec_b32 s0, vcc_lo
	s_cbranch_execz .LBB224_15
; %bb.14:
	s_wait_dscnt 0x0
	v_max_num_f32_e32 v3, v3, v3
	v_max_num_f32_e32 v1, v1, v1
	s_delay_alu instid0(VALU_DEP_1)
	v_max_num_f32_e32 v1, v1, v3
	ds_store_b32 v6, v1 offset:1024
.LBB224_15:
	s_or_b32 exec_lo, exec_lo, s0
	v_cmp_gt_u32_e64 s0, 4, v183
	v_mov_b32_e32 v1, 0xff7fffff
	v_lshlrev_b32_e32 v7, 2, v183
	s_wait_storecnt 0x0
	s_wait_loadcnt_dscnt 0x0
	s_barrier_signal -1
	s_barrier_wait -1
	global_inv scope:SCOPE_SE
	s_and_saveexec_b32 s1, s0
; %bb.16:
	ds_load_b32 v1, v7 offset:1024
; %bb.17:
	s_or_b32 exec_lo, exec_lo, s1
	s_wait_dscnt 0x0
	ds_bpermute_b32 v3, v12, v1
	v_xor_b32_e32 v8, 1, v137
	v_max_num_f32_e32 v1, v1, v1
	s_delay_alu instid0(VALU_DEP_2) | instskip(NEXT) | instid1(VALU_DEP_1)
	v_cmp_lt_i32_e64 s1, v8, v139
	v_cndmask_b32_e64 v8, v137, v8, s1
	s_sub_co_i32 s1, s17, s31
	s_wait_alu 0xfffe
	s_lshl_b32 s1, s1, 4
	s_delay_alu instid0(VALU_DEP_1)
	v_dual_mov_b32 v8, 0 :: v_dual_lshlrev_b32 v13, 2, v8
	s_wait_alu 0xfffe
	s_add_co_i32 s1, s1, s28
	s_wait_alu 0xfffe
	s_min_i32 s1, s1, s27
	s_wait_dscnt 0x0
	v_max_num_f32_e32 v3, v3, v3
	s_wait_alu 0xfffe
	s_sub_co_i32 s14, s1, s28
	s_wait_alu 0xfffe
	v_cmp_gt_i32_e64 s1, s14, v0
	v_max_num_f32_e32 v1, v1, v3
	ds_bpermute_b32 v3, v13, v1
	s_wait_dscnt 0x0
	v_max_num_f32_e32 v3, v3, v3
	s_delay_alu instid0(VALU_DEP_1)
	v_max_num_f32_e32 v1, v1, v3
	v_lshlrev_b32_e32 v3, 2, v138
	ds_bpermute_b32 v1, v3, v1
	v_lshl_add_u32 v3, v0, 2, 0x420
	s_and_saveexec_b32 s23, s1
	s_cbranch_execz .LBB224_21
; %bb.18:
	v_lshl_add_u32 v9, v0, 2, 0x420
	v_mov_b32_e32 v8, 0
	v_mov_b32_e32 v10, v0
	s_mov_b32 s31, 0
.LBB224_19:                             ; =>This Inner Loop Header: Depth=1
	ds_load_b32 v14, v9
	v_add_nc_u32_e32 v10, 0x80, v10
	s_delay_alu instid0(VALU_DEP_1) | instskip(SKIP_4) | instid1(VALU_DEP_1)
	v_cmp_le_i32_e64 s3, s14, v10
	s_wait_alu 0xfffe
	s_or_b32 s31, s3, s31
	s_wait_dscnt 0x0
	v_sub_f32_e32 v14, v14, v1
	v_mul_f32_e32 v14, 0x3fb8aa3b, v14
	s_delay_alu instid0(VALU_DEP_1)
	v_exp_f32_e32 v14, v14
	ds_store_b32 v9, v14
	v_dual_add_f32 v8, v8, v14 :: v_dual_add_nc_u32 v9, 0x200, v9
	s_wait_alu 0xfffe
	s_and_not1_b32 exec_lo, exec_lo, s31
	s_cbranch_execnz .LBB224_19
; %bb.20:
	s_or_b32 exec_lo, exec_lo, s31
.LBB224_21:
	s_delay_alu instid0(SALU_CYCLE_1)
	s_or_b32 exec_lo, exec_lo, s23
	ds_bpermute_b32 v2, v2, v8
	s_wait_dscnt 0x0
	v_add_f32_e32 v2, v8, v2
	ds_bpermute_b32 v4, v4, v2
	s_wait_dscnt 0x0
	v_add_f32_e32 v2, v2, v4
	;; [unrolled: 3-line block ×5, first 2 shown]
	s_and_saveexec_b32 s3, vcc_lo
; %bb.22:
	ds_store_b32 v6, v2 offset:1040
; %bb.23:
	s_wait_alu 0xfffe
	s_or_b32 exec_lo, exec_lo, s3
	s_wait_loadcnt_dscnt 0x0
	s_barrier_signal -1
	s_barrier_wait -1
	global_inv scope:SCOPE_SE
	s_and_saveexec_b32 s3, s0
; %bb.24:
	ds_load_b32 v2, v7 offset:1040
; %bb.25:
	s_wait_alu 0xfffe
	s_or_b32 exec_lo, exec_lo, s3
	s_wait_dscnt 0x0
	ds_bpermute_b32 v4, v12, v2
	s_wait_dscnt 0x0
	v_dual_add_f32 v2, v2, v4 :: v_dual_lshlrev_b32 v5, 2, v137
	ds_bpermute_b32 v4, v13, v2
	s_wait_dscnt 0x0
	v_add_f32_e32 v2, v2, v4
	v_and_b32_e32 v4, 0xffffff80, v5
	ds_bpermute_b32 v2, v4, v2
	s_and_saveexec_b32 s0, s1
	s_cbranch_execz .LBB224_28
; %bb.26:
	s_wait_dscnt 0x0
	v_add_f32_e32 v4, 0x358637bd, v2
	s_mov_b32 s1, 0
	s_delay_alu instid0(VALU_DEP_1) | instskip(SKIP_1) | instid1(VALU_DEP_2)
	v_div_scale_f32 v5, null, v4, v4, 1.0
	v_div_scale_f32 v8, vcc_lo, 1.0, v4, 1.0
	v_rcp_f32_e32 v6, v5
	s_delay_alu instid0(TRANS32_DEP_1) | instskip(NEXT) | instid1(VALU_DEP_1)
	v_fma_f32 v7, -v5, v6, 1.0
	v_fmac_f32_e32 v6, v7, v6
	s_delay_alu instid0(VALU_DEP_1) | instskip(NEXT) | instid1(VALU_DEP_1)
	v_mul_f32_e32 v7, v8, v6
	v_fma_f32 v9, -v5, v7, v8
	s_delay_alu instid0(VALU_DEP_1) | instskip(NEXT) | instid1(VALU_DEP_1)
	v_fmac_f32_e32 v7, v9, v6
	v_fma_f32 v5, -v5, v7, v8
	s_wait_alu 0xfffd
	s_delay_alu instid0(VALU_DEP_1) | instskip(NEXT) | instid1(VALU_DEP_1)
	v_div_fmas_f32 v5, v5, v6, v7
	v_div_fixup_f32 v4, v5, v4, 1.0
	v_mov_b32_e32 v5, v0
.LBB224_27:                             ; =>This Inner Loop Header: Depth=1
	ds_load_b32 v6, v3
	s_wait_dscnt 0x0
	v_dual_mul_f32 v6, v4, v6 :: v_dual_add_nc_u32 v5, 0x80, v5
	s_delay_alu instid0(VALU_DEP_1)
	v_cmp_le_i32_e32 vcc_lo, s14, v5
	ds_store_b32 v3, v6
	v_add_nc_u32_e32 v3, 0x200, v3
	s_wait_alu 0xfffe
	s_or_b32 s1, vcc_lo, s1
	s_wait_alu 0xfffe
	s_and_not1_b32 exec_lo, exec_lo, s1
	s_cbranch_execnz .LBB224_27
.LBB224_28:
	s_wait_alu 0xfffe
	s_or_b32 exec_lo, exec_lo, s0
	s_mul_i32 s0, s12, s15
	s_wait_loadcnt_dscnt 0x0
	s_wait_alu 0xfffe
	s_mul_i32 s14, s0, s30
	s_mov_b32 s0, exec_lo
	s_barrier_signal -1
	s_barrier_wait -1
	global_inv scope:SCOPE_SE
	v_cmpx_eq_u32_e32 0, v0
	s_cbranch_execz .LBB224_30
; %bb.29:
	s_wait_alu 0xfffe
	s_ashr_i32 s15, s14, 31
	s_mul_i32 s30, s12, ttmp9
	s_lshl_b32 s1, s26, 2
	s_wait_alu 0xfffe
	s_lshl_b64 s[34:35], s[14:15], 2
	s_ashr_i32 s31, s30, 31
	v_mov_b32_e32 v3, s1
	s_add_nc_u64 s[10:11], s[10:11], s[34:35]
	s_wait_alu 0xfffe
	s_lshl_b64 s[30:31], s[30:31], 2
	s_add_nc_u64 s[8:9], s[8:9], s[34:35]
	s_wait_alu 0xfffe
	s_add_nc_u64 s[10:11], s[10:11], s[30:31]
	s_add_nc_u64 s[8:9], s[8:9], s[30:31]
	s_clause 0x1
	global_store_b32 v3, v1, s[10:11]
	global_store_b32 v3, v2, s[8:9]
.LBB224_30:
	s_wait_alu 0xfffe
	s_or_b32 exec_lo, exec_lo, s0
	v_dual_mov_b32 v44, 0 :: v_dual_mov_b32 v45, 0
	v_dual_mov_b32 v43, 0 :: v_dual_and_b32 v182, 3, v0
	v_dual_mov_b32 v46, 0 :: v_dual_mov_b32 v41, 0
	v_dual_mov_b32 v42, 0 :: v_dual_mov_b32 v39, 0
	;; [unrolled: 1-line block ×14, first 2 shown]
	v_mov_b32_e32 v16, 0
	s_and_saveexec_b32 s1, s2
	s_cbranch_execz .LBB224_98
; %bb.31:
	s_load_b32 s6, s[6:7], 0x0
	v_dual_mov_b32 v15, 0 :: v_dual_lshlrev_b32 v2, 4, v182
	s_lshl_b64 s[10:11], s[18:19], 2
	v_dual_mov_b32 v16, 0 :: v_dual_and_b32 v1, 12, v135
	v_lshl_add_u32 v3, v133, 4, s28
	s_delay_alu instid0(VALU_DEP_3)
	v_lshl_or_b32 v2, v133, 6, v2
	s_wait_alu 0xfffe
	s_add_nc_u64 s[10:11], s[20:21], s[10:11]
	v_dual_mov_b32 v18, 0 :: v_dual_and_b32 v47, 0x7c, v135
	s_wait_alu 0xfffe
	v_add_co_u32 v5, s0, s10, v136
	v_or_b32_e32 v48, 0xf80, v135
	v_add3_u32 v49, v3, v1, 3
	v_dual_mov_b32 v17, 0 :: v_dual_add_nc_u32 v50, 0x420, v2
	s_wait_alu 0xf1ff
	v_add_co_ci_u32_e64 v6, null, s11, 0, s0
	v_dual_mov_b32 v19, 0 :: v_dual_mov_b32 v20, 0
	v_dual_mov_b32 v21, 0 :: v_dual_mov_b32 v22, 0
	;; [unrolled: 1-line block ×14, first 2 shown]
	s_ashr_i32 s23, s22, 31
	s_mov_b32 s8, s13
	s_wait_kmcnt 0x0
	s_add_nc_u64 s[2:3], s[24:25], s[22:23]
	s_mov_b32 s7, s6
	s_add_co_i32 s10, s29, -1
	s_mov_b32 s9, 0
	s_branch .LBB224_33
.LBB224_32:                             ;   in Loop: Header=BB224_33 Depth=1
	s_wait_alu 0xfffe
	s_or_b32 exec_lo, exec_lo, s0
	s_wait_dscnt 0x0
	v_mul_f32_e32 v14, v1, v177
	v_mul_f32_e32 v11, v1, v179
	;; [unrolled: 1-line block ×5, first 2 shown]
	v_dual_fmac_f32 v14, v2, v174 :: v_dual_mul_f32 v83, v1, v167
	v_dual_fmac_f32 v11, v2, v178 :: v_dual_mul_f32 v82, v1, v171
	v_mul_f32_e32 v54, v1, v54
	s_delay_alu instid0(VALU_DEP_3) | instskip(NEXT) | instid1(VALU_DEP_4)
	v_fmac_f32_e32 v14, v3, v173
	v_dual_mul_f32 v84, v1, v163 :: v_dual_fmac_f32 v83, v2, v166
	v_mul_f32_e32 v155, v1, v155
	v_fmac_f32_e32 v11, v3, v176
	v_dual_mul_f32 v159, v1, v159 :: v_dual_fmac_f32 v82, v2, v170
	s_delay_alu instid0(VALU_DEP_4) | instskip(SKIP_1) | instid1(VALU_DEP_4)
	v_fmac_f32_e32 v84, v2, v162
	v_fmac_f32_e32 v14, v4, v172
	v_fmac_f32_e32 v11, v4, v175
	s_delay_alu instid0(VALU_DEP_4) | instskip(SKIP_1) | instid1(VALU_DEP_4)
	v_dual_fmac_f32 v159, v2, v158 :: v_dual_fmac_f32 v82, v3, v169
	v_fmac_f32_e32 v155, v2, v154
	v_dual_add_f32 v17, v17, v14 :: v_dual_fmac_f32 v84, v3, v161
	s_delay_alu instid0(VALU_DEP_4) | instskip(NEXT) | instid1(VALU_DEP_4)
	v_dual_add_f32 v16, v16, v11 :: v_dual_fmac_f32 v83, v3, v165
	v_dual_fmac_f32 v82, v4, v168 :: v_dual_fmac_f32 v159, v3, v157
	s_delay_alu instid0(VALU_DEP_3) | instskip(SKIP_1) | instid1(VALU_DEP_3)
	v_dual_fmac_f32 v84, v4, v160 :: v_dual_fmac_f32 v155, v3, v153
	v_mul_f32_e32 v14, v1, v147
	v_dual_add_f32 v18, v18, v82 :: v_dual_fmac_f32 v159, v4, v156
	v_mul_f32_e32 v11, v1, v151
	s_delay_alu instid0(VALU_DEP_4) | instskip(SKIP_3) | instid1(VALU_DEP_4)
	v_dual_fmac_f32 v155, v4, v152 :: v_dual_mul_f32 v82, v1, v143
	v_fmac_f32_e32 v83, v4, v164
	v_add_f32_e32 v20, v20, v84
	v_mul_f32_e32 v84, v1, v135
	v_add_f32_e32 v22, v22, v155
	s_delay_alu instid0(VALU_DEP_4) | instskip(SKIP_1) | instid1(VALU_DEP_4)
	v_dual_fmac_f32 v14, v2, v146 :: v_dual_add_f32 v19, v19, v83
	v_fmac_f32_e32 v11, v2, v150
	v_dual_mul_f32 v83, v1, v139 :: v_dual_fmac_f32 v84, v2, v132
	v_dual_add_f32 v21, v21, v159 :: v_dual_fmac_f32 v82, v2, v142
	s_delay_alu instid0(VALU_DEP_2) | instskip(NEXT) | instid1(VALU_DEP_4)
	v_dual_fmac_f32 v14, v3, v145 :: v_dual_fmac_f32 v83, v2, v138
	v_fmac_f32_e32 v11, v3, v149
	v_fmac_f32_e32 v58, v2, v57
	;; [unrolled: 1-line block ×3, first 2 shown]
	s_delay_alu instid0(VALU_DEP_4) | instskip(NEXT) | instid1(VALU_DEP_4)
	v_fmac_f32_e32 v14, v4, v144
	v_dual_fmac_f32 v82, v3, v141 :: v_dual_fmac_f32 v11, v4, v148
	v_fmac_f32_e32 v83, v3, v137
	v_fmac_f32_e32 v58, v3, v56
	s_delay_alu instid0(VALU_DEP_4) | instskip(NEXT) | instid1(VALU_DEP_4)
	v_add_f32_e32 v24, v24, v14
	v_fmac_f32_e32 v82, v4, v140
	s_delay_alu instid0(VALU_DEP_4) | instskip(SKIP_2) | instid1(VALU_DEP_4)
	v_dual_fmac_f32 v84, v3, v131 :: v_dual_fmac_f32 v83, v4, v136
	v_add_f32_e32 v23, v23, v11
	v_mul_f32_e32 v11, v1, v129
	v_add_f32_e32 v25, v25, v82
	s_delay_alu instid0(VALU_DEP_4) | instskip(SKIP_1) | instid1(VALU_DEP_4)
	v_fmac_f32_e32 v84, v4, v130
	v_mul_f32_e32 v14, v1, v125
	v_dual_mul_f32 v82, v1, v121 :: v_dual_fmac_f32 v11, v2, v128
	s_delay_alu instid0(VALU_DEP_3) | instskip(NEXT) | instid1(VALU_DEP_3)
	v_dual_add_f32 v26, v26, v83 :: v_dual_add_f32 v27, v27, v84
	v_dual_mul_f32 v83, v1, v117 :: v_dual_fmac_f32 v14, v2, v124
	s_delay_alu instid0(VALU_DEP_3) | instskip(NEXT) | instid1(VALU_DEP_4)
	v_dual_mul_f32 v84, v1, v113 :: v_dual_fmac_f32 v11, v3, v127
	v_fmac_f32_e32 v82, v2, v120
	s_delay_alu instid0(VALU_DEP_3) | instskip(NEXT) | instid1(VALU_DEP_3)
	v_dual_fmac_f32 v83, v2, v116 :: v_dual_fmac_f32 v14, v3, v123
	v_dual_fmac_f32 v84, v2, v112 :: v_dual_fmac_f32 v11, v4, v126
	v_fmac_f32_e32 v54, v3, v52
	s_delay_alu instid0(VALU_DEP_3) | instskip(SKIP_3) | instid1(VALU_DEP_4)
	v_fmac_f32_e32 v83, v3, v115
	v_fmac_f32_e32 v82, v3, v119
	;; [unrolled: 1-line block ×3, first 2 shown]
	v_dual_add_f32 v28, v28, v11 :: v_dual_mul_f32 v11, v1, v109
	v_fmac_f32_e32 v83, v4, v114
	s_delay_alu instid0(VALU_DEP_4) | instskip(NEXT) | instid1(VALU_DEP_4)
	v_fmac_f32_e32 v82, v4, v118
	v_dual_fmac_f32 v84, v3, v111 :: v_dual_add_f32 v29, v29, v14
	s_delay_alu instid0(VALU_DEP_4) | instskip(NEXT) | instid1(VALU_DEP_3)
	v_fmac_f32_e32 v11, v2, v108
	v_dual_add_f32 v31, v31, v83 :: v_dual_add_f32 v30, v30, v82
	s_delay_alu instid0(VALU_DEP_3) | instskip(NEXT) | instid1(VALU_DEP_3)
	v_dual_fmac_f32 v84, v4, v110 :: v_dual_mul_f32 v83, v1, v97
	v_dual_fmac_f32 v11, v3, v107 :: v_dual_mul_f32 v14, v1, v105
	v_mul_f32_e32 v82, v1, v101
	s_delay_alu instid0(VALU_DEP_3) | instskip(NEXT) | instid1(VALU_DEP_3)
	v_dual_fmac_f32 v83, v2, v96 :: v_dual_add_nc_u32 v134, 4, v134
	v_dual_fmac_f32 v11, v4, v106 :: v_dual_fmac_f32 v14, v2, v104
	s_delay_alu instid0(VALU_DEP_3) | instskip(NEXT) | instid1(VALU_DEP_3)
	v_fmac_f32_e32 v82, v2, v100
	v_dual_add_f32 v32, v32, v84 :: v_dual_fmac_f32 v83, v3, v95
	s_delay_alu instid0(VALU_DEP_3) | instskip(SKIP_2) | instid1(VALU_DEP_4)
	v_add_f32_e32 v33, v33, v11
	v_mul_f32_e32 v11, v1, v89
	v_mul_f32_e32 v84, v1, v93
	v_dual_fmac_f32 v82, v3, v99 :: v_dual_fmac_f32 v83, v4, v94
	s_delay_alu instid0(VALU_DEP_3) | instskip(SKIP_1) | instid1(VALU_DEP_3)
	v_dual_fmac_f32 v58, v4, v55 :: v_dual_fmac_f32 v11, v2, v88
	v_fmac_f32_e32 v54, v4, v51
	v_fmac_f32_e32 v82, v4, v98
	v_cmp_le_i32_e32 vcc_lo, s17, v134
	v_add_co_u32 v5, s0, v5, 16
	v_dual_fmac_f32 v11, v3, v87 :: v_dual_fmac_f32 v84, v2, v92
	s_delay_alu instid0(VALU_DEP_4) | instskip(SKIP_2) | instid1(VALU_DEP_4)
	v_add_f32_e32 v35, v35, v82
	v_add_f32_e32 v46, v46, v58
	;; [unrolled: 1-line block ×3, first 2 shown]
	v_dual_fmac_f32 v11, v4, v86 :: v_dual_fmac_f32 v84, v3, v91
	v_add_nc_u32_e32 v50, 0x100, v50
	s_wait_alu 0xf1ff
	v_add_co_ci_u32_e64 v6, null, 0, v6, s0
	s_delay_alu instid0(VALU_DEP_3)
	v_dual_add_f32 v38, v38, v11 :: v_dual_mul_f32 v11, v1, v66
	v_fmac_f32_e32 v84, v4, v90
	v_fmac_f32_e32 v14, v3, v103
	s_or_b32 s9, vcc_lo, s9
	v_add_nc_u32_e32 v49, 64, v49
	v_fmac_f32_e32 v11, v2, v65
	s_delay_alu instid0(VALU_DEP_3) | instskip(NEXT) | instid1(VALU_DEP_1)
	v_dual_add_f32 v37, v37, v84 :: v_dual_fmac_f32 v14, v4, v102
	v_dual_fmac_f32 v11, v3, v64 :: v_dual_add_f32 v34, v34, v14
	s_delay_alu instid0(VALU_DEP_1) | instskip(NEXT) | instid1(VALU_DEP_1)
	v_dual_mul_f32 v14, v1, v85 :: v_dual_fmac_f32 v11, v4, v63
	v_dual_mul_f32 v74, v1, v74 :: v_dual_add_f32 v43, v43, v11
	s_delay_alu instid0(VALU_DEP_1) | instskip(NEXT) | instid1(VALU_DEP_1)
	v_fmac_f32_e32 v74, v2, v73
	v_fmac_f32_e32 v74, v3, v72
	s_delay_alu instid0(VALU_DEP_1) | instskip(NEXT) | instid1(VALU_DEP_1)
	v_fmac_f32_e32 v74, v4, v71
	v_dual_fmac_f32 v14, v2, v81 :: v_dual_add_f32 v41, v41, v74
	s_delay_alu instid0(VALU_DEP_1) | instskip(NEXT) | instid1(VALU_DEP_1)
	v_fmac_f32_e32 v14, v3, v80
	v_fmac_f32_e32 v14, v4, v79
	s_delay_alu instid0(VALU_DEP_1) | instskip(SKIP_1) | instid1(VALU_DEP_1)
	v_dual_add_f32 v36, v36, v83 :: v_dual_add_f32 v39, v39, v14
	v_mul_f32_e32 v14, v1, v62
	v_dual_mul_f32 v1, v1, v10 :: v_dual_fmac_f32 v14, v2, v61
	s_delay_alu instid0(VALU_DEP_1) | instskip(NEXT) | instid1(VALU_DEP_1)
	v_dual_fmac_f32 v1, v2, v9 :: v_dual_fmac_f32 v14, v3, v60
	v_dual_fmac_f32 v1, v3, v8 :: v_dual_fmac_f32 v14, v4, v59
	s_delay_alu instid0(VALU_DEP_1) | instskip(NEXT) | instid1(VALU_DEP_2)
	v_dual_fmac_f32 v78, v2, v77 :: v_dual_fmac_f32 v1, v4, v7
	v_dual_fmac_f32 v70, v2, v69 :: v_dual_add_f32 v45, v45, v14
	s_delay_alu instid0(VALU_DEP_2) | instskip(NEXT) | instid1(VALU_DEP_3)
	v_fmac_f32_e32 v78, v3, v76
	v_add_f32_e32 v15, v15, v1
	s_delay_alu instid0(VALU_DEP_3) | instskip(NEXT) | instid1(VALU_DEP_3)
	v_fmac_f32_e32 v70, v3, v68
	v_fmac_f32_e32 v78, v4, v75
	s_delay_alu instid0(VALU_DEP_2) | instskip(NEXT) | instid1(VALU_DEP_2)
	v_fmac_f32_e32 v70, v4, v67
	v_add_f32_e32 v40, v40, v78
	s_delay_alu instid0(VALU_DEP_2)
	v_add_f32_e32 v42, v42, v70
	s_wait_alu 0xfffe
	s_and_not1_b32 exec_lo, exec_lo, s9
	s_cbranch_execz .LBB224_97
.LBB224_33:                             ; =>This Inner Loop Header: Depth=1
	global_load_b32 v1, v[5:6], off
	v_add_nc_u32_e32 v84, -1, v49
	s_wait_loadcnt 0x0
	s_wait_alu 0xfffe
	v_mad_co_i64_i32 v[7:8], null, v1, s8, s[2:3]
	ds_load_b128 v[1:4], v50
	v_add_co_u32 v9, vcc_lo, v7, v47
	s_wait_alu 0xfffd
	v_add_co_ci_u32_e64 v10, null, 0, v8, vcc_lo
	v_cmp_eq_u32_e32 vcc_lo, s10, v134
	global_load_b32 v51, v[9:10], off
	s_wait_loadcnt 0x0
	v_lshrrev_b32_e32 v53, 16, v51
	s_delay_alu instid0(VALU_DEP_1) | instskip(SKIP_1) | instid1(VALU_DEP_1)
	v_cvt_pk_f32_fp8_e32 v[55:56], v53
	v_and_b32_e32 v52, 0xffff, v51
	v_cvt_pk_f32_fp8_e32 v[51:52], v52
	v_add_nc_u32_e32 v82, -3, v49
	s_delay_alu instid0(VALU_DEP_2) | instskip(NEXT) | instid1(VALU_DEP_3)
	v_dual_mul_f32 v54, s6, v51 :: v_dual_add_nc_u32 v83, -2, v49
	v_dual_mul_f32 v53, s7, v52 :: v_dual_mul_f32 v52, s6, v55
	v_mul_f32_e32 v51, s7, v56
	s_and_saveexec_b32 s11, vcc_lo
	s_cbranch_execz .LBB224_35
; %bb.34:                               ;   in Loop: Header=BB224_33 Depth=1
	v_cmp_gt_i32_e64 s0, s27, v82
	s_wait_alu 0xf1ff
	s_delay_alu instid0(VALU_DEP_1) | instskip(SKIP_2) | instid1(VALU_DEP_1)
	v_cndmask_b32_e64 v54, 0, v54, s0
	v_cmp_gt_i32_e64 s0, s27, v83
	s_wait_alu 0xf1ff
	v_cndmask_b32_e64 v53, 0, v53, s0
	v_cmp_gt_i32_e64 s0, s27, v84
	s_wait_alu 0xf1ff
	s_delay_alu instid0(VALU_DEP_1) | instskip(SKIP_2) | instid1(VALU_DEP_1)
	v_cndmask_b32_e64 v52, 0, v52, s0
	v_cmp_gt_i32_e64 s0, s27, v49
	s_wait_alu 0xf1ff
	v_cndmask_b32_e64 v51, 0, v51, s0
.LBB224_35:                             ;   in Loop: Header=BB224_33 Depth=1
	s_wait_alu 0xfffe
	s_or_b32 exec_lo, exec_lo, s11
	global_load_b32 v55, v[9:10], off offset:128
	s_wait_loadcnt 0x0
	v_lshrrev_b32_e32 v57, 16, v55
	s_delay_alu instid0(VALU_DEP_1) | instskip(SKIP_1) | instid1(VALU_DEP_1)
	v_cvt_pk_f32_fp8_e32 v[59:60], v57
	v_and_b32_e32 v56, 0xffff, v55
	v_cvt_pk_f32_fp8_e32 v[55:56], v56
	s_delay_alu instid0(VALU_DEP_1) | instskip(NEXT) | instid1(VALU_DEP_4)
	v_dual_mul_f32 v58, s6, v55 :: v_dual_mul_f32 v57, s7, v56
	v_dual_mul_f32 v56, s6, v59 :: v_dual_mul_f32 v55, s7, v60
	s_and_saveexec_b32 s11, vcc_lo
	s_cbranch_execz .LBB224_37
; %bb.36:                               ;   in Loop: Header=BB224_33 Depth=1
	v_cmp_gt_i32_e64 s0, s27, v82
	s_wait_alu 0xf1ff
	s_delay_alu instid0(VALU_DEP_1) | instskip(SKIP_2) | instid1(VALU_DEP_1)
	v_cndmask_b32_e64 v58, 0, v58, s0
	v_cmp_gt_i32_e64 s0, s27, v83
	s_wait_alu 0xf1ff
	v_cndmask_b32_e64 v57, 0, v57, s0
	v_cmp_gt_i32_e64 s0, s27, v84
	s_wait_alu 0xf1ff
	s_delay_alu instid0(VALU_DEP_1) | instskip(SKIP_2) | instid1(VALU_DEP_1)
	v_cndmask_b32_e64 v56, 0, v56, s0
	v_cmp_gt_i32_e64 s0, s27, v49
	s_wait_alu 0xf1ff
	v_cndmask_b32_e64 v55, 0, v55, s0
.LBB224_37:                             ;   in Loop: Header=BB224_33 Depth=1
	s_wait_alu 0xfffe
	s_or_b32 exec_lo, exec_lo, s11
	global_load_b32 v59, v[9:10], off offset:256
	s_wait_loadcnt 0x0
	v_lshrrev_b32_e32 v61, 16, v59
	s_delay_alu instid0(VALU_DEP_1) | instskip(SKIP_1) | instid1(VALU_DEP_1)
	v_cvt_pk_f32_fp8_e32 v[63:64], v61
	v_and_b32_e32 v60, 0xffff, v59
	v_cvt_pk_f32_fp8_e32 v[59:60], v60
	s_delay_alu instid0(VALU_DEP_1) | instskip(NEXT) | instid1(VALU_DEP_4)
	v_dual_mul_f32 v62, s6, v59 :: v_dual_mul_f32 v61, s7, v60
	v_dual_mul_f32 v60, s6, v63 :: v_dual_mul_f32 v59, s7, v64
	;; [unrolled: 30-line block ×6, first 2 shown]
	s_and_saveexec_b32 s11, vcc_lo
	s_cbranch_execz .LBB224_47
; %bb.46:                               ;   in Loop: Header=BB224_33 Depth=1
	v_cmp_gt_i32_e64 s0, s27, v82
	s_wait_alu 0xf1ff
	s_delay_alu instid0(VALU_DEP_1) | instskip(SKIP_2) | instid1(VALU_DEP_1)
	v_cndmask_b32_e64 v78, 0, v78, s0
	v_cmp_gt_i32_e64 s0, s27, v83
	s_wait_alu 0xf1ff
	v_cndmask_b32_e64 v77, 0, v77, s0
	v_cmp_gt_i32_e64 s0, s27, v84
	s_wait_alu 0xf1ff
	s_delay_alu instid0(VALU_DEP_1) | instskip(SKIP_2) | instid1(VALU_DEP_1)
	v_cndmask_b32_e64 v76, 0, v76, s0
	v_cmp_gt_i32_e64 s0, s27, v49
	s_wait_alu 0xf1ff
	v_cndmask_b32_e64 v75, 0, v75, s0
.LBB224_47:                             ;   in Loop: Header=BB224_33 Depth=1
	s_wait_alu 0xfffe
	s_or_b32 exec_lo, exec_lo, s11
	global_load_b32 v79, v[9:10], off offset:896
	s_wait_loadcnt 0x0
	v_and_b32_e32 v80, 0xffff, v79
	v_lshrrev_b32_e32 v81, 16, v79
	s_delay_alu instid0(VALU_DEP_2) | instskip(NEXT) | instid1(VALU_DEP_2)
	v_cvt_pk_f32_fp8_e32 v[79:80], v80
	v_cvt_pk_f32_fp8_e32 v[86:87], v81
	s_delay_alu instid0(VALU_DEP_2) | instskip(NEXT) | instid1(VALU_DEP_2)
	v_mul_f32_e32 v85, s6, v79
	v_dual_mul_f32 v81, s7, v80 :: v_dual_mul_f32 v80, s6, v86
	s_delay_alu instid0(VALU_DEP_3)
	v_mul_f32_e32 v79, s7, v87
	s_and_saveexec_b32 s11, vcc_lo
	s_cbranch_execz .LBB224_49
; %bb.48:                               ;   in Loop: Header=BB224_33 Depth=1
	v_cmp_gt_i32_e64 s0, s27, v82
	s_wait_alu 0xf1ff
	s_delay_alu instid0(VALU_DEP_1) | instskip(SKIP_2) | instid1(VALU_DEP_1)
	v_cndmask_b32_e64 v85, 0, v85, s0
	v_cmp_gt_i32_e64 s0, s27, v83
	s_wait_alu 0xf1ff
	v_cndmask_b32_e64 v81, 0, v81, s0
	v_cmp_gt_i32_e64 s0, s27, v84
	s_wait_alu 0xf1ff
	s_delay_alu instid0(VALU_DEP_1) | instskip(SKIP_2) | instid1(VALU_DEP_1)
	v_cndmask_b32_e64 v80, 0, v80, s0
	v_cmp_gt_i32_e64 s0, s27, v49
	s_wait_alu 0xf1ff
	v_cndmask_b32_e64 v79, 0, v79, s0
.LBB224_49:                             ;   in Loop: Header=BB224_33 Depth=1
	s_wait_alu 0xfffe
	s_or_b32 exec_lo, exec_lo, s11
	global_load_b32 v86, v[9:10], off offset:1024
	s_wait_loadcnt 0x0
	v_lshrrev_b32_e32 v88, 16, v86
	s_delay_alu instid0(VALU_DEP_1) | instskip(SKIP_1) | instid1(VALU_DEP_1)
	v_cvt_pk_f32_fp8_e32 v[90:91], v88
	v_and_b32_e32 v87, 0xffff, v86
	v_cvt_pk_f32_fp8_e32 v[86:87], v87
	s_delay_alu instid0(VALU_DEP_1) | instskip(NEXT) | instid1(VALU_DEP_4)
	v_dual_mul_f32 v89, s6, v86 :: v_dual_mul_f32 v88, s7, v87
	v_dual_mul_f32 v87, s6, v90 :: v_dual_mul_f32 v86, s7, v91
	s_and_saveexec_b32 s11, vcc_lo
	s_cbranch_execz .LBB224_51
; %bb.50:                               ;   in Loop: Header=BB224_33 Depth=1
	v_cmp_gt_i32_e64 s0, s27, v82
	s_wait_alu 0xf1ff
	s_delay_alu instid0(VALU_DEP_1) | instskip(SKIP_2) | instid1(VALU_DEP_1)
	v_cndmask_b32_e64 v89, 0, v89, s0
	v_cmp_gt_i32_e64 s0, s27, v83
	s_wait_alu 0xf1ff
	v_cndmask_b32_e64 v88, 0, v88, s0
	v_cmp_gt_i32_e64 s0, s27, v84
	s_wait_alu 0xf1ff
	s_delay_alu instid0(VALU_DEP_1) | instskip(SKIP_2) | instid1(VALU_DEP_1)
	v_cndmask_b32_e64 v87, 0, v87, s0
	v_cmp_gt_i32_e64 s0, s27, v49
	s_wait_alu 0xf1ff
	v_cndmask_b32_e64 v86, 0, v86, s0
.LBB224_51:                             ;   in Loop: Header=BB224_33 Depth=1
	s_wait_alu 0xfffe
	s_or_b32 exec_lo, exec_lo, s11
	global_load_b32 v90, v[9:10], off offset:1152
	s_wait_loadcnt 0x0
	v_lshrrev_b32_e32 v92, 16, v90
	s_delay_alu instid0(VALU_DEP_1) | instskip(SKIP_1) | instid1(VALU_DEP_1)
	v_cvt_pk_f32_fp8_e32 v[94:95], v92
	v_and_b32_e32 v91, 0xffff, v90
	v_cvt_pk_f32_fp8_e32 v[90:91], v91
	s_delay_alu instid0(VALU_DEP_1) | instskip(NEXT) | instid1(VALU_DEP_4)
	v_dual_mul_f32 v93, s6, v90 :: v_dual_mul_f32 v92, s7, v91
	v_dual_mul_f32 v91, s6, v94 :: v_dual_mul_f32 v90, s7, v95
	;; [unrolled: 30-line block ×11, first 2 shown]
	s_and_saveexec_b32 s11, vcc_lo
	s_cbranch_execz .LBB224_71
; %bb.70:                               ;   in Loop: Header=BB224_33 Depth=1
	v_cmp_gt_i32_e64 s0, s27, v82
	s_wait_alu 0xf1ff
	s_delay_alu instid0(VALU_DEP_1) | instskip(SKIP_2) | instid1(VALU_DEP_1)
	v_cndmask_b32_e64 v129, 0, v129, s0
	v_cmp_gt_i32_e64 s0, s27, v83
	s_wait_alu 0xf1ff
	v_cndmask_b32_e64 v128, 0, v128, s0
	v_cmp_gt_i32_e64 s0, s27, v84
	s_wait_alu 0xf1ff
	s_delay_alu instid0(VALU_DEP_1) | instskip(SKIP_2) | instid1(VALU_DEP_1)
	v_cndmask_b32_e64 v127, 0, v127, s0
	v_cmp_gt_i32_e64 s0, s27, v49
	s_wait_alu 0xf1ff
	v_cndmask_b32_e64 v126, 0, v126, s0
.LBB224_71:                             ;   in Loop: Header=BB224_33 Depth=1
	s_wait_alu 0xfffe
	s_or_b32 exec_lo, exec_lo, s11
	global_load_b32 v14, v[9:10], off offset:2432
	s_wait_loadcnt 0x0
	v_and_b32_e32 v11, 0xffff, v14
	v_lshrrev_b32_e32 v14, 16, v14
	s_delay_alu instid0(VALU_DEP_2) | instskip(NEXT) | instid1(VALU_DEP_2)
	v_cvt_pk_f32_fp8_e32 v[130:131], v11
	v_cvt_pk_f32_fp8_e32 v[136:137], v14
	s_delay_alu instid0(VALU_DEP_1) | instskip(NEXT) | instid1(VALU_DEP_2)
	v_dual_mul_f32 v135, s6, v130 :: v_dual_mul_f32 v130, s7, v137
	v_dual_mul_f32 v132, s7, v131 :: v_dual_mul_f32 v131, s6, v136
	s_and_saveexec_b32 s11, vcc_lo
	s_cbranch_execz .LBB224_73
; %bb.72:                               ;   in Loop: Header=BB224_33 Depth=1
	v_cmp_gt_i32_e64 s0, s27, v82
	s_wait_alu 0xf1ff
	s_delay_alu instid0(VALU_DEP_1) | instskip(SKIP_2) | instid1(VALU_DEP_1)
	v_cndmask_b32_e64 v135, 0, v135, s0
	v_cmp_gt_i32_e64 s0, s27, v83
	s_wait_alu 0xf1ff
	v_cndmask_b32_e64 v132, 0, v132, s0
	v_cmp_gt_i32_e64 s0, s27, v84
	s_wait_alu 0xf1ff
	s_delay_alu instid0(VALU_DEP_1) | instskip(SKIP_2) | instid1(VALU_DEP_1)
	v_cndmask_b32_e64 v131, 0, v131, s0
	v_cmp_gt_i32_e64 s0, s27, v49
	s_wait_alu 0xf1ff
	v_cndmask_b32_e64 v130, 0, v130, s0
.LBB224_73:                             ;   in Loop: Header=BB224_33 Depth=1
	s_wait_alu 0xfffe
	s_or_b32 exec_lo, exec_lo, s11
	global_load_b32 v11, v[9:10], off offset:2560
	s_wait_loadcnt 0x0
	v_and_b32_e32 v14, 0xffff, v11
	v_lshrrev_b32_e32 v11, 16, v11
	s_delay_alu instid0(VALU_DEP_2) | instskip(NEXT) | instid1(VALU_DEP_2)
	v_cvt_pk_f32_fp8_e32 v[136:137], v14
	v_cvt_pk_f32_fp8_e32 v[140:141], v11
	s_delay_alu instid0(VALU_DEP_2) | instskip(NEXT) | instid1(VALU_DEP_2)
	v_dual_mul_f32 v139, s6, v136 :: v_dual_mul_f32 v138, s7, v137
	v_dual_mul_f32 v137, s6, v140 :: v_dual_mul_f32 v136, s7, v141
	s_and_saveexec_b32 s11, vcc_lo
	s_cbranch_execz .LBB224_75
; %bb.74:                               ;   in Loop: Header=BB224_33 Depth=1
	v_cmp_gt_i32_e64 s0, s27, v82
	s_wait_alu 0xf1ff
	s_delay_alu instid0(VALU_DEP_1) | instskip(SKIP_2) | instid1(VALU_DEP_1)
	v_cndmask_b32_e64 v139, 0, v139, s0
	v_cmp_gt_i32_e64 s0, s27, v83
	s_wait_alu 0xf1ff
	v_cndmask_b32_e64 v138, 0, v138, s0
	v_cmp_gt_i32_e64 s0, s27, v84
	s_wait_alu 0xf1ff
	s_delay_alu instid0(VALU_DEP_1) | instskip(SKIP_2) | instid1(VALU_DEP_1)
	v_cndmask_b32_e64 v137, 0, v137, s0
	v_cmp_gt_i32_e64 s0, s27, v49
	s_wait_alu 0xf1ff
	v_cndmask_b32_e64 v136, 0, v136, s0
.LBB224_75:                             ;   in Loop: Header=BB224_33 Depth=1
	s_wait_alu 0xfffe
	s_or_b32 exec_lo, exec_lo, s11
	global_load_b32 v11, v[9:10], off offset:2688
	s_wait_loadcnt 0x0
	v_and_b32_e32 v14, 0xffff, v11
	v_lshrrev_b32_e32 v11, 16, v11
	s_delay_alu instid0(VALU_DEP_2) | instskip(NEXT) | instid1(VALU_DEP_2)
	v_cvt_pk_f32_fp8_e32 v[140:141], v14
	v_cvt_pk_f32_fp8_e32 v[144:145], v11
	s_delay_alu instid0(VALU_DEP_2) | instskip(NEXT) | instid1(VALU_DEP_2)
	;; [unrolled: 30-line block ×11, first 2 shown]
	v_dual_mul_f32 v179, s6, v9 :: v_dual_mul_f32 v178, s7, v10
	v_dual_mul_f32 v176, s6, v180 :: v_dual_mul_f32 v175, s7, v181
	s_and_saveexec_b32 s11, vcc_lo
	s_cbranch_execz .LBB224_95
; %bb.94:                               ;   in Loop: Header=BB224_33 Depth=1
	v_cmp_gt_i32_e64 s0, s27, v82
	s_wait_alu 0xf1ff
	s_delay_alu instid0(VALU_DEP_1) | instskip(SKIP_2) | instid1(VALU_DEP_1)
	v_cndmask_b32_e64 v179, 0, v179, s0
	v_cmp_gt_i32_e64 s0, s27, v83
	s_wait_alu 0xf1ff
	v_cndmask_b32_e64 v178, 0, v178, s0
	v_cmp_gt_i32_e64 s0, s27, v84
	s_wait_alu 0xf1ff
	s_delay_alu instid0(VALU_DEP_1) | instskip(SKIP_2) | instid1(VALU_DEP_1)
	v_cndmask_b32_e64 v176, 0, v176, s0
	v_cmp_gt_i32_e64 s0, s27, v49
	s_wait_alu 0xf1ff
	v_cndmask_b32_e64 v175, 0, v175, s0
.LBB224_95:                             ;   in Loop: Header=BB224_33 Depth=1
	s_wait_alu 0xfffe
	s_or_b32 exec_lo, exec_lo, s11
	v_add_co_u32 v7, s0, v7, v48
	s_wait_alu 0xf1ff
	v_add_co_ci_u32_e64 v8, null, 0, v8, s0
	global_load_b32 v7, v[7:8], off
	s_wait_loadcnt 0x0
	v_lshrrev_b32_e32 v9, 16, v7
	s_delay_alu instid0(VALU_DEP_1) | instskip(SKIP_1) | instid1(VALU_DEP_1)
	v_cvt_pk_f32_fp8_e32 v[180:181], v9
	v_and_b32_e32 v8, 0xffff, v7
	v_cvt_pk_f32_fp8_e32 v[7:8], v8
	s_delay_alu instid0(VALU_DEP_1) | instskip(NEXT) | instid1(VALU_DEP_4)
	v_dual_mul_f32 v10, s6, v7 :: v_dual_mul_f32 v9, s7, v8
	v_dual_mul_f32 v8, s6, v180 :: v_dual_mul_f32 v7, s7, v181
	s_and_saveexec_b32 s0, vcc_lo
	s_cbranch_execz .LBB224_32
; %bb.96:                               ;   in Loop: Header=BB224_33 Depth=1
	v_cmp_gt_i32_e32 vcc_lo, s27, v82
	s_wait_alu 0xfffd
	v_cndmask_b32_e32 v10, 0, v10, vcc_lo
	v_cmp_gt_i32_e32 vcc_lo, s27, v83
	s_wait_alu 0xfffd
	v_cndmask_b32_e32 v9, 0, v9, vcc_lo
	;; [unrolled: 3-line block ×4, first 2 shown]
	s_branch .LBB224_32
.LBB224_97:
	s_or_b32 exec_lo, exec_lo, s9
.LBB224_98:
	s_wait_alu 0xfffe
	s_or_b32 exec_lo, exec_lo, s1
	ds_bpermute_b32 v7, v12, v40
	ds_bpermute_b32 v8, v12, v39
	;; [unrolled: 1-line block ×17, first 2 shown]
	v_lshrrev_b32_e32 v11, 2, v183
	s_mov_b32 s0, exec_lo
	s_wait_storecnt 0x0
	s_wait_loadcnt_dscnt 0x0
	v_dual_add_f32 v7, v40, v7 :: v_dual_add_f32 v8, v39, v8
	v_add_f32_e32 v1, v44, v1
	v_dual_add_f32 v3, v45, v3 :: v_dual_add_f32 v4, v43, v4
	v_add_f32_e32 v5, v42, v5
	v_dual_add_f32 v9, v38, v9 :: v_dual_add_f32 v10, v37, v10
	ds_bpermute_b32 v44, v13, v7
	ds_bpermute_b32 v37, v13, v8
	v_add_f32_e32 v2, v46, v2
	v_add_f32_e32 v6, v41, v6
	ds_bpermute_b32 v38, v13, v1
	ds_bpermute_b32 v40, v13, v3
	;; [unrolled: 1-line block ×4, first 2 shown]
	v_dual_add_f32 v36, v36, v47 :: v_dual_add_f32 v35, v35, v48
	ds_bpermute_b32 v39, v13, v2
	ds_bpermute_b32 v43, v13, v6
	;; [unrolled: 1-line block ×6, first 2 shown]
	s_barrier_signal -1
	v_add_f32_e32 v32, v32, v51
	ds_bpermute_b32 v51, v12, v19
	s_barrier_wait -1
	s_wait_dscnt 0xb
	v_dual_add_f32 v7, v7, v44 :: v_dual_add_f32 v8, v8, v37
	ds_bpermute_b32 v37, v12, v29
	ds_bpermute_b32 v44, v12, v25
	s_wait_dscnt 0xc
	v_add_f32_e32 v1, v1, v38
	s_wait_dscnt 0xa
	v_dual_add_f32 v3, v3, v40 :: v_dual_add_f32 v4, v4, v41
	s_wait_dscnt 0x9
	v_add_f32_e32 v5, v5, v42
	ds_bpermute_b32 v38, v12, v30
	ds_bpermute_b32 v40, v12, v28
	;; [unrolled: 1-line block ×4, first 2 shown]
	s_wait_dscnt 0xc
	v_add_f32_e32 v2, v2, v39
	s_wait_dscnt 0x9
	v_dual_add_f32 v39, v34, v49 :: v_dual_add_f32 v34, v36, v47
	ds_bpermute_b32 v47, v12, v24
	s_wait_dscnt 0x9
	v_add_f32_e32 v35, v35, v48
	v_add_f32_e32 v33, v33, v50
	;; [unrolled: 1-line block ×3, first 2 shown]
	ds_bpermute_b32 v49, v12, v20
	v_dual_add_f32 v6, v6, v43 :: v_dual_add_f32 v9, v9, v45
	s_wait_dscnt 0x7
	v_dual_add_f32 v10, v10, v46 :: v_dual_add_f32 v29, v29, v37
	ds_bpermute_b32 v37, v12, v22
	ds_bpermute_b32 v36, v13, v39
	;; [unrolled: 1-line block ×3, first 2 shown]
	s_wait_dscnt 0x0
	global_inv scope:SCOPE_SE
	v_add_f32_e32 v30, v30, v38
	ds_bpermute_b32 v38, v12, v23
	v_add_f32_e32 v28, v28, v40
	ds_bpermute_b32 v40, v12, v21
	;; [unrolled: 2-line block ×4, first 2 shown]
	ds_bpermute_b32 v12, v12, v15
	ds_bpermute_b32 v43, v13, v33
	;; [unrolled: 1-line block ×4, first 2 shown]
	v_dual_add_f32 v25, v25, v44 :: v_dual_add_f32 v24, v24, v47
	ds_bpermute_b32 v44, v13, v27
	v_add_f32_e32 v49, v20, v49
	v_add_f32_e32 v37, v22, v37
	;; [unrolled: 1-line block ×4, first 2 shown]
	ds_bpermute_b32 v48, v13, v30
	ds_bpermute_b32 v52, v13, v28
	s_wait_dscnt 0xa
	v_add_f32_e32 v38, v23, v38
	ds_bpermute_b32 v23, v13, v25
	s_wait_dscnt 0xa
	v_add_f32_e32 v40, v21, v40
	;; [unrolled: 3-line block ×3, first 2 shown]
	ds_bpermute_b32 v47, v13, v26
	s_wait_dscnt 0x9
	v_dual_add_f32 v42, v16, v42 :: v_dual_add_f32 v61, v15, v12
	ds_bpermute_b32 v54, v13, v24
	ds_bpermute_b32 v55, v13, v38
	;; [unrolled: 1-line block ×4, first 2 shown]
	v_add_f32_e32 v12, v39, v36
	ds_bpermute_b32 v58, v13, v49
	ds_bpermute_b32 v36, v13, v42
	s_wait_dscnt 0xd
	v_dual_add_f32 v15, v33, v43 :: v_dual_add_f32 v16, v31, v46
	ds_bpermute_b32 v60, v13, v53
	s_wait_dscnt 0xd
	v_add_f32_e32 v18, v29, v50
	ds_bpermute_b32 v33, v13, v61
	s_wait_dscnt 0xd
	v_add_f32_e32 v20, v27, v44
	ds_bpermute_b32 v62, v13, v41
	s_wait_dscnt 0xb
	v_dual_add_f32 v13, v32, v45 :: v_dual_add_f32 v22, v25, v23
	s_wait_dscnt 0xa
	v_add_f32_e32 v25, v37, v56
	v_and_b32_e32 v37, 28, v183
	v_add_f32_e32 v17, v30, v48
	v_add_f32_e32 v19, v28, v52
	s_wait_dscnt 0x9
	v_add_f32_e32 v21, v26, v47
	s_wait_dscnt 0x7
	v_dual_add_f32 v23, v24, v54 :: v_dual_add_f32 v24, v38, v55
	s_wait_dscnt 0x6
	v_add_f32_e32 v26, v40, v57
	s_wait_dscnt 0x4
	v_dual_add_f32 v28, v51, v59 :: v_dual_add_f32 v27, v49, v58
	s_wait_dscnt 0x3
	v_add_f32_e32 v31, v42, v36
	v_and_b32_e32 v38, 0x3c3, v0
	s_wait_dscnt 0x2
	v_dual_add_f32 v29, v53, v60 :: v_dual_lshlrev_b32 v36, 10, v133
	s_wait_dscnt 0x1
	v_add_f32_e32 v32, v61, v33
	s_wait_dscnt 0x0
	v_dual_add_f32 v30, v41, v62 :: v_dual_add_nc_u32 v33, 0x420, v37
	v_cmpx_eq_u32_e32 64, v38
	s_cbranch_execz .LBB224_100
; %bb.99:
	s_delay_alu instid0(VALU_DEP_2) | instskip(NEXT) | instid1(VALU_DEP_1)
	v_add_nc_u32_e32 v14, v33, v36
	v_add_nc_u32_e32 v37, 0xfffff800, v14
	;; [unrolled: 1-line block ×9, first 2 shown]
	ds_store_b32 v37, v1
	ds_store_b32 v38, v2
	ds_store_b32 v39, v3
	ds_store_b32 v40, v4
	ds_store_b32 v41, v5
	ds_store_b32 v42, v6
	ds_store_b32 v43, v7
	ds_store_b32 v44, v8
	v_add_nc_u32_e32 v37, 0xfffff900, v14
	v_add_nc_u32_e32 v38, 0xfffff920, v14
	v_add_nc_u32_e32 v39, 0xfffff940, v14
	v_add_nc_u32_e32 v40, 0xfffff960, v14
	v_add_nc_u32_e32 v41, 0xfffff980, v14
	v_add_nc_u32_e32 v42, 0xfffff9a0, v14
	v_add_nc_u32_e32 v43, 0xfffff9c0, v14
	v_add_nc_u32_e32 v44, 0xfffff9e0, v14
	ds_store_b32 v37, v9
	ds_store_b32 v38, v10
	ds_store_b32 v39, v34
	ds_store_b32 v40, v35
	ds_store_b32 v41, v12
	ds_store_b32 v42, v15
	ds_store_b32 v43, v13
	ds_store_b32 v44, v16
	v_add_nc_u32_e32 v37, 0xfffffa00, v14
	v_add_nc_u32_e32 v38, 0xfffffa20, v14
	v_add_nc_u32_e32 v39, 0xfffffa40, v14
	v_add_nc_u32_e32 v40, 0xfffffa60, v14
	v_add_nc_u32_e32 v41, 0xfffffa80, v14
	v_add_nc_u32_e32 v42, 0xfffffaa0, v14
	v_add_nc_u32_e32 v43, 0xfffffac0, v14
	v_add_nc_u32_e32 v44, 0xfffffae0, v14
	;; [unrolled: 16-line block ×3, first 2 shown]
	ds_store_b32 v37, v25
	ds_store_b32 v38, v26
	;; [unrolled: 1-line block ×8, first 2 shown]
.LBB224_100:
	s_wait_alu 0xfffe
	s_or_b32 exec_lo, exec_lo, s0
	v_lshlrev_b32_e32 v11, 2, v11
	s_mov_b32 s1, exec_lo
	v_cmp_eq_u32_e32 vcc_lo, 0, v182
	s_wait_loadcnt_dscnt 0x0
	s_barrier_signal -1
	v_add3_u32 v11, 0x420, v36, v11
	s_barrier_wait -1
	global_inv scope:SCOPE_SE
	v_cmpx_gt_u32_e32 64, v0
	s_cbranch_execz .LBB224_135
; %bb.101:
	s_and_saveexec_b32 s0, vcc_lo
	s_cbranch_execnz .LBB224_175
; %bb.102:
	s_wait_alu 0xfffe
	s_or_b32 exec_lo, exec_lo, s0
	s_and_saveexec_b32 s0, vcc_lo
	s_cbranch_execnz .LBB224_176
.LBB224_103:
	s_wait_alu 0xfffe
	s_or_b32 exec_lo, exec_lo, s0
	s_and_saveexec_b32 s0, vcc_lo
	s_cbranch_execnz .LBB224_177
.LBB224_104:
	s_wait_alu 0xfffe
	s_or_b32 exec_lo, exec_lo, s0
	s_and_saveexec_b32 s0, vcc_lo
	s_cbranch_execnz .LBB224_178
.LBB224_105:
	s_wait_alu 0xfffe
	s_or_b32 exec_lo, exec_lo, s0
	s_and_saveexec_b32 s0, vcc_lo
	s_cbranch_execnz .LBB224_179
.LBB224_106:
	s_wait_alu 0xfffe
	s_or_b32 exec_lo, exec_lo, s0
	s_and_saveexec_b32 s0, vcc_lo
	s_cbranch_execnz .LBB224_180
.LBB224_107:
	s_wait_alu 0xfffe
	s_or_b32 exec_lo, exec_lo, s0
	s_and_saveexec_b32 s0, vcc_lo
	s_cbranch_execnz .LBB224_181
.LBB224_108:
	s_wait_alu 0xfffe
	s_or_b32 exec_lo, exec_lo, s0
	s_and_saveexec_b32 s0, vcc_lo
	s_cbranch_execnz .LBB224_182
.LBB224_109:
	s_wait_alu 0xfffe
	s_or_b32 exec_lo, exec_lo, s0
	s_and_saveexec_b32 s0, vcc_lo
	s_cbranch_execnz .LBB224_183
.LBB224_110:
	s_wait_alu 0xfffe
	s_or_b32 exec_lo, exec_lo, s0
	s_and_saveexec_b32 s0, vcc_lo
	s_cbranch_execnz .LBB224_184
.LBB224_111:
	s_wait_alu 0xfffe
	s_or_b32 exec_lo, exec_lo, s0
	s_and_saveexec_b32 s0, vcc_lo
	s_cbranch_execnz .LBB224_185
.LBB224_112:
	s_wait_alu 0xfffe
	s_or_b32 exec_lo, exec_lo, s0
	s_and_saveexec_b32 s0, vcc_lo
	s_cbranch_execnz .LBB224_186
.LBB224_113:
	s_wait_alu 0xfffe
	s_or_b32 exec_lo, exec_lo, s0
	s_and_saveexec_b32 s0, vcc_lo
	s_cbranch_execnz .LBB224_187
.LBB224_114:
	s_wait_alu 0xfffe
	s_or_b32 exec_lo, exec_lo, s0
	s_and_saveexec_b32 s0, vcc_lo
	s_cbranch_execnz .LBB224_188
.LBB224_115:
	s_wait_alu 0xfffe
	s_or_b32 exec_lo, exec_lo, s0
	s_and_saveexec_b32 s0, vcc_lo
	s_cbranch_execnz .LBB224_189
.LBB224_116:
	s_wait_alu 0xfffe
	s_or_b32 exec_lo, exec_lo, s0
	s_and_saveexec_b32 s0, vcc_lo
	s_cbranch_execnz .LBB224_190
.LBB224_117:
	s_wait_alu 0xfffe
	s_or_b32 exec_lo, exec_lo, s0
	s_and_saveexec_b32 s0, vcc_lo
	s_cbranch_execnz .LBB224_191
.LBB224_118:
	s_wait_alu 0xfffe
	s_or_b32 exec_lo, exec_lo, s0
	s_and_saveexec_b32 s0, vcc_lo
	s_cbranch_execnz .LBB224_192
.LBB224_119:
	s_wait_alu 0xfffe
	s_or_b32 exec_lo, exec_lo, s0
	s_and_saveexec_b32 s0, vcc_lo
	s_cbranch_execnz .LBB224_193
.LBB224_120:
	s_wait_alu 0xfffe
	s_or_b32 exec_lo, exec_lo, s0
	s_and_saveexec_b32 s0, vcc_lo
	s_cbranch_execnz .LBB224_194
.LBB224_121:
	s_wait_alu 0xfffe
	s_or_b32 exec_lo, exec_lo, s0
	s_and_saveexec_b32 s0, vcc_lo
	s_cbranch_execnz .LBB224_195
.LBB224_122:
	s_wait_alu 0xfffe
	s_or_b32 exec_lo, exec_lo, s0
	s_and_saveexec_b32 s0, vcc_lo
	s_cbranch_execnz .LBB224_196
.LBB224_123:
	s_wait_alu 0xfffe
	s_or_b32 exec_lo, exec_lo, s0
	s_and_saveexec_b32 s0, vcc_lo
	s_cbranch_execnz .LBB224_197
.LBB224_124:
	s_wait_alu 0xfffe
	s_or_b32 exec_lo, exec_lo, s0
	s_and_saveexec_b32 s0, vcc_lo
	s_cbranch_execnz .LBB224_198
.LBB224_125:
	s_wait_alu 0xfffe
	s_or_b32 exec_lo, exec_lo, s0
	s_and_saveexec_b32 s0, vcc_lo
	s_cbranch_execnz .LBB224_199
.LBB224_126:
	s_wait_alu 0xfffe
	s_or_b32 exec_lo, exec_lo, s0
	s_and_saveexec_b32 s0, vcc_lo
	s_cbranch_execnz .LBB224_200
.LBB224_127:
	s_wait_alu 0xfffe
	s_or_b32 exec_lo, exec_lo, s0
	s_and_saveexec_b32 s0, vcc_lo
	s_cbranch_execnz .LBB224_201
.LBB224_128:
	s_wait_alu 0xfffe
	s_or_b32 exec_lo, exec_lo, s0
	s_and_saveexec_b32 s0, vcc_lo
	s_cbranch_execnz .LBB224_202
.LBB224_129:
	s_wait_alu 0xfffe
	s_or_b32 exec_lo, exec_lo, s0
	s_and_saveexec_b32 s0, vcc_lo
	s_cbranch_execnz .LBB224_203
.LBB224_130:
	s_wait_alu 0xfffe
	s_or_b32 exec_lo, exec_lo, s0
	s_and_saveexec_b32 s0, vcc_lo
	s_cbranch_execnz .LBB224_204
.LBB224_131:
	s_wait_alu 0xfffe
	s_or_b32 exec_lo, exec_lo, s0
	s_and_saveexec_b32 s0, vcc_lo
	s_cbranch_execnz .LBB224_205
.LBB224_132:
	s_wait_alu 0xfffe
	s_or_b32 exec_lo, exec_lo, s0
	s_and_saveexec_b32 s0, vcc_lo
	s_cbranch_execz .LBB224_134
.LBB224_133:
	ds_load_b32 v14, v11 offset:992
	s_wait_dscnt 0x0
	v_add_f32_e32 v32, v32, v14
.LBB224_134:
	s_wait_alu 0xfffe
	s_or_b32 exec_lo, exec_lo, s0
.LBB224_135:
	s_wait_alu 0xfffe
	s_or_b32 exec_lo, exec_lo, s1
	v_and_b32_e32 v14, 0x3e3, v0
	s_mov_b32 s1, exec_lo
	s_wait_loadcnt 0x0
	s_barrier_signal -1
	s_barrier_wait -1
	global_inv scope:SCOPE_SE
	v_cmpx_eq_u32_e32 32, v14
	s_cbranch_execz .LBB224_137
; %bb.136:
	ds_store_2addr_b32 v33, v1, v2 offset1:8
	ds_store_2addr_b32 v33, v3, v4 offset0:16 offset1:24
	ds_store_2addr_b32 v33, v5, v6 offset0:32 offset1:40
	;; [unrolled: 1-line block ×15, first 2 shown]
.LBB224_137:
	s_wait_alu 0xfffe
	s_or_b32 exec_lo, exec_lo, s1
	s_delay_alu instid0(SALU_CYCLE_1)
	s_mov_b32 s1, exec_lo
	s_wait_loadcnt_dscnt 0x0
	s_barrier_signal -1
	s_barrier_wait -1
	global_inv scope:SCOPE_SE
	v_cmpx_gt_u32_e32 32, v0
	s_cbranch_execz .LBB224_172
; %bb.138:
	s_and_saveexec_b32 s0, vcc_lo
	s_cbranch_execnz .LBB224_206
; %bb.139:
	s_wait_alu 0xfffe
	s_or_b32 exec_lo, exec_lo, s0
	s_and_saveexec_b32 s0, vcc_lo
	s_cbranch_execnz .LBB224_207
.LBB224_140:
	s_wait_alu 0xfffe
	s_or_b32 exec_lo, exec_lo, s0
	s_and_saveexec_b32 s0, vcc_lo
	s_cbranch_execnz .LBB224_208
.LBB224_141:
	s_wait_alu 0xfffe
	s_or_b32 exec_lo, exec_lo, s0
	s_and_saveexec_b32 s0, vcc_lo
	s_cbranch_execnz .LBB224_209
.LBB224_142:
	s_wait_alu 0xfffe
	s_or_b32 exec_lo, exec_lo, s0
	s_and_saveexec_b32 s0, vcc_lo
	s_cbranch_execnz .LBB224_210
.LBB224_143:
	s_wait_alu 0xfffe
	s_or_b32 exec_lo, exec_lo, s0
	s_and_saveexec_b32 s0, vcc_lo
	s_cbranch_execnz .LBB224_211
.LBB224_144:
	s_wait_alu 0xfffe
	s_or_b32 exec_lo, exec_lo, s0
	s_and_saveexec_b32 s0, vcc_lo
	s_cbranch_execnz .LBB224_212
.LBB224_145:
	s_wait_alu 0xfffe
	s_or_b32 exec_lo, exec_lo, s0
	s_and_saveexec_b32 s0, vcc_lo
	s_cbranch_execnz .LBB224_213
.LBB224_146:
	s_wait_alu 0xfffe
	s_or_b32 exec_lo, exec_lo, s0
	s_and_saveexec_b32 s0, vcc_lo
	s_cbranch_execnz .LBB224_214
.LBB224_147:
	s_wait_alu 0xfffe
	s_or_b32 exec_lo, exec_lo, s0
	s_and_saveexec_b32 s0, vcc_lo
	s_cbranch_execnz .LBB224_215
.LBB224_148:
	s_wait_alu 0xfffe
	s_or_b32 exec_lo, exec_lo, s0
	s_and_saveexec_b32 s0, vcc_lo
	s_cbranch_execnz .LBB224_216
.LBB224_149:
	s_wait_alu 0xfffe
	s_or_b32 exec_lo, exec_lo, s0
	s_and_saveexec_b32 s0, vcc_lo
	s_cbranch_execnz .LBB224_217
.LBB224_150:
	s_wait_alu 0xfffe
	s_or_b32 exec_lo, exec_lo, s0
	s_and_saveexec_b32 s0, vcc_lo
	s_cbranch_execnz .LBB224_218
.LBB224_151:
	s_wait_alu 0xfffe
	s_or_b32 exec_lo, exec_lo, s0
	s_and_saveexec_b32 s0, vcc_lo
	s_cbranch_execnz .LBB224_219
.LBB224_152:
	s_wait_alu 0xfffe
	s_or_b32 exec_lo, exec_lo, s0
	s_and_saveexec_b32 s0, vcc_lo
	s_cbranch_execnz .LBB224_220
.LBB224_153:
	s_wait_alu 0xfffe
	s_or_b32 exec_lo, exec_lo, s0
	s_and_saveexec_b32 s0, vcc_lo
	s_cbranch_execnz .LBB224_221
.LBB224_154:
	s_wait_alu 0xfffe
	s_or_b32 exec_lo, exec_lo, s0
	s_and_saveexec_b32 s0, vcc_lo
	s_cbranch_execnz .LBB224_222
.LBB224_155:
	s_wait_alu 0xfffe
	s_or_b32 exec_lo, exec_lo, s0
	s_and_saveexec_b32 s0, vcc_lo
	s_cbranch_execnz .LBB224_223
.LBB224_156:
	s_wait_alu 0xfffe
	s_or_b32 exec_lo, exec_lo, s0
	s_and_saveexec_b32 s0, vcc_lo
	s_cbranch_execnz .LBB224_224
.LBB224_157:
	s_wait_alu 0xfffe
	s_or_b32 exec_lo, exec_lo, s0
	s_and_saveexec_b32 s0, vcc_lo
	s_cbranch_execnz .LBB224_225
.LBB224_158:
	s_wait_alu 0xfffe
	s_or_b32 exec_lo, exec_lo, s0
	s_and_saveexec_b32 s0, vcc_lo
	s_cbranch_execnz .LBB224_226
.LBB224_159:
	s_wait_alu 0xfffe
	s_or_b32 exec_lo, exec_lo, s0
	s_and_saveexec_b32 s0, vcc_lo
	s_cbranch_execnz .LBB224_227
.LBB224_160:
	s_wait_alu 0xfffe
	s_or_b32 exec_lo, exec_lo, s0
	s_and_saveexec_b32 s0, vcc_lo
	s_cbranch_execnz .LBB224_228
.LBB224_161:
	s_wait_alu 0xfffe
	s_or_b32 exec_lo, exec_lo, s0
	s_and_saveexec_b32 s0, vcc_lo
	s_cbranch_execnz .LBB224_229
.LBB224_162:
	s_wait_alu 0xfffe
	s_or_b32 exec_lo, exec_lo, s0
	s_and_saveexec_b32 s0, vcc_lo
	s_cbranch_execnz .LBB224_230
.LBB224_163:
	s_wait_alu 0xfffe
	s_or_b32 exec_lo, exec_lo, s0
	s_and_saveexec_b32 s0, vcc_lo
	s_cbranch_execnz .LBB224_231
.LBB224_164:
	s_wait_alu 0xfffe
	s_or_b32 exec_lo, exec_lo, s0
	s_and_saveexec_b32 s0, vcc_lo
	s_cbranch_execnz .LBB224_232
.LBB224_165:
	s_wait_alu 0xfffe
	s_or_b32 exec_lo, exec_lo, s0
	s_and_saveexec_b32 s0, vcc_lo
	s_cbranch_execnz .LBB224_233
.LBB224_166:
	s_wait_alu 0xfffe
	s_or_b32 exec_lo, exec_lo, s0
	s_and_saveexec_b32 s0, vcc_lo
	s_cbranch_execnz .LBB224_234
.LBB224_167:
	s_wait_alu 0xfffe
	s_or_b32 exec_lo, exec_lo, s0
	s_and_saveexec_b32 s0, vcc_lo
	s_cbranch_execnz .LBB224_235
.LBB224_168:
	s_wait_alu 0xfffe
	s_or_b32 exec_lo, exec_lo, s0
	s_and_saveexec_b32 s0, vcc_lo
	s_cbranch_execnz .LBB224_236
.LBB224_169:
	s_wait_alu 0xfffe
	s_or_b32 exec_lo, exec_lo, s0
	s_and_saveexec_b32 s0, vcc_lo
	s_cbranch_execz .LBB224_171
.LBB224_170:
	ds_load_b32 v11, v11 offset:992
	s_wait_dscnt 0x0
	v_add_f32_e32 v32, v32, v11
.LBB224_171:
	s_wait_alu 0xfffe
	s_or_b32 exec_lo, exec_lo, s0
.LBB224_172:
	s_wait_alu 0xfffe
	s_or_b32 exec_lo, exec_lo, s1
	s_mov_b32 s1, 0
	s_wait_loadcnt 0x0
	s_barrier_signal -1
	s_barrier_wait -1
	global_inv scope:SCOPE_SE
	s_mov_b32 s0, exec_lo
	v_cmpx_eq_u32_e32 0, v14
	s_cbranch_execz .LBB224_174
; %bb.173:
	s_lshl_b32 s2, s14, 8
	s_mul_i32 s6, s12, s16
	s_wait_alu 0xfffe
	s_ashr_i32 s3, s2, 31
	s_ashr_i32 s7, s6, 31
	s_wait_alu 0xfffe
	s_lshl_b64 s[2:3], s[2:3], 2
	s_lshl_b64 s[6:7], s[6:7], 2
	s_wait_kmcnt 0x0
	s_wait_alu 0xfffe
	s_add_nc_u64 s[2:3], s[4:5], s[2:3]
	s_lshl_b32 s0, s26, 10
	s_wait_alu 0xfffe
	s_add_nc_u64 s[2:3], s[2:3], s[6:7]
	s_wait_alu 0xfffe
	s_add_nc_u64 s[0:1], s[2:3], s[0:1]
	s_clause 0x1f
	global_store_b32 v0, v1, s[0:1]
	global_store_b32 v0, v2, s[0:1] offset:32
	global_store_b32 v0, v3, s[0:1] offset:64
	;; [unrolled: 1-line block ×31, first 2 shown]
.LBB224_174:
	s_nop 0
	s_sendmsg sendmsg(MSG_DEALLOC_VGPRS)
	s_endpgm
.LBB224_175:
	ds_load_b32 v14, v11
	s_wait_dscnt 0x0
	v_add_f32_e32 v1, v1, v14
	s_wait_alu 0xfffe
	s_or_b32 exec_lo, exec_lo, s0
	s_and_saveexec_b32 s0, vcc_lo
	s_cbranch_execz .LBB224_103
.LBB224_176:
	ds_load_b32 v14, v11 offset:32
	s_wait_dscnt 0x0
	v_add_f32_e32 v2, v2, v14
	s_wait_alu 0xfffe
	s_or_b32 exec_lo, exec_lo, s0
	s_and_saveexec_b32 s0, vcc_lo
	s_cbranch_execz .LBB224_104
.LBB224_177:
	ds_load_b32 v14, v11 offset:64
	s_wait_dscnt 0x0
	v_add_f32_e32 v3, v3, v14
	s_wait_alu 0xfffe
	s_or_b32 exec_lo, exec_lo, s0
	s_and_saveexec_b32 s0, vcc_lo
	s_cbranch_execz .LBB224_105
.LBB224_178:
	ds_load_b32 v14, v11 offset:96
	s_wait_dscnt 0x0
	v_add_f32_e32 v4, v4, v14
	s_wait_alu 0xfffe
	s_or_b32 exec_lo, exec_lo, s0
	s_and_saveexec_b32 s0, vcc_lo
	s_cbranch_execz .LBB224_106
.LBB224_179:
	ds_load_b32 v14, v11 offset:128
	s_wait_dscnt 0x0
	v_add_f32_e32 v5, v5, v14
	s_wait_alu 0xfffe
	s_or_b32 exec_lo, exec_lo, s0
	s_and_saveexec_b32 s0, vcc_lo
	s_cbranch_execz .LBB224_107
.LBB224_180:
	ds_load_b32 v14, v11 offset:160
	s_wait_dscnt 0x0
	v_add_f32_e32 v6, v6, v14
	s_wait_alu 0xfffe
	s_or_b32 exec_lo, exec_lo, s0
	s_and_saveexec_b32 s0, vcc_lo
	s_cbranch_execz .LBB224_108
.LBB224_181:
	ds_load_b32 v14, v11 offset:192
	s_wait_dscnt 0x0
	v_add_f32_e32 v7, v7, v14
	s_wait_alu 0xfffe
	s_or_b32 exec_lo, exec_lo, s0
	s_and_saveexec_b32 s0, vcc_lo
	s_cbranch_execz .LBB224_109
.LBB224_182:
	ds_load_b32 v14, v11 offset:224
	s_wait_dscnt 0x0
	v_add_f32_e32 v8, v8, v14
	s_wait_alu 0xfffe
	s_or_b32 exec_lo, exec_lo, s0
	s_and_saveexec_b32 s0, vcc_lo
	s_cbranch_execz .LBB224_110
.LBB224_183:
	ds_load_b32 v14, v11 offset:256
	s_wait_dscnt 0x0
	v_add_f32_e32 v9, v9, v14
	s_wait_alu 0xfffe
	s_or_b32 exec_lo, exec_lo, s0
	s_and_saveexec_b32 s0, vcc_lo
	s_cbranch_execz .LBB224_111
.LBB224_184:
	ds_load_b32 v14, v11 offset:288
	s_wait_dscnt 0x0
	v_add_f32_e32 v10, v10, v14
	s_wait_alu 0xfffe
	s_or_b32 exec_lo, exec_lo, s0
	s_and_saveexec_b32 s0, vcc_lo
	s_cbranch_execz .LBB224_112
.LBB224_185:
	ds_load_b32 v14, v11 offset:320
	s_wait_dscnt 0x0
	v_add_f32_e32 v34, v34, v14
	s_wait_alu 0xfffe
	s_or_b32 exec_lo, exec_lo, s0
	s_and_saveexec_b32 s0, vcc_lo
	s_cbranch_execz .LBB224_113
.LBB224_186:
	ds_load_b32 v14, v11 offset:352
	s_wait_dscnt 0x0
	v_add_f32_e32 v35, v35, v14
	s_wait_alu 0xfffe
	s_or_b32 exec_lo, exec_lo, s0
	s_and_saveexec_b32 s0, vcc_lo
	s_cbranch_execz .LBB224_114
.LBB224_187:
	ds_load_b32 v14, v11 offset:384
	s_wait_dscnt 0x0
	v_add_f32_e32 v12, v12, v14
	s_wait_alu 0xfffe
	s_or_b32 exec_lo, exec_lo, s0
	s_and_saveexec_b32 s0, vcc_lo
	s_cbranch_execz .LBB224_115
.LBB224_188:
	ds_load_b32 v14, v11 offset:416
	s_wait_dscnt 0x0
	v_add_f32_e32 v15, v15, v14
	s_wait_alu 0xfffe
	s_or_b32 exec_lo, exec_lo, s0
	s_and_saveexec_b32 s0, vcc_lo
	s_cbranch_execz .LBB224_116
.LBB224_189:
	ds_load_b32 v14, v11 offset:448
	s_wait_dscnt 0x0
	v_add_f32_e32 v13, v13, v14
	s_wait_alu 0xfffe
	s_or_b32 exec_lo, exec_lo, s0
	s_and_saveexec_b32 s0, vcc_lo
	s_cbranch_execz .LBB224_117
.LBB224_190:
	ds_load_b32 v14, v11 offset:480
	s_wait_dscnt 0x0
	v_add_f32_e32 v16, v16, v14
	s_wait_alu 0xfffe
	s_or_b32 exec_lo, exec_lo, s0
	s_and_saveexec_b32 s0, vcc_lo
	s_cbranch_execz .LBB224_118
.LBB224_191:
	ds_load_b32 v14, v11 offset:512
	s_wait_dscnt 0x0
	v_add_f32_e32 v17, v17, v14
	s_wait_alu 0xfffe
	s_or_b32 exec_lo, exec_lo, s0
	s_and_saveexec_b32 s0, vcc_lo
	s_cbranch_execz .LBB224_119
.LBB224_192:
	ds_load_b32 v14, v11 offset:544
	s_wait_dscnt 0x0
	v_add_f32_e32 v18, v18, v14
	s_wait_alu 0xfffe
	s_or_b32 exec_lo, exec_lo, s0
	s_and_saveexec_b32 s0, vcc_lo
	s_cbranch_execz .LBB224_120
.LBB224_193:
	ds_load_b32 v14, v11 offset:576
	s_wait_dscnt 0x0
	v_add_f32_e32 v19, v19, v14
	s_wait_alu 0xfffe
	s_or_b32 exec_lo, exec_lo, s0
	s_and_saveexec_b32 s0, vcc_lo
	s_cbranch_execz .LBB224_121
.LBB224_194:
	ds_load_b32 v14, v11 offset:608
	s_wait_dscnt 0x0
	v_add_f32_e32 v20, v20, v14
	s_wait_alu 0xfffe
	s_or_b32 exec_lo, exec_lo, s0
	s_and_saveexec_b32 s0, vcc_lo
	s_cbranch_execz .LBB224_122
.LBB224_195:
	ds_load_b32 v14, v11 offset:640
	s_wait_dscnt 0x0
	v_add_f32_e32 v21, v21, v14
	s_wait_alu 0xfffe
	s_or_b32 exec_lo, exec_lo, s0
	s_and_saveexec_b32 s0, vcc_lo
	s_cbranch_execz .LBB224_123
.LBB224_196:
	ds_load_b32 v14, v11 offset:672
	s_wait_dscnt 0x0
	v_add_f32_e32 v22, v22, v14
	s_wait_alu 0xfffe
	s_or_b32 exec_lo, exec_lo, s0
	s_and_saveexec_b32 s0, vcc_lo
	s_cbranch_execz .LBB224_124
.LBB224_197:
	ds_load_b32 v14, v11 offset:704
	s_wait_dscnt 0x0
	v_add_f32_e32 v23, v23, v14
	s_wait_alu 0xfffe
	s_or_b32 exec_lo, exec_lo, s0
	s_and_saveexec_b32 s0, vcc_lo
	s_cbranch_execz .LBB224_125
.LBB224_198:
	ds_load_b32 v14, v11 offset:736
	s_wait_dscnt 0x0
	v_add_f32_e32 v24, v24, v14
	s_wait_alu 0xfffe
	s_or_b32 exec_lo, exec_lo, s0
	s_and_saveexec_b32 s0, vcc_lo
	s_cbranch_execz .LBB224_126
.LBB224_199:
	ds_load_b32 v14, v11 offset:768
	s_wait_dscnt 0x0
	v_add_f32_e32 v25, v25, v14
	s_wait_alu 0xfffe
	s_or_b32 exec_lo, exec_lo, s0
	s_and_saveexec_b32 s0, vcc_lo
	s_cbranch_execz .LBB224_127
.LBB224_200:
	ds_load_b32 v14, v11 offset:800
	s_wait_dscnt 0x0
	v_add_f32_e32 v26, v26, v14
	s_wait_alu 0xfffe
	s_or_b32 exec_lo, exec_lo, s0
	s_and_saveexec_b32 s0, vcc_lo
	s_cbranch_execz .LBB224_128
.LBB224_201:
	ds_load_b32 v14, v11 offset:832
	s_wait_dscnt 0x0
	v_add_f32_e32 v27, v27, v14
	s_wait_alu 0xfffe
	s_or_b32 exec_lo, exec_lo, s0
	s_and_saveexec_b32 s0, vcc_lo
	s_cbranch_execz .LBB224_129
.LBB224_202:
	ds_load_b32 v14, v11 offset:864
	s_wait_dscnt 0x0
	v_add_f32_e32 v28, v28, v14
	s_wait_alu 0xfffe
	s_or_b32 exec_lo, exec_lo, s0
	s_and_saveexec_b32 s0, vcc_lo
	s_cbranch_execz .LBB224_130
.LBB224_203:
	ds_load_b32 v14, v11 offset:896
	s_wait_dscnt 0x0
	v_add_f32_e32 v29, v29, v14
	s_wait_alu 0xfffe
	s_or_b32 exec_lo, exec_lo, s0
	s_and_saveexec_b32 s0, vcc_lo
	s_cbranch_execz .LBB224_131
.LBB224_204:
	ds_load_b32 v14, v11 offset:928
	s_wait_dscnt 0x0
	v_add_f32_e32 v30, v30, v14
	s_wait_alu 0xfffe
	s_or_b32 exec_lo, exec_lo, s0
	s_and_saveexec_b32 s0, vcc_lo
	s_cbranch_execz .LBB224_132
.LBB224_205:
	ds_load_b32 v14, v11 offset:960
	s_wait_dscnt 0x0
	v_add_f32_e32 v31, v31, v14
	s_wait_alu 0xfffe
	s_or_b32 exec_lo, exec_lo, s0
	s_and_saveexec_b32 s0, vcc_lo
	s_cbranch_execnz .LBB224_133
	s_branch .LBB224_134
.LBB224_206:
	ds_load_b32 v33, v11
	s_wait_dscnt 0x0
	v_add_f32_e32 v1, v1, v33
	s_wait_alu 0xfffe
	s_or_b32 exec_lo, exec_lo, s0
	s_and_saveexec_b32 s0, vcc_lo
	s_cbranch_execz .LBB224_140
.LBB224_207:
	ds_load_b32 v33, v11 offset:32
	s_wait_dscnt 0x0
	v_add_f32_e32 v2, v2, v33
	s_wait_alu 0xfffe
	s_or_b32 exec_lo, exec_lo, s0
	s_and_saveexec_b32 s0, vcc_lo
	s_cbranch_execz .LBB224_141
.LBB224_208:
	ds_load_b32 v33, v11 offset:64
	s_wait_dscnt 0x0
	v_add_f32_e32 v3, v3, v33
	s_wait_alu 0xfffe
	s_or_b32 exec_lo, exec_lo, s0
	s_and_saveexec_b32 s0, vcc_lo
	s_cbranch_execz .LBB224_142
.LBB224_209:
	ds_load_b32 v33, v11 offset:96
	s_wait_dscnt 0x0
	v_add_f32_e32 v4, v4, v33
	s_wait_alu 0xfffe
	s_or_b32 exec_lo, exec_lo, s0
	s_and_saveexec_b32 s0, vcc_lo
	s_cbranch_execz .LBB224_143
.LBB224_210:
	ds_load_b32 v33, v11 offset:128
	s_wait_dscnt 0x0
	v_add_f32_e32 v5, v5, v33
	s_wait_alu 0xfffe
	s_or_b32 exec_lo, exec_lo, s0
	s_and_saveexec_b32 s0, vcc_lo
	s_cbranch_execz .LBB224_144
.LBB224_211:
	ds_load_b32 v33, v11 offset:160
	s_wait_dscnt 0x0
	v_add_f32_e32 v6, v6, v33
	s_wait_alu 0xfffe
	s_or_b32 exec_lo, exec_lo, s0
	s_and_saveexec_b32 s0, vcc_lo
	s_cbranch_execz .LBB224_145
.LBB224_212:
	ds_load_b32 v33, v11 offset:192
	s_wait_dscnt 0x0
	v_add_f32_e32 v7, v7, v33
	s_wait_alu 0xfffe
	s_or_b32 exec_lo, exec_lo, s0
	s_and_saveexec_b32 s0, vcc_lo
	s_cbranch_execz .LBB224_146
.LBB224_213:
	ds_load_b32 v33, v11 offset:224
	s_wait_dscnt 0x0
	v_add_f32_e32 v8, v8, v33
	s_wait_alu 0xfffe
	s_or_b32 exec_lo, exec_lo, s0
	s_and_saveexec_b32 s0, vcc_lo
	s_cbranch_execz .LBB224_147
.LBB224_214:
	ds_load_b32 v33, v11 offset:256
	s_wait_dscnt 0x0
	v_add_f32_e32 v9, v9, v33
	s_wait_alu 0xfffe
	s_or_b32 exec_lo, exec_lo, s0
	s_and_saveexec_b32 s0, vcc_lo
	s_cbranch_execz .LBB224_148
.LBB224_215:
	ds_load_b32 v33, v11 offset:288
	s_wait_dscnt 0x0
	v_add_f32_e32 v10, v10, v33
	s_wait_alu 0xfffe
	s_or_b32 exec_lo, exec_lo, s0
	s_and_saveexec_b32 s0, vcc_lo
	s_cbranch_execz .LBB224_149
.LBB224_216:
	ds_load_b32 v33, v11 offset:320
	s_wait_dscnt 0x0
	v_add_f32_e32 v34, v34, v33
	s_wait_alu 0xfffe
	s_or_b32 exec_lo, exec_lo, s0
	s_and_saveexec_b32 s0, vcc_lo
	s_cbranch_execz .LBB224_150
.LBB224_217:
	ds_load_b32 v33, v11 offset:352
	s_wait_dscnt 0x0
	v_add_f32_e32 v35, v35, v33
	s_wait_alu 0xfffe
	s_or_b32 exec_lo, exec_lo, s0
	s_and_saveexec_b32 s0, vcc_lo
	s_cbranch_execz .LBB224_151
.LBB224_218:
	ds_load_b32 v33, v11 offset:384
	s_wait_dscnt 0x0
	v_add_f32_e32 v12, v12, v33
	s_wait_alu 0xfffe
	s_or_b32 exec_lo, exec_lo, s0
	s_and_saveexec_b32 s0, vcc_lo
	s_cbranch_execz .LBB224_152
.LBB224_219:
	ds_load_b32 v33, v11 offset:416
	s_wait_dscnt 0x0
	v_add_f32_e32 v15, v15, v33
	s_wait_alu 0xfffe
	s_or_b32 exec_lo, exec_lo, s0
	s_and_saveexec_b32 s0, vcc_lo
	s_cbranch_execz .LBB224_153
.LBB224_220:
	ds_load_b32 v33, v11 offset:448
	s_wait_dscnt 0x0
	v_add_f32_e32 v13, v13, v33
	s_wait_alu 0xfffe
	s_or_b32 exec_lo, exec_lo, s0
	s_and_saveexec_b32 s0, vcc_lo
	s_cbranch_execz .LBB224_154
.LBB224_221:
	ds_load_b32 v33, v11 offset:480
	s_wait_dscnt 0x0
	v_add_f32_e32 v16, v16, v33
	s_wait_alu 0xfffe
	s_or_b32 exec_lo, exec_lo, s0
	s_and_saveexec_b32 s0, vcc_lo
	s_cbranch_execz .LBB224_155
.LBB224_222:
	ds_load_b32 v33, v11 offset:512
	s_wait_dscnt 0x0
	v_add_f32_e32 v17, v17, v33
	s_wait_alu 0xfffe
	s_or_b32 exec_lo, exec_lo, s0
	s_and_saveexec_b32 s0, vcc_lo
	s_cbranch_execz .LBB224_156
.LBB224_223:
	ds_load_b32 v33, v11 offset:544
	s_wait_dscnt 0x0
	v_add_f32_e32 v18, v18, v33
	s_wait_alu 0xfffe
	s_or_b32 exec_lo, exec_lo, s0
	s_and_saveexec_b32 s0, vcc_lo
	s_cbranch_execz .LBB224_157
.LBB224_224:
	ds_load_b32 v33, v11 offset:576
	s_wait_dscnt 0x0
	v_add_f32_e32 v19, v19, v33
	s_wait_alu 0xfffe
	s_or_b32 exec_lo, exec_lo, s0
	s_and_saveexec_b32 s0, vcc_lo
	s_cbranch_execz .LBB224_158
.LBB224_225:
	ds_load_b32 v33, v11 offset:608
	s_wait_dscnt 0x0
	v_add_f32_e32 v20, v20, v33
	s_wait_alu 0xfffe
	s_or_b32 exec_lo, exec_lo, s0
	s_and_saveexec_b32 s0, vcc_lo
	s_cbranch_execz .LBB224_159
.LBB224_226:
	ds_load_b32 v33, v11 offset:640
	s_wait_dscnt 0x0
	v_add_f32_e32 v21, v21, v33
	s_wait_alu 0xfffe
	s_or_b32 exec_lo, exec_lo, s0
	s_and_saveexec_b32 s0, vcc_lo
	s_cbranch_execz .LBB224_160
.LBB224_227:
	ds_load_b32 v33, v11 offset:672
	s_wait_dscnt 0x0
	v_add_f32_e32 v22, v22, v33
	s_wait_alu 0xfffe
	s_or_b32 exec_lo, exec_lo, s0
	s_and_saveexec_b32 s0, vcc_lo
	s_cbranch_execz .LBB224_161
.LBB224_228:
	ds_load_b32 v33, v11 offset:704
	s_wait_dscnt 0x0
	v_add_f32_e32 v23, v23, v33
	s_wait_alu 0xfffe
	s_or_b32 exec_lo, exec_lo, s0
	s_and_saveexec_b32 s0, vcc_lo
	s_cbranch_execz .LBB224_162
.LBB224_229:
	ds_load_b32 v33, v11 offset:736
	s_wait_dscnt 0x0
	v_add_f32_e32 v24, v24, v33
	s_wait_alu 0xfffe
	s_or_b32 exec_lo, exec_lo, s0
	s_and_saveexec_b32 s0, vcc_lo
	s_cbranch_execz .LBB224_163
.LBB224_230:
	ds_load_b32 v33, v11 offset:768
	s_wait_dscnt 0x0
	v_add_f32_e32 v25, v25, v33
	s_wait_alu 0xfffe
	s_or_b32 exec_lo, exec_lo, s0
	s_and_saveexec_b32 s0, vcc_lo
	s_cbranch_execz .LBB224_164
.LBB224_231:
	ds_load_b32 v33, v11 offset:800
	s_wait_dscnt 0x0
	v_add_f32_e32 v26, v26, v33
	s_wait_alu 0xfffe
	s_or_b32 exec_lo, exec_lo, s0
	s_and_saveexec_b32 s0, vcc_lo
	s_cbranch_execz .LBB224_165
.LBB224_232:
	ds_load_b32 v33, v11 offset:832
	s_wait_dscnt 0x0
	v_add_f32_e32 v27, v27, v33
	s_wait_alu 0xfffe
	s_or_b32 exec_lo, exec_lo, s0
	s_and_saveexec_b32 s0, vcc_lo
	s_cbranch_execz .LBB224_166
.LBB224_233:
	ds_load_b32 v33, v11 offset:864
	s_wait_dscnt 0x0
	v_add_f32_e32 v28, v28, v33
	s_wait_alu 0xfffe
	s_or_b32 exec_lo, exec_lo, s0
	s_and_saveexec_b32 s0, vcc_lo
	s_cbranch_execz .LBB224_167
.LBB224_234:
	ds_load_b32 v33, v11 offset:896
	s_wait_dscnt 0x0
	v_add_f32_e32 v29, v29, v33
	s_wait_alu 0xfffe
	s_or_b32 exec_lo, exec_lo, s0
	s_and_saveexec_b32 s0, vcc_lo
	s_cbranch_execz .LBB224_168
.LBB224_235:
	ds_load_b32 v33, v11 offset:928
	s_wait_dscnt 0x0
	v_add_f32_e32 v30, v30, v33
	s_wait_alu 0xfffe
	s_or_b32 exec_lo, exec_lo, s0
	s_and_saveexec_b32 s0, vcc_lo
	s_cbranch_execz .LBB224_169
.LBB224_236:
	ds_load_b32 v33, v11 offset:960
	s_wait_dscnt 0x0
	v_add_f32_e32 v31, v31, v33
	s_wait_alu 0xfffe
	s_or_b32 exec_lo, exec_lo, s0
	s_and_saveexec_b32 s0, vcc_lo
	s_cbranch_execnz .LBB224_170
	s_branch .LBB224_171
	.section	.rodata,"a",@progbits
	.p2align	6, 0x0
	.amdhsa_kernel _ZN4vllm25paged_attention_v2_kernelIfhLi256ELi16ELi128ELNS_18Fp8KVCacheDataTypeE1ELb0ELi512EEEvPfS2_PT_PKS3_PKT0_S9_ifPKiSB_iPKfiiiSD_SD_iiiii
		.amdhsa_group_segment_fixed_size 1056
		.amdhsa_private_segment_fixed_size 104
		.amdhsa_kernarg_size 400
		.amdhsa_user_sgpr_count 2
		.amdhsa_user_sgpr_dispatch_ptr 0
		.amdhsa_user_sgpr_queue_ptr 0
		.amdhsa_user_sgpr_kernarg_segment_ptr 1
		.amdhsa_user_sgpr_dispatch_id 0
		.amdhsa_user_sgpr_private_segment_size 0
		.amdhsa_wavefront_size32 1
		.amdhsa_uses_dynamic_stack 0
		.amdhsa_enable_private_segment 1
		.amdhsa_system_sgpr_workgroup_id_x 1
		.amdhsa_system_sgpr_workgroup_id_y 1
		.amdhsa_system_sgpr_workgroup_id_z 1
		.amdhsa_system_sgpr_workgroup_info 0
		.amdhsa_system_vgpr_workitem_id 0
		.amdhsa_next_free_vgpr 189
		.amdhsa_next_free_sgpr 36
		.amdhsa_reserve_vcc 1
		.amdhsa_float_round_mode_32 0
		.amdhsa_float_round_mode_16_64 0
		.amdhsa_float_denorm_mode_32 3
		.amdhsa_float_denorm_mode_16_64 3
		.amdhsa_fp16_overflow 0
		.amdhsa_workgroup_processor_mode 1
		.amdhsa_memory_ordered 1
		.amdhsa_forward_progress 1
		.amdhsa_inst_pref_size 140
		.amdhsa_round_robin_scheduling 0
		.amdhsa_exception_fp_ieee_invalid_op 0
		.amdhsa_exception_fp_denorm_src 0
		.amdhsa_exception_fp_ieee_div_zero 0
		.amdhsa_exception_fp_ieee_overflow 0
		.amdhsa_exception_fp_ieee_underflow 0
		.amdhsa_exception_fp_ieee_inexact 0
		.amdhsa_exception_int_div_zero 0
	.end_amdhsa_kernel
	.section	.text._ZN4vllm25paged_attention_v2_kernelIfhLi256ELi16ELi128ELNS_18Fp8KVCacheDataTypeE1ELb0ELi512EEEvPfS2_PT_PKS3_PKT0_S9_ifPKiSB_iPKfiiiSD_SD_iiiii,"axG",@progbits,_ZN4vllm25paged_attention_v2_kernelIfhLi256ELi16ELi128ELNS_18Fp8KVCacheDataTypeE1ELb0ELi512EEEvPfS2_PT_PKS3_PKT0_S9_ifPKiSB_iPKfiiiSD_SD_iiiii,comdat
.Lfunc_end224:
	.size	_ZN4vllm25paged_attention_v2_kernelIfhLi256ELi16ELi128ELNS_18Fp8KVCacheDataTypeE1ELb0ELi512EEEvPfS2_PT_PKS3_PKT0_S9_ifPKiSB_iPKfiiiSD_SD_iiiii, .Lfunc_end224-_ZN4vllm25paged_attention_v2_kernelIfhLi256ELi16ELi128ELNS_18Fp8KVCacheDataTypeE1ELb0ELi512EEEvPfS2_PT_PKS3_PKT0_S9_ifPKiSB_iPKfiiiSD_SD_iiiii
                                        ; -- End function
	.set _ZN4vllm25paged_attention_v2_kernelIfhLi256ELi16ELi128ELNS_18Fp8KVCacheDataTypeE1ELb0ELi512EEEvPfS2_PT_PKS3_PKT0_S9_ifPKiSB_iPKfiiiSD_SD_iiiii.num_vgpr, 189
	.set _ZN4vllm25paged_attention_v2_kernelIfhLi256ELi16ELi128ELNS_18Fp8KVCacheDataTypeE1ELb0ELi512EEEvPfS2_PT_PKS3_PKT0_S9_ifPKiSB_iPKfiiiSD_SD_iiiii.num_agpr, 0
	.set _ZN4vllm25paged_attention_v2_kernelIfhLi256ELi16ELi128ELNS_18Fp8KVCacheDataTypeE1ELb0ELi512EEEvPfS2_PT_PKS3_PKT0_S9_ifPKiSB_iPKfiiiSD_SD_iiiii.numbered_sgpr, 36
	.set _ZN4vllm25paged_attention_v2_kernelIfhLi256ELi16ELi128ELNS_18Fp8KVCacheDataTypeE1ELb0ELi512EEEvPfS2_PT_PKS3_PKT0_S9_ifPKiSB_iPKfiiiSD_SD_iiiii.num_named_barrier, 0
	.set _ZN4vllm25paged_attention_v2_kernelIfhLi256ELi16ELi128ELNS_18Fp8KVCacheDataTypeE1ELb0ELi512EEEvPfS2_PT_PKS3_PKT0_S9_ifPKiSB_iPKfiiiSD_SD_iiiii.private_seg_size, 104
	.set _ZN4vllm25paged_attention_v2_kernelIfhLi256ELi16ELi128ELNS_18Fp8KVCacheDataTypeE1ELb0ELi512EEEvPfS2_PT_PKS3_PKT0_S9_ifPKiSB_iPKfiiiSD_SD_iiiii.uses_vcc, 1
	.set _ZN4vllm25paged_attention_v2_kernelIfhLi256ELi16ELi128ELNS_18Fp8KVCacheDataTypeE1ELb0ELi512EEEvPfS2_PT_PKS3_PKT0_S9_ifPKiSB_iPKfiiiSD_SD_iiiii.uses_flat_scratch, 0
	.set _ZN4vllm25paged_attention_v2_kernelIfhLi256ELi16ELi128ELNS_18Fp8KVCacheDataTypeE1ELb0ELi512EEEvPfS2_PT_PKS3_PKT0_S9_ifPKiSB_iPKfiiiSD_SD_iiiii.has_dyn_sized_stack, 0
	.set _ZN4vllm25paged_attention_v2_kernelIfhLi256ELi16ELi128ELNS_18Fp8KVCacheDataTypeE1ELb0ELi512EEEvPfS2_PT_PKS3_PKT0_S9_ifPKiSB_iPKfiiiSD_SD_iiiii.has_recursion, 0
	.set _ZN4vllm25paged_attention_v2_kernelIfhLi256ELi16ELi128ELNS_18Fp8KVCacheDataTypeE1ELb0ELi512EEEvPfS2_PT_PKS3_PKT0_S9_ifPKiSB_iPKfiiiSD_SD_iiiii.has_indirect_call, 0
	.section	.AMDGPU.csdata,"",@progbits
; Kernel info:
; codeLenInByte = 17812
; TotalNumSgprs: 38
; NumVgprs: 189
; ScratchSize: 104
; MemoryBound: 0
; FloatMode: 240
; IeeeMode: 1
; LDSByteSize: 1056 bytes/workgroup (compile time only)
; SGPRBlocks: 0
; VGPRBlocks: 23
; NumSGPRsForWavesPerEU: 38
; NumVGPRsForWavesPerEU: 189
; Occupancy: 8
; WaveLimiterHint : 1
; COMPUTE_PGM_RSRC2:SCRATCH_EN: 1
; COMPUTE_PGM_RSRC2:USER_SGPR: 2
; COMPUTE_PGM_RSRC2:TRAP_HANDLER: 0
; COMPUTE_PGM_RSRC2:TGID_X_EN: 1
; COMPUTE_PGM_RSRC2:TGID_Y_EN: 1
; COMPUTE_PGM_RSRC2:TGID_Z_EN: 1
; COMPUTE_PGM_RSRC2:TIDIG_COMP_CNT: 0
	.section	.text._ZN4vllm25paged_attention_v2_kernelIfhLi32ELi32ELi128ELNS_18Fp8KVCacheDataTypeE1ELb1ELi512EEEvPfS2_PT_PKS3_PKT0_S9_ifPKiSB_iPKfiiiSD_SD_iiiii,"axG",@progbits,_ZN4vllm25paged_attention_v2_kernelIfhLi32ELi32ELi128ELNS_18Fp8KVCacheDataTypeE1ELb1ELi512EEEvPfS2_PT_PKS3_PKT0_S9_ifPKiSB_iPKfiiiSD_SD_iiiii,comdat
	.protected	_ZN4vllm25paged_attention_v2_kernelIfhLi32ELi32ELi128ELNS_18Fp8KVCacheDataTypeE1ELb1ELi512EEEvPfS2_PT_PKS3_PKT0_S9_ifPKiSB_iPKfiiiSD_SD_iiiii ; -- Begin function _ZN4vllm25paged_attention_v2_kernelIfhLi32ELi32ELi128ELNS_18Fp8KVCacheDataTypeE1ELb1ELi512EEEvPfS2_PT_PKS3_PKT0_S9_ifPKiSB_iPKfiiiSD_SD_iiiii
	.globl	_ZN4vllm25paged_attention_v2_kernelIfhLi32ELi32ELi128ELNS_18Fp8KVCacheDataTypeE1ELb1ELi512EEEvPfS2_PT_PKS3_PKT0_S9_ifPKiSB_iPKfiiiSD_SD_iiiii
	.p2align	8
	.type	_ZN4vllm25paged_attention_v2_kernelIfhLi32ELi32ELi128ELNS_18Fp8KVCacheDataTypeE1ELb1ELi512EEEvPfS2_PT_PKS3_PKT0_S9_ifPKiSB_iPKfiiiSD_SD_iiiii,@function
_ZN4vllm25paged_attention_v2_kernelIfhLi32ELi32ELi128ELNS_18Fp8KVCacheDataTypeE1ELb1ELi512EEEvPfS2_PT_PKS3_PKT0_S9_ifPKiSB_iPKfiiiSD_SD_iiiii: ; @_ZN4vllm25paged_attention_v2_kernelIfhLi32ELi32ELi128ELNS_18Fp8KVCacheDataTypeE1ELb1ELi512EEEvPfS2_PT_PKS3_PKT0_S9_ifPKiSB_iPKfiiiSD_SD_iiiii
; %bb.0:
	s_load_b64 s[2:3], s[0:1], 0x40
	s_and_b32 s19, ttmp7, 0xffff
	s_lshr_b32 s33, ttmp7, 16
	s_lshl_b32 s4, s19, 2
	s_lshl_b32 s37, s33, 9
	s_wait_kmcnt 0x0
	s_load_b32 s34, s[2:3], s4 offset:0x0
	s_wait_kmcnt 0x0
	s_cmp_ge_i32 s37, s34
	s_cbranch_scc1 .LBB225_84
; %bb.1:
	s_clause 0x1
	s_load_b32 s36, s[0:1], 0x90
	s_load_b64 s[12:13], s[0:1], 0x30
	s_wait_kmcnt 0x0
	s_abs_i32 s5, s36
	s_abs_i32 s2, s12
	s_delay_alu instid0(SALU_CYCLE_1) | instskip(SKIP_1) | instid1(SALU_CYCLE_2)
	s_cvt_f32_u32 s3, s2
	s_sub_co_i32 s4, 0, s2
	v_rcp_iflag_f32_e32 v1, s3
	s_delay_alu instid0(TRANS32_DEP_1) | instskip(SKIP_2) | instid1(SALU_CYCLE_2)
	v_readfirstlane_b32 s3, v1
	s_mul_f32 s3, s3, 0x4f7ffffe
	s_wait_alu 0xfffe
	s_cvt_u32_f32 s3, s3
	s_wait_alu 0xfffe
	s_delay_alu instid0(SALU_CYCLE_2) | instskip(NEXT) | instid1(SALU_CYCLE_1)
	s_mul_i32 s4, s4, s3
	s_mul_hi_u32 s4, s3, s4
	s_delay_alu instid0(SALU_CYCLE_1)
	s_add_co_i32 s3, s3, s4
	s_xor_b32 s4, s36, s12
	s_wait_alu 0xfffe
	s_mul_hi_u32 s3, s5, s3
	s_ashr_i32 s4, s4, 31
	s_wait_alu 0xfffe
	s_mul_i32 s6, s3, s2
	s_delay_alu instid0(SALU_CYCLE_1)
	s_sub_co_i32 s5, s5, s6
	s_add_co_i32 s6, s3, 1
	s_sub_co_i32 s7, s5, s2
	s_cmp_ge_u32 s5, s2
	s_cselect_b32 s3, s6, s3
	s_cselect_b32 s5, s7, s5
	s_wait_alu 0xfffe
	s_add_co_i32 s6, s3, 1
	s_cmp_ge_u32 s5, s2
	s_cselect_b32 s2, s6, s3
	s_load_b64 s[6:7], s[0:1], 0x50
	s_xor_b32 s2, s2, s4
	s_mov_b32 s3, 0
	s_wait_alu 0xfffe
	s_sub_co_i32 s11, s2, s4
	s_mov_b32 s30, s3
	s_abs_i32 s10, s11
	s_delay_alu instid0(SALU_CYCLE_1) | instskip(SKIP_1) | instid1(SALU_CYCLE_2)
	s_cvt_f32_u32 s2, s10
	s_wait_alu 0xfffe
	v_rcp_iflag_f32_e32 v1, s2
	s_delay_alu instid0(TRANS32_DEP_1) | instskip(SKIP_2) | instid1(SALU_CYCLE_2)
	v_readfirstlane_b32 s2, v1
	s_mul_f32 s2, s2, 0x4f7ffffe
	s_wait_alu 0xfffe
	s_cvt_u32_f32 s4, s2
	s_sub_co_i32 s2, 0, s10
	s_wait_alu 0xfffe
	s_delay_alu instid0(SALU_CYCLE_1)
	s_mul_i32 s2, s2, s4
	s_wait_alu 0xfffe
	s_mul_hi_u32 s5, s4, s2
	s_abs_i32 s2, ttmp9
	s_add_co_i32 s4, s4, s5
	s_mov_b32 s5, s3
	s_wait_kmcnt 0x0
	s_cmp_eq_u64 s[6:7], 0
	s_cbranch_scc1 .LBB225_3
; %bb.2:
	s_mov_b32 s8, ttmp9
	s_ashr_i32 s9, ttmp9, 31
	s_delay_alu instid0(SALU_CYCLE_1) | instskip(NEXT) | instid1(SALU_CYCLE_1)
	s_lshl_b64 s[8:9], s[8:9], 2
	s_add_nc_u64 s[6:7], s[6:7], s[8:9]
	s_load_b32 s30, s[6:7], 0x0
.LBB225_3:
	s_load_b96 s[16:18], s[0:1], 0x58
	s_mul_u64 s[8:9], s[2:3], s[4:5]
	s_ashr_i32 s3, ttmp9, 31
	s_ashr_i32 s8, s11, 31
	s_lshl_b32 s20, ttmp9, 5
	s_mov_b32 s4, exec_lo
	v_cmpx_gt_u32_e32 8, v0
	s_cbranch_execz .LBB225_5
; %bb.4:
	s_load_b64 s[6:7], s[0:1], 0x18
	s_wait_kmcnt 0x0
	s_mul_i32 s14, s16, s19
	s_ashr_i32 s21, s20, 31
	s_ashr_i32 s15, s14, 31
	v_lshlrev_b32_e32 v5, 4, v0
	s_lshl_b64 s[14:15], s[14:15], 2
	s_delay_alu instid0(SALU_CYCLE_1) | instskip(SKIP_1) | instid1(SALU_CYCLE_1)
	s_add_nc_u64 s[6:7], s[6:7], s[14:15]
	s_lshl_b64 s[14:15], s[20:21], 2
	s_add_nc_u64 s[6:7], s[6:7], s[14:15]
	global_load_b128 v[1:4], v5, s[6:7]
	s_wait_loadcnt 0x0
	ds_store_b128 v5, v[1:4]
.LBB225_5:
	s_or_b32 exec_lo, exec_lo, s4
	s_load_b128 s[4:7], s[0:1], 0x78
	s_mul_i32 s11, s9, s10
	s_xor_b32 s3, s3, s8
	s_sub_co_i32 s2, s2, s11
	s_add_co_i32 s8, s9, 1
	s_wait_alu 0xfffe
	s_sub_co_i32 s11, s2, s10
	s_cmp_ge_u32 s2, s10
                                        ; implicit-def: $sgpr21
	s_cselect_b32 s8, s8, s9
	s_cselect_b32 s2, s11, s2
	s_add_co_i32 s9, s8, 1
	s_wait_alu 0xfffe
	s_cmp_ge_u32 s2, s10
	s_mov_b32 s10, -1
	s_cselect_b32 s2, s9, s8
	s_load_b32 s8, s[0:1], 0x88
	s_xor_b32 s2, s2, s3
	s_wait_dscnt 0x0
	s_wait_alu 0xfffe
	s_sub_co_i32 s28, s2, s3
	s_barrier_signal -1
	s_barrier_wait -1
	s_wait_kmcnt 0x0
	s_abs_i32 s16, s7
	global_inv scope:SCOPE_SE
	s_cvt_f32_u32 s9, s16
	s_delay_alu instid0(SALU_CYCLE_3) | instskip(NEXT) | instid1(TRANS32_DEP_1)
	v_rcp_iflag_f32_e32 v1, s9
	v_readfirstlane_b32 s9, v1
	s_mul_f32 s2, s9, 0x4f7ffffe
	s_add_co_i32 s9, s34, -1
	s_wait_alu 0xfffe
	s_delay_alu instid0(SALU_CYCLE_1) | instskip(SKIP_2) | instid1(SALU_CYCLE_1)
	s_cvt_u32_f32 s11, s2
	s_sub_co_i32 s2, 0, s16
	s_wait_alu 0xfffe
	s_mul_i32 s3, s2, s11
	s_abs_i32 s2, s9
	s_wait_alu 0xfffe
	s_mul_hi_u32 s14, s11, s3
	s_mov_b32 s3, 0
	s_add_co_i32 s22, s11, s14
	s_cmp_lt_i32 s8, 0
	s_wait_alu 0xfffe
	s_mov_b32 s23, s3
	s_cbranch_scc0 .LBB225_7
; %bb.6:
	s_mul_i32 s10, s4, s12
	s_delay_alu instid0(SALU_CYCLE_1) | instskip(NEXT) | instid1(SALU_CYCLE_1)
	s_add_co_i32 s10, s28, s10
	s_mul_i32 s10, s10, s8
	s_delay_alu instid0(SALU_CYCLE_1)
	s_sub_co_i32 s21, 1, s10
	s_mov_b32 s10, s3
.LBB225_7:
	s_mul_u64 s[14:15], s[2:3], s[22:23]
	s_ashr_i32 s3, s9, 31
	s_and_not1_b32 vcc_lo, exec_lo, s10
	s_ashr_i32 s23, s7, 31
	s_cbranch_vccnz .LBB225_9
; %bb.8:
	s_mul_i32 s4, s36, s4
	s_delay_alu instid0(SALU_CYCLE_1) | instskip(NEXT) | instid1(SALU_CYCLE_1)
	s_add_co_i32 s4, s4, ttmp9
	s_mul_i32 s4, s4, s8
	s_delay_alu instid0(SALU_CYCLE_1)
	s_add_co_i32 s21, s4, 1
.LBB225_9:
	s_clause 0x3
	s_load_b32 s4, s[0:1], 0x48
	s_load_b64 s[24:25], s[0:1], 0x38
	s_load_b32 s7, s[0:1], 0x98
	s_load_b128 s[8:11], s[0:1], 0x68
	s_mul_i32 s12, s15, s16
	s_xor_b32 s3, s3, s23
	s_sub_co_i32 s2, s2, s12
	s_add_co_i32 s14, s15, 1
	v_lshrrev_b32_e32 v37, 5, v0
	v_dual_mov_b32 v43, 0xff7fffff :: v_dual_and_b32 v38, 31, v0
	s_mul_i32 s28, s28, s18
	s_delay_alu instid0(VALU_DEP_2) | instskip(NEXT) | instid1(VALU_DEP_2)
	v_lshl_add_u32 v39, v37, 5, s37
	v_lshlrev_b32_e32 v42, 2, v38
	s_wait_kmcnt 0x0
	s_mul_i32 s26, s4, s19
	s_wait_alu 0xfffe
	s_sub_co_i32 s4, s2, s16
	s_ashr_i32 s27, s26, 31
	s_cmp_ge_u32 s2, s16
	s_cselect_b32 s12, s14, s15
	s_cselect_b32 s2, s4, s2
	s_add_co_i32 s4, s12, 1
	s_wait_alu 0xfffe
	s_cmp_ge_u32 s2, s16
	s_cselect_b32 s2, s4, s12
	s_add_co_i32 s4, s34, 31
	s_lshl_b32 s40, s33, 4
	s_ashr_i32 s12, s4, 31
	v_add_nc_u32_e32 v40, s40, v37
	s_lshr_b32 s12, s12, 27
	s_delay_alu instid0(SALU_CYCLE_1)
	s_add_co_i32 s4, s4, s12
	s_add_co_i32 s12, s40, 16
	s_ashr_i32 s38, s4, 5
	s_wait_alu 0xfffe
	s_xor_b32 s4, s2, s3
	s_min_i32 s35, s12, s38
	v_lshlrev_b32_e32 v41, 2, v40
	v_cmp_gt_i32_e64 s2, s35, v40
	s_sub_co_i32 s39, s4, s3
	s_and_saveexec_b32 s12, s2
	s_cbranch_execz .LBB225_17
; %bb.10:
	s_sub_co_i32 s14, s39, s5
	s_ashr_i32 s29, s28, 31
	s_cmp_neq_f32 s30, 0
	s_load_b64 s[42:43], s[0:1], 0x20
	v_lshl_or_b32 v46, v37, 7, v42
	v_mov_b32_e32 v29, 0
	s_cselect_b32 vcc_lo, -1, 0
	s_abs_i32 s15, s6
	v_dual_mov_b32 v48, v40 :: v_dual_lshlrev_b32 v33, 4, v38
	s_cvt_f32_u32 s3, s15
	v_add_nc_u32_e32 v46, 0xa0, v46
	ds_load_b128 v[1:4], v29
	ds_load_b128 v[5:8], v29 offset:16
	ds_load_b128 v[9:12], v29 offset:32
	;; [unrolled: 1-line block ×3, first 2 shown]
	s_lshl_b64 s[44:45], s[26:27], 2
	s_wait_alu 0xfffe
	v_rcp_iflag_f32_e32 v17, s3
	v_subrev_nc_u32_e32 v43, s34, v38
	s_add_nc_u64 s[44:45], s[24:25], s[44:45]
	s_sub_co_i32 s4, 0, s15
	v_lshl_add_u32 v44, v37, 5, s37
	v_mov_b32_e32 v47, 0xff7fffff
	v_add_nc_u32_e32 v45, 1, v43
	v_mov_b32_e32 v43, 0xff7fffff
	s_mov_b32 s18, s17
	s_wait_kmcnt 0x0
	s_add_nc_u64 s[42:43], s[42:43], s[28:29]
	v_readfirstlane_b32 s3, v17
	ds_load_b128 v[17:20], v29 offset:64
	ds_load_b128 v[21:24], v29 offset:80
	;; [unrolled: 1-line block ×4, first 2 shown]
	v_add_co_u32 v33, s29, s42, v33
	s_delay_alu instid0(VALU_DEP_1)
	v_add_co_ci_u32_e64 v34, null, s43, 0, s29
	s_mul_f32 s3, s3, 0x4f7ffffe
	v_add_co_u32 v35, s29, s44, v41
	s_wait_alu 0xf1ff
	v_add_co_ci_u32_e64 v36, null, s45, 0, s29
	s_wait_alu 0xfffe
	s_cvt_u32_f32 s3, s3
	s_mov_b32 s29, 0
	s_wait_alu 0xfffe
	s_delay_alu instid0(SALU_CYCLE_1) | instskip(NEXT) | instid1(SALU_CYCLE_1)
	s_mul_i32 s4, s4, s3
	s_mul_hi_u32 s4, s3, s4
	s_delay_alu instid0(SALU_CYCLE_1)
	s_add_co_i32 s31, s3, s4
	s_branch .LBB225_12
.LBB225_11:                             ;   in Loop: Header=BB225_12 Depth=1
	s_wait_alu 0xfffe
	s_or_b32 exec_lo, exec_lo, s4
	v_add_nc_u32_e32 v48, 4, v48
	v_add_co_u32 v35, s4, v35, 16
	s_wait_alu 0xf1ff
	v_add_co_ci_u32_e64 v36, null, 0, v36, s4
	s_delay_alu instid0(VALU_DEP_3)
	v_cmp_le_i32_e64 s3, s35, v48
	v_add_nc_u32_e32 v44, 0x80, v44
	v_add_nc_u32_e32 v46, 0x200, v46
	s_or_b32 s29, s3, s29
	s_wait_alu 0xfffe
	s_and_not1_b32 exec_lo, exec_lo, s29
	s_cbranch_execz .LBB225_16
.LBB225_12:                             ; =>This Inner Loop Header: Depth=1
	v_sub_nc_u32_e32 v49, 0, v44
	s_delay_alu instid0(VALU_DEP_1) | instskip(NEXT) | instid1(VALU_DEP_1)
	v_max_i32_e32 v49, v44, v49
	v_mul_hi_u32 v50, v49, s22
	s_delay_alu instid0(VALU_DEP_1) | instskip(NEXT) | instid1(VALU_DEP_1)
	v_mul_lo_u32 v51, v50, s16
	v_sub_nc_u32_e32 v49, v49, v51
	v_add_nc_u32_e32 v51, 1, v50
	s_delay_alu instid0(VALU_DEP_2) | instskip(SKIP_2) | instid1(VALU_DEP_1)
	v_subrev_nc_u32_e32 v52, s16, v49
	v_cmp_le_u32_e64 s3, s16, v49
	s_wait_alu 0xf1ff
	v_cndmask_b32_e64 v50, v50, v51, s3
	s_delay_alu instid0(VALU_DEP_3) | instskip(SKIP_1) | instid1(VALU_DEP_3)
	v_cndmask_b32_e64 v49, v49, v52, s3
	v_ashrrev_i32_e32 v51, 31, v44
	v_add_nc_u32_e32 v52, 1, v50
	s_delay_alu instid0(VALU_DEP_3) | instskip(NEXT) | instid1(VALU_DEP_3)
	v_cmp_le_u32_e64 s3, s16, v49
	v_xor_b32_e32 v51, s23, v51
	s_wait_alu 0xf1ff
	s_delay_alu instid0(VALU_DEP_2) | instskip(NEXT) | instid1(VALU_DEP_1)
	v_cndmask_b32_e64 v49, v50, v52, s3
	v_xor_b32_e32 v49, v49, v51
	s_delay_alu instid0(VALU_DEP_1) | instskip(NEXT) | instid1(VALU_DEP_1)
	v_sub_nc_u32_e32 v49, v49, v51
	v_add_nc_u32_e32 v50, s21, v49
	v_cmp_ge_i32_e64 s4, s14, v49
	s_delay_alu instid0(VALU_DEP_2) | instskip(NEXT) | instid1(VALU_DEP_1)
	v_sub_nc_u32_e32 v51, 0, v50
	v_max_i32_e32 v51, v50, v51
	v_ashrrev_i32_e32 v50, 31, v50
	s_delay_alu instid0(VALU_DEP_2) | instskip(NEXT) | instid1(VALU_DEP_1)
	v_mul_hi_u32 v52, v51, s31
	v_mul_lo_u32 v52, v52, s15
	s_delay_alu instid0(VALU_DEP_1) | instskip(NEXT) | instid1(VALU_DEP_1)
	v_sub_nc_u32_e32 v51, v51, v52
	v_subrev_nc_u32_e32 v52, s15, v51
	v_cmp_le_u32_e64 s3, s15, v51
	s_wait_alu 0xf1ff
	s_delay_alu instid0(VALU_DEP_1) | instskip(NEXT) | instid1(VALU_DEP_1)
	v_cndmask_b32_e64 v51, v51, v52, s3
	v_subrev_nc_u32_e32 v52, s15, v51
	v_cmp_le_u32_e64 s3, s15, v51
	s_wait_alu 0xf1ff
	s_delay_alu instid0(VALU_DEP_1) | instskip(NEXT) | instid1(VALU_DEP_1)
	v_cndmask_b32_e64 v51, v51, v52, s3
	v_xor_b32_e32 v51, v51, v50
	s_delay_alu instid0(VALU_DEP_1) | instskip(NEXT) | instid1(VALU_DEP_1)
	v_sub_nc_u32_e32 v50, v51, v50
	v_cmp_ne_u32_e64 s3, 0, v50
	s_and_b32 s3, s3, s4
	s_wait_alu 0xfffe
	s_and_saveexec_b32 s4, s3
	s_wait_alu 0xfffe
	s_xor_b32 s3, exec_lo, s4
; %bb.13:                               ;   in Loop: Header=BB225_12 Depth=1
	ds_store_b32 v46, v47
; %bb.14:                               ;   in Loop: Header=BB225_12 Depth=1
	s_wait_alu 0xfffe
	s_and_not1_saveexec_b32 s4, s3
	s_cbranch_execz .LBB225_11
; %bb.15:                               ;   in Loop: Header=BB225_12 Depth=1
	global_load_b32 v49, v[35:36], off
	s_wait_loadcnt 0x0
	v_mad_co_i64_i32 v[53:54], null, v49, s18, v[33:34]
	s_clause 0x1
	global_load_b128 v[49:52], v[53:54], off
	global_load_b128 v[53:56], v[53:54], off offset:512
	s_load_b32 s3, s[8:9], 0x0
	s_wait_loadcnt 0x1
	v_lshrrev_b32_e32 v60, 16, v50
	v_lshrrev_b32_e32 v58, 16, v49
	s_wait_loadcnt 0x0
	v_and_b32_e32 v73, 0xffff, v55
	v_lshrrev_b32_e32 v75, 16, v55
	v_and_b32_e32 v77, 0xffff, v56
	v_lshrrev_b32_e32 v79, 16, v56
	v_cvt_pk_f32_fp8_e32 v[55:56], v60
	v_and_b32_e32 v59, 0xffff, v50
	v_lshrrev_b32_e32 v62, 16, v51
	v_and_b32_e32 v63, 0xffff, v52
	v_lshrrev_b32_e32 v64, 16, v52
	;; [unrolled: 2-line block ×4, first 2 shown]
	s_wait_kmcnt 0x0
	v_mul_f32_e32 v56, s3, v56
	v_cvt_pk_f32_fp8_e32 v[53:54], v59
	v_and_b32_e32 v61, 0xffff, v51
	v_cvt_pk_f32_fp8_e32 v[51:52], v58
	v_and_b32_e32 v57, 0xffff, v49
	v_cvt_pk_f32_fp8_e32 v[59:60], v62
	v_dual_mul_f32 v54, s3, v54 :: v_dual_mul_f32 v55, s3, v55
	s_delay_alu instid0(VALU_DEP_4) | instskip(NEXT) | instid1(VALU_DEP_4)
	v_mul_f32_e32 v52, s3, v52
	v_cvt_pk_f32_fp8_e32 v[49:50], v57
	v_add_nc_u32_e32 v81, v45, v44
	v_cvt_pk_f32_fp8_e32 v[57:58], v61
	s_wait_dscnt 0x6
	v_mul_f32_e32 v54, v6, v54
	v_cvt_pk_f32_fp8_e32 v[67:68], v67
	v_dual_mul_f32 v50, s3, v50 :: v_dual_mul_f32 v59, s3, v59
	v_mul_f32_e32 v58, s3, v58
	v_cvt_pk_f32_fp8_e32 v[61:62], v63
	v_cvt_pk_f32_fp8_e32 v[63:64], v64
	s_delay_alu instid0(VALU_DEP_4)
	v_fmac_f32_e32 v54, v2, v50
	v_cvt_pk_f32_fp8_e32 v[71:72], v71
	v_dual_mul_f32 v53, s3, v53 :: v_dual_mul_f32 v60, s3, v60
	v_cvt_pk_f32_fp8_e32 v[65:66], v65
	v_dual_mul_f32 v62, s3, v62 :: v_dual_mul_f32 v61, s3, v61
	v_dual_mul_f32 v50, v8, v56 :: v_dual_mul_f32 v63, s3, v63
	s_wait_dscnt 0x5
	v_dual_fmac_f32 v54, v10, v58 :: v_dual_mul_f32 v49, s3, v49
	v_mul_f32_e32 v68, s3, v68
	v_mul_f32_e32 v64, s3, v64
	v_cvt_pk_f32_fp8_e32 v[69:70], v69
	v_dual_mul_f32 v66, s3, v66 :: v_dual_mul_f32 v65, s3, v65
	v_dual_fmac_f32 v50, v4, v52 :: v_dual_mul_f32 v67, s3, v67
	s_wait_dscnt 0x4
	v_fmac_f32_e32 v54, v14, v62
	v_dual_mul_f32 v72, s3, v72 :: v_dual_mul_f32 v53, v5, v53
	s_delay_alu instid0(VALU_DEP_3) | instskip(SKIP_3) | instid1(VALU_DEP_3)
	v_fmac_f32_e32 v50, v12, v60
	v_cvt_pk_f32_fp8_e32 v[73:74], v73
	v_cvt_pk_f32_fp8_e32 v[77:78], v77
	v_dual_mul_f32 v51, s3, v51 :: v_dual_mul_f32 v70, s3, v70
	v_dual_mul_f32 v57, s3, v57 :: v_dual_mul_f32 v74, s3, v74
	s_wait_dscnt 0x3
	v_dual_mul_f32 v71, s3, v71 :: v_dual_fmac_f32 v54, v18, v66
	v_dual_mul_f32 v55, v7, v55 :: v_dual_mul_f32 v56, s3, v78
	v_dual_fmac_f32 v53, v1, v49 :: v_dual_fmac_f32 v50, v16, v64
	s_wait_dscnt 0x2
	s_delay_alu instid0(VALU_DEP_3) | instskip(NEXT) | instid1(VALU_DEP_3)
	v_dual_mul_f32 v49, s3, v73 :: v_dual_fmac_f32 v54, v22, v70
	v_fmac_f32_e32 v55, v3, v51
	s_delay_alu instid0(VALU_DEP_3)
	v_fmac_f32_e32 v53, v9, v57
	v_cvt_pk_f32_fp8_e32 v[75:76], v75
	v_fmac_f32_e32 v50, v20, v68
	s_wait_dscnt 0x1
	v_dual_fmac_f32 v54, v26, v74 :: v_dual_fmac_f32 v55, v11, v59
	v_fmac_f32_e32 v53, v13, v61
	v_cvt_pk_f32_fp8_e32 v[79:80], v79
	v_dual_mul_f32 v69, s3, v69 :: v_dual_mul_f32 v52, s3, v75
	v_mul_f32_e32 v51, s3, v76
	v_dual_fmac_f32 v50, v24, v72 :: v_dual_fmac_f32 v55, v15, v63
	s_wait_dscnt 0x0
	v_dual_fmac_f32 v54, v30, v56 :: v_dual_fmac_f32 v53, v17, v65
	v_mul_f32_e32 v56, s3, v80
	s_delay_alu instid0(VALU_DEP_3) | instskip(SKIP_2) | instid1(VALU_DEP_3)
	v_fmac_f32_e32 v50, v28, v51
	v_fmac_f32_e32 v55, v19, v67
	v_mul_f32_e32 v57, s3, v77
	v_dual_fmac_f32 v53, v21, v69 :: v_dual_fmac_f32 v50, v32, v56
	s_delay_alu instid0(VALU_DEP_3) | instskip(NEXT) | instid1(VALU_DEP_2)
	v_fmac_f32_e32 v55, v23, v71
	v_fmac_f32_e32 v53, v25, v49
	v_mul_f32_e32 v49, s3, v79
	s_delay_alu instid0(VALU_DEP_3) | instskip(SKIP_1) | instid1(VALU_DEP_4)
	v_fmac_f32_e32 v55, v27, v52
	v_cvt_f32_i32_e32 v52, v81
	v_fmac_f32_e32 v53, v29, v57
	s_delay_alu instid0(VALU_DEP_3) | instskip(NEXT) | instid1(VALU_DEP_3)
	v_fmac_f32_e32 v55, v31, v49
	v_mul_f32_e32 v51, s30, v52
	s_delay_alu instid0(VALU_DEP_3) | instskip(NEXT) | instid1(VALU_DEP_2)
	v_add_f32_e32 v49, v53, v54
	v_cndmask_b32_e32 v51, 0, v51, vcc_lo
	s_delay_alu instid0(VALU_DEP_2) | instskip(NEXT) | instid1(VALU_DEP_1)
	v_add_f32_e32 v49, v55, v49
	v_dual_add_f32 v49, v50, v49 :: v_dual_max_num_f32 v50, v43, v43
	s_delay_alu instid0(VALU_DEP_1) | instskip(SKIP_1) | instid1(VALU_DEP_2)
	v_fmac_f32_e32 v51, s13, v49
	v_add_nc_u32_e32 v49, v38, v44
	v_max_num_f32_e32 v50, v50, v51
	s_delay_alu instid0(VALU_DEP_2) | instskip(SKIP_1) | instid1(VALU_DEP_1)
	v_cmp_gt_i32_e64 s3, s34, v49
	s_wait_alu 0xf1ff
	v_cndmask_b32_e64 v49, 0, v51, s3
	s_delay_alu instid0(VALU_DEP_3)
	v_cndmask_b32_e64 v43, v43, v50, s3
	ds_store_b32 v46, v49
	s_branch .LBB225_11
.LBB225_16:
	s_or_b32 exec_lo, exec_lo, s29
.LBB225_17:
	s_delay_alu instid0(SALU_CYCLE_1)
	s_or_b32 exec_lo, exec_lo, s12
	s_wait_dscnt 0x7
	v_mbcnt_lo_u32_b32 v1, -1, 0
	s_clause 0x2
	s_load_b128 s[12:15], s[0:1], 0x0
	s_load_b64 s[8:9], s[0:1], 0x10
	s_load_b64 s[30:31], s[0:1], 0x28
	s_wait_dscnt 0x6
	v_max_num_f32_e32 v5, v43, v43
	v_xor_b32_e32 v2, 16, v1
	v_xor_b32_e32 v4, 8, v1
	s_delay_alu instid0(VALU_DEP_2) | instskip(SKIP_2) | instid1(VALU_DEP_3)
	v_cmp_gt_i32_e32 vcc_lo, 32, v2
	s_wait_alu 0xfffd
	v_cndmask_b32_e32 v2, v1, v2, vcc_lo
	v_cmp_gt_i32_e32 vcc_lo, 32, v4
	s_delay_alu instid0(VALU_DEP_2)
	v_lshlrev_b32_e32 v2, 2, v2
	s_wait_alu 0xfffd
	v_cndmask_b32_e32 v4, v1, v4, vcc_lo
	ds_bpermute_b32 v3, v2, v43
	s_wait_dscnt 0x0
	v_dual_max_num_f32 v6, v3, v3 :: v_dual_lshlrev_b32 v3, 2, v4
	s_delay_alu instid0(VALU_DEP_1)
	v_max_num_f32_e32 v4, v5, v6
	v_xor_b32_e32 v6, 4, v1
	ds_bpermute_b32 v5, v3, v4
	v_cmp_gt_i32_e32 vcc_lo, 32, v6
	s_wait_alu 0xfffd
	v_cndmask_b32_e32 v6, v1, v6, vcc_lo
	s_delay_alu instid0(VALU_DEP_1) | instskip(SKIP_1) | instid1(VALU_DEP_1)
	v_lshlrev_b32_e32 v13, 2, v6
	v_xor_b32_e32 v6, 2, v1
	v_cmp_gt_i32_e32 vcc_lo, 32, v6
	s_wait_dscnt 0x0
	v_max_num_f32_e32 v5, v5, v5
	s_wait_alu 0xfffd
	v_cndmask_b32_e32 v6, v1, v6, vcc_lo
	s_delay_alu instid0(VALU_DEP_1) | instskip(SKIP_1) | instid1(VALU_DEP_1)
	v_lshlrev_b32_e32 v12, 2, v6
	v_xor_b32_e32 v6, 1, v1
	v_cmp_gt_i32_e32 vcc_lo, 32, v6
	s_wait_alu 0xfffd
	v_cndmask_b32_e32 v6, v1, v6, vcc_lo
	v_max_num_f32_e32 v4, v4, v5
	v_cmp_eq_u32_e32 vcc_lo, 0, v38
	s_delay_alu instid0(VALU_DEP_3) | instskip(SKIP_3) | instid1(VALU_DEP_1)
	v_lshlrev_b32_e32 v11, 2, v6
	ds_bpermute_b32 v5, v13, v4
	s_wait_dscnt 0x0
	v_max_num_f32_e32 v5, v5, v5
	v_max_num_f32_e32 v4, v4, v5
	ds_bpermute_b32 v5, v12, v4
	s_wait_dscnt 0x0
	v_max_num_f32_e32 v5, v5, v5
	s_delay_alu instid0(VALU_DEP_1)
	v_max_num_f32_e32 v1, v4, v5
	v_lshlrev_b32_e32 v5, 2, v37
	ds_bpermute_b32 v4, v11, v1
	s_and_saveexec_b32 s0, vcc_lo
	s_cbranch_execz .LBB225_19
; %bb.18:
	s_wait_dscnt 0x0
	v_dual_max_num_f32 v4, v4, v4 :: v_dual_max_num_f32 v1, v1, v1
	s_delay_alu instid0(VALU_DEP_1)
	v_max_num_f32_e32 v1, v1, v4
	ds_store_b32 v5, v1 offset:128
.LBB225_19:
	s_or_b32 exec_lo, exec_lo, s0
	v_cmp_gt_u32_e64 s0, 4, v38
	v_mov_b32_e32 v1, 0xff7fffff
	s_wait_loadcnt_dscnt 0x0
	s_barrier_signal -1
	s_barrier_wait -1
	global_inv scope:SCOPE_SE
	s_and_saveexec_b32 s1, s0
; %bb.20:
	ds_load_b32 v1, v42 offset:128
; %bb.21:
	s_or_b32 exec_lo, exec_lo, s1
	s_wait_dscnt 0x0
	ds_bpermute_b32 v4, v12, v1
	v_max_num_f32_e32 v1, v1, v1
	s_sub_co_i32 s1, s35, s40
	v_mov_b32_e32 v6, 0
	s_lshl_b32 s1, s1, 5
	s_delay_alu instid0(SALU_CYCLE_1) | instskip(NEXT) | instid1(SALU_CYCLE_1)
	s_add_co_i32 s1, s1, s37
	s_min_i32 s1, s1, s34
	s_delay_alu instid0(SALU_CYCLE_1) | instskip(SKIP_4) | instid1(VALU_DEP_1)
	s_sub_co_i32 s4, s1, s37
	s_wait_alu 0xfffe
	v_cmp_gt_i32_e64 s1, s4, v0
	s_wait_dscnt 0x0
	v_max_num_f32_e32 v4, v4, v4
	v_max_num_f32_e32 v1, v1, v4
	ds_bpermute_b32 v4, v11, v1
	s_wait_dscnt 0x0
	v_max_num_f32_e32 v4, v4, v4
	s_delay_alu instid0(VALU_DEP_1)
	v_max_num_f32_e32 v1, v1, v4
	v_lshl_add_u32 v4, v0, 2, 0xa0
	ds_bpermute_b32 v1, v6, v1
	s_and_saveexec_b32 s18, s1
	s_cbranch_execz .LBB225_25
; %bb.22:
	v_lshl_add_u32 v7, v0, 2, 0xa0
	v_mov_b32_e32 v6, 0
	v_mov_b32_e32 v8, v0
	s_mov_b32 s29, 0
.LBB225_23:                             ; =>This Inner Loop Header: Depth=1
	ds_load_b32 v9, v7
	v_add_nc_u32_e32 v8, 0x80, v8
	s_delay_alu instid0(VALU_DEP_1) | instskip(SKIP_4) | instid1(VALU_DEP_1)
	v_cmp_le_i32_e64 s3, s4, v8
	s_wait_alu 0xfffe
	s_or_b32 s29, s3, s29
	s_wait_dscnt 0x0
	v_sub_f32_e32 v9, v9, v1
	v_mul_f32_e32 v9, 0x3fb8aa3b, v9
	s_delay_alu instid0(VALU_DEP_1)
	v_exp_f32_e32 v9, v9
	ds_store_b32 v7, v9
	v_dual_add_f32 v6, v6, v9 :: v_dual_add_nc_u32 v7, 0x200, v7
	s_wait_alu 0xfffe
	s_and_not1_b32 exec_lo, exec_lo, s29
	s_cbranch_execnz .LBB225_23
; %bb.24:
	s_or_b32 exec_lo, exec_lo, s29
.LBB225_25:
	s_wait_alu 0xfffe
	s_or_b32 exec_lo, exec_lo, s18
	ds_bpermute_b32 v2, v2, v6
	s_wait_dscnt 0x0
	v_add_f32_e32 v2, v6, v2
	ds_bpermute_b32 v3, v3, v2
	s_wait_dscnt 0x0
	v_add_f32_e32 v2, v2, v3
	;; [unrolled: 3-line block ×5, first 2 shown]
	s_and_saveexec_b32 s3, vcc_lo
; %bb.26:
	ds_store_b32 v5, v2 offset:144
; %bb.27:
	s_wait_alu 0xfffe
	s_or_b32 exec_lo, exec_lo, s3
	s_wait_loadcnt_dscnt 0x0
	s_barrier_signal -1
	s_barrier_wait -1
	global_inv scope:SCOPE_SE
	s_and_saveexec_b32 s3, s0
; %bb.28:
	ds_load_b32 v2, v42 offset:144
; %bb.29:
	s_wait_alu 0xfffe
	s_or_b32 exec_lo, exec_lo, s3
	s_wait_dscnt 0x0
	ds_bpermute_b32 v3, v12, v2
	s_wait_dscnt 0x0
	v_add_f32_e32 v2, v2, v3
	ds_bpermute_b32 v3, v11, v2
	s_wait_dscnt 0x0
	v_dual_add_f32 v2, v2, v3 :: v_dual_mov_b32 v3, 0
	ds_bpermute_b32 v2, v3, v2
	s_and_saveexec_b32 s0, s1
	s_cbranch_execz .LBB225_32
; %bb.30:
	s_wait_dscnt 0x0
	v_add_f32_e32 v3, 0x358637bd, v2
	s_mov_b32 s1, 0
	s_delay_alu instid0(VALU_DEP_1) | instskip(SKIP_1) | instid1(VALU_DEP_2)
	v_div_scale_f32 v5, null, v3, v3, 1.0
	v_div_scale_f32 v8, vcc_lo, 1.0, v3, 1.0
	v_rcp_f32_e32 v6, v5
	s_delay_alu instid0(TRANS32_DEP_1) | instskip(NEXT) | instid1(VALU_DEP_1)
	v_fma_f32 v7, -v5, v6, 1.0
	v_fmac_f32_e32 v6, v7, v6
	s_delay_alu instid0(VALU_DEP_1) | instskip(NEXT) | instid1(VALU_DEP_1)
	v_mul_f32_e32 v7, v8, v6
	v_fma_f32 v9, -v5, v7, v8
	s_delay_alu instid0(VALU_DEP_1) | instskip(NEXT) | instid1(VALU_DEP_1)
	v_fmac_f32_e32 v7, v9, v6
	v_fma_f32 v5, -v5, v7, v8
	s_wait_alu 0xfffd
	s_delay_alu instid0(VALU_DEP_1) | instskip(NEXT) | instid1(VALU_DEP_1)
	v_div_fmas_f32 v5, v5, v6, v7
	v_div_fixup_f32 v3, v5, v3, 1.0
	v_mov_b32_e32 v5, v0
.LBB225_31:                             ; =>This Inner Loop Header: Depth=1
	ds_load_b32 v6, v4
	s_wait_dscnt 0x0
	v_dual_mul_f32 v6, v3, v6 :: v_dual_add_nc_u32 v5, 0x80, v5
	s_delay_alu instid0(VALU_DEP_1) | instskip(SKIP_3) | instid1(SALU_CYCLE_1)
	v_cmp_le_i32_e32 vcc_lo, s4, v5
	ds_store_b32 v4, v6
	v_add_nc_u32_e32 v4, 0x200, v4
	s_or_b32 s1, vcc_lo, s1
	s_and_not1_b32 exec_lo, exec_lo, s1
	s_cbranch_execnz .LBB225_31
.LBB225_32:
	s_or_b32 exec_lo, exec_lo, s0
	s_mul_i32 s0, s7, s19
	s_wait_loadcnt_dscnt 0x0
	s_mul_i32 s18, s0, s36
	s_mov_b32 s0, exec_lo
	s_barrier_signal -1
	s_barrier_wait -1
	global_inv scope:SCOPE_SE
	v_cmpx_eq_u32_e32 0, v0
	s_cbranch_execz .LBB225_34
; %bb.33:
	s_wait_alu 0xfffe
	s_ashr_i32 s19, s18, 31
	s_mul_i32 s36, s7, ttmp9
	s_lshl_b32 s1, s33, 2
	s_wait_alu 0xfffe
	s_lshl_b64 s[40:41], s[18:19], 2
	s_ashr_i32 s37, s36, 31
	v_mov_b32_e32 v3, s1
	s_wait_kmcnt 0x0
	s_wait_alu 0xfffe
	s_add_nc_u64 s[14:15], s[14:15], s[40:41]
	s_lshl_b64 s[36:37], s[36:37], 2
	s_add_nc_u64 s[12:13], s[12:13], s[40:41]
	s_wait_alu 0xfffe
	s_add_nc_u64 s[14:15], s[14:15], s[36:37]
	s_add_nc_u64 s[12:13], s[12:13], s[36:37]
	s_clause 0x1
	global_store_b32 v3, v1, s[14:15]
	global_store_b32 v3, v2, s[12:13]
.LBB225_34:
	s_or_b32 exec_lo, exec_lo, s0
	v_dual_mov_b32 v21, 0 :: v_dual_and_b32 v14, 7, v0
	v_dual_mov_b32 v22, 0 :: v_dual_mov_b32 v19, 0
	v_dual_mov_b32 v20, 0 :: v_dual_mov_b32 v17, 0
	;; [unrolled: 1-line block ×3, first 2 shown]
	v_mov_b32_e32 v16, 0
	s_and_saveexec_b32 s1, s2
	s_cbranch_execz .LBB225_56
; %bb.35:
	s_abs_i32 s2, s6
	s_sub_co_i32 s3, s39, s5
	s_wait_alu 0xfffe
	s_cvt_f32_u32 s0, s2
	v_dual_mov_b32 v16, 0 :: v_dual_lshlrev_b32 v1, 2, v0
	s_wait_kmcnt 0x0
	s_lshl_b64 s[12:13], s[26:27], 2
	s_wait_alu 0xfffe
	v_rcp_iflag_f32_e32 v2, s0
	v_dual_mov_b32 v18, 0 :: v_dual_lshlrev_b32 v3, 4, v14
	s_add_nc_u64 s[12:13], s[24:25], s[12:13]
	v_mov_b32_e32 v15, 0
	s_wait_alu 0xfffe
	v_add_co_u32 v5, s6, s12, v41
	s_ashr_i32 s29, s28, 31
	v_add_co_ci_u32_e64 v6, null, s13, 0, s6
	s_delay_alu instid0(TRANS32_DEP_1)
	v_readfirstlane_b32 s5, v2
	v_and_b32_e32 v2, 0x7c, v1
	v_dual_mov_b32 v20, 0 :: v_dual_and_b32 v23, 28, v1
	v_lshl_or_b32 v1, v37, 7, v3
	s_mul_f32 s5, s5, 0x4f7ffffe
	s_wait_alu 0xfffe
	s_add_nc_u64 s[14:15], s[30:31], s[28:29]
	s_sub_co_i32 s0, 0, s2
	v_dual_mov_b32 v17, 0 :: v_dual_add_nc_u32 v24, 0xa0, v1
	s_cvt_u32_f32 s6, s5
	s_wait_alu 0xfffe
	v_add_co_u32 v7, s5, s14, v2
	s_wait_alu 0xf1ff
	v_add_co_ci_u32_e64 v8, null, s15, 0, s5
	s_mul_i32 s0, s0, s6
	v_dual_mov_b32 v19, 0 :: v_dual_mov_b32 v22, 0
	v_mov_b32_e32 v21, 0
	s_wait_alu 0xfffe
	s_mul_hi_u32 s0, s6, s0
	s_mov_b32 s4, s17
	s_add_co_i32 s38, s38, -1
	s_mov_b32 s5, 0
	s_wait_alu 0xfffe
	s_add_co_i32 s6, s6, s0
	s_branch .LBB225_38
.LBB225_36:                             ;   in Loop: Header=BB225_38 Depth=1
	s_wait_alu 0xfffe
	s_or_b32 exec_lo, exec_lo, s0
	s_wait_dscnt 0x0
	v_mul_f32_e32 v41, v1, v52
	v_mul_f32_e32 v34, v1, v62
	;; [unrolled: 1-line block ×4, first 2 shown]
	s_delay_alu instid0(VALU_DEP_4) | instskip(NEXT) | instid1(VALU_DEP_4)
	v_dual_fmac_f32 v41, v2, v51 :: v_dual_mul_f32 v36, v1, v57
	v_fmac_f32_e32 v34, v2, v61
	s_delay_alu instid0(VALU_DEP_3) | instskip(NEXT) | instid1(VALU_DEP_3)
	v_dual_fmac_f32 v45, v2, v43 :: v_dual_mul_f32 v28, v1, v28
	v_dual_fmac_f32 v41, v3, v50 :: v_dual_fmac_f32 v36, v2, v55
	v_mul_f32_e32 v42, v1, v48
	s_delay_alu instid0(VALU_DEP_4) | instskip(NEXT) | instid1(VALU_DEP_3)
	v_dual_fmac_f32 v34, v3, v58 :: v_dual_mul_f32 v1, v1, v60
	v_dual_fmac_f32 v41, v4, v49 :: v_dual_fmac_f32 v36, v3, v54
	s_delay_alu instid0(VALU_DEP_3) | instskip(SKIP_1) | instid1(VALU_DEP_4)
	v_fmac_f32_e32 v42, v2, v47
	v_fmac_f32_e32 v45, v3, v35
	v_dual_fmac_f32 v1, v2, v59 :: v_dual_fmac_f32 v34, v4, v56
	v_fmac_f32_e32 v32, v2, v31
	s_delay_alu instid0(VALU_DEP_4) | instskip(NEXT) | instid1(VALU_DEP_3)
	v_fmac_f32_e32 v42, v3, v46
	v_dual_add_f32 v18, v18, v41 :: v_dual_fmac_f32 v1, v3, v10
	v_dual_fmac_f32 v28, v2, v27 :: v_dual_fmac_f32 v45, v4, v33
	s_delay_alu instid0(VALU_DEP_2) | instskip(NEXT) | instid1(VALU_DEP_2)
	v_dual_fmac_f32 v32, v3, v30 :: v_dual_fmac_f32 v1, v4, v9
	v_fmac_f32_e32 v28, v3, v26
	v_fmac_f32_e32 v42, v4, v44
	s_delay_alu instid0(VALU_DEP_3) | instskip(SKIP_2) | instid1(VALU_DEP_4)
	v_fmac_f32_e32 v32, v4, v29
	v_add_f32_e32 v20, v20, v45
	v_add_f32_e32 v15, v15, v1
	v_dual_fmac_f32 v36, v4, v53 :: v_dual_add_f32 v19, v19, v42
	v_fmac_f32_e32 v28, v4, v25
	v_add_f32_e32 v16, v16, v34
	v_add_f32_e32 v22, v22, v32
	s_delay_alu instid0(VALU_DEP_4) | instskip(NEXT) | instid1(VALU_DEP_4)
	v_add_f32_e32 v17, v17, v36
	v_add_f32_e32 v21, v21, v28
.LBB225_37:                             ;   in Loop: Header=BB225_38 Depth=1
	s_wait_alu 0xfffe
	s_or_b32 exec_lo, exec_lo, s12
	v_add_nc_u32_e32 v40, 4, v40
	v_add_co_u32 v5, s0, v5, 16
	s_wait_alu 0xf1ff
	v_add_co_ci_u32_e64 v6, null, 0, v6, s0
	s_delay_alu instid0(VALU_DEP_3)
	v_cmp_le_i32_e32 vcc_lo, s35, v40
	v_add_nc_u32_e32 v39, 0x80, v39
	v_add_nc_u32_e32 v24, 0x200, v24
	s_or_b32 s5, vcc_lo, s5
	s_wait_alu 0xfffe
	s_and_not1_b32 exec_lo, exec_lo, s5
	s_cbranch_execz .LBB225_55
.LBB225_38:                             ; =>This Inner Loop Header: Depth=1
	v_sub_nc_u32_e32 v1, 0, v39
	s_delay_alu instid0(VALU_DEP_1) | instskip(NEXT) | instid1(VALU_DEP_1)
	v_max_i32_e32 v1, v39, v1
	v_mul_hi_u32 v2, v1, s22
	s_delay_alu instid0(VALU_DEP_1) | instskip(NEXT) | instid1(VALU_DEP_1)
	v_mul_lo_u32 v3, v2, s16
	v_sub_nc_u32_e32 v1, v1, v3
	v_add_nc_u32_e32 v3, 1, v2
	s_delay_alu instid0(VALU_DEP_2) | instskip(SKIP_2) | instid1(VALU_DEP_2)
	v_subrev_nc_u32_e32 v4, s16, v1
	v_cmp_le_u32_e32 vcc_lo, s16, v1
	s_wait_alu 0xfffd
	v_dual_cndmask_b32 v2, v2, v3 :: v_dual_cndmask_b32 v1, v1, v4
	v_ashrrev_i32_e32 v3, 31, v39
	s_delay_alu instid0(VALU_DEP_2) | instskip(NEXT) | instid1(VALU_DEP_3)
	v_add_nc_u32_e32 v4, 1, v2
	v_cmp_le_u32_e32 vcc_lo, s16, v1
	s_delay_alu instid0(VALU_DEP_3) | instskip(SKIP_1) | instid1(VALU_DEP_3)
	v_xor_b32_e32 v3, s23, v3
	s_wait_alu 0xfffd
	v_cndmask_b32_e32 v1, v2, v4, vcc_lo
	s_delay_alu instid0(VALU_DEP_1) | instskip(NEXT) | instid1(VALU_DEP_1)
	v_xor_b32_e32 v1, v1, v3
	v_sub_nc_u32_e32 v1, v1, v3
	s_delay_alu instid0(VALU_DEP_1) | instskip(SKIP_1) | instid1(VALU_DEP_2)
	v_add_nc_u32_e32 v2, s21, v1
	v_cmp_lt_i32_e64 s0, s3, v1
	v_sub_nc_u32_e32 v3, 0, v2
	s_delay_alu instid0(VALU_DEP_1) | instskip(SKIP_1) | instid1(VALU_DEP_1)
	v_max_i32_e32 v3, v2, v3
	s_wait_alu 0xfffe
	v_mul_hi_u32 v4, v3, s6
	s_delay_alu instid0(VALU_DEP_1) | instskip(NEXT) | instid1(VALU_DEP_1)
	v_mul_lo_u32 v4, v4, s2
	v_sub_nc_u32_e32 v3, v3, v4
	s_delay_alu instid0(VALU_DEP_1) | instskip(SKIP_2) | instid1(VALU_DEP_2)
	v_subrev_nc_u32_e32 v4, s2, v3
	v_cmp_le_u32_e32 vcc_lo, s2, v3
	s_wait_alu 0xfffd
	v_cndmask_b32_e32 v3, v3, v4, vcc_lo
	v_ashrrev_i32_e32 v2, 31, v2
	s_delay_alu instid0(VALU_DEP_2) | instskip(SKIP_2) | instid1(VALU_DEP_2)
	v_subrev_nc_u32_e32 v4, s2, v3
	v_cmp_le_u32_e32 vcc_lo, s2, v3
	s_wait_alu 0xfffd
	v_cndmask_b32_e32 v3, v3, v4, vcc_lo
	s_delay_alu instid0(VALU_DEP_1) | instskip(NEXT) | instid1(VALU_DEP_1)
	v_xor_b32_e32 v3, v3, v2
	v_sub_nc_u32_e32 v2, v3, v2
	s_delay_alu instid0(VALU_DEP_1)
	v_cmp_eq_u32_e32 vcc_lo, 0, v2
	s_or_b32 s0, vcc_lo, s0
	s_wait_alu 0xfffe
	s_and_saveexec_b32 s12, s0
	s_cbranch_execz .LBB225_37
; %bb.39:                               ;   in Loop: Header=BB225_38 Depth=1
	global_load_b32 v1, v[5:6], off
	s_load_b32 s13, s[10:11], 0x0
	v_cmp_eq_u32_e32 vcc_lo, s38, v40
	s_wait_loadcnt 0x0
	v_mad_co_i64_i32 v[9:10], null, v1, s4, v[7:8]
	ds_load_b128 v[1:4], v24
	global_load_b32 v25, v[9:10], off
	s_wait_loadcnt 0x0
	v_lshrrev_b32_e32 v27, 16, v25
	s_delay_alu instid0(VALU_DEP_1) | instskip(SKIP_1) | instid1(VALU_DEP_1)
	v_cvt_pk_f32_fp8_e32 v[29:30], v27
	v_and_b32_e32 v26, 0xffff, v25
	v_cvt_pk_f32_fp8_e32 v[25:26], v26
	s_wait_kmcnt 0x0
	s_delay_alu instid0(VALU_DEP_1) | instskip(NEXT) | instid1(VALU_DEP_1)
	v_dual_mul_f32 v27, s13, v26 :: v_dual_add_nc_u32 v34, v23, v39
	v_dual_mul_f32 v28, s13, v25 :: v_dual_add_nc_u32 v41, 1, v34
	v_add_nc_u32_e32 v36, 2, v34
	v_dual_mul_f32 v26, s13, v29 :: v_dual_mul_f32 v25, s13, v30
	v_add_nc_u32_e32 v42, 3, v34
	s_and_saveexec_b32 s14, vcc_lo
	s_cbranch_execz .LBB225_41
; %bb.40:                               ;   in Loop: Header=BB225_38 Depth=1
	v_cmp_gt_i32_e64 s0, s34, v34
	s_wait_alu 0xf1ff
	s_delay_alu instid0(VALU_DEP_1) | instskip(SKIP_2) | instid1(VALU_DEP_1)
	v_cndmask_b32_e64 v28, 0, v28, s0
	v_cmp_gt_i32_e64 s0, s34, v41
	s_wait_alu 0xf1ff
	v_cndmask_b32_e64 v27, 0, v27, s0
	v_cmp_gt_i32_e64 s0, s34, v36
	s_wait_alu 0xf1ff
	s_delay_alu instid0(VALU_DEP_1) | instskip(SKIP_2) | instid1(VALU_DEP_1)
	v_cndmask_b32_e64 v26, 0, v26, s0
	v_cmp_gt_i32_e64 s0, s34, v42
	s_wait_alu 0xf1ff
	v_cndmask_b32_e64 v25, 0, v25, s0
.LBB225_41:                             ;   in Loop: Header=BB225_38 Depth=1
	s_wait_alu 0xfffe
	s_or_b32 exec_lo, exec_lo, s14
	global_load_b32 v29, v[9:10], off offset:128
	s_mov_b32 s14, s13
	s_wait_loadcnt 0x0
	v_lshrrev_b32_e32 v31, 16, v29
	s_delay_alu instid0(VALU_DEP_1) | instskip(SKIP_1) | instid1(VALU_DEP_1)
	v_cvt_pk_f32_fp8_e32 v[43:44], v31
	v_and_b32_e32 v30, 0xffff, v29
	v_cvt_pk_f32_fp8_e32 v[29:30], v30
	s_wait_alu 0xfffe
	s_delay_alu instid0(VALU_DEP_1)
	v_dual_mul_f32 v32, s13, v29 :: v_dual_mul_f32 v31, s14, v30
	v_dual_mul_f32 v30, s13, v43 :: v_dual_mul_f32 v29, s14, v44
	s_and_saveexec_b32 s15, vcc_lo
	s_cbranch_execz .LBB225_43
; %bb.42:                               ;   in Loop: Header=BB225_38 Depth=1
	v_cmp_gt_i32_e64 s0, s34, v34
	s_wait_alu 0xf1ff
	s_delay_alu instid0(VALU_DEP_1) | instskip(SKIP_2) | instid1(VALU_DEP_1)
	v_cndmask_b32_e64 v32, 0, v32, s0
	v_cmp_gt_i32_e64 s0, s34, v41
	s_wait_alu 0xf1ff
	v_cndmask_b32_e64 v31, 0, v31, s0
	v_cmp_gt_i32_e64 s0, s34, v36
	s_wait_alu 0xf1ff
	s_delay_alu instid0(VALU_DEP_1) | instskip(SKIP_2) | instid1(VALU_DEP_1)
	v_cndmask_b32_e64 v30, 0, v30, s0
	v_cmp_gt_i32_e64 s0, s34, v42
	s_wait_alu 0xf1ff
	v_cndmask_b32_e64 v29, 0, v29, s0
.LBB225_43:                             ;   in Loop: Header=BB225_38 Depth=1
	s_wait_alu 0xfffe
	s_or_b32 exec_lo, exec_lo, s15
	global_load_b32 v33, v[9:10], off offset:256
	s_wait_loadcnt 0x0
	v_and_b32_e32 v35, 0xffff, v33
	v_lshrrev_b32_e32 v33, 16, v33
	s_delay_alu instid0(VALU_DEP_2) | instskip(NEXT) | instid1(VALU_DEP_2)
	v_cvt_pk_f32_fp8_e32 v[43:44], v35
	v_cvt_pk_f32_fp8_e32 v[46:47], v33
	s_delay_alu instid0(VALU_DEP_2) | instskip(NEXT) | instid1(VALU_DEP_3)
	v_mul_f32_e32 v45, s13, v43
	v_mul_f32_e32 v43, s14, v44
	s_delay_alu instid0(VALU_DEP_3) | instskip(NEXT) | instid1(VALU_DEP_4)
	v_mul_f32_e32 v35, s13, v46
	v_mul_f32_e32 v33, s14, v47
	s_and_saveexec_b32 s15, vcc_lo
	s_cbranch_execz .LBB225_45
; %bb.44:                               ;   in Loop: Header=BB225_38 Depth=1
	v_cmp_gt_i32_e64 s0, s34, v34
	s_wait_alu 0xf1ff
	s_delay_alu instid0(VALU_DEP_1) | instskip(SKIP_2) | instid1(VALU_DEP_1)
	v_cndmask_b32_e64 v45, 0, v45, s0
	v_cmp_gt_i32_e64 s0, s34, v41
	s_wait_alu 0xf1ff
	v_cndmask_b32_e64 v43, 0, v43, s0
	v_cmp_gt_i32_e64 s0, s34, v36
	s_wait_alu 0xf1ff
	s_delay_alu instid0(VALU_DEP_1) | instskip(SKIP_2) | instid1(VALU_DEP_1)
	v_cndmask_b32_e64 v35, 0, v35, s0
	v_cmp_gt_i32_e64 s0, s34, v42
	s_wait_alu 0xf1ff
	v_cndmask_b32_e64 v33, 0, v33, s0
.LBB225_45:                             ;   in Loop: Header=BB225_38 Depth=1
	s_wait_alu 0xfffe
	s_or_b32 exec_lo, exec_lo, s15
	global_load_b32 v44, v[9:10], off offset:384
	s_wait_loadcnt 0x0
	v_and_b32_e32 v46, 0xffff, v44
	v_lshrrev_b32_e32 v44, 16, v44
	s_delay_alu instid0(VALU_DEP_2) | instskip(NEXT) | instid1(VALU_DEP_2)
	v_cvt_pk_f32_fp8_e32 v[46:47], v46
	v_cvt_pk_f32_fp8_e32 v[49:50], v44
	s_delay_alu instid0(VALU_DEP_2) | instskip(NEXT) | instid1(VALU_DEP_2)
	v_dual_mul_f32 v48, s13, v46 :: v_dual_mul_f32 v47, s14, v47
	v_mul_f32_e32 v46, s13, v49
	s_delay_alu instid0(VALU_DEP_3)
	v_mul_f32_e32 v44, s14, v50
	s_and_saveexec_b32 s15, vcc_lo
	s_cbranch_execz .LBB225_47
; %bb.46:                               ;   in Loop: Header=BB225_38 Depth=1
	v_cmp_gt_i32_e64 s0, s34, v34
	s_wait_alu 0xf1ff
	s_delay_alu instid0(VALU_DEP_1) | instskip(SKIP_2) | instid1(VALU_DEP_1)
	v_cndmask_b32_e64 v48, 0, v48, s0
	v_cmp_gt_i32_e64 s0, s34, v41
	s_wait_alu 0xf1ff
	v_cndmask_b32_e64 v47, 0, v47, s0
	v_cmp_gt_i32_e64 s0, s34, v36
	s_wait_alu 0xf1ff
	s_delay_alu instid0(VALU_DEP_1) | instskip(SKIP_2) | instid1(VALU_DEP_1)
	v_cndmask_b32_e64 v46, 0, v46, s0
	v_cmp_gt_i32_e64 s0, s34, v42
	s_wait_alu 0xf1ff
	v_cndmask_b32_e64 v44, 0, v44, s0
.LBB225_47:                             ;   in Loop: Header=BB225_38 Depth=1
	s_wait_alu 0xfffe
	s_or_b32 exec_lo, exec_lo, s15
	global_load_b32 v49, v[9:10], off offset:512
	s_wait_loadcnt 0x0
	v_lshrrev_b32_e32 v51, 16, v49
	s_delay_alu instid0(VALU_DEP_1) | instskip(SKIP_1) | instid1(VALU_DEP_1)
	v_cvt_pk_f32_fp8_e32 v[53:54], v51
	v_and_b32_e32 v50, 0xffff, v49
	v_cvt_pk_f32_fp8_e32 v[49:50], v50
	s_delay_alu instid0(VALU_DEP_1) | instskip(NEXT) | instid1(VALU_DEP_4)
	v_dual_mul_f32 v52, s13, v49 :: v_dual_mul_f32 v51, s14, v50
	v_dual_mul_f32 v50, s13, v53 :: v_dual_mul_f32 v49, s14, v54
	s_and_saveexec_b32 s15, vcc_lo
	s_cbranch_execz .LBB225_49
; %bb.48:                               ;   in Loop: Header=BB225_38 Depth=1
	v_cmp_gt_i32_e64 s0, s34, v34
	s_wait_alu 0xf1ff
	s_delay_alu instid0(VALU_DEP_1) | instskip(SKIP_2) | instid1(VALU_DEP_1)
	v_cndmask_b32_e64 v52, 0, v52, s0
	v_cmp_gt_i32_e64 s0, s34, v41
	s_wait_alu 0xf1ff
	v_cndmask_b32_e64 v51, 0, v51, s0
	v_cmp_gt_i32_e64 s0, s34, v36
	s_wait_alu 0xf1ff
	s_delay_alu instid0(VALU_DEP_1) | instskip(SKIP_2) | instid1(VALU_DEP_1)
	v_cndmask_b32_e64 v50, 0, v50, s0
	v_cmp_gt_i32_e64 s0, s34, v42
	s_wait_alu 0xf1ff
	v_cndmask_b32_e64 v49, 0, v49, s0
.LBB225_49:                             ;   in Loop: Header=BB225_38 Depth=1
	s_wait_alu 0xfffe
	s_or_b32 exec_lo, exec_lo, s15
	global_load_b32 v53, v[9:10], off offset:640
	s_wait_loadcnt 0x0
	v_lshrrev_b32_e32 v55, 16, v53
	s_delay_alu instid0(VALU_DEP_1) | instskip(SKIP_1) | instid1(VALU_DEP_1)
	v_cvt_pk_f32_fp8_e32 v[58:59], v55
	v_and_b32_e32 v54, 0xffff, v53
	v_cvt_pk_f32_fp8_e32 v[53:54], v54
	s_delay_alu instid0(VALU_DEP_1) | instskip(NEXT) | instid1(VALU_DEP_2)
	v_mul_f32_e32 v57, s13, v53
	v_mul_f32_e32 v55, s14, v54
	v_dual_mul_f32 v54, s13, v58 :: v_dual_mul_f32 v53, s14, v59
	s_and_saveexec_b32 s15, vcc_lo
	s_cbranch_execz .LBB225_51
; %bb.50:                               ;   in Loop: Header=BB225_38 Depth=1
	v_cmp_gt_i32_e64 s0, s34, v34
	s_wait_alu 0xf1ff
	s_delay_alu instid0(VALU_DEP_1) | instskip(SKIP_2) | instid1(VALU_DEP_1)
	v_cndmask_b32_e64 v57, 0, v57, s0
	v_cmp_gt_i32_e64 s0, s34, v41
	s_wait_alu 0xf1ff
	v_cndmask_b32_e64 v55, 0, v55, s0
	v_cmp_gt_i32_e64 s0, s34, v36
	s_wait_alu 0xf1ff
	s_delay_alu instid0(VALU_DEP_1) | instskip(SKIP_2) | instid1(VALU_DEP_1)
	v_cndmask_b32_e64 v54, 0, v54, s0
	v_cmp_gt_i32_e64 s0, s34, v42
	s_wait_alu 0xf1ff
	v_cndmask_b32_e64 v53, 0, v53, s0
.LBB225_51:                             ;   in Loop: Header=BB225_38 Depth=1
	s_wait_alu 0xfffe
	s_or_b32 exec_lo, exec_lo, s15
	global_load_b32 v56, v[9:10], off offset:768
	s_wait_loadcnt 0x0
	v_and_b32_e32 v58, 0xffff, v56
	v_lshrrev_b32_e32 v56, 16, v56
	s_delay_alu instid0(VALU_DEP_2) | instskip(NEXT) | instid1(VALU_DEP_2)
	v_cvt_pk_f32_fp8_e32 v[58:59], v58
	v_cvt_pk_f32_fp8_e32 v[63:64], v56
	s_delay_alu instid0(VALU_DEP_2) | instskip(NEXT) | instid1(VALU_DEP_2)
	v_dual_mul_f32 v62, s13, v58 :: v_dual_mul_f32 v61, s14, v59
	v_mul_f32_e32 v58, s13, v63
	s_delay_alu instid0(VALU_DEP_3)
	v_mul_f32_e32 v56, s14, v64
	s_and_saveexec_b32 s15, vcc_lo
	s_cbranch_execz .LBB225_53
; %bb.52:                               ;   in Loop: Header=BB225_38 Depth=1
	v_cmp_gt_i32_e64 s0, s34, v34
	s_wait_alu 0xf1ff
	s_delay_alu instid0(VALU_DEP_1) | instskip(SKIP_2) | instid1(VALU_DEP_1)
	v_cndmask_b32_e64 v62, 0, v62, s0
	v_cmp_gt_i32_e64 s0, s34, v41
	s_wait_alu 0xf1ff
	v_cndmask_b32_e64 v61, 0, v61, s0
	v_cmp_gt_i32_e64 s0, s34, v36
	s_wait_alu 0xf1ff
	s_delay_alu instid0(VALU_DEP_1) | instskip(SKIP_2) | instid1(VALU_DEP_1)
	v_cndmask_b32_e64 v58, 0, v58, s0
	v_cmp_gt_i32_e64 s0, s34, v42
	s_wait_alu 0xf1ff
	v_cndmask_b32_e64 v56, 0, v56, s0
.LBB225_53:                             ;   in Loop: Header=BB225_38 Depth=1
	s_wait_alu 0xfffe
	s_or_b32 exec_lo, exec_lo, s15
	global_load_b32 v9, v[9:10], off offset:896
	s_wait_loadcnt 0x0
	v_lshrrev_b32_e32 v59, 16, v9
	s_delay_alu instid0(VALU_DEP_1) | instskip(SKIP_1) | instid1(VALU_DEP_1)
	v_cvt_pk_f32_fp8_e32 v[63:64], v59
	v_and_b32_e32 v10, 0xffff, v9
	v_cvt_pk_f32_fp8_e32 v[9:10], v10
	s_delay_alu instid0(VALU_DEP_1) | instskip(NEXT) | instid1(VALU_DEP_4)
	v_dual_mul_f32 v60, s13, v9 :: v_dual_mul_f32 v59, s14, v10
	v_dual_mul_f32 v10, s13, v63 :: v_dual_mul_f32 v9, s14, v64
	s_and_saveexec_b32 s0, vcc_lo
	s_cbranch_execz .LBB225_36
; %bb.54:                               ;   in Loop: Header=BB225_38 Depth=1
	v_cmp_gt_i32_e32 vcc_lo, s34, v34
	s_wait_alu 0xfffd
	v_cndmask_b32_e32 v60, 0, v60, vcc_lo
	v_cmp_gt_i32_e32 vcc_lo, s34, v41
	s_wait_alu 0xfffd
	v_cndmask_b32_e32 v59, 0, v59, vcc_lo
	;; [unrolled: 3-line block ×4, first 2 shown]
	s_branch .LBB225_36
.LBB225_55:
	s_or_b32 exec_lo, exec_lo, s5
.LBB225_56:
	s_wait_alu 0xfffe
	s_or_b32 exec_lo, exec_lo, s1
	ds_bpermute_b32 v1, v13, v21
	ds_bpermute_b32 v2, v13, v22
	;; [unrolled: 1-line block ×8, first 2 shown]
	s_mov_b32 s0, exec_lo
	s_wait_storecnt 0x0
	s_wait_loadcnt_dscnt 0x0
	s_barrier_signal -1
	s_barrier_wait -1
	global_inv scope:SCOPE_SE
	v_dual_add_f32 v1, v21, v1 :: v_dual_add_f32 v2, v22, v2
	v_dual_add_f32 v3, v20, v3 :: v_dual_add_f32 v4, v19, v4
	;; [unrolled: 1-line block ×4, first 2 shown]
	ds_bpermute_b32 v9, v12, v1
	ds_bpermute_b32 v10, v12, v2
	;; [unrolled: 1-line block ×8, first 2 shown]
	s_wait_dscnt 0x6
	v_dual_add_f32 v1, v1, v9 :: v_dual_add_f32 v2, v2, v10
	s_wait_dscnt 0x4
	v_dual_add_f32 v3, v3, v13 :: v_dual_add_f32 v4, v4, v15
	;; [unrolled: 2-line block ×4, first 2 shown]
	ds_bpermute_b32 v12, v11, v1
	ds_bpermute_b32 v13, v11, v2
	;; [unrolled: 1-line block ×8, first 2 shown]
	v_lshrrev_b32_e32 v9, 3, v38
	v_and_b32_e32 v20, 0x3c7, v0
	s_delay_alu instid0(VALU_DEP_2)
	v_lshl_add_u32 v10, v9, 2, 0xa0
	s_wait_dscnt 0x6
	v_dual_add_f32 v1, v1, v12 :: v_dual_add_f32 v2, v2, v13
	s_wait_dscnt 0x4
	v_dual_add_f32 v3, v3, v15 :: v_dual_add_f32 v4, v4, v16
	;; [unrolled: 2-line block ×3, first 2 shown]
	s_wait_dscnt 0x1
	v_add_f32_e32 v7, v7, v19
	s_wait_dscnt 0x0
	v_add_f32_e32 v8, v8, v11
	v_cmpx_eq_u32_e32 64, v20
	s_cbranch_execz .LBB225_58
; %bb.57:
	v_lshl_add_u32 v11, v37, 7, v10
	s_delay_alu instid0(VALU_DEP_1)
	v_add_nc_u32_e32 v12, 0xffffff00, v11
	v_add_nc_u32_e32 v13, 0xffffff10, v11
	;; [unrolled: 1-line block ×8, first 2 shown]
	ds_store_b32 v12, v1
	ds_store_b32 v13, v2
	;; [unrolled: 1-line block ×8, first 2 shown]
.LBB225_58:
	s_wait_alu 0xfffe
	s_or_b32 exec_lo, exec_lo, s0
	v_and_b32_e32 v11, 0x3e0, v0
	v_lshlrev_b32_e32 v9, 2, v9
	s_mov_b32 s1, exec_lo
	v_cmp_eq_u32_e32 vcc_lo, 0, v14
	s_wait_loadcnt_dscnt 0x0
	v_lshlrev_b32_e32 v11, 2, v11
	s_barrier_signal -1
	s_barrier_wait -1
	global_inv scope:SCOPE_SE
	v_add3_u32 v9, 0xa0, v11, v9
	v_cmpx_gt_u32_e32 64, v0
	s_cbranch_execz .LBB225_69
; %bb.59:
	s_and_saveexec_b32 s0, vcc_lo
	s_cbranch_execnz .LBB225_85
; %bb.60:
	s_wait_alu 0xfffe
	s_or_b32 exec_lo, exec_lo, s0
	s_and_saveexec_b32 s0, vcc_lo
	s_cbranch_execnz .LBB225_86
.LBB225_61:
	s_wait_alu 0xfffe
	s_or_b32 exec_lo, exec_lo, s0
	s_and_saveexec_b32 s0, vcc_lo
	s_cbranch_execnz .LBB225_87
.LBB225_62:
	s_wait_alu 0xfffe
	s_or_b32 exec_lo, exec_lo, s0
	s_and_saveexec_b32 s0, vcc_lo
	s_cbranch_execnz .LBB225_88
.LBB225_63:
	s_wait_alu 0xfffe
	s_or_b32 exec_lo, exec_lo, s0
	s_and_saveexec_b32 s0, vcc_lo
	s_cbranch_execnz .LBB225_89
.LBB225_64:
	s_wait_alu 0xfffe
	s_or_b32 exec_lo, exec_lo, s0
	s_and_saveexec_b32 s0, vcc_lo
	s_cbranch_execnz .LBB225_90
.LBB225_65:
	s_wait_alu 0xfffe
	s_or_b32 exec_lo, exec_lo, s0
	s_and_saveexec_b32 s0, vcc_lo
	s_cbranch_execnz .LBB225_91
.LBB225_66:
	s_wait_alu 0xfffe
	s_or_b32 exec_lo, exec_lo, s0
	s_and_saveexec_b32 s0, vcc_lo
	s_cbranch_execz .LBB225_68
.LBB225_67:
	ds_load_b32 v11, v9 offset:112
	s_wait_dscnt 0x0
	v_add_f32_e32 v8, v8, v11
.LBB225_68:
	s_wait_alu 0xfffe
	s_or_b32 exec_lo, exec_lo, s0
.LBB225_69:
	s_wait_alu 0xfffe
	s_or_b32 exec_lo, exec_lo, s1
	v_and_b32_e32 v11, 0x3e7, v0
	s_mov_b32 s1, exec_lo
	s_wait_loadcnt 0x0
	s_barrier_signal -1
	s_barrier_wait -1
	global_inv scope:SCOPE_SE
	v_cmpx_eq_u32_e32 32, v11
	s_cbranch_execz .LBB225_71
; %bb.70:
	ds_store_2addr_b32 v10, v1, v2 offset1:4
	ds_store_2addr_b32 v10, v3, v4 offset0:8 offset1:12
	ds_store_2addr_b32 v10, v5, v6 offset0:16 offset1:20
	;; [unrolled: 1-line block ×3, first 2 shown]
.LBB225_71:
	s_wait_alu 0xfffe
	s_or_b32 exec_lo, exec_lo, s1
	s_delay_alu instid0(SALU_CYCLE_1)
	s_mov_b32 s1, exec_lo
	s_wait_loadcnt_dscnt 0x0
	s_barrier_signal -1
	s_barrier_wait -1
	global_inv scope:SCOPE_SE
	v_cmpx_gt_u32_e32 32, v0
	s_cbranch_execz .LBB225_82
; %bb.72:
	s_and_saveexec_b32 s0, vcc_lo
	s_cbranch_execnz .LBB225_92
; %bb.73:
	s_wait_alu 0xfffe
	s_or_b32 exec_lo, exec_lo, s0
	s_and_saveexec_b32 s0, vcc_lo
	s_cbranch_execnz .LBB225_93
.LBB225_74:
	s_wait_alu 0xfffe
	s_or_b32 exec_lo, exec_lo, s0
	s_and_saveexec_b32 s0, vcc_lo
	s_cbranch_execnz .LBB225_94
.LBB225_75:
	s_wait_alu 0xfffe
	s_or_b32 exec_lo, exec_lo, s0
	s_and_saveexec_b32 s0, vcc_lo
	s_cbranch_execnz .LBB225_95
.LBB225_76:
	s_wait_alu 0xfffe
	s_or_b32 exec_lo, exec_lo, s0
	s_and_saveexec_b32 s0, vcc_lo
	s_cbranch_execnz .LBB225_96
.LBB225_77:
	s_wait_alu 0xfffe
	s_or_b32 exec_lo, exec_lo, s0
	s_and_saveexec_b32 s0, vcc_lo
	s_cbranch_execnz .LBB225_97
.LBB225_78:
	s_wait_alu 0xfffe
	s_or_b32 exec_lo, exec_lo, s0
	s_and_saveexec_b32 s0, vcc_lo
	s_cbranch_execnz .LBB225_98
.LBB225_79:
	s_wait_alu 0xfffe
	s_or_b32 exec_lo, exec_lo, s0
	s_and_saveexec_b32 s0, vcc_lo
	s_cbranch_execz .LBB225_81
.LBB225_80:
	ds_load_b32 v9, v9 offset:112
	s_wait_dscnt 0x0
	v_add_f32_e32 v8, v8, v9
.LBB225_81:
	s_wait_alu 0xfffe
	s_or_b32 exec_lo, exec_lo, s0
.LBB225_82:
	s_wait_alu 0xfffe
	s_or_b32 exec_lo, exec_lo, s1
	s_mov_b32 s1, 0
	s_wait_loadcnt 0x0
	s_barrier_signal -1
	s_barrier_wait -1
	global_inv scope:SCOPE_SE
	s_mov_b32 s0, exec_lo
	v_cmpx_eq_u32_e32 0, v11
	s_cbranch_execz .LBB225_84
; %bb.83:
	s_lshl_b32 s2, s18, 5
	s_mul_i32 s4, s7, s20
	s_wait_alu 0xfffe
	s_ashr_i32 s3, s2, 31
	s_ashr_i32 s5, s4, 31
	s_wait_alu 0xfffe
	s_lshl_b64 s[2:3], s[2:3], 2
	s_lshl_b64 s[4:5], s[4:5], 2
	s_wait_kmcnt 0x0
	s_wait_alu 0xfffe
	s_add_nc_u64 s[2:3], s[8:9], s[2:3]
	v_lshrrev_b32_e32 v0, 1, v0
	s_lshl_b32 s0, s33, 7
	s_wait_alu 0xfffe
	s_add_nc_u64 s[2:3], s[2:3], s[4:5]
	s_wait_alu 0xfffe
	s_add_nc_u64 s[0:1], s[2:3], s[0:1]
	s_clause 0x7
	global_store_b32 v0, v1, s[0:1]
	global_store_b32 v0, v2, s[0:1] offset:16
	global_store_b32 v0, v3, s[0:1] offset:32
	;; [unrolled: 1-line block ×7, first 2 shown]
.LBB225_84:
	s_endpgm
.LBB225_85:
	ds_load_b32 v11, v9
	s_wait_dscnt 0x0
	v_add_f32_e32 v1, v1, v11
	s_wait_alu 0xfffe
	s_or_b32 exec_lo, exec_lo, s0
	s_and_saveexec_b32 s0, vcc_lo
	s_cbranch_execz .LBB225_61
.LBB225_86:
	ds_load_b32 v11, v9 offset:16
	s_wait_dscnt 0x0
	v_add_f32_e32 v2, v2, v11
	s_wait_alu 0xfffe
	s_or_b32 exec_lo, exec_lo, s0
	s_and_saveexec_b32 s0, vcc_lo
	s_cbranch_execz .LBB225_62
.LBB225_87:
	ds_load_b32 v11, v9 offset:32
	s_wait_dscnt 0x0
	v_add_f32_e32 v3, v3, v11
	s_wait_alu 0xfffe
	s_or_b32 exec_lo, exec_lo, s0
	s_and_saveexec_b32 s0, vcc_lo
	s_cbranch_execz .LBB225_63
.LBB225_88:
	ds_load_b32 v11, v9 offset:48
	s_wait_dscnt 0x0
	v_add_f32_e32 v4, v4, v11
	s_wait_alu 0xfffe
	s_or_b32 exec_lo, exec_lo, s0
	s_and_saveexec_b32 s0, vcc_lo
	s_cbranch_execz .LBB225_64
.LBB225_89:
	ds_load_b32 v11, v9 offset:64
	s_wait_dscnt 0x0
	v_add_f32_e32 v5, v5, v11
	s_wait_alu 0xfffe
	s_or_b32 exec_lo, exec_lo, s0
	s_and_saveexec_b32 s0, vcc_lo
	s_cbranch_execz .LBB225_65
.LBB225_90:
	ds_load_b32 v11, v9 offset:80
	s_wait_dscnt 0x0
	v_add_f32_e32 v6, v6, v11
	s_wait_alu 0xfffe
	s_or_b32 exec_lo, exec_lo, s0
	s_and_saveexec_b32 s0, vcc_lo
	s_cbranch_execz .LBB225_66
.LBB225_91:
	ds_load_b32 v11, v9 offset:96
	s_wait_dscnt 0x0
	v_add_f32_e32 v7, v7, v11
	s_wait_alu 0xfffe
	s_or_b32 exec_lo, exec_lo, s0
	s_and_saveexec_b32 s0, vcc_lo
	s_cbranch_execnz .LBB225_67
	s_branch .LBB225_68
.LBB225_92:
	ds_load_b32 v10, v9
	s_wait_dscnt 0x0
	v_add_f32_e32 v1, v1, v10
	s_wait_alu 0xfffe
	s_or_b32 exec_lo, exec_lo, s0
	s_and_saveexec_b32 s0, vcc_lo
	s_cbranch_execz .LBB225_74
.LBB225_93:
	ds_load_b32 v10, v9 offset:16
	s_wait_dscnt 0x0
	v_add_f32_e32 v2, v2, v10
	s_wait_alu 0xfffe
	s_or_b32 exec_lo, exec_lo, s0
	s_and_saveexec_b32 s0, vcc_lo
	s_cbranch_execz .LBB225_75
.LBB225_94:
	ds_load_b32 v10, v9 offset:32
	s_wait_dscnt 0x0
	v_add_f32_e32 v3, v3, v10
	s_wait_alu 0xfffe
	s_or_b32 exec_lo, exec_lo, s0
	s_and_saveexec_b32 s0, vcc_lo
	s_cbranch_execz .LBB225_76
.LBB225_95:
	ds_load_b32 v10, v9 offset:48
	s_wait_dscnt 0x0
	v_add_f32_e32 v4, v4, v10
	s_wait_alu 0xfffe
	s_or_b32 exec_lo, exec_lo, s0
	s_and_saveexec_b32 s0, vcc_lo
	s_cbranch_execz .LBB225_77
.LBB225_96:
	ds_load_b32 v10, v9 offset:64
	s_wait_dscnt 0x0
	v_add_f32_e32 v5, v5, v10
	s_wait_alu 0xfffe
	s_or_b32 exec_lo, exec_lo, s0
	s_and_saveexec_b32 s0, vcc_lo
	s_cbranch_execz .LBB225_78
.LBB225_97:
	ds_load_b32 v10, v9 offset:80
	s_wait_dscnt 0x0
	v_add_f32_e32 v6, v6, v10
	s_wait_alu 0xfffe
	s_or_b32 exec_lo, exec_lo, s0
	s_and_saveexec_b32 s0, vcc_lo
	s_cbranch_execz .LBB225_79
.LBB225_98:
	ds_load_b32 v10, v9 offset:96
	s_wait_dscnt 0x0
	v_add_f32_e32 v7, v7, v10
	s_wait_alu 0xfffe
	s_or_b32 exec_lo, exec_lo, s0
	s_and_saveexec_b32 s0, vcc_lo
	s_cbranch_execnz .LBB225_80
	s_branch .LBB225_81
	.section	.rodata,"a",@progbits
	.p2align	6, 0x0
	.amdhsa_kernel _ZN4vllm25paged_attention_v2_kernelIfhLi32ELi32ELi128ELNS_18Fp8KVCacheDataTypeE1ELb1ELi512EEEvPfS2_PT_PKS3_PKT0_S9_ifPKiSB_iPKfiiiSD_SD_iiiii
		.amdhsa_group_segment_fixed_size 160
		.amdhsa_private_segment_fixed_size 0
		.amdhsa_kernarg_size 400
		.amdhsa_user_sgpr_count 2
		.amdhsa_user_sgpr_dispatch_ptr 0
		.amdhsa_user_sgpr_queue_ptr 0
		.amdhsa_user_sgpr_kernarg_segment_ptr 1
		.amdhsa_user_sgpr_dispatch_id 0
		.amdhsa_user_sgpr_private_segment_size 0
		.amdhsa_wavefront_size32 1
		.amdhsa_uses_dynamic_stack 0
		.amdhsa_enable_private_segment 0
		.amdhsa_system_sgpr_workgroup_id_x 1
		.amdhsa_system_sgpr_workgroup_id_y 1
		.amdhsa_system_sgpr_workgroup_id_z 1
		.amdhsa_system_sgpr_workgroup_info 0
		.amdhsa_system_vgpr_workitem_id 0
		.amdhsa_next_free_vgpr 82
		.amdhsa_next_free_sgpr 46
		.amdhsa_reserve_vcc 1
		.amdhsa_float_round_mode_32 0
		.amdhsa_float_round_mode_16_64 0
		.amdhsa_float_denorm_mode_32 3
		.amdhsa_float_denorm_mode_16_64 3
		.amdhsa_fp16_overflow 0
		.amdhsa_workgroup_processor_mode 1
		.amdhsa_memory_ordered 1
		.amdhsa_forward_progress 1
		.amdhsa_inst_pref_size 57
		.amdhsa_round_robin_scheduling 0
		.amdhsa_exception_fp_ieee_invalid_op 0
		.amdhsa_exception_fp_denorm_src 0
		.amdhsa_exception_fp_ieee_div_zero 0
		.amdhsa_exception_fp_ieee_overflow 0
		.amdhsa_exception_fp_ieee_underflow 0
		.amdhsa_exception_fp_ieee_inexact 0
		.amdhsa_exception_int_div_zero 0
	.end_amdhsa_kernel
	.section	.text._ZN4vllm25paged_attention_v2_kernelIfhLi32ELi32ELi128ELNS_18Fp8KVCacheDataTypeE1ELb1ELi512EEEvPfS2_PT_PKS3_PKT0_S9_ifPKiSB_iPKfiiiSD_SD_iiiii,"axG",@progbits,_ZN4vllm25paged_attention_v2_kernelIfhLi32ELi32ELi128ELNS_18Fp8KVCacheDataTypeE1ELb1ELi512EEEvPfS2_PT_PKS3_PKT0_S9_ifPKiSB_iPKfiiiSD_SD_iiiii,comdat
.Lfunc_end225:
	.size	_ZN4vllm25paged_attention_v2_kernelIfhLi32ELi32ELi128ELNS_18Fp8KVCacheDataTypeE1ELb1ELi512EEEvPfS2_PT_PKS3_PKT0_S9_ifPKiSB_iPKfiiiSD_SD_iiiii, .Lfunc_end225-_ZN4vllm25paged_attention_v2_kernelIfhLi32ELi32ELi128ELNS_18Fp8KVCacheDataTypeE1ELb1ELi512EEEvPfS2_PT_PKS3_PKT0_S9_ifPKiSB_iPKfiiiSD_SD_iiiii
                                        ; -- End function
	.set _ZN4vllm25paged_attention_v2_kernelIfhLi32ELi32ELi128ELNS_18Fp8KVCacheDataTypeE1ELb1ELi512EEEvPfS2_PT_PKS3_PKT0_S9_ifPKiSB_iPKfiiiSD_SD_iiiii.num_vgpr, 82
	.set _ZN4vllm25paged_attention_v2_kernelIfhLi32ELi32ELi128ELNS_18Fp8KVCacheDataTypeE1ELb1ELi512EEEvPfS2_PT_PKS3_PKT0_S9_ifPKiSB_iPKfiiiSD_SD_iiiii.num_agpr, 0
	.set _ZN4vllm25paged_attention_v2_kernelIfhLi32ELi32ELi128ELNS_18Fp8KVCacheDataTypeE1ELb1ELi512EEEvPfS2_PT_PKS3_PKT0_S9_ifPKiSB_iPKfiiiSD_SD_iiiii.numbered_sgpr, 46
	.set _ZN4vllm25paged_attention_v2_kernelIfhLi32ELi32ELi128ELNS_18Fp8KVCacheDataTypeE1ELb1ELi512EEEvPfS2_PT_PKS3_PKT0_S9_ifPKiSB_iPKfiiiSD_SD_iiiii.num_named_barrier, 0
	.set _ZN4vllm25paged_attention_v2_kernelIfhLi32ELi32ELi128ELNS_18Fp8KVCacheDataTypeE1ELb1ELi512EEEvPfS2_PT_PKS3_PKT0_S9_ifPKiSB_iPKfiiiSD_SD_iiiii.private_seg_size, 0
	.set _ZN4vllm25paged_attention_v2_kernelIfhLi32ELi32ELi128ELNS_18Fp8KVCacheDataTypeE1ELb1ELi512EEEvPfS2_PT_PKS3_PKT0_S9_ifPKiSB_iPKfiiiSD_SD_iiiii.uses_vcc, 1
	.set _ZN4vllm25paged_attention_v2_kernelIfhLi32ELi32ELi128ELNS_18Fp8KVCacheDataTypeE1ELb1ELi512EEEvPfS2_PT_PKS3_PKT0_S9_ifPKiSB_iPKfiiiSD_SD_iiiii.uses_flat_scratch, 0
	.set _ZN4vllm25paged_attention_v2_kernelIfhLi32ELi32ELi128ELNS_18Fp8KVCacheDataTypeE1ELb1ELi512EEEvPfS2_PT_PKS3_PKT0_S9_ifPKiSB_iPKfiiiSD_SD_iiiii.has_dyn_sized_stack, 0
	.set _ZN4vllm25paged_attention_v2_kernelIfhLi32ELi32ELi128ELNS_18Fp8KVCacheDataTypeE1ELb1ELi512EEEvPfS2_PT_PKS3_PKT0_S9_ifPKiSB_iPKfiiiSD_SD_iiiii.has_recursion, 0
	.set _ZN4vllm25paged_attention_v2_kernelIfhLi32ELi32ELi128ELNS_18Fp8KVCacheDataTypeE1ELb1ELi512EEEvPfS2_PT_PKS3_PKT0_S9_ifPKiSB_iPKfiiiSD_SD_iiiii.has_indirect_call, 0
	.section	.AMDGPU.csdata,"",@progbits
; Kernel info:
; codeLenInByte = 7280
; TotalNumSgprs: 48
; NumVgprs: 82
; ScratchSize: 0
; MemoryBound: 0
; FloatMode: 240
; IeeeMode: 1
; LDSByteSize: 160 bytes/workgroup (compile time only)
; SGPRBlocks: 0
; VGPRBlocks: 10
; NumSGPRsForWavesPerEU: 48
; NumVGPRsForWavesPerEU: 82
; Occupancy: 16
; WaveLimiterHint : 1
; COMPUTE_PGM_RSRC2:SCRATCH_EN: 0
; COMPUTE_PGM_RSRC2:USER_SGPR: 2
; COMPUTE_PGM_RSRC2:TRAP_HANDLER: 0
; COMPUTE_PGM_RSRC2:TGID_X_EN: 1
; COMPUTE_PGM_RSRC2:TGID_Y_EN: 1
; COMPUTE_PGM_RSRC2:TGID_Z_EN: 1
; COMPUTE_PGM_RSRC2:TIDIG_COMP_CNT: 0
	.section	.text._ZN4vllm25paged_attention_v2_kernelIfhLi64ELi32ELi128ELNS_18Fp8KVCacheDataTypeE1ELb1ELi512EEEvPfS2_PT_PKS3_PKT0_S9_ifPKiSB_iPKfiiiSD_SD_iiiii,"axG",@progbits,_ZN4vllm25paged_attention_v2_kernelIfhLi64ELi32ELi128ELNS_18Fp8KVCacheDataTypeE1ELb1ELi512EEEvPfS2_PT_PKS3_PKT0_S9_ifPKiSB_iPKfiiiSD_SD_iiiii,comdat
	.protected	_ZN4vllm25paged_attention_v2_kernelIfhLi64ELi32ELi128ELNS_18Fp8KVCacheDataTypeE1ELb1ELi512EEEvPfS2_PT_PKS3_PKT0_S9_ifPKiSB_iPKfiiiSD_SD_iiiii ; -- Begin function _ZN4vllm25paged_attention_v2_kernelIfhLi64ELi32ELi128ELNS_18Fp8KVCacheDataTypeE1ELb1ELi512EEEvPfS2_PT_PKS3_PKT0_S9_ifPKiSB_iPKfiiiSD_SD_iiiii
	.globl	_ZN4vllm25paged_attention_v2_kernelIfhLi64ELi32ELi128ELNS_18Fp8KVCacheDataTypeE1ELb1ELi512EEEvPfS2_PT_PKS3_PKT0_S9_ifPKiSB_iPKfiiiSD_SD_iiiii
	.p2align	8
	.type	_ZN4vllm25paged_attention_v2_kernelIfhLi64ELi32ELi128ELNS_18Fp8KVCacheDataTypeE1ELb1ELi512EEEvPfS2_PT_PKS3_PKT0_S9_ifPKiSB_iPKfiiiSD_SD_iiiii,@function
_ZN4vllm25paged_attention_v2_kernelIfhLi64ELi32ELi128ELNS_18Fp8KVCacheDataTypeE1ELb1ELi512EEEvPfS2_PT_PKS3_PKT0_S9_ifPKiSB_iPKfiiiSD_SD_iiiii: ; @_ZN4vllm25paged_attention_v2_kernelIfhLi64ELi32ELi128ELNS_18Fp8KVCacheDataTypeE1ELb1ELi512EEEvPfS2_PT_PKS3_PKT0_S9_ifPKiSB_iPKfiiiSD_SD_iiiii
; %bb.0:
	s_load_b64 s[2:3], s[0:1], 0x40
	s_and_b32 s19, ttmp7, 0xffff
	s_lshr_b32 s33, ttmp7, 16
	s_lshl_b32 s4, s19, 2
	s_lshl_b32 s37, s33, 9
	s_wait_kmcnt 0x0
	s_load_b32 s34, s[2:3], s4 offset:0x0
	s_wait_kmcnt 0x0
	s_cmp_ge_i32 s37, s34
	s_cbranch_scc1 .LBB226_116
; %bb.1:
	s_clause 0x1
	s_load_b32 s36, s[0:1], 0x90
	s_load_b64 s[12:13], s[0:1], 0x30
	s_wait_kmcnt 0x0
	s_abs_i32 s5, s36
	s_abs_i32 s2, s12
	s_delay_alu instid0(SALU_CYCLE_1) | instskip(SKIP_1) | instid1(SALU_CYCLE_2)
	s_cvt_f32_u32 s3, s2
	s_sub_co_i32 s4, 0, s2
	v_rcp_iflag_f32_e32 v1, s3
	s_delay_alu instid0(TRANS32_DEP_1) | instskip(SKIP_2) | instid1(SALU_CYCLE_2)
	v_readfirstlane_b32 s3, v1
	s_mul_f32 s3, s3, 0x4f7ffffe
	s_wait_alu 0xfffe
	s_cvt_u32_f32 s3, s3
	s_wait_alu 0xfffe
	s_delay_alu instid0(SALU_CYCLE_2) | instskip(NEXT) | instid1(SALU_CYCLE_1)
	s_mul_i32 s4, s4, s3
	s_mul_hi_u32 s4, s3, s4
	s_delay_alu instid0(SALU_CYCLE_1)
	s_add_co_i32 s3, s3, s4
	s_xor_b32 s4, s36, s12
	s_wait_alu 0xfffe
	s_mul_hi_u32 s3, s5, s3
	s_ashr_i32 s4, s4, 31
	s_wait_alu 0xfffe
	s_mul_i32 s6, s3, s2
	s_delay_alu instid0(SALU_CYCLE_1)
	s_sub_co_i32 s5, s5, s6
	s_add_co_i32 s6, s3, 1
	s_sub_co_i32 s7, s5, s2
	s_cmp_ge_u32 s5, s2
	s_cselect_b32 s3, s6, s3
	s_cselect_b32 s5, s7, s5
	s_wait_alu 0xfffe
	s_add_co_i32 s6, s3, 1
	s_cmp_ge_u32 s5, s2
	s_cselect_b32 s2, s6, s3
	s_load_b64 s[6:7], s[0:1], 0x50
	s_xor_b32 s2, s2, s4
	s_mov_b32 s3, 0
	s_wait_alu 0xfffe
	s_sub_co_i32 s11, s2, s4
	s_mov_b32 s30, s3
	s_abs_i32 s10, s11
	s_delay_alu instid0(SALU_CYCLE_1) | instskip(SKIP_1) | instid1(SALU_CYCLE_2)
	s_cvt_f32_u32 s2, s10
	s_wait_alu 0xfffe
	v_rcp_iflag_f32_e32 v1, s2
	s_delay_alu instid0(TRANS32_DEP_1) | instskip(SKIP_2) | instid1(SALU_CYCLE_2)
	v_readfirstlane_b32 s2, v1
	s_mul_f32 s2, s2, 0x4f7ffffe
	s_wait_alu 0xfffe
	s_cvt_u32_f32 s4, s2
	s_sub_co_i32 s2, 0, s10
	s_wait_alu 0xfffe
	s_delay_alu instid0(SALU_CYCLE_1)
	s_mul_i32 s2, s2, s4
	s_wait_alu 0xfffe
	s_mul_hi_u32 s5, s4, s2
	s_abs_i32 s2, ttmp9
	s_add_co_i32 s4, s4, s5
	s_mov_b32 s5, s3
	s_wait_kmcnt 0x0
	s_cmp_eq_u64 s[6:7], 0
	s_cbranch_scc1 .LBB226_3
; %bb.2:
	s_mov_b32 s8, ttmp9
	s_ashr_i32 s9, ttmp9, 31
	s_delay_alu instid0(SALU_CYCLE_1) | instskip(NEXT) | instid1(SALU_CYCLE_1)
	s_lshl_b64 s[8:9], s[8:9], 2
	s_add_nc_u64 s[6:7], s[6:7], s[8:9]
	s_load_b32 s30, s[6:7], 0x0
.LBB226_3:
	s_load_b96 s[16:18], s[0:1], 0x58
	s_mul_u64 s[8:9], s[2:3], s[4:5]
	s_ashr_i32 s3, ttmp9, 31
	s_ashr_i32 s8, s11, 31
	s_lshl_b32 s20, ttmp9, 6
	s_mov_b32 s4, exec_lo
	v_cmpx_gt_u32_e32 16, v0
	s_cbranch_execz .LBB226_5
; %bb.4:
	s_load_b64 s[6:7], s[0:1], 0x18
	s_wait_kmcnt 0x0
	s_mul_i32 s14, s16, s19
	s_ashr_i32 s21, s20, 31
	s_ashr_i32 s15, s14, 31
	v_lshlrev_b32_e32 v5, 4, v0
	s_lshl_b64 s[14:15], s[14:15], 2
	s_delay_alu instid0(SALU_CYCLE_1) | instskip(SKIP_1) | instid1(SALU_CYCLE_1)
	s_add_nc_u64 s[6:7], s[6:7], s[14:15]
	s_lshl_b64 s[14:15], s[20:21], 2
	s_add_nc_u64 s[6:7], s[6:7], s[14:15]
	global_load_b128 v[1:4], v5, s[6:7]
	s_wait_loadcnt 0x0
	ds_store_b128 v5, v[1:4]
.LBB226_5:
	s_or_b32 exec_lo, exec_lo, s4
	s_load_b128 s[4:7], s[0:1], 0x78
	s_mul_i32 s11, s9, s10
	s_xor_b32 s3, s3, s8
	s_sub_co_i32 s2, s2, s11
	s_add_co_i32 s8, s9, 1
	s_wait_alu 0xfffe
	s_sub_co_i32 s11, s2, s10
	s_cmp_ge_u32 s2, s10
                                        ; implicit-def: $sgpr21
	s_cselect_b32 s8, s8, s9
	s_cselect_b32 s2, s11, s2
	s_add_co_i32 s9, s8, 1
	s_wait_alu 0xfffe
	s_cmp_ge_u32 s2, s10
	s_mov_b32 s10, -1
	s_cselect_b32 s2, s9, s8
	s_load_b32 s8, s[0:1], 0x88
	s_xor_b32 s2, s2, s3
	s_wait_dscnt 0x0
	s_wait_alu 0xfffe
	s_sub_co_i32 s28, s2, s3
	s_barrier_signal -1
	s_barrier_wait -1
	s_wait_kmcnt 0x0
	s_abs_i32 s16, s7
	global_inv scope:SCOPE_SE
	s_cvt_f32_u32 s9, s16
	s_delay_alu instid0(SALU_CYCLE_3) | instskip(NEXT) | instid1(TRANS32_DEP_1)
	v_rcp_iflag_f32_e32 v1, s9
	v_readfirstlane_b32 s9, v1
	s_mul_f32 s2, s9, 0x4f7ffffe
	s_add_co_i32 s9, s34, -1
	s_wait_alu 0xfffe
	s_delay_alu instid0(SALU_CYCLE_1) | instskip(SKIP_2) | instid1(SALU_CYCLE_1)
	s_cvt_u32_f32 s11, s2
	s_sub_co_i32 s2, 0, s16
	s_wait_alu 0xfffe
	s_mul_i32 s3, s2, s11
	s_abs_i32 s2, s9
	s_wait_alu 0xfffe
	s_mul_hi_u32 s14, s11, s3
	s_mov_b32 s3, 0
	s_add_co_i32 s22, s11, s14
	s_cmp_lt_i32 s8, 0
	s_wait_alu 0xfffe
	s_mov_b32 s23, s3
	s_cbranch_scc0 .LBB226_7
; %bb.6:
	s_mul_i32 s10, s4, s12
	s_delay_alu instid0(SALU_CYCLE_1) | instskip(NEXT) | instid1(SALU_CYCLE_1)
	s_add_co_i32 s10, s28, s10
	s_mul_i32 s10, s10, s8
	s_delay_alu instid0(SALU_CYCLE_1)
	s_sub_co_i32 s21, 1, s10
	s_mov_b32 s10, s3
.LBB226_7:
	s_mul_u64 s[14:15], s[2:3], s[22:23]
	s_ashr_i32 s3, s9, 31
	s_and_not1_b32 vcc_lo, exec_lo, s10
	s_ashr_i32 s23, s7, 31
	s_cbranch_vccnz .LBB226_9
; %bb.8:
	s_mul_i32 s4, s36, s4
	s_delay_alu instid0(SALU_CYCLE_1) | instskip(NEXT) | instid1(SALU_CYCLE_1)
	s_add_co_i32 s4, s4, ttmp9
	s_mul_i32 s4, s4, s8
	s_delay_alu instid0(SALU_CYCLE_1)
	s_add_co_i32 s21, s4, 1
.LBB226_9:
	s_clause 0x3
	s_load_b32 s4, s[0:1], 0x48
	s_load_b64 s[24:25], s[0:1], 0x38
	s_load_b32 s7, s[0:1], 0x98
	s_load_b128 s[8:11], s[0:1], 0x68
	s_mul_i32 s12, s15, s16
	s_xor_b32 s3, s3, s23
	s_sub_co_i32 s2, s2, s12
	s_add_co_i32 s14, s15, 1
	v_lshrrev_b32_e32 v148, 5, v0
	v_and_b32_e32 v149, 31, v0
	s_mul_i32 s28, s28, s18
	s_delay_alu instid0(VALU_DEP_2) | instskip(NEXT) | instid1(VALU_DEP_2)
	v_lshl_add_u32 v79, v148, 5, s37
	v_lshlrev_b32_e32 v147, 2, v149
	s_wait_kmcnt 0x0
	s_mul_i32 s26, s4, s19
	s_wait_alu 0xfffe
	s_sub_co_i32 s4, s2, s16
	s_ashr_i32 s27, s26, 31
	s_cmp_ge_u32 s2, s16
	s_cselect_b32 s12, s14, s15
	s_cselect_b32 s2, s4, s2
	s_add_co_i32 s4, s12, 1
	s_wait_alu 0xfffe
	s_cmp_ge_u32 s2, s16
	s_cselect_b32 s2, s4, s12
	s_add_co_i32 s4, s34, 31
	s_lshl_b32 s40, s33, 4
	s_ashr_i32 s12, s4, 31
	v_dual_mov_b32 v83, 0xff7fffff :: v_dual_add_nc_u32 v80, s40, v148
	s_lshr_b32 s12, s12, 27
	s_delay_alu instid0(SALU_CYCLE_1)
	s_add_co_i32 s4, s4, s12
	s_add_co_i32 s12, s40, 16
	s_ashr_i32 s38, s4, 5
	s_wait_alu 0xfffe
	s_xor_b32 s4, s2, s3
	s_min_i32 s35, s12, s38
	v_lshlrev_b32_e32 v146, 2, v80
	v_cmp_gt_i32_e64 s2, s35, v80
	s_sub_co_i32 s39, s4, s3
	s_and_saveexec_b32 s12, s2
	s_cbranch_execz .LBB226_17
; %bb.10:
	s_load_b64 s[42:43], s[0:1], 0x20
	s_sub_co_i32 s14, s39, s5
	s_ashr_i32 s29, s28, 31
	s_cmp_neq_f32 s30, 0
	v_dual_mov_b32 v61, 0 :: v_dual_lshlrev_b32 v26, 4, v149
	ds_load_b128 v[1:4], v61
	ds_load_b128 v[5:8], v61 offset:16
	ds_load_b128 v[9:12], v61 offset:32
	;; [unrolled: 1-line block ×5, first 2 shown]
	s_cselect_b32 vcc_lo, -1, 0
	s_abs_i32 s15, s6
	v_subrev_nc_u32_e32 v65, s34, v149
	s_cvt_f32_u32 s3, s15
	v_lshl_or_b32 v66, v148, 7, v147
	v_lshl_add_u32 v84, v148, 5, s37
	s_delay_alu instid0(VALU_DEP_3)
	v_dual_mov_b32 v150, 0xff7fffff :: v_dual_add_nc_u32 v151, 1, v65
	s_wait_alu 0xfffe
	v_rcp_iflag_f32_e32 v25, s3
	v_add_nc_u32_e32 v86, 0x120, v66
	s_wait_kmcnt 0x0
	s_add_nc_u64 s[42:43], s[42:43], s[28:29]
	v_dual_mov_b32 v83, 0xff7fffff :: v_dual_mov_b32 v88, v80
	v_add_co_u32 v152, s4, s42, v26
	s_delay_alu instid0(VALU_DEP_1) | instskip(SKIP_1) | instid1(TRANS32_DEP_1)
	v_add_co_ci_u32_e64 v153, null, s43, 0, s4
	s_lshl_b64 s[42:43], s[26:27], 2
	v_readfirstlane_b32 s3, v25
	ds_load_b128 v[25:28], v61 offset:96
	ds_load_b128 v[29:32], v61 offset:112
	ds_load_b128 v[33:36], v61 offset:128
	ds_load_b128 v[37:40], v61 offset:144
	ds_load_b128 v[41:44], v61 offset:160
	ds_load_b128 v[45:48], v61 offset:176
	ds_load_b128 v[49:52], v61 offset:192
	ds_load_b128 v[53:56], v61 offset:208
	ds_load_b128 v[57:60], v61 offset:224
	ds_load_b128 v[61:64], v61 offset:240
	s_wait_alu 0xfffe
	s_add_nc_u64 s[42:43], s[24:25], s[42:43]
	s_mul_f32 s3, s3, 0x4f7ffffe
	s_sub_co_i32 s4, 0, s15
	s_wait_alu 0xfffe
	v_add_co_u32 v75, s29, s42, v146
	s_cvt_u32_f32 s3, s3
	v_add_co_ci_u32_e64 v76, null, s43, 0, s29
	s_mov_b32 s18, s17
	s_wait_alu 0xfffe
	s_mul_i32 s4, s4, s3
	s_mov_b32 s29, 0
	s_wait_alu 0xfffe
	s_mul_hi_u32 s4, s3, s4
	s_wait_alu 0xfffe
	s_add_co_i32 s31, s3, s4
	s_branch .LBB226_12
.LBB226_11:                             ;   in Loop: Header=BB226_12 Depth=1
	s_wait_alu 0xfffe
	s_or_b32 exec_lo, exec_lo, s4
	v_add_nc_u32_e32 v88, 4, v88
	v_add_co_u32 v75, s4, v75, 16
	s_wait_alu 0xf1ff
	v_add_co_ci_u32_e64 v76, null, 0, v76, s4
	s_delay_alu instid0(VALU_DEP_3)
	v_cmp_le_i32_e64 s3, s35, v88
	v_add_nc_u32_e32 v84, 0x80, v84
	v_add_nc_u32_e32 v86, 0x200, v86
	s_or_b32 s29, s3, s29
	s_wait_alu 0xfffe
	s_and_not1_b32 exec_lo, exec_lo, s29
	s_cbranch_execz .LBB226_16
.LBB226_12:                             ; =>This Inner Loop Header: Depth=1
	v_sub_nc_u32_e32 v65, 0, v84
	s_delay_alu instid0(VALU_DEP_1) | instskip(NEXT) | instid1(VALU_DEP_1)
	v_max_i32_e32 v65, v84, v65
	v_mul_hi_u32 v66, v65, s22
	s_delay_alu instid0(VALU_DEP_1) | instskip(NEXT) | instid1(VALU_DEP_1)
	v_mul_lo_u32 v67, v66, s16
	v_sub_nc_u32_e32 v65, v65, v67
	v_add_nc_u32_e32 v67, 1, v66
	s_delay_alu instid0(VALU_DEP_2) | instskip(SKIP_2) | instid1(VALU_DEP_1)
	v_subrev_nc_u32_e32 v68, s16, v65
	v_cmp_le_u32_e64 s3, s16, v65
	s_wait_alu 0xf1ff
	v_cndmask_b32_e64 v66, v66, v67, s3
	s_delay_alu instid0(VALU_DEP_3) | instskip(SKIP_1) | instid1(VALU_DEP_3)
	v_cndmask_b32_e64 v65, v65, v68, s3
	v_ashrrev_i32_e32 v67, 31, v84
	v_add_nc_u32_e32 v68, 1, v66
	s_delay_alu instid0(VALU_DEP_3) | instskip(NEXT) | instid1(VALU_DEP_3)
	v_cmp_le_u32_e64 s3, s16, v65
	v_xor_b32_e32 v67, s23, v67
	s_wait_alu 0xf1ff
	s_delay_alu instid0(VALU_DEP_2) | instskip(NEXT) | instid1(VALU_DEP_1)
	v_cndmask_b32_e64 v65, v66, v68, s3
	v_xor_b32_e32 v65, v65, v67
	s_delay_alu instid0(VALU_DEP_1) | instskip(NEXT) | instid1(VALU_DEP_1)
	v_sub_nc_u32_e32 v65, v65, v67
	v_add_nc_u32_e32 v66, s21, v65
	v_cmp_ge_i32_e64 s4, s14, v65
	s_delay_alu instid0(VALU_DEP_2) | instskip(NEXT) | instid1(VALU_DEP_1)
	v_sub_nc_u32_e32 v67, 0, v66
	v_max_i32_e32 v67, v66, v67
	v_ashrrev_i32_e32 v66, 31, v66
	s_delay_alu instid0(VALU_DEP_2) | instskip(NEXT) | instid1(VALU_DEP_1)
	v_mul_hi_u32 v68, v67, s31
	v_mul_lo_u32 v68, v68, s15
	s_delay_alu instid0(VALU_DEP_1) | instskip(NEXT) | instid1(VALU_DEP_1)
	v_sub_nc_u32_e32 v67, v67, v68
	v_subrev_nc_u32_e32 v68, s15, v67
	v_cmp_le_u32_e64 s3, s15, v67
	s_wait_alu 0xf1ff
	s_delay_alu instid0(VALU_DEP_1) | instskip(NEXT) | instid1(VALU_DEP_1)
	v_cndmask_b32_e64 v67, v67, v68, s3
	v_subrev_nc_u32_e32 v68, s15, v67
	v_cmp_le_u32_e64 s3, s15, v67
	s_wait_alu 0xf1ff
	s_delay_alu instid0(VALU_DEP_1) | instskip(NEXT) | instid1(VALU_DEP_1)
	v_cndmask_b32_e64 v67, v67, v68, s3
	v_xor_b32_e32 v67, v67, v66
	s_delay_alu instid0(VALU_DEP_1) | instskip(NEXT) | instid1(VALU_DEP_1)
	v_sub_nc_u32_e32 v66, v67, v66
	v_cmp_ne_u32_e64 s3, 0, v66
	s_and_b32 s3, s3, s4
	s_wait_alu 0xfffe
	s_and_saveexec_b32 s4, s3
	s_wait_alu 0xfffe
	s_xor_b32 s3, exec_lo, s4
; %bb.13:                               ;   in Loop: Header=BB226_12 Depth=1
	ds_store_b32 v86, v150
; %bb.14:                               ;   in Loop: Header=BB226_12 Depth=1
	s_wait_alu 0xfffe
	s_and_not1_saveexec_b32 s4, s3
	s_cbranch_execz .LBB226_11
; %bb.15:                               ;   in Loop: Header=BB226_12 Depth=1
	global_load_b32 v65, v[75:76], off
	s_wait_loadcnt 0x0
	v_mad_co_i64_i32 v[93:94], null, v65, s18, v[152:153]
	s_clause 0x3
	global_load_b128 v[65:68], v[93:94], off
	global_load_b128 v[69:72], v[93:94], off offset:512
	global_load_b128 v[89:92], v[93:94], off offset:1024
	;; [unrolled: 1-line block ×3, first 2 shown]
	s_load_b32 s3, s[8:9], 0x0
	s_wait_loadcnt 0x3
	v_lshrrev_b32_e32 v100, 16, v66
	v_lshrrev_b32_e32 v102, 16, v67
	s_wait_loadcnt 0x2
	v_and_b32_e32 v109, 0xffff, v71
	v_lshrrev_b32_e32 v110, 16, v71
	v_and_b32_e32 v111, 0xffff, v72
	v_lshrrev_b32_e32 v112, 16, v72
	v_cvt_pk_f32_fp8_e32 v[71:72], v100
	v_and_b32_e32 v99, 0xffff, v66
	v_lshrrev_b32_e32 v106, 16, v69
	v_and_b32_e32 v107, 0xffff, v70
	v_lshrrev_b32_e32 v108, 16, v70
	s_wait_loadcnt 0x1
	v_and_b32_e32 v121, 0xffff, v91
	v_lshrrev_b32_e32 v123, 16, v91
	v_and_b32_e32 v125, 0xffff, v92
	v_lshrrev_b32_e32 v127, 16, v92
	v_cvt_pk_f32_fp8_e32 v[91:92], v102
	s_wait_kmcnt 0x0
	v_dual_mul_f32 v72, s3, v72 :: v_dual_and_b32 v105, 0xffff, v69
	v_cvt_pk_f32_fp8_e32 v[69:70], v99
	v_and_b32_e32 v101, 0xffff, v67
	v_lshrrev_b32_e32 v98, 16, v65
	v_and_b32_e32 v113, 0xffff, v89
	v_lshrrev_b32_e32 v115, 16, v89
	;; [unrolled: 2-line block ×3, first 2 shown]
	s_wait_loadcnt 0x0
	v_lshrrev_b32_e32 v74, 16, v96
	v_mul_f32_e32 v70, s3, v70
	v_cvt_pk_f32_fp8_e32 v[89:90], v101
	v_and_b32_e32 v103, 0xffff, v68
	v_lshrrev_b32_e32 v104, 16, v68
	v_and_b32_e32 v81, 0xffff, v93
	v_lshrrev_b32_e32 v82, 16, v93
	;; [unrolled: 2-line block ×3, first 2 shown]
	v_cvt_pk_f32_fp8_e32 v[67:68], v98
	v_and_b32_e32 v97, 0xffff, v65
	v_cvt_pk_f32_fp8_e32 v[143:144], v74
	v_mul_f32_e32 v74, s3, v89
	v_cvt_pk_f32_fp8_e32 v[93:94], v103
	v_and_b32_e32 v87, 0xffff, v95
	v_lshrrev_b32_e32 v85, 16, v95
	v_cvt_pk_f32_fp8_e32 v[99:100], v106
	v_cvt_pk_f32_fp8_e32 v[115:116], v115
	v_and_b32_e32 v73, 0xffff, v96
	v_cvt_pk_f32_fp8_e32 v[95:96], v104
	v_cvt_pk_f32_fp8_e32 v[103:104], v108
	;; [unrolled: 1-line block ×4, first 2 shown]
	v_mul_f32_e32 v68, s3, v68
	v_cvt_pk_f32_fp8_e32 v[65:66], v97
	v_mul_f32_e32 v78, s3, v91
	v_cvt_pk_f32_fp8_e32 v[97:98], v105
	;; [unrolled: 2-line block ×3, first 2 shown]
	v_cvt_pk_f32_fp8_e32 v[107:108], v110
	v_dual_mul_f32 v66, s3, v66 :: v_dual_add_nc_u32 v145, v151, v84
	v_cvt_pk_f32_fp8_e32 v[133:134], v77
	v_cvt_pk_f32_fp8_e32 v[139:140], v85
	s_wait_dscnt 0xe
	v_dual_mul_f32 v77, s3, v92 :: v_dual_mul_f32 v70, v6, v70
	v_mul_f32_e32 v85, s3, v96
	v_dual_mul_f32 v91, s3, v100 :: v_dual_mul_f32 v92, s3, v99
	v_mul_f32_e32 v96, s3, v103
	v_cvt_pk_f32_fp8_e32 v[113:114], v113
	v_dual_mul_f32 v99, s3, v108 :: v_dual_mul_f32 v100, s3, v107
	v_cvt_pk_f32_fp8_e32 v[125:126], v125
	v_mul_f32_e32 v108, s3, v115
	v_cvt_pk_f32_fp8_e32 v[141:142], v73
	v_dual_mul_f32 v73, s3, v90 :: v_dual_mul_f32 v90, s3, v97
	v_cvt_pk_f32_fp8_e32 v[105:106], v109
	v_cvt_pk_f32_fp8_e32 v[109:110], v111
	;; [unrolled: 1-line block ×3, first 2 shown]
	v_fmac_f32_e32 v70, v2, v66
	s_delay_alu instid0(VALU_DEP_4)
	v_dual_mul_f32 v66, v8, v72 :: v_dual_mul_f32 v97, s3, v106
	v_mul_f32_e32 v106, s3, v113
	v_cvt_pk_f32_fp8_e32 v[137:138], v87
	v_mul_f32_e32 v87, s3, v95
	v_cvt_pk_f32_fp8_e32 v[127:128], v127
	v_dual_mul_f32 v93, s3, v102 :: v_dual_fmac_f32 v66, v4, v68
	v_dual_mul_f32 v95, s3, v104 :: v_dual_mul_f32 v68, s3, v131
	v_mul_f32_e32 v104, s3, v111
	v_cvt_pk_f32_fp8_e32 v[129:130], v81
	v_dual_mul_f32 v81, s3, v94 :: v_dual_mul_f32 v94, s3, v101
	v_cvt_pk_f32_fp8_e32 v[117:118], v117
	v_cvt_pk_f32_fp8_e32 v[119:120], v119
	v_mul_f32_e32 v102, s3, v109
	s_wait_dscnt 0xd
	v_fmac_f32_e32 v66, v12, v77
	v_cvt_pk_f32_fp8_e32 v[123:124], v123
	v_dual_mul_f32 v109, s3, v118 :: v_dual_mul_f32 v118, s3, v125
	v_dual_mul_f32 v89, s3, v98 :: v_dual_fmac_f32 v70, v10, v73
	v_dual_mul_f32 v111, s3, v120 :: v_dual_mul_f32 v120, s3, v127
	v_dual_mul_f32 v98, s3, v105 :: v_dual_mul_f32 v101, s3, v110
	s_wait_dscnt 0xc
	v_fmac_f32_e32 v66, v16, v85
	v_fmac_f32_e32 v70, v14, v81
	v_cvt_pk_f32_fp8_e32 v[121:122], v121
	v_mul_f32_e32 v71, s3, v71
	s_wait_dscnt 0xb
	v_dual_mul_f32 v107, s3, v116 :: v_dual_fmac_f32 v66, v20, v91
	v_dual_fmac_f32 v70, v18, v89 :: v_dual_mul_f32 v105, s3, v114
	v_mul_f32_e32 v65, s3, v65
	v_dual_mul_f32 v67, s3, v67 :: v_dual_mul_f32 v110, s3, v117
	s_wait_dscnt 0xa
	s_delay_alu instid0(VALU_DEP_3) | instskip(SKIP_3) | instid1(VALU_DEP_3)
	v_fmac_f32_e32 v70, v22, v93
	v_dual_mul_f32 v69, s3, v69 :: v_dual_mul_f32 v116, s3, v123
	v_dual_mul_f32 v103, s3, v112 :: v_dual_mul_f32 v72, s3, v134
	s_wait_dscnt 0x9
	v_dual_fmac_f32 v70, v26, v97 :: v_dual_mul_f32 v115, s3, v124
	v_mul_f32_e32 v112, s3, v119
	v_mul_f32_e32 v114, s3, v121
	v_fmac_f32_e32 v66, v24, v95
	s_wait_dscnt 0x8
	v_dual_fmac_f32 v70, v30, v101 :: v_dual_mul_f32 v119, s3, v128
	v_mul_f32_e32 v113, s3, v122
	s_delay_alu instid0(VALU_DEP_3) | instskip(SKIP_1) | instid1(VALU_DEP_3)
	v_dual_mul_f32 v117, s3, v126 :: v_dual_fmac_f32 v66, v28, v99
	s_wait_dscnt 0x7
	v_dual_fmac_f32 v70, v34, v105 :: v_dual_mul_f32 v71, v7, v71
	v_mul_f32_e32 v69, v5, v69
	s_delay_alu instid0(VALU_DEP_3) | instskip(SKIP_1) | instid1(VALU_DEP_3)
	v_dual_mul_f32 v121, s3, v130 :: v_dual_fmac_f32 v66, v32, v103
	s_wait_dscnt 0x6
	v_dual_fmac_f32 v70, v38, v109 :: v_dual_fmac_f32 v71, v3, v67
	v_mul_f32_e32 v81, s3, v137
	v_mul_f32_e32 v85, s3, v139
	s_delay_alu instid0(VALU_DEP_3) | instskip(SKIP_1) | instid1(VALU_DEP_2)
	v_dual_fmac_f32 v66, v36, v107 :: v_dual_fmac_f32 v71, v11, v78
	v_dual_mul_f32 v78, s3, v138 :: v_dual_fmac_f32 v69, v1, v65
	v_dual_fmac_f32 v66, v40, v111 :: v_dual_mul_f32 v65, s3, v129
	s_delay_alu instid0(VALU_DEP_2) | instskip(SKIP_2) | instid1(VALU_DEP_3)
	v_dual_fmac_f32 v69, v9, v74 :: v_dual_mul_f32 v74, s3, v136
	s_wait_dscnt 0x5
	v_dual_fmac_f32 v70, v42, v113 :: v_dual_mul_f32 v67, s3, v132
	v_fmac_f32_e32 v66, v44, v115
	s_wait_dscnt 0x4
	s_delay_alu instid0(VALU_DEP_2) | instskip(NEXT) | instid1(VALU_DEP_2)
	v_dual_fmac_f32 v70, v46, v117 :: v_dual_fmac_f32 v69, v13, v82
	v_fmac_f32_e32 v66, v48, v119
	v_mul_f32_e32 v82, s3, v140
	s_wait_dscnt 0x3
	s_delay_alu instid0(VALU_DEP_3) | instskip(SKIP_3) | instid1(VALU_DEP_3)
	v_dual_fmac_f32 v70, v50, v121 :: v_dual_fmac_f32 v69, v17, v90
	v_fmac_f32_e32 v71, v15, v87
	v_fmac_f32_e32 v66, v52, v67
	s_wait_dscnt 0x2
	v_dual_mul_f32 v67, s3, v143 :: v_dual_fmac_f32 v70, v54, v72
	v_fmac_f32_e32 v69, v21, v94
	v_fmac_f32_e32 v71, v19, v92
	v_dual_mul_f32 v73, s3, v133 :: v_dual_fmac_f32 v66, v56, v74
	s_wait_dscnt 0x1
	v_fmac_f32_e32 v70, v58, v78
	v_fmac_f32_e32 v69, v25, v98
	s_delay_alu instid0(VALU_DEP_3) | instskip(NEXT) | instid1(VALU_DEP_2)
	v_dual_fmac_f32 v71, v23, v96 :: v_dual_fmac_f32 v66, v60, v82
	v_fmac_f32_e32 v69, v29, v102
	s_delay_alu instid0(VALU_DEP_2) | instskip(NEXT) | instid1(VALU_DEP_2)
	v_fmac_f32_e32 v71, v27, v100
	v_fmac_f32_e32 v69, v33, v106
	s_delay_alu instid0(VALU_DEP_2) | instskip(NEXT) | instid1(VALU_DEP_2)
	v_fmac_f32_e32 v71, v31, v104
	;; [unrolled: 3-line block ×5, first 2 shown]
	v_fmac_f32_e32 v69, v49, v65
	s_delay_alu instid0(VALU_DEP_2) | instskip(SKIP_1) | instid1(VALU_DEP_3)
	v_fmac_f32_e32 v71, v47, v120
	v_mul_f32_e32 v65, s3, v142
	v_fmac_f32_e32 v69, v53, v73
	s_delay_alu instid0(VALU_DEP_3) | instskip(SKIP_1) | instid1(VALU_DEP_3)
	v_dual_fmac_f32 v71, v51, v68 :: v_dual_mul_f32 v68, s3, v141
	s_wait_dscnt 0x0
	v_fmac_f32_e32 v70, v62, v65
	v_cvt_f32_i32_e32 v65, v145
	v_fmac_f32_e32 v69, v57, v81
	s_delay_alu instid0(VALU_DEP_2) | instskip(NEXT) | instid1(VALU_DEP_2)
	v_mul_f32_e32 v65, s30, v65
	v_fmac_f32_e32 v69, v61, v68
	v_dual_mul_f32 v68, s3, v144 :: v_dual_mul_f32 v77, s3, v135
	s_delay_alu instid0(VALU_DEP_1) | instskip(NEXT) | instid1(VALU_DEP_2)
	v_dual_cndmask_b32 v65, 0, v65 :: v_dual_fmac_f32 v66, v64, v68
	v_fmac_f32_e32 v71, v55, v77
	s_delay_alu instid0(VALU_DEP_1) | instskip(NEXT) | instid1(VALU_DEP_1)
	v_fmac_f32_e32 v71, v59, v85
	v_fmac_f32_e32 v71, v63, v67
	v_add_f32_e32 v67, v69, v70
	s_delay_alu instid0(VALU_DEP_1) | instskip(NEXT) | instid1(VALU_DEP_1)
	v_add_f32_e32 v67, v71, v67
	v_add_f32_e32 v66, v66, v67
	v_max_num_f32_e32 v67, v83, v83
	s_delay_alu instid0(VALU_DEP_2) | instskip(NEXT) | instid1(VALU_DEP_1)
	v_dual_fmac_f32 v65, s13, v66 :: v_dual_add_nc_u32 v66, v149, v84
	v_max_num_f32_e32 v67, v67, v65
	s_delay_alu instid0(VALU_DEP_2) | instskip(SKIP_1) | instid1(VALU_DEP_1)
	v_cmp_gt_i32_e64 s3, s34, v66
	s_wait_alu 0xf1ff
	v_cndmask_b32_e64 v65, 0, v65, s3
	s_delay_alu instid0(VALU_DEP_3)
	v_cndmask_b32_e64 v83, v83, v67, s3
	ds_store_b32 v86, v65
	s_branch .LBB226_11
.LBB226_16:
	s_or_b32 exec_lo, exec_lo, s29
.LBB226_17:
	s_delay_alu instid0(SALU_CYCLE_1)
	s_or_b32 exec_lo, exec_lo, s12
	s_wait_dscnt 0xf
	v_mbcnt_lo_u32_b32 v1, -1, 0
	s_clause 0x2
	s_load_b128 s[12:15], s[0:1], 0x0
	s_load_b64 s[8:9], s[0:1], 0x10
	s_load_b64 s[30:31], s[0:1], 0x28
	s_wait_dscnt 0xe
	v_max_num_f32_e32 v5, v83, v83
	v_xor_b32_e32 v2, 16, v1
	v_xor_b32_e32 v4, 8, v1
	s_delay_alu instid0(VALU_DEP_2) | instskip(SKIP_2) | instid1(VALU_DEP_3)
	v_cmp_gt_i32_e32 vcc_lo, 32, v2
	s_wait_alu 0xfffd
	v_cndmask_b32_e32 v2, v1, v2, vcc_lo
	v_cmp_gt_i32_e32 vcc_lo, 32, v4
	s_delay_alu instid0(VALU_DEP_2)
	v_lshlrev_b32_e32 v2, 2, v2
	s_wait_alu 0xfffd
	v_cndmask_b32_e32 v4, v1, v4, vcc_lo
	ds_bpermute_b32 v3, v2, v83
	s_wait_dscnt 0x0
	v_dual_max_num_f32 v6, v3, v3 :: v_dual_lshlrev_b32 v3, 2, v4
	s_delay_alu instid0(VALU_DEP_1)
	v_max_num_f32_e32 v4, v5, v6
	v_xor_b32_e32 v6, 4, v1
	ds_bpermute_b32 v5, v3, v4
	v_cmp_gt_i32_e32 vcc_lo, 32, v6
	s_wait_alu 0xfffd
	v_cndmask_b32_e32 v6, v1, v6, vcc_lo
	s_delay_alu instid0(VALU_DEP_1) | instskip(SKIP_1) | instid1(VALU_DEP_1)
	v_lshlrev_b32_e32 v13, 2, v6
	v_xor_b32_e32 v6, 2, v1
	v_cmp_gt_i32_e32 vcc_lo, 32, v6
	s_wait_dscnt 0x0
	v_max_num_f32_e32 v5, v5, v5
	s_wait_alu 0xfffd
	v_cndmask_b32_e32 v6, v1, v6, vcc_lo
	s_delay_alu instid0(VALU_DEP_1) | instskip(SKIP_1) | instid1(VALU_DEP_1)
	v_lshlrev_b32_e32 v12, 2, v6
	v_xor_b32_e32 v6, 1, v1
	v_cmp_gt_i32_e32 vcc_lo, 32, v6
	s_wait_alu 0xfffd
	v_cndmask_b32_e32 v6, v1, v6, vcc_lo
	v_max_num_f32_e32 v4, v4, v5
	v_cmp_eq_u32_e32 vcc_lo, 0, v149
	s_delay_alu instid0(VALU_DEP_3) | instskip(SKIP_3) | instid1(VALU_DEP_1)
	v_lshlrev_b32_e32 v11, 2, v6
	ds_bpermute_b32 v5, v13, v4
	s_wait_dscnt 0x0
	v_max_num_f32_e32 v5, v5, v5
	v_max_num_f32_e32 v4, v4, v5
	ds_bpermute_b32 v5, v12, v4
	s_wait_dscnt 0x0
	v_max_num_f32_e32 v5, v5, v5
	s_delay_alu instid0(VALU_DEP_1)
	v_max_num_f32_e32 v1, v4, v5
	v_lshlrev_b32_e32 v5, 2, v148
	ds_bpermute_b32 v4, v11, v1
	s_and_saveexec_b32 s0, vcc_lo
	s_cbranch_execz .LBB226_19
; %bb.18:
	s_wait_dscnt 0x0
	v_dual_max_num_f32 v4, v4, v4 :: v_dual_max_num_f32 v1, v1, v1
	s_delay_alu instid0(VALU_DEP_1)
	v_max_num_f32_e32 v1, v1, v4
	ds_store_b32 v5, v1 offset:256
.LBB226_19:
	s_or_b32 exec_lo, exec_lo, s0
	v_cmp_gt_u32_e64 s0, 4, v149
	v_mov_b32_e32 v1, 0xff7fffff
	s_wait_loadcnt_dscnt 0x0
	s_barrier_signal -1
	s_barrier_wait -1
	global_inv scope:SCOPE_SE
	s_and_saveexec_b32 s1, s0
; %bb.20:
	ds_load_b32 v1, v147 offset:256
; %bb.21:
	s_or_b32 exec_lo, exec_lo, s1
	s_wait_dscnt 0x0
	ds_bpermute_b32 v4, v12, v1
	v_max_num_f32_e32 v1, v1, v1
	s_sub_co_i32 s1, s35, s40
	v_mov_b32_e32 v6, 0
	s_lshl_b32 s1, s1, 5
	s_delay_alu instid0(SALU_CYCLE_1) | instskip(NEXT) | instid1(SALU_CYCLE_1)
	s_add_co_i32 s1, s1, s37
	s_min_i32 s1, s1, s34
	s_delay_alu instid0(SALU_CYCLE_1) | instskip(SKIP_4) | instid1(VALU_DEP_1)
	s_sub_co_i32 s4, s1, s37
	s_wait_alu 0xfffe
	v_cmp_gt_i32_e64 s1, s4, v0
	s_wait_dscnt 0x0
	v_max_num_f32_e32 v4, v4, v4
	v_max_num_f32_e32 v1, v1, v4
	ds_bpermute_b32 v4, v11, v1
	s_wait_dscnt 0x0
	v_max_num_f32_e32 v4, v4, v4
	s_delay_alu instid0(VALU_DEP_1)
	v_max_num_f32_e32 v1, v1, v4
	v_lshl_add_u32 v4, v0, 2, 0x120
	ds_bpermute_b32 v1, v6, v1
	s_and_saveexec_b32 s18, s1
	s_cbranch_execz .LBB226_25
; %bb.22:
	v_lshl_add_u32 v7, v0, 2, 0x120
	v_mov_b32_e32 v6, 0
	v_mov_b32_e32 v8, v0
	s_mov_b32 s29, 0
.LBB226_23:                             ; =>This Inner Loop Header: Depth=1
	ds_load_b32 v9, v7
	v_add_nc_u32_e32 v8, 0x80, v8
	s_delay_alu instid0(VALU_DEP_1) | instskip(SKIP_4) | instid1(VALU_DEP_1)
	v_cmp_le_i32_e64 s3, s4, v8
	s_wait_alu 0xfffe
	s_or_b32 s29, s3, s29
	s_wait_dscnt 0x0
	v_sub_f32_e32 v9, v9, v1
	v_mul_f32_e32 v9, 0x3fb8aa3b, v9
	s_delay_alu instid0(VALU_DEP_1)
	v_exp_f32_e32 v9, v9
	ds_store_b32 v7, v9
	v_dual_add_f32 v6, v6, v9 :: v_dual_add_nc_u32 v7, 0x200, v7
	s_wait_alu 0xfffe
	s_and_not1_b32 exec_lo, exec_lo, s29
	s_cbranch_execnz .LBB226_23
; %bb.24:
	s_or_b32 exec_lo, exec_lo, s29
.LBB226_25:
	s_wait_alu 0xfffe
	s_or_b32 exec_lo, exec_lo, s18
	ds_bpermute_b32 v2, v2, v6
	s_wait_dscnt 0x0
	v_add_f32_e32 v2, v6, v2
	ds_bpermute_b32 v3, v3, v2
	s_wait_dscnt 0x0
	v_add_f32_e32 v2, v2, v3
	ds_bpermute_b32 v3, v13, v2
	s_wait_dscnt 0x0
	v_add_f32_e32 v2, v2, v3
	ds_bpermute_b32 v3, v12, v2
	s_wait_dscnt 0x0
	v_add_f32_e32 v2, v2, v3
	ds_bpermute_b32 v3, v11, v2
	s_wait_dscnt 0x0
	v_add_f32_e32 v2, v2, v3
	s_and_saveexec_b32 s3, vcc_lo
; %bb.26:
	ds_store_b32 v5, v2 offset:272
; %bb.27:
	s_wait_alu 0xfffe
	s_or_b32 exec_lo, exec_lo, s3
	s_wait_loadcnt_dscnt 0x0
	s_barrier_signal -1
	s_barrier_wait -1
	global_inv scope:SCOPE_SE
	s_and_saveexec_b32 s3, s0
; %bb.28:
	ds_load_b32 v2, v147 offset:272
; %bb.29:
	s_wait_alu 0xfffe
	s_or_b32 exec_lo, exec_lo, s3
	s_wait_dscnt 0x0
	ds_bpermute_b32 v3, v12, v2
	s_wait_dscnt 0x0
	v_add_f32_e32 v2, v2, v3
	ds_bpermute_b32 v3, v11, v2
	s_wait_dscnt 0x0
	v_dual_add_f32 v2, v2, v3 :: v_dual_mov_b32 v3, 0
	ds_bpermute_b32 v2, v3, v2
	s_and_saveexec_b32 s0, s1
	s_cbranch_execz .LBB226_32
; %bb.30:
	s_wait_dscnt 0x0
	v_add_f32_e32 v3, 0x358637bd, v2
	s_mov_b32 s1, 0
	s_delay_alu instid0(VALU_DEP_1) | instskip(SKIP_1) | instid1(VALU_DEP_2)
	v_div_scale_f32 v5, null, v3, v3, 1.0
	v_div_scale_f32 v8, vcc_lo, 1.0, v3, 1.0
	v_rcp_f32_e32 v6, v5
	s_delay_alu instid0(TRANS32_DEP_1) | instskip(NEXT) | instid1(VALU_DEP_1)
	v_fma_f32 v7, -v5, v6, 1.0
	v_fmac_f32_e32 v6, v7, v6
	s_delay_alu instid0(VALU_DEP_1) | instskip(NEXT) | instid1(VALU_DEP_1)
	v_mul_f32_e32 v7, v8, v6
	v_fma_f32 v9, -v5, v7, v8
	s_delay_alu instid0(VALU_DEP_1) | instskip(NEXT) | instid1(VALU_DEP_1)
	v_fmac_f32_e32 v7, v9, v6
	v_fma_f32 v5, -v5, v7, v8
	s_wait_alu 0xfffd
	s_delay_alu instid0(VALU_DEP_1) | instskip(NEXT) | instid1(VALU_DEP_1)
	v_div_fmas_f32 v5, v5, v6, v7
	v_div_fixup_f32 v3, v5, v3, 1.0
	v_mov_b32_e32 v5, v0
.LBB226_31:                             ; =>This Inner Loop Header: Depth=1
	ds_load_b32 v6, v4
	s_wait_dscnt 0x0
	v_dual_mul_f32 v6, v3, v6 :: v_dual_add_nc_u32 v5, 0x80, v5
	s_delay_alu instid0(VALU_DEP_1) | instskip(SKIP_3) | instid1(SALU_CYCLE_1)
	v_cmp_le_i32_e32 vcc_lo, s4, v5
	ds_store_b32 v4, v6
	v_add_nc_u32_e32 v4, 0x200, v4
	s_or_b32 s1, vcc_lo, s1
	s_and_not1_b32 exec_lo, exec_lo, s1
	s_cbranch_execnz .LBB226_31
.LBB226_32:
	s_or_b32 exec_lo, exec_lo, s0
	s_mul_i32 s0, s7, s19
	s_wait_loadcnt_dscnt 0x0
	s_mul_i32 s18, s0, s36
	s_mov_b32 s0, exec_lo
	s_barrier_signal -1
	s_barrier_wait -1
	global_inv scope:SCOPE_SE
	v_cmpx_eq_u32_e32 0, v0
	s_cbranch_execz .LBB226_34
; %bb.33:
	s_wait_alu 0xfffe
	s_ashr_i32 s19, s18, 31
	s_mul_i32 s36, s7, ttmp9
	s_lshl_b32 s1, s33, 2
	s_wait_alu 0xfffe
	s_lshl_b64 s[40:41], s[18:19], 2
	s_ashr_i32 s37, s36, 31
	v_mov_b32_e32 v3, s1
	s_wait_kmcnt 0x0
	s_wait_alu 0xfffe
	s_add_nc_u64 s[14:15], s[14:15], s[40:41]
	s_lshl_b64 s[36:37], s[36:37], 2
	s_add_nc_u64 s[12:13], s[12:13], s[40:41]
	s_wait_alu 0xfffe
	s_add_nc_u64 s[14:15], s[14:15], s[36:37]
	s_add_nc_u64 s[12:13], s[12:13], s[36:37]
	s_clause 0x1
	global_store_b32 v3, v1, s[14:15]
	global_store_b32 v3, v2, s[12:13]
.LBB226_34:
	s_or_b32 exec_lo, exec_lo, s0
	v_dual_mov_b32 v29, 0 :: v_dual_and_b32 v14, 7, v0
	v_dual_mov_b32 v30, 0 :: v_dual_mov_b32 v27, 0
	v_dual_mov_b32 v28, 0 :: v_dual_mov_b32 v25, 0
	;; [unrolled: 1-line block ×7, first 2 shown]
	v_mov_b32_e32 v16, 0
	s_and_saveexec_b32 s1, s2
	s_cbranch_execz .LBB226_72
; %bb.35:
	s_abs_i32 s2, s6
	s_sub_co_i32 s3, s39, s5
	s_wait_alu 0xfffe
	s_cvt_f32_u32 s0, s2
	v_dual_mov_b32 v16, 0 :: v_dual_lshlrev_b32 v1, 2, v0
	s_wait_kmcnt 0x0
	s_lshl_b64 s[12:13], s[26:27], 2
	s_wait_alu 0xfffe
	v_rcp_iflag_f32_e32 v2, s0
	v_dual_mov_b32 v18, 0 :: v_dual_lshlrev_b32 v3, 4, v14
	s_add_nc_u64 s[12:13], s[24:25], s[12:13]
	v_mov_b32_e32 v15, 0
	s_wait_alu 0xfffe
	v_add_co_u32 v5, s6, s12, v146
	s_ashr_i32 s29, s28, 31
	v_add_co_ci_u32_e64 v6, null, s13, 0, s6
	s_delay_alu instid0(TRANS32_DEP_1)
	v_readfirstlane_b32 s5, v2
	v_and_b32_e32 v2, 0x7c, v1
	v_dual_mov_b32 v20, 0 :: v_dual_and_b32 v31, 28, v1
	v_lshl_or_b32 v1, v148, 7, v3
	s_mul_f32 s5, s5, 0x4f7ffffe
	s_wait_alu 0xfffe
	s_add_nc_u64 s[14:15], s[30:31], s[28:29]
	s_sub_co_i32 s0, 0, s2
	v_dual_mov_b32 v17, 0 :: v_dual_add_nc_u32 v32, 0x120, v1
	s_cvt_u32_f32 s6, s5
	s_wait_alu 0xfffe
	v_add_co_u32 v7, s5, s14, v2
	s_wait_alu 0xf1ff
	v_add_co_ci_u32_e64 v8, null, s15, 0, s5
	s_mul_i32 s0, s0, s6
	v_dual_mov_b32 v19, 0 :: v_dual_mov_b32 v22, 0
	v_dual_mov_b32 v21, 0 :: v_dual_mov_b32 v24, 0
	;; [unrolled: 1-line block ×5, first 2 shown]
	v_mov_b32_e32 v29, 0
	s_wait_alu 0xfffe
	s_mul_hi_u32 s0, s6, s0
	s_mov_b32 s4, s17
	s_add_co_i32 s38, s38, -1
	s_mov_b32 s5, 0
	s_wait_alu 0xfffe
	s_add_co_i32 s6, s6, s0
	s_branch .LBB226_38
.LBB226_36:                             ;   in Loop: Header=BB226_38 Depth=1
	s_wait_alu 0xfffe
	s_or_b32 exec_lo, exec_lo, s0
	s_wait_dscnt 0x0
	v_mul_f32_e32 v50, v1, v98
	v_mul_f32_e32 v49, v1, v102
	;; [unrolled: 1-line block ×5, first 2 shown]
	v_fmac_f32_e32 v50, v2, v97
	v_fmac_f32_e32 v49, v2, v101
	v_dual_mul_f32 v77, v1, v84 :: v_dual_fmac_f32 v52, v2, v87
	s_delay_alu instid0(VALU_DEP_3) | instskip(NEXT) | instid1(VALU_DEP_3)
	v_dual_fmac_f32 v51, v2, v91 :: v_dual_fmac_f32 v50, v3, v96
	v_dual_fmac_f32 v49, v3, v100 :: v_dual_fmac_f32 v76, v2, v75
	s_delay_alu instid0(VALU_DEP_3) | instskip(NEXT) | instid1(VALU_DEP_3)
	v_dual_fmac_f32 v77, v2, v83 :: v_dual_mul_f32 v48, v1, v48
	v_fmac_f32_e32 v50, v4, v95
	s_delay_alu instid0(VALU_DEP_3) | instskip(SKIP_3) | instid1(VALU_DEP_4)
	v_fmac_f32_e32 v49, v4, v99
	v_dual_fmac_f32 v51, v3, v90 :: v_dual_mul_f32 v44, v1, v44
	v_mul_f32_e32 v40, v1, v40
	v_mul_f32_e32 v36, v1, v36
	v_add_f32_e32 v16, v16, v49
	s_delay_alu instid0(VALU_DEP_4) | instskip(NEXT) | instid1(VALU_DEP_3)
	v_dual_fmac_f32 v52, v3, v86 :: v_dual_fmac_f32 v51, v4, v89
	v_dual_fmac_f32 v77, v3, v82 :: v_dual_fmac_f32 v36, v2, v35
	v_fmac_f32_e32 v44, v2, v43
	s_delay_alu instid0(VALU_DEP_3) | instskip(NEXT) | instid1(VALU_DEP_3)
	v_fmac_f32_e32 v52, v4, v85
	v_dual_fmac_f32 v76, v3, v74 :: v_dual_fmac_f32 v77, v4, v81
	v_dual_add_f32 v17, v17, v50 :: v_dual_add_f32 v18, v18, v51
	s_delay_alu instid0(VALU_DEP_2) | instskip(SKIP_4) | instid1(VALU_DEP_4)
	v_dual_add_f32 v19, v19, v52 :: v_dual_fmac_f32 v76, v4, v73
	v_mul_f32_e32 v50, v1, v68
	v_mul_f32_e32 v49, v1, v72
	;; [unrolled: 1-line block ×3, first 2 shown]
	v_dual_mul_f32 v51, v1, v64 :: v_dual_fmac_f32 v36, v3, v34
	v_fmac_f32_e32 v50, v2, v67
	s_delay_alu instid0(VALU_DEP_4) | instskip(NEXT) | instid1(VALU_DEP_4)
	v_dual_fmac_f32 v49, v2, v71 :: v_dual_mul_f32 v56, v1, v56
	v_fmac_f32_e32 v52, v2, v59
	s_delay_alu instid0(VALU_DEP_4) | instskip(NEXT) | instid1(VALU_DEP_3)
	v_fmac_f32_e32 v51, v2, v63
	v_dual_fmac_f32 v40, v2, v39 :: v_dual_fmac_f32 v49, v3, v70
	s_delay_alu instid0(VALU_DEP_4) | instskip(SKIP_1) | instid1(VALU_DEP_4)
	v_fmac_f32_e32 v56, v2, v55
	v_fmac_f32_e32 v50, v3, v66
	v_fmac_f32_e32 v51, v3, v62
	s_delay_alu instid0(VALU_DEP_4) | instskip(SKIP_1) | instid1(VALU_DEP_4)
	v_dual_fmac_f32 v52, v3, v58 :: v_dual_fmac_f32 v49, v4, v69
	v_mul_f32_e32 v1, v1, v93
	v_fmac_f32_e32 v50, v4, v65
	s_delay_alu instid0(VALU_DEP_4) | instskip(SKIP_1) | instid1(VALU_DEP_4)
	v_fmac_f32_e32 v51, v4, v61
	v_fmac_f32_e32 v36, v4, v33
	v_dual_fmac_f32 v44, v3, v42 :: v_dual_fmac_f32 v1, v2, v92
	s_delay_alu instid0(VALU_DEP_4) | instskip(NEXT) | instid1(VALU_DEP_4)
	v_dual_fmac_f32 v52, v4, v57 :: v_dual_add_f32 v23, v23, v50
	v_add_f32_e32 v24, v24, v51
	v_fmac_f32_e32 v56, v3, v54
	s_delay_alu instid0(VALU_DEP_4) | instskip(NEXT) | instid1(VALU_DEP_4)
	v_fmac_f32_e32 v1, v3, v10
	v_dual_add_f32 v25, v25, v52 :: v_dual_fmac_f32 v40, v3, v38
	v_fmac_f32_e32 v44, v4, v41
	s_delay_alu instid0(VALU_DEP_4) | instskip(NEXT) | instid1(VALU_DEP_4)
	v_fmac_f32_e32 v56, v4, v53
	v_fmac_f32_e32 v1, v4, v9
	v_dual_add_f32 v20, v20, v77 :: v_dual_add_f32 v21, v21, v76
	v_fmac_f32_e32 v40, v4, v37
	s_delay_alu instid0(VALU_DEP_3) | instskip(SKIP_2) | instid1(VALU_DEP_4)
	v_dual_add_f32 v26, v26, v56 :: v_dual_add_f32 v15, v15, v1
	v_dual_fmac_f32 v48, v2, v47 :: v_dual_add_f32 v29, v29, v36
	v_add_f32_e32 v28, v28, v44
	v_add_f32_e32 v30, v30, v40
	s_delay_alu instid0(VALU_DEP_3) | instskip(NEXT) | instid1(VALU_DEP_1)
	v_fmac_f32_e32 v48, v3, v46
	v_fmac_f32_e32 v48, v4, v45
	s_delay_alu instid0(VALU_DEP_1)
	v_dual_add_f32 v22, v22, v49 :: v_dual_add_f32 v27, v27, v48
.LBB226_37:                             ;   in Loop: Header=BB226_38 Depth=1
	s_wait_alu 0xfffe
	s_or_b32 exec_lo, exec_lo, s12
	v_add_nc_u32_e32 v80, 4, v80
	v_add_co_u32 v5, s0, v5, 16
	s_wait_alu 0xf1ff
	v_add_co_ci_u32_e64 v6, null, 0, v6, s0
	s_delay_alu instid0(VALU_DEP_3)
	v_cmp_le_i32_e32 vcc_lo, s35, v80
	v_add_nc_u32_e32 v79, 0x80, v79
	v_add_nc_u32_e32 v32, 0x200, v32
	s_or_b32 s5, vcc_lo, s5
	s_wait_alu 0xfffe
	s_and_not1_b32 exec_lo, exec_lo, s5
	s_cbranch_execz .LBB226_71
.LBB226_38:                             ; =>This Inner Loop Header: Depth=1
	v_sub_nc_u32_e32 v1, 0, v79
	s_delay_alu instid0(VALU_DEP_1) | instskip(NEXT) | instid1(VALU_DEP_1)
	v_max_i32_e32 v1, v79, v1
	v_mul_hi_u32 v2, v1, s22
	s_delay_alu instid0(VALU_DEP_1) | instskip(NEXT) | instid1(VALU_DEP_1)
	v_mul_lo_u32 v3, v2, s16
	v_sub_nc_u32_e32 v1, v1, v3
	v_add_nc_u32_e32 v3, 1, v2
	s_delay_alu instid0(VALU_DEP_2) | instskip(SKIP_2) | instid1(VALU_DEP_2)
	v_subrev_nc_u32_e32 v4, s16, v1
	v_cmp_le_u32_e32 vcc_lo, s16, v1
	s_wait_alu 0xfffd
	v_dual_cndmask_b32 v2, v2, v3 :: v_dual_cndmask_b32 v1, v1, v4
	v_ashrrev_i32_e32 v3, 31, v79
	s_delay_alu instid0(VALU_DEP_2) | instskip(NEXT) | instid1(VALU_DEP_3)
	v_add_nc_u32_e32 v4, 1, v2
	v_cmp_le_u32_e32 vcc_lo, s16, v1
	s_delay_alu instid0(VALU_DEP_3) | instskip(SKIP_1) | instid1(VALU_DEP_3)
	v_xor_b32_e32 v3, s23, v3
	s_wait_alu 0xfffd
	v_cndmask_b32_e32 v1, v2, v4, vcc_lo
	s_delay_alu instid0(VALU_DEP_1) | instskip(NEXT) | instid1(VALU_DEP_1)
	v_xor_b32_e32 v1, v1, v3
	v_sub_nc_u32_e32 v1, v1, v3
	s_delay_alu instid0(VALU_DEP_1) | instskip(SKIP_1) | instid1(VALU_DEP_2)
	v_add_nc_u32_e32 v2, s21, v1
	v_cmp_lt_i32_e64 s0, s3, v1
	v_sub_nc_u32_e32 v3, 0, v2
	s_delay_alu instid0(VALU_DEP_1) | instskip(SKIP_1) | instid1(VALU_DEP_1)
	v_max_i32_e32 v3, v2, v3
	s_wait_alu 0xfffe
	v_mul_hi_u32 v4, v3, s6
	s_delay_alu instid0(VALU_DEP_1) | instskip(NEXT) | instid1(VALU_DEP_1)
	v_mul_lo_u32 v4, v4, s2
	v_sub_nc_u32_e32 v3, v3, v4
	s_delay_alu instid0(VALU_DEP_1) | instskip(SKIP_2) | instid1(VALU_DEP_2)
	v_subrev_nc_u32_e32 v4, s2, v3
	v_cmp_le_u32_e32 vcc_lo, s2, v3
	s_wait_alu 0xfffd
	v_cndmask_b32_e32 v3, v3, v4, vcc_lo
	v_ashrrev_i32_e32 v2, 31, v2
	s_delay_alu instid0(VALU_DEP_2) | instskip(SKIP_2) | instid1(VALU_DEP_2)
	v_subrev_nc_u32_e32 v4, s2, v3
	v_cmp_le_u32_e32 vcc_lo, s2, v3
	s_wait_alu 0xfffd
	v_cndmask_b32_e32 v3, v3, v4, vcc_lo
	s_delay_alu instid0(VALU_DEP_1) | instskip(NEXT) | instid1(VALU_DEP_1)
	v_xor_b32_e32 v3, v3, v2
	v_sub_nc_u32_e32 v2, v3, v2
	s_delay_alu instid0(VALU_DEP_1)
	v_cmp_eq_u32_e32 vcc_lo, 0, v2
	s_or_b32 s0, vcc_lo, s0
	s_wait_alu 0xfffe
	s_and_saveexec_b32 s12, s0
	s_cbranch_execz .LBB226_37
; %bb.39:                               ;   in Loop: Header=BB226_38 Depth=1
	global_load_b32 v1, v[5:6], off
	s_load_b32 s13, s[10:11], 0x0
	v_cmp_eq_u32_e32 vcc_lo, s38, v80
	s_wait_loadcnt 0x0
	v_mad_co_i64_i32 v[9:10], null, v1, s4, v[7:8]
	ds_load_b128 v[1:4], v32
	global_load_b32 v33, v[9:10], off
	s_wait_loadcnt 0x0
	v_lshrrev_b32_e32 v35, 16, v33
	s_delay_alu instid0(VALU_DEP_1) | instskip(SKIP_1) | instid1(VALU_DEP_1)
	v_cvt_pk_f32_fp8_e32 v[37:38], v35
	v_and_b32_e32 v34, 0xffff, v33
	v_cvt_pk_f32_fp8_e32 v[33:34], v34
	s_wait_kmcnt 0x0
	s_delay_alu instid0(VALU_DEP_1) | instskip(NEXT) | instid1(VALU_DEP_1)
	v_dual_mul_f32 v36, s13, v33 :: v_dual_add_nc_u32 v49, v31, v79
	v_add_nc_u32_e32 v51, 1, v49
	s_delay_alu instid0(VALU_DEP_3)
	v_dual_mul_f32 v35, s13, v34 :: v_dual_add_nc_u32 v50, 2, v49
	v_dual_mul_f32 v34, s13, v37 :: v_dual_mul_f32 v33, s13, v38
	v_add_nc_u32_e32 v52, 3, v49
	s_and_saveexec_b32 s14, vcc_lo
	s_cbranch_execz .LBB226_41
; %bb.40:                               ;   in Loop: Header=BB226_38 Depth=1
	v_cmp_gt_i32_e64 s0, s34, v49
	s_wait_alu 0xf1ff
	s_delay_alu instid0(VALU_DEP_1) | instskip(SKIP_2) | instid1(VALU_DEP_1)
	v_cndmask_b32_e64 v36, 0, v36, s0
	v_cmp_gt_i32_e64 s0, s34, v51
	s_wait_alu 0xf1ff
	v_cndmask_b32_e64 v35, 0, v35, s0
	v_cmp_gt_i32_e64 s0, s34, v50
	s_wait_alu 0xf1ff
	s_delay_alu instid0(VALU_DEP_1) | instskip(SKIP_2) | instid1(VALU_DEP_1)
	v_cndmask_b32_e64 v34, 0, v34, s0
	v_cmp_gt_i32_e64 s0, s34, v52
	s_wait_alu 0xf1ff
	v_cndmask_b32_e64 v33, 0, v33, s0
.LBB226_41:                             ;   in Loop: Header=BB226_38 Depth=1
	s_wait_alu 0xfffe
	s_or_b32 exec_lo, exec_lo, s14
	global_load_b32 v37, v[9:10], off offset:128
	s_mov_b32 s14, s13
	s_wait_loadcnt 0x0
	v_lshrrev_b32_e32 v39, 16, v37
	s_delay_alu instid0(VALU_DEP_1) | instskip(SKIP_1) | instid1(VALU_DEP_1)
	v_cvt_pk_f32_fp8_e32 v[41:42], v39
	v_and_b32_e32 v38, 0xffff, v37
	v_cvt_pk_f32_fp8_e32 v[37:38], v38
	s_wait_alu 0xfffe
	s_delay_alu instid0(VALU_DEP_1)
	v_dual_mul_f32 v40, s13, v37 :: v_dual_mul_f32 v39, s14, v38
	v_dual_mul_f32 v38, s13, v41 :: v_dual_mul_f32 v37, s14, v42
	s_and_saveexec_b32 s15, vcc_lo
	s_cbranch_execz .LBB226_43
; %bb.42:                               ;   in Loop: Header=BB226_38 Depth=1
	v_cmp_gt_i32_e64 s0, s34, v49
	s_wait_alu 0xf1ff
	s_delay_alu instid0(VALU_DEP_1) | instskip(SKIP_2) | instid1(VALU_DEP_1)
	v_cndmask_b32_e64 v40, 0, v40, s0
	v_cmp_gt_i32_e64 s0, s34, v51
	s_wait_alu 0xf1ff
	v_cndmask_b32_e64 v39, 0, v39, s0
	v_cmp_gt_i32_e64 s0, s34, v50
	s_wait_alu 0xf1ff
	s_delay_alu instid0(VALU_DEP_1) | instskip(SKIP_2) | instid1(VALU_DEP_1)
	v_cndmask_b32_e64 v38, 0, v38, s0
	v_cmp_gt_i32_e64 s0, s34, v52
	s_wait_alu 0xf1ff
	v_cndmask_b32_e64 v37, 0, v37, s0
.LBB226_43:                             ;   in Loop: Header=BB226_38 Depth=1
	s_wait_alu 0xfffe
	s_or_b32 exec_lo, exec_lo, s15
	global_load_b32 v41, v[9:10], off offset:256
	s_wait_loadcnt 0x0
	v_lshrrev_b32_e32 v43, 16, v41
	s_delay_alu instid0(VALU_DEP_1) | instskip(SKIP_1) | instid1(VALU_DEP_1)
	v_cvt_pk_f32_fp8_e32 v[45:46], v43
	v_and_b32_e32 v42, 0xffff, v41
	v_cvt_pk_f32_fp8_e32 v[41:42], v42
	s_delay_alu instid0(VALU_DEP_1) | instskip(NEXT) | instid1(VALU_DEP_4)
	v_dual_mul_f32 v44, s13, v41 :: v_dual_mul_f32 v43, s14, v42
	v_dual_mul_f32 v42, s13, v45 :: v_dual_mul_f32 v41, s14, v46
	s_and_saveexec_b32 s15, vcc_lo
	s_cbranch_execz .LBB226_45
; %bb.44:                               ;   in Loop: Header=BB226_38 Depth=1
	v_cmp_gt_i32_e64 s0, s34, v49
	s_wait_alu 0xf1ff
	s_delay_alu instid0(VALU_DEP_1) | instskip(SKIP_2) | instid1(VALU_DEP_1)
	v_cndmask_b32_e64 v44, 0, v44, s0
	v_cmp_gt_i32_e64 s0, s34, v51
	s_wait_alu 0xf1ff
	v_cndmask_b32_e64 v43, 0, v43, s0
	v_cmp_gt_i32_e64 s0, s34, v50
	s_wait_alu 0xf1ff
	s_delay_alu instid0(VALU_DEP_1) | instskip(SKIP_2) | instid1(VALU_DEP_1)
	v_cndmask_b32_e64 v42, 0, v42, s0
	v_cmp_gt_i32_e64 s0, s34, v52
	s_wait_alu 0xf1ff
	v_cndmask_b32_e64 v41, 0, v41, s0
.LBB226_45:                             ;   in Loop: Header=BB226_38 Depth=1
	s_wait_alu 0xfffe
	s_or_b32 exec_lo, exec_lo, s15
	global_load_b32 v45, v[9:10], off offset:384
	s_wait_loadcnt 0x0
	v_lshrrev_b32_e32 v47, 16, v45
	s_delay_alu instid0(VALU_DEP_1) | instskip(SKIP_1) | instid1(VALU_DEP_1)
	v_cvt_pk_f32_fp8_e32 v[53:54], v47
	v_and_b32_e32 v46, 0xffff, v45
	v_cvt_pk_f32_fp8_e32 v[45:46], v46
	s_delay_alu instid0(VALU_DEP_1) | instskip(NEXT) | instid1(VALU_DEP_4)
	;; [unrolled: 30-line block ×8, first 2 shown]
	v_dual_mul_f32 v76, s13, v73 :: v_dual_mul_f32 v75, s14, v74
	v_dual_mul_f32 v74, s13, v81 :: v_dual_mul_f32 v73, s14, v82
	s_and_saveexec_b32 s15, vcc_lo
	s_cbranch_execz .LBB226_59
; %bb.58:                               ;   in Loop: Header=BB226_38 Depth=1
	v_cmp_gt_i32_e64 s0, s34, v49
	s_wait_alu 0xf1ff
	s_delay_alu instid0(VALU_DEP_1) | instskip(SKIP_2) | instid1(VALU_DEP_1)
	v_cndmask_b32_e64 v76, 0, v76, s0
	v_cmp_gt_i32_e64 s0, s34, v51
	s_wait_alu 0xf1ff
	v_cndmask_b32_e64 v75, 0, v75, s0
	v_cmp_gt_i32_e64 s0, s34, v50
	s_wait_alu 0xf1ff
	s_delay_alu instid0(VALU_DEP_1) | instskip(SKIP_2) | instid1(VALU_DEP_1)
	v_cndmask_b32_e64 v74, 0, v74, s0
	v_cmp_gt_i32_e64 s0, s34, v52
	s_wait_alu 0xf1ff
	v_cndmask_b32_e64 v73, 0, v73, s0
.LBB226_59:                             ;   in Loop: Header=BB226_38 Depth=1
	s_wait_alu 0xfffe
	s_or_b32 exec_lo, exec_lo, s15
	global_load_b32 v77, v[9:10], off offset:1280
	s_wait_loadcnt 0x0
	v_and_b32_e32 v78, 0xffff, v77
	v_lshrrev_b32_e32 v77, 16, v77
	s_delay_alu instid0(VALU_DEP_2) | instskip(NEXT) | instid1(VALU_DEP_2)
	v_cvt_pk_f32_fp8_e32 v[81:82], v78
	v_cvt_pk_f32_fp8_e32 v[85:86], v77
	s_delay_alu instid0(VALU_DEP_1) | instskip(NEXT) | instid1(VALU_DEP_2)
	v_dual_mul_f32 v84, s13, v81 :: v_dual_mul_f32 v81, s14, v86
	v_dual_mul_f32 v83, s14, v82 :: v_dual_mul_f32 v82, s13, v85
	s_and_saveexec_b32 s15, vcc_lo
	s_cbranch_execz .LBB226_61
; %bb.60:                               ;   in Loop: Header=BB226_38 Depth=1
	v_cmp_gt_i32_e64 s0, s34, v49
	s_wait_alu 0xf1ff
	s_delay_alu instid0(VALU_DEP_1) | instskip(SKIP_2) | instid1(VALU_DEP_1)
	v_cndmask_b32_e64 v84, 0, v84, s0
	v_cmp_gt_i32_e64 s0, s34, v51
	s_wait_alu 0xf1ff
	v_cndmask_b32_e64 v83, 0, v83, s0
	v_cmp_gt_i32_e64 s0, s34, v50
	s_wait_alu 0xf1ff
	s_delay_alu instid0(VALU_DEP_1) | instskip(SKIP_2) | instid1(VALU_DEP_1)
	v_cndmask_b32_e64 v82, 0, v82, s0
	v_cmp_gt_i32_e64 s0, s34, v52
	s_wait_alu 0xf1ff
	v_cndmask_b32_e64 v81, 0, v81, s0
.LBB226_61:                             ;   in Loop: Header=BB226_38 Depth=1
	s_wait_alu 0xfffe
	s_or_b32 exec_lo, exec_lo, s15
	global_load_b32 v77, v[9:10], off offset:1408
	s_wait_loadcnt 0x0
	v_and_b32_e32 v78, 0xffff, v77
	v_lshrrev_b32_e32 v77, 16, v77
	s_delay_alu instid0(VALU_DEP_2) | instskip(NEXT) | instid1(VALU_DEP_2)
	v_cvt_pk_f32_fp8_e32 v[85:86], v78
	v_cvt_pk_f32_fp8_e32 v[89:90], v77
	s_delay_alu instid0(VALU_DEP_1) | instskip(NEXT) | instid1(VALU_DEP_2)
	v_dual_mul_f32 v88, s13, v85 :: v_dual_mul_f32 v85, s14, v90
	v_dual_mul_f32 v87, s14, v86 :: v_dual_mul_f32 v86, s13, v89
	s_and_saveexec_b32 s15, vcc_lo
	s_cbranch_execz .LBB226_63
; %bb.62:                               ;   in Loop: Header=BB226_38 Depth=1
	v_cmp_gt_i32_e64 s0, s34, v49
	s_wait_alu 0xf1ff
	s_delay_alu instid0(VALU_DEP_1) | instskip(SKIP_2) | instid1(VALU_DEP_1)
	v_cndmask_b32_e64 v88, 0, v88, s0
	v_cmp_gt_i32_e64 s0, s34, v51
	s_wait_alu 0xf1ff
	v_cndmask_b32_e64 v87, 0, v87, s0
	v_cmp_gt_i32_e64 s0, s34, v50
	s_wait_alu 0xf1ff
	s_delay_alu instid0(VALU_DEP_1) | instskip(SKIP_2) | instid1(VALU_DEP_1)
	v_cndmask_b32_e64 v86, 0, v86, s0
	v_cmp_gt_i32_e64 s0, s34, v52
	s_wait_alu 0xf1ff
	v_cndmask_b32_e64 v85, 0, v85, s0
.LBB226_63:                             ;   in Loop: Header=BB226_38 Depth=1
	s_wait_alu 0xfffe
	s_or_b32 exec_lo, exec_lo, s15
	global_load_b32 v77, v[9:10], off offset:1536
	s_wait_loadcnt 0x0
	v_and_b32_e32 v78, 0xffff, v77
	v_lshrrev_b32_e32 v77, 16, v77
	s_delay_alu instid0(VALU_DEP_2) | instskip(NEXT) | instid1(VALU_DEP_2)
	v_cvt_pk_f32_fp8_e32 v[89:90], v78
	v_cvt_pk_f32_fp8_e32 v[92:93], v77
	s_delay_alu instid0(VALU_DEP_2) | instskip(NEXT) | instid1(VALU_DEP_2)
	v_dual_mul_f32 v94, s13, v89 :: v_dual_mul_f32 v91, s14, v90
	v_dual_mul_f32 v90, s13, v92 :: v_dual_mul_f32 v89, s14, v93
	s_and_saveexec_b32 s15, vcc_lo
	s_cbranch_execz .LBB226_65
; %bb.64:                               ;   in Loop: Header=BB226_38 Depth=1
	v_cmp_gt_i32_e64 s0, s34, v49
	s_wait_alu 0xf1ff
	s_delay_alu instid0(VALU_DEP_1) | instskip(SKIP_2) | instid1(VALU_DEP_1)
	v_cndmask_b32_e64 v94, 0, v94, s0
	v_cmp_gt_i32_e64 s0, s34, v51
	s_wait_alu 0xf1ff
	v_cndmask_b32_e64 v91, 0, v91, s0
	v_cmp_gt_i32_e64 s0, s34, v50
	s_wait_alu 0xf1ff
	s_delay_alu instid0(VALU_DEP_1) | instskip(SKIP_2) | instid1(VALU_DEP_1)
	v_cndmask_b32_e64 v90, 0, v90, s0
	v_cmp_gt_i32_e64 s0, s34, v52
	s_wait_alu 0xf1ff
	v_cndmask_b32_e64 v89, 0, v89, s0
.LBB226_65:                             ;   in Loop: Header=BB226_38 Depth=1
	s_wait_alu 0xfffe
	s_or_b32 exec_lo, exec_lo, s15
	global_load_b32 v77, v[9:10], off offset:1664
	s_wait_loadcnt 0x0
	v_and_b32_e32 v78, 0xffff, v77
	v_lshrrev_b32_e32 v77, 16, v77
	s_delay_alu instid0(VALU_DEP_1) | instskip(NEXT) | instid1(VALU_DEP_1)
	v_cvt_pk_f32_fp8_e32 v[99:100], v77
	v_mul_f32_e32 v95, s14, v100
	s_delay_alu instid0(VALU_DEP_4) | instskip(NEXT) | instid1(VALU_DEP_3)
	v_cvt_pk_f32_fp8_e32 v[92:93], v78
	v_mul_f32_e32 v96, s13, v99
	s_delay_alu instid0(VALU_DEP_2)
	v_dual_mul_f32 v98, s13, v92 :: v_dual_mul_f32 v97, s14, v93
	s_and_saveexec_b32 s15, vcc_lo
	s_cbranch_execz .LBB226_67
; %bb.66:                               ;   in Loop: Header=BB226_38 Depth=1
	v_cmp_gt_i32_e64 s0, s34, v49
	s_wait_alu 0xf1ff
	s_delay_alu instid0(VALU_DEP_1) | instskip(SKIP_2) | instid1(VALU_DEP_1)
	v_cndmask_b32_e64 v98, 0, v98, s0
	v_cmp_gt_i32_e64 s0, s34, v51
	s_wait_alu 0xf1ff
	v_cndmask_b32_e64 v97, 0, v97, s0
	v_cmp_gt_i32_e64 s0, s34, v50
	s_wait_alu 0xf1ff
	s_delay_alu instid0(VALU_DEP_1) | instskip(SKIP_2) | instid1(VALU_DEP_1)
	v_cndmask_b32_e64 v96, 0, v96, s0
	v_cmp_gt_i32_e64 s0, s34, v52
	s_wait_alu 0xf1ff
	v_cndmask_b32_e64 v95, 0, v95, s0
.LBB226_67:                             ;   in Loop: Header=BB226_38 Depth=1
	s_wait_alu 0xfffe
	s_or_b32 exec_lo, exec_lo, s15
	global_load_b32 v77, v[9:10], off offset:1792
	s_wait_loadcnt 0x0
	v_and_b32_e32 v78, 0xffff, v77
	v_lshrrev_b32_e32 v77, 16, v77
	s_delay_alu instid0(VALU_DEP_1) | instskip(NEXT) | instid1(VALU_DEP_1)
	v_cvt_pk_f32_fp8_e32 v[103:104], v77
	v_mul_f32_e32 v99, s14, v104
	s_delay_alu instid0(VALU_DEP_4) | instskip(NEXT) | instid1(VALU_DEP_3)
	v_cvt_pk_f32_fp8_e32 v[92:93], v78
	v_mul_f32_e32 v100, s13, v103
	s_delay_alu instid0(VALU_DEP_2)
	v_dual_mul_f32 v102, s13, v92 :: v_dual_mul_f32 v101, s14, v93
	s_and_saveexec_b32 s15, vcc_lo
	s_cbranch_execz .LBB226_69
; %bb.68:                               ;   in Loop: Header=BB226_38 Depth=1
	v_cmp_gt_i32_e64 s0, s34, v49
	s_wait_alu 0xf1ff
	s_delay_alu instid0(VALU_DEP_1) | instskip(SKIP_2) | instid1(VALU_DEP_1)
	v_cndmask_b32_e64 v102, 0, v102, s0
	v_cmp_gt_i32_e64 s0, s34, v51
	s_wait_alu 0xf1ff
	v_cndmask_b32_e64 v101, 0, v101, s0
	v_cmp_gt_i32_e64 s0, s34, v50
	s_wait_alu 0xf1ff
	s_delay_alu instid0(VALU_DEP_1) | instskip(SKIP_2) | instid1(VALU_DEP_1)
	v_cndmask_b32_e64 v100, 0, v100, s0
	v_cmp_gt_i32_e64 s0, s34, v52
	s_wait_alu 0xf1ff
	v_cndmask_b32_e64 v99, 0, v99, s0
.LBB226_69:                             ;   in Loop: Header=BB226_38 Depth=1
	s_wait_alu 0xfffe
	s_or_b32 exec_lo, exec_lo, s15
	global_load_b32 v9, v[9:10], off offset:1920
	s_wait_loadcnt 0x0
	v_lshrrev_b32_e32 v77, 16, v9
	s_delay_alu instid0(VALU_DEP_1) | instskip(SKIP_1) | instid1(VALU_DEP_1)
	v_cvt_pk_f32_fp8_e32 v[103:104], v77
	v_and_b32_e32 v10, 0xffff, v9
	v_cvt_pk_f32_fp8_e32 v[9:10], v10
	s_delay_alu instid0(VALU_DEP_1) | instskip(NEXT) | instid1(VALU_DEP_4)
	v_dual_mul_f32 v93, s13, v9 :: v_dual_mul_f32 v92, s14, v10
	v_dual_mul_f32 v10, s13, v103 :: v_dual_mul_f32 v9, s14, v104
	s_and_saveexec_b32 s0, vcc_lo
	s_cbranch_execz .LBB226_36
; %bb.70:                               ;   in Loop: Header=BB226_38 Depth=1
	v_cmp_gt_i32_e32 vcc_lo, s34, v49
	s_wait_alu 0xfffd
	v_cndmask_b32_e32 v93, 0, v93, vcc_lo
	v_cmp_gt_i32_e32 vcc_lo, s34, v51
	s_wait_alu 0xfffd
	v_cndmask_b32_e32 v92, 0, v92, vcc_lo
	;; [unrolled: 3-line block ×4, first 2 shown]
	s_branch .LBB226_36
.LBB226_71:
	s_or_b32 exec_lo, exec_lo, s5
.LBB226_72:
	s_wait_alu 0xfffe
	s_or_b32 exec_lo, exec_lo, s1
	ds_bpermute_b32 v3, v13, v28
	ds_bpermute_b32 v4, v13, v27
	;; [unrolled: 1-line block ×16, first 2 shown]
	s_mov_b32 s0, exec_lo
	s_wait_storecnt 0x0
	s_wait_loadcnt_dscnt 0x0
	s_barrier_signal -1
	s_barrier_wait -1
	v_dual_add_f32 v3, v28, v3 :: v_dual_add_f32 v4, v27, v4
	v_add_f32_e32 v1, v29, v1
	v_add_f32_e32 v5, v26, v5
	v_dual_add_f32 v7, v24, v7 :: v_dual_add_f32 v8, v23, v8
	ds_bpermute_b32 v23, v12, v4
	v_add_f32_e32 v2, v30, v2
	v_add_f32_e32 v6, v25, v6
	ds_bpermute_b32 v24, v12, v1
	v_dual_add_f32 v9, v22, v9 :: v_dual_add_f32 v10, v21, v10
	ds_bpermute_b32 v21, v12, v5
	v_dual_add_f32 v20, v20, v31 :: v_dual_add_f32 v19, v19, v32
	v_dual_add_f32 v18, v18, v33 :: v_dual_add_f32 v17, v17, v34
	v_add_f32_e32 v16, v16, v35
	ds_bpermute_b32 v31, v12, v20
	ds_bpermute_b32 v32, v12, v19
	;; [unrolled: 1-line block ×7, first 2 shown]
	s_wait_dscnt 0x9
	v_dual_add_f32 v13, v15, v13 :: v_dual_add_f32 v4, v4, v23
	ds_bpermute_b32 v29, v12, v9
	ds_bpermute_b32 v30, v12, v10
	s_wait_dscnt 0xa
	v_add_f32_e32 v1, v1, v24
	ds_bpermute_b32 v24, v12, v18
	ds_bpermute_b32 v15, v12, v17
	s_wait_dscnt 0xb
	v_add_f32_e32 v5, v5, v21
	ds_bpermute_b32 v21, v12, v16
	ds_bpermute_b32 v12, v12, v13
	;; [unrolled: 1-line block ×3, first 2 shown]
	s_wait_dscnt 0x0
	global_inv scope:SCOPE_SE
	v_dual_add_f32 v20, v20, v31 :: v_dual_add_f32 v19, v19, v32
	v_dual_add_f32 v2, v2, v25 :: v_dual_add_f32 v3, v3, v26
	;; [unrolled: 1-line block ×3, first 2 shown]
	v_add_f32_e32 v8, v8, v28
	ds_bpermute_b32 v31, v11, v20
	ds_bpermute_b32 v32, v11, v19
	v_dual_add_f32 v9, v9, v29 :: v_dual_add_f32 v10, v10, v30
	ds_bpermute_b32 v25, v11, v2
	v_dual_add_f32 v18, v18, v24 :: v_dual_add_f32 v15, v17, v15
	;; [unrolled: 2-line block ×3, first 2 shown]
	ds_bpermute_b32 v22, v11, v4
	ds_bpermute_b32 v27, v11, v5
	;; [unrolled: 1-line block ×11, first 2 shown]
	s_wait_dscnt 0xd
	v_dual_add_f32 v11, v20, v31 :: v_dual_add_f32 v12, v19, v32
	v_lshrrev_b32_e32 v19, 3, v149
	s_wait_dscnt 0xc
	v_dual_add_f32 v1, v1, v23 :: v_dual_add_f32 v2, v2, v25
	s_wait_dscnt 0xb
	v_dual_add_f32 v3, v3, v26 :: v_dual_lshlrev_b32 v20, 8, v148
	s_wait_dscnt 0x9
	v_dual_add_f32 v4, v4, v22 :: v_dual_add_f32 v5, v5, v27
	s_wait_dscnt 0x7
	v_dual_add_f32 v6, v6, v28 :: v_dual_add_f32 v7, v7, v33
	;; [unrolled: 2-line block ×3, first 2 shown]
	s_wait_dscnt 0x4
	v_add_f32_e32 v10, v10, v24
	s_wait_dscnt 0x3
	v_dual_add_f32 v13, v18, v17 :: v_dual_and_b32 v22, 0x3c7, v0
	s_wait_dscnt 0x1
	v_dual_add_f32 v15, v15, v34 :: v_dual_add_f32 v16, v16, v35
	s_wait_dscnt 0x0
	v_add_f32_e32 v17, v21, v36
	v_lshl_add_u32 v18, v19, 2, 0x120
	v_cmpx_eq_u32_e32 64, v22
	s_cbranch_execz .LBB226_74
; %bb.73:
	s_delay_alu instid0(VALU_DEP_2) | instskip(NEXT) | instid1(VALU_DEP_1)
	v_add_nc_u32_e32 v21, v18, v20
	v_add_nc_u32_e32 v22, 0xfffffe00, v21
	v_add_nc_u32_e32 v23, 0xfffffe10, v21
	v_add_nc_u32_e32 v24, 0xfffffe20, v21
	v_add_nc_u32_e32 v25, 0xfffffe30, v21
	v_add_nc_u32_e32 v26, 0xfffffe40, v21
	v_add_nc_u32_e32 v27, 0xfffffe50, v21
	v_add_nc_u32_e32 v28, 0xfffffe60, v21
	v_add_nc_u32_e32 v29, 0xfffffe70, v21
	ds_store_b32 v22, v1
	ds_store_b32 v23, v2
	;; [unrolled: 1-line block ×8, first 2 shown]
	v_add_nc_u32_e32 v22, 0xfffffe80, v21
	v_add_nc_u32_e32 v23, 0xfffffe90, v21
	;; [unrolled: 1-line block ×8, first 2 shown]
	ds_store_b32 v22, v9
	ds_store_b32 v23, v10
	;; [unrolled: 1-line block ×8, first 2 shown]
.LBB226_74:
	s_wait_alu 0xfffe
	s_or_b32 exec_lo, exec_lo, s0
	v_lshlrev_b32_e32 v19, 2, v19
	v_cmp_eq_u32_e32 vcc_lo, 0, v14
	s_mov_b32 s1, exec_lo
	s_wait_loadcnt_dscnt 0x0
	s_barrier_signal -1
	v_add3_u32 v14, 0x120, v20, v19
	s_barrier_wait -1
	global_inv scope:SCOPE_SE
	v_cmpx_gt_u32_e32 64, v0
	s_cbranch_execz .LBB226_93
; %bb.75:
	s_and_saveexec_b32 s0, vcc_lo
	s_cbranch_execnz .LBB226_117
; %bb.76:
	s_wait_alu 0xfffe
	s_or_b32 exec_lo, exec_lo, s0
	s_and_saveexec_b32 s0, vcc_lo
	s_cbranch_execnz .LBB226_118
.LBB226_77:
	s_wait_alu 0xfffe
	s_or_b32 exec_lo, exec_lo, s0
	s_and_saveexec_b32 s0, vcc_lo
	s_cbranch_execnz .LBB226_119
.LBB226_78:
	s_wait_alu 0xfffe
	s_or_b32 exec_lo, exec_lo, s0
	s_and_saveexec_b32 s0, vcc_lo
	s_cbranch_execnz .LBB226_120
.LBB226_79:
	s_wait_alu 0xfffe
	s_or_b32 exec_lo, exec_lo, s0
	s_and_saveexec_b32 s0, vcc_lo
	s_cbranch_execnz .LBB226_121
.LBB226_80:
	s_wait_alu 0xfffe
	s_or_b32 exec_lo, exec_lo, s0
	s_and_saveexec_b32 s0, vcc_lo
	s_cbranch_execnz .LBB226_122
.LBB226_81:
	s_wait_alu 0xfffe
	s_or_b32 exec_lo, exec_lo, s0
	s_and_saveexec_b32 s0, vcc_lo
	s_cbranch_execnz .LBB226_123
.LBB226_82:
	s_wait_alu 0xfffe
	s_or_b32 exec_lo, exec_lo, s0
	s_and_saveexec_b32 s0, vcc_lo
	s_cbranch_execnz .LBB226_124
.LBB226_83:
	s_wait_alu 0xfffe
	s_or_b32 exec_lo, exec_lo, s0
	s_and_saveexec_b32 s0, vcc_lo
	s_cbranch_execnz .LBB226_125
.LBB226_84:
	s_wait_alu 0xfffe
	s_or_b32 exec_lo, exec_lo, s0
	s_and_saveexec_b32 s0, vcc_lo
	s_cbranch_execnz .LBB226_126
.LBB226_85:
	s_wait_alu 0xfffe
	s_or_b32 exec_lo, exec_lo, s0
	s_and_saveexec_b32 s0, vcc_lo
	s_cbranch_execnz .LBB226_127
.LBB226_86:
	s_wait_alu 0xfffe
	s_or_b32 exec_lo, exec_lo, s0
	s_and_saveexec_b32 s0, vcc_lo
	s_cbranch_execnz .LBB226_128
.LBB226_87:
	s_wait_alu 0xfffe
	s_or_b32 exec_lo, exec_lo, s0
	s_and_saveexec_b32 s0, vcc_lo
	s_cbranch_execnz .LBB226_129
.LBB226_88:
	s_wait_alu 0xfffe
	s_or_b32 exec_lo, exec_lo, s0
	s_and_saveexec_b32 s0, vcc_lo
	s_cbranch_execnz .LBB226_130
.LBB226_89:
	s_wait_alu 0xfffe
	s_or_b32 exec_lo, exec_lo, s0
	s_and_saveexec_b32 s0, vcc_lo
	s_cbranch_execnz .LBB226_131
.LBB226_90:
	s_wait_alu 0xfffe
	s_or_b32 exec_lo, exec_lo, s0
	s_and_saveexec_b32 s0, vcc_lo
	s_cbranch_execz .LBB226_92
.LBB226_91:
	ds_load_b32 v19, v14 offset:240
	s_wait_dscnt 0x0
	v_add_f32_e32 v17, v17, v19
.LBB226_92:
	s_wait_alu 0xfffe
	s_or_b32 exec_lo, exec_lo, s0
.LBB226_93:
	s_wait_alu 0xfffe
	s_or_b32 exec_lo, exec_lo, s1
	v_and_b32_e32 v19, 0x3e7, v0
	s_mov_b32 s1, exec_lo
	s_wait_loadcnt 0x0
	s_barrier_signal -1
	s_barrier_wait -1
	global_inv scope:SCOPE_SE
	v_cmpx_eq_u32_e32 32, v19
	s_cbranch_execz .LBB226_95
; %bb.94:
	ds_store_2addr_b32 v18, v1, v2 offset1:4
	ds_store_2addr_b32 v18, v3, v4 offset0:8 offset1:12
	ds_store_2addr_b32 v18, v5, v6 offset0:16 offset1:20
	;; [unrolled: 1-line block ×7, first 2 shown]
.LBB226_95:
	s_wait_alu 0xfffe
	s_or_b32 exec_lo, exec_lo, s1
	s_delay_alu instid0(SALU_CYCLE_1)
	s_mov_b32 s1, exec_lo
	s_wait_loadcnt_dscnt 0x0
	s_barrier_signal -1
	s_barrier_wait -1
	global_inv scope:SCOPE_SE
	v_cmpx_gt_u32_e32 32, v0
	s_cbranch_execz .LBB226_114
; %bb.96:
	s_and_saveexec_b32 s0, vcc_lo
	s_cbranch_execnz .LBB226_132
; %bb.97:
	s_wait_alu 0xfffe
	s_or_b32 exec_lo, exec_lo, s0
	s_and_saveexec_b32 s0, vcc_lo
	s_cbranch_execnz .LBB226_133
.LBB226_98:
	s_wait_alu 0xfffe
	s_or_b32 exec_lo, exec_lo, s0
	s_and_saveexec_b32 s0, vcc_lo
	s_cbranch_execnz .LBB226_134
.LBB226_99:
	s_wait_alu 0xfffe
	s_or_b32 exec_lo, exec_lo, s0
	s_and_saveexec_b32 s0, vcc_lo
	s_cbranch_execnz .LBB226_135
.LBB226_100:
	s_wait_alu 0xfffe
	s_or_b32 exec_lo, exec_lo, s0
	s_and_saveexec_b32 s0, vcc_lo
	s_cbranch_execnz .LBB226_136
.LBB226_101:
	s_wait_alu 0xfffe
	s_or_b32 exec_lo, exec_lo, s0
	s_and_saveexec_b32 s0, vcc_lo
	s_cbranch_execnz .LBB226_137
.LBB226_102:
	s_wait_alu 0xfffe
	s_or_b32 exec_lo, exec_lo, s0
	s_and_saveexec_b32 s0, vcc_lo
	s_cbranch_execnz .LBB226_138
.LBB226_103:
	s_wait_alu 0xfffe
	s_or_b32 exec_lo, exec_lo, s0
	s_and_saveexec_b32 s0, vcc_lo
	s_cbranch_execnz .LBB226_139
.LBB226_104:
	s_wait_alu 0xfffe
	s_or_b32 exec_lo, exec_lo, s0
	s_and_saveexec_b32 s0, vcc_lo
	s_cbranch_execnz .LBB226_140
.LBB226_105:
	s_wait_alu 0xfffe
	s_or_b32 exec_lo, exec_lo, s0
	s_and_saveexec_b32 s0, vcc_lo
	s_cbranch_execnz .LBB226_141
.LBB226_106:
	s_wait_alu 0xfffe
	s_or_b32 exec_lo, exec_lo, s0
	s_and_saveexec_b32 s0, vcc_lo
	s_cbranch_execnz .LBB226_142
.LBB226_107:
	s_wait_alu 0xfffe
	s_or_b32 exec_lo, exec_lo, s0
	s_and_saveexec_b32 s0, vcc_lo
	s_cbranch_execnz .LBB226_143
.LBB226_108:
	s_wait_alu 0xfffe
	s_or_b32 exec_lo, exec_lo, s0
	s_and_saveexec_b32 s0, vcc_lo
	s_cbranch_execnz .LBB226_144
.LBB226_109:
	s_wait_alu 0xfffe
	s_or_b32 exec_lo, exec_lo, s0
	s_and_saveexec_b32 s0, vcc_lo
	s_cbranch_execnz .LBB226_145
.LBB226_110:
	s_wait_alu 0xfffe
	s_or_b32 exec_lo, exec_lo, s0
	s_and_saveexec_b32 s0, vcc_lo
	s_cbranch_execnz .LBB226_146
.LBB226_111:
	s_wait_alu 0xfffe
	s_or_b32 exec_lo, exec_lo, s0
	s_and_saveexec_b32 s0, vcc_lo
	s_cbranch_execz .LBB226_113
.LBB226_112:
	ds_load_b32 v14, v14 offset:240
	s_wait_dscnt 0x0
	v_add_f32_e32 v17, v17, v14
.LBB226_113:
	s_wait_alu 0xfffe
	s_or_b32 exec_lo, exec_lo, s0
.LBB226_114:
	s_wait_alu 0xfffe
	s_or_b32 exec_lo, exec_lo, s1
	s_mov_b32 s1, 0
	s_wait_loadcnt 0x0
	s_barrier_signal -1
	s_barrier_wait -1
	global_inv scope:SCOPE_SE
	s_mov_b32 s0, exec_lo
	v_cmpx_eq_u32_e32 0, v19
	s_cbranch_execz .LBB226_116
; %bb.115:
	s_lshl_b32 s2, s18, 6
	s_mul_i32 s4, s7, s20
	s_wait_alu 0xfffe
	s_ashr_i32 s3, s2, 31
	s_ashr_i32 s5, s4, 31
	s_wait_alu 0xfffe
	s_lshl_b64 s[2:3], s[2:3], 2
	s_lshl_b64 s[4:5], s[4:5], 2
	s_wait_kmcnt 0x0
	s_wait_alu 0xfffe
	s_add_nc_u64 s[2:3], s[8:9], s[2:3]
	v_lshrrev_b32_e32 v0, 1, v0
	s_lshl_b32 s0, s33, 8
	s_wait_alu 0xfffe
	s_add_nc_u64 s[2:3], s[2:3], s[4:5]
	s_wait_alu 0xfffe
	s_add_nc_u64 s[0:1], s[2:3], s[0:1]
	s_clause 0xf
	global_store_b32 v0, v1, s[0:1]
	global_store_b32 v0, v2, s[0:1] offset:16
	global_store_b32 v0, v3, s[0:1] offset:32
	;; [unrolled: 1-line block ×15, first 2 shown]
.LBB226_116:
	s_nop 0
	s_sendmsg sendmsg(MSG_DEALLOC_VGPRS)
	s_endpgm
.LBB226_117:
	ds_load_b32 v19, v14
	s_wait_dscnt 0x0
	v_add_f32_e32 v1, v1, v19
	s_wait_alu 0xfffe
	s_or_b32 exec_lo, exec_lo, s0
	s_and_saveexec_b32 s0, vcc_lo
	s_cbranch_execz .LBB226_77
.LBB226_118:
	ds_load_b32 v19, v14 offset:16
	s_wait_dscnt 0x0
	v_add_f32_e32 v2, v2, v19
	s_wait_alu 0xfffe
	s_or_b32 exec_lo, exec_lo, s0
	s_and_saveexec_b32 s0, vcc_lo
	s_cbranch_execz .LBB226_78
.LBB226_119:
	ds_load_b32 v19, v14 offset:32
	s_wait_dscnt 0x0
	v_add_f32_e32 v3, v3, v19
	s_wait_alu 0xfffe
	s_or_b32 exec_lo, exec_lo, s0
	s_and_saveexec_b32 s0, vcc_lo
	s_cbranch_execz .LBB226_79
.LBB226_120:
	ds_load_b32 v19, v14 offset:48
	s_wait_dscnt 0x0
	v_add_f32_e32 v4, v4, v19
	s_wait_alu 0xfffe
	s_or_b32 exec_lo, exec_lo, s0
	s_and_saveexec_b32 s0, vcc_lo
	s_cbranch_execz .LBB226_80
.LBB226_121:
	ds_load_b32 v19, v14 offset:64
	s_wait_dscnt 0x0
	v_add_f32_e32 v5, v5, v19
	s_wait_alu 0xfffe
	s_or_b32 exec_lo, exec_lo, s0
	s_and_saveexec_b32 s0, vcc_lo
	s_cbranch_execz .LBB226_81
.LBB226_122:
	ds_load_b32 v19, v14 offset:80
	s_wait_dscnt 0x0
	v_add_f32_e32 v6, v6, v19
	s_wait_alu 0xfffe
	s_or_b32 exec_lo, exec_lo, s0
	s_and_saveexec_b32 s0, vcc_lo
	s_cbranch_execz .LBB226_82
.LBB226_123:
	ds_load_b32 v19, v14 offset:96
	s_wait_dscnt 0x0
	v_add_f32_e32 v7, v7, v19
	s_wait_alu 0xfffe
	s_or_b32 exec_lo, exec_lo, s0
	s_and_saveexec_b32 s0, vcc_lo
	s_cbranch_execz .LBB226_83
.LBB226_124:
	ds_load_b32 v19, v14 offset:112
	s_wait_dscnt 0x0
	v_add_f32_e32 v8, v8, v19
	s_wait_alu 0xfffe
	s_or_b32 exec_lo, exec_lo, s0
	s_and_saveexec_b32 s0, vcc_lo
	s_cbranch_execz .LBB226_84
.LBB226_125:
	ds_load_b32 v19, v14 offset:128
	s_wait_dscnt 0x0
	v_add_f32_e32 v9, v9, v19
	s_wait_alu 0xfffe
	s_or_b32 exec_lo, exec_lo, s0
	s_and_saveexec_b32 s0, vcc_lo
	s_cbranch_execz .LBB226_85
.LBB226_126:
	ds_load_b32 v19, v14 offset:144
	s_wait_dscnt 0x0
	v_add_f32_e32 v10, v10, v19
	s_wait_alu 0xfffe
	s_or_b32 exec_lo, exec_lo, s0
	s_and_saveexec_b32 s0, vcc_lo
	s_cbranch_execz .LBB226_86
.LBB226_127:
	ds_load_b32 v19, v14 offset:160
	s_wait_dscnt 0x0
	v_add_f32_e32 v11, v11, v19
	s_wait_alu 0xfffe
	s_or_b32 exec_lo, exec_lo, s0
	s_and_saveexec_b32 s0, vcc_lo
	s_cbranch_execz .LBB226_87
.LBB226_128:
	ds_load_b32 v19, v14 offset:176
	s_wait_dscnt 0x0
	v_add_f32_e32 v12, v12, v19
	s_wait_alu 0xfffe
	s_or_b32 exec_lo, exec_lo, s0
	s_and_saveexec_b32 s0, vcc_lo
	s_cbranch_execz .LBB226_88
.LBB226_129:
	ds_load_b32 v19, v14 offset:192
	s_wait_dscnt 0x0
	v_add_f32_e32 v13, v13, v19
	s_wait_alu 0xfffe
	s_or_b32 exec_lo, exec_lo, s0
	s_and_saveexec_b32 s0, vcc_lo
	s_cbranch_execz .LBB226_89
.LBB226_130:
	ds_load_b32 v19, v14 offset:208
	s_wait_dscnt 0x0
	v_add_f32_e32 v15, v15, v19
	s_wait_alu 0xfffe
	s_or_b32 exec_lo, exec_lo, s0
	s_and_saveexec_b32 s0, vcc_lo
	s_cbranch_execz .LBB226_90
.LBB226_131:
	ds_load_b32 v19, v14 offset:224
	s_wait_dscnt 0x0
	v_add_f32_e32 v16, v16, v19
	s_wait_alu 0xfffe
	s_or_b32 exec_lo, exec_lo, s0
	s_and_saveexec_b32 s0, vcc_lo
	s_cbranch_execnz .LBB226_91
	s_branch .LBB226_92
.LBB226_132:
	ds_load_b32 v18, v14
	s_wait_dscnt 0x0
	v_add_f32_e32 v1, v1, v18
	s_wait_alu 0xfffe
	s_or_b32 exec_lo, exec_lo, s0
	s_and_saveexec_b32 s0, vcc_lo
	s_cbranch_execz .LBB226_98
.LBB226_133:
	ds_load_b32 v18, v14 offset:16
	s_wait_dscnt 0x0
	v_add_f32_e32 v2, v2, v18
	s_wait_alu 0xfffe
	s_or_b32 exec_lo, exec_lo, s0
	s_and_saveexec_b32 s0, vcc_lo
	s_cbranch_execz .LBB226_99
.LBB226_134:
	ds_load_b32 v18, v14 offset:32
	s_wait_dscnt 0x0
	v_add_f32_e32 v3, v3, v18
	s_wait_alu 0xfffe
	s_or_b32 exec_lo, exec_lo, s0
	s_and_saveexec_b32 s0, vcc_lo
	s_cbranch_execz .LBB226_100
.LBB226_135:
	ds_load_b32 v18, v14 offset:48
	s_wait_dscnt 0x0
	v_add_f32_e32 v4, v4, v18
	s_wait_alu 0xfffe
	s_or_b32 exec_lo, exec_lo, s0
	s_and_saveexec_b32 s0, vcc_lo
	s_cbranch_execz .LBB226_101
.LBB226_136:
	ds_load_b32 v18, v14 offset:64
	s_wait_dscnt 0x0
	v_add_f32_e32 v5, v5, v18
	s_wait_alu 0xfffe
	s_or_b32 exec_lo, exec_lo, s0
	s_and_saveexec_b32 s0, vcc_lo
	s_cbranch_execz .LBB226_102
.LBB226_137:
	ds_load_b32 v18, v14 offset:80
	s_wait_dscnt 0x0
	v_add_f32_e32 v6, v6, v18
	s_wait_alu 0xfffe
	s_or_b32 exec_lo, exec_lo, s0
	s_and_saveexec_b32 s0, vcc_lo
	s_cbranch_execz .LBB226_103
.LBB226_138:
	ds_load_b32 v18, v14 offset:96
	s_wait_dscnt 0x0
	v_add_f32_e32 v7, v7, v18
	s_wait_alu 0xfffe
	s_or_b32 exec_lo, exec_lo, s0
	s_and_saveexec_b32 s0, vcc_lo
	s_cbranch_execz .LBB226_104
.LBB226_139:
	ds_load_b32 v18, v14 offset:112
	s_wait_dscnt 0x0
	v_add_f32_e32 v8, v8, v18
	s_wait_alu 0xfffe
	s_or_b32 exec_lo, exec_lo, s0
	s_and_saveexec_b32 s0, vcc_lo
	s_cbranch_execz .LBB226_105
.LBB226_140:
	ds_load_b32 v18, v14 offset:128
	s_wait_dscnt 0x0
	v_add_f32_e32 v9, v9, v18
	s_wait_alu 0xfffe
	s_or_b32 exec_lo, exec_lo, s0
	s_and_saveexec_b32 s0, vcc_lo
	s_cbranch_execz .LBB226_106
.LBB226_141:
	ds_load_b32 v18, v14 offset:144
	s_wait_dscnt 0x0
	v_add_f32_e32 v10, v10, v18
	s_wait_alu 0xfffe
	s_or_b32 exec_lo, exec_lo, s0
	s_and_saveexec_b32 s0, vcc_lo
	s_cbranch_execz .LBB226_107
.LBB226_142:
	ds_load_b32 v18, v14 offset:160
	s_wait_dscnt 0x0
	v_add_f32_e32 v11, v11, v18
	s_wait_alu 0xfffe
	s_or_b32 exec_lo, exec_lo, s0
	s_and_saveexec_b32 s0, vcc_lo
	s_cbranch_execz .LBB226_108
.LBB226_143:
	ds_load_b32 v18, v14 offset:176
	s_wait_dscnt 0x0
	v_add_f32_e32 v12, v12, v18
	s_wait_alu 0xfffe
	s_or_b32 exec_lo, exec_lo, s0
	s_and_saveexec_b32 s0, vcc_lo
	s_cbranch_execz .LBB226_109
.LBB226_144:
	ds_load_b32 v18, v14 offset:192
	s_wait_dscnt 0x0
	v_add_f32_e32 v13, v13, v18
	s_wait_alu 0xfffe
	s_or_b32 exec_lo, exec_lo, s0
	s_and_saveexec_b32 s0, vcc_lo
	s_cbranch_execz .LBB226_110
.LBB226_145:
	ds_load_b32 v18, v14 offset:208
	s_wait_dscnt 0x0
	v_add_f32_e32 v15, v15, v18
	s_wait_alu 0xfffe
	s_or_b32 exec_lo, exec_lo, s0
	s_and_saveexec_b32 s0, vcc_lo
	s_cbranch_execz .LBB226_111
.LBB226_146:
	ds_load_b32 v18, v14 offset:224
	s_wait_dscnt 0x0
	v_add_f32_e32 v16, v16, v18
	s_wait_alu 0xfffe
	s_or_b32 exec_lo, exec_lo, s0
	s_and_saveexec_b32 s0, vcc_lo
	s_cbranch_execnz .LBB226_112
	s_branch .LBB226_113
	.section	.rodata,"a",@progbits
	.p2align	6, 0x0
	.amdhsa_kernel _ZN4vllm25paged_attention_v2_kernelIfhLi64ELi32ELi128ELNS_18Fp8KVCacheDataTypeE1ELb1ELi512EEEvPfS2_PT_PKS3_PKT0_S9_ifPKiSB_iPKfiiiSD_SD_iiiii
		.amdhsa_group_segment_fixed_size 288
		.amdhsa_private_segment_fixed_size 0
		.amdhsa_kernarg_size 400
		.amdhsa_user_sgpr_count 2
		.amdhsa_user_sgpr_dispatch_ptr 0
		.amdhsa_user_sgpr_queue_ptr 0
		.amdhsa_user_sgpr_kernarg_segment_ptr 1
		.amdhsa_user_sgpr_dispatch_id 0
		.amdhsa_user_sgpr_private_segment_size 0
		.amdhsa_wavefront_size32 1
		.amdhsa_uses_dynamic_stack 0
		.amdhsa_enable_private_segment 0
		.amdhsa_system_sgpr_workgroup_id_x 1
		.amdhsa_system_sgpr_workgroup_id_y 1
		.amdhsa_system_sgpr_workgroup_id_z 1
		.amdhsa_system_sgpr_workgroup_info 0
		.amdhsa_system_vgpr_workitem_id 0
		.amdhsa_next_free_vgpr 154
		.amdhsa_next_free_sgpr 44
		.amdhsa_reserve_vcc 1
		.amdhsa_float_round_mode_32 0
		.amdhsa_float_round_mode_16_64 0
		.amdhsa_float_denorm_mode_32 3
		.amdhsa_float_denorm_mode_16_64 3
		.amdhsa_fp16_overflow 0
		.amdhsa_workgroup_processor_mode 1
		.amdhsa_memory_ordered 1
		.amdhsa_forward_progress 1
		.amdhsa_inst_pref_size 85
		.amdhsa_round_robin_scheduling 0
		.amdhsa_exception_fp_ieee_invalid_op 0
		.amdhsa_exception_fp_denorm_src 0
		.amdhsa_exception_fp_ieee_div_zero 0
		.amdhsa_exception_fp_ieee_overflow 0
		.amdhsa_exception_fp_ieee_underflow 0
		.amdhsa_exception_fp_ieee_inexact 0
		.amdhsa_exception_int_div_zero 0
	.end_amdhsa_kernel
	.section	.text._ZN4vllm25paged_attention_v2_kernelIfhLi64ELi32ELi128ELNS_18Fp8KVCacheDataTypeE1ELb1ELi512EEEvPfS2_PT_PKS3_PKT0_S9_ifPKiSB_iPKfiiiSD_SD_iiiii,"axG",@progbits,_ZN4vllm25paged_attention_v2_kernelIfhLi64ELi32ELi128ELNS_18Fp8KVCacheDataTypeE1ELb1ELi512EEEvPfS2_PT_PKS3_PKT0_S9_ifPKiSB_iPKfiiiSD_SD_iiiii,comdat
.Lfunc_end226:
	.size	_ZN4vllm25paged_attention_v2_kernelIfhLi64ELi32ELi128ELNS_18Fp8KVCacheDataTypeE1ELb1ELi512EEEvPfS2_PT_PKS3_PKT0_S9_ifPKiSB_iPKfiiiSD_SD_iiiii, .Lfunc_end226-_ZN4vllm25paged_attention_v2_kernelIfhLi64ELi32ELi128ELNS_18Fp8KVCacheDataTypeE1ELb1ELi512EEEvPfS2_PT_PKS3_PKT0_S9_ifPKiSB_iPKfiiiSD_SD_iiiii
                                        ; -- End function
	.set _ZN4vllm25paged_attention_v2_kernelIfhLi64ELi32ELi128ELNS_18Fp8KVCacheDataTypeE1ELb1ELi512EEEvPfS2_PT_PKS3_PKT0_S9_ifPKiSB_iPKfiiiSD_SD_iiiii.num_vgpr, 154
	.set _ZN4vllm25paged_attention_v2_kernelIfhLi64ELi32ELi128ELNS_18Fp8KVCacheDataTypeE1ELb1ELi512EEEvPfS2_PT_PKS3_PKT0_S9_ifPKiSB_iPKfiiiSD_SD_iiiii.num_agpr, 0
	.set _ZN4vllm25paged_attention_v2_kernelIfhLi64ELi32ELi128ELNS_18Fp8KVCacheDataTypeE1ELb1ELi512EEEvPfS2_PT_PKS3_PKT0_S9_ifPKiSB_iPKfiiiSD_SD_iiiii.numbered_sgpr, 44
	.set _ZN4vllm25paged_attention_v2_kernelIfhLi64ELi32ELi128ELNS_18Fp8KVCacheDataTypeE1ELb1ELi512EEEvPfS2_PT_PKS3_PKT0_S9_ifPKiSB_iPKfiiiSD_SD_iiiii.num_named_barrier, 0
	.set _ZN4vllm25paged_attention_v2_kernelIfhLi64ELi32ELi128ELNS_18Fp8KVCacheDataTypeE1ELb1ELi512EEEvPfS2_PT_PKS3_PKT0_S9_ifPKiSB_iPKfiiiSD_SD_iiiii.private_seg_size, 0
	.set _ZN4vllm25paged_attention_v2_kernelIfhLi64ELi32ELi128ELNS_18Fp8KVCacheDataTypeE1ELb1ELi512EEEvPfS2_PT_PKS3_PKT0_S9_ifPKiSB_iPKfiiiSD_SD_iiiii.uses_vcc, 1
	.set _ZN4vllm25paged_attention_v2_kernelIfhLi64ELi32ELi128ELNS_18Fp8KVCacheDataTypeE1ELb1ELi512EEEvPfS2_PT_PKS3_PKT0_S9_ifPKiSB_iPKfiiiSD_SD_iiiii.uses_flat_scratch, 0
	.set _ZN4vllm25paged_attention_v2_kernelIfhLi64ELi32ELi128ELNS_18Fp8KVCacheDataTypeE1ELb1ELi512EEEvPfS2_PT_PKS3_PKT0_S9_ifPKiSB_iPKfiiiSD_SD_iiiii.has_dyn_sized_stack, 0
	.set _ZN4vllm25paged_attention_v2_kernelIfhLi64ELi32ELi128ELNS_18Fp8KVCacheDataTypeE1ELb1ELi512EEEvPfS2_PT_PKS3_PKT0_S9_ifPKiSB_iPKfiiiSD_SD_iiiii.has_recursion, 0
	.set _ZN4vllm25paged_attention_v2_kernelIfhLi64ELi32ELi128ELNS_18Fp8KVCacheDataTypeE1ELb1ELi512EEEvPfS2_PT_PKS3_PKT0_S9_ifPKiSB_iPKfiiiSD_SD_iiiii.has_indirect_call, 0
	.section	.AMDGPU.csdata,"",@progbits
; Kernel info:
; codeLenInByte = 10760
; TotalNumSgprs: 46
; NumVgprs: 154
; ScratchSize: 0
; MemoryBound: 0
; FloatMode: 240
; IeeeMode: 1
; LDSByteSize: 288 bytes/workgroup (compile time only)
; SGPRBlocks: 0
; VGPRBlocks: 19
; NumSGPRsForWavesPerEU: 46
; NumVGPRsForWavesPerEU: 154
; Occupancy: 9
; WaveLimiterHint : 1
; COMPUTE_PGM_RSRC2:SCRATCH_EN: 0
; COMPUTE_PGM_RSRC2:USER_SGPR: 2
; COMPUTE_PGM_RSRC2:TRAP_HANDLER: 0
; COMPUTE_PGM_RSRC2:TGID_X_EN: 1
; COMPUTE_PGM_RSRC2:TGID_Y_EN: 1
; COMPUTE_PGM_RSRC2:TGID_Z_EN: 1
; COMPUTE_PGM_RSRC2:TIDIG_COMP_CNT: 0
	.section	.text._ZN4vllm25paged_attention_v2_kernelIfhLi80ELi32ELi128ELNS_18Fp8KVCacheDataTypeE1ELb1ELi512EEEvPfS2_PT_PKS3_PKT0_S9_ifPKiSB_iPKfiiiSD_SD_iiiii,"axG",@progbits,_ZN4vllm25paged_attention_v2_kernelIfhLi80ELi32ELi128ELNS_18Fp8KVCacheDataTypeE1ELb1ELi512EEEvPfS2_PT_PKS3_PKT0_S9_ifPKiSB_iPKfiiiSD_SD_iiiii,comdat
	.protected	_ZN4vllm25paged_attention_v2_kernelIfhLi80ELi32ELi128ELNS_18Fp8KVCacheDataTypeE1ELb1ELi512EEEvPfS2_PT_PKS3_PKT0_S9_ifPKiSB_iPKfiiiSD_SD_iiiii ; -- Begin function _ZN4vllm25paged_attention_v2_kernelIfhLi80ELi32ELi128ELNS_18Fp8KVCacheDataTypeE1ELb1ELi512EEEvPfS2_PT_PKS3_PKT0_S9_ifPKiSB_iPKfiiiSD_SD_iiiii
	.globl	_ZN4vllm25paged_attention_v2_kernelIfhLi80ELi32ELi128ELNS_18Fp8KVCacheDataTypeE1ELb1ELi512EEEvPfS2_PT_PKS3_PKT0_S9_ifPKiSB_iPKfiiiSD_SD_iiiii
	.p2align	8
	.type	_ZN4vllm25paged_attention_v2_kernelIfhLi80ELi32ELi128ELNS_18Fp8KVCacheDataTypeE1ELb1ELi512EEEvPfS2_PT_PKS3_PKT0_S9_ifPKiSB_iPKfiiiSD_SD_iiiii,@function
_ZN4vllm25paged_attention_v2_kernelIfhLi80ELi32ELi128ELNS_18Fp8KVCacheDataTypeE1ELb1ELi512EEEvPfS2_PT_PKS3_PKT0_S9_ifPKiSB_iPKfiiiSD_SD_iiiii: ; @_ZN4vllm25paged_attention_v2_kernelIfhLi80ELi32ELi128ELNS_18Fp8KVCacheDataTypeE1ELb1ELi512EEEvPfS2_PT_PKS3_PKT0_S9_ifPKiSB_iPKfiiiSD_SD_iiiii
; %bb.0:
	s_load_b64 s[2:3], s[0:1], 0x40
	s_and_b32 s19, ttmp7, 0xffff
	s_lshr_b32 s33, ttmp7, 16
	s_lshl_b32 s4, s19, 2
	s_lshl_b32 s37, s33, 9
	s_wait_kmcnt 0x0
	s_load_b32 s34, s[2:3], s4 offset:0x0
	s_wait_kmcnt 0x0
	s_cmp_ge_i32 s37, s34
	s_cbranch_scc1 .LBB227_132
; %bb.1:
	s_clause 0x1
	s_load_b32 s36, s[0:1], 0x90
	s_load_b64 s[12:13], s[0:1], 0x30
	s_wait_kmcnt 0x0
	s_abs_i32 s5, s36
	s_abs_i32 s2, s12
	s_delay_alu instid0(SALU_CYCLE_1) | instskip(SKIP_1) | instid1(SALU_CYCLE_2)
	s_cvt_f32_u32 s3, s2
	s_sub_co_i32 s4, 0, s2
	v_rcp_iflag_f32_e32 v1, s3
	s_delay_alu instid0(TRANS32_DEP_1) | instskip(SKIP_2) | instid1(SALU_CYCLE_2)
	v_readfirstlane_b32 s3, v1
	s_mul_f32 s3, s3, 0x4f7ffffe
	s_wait_alu 0xfffe
	s_cvt_u32_f32 s3, s3
	s_wait_alu 0xfffe
	s_delay_alu instid0(SALU_CYCLE_2) | instskip(NEXT) | instid1(SALU_CYCLE_1)
	s_mul_i32 s4, s4, s3
	s_mul_hi_u32 s4, s3, s4
	s_delay_alu instid0(SALU_CYCLE_1)
	s_add_co_i32 s3, s3, s4
	s_xor_b32 s4, s36, s12
	s_wait_alu 0xfffe
	s_mul_hi_u32 s3, s5, s3
	s_ashr_i32 s4, s4, 31
	s_wait_alu 0xfffe
	s_mul_i32 s6, s3, s2
	s_delay_alu instid0(SALU_CYCLE_1)
	s_sub_co_i32 s5, s5, s6
	s_add_co_i32 s6, s3, 1
	s_sub_co_i32 s7, s5, s2
	s_cmp_ge_u32 s5, s2
	s_cselect_b32 s3, s6, s3
	s_cselect_b32 s5, s7, s5
	s_wait_alu 0xfffe
	s_add_co_i32 s6, s3, 1
	s_cmp_ge_u32 s5, s2
	s_cselect_b32 s2, s6, s3
	s_load_b64 s[6:7], s[0:1], 0x50
	s_xor_b32 s2, s2, s4
	s_mov_b32 s3, 0
	s_wait_alu 0xfffe
	s_sub_co_i32 s11, s2, s4
	s_mov_b32 s30, s3
	s_abs_i32 s10, s11
	s_delay_alu instid0(SALU_CYCLE_1) | instskip(SKIP_1) | instid1(SALU_CYCLE_2)
	s_cvt_f32_u32 s2, s10
	s_wait_alu 0xfffe
	v_rcp_iflag_f32_e32 v1, s2
	s_delay_alu instid0(TRANS32_DEP_1) | instskip(SKIP_2) | instid1(SALU_CYCLE_2)
	v_readfirstlane_b32 s2, v1
	s_mul_f32 s2, s2, 0x4f7ffffe
	s_wait_alu 0xfffe
	s_cvt_u32_f32 s4, s2
	s_sub_co_i32 s2, 0, s10
	s_wait_alu 0xfffe
	s_delay_alu instid0(SALU_CYCLE_1)
	s_mul_i32 s2, s2, s4
	s_wait_alu 0xfffe
	s_mul_hi_u32 s5, s4, s2
	s_abs_i32 s2, ttmp9
	s_add_co_i32 s4, s4, s5
	s_mov_b32 s5, s3
	s_wait_kmcnt 0x0
	s_cmp_eq_u64 s[6:7], 0
	s_cbranch_scc1 .LBB227_3
; %bb.2:
	s_mov_b32 s8, ttmp9
	s_ashr_i32 s9, ttmp9, 31
	s_delay_alu instid0(SALU_CYCLE_1) | instskip(NEXT) | instid1(SALU_CYCLE_1)
	s_lshl_b64 s[8:9], s[8:9], 2
	s_add_nc_u64 s[6:7], s[6:7], s[8:9]
	s_load_b32 s30, s[6:7], 0x0
.LBB227_3:
	s_load_b96 s[16:18], s[0:1], 0x58
	s_mul_u64 s[8:9], s[2:3], s[4:5]
	s_ashr_i32 s3, ttmp9, 31
	s_ashr_i32 s8, s11, 31
	s_mul_i32 s20, ttmp9, 0x50
	s_mov_b32 s4, exec_lo
	v_cmpx_gt_u32_e32 20, v0
	s_cbranch_execz .LBB227_5
; %bb.4:
	s_load_b64 s[6:7], s[0:1], 0x18
	s_wait_kmcnt 0x0
	s_mul_i32 s14, s16, s19
	s_ashr_i32 s21, s20, 31
	s_ashr_i32 s15, s14, 31
	v_lshlrev_b32_e32 v5, 4, v0
	s_lshl_b64 s[14:15], s[14:15], 2
	s_delay_alu instid0(SALU_CYCLE_1) | instskip(SKIP_1) | instid1(SALU_CYCLE_1)
	s_add_nc_u64 s[6:7], s[6:7], s[14:15]
	s_lshl_b64 s[14:15], s[20:21], 2
	s_add_nc_u64 s[6:7], s[6:7], s[14:15]
	global_load_b128 v[1:4], v5, s[6:7]
	s_wait_loadcnt 0x0
	ds_store_b128 v5, v[1:4]
.LBB227_5:
	s_or_b32 exec_lo, exec_lo, s4
	s_load_b128 s[4:7], s[0:1], 0x78
	s_mul_i32 s11, s9, s10
	s_xor_b32 s3, s3, s8
	s_sub_co_i32 s2, s2, s11
	s_add_co_i32 s8, s9, 1
	s_wait_alu 0xfffe
	s_sub_co_i32 s11, s2, s10
	s_cmp_ge_u32 s2, s10
                                        ; implicit-def: $sgpr21
	s_cselect_b32 s8, s8, s9
	s_cselect_b32 s2, s11, s2
	s_add_co_i32 s9, s8, 1
	s_wait_alu 0xfffe
	s_cmp_ge_u32 s2, s10
	s_mov_b32 s10, -1
	s_cselect_b32 s2, s9, s8
	s_load_b32 s8, s[0:1], 0x88
	s_xor_b32 s2, s2, s3
	s_wait_dscnt 0x0
	s_wait_alu 0xfffe
	s_sub_co_i32 s28, s2, s3
	s_barrier_signal -1
	s_barrier_wait -1
	s_wait_kmcnt 0x0
	s_abs_i32 s16, s7
	global_inv scope:SCOPE_SE
	s_cvt_f32_u32 s9, s16
	s_delay_alu instid0(SALU_CYCLE_3) | instskip(NEXT) | instid1(TRANS32_DEP_1)
	v_rcp_iflag_f32_e32 v1, s9
	v_readfirstlane_b32 s9, v1
	s_mul_f32 s2, s9, 0x4f7ffffe
	s_add_co_i32 s9, s34, -1
	s_wait_alu 0xfffe
	s_delay_alu instid0(SALU_CYCLE_1) | instskip(SKIP_2) | instid1(SALU_CYCLE_1)
	s_cvt_u32_f32 s11, s2
	s_sub_co_i32 s2, 0, s16
	s_wait_alu 0xfffe
	s_mul_i32 s3, s2, s11
	s_abs_i32 s2, s9
	s_wait_alu 0xfffe
	s_mul_hi_u32 s14, s11, s3
	s_mov_b32 s3, 0
	s_add_co_i32 s22, s11, s14
	s_cmp_lt_i32 s8, 0
	s_wait_alu 0xfffe
	s_mov_b32 s23, s3
	s_cbranch_scc0 .LBB227_7
; %bb.6:
	s_mul_i32 s10, s4, s12
	s_delay_alu instid0(SALU_CYCLE_1) | instskip(NEXT) | instid1(SALU_CYCLE_1)
	s_add_co_i32 s10, s28, s10
	s_mul_i32 s10, s10, s8
	s_delay_alu instid0(SALU_CYCLE_1)
	s_sub_co_i32 s21, 1, s10
	s_mov_b32 s10, s3
.LBB227_7:
	s_mul_u64 s[14:15], s[2:3], s[22:23]
	s_ashr_i32 s3, s9, 31
	s_and_not1_b32 vcc_lo, exec_lo, s10
	s_ashr_i32 s23, s7, 31
	s_cbranch_vccnz .LBB227_9
; %bb.8:
	s_mul_i32 s4, s36, s4
	s_delay_alu instid0(SALU_CYCLE_1) | instskip(NEXT) | instid1(SALU_CYCLE_1)
	s_add_co_i32 s4, s4, ttmp9
	s_mul_i32 s4, s4, s8
	s_delay_alu instid0(SALU_CYCLE_1)
	s_add_co_i32 s21, s4, 1
.LBB227_9:
	s_clause 0x3
	s_load_b32 s4, s[0:1], 0x48
	s_load_b64 s[24:25], s[0:1], 0x38
	s_load_b32 s7, s[0:1], 0x98
	s_load_b128 s[8:11], s[0:1], 0x68
	s_mul_i32 s12, s15, s16
	s_xor_b32 s3, s3, s23
	s_sub_co_i32 s2, s2, s12
	s_add_co_i32 s14, s15, 1
	v_lshrrev_b32_e32 v189, 5, v0
	v_and_b32_e32 v190, 31, v0
	v_mov_b32_e32 v172, 0xff7fffff
	s_mul_i32 s28, s28, s18
	s_delay_alu instid0(VALU_DEP_3) | instskip(NEXT) | instid1(VALU_DEP_3)
	v_lshl_add_u32 v103, v189, 5, s37
	v_lshlrev_b32_e32 v191, 2, v190
	s_wait_kmcnt 0x0
	s_mul_i32 s26, s4, s19
	s_wait_alu 0xfffe
	s_sub_co_i32 s4, s2, s16
	s_ashr_i32 s27, s26, 31
	s_cmp_ge_u32 s2, s16
	s_cselect_b32 s12, s14, s15
	s_cselect_b32 s2, s4, s2
	s_add_co_i32 s4, s12, 1
	s_wait_alu 0xfffe
	s_cmp_ge_u32 s2, s16
	s_cselect_b32 s2, s4, s12
	s_add_co_i32 s4, s34, 31
	s_lshl_b32 s40, s33, 4
	s_ashr_i32 s12, s4, 31
	v_add_nc_u32_e32 v104, s40, v189
	s_lshr_b32 s12, s12, 27
	s_delay_alu instid0(SALU_CYCLE_1)
	s_add_co_i32 s4, s4, s12
	s_add_co_i32 s12, s40, 16
	s_ashr_i32 s38, s4, 5
	s_wait_alu 0xfffe
	s_xor_b32 s4, s2, s3
	s_min_i32 s35, s12, s38
	v_lshlrev_b32_e32 v10, 2, v104
	v_cmp_gt_i32_e64 s2, s35, v104
	s_sub_co_i32 s39, s4, s3
	s_and_saveexec_b32 s12, s2
	s_cbranch_execz .LBB227_17
; %bb.10:
	s_load_b64 s[42:43], s[0:1], 0x20
	s_sub_co_i32 s14, s39, s5
	s_ashr_i32 s29, s28, 31
	s_cmp_neq_f32 s30, 0
	v_dual_mov_b32 v77, 0 :: v_dual_lshlrev_b32 v26, 4, v190
	ds_load_b128 v[173:176], v77
	ds_load_b128 v[177:180], v77 offset:16
	ds_load_b128 v[181:184], v77 offset:32
	;; [unrolled: 1-line block ×5, first 2 shown]
	s_cselect_b32 vcc_lo, -1, 0
	s_abs_i32 s15, s6
	v_subrev_nc_u32_e32 v81, s34, v190
	s_cvt_f32_u32 s3, s15
	v_lshl_or_b32 v82, v189, 7, v191
	v_lshl_add_u32 v108, v189, 5, s37
	s_delay_alu instid0(VALU_DEP_3)
	v_dual_mov_b32 v168, 0xff7fffff :: v_dual_add_nc_u32 v169, 1, v81
	s_wait_alu 0xfffe
	v_rcp_iflag_f32_e32 v25, s3
	v_add_nc_u32_e32 v110, 0x160, v82
	s_wait_kmcnt 0x0
	s_add_nc_u64 s[42:43], s[42:43], s[28:29]
	v_mov_b32_e32 v172, 0xff7fffff
	v_add_co_u32 v170, s4, s42, v26
	s_delay_alu instid0(VALU_DEP_1) | instskip(SKIP_2) | instid1(TRANS32_DEP_1)
	v_add_co_ci_u32_e64 v171, null, s43, 0, s4
	s_lshl_b64 s[42:43], s[26:27], 2
	s_sub_co_i32 s4, 0, s15
	v_readfirstlane_b32 s3, v25
	ds_load_b128 v[25:28], v77 offset:96
	ds_load_b128 v[29:32], v77 offset:112
	;; [unrolled: 1-line block ×14, first 2 shown]
	s_wait_alu 0xfffe
	s_add_nc_u64 s[42:43], s[24:25], s[42:43]
	s_mul_f32 s3, s3, 0x4f7ffffe
	s_wait_alu 0xfffe
	v_add_co_u32 v99, s29, s42, v10
	s_delay_alu instid0(VALU_DEP_1)
	v_add_co_ci_u32_e64 v100, null, s43, 0, s29
	s_cvt_u32_f32 s3, s3
	v_mov_b32_e32 v112, v104
	s_mov_b32 s18, s17
	s_mov_b32 s29, 0
	s_wait_alu 0xfffe
	s_mul_i32 s4, s4, s3
	s_wait_alu 0xfffe
	s_mul_hi_u32 s4, s3, s4
	s_wait_alu 0xfffe
	s_add_co_i32 s31, s3, s4
	s_branch .LBB227_12
.LBB227_11:                             ;   in Loop: Header=BB227_12 Depth=1
	s_wait_alu 0xfffe
	s_or_b32 exec_lo, exec_lo, s4
	v_add_nc_u32_e32 v112, 4, v112
	v_add_co_u32 v99, s4, v99, 16
	s_wait_alu 0xf1ff
	v_add_co_ci_u32_e64 v100, null, 0, v100, s4
	s_delay_alu instid0(VALU_DEP_3)
	v_cmp_le_i32_e64 s3, s35, v112
	v_add_nc_u32_e32 v108, 0x80, v108
	v_add_nc_u32_e32 v110, 0x200, v110
	s_or_b32 s29, s3, s29
	s_wait_alu 0xfffe
	s_and_not1_b32 exec_lo, exec_lo, s29
	s_cbranch_execz .LBB227_16
.LBB227_12:                             ; =>This Inner Loop Header: Depth=1
	v_sub_nc_u32_e32 v81, 0, v108
	s_delay_alu instid0(VALU_DEP_1) | instskip(NEXT) | instid1(VALU_DEP_1)
	v_max_i32_e32 v81, v108, v81
	v_mul_hi_u32 v82, v81, s22
	s_delay_alu instid0(VALU_DEP_1) | instskip(NEXT) | instid1(VALU_DEP_1)
	v_mul_lo_u32 v83, v82, s16
	v_sub_nc_u32_e32 v81, v81, v83
	v_add_nc_u32_e32 v83, 1, v82
	s_delay_alu instid0(VALU_DEP_2) | instskip(SKIP_2) | instid1(VALU_DEP_1)
	v_subrev_nc_u32_e32 v84, s16, v81
	v_cmp_le_u32_e64 s3, s16, v81
	s_wait_alu 0xf1ff
	v_cndmask_b32_e64 v82, v82, v83, s3
	s_delay_alu instid0(VALU_DEP_3) | instskip(SKIP_1) | instid1(VALU_DEP_3)
	v_cndmask_b32_e64 v81, v81, v84, s3
	v_ashrrev_i32_e32 v83, 31, v108
	v_add_nc_u32_e32 v84, 1, v82
	s_delay_alu instid0(VALU_DEP_3) | instskip(NEXT) | instid1(VALU_DEP_3)
	v_cmp_le_u32_e64 s3, s16, v81
	v_xor_b32_e32 v83, s23, v83
	s_wait_alu 0xf1ff
	s_delay_alu instid0(VALU_DEP_2) | instskip(NEXT) | instid1(VALU_DEP_1)
	v_cndmask_b32_e64 v81, v82, v84, s3
	v_xor_b32_e32 v81, v81, v83
	s_delay_alu instid0(VALU_DEP_1) | instskip(NEXT) | instid1(VALU_DEP_1)
	v_sub_nc_u32_e32 v81, v81, v83
	v_add_nc_u32_e32 v82, s21, v81
	v_cmp_ge_i32_e64 s4, s14, v81
	s_delay_alu instid0(VALU_DEP_2) | instskip(NEXT) | instid1(VALU_DEP_1)
	v_sub_nc_u32_e32 v83, 0, v82
	v_max_i32_e32 v83, v82, v83
	v_ashrrev_i32_e32 v82, 31, v82
	s_delay_alu instid0(VALU_DEP_2) | instskip(NEXT) | instid1(VALU_DEP_1)
	v_mul_hi_u32 v84, v83, s31
	v_mul_lo_u32 v84, v84, s15
	s_delay_alu instid0(VALU_DEP_1) | instskip(NEXT) | instid1(VALU_DEP_1)
	v_sub_nc_u32_e32 v83, v83, v84
	v_subrev_nc_u32_e32 v84, s15, v83
	v_cmp_le_u32_e64 s3, s15, v83
	s_wait_alu 0xf1ff
	s_delay_alu instid0(VALU_DEP_1) | instskip(NEXT) | instid1(VALU_DEP_1)
	v_cndmask_b32_e64 v83, v83, v84, s3
	v_subrev_nc_u32_e32 v84, s15, v83
	v_cmp_le_u32_e64 s3, s15, v83
	s_wait_alu 0xf1ff
	s_delay_alu instid0(VALU_DEP_1) | instskip(NEXT) | instid1(VALU_DEP_1)
	v_cndmask_b32_e64 v83, v83, v84, s3
	v_xor_b32_e32 v83, v83, v82
	s_delay_alu instid0(VALU_DEP_1) | instskip(NEXT) | instid1(VALU_DEP_1)
	v_sub_nc_u32_e32 v82, v83, v82
	v_cmp_ne_u32_e64 s3, 0, v82
	s_and_b32 s3, s3, s4
	s_wait_alu 0xfffe
	s_and_saveexec_b32 s4, s3
	s_wait_alu 0xfffe
	s_xor_b32 s3, exec_lo, s4
; %bb.13:                               ;   in Loop: Header=BB227_12 Depth=1
	ds_store_b32 v110, v168
; %bb.14:                               ;   in Loop: Header=BB227_12 Depth=1
	s_wait_alu 0xfffe
	s_and_not1_saveexec_b32 s4, s3
	s_cbranch_execz .LBB227_11
; %bb.15:                               ;   in Loop: Header=BB227_12 Depth=1
	global_load_b32 v81, v[99:100], off
	s_wait_loadcnt 0x0
	v_mad_co_i64_i32 v[113:114], null, v81, s18, v[170:171]
	s_clause 0x4
	global_load_b128 v[81:84], v[113:114], off
	global_load_b128 v[85:88], v[113:114], off offset:512
	global_load_b128 v[89:92], v[113:114], off offset:1024
	;; [unrolled: 1-line block ×4, first 2 shown]
	s_load_b32 s3, s[8:9], 0x0
	s_wait_loadcnt 0x4
	v_lshrrev_b32_e32 v118, 16, v81
	v_and_b32_e32 v119, 0xffff, v82
	v_lshrrev_b32_e32 v120, 16, v82
	v_lshrrev_b32_e32 v122, 16, v83
	v_lshrrev_b32_e32 v124, 16, v84
	s_wait_loadcnt 0x3
	v_lshrrev_b32_e32 v126, 16, v85
	v_and_b32_e32 v121, 0xffff, v83
	v_lshrrev_b32_e32 v105, 16, v86
	v_and_b32_e32 v106, 0xffff, v87
	v_lshrrev_b32_e32 v101, 16, v87
	v_lshrrev_b32_e32 v111, 16, v88
	s_wait_loadcnt 0x2
	v_lshrrev_b32_e32 v2, 16, v91
	v_and_b32_e32 v3, 0xffff, v92
	v_lshrrev_b32_e32 v4, 16, v92
	s_wait_loadcnt 0x1
	v_and_b32_e32 v9, 0xffff, v95
	v_lshrrev_b32_e32 v10, 16, v95
	v_and_b32_e32 v11, 0xffff, v96
	v_lshrrev_b32_e32 v12, 16, v96
	s_wait_loadcnt 0x0
	v_and_b32_e32 v17, 0xffff, v115
	v_lshrrev_b32_e32 v19, 16, v115
	v_and_b32_e32 v20, 0xffff, v116
	v_lshrrev_b32_e32 v18, 16, v116
	v_cvt_pk_f32_fp8_e32 v[95:96], v124
	v_and_b32_e32 v127, 0xffff, v86
	v_cvt_pk_f32_fp8_e32 v[115:116], v126
	v_and_b32_e32 v1, 0xffff, v91
	;; [unrolled: 2-line block ×6, first 2 shown]
	v_lshrrev_b32_e32 v97, 16, v89
	v_and_b32_e32 v5, 0xffff, v93
	v_lshrrev_b32_e32 v6, 16, v93
	v_lshrrev_b32_e32 v8, 16, v94
	v_cvt_pk_f32_fp8_e32 v[143:144], v4
	s_wait_kmcnt 0x0
	v_mul_f32_e32 v4, s3, v83
	v_cvt_pk_f32_fp8_e32 v[81:82], v117
	v_and_b32_e32 v98, 0xffff, v90
	v_lshrrev_b32_e32 v107, 16, v90
	v_lshrrev_b32_e32 v14, 16, v113
	v_and_b32_e32 v15, 0xffff, v114
	v_lshrrev_b32_e32 v16, 16, v114
	v_cvt_pk_f32_fp8_e32 v[131:132], v97
	v_and_b32_e32 v13, 0xffff, v113
	v_cvt_pk_f32_fp8_e32 v[145:146], v5
	v_cvt_pk_f32_fp8_e32 v[147:148], v6
	;; [unrolled: 1-line block ×4, first 2 shown]
	v_dual_mul_f32 v5, s3, v86 :: v_dual_mul_f32 v6, s3, v85
	v_mul_f32_e32 v8, s3, v87
	v_mul_f32_e32 v12, s3, v91
	v_cvt_pk_f32_fp8_e32 v[113:114], v125
	v_and_b32_e32 v109, 0xffff, v89
	v_cvt_pk_f32_fp8_e32 v[89:90], v121
	v_cvt_pk_f32_fp8_e32 v[125:126], v102
	v_mul_f32_e32 v96, s3, v96
	v_cvt_pk_f32_fp8_e32 v[117:118], v127
	v_mul_f32_e32 v102, s3, v116
	;; [unrolled: 2-line block ×3, first 2 shown]
	v_cvt_pk_f32_fp8_e32 v[121:122], v106
	v_and_b32_e32 v7, 0xffff, v94
	v_cvt_pk_f32_fp8_e32 v[93:94], v123
	v_cvt_pk_f32_fp8_e32 v[123:124], v101
	v_add_nc_u32_e32 v163, v169, v108
	v_cvt_pk_f32_fp8_e32 v[119:120], v105
	v_cvt_pk_f32_fp8_e32 v[127:128], v111
	;; [unrolled: 1-line block ×4, first 2 shown]
	v_dual_mul_f32 v2, s3, v81 :: v_dual_mul_f32 v105, s3, v115
	v_mul_f32_e32 v106, s3, v118
	v_cvt_pk_f32_fp8_e32 v[141:142], v3
	v_mul_f32_e32 v3, s3, v84
	v_cvt_pk_f32_fp8_e32 v[133:134], v98
	;; [unrolled: 2-line block ×4, first 2 shown]
	v_mul_f32_e32 v7, s3, v88
	s_wait_dscnt 0x12
	v_dual_mul_f32 v115, s3, v124 :: v_dual_mul_f32 v6, v177, v6
	v_cvt_pk_f32_fp8_e32 v[155:156], v10
	v_mul_f32_e32 v10, s3, v89
	v_mul_f32_e32 v116, s3, v123
	;; [unrolled: 1-line block ×3, first 2 shown]
	v_cvt_pk_f32_fp8_e32 v[153:154], v9
	v_mul_f32_e32 v111, s3, v119
	v_dual_mul_f32 v119, s3, v128 :: v_dual_fmac_f32 v6, v173, v2
	v_dual_mul_f32 v121, s3, v130 :: v_dual_mul_f32 v8, v179, v8
	v_dual_mul_f32 v128, s3, v135 :: v_dual_mul_f32 v123, s3, v132
	;; [unrolled: 1-line block ×4, first 2 shown]
	v_cvt_pk_f32_fp8_e32 v[157:158], v11
	v_dual_mul_f32 v11, s3, v92 :: v_dual_mul_f32 v130, s3, v137
	v_dual_mul_f32 v124, s3, v131 :: v_dual_mul_f32 v125, s3, v134
	v_fmac_f32_e32 v8, v175, v4
	v_dual_mul_f32 v127, s3, v136 :: v_dual_fmac_f32 v2, v176, v3
	s_wait_dscnt 0x11
	v_dual_mul_f32 v131, s3, v140 :: v_dual_fmac_f32 v6, v181, v10
	v_dual_mul_f32 v95, s3, v95 :: v_dual_mul_f32 v134, s3, v141
	v_dual_mul_f32 v101, s3, v113 :: v_dual_mul_f32 v140, s3, v147
	v_mul_f32_e32 v107, s3, v117
	v_mul_f32_e32 v113, s3, v122
	v_dual_mul_f32 v117, s3, v126 :: v_dual_mul_f32 v122, s3, v129
	v_dual_mul_f32 v126, s3, v133 :: v_dual_mul_f32 v129, s3, v138
	v_fmac_f32_e32 v8, v183, v12
	v_dual_mul_f32 v135, s3, v144 :: v_dual_fmac_f32 v2, v184, v11
	v_dual_mul_f32 v136, s3, v143 :: v_dual_mul_f32 v133, s3, v142
	s_wait_dscnt 0x10
	v_fmac_f32_e32 v6, v185, v97
	v_cvt_pk_f32_fp8_e32 v[161:162], v13
	v_dual_mul_f32 v13, s3, v94 :: v_dual_mul_f32 v132, s3, v139
	v_dual_mul_f32 v137, s3, v146 :: v_dual_fmac_f32 v8, v187, v95
	s_wait_dscnt 0xf
	v_dual_mul_f32 v139, s3, v148 :: v_dual_fmac_f32 v6, v164, v101
	v_dual_mul_f32 v141, s3, v150 :: v_dual_fmac_f32 v2, v188, v96
	v_mul_f32_e32 v5, v178, v5
	v_dual_mul_f32 v9, s3, v90 :: v_dual_mul_f32 v138, s3, v145
	v_dual_mul_f32 v144, s3, v151 :: v_dual_mul_f32 v145, s3, v154
	v_dual_fmac_f32 v8, v166, v105 :: v_dual_mul_f32 v147, s3, v156
	s_wait_dscnt 0xe
	v_fmac_f32_e32 v6, v21, v107
	v_dual_fmac_f32 v2, v167, v102 :: v_dual_fmac_f32 v5, v174, v1
	v_mul_f32_e32 v142, s3, v149
	v_dual_mul_f32 v146, s3, v153 :: v_dual_mul_f32 v149, s3, v158
	v_fmac_f32_e32 v8, v23, v111
	s_wait_dscnt 0xd
	v_dual_fmac_f32 v6, v25, v114 :: v_dual_fmac_f32 v5, v182, v9
	v_dual_mul_f32 v1, s3, v160 :: v_dual_fmac_f32 v2, v24, v109
	s_delay_alu instid0(VALU_DEP_3) | instskip(SKIP_1) | instid1(VALU_DEP_3)
	v_fmac_f32_e32 v8, v27, v116
	s_wait_dscnt 0xc
	v_dual_fmac_f32 v6, v29, v118 :: v_dual_fmac_f32 v5, v186, v13
	v_mul_f32_e32 v148, s3, v155
	v_fmac_f32_e32 v2, v28, v115
	v_fmac_f32_e32 v8, v31, v120
	s_delay_alu instid0(VALU_DEP_4)
	v_dual_mul_f32 v150, s3, v157 :: v_dual_fmac_f32 v5, v165, v98
	s_wait_dscnt 0xb
	v_dual_mul_f32 v7, s3, v161 :: v_dual_fmac_f32 v6, v33, v122
	v_fmac_f32_e32 v2, v32, v119
	v_cvt_pk_f32_fp8_e32 v[81:82], v14
	v_fmac_f32_e32 v5, v22, v106
	v_cvt_pk_f32_fp8_e32 v[83:84], v15
	s_wait_dscnt 0xa
	v_fmac_f32_e32 v6, v37, v126
	v_dual_fmac_f32 v8, v35, v124 :: v_dual_mul_f32 v9, s3, v82
	s_delay_alu instid0(VALU_DEP_3) | instskip(SKIP_1) | instid1(VALU_DEP_3)
	v_dual_fmac_f32 v5, v26, v113 :: v_dual_mul_f32 v12, s3, v83
	v_cvt_pk_f32_fp8_e32 v[85:86], v16
	v_fmac_f32_e32 v8, v39, v128
	v_dual_mul_f32 v11, s3, v84 :: v_dual_fmac_f32 v2, v36, v123
	s_delay_alu instid0(VALU_DEP_4) | instskip(NEXT) | instid1(VALU_DEP_4)
	v_fmac_f32_e32 v5, v30, v117
	v_mul_f32_e32 v13, s3, v86
	v_dual_mul_f32 v143, s3, v152 :: v_dual_mul_f32 v4, s3, v162
	s_delay_alu instid0(VALU_DEP_3)
	v_dual_fmac_f32 v2, v40, v127 :: v_dual_fmac_f32 v5, v34, v121
	v_cvt_pk_f32_fp8_e32 v[87:88], v17
	v_cvt_pk_f32_fp8_e32 v[91:92], v20
	v_dual_mul_f32 v14, s3, v85 :: v_dual_mul_f32 v3, s3, v159
	v_mul_f32_e32 v10, s3, v81
	s_wait_dscnt 0x9
	v_dual_fmac_f32 v5, v38, v125 :: v_dual_fmac_f32 v6, v41, v130
	v_mul_f32_e32 v15, s3, v88
	v_cvt_pk_f32_fp8_e32 v[89:90], v19
	v_cvt_pk_f32_fp8_e32 v[93:94], v18
	s_delay_alu instid0(VALU_DEP_4) | instskip(SKIP_1) | instid1(VALU_DEP_4)
	v_dual_fmac_f32 v5, v42, v129 :: v_dual_fmac_f32 v8, v43, v132
	v_mul_f32_e32 v16, s3, v87
	v_dual_mul_f32 v18, s3, v89 :: v_dual_mul_f32 v17, s3, v90
	s_wait_dscnt 0x8
	s_delay_alu instid0(VALU_DEP_3) | instskip(SKIP_1) | instid1(VALU_DEP_1)
	v_dual_fmac_f32 v5, v46, v133 :: v_dual_fmac_f32 v6, v45, v134
	s_wait_dscnt 0x7
	v_dual_fmac_f32 v5, v50, v137 :: v_dual_fmac_f32 v2, v44, v131
	s_wait_dscnt 0x6
	s_delay_alu instid0(VALU_DEP_1) | instskip(SKIP_1) | instid1(VALU_DEP_1)
	v_dual_fmac_f32 v5, v54, v141 :: v_dual_fmac_f32 v8, v47, v136
	s_wait_dscnt 0x5
	v_dual_fmac_f32 v2, v48, v135 :: v_dual_fmac_f32 v5, v58, v145
	v_fmac_f32_e32 v6, v49, v138
	s_wait_dscnt 0x4
	s_delay_alu instid0(VALU_DEP_2) | instskip(SKIP_1) | instid1(VALU_DEP_1)
	v_dual_fmac_f32 v2, v52, v139 :: v_dual_fmac_f32 v5, v62, v149
	s_wait_dscnt 0x3
	v_dual_fmac_f32 v6, v53, v142 :: v_dual_fmac_f32 v5, v66, v4
	v_fmac_f32_e32 v8, v51, v140
	s_wait_dscnt 0x2
	s_delay_alu instid0(VALU_DEP_2) | instskip(NEXT) | instid1(VALU_DEP_2)
	v_dual_mul_f32 v4, s3, v93 :: v_dual_fmac_f32 v5, v70, v11
	v_fmac_f32_e32 v8, v55, v144
	s_wait_dscnt 0x1
	s_delay_alu instid0(VALU_DEP_2) | instskip(NEXT) | instid1(VALU_DEP_2)
	v_dual_fmac_f32 v6, v57, v146 :: v_dual_fmac_f32 v5, v74, v15
	v_fmac_f32_e32 v8, v59, v148
	s_delay_alu instid0(VALU_DEP_1) | instskip(SKIP_1) | instid1(VALU_DEP_1)
	v_dual_fmac_f32 v8, v63, v3 :: v_dual_mul_f32 v3, s3, v92
	s_wait_dscnt 0x0
	v_dual_fmac_f32 v8, v67, v10 :: v_dual_fmac_f32 v5, v78, v3
	v_dual_mul_f32 v3, s3, v94 :: v_dual_fmac_f32 v2, v56, v143
	s_delay_alu instid0(VALU_DEP_2) | instskip(NEXT) | instid1(VALU_DEP_2)
	v_fmac_f32_e32 v8, v71, v14
	v_fmac_f32_e32 v2, v60, v147
	s_delay_alu instid0(VALU_DEP_2) | instskip(NEXT) | instid1(VALU_DEP_2)
	v_fmac_f32_e32 v8, v75, v18
	v_dual_fmac_f32 v2, v64, v1 :: v_dual_mul_f32 v1, s3, v91
	s_delay_alu instid0(VALU_DEP_2) | instskip(SKIP_1) | instid1(VALU_DEP_3)
	v_fmac_f32_e32 v8, v79, v4
	v_fmac_f32_e32 v6, v61, v150
	;; [unrolled: 1-line block ×3, first 2 shown]
	s_delay_alu instid0(VALU_DEP_2) | instskip(NEXT) | instid1(VALU_DEP_2)
	v_fmac_f32_e32 v6, v65, v7
	v_fmac_f32_e32 v2, v72, v13
	s_delay_alu instid0(VALU_DEP_2) | instskip(NEXT) | instid1(VALU_DEP_2)
	v_fmac_f32_e32 v6, v69, v12
	v_fmac_f32_e32 v2, v76, v17
	;; [unrolled: 3-line block ×3, first 2 shown]
	s_delay_alu instid0(VALU_DEP_2) | instskip(SKIP_1) | instid1(VALU_DEP_2)
	v_fmac_f32_e32 v6, v77, v1
	v_cvt_f32_i32_e32 v1, v163
	v_add_f32_e32 v4, v6, v5
	s_delay_alu instid0(VALU_DEP_2) | instskip(NEXT) | instid1(VALU_DEP_2)
	v_mul_f32_e32 v1, s30, v1
	v_add_f32_e32 v3, v8, v4
	s_delay_alu instid0(VALU_DEP_1) | instskip(SKIP_1) | instid1(VALU_DEP_2)
	v_dual_cndmask_b32 v1, 0, v1 :: v_dual_add_f32 v2, v2, v3
	v_max_num_f32_e32 v3, v172, v172
	v_dual_fmac_f32 v1, s13, v2 :: v_dual_add_nc_u32 v2, v190, v108
	s_delay_alu instid0(VALU_DEP_1) | instskip(NEXT) | instid1(VALU_DEP_2)
	v_max_num_f32_e32 v3, v3, v1
	v_cmp_gt_i32_e64 s3, s34, v2
	s_wait_alu 0xf1ff
	s_delay_alu instid0(VALU_DEP_1) | instskip(NEXT) | instid1(VALU_DEP_3)
	v_cndmask_b32_e64 v1, 0, v1, s3
	v_cndmask_b32_e64 v172, v172, v3, s3
	ds_store_b32 v110, v1
	s_branch .LBB227_11
.LBB227_16:
	s_or_b32 exec_lo, exec_lo, s29
	v_lshlrev_b32_e32 v10, 2, v104
.LBB227_17:
	s_or_b32 exec_lo, exec_lo, s12
	v_mbcnt_lo_u32_b32 v1, -1, 0
	s_clause 0x2
	s_load_b128 s[12:15], s[0:1], 0x0
	s_load_b64 s[8:9], s[0:1], 0x10
	s_load_b64 s[30:31], s[0:1], 0x28
	v_max_num_f32_e32 v5, v172, v172
	v_xor_b32_e32 v2, 16, v1
	v_xor_b32_e32 v4, 8, v1
	s_delay_alu instid0(VALU_DEP_2) | instskip(SKIP_2) | instid1(VALU_DEP_3)
	v_cmp_gt_i32_e32 vcc_lo, 32, v2
	s_wait_alu 0xfffd
	v_cndmask_b32_e32 v2, v1, v2, vcc_lo
	v_cmp_gt_i32_e32 vcc_lo, 32, v4
	s_delay_alu instid0(VALU_DEP_2)
	v_lshlrev_b32_e32 v2, 2, v2
	s_wait_alu 0xfffd
	v_cndmask_b32_e32 v4, v1, v4, vcc_lo
	ds_bpermute_b32 v3, v2, v172
	s_wait_dscnt 0x0
	v_dual_max_num_f32 v6, v3, v3 :: v_dual_lshlrev_b32 v3, 2, v4
	s_delay_alu instid0(VALU_DEP_1)
	v_max_num_f32_e32 v4, v5, v6
	v_xor_b32_e32 v6, 4, v1
	ds_bpermute_b32 v5, v3, v4
	v_cmp_gt_i32_e32 vcc_lo, 32, v6
	s_wait_alu 0xfffd
	v_cndmask_b32_e32 v6, v1, v6, vcc_lo
	s_delay_alu instid0(VALU_DEP_1) | instskip(SKIP_1) | instid1(VALU_DEP_1)
	v_lshlrev_b32_e32 v13, 2, v6
	v_xor_b32_e32 v6, 2, v1
	v_cmp_gt_i32_e32 vcc_lo, 32, v6
	s_wait_dscnt 0x0
	v_max_num_f32_e32 v5, v5, v5
	s_wait_alu 0xfffd
	v_cndmask_b32_e32 v6, v1, v6, vcc_lo
	s_delay_alu instid0(VALU_DEP_1) | instskip(SKIP_1) | instid1(VALU_DEP_1)
	v_lshlrev_b32_e32 v12, 2, v6
	v_xor_b32_e32 v6, 1, v1
	v_cmp_gt_i32_e32 vcc_lo, 32, v6
	s_wait_alu 0xfffd
	v_cndmask_b32_e32 v6, v1, v6, vcc_lo
	v_max_num_f32_e32 v4, v4, v5
	v_cmp_eq_u32_e32 vcc_lo, 0, v190
	s_delay_alu instid0(VALU_DEP_3) | instskip(SKIP_3) | instid1(VALU_DEP_1)
	v_lshlrev_b32_e32 v11, 2, v6
	ds_bpermute_b32 v5, v13, v4
	s_wait_dscnt 0x0
	v_max_num_f32_e32 v5, v5, v5
	v_max_num_f32_e32 v4, v4, v5
	ds_bpermute_b32 v5, v12, v4
	s_wait_dscnt 0x0
	v_max_num_f32_e32 v5, v5, v5
	s_delay_alu instid0(VALU_DEP_1)
	v_max_num_f32_e32 v1, v4, v5
	v_lshlrev_b32_e32 v5, 2, v189
	ds_bpermute_b32 v4, v11, v1
	s_and_saveexec_b32 s0, vcc_lo
	s_cbranch_execz .LBB227_19
; %bb.18:
	s_wait_dscnt 0x0
	v_dual_max_num_f32 v4, v4, v4 :: v_dual_max_num_f32 v1, v1, v1
	s_delay_alu instid0(VALU_DEP_1)
	v_max_num_f32_e32 v1, v1, v4
	ds_store_b32 v5, v1 offset:320
.LBB227_19:
	s_or_b32 exec_lo, exec_lo, s0
	v_cmp_gt_u32_e64 s0, 4, v190
	v_mov_b32_e32 v1, 0xff7fffff
	s_wait_loadcnt_dscnt 0x0
	s_barrier_signal -1
	s_barrier_wait -1
	global_inv scope:SCOPE_SE
	s_and_saveexec_b32 s1, s0
; %bb.20:
	ds_load_b32 v1, v191 offset:320
; %bb.21:
	s_or_b32 exec_lo, exec_lo, s1
	s_wait_dscnt 0x0
	ds_bpermute_b32 v4, v12, v1
	v_max_num_f32_e32 v1, v1, v1
	s_sub_co_i32 s1, s35, s40
	v_mov_b32_e32 v6, 0
	s_lshl_b32 s1, s1, 5
	s_delay_alu instid0(SALU_CYCLE_1) | instskip(NEXT) | instid1(SALU_CYCLE_1)
	s_add_co_i32 s1, s1, s37
	s_min_i32 s1, s1, s34
	s_delay_alu instid0(SALU_CYCLE_1) | instskip(SKIP_4) | instid1(VALU_DEP_1)
	s_sub_co_i32 s4, s1, s37
	s_wait_alu 0xfffe
	v_cmp_gt_i32_e64 s1, s4, v0
	s_wait_dscnt 0x0
	v_max_num_f32_e32 v4, v4, v4
	v_max_num_f32_e32 v1, v1, v4
	ds_bpermute_b32 v4, v11, v1
	s_wait_dscnt 0x0
	v_max_num_f32_e32 v4, v4, v4
	s_delay_alu instid0(VALU_DEP_1)
	v_max_num_f32_e32 v1, v1, v4
	v_lshl_add_u32 v4, v0, 2, 0x160
	ds_bpermute_b32 v1, v6, v1
	s_and_saveexec_b32 s18, s1
	s_cbranch_execz .LBB227_25
; %bb.22:
	v_lshl_add_u32 v7, v0, 2, 0x160
	v_mov_b32_e32 v6, 0
	v_mov_b32_e32 v8, v0
	s_mov_b32 s29, 0
.LBB227_23:                             ; =>This Inner Loop Header: Depth=1
	ds_load_b32 v9, v7
	v_add_nc_u32_e32 v8, 0x80, v8
	s_delay_alu instid0(VALU_DEP_1) | instskip(SKIP_4) | instid1(VALU_DEP_1)
	v_cmp_le_i32_e64 s3, s4, v8
	s_wait_alu 0xfffe
	s_or_b32 s29, s3, s29
	s_wait_dscnt 0x0
	v_sub_f32_e32 v9, v9, v1
	v_mul_f32_e32 v9, 0x3fb8aa3b, v9
	s_delay_alu instid0(VALU_DEP_1)
	v_exp_f32_e32 v9, v9
	ds_store_b32 v7, v9
	v_dual_add_f32 v6, v6, v9 :: v_dual_add_nc_u32 v7, 0x200, v7
	s_wait_alu 0xfffe
	s_and_not1_b32 exec_lo, exec_lo, s29
	s_cbranch_execnz .LBB227_23
; %bb.24:
	s_or_b32 exec_lo, exec_lo, s29
.LBB227_25:
	s_wait_alu 0xfffe
	s_or_b32 exec_lo, exec_lo, s18
	ds_bpermute_b32 v2, v2, v6
	s_wait_dscnt 0x0
	v_add_f32_e32 v2, v6, v2
	ds_bpermute_b32 v3, v3, v2
	s_wait_dscnt 0x0
	v_add_f32_e32 v2, v2, v3
	ds_bpermute_b32 v3, v13, v2
	s_wait_dscnt 0x0
	v_add_f32_e32 v2, v2, v3
	ds_bpermute_b32 v3, v12, v2
	s_wait_dscnt 0x0
	v_add_f32_e32 v2, v2, v3
	ds_bpermute_b32 v3, v11, v2
	s_wait_dscnt 0x0
	v_add_f32_e32 v2, v2, v3
	s_and_saveexec_b32 s3, vcc_lo
; %bb.26:
	ds_store_b32 v5, v2 offset:336
; %bb.27:
	s_wait_alu 0xfffe
	s_or_b32 exec_lo, exec_lo, s3
	s_wait_loadcnt_dscnt 0x0
	s_barrier_signal -1
	s_barrier_wait -1
	global_inv scope:SCOPE_SE
	s_and_saveexec_b32 s3, s0
; %bb.28:
	ds_load_b32 v2, v191 offset:336
; %bb.29:
	s_wait_alu 0xfffe
	s_or_b32 exec_lo, exec_lo, s3
	s_wait_dscnt 0x0
	ds_bpermute_b32 v3, v12, v2
	s_wait_dscnt 0x0
	v_add_f32_e32 v2, v2, v3
	ds_bpermute_b32 v3, v11, v2
	s_wait_dscnt 0x0
	v_dual_add_f32 v2, v2, v3 :: v_dual_mov_b32 v3, 0
	ds_bpermute_b32 v2, v3, v2
	s_and_saveexec_b32 s0, s1
	s_cbranch_execz .LBB227_32
; %bb.30:
	s_wait_dscnt 0x0
	v_add_f32_e32 v3, 0x358637bd, v2
	s_mov_b32 s1, 0
	s_delay_alu instid0(VALU_DEP_1) | instskip(SKIP_1) | instid1(VALU_DEP_2)
	v_div_scale_f32 v5, null, v3, v3, 1.0
	v_div_scale_f32 v8, vcc_lo, 1.0, v3, 1.0
	v_rcp_f32_e32 v6, v5
	s_delay_alu instid0(TRANS32_DEP_1) | instskip(NEXT) | instid1(VALU_DEP_1)
	v_fma_f32 v7, -v5, v6, 1.0
	v_fmac_f32_e32 v6, v7, v6
	s_delay_alu instid0(VALU_DEP_1) | instskip(NEXT) | instid1(VALU_DEP_1)
	v_mul_f32_e32 v7, v8, v6
	v_fma_f32 v9, -v5, v7, v8
	s_delay_alu instid0(VALU_DEP_1) | instskip(NEXT) | instid1(VALU_DEP_1)
	v_fmac_f32_e32 v7, v9, v6
	v_fma_f32 v5, -v5, v7, v8
	s_wait_alu 0xfffd
	s_delay_alu instid0(VALU_DEP_1) | instskip(NEXT) | instid1(VALU_DEP_1)
	v_div_fmas_f32 v5, v5, v6, v7
	v_div_fixup_f32 v3, v5, v3, 1.0
	v_mov_b32_e32 v5, v0
.LBB227_31:                             ; =>This Inner Loop Header: Depth=1
	ds_load_b32 v6, v4
	s_wait_dscnt 0x0
	v_dual_mul_f32 v6, v3, v6 :: v_dual_add_nc_u32 v5, 0x80, v5
	s_delay_alu instid0(VALU_DEP_1) | instskip(SKIP_3) | instid1(SALU_CYCLE_1)
	v_cmp_le_i32_e32 vcc_lo, s4, v5
	ds_store_b32 v4, v6
	v_add_nc_u32_e32 v4, 0x200, v4
	s_or_b32 s1, vcc_lo, s1
	s_and_not1_b32 exec_lo, exec_lo, s1
	s_cbranch_execnz .LBB227_31
.LBB227_32:
	s_or_b32 exec_lo, exec_lo, s0
	s_mul_i32 s0, s7, s19
	s_wait_loadcnt_dscnt 0x0
	s_mul_i32 s18, s0, s36
	s_mov_b32 s0, exec_lo
	s_barrier_signal -1
	s_barrier_wait -1
	global_inv scope:SCOPE_SE
	v_cmpx_eq_u32_e32 0, v0
	s_cbranch_execz .LBB227_34
; %bb.33:
	s_wait_alu 0xfffe
	s_ashr_i32 s19, s18, 31
	s_mul_i32 s36, s7, ttmp9
	s_lshl_b32 s1, s33, 2
	s_wait_alu 0xfffe
	s_lshl_b64 s[40:41], s[18:19], 2
	s_ashr_i32 s37, s36, 31
	v_mov_b32_e32 v3, s1
	s_wait_kmcnt 0x0
	s_wait_alu 0xfffe
	s_add_nc_u64 s[14:15], s[14:15], s[40:41]
	s_lshl_b64 s[36:37], s[36:37], 2
	s_add_nc_u64 s[12:13], s[12:13], s[40:41]
	s_wait_alu 0xfffe
	s_add_nc_u64 s[14:15], s[14:15], s[36:37]
	s_add_nc_u64 s[12:13], s[12:13], s[36:37]
	s_clause 0x1
	global_store_b32 v3, v1, s[14:15]
	global_store_b32 v3, v2, s[12:13]
.LBB227_34:
	s_or_b32 exec_lo, exec_lo, s0
	v_dual_mov_b32 v33, 0 :: v_dual_and_b32 v14, 7, v0
	v_dual_mov_b32 v34, 0 :: v_dual_mov_b32 v31, 0
	v_dual_mov_b32 v32, 0 :: v_dual_mov_b32 v29, 0
	;; [unrolled: 1-line block ×9, first 2 shown]
	v_mov_b32_e32 v16, 0
	s_and_saveexec_b32 s1, s2
	s_cbranch_execz .LBB227_80
; %bb.35:
	s_abs_i32 s2, s6
	s_sub_co_i32 s3, s39, s5
	s_wait_alu 0xfffe
	s_cvt_f32_u32 s0, s2
	v_dual_mov_b32 v16, 0 :: v_dual_lshlrev_b32 v1, 2, v0
	s_wait_kmcnt 0x0
	s_lshl_b64 s[12:13], s[26:27], 2
	s_wait_alu 0xfffe
	v_rcp_iflag_f32_e32 v2, s0
	v_dual_mov_b32 v18, 0 :: v_dual_lshlrev_b32 v3, 4, v14
	s_add_nc_u64 s[12:13], s[24:25], s[12:13]
	v_mov_b32_e32 v15, 0
	s_wait_alu 0xfffe
	v_add_co_u32 v5, s6, s12, v10
	s_ashr_i32 s29, s28, 31
	v_add_co_ci_u32_e64 v6, null, s13, 0, s6
	s_delay_alu instid0(TRANS32_DEP_1)
	v_readfirstlane_b32 s5, v2
	v_and_b32_e32 v2, 0x7c, v1
	v_dual_mov_b32 v20, 0 :: v_dual_and_b32 v35, 28, v1
	v_lshl_or_b32 v1, v189, 7, v3
	s_mul_f32 s5, s5, 0x4f7ffffe
	s_wait_alu 0xfffe
	s_add_nc_u64 s[14:15], s[30:31], s[28:29]
	s_sub_co_i32 s0, 0, s2
	v_dual_mov_b32 v17, 0 :: v_dual_add_nc_u32 v36, 0x160, v1
	s_cvt_u32_f32 s6, s5
	s_wait_alu 0xfffe
	v_add_co_u32 v7, s5, s14, v2
	s_wait_alu 0xf1ff
	v_add_co_ci_u32_e64 v8, null, s15, 0, s5
	s_mul_i32 s0, s0, s6
	v_dual_mov_b32 v19, 0 :: v_dual_mov_b32 v22, 0
	v_dual_mov_b32 v21, 0 :: v_dual_mov_b32 v24, 0
	;; [unrolled: 1-line block ×7, first 2 shown]
	v_mov_b32_e32 v33, 0
	s_wait_alu 0xfffe
	s_mul_hi_u32 s0, s6, s0
	s_mov_b32 s4, s17
	s_add_co_i32 s38, s38, -1
	s_mov_b32 s5, 0
	s_wait_alu 0xfffe
	s_add_co_i32 s6, s6, s0
	s_branch .LBB227_38
.LBB227_36:                             ;   in Loop: Header=BB227_38 Depth=1
	s_wait_alu 0xfffe
	s_or_b32 exec_lo, exec_lo, s0
	s_wait_dscnt 0x0
	v_mul_f32_e32 v57, v1, v114
	v_mul_f32_e32 v54, v1, v122
	;; [unrolled: 1-line block ×4, first 2 shown]
	s_delay_alu instid0(VALU_DEP_4) | instskip(SKIP_1) | instid1(VALU_DEP_4)
	v_dual_mul_f32 v80, v1, v80 :: v_dual_fmac_f32 v57, v2, v113
	v_mul_f32_e32 v56, v1, v118
	v_fmac_f32_e32 v52, v2, v51
	v_fmac_f32_e32 v54, v2, v121
	s_delay_alu instid0(VALU_DEP_4) | instskip(SKIP_3) | instid1(VALU_DEP_4)
	v_dual_fmac_f32 v40, v2, v39 :: v_dual_fmac_f32 v57, v3, v112
	v_mul_f32_e32 v58, v1, v110
	v_fmac_f32_e32 v56, v2, v117
	v_fmac_f32_e32 v52, v3, v50
	v_dual_fmac_f32 v40, v3, v38 :: v_dual_fmac_f32 v57, v4, v111
	v_fmac_f32_e32 v80, v2, v79
	v_mul_f32_e32 v60, v1, v60
	s_delay_alu instid0(VALU_DEP_4) | instskip(NEXT) | instid1(VALU_DEP_4)
	v_fmac_f32_e32 v52, v4, v49
	v_fmac_f32_e32 v40, v4, v37
	v_dual_add_f32 v18, v18, v57 :: v_dual_mul_f32 v57, v1, v88
	v_fmac_f32_e32 v56, v3, v116
	v_fmac_f32_e32 v54, v3, v120
	;; [unrolled: 1-line block ×3, first 2 shown]
	s_delay_alu instid0(VALU_DEP_4) | instskip(NEXT) | instid1(VALU_DEP_4)
	v_dual_mul_f32 v48, v1, v48 :: v_dual_fmac_f32 v57, v2, v87
	v_fmac_f32_e32 v56, v4, v115
	v_fmac_f32_e32 v58, v2, v109
	;; [unrolled: 1-line block ×4, first 2 shown]
	v_mul_f32_e32 v44, v1, v44
	v_add_f32_e32 v17, v17, v56
	v_mul_f32_e32 v56, v1, v92
	v_dual_fmac_f32 v60, v2, v59 :: v_dual_add_f32 v31, v31, v52
	v_fmac_f32_e32 v48, v2, v47
	v_fmac_f32_e32 v44, v2, v43
	s_delay_alu instid0(VALU_DEP_4) | instskip(NEXT) | instid1(VALU_DEP_4)
	v_fmac_f32_e32 v56, v2, v91
	v_fmac_f32_e32 v60, v3, v55
	;; [unrolled: 1-line block ×8, first 2 shown]
	v_add_f32_e32 v33, v33, v40
	s_delay_alu instid0(VALU_DEP_4) | instskip(SKIP_3) | instid1(VALU_DEP_4)
	v_dual_add_f32 v25, v25, v80 :: v_dual_fmac_f32 v56, v4, v89
	v_fmac_f32_e32 v48, v4, v45
	v_fmac_f32_e32 v44, v4, v41
	v_dual_add_f32 v30, v30, v60 :: v_dual_add_f32 v23, v23, v57
	v_add_f32_e32 v22, v22, v56
	v_mul_f32_e32 v56, v1, v72
	v_mul_f32_e32 v57, v1, v68
	v_add_f32_e32 v32, v32, v48
	v_add_f32_e32 v34, v34, v44
	s_delay_alu instid0(VALU_DEP_4) | instskip(NEXT) | instid1(VALU_DEP_1)
	v_fmac_f32_e32 v56, v2, v71
	v_dual_fmac_f32 v57, v2, v67 :: v_dual_fmac_f32 v56, v3, v70
	s_delay_alu instid0(VALU_DEP_1) | instskip(SKIP_1) | instid1(VALU_DEP_2)
	v_dual_fmac_f32 v57, v3, v66 :: v_dual_fmac_f32 v56, v4, v69
	v_add_f32_e32 v16, v16, v54
	v_dual_mul_f32 v54, v1, v96 :: v_dual_fmac_f32 v57, v4, v65
	s_delay_alu instid0(VALU_DEP_1) | instskip(NEXT) | instid1(VALU_DEP_2)
	v_dual_add_f32 v27, v27, v56 :: v_dual_fmac_f32 v54, v2, v95
	v_add_f32_e32 v28, v28, v57
	s_delay_alu instid0(VALU_DEP_2) | instskip(NEXT) | instid1(VALU_DEP_1)
	v_fmac_f32_e32 v54, v3, v94
	v_fmac_f32_e32 v54, v4, v93
	s_delay_alu instid0(VALU_DEP_1) | instskip(NEXT) | instid1(VALU_DEP_1)
	v_dual_fmac_f32 v58, v3, v107 :: v_dual_add_f32 v21, v21, v54
	v_fmac_f32_e32 v58, v4, v105
	v_mul_f32_e32 v100, v1, v100
	s_delay_alu instid0(VALU_DEP_2) | instskip(SKIP_1) | instid1(VALU_DEP_3)
	v_dual_mul_f32 v54, v1, v76 :: v_dual_add_f32 v19, v19, v58
	v_mul_f32_e32 v58, v1, v84
	v_fmac_f32_e32 v100, v2, v99
	s_delay_alu instid0(VALU_DEP_3) | instskip(NEXT) | instid1(VALU_DEP_3)
	v_fmac_f32_e32 v54, v2, v75
	v_fmac_f32_e32 v58, v2, v83
	s_delay_alu instid0(VALU_DEP_3) | instskip(NEXT) | instid1(VALU_DEP_3)
	v_fmac_f32_e32 v100, v3, v98
	;; [unrolled: 3-line block ×4, first 2 shown]
	v_fmac_f32_e32 v58, v4, v81
	s_delay_alu instid0(VALU_DEP_2) | instskip(NEXT) | instid1(VALU_DEP_2)
	v_add_f32_e32 v26, v26, v54
	v_add_f32_e32 v24, v24, v58
	v_mul_f32_e32 v58, v1, v64
	v_mul_f32_e32 v1, v1, v108
	v_add_f32_e32 v20, v20, v100
	s_delay_alu instid0(VALU_DEP_3) | instskip(NEXT) | instid1(VALU_DEP_3)
	v_fmac_f32_e32 v58, v2, v63
	v_fmac_f32_e32 v1, v2, v106
	s_delay_alu instid0(VALU_DEP_2) | instskip(NEXT) | instid1(VALU_DEP_1)
	v_fmac_f32_e32 v58, v3, v62
	v_dual_fmac_f32 v1, v3, v10 :: v_dual_fmac_f32 v58, v4, v61
	s_delay_alu instid0(VALU_DEP_1) | instskip(NEXT) | instid1(VALU_DEP_2)
	v_fmac_f32_e32 v1, v4, v9
	v_add_f32_e32 v29, v29, v58
	s_delay_alu instid0(VALU_DEP_2)
	v_add_f32_e32 v15, v15, v1
.LBB227_37:                             ;   in Loop: Header=BB227_38 Depth=1
	s_wait_alu 0xfffe
	s_or_b32 exec_lo, exec_lo, s12
	v_add_nc_u32_e32 v104, 4, v104
	v_add_co_u32 v5, s0, v5, 16
	s_wait_alu 0xf1ff
	v_add_co_ci_u32_e64 v6, null, 0, v6, s0
	s_delay_alu instid0(VALU_DEP_3)
	v_cmp_le_i32_e32 vcc_lo, s35, v104
	v_add_nc_u32_e32 v103, 0x80, v103
	v_add_nc_u32_e32 v36, 0x200, v36
	s_or_b32 s5, vcc_lo, s5
	s_wait_alu 0xfffe
	s_and_not1_b32 exec_lo, exec_lo, s5
	s_cbranch_execz .LBB227_79
.LBB227_38:                             ; =>This Inner Loop Header: Depth=1
	v_sub_nc_u32_e32 v1, 0, v103
	s_delay_alu instid0(VALU_DEP_1) | instskip(NEXT) | instid1(VALU_DEP_1)
	v_max_i32_e32 v1, v103, v1
	v_mul_hi_u32 v2, v1, s22
	s_delay_alu instid0(VALU_DEP_1) | instskip(NEXT) | instid1(VALU_DEP_1)
	v_mul_lo_u32 v3, v2, s16
	v_sub_nc_u32_e32 v1, v1, v3
	v_add_nc_u32_e32 v3, 1, v2
	s_delay_alu instid0(VALU_DEP_2) | instskip(SKIP_2) | instid1(VALU_DEP_2)
	v_subrev_nc_u32_e32 v4, s16, v1
	v_cmp_le_u32_e32 vcc_lo, s16, v1
	s_wait_alu 0xfffd
	v_dual_cndmask_b32 v2, v2, v3 :: v_dual_cndmask_b32 v1, v1, v4
	v_ashrrev_i32_e32 v3, 31, v103
	s_delay_alu instid0(VALU_DEP_2) | instskip(NEXT) | instid1(VALU_DEP_3)
	v_add_nc_u32_e32 v4, 1, v2
	v_cmp_le_u32_e32 vcc_lo, s16, v1
	s_delay_alu instid0(VALU_DEP_3) | instskip(SKIP_1) | instid1(VALU_DEP_3)
	v_xor_b32_e32 v3, s23, v3
	s_wait_alu 0xfffd
	v_cndmask_b32_e32 v1, v2, v4, vcc_lo
	s_delay_alu instid0(VALU_DEP_1) | instskip(NEXT) | instid1(VALU_DEP_1)
	v_xor_b32_e32 v1, v1, v3
	v_sub_nc_u32_e32 v1, v1, v3
	s_delay_alu instid0(VALU_DEP_1) | instskip(SKIP_1) | instid1(VALU_DEP_2)
	v_add_nc_u32_e32 v2, s21, v1
	v_cmp_lt_i32_e64 s0, s3, v1
	v_sub_nc_u32_e32 v3, 0, v2
	s_delay_alu instid0(VALU_DEP_1) | instskip(SKIP_1) | instid1(VALU_DEP_1)
	v_max_i32_e32 v3, v2, v3
	s_wait_alu 0xfffe
	v_mul_hi_u32 v4, v3, s6
	s_delay_alu instid0(VALU_DEP_1) | instskip(NEXT) | instid1(VALU_DEP_1)
	v_mul_lo_u32 v4, v4, s2
	v_sub_nc_u32_e32 v3, v3, v4
	s_delay_alu instid0(VALU_DEP_1) | instskip(SKIP_2) | instid1(VALU_DEP_2)
	v_subrev_nc_u32_e32 v4, s2, v3
	v_cmp_le_u32_e32 vcc_lo, s2, v3
	s_wait_alu 0xfffd
	v_cndmask_b32_e32 v3, v3, v4, vcc_lo
	v_ashrrev_i32_e32 v2, 31, v2
	s_delay_alu instid0(VALU_DEP_2) | instskip(SKIP_2) | instid1(VALU_DEP_2)
	v_subrev_nc_u32_e32 v4, s2, v3
	v_cmp_le_u32_e32 vcc_lo, s2, v3
	s_wait_alu 0xfffd
	v_cndmask_b32_e32 v3, v3, v4, vcc_lo
	s_delay_alu instid0(VALU_DEP_1) | instskip(NEXT) | instid1(VALU_DEP_1)
	v_xor_b32_e32 v3, v3, v2
	v_sub_nc_u32_e32 v2, v3, v2
	s_delay_alu instid0(VALU_DEP_1)
	v_cmp_eq_u32_e32 vcc_lo, 0, v2
	s_or_b32 s0, vcc_lo, s0
	s_wait_alu 0xfffe
	s_and_saveexec_b32 s12, s0
	s_cbranch_execz .LBB227_37
; %bb.39:                               ;   in Loop: Header=BB227_38 Depth=1
	global_load_b32 v1, v[5:6], off
	s_load_b32 s13, s[10:11], 0x0
	v_cmp_eq_u32_e32 vcc_lo, s38, v104
	s_wait_loadcnt 0x0
	v_mad_co_i64_i32 v[9:10], null, v1, s4, v[7:8]
	ds_load_b128 v[1:4], v36
	global_load_b32 v37, v[9:10], off
	s_wait_loadcnt 0x0
	v_lshrrev_b32_e32 v39, 16, v37
	s_delay_alu instid0(VALU_DEP_1) | instskip(SKIP_1) | instid1(VALU_DEP_1)
	v_cvt_pk_f32_fp8_e32 v[41:42], v39
	v_and_b32_e32 v38, 0xffff, v37
	v_cvt_pk_f32_fp8_e32 v[37:38], v38
	s_wait_kmcnt 0x0
	s_delay_alu instid0(VALU_DEP_1) | instskip(NEXT) | instid1(VALU_DEP_1)
	v_dual_mul_f32 v39, s13, v38 :: v_dual_add_nc_u32 v54, v35, v103
	v_dual_mul_f32 v40, s13, v37 :: v_dual_add_nc_u32 v57, 1, v54
	v_add_nc_u32_e32 v56, 2, v54
	v_dual_mul_f32 v38, s13, v41 :: v_dual_mul_f32 v37, s13, v42
	v_add_nc_u32_e32 v58, 3, v54
	s_and_saveexec_b32 s14, vcc_lo
	s_cbranch_execz .LBB227_41
; %bb.40:                               ;   in Loop: Header=BB227_38 Depth=1
	v_cmp_gt_i32_e64 s0, s34, v54
	s_wait_alu 0xf1ff
	s_delay_alu instid0(VALU_DEP_1) | instskip(SKIP_2) | instid1(VALU_DEP_1)
	v_cndmask_b32_e64 v40, 0, v40, s0
	v_cmp_gt_i32_e64 s0, s34, v57
	s_wait_alu 0xf1ff
	v_cndmask_b32_e64 v39, 0, v39, s0
	v_cmp_gt_i32_e64 s0, s34, v56
	s_wait_alu 0xf1ff
	s_delay_alu instid0(VALU_DEP_1) | instskip(SKIP_2) | instid1(VALU_DEP_1)
	v_cndmask_b32_e64 v38, 0, v38, s0
	v_cmp_gt_i32_e64 s0, s34, v58
	s_wait_alu 0xf1ff
	v_cndmask_b32_e64 v37, 0, v37, s0
.LBB227_41:                             ;   in Loop: Header=BB227_38 Depth=1
	s_wait_alu 0xfffe
	s_or_b32 exec_lo, exec_lo, s14
	global_load_b32 v41, v[9:10], off offset:128
	s_mov_b32 s14, s13
	s_wait_loadcnt 0x0
	v_lshrrev_b32_e32 v43, 16, v41
	s_delay_alu instid0(VALU_DEP_1) | instskip(SKIP_1) | instid1(VALU_DEP_1)
	v_cvt_pk_f32_fp8_e32 v[45:46], v43
	v_and_b32_e32 v42, 0xffff, v41
	v_cvt_pk_f32_fp8_e32 v[41:42], v42
	s_wait_alu 0xfffe
	s_delay_alu instid0(VALU_DEP_1)
	v_dual_mul_f32 v44, s13, v41 :: v_dual_mul_f32 v43, s14, v42
	v_dual_mul_f32 v42, s13, v45 :: v_dual_mul_f32 v41, s14, v46
	s_and_saveexec_b32 s15, vcc_lo
	s_cbranch_execz .LBB227_43
; %bb.42:                               ;   in Loop: Header=BB227_38 Depth=1
	v_cmp_gt_i32_e64 s0, s34, v54
	s_wait_alu 0xf1ff
	s_delay_alu instid0(VALU_DEP_1) | instskip(SKIP_2) | instid1(VALU_DEP_1)
	v_cndmask_b32_e64 v44, 0, v44, s0
	v_cmp_gt_i32_e64 s0, s34, v57
	s_wait_alu 0xf1ff
	v_cndmask_b32_e64 v43, 0, v43, s0
	v_cmp_gt_i32_e64 s0, s34, v56
	s_wait_alu 0xf1ff
	s_delay_alu instid0(VALU_DEP_1) | instskip(SKIP_2) | instid1(VALU_DEP_1)
	v_cndmask_b32_e64 v42, 0, v42, s0
	v_cmp_gt_i32_e64 s0, s34, v58
	s_wait_alu 0xf1ff
	v_cndmask_b32_e64 v41, 0, v41, s0
.LBB227_43:                             ;   in Loop: Header=BB227_38 Depth=1
	s_wait_alu 0xfffe
	s_or_b32 exec_lo, exec_lo, s15
	global_load_b32 v45, v[9:10], off offset:256
	s_wait_loadcnt 0x0
	v_lshrrev_b32_e32 v47, 16, v45
	s_delay_alu instid0(VALU_DEP_1) | instskip(SKIP_1) | instid1(VALU_DEP_1)
	v_cvt_pk_f32_fp8_e32 v[49:50], v47
	v_and_b32_e32 v46, 0xffff, v45
	v_cvt_pk_f32_fp8_e32 v[45:46], v46
	s_delay_alu instid0(VALU_DEP_1) | instskip(NEXT) | instid1(VALU_DEP_4)
	v_dual_mul_f32 v48, s13, v45 :: v_dual_mul_f32 v47, s14, v46
	v_dual_mul_f32 v46, s13, v49 :: v_dual_mul_f32 v45, s14, v50
	s_and_saveexec_b32 s15, vcc_lo
	s_cbranch_execz .LBB227_45
; %bb.44:                               ;   in Loop: Header=BB227_38 Depth=1
	v_cmp_gt_i32_e64 s0, s34, v54
	s_wait_alu 0xf1ff
	s_delay_alu instid0(VALU_DEP_1) | instskip(SKIP_2) | instid1(VALU_DEP_1)
	v_cndmask_b32_e64 v48, 0, v48, s0
	v_cmp_gt_i32_e64 s0, s34, v57
	s_wait_alu 0xf1ff
	v_cndmask_b32_e64 v47, 0, v47, s0
	v_cmp_gt_i32_e64 s0, s34, v56
	s_wait_alu 0xf1ff
	s_delay_alu instid0(VALU_DEP_1) | instskip(SKIP_2) | instid1(VALU_DEP_1)
	v_cndmask_b32_e64 v46, 0, v46, s0
	v_cmp_gt_i32_e64 s0, s34, v58
	s_wait_alu 0xf1ff
	v_cndmask_b32_e64 v45, 0, v45, s0
.LBB227_45:                             ;   in Loop: Header=BB227_38 Depth=1
	s_wait_alu 0xfffe
	s_or_b32 exec_lo, exec_lo, s15
	global_load_b32 v49, v[9:10], off offset:384
	s_wait_loadcnt 0x0
	v_lshrrev_b32_e32 v51, 16, v49
	s_delay_alu instid0(VALU_DEP_1) | instskip(SKIP_1) | instid1(VALU_DEP_1)
	v_cvt_pk_f32_fp8_e32 v[59:60], v51
	v_and_b32_e32 v50, 0xffff, v49
	v_cvt_pk_f32_fp8_e32 v[49:50], v50
	s_delay_alu instid0(VALU_DEP_1) | instskip(NEXT) | instid1(VALU_DEP_4)
	v_dual_mul_f32 v52, s13, v49 :: v_dual_mul_f32 v51, s14, v50
	v_dual_mul_f32 v50, s13, v59 :: v_dual_mul_f32 v49, s14, v60
	s_and_saveexec_b32 s15, vcc_lo
	s_cbranch_execz .LBB227_47
; %bb.46:                               ;   in Loop: Header=BB227_38 Depth=1
	v_cmp_gt_i32_e64 s0, s34, v54
	s_wait_alu 0xf1ff
	s_delay_alu instid0(VALU_DEP_1) | instskip(SKIP_2) | instid1(VALU_DEP_1)
	v_cndmask_b32_e64 v52, 0, v52, s0
	v_cmp_gt_i32_e64 s0, s34, v57
	s_wait_alu 0xf1ff
	v_cndmask_b32_e64 v51, 0, v51, s0
	v_cmp_gt_i32_e64 s0, s34, v56
	s_wait_alu 0xf1ff
	s_delay_alu instid0(VALU_DEP_1) | instskip(SKIP_2) | instid1(VALU_DEP_1)
	v_cndmask_b32_e64 v50, 0, v50, s0
	v_cmp_gt_i32_e64 s0, s34, v58
	s_wait_alu 0xf1ff
	v_cndmask_b32_e64 v49, 0, v49, s0
.LBB227_47:                             ;   in Loop: Header=BB227_38 Depth=1
	s_wait_alu 0xfffe
	s_or_b32 exec_lo, exec_lo, s15
	global_load_b32 v53, v[9:10], off offset:512
	s_wait_loadcnt 0x0
	v_and_b32_e32 v55, 0xffff, v53
	v_lshrrev_b32_e32 v53, 16, v53
	s_delay_alu instid0(VALU_DEP_2) | instskip(NEXT) | instid1(VALU_DEP_2)
	v_cvt_pk_f32_fp8_e32 v[60:61], v55
	v_cvt_pk_f32_fp8_e32 v[62:63], v53
	s_delay_alu instid0(VALU_DEP_2) | instskip(NEXT) | instid1(VALU_DEP_2)
	v_dual_mul_f32 v60, s13, v60 :: v_dual_mul_f32 v59, s14, v61
	v_mul_f32_e32 v55, s13, v62
	s_delay_alu instid0(VALU_DEP_3)
	v_mul_f32_e32 v53, s14, v63
	s_and_saveexec_b32 s15, vcc_lo
	s_cbranch_execz .LBB227_49
; %bb.48:                               ;   in Loop: Header=BB227_38 Depth=1
	v_cmp_gt_i32_e64 s0, s34, v54
	s_wait_alu 0xf1ff
	s_delay_alu instid0(VALU_DEP_1) | instskip(SKIP_2) | instid1(VALU_DEP_1)
	v_cndmask_b32_e64 v60, 0, v60, s0
	v_cmp_gt_i32_e64 s0, s34, v57
	s_wait_alu 0xf1ff
	v_cndmask_b32_e64 v59, 0, v59, s0
	v_cmp_gt_i32_e64 s0, s34, v56
	s_wait_alu 0xf1ff
	s_delay_alu instid0(VALU_DEP_1) | instskip(SKIP_2) | instid1(VALU_DEP_1)
	v_cndmask_b32_e64 v55, 0, v55, s0
	v_cmp_gt_i32_e64 s0, s34, v58
	s_wait_alu 0xf1ff
	v_cndmask_b32_e64 v53, 0, v53, s0
.LBB227_49:                             ;   in Loop: Header=BB227_38 Depth=1
	s_wait_alu 0xfffe
	s_or_b32 exec_lo, exec_lo, s15
	global_load_b32 v61, v[9:10], off offset:640
	s_wait_loadcnt 0x0
	v_lshrrev_b32_e32 v63, 16, v61
	s_delay_alu instid0(VALU_DEP_1) | instskip(SKIP_1) | instid1(VALU_DEP_1)
	v_cvt_pk_f32_fp8_e32 v[65:66], v63
	v_and_b32_e32 v62, 0xffff, v61
	v_cvt_pk_f32_fp8_e32 v[61:62], v62
	s_delay_alu instid0(VALU_DEP_1) | instskip(NEXT) | instid1(VALU_DEP_4)
	v_dual_mul_f32 v64, s13, v61 :: v_dual_mul_f32 v63, s14, v62
	v_dual_mul_f32 v62, s13, v65 :: v_dual_mul_f32 v61, s14, v66
	s_and_saveexec_b32 s15, vcc_lo
	s_cbranch_execz .LBB227_51
; %bb.50:                               ;   in Loop: Header=BB227_38 Depth=1
	v_cmp_gt_i32_e64 s0, s34, v54
	s_wait_alu 0xf1ff
	s_delay_alu instid0(VALU_DEP_1) | instskip(SKIP_2) | instid1(VALU_DEP_1)
	v_cndmask_b32_e64 v64, 0, v64, s0
	v_cmp_gt_i32_e64 s0, s34, v57
	s_wait_alu 0xf1ff
	v_cndmask_b32_e64 v63, 0, v63, s0
	v_cmp_gt_i32_e64 s0, s34, v56
	s_wait_alu 0xf1ff
	s_delay_alu instid0(VALU_DEP_1) | instskip(SKIP_2) | instid1(VALU_DEP_1)
	v_cndmask_b32_e64 v62, 0, v62, s0
	v_cmp_gt_i32_e64 s0, s34, v58
	s_wait_alu 0xf1ff
	v_cndmask_b32_e64 v61, 0, v61, s0
.LBB227_51:                             ;   in Loop: Header=BB227_38 Depth=1
	s_wait_alu 0xfffe
	s_or_b32 exec_lo, exec_lo, s15
	global_load_b32 v65, v[9:10], off offset:768
	s_wait_loadcnt 0x0
	v_lshrrev_b32_e32 v67, 16, v65
	s_delay_alu instid0(VALU_DEP_1) | instskip(SKIP_1) | instid1(VALU_DEP_1)
	v_cvt_pk_f32_fp8_e32 v[69:70], v67
	v_and_b32_e32 v66, 0xffff, v65
	v_cvt_pk_f32_fp8_e32 v[65:66], v66
	s_delay_alu instid0(VALU_DEP_1) | instskip(NEXT) | instid1(VALU_DEP_4)
	v_dual_mul_f32 v68, s13, v65 :: v_dual_mul_f32 v67, s14, v66
	v_dual_mul_f32 v66, s13, v69 :: v_dual_mul_f32 v65, s14, v70
	;; [unrolled: 30-line block ×10, first 2 shown]
	s_and_saveexec_b32 s15, vcc_lo
	s_cbranch_execz .LBB227_69
; %bb.68:                               ;   in Loop: Header=BB227_38 Depth=1
	v_cmp_gt_i32_e64 s0, s34, v54
	s_wait_alu 0xf1ff
	s_delay_alu instid0(VALU_DEP_1) | instskip(SKIP_2) | instid1(VALU_DEP_1)
	v_cndmask_b32_e64 v100, 0, v100, s0
	v_cmp_gt_i32_e64 s0, s34, v57
	s_wait_alu 0xf1ff
	v_cndmask_b32_e64 v99, 0, v99, s0
	v_cmp_gt_i32_e64 s0, s34, v56
	s_wait_alu 0xf1ff
	s_delay_alu instid0(VALU_DEP_1) | instskip(SKIP_2) | instid1(VALU_DEP_1)
	v_cndmask_b32_e64 v98, 0, v98, s0
	v_cmp_gt_i32_e64 s0, s34, v58
	s_wait_alu 0xf1ff
	v_cndmask_b32_e64 v97, 0, v97, s0
.LBB227_69:                             ;   in Loop: Header=BB227_38 Depth=1
	s_wait_alu 0xfffe
	s_or_b32 exec_lo, exec_lo, s15
	global_load_b32 v101, v[9:10], off offset:1920
	s_wait_loadcnt 0x0
	v_and_b32_e32 v102, 0xffff, v101
	v_lshrrev_b32_e32 v101, 16, v101
	s_delay_alu instid0(VALU_DEP_2) | instskip(NEXT) | instid1(VALU_DEP_2)
	v_cvt_pk_f32_fp8_e32 v[105:106], v102
	v_cvt_pk_f32_fp8_e32 v[107:108], v101
	s_delay_alu instid0(VALU_DEP_1) | instskip(NEXT) | instid1(VALU_DEP_3)
	v_dual_mul_f32 v110, s13, v105 :: v_dual_mul_f32 v107, s13, v107
	v_mul_f32_e32 v109, s14, v106
	s_delay_alu instid0(VALU_DEP_3)
	v_mul_f32_e32 v105, s14, v108
	s_and_saveexec_b32 s15, vcc_lo
	s_cbranch_execz .LBB227_71
; %bb.70:                               ;   in Loop: Header=BB227_38 Depth=1
	v_cmp_gt_i32_e64 s0, s34, v54
	s_wait_alu 0xf1ff
	s_delay_alu instid0(VALU_DEP_1) | instskip(SKIP_2) | instid1(VALU_DEP_1)
	v_cndmask_b32_e64 v110, 0, v110, s0
	v_cmp_gt_i32_e64 s0, s34, v57
	s_wait_alu 0xf1ff
	v_cndmask_b32_e64 v109, 0, v109, s0
	v_cmp_gt_i32_e64 s0, s34, v56
	s_wait_alu 0xf1ff
	s_delay_alu instid0(VALU_DEP_1) | instskip(SKIP_2) | instid1(VALU_DEP_1)
	v_cndmask_b32_e64 v107, 0, v107, s0
	v_cmp_gt_i32_e64 s0, s34, v58
	s_wait_alu 0xf1ff
	v_cndmask_b32_e64 v105, 0, v105, s0
.LBB227_71:                             ;   in Loop: Header=BB227_38 Depth=1
	s_wait_alu 0xfffe
	s_or_b32 exec_lo, exec_lo, s15
	global_load_b32 v101, v[9:10], off offset:2048
	s_wait_loadcnt 0x0
	v_and_b32_e32 v102, 0xffff, v101
	v_lshrrev_b32_e32 v101, 16, v101
	s_delay_alu instid0(VALU_DEP_2) | instskip(NEXT) | instid1(VALU_DEP_2)
	v_cvt_pk_f32_fp8_e32 v[111:112], v102
	v_cvt_pk_f32_fp8_e32 v[115:116], v101
	s_delay_alu instid0(VALU_DEP_1) | instskip(NEXT) | instid1(VALU_DEP_2)
	v_dual_mul_f32 v114, s13, v111 :: v_dual_mul_f32 v111, s14, v116
	v_dual_mul_f32 v113, s14, v112 :: v_dual_mul_f32 v112, s13, v115
	s_and_saveexec_b32 s15, vcc_lo
	s_cbranch_execz .LBB227_73
; %bb.72:                               ;   in Loop: Header=BB227_38 Depth=1
	v_cmp_gt_i32_e64 s0, s34, v54
	s_wait_alu 0xf1ff
	s_delay_alu instid0(VALU_DEP_1) | instskip(SKIP_2) | instid1(VALU_DEP_1)
	v_cndmask_b32_e64 v114, 0, v114, s0
	v_cmp_gt_i32_e64 s0, s34, v57
	s_wait_alu 0xf1ff
	v_cndmask_b32_e64 v113, 0, v113, s0
	v_cmp_gt_i32_e64 s0, s34, v56
	s_wait_alu 0xf1ff
	s_delay_alu instid0(VALU_DEP_1) | instskip(SKIP_2) | instid1(VALU_DEP_1)
	v_cndmask_b32_e64 v112, 0, v112, s0
	v_cmp_gt_i32_e64 s0, s34, v58
	s_wait_alu 0xf1ff
	v_cndmask_b32_e64 v111, 0, v111, s0
.LBB227_73:                             ;   in Loop: Header=BB227_38 Depth=1
	s_wait_alu 0xfffe
	s_or_b32 exec_lo, exec_lo, s15
	global_load_b32 v101, v[9:10], off offset:2176
	s_wait_loadcnt 0x0
	v_and_b32_e32 v102, 0xffff, v101
	v_lshrrev_b32_e32 v101, 16, v101
	s_delay_alu instid0(VALU_DEP_2) | instskip(NEXT) | instid1(VALU_DEP_2)
	v_cvt_pk_f32_fp8_e32 v[115:116], v102
	v_cvt_pk_f32_fp8_e32 v[119:120], v101
	s_delay_alu instid0(VALU_DEP_1) | instskip(NEXT) | instid1(VALU_DEP_2)
	v_dual_mul_f32 v118, s13, v115 :: v_dual_mul_f32 v115, s14, v120
	v_dual_mul_f32 v117, s14, v116 :: v_dual_mul_f32 v116, s13, v119
	s_and_saveexec_b32 s15, vcc_lo
	s_cbranch_execz .LBB227_75
; %bb.74:                               ;   in Loop: Header=BB227_38 Depth=1
	v_cmp_gt_i32_e64 s0, s34, v54
	s_wait_alu 0xf1ff
	s_delay_alu instid0(VALU_DEP_1) | instskip(SKIP_2) | instid1(VALU_DEP_1)
	v_cndmask_b32_e64 v118, 0, v118, s0
	v_cmp_gt_i32_e64 s0, s34, v57
	s_wait_alu 0xf1ff
	v_cndmask_b32_e64 v117, 0, v117, s0
	v_cmp_gt_i32_e64 s0, s34, v56
	s_wait_alu 0xf1ff
	s_delay_alu instid0(VALU_DEP_1) | instskip(SKIP_2) | instid1(VALU_DEP_1)
	v_cndmask_b32_e64 v116, 0, v116, s0
	v_cmp_gt_i32_e64 s0, s34, v58
	s_wait_alu 0xf1ff
	v_cndmask_b32_e64 v115, 0, v115, s0
.LBB227_75:                             ;   in Loop: Header=BB227_38 Depth=1
	s_wait_alu 0xfffe
	s_or_b32 exec_lo, exec_lo, s15
	global_load_b32 v101, v[9:10], off offset:2304
	s_wait_loadcnt 0x0
	v_and_b32_e32 v102, 0xffff, v101
	v_lshrrev_b32_e32 v101, 16, v101
	s_delay_alu instid0(VALU_DEP_2) | instskip(NEXT) | instid1(VALU_DEP_2)
	v_cvt_pk_f32_fp8_e32 v[119:120], v102
	v_cvt_pk_f32_fp8_e32 v[123:124], v101
	s_delay_alu instid0(VALU_DEP_1) | instskip(NEXT) | instid1(VALU_DEP_2)
	v_dual_mul_f32 v122, s13, v119 :: v_dual_mul_f32 v119, s14, v124
	v_dual_mul_f32 v121, s14, v120 :: v_dual_mul_f32 v120, s13, v123
	s_and_saveexec_b32 s15, vcc_lo
	s_cbranch_execz .LBB227_77
; %bb.76:                               ;   in Loop: Header=BB227_38 Depth=1
	v_cmp_gt_i32_e64 s0, s34, v54
	s_wait_alu 0xf1ff
	s_delay_alu instid0(VALU_DEP_1) | instskip(SKIP_2) | instid1(VALU_DEP_1)
	v_cndmask_b32_e64 v122, 0, v122, s0
	v_cmp_gt_i32_e64 s0, s34, v57
	s_wait_alu 0xf1ff
	v_cndmask_b32_e64 v121, 0, v121, s0
	v_cmp_gt_i32_e64 s0, s34, v56
	s_wait_alu 0xf1ff
	s_delay_alu instid0(VALU_DEP_1) | instskip(SKIP_2) | instid1(VALU_DEP_1)
	v_cndmask_b32_e64 v120, 0, v120, s0
	v_cmp_gt_i32_e64 s0, s34, v58
	s_wait_alu 0xf1ff
	v_cndmask_b32_e64 v119, 0, v119, s0
.LBB227_77:                             ;   in Loop: Header=BB227_38 Depth=1
	s_wait_alu 0xfffe
	s_or_b32 exec_lo, exec_lo, s15
	global_load_b32 v9, v[9:10], off offset:2432
	s_wait_loadcnt 0x0
	v_lshrrev_b32_e32 v101, 16, v9
	s_delay_alu instid0(VALU_DEP_1) | instskip(SKIP_1) | instid1(VALU_DEP_1)
	v_cvt_pk_f32_fp8_e32 v[123:124], v101
	v_and_b32_e32 v10, 0xffff, v9
	v_cvt_pk_f32_fp8_e32 v[9:10], v10
	s_delay_alu instid0(VALU_DEP_1) | instskip(NEXT) | instid1(VALU_DEP_2)
	v_mul_f32_e32 v108, s13, v9
	v_mul_f32_e32 v106, s14, v10
	v_dual_mul_f32 v10, s13, v123 :: v_dual_mul_f32 v9, s14, v124
	s_and_saveexec_b32 s0, vcc_lo
	s_cbranch_execz .LBB227_36
; %bb.78:                               ;   in Loop: Header=BB227_38 Depth=1
	v_cmp_gt_i32_e32 vcc_lo, s34, v54
	s_wait_alu 0xfffd
	v_cndmask_b32_e32 v108, 0, v108, vcc_lo
	v_cmp_gt_i32_e32 vcc_lo, s34, v57
	s_wait_alu 0xfffd
	v_cndmask_b32_e32 v106, 0, v106, vcc_lo
	;; [unrolled: 3-line block ×4, first 2 shown]
	s_branch .LBB227_36
.LBB227_79:
	s_or_b32 exec_lo, exec_lo, s5
.LBB227_80:
	s_wait_alu 0xfffe
	s_or_b32 exec_lo, exec_lo, s1
	ds_bpermute_b32 v7, v13, v28
	ds_bpermute_b32 v8, v13, v27
	;; [unrolled: 1-line block ×17, first 2 shown]
	s_mov_b32 s0, exec_lo
	s_wait_storecnt 0x0
	s_wait_loadcnt_dscnt 0x0
	s_barrier_signal -1
	v_dual_add_f32 v7, v28, v7 :: v_dual_add_f32 v8, v27, v8
	v_dual_add_f32 v1, v33, v1 :: v_dual_add_f32 v2, v34, v2
	v_add_f32_e32 v3, v32, v3
	ds_bpermute_b32 v34, v12, v7
	v_dual_add_f32 v9, v26, v9 :: v_dual_add_f32 v10, v25, v10
	ds_bpermute_b32 v26, v13, v17
	ds_bpermute_b32 v27, v13, v16
	;; [unrolled: 1-line block ×4, first 2 shown]
	v_dual_add_f32 v4, v31, v4 :: v_dual_add_f32 v5, v30, v5
	v_add_f32_e32 v6, v29, v6
	ds_bpermute_b32 v28, v12, v1
	ds_bpermute_b32 v29, v12, v2
	;; [unrolled: 1-line block ×4, first 2 shown]
	v_dual_add_f32 v23, v23, v36 :: v_dual_add_f32 v22, v22, v37
	v_dual_add_f32 v21, v21, v38 :: v_dual_add_f32 v20, v20, v39
	v_dual_add_f32 v19, v19, v40 :: v_dual_add_f32 v18, v18, v41
	s_wait_dscnt 0x8
	v_dual_add_f32 v7, v7, v34 :: v_dual_add_f32 v24, v24, v35
	ds_bpermute_b32 v34, v12, v10
	s_wait_dscnt 0x7
	v_dual_add_f32 v17, v17, v26 :: v_dual_add_f32 v16, v16, v27
	s_wait_dscnt 0x6
	v_add_f32_e32 v8, v8, v25
	ds_bpermute_b32 v36, v12, v23
	s_wait_dscnt 0x6
	v_add_f32_e32 v13, v15, v13
	ds_bpermute_b32 v32, v12, v5
	ds_bpermute_b32 v33, v12, v6
	;; [unrolled: 1-line block ×3, first 2 shown]
	s_wait_dscnt 0x7
	v_dual_add_f32 v1, v1, v28 :: v_dual_add_f32 v2, v2, v29
	s_wait_dscnt 0x5
	v_dual_add_f32 v3, v3, v30 :: v_dual_add_f32 v4, v4, v31
	ds_bpermute_b32 v25, v12, v24
	ds_bpermute_b32 v37, v12, v22
	;; [unrolled: 1-line block ×13, first 2 shown]
	s_wait_dscnt 0x10
	v_dual_add_f32 v10, v10, v34 :: v_dual_add_f32 v23, v23, v36
	s_wait_dscnt 0xe
	v_dual_add_f32 v5, v5, v32 :: v_dual_add_f32 v6, v6, v33
	s_wait_dscnt 0xd
	v_add_f32_e32 v9, v9, v42
	ds_bpermute_b32 v31, v11, v4
	ds_bpermute_b32 v36, v11, v10
	s_wait_dscnt 0xe
	v_add_f32_e32 v24, v24, v25
	s_wait_dscnt 0xc
	v_dual_add_f32 v22, v22, v37 :: v_dual_add_f32 v21, v21, v38
	ds_bpermute_b32 v37, v11, v23
	s_wait_dscnt 0xb
	v_dual_add_f32 v20, v20, v39 :: v_dual_add_f32 v19, v19, v40
	s_wait_dscnt 0x8
	v_dual_add_f32 v18, v18, v26 :: v_dual_add_f32 v27, v16, v27
	v_add_f32_e32 v42, v17, v15
	s_wait_dscnt 0x7
	v_add_f32_e32 v44, v13, v12
	ds_bpermute_b32 v32, v11, v5
	ds_bpermute_b32 v33, v11, v6
	;; [unrolled: 1-line block ×10, first 2 shown]
	s_wait_dscnt 0xf
	v_dual_add_f32 v1, v1, v28 :: v_dual_add_f32 v2, v2, v29
	ds_bpermute_b32 v29, v11, v27
	s_wait_dscnt 0xf
	v_add_f32_e32 v3, v3, v30
	ds_bpermute_b32 v28, v11, v42
	s_wait_dscnt 0xf
	v_add_f32_e32 v7, v7, v35
	;; [unrolled: 3-line block ×3, first 2 shown]
	v_lshrrev_b32_e32 v23, 3, v190
	s_wait_dscnt 0xc
	v_dual_add_f32 v4, v4, v31 :: v_dual_add_f32 v5, v5, v32
	s_wait_dscnt 0xb
	v_add_f32_e32 v6, v6, v33
	s_wait_dscnt 0x9
	v_dual_add_f32 v8, v8, v25 :: v_dual_add_f32 v9, v9, v34
	s_wait_dscnt 0x8
	v_dual_add_f32 v10, v10, v36 :: v_dual_add_f32 v11, v24, v41
	s_wait_dscnt 0x7
	v_add_f32_e32 v13, v22, v38
	s_wait_dscnt 0x5
	v_dual_add_f32 v15, v21, v26 :: v_dual_add_f32 v16, v20, v39
	s_wait_dscnt 0x3
	v_dual_add_f32 v17, v19, v40 :: v_dual_add_f32 v18, v18, v43
	s_wait_dscnt 0x2
	v_dual_add_f32 v20, v27, v29 :: v_dual_and_b32 v25, 0x3c7, v0
	v_lshl_add_u32 v22, v23, 2, 0x160
	s_wait_dscnt 0x1
	v_add_f32_e32 v19, v42, v28
	v_mul_u32_u24_e32 v24, 0x140, v189
	s_wait_dscnt 0x0
	v_add_f32_e32 v21, v44, v45
	s_barrier_wait -1
	global_inv scope:SCOPE_SE
	v_cmpx_eq_u32_e32 64, v25
	s_cbranch_execz .LBB227_82
; %bb.81:
	v_add_nc_u32_e32 v25, v22, v24
	s_delay_alu instid0(VALU_DEP_1)
	v_add_nc_u32_e32 v26, 0xfffffd80, v25
	v_add_nc_u32_e32 v27, 0xfffffd90, v25
	;; [unrolled: 1-line block ×8, first 2 shown]
	ds_store_b32 v26, v1
	ds_store_b32 v27, v2
	;; [unrolled: 1-line block ×8, first 2 shown]
	v_add_nc_u32_e32 v26, 0xfffffe00, v25
	v_add_nc_u32_e32 v27, 0xfffffe10, v25
	;; [unrolled: 1-line block ×12, first 2 shown]
	ds_store_b32 v26, v9
	ds_store_b32 v27, v10
	ds_store_b32 v28, v11
	ds_store_b32 v29, v12
	ds_store_b32 v30, v13
	ds_store_b32 v31, v15
	ds_store_b32 v32, v16
	ds_store_b32 v33, v17
	ds_store_b32 v34, v18
	ds_store_b32 v35, v19
	ds_store_b32 v36, v20
	ds_store_b32 v25, v21
.LBB227_82:
	s_wait_alu 0xfffe
	s_or_b32 exec_lo, exec_lo, s0
	v_lshlrev_b32_e32 v23, 2, v23
	v_cmp_eq_u32_e32 vcc_lo, 0, v14
	s_mov_b32 s1, exec_lo
	s_wait_loadcnt_dscnt 0x0
	s_barrier_signal -1
	v_add3_u32 v14, 0x160, v24, v23
	s_barrier_wait -1
	global_inv scope:SCOPE_SE
	v_cmpx_gt_u32_e32 64, v0
	s_cbranch_execz .LBB227_105
; %bb.83:
	s_and_saveexec_b32 s0, vcc_lo
	s_cbranch_execnz .LBB227_133
; %bb.84:
	s_wait_alu 0xfffe
	s_or_b32 exec_lo, exec_lo, s0
	s_and_saveexec_b32 s0, vcc_lo
	s_cbranch_execnz .LBB227_134
.LBB227_85:
	s_wait_alu 0xfffe
	s_or_b32 exec_lo, exec_lo, s0
	s_and_saveexec_b32 s0, vcc_lo
	s_cbranch_execnz .LBB227_135
.LBB227_86:
	s_wait_alu 0xfffe
	s_or_b32 exec_lo, exec_lo, s0
	s_and_saveexec_b32 s0, vcc_lo
	s_cbranch_execnz .LBB227_136
.LBB227_87:
	s_wait_alu 0xfffe
	s_or_b32 exec_lo, exec_lo, s0
	s_and_saveexec_b32 s0, vcc_lo
	s_cbranch_execnz .LBB227_137
.LBB227_88:
	s_wait_alu 0xfffe
	s_or_b32 exec_lo, exec_lo, s0
	s_and_saveexec_b32 s0, vcc_lo
	s_cbranch_execnz .LBB227_138
.LBB227_89:
	s_wait_alu 0xfffe
	s_or_b32 exec_lo, exec_lo, s0
	s_and_saveexec_b32 s0, vcc_lo
	s_cbranch_execnz .LBB227_139
.LBB227_90:
	s_wait_alu 0xfffe
	s_or_b32 exec_lo, exec_lo, s0
	s_and_saveexec_b32 s0, vcc_lo
	s_cbranch_execnz .LBB227_140
.LBB227_91:
	s_wait_alu 0xfffe
	s_or_b32 exec_lo, exec_lo, s0
	s_and_saveexec_b32 s0, vcc_lo
	s_cbranch_execnz .LBB227_141
.LBB227_92:
	s_wait_alu 0xfffe
	s_or_b32 exec_lo, exec_lo, s0
	s_and_saveexec_b32 s0, vcc_lo
	s_cbranch_execnz .LBB227_142
.LBB227_93:
	s_wait_alu 0xfffe
	s_or_b32 exec_lo, exec_lo, s0
	s_and_saveexec_b32 s0, vcc_lo
	s_cbranch_execnz .LBB227_143
.LBB227_94:
	s_wait_alu 0xfffe
	s_or_b32 exec_lo, exec_lo, s0
	s_and_saveexec_b32 s0, vcc_lo
	s_cbranch_execnz .LBB227_144
.LBB227_95:
	s_wait_alu 0xfffe
	s_or_b32 exec_lo, exec_lo, s0
	s_and_saveexec_b32 s0, vcc_lo
	s_cbranch_execnz .LBB227_145
.LBB227_96:
	s_wait_alu 0xfffe
	s_or_b32 exec_lo, exec_lo, s0
	s_and_saveexec_b32 s0, vcc_lo
	s_cbranch_execnz .LBB227_146
.LBB227_97:
	s_wait_alu 0xfffe
	s_or_b32 exec_lo, exec_lo, s0
	s_and_saveexec_b32 s0, vcc_lo
	s_cbranch_execnz .LBB227_147
.LBB227_98:
	s_wait_alu 0xfffe
	s_or_b32 exec_lo, exec_lo, s0
	s_and_saveexec_b32 s0, vcc_lo
	s_cbranch_execnz .LBB227_148
.LBB227_99:
	s_wait_alu 0xfffe
	s_or_b32 exec_lo, exec_lo, s0
	s_and_saveexec_b32 s0, vcc_lo
	s_cbranch_execnz .LBB227_149
.LBB227_100:
	s_wait_alu 0xfffe
	s_or_b32 exec_lo, exec_lo, s0
	s_and_saveexec_b32 s0, vcc_lo
	s_cbranch_execnz .LBB227_150
.LBB227_101:
	s_wait_alu 0xfffe
	s_or_b32 exec_lo, exec_lo, s0
	s_and_saveexec_b32 s0, vcc_lo
	s_cbranch_execnz .LBB227_151
.LBB227_102:
	s_wait_alu 0xfffe
	s_or_b32 exec_lo, exec_lo, s0
	s_and_saveexec_b32 s0, vcc_lo
	s_cbranch_execz .LBB227_104
.LBB227_103:
	ds_load_b32 v23, v14 offset:304
	s_wait_dscnt 0x0
	v_add_f32_e32 v21, v21, v23
.LBB227_104:
	s_wait_alu 0xfffe
	s_or_b32 exec_lo, exec_lo, s0
.LBB227_105:
	s_wait_alu 0xfffe
	s_or_b32 exec_lo, exec_lo, s1
	v_and_b32_e32 v23, 0x3e7, v0
	s_mov_b32 s1, exec_lo
	s_wait_loadcnt 0x0
	s_barrier_signal -1
	s_barrier_wait -1
	global_inv scope:SCOPE_SE
	v_cmpx_eq_u32_e32 32, v23
	s_cbranch_execz .LBB227_107
; %bb.106:
	ds_store_2addr_b32 v22, v1, v2 offset1:4
	ds_store_2addr_b32 v22, v3, v4 offset0:8 offset1:12
	ds_store_2addr_b32 v22, v5, v6 offset0:16 offset1:20
	;; [unrolled: 1-line block ×9, first 2 shown]
.LBB227_107:
	s_wait_alu 0xfffe
	s_or_b32 exec_lo, exec_lo, s1
	s_delay_alu instid0(SALU_CYCLE_1)
	s_mov_b32 s1, exec_lo
	s_wait_loadcnt_dscnt 0x0
	s_barrier_signal -1
	s_barrier_wait -1
	global_inv scope:SCOPE_SE
	v_cmpx_gt_u32_e32 32, v0
	s_cbranch_execz .LBB227_130
; %bb.108:
	s_and_saveexec_b32 s0, vcc_lo
	s_cbranch_execnz .LBB227_152
; %bb.109:
	s_wait_alu 0xfffe
	s_or_b32 exec_lo, exec_lo, s0
	s_and_saveexec_b32 s0, vcc_lo
	s_cbranch_execnz .LBB227_153
.LBB227_110:
	s_wait_alu 0xfffe
	s_or_b32 exec_lo, exec_lo, s0
	s_and_saveexec_b32 s0, vcc_lo
	s_cbranch_execnz .LBB227_154
.LBB227_111:
	s_wait_alu 0xfffe
	s_or_b32 exec_lo, exec_lo, s0
	s_and_saveexec_b32 s0, vcc_lo
	s_cbranch_execnz .LBB227_155
.LBB227_112:
	s_wait_alu 0xfffe
	s_or_b32 exec_lo, exec_lo, s0
	s_and_saveexec_b32 s0, vcc_lo
	s_cbranch_execnz .LBB227_156
.LBB227_113:
	s_wait_alu 0xfffe
	s_or_b32 exec_lo, exec_lo, s0
	s_and_saveexec_b32 s0, vcc_lo
	s_cbranch_execnz .LBB227_157
.LBB227_114:
	s_wait_alu 0xfffe
	s_or_b32 exec_lo, exec_lo, s0
	s_and_saveexec_b32 s0, vcc_lo
	s_cbranch_execnz .LBB227_158
.LBB227_115:
	s_wait_alu 0xfffe
	s_or_b32 exec_lo, exec_lo, s0
	s_and_saveexec_b32 s0, vcc_lo
	s_cbranch_execnz .LBB227_159
.LBB227_116:
	s_wait_alu 0xfffe
	s_or_b32 exec_lo, exec_lo, s0
	s_and_saveexec_b32 s0, vcc_lo
	s_cbranch_execnz .LBB227_160
.LBB227_117:
	s_wait_alu 0xfffe
	s_or_b32 exec_lo, exec_lo, s0
	s_and_saveexec_b32 s0, vcc_lo
	s_cbranch_execnz .LBB227_161
.LBB227_118:
	s_wait_alu 0xfffe
	s_or_b32 exec_lo, exec_lo, s0
	s_and_saveexec_b32 s0, vcc_lo
	s_cbranch_execnz .LBB227_162
.LBB227_119:
	s_wait_alu 0xfffe
	s_or_b32 exec_lo, exec_lo, s0
	s_and_saveexec_b32 s0, vcc_lo
	s_cbranch_execnz .LBB227_163
.LBB227_120:
	s_wait_alu 0xfffe
	s_or_b32 exec_lo, exec_lo, s0
	s_and_saveexec_b32 s0, vcc_lo
	s_cbranch_execnz .LBB227_164
.LBB227_121:
	s_wait_alu 0xfffe
	s_or_b32 exec_lo, exec_lo, s0
	s_and_saveexec_b32 s0, vcc_lo
	s_cbranch_execnz .LBB227_165
.LBB227_122:
	s_wait_alu 0xfffe
	s_or_b32 exec_lo, exec_lo, s0
	s_and_saveexec_b32 s0, vcc_lo
	s_cbranch_execnz .LBB227_166
.LBB227_123:
	s_wait_alu 0xfffe
	s_or_b32 exec_lo, exec_lo, s0
	s_and_saveexec_b32 s0, vcc_lo
	s_cbranch_execnz .LBB227_167
.LBB227_124:
	s_wait_alu 0xfffe
	s_or_b32 exec_lo, exec_lo, s0
	s_and_saveexec_b32 s0, vcc_lo
	s_cbranch_execnz .LBB227_168
.LBB227_125:
	s_wait_alu 0xfffe
	s_or_b32 exec_lo, exec_lo, s0
	s_and_saveexec_b32 s0, vcc_lo
	s_cbranch_execnz .LBB227_169
.LBB227_126:
	s_wait_alu 0xfffe
	s_or_b32 exec_lo, exec_lo, s0
	s_and_saveexec_b32 s0, vcc_lo
	s_cbranch_execnz .LBB227_170
.LBB227_127:
	s_wait_alu 0xfffe
	s_or_b32 exec_lo, exec_lo, s0
	s_and_saveexec_b32 s0, vcc_lo
	s_cbranch_execz .LBB227_129
.LBB227_128:
	ds_load_b32 v14, v14 offset:304
	s_wait_dscnt 0x0
	v_add_f32_e32 v21, v21, v14
.LBB227_129:
	s_wait_alu 0xfffe
	s_or_b32 exec_lo, exec_lo, s0
.LBB227_130:
	s_wait_alu 0xfffe
	s_or_b32 exec_lo, exec_lo, s1
	s_mov_b32 s1, 0
	s_wait_loadcnt 0x0
	s_barrier_signal -1
	s_barrier_wait -1
	global_inv scope:SCOPE_SE
	s_mov_b32 s0, exec_lo
	v_cmpx_eq_u32_e32 0, v23
	s_cbranch_execz .LBB227_132
; %bb.131:
	s_mul_i32 s2, s18, 0x50
	s_mul_i32 s4, s7, s20
	s_wait_alu 0xfffe
	s_ashr_i32 s3, s2, 31
	s_ashr_i32 s5, s4, 31
	s_wait_alu 0xfffe
	s_lshl_b64 s[2:3], s[2:3], 2
	s_lshl_b64 s[4:5], s[4:5], 2
	s_wait_kmcnt 0x0
	s_wait_alu 0xfffe
	s_add_nc_u64 s[2:3], s[8:9], s[2:3]
	v_lshrrev_b32_e32 v0, 1, v0
	s_mul_i32 s0, s33, 0x140
	s_wait_alu 0xfffe
	s_add_nc_u64 s[2:3], s[2:3], s[4:5]
	s_wait_alu 0xfffe
	s_add_nc_u64 s[0:1], s[2:3], s[0:1]
	s_clause 0x13
	global_store_b32 v0, v1, s[0:1]
	global_store_b32 v0, v2, s[0:1] offset:16
	global_store_b32 v0, v3, s[0:1] offset:32
	;; [unrolled: 1-line block ×19, first 2 shown]
.LBB227_132:
	s_nop 0
	s_sendmsg sendmsg(MSG_DEALLOC_VGPRS)
	s_endpgm
.LBB227_133:
	ds_load_b32 v23, v14
	s_wait_dscnt 0x0
	v_add_f32_e32 v1, v1, v23
	s_wait_alu 0xfffe
	s_or_b32 exec_lo, exec_lo, s0
	s_and_saveexec_b32 s0, vcc_lo
	s_cbranch_execz .LBB227_85
.LBB227_134:
	ds_load_b32 v23, v14 offset:16
	s_wait_dscnt 0x0
	v_add_f32_e32 v2, v2, v23
	s_wait_alu 0xfffe
	s_or_b32 exec_lo, exec_lo, s0
	s_and_saveexec_b32 s0, vcc_lo
	s_cbranch_execz .LBB227_86
.LBB227_135:
	ds_load_b32 v23, v14 offset:32
	s_wait_dscnt 0x0
	v_add_f32_e32 v3, v3, v23
	s_wait_alu 0xfffe
	s_or_b32 exec_lo, exec_lo, s0
	s_and_saveexec_b32 s0, vcc_lo
	s_cbranch_execz .LBB227_87
.LBB227_136:
	ds_load_b32 v23, v14 offset:48
	s_wait_dscnt 0x0
	v_add_f32_e32 v4, v4, v23
	s_wait_alu 0xfffe
	s_or_b32 exec_lo, exec_lo, s0
	s_and_saveexec_b32 s0, vcc_lo
	s_cbranch_execz .LBB227_88
.LBB227_137:
	ds_load_b32 v23, v14 offset:64
	s_wait_dscnt 0x0
	v_add_f32_e32 v5, v5, v23
	s_wait_alu 0xfffe
	s_or_b32 exec_lo, exec_lo, s0
	s_and_saveexec_b32 s0, vcc_lo
	s_cbranch_execz .LBB227_89
.LBB227_138:
	ds_load_b32 v23, v14 offset:80
	s_wait_dscnt 0x0
	v_add_f32_e32 v6, v6, v23
	s_wait_alu 0xfffe
	s_or_b32 exec_lo, exec_lo, s0
	s_and_saveexec_b32 s0, vcc_lo
	s_cbranch_execz .LBB227_90
.LBB227_139:
	ds_load_b32 v23, v14 offset:96
	s_wait_dscnt 0x0
	v_add_f32_e32 v7, v7, v23
	s_wait_alu 0xfffe
	s_or_b32 exec_lo, exec_lo, s0
	s_and_saveexec_b32 s0, vcc_lo
	s_cbranch_execz .LBB227_91
.LBB227_140:
	ds_load_b32 v23, v14 offset:112
	s_wait_dscnt 0x0
	v_add_f32_e32 v8, v8, v23
	s_wait_alu 0xfffe
	s_or_b32 exec_lo, exec_lo, s0
	s_and_saveexec_b32 s0, vcc_lo
	s_cbranch_execz .LBB227_92
.LBB227_141:
	ds_load_b32 v23, v14 offset:128
	s_wait_dscnt 0x0
	v_add_f32_e32 v9, v9, v23
	s_wait_alu 0xfffe
	s_or_b32 exec_lo, exec_lo, s0
	s_and_saveexec_b32 s0, vcc_lo
	s_cbranch_execz .LBB227_93
.LBB227_142:
	ds_load_b32 v23, v14 offset:144
	s_wait_dscnt 0x0
	v_add_f32_e32 v10, v10, v23
	s_wait_alu 0xfffe
	s_or_b32 exec_lo, exec_lo, s0
	s_and_saveexec_b32 s0, vcc_lo
	s_cbranch_execz .LBB227_94
.LBB227_143:
	ds_load_b32 v23, v14 offset:160
	s_wait_dscnt 0x0
	v_add_f32_e32 v11, v11, v23
	s_wait_alu 0xfffe
	s_or_b32 exec_lo, exec_lo, s0
	s_and_saveexec_b32 s0, vcc_lo
	s_cbranch_execz .LBB227_95
.LBB227_144:
	ds_load_b32 v23, v14 offset:176
	s_wait_dscnt 0x0
	v_add_f32_e32 v12, v12, v23
	s_wait_alu 0xfffe
	s_or_b32 exec_lo, exec_lo, s0
	s_and_saveexec_b32 s0, vcc_lo
	s_cbranch_execz .LBB227_96
.LBB227_145:
	ds_load_b32 v23, v14 offset:192
	s_wait_dscnt 0x0
	v_add_f32_e32 v13, v13, v23
	s_wait_alu 0xfffe
	s_or_b32 exec_lo, exec_lo, s0
	s_and_saveexec_b32 s0, vcc_lo
	s_cbranch_execz .LBB227_97
.LBB227_146:
	ds_load_b32 v23, v14 offset:208
	s_wait_dscnt 0x0
	v_add_f32_e32 v15, v15, v23
	s_wait_alu 0xfffe
	s_or_b32 exec_lo, exec_lo, s0
	s_and_saveexec_b32 s0, vcc_lo
	s_cbranch_execz .LBB227_98
.LBB227_147:
	ds_load_b32 v23, v14 offset:224
	s_wait_dscnt 0x0
	v_add_f32_e32 v16, v16, v23
	s_wait_alu 0xfffe
	s_or_b32 exec_lo, exec_lo, s0
	s_and_saveexec_b32 s0, vcc_lo
	s_cbranch_execz .LBB227_99
.LBB227_148:
	ds_load_b32 v23, v14 offset:240
	s_wait_dscnt 0x0
	v_add_f32_e32 v17, v17, v23
	s_wait_alu 0xfffe
	s_or_b32 exec_lo, exec_lo, s0
	s_and_saveexec_b32 s0, vcc_lo
	s_cbranch_execz .LBB227_100
.LBB227_149:
	ds_load_b32 v23, v14 offset:256
	s_wait_dscnt 0x0
	v_add_f32_e32 v18, v18, v23
	s_wait_alu 0xfffe
	s_or_b32 exec_lo, exec_lo, s0
	s_and_saveexec_b32 s0, vcc_lo
	s_cbranch_execz .LBB227_101
.LBB227_150:
	ds_load_b32 v23, v14 offset:272
	s_wait_dscnt 0x0
	v_add_f32_e32 v19, v19, v23
	s_wait_alu 0xfffe
	s_or_b32 exec_lo, exec_lo, s0
	s_and_saveexec_b32 s0, vcc_lo
	s_cbranch_execz .LBB227_102
.LBB227_151:
	ds_load_b32 v23, v14 offset:288
	s_wait_dscnt 0x0
	v_add_f32_e32 v20, v20, v23
	s_wait_alu 0xfffe
	s_or_b32 exec_lo, exec_lo, s0
	s_and_saveexec_b32 s0, vcc_lo
	s_cbranch_execnz .LBB227_103
	s_branch .LBB227_104
.LBB227_152:
	ds_load_b32 v22, v14
	s_wait_dscnt 0x0
	v_add_f32_e32 v1, v1, v22
	s_wait_alu 0xfffe
	s_or_b32 exec_lo, exec_lo, s0
	s_and_saveexec_b32 s0, vcc_lo
	s_cbranch_execz .LBB227_110
.LBB227_153:
	ds_load_b32 v22, v14 offset:16
	s_wait_dscnt 0x0
	v_add_f32_e32 v2, v2, v22
	s_wait_alu 0xfffe
	s_or_b32 exec_lo, exec_lo, s0
	s_and_saveexec_b32 s0, vcc_lo
	s_cbranch_execz .LBB227_111
.LBB227_154:
	ds_load_b32 v22, v14 offset:32
	s_wait_dscnt 0x0
	v_add_f32_e32 v3, v3, v22
	s_wait_alu 0xfffe
	s_or_b32 exec_lo, exec_lo, s0
	s_and_saveexec_b32 s0, vcc_lo
	s_cbranch_execz .LBB227_112
.LBB227_155:
	ds_load_b32 v22, v14 offset:48
	s_wait_dscnt 0x0
	v_add_f32_e32 v4, v4, v22
	s_wait_alu 0xfffe
	s_or_b32 exec_lo, exec_lo, s0
	s_and_saveexec_b32 s0, vcc_lo
	s_cbranch_execz .LBB227_113
.LBB227_156:
	ds_load_b32 v22, v14 offset:64
	s_wait_dscnt 0x0
	v_add_f32_e32 v5, v5, v22
	s_wait_alu 0xfffe
	s_or_b32 exec_lo, exec_lo, s0
	s_and_saveexec_b32 s0, vcc_lo
	s_cbranch_execz .LBB227_114
.LBB227_157:
	ds_load_b32 v22, v14 offset:80
	s_wait_dscnt 0x0
	v_add_f32_e32 v6, v6, v22
	s_wait_alu 0xfffe
	s_or_b32 exec_lo, exec_lo, s0
	s_and_saveexec_b32 s0, vcc_lo
	s_cbranch_execz .LBB227_115
.LBB227_158:
	ds_load_b32 v22, v14 offset:96
	s_wait_dscnt 0x0
	v_add_f32_e32 v7, v7, v22
	s_wait_alu 0xfffe
	s_or_b32 exec_lo, exec_lo, s0
	s_and_saveexec_b32 s0, vcc_lo
	s_cbranch_execz .LBB227_116
.LBB227_159:
	ds_load_b32 v22, v14 offset:112
	s_wait_dscnt 0x0
	v_add_f32_e32 v8, v8, v22
	s_wait_alu 0xfffe
	s_or_b32 exec_lo, exec_lo, s0
	s_and_saveexec_b32 s0, vcc_lo
	s_cbranch_execz .LBB227_117
.LBB227_160:
	ds_load_b32 v22, v14 offset:128
	s_wait_dscnt 0x0
	v_add_f32_e32 v9, v9, v22
	s_wait_alu 0xfffe
	s_or_b32 exec_lo, exec_lo, s0
	s_and_saveexec_b32 s0, vcc_lo
	s_cbranch_execz .LBB227_118
.LBB227_161:
	ds_load_b32 v22, v14 offset:144
	s_wait_dscnt 0x0
	v_add_f32_e32 v10, v10, v22
	s_wait_alu 0xfffe
	s_or_b32 exec_lo, exec_lo, s0
	s_and_saveexec_b32 s0, vcc_lo
	s_cbranch_execz .LBB227_119
.LBB227_162:
	ds_load_b32 v22, v14 offset:160
	s_wait_dscnt 0x0
	v_add_f32_e32 v11, v11, v22
	s_wait_alu 0xfffe
	s_or_b32 exec_lo, exec_lo, s0
	s_and_saveexec_b32 s0, vcc_lo
	s_cbranch_execz .LBB227_120
.LBB227_163:
	ds_load_b32 v22, v14 offset:176
	s_wait_dscnt 0x0
	v_add_f32_e32 v12, v12, v22
	s_wait_alu 0xfffe
	s_or_b32 exec_lo, exec_lo, s0
	s_and_saveexec_b32 s0, vcc_lo
	s_cbranch_execz .LBB227_121
.LBB227_164:
	ds_load_b32 v22, v14 offset:192
	s_wait_dscnt 0x0
	v_add_f32_e32 v13, v13, v22
	s_wait_alu 0xfffe
	s_or_b32 exec_lo, exec_lo, s0
	s_and_saveexec_b32 s0, vcc_lo
	s_cbranch_execz .LBB227_122
.LBB227_165:
	ds_load_b32 v22, v14 offset:208
	s_wait_dscnt 0x0
	v_add_f32_e32 v15, v15, v22
	s_wait_alu 0xfffe
	s_or_b32 exec_lo, exec_lo, s0
	s_and_saveexec_b32 s0, vcc_lo
	s_cbranch_execz .LBB227_123
.LBB227_166:
	ds_load_b32 v22, v14 offset:224
	s_wait_dscnt 0x0
	v_add_f32_e32 v16, v16, v22
	s_wait_alu 0xfffe
	s_or_b32 exec_lo, exec_lo, s0
	s_and_saveexec_b32 s0, vcc_lo
	s_cbranch_execz .LBB227_124
.LBB227_167:
	ds_load_b32 v22, v14 offset:240
	s_wait_dscnt 0x0
	v_add_f32_e32 v17, v17, v22
	s_wait_alu 0xfffe
	s_or_b32 exec_lo, exec_lo, s0
	s_and_saveexec_b32 s0, vcc_lo
	s_cbranch_execz .LBB227_125
.LBB227_168:
	ds_load_b32 v22, v14 offset:256
	s_wait_dscnt 0x0
	v_add_f32_e32 v18, v18, v22
	s_wait_alu 0xfffe
	s_or_b32 exec_lo, exec_lo, s0
	s_and_saveexec_b32 s0, vcc_lo
	s_cbranch_execz .LBB227_126
.LBB227_169:
	ds_load_b32 v22, v14 offset:272
	s_wait_dscnt 0x0
	v_add_f32_e32 v19, v19, v22
	s_wait_alu 0xfffe
	s_or_b32 exec_lo, exec_lo, s0
	s_and_saveexec_b32 s0, vcc_lo
	s_cbranch_execz .LBB227_127
.LBB227_170:
	ds_load_b32 v22, v14 offset:288
	s_wait_dscnt 0x0
	v_add_f32_e32 v20, v20, v22
	s_wait_alu 0xfffe
	s_or_b32 exec_lo, exec_lo, s0
	s_and_saveexec_b32 s0, vcc_lo
	s_cbranch_execnz .LBB227_128
	s_branch .LBB227_129
	.section	.rodata,"a",@progbits
	.p2align	6, 0x0
	.amdhsa_kernel _ZN4vllm25paged_attention_v2_kernelIfhLi80ELi32ELi128ELNS_18Fp8KVCacheDataTypeE1ELb1ELi512EEEvPfS2_PT_PKS3_PKT0_S9_ifPKiSB_iPKfiiiSD_SD_iiiii
		.amdhsa_group_segment_fixed_size 352
		.amdhsa_private_segment_fixed_size 0
		.amdhsa_kernarg_size 400
		.amdhsa_user_sgpr_count 2
		.amdhsa_user_sgpr_dispatch_ptr 0
		.amdhsa_user_sgpr_queue_ptr 0
		.amdhsa_user_sgpr_kernarg_segment_ptr 1
		.amdhsa_user_sgpr_dispatch_id 0
		.amdhsa_user_sgpr_private_segment_size 0
		.amdhsa_wavefront_size32 1
		.amdhsa_uses_dynamic_stack 0
		.amdhsa_enable_private_segment 0
		.amdhsa_system_sgpr_workgroup_id_x 1
		.amdhsa_system_sgpr_workgroup_id_y 1
		.amdhsa_system_sgpr_workgroup_id_z 1
		.amdhsa_system_sgpr_workgroup_info 0
		.amdhsa_system_vgpr_workitem_id 0
		.amdhsa_next_free_vgpr 192
		.amdhsa_next_free_sgpr 44
		.amdhsa_reserve_vcc 1
		.amdhsa_float_round_mode_32 0
		.amdhsa_float_round_mode_16_64 0
		.amdhsa_float_denorm_mode_32 3
		.amdhsa_float_denorm_mode_16_64 3
		.amdhsa_fp16_overflow 0
		.amdhsa_workgroup_processor_mode 1
		.amdhsa_memory_ordered 1
		.amdhsa_forward_progress 1
		.amdhsa_inst_pref_size 98
		.amdhsa_round_robin_scheduling 0
		.amdhsa_exception_fp_ieee_invalid_op 0
		.amdhsa_exception_fp_denorm_src 0
		.amdhsa_exception_fp_ieee_div_zero 0
		.amdhsa_exception_fp_ieee_overflow 0
		.amdhsa_exception_fp_ieee_underflow 0
		.amdhsa_exception_fp_ieee_inexact 0
		.amdhsa_exception_int_div_zero 0
	.end_amdhsa_kernel
	.section	.text._ZN4vllm25paged_attention_v2_kernelIfhLi80ELi32ELi128ELNS_18Fp8KVCacheDataTypeE1ELb1ELi512EEEvPfS2_PT_PKS3_PKT0_S9_ifPKiSB_iPKfiiiSD_SD_iiiii,"axG",@progbits,_ZN4vllm25paged_attention_v2_kernelIfhLi80ELi32ELi128ELNS_18Fp8KVCacheDataTypeE1ELb1ELi512EEEvPfS2_PT_PKS3_PKT0_S9_ifPKiSB_iPKfiiiSD_SD_iiiii,comdat
.Lfunc_end227:
	.size	_ZN4vllm25paged_attention_v2_kernelIfhLi80ELi32ELi128ELNS_18Fp8KVCacheDataTypeE1ELb1ELi512EEEvPfS2_PT_PKS3_PKT0_S9_ifPKiSB_iPKfiiiSD_SD_iiiii, .Lfunc_end227-_ZN4vllm25paged_attention_v2_kernelIfhLi80ELi32ELi128ELNS_18Fp8KVCacheDataTypeE1ELb1ELi512EEEvPfS2_PT_PKS3_PKT0_S9_ifPKiSB_iPKfiiiSD_SD_iiiii
                                        ; -- End function
	.set _ZN4vllm25paged_attention_v2_kernelIfhLi80ELi32ELi128ELNS_18Fp8KVCacheDataTypeE1ELb1ELi512EEEvPfS2_PT_PKS3_PKT0_S9_ifPKiSB_iPKfiiiSD_SD_iiiii.num_vgpr, 192
	.set _ZN4vllm25paged_attention_v2_kernelIfhLi80ELi32ELi128ELNS_18Fp8KVCacheDataTypeE1ELb1ELi512EEEvPfS2_PT_PKS3_PKT0_S9_ifPKiSB_iPKfiiiSD_SD_iiiii.num_agpr, 0
	.set _ZN4vllm25paged_attention_v2_kernelIfhLi80ELi32ELi128ELNS_18Fp8KVCacheDataTypeE1ELb1ELi512EEEvPfS2_PT_PKS3_PKT0_S9_ifPKiSB_iPKfiiiSD_SD_iiiii.numbered_sgpr, 44
	.set _ZN4vllm25paged_attention_v2_kernelIfhLi80ELi32ELi128ELNS_18Fp8KVCacheDataTypeE1ELb1ELi512EEEvPfS2_PT_PKS3_PKT0_S9_ifPKiSB_iPKfiiiSD_SD_iiiii.num_named_barrier, 0
	.set _ZN4vllm25paged_attention_v2_kernelIfhLi80ELi32ELi128ELNS_18Fp8KVCacheDataTypeE1ELb1ELi512EEEvPfS2_PT_PKS3_PKT0_S9_ifPKiSB_iPKfiiiSD_SD_iiiii.private_seg_size, 0
	.set _ZN4vllm25paged_attention_v2_kernelIfhLi80ELi32ELi128ELNS_18Fp8KVCacheDataTypeE1ELb1ELi512EEEvPfS2_PT_PKS3_PKT0_S9_ifPKiSB_iPKfiiiSD_SD_iiiii.uses_vcc, 1
	.set _ZN4vllm25paged_attention_v2_kernelIfhLi80ELi32ELi128ELNS_18Fp8KVCacheDataTypeE1ELb1ELi512EEEvPfS2_PT_PKS3_PKT0_S9_ifPKiSB_iPKfiiiSD_SD_iiiii.uses_flat_scratch, 0
	.set _ZN4vllm25paged_attention_v2_kernelIfhLi80ELi32ELi128ELNS_18Fp8KVCacheDataTypeE1ELb1ELi512EEEvPfS2_PT_PKS3_PKT0_S9_ifPKiSB_iPKfiiiSD_SD_iiiii.has_dyn_sized_stack, 0
	.set _ZN4vllm25paged_attention_v2_kernelIfhLi80ELi32ELi128ELNS_18Fp8KVCacheDataTypeE1ELb1ELi512EEEvPfS2_PT_PKS3_PKT0_S9_ifPKiSB_iPKfiiiSD_SD_iiiii.has_recursion, 0
	.set _ZN4vllm25paged_attention_v2_kernelIfhLi80ELi32ELi128ELNS_18Fp8KVCacheDataTypeE1ELb1ELi512EEEvPfS2_PT_PKS3_PKT0_S9_ifPKiSB_iPKfiiiSD_SD_iiiii.has_indirect_call, 0
	.section	.AMDGPU.csdata,"",@progbits
; Kernel info:
; codeLenInByte = 12536
; TotalNumSgprs: 46
; NumVgprs: 192
; ScratchSize: 0
; MemoryBound: 0
; FloatMode: 240
; IeeeMode: 1
; LDSByteSize: 352 bytes/workgroup (compile time only)
; SGPRBlocks: 0
; VGPRBlocks: 23
; NumSGPRsForWavesPerEU: 46
; NumVGPRsForWavesPerEU: 192
; Occupancy: 8
; WaveLimiterHint : 1
; COMPUTE_PGM_RSRC2:SCRATCH_EN: 0
; COMPUTE_PGM_RSRC2:USER_SGPR: 2
; COMPUTE_PGM_RSRC2:TRAP_HANDLER: 0
; COMPUTE_PGM_RSRC2:TGID_X_EN: 1
; COMPUTE_PGM_RSRC2:TGID_Y_EN: 1
; COMPUTE_PGM_RSRC2:TGID_Z_EN: 1
; COMPUTE_PGM_RSRC2:TIDIG_COMP_CNT: 0
	.section	.text._ZN4vllm25paged_attention_v2_kernelIfhLi96ELi32ELi128ELNS_18Fp8KVCacheDataTypeE1ELb1ELi512EEEvPfS2_PT_PKS3_PKT0_S9_ifPKiSB_iPKfiiiSD_SD_iiiii,"axG",@progbits,_ZN4vllm25paged_attention_v2_kernelIfhLi96ELi32ELi128ELNS_18Fp8KVCacheDataTypeE1ELb1ELi512EEEvPfS2_PT_PKS3_PKT0_S9_ifPKiSB_iPKfiiiSD_SD_iiiii,comdat
	.protected	_ZN4vllm25paged_attention_v2_kernelIfhLi96ELi32ELi128ELNS_18Fp8KVCacheDataTypeE1ELb1ELi512EEEvPfS2_PT_PKS3_PKT0_S9_ifPKiSB_iPKfiiiSD_SD_iiiii ; -- Begin function _ZN4vllm25paged_attention_v2_kernelIfhLi96ELi32ELi128ELNS_18Fp8KVCacheDataTypeE1ELb1ELi512EEEvPfS2_PT_PKS3_PKT0_S9_ifPKiSB_iPKfiiiSD_SD_iiiii
	.globl	_ZN4vllm25paged_attention_v2_kernelIfhLi96ELi32ELi128ELNS_18Fp8KVCacheDataTypeE1ELb1ELi512EEEvPfS2_PT_PKS3_PKT0_S9_ifPKiSB_iPKfiiiSD_SD_iiiii
	.p2align	8
	.type	_ZN4vllm25paged_attention_v2_kernelIfhLi96ELi32ELi128ELNS_18Fp8KVCacheDataTypeE1ELb1ELi512EEEvPfS2_PT_PKS3_PKT0_S9_ifPKiSB_iPKfiiiSD_SD_iiiii,@function
_ZN4vllm25paged_attention_v2_kernelIfhLi96ELi32ELi128ELNS_18Fp8KVCacheDataTypeE1ELb1ELi512EEEvPfS2_PT_PKS3_PKT0_S9_ifPKiSB_iPKfiiiSD_SD_iiiii: ; @_ZN4vllm25paged_attention_v2_kernelIfhLi96ELi32ELi128ELNS_18Fp8KVCacheDataTypeE1ELb1ELi512EEEvPfS2_PT_PKS3_PKT0_S9_ifPKiSB_iPKfiiiSD_SD_iiiii
; %bb.0:
	s_load_b64 s[2:3], s[0:1], 0x40
	s_and_b32 s19, ttmp7, 0xffff
	s_lshr_b32 s33, ttmp7, 16
	s_lshl_b32 s4, s19, 2
	s_lshl_b32 s37, s33, 9
	s_wait_kmcnt 0x0
	s_load_b32 s34, s[2:3], s4 offset:0x0
	s_wait_kmcnt 0x0
	s_cmp_ge_i32 s37, s34
	s_cbranch_scc1 .LBB228_148
; %bb.1:
	s_clause 0x1
	s_load_b32 s36, s[0:1], 0x90
	s_load_b64 s[12:13], s[0:1], 0x30
	s_wait_kmcnt 0x0
	s_abs_i32 s5, s36
	s_abs_i32 s2, s12
	s_delay_alu instid0(SALU_CYCLE_1) | instskip(SKIP_1) | instid1(SALU_CYCLE_2)
	s_cvt_f32_u32 s3, s2
	s_sub_co_i32 s4, 0, s2
	v_rcp_iflag_f32_e32 v1, s3
	s_delay_alu instid0(TRANS32_DEP_1) | instskip(SKIP_2) | instid1(SALU_CYCLE_2)
	v_readfirstlane_b32 s3, v1
	s_mul_f32 s3, s3, 0x4f7ffffe
	s_wait_alu 0xfffe
	s_cvt_u32_f32 s3, s3
	s_wait_alu 0xfffe
	s_delay_alu instid0(SALU_CYCLE_2) | instskip(NEXT) | instid1(SALU_CYCLE_1)
	s_mul_i32 s4, s4, s3
	s_mul_hi_u32 s4, s3, s4
	s_delay_alu instid0(SALU_CYCLE_1)
	s_add_co_i32 s3, s3, s4
	s_xor_b32 s4, s36, s12
	s_wait_alu 0xfffe
	s_mul_hi_u32 s3, s5, s3
	s_ashr_i32 s4, s4, 31
	s_wait_alu 0xfffe
	s_mul_i32 s6, s3, s2
	s_delay_alu instid0(SALU_CYCLE_1)
	s_sub_co_i32 s5, s5, s6
	s_add_co_i32 s6, s3, 1
	s_sub_co_i32 s7, s5, s2
	s_cmp_ge_u32 s5, s2
	s_cselect_b32 s3, s6, s3
	s_cselect_b32 s5, s7, s5
	s_wait_alu 0xfffe
	s_add_co_i32 s6, s3, 1
	s_cmp_ge_u32 s5, s2
	s_cselect_b32 s2, s6, s3
	s_load_b64 s[6:7], s[0:1], 0x50
	s_xor_b32 s2, s2, s4
	s_mov_b32 s3, 0
	s_wait_alu 0xfffe
	s_sub_co_i32 s11, s2, s4
	s_mov_b32 s30, s3
	s_abs_i32 s10, s11
	s_delay_alu instid0(SALU_CYCLE_1) | instskip(SKIP_1) | instid1(SALU_CYCLE_2)
	s_cvt_f32_u32 s2, s10
	s_wait_alu 0xfffe
	v_rcp_iflag_f32_e32 v1, s2
	s_delay_alu instid0(TRANS32_DEP_1) | instskip(SKIP_2) | instid1(SALU_CYCLE_2)
	v_readfirstlane_b32 s2, v1
	s_mul_f32 s2, s2, 0x4f7ffffe
	s_wait_alu 0xfffe
	s_cvt_u32_f32 s4, s2
	s_sub_co_i32 s2, 0, s10
	s_wait_alu 0xfffe
	s_delay_alu instid0(SALU_CYCLE_1)
	s_mul_i32 s2, s2, s4
	s_wait_alu 0xfffe
	s_mul_hi_u32 s5, s4, s2
	s_abs_i32 s2, ttmp9
	s_add_co_i32 s4, s4, s5
	s_mov_b32 s5, s3
	s_wait_kmcnt 0x0
	s_cmp_eq_u64 s[6:7], 0
	s_cbranch_scc1 .LBB228_3
; %bb.2:
	s_mov_b32 s8, ttmp9
	s_ashr_i32 s9, ttmp9, 31
	s_delay_alu instid0(SALU_CYCLE_1) | instskip(NEXT) | instid1(SALU_CYCLE_1)
	s_lshl_b64 s[8:9], s[8:9], 2
	s_add_nc_u64 s[6:7], s[6:7], s[8:9]
	s_load_b32 s30, s[6:7], 0x0
.LBB228_3:
	s_load_b96 s[16:18], s[0:1], 0x58
	s_mul_u64 s[8:9], s[2:3], s[4:5]
	s_ashr_i32 s3, ttmp9, 31
	s_ashr_i32 s8, s11, 31
	s_mul_i32 s20, ttmp9, 0x60
	s_mov_b32 s4, exec_lo
	v_cmpx_gt_u32_e32 24, v0
	s_cbranch_execz .LBB228_5
; %bb.4:
	s_load_b64 s[6:7], s[0:1], 0x18
	s_wait_kmcnt 0x0
	s_mul_i32 s14, s16, s19
	s_ashr_i32 s21, s20, 31
	s_ashr_i32 s15, s14, 31
	v_lshlrev_b32_e32 v5, 4, v0
	s_lshl_b64 s[14:15], s[14:15], 2
	s_delay_alu instid0(SALU_CYCLE_1) | instskip(SKIP_1) | instid1(SALU_CYCLE_1)
	s_add_nc_u64 s[6:7], s[6:7], s[14:15]
	s_lshl_b64 s[14:15], s[20:21], 2
	s_add_nc_u64 s[6:7], s[6:7], s[14:15]
	global_load_b128 v[1:4], v5, s[6:7]
	s_wait_loadcnt 0x0
	ds_store_b128 v5, v[1:4]
.LBB228_5:
	s_or_b32 exec_lo, exec_lo, s4
	s_load_b128 s[4:7], s[0:1], 0x78
	s_mul_i32 s11, s9, s10
	s_xor_b32 s3, s3, s8
	s_sub_co_i32 s2, s2, s11
	s_add_co_i32 s8, s9, 1
	s_wait_alu 0xfffe
	s_sub_co_i32 s11, s2, s10
	s_cmp_ge_u32 s2, s10
                                        ; implicit-def: $sgpr21
	s_cselect_b32 s8, s8, s9
	s_cselect_b32 s2, s11, s2
	s_add_co_i32 s9, s8, 1
	s_wait_alu 0xfffe
	s_cmp_ge_u32 s2, s10
	s_mov_b32 s10, -1
	s_cselect_b32 s2, s9, s8
	s_load_b32 s8, s[0:1], 0x88
	s_xor_b32 s2, s2, s3
	s_wait_dscnt 0x0
	s_wait_alu 0xfffe
	s_sub_co_i32 s28, s2, s3
	s_barrier_signal -1
	s_barrier_wait -1
	s_wait_kmcnt 0x0
	s_abs_i32 s16, s7
	global_inv scope:SCOPE_SE
	s_cvt_f32_u32 s9, s16
	s_delay_alu instid0(SALU_CYCLE_3) | instskip(NEXT) | instid1(TRANS32_DEP_1)
	v_rcp_iflag_f32_e32 v1, s9
	v_readfirstlane_b32 s9, v1
	s_mul_f32 s2, s9, 0x4f7ffffe
	s_add_co_i32 s9, s34, -1
	s_wait_alu 0xfffe
	s_delay_alu instid0(SALU_CYCLE_1) | instskip(SKIP_2) | instid1(SALU_CYCLE_1)
	s_cvt_u32_f32 s11, s2
	s_sub_co_i32 s2, 0, s16
	s_wait_alu 0xfffe
	s_mul_i32 s3, s2, s11
	s_abs_i32 s2, s9
	s_wait_alu 0xfffe
	s_mul_hi_u32 s14, s11, s3
	s_mov_b32 s3, 0
	s_add_co_i32 s22, s11, s14
	s_cmp_lt_i32 s8, 0
	s_wait_alu 0xfffe
	s_mov_b32 s23, s3
	s_cbranch_scc0 .LBB228_7
; %bb.6:
	s_mul_i32 s10, s4, s12
	s_delay_alu instid0(SALU_CYCLE_1) | instskip(NEXT) | instid1(SALU_CYCLE_1)
	s_add_co_i32 s10, s28, s10
	s_mul_i32 s10, s10, s8
	s_delay_alu instid0(SALU_CYCLE_1)
	s_sub_co_i32 s21, 1, s10
	s_mov_b32 s10, s3
.LBB228_7:
	s_mul_u64 s[14:15], s[2:3], s[22:23]
	s_ashr_i32 s3, s9, 31
	s_and_not1_b32 vcc_lo, exec_lo, s10
	s_ashr_i32 s23, s7, 31
	s_cbranch_vccnz .LBB228_9
; %bb.8:
	s_mul_i32 s4, s36, s4
	s_delay_alu instid0(SALU_CYCLE_1) | instskip(NEXT) | instid1(SALU_CYCLE_1)
	s_add_co_i32 s4, s4, ttmp9
	s_mul_i32 s4, s4, s8
	s_delay_alu instid0(SALU_CYCLE_1)
	s_add_co_i32 s21, s4, 1
.LBB228_9:
	s_clause 0x3
	s_load_b32 s4, s[0:1], 0x48
	s_load_b64 s[24:25], s[0:1], 0x38
	s_load_b32 s7, s[0:1], 0x98
	s_load_b128 s[8:11], s[0:1], 0x68
	s_mul_i32 s12, s15, s16
	s_xor_b32 s3, s3, s23
	s_sub_co_i32 s2, s2, s12
	s_add_co_i32 s14, s15, 1
	v_lshrrev_b32_e32 v130, 5, v0
	v_dual_mov_b32 v136, 0xff7fffff :: v_dual_and_b32 v131, 31, v0
	s_mul_i32 s28, s28, s18
	s_delay_alu instid0(VALU_DEP_2) | instskip(NEXT) | instid1(VALU_DEP_2)
	v_lshl_add_u32 v103, v130, 5, s37
	v_lshlrev_b32_e32 v129, 2, v131
	s_wait_kmcnt 0x0
	s_mul_i32 s26, s4, s19
	s_wait_alu 0xfffe
	s_sub_co_i32 s4, s2, s16
	s_ashr_i32 s27, s26, 31
	s_cmp_ge_u32 s2, s16
	s_cselect_b32 s12, s14, s15
	s_cselect_b32 s2, s4, s2
	s_add_co_i32 s4, s12, 1
	s_wait_alu 0xfffe
	s_cmp_ge_u32 s2, s16
	s_cselect_b32 s2, s4, s12
	s_add_co_i32 s4, s34, 31
	s_lshl_b32 s40, s33, 4
	s_ashr_i32 s12, s4, 31
	v_add_nc_u32_e32 v104, s40, v130
	s_lshr_b32 s12, s12, 27
	s_delay_alu instid0(SALU_CYCLE_1)
	s_add_co_i32 s4, s4, s12
	s_add_co_i32 s12, s40, 16
	s_ashr_i32 s38, s4, 5
	s_wait_alu 0xfffe
	s_xor_b32 s4, s2, s3
	s_min_i32 s35, s12, s38
	v_lshlrev_b32_e32 v10, 2, v104
	v_cmp_gt_i32_e64 s2, s35, v104
	s_sub_co_i32 s39, s4, s3
	s_and_saveexec_b32 s12, s2
	s_cbranch_execz .LBB228_17
; %bb.10:
	s_sub_co_i32 s14, s39, s5
	s_ashr_i32 s29, s28, 31
	s_cmp_neq_f32 s30, 0
	s_load_b64 s[42:43], s[0:1], 0x20
	v_dual_mov_b32 v132, 0xff7fffff :: v_dual_lshlrev_b32 v3, 4, v131
	s_cselect_b32 vcc_lo, -1, 0
	s_abs_i32 s15, s6
	v_lshl_add_u32 v108, v130, 5, s37
	s_cvt_f32_u32 s3, s15
	v_mov_b32_e32 v112, v104
	s_mov_b32 s18, s17
	v_mov_b32_e32 v136, 0xff7fffff
	s_wait_alu 0xfffe
	v_rcp_iflag_f32_e32 v2, s3
	s_delay_alu instid0(TRANS32_DEP_1)
	v_readfirstlane_b32 s3, v2
	v_lshl_or_b32 v2, v130, 7, v129
	v_mov_b32_e32 v1, 0
	s_wait_kmcnt 0x0
	s_add_nc_u64 s[42:43], s[42:43], s[28:29]
	s_mul_f32 s3, s3, 0x4f7ffffe
	v_add_nc_u32_e32 v110, 0x1a0, v2
	ds_load_b128 v[137:140], v1
	ds_load_b128 v[141:144], v1 offset:16
	ds_load_b128 v[145:148], v1 offset:32
	;; [unrolled: 1-line block ×23, first 2 shown]
	v_add_co_u32 v134, s4, s42, v3
	s_delay_alu instid0(VALU_DEP_1)
	v_add_co_ci_u32_e64 v135, null, s43, 0, s4
	s_lshl_b64 s[42:43], s[26:27], 2
	s_wait_alu 0xfffe
	s_cvt_u32_f32 s3, s3
	v_subrev_nc_u32_e32 v1, s34, v131
	s_add_nc_u64 s[42:43], s[24:25], s[42:43]
	s_sub_co_i32 s4, 0, s15
	s_wait_alu 0xfffe
	v_add_co_u32 v99, s29, s42, v10
	s_mul_i32 s4, s4, s3
	v_add_co_ci_u32_e64 v100, null, s43, 0, s29
	v_add_nc_u32_e32 v133, 1, v1
	s_wait_alu 0xfffe
	s_mul_hi_u32 s4, s3, s4
	s_mov_b32 s29, 0
	s_wait_alu 0xfffe
	s_add_co_i32 s31, s3, s4
	s_branch .LBB228_12
.LBB228_11:                             ;   in Loop: Header=BB228_12 Depth=1
	s_wait_alu 0xfffe
	s_or_b32 exec_lo, exec_lo, s4
	v_add_nc_u32_e32 v112, 4, v112
	v_add_co_u32 v99, s4, v99, 16
	s_wait_alu 0xf1ff
	v_add_co_ci_u32_e64 v100, null, 0, v100, s4
	s_delay_alu instid0(VALU_DEP_3)
	v_cmp_le_i32_e64 s3, s35, v112
	v_add_nc_u32_e32 v108, 0x80, v108
	v_add_nc_u32_e32 v110, 0x200, v110
	s_or_b32 s29, s3, s29
	s_wait_alu 0xfffe
	s_and_not1_b32 exec_lo, exec_lo, s29
	s_cbranch_execz .LBB228_16
.LBB228_12:                             ; =>This Inner Loop Header: Depth=1
	v_sub_nc_u32_e32 v1, 0, v108
	s_delay_alu instid0(VALU_DEP_1) | instskip(NEXT) | instid1(VALU_DEP_1)
	v_max_i32_e32 v1, v108, v1
	v_mul_hi_u32 v2, v1, s22
	s_delay_alu instid0(VALU_DEP_1) | instskip(NEXT) | instid1(VALU_DEP_1)
	v_mul_lo_u32 v3, v2, s16
	v_sub_nc_u32_e32 v1, v1, v3
	v_add_nc_u32_e32 v3, 1, v2
	s_delay_alu instid0(VALU_DEP_2) | instskip(SKIP_2) | instid1(VALU_DEP_1)
	v_subrev_nc_u32_e32 v4, s16, v1
	v_cmp_le_u32_e64 s3, s16, v1
	s_wait_alu 0xf1ff
	v_cndmask_b32_e64 v2, v2, v3, s3
	s_delay_alu instid0(VALU_DEP_3) | instskip(SKIP_1) | instid1(VALU_DEP_3)
	v_cndmask_b32_e64 v1, v1, v4, s3
	v_ashrrev_i32_e32 v3, 31, v108
	v_add_nc_u32_e32 v4, 1, v2
	s_delay_alu instid0(VALU_DEP_3) | instskip(NEXT) | instid1(VALU_DEP_3)
	v_cmp_le_u32_e64 s3, s16, v1
	v_xor_b32_e32 v3, s23, v3
	s_wait_alu 0xf1ff
	s_delay_alu instid0(VALU_DEP_2) | instskip(NEXT) | instid1(VALU_DEP_1)
	v_cndmask_b32_e64 v1, v2, v4, s3
	v_xor_b32_e32 v1, v1, v3
	s_delay_alu instid0(VALU_DEP_1) | instskip(NEXT) | instid1(VALU_DEP_1)
	v_sub_nc_u32_e32 v1, v1, v3
	v_add_nc_u32_e32 v2, s21, v1
	v_cmp_ge_i32_e64 s4, s14, v1
	s_delay_alu instid0(VALU_DEP_2) | instskip(NEXT) | instid1(VALU_DEP_1)
	v_sub_nc_u32_e32 v3, 0, v2
	v_max_i32_e32 v3, v2, v3
	v_ashrrev_i32_e32 v2, 31, v2
	s_delay_alu instid0(VALU_DEP_2) | instskip(NEXT) | instid1(VALU_DEP_1)
	v_mul_hi_u32 v4, v3, s31
	v_mul_lo_u32 v4, v4, s15
	s_delay_alu instid0(VALU_DEP_1) | instskip(NEXT) | instid1(VALU_DEP_1)
	v_sub_nc_u32_e32 v3, v3, v4
	v_subrev_nc_u32_e32 v4, s15, v3
	v_cmp_le_u32_e64 s3, s15, v3
	s_wait_alu 0xf1ff
	s_delay_alu instid0(VALU_DEP_1) | instskip(NEXT) | instid1(VALU_DEP_1)
	v_cndmask_b32_e64 v3, v3, v4, s3
	v_subrev_nc_u32_e32 v4, s15, v3
	v_cmp_le_u32_e64 s3, s15, v3
	s_wait_alu 0xf1ff
	s_delay_alu instid0(VALU_DEP_1) | instskip(NEXT) | instid1(VALU_DEP_1)
	v_cndmask_b32_e64 v3, v3, v4, s3
	v_xor_b32_e32 v3, v3, v2
	s_delay_alu instid0(VALU_DEP_1) | instskip(NEXT) | instid1(VALU_DEP_1)
	v_sub_nc_u32_e32 v2, v3, v2
	v_cmp_ne_u32_e64 s3, 0, v2
	s_and_b32 s3, s3, s4
	s_wait_alu 0xfffe
	s_and_saveexec_b32 s4, s3
	s_wait_alu 0xfffe
	s_xor_b32 s3, exec_lo, s4
; %bb.13:                               ;   in Loop: Header=BB228_12 Depth=1
	ds_store_b32 v110, v132
; %bb.14:                               ;   in Loop: Header=BB228_12 Depth=1
	s_wait_alu 0xfffe
	s_and_not1_saveexec_b32 s4, s3
	s_cbranch_execz .LBB228_11
; %bb.15:                               ;   in Loop: Header=BB228_12 Depth=1
	global_load_b32 v1, v[99:100], off
	s_wait_loadcnt 0x0
	v_mad_co_i64_i32 v[105:106], null, v1, s18, v[134:135]
	s_clause 0x1
	global_load_b128 v[1:4], v[105:106], off
	global_load_b128 v[14:17], v[105:106], off offset:512
	s_wait_loadcnt 0x1
	v_and_b32_e32 v11, 0xffff, v2
	v_lshrrev_b32_e32 v10, 16, v2
	v_and_b32_e32 v9, 0xffff, v3
	v_lshrrev_b32_e32 v8, 16, v3
	;; [unrolled: 2-line block ×3, first 2 shown]
	s_wait_loadcnt 0x0
	v_and_b32_e32 v5, 0xffff, v14
	v_lshrrev_b32_e32 v122, 16, v14
	v_and_b32_e32 v119, 0xffff, v15
	v_lshrrev_b32_e32 v4, 16, v15
	;; [unrolled: 2-line block ×4, first 2 shown]
	s_clause 0x1
	global_load_b128 v[14:17], v[105:106], off offset:1024
	global_load_b128 v[113:116], v[105:106], off offset:1536
	v_and_b32_e32 v13, 0xffff, v1
	v_lshrrev_b32_e32 v12, 16, v1
	s_wait_loadcnt 0x1
	v_and_b32_e32 v20, 0xffff, v14
	v_lshrrev_b32_e32 v21, 16, v14
	v_and_b32_e32 v22, 0xffff, v15
	v_lshrrev_b32_e32 v23, 16, v15
	;; [unrolled: 2-line block ×3, first 2 shown]
	s_wait_loadcnt 0x0
	v_and_b32_e32 v16, 0xffff, v113
	v_lshrrev_b32_e32 v15, 16, v113
	v_and_b32_e32 v14, 0xffff, v114
	v_lshrrev_b32_e32 v1, 16, v114
	;; [unrolled: 2-line block ×4, first 2 shown]
	s_clause 0x1
	global_load_b128 v[113:116], v[105:106], off offset:2048
	global_load_b128 v[157:160], v[105:106], off offset:2560
	s_load_b32 s3, s[8:9], 0x0
	s_wait_loadcnt 0x1
	v_and_b32_e32 v102, 0xffff, v114
	s_wait_loadcnt 0x0
	v_and_b32_e32 v124, 0xffff, v157
	v_lshrrev_b32_e32 v123, 16, v157
	v_and_b32_e32 v121, 0xffff, v158
	v_lshrrev_b32_e32 v120, 16, v158
	v_cvt_pk_f32_fp8_e32 v[157:158], v13
	v_cvt_pk_f32_fp8_e32 v[12:13], v12
	v_lshrrev_b32_e32 v106, 16, v114
	v_and_b32_e32 v126, 0xffff, v116
	v_lshrrev_b32_e32 v125, 16, v116
	v_and_b32_e32 v116, 0xffff, v159
	v_lshrrev_b32_e32 v114, 16, v159
	s_wait_kmcnt 0x0
	v_mul_f32_e32 v159, s3, v12
	v_cvt_pk_f32_fp8_e32 v[11:12], v11
	v_and_b32_e32 v107, 0xffff, v113
	v_lshrrev_b32_e32 v109, 16, v113
	v_and_b32_e32 v105, 0xffff, v115
	v_lshrrev_b32_e32 v127, 16, v115
	;; [unrolled: 2-line block ×3, first 2 shown]
	v_mul_f32_e32 v160, s3, v11
	v_cvt_pk_f32_fp8_e32 v[10:11], v10
	v_and_b32_e32 v18, 0xffff, v17
	v_mul_f32_e32 v157, s3, v157
	v_mul_f32_e32 v13, s3, v13
	v_lshrrev_b32_e32 v17, 16, v17
	v_mul_f32_e32 v165, s3, v10
	v_cvt_pk_f32_fp8_e32 v[9:10], v9
	v_dual_mul_f32 v11, s3, v11 :: v_dual_mul_f32 v12, s3, v12
	v_mul_f32_e32 v158, s3, v158
	s_delay_alu instid0(VALU_DEP_3) | instskip(SKIP_1) | instid1(VALU_DEP_1)
	v_mul_f32_e32 v166, s3, v9
	v_cvt_pk_f32_fp8_e32 v[8:9], v8
	v_dual_mul_f32 v10, s3, v10 :: v_dual_mul_f32 v167, s3, v8
	v_cvt_pk_f32_fp8_e32 v[7:8], v7
	s_delay_alu instid0(VALU_DEP_1) | instskip(SKIP_1) | instid1(VALU_DEP_1)
	v_dual_mul_f32 v9, s3, v9 :: v_dual_mul_f32 v168, s3, v7
	v_cvt_pk_f32_fp8_e32 v[6:7], v6
	v_dual_mul_f32 v8, s3, v8 :: v_dual_mul_f32 v169, s3, v6
	v_cvt_pk_f32_fp8_e32 v[5:6], v5
	s_delay_alu instid0(VALU_DEP_1) | instskip(NEXT) | instid1(VALU_DEP_2)
	v_dual_mul_f32 v7, s3, v7 :: v_dual_mul_f32 v170, s3, v6
	v_mul_f32_e32 v171, s3, v5
	v_cvt_pk_f32_fp8_e32 v[5:6], v122
	s_wait_dscnt 0x16
	v_mul_f32_e32 v122, v144, v11
	s_delay_alu instid0(VALU_DEP_2) | instskip(SKIP_1) | instid1(VALU_DEP_3)
	v_dual_mul_f32 v172, s3, v6 :: v_dual_mul_f32 v173, s3, v5
	v_cvt_pk_f32_fp8_e32 v[5:6], v119
	v_dual_mul_f32 v119, v142, v12 :: v_dual_fmac_f32 v122, v140, v13
	s_delay_alu instid0(VALU_DEP_2) | instskip(SKIP_1) | instid1(VALU_DEP_3)
	v_mul_f32_e32 v174, s3, v5
	v_cvt_pk_f32_fp8_e32 v[4:5], v4
	v_fmac_f32_e32 v119, v138, v158
	v_mul_f32_e32 v6, s3, v6
	s_wait_dscnt 0x15
	s_delay_alu instid0(VALU_DEP_3) | instskip(SKIP_2) | instid1(VALU_DEP_2)
	v_dual_fmac_f32 v122, v148, v9 :: v_dual_mul_f32 v175, s3, v4
	v_cvt_pk_f32_fp8_e32 v[3:4], v3
	s_wait_dscnt 0x14
	v_dual_mul_f32 v5, s3, v5 :: v_dual_fmac_f32 v122, v152, v7
	s_delay_alu instid0(VALU_DEP_2) | instskip(SKIP_3) | instid1(VALU_DEP_2)
	v_mul_f32_e32 v176, s3, v3
	v_cvt_pk_f32_fp8_e32 v[2:3], v2
	v_mul_f32_e32 v4, s3, v4
	s_wait_dscnt 0x13
	v_dual_fmac_f32 v122, v156, v172 :: v_dual_mul_f32 v177, s3, v3
	s_delay_alu instid0(VALU_DEP_3) | instskip(SKIP_3) | instid1(VALU_DEP_2)
	v_mul_f32_e32 v178, s3, v2
	v_cvt_pk_f32_fp8_e32 v[2:3], v118
	v_mul_f32_e32 v118, v143, v165
	s_wait_dscnt 0x12
	v_dual_fmac_f32 v122, v164, v5 :: v_dual_mul_f32 v179, s3, v3
	s_delay_alu instid0(VALU_DEP_3) | instskip(SKIP_3) | instid1(VALU_DEP_2)
	v_mul_f32_e32 v180, s3, v2
	v_cvt_pk_f32_fp8_e32 v[2:3], v117
	v_dual_mul_f32 v117, v141, v160 :: v_dual_fmac_f32 v118, v139, v159
	s_wait_dscnt 0x11
	v_dual_fmac_f32 v122, v28, v177 :: v_dual_mul_f32 v181, s3, v3
	s_delay_alu instid0(VALU_DEP_3) | instskip(SKIP_4) | instid1(VALU_DEP_3)
	v_mul_f32_e32 v182, s3, v2
	v_cvt_pk_f32_fp8_e32 v[2:3], v20
	v_dual_fmac_f32 v117, v137, v157 :: v_dual_fmac_f32 v118, v147, v167
	s_wait_dscnt 0x10
	v_fmac_f32_e32 v122, v32, v181
	v_dual_mul_f32 v20, s3, v3 :: v_dual_mul_f32 v183, s3, v2
	v_cvt_pk_f32_fp8_e32 v[2:3], v21
	v_fmac_f32_e32 v117, v145, v166
	s_delay_alu instid0(VALU_DEP_2) | instskip(SKIP_1) | instid1(VALU_DEP_1)
	v_dual_mul_f32 v21, s3, v3 :: v_dual_mul_f32 v184, s3, v2
	v_cvt_pk_f32_fp8_e32 v[2:3], v22
	v_dual_mul_f32 v22, s3, v3 :: v_dual_mul_f32 v185, s3, v2
	v_cvt_pk_f32_fp8_e32 v[2:3], v23
	s_delay_alu instid0(VALU_DEP_1) | instskip(SKIP_1) | instid1(VALU_DEP_1)
	v_dual_mul_f32 v23, s3, v3 :: v_dual_mul_f32 v186, s3, v2
	v_cvt_pk_f32_fp8_e32 v[2:3], v24
	v_dual_mul_f32 v24, s3, v3 :: v_dual_mul_f32 v187, s3, v2
	v_cvt_pk_f32_fp8_e32 v[2:3], v19
	s_delay_alu instid0(VALU_DEP_1) | instskip(SKIP_1) | instid1(VALU_DEP_1)
	;; [unrolled: 5-line block ×4, first 2 shown]
	v_dual_mul_f32 v15, s3, v3 :: v_dual_mul_f32 v128, s3, v2
	v_cvt_pk_f32_fp8_e32 v[2:3], v14
	v_dual_mul_f32 v3, s3, v3 :: v_dual_mul_f32 v14, s3, v2
	v_cvt_pk_f32_fp8_e32 v[1:2], v1
	v_fmac_f32_e32 v119, v146, v10
	s_delay_alu instid0(VALU_DEP_2) | instskip(NEXT) | instid1(VALU_DEP_2)
	v_dual_fmac_f32 v117, v149, v168 :: v_dual_mul_f32 v10, s3, v1
	v_dual_fmac_f32 v119, v150, v8 :: v_dual_mul_f32 v8, s3, v2
	v_cvt_pk_f32_fp8_e32 v[1:2], v98
	s_delay_alu instid0(VALU_DEP_3) | instskip(NEXT) | instid1(VALU_DEP_3)
	v_dual_fmac_f32 v118, v151, v169 :: v_dual_fmac_f32 v117, v153, v171
	v_fmac_f32_e32 v119, v154, v170
	s_delay_alu instid0(VALU_DEP_2) | instskip(NEXT) | instid1(VALU_DEP_4)
	v_dual_mul_f32 v9, s3, v2 :: v_dual_fmac_f32 v118, v155, v173
	v_mul_f32_e32 v11, s3, v1
	v_cvt_pk_f32_fp8_e32 v[1:2], v97
	v_fmac_f32_e32 v117, v161, v174
	s_delay_alu instid0(VALU_DEP_4) | instskip(NEXT) | instid1(VALU_DEP_3)
	v_dual_fmac_f32 v119, v162, v6 :: v_dual_fmac_f32 v118, v163, v175
	v_dual_mul_f32 v6, s3, v2 :: v_dual_mul_f32 v7, s3, v1
	v_cvt_pk_f32_fp8_e32 v[1:2], v111
	s_delay_alu instid0(VALU_DEP_4) | instskip(NEXT) | instid1(VALU_DEP_2)
	v_fmac_f32_e32 v117, v25, v176
	v_dual_fmac_f32 v119, v26, v4 :: v_dual_mul_f32 v4, s3, v2
	s_delay_alu instid0(VALU_DEP_3) | instskip(SKIP_1) | instid1(VALU_DEP_4)
	v_mul_f32_e32 v12, s3, v1
	v_cvt_pk_f32_fp8_e32 v[1:2], v101
	v_dual_fmac_f32 v118, v27, v178 :: v_dual_fmac_f32 v117, v29, v180
	s_delay_alu instid0(VALU_DEP_4) | instskip(NEXT) | instid1(VALU_DEP_3)
	v_fmac_f32_e32 v119, v30, v179
	v_mul_f32_e32 v5, s3, v2
	s_delay_alu instid0(VALU_DEP_3) | instskip(SKIP_4) | instid1(VALU_DEP_3)
	v_dual_mul_f32 v13, s3, v1 :: v_dual_fmac_f32 v118, v31, v182
	v_cvt_pk_f32_fp8_e32 v[1:2], v107
	s_wait_dscnt 0xf
	v_fmac_f32_e32 v117, v33, v183
	v_fmac_f32_e32 v119, v34, v20
	v_dual_fmac_f32 v118, v35, v184 :: v_dual_mul_f32 v97, s3, v1
	v_mul_f32_e32 v20, s3, v2
	v_cvt_pk_f32_fp8_e32 v[1:2], v109
	s_wait_dscnt 0xe
	s_delay_alu instid0(VALU_DEP_3) | instskip(SKIP_1) | instid1(VALU_DEP_3)
	v_dual_fmac_f32 v117, v37, v185 :: v_dual_fmac_f32 v118, v39, v186
	v_dual_fmac_f32 v119, v38, v22 :: v_dual_fmac_f32 v122, v36, v21
	v_mul_f32_e32 v22, s3, v2
	v_mul_f32_e32 v98, s3, v1
	v_cvt_pk_f32_fp8_e32 v[1:2], v102
	s_wait_dscnt 0xd
	v_fmac_f32_e32 v117, v41, v187
	v_dual_fmac_f32 v119, v42, v24 :: v_dual_fmac_f32 v122, v40, v23
	s_delay_alu instid0(VALU_DEP_3)
	v_dual_fmac_f32 v118, v43, v188 :: v_dual_mul_f32 v21, s3, v2
	v_mul_f32_e32 v24, s3, v1
	v_cvt_pk_f32_fp8_e32 v[1:2], v106
	s_wait_dscnt 0xc
	v_fmac_f32_e32 v117, v45, v189
	v_dual_fmac_f32 v119, v46, v18 :: v_dual_fmac_f32 v122, v44, v19
	v_fmac_f32_e32 v118, v47, v190
	v_dual_mul_f32 v18, s3, v2 :: v_dual_mul_f32 v23, s3, v1
	v_cvt_pk_f32_fp8_e32 v[1:2], v105
	s_wait_dscnt 0xb
	v_fmac_f32_e32 v117, v49, v191
	v_dual_fmac_f32 v119, v50, v16 :: v_dual_fmac_f32 v122, v48, v17
	s_delay_alu instid0(VALU_DEP_3)
	v_dual_fmac_f32 v118, v51, v128 :: v_dual_mul_f32 v19, s3, v1
	v_mul_f32_e32 v16, s3, v2
	v_cvt_pk_f32_fp8_e32 v[1:2], v127
	s_wait_dscnt 0xa
	v_fmac_f32_e32 v117, v53, v14
	v_fmac_f32_e32 v119, v54, v3
	;; [unrolled: 1-line block ×4, first 2 shown]
	v_dual_mul_f32 v3, s3, v2 :: v_dual_mul_f32 v14, s3, v1
	v_cvt_pk_f32_fp8_e32 v[1:2], v126
	s_wait_dscnt 0x9
	v_fmac_f32_e32 v117, v57, v11
	v_dual_fmac_f32 v119, v58, v9 :: v_dual_fmac_f32 v122, v56, v8
	s_delay_alu instid0(VALU_DEP_3)
	v_dual_fmac_f32 v118, v59, v7 :: v_dual_mul_f32 v9, s3, v2
	v_mul_f32_e32 v10, s3, v1
	v_cvt_pk_f32_fp8_e32 v[1:2], v125
	s_wait_dscnt 0x8
	v_fmac_f32_e32 v117, v61, v12
	v_dual_fmac_f32 v119, v62, v4 :: v_dual_fmac_f32 v122, v60, v6
	s_delay_alu instid0(VALU_DEP_3) | instskip(SKIP_2) | instid1(VALU_DEP_3)
	v_dual_mul_f32 v7, s3, v1 :: v_dual_mul_f32 v4, s3, v2
	v_cvt_pk_f32_fp8_e32 v[1:2], v124
	s_wait_dscnt 0x7
	v_dual_fmac_f32 v118, v63, v13 :: v_dual_fmac_f32 v119, v66, v20
	s_delay_alu instid0(VALU_DEP_2) | instskip(NEXT) | instid1(VALU_DEP_3)
	v_dual_fmac_f32 v117, v65, v97 :: v_dual_mul_f32 v6, s3, v2
	v_mul_f32_e32 v8, s3, v1
	v_cvt_pk_f32_fp8_e32 v[1:2], v123
	v_fmac_f32_e32 v122, v64, v5
	s_wait_dscnt 0x6
	v_dual_fmac_f32 v118, v67, v98 :: v_dual_fmac_f32 v119, v70, v21
	v_fmac_f32_e32 v117, v69, v24
	v_mul_f32_e32 v5, s3, v2
	v_dual_mul_f32 v11, s3, v1 :: v_dual_fmac_f32 v122, v68, v22
	v_cvt_pk_f32_fp8_e32 v[1:2], v121
	s_wait_dscnt 0x5
	v_dual_fmac_f32 v118, v71, v23 :: v_dual_fmac_f32 v119, v74, v16
	s_delay_alu instid0(VALU_DEP_3) | instskip(NEXT) | instid1(VALU_DEP_3)
	v_dual_fmac_f32 v117, v73, v19 :: v_dual_fmac_f32 v122, v72, v18
	v_dual_mul_f32 v13, s3, v1 :: v_dual_mul_f32 v12, s3, v2
	v_cvt_pk_f32_fp8_e32 v[1:2], v120
	s_wait_dscnt 0x4
	v_dual_fmac_f32 v118, v75, v14 :: v_dual_fmac_f32 v119, v78, v9
	v_dual_fmac_f32 v117, v77, v10 :: v_dual_fmac_f32 v122, v76, v3
	s_delay_alu instid0(VALU_DEP_3) | instskip(SKIP_2) | instid1(VALU_DEP_3)
	v_dual_mul_f32 v9, s3, v2 :: v_dual_mul_f32 v10, s3, v1
	v_cvt_pk_f32_fp8_e32 v[1:2], v116
	s_wait_dscnt 0x3
	v_dual_fmac_f32 v118, v79, v7 :: v_dual_fmac_f32 v117, v81, v8
	v_dual_fmac_f32 v119, v82, v6 :: v_dual_fmac_f32 v122, v80, v4
	s_delay_alu instid0(VALU_DEP_3) | instskip(SKIP_4) | instid1(VALU_DEP_3)
	v_dual_mul_f32 v3, s3, v2 :: v_dual_mul_f32 v6, s3, v1
	v_cvt_pk_f32_fp8_e32 v[1:2], v115
	s_wait_dscnt 0x2
	v_dual_fmac_f32 v118, v83, v11 :: v_dual_fmac_f32 v117, v85, v13
	v_dual_fmac_f32 v119, v86, v12 :: v_dual_fmac_f32 v122, v84, v5
	v_dual_mul_f32 v4, s3, v2 :: v_dual_mul_f32 v7, s3, v1
	s_delay_alu instid0(VALU_DEP_3) | instskip(SKIP_4) | instid1(VALU_DEP_3)
	v_fmac_f32_e32 v118, v87, v10
	v_cvt_pk_f32_fp8_e32 v[1:2], v114
	s_wait_dscnt 0x1
	v_fmac_f32_e32 v117, v89, v6
	v_dual_fmac_f32 v119, v90, v3 :: v_dual_fmac_f32 v122, v88, v9
	v_mul_f32_e32 v1, s3, v1
	s_delay_alu instid0(VALU_DEP_1) | instskip(SKIP_2) | instid1(VALU_DEP_2)
	v_dual_mul_f32 v3, s3, v2 :: v_dual_fmac_f32 v118, v91, v1
	v_cvt_pk_f32_fp8_e32 v[1:2], v113
	s_wait_dscnt 0x0
	v_dual_fmac_f32 v119, v94, v4 :: v_dual_fmac_f32 v122, v92, v3
	s_delay_alu instid0(VALU_DEP_2) | instskip(NEXT) | instid1(VALU_DEP_1)
	v_dual_mul_f32 v2, s3, v2 :: v_dual_mul_f32 v1, s3, v1
	v_dual_fmac_f32 v122, v96, v2 :: v_dual_fmac_f32 v117, v93, v7
	s_delay_alu instid0(VALU_DEP_2) | instskip(SKIP_1) | instid1(VALU_DEP_1)
	v_fmac_f32_e32 v118, v95, v1
	v_add_nc_u32_e32 v2, v133, v108
	v_cvt_f32_i32_e32 v2, v2
	s_delay_alu instid0(VALU_DEP_1) | instskip(NEXT) | instid1(VALU_DEP_1)
	v_dual_add_f32 v1, v117, v119 :: v_dual_mul_f32 v2, s30, v2
	v_dual_add_f32 v1, v118, v1 :: v_dual_cndmask_b32 v2, 0, v2
	s_delay_alu instid0(VALU_DEP_1) | instskip(NEXT) | instid1(VALU_DEP_1)
	v_add_f32_e32 v1, v122, v1
	v_dual_fmac_f32 v2, s13, v1 :: v_dual_add_nc_u32 v1, v131, v108
	s_delay_alu instid0(VALU_DEP_1) | instskip(SKIP_1) | instid1(VALU_DEP_1)
	v_cmp_gt_i32_e64 s3, s34, v1
	v_max_num_f32_e32 v1, v136, v136
	v_max_num_f32_e32 v1, v1, v2
	s_wait_alu 0xf1ff
	s_delay_alu instid0(VALU_DEP_3) | instskip(NEXT) | instid1(VALU_DEP_2)
	v_cndmask_b32_e64 v2, 0, v2, s3
	v_cndmask_b32_e64 v136, v136, v1, s3
	ds_store_b32 v110, v2
	s_branch .LBB228_11
.LBB228_16:
	s_or_b32 exec_lo, exec_lo, s29
	v_lshlrev_b32_e32 v10, 2, v104
.LBB228_17:
	s_or_b32 exec_lo, exec_lo, s12
	v_mbcnt_lo_u32_b32 v1, -1, 0
	s_clause 0x2
	s_load_b128 s[12:15], s[0:1], 0x0
	s_load_b64 s[8:9], s[0:1], 0x10
	s_load_b64 s[30:31], s[0:1], 0x28
	v_max_num_f32_e32 v5, v136, v136
	v_xor_b32_e32 v2, 16, v1
	v_xor_b32_e32 v4, 8, v1
	s_delay_alu instid0(VALU_DEP_2) | instskip(SKIP_2) | instid1(VALU_DEP_3)
	v_cmp_gt_i32_e32 vcc_lo, 32, v2
	s_wait_alu 0xfffd
	v_cndmask_b32_e32 v2, v1, v2, vcc_lo
	v_cmp_gt_i32_e32 vcc_lo, 32, v4
	s_delay_alu instid0(VALU_DEP_2)
	v_lshlrev_b32_e32 v2, 2, v2
	s_wait_alu 0xfffd
	v_cndmask_b32_e32 v4, v1, v4, vcc_lo
	ds_bpermute_b32 v3, v2, v136
	s_wait_dscnt 0x0
	v_dual_max_num_f32 v6, v3, v3 :: v_dual_lshlrev_b32 v3, 2, v4
	s_delay_alu instid0(VALU_DEP_1)
	v_max_num_f32_e32 v4, v5, v6
	v_xor_b32_e32 v6, 4, v1
	ds_bpermute_b32 v5, v3, v4
	v_cmp_gt_i32_e32 vcc_lo, 32, v6
	s_wait_alu 0xfffd
	v_cndmask_b32_e32 v6, v1, v6, vcc_lo
	s_delay_alu instid0(VALU_DEP_1) | instskip(SKIP_1) | instid1(VALU_DEP_1)
	v_lshlrev_b32_e32 v13, 2, v6
	v_xor_b32_e32 v6, 2, v1
	v_cmp_gt_i32_e32 vcc_lo, 32, v6
	s_wait_dscnt 0x0
	v_max_num_f32_e32 v5, v5, v5
	s_wait_alu 0xfffd
	v_cndmask_b32_e32 v6, v1, v6, vcc_lo
	s_delay_alu instid0(VALU_DEP_1) | instskip(SKIP_1) | instid1(VALU_DEP_1)
	v_lshlrev_b32_e32 v12, 2, v6
	v_xor_b32_e32 v6, 1, v1
	v_cmp_gt_i32_e32 vcc_lo, 32, v6
	s_wait_alu 0xfffd
	v_cndmask_b32_e32 v6, v1, v6, vcc_lo
	v_max_num_f32_e32 v4, v4, v5
	v_cmp_eq_u32_e32 vcc_lo, 0, v131
	s_delay_alu instid0(VALU_DEP_3) | instskip(SKIP_3) | instid1(VALU_DEP_1)
	v_lshlrev_b32_e32 v11, 2, v6
	ds_bpermute_b32 v5, v13, v4
	s_wait_dscnt 0x0
	v_max_num_f32_e32 v5, v5, v5
	v_max_num_f32_e32 v4, v4, v5
	ds_bpermute_b32 v5, v12, v4
	s_wait_dscnt 0x0
	v_max_num_f32_e32 v5, v5, v5
	s_delay_alu instid0(VALU_DEP_1)
	v_max_num_f32_e32 v1, v4, v5
	v_lshlrev_b32_e32 v5, 2, v130
	ds_bpermute_b32 v4, v11, v1
	s_and_saveexec_b32 s0, vcc_lo
	s_cbranch_execz .LBB228_19
; %bb.18:
	s_wait_dscnt 0x0
	v_dual_max_num_f32 v4, v4, v4 :: v_dual_max_num_f32 v1, v1, v1
	s_delay_alu instid0(VALU_DEP_1)
	v_max_num_f32_e32 v1, v1, v4
	ds_store_b32 v5, v1 offset:384
.LBB228_19:
	s_or_b32 exec_lo, exec_lo, s0
	v_cmp_gt_u32_e64 s0, 4, v131
	v_mov_b32_e32 v1, 0xff7fffff
	s_wait_loadcnt_dscnt 0x0
	s_barrier_signal -1
	s_barrier_wait -1
	global_inv scope:SCOPE_SE
	s_and_saveexec_b32 s1, s0
; %bb.20:
	ds_load_b32 v1, v129 offset:384
; %bb.21:
	s_or_b32 exec_lo, exec_lo, s1
	s_wait_dscnt 0x0
	ds_bpermute_b32 v4, v12, v1
	v_max_num_f32_e32 v1, v1, v1
	s_sub_co_i32 s1, s35, s40
	v_mov_b32_e32 v6, 0
	s_lshl_b32 s1, s1, 5
	s_delay_alu instid0(SALU_CYCLE_1) | instskip(NEXT) | instid1(SALU_CYCLE_1)
	s_add_co_i32 s1, s1, s37
	s_min_i32 s1, s1, s34
	s_delay_alu instid0(SALU_CYCLE_1) | instskip(SKIP_4) | instid1(VALU_DEP_1)
	s_sub_co_i32 s4, s1, s37
	s_wait_alu 0xfffe
	v_cmp_gt_i32_e64 s1, s4, v0
	s_wait_dscnt 0x0
	v_max_num_f32_e32 v4, v4, v4
	v_max_num_f32_e32 v1, v1, v4
	ds_bpermute_b32 v4, v11, v1
	s_wait_dscnt 0x0
	v_max_num_f32_e32 v4, v4, v4
	s_delay_alu instid0(VALU_DEP_1)
	v_max_num_f32_e32 v1, v1, v4
	v_lshl_add_u32 v4, v0, 2, 0x1a0
	ds_bpermute_b32 v1, v6, v1
	s_and_saveexec_b32 s18, s1
	s_cbranch_execz .LBB228_25
; %bb.22:
	v_lshl_add_u32 v7, v0, 2, 0x1a0
	v_mov_b32_e32 v6, 0
	v_mov_b32_e32 v8, v0
	s_mov_b32 s29, 0
.LBB228_23:                             ; =>This Inner Loop Header: Depth=1
	ds_load_b32 v9, v7
	v_add_nc_u32_e32 v8, 0x80, v8
	s_delay_alu instid0(VALU_DEP_1) | instskip(SKIP_4) | instid1(VALU_DEP_1)
	v_cmp_le_i32_e64 s3, s4, v8
	s_wait_alu 0xfffe
	s_or_b32 s29, s3, s29
	s_wait_dscnt 0x0
	v_sub_f32_e32 v9, v9, v1
	v_mul_f32_e32 v9, 0x3fb8aa3b, v9
	s_delay_alu instid0(VALU_DEP_1)
	v_exp_f32_e32 v9, v9
	ds_store_b32 v7, v9
	v_dual_add_f32 v6, v6, v9 :: v_dual_add_nc_u32 v7, 0x200, v7
	s_wait_alu 0xfffe
	s_and_not1_b32 exec_lo, exec_lo, s29
	s_cbranch_execnz .LBB228_23
; %bb.24:
	s_or_b32 exec_lo, exec_lo, s29
.LBB228_25:
	s_wait_alu 0xfffe
	s_or_b32 exec_lo, exec_lo, s18
	ds_bpermute_b32 v2, v2, v6
	s_wait_dscnt 0x0
	v_add_f32_e32 v2, v6, v2
	ds_bpermute_b32 v3, v3, v2
	s_wait_dscnt 0x0
	v_add_f32_e32 v2, v2, v3
	;; [unrolled: 3-line block ×5, first 2 shown]
	s_and_saveexec_b32 s3, vcc_lo
; %bb.26:
	ds_store_b32 v5, v2 offset:400
; %bb.27:
	s_wait_alu 0xfffe
	s_or_b32 exec_lo, exec_lo, s3
	s_wait_loadcnt_dscnt 0x0
	s_barrier_signal -1
	s_barrier_wait -1
	global_inv scope:SCOPE_SE
	s_and_saveexec_b32 s3, s0
; %bb.28:
	ds_load_b32 v2, v129 offset:400
; %bb.29:
	s_wait_alu 0xfffe
	s_or_b32 exec_lo, exec_lo, s3
	s_wait_dscnt 0x0
	ds_bpermute_b32 v3, v12, v2
	s_wait_dscnt 0x0
	v_add_f32_e32 v2, v2, v3
	ds_bpermute_b32 v3, v11, v2
	s_wait_dscnt 0x0
	v_dual_add_f32 v2, v2, v3 :: v_dual_mov_b32 v3, 0
	ds_bpermute_b32 v2, v3, v2
	s_and_saveexec_b32 s0, s1
	s_cbranch_execz .LBB228_32
; %bb.30:
	s_wait_dscnt 0x0
	v_add_f32_e32 v3, 0x358637bd, v2
	s_mov_b32 s1, 0
	s_delay_alu instid0(VALU_DEP_1) | instskip(SKIP_1) | instid1(VALU_DEP_2)
	v_div_scale_f32 v5, null, v3, v3, 1.0
	v_div_scale_f32 v8, vcc_lo, 1.0, v3, 1.0
	v_rcp_f32_e32 v6, v5
	s_delay_alu instid0(TRANS32_DEP_1) | instskip(NEXT) | instid1(VALU_DEP_1)
	v_fma_f32 v7, -v5, v6, 1.0
	v_fmac_f32_e32 v6, v7, v6
	s_delay_alu instid0(VALU_DEP_1) | instskip(NEXT) | instid1(VALU_DEP_1)
	v_mul_f32_e32 v7, v8, v6
	v_fma_f32 v9, -v5, v7, v8
	s_delay_alu instid0(VALU_DEP_1) | instskip(NEXT) | instid1(VALU_DEP_1)
	v_fmac_f32_e32 v7, v9, v6
	v_fma_f32 v5, -v5, v7, v8
	s_wait_alu 0xfffd
	s_delay_alu instid0(VALU_DEP_1) | instskip(NEXT) | instid1(VALU_DEP_1)
	v_div_fmas_f32 v5, v5, v6, v7
	v_div_fixup_f32 v3, v5, v3, 1.0
	v_mov_b32_e32 v5, v0
.LBB228_31:                             ; =>This Inner Loop Header: Depth=1
	ds_load_b32 v6, v4
	s_wait_dscnt 0x0
	v_dual_mul_f32 v6, v3, v6 :: v_dual_add_nc_u32 v5, 0x80, v5
	s_delay_alu instid0(VALU_DEP_1) | instskip(SKIP_3) | instid1(SALU_CYCLE_1)
	v_cmp_le_i32_e32 vcc_lo, s4, v5
	ds_store_b32 v4, v6
	v_add_nc_u32_e32 v4, 0x200, v4
	s_or_b32 s1, vcc_lo, s1
	s_and_not1_b32 exec_lo, exec_lo, s1
	s_cbranch_execnz .LBB228_31
.LBB228_32:
	s_or_b32 exec_lo, exec_lo, s0
	s_mul_i32 s0, s7, s19
	s_wait_loadcnt_dscnt 0x0
	s_mul_i32 s18, s0, s36
	s_mov_b32 s0, exec_lo
	s_barrier_signal -1
	s_barrier_wait -1
	global_inv scope:SCOPE_SE
	v_cmpx_eq_u32_e32 0, v0
	s_cbranch_execz .LBB228_34
; %bb.33:
	s_wait_alu 0xfffe
	s_ashr_i32 s19, s18, 31
	s_mul_i32 s36, s7, ttmp9
	s_lshl_b32 s1, s33, 2
	s_wait_alu 0xfffe
	s_lshl_b64 s[40:41], s[18:19], 2
	s_ashr_i32 s37, s36, 31
	v_mov_b32_e32 v3, s1
	s_wait_kmcnt 0x0
	s_wait_alu 0xfffe
	s_add_nc_u64 s[14:15], s[14:15], s[40:41]
	s_lshl_b64 s[36:37], s[36:37], 2
	s_add_nc_u64 s[12:13], s[12:13], s[40:41]
	s_wait_alu 0xfffe
	s_add_nc_u64 s[14:15], s[14:15], s[36:37]
	s_add_nc_u64 s[12:13], s[12:13], s[36:37]
	s_clause 0x1
	global_store_b32 v3, v1, s[14:15]
	global_store_b32 v3, v2, s[12:13]
.LBB228_34:
	s_or_b32 exec_lo, exec_lo, s0
	v_dual_mov_b32 v37, 0 :: v_dual_mov_b32 v38, 0
	v_dual_mov_b32 v36, 0 :: v_dual_and_b32 v145, 7, v0
	v_dual_mov_b32 v35, 0 :: v_dual_mov_b32 v34, 0
	v_dual_mov_b32 v33, 0 :: v_dual_mov_b32 v32, 0
	;; [unrolled: 1-line block ×10, first 2 shown]
	v_mov_b32_e32 v15, 0
	s_and_saveexec_b32 s1, s2
	s_cbranch_execz .LBB228_88
; %bb.35:
	s_abs_i32 s2, s6
	s_sub_co_i32 s3, s39, s5
	s_wait_alu 0xfffe
	s_cvt_f32_u32 s0, s2
	v_dual_mov_b32 v16, 0 :: v_dual_lshlrev_b32 v1, 2, v0
	s_wait_kmcnt 0x0
	s_lshl_b64 s[12:13], s[26:27], 2
	s_wait_alu 0xfffe
	v_rcp_iflag_f32_e32 v2, s0
	v_dual_mov_b32 v18, 0 :: v_dual_lshlrev_b32 v3, 4, v145
	s_add_nc_u64 s[12:13], s[24:25], s[12:13]
	v_mov_b32_e32 v15, 0
	s_wait_alu 0xfffe
	v_add_co_u32 v5, s6, s12, v10
	s_ashr_i32 s29, s28, 31
	v_add_co_ci_u32_e64 v6, null, s13, 0, s6
	s_delay_alu instid0(TRANS32_DEP_1)
	v_readfirstlane_b32 s5, v2
	v_and_b32_e32 v2, 0x7c, v1
	v_dual_mov_b32 v20, 0 :: v_dual_and_b32 v39, 28, v1
	v_lshl_or_b32 v1, v130, 7, v3
	s_mul_f32 s5, s5, 0x4f7ffffe
	s_wait_alu 0xfffe
	s_add_nc_u64 s[14:15], s[30:31], s[28:29]
	s_sub_co_i32 s0, 0, s2
	v_dual_mov_b32 v17, 0 :: v_dual_add_nc_u32 v40, 0x1a0, v1
	s_cvt_u32_f32 s6, s5
	s_wait_alu 0xfffe
	v_add_co_u32 v7, s5, s14, v2
	s_wait_alu 0xf1ff
	v_add_co_ci_u32_e64 v8, null, s15, 0, s5
	s_mul_i32 s0, s0, s6
	v_dual_mov_b32 v19, 0 :: v_dual_mov_b32 v22, 0
	v_dual_mov_b32 v21, 0 :: v_dual_mov_b32 v24, 0
	;; [unrolled: 1-line block ×9, first 2 shown]
	v_mov_b32_e32 v37, 0
	s_wait_alu 0xfffe
	s_mul_hi_u32 s0, s6, s0
	s_mov_b32 s4, s17
	s_add_co_i32 s38, s38, -1
	s_mov_b32 s5, 0
	s_wait_alu 0xfffe
	s_add_co_i32 s6, s6, s0
	s_branch .LBB228_38
.LBB228_36:                             ;   in Loop: Header=BB228_38 Depth=1
	s_wait_alu 0xfffe
	s_or_b32 exec_lo, exec_lo, s0
	s_wait_dscnt 0x0
	v_mul_f32_e32 v63, v1, v138
	v_mul_f32_e32 v14, v1, v142
	;; [unrolled: 1-line block ×4, first 2 shown]
	s_delay_alu instid0(VALU_DEP_4) | instskip(SKIP_4) | instid1(VALU_DEP_4)
	v_dual_mul_f32 v52, v1, v52 :: v_dual_fmac_f32 v63, v2, v137
	v_mul_f32_e32 v64, v1, v134
	v_fmac_f32_e32 v14, v2, v141
	v_fmac_f32_e32 v44, v2, v43
	v_mul_f32_e32 v48, v1, v48
	v_dual_fmac_f32 v63, v3, v136 :: v_dual_fmac_f32 v64, v2, v133
	v_mul_f32_e32 v67, v1, v124
	v_mul_f32_e32 v66, v1, v128
	s_delay_alu instid0(VALU_DEP_3) | instskip(NEXT) | instid1(VALU_DEP_3)
	v_dual_fmac_f32 v44, v3, v42 :: v_dual_fmac_f32 v63, v4, v135
	v_dual_fmac_f32 v64, v3, v132 :: v_dual_fmac_f32 v67, v2, v121
	s_delay_alu instid0(VALU_DEP_3) | instskip(NEXT) | instid1(VALU_DEP_3)
	v_fmac_f32_e32 v66, v2, v127
	v_dual_fmac_f32 v14, v3, v140 :: v_dual_add_f32 v17, v17, v63
	s_delay_alu instid0(VALU_DEP_3) | instskip(NEXT) | instid1(VALU_DEP_3)
	v_dual_fmac_f32 v64, v4, v129 :: v_dual_fmac_f32 v67, v3, v120
	v_dual_mul_f32 v63, v1, v101 :: v_dual_fmac_f32 v66, v3, v126
	v_fmac_f32_e32 v44, v4, v41
	s_delay_alu instid0(VALU_DEP_3) | instskip(NEXT) | instid1(VALU_DEP_3)
	v_dual_add_f32 v18, v18, v64 :: v_dual_fmac_f32 v67, v4, v119
	v_dual_mul_f32 v64, v1, v112 :: v_dual_fmac_f32 v63, v2, v115
	s_delay_alu instid0(VALU_DEP_4) | instskip(SKIP_1) | instid1(VALU_DEP_4)
	v_fmac_f32_e32 v66, v4, v125
	v_fmac_f32_e32 v60, v2, v59
	v_add_f32_e32 v20, v20, v67
	s_delay_alu instid0(VALU_DEP_4) | instskip(SKIP_2) | instid1(VALU_DEP_3)
	v_dual_fmac_f32 v64, v2, v111 :: v_dual_fmac_f32 v63, v3, v114
	v_dual_mul_f32 v67, v1, v84 :: v_dual_fmac_f32 v14, v4, v139
	v_add_f32_e32 v19, v19, v66
	v_fmac_f32_e32 v64, v3, v110
	s_delay_alu instid0(VALU_DEP_3) | instskip(SKIP_2) | instid1(VALU_DEP_4)
	v_dual_mul_f32 v66, v1, v108 :: v_dual_fmac_f32 v67, v2, v83
	v_fmac_f32_e32 v52, v2, v51
	v_fmac_f32_e32 v48, v2, v47
	;; [unrolled: 1-line block ×3, first 2 shown]
	v_dual_fmac_f32 v60, v3, v58 :: v_dual_fmac_f32 v63, v4, v113
	v_fmac_f32_e32 v67, v3, v82
	s_delay_alu instid0(VALU_DEP_3) | instskip(SKIP_1) | instid1(VALU_DEP_4)
	v_dual_add_f32 v16, v16, v14 :: v_dual_add_f32 v23, v23, v64
	v_mul_f32_e32 v14, v1, v118
	v_dual_add_f32 v22, v22, v63 :: v_dual_mul_f32 v63, v1, v96
	v_mul_f32_e32 v64, v1, v92
	v_fmac_f32_e32 v52, v3, v50
	s_delay_alu instid0(VALU_DEP_4) | instskip(NEXT) | instid1(VALU_DEP_4)
	v_dual_fmac_f32 v14, v2, v117 :: v_dual_add_f32 v37, v37, v44
	v_fmac_f32_e32 v63, v2, v95
	s_delay_alu instid0(VALU_DEP_4) | instskip(SKIP_2) | instid1(VALU_DEP_4)
	v_fmac_f32_e32 v64, v2, v91
	v_fmac_f32_e32 v66, v2, v107
	v_dual_fmac_f32 v48, v3, v46 :: v_dual_fmac_f32 v67, v4, v81
	v_fmac_f32_e32 v63, v3, v94
	v_fmac_f32_e32 v14, v3, v116
	;; [unrolled: 1-line block ×10, first 2 shown]
	v_dual_add_f32 v26, v26, v63 :: v_dual_mul_f32 v63, v1, v76
	s_delay_alu instid0(VALU_DEP_4) | instskip(NEXT) | instid1(VALU_DEP_4)
	v_add_f32_e32 v27, v27, v64
	v_add_f32_e32 v21, v21, v14
	v_mul_f32_e32 v14, v1, v100
	s_delay_alu instid0(VALU_DEP_4) | instskip(SKIP_2) | instid1(VALU_DEP_4)
	v_dual_mul_f32 v64, v1, v72 :: v_dual_fmac_f32 v63, v2, v75
	v_add_f32_e32 v34, v34, v60
	v_add_f32_e32 v36, v36, v52
	v_fmac_f32_e32 v14, v2, v99
	s_delay_alu instid0(VALU_DEP_4) | instskip(SKIP_1) | instid1(VALU_DEP_3)
	v_dual_fmac_f32 v64, v2, v71 :: v_dual_fmac_f32 v63, v3, v74
	v_dual_add_f32 v38, v38, v48 :: v_dual_add_f32 v29, v29, v67
	v_fmac_f32_e32 v14, v3, v98
	s_delay_alu instid0(VALU_DEP_3) | instskip(NEXT) | instid1(VALU_DEP_2)
	v_dual_fmac_f32 v64, v3, v70 :: v_dual_fmac_f32 v63, v4, v73
	v_fmac_f32_e32 v14, v4, v97
	s_delay_alu instid0(VALU_DEP_2) | instskip(NEXT) | instid1(VALU_DEP_2)
	v_dual_fmac_f32 v66, v4, v105 :: v_dual_add_f32 v31, v31, v63
	v_dual_fmac_f32 v64, v4, v69 :: v_dual_add_f32 v25, v25, v14
	s_delay_alu instid0(VALU_DEP_2) | instskip(SKIP_2) | instid1(VALU_DEP_4)
	v_add_f32_e32 v24, v24, v66
	v_mul_f32_e32 v66, v1, v88
	v_mul_f32_e32 v14, v1, v80
	v_add_f32_e32 v32, v32, v64
	s_delay_alu instid0(VALU_DEP_3) | instskip(NEXT) | instid1(VALU_DEP_3)
	v_fmac_f32_e32 v66, v2, v87
	v_fmac_f32_e32 v14, v2, v79
	s_delay_alu instid0(VALU_DEP_2) | instskip(NEXT) | instid1(VALU_DEP_2)
	v_fmac_f32_e32 v66, v3, v86
	v_fmac_f32_e32 v14, v3, v78
	s_delay_alu instid0(VALU_DEP_2) | instskip(NEXT) | instid1(VALU_DEP_2)
	v_fmac_f32_e32 v66, v4, v85
	v_fmac_f32_e32 v14, v4, v77
	s_delay_alu instid0(VALU_DEP_2) | instskip(SKIP_1) | instid1(VALU_DEP_3)
	v_add_f32_e32 v28, v28, v66
	v_mul_f32_e32 v66, v1, v68
	v_add_f32_e32 v30, v30, v14
	v_mul_f32_e32 v14, v1, v56
	s_delay_alu instid0(VALU_DEP_3) | instskip(NEXT) | instid1(VALU_DEP_2)
	v_dual_mul_f32 v1, v1, v123 :: v_dual_fmac_f32 v66, v2, v65
	v_fmac_f32_e32 v14, v2, v55
	s_delay_alu instid0(VALU_DEP_2) | instskip(NEXT) | instid1(VALU_DEP_3)
	v_fmac_f32_e32 v1, v2, v122
	v_fmac_f32_e32 v66, v3, v62
	s_delay_alu instid0(VALU_DEP_3) | instskip(NEXT) | instid1(VALU_DEP_2)
	v_fmac_f32_e32 v14, v3, v54
	v_dual_fmac_f32 v1, v3, v10 :: v_dual_fmac_f32 v66, v4, v61
	s_delay_alu instid0(VALU_DEP_2) | instskip(NEXT) | instid1(VALU_DEP_2)
	v_fmac_f32_e32 v14, v4, v53
	v_fmac_f32_e32 v1, v4, v9
	s_delay_alu instid0(VALU_DEP_3) | instskip(NEXT) | instid1(VALU_DEP_3)
	v_add_f32_e32 v33, v33, v66
	v_add_f32_e32 v35, v35, v14
	s_delay_alu instid0(VALU_DEP_3)
	v_add_f32_e32 v15, v15, v1
.LBB228_37:                             ;   in Loop: Header=BB228_38 Depth=1
	s_wait_alu 0xfffe
	s_or_b32 exec_lo, exec_lo, s12
	v_add_nc_u32_e32 v104, 4, v104
	v_add_co_u32 v5, s0, v5, 16
	s_wait_alu 0xf1ff
	v_add_co_ci_u32_e64 v6, null, 0, v6, s0
	s_delay_alu instid0(VALU_DEP_3)
	v_cmp_le_i32_e32 vcc_lo, s35, v104
	v_add_nc_u32_e32 v103, 0x80, v103
	v_add_nc_u32_e32 v40, 0x200, v40
	s_or_b32 s5, vcc_lo, s5
	s_wait_alu 0xfffe
	s_and_not1_b32 exec_lo, exec_lo, s5
	s_cbranch_execz .LBB228_87
.LBB228_38:                             ; =>This Inner Loop Header: Depth=1
	v_sub_nc_u32_e32 v1, 0, v103
	s_delay_alu instid0(VALU_DEP_1) | instskip(NEXT) | instid1(VALU_DEP_1)
	v_max_i32_e32 v1, v103, v1
	v_mul_hi_u32 v2, v1, s22
	s_delay_alu instid0(VALU_DEP_1) | instskip(NEXT) | instid1(VALU_DEP_1)
	v_mul_lo_u32 v3, v2, s16
	v_sub_nc_u32_e32 v1, v1, v3
	v_add_nc_u32_e32 v3, 1, v2
	s_delay_alu instid0(VALU_DEP_2) | instskip(SKIP_2) | instid1(VALU_DEP_2)
	v_subrev_nc_u32_e32 v4, s16, v1
	v_cmp_le_u32_e32 vcc_lo, s16, v1
	s_wait_alu 0xfffd
	v_dual_cndmask_b32 v2, v2, v3 :: v_dual_cndmask_b32 v1, v1, v4
	v_ashrrev_i32_e32 v3, 31, v103
	s_delay_alu instid0(VALU_DEP_2) | instskip(NEXT) | instid1(VALU_DEP_3)
	v_add_nc_u32_e32 v4, 1, v2
	v_cmp_le_u32_e32 vcc_lo, s16, v1
	s_delay_alu instid0(VALU_DEP_3) | instskip(SKIP_1) | instid1(VALU_DEP_3)
	v_xor_b32_e32 v3, s23, v3
	s_wait_alu 0xfffd
	v_cndmask_b32_e32 v1, v2, v4, vcc_lo
	s_delay_alu instid0(VALU_DEP_1) | instskip(NEXT) | instid1(VALU_DEP_1)
	v_xor_b32_e32 v1, v1, v3
	v_sub_nc_u32_e32 v1, v1, v3
	s_delay_alu instid0(VALU_DEP_1) | instskip(SKIP_1) | instid1(VALU_DEP_2)
	v_add_nc_u32_e32 v2, s21, v1
	v_cmp_lt_i32_e64 s0, s3, v1
	v_sub_nc_u32_e32 v3, 0, v2
	s_delay_alu instid0(VALU_DEP_1) | instskip(SKIP_1) | instid1(VALU_DEP_1)
	v_max_i32_e32 v3, v2, v3
	s_wait_alu 0xfffe
	v_mul_hi_u32 v4, v3, s6
	s_delay_alu instid0(VALU_DEP_1) | instskip(NEXT) | instid1(VALU_DEP_1)
	v_mul_lo_u32 v4, v4, s2
	v_sub_nc_u32_e32 v3, v3, v4
	s_delay_alu instid0(VALU_DEP_1) | instskip(SKIP_2) | instid1(VALU_DEP_2)
	v_subrev_nc_u32_e32 v4, s2, v3
	v_cmp_le_u32_e32 vcc_lo, s2, v3
	s_wait_alu 0xfffd
	v_cndmask_b32_e32 v3, v3, v4, vcc_lo
	v_ashrrev_i32_e32 v2, 31, v2
	s_delay_alu instid0(VALU_DEP_2) | instskip(SKIP_2) | instid1(VALU_DEP_2)
	v_subrev_nc_u32_e32 v4, s2, v3
	v_cmp_le_u32_e32 vcc_lo, s2, v3
	s_wait_alu 0xfffd
	v_cndmask_b32_e32 v3, v3, v4, vcc_lo
	s_delay_alu instid0(VALU_DEP_1) | instskip(NEXT) | instid1(VALU_DEP_1)
	v_xor_b32_e32 v3, v3, v2
	v_sub_nc_u32_e32 v2, v3, v2
	s_delay_alu instid0(VALU_DEP_1)
	v_cmp_eq_u32_e32 vcc_lo, 0, v2
	s_or_b32 s0, vcc_lo, s0
	s_wait_alu 0xfffe
	s_and_saveexec_b32 s12, s0
	s_cbranch_execz .LBB228_37
; %bb.39:                               ;   in Loop: Header=BB228_38 Depth=1
	global_load_b32 v1, v[5:6], off
	s_load_b32 s13, s[10:11], 0x0
	v_cmp_eq_u32_e32 vcc_lo, s38, v104
	s_wait_loadcnt 0x0
	v_mad_co_i64_i32 v[9:10], null, v1, s4, v[7:8]
	ds_load_b128 v[1:4], v40
	global_load_b32 v41, v[9:10], off
	s_wait_loadcnt 0x0
	v_lshrrev_b32_e32 v43, 16, v41
	s_delay_alu instid0(VALU_DEP_1) | instskip(SKIP_1) | instid1(VALU_DEP_1)
	v_cvt_pk_f32_fp8_e32 v[45:46], v43
	v_and_b32_e32 v42, 0xffff, v41
	v_cvt_pk_f32_fp8_e32 v[41:42], v42
	s_wait_kmcnt 0x0
	s_delay_alu instid0(VALU_DEP_1) | instskip(NEXT) | instid1(VALU_DEP_1)
	v_dual_mul_f32 v44, s13, v41 :: v_dual_add_nc_u32 v63, v39, v103
	v_dual_mul_f32 v43, s13, v42 :: v_dual_add_nc_u32 v66, 1, v63
	v_add_nc_u32_e32 v64, 2, v63
	v_dual_mul_f32 v42, s13, v45 :: v_dual_add_nc_u32 v67, 3, v63
	v_mul_f32_e32 v41, s13, v46
	s_and_saveexec_b32 s14, vcc_lo
	s_cbranch_execz .LBB228_41
; %bb.40:                               ;   in Loop: Header=BB228_38 Depth=1
	v_cmp_gt_i32_e64 s0, s34, v63
	s_wait_alu 0xf1ff
	s_delay_alu instid0(VALU_DEP_1) | instskip(SKIP_2) | instid1(VALU_DEP_1)
	v_cndmask_b32_e64 v44, 0, v44, s0
	v_cmp_gt_i32_e64 s0, s34, v66
	s_wait_alu 0xf1ff
	v_cndmask_b32_e64 v43, 0, v43, s0
	v_cmp_gt_i32_e64 s0, s34, v64
	s_wait_alu 0xf1ff
	s_delay_alu instid0(VALU_DEP_1) | instskip(SKIP_2) | instid1(VALU_DEP_1)
	v_cndmask_b32_e64 v42, 0, v42, s0
	v_cmp_gt_i32_e64 s0, s34, v67
	s_wait_alu 0xf1ff
	v_cndmask_b32_e64 v41, 0, v41, s0
.LBB228_41:                             ;   in Loop: Header=BB228_38 Depth=1
	s_wait_alu 0xfffe
	s_or_b32 exec_lo, exec_lo, s14
	global_load_b32 v45, v[9:10], off offset:128
	s_mov_b32 s14, s13
	s_wait_loadcnt 0x0
	v_lshrrev_b32_e32 v47, 16, v45
	s_delay_alu instid0(VALU_DEP_1) | instskip(SKIP_1) | instid1(VALU_DEP_1)
	v_cvt_pk_f32_fp8_e32 v[49:50], v47
	v_and_b32_e32 v46, 0xffff, v45
	v_cvt_pk_f32_fp8_e32 v[45:46], v46
	s_wait_alu 0xfffe
	s_delay_alu instid0(VALU_DEP_1)
	v_dual_mul_f32 v48, s13, v45 :: v_dual_mul_f32 v47, s14, v46
	v_dual_mul_f32 v46, s13, v49 :: v_dual_mul_f32 v45, s14, v50
	s_and_saveexec_b32 s15, vcc_lo
	s_cbranch_execz .LBB228_43
; %bb.42:                               ;   in Loop: Header=BB228_38 Depth=1
	v_cmp_gt_i32_e64 s0, s34, v63
	s_wait_alu 0xf1ff
	s_delay_alu instid0(VALU_DEP_1) | instskip(SKIP_2) | instid1(VALU_DEP_1)
	v_cndmask_b32_e64 v48, 0, v48, s0
	v_cmp_gt_i32_e64 s0, s34, v66
	s_wait_alu 0xf1ff
	v_cndmask_b32_e64 v47, 0, v47, s0
	v_cmp_gt_i32_e64 s0, s34, v64
	s_wait_alu 0xf1ff
	s_delay_alu instid0(VALU_DEP_1) | instskip(SKIP_2) | instid1(VALU_DEP_1)
	v_cndmask_b32_e64 v46, 0, v46, s0
	v_cmp_gt_i32_e64 s0, s34, v67
	s_wait_alu 0xf1ff
	v_cndmask_b32_e64 v45, 0, v45, s0
.LBB228_43:                             ;   in Loop: Header=BB228_38 Depth=1
	s_wait_alu 0xfffe
	s_or_b32 exec_lo, exec_lo, s15
	global_load_b32 v49, v[9:10], off offset:256
	s_wait_loadcnt 0x0
	v_lshrrev_b32_e32 v51, 16, v49
	s_delay_alu instid0(VALU_DEP_1) | instskip(SKIP_1) | instid1(VALU_DEP_1)
	v_cvt_pk_f32_fp8_e32 v[53:54], v51
	v_and_b32_e32 v50, 0xffff, v49
	v_cvt_pk_f32_fp8_e32 v[49:50], v50
	s_delay_alu instid0(VALU_DEP_1) | instskip(NEXT) | instid1(VALU_DEP_4)
	v_dual_mul_f32 v52, s13, v49 :: v_dual_mul_f32 v51, s14, v50
	v_dual_mul_f32 v50, s13, v53 :: v_dual_mul_f32 v49, s14, v54
	s_and_saveexec_b32 s15, vcc_lo
	s_cbranch_execz .LBB228_45
; %bb.44:                               ;   in Loop: Header=BB228_38 Depth=1
	v_cmp_gt_i32_e64 s0, s34, v63
	s_wait_alu 0xf1ff
	s_delay_alu instid0(VALU_DEP_1) | instskip(SKIP_2) | instid1(VALU_DEP_1)
	v_cndmask_b32_e64 v52, 0, v52, s0
	v_cmp_gt_i32_e64 s0, s34, v66
	s_wait_alu 0xf1ff
	v_cndmask_b32_e64 v51, 0, v51, s0
	v_cmp_gt_i32_e64 s0, s34, v64
	s_wait_alu 0xf1ff
	s_delay_alu instid0(VALU_DEP_1) | instskip(SKIP_2) | instid1(VALU_DEP_1)
	v_cndmask_b32_e64 v50, 0, v50, s0
	v_cmp_gt_i32_e64 s0, s34, v67
	s_wait_alu 0xf1ff
	v_cndmask_b32_e64 v49, 0, v49, s0
.LBB228_45:                             ;   in Loop: Header=BB228_38 Depth=1
	s_wait_alu 0xfffe
	s_or_b32 exec_lo, exec_lo, s15
	global_load_b32 v53, v[9:10], off offset:384
	s_wait_loadcnt 0x0
	v_lshrrev_b32_e32 v55, 16, v53
	s_delay_alu instid0(VALU_DEP_1) | instskip(SKIP_1) | instid1(VALU_DEP_1)
	v_cvt_pk_f32_fp8_e32 v[57:58], v55
	v_and_b32_e32 v54, 0xffff, v53
	v_cvt_pk_f32_fp8_e32 v[53:54], v54
	s_delay_alu instid0(VALU_DEP_1) | instskip(NEXT) | instid1(VALU_DEP_4)
	v_dual_mul_f32 v56, s13, v53 :: v_dual_mul_f32 v55, s14, v54
	v_dual_mul_f32 v54, s13, v57 :: v_dual_mul_f32 v53, s14, v58
	s_and_saveexec_b32 s15, vcc_lo
	s_cbranch_execz .LBB228_47
; %bb.46:                               ;   in Loop: Header=BB228_38 Depth=1
	v_cmp_gt_i32_e64 s0, s34, v63
	s_wait_alu 0xf1ff
	s_delay_alu instid0(VALU_DEP_1) | instskip(SKIP_2) | instid1(VALU_DEP_1)
	v_cndmask_b32_e64 v56, 0, v56, s0
	v_cmp_gt_i32_e64 s0, s34, v66
	s_wait_alu 0xf1ff
	v_cndmask_b32_e64 v55, 0, v55, s0
	v_cmp_gt_i32_e64 s0, s34, v64
	s_wait_alu 0xf1ff
	s_delay_alu instid0(VALU_DEP_1) | instskip(SKIP_2) | instid1(VALU_DEP_1)
	v_cndmask_b32_e64 v54, 0, v54, s0
	v_cmp_gt_i32_e64 s0, s34, v67
	s_wait_alu 0xf1ff
	v_cndmask_b32_e64 v53, 0, v53, s0
.LBB228_47:                             ;   in Loop: Header=BB228_38 Depth=1
	s_wait_alu 0xfffe
	s_or_b32 exec_lo, exec_lo, s15
	global_load_b32 v57, v[9:10], off offset:512
	s_wait_loadcnt 0x0
	v_lshrrev_b32_e32 v59, 16, v57
	s_delay_alu instid0(VALU_DEP_1) | instskip(SKIP_1) | instid1(VALU_DEP_1)
	v_cvt_pk_f32_fp8_e32 v[61:62], v59
	v_and_b32_e32 v58, 0xffff, v57
	v_cvt_pk_f32_fp8_e32 v[57:58], v58
	s_delay_alu instid0(VALU_DEP_1) | instskip(NEXT) | instid1(VALU_DEP_4)
	v_dual_mul_f32 v60, s13, v57 :: v_dual_mul_f32 v59, s14, v58
	v_dual_mul_f32 v58, s13, v61 :: v_dual_mul_f32 v57, s14, v62
	s_and_saveexec_b32 s15, vcc_lo
	s_cbranch_execz .LBB228_49
; %bb.48:                               ;   in Loop: Header=BB228_38 Depth=1
	v_cmp_gt_i32_e64 s0, s34, v63
	s_wait_alu 0xf1ff
	s_delay_alu instid0(VALU_DEP_1) | instskip(SKIP_2) | instid1(VALU_DEP_1)
	v_cndmask_b32_e64 v60, 0, v60, s0
	v_cmp_gt_i32_e64 s0, s34, v66
	s_wait_alu 0xf1ff
	v_cndmask_b32_e64 v59, 0, v59, s0
	v_cmp_gt_i32_e64 s0, s34, v64
	s_wait_alu 0xf1ff
	s_delay_alu instid0(VALU_DEP_1) | instskip(SKIP_2) | instid1(VALU_DEP_1)
	v_cndmask_b32_e64 v58, 0, v58, s0
	v_cmp_gt_i32_e64 s0, s34, v67
	s_wait_alu 0xf1ff
	v_cndmask_b32_e64 v57, 0, v57, s0
.LBB228_49:                             ;   in Loop: Header=BB228_38 Depth=1
	s_wait_alu 0xfffe
	s_or_b32 exec_lo, exec_lo, s15
	global_load_b32 v61, v[9:10], off offset:640
	s_wait_loadcnt 0x0
	v_lshrrev_b32_e32 v65, 16, v61
	s_delay_alu instid0(VALU_DEP_1) | instskip(SKIP_1) | instid1(VALU_DEP_1)
	v_cvt_pk_f32_fp8_e32 v[69:70], v65
	v_and_b32_e32 v62, 0xffff, v61
	v_cvt_pk_f32_fp8_e32 v[61:62], v62
	s_delay_alu instid0(VALU_DEP_1) | instskip(NEXT) | instid1(VALU_DEP_4)
	v_dual_mul_f32 v68, s13, v61 :: v_dual_mul_f32 v65, s14, v62
	v_dual_mul_f32 v62, s13, v69 :: v_dual_mul_f32 v61, s14, v70
	s_and_saveexec_b32 s15, vcc_lo
	s_cbranch_execz .LBB228_51
; %bb.50:                               ;   in Loop: Header=BB228_38 Depth=1
	v_cmp_gt_i32_e64 s0, s34, v63
	s_wait_alu 0xf1ff
	s_delay_alu instid0(VALU_DEP_1) | instskip(SKIP_2) | instid1(VALU_DEP_1)
	v_cndmask_b32_e64 v68, 0, v68, s0
	v_cmp_gt_i32_e64 s0, s34, v66
	s_wait_alu 0xf1ff
	v_cndmask_b32_e64 v65, 0, v65, s0
	v_cmp_gt_i32_e64 s0, s34, v64
	s_wait_alu 0xf1ff
	s_delay_alu instid0(VALU_DEP_1) | instskip(SKIP_2) | instid1(VALU_DEP_1)
	v_cndmask_b32_e64 v62, 0, v62, s0
	v_cmp_gt_i32_e64 s0, s34, v67
	s_wait_alu 0xf1ff
	v_cndmask_b32_e64 v61, 0, v61, s0
.LBB228_51:                             ;   in Loop: Header=BB228_38 Depth=1
	s_wait_alu 0xfffe
	s_or_b32 exec_lo, exec_lo, s15
	global_load_b32 v69, v[9:10], off offset:768
	s_wait_loadcnt 0x0
	v_lshrrev_b32_e32 v71, 16, v69
	s_delay_alu instid0(VALU_DEP_1) | instskip(SKIP_1) | instid1(VALU_DEP_1)
	v_cvt_pk_f32_fp8_e32 v[73:74], v71
	v_and_b32_e32 v70, 0xffff, v69
	v_cvt_pk_f32_fp8_e32 v[69:70], v70
	s_delay_alu instid0(VALU_DEP_1) | instskip(NEXT) | instid1(VALU_DEP_4)
	v_dual_mul_f32 v72, s13, v69 :: v_dual_mul_f32 v71, s14, v70
	v_dual_mul_f32 v70, s13, v73 :: v_dual_mul_f32 v69, s14, v74
	s_and_saveexec_b32 s15, vcc_lo
	s_cbranch_execz .LBB228_53
; %bb.52:                               ;   in Loop: Header=BB228_38 Depth=1
	v_cmp_gt_i32_e64 s0, s34, v63
	s_wait_alu 0xf1ff
	s_delay_alu instid0(VALU_DEP_1) | instskip(SKIP_2) | instid1(VALU_DEP_1)
	v_cndmask_b32_e64 v72, 0, v72, s0
	v_cmp_gt_i32_e64 s0, s34, v66
	s_wait_alu 0xf1ff
	v_cndmask_b32_e64 v71, 0, v71, s0
	v_cmp_gt_i32_e64 s0, s34, v64
	s_wait_alu 0xf1ff
	s_delay_alu instid0(VALU_DEP_1) | instskip(SKIP_2) | instid1(VALU_DEP_1)
	v_cndmask_b32_e64 v70, 0, v70, s0
	v_cmp_gt_i32_e64 s0, s34, v67
	s_wait_alu 0xf1ff
	v_cndmask_b32_e64 v69, 0, v69, s0
.LBB228_53:                             ;   in Loop: Header=BB228_38 Depth=1
	s_wait_alu 0xfffe
	s_or_b32 exec_lo, exec_lo, s15
	global_load_b32 v73, v[9:10], off offset:896
	s_wait_loadcnt 0x0
	v_lshrrev_b32_e32 v75, 16, v73
	s_delay_alu instid0(VALU_DEP_1) | instskip(SKIP_1) | instid1(VALU_DEP_1)
	v_cvt_pk_f32_fp8_e32 v[77:78], v75
	v_and_b32_e32 v74, 0xffff, v73
	v_cvt_pk_f32_fp8_e32 v[73:74], v74
	s_delay_alu instid0(VALU_DEP_1) | instskip(NEXT) | instid1(VALU_DEP_4)
	v_dual_mul_f32 v76, s13, v73 :: v_dual_mul_f32 v75, s14, v74
	v_dual_mul_f32 v74, s13, v77 :: v_dual_mul_f32 v73, s14, v78
	s_and_saveexec_b32 s15, vcc_lo
	s_cbranch_execz .LBB228_55
; %bb.54:                               ;   in Loop: Header=BB228_38 Depth=1
	v_cmp_gt_i32_e64 s0, s34, v63
	s_wait_alu 0xf1ff
	s_delay_alu instid0(VALU_DEP_1) | instskip(SKIP_2) | instid1(VALU_DEP_1)
	v_cndmask_b32_e64 v76, 0, v76, s0
	v_cmp_gt_i32_e64 s0, s34, v66
	s_wait_alu 0xf1ff
	v_cndmask_b32_e64 v75, 0, v75, s0
	v_cmp_gt_i32_e64 s0, s34, v64
	s_wait_alu 0xf1ff
	s_delay_alu instid0(VALU_DEP_1) | instskip(SKIP_2) | instid1(VALU_DEP_1)
	v_cndmask_b32_e64 v74, 0, v74, s0
	v_cmp_gt_i32_e64 s0, s34, v67
	s_wait_alu 0xf1ff
	v_cndmask_b32_e64 v73, 0, v73, s0
.LBB228_55:                             ;   in Loop: Header=BB228_38 Depth=1
	s_wait_alu 0xfffe
	s_or_b32 exec_lo, exec_lo, s15
	global_load_b32 v77, v[9:10], off offset:1024
	s_wait_loadcnt 0x0
	v_lshrrev_b32_e32 v79, 16, v77
	s_delay_alu instid0(VALU_DEP_1) | instskip(SKIP_1) | instid1(VALU_DEP_1)
	v_cvt_pk_f32_fp8_e32 v[81:82], v79
	v_and_b32_e32 v78, 0xffff, v77
	v_cvt_pk_f32_fp8_e32 v[77:78], v78
	s_delay_alu instid0(VALU_DEP_1) | instskip(NEXT) | instid1(VALU_DEP_4)
	v_dual_mul_f32 v80, s13, v77 :: v_dual_mul_f32 v79, s14, v78
	v_dual_mul_f32 v78, s13, v81 :: v_dual_mul_f32 v77, s14, v82
	s_and_saveexec_b32 s15, vcc_lo
	s_cbranch_execz .LBB228_57
; %bb.56:                               ;   in Loop: Header=BB228_38 Depth=1
	v_cmp_gt_i32_e64 s0, s34, v63
	s_wait_alu 0xf1ff
	s_delay_alu instid0(VALU_DEP_1) | instskip(SKIP_2) | instid1(VALU_DEP_1)
	v_cndmask_b32_e64 v80, 0, v80, s0
	v_cmp_gt_i32_e64 s0, s34, v66
	s_wait_alu 0xf1ff
	v_cndmask_b32_e64 v79, 0, v79, s0
	v_cmp_gt_i32_e64 s0, s34, v64
	s_wait_alu 0xf1ff
	s_delay_alu instid0(VALU_DEP_1) | instskip(SKIP_2) | instid1(VALU_DEP_1)
	v_cndmask_b32_e64 v78, 0, v78, s0
	v_cmp_gt_i32_e64 s0, s34, v67
	s_wait_alu 0xf1ff
	v_cndmask_b32_e64 v77, 0, v77, s0
.LBB228_57:                             ;   in Loop: Header=BB228_38 Depth=1
	s_wait_alu 0xfffe
	s_or_b32 exec_lo, exec_lo, s15
	global_load_b32 v81, v[9:10], off offset:1152
	s_wait_loadcnt 0x0
	v_lshrrev_b32_e32 v83, 16, v81
	s_delay_alu instid0(VALU_DEP_1) | instskip(SKIP_1) | instid1(VALU_DEP_1)
	v_cvt_pk_f32_fp8_e32 v[85:86], v83
	v_and_b32_e32 v82, 0xffff, v81
	v_cvt_pk_f32_fp8_e32 v[81:82], v82
	s_delay_alu instid0(VALU_DEP_1) | instskip(NEXT) | instid1(VALU_DEP_4)
	v_dual_mul_f32 v84, s13, v81 :: v_dual_mul_f32 v83, s14, v82
	v_dual_mul_f32 v82, s13, v85 :: v_dual_mul_f32 v81, s14, v86
	s_and_saveexec_b32 s15, vcc_lo
	s_cbranch_execz .LBB228_59
; %bb.58:                               ;   in Loop: Header=BB228_38 Depth=1
	v_cmp_gt_i32_e64 s0, s34, v63
	s_wait_alu 0xf1ff
	s_delay_alu instid0(VALU_DEP_1) | instskip(SKIP_2) | instid1(VALU_DEP_1)
	v_cndmask_b32_e64 v84, 0, v84, s0
	v_cmp_gt_i32_e64 s0, s34, v66
	s_wait_alu 0xf1ff
	v_cndmask_b32_e64 v83, 0, v83, s0
	v_cmp_gt_i32_e64 s0, s34, v64
	s_wait_alu 0xf1ff
	s_delay_alu instid0(VALU_DEP_1) | instskip(SKIP_2) | instid1(VALU_DEP_1)
	v_cndmask_b32_e64 v82, 0, v82, s0
	v_cmp_gt_i32_e64 s0, s34, v67
	s_wait_alu 0xf1ff
	v_cndmask_b32_e64 v81, 0, v81, s0
.LBB228_59:                             ;   in Loop: Header=BB228_38 Depth=1
	s_wait_alu 0xfffe
	s_or_b32 exec_lo, exec_lo, s15
	global_load_b32 v85, v[9:10], off offset:1280
	s_wait_loadcnt 0x0
	v_lshrrev_b32_e32 v87, 16, v85
	s_delay_alu instid0(VALU_DEP_1) | instskip(SKIP_1) | instid1(VALU_DEP_1)
	v_cvt_pk_f32_fp8_e32 v[89:90], v87
	v_and_b32_e32 v86, 0xffff, v85
	v_cvt_pk_f32_fp8_e32 v[85:86], v86
	s_delay_alu instid0(VALU_DEP_1) | instskip(NEXT) | instid1(VALU_DEP_4)
	v_dual_mul_f32 v88, s13, v85 :: v_dual_mul_f32 v87, s14, v86
	v_dual_mul_f32 v86, s13, v89 :: v_dual_mul_f32 v85, s14, v90
	s_and_saveexec_b32 s15, vcc_lo
	s_cbranch_execz .LBB228_61
; %bb.60:                               ;   in Loop: Header=BB228_38 Depth=1
	v_cmp_gt_i32_e64 s0, s34, v63
	s_wait_alu 0xf1ff
	s_delay_alu instid0(VALU_DEP_1) | instskip(SKIP_2) | instid1(VALU_DEP_1)
	v_cndmask_b32_e64 v88, 0, v88, s0
	v_cmp_gt_i32_e64 s0, s34, v66
	s_wait_alu 0xf1ff
	v_cndmask_b32_e64 v87, 0, v87, s0
	v_cmp_gt_i32_e64 s0, s34, v64
	s_wait_alu 0xf1ff
	s_delay_alu instid0(VALU_DEP_1) | instskip(SKIP_2) | instid1(VALU_DEP_1)
	v_cndmask_b32_e64 v86, 0, v86, s0
	v_cmp_gt_i32_e64 s0, s34, v67
	s_wait_alu 0xf1ff
	v_cndmask_b32_e64 v85, 0, v85, s0
.LBB228_61:                             ;   in Loop: Header=BB228_38 Depth=1
	s_wait_alu 0xfffe
	s_or_b32 exec_lo, exec_lo, s15
	global_load_b32 v89, v[9:10], off offset:1408
	s_wait_loadcnt 0x0
	v_lshrrev_b32_e32 v91, 16, v89
	s_delay_alu instid0(VALU_DEP_1) | instskip(SKIP_1) | instid1(VALU_DEP_1)
	v_cvt_pk_f32_fp8_e32 v[93:94], v91
	v_and_b32_e32 v90, 0xffff, v89
	v_cvt_pk_f32_fp8_e32 v[89:90], v90
	s_delay_alu instid0(VALU_DEP_1) | instskip(NEXT) | instid1(VALU_DEP_4)
	v_dual_mul_f32 v92, s13, v89 :: v_dual_mul_f32 v91, s14, v90
	v_dual_mul_f32 v90, s13, v93 :: v_dual_mul_f32 v89, s14, v94
	s_and_saveexec_b32 s15, vcc_lo
	s_cbranch_execz .LBB228_63
; %bb.62:                               ;   in Loop: Header=BB228_38 Depth=1
	v_cmp_gt_i32_e64 s0, s34, v63
	s_wait_alu 0xf1ff
	s_delay_alu instid0(VALU_DEP_1) | instskip(SKIP_2) | instid1(VALU_DEP_1)
	v_cndmask_b32_e64 v92, 0, v92, s0
	v_cmp_gt_i32_e64 s0, s34, v66
	s_wait_alu 0xf1ff
	v_cndmask_b32_e64 v91, 0, v91, s0
	v_cmp_gt_i32_e64 s0, s34, v64
	s_wait_alu 0xf1ff
	s_delay_alu instid0(VALU_DEP_1) | instskip(SKIP_2) | instid1(VALU_DEP_1)
	v_cndmask_b32_e64 v90, 0, v90, s0
	v_cmp_gt_i32_e64 s0, s34, v67
	s_wait_alu 0xf1ff
	v_cndmask_b32_e64 v89, 0, v89, s0
.LBB228_63:                             ;   in Loop: Header=BB228_38 Depth=1
	s_wait_alu 0xfffe
	s_or_b32 exec_lo, exec_lo, s15
	global_load_b32 v93, v[9:10], off offset:1536
	s_wait_loadcnt 0x0
	v_lshrrev_b32_e32 v95, 16, v93
	s_delay_alu instid0(VALU_DEP_1) | instskip(SKIP_1) | instid1(VALU_DEP_1)
	v_cvt_pk_f32_fp8_e32 v[97:98], v95
	v_and_b32_e32 v94, 0xffff, v93
	v_cvt_pk_f32_fp8_e32 v[93:94], v94
	s_delay_alu instid0(VALU_DEP_1) | instskip(NEXT) | instid1(VALU_DEP_4)
	v_dual_mul_f32 v96, s13, v93 :: v_dual_mul_f32 v95, s14, v94
	v_dual_mul_f32 v94, s13, v97 :: v_dual_mul_f32 v93, s14, v98
	s_and_saveexec_b32 s15, vcc_lo
	s_cbranch_execz .LBB228_65
; %bb.64:                               ;   in Loop: Header=BB228_38 Depth=1
	v_cmp_gt_i32_e64 s0, s34, v63
	s_wait_alu 0xf1ff
	s_delay_alu instid0(VALU_DEP_1) | instskip(SKIP_2) | instid1(VALU_DEP_1)
	v_cndmask_b32_e64 v96, 0, v96, s0
	v_cmp_gt_i32_e64 s0, s34, v66
	s_wait_alu 0xf1ff
	v_cndmask_b32_e64 v95, 0, v95, s0
	v_cmp_gt_i32_e64 s0, s34, v64
	s_wait_alu 0xf1ff
	s_delay_alu instid0(VALU_DEP_1) | instskip(SKIP_2) | instid1(VALU_DEP_1)
	v_cndmask_b32_e64 v94, 0, v94, s0
	v_cmp_gt_i32_e64 s0, s34, v67
	s_wait_alu 0xf1ff
	v_cndmask_b32_e64 v93, 0, v93, s0
.LBB228_65:                             ;   in Loop: Header=BB228_38 Depth=1
	s_wait_alu 0xfffe
	s_or_b32 exec_lo, exec_lo, s15
	global_load_b32 v97, v[9:10], off offset:1664
	s_wait_loadcnt 0x0
	v_lshrrev_b32_e32 v99, 16, v97
	s_delay_alu instid0(VALU_DEP_1) | instskip(SKIP_1) | instid1(VALU_DEP_1)
	v_cvt_pk_f32_fp8_e32 v[101:102], v99
	v_and_b32_e32 v98, 0xffff, v97
	v_cvt_pk_f32_fp8_e32 v[97:98], v98
	s_delay_alu instid0(VALU_DEP_1) | instskip(NEXT) | instid1(VALU_DEP_4)
	v_dual_mul_f32 v100, s13, v97 :: v_dual_mul_f32 v99, s14, v98
	v_dual_mul_f32 v98, s13, v101 :: v_dual_mul_f32 v97, s14, v102
	s_and_saveexec_b32 s15, vcc_lo
	s_cbranch_execz .LBB228_67
; %bb.66:                               ;   in Loop: Header=BB228_38 Depth=1
	v_cmp_gt_i32_e64 s0, s34, v63
	s_wait_alu 0xf1ff
	s_delay_alu instid0(VALU_DEP_1) | instskip(SKIP_2) | instid1(VALU_DEP_1)
	v_cndmask_b32_e64 v100, 0, v100, s0
	v_cmp_gt_i32_e64 s0, s34, v66
	s_wait_alu 0xf1ff
	v_cndmask_b32_e64 v99, 0, v99, s0
	v_cmp_gt_i32_e64 s0, s34, v64
	s_wait_alu 0xf1ff
	s_delay_alu instid0(VALU_DEP_1) | instskip(SKIP_2) | instid1(VALU_DEP_1)
	v_cndmask_b32_e64 v98, 0, v98, s0
	v_cmp_gt_i32_e64 s0, s34, v67
	s_wait_alu 0xf1ff
	v_cndmask_b32_e64 v97, 0, v97, s0
.LBB228_67:                             ;   in Loop: Header=BB228_38 Depth=1
	s_wait_alu 0xfffe
	s_or_b32 exec_lo, exec_lo, s15
	global_load_b32 v101, v[9:10], off offset:1792
	s_wait_loadcnt 0x0
	v_lshrrev_b32_e32 v105, 16, v101
	s_delay_alu instid0(VALU_DEP_1) | instskip(NEXT) | instid1(VALU_DEP_1)
	v_cvt_pk_f32_fp8_e32 v[109:110], v105
	v_dual_mul_f32 v105, s14, v110 :: v_dual_and_b32 v102, 0xffff, v101
	s_delay_alu instid0(VALU_DEP_1) | instskip(NEXT) | instid1(VALU_DEP_3)
	v_cvt_pk_f32_fp8_e32 v[101:102], v102
	v_mul_f32_e32 v106, s13, v109
	s_delay_alu instid0(VALU_DEP_2)
	v_dual_mul_f32 v108, s13, v101 :: v_dual_mul_f32 v107, s14, v102
	s_and_saveexec_b32 s15, vcc_lo
	s_cbranch_execz .LBB228_69
; %bb.68:                               ;   in Loop: Header=BB228_38 Depth=1
	v_cmp_gt_i32_e64 s0, s34, v63
	s_wait_alu 0xf1ff
	s_delay_alu instid0(VALU_DEP_1) | instskip(SKIP_2) | instid1(VALU_DEP_1)
	v_cndmask_b32_e64 v108, 0, v108, s0
	v_cmp_gt_i32_e64 s0, s34, v66
	s_wait_alu 0xf1ff
	v_cndmask_b32_e64 v107, 0, v107, s0
	v_cmp_gt_i32_e64 s0, s34, v64
	s_wait_alu 0xf1ff
	s_delay_alu instid0(VALU_DEP_1) | instskip(SKIP_2) | instid1(VALU_DEP_1)
	v_cndmask_b32_e64 v106, 0, v106, s0
	v_cmp_gt_i32_e64 s0, s34, v67
	s_wait_alu 0xf1ff
	v_cndmask_b32_e64 v105, 0, v105, s0
.LBB228_69:                             ;   in Loop: Header=BB228_38 Depth=1
	s_wait_alu 0xfffe
	s_or_b32 exec_lo, exec_lo, s15
	global_load_b32 v101, v[9:10], off offset:1920
	s_wait_loadcnt 0x0
	v_lshrrev_b32_e32 v109, 16, v101
	s_delay_alu instid0(VALU_DEP_1) | instskip(NEXT) | instid1(VALU_DEP_1)
	v_cvt_pk_f32_fp8_e32 v[113:114], v109
	v_dual_mul_f32 v109, s14, v114 :: v_dual_and_b32 v102, 0xffff, v101
	s_delay_alu instid0(VALU_DEP_1) | instskip(NEXT) | instid1(VALU_DEP_3)
	v_cvt_pk_f32_fp8_e32 v[101:102], v102
	v_mul_f32_e32 v110, s13, v113
	s_delay_alu instid0(VALU_DEP_2)
	v_dual_mul_f32 v112, s13, v101 :: v_dual_mul_f32 v111, s14, v102
	s_and_saveexec_b32 s15, vcc_lo
	s_cbranch_execz .LBB228_71
; %bb.70:                               ;   in Loop: Header=BB228_38 Depth=1
	v_cmp_gt_i32_e64 s0, s34, v63
	s_wait_alu 0xf1ff
	s_delay_alu instid0(VALU_DEP_1) | instskip(SKIP_2) | instid1(VALU_DEP_1)
	v_cndmask_b32_e64 v112, 0, v112, s0
	v_cmp_gt_i32_e64 s0, s34, v66
	s_wait_alu 0xf1ff
	v_cndmask_b32_e64 v111, 0, v111, s0
	v_cmp_gt_i32_e64 s0, s34, v64
	s_wait_alu 0xf1ff
	s_delay_alu instid0(VALU_DEP_1) | instskip(SKIP_2) | instid1(VALU_DEP_1)
	v_cndmask_b32_e64 v110, 0, v110, s0
	v_cmp_gt_i32_e64 s0, s34, v67
	s_wait_alu 0xf1ff
	v_cndmask_b32_e64 v109, 0, v109, s0
.LBB228_71:                             ;   in Loop: Header=BB228_38 Depth=1
	s_wait_alu 0xfffe
	s_or_b32 exec_lo, exec_lo, s15
	global_load_b32 v101, v[9:10], off offset:2048
	s_wait_loadcnt 0x0
	v_and_b32_e32 v102, 0xffff, v101
	v_lshrrev_b32_e32 v113, 16, v101
	s_delay_alu instid0(VALU_DEP_2) | instskip(NEXT) | instid1(VALU_DEP_2)
	v_cvt_pk_f32_fp8_e32 v[101:102], v102
	v_cvt_pk_f32_fp8_e32 v[116:117], v113
	s_delay_alu instid0(VALU_DEP_1) | instskip(NEXT) | instid1(VALU_DEP_3)
	v_dual_mul_f32 v101, s13, v101 :: v_dual_mul_f32 v114, s13, v116
	v_mul_f32_e32 v115, s14, v102
	s_delay_alu instid0(VALU_DEP_3)
	v_mul_f32_e32 v113, s14, v117
	s_and_saveexec_b32 s15, vcc_lo
	s_cbranch_execz .LBB228_73
; %bb.72:                               ;   in Loop: Header=BB228_38 Depth=1
	v_cmp_gt_i32_e64 s0, s34, v63
	s_wait_alu 0xf1ff
	s_delay_alu instid0(VALU_DEP_1) | instskip(SKIP_2) | instid1(VALU_DEP_1)
	v_cndmask_b32_e64 v101, 0, v101, s0
	v_cmp_gt_i32_e64 s0, s34, v66
	s_wait_alu 0xf1ff
	v_cndmask_b32_e64 v115, 0, v115, s0
	v_cmp_gt_i32_e64 s0, s34, v64
	s_wait_alu 0xf1ff
	s_delay_alu instid0(VALU_DEP_1) | instskip(SKIP_2) | instid1(VALU_DEP_1)
	v_cndmask_b32_e64 v114, 0, v114, s0
	v_cmp_gt_i32_e64 s0, s34, v67
	s_wait_alu 0xf1ff
	v_cndmask_b32_e64 v113, 0, v113, s0
.LBB228_73:                             ;   in Loop: Header=BB228_38 Depth=1
	s_wait_alu 0xfffe
	s_or_b32 exec_lo, exec_lo, s15
	global_load_b32 v102, v[9:10], off offset:2176
	s_wait_loadcnt 0x0
	v_and_b32_e32 v116, 0xffff, v102
	v_lshrrev_b32_e32 v102, 16, v102
	s_delay_alu instid0(VALU_DEP_2) | instskip(NEXT) | instid1(VALU_DEP_2)
	v_cvt_pk_f32_fp8_e32 v[116:117], v116
	v_cvt_pk_f32_fp8_e32 v[119:120], v102
	s_delay_alu instid0(VALU_DEP_2) | instskip(NEXT) | instid1(VALU_DEP_2)
	v_dual_mul_f32 v118, s13, v116 :: v_dual_mul_f32 v117, s14, v117
	v_mul_f32_e32 v116, s13, v119
	s_delay_alu instid0(VALU_DEP_3)
	v_mul_f32_e32 v102, s14, v120
	s_and_saveexec_b32 s15, vcc_lo
	s_cbranch_execz .LBB228_75
; %bb.74:                               ;   in Loop: Header=BB228_38 Depth=1
	v_cmp_gt_i32_e64 s0, s34, v63
	s_wait_alu 0xf1ff
	s_delay_alu instid0(VALU_DEP_1) | instskip(SKIP_2) | instid1(VALU_DEP_1)
	v_cndmask_b32_e64 v118, 0, v118, s0
	v_cmp_gt_i32_e64 s0, s34, v66
	s_wait_alu 0xf1ff
	v_cndmask_b32_e64 v117, 0, v117, s0
	v_cmp_gt_i32_e64 s0, s34, v64
	s_wait_alu 0xf1ff
	s_delay_alu instid0(VALU_DEP_1) | instskip(SKIP_2) | instid1(VALU_DEP_1)
	v_cndmask_b32_e64 v116, 0, v116, s0
	v_cmp_gt_i32_e64 s0, s34, v67
	s_wait_alu 0xf1ff
	v_cndmask_b32_e64 v102, 0, v102, s0
.LBB228_75:                             ;   in Loop: Header=BB228_38 Depth=1
	s_wait_alu 0xfffe
	s_or_b32 exec_lo, exec_lo, s15
	global_load_b32 v119, v[9:10], off offset:2304
	s_wait_loadcnt 0x0
	v_and_b32_e32 v120, 0xffff, v119
	v_lshrrev_b32_e32 v121, 16, v119
	s_delay_alu instid0(VALU_DEP_2) | instskip(NEXT) | instid1(VALU_DEP_2)
	v_cvt_pk_f32_fp8_e32 v[119:120], v120
	v_cvt_pk_f32_fp8_e32 v[122:123], v121
	s_delay_alu instid0(VALU_DEP_2) | instskip(NEXT) | instid1(VALU_DEP_2)
	v_dual_mul_f32 v124, s13, v119 :: v_dual_mul_f32 v121, s14, v120
	v_dual_mul_f32 v120, s13, v122 :: v_dual_mul_f32 v119, s14, v123
	s_and_saveexec_b32 s15, vcc_lo
	s_cbranch_execz .LBB228_77
; %bb.76:                               ;   in Loop: Header=BB228_38 Depth=1
	v_cmp_gt_i32_e64 s0, s34, v63
	s_wait_alu 0xf1ff
	s_delay_alu instid0(VALU_DEP_1) | instskip(SKIP_2) | instid1(VALU_DEP_1)
	v_cndmask_b32_e64 v124, 0, v124, s0
	v_cmp_gt_i32_e64 s0, s34, v66
	s_wait_alu 0xf1ff
	v_cndmask_b32_e64 v121, 0, v121, s0
	v_cmp_gt_i32_e64 s0, s34, v64
	s_wait_alu 0xf1ff
	s_delay_alu instid0(VALU_DEP_1) | instskip(SKIP_2) | instid1(VALU_DEP_1)
	v_cndmask_b32_e64 v120, 0, v120, s0
	v_cmp_gt_i32_e64 s0, s34, v67
	s_wait_alu 0xf1ff
	v_cndmask_b32_e64 v119, 0, v119, s0
.LBB228_77:                             ;   in Loop: Header=BB228_38 Depth=1
	s_wait_alu 0xfffe
	s_or_b32 exec_lo, exec_lo, s15
	global_load_b32 v122, v[9:10], off offset:2432
	s_wait_loadcnt 0x0
	v_lshrrev_b32_e32 v125, 16, v122
	s_delay_alu instid0(VALU_DEP_1) | instskip(NEXT) | instid1(VALU_DEP_1)
	v_cvt_pk_f32_fp8_e32 v[132:133], v125
	v_dual_mul_f32 v126, s13, v132 :: v_dual_and_b32 v123, 0xffff, v122
	s_delay_alu instid0(VALU_DEP_1) | instskip(NEXT) | instid1(VALU_DEP_1)
	v_cvt_pk_f32_fp8_e32 v[122:123], v123
	v_dual_mul_f32 v125, s14, v133 :: v_dual_mul_f32 v128, s13, v122
	s_delay_alu instid0(VALU_DEP_2)
	v_mul_f32_e32 v127, s14, v123
	s_and_saveexec_b32 s15, vcc_lo
	s_cbranch_execz .LBB228_79
; %bb.78:                               ;   in Loop: Header=BB228_38 Depth=1
	v_cmp_gt_i32_e64 s0, s34, v63
	s_wait_alu 0xf1ff
	s_delay_alu instid0(VALU_DEP_1) | instskip(SKIP_2) | instid1(VALU_DEP_1)
	v_cndmask_b32_e64 v128, 0, v128, s0
	v_cmp_gt_i32_e64 s0, s34, v66
	s_wait_alu 0xf1ff
	v_cndmask_b32_e64 v127, 0, v127, s0
	v_cmp_gt_i32_e64 s0, s34, v64
	s_wait_alu 0xf1ff
	s_delay_alu instid0(VALU_DEP_1) | instskip(SKIP_2) | instid1(VALU_DEP_1)
	v_cndmask_b32_e64 v126, 0, v126, s0
	v_cmp_gt_i32_e64 s0, s34, v67
	s_wait_alu 0xf1ff
	v_cndmask_b32_e64 v125, 0, v125, s0
.LBB228_79:                             ;   in Loop: Header=BB228_38 Depth=1
	s_wait_alu 0xfffe
	s_or_b32 exec_lo, exec_lo, s15
	global_load_b32 v122, v[9:10], off offset:2560
	s_wait_loadcnt 0x0
	v_lshrrev_b32_e32 v14, 16, v122
	s_delay_alu instid0(VALU_DEP_1) | instskip(NEXT) | instid1(VALU_DEP_1)
	v_cvt_pk_f32_fp8_e32 v[135:136], v14
	v_dual_mul_f32 v132, s13, v135 :: v_dual_and_b32 v123, 0xffff, v122
	s_delay_alu instid0(VALU_DEP_1) | instskip(NEXT) | instid1(VALU_DEP_1)
	v_cvt_pk_f32_fp8_e32 v[122:123], v123
	v_dual_mul_f32 v129, s14, v136 :: v_dual_mul_f32 v134, s13, v122
	s_delay_alu instid0(VALU_DEP_2)
	v_mul_f32_e32 v133, s14, v123
	s_and_saveexec_b32 s15, vcc_lo
	s_cbranch_execz .LBB228_81
; %bb.80:                               ;   in Loop: Header=BB228_38 Depth=1
	v_cmp_gt_i32_e64 s0, s34, v63
	s_wait_alu 0xf1ff
	s_delay_alu instid0(VALU_DEP_1) | instskip(SKIP_2) | instid1(VALU_DEP_1)
	v_cndmask_b32_e64 v134, 0, v134, s0
	v_cmp_gt_i32_e64 s0, s34, v66
	s_wait_alu 0xf1ff
	v_cndmask_b32_e64 v133, 0, v133, s0
	v_cmp_gt_i32_e64 s0, s34, v64
	s_wait_alu 0xf1ff
	s_delay_alu instid0(VALU_DEP_1) | instskip(SKIP_2) | instid1(VALU_DEP_1)
	v_cndmask_b32_e64 v132, 0, v132, s0
	v_cmp_gt_i32_e64 s0, s34, v67
	s_wait_alu 0xf1ff
	v_cndmask_b32_e64 v129, 0, v129, s0
.LBB228_81:                             ;   in Loop: Header=BB228_38 Depth=1
	s_wait_alu 0xfffe
	s_or_b32 exec_lo, exec_lo, s15
	global_load_b32 v14, v[9:10], off offset:2688
	s_wait_loadcnt 0x0
	v_and_b32_e32 v122, 0xffff, v14
	v_lshrrev_b32_e32 v14, 16, v14
	s_delay_alu instid0(VALU_DEP_2) | instskip(NEXT) | instid1(VALU_DEP_2)
	v_cvt_pk_f32_fp8_e32 v[122:123], v122
	v_cvt_pk_f32_fp8_e32 v[139:140], v14
	s_delay_alu instid0(VALU_DEP_1) | instskip(NEXT) | instid1(VALU_DEP_3)
	v_dual_mul_f32 v138, s13, v122 :: v_dual_mul_f32 v135, s14, v140
	v_mul_f32_e32 v137, s14, v123
	s_delay_alu instid0(VALU_DEP_3)
	v_mul_f32_e32 v136, s13, v139
	s_and_saveexec_b32 s15, vcc_lo
	s_cbranch_execz .LBB228_83
; %bb.82:                               ;   in Loop: Header=BB228_38 Depth=1
	v_cmp_gt_i32_e64 s0, s34, v63
	s_wait_alu 0xf1ff
	s_delay_alu instid0(VALU_DEP_1) | instskip(SKIP_2) | instid1(VALU_DEP_1)
	v_cndmask_b32_e64 v138, 0, v138, s0
	v_cmp_gt_i32_e64 s0, s34, v66
	s_wait_alu 0xf1ff
	v_cndmask_b32_e64 v137, 0, v137, s0
	v_cmp_gt_i32_e64 s0, s34, v64
	s_wait_alu 0xf1ff
	s_delay_alu instid0(VALU_DEP_1) | instskip(SKIP_2) | instid1(VALU_DEP_1)
	v_cndmask_b32_e64 v136, 0, v136, s0
	v_cmp_gt_i32_e64 s0, s34, v67
	s_wait_alu 0xf1ff
	v_cndmask_b32_e64 v135, 0, v135, s0
.LBB228_83:                             ;   in Loop: Header=BB228_38 Depth=1
	s_wait_alu 0xfffe
	s_or_b32 exec_lo, exec_lo, s15
	global_load_b32 v14, v[9:10], off offset:2816
	s_wait_loadcnt 0x0
	v_and_b32_e32 v122, 0xffff, v14
	v_lshrrev_b32_e32 v14, 16, v14
	s_delay_alu instid0(VALU_DEP_2) | instskip(NEXT) | instid1(VALU_DEP_2)
	v_cvt_pk_f32_fp8_e32 v[122:123], v122
	v_cvt_pk_f32_fp8_e32 v[143:144], v14
	s_delay_alu instid0(VALU_DEP_1) | instskip(NEXT) | instid1(VALU_DEP_3)
	v_dual_mul_f32 v142, s13, v122 :: v_dual_mul_f32 v139, s14, v144
	v_mul_f32_e32 v141, s14, v123
	s_delay_alu instid0(VALU_DEP_3)
	v_mul_f32_e32 v140, s13, v143
	s_and_saveexec_b32 s15, vcc_lo
	s_cbranch_execz .LBB228_85
; %bb.84:                               ;   in Loop: Header=BB228_38 Depth=1
	v_cmp_gt_i32_e64 s0, s34, v63
	s_wait_alu 0xf1ff
	s_delay_alu instid0(VALU_DEP_1) | instskip(SKIP_2) | instid1(VALU_DEP_1)
	v_cndmask_b32_e64 v142, 0, v142, s0
	v_cmp_gt_i32_e64 s0, s34, v66
	s_wait_alu 0xf1ff
	v_cndmask_b32_e64 v141, 0, v141, s0
	v_cmp_gt_i32_e64 s0, s34, v64
	s_wait_alu 0xf1ff
	s_delay_alu instid0(VALU_DEP_1) | instskip(SKIP_2) | instid1(VALU_DEP_1)
	v_cndmask_b32_e64 v140, 0, v140, s0
	v_cmp_gt_i32_e64 s0, s34, v67
	s_wait_alu 0xf1ff
	v_cndmask_b32_e64 v139, 0, v139, s0
.LBB228_85:                             ;   in Loop: Header=BB228_38 Depth=1
	s_wait_alu 0xfffe
	s_or_b32 exec_lo, exec_lo, s15
	global_load_b32 v9, v[9:10], off offset:2944
	s_wait_loadcnt 0x0
	v_lshrrev_b32_e32 v14, 16, v9
	s_delay_alu instid0(VALU_DEP_1) | instskip(SKIP_1) | instid1(VALU_DEP_1)
	v_cvt_pk_f32_fp8_e32 v[143:144], v14
	v_and_b32_e32 v10, 0xffff, v9
	v_cvt_pk_f32_fp8_e32 v[9:10], v10
	s_delay_alu instid0(VALU_DEP_1) | instskip(NEXT) | instid1(VALU_DEP_4)
	v_dual_mul_f32 v123, s13, v9 :: v_dual_mul_f32 v122, s14, v10
	v_dual_mul_f32 v10, s13, v143 :: v_dual_mul_f32 v9, s14, v144
	s_and_saveexec_b32 s0, vcc_lo
	s_cbranch_execz .LBB228_36
; %bb.86:                               ;   in Loop: Header=BB228_38 Depth=1
	v_cmp_gt_i32_e32 vcc_lo, s34, v63
	s_wait_alu 0xfffd
	v_cndmask_b32_e32 v123, 0, v123, vcc_lo
	v_cmp_gt_i32_e32 vcc_lo, s34, v66
	s_wait_alu 0xfffd
	v_cndmask_b32_e32 v122, 0, v122, vcc_lo
	;; [unrolled: 3-line block ×4, first 2 shown]
	s_branch .LBB228_36
.LBB228_87:
	s_or_b32 exec_lo, exec_lo, s5
.LBB228_88:
	s_wait_alu 0xfffe
	s_or_b32 exec_lo, exec_lo, s1
	ds_bpermute_b32 v1, v13, v37
	ds_bpermute_b32 v2, v13, v38
	;; [unrolled: 1-line block ×19, first 2 shown]
	s_mov_b32 s0, exec_lo
	s_wait_dscnt 0x11
	v_dual_add_f32 v1, v37, v1 :: v_dual_add_f32 v2, v38, v2
	s_wait_dscnt 0xf
	v_dual_add_f32 v3, v36, v3 :: v_dual_add_f32 v4, v35, v4
	;; [unrolled: 2-line block ×3, first 2 shown]
	ds_bpermute_b32 v36, v12, v1
	ds_bpermute_b32 v37, v12, v2
	;; [unrolled: 1-line block ×3, first 2 shown]
	s_wait_dscnt 0xf
	v_add_f32_e32 v28, v28, v39
	ds_bpermute_b32 v46, v12, v4
	s_wait_dscnt 0xc
	v_dual_add_f32 v5, v34, v5 :: v_dual_add_f32 v6, v33, v6
	v_dual_add_f32 v7, v32, v7 :: v_dual_add_f32 v8, v31, v8
	ds_bpermute_b32 v34, v12, v10
	ds_bpermute_b32 v35, v13, v21
	;; [unrolled: 1-line block ×4, first 2 shown]
	s_wait_dscnt 0xe
	v_add_f32_e32 v26, v26, v41
	ds_bpermute_b32 v30, v12, v6
	s_wait_dscnt 0xc
	v_dual_add_f32 v24, v24, v43 :: v_dual_add_f32 v23, v23, v44
	s_wait_dscnt 0xb
	v_add_f32_e32 v22, v22, v45
	s_wait_dscnt 0x9
	v_dual_add_f32 v20, v20, v47 :: v_dual_add_f32 v19, v19, v48
	s_wait_dscnt 0x7
	v_dual_add_f32 v1, v1, v36 :: v_dual_add_f32 v2, v2, v37
	s_wait_dscnt 0x6
	v_add_f32_e32 v3, v3, v38
	ds_bpermute_b32 v39, v12, v28
	s_wait_dscnt 0x6
	v_dual_add_f32 v4, v4, v46 :: v_dual_add_f32 v27, v27, v40
	ds_bpermute_b32 v36, v11, v1
	ds_bpermute_b32 v38, v11, v3
	;; [unrolled: 1-line block ×4, first 2 shown]
	s_wait_dscnt 0x9
	v_add_f32_e32 v10, v10, v34
	ds_bpermute_b32 v40, v11, v4
	ds_bpermute_b32 v41, v12, v27
	s_wait_dscnt 0x8
	v_add_f32_e32 v7, v7, v31
	v_add_f32_e32 v21, v21, v35
	ds_bpermute_b32 v32, v12, v8
	ds_bpermute_b32 v33, v12, v9
	s_wait_dscnt 0x9
	v_dual_add_f32 v5, v5, v29 :: v_dual_add_f32 v6, v6, v30
	ds_bpermute_b32 v35, v12, v22
	ds_bpermute_b32 v43, v12, v21
	;; [unrolled: 1-line block ×4, first 2 shown]
	s_wait_dscnt 0xc
	v_dual_add_f32 v28, v28, v39 :: v_dual_add_f32 v25, v25, v42
	ds_bpermute_b32 v42, v12, v23
	s_wait_dscnt 0xc
	v_add_f32_e32 v1, v1, v36
	s_wait_dscnt 0xb
	v_add_f32_e32 v3, v3, v38
	ds_bpermute_b32 v36, v13, v17
	ds_bpermute_b32 v38, v13, v16
	;; [unrolled: 1-line block ×3, first 2 shown]
	s_wait_dscnt 0xd
	v_add_f32_e32 v2, v2, v37
	ds_bpermute_b32 v37, v12, v26
	s_wait_dscnt 0xd
	v_add_f32_e32 v18, v18, v46
	s_wait_dscnt 0xb
	v_dual_add_f32 v4, v4, v40 :: v_dual_add_f32 v27, v27, v41
	ds_bpermute_b32 v39, v12, v25
	ds_bpermute_b32 v41, v12, v24
	;; [unrolled: 1-line block ×4, first 2 shown]
	s_wait_dscnt 0xd
	v_dual_add_f32 v8, v8, v32 :: v_dual_add_f32 v9, v9, v33
	ds_bpermute_b32 v40, v11, v28
	ds_bpermute_b32 v31, v11, v7
	s_wait_dscnt 0xa
	v_dual_add_f32 v22, v22, v35 :: v_dual_add_f32 v23, v23, v42
	v_add_f32_e32 v20, v20, v44
	ds_bpermute_b32 v32, v11, v8
	s_wait_dscnt 0x9
	v_dual_add_f32 v17, v17, v36 :: v_dual_add_f32 v16, v16, v38
	s_wait_dscnt 0x8
	v_add_f32_e32 v13, v15, v13
	ds_bpermute_b32 v36, v12, v18
	s_wait_dscnt 0x8
	v_add_f32_e32 v15, v26, v37
	ds_bpermute_b32 v26, v12, v17
	ds_bpermute_b32 v37, v12, v16
	;; [unrolled: 1-line block ×3, first 2 shown]
	s_wait_dscnt 0x9
	v_dual_add_f32 v25, v25, v39 :: v_dual_add_f32 v24, v24, v41
	ds_bpermute_b32 v38, v11, v27
	v_add_f32_e32 v21, v21, v43
	v_add_f32_e32 v43, v19, v45
	ds_bpermute_b32 v33, v11, v9
	ds_bpermute_b32 v34, v11, v10
	;; [unrolled: 1-line block ×8, first 2 shown]
	s_wait_dscnt 0x10
	v_dual_add_f32 v5, v5, v29 :: v_dual_add_f32 v6, v6, v30
	s_wait_dscnt 0xc
	v_add_f32_e32 v36, v18, v36
	ds_bpermute_b32 v44, v11, v21
	s_wait_dscnt 0xb
	v_dual_add_f32 v26, v17, v26 :: v_dual_add_f32 v37, v16, v37
	s_wait_dscnt 0xa
	v_add_f32_e32 v48, v13, v12
	ds_bpermute_b32 v46, v11, v43
	ds_bpermute_b32 v47, v11, v36
	ds_bpermute_b32 v29, v11, v26
	ds_bpermute_b32 v30, v11, v37
	ds_bpermute_b32 v49, v11, v48
	s_wait_dscnt 0xe
	v_dual_add_f32 v11, v28, v40 :: v_dual_add_f32 v12, v27, v38
	v_lshrrev_b32_e32 v27, 3, v131
	v_dual_add_f32 v7, v7, v31 :: v_dual_add_f32 v8, v8, v32
	s_wait_dscnt 0xc
	v_dual_add_f32 v9, v9, v33 :: v_dual_add_f32 v10, v10, v34
	s_wait_dscnt 0x9
	;; [unrolled: 2-line block ×5, first 2 shown]
	v_add_f32_e32 v19, v21, v44
	v_mul_u32_u24_e32 v28, 0x180, v130
	s_wait_dscnt 0x3
	v_dual_add_f32 v21, v43, v46 :: v_dual_add_f32 v22, v36, v47
	s_wait_dscnt 0x1
	v_dual_add_f32 v23, v26, v29 :: v_dual_add_f32 v24, v37, v30
	v_and_b32_e32 v29, 0x3c7, v0
	s_wait_dscnt 0x0
	v_add_f32_e32 v25, v48, v49
	v_lshl_add_u32 v26, v27, 2, 0x1a0
	s_wait_loadcnt 0x0
	s_wait_storecnt 0x0
	s_barrier_signal -1
	s_barrier_wait -1
	global_inv scope:SCOPE_SE
	v_cmpx_eq_u32_e32 64, v29
	s_cbranch_execz .LBB228_90
; %bb.89:
	v_add_nc_u32_e32 v14, v26, v28
	s_delay_alu instid0(VALU_DEP_1)
	v_add_nc_u32_e32 v29, 0xfffffd00, v14
	v_add_nc_u32_e32 v30, 0xfffffd10, v14
	v_add_nc_u32_e32 v31, 0xfffffd20, v14
	v_add_nc_u32_e32 v32, 0xfffffd30, v14
	v_add_nc_u32_e32 v33, 0xfffffd40, v14
	v_add_nc_u32_e32 v34, 0xfffffd50, v14
	v_add_nc_u32_e32 v35, 0xfffffd60, v14
	v_add_nc_u32_e32 v36, 0xfffffd70, v14
	ds_store_b32 v29, v1
	ds_store_b32 v30, v2
	ds_store_b32 v31, v3
	ds_store_b32 v32, v4
	ds_store_b32 v33, v5
	ds_store_b32 v34, v6
	ds_store_b32 v35, v7
	ds_store_b32 v36, v8
	v_add_nc_u32_e32 v29, 0xfffffd80, v14
	v_add_nc_u32_e32 v30, 0xfffffd90, v14
	v_add_nc_u32_e32 v31, 0xfffffda0, v14
	v_add_nc_u32_e32 v32, 0xfffffdb0, v14
	v_add_nc_u32_e32 v33, 0xfffffdc0, v14
	v_add_nc_u32_e32 v34, 0xfffffdd0, v14
	v_add_nc_u32_e32 v35, 0xfffffde0, v14
	v_add_nc_u32_e32 v36, 0xfffffdf0, v14
	ds_store_b32 v29, v9
	ds_store_b32 v30, v10
	ds_store_b32 v31, v11
	ds_store_b32 v32, v12
	ds_store_b32 v33, v13
	ds_store_b32 v34, v15
	ds_store_b32 v35, v16
	ds_store_b32 v36, v17
	;; [unrolled: 16-line block ×3, first 2 shown]
.LBB228_90:
	s_wait_alu 0xfffe
	s_or_b32 exec_lo, exec_lo, s0
	v_lshlrev_b32_e32 v14, 2, v27
	s_mov_b32 s1, exec_lo
	v_cmp_eq_u32_e32 vcc_lo, 0, v145
	s_wait_loadcnt_dscnt 0x0
	s_barrier_signal -1
	v_add3_u32 v14, 0x1a0, v28, v14
	s_barrier_wait -1
	global_inv scope:SCOPE_SE
	v_cmpx_gt_u32_e32 64, v0
	s_cbranch_execz .LBB228_117
; %bb.91:
	s_and_saveexec_b32 s0, vcc_lo
	s_cbranch_execnz .LBB228_149
; %bb.92:
	s_wait_alu 0xfffe
	s_or_b32 exec_lo, exec_lo, s0
	s_and_saveexec_b32 s0, vcc_lo
	s_cbranch_execnz .LBB228_150
.LBB228_93:
	s_wait_alu 0xfffe
	s_or_b32 exec_lo, exec_lo, s0
	s_and_saveexec_b32 s0, vcc_lo
	s_cbranch_execnz .LBB228_151
.LBB228_94:
	s_wait_alu 0xfffe
	s_or_b32 exec_lo, exec_lo, s0
	s_and_saveexec_b32 s0, vcc_lo
	s_cbranch_execnz .LBB228_152
.LBB228_95:
	s_wait_alu 0xfffe
	s_or_b32 exec_lo, exec_lo, s0
	s_and_saveexec_b32 s0, vcc_lo
	s_cbranch_execnz .LBB228_153
.LBB228_96:
	s_wait_alu 0xfffe
	s_or_b32 exec_lo, exec_lo, s0
	s_and_saveexec_b32 s0, vcc_lo
	s_cbranch_execnz .LBB228_154
.LBB228_97:
	s_wait_alu 0xfffe
	s_or_b32 exec_lo, exec_lo, s0
	s_and_saveexec_b32 s0, vcc_lo
	s_cbranch_execnz .LBB228_155
.LBB228_98:
	s_wait_alu 0xfffe
	s_or_b32 exec_lo, exec_lo, s0
	s_and_saveexec_b32 s0, vcc_lo
	s_cbranch_execnz .LBB228_156
.LBB228_99:
	s_wait_alu 0xfffe
	s_or_b32 exec_lo, exec_lo, s0
	s_and_saveexec_b32 s0, vcc_lo
	s_cbranch_execnz .LBB228_157
.LBB228_100:
	s_wait_alu 0xfffe
	s_or_b32 exec_lo, exec_lo, s0
	s_and_saveexec_b32 s0, vcc_lo
	s_cbranch_execnz .LBB228_158
.LBB228_101:
	s_wait_alu 0xfffe
	s_or_b32 exec_lo, exec_lo, s0
	s_and_saveexec_b32 s0, vcc_lo
	s_cbranch_execnz .LBB228_159
.LBB228_102:
	s_wait_alu 0xfffe
	s_or_b32 exec_lo, exec_lo, s0
	s_and_saveexec_b32 s0, vcc_lo
	s_cbranch_execnz .LBB228_160
.LBB228_103:
	s_wait_alu 0xfffe
	s_or_b32 exec_lo, exec_lo, s0
	s_and_saveexec_b32 s0, vcc_lo
	s_cbranch_execnz .LBB228_161
.LBB228_104:
	s_wait_alu 0xfffe
	s_or_b32 exec_lo, exec_lo, s0
	s_and_saveexec_b32 s0, vcc_lo
	s_cbranch_execnz .LBB228_162
.LBB228_105:
	s_wait_alu 0xfffe
	s_or_b32 exec_lo, exec_lo, s0
	s_and_saveexec_b32 s0, vcc_lo
	s_cbranch_execnz .LBB228_163
.LBB228_106:
	s_wait_alu 0xfffe
	s_or_b32 exec_lo, exec_lo, s0
	s_and_saveexec_b32 s0, vcc_lo
	s_cbranch_execnz .LBB228_164
.LBB228_107:
	s_wait_alu 0xfffe
	s_or_b32 exec_lo, exec_lo, s0
	s_and_saveexec_b32 s0, vcc_lo
	s_cbranch_execnz .LBB228_165
.LBB228_108:
	s_wait_alu 0xfffe
	s_or_b32 exec_lo, exec_lo, s0
	s_and_saveexec_b32 s0, vcc_lo
	s_cbranch_execnz .LBB228_166
.LBB228_109:
	s_wait_alu 0xfffe
	s_or_b32 exec_lo, exec_lo, s0
	s_and_saveexec_b32 s0, vcc_lo
	s_cbranch_execnz .LBB228_167
.LBB228_110:
	s_wait_alu 0xfffe
	s_or_b32 exec_lo, exec_lo, s0
	s_and_saveexec_b32 s0, vcc_lo
	s_cbranch_execnz .LBB228_168
.LBB228_111:
	s_wait_alu 0xfffe
	s_or_b32 exec_lo, exec_lo, s0
	s_and_saveexec_b32 s0, vcc_lo
	s_cbranch_execnz .LBB228_169
.LBB228_112:
	s_wait_alu 0xfffe
	s_or_b32 exec_lo, exec_lo, s0
	s_and_saveexec_b32 s0, vcc_lo
	s_cbranch_execnz .LBB228_170
.LBB228_113:
	s_wait_alu 0xfffe
	s_or_b32 exec_lo, exec_lo, s0
	s_and_saveexec_b32 s0, vcc_lo
	s_cbranch_execnz .LBB228_171
.LBB228_114:
	s_wait_alu 0xfffe
	s_or_b32 exec_lo, exec_lo, s0
	s_and_saveexec_b32 s0, vcc_lo
	s_cbranch_execz .LBB228_116
.LBB228_115:
	ds_load_b32 v27, v14 offset:368
	s_wait_dscnt 0x0
	v_add_f32_e32 v25, v25, v27
.LBB228_116:
	s_wait_alu 0xfffe
	s_or_b32 exec_lo, exec_lo, s0
.LBB228_117:
	s_wait_alu 0xfffe
	s_or_b32 exec_lo, exec_lo, s1
	v_and_b32_e32 v27, 0x3e7, v0
	s_mov_b32 s1, exec_lo
	s_wait_loadcnt 0x0
	s_barrier_signal -1
	s_barrier_wait -1
	global_inv scope:SCOPE_SE
	v_cmpx_eq_u32_e32 32, v27
	s_cbranch_execz .LBB228_119
; %bb.118:
	ds_store_2addr_b32 v26, v1, v2 offset1:4
	ds_store_2addr_b32 v26, v3, v4 offset0:8 offset1:12
	ds_store_2addr_b32 v26, v5, v6 offset0:16 offset1:20
	ds_store_2addr_b32 v26, v7, v8 offset0:24 offset1:28
	ds_store_2addr_b32 v26, v9, v10 offset0:32 offset1:36
	ds_store_2addr_b32 v26, v11, v12 offset0:40 offset1:44
	ds_store_2addr_b32 v26, v13, v15 offset0:48 offset1:52
	ds_store_2addr_b32 v26, v16, v17 offset0:56 offset1:60
	ds_store_2addr_b32 v26, v18, v19 offset0:64 offset1:68
	ds_store_2addr_b32 v26, v20, v21 offset0:72 offset1:76
	ds_store_2addr_b32 v26, v22, v23 offset0:80 offset1:84
	ds_store_2addr_b32 v26, v24, v25 offset0:88 offset1:92
.LBB228_119:
	s_wait_alu 0xfffe
	s_or_b32 exec_lo, exec_lo, s1
	s_delay_alu instid0(SALU_CYCLE_1)
	s_mov_b32 s1, exec_lo
	s_wait_loadcnt_dscnt 0x0
	s_barrier_signal -1
	s_barrier_wait -1
	global_inv scope:SCOPE_SE
	v_cmpx_gt_u32_e32 32, v0
	s_cbranch_execz .LBB228_146
; %bb.120:
	s_and_saveexec_b32 s0, vcc_lo
	s_cbranch_execnz .LBB228_172
; %bb.121:
	s_wait_alu 0xfffe
	s_or_b32 exec_lo, exec_lo, s0
	s_and_saveexec_b32 s0, vcc_lo
	s_cbranch_execnz .LBB228_173
.LBB228_122:
	s_wait_alu 0xfffe
	s_or_b32 exec_lo, exec_lo, s0
	s_and_saveexec_b32 s0, vcc_lo
	s_cbranch_execnz .LBB228_174
.LBB228_123:
	s_wait_alu 0xfffe
	s_or_b32 exec_lo, exec_lo, s0
	s_and_saveexec_b32 s0, vcc_lo
	s_cbranch_execnz .LBB228_175
.LBB228_124:
	s_wait_alu 0xfffe
	s_or_b32 exec_lo, exec_lo, s0
	s_and_saveexec_b32 s0, vcc_lo
	s_cbranch_execnz .LBB228_176
.LBB228_125:
	s_wait_alu 0xfffe
	s_or_b32 exec_lo, exec_lo, s0
	s_and_saveexec_b32 s0, vcc_lo
	s_cbranch_execnz .LBB228_177
.LBB228_126:
	s_wait_alu 0xfffe
	s_or_b32 exec_lo, exec_lo, s0
	s_and_saveexec_b32 s0, vcc_lo
	s_cbranch_execnz .LBB228_178
.LBB228_127:
	s_wait_alu 0xfffe
	s_or_b32 exec_lo, exec_lo, s0
	s_and_saveexec_b32 s0, vcc_lo
	s_cbranch_execnz .LBB228_179
.LBB228_128:
	s_wait_alu 0xfffe
	s_or_b32 exec_lo, exec_lo, s0
	s_and_saveexec_b32 s0, vcc_lo
	s_cbranch_execnz .LBB228_180
.LBB228_129:
	s_wait_alu 0xfffe
	s_or_b32 exec_lo, exec_lo, s0
	s_and_saveexec_b32 s0, vcc_lo
	s_cbranch_execnz .LBB228_181
.LBB228_130:
	s_wait_alu 0xfffe
	s_or_b32 exec_lo, exec_lo, s0
	s_and_saveexec_b32 s0, vcc_lo
	s_cbranch_execnz .LBB228_182
.LBB228_131:
	s_wait_alu 0xfffe
	s_or_b32 exec_lo, exec_lo, s0
	s_and_saveexec_b32 s0, vcc_lo
	s_cbranch_execnz .LBB228_183
.LBB228_132:
	s_wait_alu 0xfffe
	s_or_b32 exec_lo, exec_lo, s0
	s_and_saveexec_b32 s0, vcc_lo
	s_cbranch_execnz .LBB228_184
.LBB228_133:
	s_wait_alu 0xfffe
	s_or_b32 exec_lo, exec_lo, s0
	s_and_saveexec_b32 s0, vcc_lo
	s_cbranch_execnz .LBB228_185
.LBB228_134:
	s_wait_alu 0xfffe
	s_or_b32 exec_lo, exec_lo, s0
	s_and_saveexec_b32 s0, vcc_lo
	s_cbranch_execnz .LBB228_186
.LBB228_135:
	s_wait_alu 0xfffe
	s_or_b32 exec_lo, exec_lo, s0
	s_and_saveexec_b32 s0, vcc_lo
	s_cbranch_execnz .LBB228_187
.LBB228_136:
	s_wait_alu 0xfffe
	s_or_b32 exec_lo, exec_lo, s0
	s_and_saveexec_b32 s0, vcc_lo
	s_cbranch_execnz .LBB228_188
.LBB228_137:
	s_wait_alu 0xfffe
	s_or_b32 exec_lo, exec_lo, s0
	s_and_saveexec_b32 s0, vcc_lo
	s_cbranch_execnz .LBB228_189
.LBB228_138:
	s_wait_alu 0xfffe
	s_or_b32 exec_lo, exec_lo, s0
	s_and_saveexec_b32 s0, vcc_lo
	s_cbranch_execnz .LBB228_190
.LBB228_139:
	s_wait_alu 0xfffe
	s_or_b32 exec_lo, exec_lo, s0
	s_and_saveexec_b32 s0, vcc_lo
	s_cbranch_execnz .LBB228_191
.LBB228_140:
	s_wait_alu 0xfffe
	s_or_b32 exec_lo, exec_lo, s0
	s_and_saveexec_b32 s0, vcc_lo
	s_cbranch_execnz .LBB228_192
.LBB228_141:
	s_wait_alu 0xfffe
	s_or_b32 exec_lo, exec_lo, s0
	s_and_saveexec_b32 s0, vcc_lo
	s_cbranch_execnz .LBB228_193
.LBB228_142:
	s_wait_alu 0xfffe
	s_or_b32 exec_lo, exec_lo, s0
	s_and_saveexec_b32 s0, vcc_lo
	s_cbranch_execnz .LBB228_194
.LBB228_143:
	s_wait_alu 0xfffe
	s_or_b32 exec_lo, exec_lo, s0
	s_and_saveexec_b32 s0, vcc_lo
	s_cbranch_execz .LBB228_145
.LBB228_144:
	ds_load_b32 v14, v14 offset:368
	s_wait_dscnt 0x0
	v_add_f32_e32 v25, v25, v14
.LBB228_145:
	s_wait_alu 0xfffe
	s_or_b32 exec_lo, exec_lo, s0
.LBB228_146:
	s_wait_alu 0xfffe
	s_or_b32 exec_lo, exec_lo, s1
	s_mov_b32 s1, 0
	s_wait_loadcnt 0x0
	s_barrier_signal -1
	s_barrier_wait -1
	global_inv scope:SCOPE_SE
	s_mov_b32 s0, exec_lo
	v_cmpx_eq_u32_e32 0, v27
	s_cbranch_execz .LBB228_148
; %bb.147:
	s_mul_i32 s2, s18, 0x60
	s_mul_i32 s4, s7, s20
	s_wait_alu 0xfffe
	s_ashr_i32 s3, s2, 31
	s_ashr_i32 s5, s4, 31
	s_wait_alu 0xfffe
	s_lshl_b64 s[2:3], s[2:3], 2
	s_lshl_b64 s[4:5], s[4:5], 2
	s_wait_kmcnt 0x0
	s_wait_alu 0xfffe
	s_add_nc_u64 s[2:3], s[8:9], s[2:3]
	v_lshrrev_b32_e32 v0, 1, v0
	s_mul_i32 s0, s33, 0x180
	s_wait_alu 0xfffe
	s_add_nc_u64 s[2:3], s[2:3], s[4:5]
	s_wait_alu 0xfffe
	s_add_nc_u64 s[0:1], s[2:3], s[0:1]
	s_clause 0x17
	global_store_b32 v0, v1, s[0:1]
	global_store_b32 v0, v2, s[0:1] offset:16
	global_store_b32 v0, v3, s[0:1] offset:32
	;; [unrolled: 1-line block ×23, first 2 shown]
.LBB228_148:
	s_nop 0
	s_sendmsg sendmsg(MSG_DEALLOC_VGPRS)
	s_endpgm
.LBB228_149:
	ds_load_b32 v27, v14
	s_wait_dscnt 0x0
	v_add_f32_e32 v1, v1, v27
	s_wait_alu 0xfffe
	s_or_b32 exec_lo, exec_lo, s0
	s_and_saveexec_b32 s0, vcc_lo
	s_cbranch_execz .LBB228_93
.LBB228_150:
	ds_load_b32 v27, v14 offset:16
	s_wait_dscnt 0x0
	v_add_f32_e32 v2, v2, v27
	s_wait_alu 0xfffe
	s_or_b32 exec_lo, exec_lo, s0
	s_and_saveexec_b32 s0, vcc_lo
	s_cbranch_execz .LBB228_94
.LBB228_151:
	ds_load_b32 v27, v14 offset:32
	s_wait_dscnt 0x0
	v_add_f32_e32 v3, v3, v27
	s_wait_alu 0xfffe
	s_or_b32 exec_lo, exec_lo, s0
	s_and_saveexec_b32 s0, vcc_lo
	s_cbranch_execz .LBB228_95
.LBB228_152:
	ds_load_b32 v27, v14 offset:48
	s_wait_dscnt 0x0
	v_add_f32_e32 v4, v4, v27
	s_wait_alu 0xfffe
	s_or_b32 exec_lo, exec_lo, s0
	s_and_saveexec_b32 s0, vcc_lo
	s_cbranch_execz .LBB228_96
.LBB228_153:
	ds_load_b32 v27, v14 offset:64
	s_wait_dscnt 0x0
	v_add_f32_e32 v5, v5, v27
	s_wait_alu 0xfffe
	s_or_b32 exec_lo, exec_lo, s0
	s_and_saveexec_b32 s0, vcc_lo
	s_cbranch_execz .LBB228_97
.LBB228_154:
	ds_load_b32 v27, v14 offset:80
	s_wait_dscnt 0x0
	v_add_f32_e32 v6, v6, v27
	s_wait_alu 0xfffe
	s_or_b32 exec_lo, exec_lo, s0
	s_and_saveexec_b32 s0, vcc_lo
	s_cbranch_execz .LBB228_98
.LBB228_155:
	ds_load_b32 v27, v14 offset:96
	s_wait_dscnt 0x0
	v_add_f32_e32 v7, v7, v27
	s_wait_alu 0xfffe
	s_or_b32 exec_lo, exec_lo, s0
	s_and_saveexec_b32 s0, vcc_lo
	s_cbranch_execz .LBB228_99
.LBB228_156:
	ds_load_b32 v27, v14 offset:112
	s_wait_dscnt 0x0
	v_add_f32_e32 v8, v8, v27
	s_wait_alu 0xfffe
	s_or_b32 exec_lo, exec_lo, s0
	s_and_saveexec_b32 s0, vcc_lo
	s_cbranch_execz .LBB228_100
.LBB228_157:
	ds_load_b32 v27, v14 offset:128
	s_wait_dscnt 0x0
	v_add_f32_e32 v9, v9, v27
	s_wait_alu 0xfffe
	s_or_b32 exec_lo, exec_lo, s0
	s_and_saveexec_b32 s0, vcc_lo
	s_cbranch_execz .LBB228_101
.LBB228_158:
	ds_load_b32 v27, v14 offset:144
	s_wait_dscnt 0x0
	v_add_f32_e32 v10, v10, v27
	s_wait_alu 0xfffe
	s_or_b32 exec_lo, exec_lo, s0
	s_and_saveexec_b32 s0, vcc_lo
	s_cbranch_execz .LBB228_102
.LBB228_159:
	ds_load_b32 v27, v14 offset:160
	s_wait_dscnt 0x0
	v_add_f32_e32 v11, v11, v27
	s_wait_alu 0xfffe
	s_or_b32 exec_lo, exec_lo, s0
	s_and_saveexec_b32 s0, vcc_lo
	s_cbranch_execz .LBB228_103
.LBB228_160:
	ds_load_b32 v27, v14 offset:176
	s_wait_dscnt 0x0
	v_add_f32_e32 v12, v12, v27
	s_wait_alu 0xfffe
	s_or_b32 exec_lo, exec_lo, s0
	s_and_saveexec_b32 s0, vcc_lo
	s_cbranch_execz .LBB228_104
.LBB228_161:
	ds_load_b32 v27, v14 offset:192
	s_wait_dscnt 0x0
	v_add_f32_e32 v13, v13, v27
	s_wait_alu 0xfffe
	s_or_b32 exec_lo, exec_lo, s0
	s_and_saveexec_b32 s0, vcc_lo
	s_cbranch_execz .LBB228_105
.LBB228_162:
	ds_load_b32 v27, v14 offset:208
	s_wait_dscnt 0x0
	v_add_f32_e32 v15, v15, v27
	s_wait_alu 0xfffe
	s_or_b32 exec_lo, exec_lo, s0
	s_and_saveexec_b32 s0, vcc_lo
	s_cbranch_execz .LBB228_106
.LBB228_163:
	ds_load_b32 v27, v14 offset:224
	s_wait_dscnt 0x0
	v_add_f32_e32 v16, v16, v27
	s_wait_alu 0xfffe
	s_or_b32 exec_lo, exec_lo, s0
	s_and_saveexec_b32 s0, vcc_lo
	s_cbranch_execz .LBB228_107
.LBB228_164:
	ds_load_b32 v27, v14 offset:240
	s_wait_dscnt 0x0
	v_add_f32_e32 v17, v17, v27
	s_wait_alu 0xfffe
	s_or_b32 exec_lo, exec_lo, s0
	s_and_saveexec_b32 s0, vcc_lo
	s_cbranch_execz .LBB228_108
.LBB228_165:
	ds_load_b32 v27, v14 offset:256
	s_wait_dscnt 0x0
	v_add_f32_e32 v18, v18, v27
	s_wait_alu 0xfffe
	s_or_b32 exec_lo, exec_lo, s0
	s_and_saveexec_b32 s0, vcc_lo
	s_cbranch_execz .LBB228_109
.LBB228_166:
	ds_load_b32 v27, v14 offset:272
	s_wait_dscnt 0x0
	v_add_f32_e32 v19, v19, v27
	s_wait_alu 0xfffe
	s_or_b32 exec_lo, exec_lo, s0
	s_and_saveexec_b32 s0, vcc_lo
	s_cbranch_execz .LBB228_110
.LBB228_167:
	ds_load_b32 v27, v14 offset:288
	s_wait_dscnt 0x0
	v_add_f32_e32 v20, v20, v27
	s_wait_alu 0xfffe
	s_or_b32 exec_lo, exec_lo, s0
	s_and_saveexec_b32 s0, vcc_lo
	s_cbranch_execz .LBB228_111
.LBB228_168:
	ds_load_b32 v27, v14 offset:304
	s_wait_dscnt 0x0
	v_add_f32_e32 v21, v21, v27
	s_wait_alu 0xfffe
	s_or_b32 exec_lo, exec_lo, s0
	s_and_saveexec_b32 s0, vcc_lo
	s_cbranch_execz .LBB228_112
.LBB228_169:
	ds_load_b32 v27, v14 offset:320
	s_wait_dscnt 0x0
	v_add_f32_e32 v22, v22, v27
	s_wait_alu 0xfffe
	s_or_b32 exec_lo, exec_lo, s0
	s_and_saveexec_b32 s0, vcc_lo
	s_cbranch_execz .LBB228_113
.LBB228_170:
	ds_load_b32 v27, v14 offset:336
	s_wait_dscnt 0x0
	v_add_f32_e32 v23, v23, v27
	s_wait_alu 0xfffe
	s_or_b32 exec_lo, exec_lo, s0
	s_and_saveexec_b32 s0, vcc_lo
	s_cbranch_execz .LBB228_114
.LBB228_171:
	ds_load_b32 v27, v14 offset:352
	s_wait_dscnt 0x0
	v_add_f32_e32 v24, v24, v27
	s_wait_alu 0xfffe
	s_or_b32 exec_lo, exec_lo, s0
	s_and_saveexec_b32 s0, vcc_lo
	s_cbranch_execnz .LBB228_115
	s_branch .LBB228_116
.LBB228_172:
	ds_load_b32 v26, v14
	s_wait_dscnt 0x0
	v_add_f32_e32 v1, v1, v26
	s_wait_alu 0xfffe
	s_or_b32 exec_lo, exec_lo, s0
	s_and_saveexec_b32 s0, vcc_lo
	s_cbranch_execz .LBB228_122
.LBB228_173:
	ds_load_b32 v26, v14 offset:16
	s_wait_dscnt 0x0
	v_add_f32_e32 v2, v2, v26
	s_wait_alu 0xfffe
	s_or_b32 exec_lo, exec_lo, s0
	s_and_saveexec_b32 s0, vcc_lo
	s_cbranch_execz .LBB228_123
.LBB228_174:
	ds_load_b32 v26, v14 offset:32
	s_wait_dscnt 0x0
	v_add_f32_e32 v3, v3, v26
	s_wait_alu 0xfffe
	s_or_b32 exec_lo, exec_lo, s0
	s_and_saveexec_b32 s0, vcc_lo
	s_cbranch_execz .LBB228_124
.LBB228_175:
	ds_load_b32 v26, v14 offset:48
	s_wait_dscnt 0x0
	v_add_f32_e32 v4, v4, v26
	s_wait_alu 0xfffe
	s_or_b32 exec_lo, exec_lo, s0
	s_and_saveexec_b32 s0, vcc_lo
	s_cbranch_execz .LBB228_125
.LBB228_176:
	ds_load_b32 v26, v14 offset:64
	s_wait_dscnt 0x0
	v_add_f32_e32 v5, v5, v26
	s_wait_alu 0xfffe
	s_or_b32 exec_lo, exec_lo, s0
	s_and_saveexec_b32 s0, vcc_lo
	s_cbranch_execz .LBB228_126
.LBB228_177:
	ds_load_b32 v26, v14 offset:80
	s_wait_dscnt 0x0
	v_add_f32_e32 v6, v6, v26
	s_wait_alu 0xfffe
	s_or_b32 exec_lo, exec_lo, s0
	s_and_saveexec_b32 s0, vcc_lo
	s_cbranch_execz .LBB228_127
.LBB228_178:
	ds_load_b32 v26, v14 offset:96
	s_wait_dscnt 0x0
	v_add_f32_e32 v7, v7, v26
	s_wait_alu 0xfffe
	s_or_b32 exec_lo, exec_lo, s0
	s_and_saveexec_b32 s0, vcc_lo
	s_cbranch_execz .LBB228_128
.LBB228_179:
	ds_load_b32 v26, v14 offset:112
	s_wait_dscnt 0x0
	v_add_f32_e32 v8, v8, v26
	s_wait_alu 0xfffe
	s_or_b32 exec_lo, exec_lo, s0
	s_and_saveexec_b32 s0, vcc_lo
	s_cbranch_execz .LBB228_129
.LBB228_180:
	ds_load_b32 v26, v14 offset:128
	s_wait_dscnt 0x0
	v_add_f32_e32 v9, v9, v26
	s_wait_alu 0xfffe
	s_or_b32 exec_lo, exec_lo, s0
	s_and_saveexec_b32 s0, vcc_lo
	s_cbranch_execz .LBB228_130
.LBB228_181:
	ds_load_b32 v26, v14 offset:144
	s_wait_dscnt 0x0
	v_add_f32_e32 v10, v10, v26
	s_wait_alu 0xfffe
	s_or_b32 exec_lo, exec_lo, s0
	s_and_saveexec_b32 s0, vcc_lo
	s_cbranch_execz .LBB228_131
.LBB228_182:
	ds_load_b32 v26, v14 offset:160
	s_wait_dscnt 0x0
	v_add_f32_e32 v11, v11, v26
	s_wait_alu 0xfffe
	s_or_b32 exec_lo, exec_lo, s0
	s_and_saveexec_b32 s0, vcc_lo
	s_cbranch_execz .LBB228_132
.LBB228_183:
	ds_load_b32 v26, v14 offset:176
	s_wait_dscnt 0x0
	v_add_f32_e32 v12, v12, v26
	s_wait_alu 0xfffe
	s_or_b32 exec_lo, exec_lo, s0
	s_and_saveexec_b32 s0, vcc_lo
	s_cbranch_execz .LBB228_133
.LBB228_184:
	ds_load_b32 v26, v14 offset:192
	s_wait_dscnt 0x0
	v_add_f32_e32 v13, v13, v26
	s_wait_alu 0xfffe
	s_or_b32 exec_lo, exec_lo, s0
	s_and_saveexec_b32 s0, vcc_lo
	s_cbranch_execz .LBB228_134
.LBB228_185:
	ds_load_b32 v26, v14 offset:208
	s_wait_dscnt 0x0
	v_add_f32_e32 v15, v15, v26
	s_wait_alu 0xfffe
	s_or_b32 exec_lo, exec_lo, s0
	s_and_saveexec_b32 s0, vcc_lo
	s_cbranch_execz .LBB228_135
.LBB228_186:
	ds_load_b32 v26, v14 offset:224
	s_wait_dscnt 0x0
	v_add_f32_e32 v16, v16, v26
	s_wait_alu 0xfffe
	s_or_b32 exec_lo, exec_lo, s0
	s_and_saveexec_b32 s0, vcc_lo
	s_cbranch_execz .LBB228_136
.LBB228_187:
	ds_load_b32 v26, v14 offset:240
	s_wait_dscnt 0x0
	v_add_f32_e32 v17, v17, v26
	s_wait_alu 0xfffe
	s_or_b32 exec_lo, exec_lo, s0
	s_and_saveexec_b32 s0, vcc_lo
	s_cbranch_execz .LBB228_137
.LBB228_188:
	ds_load_b32 v26, v14 offset:256
	s_wait_dscnt 0x0
	v_add_f32_e32 v18, v18, v26
	s_wait_alu 0xfffe
	s_or_b32 exec_lo, exec_lo, s0
	s_and_saveexec_b32 s0, vcc_lo
	s_cbranch_execz .LBB228_138
.LBB228_189:
	ds_load_b32 v26, v14 offset:272
	s_wait_dscnt 0x0
	v_add_f32_e32 v19, v19, v26
	s_wait_alu 0xfffe
	s_or_b32 exec_lo, exec_lo, s0
	s_and_saveexec_b32 s0, vcc_lo
	s_cbranch_execz .LBB228_139
.LBB228_190:
	ds_load_b32 v26, v14 offset:288
	s_wait_dscnt 0x0
	v_add_f32_e32 v20, v20, v26
	s_wait_alu 0xfffe
	s_or_b32 exec_lo, exec_lo, s0
	s_and_saveexec_b32 s0, vcc_lo
	s_cbranch_execz .LBB228_140
.LBB228_191:
	ds_load_b32 v26, v14 offset:304
	s_wait_dscnt 0x0
	v_add_f32_e32 v21, v21, v26
	s_wait_alu 0xfffe
	s_or_b32 exec_lo, exec_lo, s0
	s_and_saveexec_b32 s0, vcc_lo
	s_cbranch_execz .LBB228_141
.LBB228_192:
	ds_load_b32 v26, v14 offset:320
	s_wait_dscnt 0x0
	v_add_f32_e32 v22, v22, v26
	s_wait_alu 0xfffe
	s_or_b32 exec_lo, exec_lo, s0
	s_and_saveexec_b32 s0, vcc_lo
	s_cbranch_execz .LBB228_142
.LBB228_193:
	ds_load_b32 v26, v14 offset:336
	s_wait_dscnt 0x0
	v_add_f32_e32 v23, v23, v26
	s_wait_alu 0xfffe
	s_or_b32 exec_lo, exec_lo, s0
	s_and_saveexec_b32 s0, vcc_lo
	s_cbranch_execz .LBB228_143
.LBB228_194:
	ds_load_b32 v26, v14 offset:352
	s_wait_dscnt 0x0
	v_add_f32_e32 v24, v24, v26
	s_wait_alu 0xfffe
	s_or_b32 exec_lo, exec_lo, s0
	s_and_saveexec_b32 s0, vcc_lo
	s_cbranch_execnz .LBB228_144
	s_branch .LBB228_145
	.section	.rodata,"a",@progbits
	.p2align	6, 0x0
	.amdhsa_kernel _ZN4vllm25paged_attention_v2_kernelIfhLi96ELi32ELi128ELNS_18Fp8KVCacheDataTypeE1ELb1ELi512EEEvPfS2_PT_PKS3_PKT0_S9_ifPKiSB_iPKfiiiSD_SD_iiiii
		.amdhsa_group_segment_fixed_size 416
		.amdhsa_private_segment_fixed_size 0
		.amdhsa_kernarg_size 400
		.amdhsa_user_sgpr_count 2
		.amdhsa_user_sgpr_dispatch_ptr 0
		.amdhsa_user_sgpr_queue_ptr 0
		.amdhsa_user_sgpr_kernarg_segment_ptr 1
		.amdhsa_user_sgpr_dispatch_id 0
		.amdhsa_user_sgpr_private_segment_size 0
		.amdhsa_wavefront_size32 1
		.amdhsa_uses_dynamic_stack 0
		.amdhsa_enable_private_segment 0
		.amdhsa_system_sgpr_workgroup_id_x 1
		.amdhsa_system_sgpr_workgroup_id_y 1
		.amdhsa_system_sgpr_workgroup_id_z 1
		.amdhsa_system_sgpr_workgroup_info 0
		.amdhsa_system_vgpr_workitem_id 0
		.amdhsa_next_free_vgpr 192
		.amdhsa_next_free_sgpr 44
		.amdhsa_reserve_vcc 1
		.amdhsa_float_round_mode_32 0
		.amdhsa_float_round_mode_16_64 0
		.amdhsa_float_denorm_mode_32 3
		.amdhsa_float_denorm_mode_16_64 3
		.amdhsa_fp16_overflow 0
		.amdhsa_workgroup_processor_mode 1
		.amdhsa_memory_ordered 1
		.amdhsa_forward_progress 1
		.amdhsa_inst_pref_size 113
		.amdhsa_round_robin_scheduling 0
		.amdhsa_exception_fp_ieee_invalid_op 0
		.amdhsa_exception_fp_denorm_src 0
		.amdhsa_exception_fp_ieee_div_zero 0
		.amdhsa_exception_fp_ieee_overflow 0
		.amdhsa_exception_fp_ieee_underflow 0
		.amdhsa_exception_fp_ieee_inexact 0
		.amdhsa_exception_int_div_zero 0
	.end_amdhsa_kernel
	.section	.text._ZN4vllm25paged_attention_v2_kernelIfhLi96ELi32ELi128ELNS_18Fp8KVCacheDataTypeE1ELb1ELi512EEEvPfS2_PT_PKS3_PKT0_S9_ifPKiSB_iPKfiiiSD_SD_iiiii,"axG",@progbits,_ZN4vllm25paged_attention_v2_kernelIfhLi96ELi32ELi128ELNS_18Fp8KVCacheDataTypeE1ELb1ELi512EEEvPfS2_PT_PKS3_PKT0_S9_ifPKiSB_iPKfiiiSD_SD_iiiii,comdat
.Lfunc_end228:
	.size	_ZN4vllm25paged_attention_v2_kernelIfhLi96ELi32ELi128ELNS_18Fp8KVCacheDataTypeE1ELb1ELi512EEEvPfS2_PT_PKS3_PKT0_S9_ifPKiSB_iPKfiiiSD_SD_iiiii, .Lfunc_end228-_ZN4vllm25paged_attention_v2_kernelIfhLi96ELi32ELi128ELNS_18Fp8KVCacheDataTypeE1ELb1ELi512EEEvPfS2_PT_PKS3_PKT0_S9_ifPKiSB_iPKfiiiSD_SD_iiiii
                                        ; -- End function
	.set _ZN4vllm25paged_attention_v2_kernelIfhLi96ELi32ELi128ELNS_18Fp8KVCacheDataTypeE1ELb1ELi512EEEvPfS2_PT_PKS3_PKT0_S9_ifPKiSB_iPKfiiiSD_SD_iiiii.num_vgpr, 192
	.set _ZN4vllm25paged_attention_v2_kernelIfhLi96ELi32ELi128ELNS_18Fp8KVCacheDataTypeE1ELb1ELi512EEEvPfS2_PT_PKS3_PKT0_S9_ifPKiSB_iPKfiiiSD_SD_iiiii.num_agpr, 0
	.set _ZN4vllm25paged_attention_v2_kernelIfhLi96ELi32ELi128ELNS_18Fp8KVCacheDataTypeE1ELb1ELi512EEEvPfS2_PT_PKS3_PKT0_S9_ifPKiSB_iPKfiiiSD_SD_iiiii.numbered_sgpr, 44
	.set _ZN4vllm25paged_attention_v2_kernelIfhLi96ELi32ELi128ELNS_18Fp8KVCacheDataTypeE1ELb1ELi512EEEvPfS2_PT_PKS3_PKT0_S9_ifPKiSB_iPKfiiiSD_SD_iiiii.num_named_barrier, 0
	.set _ZN4vllm25paged_attention_v2_kernelIfhLi96ELi32ELi128ELNS_18Fp8KVCacheDataTypeE1ELb1ELi512EEEvPfS2_PT_PKS3_PKT0_S9_ifPKiSB_iPKfiiiSD_SD_iiiii.private_seg_size, 0
	.set _ZN4vllm25paged_attention_v2_kernelIfhLi96ELi32ELi128ELNS_18Fp8KVCacheDataTypeE1ELb1ELi512EEEvPfS2_PT_PKS3_PKT0_S9_ifPKiSB_iPKfiiiSD_SD_iiiii.uses_vcc, 1
	.set _ZN4vllm25paged_attention_v2_kernelIfhLi96ELi32ELi128ELNS_18Fp8KVCacheDataTypeE1ELb1ELi512EEEvPfS2_PT_PKS3_PKT0_S9_ifPKiSB_iPKfiiiSD_SD_iiiii.uses_flat_scratch, 0
	.set _ZN4vllm25paged_attention_v2_kernelIfhLi96ELi32ELi128ELNS_18Fp8KVCacheDataTypeE1ELb1ELi512EEEvPfS2_PT_PKS3_PKT0_S9_ifPKiSB_iPKfiiiSD_SD_iiiii.has_dyn_sized_stack, 0
	.set _ZN4vllm25paged_attention_v2_kernelIfhLi96ELi32ELi128ELNS_18Fp8KVCacheDataTypeE1ELb1ELi512EEEvPfS2_PT_PKS3_PKT0_S9_ifPKiSB_iPKfiiiSD_SD_iiiii.has_recursion, 0
	.set _ZN4vllm25paged_attention_v2_kernelIfhLi96ELi32ELi128ELNS_18Fp8KVCacheDataTypeE1ELb1ELi512EEEvPfS2_PT_PKS3_PKT0_S9_ifPKiSB_iPKfiiiSD_SD_iiiii.has_indirect_call, 0
	.section	.AMDGPU.csdata,"",@progbits
; Kernel info:
; codeLenInByte = 14396
; TotalNumSgprs: 46
; NumVgprs: 192
; ScratchSize: 0
; MemoryBound: 0
; FloatMode: 240
; IeeeMode: 1
; LDSByteSize: 416 bytes/workgroup (compile time only)
; SGPRBlocks: 0
; VGPRBlocks: 23
; NumSGPRsForWavesPerEU: 46
; NumVGPRsForWavesPerEU: 192
; Occupancy: 8
; WaveLimiterHint : 1
; COMPUTE_PGM_RSRC2:SCRATCH_EN: 0
; COMPUTE_PGM_RSRC2:USER_SGPR: 2
; COMPUTE_PGM_RSRC2:TRAP_HANDLER: 0
; COMPUTE_PGM_RSRC2:TGID_X_EN: 1
; COMPUTE_PGM_RSRC2:TGID_Y_EN: 1
; COMPUTE_PGM_RSRC2:TGID_Z_EN: 1
; COMPUTE_PGM_RSRC2:TIDIG_COMP_CNT: 0
	.section	.text._ZN4vllm25paged_attention_v2_kernelIfhLi112ELi32ELi128ELNS_18Fp8KVCacheDataTypeE1ELb1ELi512EEEvPfS2_PT_PKS3_PKT0_S9_ifPKiSB_iPKfiiiSD_SD_iiiii,"axG",@progbits,_ZN4vllm25paged_attention_v2_kernelIfhLi112ELi32ELi128ELNS_18Fp8KVCacheDataTypeE1ELb1ELi512EEEvPfS2_PT_PKS3_PKT0_S9_ifPKiSB_iPKfiiiSD_SD_iiiii,comdat
	.protected	_ZN4vllm25paged_attention_v2_kernelIfhLi112ELi32ELi128ELNS_18Fp8KVCacheDataTypeE1ELb1ELi512EEEvPfS2_PT_PKS3_PKT0_S9_ifPKiSB_iPKfiiiSD_SD_iiiii ; -- Begin function _ZN4vllm25paged_attention_v2_kernelIfhLi112ELi32ELi128ELNS_18Fp8KVCacheDataTypeE1ELb1ELi512EEEvPfS2_PT_PKS3_PKT0_S9_ifPKiSB_iPKfiiiSD_SD_iiiii
	.globl	_ZN4vllm25paged_attention_v2_kernelIfhLi112ELi32ELi128ELNS_18Fp8KVCacheDataTypeE1ELb1ELi512EEEvPfS2_PT_PKS3_PKT0_S9_ifPKiSB_iPKfiiiSD_SD_iiiii
	.p2align	8
	.type	_ZN4vllm25paged_attention_v2_kernelIfhLi112ELi32ELi128ELNS_18Fp8KVCacheDataTypeE1ELb1ELi512EEEvPfS2_PT_PKS3_PKT0_S9_ifPKiSB_iPKfiiiSD_SD_iiiii,@function
_ZN4vllm25paged_attention_v2_kernelIfhLi112ELi32ELi128ELNS_18Fp8KVCacheDataTypeE1ELb1ELi512EEEvPfS2_PT_PKS3_PKT0_S9_ifPKiSB_iPKfiiiSD_SD_iiiii: ; @_ZN4vllm25paged_attention_v2_kernelIfhLi112ELi32ELi128ELNS_18Fp8KVCacheDataTypeE1ELb1ELi512EEEvPfS2_PT_PKS3_PKT0_S9_ifPKiSB_iPKfiiiSD_SD_iiiii
; %bb.0:
	s_load_b64 s[2:3], s[0:1], 0x40
	s_and_b32 s19, ttmp7, 0xffff
	s_lshr_b32 s33, ttmp7, 16
	s_lshl_b32 s4, s19, 2
	s_lshl_b32 s37, s33, 9
	s_wait_kmcnt 0x0
	s_load_b32 s34, s[2:3], s4 offset:0x0
	s_wait_kmcnt 0x0
	s_cmp_ge_i32 s37, s34
	s_cbranch_scc1 .LBB229_164
; %bb.1:
	s_clause 0x1
	s_load_b32 s36, s[0:1], 0x90
	s_load_b64 s[12:13], s[0:1], 0x30
	v_mov_b32_e32 v165, v0
	s_wait_kmcnt 0x0
	s_abs_i32 s5, s36
	s_abs_i32 s2, s12
	s_delay_alu instid0(SALU_CYCLE_1) | instskip(SKIP_1) | instid1(SALU_CYCLE_2)
	s_cvt_f32_u32 s3, s2
	s_sub_co_i32 s4, 0, s2
	v_rcp_iflag_f32_e32 v1, s3
	s_delay_alu instid0(TRANS32_DEP_1) | instskip(SKIP_2) | instid1(SALU_CYCLE_2)
	v_readfirstlane_b32 s3, v1
	s_mul_f32 s3, s3, 0x4f7ffffe
	s_wait_alu 0xfffe
	s_cvt_u32_f32 s3, s3
	s_wait_alu 0xfffe
	s_delay_alu instid0(SALU_CYCLE_2) | instskip(NEXT) | instid1(SALU_CYCLE_1)
	s_mul_i32 s4, s4, s3
	s_mul_hi_u32 s4, s3, s4
	s_delay_alu instid0(SALU_CYCLE_1)
	s_add_co_i32 s3, s3, s4
	s_xor_b32 s4, s36, s12
	s_wait_alu 0xfffe
	s_mul_hi_u32 s3, s5, s3
	s_ashr_i32 s4, s4, 31
	s_wait_alu 0xfffe
	s_mul_i32 s6, s3, s2
	s_delay_alu instid0(SALU_CYCLE_1)
	s_sub_co_i32 s5, s5, s6
	s_add_co_i32 s6, s3, 1
	s_sub_co_i32 s7, s5, s2
	s_cmp_ge_u32 s5, s2
	s_cselect_b32 s3, s6, s3
	s_cselect_b32 s5, s7, s5
	s_wait_alu 0xfffe
	s_add_co_i32 s6, s3, 1
	s_cmp_ge_u32 s5, s2
	s_cselect_b32 s2, s6, s3
	s_load_b64 s[6:7], s[0:1], 0x50
	s_xor_b32 s2, s2, s4
	s_mov_b32 s3, 0
	s_wait_alu 0xfffe
	s_sub_co_i32 s11, s2, s4
	s_mov_b32 s30, s3
	s_abs_i32 s10, s11
	s_delay_alu instid0(SALU_CYCLE_1) | instskip(SKIP_1) | instid1(SALU_CYCLE_2)
	s_cvt_f32_u32 s2, s10
	s_wait_alu 0xfffe
	v_rcp_iflag_f32_e32 v1, s2
	s_delay_alu instid0(TRANS32_DEP_1) | instskip(SKIP_2) | instid1(SALU_CYCLE_2)
	v_readfirstlane_b32 s2, v1
	s_mul_f32 s2, s2, 0x4f7ffffe
	s_wait_alu 0xfffe
	s_cvt_u32_f32 s4, s2
	s_sub_co_i32 s2, 0, s10
	s_wait_alu 0xfffe
	s_delay_alu instid0(SALU_CYCLE_1)
	s_mul_i32 s2, s2, s4
	s_wait_alu 0xfffe
	s_mul_hi_u32 s5, s4, s2
	s_abs_i32 s2, ttmp9
	s_add_co_i32 s4, s4, s5
	s_mov_b32 s5, s3
	s_wait_kmcnt 0x0
	s_cmp_eq_u64 s[6:7], 0
	s_cbranch_scc1 .LBB229_3
; %bb.2:
	s_mov_b32 s8, ttmp9
	s_ashr_i32 s9, ttmp9, 31
	s_delay_alu instid0(SALU_CYCLE_1) | instskip(NEXT) | instid1(SALU_CYCLE_1)
	s_lshl_b64 s[8:9], s[8:9], 2
	s_add_nc_u64 s[6:7], s[6:7], s[8:9]
	s_load_b32 s30, s[6:7], 0x0
.LBB229_3:
	s_load_b96 s[16:18], s[0:1], 0x58
	s_mul_u64 s[8:9], s[2:3], s[4:5]
	s_ashr_i32 s3, ttmp9, 31
	s_ashr_i32 s8, s11, 31
	s_mul_i32 s20, ttmp9, 0x70
	s_mov_b32 s4, exec_lo
	v_cmpx_gt_u32_e32 28, v165
	s_cbranch_execz .LBB229_5
; %bb.4:
	s_load_b64 s[6:7], s[0:1], 0x18
	s_wait_kmcnt 0x0
	s_mul_i32 s14, s16, s19
	s_ashr_i32 s21, s20, 31
	s_ashr_i32 s15, s14, 31
	v_lshlrev_b32_e32 v5, 4, v165
	s_lshl_b64 s[14:15], s[14:15], 2
	s_delay_alu instid0(SALU_CYCLE_1) | instskip(SKIP_1) | instid1(SALU_CYCLE_1)
	s_add_nc_u64 s[6:7], s[6:7], s[14:15]
	s_lshl_b64 s[14:15], s[20:21], 2
	s_add_nc_u64 s[6:7], s[6:7], s[14:15]
	global_load_b128 v[1:4], v5, s[6:7]
	s_wait_loadcnt 0x0
	ds_store_b128 v5, v[1:4]
.LBB229_5:
	s_or_b32 exec_lo, exec_lo, s4
	s_load_b128 s[4:7], s[0:1], 0x78
	s_mul_i32 s11, s9, s10
	s_xor_b32 s3, s3, s8
	s_sub_co_i32 s2, s2, s11
	s_add_co_i32 s8, s9, 1
	s_wait_alu 0xfffe
	s_sub_co_i32 s11, s2, s10
	s_cmp_ge_u32 s2, s10
                                        ; implicit-def: $sgpr21
	s_cselect_b32 s8, s8, s9
	s_cselect_b32 s2, s11, s2
	s_add_co_i32 s9, s8, 1
	s_wait_alu 0xfffe
	s_cmp_ge_u32 s2, s10
	s_mov_b32 s10, -1
	s_cselect_b32 s2, s9, s8
	s_load_b32 s8, s[0:1], 0x88
	s_xor_b32 s2, s2, s3
	s_wait_dscnt 0x0
	s_wait_alu 0xfffe
	s_sub_co_i32 s28, s2, s3
	s_barrier_signal -1
	s_barrier_wait -1
	s_wait_kmcnt 0x0
	s_abs_i32 s16, s7
	global_inv scope:SCOPE_SE
	s_cvt_f32_u32 s9, s16
	s_delay_alu instid0(SALU_CYCLE_3) | instskip(NEXT) | instid1(TRANS32_DEP_1)
	v_rcp_iflag_f32_e32 v1, s9
	v_readfirstlane_b32 s9, v1
	s_mul_f32 s2, s9, 0x4f7ffffe
	s_add_co_i32 s9, s34, -1
	s_wait_alu 0xfffe
	s_delay_alu instid0(SALU_CYCLE_1) | instskip(SKIP_2) | instid1(SALU_CYCLE_1)
	s_cvt_u32_f32 s11, s2
	s_sub_co_i32 s2, 0, s16
	s_wait_alu 0xfffe
	s_mul_i32 s3, s2, s11
	s_abs_i32 s2, s9
	s_wait_alu 0xfffe
	s_mul_hi_u32 s14, s11, s3
	s_mov_b32 s3, 0
	s_add_co_i32 s22, s11, s14
	s_cmp_lt_i32 s8, 0
	s_wait_alu 0xfffe
	s_mov_b32 s23, s3
	s_cbranch_scc0 .LBB229_7
; %bb.6:
	s_mul_i32 s10, s4, s12
	s_delay_alu instid0(SALU_CYCLE_1) | instskip(NEXT) | instid1(SALU_CYCLE_1)
	s_add_co_i32 s10, s28, s10
	s_mul_i32 s10, s10, s8
	s_delay_alu instid0(SALU_CYCLE_1)
	s_sub_co_i32 s21, 1, s10
	s_mov_b32 s10, s3
.LBB229_7:
	s_mul_u64 s[14:15], s[2:3], s[22:23]
	s_ashr_i32 s3, s9, 31
	s_and_not1_b32 vcc_lo, exec_lo, s10
	s_ashr_i32 s23, s7, 31
	s_cbranch_vccnz .LBB229_9
; %bb.8:
	s_mul_i32 s4, s36, s4
	s_delay_alu instid0(SALU_CYCLE_1) | instskip(NEXT) | instid1(SALU_CYCLE_1)
	s_add_co_i32 s4, s4, ttmp9
	s_mul_i32 s4, s4, s8
	s_delay_alu instid0(SALU_CYCLE_1)
	s_add_co_i32 s21, s4, 1
.LBB229_9:
	s_clause 0x3
	s_load_b32 s4, s[0:1], 0x48
	s_load_b64 s[24:25], s[0:1], 0x38
	s_load_b32 s7, s[0:1], 0x98
	s_load_b128 s[8:11], s[0:1], 0x68
	s_mul_i32 s12, s15, s16
	s_xor_b32 s3, s3, s23
	s_sub_co_i32 s2, s2, s12
	s_add_co_i32 s14, s15, 1
	v_lshrrev_b32_e32 v166, 5, v165
	v_dual_mov_b32 v5, 0xff7fffff :: v_dual_and_b32 v0, 31, v165
	s_mul_i32 s28, s28, s18
	s_delay_alu instid0(VALU_DEP_2) | instskip(NEXT) | instid1(VALU_DEP_2)
	v_lshl_add_u32 v119, v166, 5, s37
	v_lshlrev_b32_e32 v10, 2, v0
	scratch_store_b32 off, v0, off offset:4 ; 4-byte Folded Spill
	s_wait_kmcnt 0x0
	s_mul_i32 s26, s4, s19
	s_wait_alu 0xfffe
	s_sub_co_i32 s4, s2, s16
	s_ashr_i32 s27, s26, 31
	s_cmp_ge_u32 s2, s16
	s_cselect_b32 s12, s14, s15
	s_cselect_b32 s2, s4, s2
	s_add_co_i32 s4, s12, 1
	s_wait_alu 0xfffe
	s_cmp_ge_u32 s2, s16
	s_cselect_b32 s2, s4, s12
	s_add_co_i32 s4, s34, 31
	s_lshl_b32 s40, s33, 4
	s_ashr_i32 s12, s4, 31
	v_add_nc_u32_e32 v120, s40, v166
	s_lshr_b32 s12, s12, 27
	s_delay_alu instid0(SALU_CYCLE_1)
	s_add_co_i32 s4, s4, s12
	s_add_co_i32 s12, s40, 16
	s_ashr_i32 s38, s4, 5
	s_wait_alu 0xfffe
	s_xor_b32 s4, s2, s3
	s_min_i32 s35, s12, s38
	v_lshlrev_b32_e32 v9, 2, v120
	v_cmp_gt_i32_e64 s2, s35, v120
	s_sub_co_i32 s39, s4, s3
	s_and_saveexec_b32 s12, s2
	s_cbranch_execz .LBB229_17
; %bb.10:
	scratch_load_b32 v4, off, off offset:4  ; 4-byte Folded Reload
	v_dual_mov_b32 v1, 0 :: v_dual_mov_b32 v0, v166
	s_load_b64 s[42:43], s[0:1], 0x20
	s_sub_co_i32 s14, s39, s5
	s_ashr_i32 s29, s28, 31
	s_cmp_neq_f32 s30, 0
	ds_load_b128 v[5:8], v1
	v_lshl_add_u32 v124, v0, 5, s37
	s_mov_b32 s18, s17
	s_cselect_b32 vcc_lo, -1, 0
	s_abs_i32 s15, s6
	v_mov_b32_e32 v127, v120
	s_cvt_f32_u32 s3, s15
	s_wait_alu 0xfffe
	s_delay_alu instid0(SALU_CYCLE_2) | instskip(SKIP_2) | instid1(TRANS32_DEP_1)
	v_rcp_iflag_f32_e32 v2, s3
	s_wait_kmcnt 0x0
	s_add_nc_u64 s[42:43], s[42:43], s[28:29]
	v_readfirstlane_b32 s3, v2
	s_mul_f32 s3, s3, 0x4f7ffffe
	s_wait_alu 0xfffe
	s_delay_alu instid0(SALU_CYCLE_2) | instskip(SKIP_2) | instid1(VALU_DEP_1)
	s_cvt_u32_f32 s3, s3
	s_wait_loadcnt 0x0
	v_lshlrev_b32_e32 v3, 4, v4
	v_add_co_u32 v2, s4, s42, v3
	s_delay_alu instid0(VALU_DEP_1)
	v_add_co_ci_u32_e64 v3, null, s43, 0, s4
	s_wait_dscnt 0x0
	scratch_store_b128 off, v[5:8], off offset:8 ; 16-byte Folded Spill
	ds_load_b128 v[5:8], v1 offset:16
	s_clause 0x1
	scratch_store_b32 off, v165, off offset:132
	scratch_store_b64 off, v[2:3], off offset:104
	s_lshl_b64 s[42:43], s[26:27], 2
	v_lshl_or_b32 v2, v0, 7, v10
	s_wait_alu 0xfffe
	s_add_nc_u64 s[42:43], s[24:25], s[42:43]
	s_sub_co_i32 s4, 0, s15
	s_wait_alu 0xfffe
	v_add_co_u32 v115, s29, s42, v9
	s_mul_i32 s4, s4, s3
	v_add_co_ci_u32_e64 v116, null, s43, 0, s29
	v_add_nc_u32_e32 v126, 0x1e0, v2
	s_wait_alu 0xfffe
	s_mul_hi_u32 s4, s3, s4
	s_mov_b32 s29, 0
	s_wait_alu 0xfffe
	s_add_co_i32 s31, s3, s4
	s_wait_dscnt 0x0
	scratch_store_b128 off, v[5:8], off offset:24 ; 16-byte Folded Spill
	ds_load_b128 v[5:8], v1 offset:32
	s_wait_dscnt 0x0
	scratch_store_b128 off, v[5:8], off offset:40 ; 16-byte Folded Spill
	ds_load_b128 v[5:8], v1 offset:48
	;; [unrolled: 3-line block ×6, first 2 shown]
	ds_load_b128 v[170:173], v1 offset:128
	ds_load_b128 v[174:177], v1 offset:144
	;; [unrolled: 1-line block ×20, first 2 shown]
	v_subrev_nc_u32_e32 v1, s34, v4
	scratch_store_b32 off, v0, off offset:136 ; 4-byte Folded Spill
	v_dual_mov_b32 v5, 0xff7fffff :: v_dual_add_nc_u32 v0, 1, v1
	s_clause 0x1
	scratch_store_b32 off, v10, off offset:140
	scratch_store_b32 off, v0, off offset:128
	s_branch .LBB229_12
.LBB229_11:                             ;   in Loop: Header=BB229_12 Depth=1
	s_wait_alu 0xfffe
	s_or_b32 exec_lo, exec_lo, s4
	v_add_nc_u32_e32 v127, 4, v127
	v_add_co_u32 v115, s4, v115, 16
	s_wait_alu 0xf1ff
	v_add_co_ci_u32_e64 v116, null, 0, v116, s4
	s_delay_alu instid0(VALU_DEP_3)
	v_cmp_le_i32_e64 s3, s35, v127
	v_add_nc_u32_e32 v124, 0x80, v124
	v_add_nc_u32_e32 v126, 0x200, v126
	s_or_b32 s29, s3, s29
	s_wait_alu 0xfffe
	s_and_not1_b32 exec_lo, exec_lo, s29
	s_cbranch_execz .LBB229_16
.LBB229_12:                             ; =>This Inner Loop Header: Depth=1
	v_sub_nc_u32_e32 v1, 0, v124
	s_delay_alu instid0(VALU_DEP_1) | instskip(NEXT) | instid1(VALU_DEP_1)
	v_max_i32_e32 v1, v124, v1
	v_mul_hi_u32 v2, v1, s22
	s_delay_alu instid0(VALU_DEP_1) | instskip(NEXT) | instid1(VALU_DEP_1)
	v_mul_lo_u32 v3, v2, s16
	v_sub_nc_u32_e32 v1, v1, v3
	v_add_nc_u32_e32 v3, 1, v2
	s_delay_alu instid0(VALU_DEP_2) | instskip(SKIP_2) | instid1(VALU_DEP_1)
	v_subrev_nc_u32_e32 v4, s16, v1
	v_cmp_le_u32_e64 s3, s16, v1
	s_wait_alu 0xf1ff
	v_cndmask_b32_e64 v2, v2, v3, s3
	s_delay_alu instid0(VALU_DEP_3) | instskip(SKIP_1) | instid1(VALU_DEP_3)
	v_cndmask_b32_e64 v1, v1, v4, s3
	v_ashrrev_i32_e32 v3, 31, v124
	v_add_nc_u32_e32 v4, 1, v2
	s_delay_alu instid0(VALU_DEP_3) | instskip(NEXT) | instid1(VALU_DEP_3)
	v_cmp_le_u32_e64 s3, s16, v1
	v_xor_b32_e32 v3, s23, v3
	s_wait_alu 0xf1ff
	s_delay_alu instid0(VALU_DEP_2) | instskip(NEXT) | instid1(VALU_DEP_1)
	v_cndmask_b32_e64 v1, v2, v4, s3
	v_xor_b32_e32 v1, v1, v3
	s_delay_alu instid0(VALU_DEP_1) | instskip(NEXT) | instid1(VALU_DEP_1)
	v_sub_nc_u32_e32 v1, v1, v3
	v_add_nc_u32_e32 v2, s21, v1
	v_cmp_ge_i32_e64 s4, s14, v1
	s_delay_alu instid0(VALU_DEP_2) | instskip(NEXT) | instid1(VALU_DEP_1)
	v_sub_nc_u32_e32 v3, 0, v2
	v_max_i32_e32 v3, v2, v3
	v_ashrrev_i32_e32 v2, 31, v2
	s_delay_alu instid0(VALU_DEP_2) | instskip(NEXT) | instid1(VALU_DEP_1)
	v_mul_hi_u32 v4, v3, s31
	v_mul_lo_u32 v4, v4, s15
	s_delay_alu instid0(VALU_DEP_1) | instskip(NEXT) | instid1(VALU_DEP_1)
	v_sub_nc_u32_e32 v3, v3, v4
	v_subrev_nc_u32_e32 v4, s15, v3
	v_cmp_le_u32_e64 s3, s15, v3
	s_wait_alu 0xf1ff
	s_delay_alu instid0(VALU_DEP_1) | instskip(NEXT) | instid1(VALU_DEP_1)
	v_cndmask_b32_e64 v3, v3, v4, s3
	v_subrev_nc_u32_e32 v4, s15, v3
	v_cmp_le_u32_e64 s3, s15, v3
	s_wait_alu 0xf1ff
	s_delay_alu instid0(VALU_DEP_1) | instskip(NEXT) | instid1(VALU_DEP_1)
	v_cndmask_b32_e64 v3, v3, v4, s3
	v_xor_b32_e32 v3, v3, v2
	s_delay_alu instid0(VALU_DEP_1) | instskip(NEXT) | instid1(VALU_DEP_1)
	v_sub_nc_u32_e32 v2, v3, v2
	v_cmp_ne_u32_e64 s3, 0, v2
	s_and_b32 s3, s3, s4
	s_wait_alu 0xfffe
	s_and_saveexec_b32 s4, s3
	s_wait_alu 0xfffe
	s_xor_b32 s3, exec_lo, s4
; %bb.13:                               ;   in Loop: Header=BB229_12 Depth=1
	v_mov_b32_e32 v1, 0xff7fffff
	ds_store_b32 v126, v1
; %bb.14:                               ;   in Loop: Header=BB229_12 Depth=1
	s_wait_alu 0xfffe
	s_and_not1_saveexec_b32 s4, s3
	s_cbranch_execz .LBB229_11
; %bb.15:                               ;   in Loop: Header=BB229_12 Depth=1
	global_load_b32 v1, v[115:116], off
	scratch_load_b64 v[2:3], off, off offset:104 ; 8-byte Folded Reload
	scratch_store_b32 off, v5, off          ; 4-byte Folded Spill
	s_load_b32 s3, s[8:9], 0x0
	s_clause 0x2
	scratch_load_b128 v[158:161], off, off offset:24
	scratch_load_b128 v[154:157], off, off offset:8
	;; [unrolled: 1-line block ×3, first 2 shown]
	s_wait_loadcnt 0x3
	v_mad_co_i64_i32 v[42:43], null, v1, s18, v[2:3]
	s_clause 0x1
	global_load_b128 v[2:5], v[42:43], off
	global_load_b128 v[182:185], v[42:43], off offset:2560
	s_wait_loadcnt 0x1
	v_and_b32_e32 v13, 0xffff, v3
	v_lshrrev_b32_e32 v12, 16, v3
	v_and_b32_e32 v11, 0xffff, v4
	v_lshrrev_b32_e32 v10, 16, v4
	;; [unrolled: 2-line block ×3, first 2 shown]
	global_load_b128 v[5:8], v[42:43], off offset:512
	v_and_b32_e32 v17, 0xffff, v2
	v_lshrrev_b32_e32 v15, 16, v2
	s_wait_loadcnt 0x1
	v_and_b32_e32 v20, 0xffff, v182
	v_lshrrev_b32_e32 v18, 16, v182
	v_and_b32_e32 v16, 0xffff, v183
	v_and_b32_e32 v2, 0xffff, v185
	v_lshrrev_b32_e32 v1, 16, v185
	s_wait_loadcnt 0x0
	v_and_b32_e32 v26, 0xffff, v5
	v_lshrrev_b32_e32 v27, 16, v5
	v_and_b32_e32 v29, 0xffff, v6
	v_lshrrev_b32_e32 v30, 16, v6
	;; [unrolled: 2-line block ×4, first 2 shown]
	global_load_b128 v[5:8], v[42:43], off offset:1024
	s_wait_loadcnt 0x0
	v_and_b32_e32 v39, 0xffff, v5
	v_lshrrev_b32_e32 v38, 16, v5
	v_and_b32_e32 v35, 0xffff, v6
	v_lshrrev_b32_e32 v31, 16, v6
	;; [unrolled: 2-line block ×4, first 2 shown]
	global_load_b128 v[5:8], v[42:43], off offset:1536
	s_wait_loadcnt 0x0
	v_and_b32_e32 v46, 0xffff, v6
	v_lshrrev_b32_e32 v47, 16, v6
	v_and_b32_e32 v48, 0xffff, v7
	v_lshrrev_b32_e32 v49, 16, v7
	v_and_b32_e32 v52, 0xffff, v8
	v_lshrrev_b32_e32 v41, 16, v8
	global_load_b128 v[6:9], v[42:43], off offset:2048
	v_and_b32_e32 v44, 0xffff, v5
	v_lshrrev_b32_e32 v45, 16, v5
	v_lshrrev_b32_e32 v5, 16, v184
	s_wait_loadcnt 0x0
	v_and_b32_e32 v40, 0xffff, v6
	v_lshrrev_b32_e32 v32, 16, v6
	v_and_b32_e32 v22, 0xffff, v7
	v_lshrrev_b32_e32 v21, 16, v7
	v_and_b32_e32 v19, 0xffff, v8
	v_lshrrev_b32_e32 v14, 16, v8
	v_and_b32_e32 v8, 0xffff, v9
	v_lshrrev_b32_e32 v6, 16, v9
	v_lshrrev_b32_e32 v9, 16, v183
	v_and_b32_e32 v7, 0xffff, v184
	global_load_b128 v[182:185], v[42:43], off offset:3072
	v_cvt_pk_f32_fp8_e32 v[42:43], v17
	s_wait_kmcnt 0x0
	s_delay_alu instid0(VALU_DEP_1) | instskip(SKIP_1) | instid1(VALU_DEP_1)
	v_dual_mul_f32 v17, s3, v43 :: v_dual_mul_f32 v140, s3, v42
	v_cvt_pk_f32_fp8_e32 v[42:43], v15
	v_mul_f32_e32 v15, s3, v43
	s_wait_loadcnt 0x0
	v_and_b32_e32 v123, 0xffff, v182
	v_lshrrev_b32_e32 v114, 16, v182
	v_mul_f32_e32 v182, s3, v42
	v_cvt_pk_f32_fp8_e32 v[42:43], v13
	v_cvt_pk_f32_fp8_e32 v[12:13], v12
	v_and_b32_e32 v113, 0xffff, v183
	v_lshrrev_b32_e32 v125, 16, v183
	v_and_b32_e32 v118, 0xffff, v184
	v_lshrrev_b32_e32 v117, 16, v184
	v_mul_f32_e32 v141, s3, v12
	v_cvt_pk_f32_fp8_e32 v[11:12], v11
	v_and_b32_e32 v122, 0xffff, v185
	v_lshrrev_b32_e32 v121, 16, v185
	v_dual_mul_f32 v42, s3, v42 :: v_dual_mul_f32 v43, s3, v43
	s_delay_alu instid0(VALU_DEP_4) | instskip(SKIP_2) | instid1(VALU_DEP_2)
	v_mul_f32_e32 v183, s3, v11
	v_cvt_pk_f32_fp8_e32 v[10:11], v10
	v_dual_mul_f32 v13, s3, v13 :: v_dual_mul_f32 v12, s3, v12
	v_dual_mul_f32 v141, v160, v141 :: v_dual_mul_f32 v184, s3, v11
	s_delay_alu instid0(VALU_DEP_3) | instskip(SKIP_2) | instid1(VALU_DEP_4)
	v_mul_f32_e32 v185, s3, v10
	v_cvt_pk_f32_fp8_e32 v[10:11], v4
	v_cvt_pk_f32_fp8_e32 v[3:4], v3
	v_fmac_f32_e32 v141, v156, v182
	s_delay_alu instid0(VALU_DEP_3) | instskip(NEXT) | instid1(VALU_DEP_3)
	v_mul_f32_e32 v10, s3, v10
	v_mul_f32_e32 v50, s3, v4
	s_delay_alu instid0(VALU_DEP_4) | instskip(SKIP_1) | instid1(VALU_DEP_1)
	v_mul_f32_e32 v190, s3, v3
	v_cvt_pk_f32_fp8_e32 v[3:4], v26
	v_dual_mul_f32 v11, s3, v11 :: v_dual_mul_f32 v26, s3, v4
	s_delay_alu instid0(VALU_DEP_2) | instskip(SKIP_1) | instid1(VALU_DEP_1)
	v_mul_f32_e32 v51, s3, v3
	v_cvt_pk_f32_fp8_e32 v[3:4], v27
	v_mul_f32_e32 v27, s3, v4
	s_delay_alu instid0(VALU_DEP_2) | instskip(SKIP_1) | instid1(VALU_DEP_1)
	v_mul_f32_e32 v191, s3, v3
	v_cvt_pk_f32_fp8_e32 v[3:4], v29
	v_dual_mul_f32 v29, s3, v4 :: v_dual_mul_f32 v132, s3, v3
	v_cvt_pk_f32_fp8_e32 v[3:4], v30
	s_delay_alu instid0(VALU_DEP_1) | instskip(NEXT) | instid1(VALU_DEP_2)
	v_mul_f32_e32 v30, s3, v4
	v_mul_f32_e32 v0, s3, v3
	v_cvt_pk_f32_fp8_e32 v[3:4], v33
	s_delay_alu instid0(VALU_DEP_1) | instskip(NEXT) | instid1(VALU_DEP_2)
	v_mul_f32_e32 v33, s3, v4
	v_mul_f32_e32 v133, s3, v3
	;; [unrolled: 4-line block ×3, first 2 shown]
	v_cvt_pk_f32_fp8_e32 v[3:4], v36
	s_delay_alu instid0(VALU_DEP_1) | instskip(SKIP_1) | instid1(VALU_DEP_1)
	v_dual_mul_f32 v36, s3, v4 :: v_dual_mul_f32 v135, s3, v3
	v_cvt_pk_f32_fp8_e32 v[3:4], v37
	v_dual_mul_f32 v37, s3, v4 :: v_dual_mul_f32 v136, s3, v3
	v_cvt_pk_f32_fp8_e32 v[3:4], v39
	s_delay_alu instid0(VALU_DEP_1) | instskip(NEXT) | instid1(VALU_DEP_2)
	v_mul_f32_e32 v39, s3, v4
	v_mul_f32_e32 v137, s3, v3
	v_cvt_pk_f32_fp8_e32 v[3:4], v38
	s_delay_alu instid0(VALU_DEP_1) | instskip(NEXT) | instid1(VALU_DEP_2)
	v_mul_f32_e32 v38, s3, v4
	v_mul_f32_e32 v138, s3, v3
	;; [unrolled: 4-line block ×3, first 2 shown]
	v_cvt_pk_f32_fp8_e32 v[3:4], v31
	s_delay_alu instid0(VALU_DEP_1) | instskip(SKIP_1) | instid1(VALU_DEP_1)
	v_dual_mul_f32 v31, s3, v4 :: v_dual_mul_f32 v142, s3, v3
	v_cvt_pk_f32_fp8_e32 v[3:4], v28
	v_dual_mul_f32 v28, s3, v4 :: v_dual_mul_f32 v143, s3, v3
	v_cvt_pk_f32_fp8_e32 v[3:4], v25
	s_delay_alu instid0(VALU_DEP_1) | instskip(SKIP_1) | instid1(VALU_DEP_1)
	v_dual_mul_f32 v25, s3, v4 :: v_dual_mul_f32 v144, s3, v3
	v_cvt_pk_f32_fp8_e32 v[3:4], v24
	v_dual_mul_f32 v24, s3, v4 :: v_dual_mul_f32 v145, s3, v3
	;; [unrolled: 5-line block ×5, first 2 shown]
	v_cvt_pk_f32_fp8_e32 v[3:4], v49
	s_delay_alu instid0(VALU_DEP_1) | instskip(SKIP_1) | instid1(VALU_DEP_1)
	v_dual_mul_f32 v49, s3, v4 :: v_dual_mul_f32 v152, s3, v3
	v_cvt_pk_f32_fp8_e32 v[3:4], v52
	v_mul_f32_e32 v153, s3, v3
	s_delay_alu instid0(VALU_DEP_2) | instskip(NEXT) | instid1(VALU_DEP_1)
	v_dual_mul_f32 v3, v158, v42 :: v_dual_mul_f32 v52, s3, v4
	v_dual_mul_f32 v4, v161, v13 :: v_dual_fmac_f32 v3, v154, v140
	v_mul_f32_e32 v140, v159, v43
	s_delay_alu instid0(VALU_DEP_2)
	v_fmac_f32_e32 v4, v157, v15
	scratch_load_b128 v[158:161], off, off offset:72 ; 16-byte Folded Reload
	v_fmac_f32_e32 v140, v155, v17
	scratch_load_b128 v[154:157], off, off offset:56 ; 16-byte Folded Reload
	v_fmac_f32_e32 v3, v162, v183
	v_dual_fmac_f32 v141, v164, v185 :: v_dual_fmac_f32 v140, v163, v12
	s_wait_loadcnt 0x0
	s_delay_alu instid0(VALU_DEP_1) | instskip(SKIP_1) | instid1(VALU_DEP_1)
	v_dual_fmac_f32 v3, v154, v10 :: v_dual_fmac_f32 v140, v155, v11
	v_cvt_pk_f32_fp8_e32 v[10:11], v41
	v_dual_fmac_f32 v141, v156, v190 :: v_dual_mul_f32 v12, s3, v11
	s_delay_alu instid0(VALU_DEP_2)
	v_mul_f32_e32 v13, s3, v10
	v_cvt_pk_f32_fp8_e32 v[10:11], v40
	scratch_load_b128 v[40:43], off, off offset:88 ; 16-byte Folded Reload
	v_dual_fmac_f32 v4, v165, v184 :: v_dual_fmac_f32 v3, v158, v51
	v_fmac_f32_e32 v141, v160, v191
	v_mul_f32_e32 v15, s3, v11
	v_mul_f32_e32 v17, s3, v10
	s_delay_alu instid0(VALU_DEP_4) | instskip(SKIP_4) | instid1(VALU_DEP_1)
	v_fmac_f32_e32 v4, v157, v50
	scratch_load_b128 v[154:157], off, off offset:112 ; 16-byte Folded Reload
	v_fmac_f32_e32 v140, v159, v26
	v_cvt_pk_f32_fp8_e32 v[10:11], v32
	s_wait_loadcnt 0x1
	v_dual_mul_f32 v26, s3, v11 :: v_dual_fmac_f32 v141, v42, v0
	s_delay_alu instid0(VALU_DEP_3) | instskip(NEXT) | instid1(VALU_DEP_3)
	v_dual_fmac_f32 v3, v40, v132 :: v_dual_fmac_f32 v140, v41, v29
	v_dual_mul_f32 v29, s3, v10 :: v_dual_fmac_f32 v4, v161, v27
	v_cvt_pk_f32_fp8_e32 v[10:11], v22
	s_wait_loadcnt 0x0
	s_delay_alu instid0(VALU_DEP_3) | instskip(SKIP_1) | instid1(VALU_DEP_3)
	v_fmac_f32_e32 v3, v154, v133
	v_dual_fmac_f32 v140, v155, v33 :: v_dual_fmac_f32 v141, v156, v134
	v_mul_f32_e32 v0, s3, v11
	s_wait_dscnt 0x14
	s_delay_alu instid0(VALU_DEP_3)
	v_dual_mul_f32 v22, s3, v10 :: v_dual_fmac_f32 v3, v166, v135
	v_cvt_pk_f32_fp8_e32 v[10:11], v21
	v_fmac_f32_e32 v4, v43, v30
	v_fmac_f32_e32 v140, v167, v36
	v_fmac_f32_e32 v141, v168, v136
	s_wait_dscnt 0x13
	v_fmac_f32_e32 v3, v170, v137
	v_mul_f32_e32 v21, s3, v11
	v_mul_f32_e32 v27, s3, v10
	v_fmac_f32_e32 v4, v157, v34
	v_cvt_pk_f32_fp8_e32 v[10:11], v19
	v_dual_fmac_f32 v140, v171, v39 :: v_dual_fmac_f32 v141, v172, v138
	s_wait_dscnt 0x12
	s_delay_alu instid0(VALU_DEP_3) | instskip(NEXT) | instid1(VALU_DEP_3)
	v_dual_fmac_f32 v3, v174, v139 :: v_dual_fmac_f32 v4, v169, v37
	v_dual_mul_f32 v19, s3, v11 :: v_dual_mul_f32 v30, s3, v10
	v_cvt_pk_f32_fp8_e32 v[10:11], v14
	v_dual_fmac_f32 v140, v175, v35 :: v_dual_fmac_f32 v141, v176, v142
	s_wait_dscnt 0x11
	v_dual_fmac_f32 v4, v173, v38 :: v_dual_fmac_f32 v3, v178, v143
	s_delay_alu instid0(VALU_DEP_3)
	v_mul_f32_e32 v32, s3, v10
	v_mul_f32_e32 v14, s3, v11
	v_cvt_pk_f32_fp8_e32 v[10:11], v8
	s_wait_dscnt 0x10
	v_dual_fmac_f32 v140, v179, v28 :: v_dual_fmac_f32 v3, v186, v145
	v_dual_fmac_f32 v141, v180, v144 :: v_dual_fmac_f32 v4, v177, v31
	s_delay_alu instid0(VALU_DEP_3) | instskip(SKIP_4) | instid1(VALU_DEP_3)
	v_dual_mul_f32 v28, s3, v11 :: v_dual_mul_f32 v33, s3, v10
	v_cvt_pk_f32_fp8_e32 v[10:11], v6
	s_wait_dscnt 0xf
	v_dual_fmac_f32 v140, v187, v24 :: v_dual_fmac_f32 v3, v128, v147
	v_dual_fmac_f32 v141, v188, v146 :: v_dual_fmac_f32 v4, v181, v25
	v_dual_mul_f32 v24, s3, v11 :: v_dual_mul_f32 v31, s3, v10
	v_cvt_pk_f32_fp8_e32 v[10:11], v20
	s_delay_alu instid0(VALU_DEP_3)
	v_dual_fmac_f32 v141, v130, v148 :: v_dual_fmac_f32 v4, v189, v23
	s_wait_dscnt 0xe
	v_fmac_f32_e32 v3, v53, v149
	v_cvt_pk_f32_fp8_e32 v[6:7], v7
	v_dual_mul_f32 v20, s3, v11 :: v_dual_mul_f32 v25, s3, v10
	v_cvt_pk_f32_fp8_e32 v[10:11], v18
	v_dual_fmac_f32 v140, v129, v44 :: v_dual_fmac_f32 v141, v55, v150
	s_wait_dscnt 0xd
	v_fmac_f32_e32 v3, v57, v151
	v_cvt_pk_f32_fp8_e32 v[8:9], v9
	v_dual_mul_f32 v18, s3, v11 :: v_dual_mul_f32 v23, s3, v10
	v_fmac_f32_e32 v140, v54, v46
	v_cvt_pk_f32_fp8_e32 v[10:11], v16
	v_fmac_f32_e32 v4, v131, v45
	v_fmac_f32_e32 v141, v59, v152
	s_wait_dscnt 0xc
	v_dual_fmac_f32 v3, v61, v153 :: v_dual_fmac_f32 v140, v58, v48
	v_mul_f32_e32 v11, s3, v11
	s_delay_alu instid0(VALU_DEP_3) | instskip(SKIP_1) | instid1(VALU_DEP_3)
	v_dual_fmac_f32 v4, v56, v47 :: v_dual_fmac_f32 v141, v63, v13
	s_wait_dscnt 0xb
	v_dual_fmac_f32 v3, v65, v17 :: v_dual_fmac_f32 v140, v62, v52
	s_delay_alu instid0(VALU_DEP_2) | instskip(NEXT) | instid1(VALU_DEP_3)
	v_dual_mul_f32 v13, s3, v6 :: v_dual_fmac_f32 v4, v60, v49
	v_fmac_f32_e32 v141, v67, v29
	s_wait_dscnt 0xa
	s_delay_alu instid0(VALU_DEP_3) | instskip(SKIP_1) | instid1(VALU_DEP_3)
	v_dual_fmac_f32 v3, v69, v22 :: v_dual_fmac_f32 v140, v66, v15
	v_cvt_pk_f32_fp8_e32 v[5:6], v5
	v_dual_fmac_f32 v4, v64, v12 :: v_dual_fmac_f32 v141, v71, v27
	s_wait_dscnt 0x9
	s_delay_alu instid0(VALU_DEP_3) | instskip(NEXT) | instid1(VALU_DEP_3)
	v_dual_fmac_f32 v3, v73, v30 :: v_dual_fmac_f32 v140, v70, v0
	v_mul_f32_e32 v12, s3, v5
	v_mul_f32_e32 v0, s3, v6
	v_dual_fmac_f32 v4, v68, v26 :: v_dual_fmac_f32 v141, v75, v32
	s_wait_dscnt 0x8
	v_dual_fmac_f32 v140, v74, v19 :: v_dual_fmac_f32 v3, v77, v33
	v_cvt_pk_f32_fp8_e32 v[5:6], v2
	v_cvt_pk_f32_fp8_e32 v[1:2], v1
	v_dual_mul_f32 v10, s3, v10 :: v_dual_mul_f32 v9, s3, v9
	v_fmac_f32_e32 v4, v72, v21
	s_delay_alu instid0(VALU_DEP_4) | instskip(SKIP_3) | instid1(VALU_DEP_3)
	v_dual_mul_f32 v6, s3, v6 :: v_dual_fmac_f32 v141, v79, v31
	s_wait_dscnt 0x7
	v_dual_fmac_f32 v140, v78, v28 :: v_dual_fmac_f32 v3, v81, v25
	v_dual_mul_f32 v15, s3, v2 :: v_dual_mul_f32 v16, s3, v1
	v_fmac_f32_e32 v141, v83, v23
	v_cvt_pk_f32_fp8_e32 v[1:2], v123
	v_dual_mul_f32 v8, s3, v8 :: v_dual_mul_f32 v7, s3, v7
	v_fmac_f32_e32 v4, v76, v14
	s_wait_dscnt 0x6
	v_dual_fmac_f32 v140, v82, v20 :: v_dual_fmac_f32 v3, v85, v10
	v_dual_mul_f32 v14, s3, v2 :: v_dual_mul_f32 v17, s3, v1
	v_cvt_pk_f32_fp8_e32 v[1:2], v114
	v_dual_mul_f32 v5, s3, v5 :: v_dual_fmac_f32 v4, v80, v24
	s_wait_dscnt 0x5
	v_dual_fmac_f32 v3, v89, v13 :: v_dual_fmac_f32 v140, v86, v11
	s_delay_alu instid0(VALU_DEP_3)
	v_dual_fmac_f32 v141, v87, v8 :: v_dual_mul_f32 v10, s3, v2
	v_mul_f32_e32 v11, s3, v1
	v_cvt_pk_f32_fp8_e32 v[1:2], v113
	s_wait_dscnt 0x4
	v_dual_fmac_f32 v4, v84, v18 :: v_dual_fmac_f32 v3, v93, v5
	v_dual_fmac_f32 v140, v90, v7 :: v_dual_fmac_f32 v141, v91, v12
	s_delay_alu instid0(VALU_DEP_3) | instskip(SKIP_1) | instid1(VALU_DEP_3)
	v_dual_mul_f32 v7, s3, v2 :: v_dual_mul_f32 v8, s3, v1
	v_cvt_pk_f32_fp8_e32 v[1:2], v125
	v_dual_fmac_f32 v4, v88, v9 :: v_dual_fmac_f32 v141, v95, v16
	s_wait_dscnt 0x3
	v_dual_fmac_f32 v140, v94, v6 :: v_dual_fmac_f32 v3, v97, v17
	s_delay_alu instid0(VALU_DEP_3) | instskip(NEXT) | instid1(VALU_DEP_3)
	v_dual_mul_f32 v5, s3, v2 :: v_dual_mul_f32 v6, s3, v1
	v_fmac_f32_e32 v141, v99, v11
	v_cvt_pk_f32_fp8_e32 v[1:2], v118
	v_fmac_f32_e32 v4, v92, v0
	s_wait_dscnt 0x2
	v_dual_fmac_f32 v140, v98, v14 :: v_dual_fmac_f32 v3, v101, v8
	v_fmac_f32_e32 v141, v103, v6
	v_dual_mul_f32 v9, s3, v1 :: v_dual_mul_f32 v0, s3, v2
	v_cvt_pk_f32_fp8_e32 v[1:2], v122
	v_fmac_f32_e32 v4, v96, v15
	s_wait_dscnt 0x1
	s_delay_alu instid0(VALU_DEP_3) | instskip(NEXT) | instid1(VALU_DEP_3)
	v_dual_fmac_f32 v140, v102, v7 :: v_dual_fmac_f32 v3, v105, v9
	v_dual_mul_f32 v7, s3, v2 :: v_dual_mul_f32 v8, s3, v1
	v_cvt_pk_f32_fp8_e32 v[1:2], v117
	s_delay_alu instid0(VALU_DEP_3) | instskip(NEXT) | instid1(VALU_DEP_2)
	v_fmac_f32_e32 v140, v106, v0
	v_mul_f32_e32 v0, s3, v1
	s_delay_alu instid0(VALU_DEP_1) | instskip(SKIP_3) | instid1(VALU_DEP_3)
	v_dual_fmac_f32 v141, v107, v0 :: v_dual_fmac_f32 v4, v100, v10
	s_wait_dscnt 0x0
	v_dual_fmac_f32 v3, v109, v8 :: v_dual_mul_f32 v6, s3, v2
	v_cvt_pk_f32_fp8_e32 v[1:2], v121
	v_fmac_f32_e32 v4, v104, v5
	scratch_load_b32 v5, off, off th:TH_LOAD_LU ; 4-byte Folded Reload
	v_dual_mul_f32 v0, s3, v1 :: v_dual_mul_f32 v1, s3, v2
	s_delay_alu instid0(VALU_DEP_1) | instskip(NEXT) | instid1(VALU_DEP_1)
	v_dual_fmac_f32 v141, v111, v0 :: v_dual_fmac_f32 v4, v108, v6
	v_fmac_f32_e32 v4, v112, v1
	scratch_load_b32 v1, off, off offset:4  ; 4-byte Folded Reload
	s_wait_loadcnt 0x0
	v_add_nc_u32_e32 v1, v1, v124
	s_delay_alu instid0(VALU_DEP_1) | instskip(SKIP_3) | instid1(VALU_DEP_1)
	v_cmp_gt_i32_e64 s3, s34, v1
	scratch_load_b32 v1, off, off offset:128 ; 4-byte Folded Reload
	s_wait_loadcnt 0x0
	v_add_nc_u32_e32 v1, v1, v124
	v_cvt_f32_i32_e32 v1, v1
	s_delay_alu instid0(VALU_DEP_1) | instskip(NEXT) | instid1(VALU_DEP_1)
	v_dual_fmac_f32 v140, v110, v7 :: v_dual_mul_f32 v1, s30, v1
	v_dual_add_f32 v0, v3, v140 :: v_dual_cndmask_b32 v1, 0, v1
	s_delay_alu instid0(VALU_DEP_1) | instskip(NEXT) | instid1(VALU_DEP_1)
	v_add_f32_e32 v0, v141, v0
	v_add_f32_e32 v0, v4, v0
	s_delay_alu instid0(VALU_DEP_1) | instskip(NEXT) | instid1(VALU_DEP_1)
	v_dual_fmac_f32 v1, s13, v0 :: v_dual_max_num_f32 v0, v5, v5
	v_max_num_f32_e32 v0, v0, v1
	s_wait_alu 0xf1ff
	s_delay_alu instid0(VALU_DEP_1)
	v_cndmask_b32_e64 v5, v5, v0, s3
	v_cndmask_b32_e64 v0, 0, v1, s3
	ds_store_b32 v126, v0
	s_branch .LBB229_11
.LBB229_16:
	s_or_b32 exec_lo, exec_lo, s29
	scratch_load_b32 v165, off, off offset:132 ; 4-byte Folded Reload
	s_wait_dscnt 0x14
	s_clause 0x1
	scratch_load_b32 v166, off, off offset:136
	scratch_load_b32 v10, off, off offset:140
	v_lshlrev_b32_e32 v9, 2, v120
.LBB229_17:
	s_or_b32 exec_lo, exec_lo, s12
	s_clause 0x2
	s_load_b128 s[12:15], s[0:1], 0x0
	s_load_b64 s[8:9], s[0:1], 0x10
	s_load_b64 s[30:31], s[0:1], 0x28
	scratch_load_b32 v0, off, off offset:4  ; 4-byte Folded Reload
	v_mbcnt_lo_u32_b32 v1, -1, 0
	s_delay_alu instid0(VALU_DEP_1) | instskip(SKIP_1) | instid1(VALU_DEP_2)
	v_xor_b32_e32 v2, 16, v1
	v_xor_b32_e32 v4, 8, v1
	v_cmp_gt_i32_e32 vcc_lo, 32, v2
	s_wait_alu 0xfffd
	v_cndmask_b32_e32 v2, v1, v2, vcc_lo
	s_delay_alu instid0(VALU_DEP_3) | instskip(NEXT) | instid1(VALU_DEP_2)
	v_cmp_gt_i32_e32 vcc_lo, 32, v4
	v_lshlrev_b32_e32 v2, 2, v2
	s_wait_alu 0xfffd
	v_cndmask_b32_e32 v4, v1, v4, vcc_lo
	ds_bpermute_b32 v3, v2, v5
	s_wait_dscnt 0x0
	v_dual_max_num_f32 v5, v5, v5 :: v_dual_max_num_f32 v6, v3, v3
	s_delay_alu instid0(VALU_DEP_1)
	v_dual_max_num_f32 v4, v5, v6 :: v_dual_lshlrev_b32 v3, 2, v4
	v_xor_b32_e32 v6, 4, v1
	ds_bpermute_b32 v5, v3, v4
	v_cmp_gt_i32_e32 vcc_lo, 32, v6
	s_wait_alu 0xfffd
	v_cndmask_b32_e32 v6, v1, v6, vcc_lo
	s_delay_alu instid0(VALU_DEP_1) | instskip(SKIP_1) | instid1(VALU_DEP_1)
	v_lshlrev_b32_e32 v13, 2, v6
	v_xor_b32_e32 v6, 2, v1
	v_cmp_gt_i32_e32 vcc_lo, 32, v6
	s_wait_dscnt 0x0
	v_max_num_f32_e32 v5, v5, v5
	s_wait_alu 0xfffd
	v_cndmask_b32_e32 v6, v1, v6, vcc_lo
	s_delay_alu instid0(VALU_DEP_1) | instskip(SKIP_1) | instid1(VALU_DEP_1)
	v_lshlrev_b32_e32 v12, 2, v6
	v_xor_b32_e32 v6, 1, v1
	v_cmp_gt_i32_e32 vcc_lo, 32, v6
	s_wait_alu 0xfffd
	v_cndmask_b32_e32 v6, v1, v6, vcc_lo
	s_delay_alu instid0(VALU_DEP_1) | instskip(SKIP_3) | instid1(VALU_DEP_1)
	v_dual_max_num_f32 v4, v4, v5 :: v_dual_lshlrev_b32 v11, 2, v6
	ds_bpermute_b32 v5, v13, v4
	s_wait_dscnt 0x0
	v_max_num_f32_e32 v5, v5, v5
	v_max_num_f32_e32 v4, v4, v5
	ds_bpermute_b32 v5, v12, v4
	s_wait_dscnt 0x0
	v_max_num_f32_e32 v5, v5, v5
	s_delay_alu instid0(VALU_DEP_1)
	v_max_num_f32_e32 v1, v4, v5
	s_wait_loadcnt 0x2
	v_lshlrev_b32_e32 v5, 2, v166
	ds_bpermute_b32 v4, v11, v1
	s_wait_loadcnt 0x0
	v_cmp_eq_u32_e32 vcc_lo, 0, v0
	s_and_saveexec_b32 s0, vcc_lo
	s_cbranch_execz .LBB229_19
; %bb.18:
	s_wait_dscnt 0x0
	v_dual_max_num_f32 v0, v4, v4 :: v_dual_max_num_f32 v1, v1, v1
	s_delay_alu instid0(VALU_DEP_1)
	v_max_num_f32_e32 v0, v1, v0
	ds_store_b32 v5, v0 offset:448
.LBB229_19:
	s_or_b32 exec_lo, exec_lo, s0
	scratch_load_b32 v0, off, off offset:4  ; 4-byte Folded Reload
	v_mov_b32_e32 v1, 0xff7fffff
	s_wait_storecnt 0x0
	s_wait_loadcnt_dscnt 0x0
	s_barrier_signal -1
	s_barrier_wait -1
	global_inv scope:SCOPE_SE
	v_cmp_gt_u32_e64 s0, 4, v0
	s_and_saveexec_b32 s1, s0
; %bb.20:
	ds_load_b32 v1, v10 offset:448
; %bb.21:
	s_or_b32 exec_lo, exec_lo, s1
	s_wait_dscnt 0x0
	ds_bpermute_b32 v0, v12, v1
	v_max_num_f32_e32 v1, v1, v1
	s_sub_co_i32 s1, s35, s40
	v_lshl_add_u32 v4, v165, 2, 0x1e0
	s_lshl_b32 s1, s1, 5
	v_mov_b32_e32 v6, 0
	s_add_co_i32 s1, s1, s37
	s_delay_alu instid0(SALU_CYCLE_1) | instskip(NEXT) | instid1(SALU_CYCLE_1)
	s_min_i32 s1, s1, s34
	s_sub_co_i32 s4, s1, s37
	s_wait_alu 0xfffe
	v_cmp_gt_i32_e64 s1, s4, v165
	s_wait_dscnt 0x0
	v_max_num_f32_e32 v0, v0, v0
	s_delay_alu instid0(VALU_DEP_1) | instskip(SKIP_3) | instid1(VALU_DEP_1)
	v_max_num_f32_e32 v0, v1, v0
	ds_bpermute_b32 v1, v11, v0
	s_wait_dscnt 0x0
	v_max_num_f32_e32 v1, v1, v1
	v_max_num_f32_e32 v0, v0, v1
	ds_bpermute_b32 v1, v6, v0
	s_and_saveexec_b32 s18, s1
	s_cbranch_execz .LBB229_25
; %bb.22:
	v_lshl_add_u32 v7, v165, 2, 0x1e0
	v_mov_b32_e32 v6, 0
	v_mov_b32_e32 v8, v165
	s_mov_b32 s29, 0
.LBB229_23:                             ; =>This Inner Loop Header: Depth=1
	ds_load_b32 v0, v7
	v_add_nc_u32_e32 v8, 0x80, v8
	s_delay_alu instid0(VALU_DEP_1) | instskip(SKIP_4) | instid1(VALU_DEP_1)
	v_cmp_le_i32_e64 s3, s4, v8
	s_wait_alu 0xfffe
	s_or_b32 s29, s3, s29
	s_wait_dscnt 0x0
	v_sub_f32_e32 v0, v0, v1
	v_mul_f32_e32 v0, 0x3fb8aa3b, v0
	s_delay_alu instid0(VALU_DEP_1)
	v_exp_f32_e32 v0, v0
	ds_store_b32 v7, v0
	v_dual_add_f32 v6, v6, v0 :: v_dual_add_nc_u32 v7, 0x200, v7
	s_wait_alu 0xfffe
	s_and_not1_b32 exec_lo, exec_lo, s29
	s_cbranch_execnz .LBB229_23
; %bb.24:
	s_or_b32 exec_lo, exec_lo, s29
.LBB229_25:
	s_wait_alu 0xfffe
	s_or_b32 exec_lo, exec_lo, s18
	ds_bpermute_b32 v0, v2, v6
	s_wait_dscnt 0x0
	v_add_f32_e32 v0, v6, v0
	ds_bpermute_b32 v2, v3, v0
	s_wait_dscnt 0x0
	v_add_f32_e32 v0, v0, v2
	;; [unrolled: 3-line block ×5, first 2 shown]
	s_and_saveexec_b32 s3, vcc_lo
; %bb.26:
	ds_store_b32 v5, v2 offset:464
; %bb.27:
	s_wait_alu 0xfffe
	s_or_b32 exec_lo, exec_lo, s3
	s_wait_loadcnt_dscnt 0x0
	s_barrier_signal -1
	s_barrier_wait -1
	global_inv scope:SCOPE_SE
	s_and_saveexec_b32 s3, s0
; %bb.28:
	ds_load_b32 v2, v10 offset:464
; %bb.29:
	s_wait_alu 0xfffe
	s_or_b32 exec_lo, exec_lo, s3
	s_wait_dscnt 0x0
	ds_bpermute_b32 v0, v12, v2
	s_wait_dscnt 0x0
	v_add_f32_e32 v0, v2, v0
	ds_bpermute_b32 v2, v11, v0
	s_wait_dscnt 0x0
	v_add_f32_e32 v0, v0, v2
	v_mov_b32_e32 v2, 0
	ds_bpermute_b32 v2, v2, v0
	s_and_saveexec_b32 s0, s1
	s_cbranch_execz .LBB229_32
; %bb.30:
	s_wait_dscnt 0x0
	v_add_f32_e32 v0, 0x358637bd, v2
	s_mov_b32 s1, 0
	s_delay_alu instid0(VALU_DEP_1) | instskip(NEXT) | instid1(VALU_DEP_1)
	v_div_scale_f32 v3, null, v0, v0, 1.0
	v_rcp_f32_e32 v5, v3
	s_delay_alu instid0(TRANS32_DEP_1) | instskip(NEXT) | instid1(VALU_DEP_1)
	v_fma_f32 v6, -v3, v5, 1.0
	v_fmac_f32_e32 v5, v6, v5
	v_div_scale_f32 v7, vcc_lo, 1.0, v0, 1.0
	s_delay_alu instid0(VALU_DEP_1) | instskip(NEXT) | instid1(VALU_DEP_1)
	v_mul_f32_e32 v6, v7, v5
	v_fma_f32 v8, -v3, v6, v7
	s_delay_alu instid0(VALU_DEP_1) | instskip(NEXT) | instid1(VALU_DEP_1)
	v_fmac_f32_e32 v6, v8, v5
	v_fma_f32 v3, -v3, v6, v7
	s_wait_alu 0xfffd
	s_delay_alu instid0(VALU_DEP_1) | instskip(SKIP_1) | instid1(VALU_DEP_2)
	v_div_fmas_f32 v3, v3, v5, v6
	v_mov_b32_e32 v5, v165
	v_div_fixup_f32 v3, v3, v0, 1.0
.LBB229_31:                             ; =>This Inner Loop Header: Depth=1
	ds_load_b32 v0, v4
	s_wait_dscnt 0x0
	v_dual_mul_f32 v0, v3, v0 :: v_dual_add_nc_u32 v5, 0x80, v5
	s_delay_alu instid0(VALU_DEP_1) | instskip(SKIP_3) | instid1(SALU_CYCLE_1)
	v_cmp_le_i32_e32 vcc_lo, s4, v5
	ds_store_b32 v4, v0
	v_add_nc_u32_e32 v4, 0x200, v4
	s_or_b32 s1, vcc_lo, s1
	s_and_not1_b32 exec_lo, exec_lo, s1
	s_cbranch_execnz .LBB229_31
.LBB229_32:
	s_or_b32 exec_lo, exec_lo, s0
	s_mul_i32 s0, s7, s19
	s_wait_loadcnt_dscnt 0x0
	s_mul_i32 s18, s0, s36
	s_mov_b32 s0, exec_lo
	s_barrier_signal -1
	s_barrier_wait -1
	global_inv scope:SCOPE_SE
	v_cmpx_eq_u32_e32 0, v165
	s_cbranch_execz .LBB229_34
; %bb.33:
	s_wait_alu 0xfffe
	s_ashr_i32 s19, s18, 31
	s_mul_i32 s36, s7, ttmp9
	s_lshl_b32 s1, s33, 2
	s_wait_alu 0xfffe
	s_lshl_b64 s[40:41], s[18:19], 2
	s_ashr_i32 s37, s36, 31
	v_mov_b32_e32 v0, s1
	s_wait_kmcnt 0x0
	s_wait_alu 0xfffe
	s_add_nc_u64 s[14:15], s[14:15], s[40:41]
	s_lshl_b64 s[36:37], s[36:37], 2
	s_add_nc_u64 s[12:13], s[12:13], s[40:41]
	s_wait_alu 0xfffe
	s_add_nc_u64 s[14:15], s[14:15], s[36:37]
	s_add_nc_u64 s[12:13], s[12:13], s[36:37]
	s_clause 0x1
	global_store_b32 v0, v1, s[14:15]
	global_store_b32 v0, v2, s[12:13]
.LBB229_34:
	s_or_b32 exec_lo, exec_lo, s0
	v_dual_mov_b32 v41, 0 :: v_dual_mov_b32 v42, 0
	v_dual_mov_b32 v40, 0 :: v_dual_and_b32 v129, 7, v165
	v_dual_mov_b32 v39, 0 :: v_dual_mov_b32 v38, 0
	v_dual_mov_b32 v37, 0 :: v_dual_mov_b32 v36, 0
	;; [unrolled: 1-line block ×12, first 2 shown]
	v_mov_b32_e32 v15, 0
	s_and_saveexec_b32 s1, s2
	s_cbranch_execz .LBB229_96
; %bb.35:
	s_abs_i32 s2, s6
	v_dual_mov_b32 v15, 0 :: v_dual_lshlrev_b32 v0, 2, v165
	s_wait_alu 0xfffe
	s_cvt_f32_u32 s0, s2
	s_wait_kmcnt 0x0
	s_lshl_b64 s[12:13], s[26:27], 2
	v_dual_mov_b32 v17, 0 :: v_dual_lshlrev_b32 v2, 4, v129
	s_wait_alu 0xfffe
	v_rcp_iflag_f32_e32 v1, s0
	s_add_nc_u64 s[12:13], s[24:25], s[12:13]
	s_ashr_i32 s29, s28, 31
	s_wait_alu 0xfffe
	v_add_co_u32 v5, s12, s12, v9
	s_wait_alu 0xf1ff
	v_add_co_ci_u32_e64 v6, null, s13, 0, s12
	v_dual_mov_b32 v18, 0 :: v_dual_and_b32 v43, 28, v0
	s_add_nc_u64 s[14:15], s[30:31], s[28:29]
	s_delay_alu instid0(TRANS32_DEP_1)
	v_readfirstlane_b32 s6, v1
	v_dual_mov_b32 v16, 0 :: v_dual_and_b32 v1, 0x7c, v0
	v_lshl_or_b32 v0, v166, 7, v2
	s_sub_co_i32 s0, 0, s2
	s_mul_f32 s6, s6, 0x4f7ffffe
	v_dual_mov_b32 v19, 0 :: v_dual_mov_b32 v20, 0
	v_mov_b32_e32 v21, 0
	s_delay_alu instid0(SALU_CYCLE_1) | instskip(SKIP_2) | instid1(VALU_DEP_1)
	s_cvt_u32_f32 s12, s6
	s_wait_alu 0xfffe
	v_add_co_u32 v7, s6, s14, v1
	v_add_co_ci_u32_e64 v8, null, s15, 0, s6
	s_mul_i32 s0, s0, s12
	v_add_nc_u32_e32 v44, 0x1e0, v0
	v_dual_mov_b32 v22, 0 :: v_dual_mov_b32 v23, 0
	v_dual_mov_b32 v24, 0 :: v_dual_mov_b32 v25, 0
	;; [unrolled: 1-line block ×10, first 2 shown]
	v_mov_b32_e32 v42, 0
	s_wait_alu 0xfffe
	s_mul_hi_u32 s0, s12, s0
	s_sub_co_i32 s3, s39, s5
	s_mov_b32 s4, s17
	s_add_co_i32 s5, s38, -1
	s_mov_b32 s6, 0
	s_wait_alu 0xfffe
	s_add_co_i32 s12, s12, s0
	s_branch .LBB229_38
.LBB229_36:                             ;   in Loop: Header=BB229_38 Depth=1
	s_wait_alu 0xfffe
	s_or_b32 exec_lo, exec_lo, s0
	s_wait_dscnt 0x0
	v_mul_f32_e32 v73, v1, v150
	v_mul_f32_e32 v0, v1, v162
	;; [unrolled: 1-line block ×4, first 2 shown]
	s_delay_alu instid0(VALU_DEP_4) | instskip(SKIP_4) | instid1(VALU_DEP_4)
	v_dual_mul_f32 v64, v1, v64 :: v_dual_fmac_f32 v73, v2, v149
	v_mul_f32_e32 v14, v1, v159
	v_dual_fmac_f32 v0, v2, v161 :: v_dual_mul_f32 v75, v1, v142
	v_mul_f32_e32 v72, v1, v154
	v_mul_f32_e32 v131, v1, v136
	v_dual_fmac_f32 v73, v3, v148 :: v_dual_fmac_f32 v14, v2, v157
	s_delay_alu instid0(VALU_DEP_4) | instskip(SKIP_1) | instid1(VALU_DEP_4)
	v_fmac_f32_e32 v75, v2, v139
	v_mul_f32_e32 v74, v1, v147
	v_dual_fmac_f32 v131, v2, v135 :: v_dual_fmac_f32 v0, v3, v160
	s_delay_alu instid0(VALU_DEP_4) | instskip(NEXT) | instid1(VALU_DEP_3)
	v_fmac_f32_e32 v14, v3, v156
	v_dual_fmac_f32 v75, v3, v138 :: v_dual_fmac_f32 v74, v2, v145
	s_delay_alu instid0(VALU_DEP_3) | instskip(NEXT) | instid1(VALU_DEP_3)
	v_dual_fmac_f32 v131, v3, v134 :: v_dual_mul_f32 v132, v1, v132
	v_fmac_f32_e32 v14, v4, v155
	v_fmac_f32_e32 v72, v2, v153
	s_delay_alu instid0(VALU_DEP_4) | instskip(SKIP_2) | instid1(VALU_DEP_4)
	v_fmac_f32_e32 v75, v4, v137
	v_fmac_f32_e32 v73, v4, v146
	;; [unrolled: 1-line block ×3, first 2 shown]
	v_dual_add_f32 v17, v17, v14 :: v_dual_fmac_f32 v72, v3, v152
	s_delay_alu instid0(VALU_DEP_3) | instskip(SKIP_3) | instid1(VALU_DEP_4)
	v_dual_mul_f32 v14, v1, v124 :: v_dual_add_f32 v19, v19, v73
	v_mul_f32_e32 v73, v1, v112
	v_fmac_f32_e32 v74, v3, v144
	v_fmac_f32_e32 v68, v2, v67
	;; [unrolled: 1-line block ×14, first 2 shown]
	s_delay_alu instid0(VALU_DEP_4) | instskip(SKIP_3) | instid1(VALU_DEP_4)
	v_dual_fmac_f32 v73, v4, v109 :: v_dual_fmac_f32 v132, v3, v118
	v_add_f32_e32 v20, v20, v74
	v_mul_f32_e32 v74, v1, v108
	v_add_f32_e32 v25, v25, v14
	v_dual_add_f32 v27, v27, v73 :: v_dual_mul_f32 v14, v1, v100
	v_dual_mul_f32 v73, v1, v92 :: v_dual_fmac_f32 v132, v4, v117
	s_delay_alu instid0(VALU_DEP_4) | instskip(NEXT) | instid1(VALU_DEP_3)
	v_dual_fmac_f32 v74, v2, v107 :: v_dual_add_f32 v37, v37, v68
	v_dual_fmac_f32 v14, v2, v99 :: v_dual_add_f32 v41, v41, v48
	s_delay_alu instid0(VALU_DEP_3) | instskip(NEXT) | instid1(VALU_DEP_3)
	v_dual_fmac_f32 v72, v4, v151 :: v_dual_add_f32 v23, v23, v132
	v_fmac_f32_e32 v74, v3, v106
	s_delay_alu instid0(VALU_DEP_3) | instskip(SKIP_1) | instid1(VALU_DEP_4)
	v_fmac_f32_e32 v14, v3, v98
	v_dual_add_f32 v16, v16, v0 :: v_dual_add_f32 v21, v21, v75
	v_dual_add_f32 v18, v18, v72 :: v_dual_fmac_f32 v131, v4, v133
	s_delay_alu instid0(VALU_DEP_3) | instskip(SKIP_3) | instid1(VALU_DEP_4)
	v_fmac_f32_e32 v14, v4, v97
	v_fmac_f32_e32 v74, v4, v105
	v_dual_mul_f32 v0, v1, v128 :: v_dual_fmac_f32 v73, v2, v91
	v_mul_f32_e32 v52, v1, v52
	v_add_f32_e32 v30, v30, v14
	v_mul_f32_e32 v14, v1, v80
	v_add_f32_e32 v28, v28, v74
	v_mul_f32_e32 v74, v1, v88
	v_fmac_f32_e32 v64, v2, v63
	v_fmac_f32_e32 v52, v2, v51
	;; [unrolled: 1-line block ×3, first 2 shown]
	v_dual_add_f32 v22, v22, v131 :: v_dual_fmac_f32 v73, v3, v90
	v_fmac_f32_e32 v74, v2, v87
	v_fmac_f32_e32 v64, v3, v62
	s_delay_alu instid0(VALU_DEP_4) | instskip(NEXT) | instid1(VALU_DEP_4)
	v_fmac_f32_e32 v14, v3, v78
	v_dual_fmac_f32 v52, v3, v50 :: v_dual_fmac_f32 v73, v4, v89
	s_delay_alu instid0(VALU_DEP_4) | instskip(NEXT) | instid1(VALU_DEP_4)
	v_fmac_f32_e32 v74, v3, v86
	v_fmac_f32_e32 v64, v4, v61
	s_delay_alu instid0(VALU_DEP_4) | instskip(SKIP_3) | instid1(VALU_DEP_4)
	v_fmac_f32_e32 v14, v4, v77
	v_mul_f32_e32 v72, v1, v116
	v_fmac_f32_e32 v52, v4, v49
	v_fmac_f32_e32 v74, v4, v85
	v_dual_add_f32 v32, v32, v73 :: v_dual_add_f32 v35, v35, v14
	s_delay_alu instid0(VALU_DEP_4) | instskip(SKIP_1) | instid1(VALU_DEP_4)
	v_fmac_f32_e32 v72, v2, v115
	v_mul_f32_e32 v14, v1, v56
	v_dual_add_f32 v33, v33, v74 :: v_dual_add_f32 v38, v38, v64
	v_add_f32_e32 v42, v42, v52
	s_delay_alu instid0(VALU_DEP_4) | instskip(NEXT) | instid1(VALU_DEP_4)
	v_fmac_f32_e32 v72, v3, v114
	v_fmac_f32_e32 v14, v2, v55
	s_delay_alu instid0(VALU_DEP_2) | instskip(NEXT) | instid1(VALU_DEP_2)
	v_fmac_f32_e32 v72, v4, v113
	v_fmac_f32_e32 v14, v3, v54
	s_delay_alu instid0(VALU_DEP_2) | instskip(SKIP_1) | instid1(VALU_DEP_3)
	v_add_f32_e32 v26, v26, v72
	v_mul_f32_e32 v72, v1, v96
	v_fmac_f32_e32 v14, v4, v53
	s_delay_alu instid0(VALU_DEP_2) | instskip(NEXT) | instid1(VALU_DEP_2)
	v_fmac_f32_e32 v72, v2, v95
	v_add_f32_e32 v40, v40, v14
	s_delay_alu instid0(VALU_DEP_2) | instskip(NEXT) | instid1(VALU_DEP_1)
	v_fmac_f32_e32 v72, v3, v94
	v_fmac_f32_e32 v72, v4, v93
	s_delay_alu instid0(VALU_DEP_1) | instskip(NEXT) | instid1(VALU_DEP_1)
	v_dual_fmac_f32 v0, v2, v127 :: v_dual_add_f32 v31, v31, v72
	v_fmac_f32_e32 v0, v3, v126
	v_mul_f32_e32 v72, v1, v76
	s_delay_alu instid0(VALU_DEP_2) | instskip(NEXT) | instid1(VALU_DEP_2)
	v_fmac_f32_e32 v0, v4, v125
	v_fmac_f32_e32 v72, v2, v71
	s_delay_alu instid0(VALU_DEP_2) | instskip(SKIP_1) | instid1(VALU_DEP_3)
	v_add_f32_e32 v24, v24, v0
	v_mul_f32_e32 v0, v1, v104
	v_fmac_f32_e32 v72, v3, v70
	s_delay_alu instid0(VALU_DEP_2) | instskip(NEXT) | instid1(VALU_DEP_2)
	v_fmac_f32_e32 v0, v2, v103
	v_fmac_f32_e32 v72, v4, v69
	s_delay_alu instid0(VALU_DEP_2) | instskip(NEXT) | instid1(VALU_DEP_2)
	v_fmac_f32_e32 v0, v3, v102
	v_add_f32_e32 v36, v36, v72
	s_delay_alu instid0(VALU_DEP_2) | instskip(NEXT) | instid1(VALU_DEP_1)
	v_fmac_f32_e32 v0, v4, v101
	v_add_f32_e32 v29, v29, v0
	v_mul_f32_e32 v0, v1, v84
	s_delay_alu instid0(VALU_DEP_1) | instskip(NEXT) | instid1(VALU_DEP_1)
	v_fmac_f32_e32 v0, v2, v83
	v_fmac_f32_e32 v0, v3, v82
	s_delay_alu instid0(VALU_DEP_1) | instskip(NEXT) | instid1(VALU_DEP_1)
	v_fmac_f32_e32 v0, v4, v81
	v_add_f32_e32 v34, v34, v0
	v_mul_f32_e32 v0, v1, v60
	s_delay_alu instid0(VALU_DEP_1) | instskip(NEXT) | instid1(VALU_DEP_1)
	v_dual_mul_f32 v1, v1, v141 :: v_dual_fmac_f32 v0, v2, v59
	v_dual_fmac_f32 v1, v2, v140 :: v_dual_fmac_f32 v0, v3, v58
	s_delay_alu instid0(VALU_DEP_1) | instskip(NEXT) | instid1(VALU_DEP_1)
	v_dual_fmac_f32 v1, v3, v10 :: v_dual_fmac_f32 v0, v4, v57
	v_fmac_f32_e32 v1, v4, v9
	s_delay_alu instid0(VALU_DEP_2) | instskip(NEXT) | instid1(VALU_DEP_2)
	v_add_f32_e32 v39, v39, v0
	v_add_f32_e32 v15, v15, v1
.LBB229_37:                             ;   in Loop: Header=BB229_38 Depth=1
	s_wait_alu 0xfffe
	s_or_b32 exec_lo, exec_lo, s13
	v_add_nc_u32_e32 v120, 4, v120
	v_add_co_u32 v5, s0, v5, 16
	s_wait_alu 0xf1ff
	v_add_co_ci_u32_e64 v6, null, 0, v6, s0
	s_delay_alu instid0(VALU_DEP_3)
	v_cmp_le_i32_e32 vcc_lo, s35, v120
	v_add_nc_u32_e32 v119, 0x80, v119
	v_add_nc_u32_e32 v44, 0x200, v44
	s_or_b32 s6, vcc_lo, s6
	s_wait_alu 0xfffe
	s_and_not1_b32 exec_lo, exec_lo, s6
	s_cbranch_execz .LBB229_95
.LBB229_38:                             ; =>This Inner Loop Header: Depth=1
	v_sub_nc_u32_e32 v0, 0, v119
	s_delay_alu instid0(VALU_DEP_1) | instskip(NEXT) | instid1(VALU_DEP_1)
	v_max_i32_e32 v0, v119, v0
	v_mul_hi_u32 v1, v0, s22
	s_delay_alu instid0(VALU_DEP_1) | instskip(NEXT) | instid1(VALU_DEP_1)
	v_mul_lo_u32 v2, v1, s16
	v_sub_nc_u32_e32 v0, v0, v2
	v_add_nc_u32_e32 v2, 1, v1
	s_delay_alu instid0(VALU_DEP_2) | instskip(SKIP_2) | instid1(VALU_DEP_2)
	v_subrev_nc_u32_e32 v3, s16, v0
	v_cmp_le_u32_e32 vcc_lo, s16, v0
	s_wait_alu 0xfffd
	v_dual_cndmask_b32 v1, v1, v2 :: v_dual_cndmask_b32 v0, v0, v3
	v_ashrrev_i32_e32 v2, 31, v119
	s_delay_alu instid0(VALU_DEP_2) | instskip(NEXT) | instid1(VALU_DEP_3)
	v_add_nc_u32_e32 v3, 1, v1
	v_cmp_le_u32_e32 vcc_lo, s16, v0
	s_delay_alu instid0(VALU_DEP_3) | instskip(SKIP_1) | instid1(VALU_DEP_3)
	v_xor_b32_e32 v2, s23, v2
	s_wait_alu 0xfffd
	v_cndmask_b32_e32 v0, v1, v3, vcc_lo
	s_delay_alu instid0(VALU_DEP_1) | instskip(NEXT) | instid1(VALU_DEP_1)
	v_xor_b32_e32 v0, v0, v2
	v_sub_nc_u32_e32 v0, v0, v2
	s_delay_alu instid0(VALU_DEP_1) | instskip(SKIP_1) | instid1(VALU_DEP_2)
	v_add_nc_u32_e32 v1, s21, v0
	v_cmp_lt_i32_e64 s0, s3, v0
	v_sub_nc_u32_e32 v2, 0, v1
	s_delay_alu instid0(VALU_DEP_1) | instskip(SKIP_1) | instid1(VALU_DEP_1)
	v_max_i32_e32 v2, v1, v2
	s_wait_alu 0xfffe
	v_mul_hi_u32 v3, v2, s12
	s_delay_alu instid0(VALU_DEP_1) | instskip(NEXT) | instid1(VALU_DEP_1)
	v_mul_lo_u32 v3, v3, s2
	v_sub_nc_u32_e32 v2, v2, v3
	s_delay_alu instid0(VALU_DEP_1) | instskip(SKIP_2) | instid1(VALU_DEP_2)
	v_subrev_nc_u32_e32 v3, s2, v2
	v_cmp_le_u32_e32 vcc_lo, s2, v2
	s_wait_alu 0xfffd
	v_cndmask_b32_e32 v2, v2, v3, vcc_lo
	v_ashrrev_i32_e32 v1, 31, v1
	s_delay_alu instid0(VALU_DEP_2) | instskip(SKIP_2) | instid1(VALU_DEP_2)
	v_subrev_nc_u32_e32 v3, s2, v2
	v_cmp_le_u32_e32 vcc_lo, s2, v2
	s_wait_alu 0xfffd
	v_cndmask_b32_e32 v2, v2, v3, vcc_lo
	s_delay_alu instid0(VALU_DEP_1) | instskip(NEXT) | instid1(VALU_DEP_1)
	v_xor_b32_e32 v2, v2, v1
	v_sub_nc_u32_e32 v1, v2, v1
	s_delay_alu instid0(VALU_DEP_1)
	v_cmp_eq_u32_e32 vcc_lo, 0, v1
	s_or_b32 s0, vcc_lo, s0
	s_wait_alu 0xfffe
	s_and_saveexec_b32 s13, s0
	s_cbranch_execz .LBB229_37
; %bb.39:                               ;   in Loop: Header=BB229_38 Depth=1
	global_load_b32 v0, v[5:6], off
	s_load_b32 s14, s[10:11], 0x0
	ds_load_b128 v[1:4], v44
	v_cmp_eq_u32_e32 vcc_lo, s5, v120
	s_wait_loadcnt 0x0
	v_mad_co_i64_i32 v[9:10], null, v0, s4, v[7:8]
	global_load_b32 v0, v[9:10], off
	s_wait_loadcnt 0x0
	v_and_b32_e32 v45, 0xffff, v0
	v_lshrrev_b32_e32 v0, 16, v0
	s_delay_alu instid0(VALU_DEP_2) | instskip(SKIP_1) | instid1(VALU_DEP_3)
	v_cvt_pk_f32_fp8_e32 v[45:46], v45
	v_add_nc_u32_e32 v72, v43, v119
	v_cvt_pk_f32_fp8_e32 v[49:50], v0
	s_wait_kmcnt 0x0
	s_delay_alu instid0(VALU_DEP_3) | instskip(NEXT) | instid1(VALU_DEP_2)
	v_dual_mul_f32 v48, s14, v45 :: v_dual_mul_f32 v47, s14, v46
	v_dual_mul_f32 v45, s14, v50 :: v_dual_add_nc_u32 v74, 1, v72
	s_delay_alu instid0(VALU_DEP_3)
	v_dual_mul_f32 v46, s14, v49 :: v_dual_add_nc_u32 v73, 2, v72
	v_add_nc_u32_e32 v75, 3, v72
	s_and_saveexec_b32 s15, vcc_lo
	s_cbranch_execz .LBB229_41
; %bb.40:                               ;   in Loop: Header=BB229_38 Depth=1
	v_cmp_gt_i32_e64 s0, s34, v72
	s_wait_alu 0xf1ff
	s_delay_alu instid0(VALU_DEP_1) | instskip(SKIP_2) | instid1(VALU_DEP_1)
	v_cndmask_b32_e64 v48, 0, v48, s0
	v_cmp_gt_i32_e64 s0, s34, v74
	s_wait_alu 0xf1ff
	v_cndmask_b32_e64 v47, 0, v47, s0
	v_cmp_gt_i32_e64 s0, s34, v73
	s_wait_alu 0xf1ff
	s_delay_alu instid0(VALU_DEP_1) | instskip(SKIP_2) | instid1(VALU_DEP_1)
	v_cndmask_b32_e64 v46, 0, v46, s0
	v_cmp_gt_i32_e64 s0, s34, v75
	s_wait_alu 0xf1ff
	v_cndmask_b32_e64 v45, 0, v45, s0
.LBB229_41:                             ;   in Loop: Header=BB229_38 Depth=1
	s_wait_alu 0xfffe
	s_or_b32 exec_lo, exec_lo, s15
	global_load_b32 v0, v[9:10], off offset:128
	s_mov_b32 s15, s14
	s_wait_loadcnt 0x0
	v_and_b32_e32 v49, 0xffff, v0
	v_lshrrev_b32_e32 v0, 16, v0
	s_delay_alu instid0(VALU_DEP_2) | instskip(NEXT) | instid1(VALU_DEP_2)
	v_cvt_pk_f32_fp8_e32 v[49:50], v49
	v_cvt_pk_f32_fp8_e32 v[53:54], v0
	s_wait_alu 0xfffe
	s_delay_alu instid0(VALU_DEP_2) | instskip(NEXT) | instid1(VALU_DEP_2)
	v_dual_mul_f32 v52, s14, v49 :: v_dual_mul_f32 v51, s15, v50
	v_dual_mul_f32 v50, s14, v53 :: v_dual_mul_f32 v49, s15, v54
	s_and_saveexec_b32 s17, vcc_lo
	s_cbranch_execz .LBB229_43
; %bb.42:                               ;   in Loop: Header=BB229_38 Depth=1
	v_cmp_gt_i32_e64 s0, s34, v72
	s_wait_alu 0xf1ff
	s_delay_alu instid0(VALU_DEP_1) | instskip(SKIP_2) | instid1(VALU_DEP_1)
	v_cndmask_b32_e64 v52, 0, v52, s0
	v_cmp_gt_i32_e64 s0, s34, v74
	s_wait_alu 0xf1ff
	v_cndmask_b32_e64 v51, 0, v51, s0
	v_cmp_gt_i32_e64 s0, s34, v73
	s_wait_alu 0xf1ff
	s_delay_alu instid0(VALU_DEP_1) | instskip(SKIP_2) | instid1(VALU_DEP_1)
	v_cndmask_b32_e64 v50, 0, v50, s0
	v_cmp_gt_i32_e64 s0, s34, v75
	s_wait_alu 0xf1ff
	v_cndmask_b32_e64 v49, 0, v49, s0
.LBB229_43:                             ;   in Loop: Header=BB229_38 Depth=1
	s_wait_alu 0xfffe
	s_or_b32 exec_lo, exec_lo, s17
	global_load_b32 v0, v[9:10], off offset:256
	s_wait_loadcnt 0x0
	v_and_b32_e32 v53, 0xffff, v0
	v_lshrrev_b32_e32 v0, 16, v0
	s_delay_alu instid0(VALU_DEP_2) | instskip(NEXT) | instid1(VALU_DEP_2)
	v_cvt_pk_f32_fp8_e32 v[53:54], v53
	v_cvt_pk_f32_fp8_e32 v[57:58], v0
	s_delay_alu instid0(VALU_DEP_2) | instskip(NEXT) | instid1(VALU_DEP_2)
	v_dual_mul_f32 v56, s14, v53 :: v_dual_mul_f32 v55, s15, v54
	v_dual_mul_f32 v54, s14, v57 :: v_dual_mul_f32 v53, s15, v58
	s_and_saveexec_b32 s17, vcc_lo
	s_cbranch_execz .LBB229_45
; %bb.44:                               ;   in Loop: Header=BB229_38 Depth=1
	v_cmp_gt_i32_e64 s0, s34, v72
	s_wait_alu 0xf1ff
	s_delay_alu instid0(VALU_DEP_1) | instskip(SKIP_2) | instid1(VALU_DEP_1)
	v_cndmask_b32_e64 v56, 0, v56, s0
	v_cmp_gt_i32_e64 s0, s34, v74
	s_wait_alu 0xf1ff
	v_cndmask_b32_e64 v55, 0, v55, s0
	v_cmp_gt_i32_e64 s0, s34, v73
	s_wait_alu 0xf1ff
	s_delay_alu instid0(VALU_DEP_1) | instskip(SKIP_2) | instid1(VALU_DEP_1)
	v_cndmask_b32_e64 v54, 0, v54, s0
	v_cmp_gt_i32_e64 s0, s34, v75
	s_wait_alu 0xf1ff
	v_cndmask_b32_e64 v53, 0, v53, s0
.LBB229_45:                             ;   in Loop: Header=BB229_38 Depth=1
	s_wait_alu 0xfffe
	s_or_b32 exec_lo, exec_lo, s17
	global_load_b32 v0, v[9:10], off offset:384
	s_wait_loadcnt 0x0
	v_and_b32_e32 v57, 0xffff, v0
	v_lshrrev_b32_e32 v0, 16, v0
	s_delay_alu instid0(VALU_DEP_2) | instskip(NEXT) | instid1(VALU_DEP_2)
	v_cvt_pk_f32_fp8_e32 v[57:58], v57
	v_cvt_pk_f32_fp8_e32 v[61:62], v0
	;; [unrolled: 30-line block ×15, first 2 shown]
	s_delay_alu instid0(VALU_DEP_2) | instskip(NEXT) | instid1(VALU_DEP_2)
	v_dual_mul_f32 v116, s14, v113 :: v_dual_mul_f32 v115, s15, v114
	v_dual_mul_f32 v114, s14, v117 :: v_dual_mul_f32 v113, s15, v118
	s_and_saveexec_b32 s17, vcc_lo
	s_cbranch_execz .LBB229_73
; %bb.72:                               ;   in Loop: Header=BB229_38 Depth=1
	v_cmp_gt_i32_e64 s0, s34, v72
	s_wait_alu 0xf1ff
	s_delay_alu instid0(VALU_DEP_1) | instskip(SKIP_2) | instid1(VALU_DEP_1)
	v_cndmask_b32_e64 v116, 0, v116, s0
	v_cmp_gt_i32_e64 s0, s34, v74
	s_wait_alu 0xf1ff
	v_cndmask_b32_e64 v115, 0, v115, s0
	v_cmp_gt_i32_e64 s0, s34, v73
	s_wait_alu 0xf1ff
	s_delay_alu instid0(VALU_DEP_1) | instskip(SKIP_2) | instid1(VALU_DEP_1)
	v_cndmask_b32_e64 v114, 0, v114, s0
	v_cmp_gt_i32_e64 s0, s34, v75
	s_wait_alu 0xf1ff
	v_cndmask_b32_e64 v113, 0, v113, s0
.LBB229_73:                             ;   in Loop: Header=BB229_38 Depth=1
	s_wait_alu 0xfffe
	s_or_b32 exec_lo, exec_lo, s17
	global_load_b32 v0, v[9:10], off offset:2176
	s_wait_loadcnt 0x0
	v_and_b32_e32 v117, 0xffff, v0
	v_lshrrev_b32_e32 v0, 16, v0
	s_delay_alu instid0(VALU_DEP_1) | instskip(NEXT) | instid1(VALU_DEP_1)
	v_cvt_pk_f32_fp8_e32 v[125:126], v0
	v_mul_f32_e32 v122, s14, v125
	s_delay_alu instid0(VALU_DEP_4) | instskip(NEXT) | instid1(VALU_DEP_1)
	v_cvt_pk_f32_fp8_e32 v[117:118], v117
	v_dual_mul_f32 v121, s15, v126 :: v_dual_mul_f32 v124, s14, v117
	s_delay_alu instid0(VALU_DEP_2)
	v_mul_f32_e32 v123, s15, v118
	s_and_saveexec_b32 s17, vcc_lo
	s_cbranch_execz .LBB229_75
; %bb.74:                               ;   in Loop: Header=BB229_38 Depth=1
	v_cmp_gt_i32_e64 s0, s34, v72
	s_wait_alu 0xf1ff
	s_delay_alu instid0(VALU_DEP_1) | instskip(SKIP_2) | instid1(VALU_DEP_1)
	v_cndmask_b32_e64 v124, 0, v124, s0
	v_cmp_gt_i32_e64 s0, s34, v74
	s_wait_alu 0xf1ff
	v_cndmask_b32_e64 v123, 0, v123, s0
	v_cmp_gt_i32_e64 s0, s34, v73
	s_wait_alu 0xf1ff
	s_delay_alu instid0(VALU_DEP_1) | instskip(SKIP_2) | instid1(VALU_DEP_1)
	v_cndmask_b32_e64 v122, 0, v122, s0
	v_cmp_gt_i32_e64 s0, s34, v75
	s_wait_alu 0xf1ff
	v_cndmask_b32_e64 v121, 0, v121, s0
.LBB229_75:                             ;   in Loop: Header=BB229_38 Depth=1
	s_wait_alu 0xfffe
	s_or_b32 exec_lo, exec_lo, s17
	global_load_b32 v0, v[9:10], off offset:2304
	s_wait_loadcnt 0x0
	v_and_b32_e32 v117, 0xffff, v0
	v_lshrrev_b32_e32 v0, 16, v0
	s_delay_alu instid0(VALU_DEP_2) | instskip(NEXT) | instid1(VALU_DEP_2)
	v_cvt_pk_f32_fp8_e32 v[117:118], v117
	v_cvt_pk_f32_fp8_e32 v[132:133], v0
	s_delay_alu instid0(VALU_DEP_2) | instskip(NEXT) | instid1(VALU_DEP_2)
	v_dual_mul_f32 v128, s14, v117 :: v_dual_mul_f32 v127, s15, v118
	v_dual_mul_f32 v126, s14, v132 :: v_dual_mul_f32 v125, s15, v133
	s_and_saveexec_b32 s17, vcc_lo
	s_cbranch_execz .LBB229_77
; %bb.76:                               ;   in Loop: Header=BB229_38 Depth=1
	v_cmp_gt_i32_e64 s0, s34, v72
	s_wait_alu 0xf1ff
	s_delay_alu instid0(VALU_DEP_1) | instskip(SKIP_2) | instid1(VALU_DEP_1)
	v_cndmask_b32_e64 v128, 0, v128, s0
	v_cmp_gt_i32_e64 s0, s34, v74
	s_wait_alu 0xf1ff
	v_cndmask_b32_e64 v127, 0, v127, s0
	v_cmp_gt_i32_e64 s0, s34, v73
	s_wait_alu 0xf1ff
	s_delay_alu instid0(VALU_DEP_1) | instskip(SKIP_2) | instid1(VALU_DEP_1)
	v_cndmask_b32_e64 v126, 0, v126, s0
	v_cmp_gt_i32_e64 s0, s34, v75
	s_wait_alu 0xf1ff
	v_cndmask_b32_e64 v125, 0, v125, s0
.LBB229_77:                             ;   in Loop: Header=BB229_38 Depth=1
	s_wait_alu 0xfffe
	s_or_b32 exec_lo, exec_lo, s17
	global_load_b32 v0, v[9:10], off offset:2432
	s_wait_loadcnt 0x0
	v_and_b32_e32 v117, 0xffff, v0
	v_lshrrev_b32_e32 v0, 16, v0
	s_delay_alu instid0(VALU_DEP_2) | instskip(NEXT) | instid1(VALU_DEP_2)
	v_cvt_pk_f32_fp8_e32 v[117:118], v117
	v_cvt_pk_f32_fp8_e32 v[133:134], v0
	s_delay_alu instid0(VALU_DEP_1) | instskip(NEXT) | instid1(VALU_DEP_3)
	v_dual_mul_f32 v132, s14, v117 :: v_dual_mul_f32 v117, s15, v134
	v_mul_f32_e32 v130, s15, v118
	s_delay_alu instid0(VALU_DEP_3)
	v_mul_f32_e32 v118, s14, v133
	s_and_saveexec_b32 s17, vcc_lo
	s_cbranch_execz .LBB229_79
; %bb.78:                               ;   in Loop: Header=BB229_38 Depth=1
	v_cmp_gt_i32_e64 s0, s34, v72
	s_wait_alu 0xf1ff
	s_delay_alu instid0(VALU_DEP_1) | instskip(SKIP_2) | instid1(VALU_DEP_1)
	v_cndmask_b32_e64 v132, 0, v132, s0
	v_cmp_gt_i32_e64 s0, s34, v74
	s_wait_alu 0xf1ff
	v_cndmask_b32_e64 v130, 0, v130, s0
	v_cmp_gt_i32_e64 s0, s34, v73
	s_wait_alu 0xf1ff
	s_delay_alu instid0(VALU_DEP_1) | instskip(SKIP_2) | instid1(VALU_DEP_1)
	v_cndmask_b32_e64 v118, 0, v118, s0
	v_cmp_gt_i32_e64 s0, s34, v75
	s_wait_alu 0xf1ff
	v_cndmask_b32_e64 v117, 0, v117, s0
.LBB229_79:                             ;   in Loop: Header=BB229_38 Depth=1
	s_wait_alu 0xfffe
	s_or_b32 exec_lo, exec_lo, s17
	global_load_b32 v0, v[9:10], off offset:2560
	s_wait_loadcnt 0x0
	v_and_b32_e32 v14, 0xffff, v0
	v_lshrrev_b32_e32 v0, 16, v0
	s_delay_alu instid0(VALU_DEP_2) | instskip(NEXT) | instid1(VALU_DEP_2)
	v_cvt_pk_f32_fp8_e32 v[133:134], v14
	v_cvt_pk_f32_fp8_e32 v[137:138], v0
	s_delay_alu instid0(VALU_DEP_1) | instskip(NEXT) | instid1(VALU_DEP_2)
	v_dual_mul_f32 v136, s14, v133 :: v_dual_mul_f32 v133, s15, v138
	v_dual_mul_f32 v135, s15, v134 :: v_dual_mul_f32 v134, s14, v137
	s_and_saveexec_b32 s17, vcc_lo
	s_cbranch_execz .LBB229_81
; %bb.80:                               ;   in Loop: Header=BB229_38 Depth=1
	v_cmp_gt_i32_e64 s0, s34, v72
	s_wait_alu 0xf1ff
	s_delay_alu instid0(VALU_DEP_1) | instskip(SKIP_2) | instid1(VALU_DEP_1)
	v_cndmask_b32_e64 v136, 0, v136, s0
	v_cmp_gt_i32_e64 s0, s34, v74
	s_wait_alu 0xf1ff
	v_cndmask_b32_e64 v135, 0, v135, s0
	v_cmp_gt_i32_e64 s0, s34, v73
	s_wait_alu 0xf1ff
	s_delay_alu instid0(VALU_DEP_1) | instskip(SKIP_2) | instid1(VALU_DEP_1)
	v_cndmask_b32_e64 v134, 0, v134, s0
	v_cmp_gt_i32_e64 s0, s34, v75
	s_wait_alu 0xf1ff
	v_cndmask_b32_e64 v133, 0, v133, s0
.LBB229_81:                             ;   in Loop: Header=BB229_38 Depth=1
	s_wait_alu 0xfffe
	s_or_b32 exec_lo, exec_lo, s17
	global_load_b32 v0, v[9:10], off offset:2688
	s_wait_loadcnt 0x0
	v_and_b32_e32 v14, 0xffff, v0
	v_lshrrev_b32_e32 v0, 16, v0
	s_delay_alu instid0(VALU_DEP_2) | instskip(NEXT) | instid1(VALU_DEP_2)
	v_cvt_pk_f32_fp8_e32 v[137:138], v14
	v_cvt_pk_f32_fp8_e32 v[140:141], v0
	s_delay_alu instid0(VALU_DEP_2) | instskip(NEXT) | instid1(VALU_DEP_2)
	v_dual_mul_f32 v142, s14, v137 :: v_dual_mul_f32 v139, s15, v138
	v_dual_mul_f32 v138, s14, v140 :: v_dual_mul_f32 v137, s15, v141
	s_and_saveexec_b32 s17, vcc_lo
	s_cbranch_execz .LBB229_83
; %bb.82:                               ;   in Loop: Header=BB229_38 Depth=1
	v_cmp_gt_i32_e64 s0, s34, v72
	s_wait_alu 0xf1ff
	s_delay_alu instid0(VALU_DEP_1) | instskip(SKIP_2) | instid1(VALU_DEP_1)
	v_cndmask_b32_e64 v142, 0, v142, s0
	v_cmp_gt_i32_e64 s0, s34, v74
	s_wait_alu 0xf1ff
	v_cndmask_b32_e64 v139, 0, v139, s0
	v_cmp_gt_i32_e64 s0, s34, v73
	s_wait_alu 0xf1ff
	s_delay_alu instid0(VALU_DEP_1) | instskip(SKIP_2) | instid1(VALU_DEP_1)
	v_cndmask_b32_e64 v138, 0, v138, s0
	v_cmp_gt_i32_e64 s0, s34, v75
	s_wait_alu 0xf1ff
	v_cndmask_b32_e64 v137, 0, v137, s0
.LBB229_83:                             ;   in Loop: Header=BB229_38 Depth=1
	s_wait_alu 0xfffe
	s_or_b32 exec_lo, exec_lo, s17
	global_load_b32 v0, v[9:10], off offset:2816
	s_wait_loadcnt 0x0
	v_and_b32_e32 v14, 0xffff, v0
	v_lshrrev_b32_e32 v0, 16, v0
	s_delay_alu instid0(VALU_DEP_2) | instskip(NEXT) | instid1(VALU_DEP_2)
	v_cvt_pk_f32_fp8_e32 v[140:141], v14
	v_cvt_pk_f32_fp8_e32 v[148:149], v0
	s_delay_alu instid0(VALU_DEP_2) | instskip(NEXT) | instid1(VALU_DEP_2)
	v_mul_f32_e32 v147, s14, v140
	v_dual_mul_f32 v145, s15, v141 :: v_dual_mul_f32 v144, s14, v148
	s_delay_alu instid0(VALU_DEP_3)
	v_mul_f32_e32 v143, s15, v149
	s_and_saveexec_b32 s17, vcc_lo
	s_cbranch_execz .LBB229_85
; %bb.84:                               ;   in Loop: Header=BB229_38 Depth=1
	v_cmp_gt_i32_e64 s0, s34, v72
	s_wait_alu 0xf1ff
	s_delay_alu instid0(VALU_DEP_1) | instskip(SKIP_2) | instid1(VALU_DEP_1)
	v_cndmask_b32_e64 v147, 0, v147, s0
	v_cmp_gt_i32_e64 s0, s34, v74
	s_wait_alu 0xf1ff
	v_cndmask_b32_e64 v145, 0, v145, s0
	v_cmp_gt_i32_e64 s0, s34, v73
	s_wait_alu 0xf1ff
	s_delay_alu instid0(VALU_DEP_1) | instskip(SKIP_2) | instid1(VALU_DEP_1)
	v_cndmask_b32_e64 v144, 0, v144, s0
	v_cmp_gt_i32_e64 s0, s34, v75
	s_wait_alu 0xf1ff
	v_cndmask_b32_e64 v143, 0, v143, s0
.LBB229_85:                             ;   in Loop: Header=BB229_38 Depth=1
	s_wait_alu 0xfffe
	s_or_b32 exec_lo, exec_lo, s17
	global_load_b32 v0, v[9:10], off offset:2944
	s_wait_loadcnt 0x0
	v_and_b32_e32 v14, 0xffff, v0
	v_lshrrev_b32_e32 v0, 16, v0
	s_delay_alu instid0(VALU_DEP_2) | instskip(NEXT) | instid1(VALU_DEP_2)
	v_cvt_pk_f32_fp8_e32 v[140:141], v14
	v_cvt_pk_f32_fp8_e32 v[151:152], v0
	s_delay_alu instid0(VALU_DEP_2) | instskip(NEXT) | instid1(VALU_DEP_2)
	v_dual_mul_f32 v150, s14, v140 :: v_dual_mul_f32 v149, s15, v141
	v_mul_f32_e32 v148, s14, v151
	s_delay_alu instid0(VALU_DEP_3)
	v_mul_f32_e32 v146, s15, v152
	s_and_saveexec_b32 s17, vcc_lo
	s_cbranch_execz .LBB229_87
; %bb.86:                               ;   in Loop: Header=BB229_38 Depth=1
	v_cmp_gt_i32_e64 s0, s34, v72
	s_wait_alu 0xf1ff
	s_delay_alu instid0(VALU_DEP_1) | instskip(SKIP_2) | instid1(VALU_DEP_1)
	v_cndmask_b32_e64 v150, 0, v150, s0
	v_cmp_gt_i32_e64 s0, s34, v74
	s_wait_alu 0xf1ff
	v_cndmask_b32_e64 v149, 0, v149, s0
	v_cmp_gt_i32_e64 s0, s34, v73
	s_wait_alu 0xf1ff
	s_delay_alu instid0(VALU_DEP_1) | instskip(SKIP_2) | instid1(VALU_DEP_1)
	v_cndmask_b32_e64 v148, 0, v148, s0
	v_cmp_gt_i32_e64 s0, s34, v75
	s_wait_alu 0xf1ff
	v_cndmask_b32_e64 v146, 0, v146, s0
.LBB229_87:                             ;   in Loop: Header=BB229_38 Depth=1
	s_wait_alu 0xfffe
	s_or_b32 exec_lo, exec_lo, s17
	global_load_b32 v0, v[9:10], off offset:3072
	s_wait_loadcnt 0x0
	v_and_b32_e32 v14, 0xffff, v0
	v_lshrrev_b32_e32 v0, 16, v0
	s_delay_alu instid0(VALU_DEP_2) | instskip(NEXT) | instid1(VALU_DEP_2)
	v_cvt_pk_f32_fp8_e32 v[140:141], v14
	v_cvt_pk_f32_fp8_e32 v[155:156], v0
	s_delay_alu instid0(VALU_DEP_2) | instskip(NEXT) | instid1(VALU_DEP_2)
	v_dual_mul_f32 v154, s14, v140 :: v_dual_mul_f32 v153, s15, v141
	v_dual_mul_f32 v152, s14, v155 :: v_dual_mul_f32 v151, s15, v156
	s_and_saveexec_b32 s17, vcc_lo
	s_cbranch_execz .LBB229_89
; %bb.88:                               ;   in Loop: Header=BB229_38 Depth=1
	v_cmp_gt_i32_e64 s0, s34, v72
	s_wait_alu 0xf1ff
	s_delay_alu instid0(VALU_DEP_1) | instskip(SKIP_2) | instid1(VALU_DEP_1)
	v_cndmask_b32_e64 v154, 0, v154, s0
	v_cmp_gt_i32_e64 s0, s34, v74
	s_wait_alu 0xf1ff
	v_cndmask_b32_e64 v153, 0, v153, s0
	v_cmp_gt_i32_e64 s0, s34, v73
	s_wait_alu 0xf1ff
	s_delay_alu instid0(VALU_DEP_1) | instskip(SKIP_2) | instid1(VALU_DEP_1)
	v_cndmask_b32_e64 v152, 0, v152, s0
	v_cmp_gt_i32_e64 s0, s34, v75
	s_wait_alu 0xf1ff
	v_cndmask_b32_e64 v151, 0, v151, s0
.LBB229_89:                             ;   in Loop: Header=BB229_38 Depth=1
	s_wait_alu 0xfffe
	s_or_b32 exec_lo, exec_lo, s17
	global_load_b32 v0, v[9:10], off offset:3200
	s_wait_loadcnt 0x0
	v_and_b32_e32 v14, 0xffff, v0
	v_lshrrev_b32_e32 v0, 16, v0
	s_delay_alu instid0(VALU_DEP_2) | instskip(NEXT) | instid1(VALU_DEP_2)
	v_cvt_pk_f32_fp8_e32 v[140:141], v14
	v_cvt_pk_f32_fp8_e32 v[160:161], v0
	s_delay_alu instid0(VALU_DEP_2) | instskip(NEXT) | instid1(VALU_DEP_2)
	v_mul_f32_e32 v159, s14, v140
	v_dual_mul_f32 v157, s15, v141 :: v_dual_mul_f32 v156, s14, v160
	s_delay_alu instid0(VALU_DEP_3)
	v_mul_f32_e32 v155, s15, v161
	s_and_saveexec_b32 s17, vcc_lo
	s_cbranch_execz .LBB229_91
; %bb.90:                               ;   in Loop: Header=BB229_38 Depth=1
	v_cmp_gt_i32_e64 s0, s34, v72
	s_wait_alu 0xf1ff
	s_delay_alu instid0(VALU_DEP_1) | instskip(SKIP_2) | instid1(VALU_DEP_1)
	v_cndmask_b32_e64 v159, 0, v159, s0
	v_cmp_gt_i32_e64 s0, s34, v74
	s_wait_alu 0xf1ff
	v_cndmask_b32_e64 v157, 0, v157, s0
	v_cmp_gt_i32_e64 s0, s34, v73
	s_wait_alu 0xf1ff
	s_delay_alu instid0(VALU_DEP_1) | instskip(SKIP_2) | instid1(VALU_DEP_1)
	v_cndmask_b32_e64 v156, 0, v156, s0
	v_cmp_gt_i32_e64 s0, s34, v75
	s_wait_alu 0xf1ff
	v_cndmask_b32_e64 v155, 0, v155, s0
.LBB229_91:                             ;   in Loop: Header=BB229_38 Depth=1
	s_wait_alu 0xfffe
	s_or_b32 exec_lo, exec_lo, s17
	global_load_b32 v0, v[9:10], off offset:3328
	s_wait_loadcnt 0x0
	v_and_b32_e32 v14, 0xffff, v0
	v_lshrrev_b32_e32 v0, 16, v0
	s_delay_alu instid0(VALU_DEP_2) | instskip(NEXT) | instid1(VALU_DEP_2)
	v_cvt_pk_f32_fp8_e32 v[140:141], v14
	v_cvt_pk_f32_fp8_e32 v[163:164], v0
	s_delay_alu instid0(VALU_DEP_2) | instskip(NEXT) | instid1(VALU_DEP_2)
	v_dual_mul_f32 v162, s14, v140 :: v_dual_mul_f32 v161, s15, v141
	v_mul_f32_e32 v160, s14, v163
	s_delay_alu instid0(VALU_DEP_3)
	v_mul_f32_e32 v158, s15, v164
	s_and_saveexec_b32 s17, vcc_lo
	s_cbranch_execz .LBB229_93
; %bb.92:                               ;   in Loop: Header=BB229_38 Depth=1
	v_cmp_gt_i32_e64 s0, s34, v72
	s_wait_alu 0xf1ff
	s_delay_alu instid0(VALU_DEP_1) | instskip(SKIP_2) | instid1(VALU_DEP_1)
	v_cndmask_b32_e64 v162, 0, v162, s0
	v_cmp_gt_i32_e64 s0, s34, v74
	s_wait_alu 0xf1ff
	v_cndmask_b32_e64 v161, 0, v161, s0
	v_cmp_gt_i32_e64 s0, s34, v73
	s_wait_alu 0xf1ff
	s_delay_alu instid0(VALU_DEP_1) | instskip(SKIP_2) | instid1(VALU_DEP_1)
	v_cndmask_b32_e64 v160, 0, v160, s0
	v_cmp_gt_i32_e64 s0, s34, v75
	s_wait_alu 0xf1ff
	v_cndmask_b32_e64 v158, 0, v158, s0
.LBB229_93:                             ;   in Loop: Header=BB229_38 Depth=1
	s_wait_alu 0xfffe
	s_or_b32 exec_lo, exec_lo, s17
	global_load_b32 v0, v[9:10], off offset:3456
	s_wait_loadcnt 0x0
	v_and_b32_e32 v9, 0xffff, v0
	v_lshrrev_b32_e32 v0, 16, v0
	s_delay_alu instid0(VALU_DEP_2) | instskip(NEXT) | instid1(VALU_DEP_2)
	v_cvt_pk_f32_fp8_e32 v[9:10], v9
	v_cvt_pk_f32_fp8_e32 v[163:164], v0
	s_delay_alu instid0(VALU_DEP_2) | instskip(NEXT) | instid1(VALU_DEP_2)
	v_dual_mul_f32 v141, s14, v9 :: v_dual_mul_f32 v140, s15, v10
	v_dual_mul_f32 v10, s14, v163 :: v_dual_mul_f32 v9, s15, v164
	s_and_saveexec_b32 s0, vcc_lo
	s_cbranch_execz .LBB229_36
; %bb.94:                               ;   in Loop: Header=BB229_38 Depth=1
	v_cmp_gt_i32_e32 vcc_lo, s34, v72
	s_wait_alu 0xfffd
	v_cndmask_b32_e32 v141, 0, v141, vcc_lo
	v_cmp_gt_i32_e32 vcc_lo, s34, v74
	s_wait_alu 0xfffd
	v_cndmask_b32_e32 v140, 0, v140, vcc_lo
	v_cmp_gt_i32_e32 vcc_lo, s34, v73
	s_wait_alu 0xfffd
	v_cndmask_b32_e32 v10, 0, v10, vcc_lo
	v_cmp_gt_i32_e32 vcc_lo, s34, v75
	s_wait_alu 0xfffd
	v_cndmask_b32_e32 v9, 0, v9, vcc_lo
	s_branch .LBB229_36
.LBB229_95:
	s_or_b32 exec_lo, exec_lo, s6
.LBB229_96:
	s_wait_alu 0xfffe
	s_or_b32 exec_lo, exec_lo, s1
	ds_bpermute_b32 v0, v13, v41
	ds_bpermute_b32 v1, v13, v42
	;; [unrolled: 1-line block ×13, first 2 shown]
	s_mov_b32 s0, exec_lo
	s_wait_dscnt 0xb
	v_dual_add_f32 v0, v41, v0 :: v_dual_add_f32 v1, v42, v1
	s_wait_dscnt 0x9
	v_dual_add_f32 v2, v40, v2 :: v_dual_add_f32 v3, v39, v3
	;; [unrolled: 2-line block ×4, first 2 shown]
	ds_bpermute_b32 v10, v12, v0
	ds_bpermute_b32 v35, v12, v1
	;; [unrolled: 1-line block ×7, first 2 shown]
	s_wait_dscnt 0xa
	v_dual_add_f32 v8, v34, v8 :: v_dual_add_f32 v9, v33, v9
	ds_bpermute_b32 v33, v13, v30
	ds_bpermute_b32 v42, v13, v32
	;; [unrolled: 1-line block ×6, first 2 shown]
	s_wait_dscnt 0xc
	v_dual_add_f32 v31, v31, v43 :: v_dual_add_f32 v0, v0, v10
	s_wait_dscnt 0xa
	v_dual_add_f32 v10, v1, v35 :: v_dual_add_f32 v35, v2, v36
	s_wait_dscnt 0x8
	v_dual_add_f32 v36, v3, v37 :: v_dual_add_f32 v37, v4, v38
	s_wait_dscnt 0x6
	v_dual_add_f32 v38, v5, v39 :: v_dual_add_f32 v39, v6, v40
	ds_bpermute_b32 v1, v11, v0
	ds_bpermute_b32 v4, v11, v36
	;; [unrolled: 1-line block ×4, first 2 shown]
	s_wait_dscnt 0x9
	v_add_f32_e32 v30, v30, v33
	ds_bpermute_b32 v33, v13, v27
	s_wait_dscnt 0x7
	v_add_f32_e32 v45, v8, v45
	ds_bpermute_b32 v6, v11, v38
	v_add_f32_e32 v32, v32, v42
	s_wait_dscnt 0x7
	v_dual_add_f32 v40, v7, v41 :: v_dual_add_f32 v29, v29, v34
	ds_bpermute_b32 v2, v11, v10
	ds_bpermute_b32 v7, v11, v39
	ds_bpermute_b32 v34, v12, v32
	ds_bpermute_b32 v42, v12, v31
	v_add_f32_e32 v28, v28, v44
	s_wait_dscnt 0xa
	v_add_f32_e32 v46, v9, v46
	ds_bpermute_b32 v41, v11, v40
	ds_bpermute_b32 v44, v12, v29
	ds_bpermute_b32 v9, v11, v45
	s_wait_dscnt 0xc
	v_add_f32_e32 v1, v0, v1
	s_wait_dscnt 0xb
	v_add_f32_e32 v4, v36, v4
	ds_bpermute_b32 v0, v13, v26
	ds_bpermute_b32 v36, v13, v25
	s_wait_dscnt 0xc
	v_add_f32_e32 v3, v35, v3
	s_wait_dscnt 0xb
	v_add_f32_e32 v5, v37, v5
	ds_bpermute_b32 v35, v12, v28
	s_wait_dscnt 0xa
	v_dual_add_f32 v6, v38, v6 :: v_dual_add_f32 v27, v27, v33
	ds_bpermute_b32 v33, v13, v24
	ds_bpermute_b32 v43, v12, v30
	s_wait_dscnt 0xa
	v_dual_add_f32 v2, v10, v2 :: v_dual_add_f32 v7, v39, v7
	s_wait_dscnt 0x9
	v_add_f32_e32 v32, v32, v34
	ds_bpermute_b32 v37, v13, v23
	ds_bpermute_b32 v39, v12, v27
	s_wait_dscnt 0x9
	v_dual_add_f32 v31, v31, v42 :: v_dual_add_f32 v8, v40, v41
	s_wait_dscnt 0x8
	v_add_f32_e32 v29, v29, v44
	ds_bpermute_b32 v41, v13, v22
	ds_bpermute_b32 v42, v13, v21
	;; [unrolled: 1-line block ×3, first 2 shown]
	s_wait_dscnt 0x9
	v_add_f32_e32 v0, v26, v0
	ds_bpermute_b32 v26, v13, v18
	s_wait_dscnt 0x9
	v_add_f32_e32 v25, v25, v36
	ds_bpermute_b32 v10, v11, v46
	;; [unrolled: 3-line block ×3, first 2 shown]
	ds_bpermute_b32 v38, v11, v31
	s_wait_dscnt 0xa
	v_add_f32_e32 v24, v24, v33
	ds_bpermute_b32 v33, v12, v25
	s_wait_dscnt 0xa
	v_add_f32_e32 v30, v30, v43
	ds_bpermute_b32 v43, v13, v20
	ds_bpermute_b32 v13, v13, v15
	s_wait_dscnt 0xb
	v_add_f32_e32 v23, v23, v37
	s_wait_dscnt 0xa
	v_add_f32_e32 v27, v27, v39
	ds_bpermute_b32 v36, v12, v0
	ds_bpermute_b32 v34, v11, v32
	;; [unrolled: 1-line block ×3, first 2 shown]
	s_wait_dscnt 0xc
	v_add_f32_e32 v22, v22, v41
	ds_bpermute_b32 v41, v12, v23
	s_wait_dscnt 0xb
	v_add_f32_e32 v19, v19, v44
	ds_bpermute_b32 v39, v12, v24
	s_wait_dscnt 0xb
	v_add_f32_e32 v18, v18, v26
	v_dual_add_f32 v21, v21, v42 :: v_dual_add_f32 v16, v16, v48
	ds_bpermute_b32 v44, v12, v19
	s_wait_dscnt 0xa
	v_add_f32_e32 v17, v17, v35
	ds_bpermute_b32 v42, v12, v22
	ds_bpermute_b32 v26, v12, v21
	s_wait_dscnt 0xa
	v_add_f32_e32 v25, v25, v33
	ds_bpermute_b32 v35, v12, v18
	s_wait_dscnt 0x9
	v_dual_add_f32 v20, v20, v43 :: v_dual_add_f32 v13, v15, v13
	ds_bpermute_b32 v15, v12, v17
	ds_bpermute_b32 v47, v11, v29
	s_wait_dscnt 0xa
	v_add_f32_e32 v0, v0, v36
	ds_bpermute_b32 v43, v12, v20
	ds_bpermute_b32 v36, v11, v27
	;; [unrolled: 1-line block ×3, first 2 shown]
	s_wait_dscnt 0xa
	v_add_f32_e32 v23, v23, v41
	ds_bpermute_b32 v33, v12, v16
	ds_bpermute_b32 v12, v12, v13
	s_wait_dscnt 0xb
	v_add_f32_e32 v24, v24, v39
	ds_bpermute_b32 v41, v11, v25
	v_dual_add_f32 v9, v45, v9 :: v_dual_add_f32 v10, v46, v10
	s_wait_dscnt 0xb
	v_add_f32_e32 v44, v19, v44
	s_wait_dscnt 0xa
	v_add_f32_e32 v22, v22, v42
	;; [unrolled: 2-line block ×3, first 2 shown]
	ds_bpermute_b32 v42, v11, v23
	s_wait_dscnt 0x9
	v_add_f32_e32 v35, v18, v35
	ds_bpermute_b32 v39, v11, v0
	s_wait_dscnt 0x9
	v_add_f32_e32 v53, v17, v15
	ds_bpermute_b32 v52, v11, v44
	ds_bpermute_b32 v54, v11, v35
	s_wait_dscnt 0x9
	v_add_f32_e32 v43, v20, v43
	s_wait_dscnt 0x8
	v_add_f32_e32 v17, v27, v36
	ds_bpermute_b32 v49, v11, v22
	ds_bpermute_b32 v45, v11, v53
	s_wait_dscnt 0x8
	v_add_f32_e32 v33, v16, v33
	s_wait_dscnt 0x7
	v_add_f32_e32 v55, v13, v12
	ds_bpermute_b32 v48, v11, v24
	ds_bpermute_b32 v50, v11, v26
	ds_bpermute_b32 v51, v11, v43
	ds_bpermute_b32 v46, v11, v33
	ds_bpermute_b32 v56, v11, v55
	v_dual_add_f32 v12, v31, v38 :: v_dual_add_f32 v13, v30, v40
	v_add_f32_e32 v11, v32, v34
	v_dual_add_f32 v15, v29, v47 :: v_dual_add_f32 v16, v28, v37
	s_wait_dscnt 0x9
	v_add_f32_e32 v18, v0, v39
	scratch_load_b32 v0, off, off offset:4 th:TH_LOAD_LU ; 4-byte Folded Reload
	v_add_f32_e32 v19, v25, v41
	v_add_f32_e32 v21, v23, v42
	s_wait_dscnt 0x8
	v_add_f32_e32 v25, v44, v52
	v_mul_u32_u24_e32 v32, 0x1c0, v166
	s_wait_dscnt 0x6
	v_add_f32_e32 v22, v22, v49
	s_wait_dscnt 0x5
	v_add_f32_e32 v27, v53, v45
	s_wait_storecnt 0x0
	s_wait_loadcnt_dscnt 0x0
	s_barrier_signal -1
	v_dual_add_f32 v20, v24, v48 :: v_dual_add_f32 v23, v26, v50
	v_add_f32_e32 v24, v43, v51
	v_add_f32_e32 v26, v35, v54
	v_dual_add_f32 v28, v33, v46 :: v_dual_add_f32 v29, v55, v56
	s_barrier_wait -1
	global_inv scope:SCOPE_SE
	v_lshrrev_b32_e32 v31, 3, v0
	v_and_b32_e32 v0, 0x3c7, v165
	s_delay_alu instid0(VALU_DEP_2) | instskip(NEXT) | instid1(VALU_DEP_2)
	v_lshl_add_u32 v30, v31, 2, 0x1e0
	v_cmpx_eq_u32_e32 64, v0
	s_cbranch_execz .LBB229_98
; %bb.97:
	s_delay_alu instid0(VALU_DEP_2) | instskip(NEXT) | instid1(VALU_DEP_1)
	v_add_nc_u32_e32 v0, v30, v32
	v_add_nc_u32_e32 v14, 0xfffffc80, v0
	v_add_nc_u32_e32 v33, 0xfffffc90, v0
	v_add_nc_u32_e32 v34, 0xfffffca0, v0
	v_add_nc_u32_e32 v35, 0xfffffcb0, v0
	v_add_nc_u32_e32 v36, 0xfffffcc0, v0
	v_add_nc_u32_e32 v37, 0xfffffcd0, v0
	v_add_nc_u32_e32 v38, 0xfffffce0, v0
	v_add_nc_u32_e32 v39, 0xfffffcf0, v0
	ds_store_b32 v14, v1
	ds_store_b32 v33, v2
	;; [unrolled: 1-line block ×8, first 2 shown]
	v_add_nc_u32_e32 v14, 0xfffffd00, v0
	v_add_nc_u32_e32 v33, 0xfffffd10, v0
	v_add_nc_u32_e32 v34, 0xfffffd20, v0
	v_add_nc_u32_e32 v35, 0xfffffd30, v0
	v_add_nc_u32_e32 v36, 0xfffffd40, v0
	v_add_nc_u32_e32 v37, 0xfffffd50, v0
	v_add_nc_u32_e32 v38, 0xfffffd60, v0
	v_add_nc_u32_e32 v39, 0xfffffd70, v0
	ds_store_b32 v14, v9
	ds_store_b32 v33, v10
	;; [unrolled: 1-line block ×8, first 2 shown]
	v_add_nc_u32_e32 v14, 0xfffffd80, v0
	v_add_nc_u32_e32 v33, 0xfffffd90, v0
	;; [unrolled: 1-line block ×12, first 2 shown]
	ds_store_b32 v14, v18
	ds_store_b32 v33, v19
	ds_store_b32 v34, v20
	ds_store_b32 v35, v21
	ds_store_b32 v36, v22
	ds_store_b32 v37, v23
	ds_store_b32 v38, v24
	ds_store_b32 v39, v25
	ds_store_b32 v40, v26
	ds_store_b32 v41, v27
	ds_store_b32 v42, v28
	ds_store_b32 v0, v29
.LBB229_98:
	s_wait_alu 0xfffe
	s_or_b32 exec_lo, exec_lo, s0
	v_lshlrev_b32_e32 v0, 2, v31
	s_mov_b32 s1, exec_lo
	v_cmp_eq_u32_e32 vcc_lo, 0, v129
	s_wait_loadcnt_dscnt 0x0
	s_barrier_signal -1
	v_add3_u32 v14, 0x1e0, v32, v0
	s_barrier_wait -1
	global_inv scope:SCOPE_SE
	v_cmpx_gt_u32_e32 64, v165
	s_cbranch_execz .LBB229_129
; %bb.99:
	s_and_saveexec_b32 s0, vcc_lo
	s_cbranch_execnz .LBB229_165
; %bb.100:
	s_wait_alu 0xfffe
	s_or_b32 exec_lo, exec_lo, s0
	s_and_saveexec_b32 s0, vcc_lo
	s_cbranch_execnz .LBB229_166
.LBB229_101:
	s_wait_alu 0xfffe
	s_or_b32 exec_lo, exec_lo, s0
	s_and_saveexec_b32 s0, vcc_lo
	s_cbranch_execnz .LBB229_167
.LBB229_102:
	s_wait_alu 0xfffe
	s_or_b32 exec_lo, exec_lo, s0
	s_and_saveexec_b32 s0, vcc_lo
	s_cbranch_execnz .LBB229_168
.LBB229_103:
	s_wait_alu 0xfffe
	s_or_b32 exec_lo, exec_lo, s0
	s_and_saveexec_b32 s0, vcc_lo
	s_cbranch_execnz .LBB229_169
.LBB229_104:
	s_wait_alu 0xfffe
	s_or_b32 exec_lo, exec_lo, s0
	s_and_saveexec_b32 s0, vcc_lo
	s_cbranch_execnz .LBB229_170
.LBB229_105:
	s_wait_alu 0xfffe
	s_or_b32 exec_lo, exec_lo, s0
	s_and_saveexec_b32 s0, vcc_lo
	s_cbranch_execnz .LBB229_171
.LBB229_106:
	s_wait_alu 0xfffe
	s_or_b32 exec_lo, exec_lo, s0
	s_and_saveexec_b32 s0, vcc_lo
	s_cbranch_execnz .LBB229_172
.LBB229_107:
	s_wait_alu 0xfffe
	s_or_b32 exec_lo, exec_lo, s0
	s_and_saveexec_b32 s0, vcc_lo
	s_cbranch_execnz .LBB229_173
.LBB229_108:
	s_wait_alu 0xfffe
	s_or_b32 exec_lo, exec_lo, s0
	s_and_saveexec_b32 s0, vcc_lo
	s_cbranch_execnz .LBB229_174
.LBB229_109:
	s_wait_alu 0xfffe
	s_or_b32 exec_lo, exec_lo, s0
	s_and_saveexec_b32 s0, vcc_lo
	s_cbranch_execnz .LBB229_175
.LBB229_110:
	s_wait_alu 0xfffe
	s_or_b32 exec_lo, exec_lo, s0
	s_and_saveexec_b32 s0, vcc_lo
	s_cbranch_execnz .LBB229_176
.LBB229_111:
	s_wait_alu 0xfffe
	s_or_b32 exec_lo, exec_lo, s0
	s_and_saveexec_b32 s0, vcc_lo
	s_cbranch_execnz .LBB229_177
.LBB229_112:
	s_wait_alu 0xfffe
	s_or_b32 exec_lo, exec_lo, s0
	s_and_saveexec_b32 s0, vcc_lo
	s_cbranch_execnz .LBB229_178
.LBB229_113:
	s_wait_alu 0xfffe
	s_or_b32 exec_lo, exec_lo, s0
	s_and_saveexec_b32 s0, vcc_lo
	s_cbranch_execnz .LBB229_179
.LBB229_114:
	s_wait_alu 0xfffe
	s_or_b32 exec_lo, exec_lo, s0
	s_and_saveexec_b32 s0, vcc_lo
	s_cbranch_execnz .LBB229_180
.LBB229_115:
	s_wait_alu 0xfffe
	s_or_b32 exec_lo, exec_lo, s0
	s_and_saveexec_b32 s0, vcc_lo
	s_cbranch_execnz .LBB229_181
.LBB229_116:
	s_wait_alu 0xfffe
	s_or_b32 exec_lo, exec_lo, s0
	s_and_saveexec_b32 s0, vcc_lo
	s_cbranch_execnz .LBB229_182
.LBB229_117:
	s_wait_alu 0xfffe
	s_or_b32 exec_lo, exec_lo, s0
	s_and_saveexec_b32 s0, vcc_lo
	s_cbranch_execnz .LBB229_183
.LBB229_118:
	s_wait_alu 0xfffe
	s_or_b32 exec_lo, exec_lo, s0
	s_and_saveexec_b32 s0, vcc_lo
	s_cbranch_execnz .LBB229_184
.LBB229_119:
	s_wait_alu 0xfffe
	s_or_b32 exec_lo, exec_lo, s0
	s_and_saveexec_b32 s0, vcc_lo
	s_cbranch_execnz .LBB229_185
.LBB229_120:
	s_wait_alu 0xfffe
	s_or_b32 exec_lo, exec_lo, s0
	s_and_saveexec_b32 s0, vcc_lo
	s_cbranch_execnz .LBB229_186
.LBB229_121:
	s_wait_alu 0xfffe
	s_or_b32 exec_lo, exec_lo, s0
	s_and_saveexec_b32 s0, vcc_lo
	s_cbranch_execnz .LBB229_187
.LBB229_122:
	s_wait_alu 0xfffe
	s_or_b32 exec_lo, exec_lo, s0
	s_and_saveexec_b32 s0, vcc_lo
	s_cbranch_execnz .LBB229_188
.LBB229_123:
	s_wait_alu 0xfffe
	s_or_b32 exec_lo, exec_lo, s0
	s_and_saveexec_b32 s0, vcc_lo
	s_cbranch_execnz .LBB229_189
.LBB229_124:
	s_wait_alu 0xfffe
	s_or_b32 exec_lo, exec_lo, s0
	s_and_saveexec_b32 s0, vcc_lo
	s_cbranch_execnz .LBB229_190
.LBB229_125:
	s_wait_alu 0xfffe
	s_or_b32 exec_lo, exec_lo, s0
	s_and_saveexec_b32 s0, vcc_lo
	s_cbranch_execnz .LBB229_191
.LBB229_126:
	s_wait_alu 0xfffe
	s_or_b32 exec_lo, exec_lo, s0
	s_and_saveexec_b32 s0, vcc_lo
	s_cbranch_execz .LBB229_128
.LBB229_127:
	ds_load_b32 v0, v14 offset:432
	s_wait_dscnt 0x0
	v_add_f32_e32 v29, v29, v0
.LBB229_128:
	s_wait_alu 0xfffe
	s_or_b32 exec_lo, exec_lo, s0
.LBB229_129:
	s_wait_alu 0xfffe
	s_or_b32 exec_lo, exec_lo, s1
	v_and_b32_e32 v31, 0x3e7, v165
	s_mov_b32 s1, exec_lo
	s_wait_loadcnt 0x0
	s_barrier_signal -1
	s_barrier_wait -1
	global_inv scope:SCOPE_SE
	v_cmpx_eq_u32_e32 32, v31
	s_cbranch_execz .LBB229_131
; %bb.130:
	ds_store_2addr_b32 v30, v1, v2 offset1:4
	ds_store_2addr_b32 v30, v3, v4 offset0:8 offset1:12
	ds_store_2addr_b32 v30, v5, v6 offset0:16 offset1:20
	ds_store_2addr_b32 v30, v7, v8 offset0:24 offset1:28
	ds_store_2addr_b32 v30, v9, v10 offset0:32 offset1:36
	ds_store_2addr_b32 v30, v11, v12 offset0:40 offset1:44
	ds_store_2addr_b32 v30, v13, v15 offset0:48 offset1:52
	ds_store_2addr_b32 v30, v16, v17 offset0:56 offset1:60
	ds_store_2addr_b32 v30, v18, v19 offset0:64 offset1:68
	ds_store_2addr_b32 v30, v20, v21 offset0:72 offset1:76
	ds_store_2addr_b32 v30, v22, v23 offset0:80 offset1:84
	ds_store_2addr_b32 v30, v24, v25 offset0:88 offset1:92
	ds_store_2addr_b32 v30, v26, v27 offset0:96 offset1:100
	ds_store_2addr_b32 v30, v28, v29 offset0:104 offset1:108
.LBB229_131:
	s_wait_alu 0xfffe
	s_or_b32 exec_lo, exec_lo, s1
	s_delay_alu instid0(SALU_CYCLE_1)
	s_mov_b32 s1, exec_lo
	s_wait_loadcnt_dscnt 0x0
	s_barrier_signal -1
	s_barrier_wait -1
	global_inv scope:SCOPE_SE
	v_cmpx_gt_u32_e32 32, v165
	s_cbranch_execz .LBB229_162
; %bb.132:
	s_and_saveexec_b32 s0, vcc_lo
	s_cbranch_execnz .LBB229_192
; %bb.133:
	s_wait_alu 0xfffe
	s_or_b32 exec_lo, exec_lo, s0
	s_and_saveexec_b32 s0, vcc_lo
	s_cbranch_execnz .LBB229_193
.LBB229_134:
	s_wait_alu 0xfffe
	s_or_b32 exec_lo, exec_lo, s0
	s_and_saveexec_b32 s0, vcc_lo
	s_cbranch_execnz .LBB229_194
.LBB229_135:
	s_wait_alu 0xfffe
	s_or_b32 exec_lo, exec_lo, s0
	s_and_saveexec_b32 s0, vcc_lo
	s_cbranch_execnz .LBB229_195
.LBB229_136:
	s_wait_alu 0xfffe
	s_or_b32 exec_lo, exec_lo, s0
	s_and_saveexec_b32 s0, vcc_lo
	s_cbranch_execnz .LBB229_196
.LBB229_137:
	s_wait_alu 0xfffe
	s_or_b32 exec_lo, exec_lo, s0
	s_and_saveexec_b32 s0, vcc_lo
	s_cbranch_execnz .LBB229_197
.LBB229_138:
	s_wait_alu 0xfffe
	s_or_b32 exec_lo, exec_lo, s0
	s_and_saveexec_b32 s0, vcc_lo
	s_cbranch_execnz .LBB229_198
.LBB229_139:
	s_wait_alu 0xfffe
	s_or_b32 exec_lo, exec_lo, s0
	s_and_saveexec_b32 s0, vcc_lo
	s_cbranch_execnz .LBB229_199
.LBB229_140:
	s_wait_alu 0xfffe
	s_or_b32 exec_lo, exec_lo, s0
	s_and_saveexec_b32 s0, vcc_lo
	s_cbranch_execnz .LBB229_200
.LBB229_141:
	s_wait_alu 0xfffe
	s_or_b32 exec_lo, exec_lo, s0
	s_and_saveexec_b32 s0, vcc_lo
	s_cbranch_execnz .LBB229_201
.LBB229_142:
	s_wait_alu 0xfffe
	s_or_b32 exec_lo, exec_lo, s0
	s_and_saveexec_b32 s0, vcc_lo
	s_cbranch_execnz .LBB229_202
.LBB229_143:
	s_wait_alu 0xfffe
	s_or_b32 exec_lo, exec_lo, s0
	s_and_saveexec_b32 s0, vcc_lo
	s_cbranch_execnz .LBB229_203
.LBB229_144:
	s_wait_alu 0xfffe
	s_or_b32 exec_lo, exec_lo, s0
	s_and_saveexec_b32 s0, vcc_lo
	s_cbranch_execnz .LBB229_204
.LBB229_145:
	s_wait_alu 0xfffe
	s_or_b32 exec_lo, exec_lo, s0
	s_and_saveexec_b32 s0, vcc_lo
	s_cbranch_execnz .LBB229_205
.LBB229_146:
	s_wait_alu 0xfffe
	s_or_b32 exec_lo, exec_lo, s0
	s_and_saveexec_b32 s0, vcc_lo
	s_cbranch_execnz .LBB229_206
.LBB229_147:
	s_wait_alu 0xfffe
	s_or_b32 exec_lo, exec_lo, s0
	s_and_saveexec_b32 s0, vcc_lo
	s_cbranch_execnz .LBB229_207
.LBB229_148:
	s_wait_alu 0xfffe
	s_or_b32 exec_lo, exec_lo, s0
	s_and_saveexec_b32 s0, vcc_lo
	s_cbranch_execnz .LBB229_208
.LBB229_149:
	s_wait_alu 0xfffe
	s_or_b32 exec_lo, exec_lo, s0
	s_and_saveexec_b32 s0, vcc_lo
	s_cbranch_execnz .LBB229_209
.LBB229_150:
	s_wait_alu 0xfffe
	s_or_b32 exec_lo, exec_lo, s0
	s_and_saveexec_b32 s0, vcc_lo
	s_cbranch_execnz .LBB229_210
.LBB229_151:
	s_wait_alu 0xfffe
	s_or_b32 exec_lo, exec_lo, s0
	s_and_saveexec_b32 s0, vcc_lo
	s_cbranch_execnz .LBB229_211
.LBB229_152:
	s_wait_alu 0xfffe
	s_or_b32 exec_lo, exec_lo, s0
	s_and_saveexec_b32 s0, vcc_lo
	s_cbranch_execnz .LBB229_212
.LBB229_153:
	s_wait_alu 0xfffe
	s_or_b32 exec_lo, exec_lo, s0
	s_and_saveexec_b32 s0, vcc_lo
	s_cbranch_execnz .LBB229_213
.LBB229_154:
	s_wait_alu 0xfffe
	s_or_b32 exec_lo, exec_lo, s0
	s_and_saveexec_b32 s0, vcc_lo
	s_cbranch_execnz .LBB229_214
.LBB229_155:
	s_wait_alu 0xfffe
	s_or_b32 exec_lo, exec_lo, s0
	s_and_saveexec_b32 s0, vcc_lo
	s_cbranch_execnz .LBB229_215
.LBB229_156:
	s_wait_alu 0xfffe
	s_or_b32 exec_lo, exec_lo, s0
	s_and_saveexec_b32 s0, vcc_lo
	s_cbranch_execnz .LBB229_216
.LBB229_157:
	s_wait_alu 0xfffe
	s_or_b32 exec_lo, exec_lo, s0
	s_and_saveexec_b32 s0, vcc_lo
	s_cbranch_execnz .LBB229_217
.LBB229_158:
	s_wait_alu 0xfffe
	s_or_b32 exec_lo, exec_lo, s0
	s_and_saveexec_b32 s0, vcc_lo
	s_cbranch_execnz .LBB229_218
.LBB229_159:
	s_wait_alu 0xfffe
	s_or_b32 exec_lo, exec_lo, s0
	s_and_saveexec_b32 s0, vcc_lo
	s_cbranch_execz .LBB229_161
.LBB229_160:
	ds_load_b32 v0, v14 offset:432
	s_wait_dscnt 0x0
	v_add_f32_e32 v29, v29, v0
.LBB229_161:
	s_wait_alu 0xfffe
	s_or_b32 exec_lo, exec_lo, s0
.LBB229_162:
	s_wait_alu 0xfffe
	s_or_b32 exec_lo, exec_lo, s1
	s_mov_b32 s1, 0
	s_wait_loadcnt 0x0
	s_barrier_signal -1
	s_barrier_wait -1
	global_inv scope:SCOPE_SE
	s_mov_b32 s0, exec_lo
	v_cmpx_eq_u32_e32 0, v31
	s_cbranch_execz .LBB229_164
; %bb.163:
	s_mul_i32 s2, s18, 0x70
	s_mul_i32 s4, s7, s20
	s_wait_alu 0xfffe
	s_ashr_i32 s3, s2, 31
	s_ashr_i32 s5, s4, 31
	s_wait_alu 0xfffe
	s_lshl_b64 s[2:3], s[2:3], 2
	s_lshl_b64 s[4:5], s[4:5], 2
	s_wait_kmcnt 0x0
	s_wait_alu 0xfffe
	s_add_nc_u64 s[2:3], s[8:9], s[2:3]
	v_lshrrev_b32_e32 v0, 1, v165
	s_mul_i32 s0, s33, 0x1c0
	s_wait_alu 0xfffe
	s_add_nc_u64 s[2:3], s[2:3], s[4:5]
	s_wait_alu 0xfffe
	s_add_nc_u64 s[0:1], s[2:3], s[0:1]
	s_clause 0x1b
	global_store_b32 v0, v1, s[0:1]
	global_store_b32 v0, v2, s[0:1] offset:16
	global_store_b32 v0, v3, s[0:1] offset:32
	;; [unrolled: 1-line block ×27, first 2 shown]
.LBB229_164:
	s_nop 0
	s_sendmsg sendmsg(MSG_DEALLOC_VGPRS)
	s_endpgm
.LBB229_165:
	ds_load_b32 v0, v14
	s_wait_dscnt 0x0
	v_add_f32_e32 v1, v1, v0
	s_wait_alu 0xfffe
	s_or_b32 exec_lo, exec_lo, s0
	s_and_saveexec_b32 s0, vcc_lo
	s_cbranch_execz .LBB229_101
.LBB229_166:
	ds_load_b32 v0, v14 offset:16
	s_wait_dscnt 0x0
	v_add_f32_e32 v2, v2, v0
	s_wait_alu 0xfffe
	s_or_b32 exec_lo, exec_lo, s0
	s_and_saveexec_b32 s0, vcc_lo
	s_cbranch_execz .LBB229_102
.LBB229_167:
	ds_load_b32 v0, v14 offset:32
	s_wait_dscnt 0x0
	v_add_f32_e32 v3, v3, v0
	s_wait_alu 0xfffe
	s_or_b32 exec_lo, exec_lo, s0
	s_and_saveexec_b32 s0, vcc_lo
	s_cbranch_execz .LBB229_103
.LBB229_168:
	ds_load_b32 v0, v14 offset:48
	s_wait_dscnt 0x0
	v_add_f32_e32 v4, v4, v0
	s_wait_alu 0xfffe
	s_or_b32 exec_lo, exec_lo, s0
	s_and_saveexec_b32 s0, vcc_lo
	s_cbranch_execz .LBB229_104
.LBB229_169:
	ds_load_b32 v0, v14 offset:64
	s_wait_dscnt 0x0
	v_add_f32_e32 v5, v5, v0
	s_wait_alu 0xfffe
	s_or_b32 exec_lo, exec_lo, s0
	s_and_saveexec_b32 s0, vcc_lo
	s_cbranch_execz .LBB229_105
.LBB229_170:
	ds_load_b32 v0, v14 offset:80
	s_wait_dscnt 0x0
	v_add_f32_e32 v6, v6, v0
	s_wait_alu 0xfffe
	s_or_b32 exec_lo, exec_lo, s0
	s_and_saveexec_b32 s0, vcc_lo
	s_cbranch_execz .LBB229_106
.LBB229_171:
	ds_load_b32 v0, v14 offset:96
	s_wait_dscnt 0x0
	v_add_f32_e32 v7, v7, v0
	s_wait_alu 0xfffe
	s_or_b32 exec_lo, exec_lo, s0
	s_and_saveexec_b32 s0, vcc_lo
	s_cbranch_execz .LBB229_107
.LBB229_172:
	ds_load_b32 v0, v14 offset:112
	s_wait_dscnt 0x0
	v_add_f32_e32 v8, v8, v0
	s_wait_alu 0xfffe
	s_or_b32 exec_lo, exec_lo, s0
	s_and_saveexec_b32 s0, vcc_lo
	s_cbranch_execz .LBB229_108
.LBB229_173:
	ds_load_b32 v0, v14 offset:128
	s_wait_dscnt 0x0
	v_add_f32_e32 v9, v9, v0
	s_wait_alu 0xfffe
	s_or_b32 exec_lo, exec_lo, s0
	s_and_saveexec_b32 s0, vcc_lo
	s_cbranch_execz .LBB229_109
.LBB229_174:
	ds_load_b32 v0, v14 offset:144
	s_wait_dscnt 0x0
	v_add_f32_e32 v10, v10, v0
	s_wait_alu 0xfffe
	s_or_b32 exec_lo, exec_lo, s0
	s_and_saveexec_b32 s0, vcc_lo
	s_cbranch_execz .LBB229_110
.LBB229_175:
	ds_load_b32 v0, v14 offset:160
	s_wait_dscnt 0x0
	v_add_f32_e32 v11, v11, v0
	s_wait_alu 0xfffe
	s_or_b32 exec_lo, exec_lo, s0
	s_and_saveexec_b32 s0, vcc_lo
	s_cbranch_execz .LBB229_111
.LBB229_176:
	ds_load_b32 v0, v14 offset:176
	s_wait_dscnt 0x0
	v_add_f32_e32 v12, v12, v0
	s_wait_alu 0xfffe
	s_or_b32 exec_lo, exec_lo, s0
	s_and_saveexec_b32 s0, vcc_lo
	s_cbranch_execz .LBB229_112
.LBB229_177:
	ds_load_b32 v0, v14 offset:192
	s_wait_dscnt 0x0
	v_add_f32_e32 v13, v13, v0
	s_wait_alu 0xfffe
	s_or_b32 exec_lo, exec_lo, s0
	s_and_saveexec_b32 s0, vcc_lo
	s_cbranch_execz .LBB229_113
.LBB229_178:
	ds_load_b32 v0, v14 offset:208
	s_wait_dscnt 0x0
	v_add_f32_e32 v15, v15, v0
	s_wait_alu 0xfffe
	s_or_b32 exec_lo, exec_lo, s0
	s_and_saveexec_b32 s0, vcc_lo
	s_cbranch_execz .LBB229_114
.LBB229_179:
	ds_load_b32 v0, v14 offset:224
	s_wait_dscnt 0x0
	v_add_f32_e32 v16, v16, v0
	s_wait_alu 0xfffe
	s_or_b32 exec_lo, exec_lo, s0
	s_and_saveexec_b32 s0, vcc_lo
	s_cbranch_execz .LBB229_115
.LBB229_180:
	ds_load_b32 v0, v14 offset:240
	s_wait_dscnt 0x0
	v_add_f32_e32 v17, v17, v0
	s_wait_alu 0xfffe
	s_or_b32 exec_lo, exec_lo, s0
	s_and_saveexec_b32 s0, vcc_lo
	s_cbranch_execz .LBB229_116
.LBB229_181:
	ds_load_b32 v0, v14 offset:256
	s_wait_dscnt 0x0
	v_add_f32_e32 v18, v18, v0
	s_wait_alu 0xfffe
	s_or_b32 exec_lo, exec_lo, s0
	s_and_saveexec_b32 s0, vcc_lo
	s_cbranch_execz .LBB229_117
.LBB229_182:
	ds_load_b32 v0, v14 offset:272
	s_wait_dscnt 0x0
	v_add_f32_e32 v19, v19, v0
	s_wait_alu 0xfffe
	s_or_b32 exec_lo, exec_lo, s0
	s_and_saveexec_b32 s0, vcc_lo
	s_cbranch_execz .LBB229_118
.LBB229_183:
	ds_load_b32 v0, v14 offset:288
	s_wait_dscnt 0x0
	v_add_f32_e32 v20, v20, v0
	s_wait_alu 0xfffe
	s_or_b32 exec_lo, exec_lo, s0
	s_and_saveexec_b32 s0, vcc_lo
	s_cbranch_execz .LBB229_119
.LBB229_184:
	ds_load_b32 v0, v14 offset:304
	s_wait_dscnt 0x0
	v_add_f32_e32 v21, v21, v0
	s_wait_alu 0xfffe
	s_or_b32 exec_lo, exec_lo, s0
	s_and_saveexec_b32 s0, vcc_lo
	s_cbranch_execz .LBB229_120
.LBB229_185:
	ds_load_b32 v0, v14 offset:320
	s_wait_dscnt 0x0
	v_add_f32_e32 v22, v22, v0
	s_wait_alu 0xfffe
	s_or_b32 exec_lo, exec_lo, s0
	s_and_saveexec_b32 s0, vcc_lo
	s_cbranch_execz .LBB229_121
.LBB229_186:
	ds_load_b32 v0, v14 offset:336
	s_wait_dscnt 0x0
	v_add_f32_e32 v23, v23, v0
	s_wait_alu 0xfffe
	s_or_b32 exec_lo, exec_lo, s0
	s_and_saveexec_b32 s0, vcc_lo
	s_cbranch_execz .LBB229_122
.LBB229_187:
	ds_load_b32 v0, v14 offset:352
	s_wait_dscnt 0x0
	v_add_f32_e32 v24, v24, v0
	s_wait_alu 0xfffe
	s_or_b32 exec_lo, exec_lo, s0
	s_and_saveexec_b32 s0, vcc_lo
	s_cbranch_execz .LBB229_123
.LBB229_188:
	ds_load_b32 v0, v14 offset:368
	s_wait_dscnt 0x0
	v_add_f32_e32 v25, v25, v0
	s_wait_alu 0xfffe
	s_or_b32 exec_lo, exec_lo, s0
	s_and_saveexec_b32 s0, vcc_lo
	s_cbranch_execz .LBB229_124
.LBB229_189:
	ds_load_b32 v0, v14 offset:384
	s_wait_dscnt 0x0
	v_add_f32_e32 v26, v26, v0
	s_wait_alu 0xfffe
	s_or_b32 exec_lo, exec_lo, s0
	s_and_saveexec_b32 s0, vcc_lo
	s_cbranch_execz .LBB229_125
.LBB229_190:
	ds_load_b32 v0, v14 offset:400
	s_wait_dscnt 0x0
	v_add_f32_e32 v27, v27, v0
	s_wait_alu 0xfffe
	s_or_b32 exec_lo, exec_lo, s0
	s_and_saveexec_b32 s0, vcc_lo
	s_cbranch_execz .LBB229_126
.LBB229_191:
	ds_load_b32 v0, v14 offset:416
	s_wait_dscnt 0x0
	v_add_f32_e32 v28, v28, v0
	s_wait_alu 0xfffe
	s_or_b32 exec_lo, exec_lo, s0
	s_and_saveexec_b32 s0, vcc_lo
	s_cbranch_execnz .LBB229_127
	s_branch .LBB229_128
.LBB229_192:
	ds_load_b32 v0, v14
	s_wait_dscnt 0x0
	v_add_f32_e32 v1, v1, v0
	s_wait_alu 0xfffe
	s_or_b32 exec_lo, exec_lo, s0
	s_and_saveexec_b32 s0, vcc_lo
	s_cbranch_execz .LBB229_134
.LBB229_193:
	ds_load_b32 v0, v14 offset:16
	s_wait_dscnt 0x0
	v_add_f32_e32 v2, v2, v0
	s_wait_alu 0xfffe
	s_or_b32 exec_lo, exec_lo, s0
	s_and_saveexec_b32 s0, vcc_lo
	s_cbranch_execz .LBB229_135
.LBB229_194:
	ds_load_b32 v0, v14 offset:32
	s_wait_dscnt 0x0
	v_add_f32_e32 v3, v3, v0
	s_wait_alu 0xfffe
	s_or_b32 exec_lo, exec_lo, s0
	s_and_saveexec_b32 s0, vcc_lo
	s_cbranch_execz .LBB229_136
.LBB229_195:
	ds_load_b32 v0, v14 offset:48
	s_wait_dscnt 0x0
	v_add_f32_e32 v4, v4, v0
	s_wait_alu 0xfffe
	s_or_b32 exec_lo, exec_lo, s0
	s_and_saveexec_b32 s0, vcc_lo
	s_cbranch_execz .LBB229_137
.LBB229_196:
	ds_load_b32 v0, v14 offset:64
	s_wait_dscnt 0x0
	v_add_f32_e32 v5, v5, v0
	s_wait_alu 0xfffe
	s_or_b32 exec_lo, exec_lo, s0
	s_and_saveexec_b32 s0, vcc_lo
	s_cbranch_execz .LBB229_138
.LBB229_197:
	ds_load_b32 v0, v14 offset:80
	s_wait_dscnt 0x0
	v_add_f32_e32 v6, v6, v0
	s_wait_alu 0xfffe
	s_or_b32 exec_lo, exec_lo, s0
	s_and_saveexec_b32 s0, vcc_lo
	s_cbranch_execz .LBB229_139
.LBB229_198:
	ds_load_b32 v0, v14 offset:96
	s_wait_dscnt 0x0
	v_add_f32_e32 v7, v7, v0
	s_wait_alu 0xfffe
	s_or_b32 exec_lo, exec_lo, s0
	s_and_saveexec_b32 s0, vcc_lo
	s_cbranch_execz .LBB229_140
.LBB229_199:
	ds_load_b32 v0, v14 offset:112
	s_wait_dscnt 0x0
	v_add_f32_e32 v8, v8, v0
	s_wait_alu 0xfffe
	s_or_b32 exec_lo, exec_lo, s0
	s_and_saveexec_b32 s0, vcc_lo
	s_cbranch_execz .LBB229_141
.LBB229_200:
	ds_load_b32 v0, v14 offset:128
	s_wait_dscnt 0x0
	v_add_f32_e32 v9, v9, v0
	s_wait_alu 0xfffe
	s_or_b32 exec_lo, exec_lo, s0
	s_and_saveexec_b32 s0, vcc_lo
	s_cbranch_execz .LBB229_142
.LBB229_201:
	ds_load_b32 v0, v14 offset:144
	s_wait_dscnt 0x0
	v_add_f32_e32 v10, v10, v0
	s_wait_alu 0xfffe
	s_or_b32 exec_lo, exec_lo, s0
	s_and_saveexec_b32 s0, vcc_lo
	s_cbranch_execz .LBB229_143
.LBB229_202:
	ds_load_b32 v0, v14 offset:160
	s_wait_dscnt 0x0
	v_add_f32_e32 v11, v11, v0
	s_wait_alu 0xfffe
	s_or_b32 exec_lo, exec_lo, s0
	s_and_saveexec_b32 s0, vcc_lo
	s_cbranch_execz .LBB229_144
.LBB229_203:
	ds_load_b32 v0, v14 offset:176
	s_wait_dscnt 0x0
	v_add_f32_e32 v12, v12, v0
	s_wait_alu 0xfffe
	s_or_b32 exec_lo, exec_lo, s0
	s_and_saveexec_b32 s0, vcc_lo
	s_cbranch_execz .LBB229_145
.LBB229_204:
	ds_load_b32 v0, v14 offset:192
	s_wait_dscnt 0x0
	v_add_f32_e32 v13, v13, v0
	s_wait_alu 0xfffe
	s_or_b32 exec_lo, exec_lo, s0
	s_and_saveexec_b32 s0, vcc_lo
	s_cbranch_execz .LBB229_146
.LBB229_205:
	ds_load_b32 v0, v14 offset:208
	s_wait_dscnt 0x0
	v_add_f32_e32 v15, v15, v0
	s_wait_alu 0xfffe
	s_or_b32 exec_lo, exec_lo, s0
	s_and_saveexec_b32 s0, vcc_lo
	s_cbranch_execz .LBB229_147
.LBB229_206:
	ds_load_b32 v0, v14 offset:224
	s_wait_dscnt 0x0
	v_add_f32_e32 v16, v16, v0
	s_wait_alu 0xfffe
	s_or_b32 exec_lo, exec_lo, s0
	s_and_saveexec_b32 s0, vcc_lo
	s_cbranch_execz .LBB229_148
.LBB229_207:
	ds_load_b32 v0, v14 offset:240
	s_wait_dscnt 0x0
	v_add_f32_e32 v17, v17, v0
	s_wait_alu 0xfffe
	s_or_b32 exec_lo, exec_lo, s0
	s_and_saveexec_b32 s0, vcc_lo
	s_cbranch_execz .LBB229_149
.LBB229_208:
	ds_load_b32 v0, v14 offset:256
	s_wait_dscnt 0x0
	v_add_f32_e32 v18, v18, v0
	s_wait_alu 0xfffe
	s_or_b32 exec_lo, exec_lo, s0
	s_and_saveexec_b32 s0, vcc_lo
	s_cbranch_execz .LBB229_150
.LBB229_209:
	ds_load_b32 v0, v14 offset:272
	s_wait_dscnt 0x0
	v_add_f32_e32 v19, v19, v0
	s_wait_alu 0xfffe
	s_or_b32 exec_lo, exec_lo, s0
	s_and_saveexec_b32 s0, vcc_lo
	s_cbranch_execz .LBB229_151
.LBB229_210:
	ds_load_b32 v0, v14 offset:288
	s_wait_dscnt 0x0
	v_add_f32_e32 v20, v20, v0
	s_wait_alu 0xfffe
	s_or_b32 exec_lo, exec_lo, s0
	s_and_saveexec_b32 s0, vcc_lo
	s_cbranch_execz .LBB229_152
.LBB229_211:
	ds_load_b32 v0, v14 offset:304
	s_wait_dscnt 0x0
	v_add_f32_e32 v21, v21, v0
	s_wait_alu 0xfffe
	s_or_b32 exec_lo, exec_lo, s0
	s_and_saveexec_b32 s0, vcc_lo
	s_cbranch_execz .LBB229_153
.LBB229_212:
	ds_load_b32 v0, v14 offset:320
	s_wait_dscnt 0x0
	v_add_f32_e32 v22, v22, v0
	s_wait_alu 0xfffe
	s_or_b32 exec_lo, exec_lo, s0
	s_and_saveexec_b32 s0, vcc_lo
	s_cbranch_execz .LBB229_154
.LBB229_213:
	ds_load_b32 v0, v14 offset:336
	s_wait_dscnt 0x0
	v_add_f32_e32 v23, v23, v0
	s_wait_alu 0xfffe
	s_or_b32 exec_lo, exec_lo, s0
	s_and_saveexec_b32 s0, vcc_lo
	s_cbranch_execz .LBB229_155
.LBB229_214:
	ds_load_b32 v0, v14 offset:352
	s_wait_dscnt 0x0
	v_add_f32_e32 v24, v24, v0
	s_wait_alu 0xfffe
	s_or_b32 exec_lo, exec_lo, s0
	s_and_saveexec_b32 s0, vcc_lo
	s_cbranch_execz .LBB229_156
.LBB229_215:
	ds_load_b32 v0, v14 offset:368
	s_wait_dscnt 0x0
	v_add_f32_e32 v25, v25, v0
	s_wait_alu 0xfffe
	s_or_b32 exec_lo, exec_lo, s0
	s_and_saveexec_b32 s0, vcc_lo
	s_cbranch_execz .LBB229_157
.LBB229_216:
	ds_load_b32 v0, v14 offset:384
	s_wait_dscnt 0x0
	v_add_f32_e32 v26, v26, v0
	s_wait_alu 0xfffe
	s_or_b32 exec_lo, exec_lo, s0
	s_and_saveexec_b32 s0, vcc_lo
	s_cbranch_execz .LBB229_158
.LBB229_217:
	ds_load_b32 v0, v14 offset:400
	s_wait_dscnt 0x0
	v_add_f32_e32 v27, v27, v0
	s_wait_alu 0xfffe
	s_or_b32 exec_lo, exec_lo, s0
	s_and_saveexec_b32 s0, vcc_lo
	s_cbranch_execz .LBB229_159
.LBB229_218:
	ds_load_b32 v0, v14 offset:416
	s_wait_dscnt 0x0
	v_add_f32_e32 v28, v28, v0
	s_wait_alu 0xfffe
	s_or_b32 exec_lo, exec_lo, s0
	s_and_saveexec_b32 s0, vcc_lo
	s_cbranch_execnz .LBB229_160
	s_branch .LBB229_161
	.section	.rodata,"a",@progbits
	.p2align	6, 0x0
	.amdhsa_kernel _ZN4vllm25paged_attention_v2_kernelIfhLi112ELi32ELi128ELNS_18Fp8KVCacheDataTypeE1ELb1ELi512EEEvPfS2_PT_PKS3_PKT0_S9_ifPKiSB_iPKfiiiSD_SD_iiiii
		.amdhsa_group_segment_fixed_size 480
		.amdhsa_private_segment_fixed_size 148
		.amdhsa_kernarg_size 400
		.amdhsa_user_sgpr_count 2
		.amdhsa_user_sgpr_dispatch_ptr 0
		.amdhsa_user_sgpr_queue_ptr 0
		.amdhsa_user_sgpr_kernarg_segment_ptr 1
		.amdhsa_user_sgpr_dispatch_id 0
		.amdhsa_user_sgpr_private_segment_size 0
		.amdhsa_wavefront_size32 1
		.amdhsa_uses_dynamic_stack 0
		.amdhsa_enable_private_segment 1
		.amdhsa_system_sgpr_workgroup_id_x 1
		.amdhsa_system_sgpr_workgroup_id_y 1
		.amdhsa_system_sgpr_workgroup_id_z 1
		.amdhsa_system_sgpr_workgroup_info 0
		.amdhsa_system_vgpr_workitem_id 0
		.amdhsa_next_free_vgpr 192
		.amdhsa_next_free_sgpr 44
		.amdhsa_reserve_vcc 1
		.amdhsa_float_round_mode_32 0
		.amdhsa_float_round_mode_16_64 0
		.amdhsa_float_denorm_mode_32 3
		.amdhsa_float_denorm_mode_16_64 3
		.amdhsa_fp16_overflow 0
		.amdhsa_workgroup_processor_mode 1
		.amdhsa_memory_ordered 1
		.amdhsa_forward_progress 1
		.amdhsa_inst_pref_size 130
		.amdhsa_round_robin_scheduling 0
		.amdhsa_exception_fp_ieee_invalid_op 0
		.amdhsa_exception_fp_denorm_src 0
		.amdhsa_exception_fp_ieee_div_zero 0
		.amdhsa_exception_fp_ieee_overflow 0
		.amdhsa_exception_fp_ieee_underflow 0
		.amdhsa_exception_fp_ieee_inexact 0
		.amdhsa_exception_int_div_zero 0
	.end_amdhsa_kernel
	.section	.text._ZN4vllm25paged_attention_v2_kernelIfhLi112ELi32ELi128ELNS_18Fp8KVCacheDataTypeE1ELb1ELi512EEEvPfS2_PT_PKS3_PKT0_S9_ifPKiSB_iPKfiiiSD_SD_iiiii,"axG",@progbits,_ZN4vllm25paged_attention_v2_kernelIfhLi112ELi32ELi128ELNS_18Fp8KVCacheDataTypeE1ELb1ELi512EEEvPfS2_PT_PKS3_PKT0_S9_ifPKiSB_iPKfiiiSD_SD_iiiii,comdat
.Lfunc_end229:
	.size	_ZN4vllm25paged_attention_v2_kernelIfhLi112ELi32ELi128ELNS_18Fp8KVCacheDataTypeE1ELb1ELi512EEEvPfS2_PT_PKS3_PKT0_S9_ifPKiSB_iPKfiiiSD_SD_iiiii, .Lfunc_end229-_ZN4vllm25paged_attention_v2_kernelIfhLi112ELi32ELi128ELNS_18Fp8KVCacheDataTypeE1ELb1ELi512EEEvPfS2_PT_PKS3_PKT0_S9_ifPKiSB_iPKfiiiSD_SD_iiiii
                                        ; -- End function
	.set _ZN4vllm25paged_attention_v2_kernelIfhLi112ELi32ELi128ELNS_18Fp8KVCacheDataTypeE1ELb1ELi512EEEvPfS2_PT_PKS3_PKT0_S9_ifPKiSB_iPKfiiiSD_SD_iiiii.num_vgpr, 192
	.set _ZN4vllm25paged_attention_v2_kernelIfhLi112ELi32ELi128ELNS_18Fp8KVCacheDataTypeE1ELb1ELi512EEEvPfS2_PT_PKS3_PKT0_S9_ifPKiSB_iPKfiiiSD_SD_iiiii.num_agpr, 0
	.set _ZN4vllm25paged_attention_v2_kernelIfhLi112ELi32ELi128ELNS_18Fp8KVCacheDataTypeE1ELb1ELi512EEEvPfS2_PT_PKS3_PKT0_S9_ifPKiSB_iPKfiiiSD_SD_iiiii.numbered_sgpr, 44
	.set _ZN4vllm25paged_attention_v2_kernelIfhLi112ELi32ELi128ELNS_18Fp8KVCacheDataTypeE1ELb1ELi512EEEvPfS2_PT_PKS3_PKT0_S9_ifPKiSB_iPKfiiiSD_SD_iiiii.num_named_barrier, 0
	.set _ZN4vllm25paged_attention_v2_kernelIfhLi112ELi32ELi128ELNS_18Fp8KVCacheDataTypeE1ELb1ELi512EEEvPfS2_PT_PKS3_PKT0_S9_ifPKiSB_iPKfiiiSD_SD_iiiii.private_seg_size, 148
	.set _ZN4vllm25paged_attention_v2_kernelIfhLi112ELi32ELi128ELNS_18Fp8KVCacheDataTypeE1ELb1ELi512EEEvPfS2_PT_PKS3_PKT0_S9_ifPKiSB_iPKfiiiSD_SD_iiiii.uses_vcc, 1
	.set _ZN4vllm25paged_attention_v2_kernelIfhLi112ELi32ELi128ELNS_18Fp8KVCacheDataTypeE1ELb1ELi512EEEvPfS2_PT_PKS3_PKT0_S9_ifPKiSB_iPKfiiiSD_SD_iiiii.uses_flat_scratch, 1
	.set _ZN4vllm25paged_attention_v2_kernelIfhLi112ELi32ELi128ELNS_18Fp8KVCacheDataTypeE1ELb1ELi512EEEvPfS2_PT_PKS3_PKT0_S9_ifPKiSB_iPKfiiiSD_SD_iiiii.has_dyn_sized_stack, 0
	.set _ZN4vllm25paged_attention_v2_kernelIfhLi112ELi32ELi128ELNS_18Fp8KVCacheDataTypeE1ELb1ELi512EEEvPfS2_PT_PKS3_PKT0_S9_ifPKiSB_iPKfiiiSD_SD_iiiii.has_recursion, 0
	.set _ZN4vllm25paged_attention_v2_kernelIfhLi112ELi32ELi128ELNS_18Fp8KVCacheDataTypeE1ELb1ELi512EEEvPfS2_PT_PKS3_PKT0_S9_ifPKiSB_iPKfiiiSD_SD_iiiii.has_indirect_call, 0
	.section	.AMDGPU.csdata,"",@progbits
; Kernel info:
; codeLenInByte = 16636
; TotalNumSgprs: 46
; NumVgprs: 192
; ScratchSize: 148
; MemoryBound: 0
; FloatMode: 240
; IeeeMode: 1
; LDSByteSize: 480 bytes/workgroup (compile time only)
; SGPRBlocks: 0
; VGPRBlocks: 23
; NumSGPRsForWavesPerEU: 46
; NumVGPRsForWavesPerEU: 192
; Occupancy: 8
; WaveLimiterHint : 1
; COMPUTE_PGM_RSRC2:SCRATCH_EN: 1
; COMPUTE_PGM_RSRC2:USER_SGPR: 2
; COMPUTE_PGM_RSRC2:TRAP_HANDLER: 0
; COMPUTE_PGM_RSRC2:TGID_X_EN: 1
; COMPUTE_PGM_RSRC2:TGID_Y_EN: 1
; COMPUTE_PGM_RSRC2:TGID_Z_EN: 1
; COMPUTE_PGM_RSRC2:TIDIG_COMP_CNT: 0
	.section	.text._ZN4vllm25paged_attention_v2_kernelIfhLi120ELi32ELi128ELNS_18Fp8KVCacheDataTypeE1ELb1ELi512EEEvPfS2_PT_PKS3_PKT0_S9_ifPKiSB_iPKfiiiSD_SD_iiiii,"axG",@progbits,_ZN4vllm25paged_attention_v2_kernelIfhLi120ELi32ELi128ELNS_18Fp8KVCacheDataTypeE1ELb1ELi512EEEvPfS2_PT_PKS3_PKT0_S9_ifPKiSB_iPKfiiiSD_SD_iiiii,comdat
	.protected	_ZN4vllm25paged_attention_v2_kernelIfhLi120ELi32ELi128ELNS_18Fp8KVCacheDataTypeE1ELb1ELi512EEEvPfS2_PT_PKS3_PKT0_S9_ifPKiSB_iPKfiiiSD_SD_iiiii ; -- Begin function _ZN4vllm25paged_attention_v2_kernelIfhLi120ELi32ELi128ELNS_18Fp8KVCacheDataTypeE1ELb1ELi512EEEvPfS2_PT_PKS3_PKT0_S9_ifPKiSB_iPKfiiiSD_SD_iiiii
	.globl	_ZN4vllm25paged_attention_v2_kernelIfhLi120ELi32ELi128ELNS_18Fp8KVCacheDataTypeE1ELb1ELi512EEEvPfS2_PT_PKS3_PKT0_S9_ifPKiSB_iPKfiiiSD_SD_iiiii
	.p2align	8
	.type	_ZN4vllm25paged_attention_v2_kernelIfhLi120ELi32ELi128ELNS_18Fp8KVCacheDataTypeE1ELb1ELi512EEEvPfS2_PT_PKS3_PKT0_S9_ifPKiSB_iPKfiiiSD_SD_iiiii,@function
_ZN4vllm25paged_attention_v2_kernelIfhLi120ELi32ELi128ELNS_18Fp8KVCacheDataTypeE1ELb1ELi512EEEvPfS2_PT_PKS3_PKT0_S9_ifPKiSB_iPKfiiiSD_SD_iiiii: ; @_ZN4vllm25paged_attention_v2_kernelIfhLi120ELi32ELi128ELNS_18Fp8KVCacheDataTypeE1ELb1ELi512EEEvPfS2_PT_PKS3_PKT0_S9_ifPKiSB_iPKfiiiSD_SD_iiiii
; %bb.0:
	s_load_b64 s[2:3], s[0:1], 0x40
	s_and_b32 s19, ttmp7, 0xffff
	s_lshr_b32 s33, ttmp7, 16
	s_lshl_b32 s4, s19, 2
	s_lshl_b32 s37, s33, 9
	s_wait_kmcnt 0x0
	s_load_b32 s34, s[2:3], s4 offset:0x0
	s_wait_kmcnt 0x0
	s_cmp_ge_i32 s37, s34
	s_cbranch_scc1 .LBB230_172
; %bb.1:
	s_clause 0x1
	s_load_b32 s36, s[0:1], 0x90
	s_load_b64 s[12:13], s[0:1], 0x30
	v_mov_b32_e32 v174, v0
	s_wait_kmcnt 0x0
	s_abs_i32 s5, s36
	s_abs_i32 s2, s12
	s_delay_alu instid0(SALU_CYCLE_1) | instskip(SKIP_1) | instid1(SALU_CYCLE_2)
	s_cvt_f32_u32 s3, s2
	s_sub_co_i32 s4, 0, s2
	v_rcp_iflag_f32_e32 v1, s3
	s_delay_alu instid0(TRANS32_DEP_1) | instskip(SKIP_2) | instid1(SALU_CYCLE_2)
	v_readfirstlane_b32 s3, v1
	s_mul_f32 s3, s3, 0x4f7ffffe
	s_wait_alu 0xfffe
	s_cvt_u32_f32 s3, s3
	s_wait_alu 0xfffe
	s_delay_alu instid0(SALU_CYCLE_2) | instskip(NEXT) | instid1(SALU_CYCLE_1)
	s_mul_i32 s4, s4, s3
	s_mul_hi_u32 s4, s3, s4
	s_delay_alu instid0(SALU_CYCLE_1)
	s_add_co_i32 s3, s3, s4
	s_xor_b32 s4, s36, s12
	s_wait_alu 0xfffe
	s_mul_hi_u32 s3, s5, s3
	s_ashr_i32 s4, s4, 31
	s_wait_alu 0xfffe
	s_mul_i32 s6, s3, s2
	s_delay_alu instid0(SALU_CYCLE_1)
	s_sub_co_i32 s5, s5, s6
	s_add_co_i32 s6, s3, 1
	s_sub_co_i32 s7, s5, s2
	s_cmp_ge_u32 s5, s2
	s_cselect_b32 s3, s6, s3
	s_cselect_b32 s5, s7, s5
	s_wait_alu 0xfffe
	s_add_co_i32 s6, s3, 1
	s_cmp_ge_u32 s5, s2
	s_cselect_b32 s2, s6, s3
	s_load_b64 s[6:7], s[0:1], 0x50
	s_xor_b32 s2, s2, s4
	s_mov_b32 s3, 0
	s_wait_alu 0xfffe
	s_sub_co_i32 s11, s2, s4
	s_mov_b32 s30, s3
	s_abs_i32 s10, s11
	s_delay_alu instid0(SALU_CYCLE_1) | instskip(SKIP_1) | instid1(SALU_CYCLE_2)
	s_cvt_f32_u32 s2, s10
	s_wait_alu 0xfffe
	v_rcp_iflag_f32_e32 v1, s2
	s_delay_alu instid0(TRANS32_DEP_1) | instskip(SKIP_2) | instid1(SALU_CYCLE_2)
	v_readfirstlane_b32 s2, v1
	s_mul_f32 s2, s2, 0x4f7ffffe
	s_wait_alu 0xfffe
	s_cvt_u32_f32 s4, s2
	s_sub_co_i32 s2, 0, s10
	s_wait_alu 0xfffe
	s_delay_alu instid0(SALU_CYCLE_1)
	s_mul_i32 s2, s2, s4
	s_wait_alu 0xfffe
	s_mul_hi_u32 s5, s4, s2
	s_abs_i32 s2, ttmp9
	s_add_co_i32 s4, s4, s5
	s_mov_b32 s5, s3
	s_wait_kmcnt 0x0
	s_cmp_eq_u64 s[6:7], 0
	s_cbranch_scc1 .LBB230_3
; %bb.2:
	s_mov_b32 s8, ttmp9
	s_ashr_i32 s9, ttmp9, 31
	s_delay_alu instid0(SALU_CYCLE_1) | instskip(NEXT) | instid1(SALU_CYCLE_1)
	s_lshl_b64 s[8:9], s[8:9], 2
	s_add_nc_u64 s[6:7], s[6:7], s[8:9]
	s_load_b32 s30, s[6:7], 0x0
.LBB230_3:
	s_load_b96 s[16:18], s[0:1], 0x58
	s_mul_u64 s[8:9], s[2:3], s[4:5]
	s_ashr_i32 s3, ttmp9, 31
	s_ashr_i32 s8, s11, 31
	s_mul_i32 s20, ttmp9, 0x78
	s_mov_b32 s4, exec_lo
	v_cmpx_gt_u32_e32 30, v174
	s_cbranch_execz .LBB230_5
; %bb.4:
	s_load_b64 s[6:7], s[0:1], 0x18
	s_wait_kmcnt 0x0
	s_mul_i32 s14, s16, s19
	s_ashr_i32 s21, s20, 31
	s_ashr_i32 s15, s14, 31
	v_lshlrev_b32_e32 v5, 4, v174
	s_lshl_b64 s[14:15], s[14:15], 2
	s_delay_alu instid0(SALU_CYCLE_1) | instskip(SKIP_1) | instid1(SALU_CYCLE_1)
	s_add_nc_u64 s[6:7], s[6:7], s[14:15]
	s_lshl_b64 s[14:15], s[20:21], 2
	s_add_nc_u64 s[6:7], s[6:7], s[14:15]
	global_load_b128 v[1:4], v5, s[6:7]
	s_wait_loadcnt 0x0
	ds_store_b128 v5, v[1:4]
.LBB230_5:
	s_or_b32 exec_lo, exec_lo, s4
	s_load_b128 s[4:7], s[0:1], 0x78
	s_mul_i32 s11, s9, s10
	s_xor_b32 s3, s3, s8
	s_sub_co_i32 s2, s2, s11
	s_add_co_i32 s8, s9, 1
	s_wait_alu 0xfffe
	s_sub_co_i32 s11, s2, s10
	s_cmp_ge_u32 s2, s10
                                        ; implicit-def: $sgpr21
	s_cselect_b32 s8, s8, s9
	s_cselect_b32 s2, s11, s2
	s_add_co_i32 s9, s8, 1
	s_wait_alu 0xfffe
	s_cmp_ge_u32 s2, s10
	s_mov_b32 s10, -1
	s_cselect_b32 s2, s9, s8
	s_load_b32 s8, s[0:1], 0x88
	s_xor_b32 s2, s2, s3
	s_wait_dscnt 0x0
	s_wait_alu 0xfffe
	s_sub_co_i32 s28, s2, s3
	s_barrier_signal -1
	s_barrier_wait -1
	s_wait_kmcnt 0x0
	s_abs_i32 s16, s7
	global_inv scope:SCOPE_SE
	s_cvt_f32_u32 s9, s16
	s_delay_alu instid0(SALU_CYCLE_3) | instskip(NEXT) | instid1(TRANS32_DEP_1)
	v_rcp_iflag_f32_e32 v1, s9
	v_readfirstlane_b32 s9, v1
	s_mul_f32 s2, s9, 0x4f7ffffe
	s_add_co_i32 s9, s34, -1
	s_wait_alu 0xfffe
	s_delay_alu instid0(SALU_CYCLE_1) | instskip(SKIP_2) | instid1(SALU_CYCLE_1)
	s_cvt_u32_f32 s11, s2
	s_sub_co_i32 s2, 0, s16
	s_wait_alu 0xfffe
	s_mul_i32 s3, s2, s11
	s_abs_i32 s2, s9
	s_wait_alu 0xfffe
	s_mul_hi_u32 s14, s11, s3
	s_mov_b32 s3, 0
	s_add_co_i32 s22, s11, s14
	s_cmp_lt_i32 s8, 0
	s_wait_alu 0xfffe
	s_mov_b32 s23, s3
	s_cbranch_scc0 .LBB230_7
; %bb.6:
	s_mul_i32 s10, s4, s12
	s_delay_alu instid0(SALU_CYCLE_1) | instskip(NEXT) | instid1(SALU_CYCLE_1)
	s_add_co_i32 s10, s28, s10
	s_mul_i32 s10, s10, s8
	s_delay_alu instid0(SALU_CYCLE_1)
	s_sub_co_i32 s21, 1, s10
	s_mov_b32 s10, s3
.LBB230_7:
	s_mul_u64 s[14:15], s[2:3], s[22:23]
	s_ashr_i32 s3, s9, 31
	s_and_not1_b32 vcc_lo, exec_lo, s10
	s_ashr_i32 s23, s7, 31
	s_cbranch_vccnz .LBB230_9
; %bb.8:
	s_mul_i32 s4, s36, s4
	s_delay_alu instid0(SALU_CYCLE_1) | instskip(NEXT) | instid1(SALU_CYCLE_1)
	s_add_co_i32 s4, s4, ttmp9
	s_mul_i32 s4, s4, s8
	s_delay_alu instid0(SALU_CYCLE_1)
	s_add_co_i32 s21, s4, 1
.LBB230_9:
	s_clause 0x3
	s_load_b32 s4, s[0:1], 0x48
	s_load_b64 s[24:25], s[0:1], 0x38
	s_load_b32 s7, s[0:1], 0x98
	s_load_b128 s[8:11], s[0:1], 0x68
	s_mul_i32 s12, s15, s16
	s_xor_b32 s3, s3, s23
	s_sub_co_i32 s2, s2, s12
	s_add_co_i32 s14, s15, 1
	v_lshrrev_b32_e32 v175, 5, v174
	v_dual_mov_b32 v5, 0xff7fffff :: v_dual_and_b32 v0, 31, v174
	s_mul_i32 s28, s28, s18
	s_delay_alu instid0(VALU_DEP_2) | instskip(NEXT) | instid1(VALU_DEP_2)
	v_lshl_add_u32 v129, v175, 5, s37
	v_lshlrev_b32_e32 v10, 2, v0
	scratch_store_b32 off, v0, off offset:4 ; 4-byte Folded Spill
	s_wait_kmcnt 0x0
	s_mul_i32 s26, s4, s19
	s_wait_alu 0xfffe
	s_sub_co_i32 s4, s2, s16
	s_ashr_i32 s27, s26, 31
	s_cmp_ge_u32 s2, s16
	s_cselect_b32 s12, s14, s15
	s_cselect_b32 s2, s4, s2
	s_add_co_i32 s4, s12, 1
	s_wait_alu 0xfffe
	s_cmp_ge_u32 s2, s16
	s_cselect_b32 s2, s4, s12
	s_add_co_i32 s4, s34, 31
	s_lshl_b32 s40, s33, 4
	s_ashr_i32 s12, s4, 31
	v_add_nc_u32_e32 v130, s40, v175
	s_lshr_b32 s12, s12, 27
	s_delay_alu instid0(SALU_CYCLE_1)
	s_add_co_i32 s4, s4, s12
	s_add_co_i32 s12, s40, 16
	s_ashr_i32 s38, s4, 5
	s_wait_alu 0xfffe
	s_xor_b32 s4, s2, s3
	s_min_i32 s35, s12, s38
	v_lshlrev_b32_e32 v9, 2, v130
	v_cmp_gt_i32_e64 s2, s35, v130
	s_sub_co_i32 s39, s4, s3
	s_and_saveexec_b32 s12, s2
	s_cbranch_execz .LBB230_17
; %bb.10:
	scratch_load_b32 v4, off, off offset:4  ; 4-byte Folded Reload
	v_dual_mov_b32 v1, 0 :: v_dual_mov_b32 v0, v175
	s_load_b64 s[42:43], s[0:1], 0x20
	s_sub_co_i32 s14, s39, s5
	s_ashr_i32 s29, s28, 31
	s_cmp_neq_f32 s30, 0
	ds_load_b128 v[5:8], v1
	v_lshl_add_u32 v134, v0, 5, s37
	s_mov_b32 s18, s17
	s_cselect_b32 vcc_lo, -1, 0
	s_abs_i32 s15, s6
	v_mov_b32_e32 v137, v130
	s_cvt_f32_u32 s3, s15
	s_wait_alu 0xfffe
	s_delay_alu instid0(SALU_CYCLE_2) | instskip(SKIP_2) | instid1(TRANS32_DEP_1)
	v_rcp_iflag_f32_e32 v2, s3
	s_wait_kmcnt 0x0
	s_add_nc_u64 s[42:43], s[42:43], s[28:29]
	v_readfirstlane_b32 s3, v2
	s_mul_f32 s3, s3, 0x4f7ffffe
	s_wait_alu 0xfffe
	s_delay_alu instid0(SALU_CYCLE_2) | instskip(SKIP_2) | instid1(VALU_DEP_1)
	s_cvt_u32_f32 s3, s3
	s_wait_loadcnt 0x0
	v_lshlrev_b32_e32 v3, 4, v4
	v_add_co_u32 v2, s4, s42, v3
	s_delay_alu instid0(VALU_DEP_1)
	v_add_co_ci_u32_e64 v3, null, s43, 0, s4
	s_wait_dscnt 0x0
	scratch_store_b128 off, v[5:8], off offset:8 ; 16-byte Folded Spill
	ds_load_b128 v[5:8], v1 offset:16
	s_clause 0x1
	scratch_store_b32 off, v174, off offset:196
	scratch_store_b64 off, v[2:3], off offset:104
	s_lshl_b64 s[42:43], s[26:27], 2
	v_lshl_or_b32 v2, v0, 7, v10
	s_wait_alu 0xfffe
	s_add_nc_u64 s[42:43], s[24:25], s[42:43]
	s_sub_co_i32 s4, 0, s15
	s_wait_alu 0xfffe
	v_add_co_u32 v123, s29, s42, v9
	s_mul_i32 s4, s4, s3
	v_add_co_ci_u32_e64 v124, null, s43, 0, s29
	v_add_nc_u32_e32 v136, 0x200, v2
	s_wait_alu 0xfffe
	s_mul_hi_u32 s4, s3, s4
	s_mov_b32 s29, 0
	s_wait_alu 0xfffe
	s_add_co_i32 s31, s3, s4
	s_wait_dscnt 0x0
	scratch_store_b128 off, v[5:8], off offset:24 ; 16-byte Folded Spill
	ds_load_b128 v[5:8], v1 offset:32
	s_wait_dscnt 0x0
	scratch_store_b128 off, v[5:8], off offset:40 ; 16-byte Folded Spill
	ds_load_b128 v[5:8], v1 offset:48
	;; [unrolled: 3-line block ×10, first 2 shown]
	ds_load_b128 v[138:141], v1 offset:192
	ds_load_b128 v[142:145], v1 offset:208
	;; [unrolled: 1-line block ×18, first 2 shown]
	v_subrev_nc_u32_e32 v1, s34, v4
	scratch_store_b32 off, v0, off offset:200 ; 4-byte Folded Spill
	v_dual_mov_b32 v5, 0xff7fffff :: v_dual_add_nc_u32 v0, 1, v1
	s_clause 0x1
	scratch_store_b32 off, v10, off offset:204
	scratch_store_b32 off, v0, off offset:192
	s_branch .LBB230_12
.LBB230_11:                             ;   in Loop: Header=BB230_12 Depth=1
	s_wait_alu 0xfffe
	s_or_b32 exec_lo, exec_lo, s4
	v_add_nc_u32_e32 v137, 4, v137
	v_add_co_u32 v123, s4, v123, 16
	s_wait_alu 0xf1ff
	v_add_co_ci_u32_e64 v124, null, 0, v124, s4
	s_delay_alu instid0(VALU_DEP_3)
	v_cmp_le_i32_e64 s3, s35, v137
	v_add_nc_u32_e32 v134, 0x80, v134
	v_add_nc_u32_e32 v136, 0x200, v136
	s_or_b32 s29, s3, s29
	s_wait_alu 0xfffe
	s_and_not1_b32 exec_lo, exec_lo, s29
	s_cbranch_execz .LBB230_16
.LBB230_12:                             ; =>This Inner Loop Header: Depth=1
	v_sub_nc_u32_e32 v1, 0, v134
	s_delay_alu instid0(VALU_DEP_1) | instskip(NEXT) | instid1(VALU_DEP_1)
	v_max_i32_e32 v1, v134, v1
	v_mul_hi_u32 v2, v1, s22
	s_delay_alu instid0(VALU_DEP_1) | instskip(NEXT) | instid1(VALU_DEP_1)
	v_mul_lo_u32 v3, v2, s16
	v_sub_nc_u32_e32 v1, v1, v3
	v_add_nc_u32_e32 v3, 1, v2
	s_delay_alu instid0(VALU_DEP_2) | instskip(SKIP_2) | instid1(VALU_DEP_1)
	v_subrev_nc_u32_e32 v4, s16, v1
	v_cmp_le_u32_e64 s3, s16, v1
	s_wait_alu 0xf1ff
	v_cndmask_b32_e64 v2, v2, v3, s3
	s_delay_alu instid0(VALU_DEP_3) | instskip(SKIP_1) | instid1(VALU_DEP_3)
	v_cndmask_b32_e64 v1, v1, v4, s3
	v_ashrrev_i32_e32 v3, 31, v134
	v_add_nc_u32_e32 v4, 1, v2
	s_delay_alu instid0(VALU_DEP_3) | instskip(NEXT) | instid1(VALU_DEP_3)
	v_cmp_le_u32_e64 s3, s16, v1
	v_xor_b32_e32 v3, s23, v3
	s_wait_alu 0xf1ff
	s_delay_alu instid0(VALU_DEP_2) | instskip(NEXT) | instid1(VALU_DEP_1)
	v_cndmask_b32_e64 v1, v2, v4, s3
	v_xor_b32_e32 v1, v1, v3
	s_delay_alu instid0(VALU_DEP_1) | instskip(NEXT) | instid1(VALU_DEP_1)
	v_sub_nc_u32_e32 v1, v1, v3
	v_add_nc_u32_e32 v2, s21, v1
	v_cmp_ge_i32_e64 s4, s14, v1
	s_delay_alu instid0(VALU_DEP_2) | instskip(NEXT) | instid1(VALU_DEP_1)
	v_sub_nc_u32_e32 v3, 0, v2
	v_max_i32_e32 v3, v2, v3
	v_ashrrev_i32_e32 v2, 31, v2
	s_delay_alu instid0(VALU_DEP_2) | instskip(NEXT) | instid1(VALU_DEP_1)
	v_mul_hi_u32 v4, v3, s31
	v_mul_lo_u32 v4, v4, s15
	s_delay_alu instid0(VALU_DEP_1) | instskip(NEXT) | instid1(VALU_DEP_1)
	v_sub_nc_u32_e32 v3, v3, v4
	v_subrev_nc_u32_e32 v4, s15, v3
	v_cmp_le_u32_e64 s3, s15, v3
	s_wait_alu 0xf1ff
	s_delay_alu instid0(VALU_DEP_1) | instskip(NEXT) | instid1(VALU_DEP_1)
	v_cndmask_b32_e64 v3, v3, v4, s3
	v_subrev_nc_u32_e32 v4, s15, v3
	v_cmp_le_u32_e64 s3, s15, v3
	s_wait_alu 0xf1ff
	s_delay_alu instid0(VALU_DEP_1) | instskip(NEXT) | instid1(VALU_DEP_1)
	v_cndmask_b32_e64 v3, v3, v4, s3
	v_xor_b32_e32 v3, v3, v2
	s_delay_alu instid0(VALU_DEP_1) | instskip(NEXT) | instid1(VALU_DEP_1)
	v_sub_nc_u32_e32 v2, v3, v2
	v_cmp_ne_u32_e64 s3, 0, v2
	s_and_b32 s3, s3, s4
	s_wait_alu 0xfffe
	s_and_saveexec_b32 s4, s3
	s_wait_alu 0xfffe
	s_xor_b32 s3, exec_lo, s4
; %bb.13:                               ;   in Loop: Header=BB230_12 Depth=1
	v_mov_b32_e32 v1, 0xff7fffff
	ds_store_b32 v136, v1
; %bb.14:                               ;   in Loop: Header=BB230_12 Depth=1
	s_wait_alu 0xfffe
	s_and_not1_saveexec_b32 s4, s3
	s_cbranch_execz .LBB230_11
; %bb.15:                               ;   in Loop: Header=BB230_12 Depth=1
	global_load_b32 v1, v[123:124], off
	scratch_load_b64 v[2:3], off, off offset:104 ; 8-byte Folded Reload
	s_load_b32 s3, s[8:9], 0x0
	scratch_store_b32 off, v5, off          ; 4-byte Folded Spill
	s_clause 0x2
	scratch_load_b128 v[178:181], off, off offset:24
	scratch_load_b128 v[174:177], off, off offset:8
	;; [unrolled: 1-line block ×3, first 2 shown]
	s_wait_loadcnt 0x3
	v_mad_co_i64_i32 v[125:126], null, v1, s18, v[2:3]
	s_clause 0x1
	global_load_b128 v[1:4], v[125:126], off
	global_load_b128 v[146:149], v[125:126], off offset:3072
	s_wait_loadcnt 0x1
	v_and_b32_e32 v19, 0xffff, v1
	v_lshrrev_b32_e32 v18, 16, v1
	v_and_b32_e32 v16, 0xffff, v2
	v_lshrrev_b32_e32 v15, 16, v2
	;; [unrolled: 2-line block ×4, first 2 shown]
	global_load_b128 v[1:4], v[125:126], off offset:512
	s_wait_loadcnt 0x1
	v_and_b32_e32 v7, 0xffff, v146
	v_lshrrev_b32_e32 v6, 16, v146
	v_and_b32_e32 v5, 0xffff, v147
	v_lshrrev_b32_e32 v122, 16, v148
	;; [unrolled: 2-line block ×3, first 2 shown]
	s_wait_loadcnt 0x0
	v_and_b32_e32 v31, 0xffff, v1
	v_lshrrev_b32_e32 v32, 16, v1
	v_and_b32_e32 v34, 0xffff, v2
	v_lshrrev_b32_e32 v36, 16, v2
	v_and_b32_e32 v38, 0xffff, v3
	v_lshrrev_b32_e32 v39, 16, v3
	v_and_b32_e32 v41, 0xffff, v4
	v_lshrrev_b32_e32 v42, 16, v4
	global_load_b128 v[1:4], v[125:126], off offset:1024
	s_wait_loadcnt 0x0
	v_and_b32_e32 v44, 0xffff, v1
	v_lshrrev_b32_e32 v43, 16, v1
	v_and_b32_e32 v40, 0xffff, v2
	v_lshrrev_b32_e32 v37, 16, v2
	v_and_b32_e32 v33, 0xffff, v3
	v_lshrrev_b32_e32 v30, 16, v3
	v_and_b32_e32 v28, 0xffff, v4
	v_lshrrev_b32_e32 v27, 16, v4
	global_load_b128 v[1:4], v[125:126], off offset:1536
	s_wait_loadcnt 0x0
	v_and_b32_e32 v47, 0xffff, v1
	v_lshrrev_b32_e32 v48, 16, v1
	v_and_b32_e32 v49, 0xffff, v2
	v_lshrrev_b32_e32 v52, 16, v2
	v_and_b32_e32 v50, 0xffff, v3
	v_lshrrev_b32_e32 v51, 16, v3
	v_and_b32_e32 v53, 0xffff, v4
	v_lshrrev_b32_e32 v56, 16, v4
	global_load_b128 v[1:4], v[125:126], off offset:2048
	s_wait_loadcnt 0x0
	v_and_b32_e32 v54, 0xffff, v1
	v_lshrrev_b32_e32 v46, 16, v1
	v_and_b32_e32 v45, 0xffff, v2
	v_lshrrev_b32_e32 v35, 16, v2
	v_and_b32_e32 v26, 0xffff, v3
	v_lshrrev_b32_e32 v23, 16, v3
	v_and_b32_e32 v21, 0xffff, v4
	v_lshrrev_b32_e32 v17, 16, v4
	global_load_b128 v[1:4], v[125:126], off offset:2560
	s_wait_loadcnt 0x0
	v_and_b32_e32 v20, 0xffff, v3
	v_lshrrev_b32_e32 v14, 16, v3
	v_lshrrev_b32_e32 v3, 16, v147
	global_load_b64 v[146:147], v[125:126], off offset:3584
	v_and_b32_e32 v24, 0xffff, v2
	v_lshrrev_b32_e32 v22, 16, v2
	v_and_b32_e32 v9, 0xffff, v4
	v_lshrrev_b32_e32 v8, 16, v4
	;; [unrolled: 2-line block ×3, first 2 shown]
	v_and_b32_e32 v1, 0xffff, v148
	s_wait_loadcnt 0x0
	v_and_b32_e32 v4, 0xffff, v146
	v_lshrrev_b32_e32 v126, 16, v146
	v_and_b32_e32 v2, 0xffff, v147
	v_lshrrev_b32_e32 v125, 16, v147
	v_cvt_pk_f32_fp8_e32 v[146:147], v19
	v_cvt_pk_f32_fp8_e32 v[18:19], v18
	s_wait_kmcnt 0x0
	s_delay_alu instid0(VALU_DEP_2) | instskip(NEXT) | instid1(VALU_DEP_2)
	v_mul_f32_e32 v55, s3, v147
	v_dual_mul_f32 v147, s3, v19 :: v_dual_mul_f32 v148, s3, v18
	v_cvt_pk_f32_fp8_e32 v[18:19], v16
	v_cvt_pk_f32_fp8_e32 v[15:16], v15
	v_mul_f32_e32 v146, s3, v146
	s_delay_alu instid0(VALU_DEP_2) | instskip(NEXT) | instid1(VALU_DEP_3)
	v_dual_mul_f32 v18, s3, v18 :: v_dual_mul_f32 v149, s3, v16
	v_mul_f32_e32 v152, s3, v15
	v_cvt_pk_f32_fp8_e32 v[15:16], v13
	v_cvt_pk_f32_fp8_e32 v[12:13], v12
	v_mul_f32_e32 v19, s3, v19
	s_delay_alu instid0(VALU_DEP_4) | instskip(NEXT) | instid1(VALU_DEP_4)
	v_mul_f32_e32 v153, v180, v152
	v_mul_f32_e32 v15, s3, v15
	s_delay_alu instid0(VALU_DEP_4) | instskip(SKIP_2) | instid1(VALU_DEP_2)
	v_mul_f32_e32 v191, s3, v12
	v_cvt_pk_f32_fp8_e32 v[11:12], v11
	v_dual_mul_f32 v16, s3, v16 :: v_dual_mul_f32 v13, s3, v13
	v_dual_fmac_f32 v153, v176, v148 :: v_dual_mul_f32 v190, s3, v11
	v_cvt_pk_f32_fp8_e32 v[10:11], v10
	s_delay_alu instid0(VALU_DEP_4) | instskip(NEXT) | instid1(VALU_DEP_2)
	v_dual_mul_f32 v131, s3, v12 :: v_dual_mul_f32 v12, v179, v19
	v_mul_f32_e32 v132, s3, v11
	s_delay_alu instid0(VALU_DEP_3) | instskip(SKIP_1) | instid1(VALU_DEP_4)
	v_mul_f32_e32 v128, s3, v10
	v_cvt_pk_f32_fp8_e32 v[10:11], v31
	v_fmac_f32_e32 v12, v175, v55
	s_delay_alu instid0(VALU_DEP_2) | instskip(NEXT) | instid1(VALU_DEP_3)
	v_mul_f32_e32 v31, s3, v11
	v_mul_f32_e32 v135, s3, v10
	v_cvt_pk_f32_fp8_e32 v[10:11], v32
	s_delay_alu instid0(VALU_DEP_1) | instskip(NEXT) | instid1(VALU_DEP_2)
	v_mul_f32_e32 v32, s3, v11
	v_mul_f32_e32 v0, s3, v10
	v_cvt_pk_f32_fp8_e32 v[10:11], v34
	s_delay_alu instid0(VALU_DEP_1) | instskip(NEXT) | instid1(VALU_DEP_2)
	v_mul_f32_e32 v34, s3, v11
	v_mul_f32_e32 v150, s3, v10
	v_cvt_pk_f32_fp8_e32 v[10:11], v36
	s_delay_alu instid0(VALU_DEP_1) | instskip(SKIP_1) | instid1(VALU_DEP_1)
	v_dual_mul_f32 v36, s3, v11 :: v_dual_mul_f32 v151, s3, v10
	v_cvt_pk_f32_fp8_e32 v[10:11], v38
	v_dual_mul_f32 v38, s3, v11 :: v_dual_mul_f32 v133, s3, v10
	v_cvt_pk_f32_fp8_e32 v[10:11], v39
	s_delay_alu instid0(VALU_DEP_1) | instskip(SKIP_1) | instid1(VALU_DEP_1)
	v_dual_mul_f32 v39, s3, v11 :: v_dual_mul_f32 v154, s3, v10
	v_cvt_pk_f32_fp8_e32 v[10:11], v41
	v_mul_f32_e32 v41, s3, v11
	s_delay_alu instid0(VALU_DEP_2) | instskip(SKIP_1) | instid1(VALU_DEP_1)
	v_mul_f32_e32 v155, s3, v10
	v_cvt_pk_f32_fp8_e32 v[10:11], v42
	v_mul_f32_e32 v42, s3, v11
	s_delay_alu instid0(VALU_DEP_2) | instskip(SKIP_1) | instid1(VALU_DEP_1)
	v_mul_f32_e32 v156, s3, v10
	v_cvt_pk_f32_fp8_e32 v[10:11], v44
	v_dual_mul_f32 v44, s3, v11 :: v_dual_mul_f32 v157, s3, v10
	v_cvt_pk_f32_fp8_e32 v[10:11], v43
	s_delay_alu instid0(VALU_DEP_1) | instskip(SKIP_1) | instid1(VALU_DEP_1)
	v_dual_mul_f32 v43, s3, v11 :: v_dual_mul_f32 v158, s3, v10
	v_cvt_pk_f32_fp8_e32 v[10:11], v40
	v_dual_mul_f32 v40, s3, v11 :: v_dual_mul_f32 v159, s3, v10
	v_cvt_pk_f32_fp8_e32 v[10:11], v37
	s_delay_alu instid0(VALU_DEP_1) | instskip(SKIP_1) | instid1(VALU_DEP_1)
	v_dual_mul_f32 v37, s3, v11 :: v_dual_mul_f32 v160, s3, v10
	v_cvt_pk_f32_fp8_e32 v[10:11], v33
	v_mul_f32_e32 v33, s3, v11
	s_delay_alu instid0(VALU_DEP_2) | instskip(SKIP_1) | instid1(VALU_DEP_1)
	v_mul_f32_e32 v161, s3, v10
	v_cvt_pk_f32_fp8_e32 v[10:11], v30
	v_mul_f32_e32 v30, s3, v11
	s_delay_alu instid0(VALU_DEP_2) | instskip(SKIP_1) | instid1(VALU_DEP_1)
	v_mul_f32_e32 v162, s3, v10
	v_cvt_pk_f32_fp8_e32 v[10:11], v28
	v_dual_mul_f32 v28, s3, v11 :: v_dual_mul_f32 v163, s3, v10
	v_cvt_pk_f32_fp8_e32 v[10:11], v27
	s_delay_alu instid0(VALU_DEP_1) | instskip(SKIP_1) | instid1(VALU_DEP_1)
	v_dual_mul_f32 v27, s3, v11 :: v_dual_mul_f32 v164, s3, v10
	v_cvt_pk_f32_fp8_e32 v[10:11], v47
	v_mul_f32_e32 v47, s3, v11
	s_delay_alu instid0(VALU_DEP_2) | instskip(SKIP_1) | instid1(VALU_DEP_1)
	v_mul_f32_e32 v165, s3, v10
	v_cvt_pk_f32_fp8_e32 v[10:11], v48
	v_mul_f32_e32 v48, s3, v11
	s_delay_alu instid0(VALU_DEP_2) | instskip(SKIP_1) | instid1(VALU_DEP_1)
	v_mul_f32_e32 v166, s3, v10
	;; [unrolled: 4-line block ×4, first 2 shown]
	v_cvt_pk_f32_fp8_e32 v[10:11], v50
	v_dual_mul_f32 v50, s3, v11 :: v_dual_mul_f32 v169, s3, v10
	v_cvt_pk_f32_fp8_e32 v[10:11], v51
	s_delay_alu instid0(VALU_DEP_1) | instskip(SKIP_1) | instid1(VALU_DEP_1)
	v_dual_mul_f32 v51, s3, v11 :: v_dual_mul_f32 v170, s3, v10
	v_cvt_pk_f32_fp8_e32 v[10:11], v53
	v_mul_f32_e32 v53, s3, v11
	s_delay_alu instid0(VALU_DEP_2) | instskip(SKIP_1) | instid1(VALU_DEP_1)
	v_mul_f32_e32 v171, s3, v10
	v_cvt_pk_f32_fp8_e32 v[10:11], v56
	v_mul_f32_e32 v56, s3, v11
	s_delay_alu instid0(VALU_DEP_2) | instskip(SKIP_1) | instid1(VALU_DEP_1)
	v_mul_f32_e32 v172, s3, v10
	v_cvt_pk_f32_fp8_e32 v[10:11], v54
	v_mul_f32_e32 v173, s3, v10
	v_mul_f32_e32 v10, v178, v18
	s_delay_alu instid0(VALU_DEP_3) | instskip(NEXT) | instid1(VALU_DEP_1)
	v_dual_mul_f32 v54, s3, v11 :: v_dual_mul_f32 v11, v181, v149
	v_dual_fmac_f32 v10, v174, v146 :: v_dual_fmac_f32 v11, v177, v147
	scratch_load_b128 v[146:149], off, off offset:56 ; 16-byte Folded Reload
	v_dual_fmac_f32 v12, v183, v16 :: v_dual_fmac_f32 v153, v184, v191
	v_fmac_f32_e32 v10, v182, v15
	v_cvt_pk_f32_fp8_e32 v[15:16], v46
	scratch_load_b128 v[174:177], off, off offset:72 ; 16-byte Folded Reload
	v_dual_mul_f32 v18, s3, v16 :: v_dual_fmac_f32 v11, v185, v13
	v_cvt_pk_f32_fp8_e32 v[13:14], v14
	s_wait_loadcnt 0x1
	v_fmac_f32_e32 v10, v146, v190
	v_dual_fmac_f32 v12, v147, v131 :: v_dual_fmac_f32 v153, v148, v128
	v_fmac_f32_e32 v11, v149, v132
	scratch_load_b128 v[146:149], off, off offset:88 ; 16-byte Folded Reload
	s_wait_loadcnt 0x1
	v_fmac_f32_e32 v10, v174, v135
	v_mul_f32_e32 v19, s3, v15
	v_cvt_pk_f32_fp8_e32 v[15:16], v45
	v_dual_fmac_f32 v12, v175, v31 :: v_dual_fmac_f32 v153, v176, v0
	s_delay_alu instid0(VALU_DEP_2) | instskip(NEXT) | instid1(VALU_DEP_3)
	v_mul_f32_e32 v31, s3, v16
	v_mul_f32_e32 v45, s3, v15
	v_cvt_pk_f32_fp8_e32 v[15:16], v35
	s_wait_loadcnt 0x0
	s_delay_alu instid0(VALU_DEP_1)
	v_dual_mul_f32 v0, s3, v16 :: v_dual_fmac_f32 v153, v148, v151
	v_fmac_f32_e32 v10, v146, v150
	v_fmac_f32_e32 v12, v147, v34
	v_dual_mul_f32 v34, s3, v15 :: v_dual_fmac_f32 v11, v177, v32
	scratch_load_b128 v[174:177], off, off offset:112 ; 16-byte Folded Reload
	v_cvt_pk_f32_fp8_e32 v[15:16], v26
	v_fmac_f32_e32 v11, v149, v36
	scratch_load_b128 v[146:149], off, off offset:128 ; 16-byte Folded Reload
	v_mul_f32_e32 v32, s3, v15
	v_mul_f32_e32 v26, s3, v16
	v_cvt_pk_f32_fp8_e32 v[15:16], v23
	s_delay_alu instid0(VALU_DEP_1) | instskip(NEXT) | instid1(VALU_DEP_2)
	v_mul_f32_e32 v23, s3, v16
	v_mul_f32_e32 v35, s3, v15
	v_cvt_pk_f32_fp8_e32 v[15:16], v21
	s_delay_alu instid0(VALU_DEP_1) | instskip(SKIP_2) | instid1(VALU_DEP_1)
	v_dual_mul_f32 v21, s3, v16 :: v_dual_mul_f32 v36, s3, v15
	v_cvt_pk_f32_fp8_e32 v[15:16], v17
	s_wait_loadcnt 0x1
	v_dual_mul_f32 v17, s3, v16 :: v_dual_fmac_f32 v10, v174, v133
	v_fmac_f32_e32 v153, v176, v154
	v_fmac_f32_e32 v12, v175, v38
	v_mul_f32_e32 v38, s3, v15
	v_cvt_pk_f32_fp8_e32 v[15:16], v29
	s_wait_loadcnt 0x0
	v_dual_fmac_f32 v10, v146, v155 :: v_dual_fmac_f32 v153, v148, v156
	v_fmac_f32_e32 v11, v177, v39
	scratch_load_b128 v[174:177], off, off offset:144 ; 16-byte Folded Reload
	v_dual_fmac_f32 v12, v147, v41 :: v_dual_mul_f32 v29, s3, v16
	v_fmac_f32_e32 v11, v149, v42
	scratch_load_b128 v[146:149], off, off offset:160 ; 16-byte Folded Reload
	s_wait_loadcnt 0x1
	v_fmac_f32_e32 v10, v174, v157
	v_dual_fmac_f32 v12, v175, v44 :: v_dual_fmac_f32 v153, v176, v158
	s_wait_loadcnt 0x0
	s_delay_alu instid0(VALU_DEP_2) | instskip(NEXT) | instid1(VALU_DEP_2)
	v_fmac_f32_e32 v10, v146, v159
	v_dual_fmac_f32 v12, v147, v40 :: v_dual_fmac_f32 v11, v177, v43
	scratch_load_b128 v[39:42], off, off offset:176 ; 16-byte Folded Reload
	s_wait_loadcnt 0x0
	v_dual_fmac_f32 v153, v148, v160 :: v_dual_fmac_f32 v10, v39, v161
	v_dual_fmac_f32 v12, v40, v33 :: v_dual_mul_f32 v33, s3, v15
	v_fmac_f32_e32 v11, v149, v37
	v_cvt_pk_f32_fp8_e32 v[15:16], v25
	s_wait_dscnt 0x12
	v_dual_fmac_f32 v153, v41, v162 :: v_dual_fmac_f32 v10, v186, v163
	s_delay_alu instid0(VALU_DEP_3) | instskip(NEXT) | instid1(VALU_DEP_3)
	v_dual_fmac_f32 v12, v187, v28 :: v_dual_fmac_f32 v11, v42, v30
	v_dual_mul_f32 v25, s3, v16 :: v_dual_mul_f32 v28, s3, v15
	s_wait_dscnt 0x11
	s_delay_alu instid0(VALU_DEP_3) | instskip(NEXT) | instid1(VALU_DEP_3)
	v_fmac_f32_e32 v10, v138, v165
	v_fmac_f32_e32 v12, v139, v47
	v_cvt_pk_f32_fp8_e32 v[15:16], v24
	v_fmac_f32_e32 v153, v188, v164
	v_fmac_f32_e32 v11, v189, v27
	s_wait_dscnt 0x10
	v_dual_fmac_f32 v10, v142, v167 :: v_dual_mul_f32 v37, s3, v13
	v_mul_f32_e32 v24, s3, v16
	v_dual_mul_f32 v30, s3, v15 :: v_dual_fmac_f32 v153, v140, v166
	v_cvt_pk_f32_fp8_e32 v[15:16], v22
	v_fmac_f32_e32 v12, v143, v49
	s_wait_dscnt 0xf
	s_delay_alu instid0(VALU_DEP_3) | instskip(NEXT) | instid1(VALU_DEP_3)
	v_dual_fmac_f32 v10, v57, v169 :: v_dual_fmac_f32 v153, v144, v168
	v_dual_mul_f32 v22, s3, v16 :: v_dual_mul_f32 v27, s3, v15
	s_delay_alu instid0(VALU_DEP_3) | instskip(SKIP_3) | instid1(VALU_DEP_3)
	v_dual_fmac_f32 v11, v141, v48 :: v_dual_fmac_f32 v12, v58, v50
	v_cvt_pk_f32_fp8_e32 v[15:16], v20
	s_wait_dscnt 0xe
	v_dual_fmac_f32 v153, v59, v170 :: v_dual_fmac_f32 v10, v61, v171
	v_dual_fmac_f32 v11, v145, v52 :: v_dual_fmac_f32 v12, v62, v53
	s_delay_alu instid0(VALU_DEP_3) | instskip(NEXT) | instid1(VALU_DEP_3)
	v_mul_f32_e32 v16, s3, v16
	v_dual_mul_f32 v20, s3, v14 :: v_dual_fmac_f32 v153, v63, v172
	s_wait_dscnt 0xd
	s_delay_alu instid0(VALU_DEP_3) | instskip(SKIP_1) | instid1(VALU_DEP_3)
	v_dual_fmac_f32 v10, v65, v173 :: v_dual_fmac_f32 v11, v60, v51
	v_cvt_pk_f32_fp8_e32 v[13:14], v9
	v_dual_fmac_f32 v12, v66, v54 :: v_dual_fmac_f32 v153, v67, v19
	s_wait_dscnt 0xc
	s_delay_alu instid0(VALU_DEP_3) | instskip(NEXT) | instid1(VALU_DEP_3)
	v_dual_fmac_f32 v10, v69, v45 :: v_dual_fmac_f32 v11, v64, v56
	v_dual_mul_f32 v14, s3, v14 :: v_dual_mul_f32 v13, s3, v13
	v_cvt_pk_f32_fp8_e32 v[8:9], v8
	s_delay_alu instid0(VALU_DEP_3) | instskip(SKIP_2) | instid1(VALU_DEP_3)
	v_dual_fmac_f32 v12, v70, v31 :: v_dual_fmac_f32 v11, v68, v18
	s_wait_dscnt 0xb
	v_dual_fmac_f32 v10, v73, v32 :: v_dual_mul_f32 v15, s3, v15
	v_mul_f32_e32 v9, s3, v9
	s_delay_alu instid0(VALU_DEP_3)
	v_dual_mul_f32 v19, s3, v8 :: v_dual_fmac_f32 v12, v74, v26
	v_cvt_pk_f32_fp8_e32 v[7:8], v7
	v_fmac_f32_e32 v153, v71, v34
	v_fmac_f32_e32 v11, v72, v0
	s_wait_dscnt 0xa
	v_fmac_f32_e32 v10, v77, v36
	v_mul_f32_e32 v8, s3, v8
	v_mul_f32_e32 v18, s3, v7
	v_fmac_f32_e32 v153, v75, v35
	v_cvt_pk_f32_fp8_e32 v[6:7], v6
	v_dual_fmac_f32 v12, v78, v21 :: v_dual_fmac_f32 v11, v76, v23
	s_wait_dscnt 0x9
	s_delay_alu instid0(VALU_DEP_3) | instskip(NEXT) | instid1(VALU_DEP_3)
	v_dual_fmac_f32 v10, v81, v33 :: v_dual_fmac_f32 v153, v79, v38
	v_dual_mul_f32 v0, s3, v7 :: v_dual_mul_f32 v7, s3, v6
	v_cvt_pk_f32_fp8_e32 v[5:6], v5
	v_fmac_f32_e32 v12, v82, v29
	s_wait_dscnt 0x8
	v_dual_fmac_f32 v10, v85, v30 :: v_dual_fmac_f32 v153, v83, v28
	s_delay_alu instid0(VALU_DEP_3)
	v_mul_f32_e32 v21, s3, v6
	v_mul_f32_e32 v23, s3, v5
	v_dual_fmac_f32 v11, v80, v17 :: v_dual_fmac_f32 v12, v86, v24
	v_cvt_pk_f32_fp8_e32 v[5:6], v3
	s_wait_dscnt 0x7
	v_fmac_f32_e32 v10, v89, v15
	s_delay_alu instid0(VALU_DEP_3) | instskip(NEXT) | instid1(VALU_DEP_3)
	v_dual_fmac_f32 v153, v87, v27 :: v_dual_fmac_f32 v12, v90, v16
	v_mul_f32_e32 v17, s3, v6
	v_mul_f32_e32 v3, s3, v5
	v_cvt_pk_f32_fp8_e32 v[5:6], v1
	s_wait_dscnt 0x6
	v_fmac_f32_e32 v10, v93, v13
	v_dual_fmac_f32 v12, v94, v14 :: v_dual_fmac_f32 v11, v84, v25
	s_delay_alu instid0(VALU_DEP_3) | instskip(SKIP_1) | instid1(VALU_DEP_2)
	v_mul_f32_e32 v1, s3, v6
	s_wait_dscnt 0x5
	v_dual_mul_f32 v15, s3, v5 :: v_dual_fmac_f32 v12, v98, v8
	v_cvt_pk_f32_fp8_e32 v[5:6], v122
	v_fmac_f32_e32 v10, v97, v18
	s_wait_dscnt 0x4
	s_delay_alu instid0(VALU_DEP_2) | instskip(NEXT) | instid1(VALU_DEP_2)
	v_dual_fmac_f32 v12, v102, v21 :: v_dual_mul_f32 v13, s3, v6
	v_fmac_f32_e32 v10, v101, v23
	v_mul_f32_e32 v14, s3, v5
	v_cvt_pk_f32_fp8_e32 v[5:6], v121
	v_fmac_f32_e32 v153, v91, v37
	s_wait_dscnt 0x3
	v_dual_fmac_f32 v11, v88, v22 :: v_dual_fmac_f32 v10, v105, v15
	v_fmac_f32_e32 v12, v106, v1
	v_mul_f32_e32 v8, s3, v6
	v_mul_f32_e32 v16, s3, v5
	v_cvt_pk_f32_fp8_e32 v[5:6], v127
	v_fmac_f32_e32 v153, v95, v19
	v_fmac_f32_e32 v11, v92, v20
	s_wait_dscnt 0x2
	v_fmac_f32_e32 v12, v110, v8
	v_fmac_f32_e32 v10, v109, v16
	v_dual_mul_f32 v6, s3, v6 :: v_dual_fmac_f32 v153, v99, v7
	v_fmac_f32_e32 v11, v96, v9
	v_cvt_pk_f32_fp8_e32 v[1:2], v2
	s_delay_alu instid0(VALU_DEP_3) | instskip(SKIP_3) | instid1(VALU_DEP_3)
	v_fmac_f32_e32 v153, v103, v3
	v_cvt_pk_f32_fp8_e32 v[3:4], v4
	v_mul_f32_e32 v5, s3, v5
	v_fmac_f32_e32 v11, v100, v0
	v_dual_mul_f32 v0, s3, v4 :: v_dual_mul_f32 v3, s3, v3
	v_fmac_f32_e32 v153, v107, v14
	s_delay_alu instid0(VALU_DEP_3) | instskip(SKIP_1) | instid1(VALU_DEP_3)
	v_dual_mul_f32 v4, s3, v2 :: v_dual_fmac_f32 v11, v104, v17
	s_wait_dscnt 0x1
	v_dual_fmac_f32 v12, v114, v0 :: v_dual_mul_f32 v7, s3, v1
	v_fmac_f32_e32 v10, v113, v3
	v_cvt_pk_f32_fp8_e32 v[1:2], v126
	s_wait_dscnt 0x0
	s_delay_alu instid0(VALU_DEP_3) | instskip(NEXT) | instid1(VALU_DEP_3)
	v_dual_fmac_f32 v12, v118, v4 :: v_dual_fmac_f32 v11, v108, v13
	v_dual_fmac_f32 v10, v117, v7 :: v_dual_fmac_f32 v153, v111, v5
	s_delay_alu instid0(VALU_DEP_3) | instskip(SKIP_4) | instid1(VALU_DEP_2)
	v_dual_mul_f32 v0, s3, v1 :: v_dual_mul_f32 v3, s3, v2
	v_cvt_pk_f32_fp8_e32 v[1:2], v125
	scratch_load_b32 v5, off, off th:TH_LOAD_LU ; 4-byte Folded Reload
	v_fmac_f32_e32 v11, v112, v6
	v_dual_fmac_f32 v153, v115, v0 :: v_dual_mul_f32 v0, s3, v1
	v_fmac_f32_e32 v11, v116, v3
	s_delay_alu instid0(VALU_DEP_2) | instskip(SKIP_1) | instid1(VALU_DEP_1)
	v_fmac_f32_e32 v153, v119, v0
	v_dual_add_f32 v0, v10, v12 :: v_dual_mul_f32 v1, s3, v2
	v_dual_add_f32 v0, v153, v0 :: v_dual_fmac_f32 v11, v120, v1
	scratch_load_b32 v1, off, off offset:4  ; 4-byte Folded Reload
	s_wait_loadcnt 0x0
	v_dual_add_f32 v0, v11, v0 :: v_dual_add_nc_u32 v1, v1, v134
	s_delay_alu instid0(VALU_DEP_1) | instskip(SKIP_3) | instid1(VALU_DEP_1)
	v_cmp_gt_i32_e64 s3, s34, v1
	scratch_load_b32 v1, off, off offset:192 ; 4-byte Folded Reload
	s_wait_loadcnt 0x0
	v_add_nc_u32_e32 v1, v1, v134
	v_cvt_f32_i32_e32 v1, v1
	s_delay_alu instid0(VALU_DEP_1) | instskip(NEXT) | instid1(VALU_DEP_1)
	v_mul_f32_e32 v1, s30, v1
	v_cndmask_b32_e32 v1, 0, v1, vcc_lo
	s_delay_alu instid0(VALU_DEP_1) | instskip(NEXT) | instid1(VALU_DEP_1)
	v_dual_fmac_f32 v1, s13, v0 :: v_dual_max_num_f32 v0, v5, v5
	v_max_num_f32_e32 v0, v0, v1
	s_wait_alu 0xf1ff
	s_delay_alu instid0(VALU_DEP_1)
	v_cndmask_b32_e64 v5, v5, v0, s3
	v_cndmask_b32_e64 v0, 0, v1, s3
	ds_store_b32 v136, v0
	s_branch .LBB230_11
.LBB230_16:
	s_or_b32 exec_lo, exec_lo, s29
	s_clause 0x2
	scratch_load_b32 v174, off, off offset:196
	scratch_load_b32 v175, off, off offset:200
	;; [unrolled: 1-line block ×3, first 2 shown]
	v_lshlrev_b32_e32 v9, 2, v130
.LBB230_17:
	s_or_b32 exec_lo, exec_lo, s12
	s_clause 0x2
	s_load_b128 s[12:15], s[0:1], 0x0
	s_load_b64 s[8:9], s[0:1], 0x10
	s_load_b64 s[30:31], s[0:1], 0x28
	scratch_load_b32 v0, off, off offset:4  ; 4-byte Folded Reload
	v_mbcnt_lo_u32_b32 v1, -1, 0
	s_delay_alu instid0(VALU_DEP_1) | instskip(SKIP_1) | instid1(VALU_DEP_2)
	v_xor_b32_e32 v2, 16, v1
	v_xor_b32_e32 v4, 8, v1
	v_cmp_gt_i32_e32 vcc_lo, 32, v2
	s_wait_alu 0xfffd
	v_cndmask_b32_e32 v2, v1, v2, vcc_lo
	s_delay_alu instid0(VALU_DEP_3) | instskip(NEXT) | instid1(VALU_DEP_2)
	v_cmp_gt_i32_e32 vcc_lo, 32, v4
	v_lshlrev_b32_e32 v2, 2, v2
	s_wait_alu 0xfffd
	v_cndmask_b32_e32 v4, v1, v4, vcc_lo
	ds_bpermute_b32 v3, v2, v5
	s_wait_dscnt 0x0
	v_dual_max_num_f32 v5, v5, v5 :: v_dual_max_num_f32 v6, v3, v3
	s_delay_alu instid0(VALU_DEP_1)
	v_dual_max_num_f32 v4, v5, v6 :: v_dual_lshlrev_b32 v3, 2, v4
	v_xor_b32_e32 v6, 4, v1
	ds_bpermute_b32 v5, v3, v4
	v_cmp_gt_i32_e32 vcc_lo, 32, v6
	s_wait_alu 0xfffd
	v_cndmask_b32_e32 v6, v1, v6, vcc_lo
	s_delay_alu instid0(VALU_DEP_1) | instskip(SKIP_1) | instid1(VALU_DEP_1)
	v_lshlrev_b32_e32 v13, 2, v6
	v_xor_b32_e32 v6, 2, v1
	v_cmp_gt_i32_e32 vcc_lo, 32, v6
	s_wait_dscnt 0x0
	v_max_num_f32_e32 v5, v5, v5
	s_wait_alu 0xfffd
	v_cndmask_b32_e32 v6, v1, v6, vcc_lo
	s_delay_alu instid0(VALU_DEP_1) | instskip(SKIP_1) | instid1(VALU_DEP_1)
	v_lshlrev_b32_e32 v12, 2, v6
	v_xor_b32_e32 v6, 1, v1
	v_cmp_gt_i32_e32 vcc_lo, 32, v6
	s_wait_alu 0xfffd
	v_cndmask_b32_e32 v6, v1, v6, vcc_lo
	s_delay_alu instid0(VALU_DEP_1) | instskip(SKIP_3) | instid1(VALU_DEP_1)
	v_dual_max_num_f32 v4, v4, v5 :: v_dual_lshlrev_b32 v11, 2, v6
	ds_bpermute_b32 v5, v13, v4
	s_wait_dscnt 0x0
	v_max_num_f32_e32 v5, v5, v5
	v_max_num_f32_e32 v4, v4, v5
	ds_bpermute_b32 v5, v12, v4
	s_wait_dscnt 0x0
	v_max_num_f32_e32 v5, v5, v5
	s_delay_alu instid0(VALU_DEP_1)
	v_max_num_f32_e32 v1, v4, v5
	s_wait_loadcnt 0x2
	v_lshlrev_b32_e32 v5, 2, v175
	ds_bpermute_b32 v4, v11, v1
	s_wait_loadcnt 0x0
	v_cmp_eq_u32_e32 vcc_lo, 0, v0
	s_and_saveexec_b32 s0, vcc_lo
	s_cbranch_execz .LBB230_19
; %bb.18:
	s_wait_dscnt 0x0
	v_dual_max_num_f32 v0, v4, v4 :: v_dual_max_num_f32 v1, v1, v1
	s_delay_alu instid0(VALU_DEP_1)
	v_max_num_f32_e32 v0, v1, v0
	ds_store_b32 v5, v0 offset:480
.LBB230_19:
	s_or_b32 exec_lo, exec_lo, s0
	scratch_load_b32 v0, off, off offset:4  ; 4-byte Folded Reload
	v_mov_b32_e32 v1, 0xff7fffff
	s_wait_storecnt 0x0
	s_wait_loadcnt_dscnt 0x0
	s_barrier_signal -1
	s_barrier_wait -1
	global_inv scope:SCOPE_SE
	v_cmp_gt_u32_e64 s0, 4, v0
	s_and_saveexec_b32 s1, s0
; %bb.20:
	ds_load_b32 v1, v10 offset:480
; %bb.21:
	s_or_b32 exec_lo, exec_lo, s1
	s_wait_dscnt 0x0
	ds_bpermute_b32 v0, v12, v1
	v_max_num_f32_e32 v1, v1, v1
	s_sub_co_i32 s1, s35, s40
	v_lshl_add_u32 v4, v174, 2, 0x200
	s_lshl_b32 s1, s1, 5
	v_mov_b32_e32 v6, 0
	s_add_co_i32 s1, s1, s37
	s_delay_alu instid0(SALU_CYCLE_1) | instskip(NEXT) | instid1(SALU_CYCLE_1)
	s_min_i32 s1, s1, s34
	s_sub_co_i32 s4, s1, s37
	s_wait_alu 0xfffe
	v_cmp_gt_i32_e64 s1, s4, v174
	s_wait_dscnt 0x0
	v_max_num_f32_e32 v0, v0, v0
	s_delay_alu instid0(VALU_DEP_1) | instskip(SKIP_3) | instid1(VALU_DEP_1)
	v_max_num_f32_e32 v0, v1, v0
	ds_bpermute_b32 v1, v11, v0
	s_wait_dscnt 0x0
	v_max_num_f32_e32 v1, v1, v1
	v_max_num_f32_e32 v0, v0, v1
	ds_bpermute_b32 v1, v6, v0
	s_and_saveexec_b32 s18, s1
	s_cbranch_execz .LBB230_25
; %bb.22:
	v_lshl_add_u32 v7, v174, 2, 0x200
	v_mov_b32_e32 v6, 0
	v_mov_b32_e32 v8, v174
	s_mov_b32 s29, 0
.LBB230_23:                             ; =>This Inner Loop Header: Depth=1
	ds_load_b32 v0, v7
	v_add_nc_u32_e32 v8, 0x80, v8
	s_delay_alu instid0(VALU_DEP_1) | instskip(SKIP_4) | instid1(VALU_DEP_1)
	v_cmp_le_i32_e64 s3, s4, v8
	s_wait_alu 0xfffe
	s_or_b32 s29, s3, s29
	s_wait_dscnt 0x0
	v_sub_f32_e32 v0, v0, v1
	v_mul_f32_e32 v0, 0x3fb8aa3b, v0
	s_delay_alu instid0(VALU_DEP_1)
	v_exp_f32_e32 v0, v0
	ds_store_b32 v7, v0
	v_dual_add_f32 v6, v6, v0 :: v_dual_add_nc_u32 v7, 0x200, v7
	s_wait_alu 0xfffe
	s_and_not1_b32 exec_lo, exec_lo, s29
	s_cbranch_execnz .LBB230_23
; %bb.24:
	s_or_b32 exec_lo, exec_lo, s29
.LBB230_25:
	s_wait_alu 0xfffe
	s_or_b32 exec_lo, exec_lo, s18
	ds_bpermute_b32 v0, v2, v6
	s_wait_dscnt 0x0
	v_add_f32_e32 v0, v6, v0
	ds_bpermute_b32 v2, v3, v0
	s_wait_dscnt 0x0
	v_add_f32_e32 v0, v0, v2
	ds_bpermute_b32 v2, v13, v0
	s_wait_dscnt 0x0
	v_add_f32_e32 v0, v0, v2
	ds_bpermute_b32 v2, v12, v0
	s_wait_dscnt 0x0
	v_add_f32_e32 v0, v0, v2
	ds_bpermute_b32 v2, v11, v0
	s_wait_dscnt 0x0
	v_add_f32_e32 v2, v0, v2
	s_and_saveexec_b32 s3, vcc_lo
; %bb.26:
	ds_store_b32 v5, v2 offset:496
; %bb.27:
	s_wait_alu 0xfffe
	s_or_b32 exec_lo, exec_lo, s3
	s_wait_loadcnt_dscnt 0x0
	s_barrier_signal -1
	s_barrier_wait -1
	global_inv scope:SCOPE_SE
	s_and_saveexec_b32 s3, s0
; %bb.28:
	ds_load_b32 v2, v10 offset:496
; %bb.29:
	s_wait_alu 0xfffe
	s_or_b32 exec_lo, exec_lo, s3
	s_wait_dscnt 0x0
	ds_bpermute_b32 v0, v12, v2
	s_wait_dscnt 0x0
	v_add_f32_e32 v0, v2, v0
	ds_bpermute_b32 v2, v11, v0
	s_wait_dscnt 0x0
	v_add_f32_e32 v0, v0, v2
	v_mov_b32_e32 v2, 0
	ds_bpermute_b32 v2, v2, v0
	s_and_saveexec_b32 s0, s1
	s_cbranch_execz .LBB230_32
; %bb.30:
	s_wait_dscnt 0x0
	v_add_f32_e32 v0, 0x358637bd, v2
	s_mov_b32 s1, 0
	s_delay_alu instid0(VALU_DEP_1) | instskip(NEXT) | instid1(VALU_DEP_1)
	v_div_scale_f32 v3, null, v0, v0, 1.0
	v_rcp_f32_e32 v5, v3
	s_delay_alu instid0(TRANS32_DEP_1) | instskip(NEXT) | instid1(VALU_DEP_1)
	v_fma_f32 v6, -v3, v5, 1.0
	v_fmac_f32_e32 v5, v6, v5
	v_div_scale_f32 v7, vcc_lo, 1.0, v0, 1.0
	s_delay_alu instid0(VALU_DEP_1) | instskip(NEXT) | instid1(VALU_DEP_1)
	v_mul_f32_e32 v6, v7, v5
	v_fma_f32 v8, -v3, v6, v7
	s_delay_alu instid0(VALU_DEP_1) | instskip(NEXT) | instid1(VALU_DEP_1)
	v_fmac_f32_e32 v6, v8, v5
	v_fma_f32 v3, -v3, v6, v7
	s_wait_alu 0xfffd
	s_delay_alu instid0(VALU_DEP_1) | instskip(SKIP_1) | instid1(VALU_DEP_2)
	v_div_fmas_f32 v3, v3, v5, v6
	v_mov_b32_e32 v5, v174
	v_div_fixup_f32 v3, v3, v0, 1.0
.LBB230_31:                             ; =>This Inner Loop Header: Depth=1
	ds_load_b32 v0, v4
	s_wait_dscnt 0x0
	v_dual_mul_f32 v0, v3, v0 :: v_dual_add_nc_u32 v5, 0x80, v5
	s_delay_alu instid0(VALU_DEP_1) | instskip(SKIP_3) | instid1(SALU_CYCLE_1)
	v_cmp_le_i32_e32 vcc_lo, s4, v5
	ds_store_b32 v4, v0
	v_add_nc_u32_e32 v4, 0x200, v4
	s_or_b32 s1, vcc_lo, s1
	s_and_not1_b32 exec_lo, exec_lo, s1
	s_cbranch_execnz .LBB230_31
.LBB230_32:
	s_or_b32 exec_lo, exec_lo, s0
	s_mul_i32 s0, s7, s19
	s_wait_loadcnt_dscnt 0x0
	s_mul_i32 s18, s0, s36
	s_mov_b32 s0, exec_lo
	s_barrier_signal -1
	s_barrier_wait -1
	global_inv scope:SCOPE_SE
	v_cmpx_eq_u32_e32 0, v174
	s_cbranch_execz .LBB230_34
; %bb.33:
	s_wait_alu 0xfffe
	s_ashr_i32 s19, s18, 31
	s_mul_i32 s36, s7, ttmp9
	s_lshl_b32 s1, s33, 2
	s_wait_alu 0xfffe
	s_lshl_b64 s[40:41], s[18:19], 2
	s_ashr_i32 s37, s36, 31
	v_mov_b32_e32 v0, s1
	s_wait_kmcnt 0x0
	s_wait_alu 0xfffe
	s_add_nc_u64 s[14:15], s[14:15], s[40:41]
	s_lshl_b64 s[36:37], s[36:37], 2
	s_add_nc_u64 s[12:13], s[12:13], s[40:41]
	s_wait_alu 0xfffe
	s_add_nc_u64 s[14:15], s[14:15], s[36:37]
	s_add_nc_u64 s[12:13], s[12:13], s[36:37]
	s_clause 0x1
	global_store_b32 v0, v1, s[14:15]
	global_store_b32 v0, v2, s[12:13]
.LBB230_34:
	s_or_b32 exec_lo, exec_lo, s0
	v_dual_mov_b32 v43, 0 :: v_dual_and_b32 v128, 7, v174
	v_dual_mov_b32 v44, 0 :: v_dual_mov_b32 v41, 0
	v_dual_mov_b32 v42, 0 :: v_dual_mov_b32 v39, 0
	;; [unrolled: 1-line block ×14, first 2 shown]
	v_mov_b32_e32 v16, 0
	s_and_saveexec_b32 s1, s2
	s_cbranch_execz .LBB230_100
; %bb.35:
	s_abs_i32 s2, s6
	v_dual_mov_b32 v15, 0 :: v_dual_lshlrev_b32 v0, 2, v174
	s_wait_alu 0xfffe
	s_cvt_f32_u32 s0, s2
	s_wait_kmcnt 0x0
	s_lshl_b64 s[12:13], s[26:27], 2
	v_dual_mov_b32 v17, 0 :: v_dual_lshlrev_b32 v2, 4, v128
	s_wait_alu 0xfffe
	v_rcp_iflag_f32_e32 v1, s0
	s_add_nc_u64 s[12:13], s[24:25], s[12:13]
	s_ashr_i32 s29, s28, 31
	s_wait_alu 0xfffe
	v_add_co_u32 v5, s12, s12, v9
	s_wait_alu 0xf1ff
	v_add_co_ci_u32_e64 v6, null, s13, 0, s12
	v_dual_mov_b32 v18, 0 :: v_dual_and_b32 v45, 28, v0
	s_add_nc_u64 s[14:15], s[30:31], s[28:29]
	s_delay_alu instid0(TRANS32_DEP_1)
	v_readfirstlane_b32 s6, v1
	v_dual_mov_b32 v16, 0 :: v_dual_and_b32 v1, 0x7c, v0
	v_lshl_or_b32 v0, v175, 7, v2
	s_sub_co_i32 s0, 0, s2
	s_mul_f32 s6, s6, 0x4f7ffffe
	v_dual_mov_b32 v19, 0 :: v_dual_mov_b32 v20, 0
	v_mov_b32_e32 v21, 0
	s_delay_alu instid0(SALU_CYCLE_1) | instskip(SKIP_2) | instid1(VALU_DEP_1)
	s_cvt_u32_f32 s12, s6
	s_wait_alu 0xfffe
	v_add_co_u32 v7, s6, s14, v1
	v_add_co_ci_u32_e64 v8, null, s15, 0, s6
	s_mul_i32 s0, s0, s12
	v_add_nc_u32_e32 v46, 0x200, v0
	v_dual_mov_b32 v22, 0 :: v_dual_mov_b32 v23, 0
	v_dual_mov_b32 v24, 0 :: v_dual_mov_b32 v25, 0
	;; [unrolled: 1-line block ×11, first 2 shown]
	v_mov_b32_e32 v44, 0
	s_wait_alu 0xfffe
	s_mul_hi_u32 s0, s12, s0
	s_sub_co_i32 s3, s39, s5
	s_mov_b32 s4, s17
	s_add_co_i32 s5, s38, -1
	s_mov_b32 s6, 0
	s_wait_alu 0xfffe
	s_add_co_i32 s12, s12, s0
	s_branch .LBB230_38
.LBB230_36:                             ;   in Loop: Header=BB230_38 Depth=1
	s_wait_alu 0xfffe
	s_or_b32 exec_lo, exec_lo, s0
	s_wait_dscnt 0x0
	v_mul_f32_e32 v75, v1, v163
	v_mul_f32_e32 v77, v1, v155
	;; [unrolled: 1-line block ×5, first 2 shown]
	v_dual_fmac_f32 v75, v2, v162 :: v_dual_mul_f32 v76, v1, v159
	v_fmac_f32_e32 v77, v2, v154
	v_fmac_f32_e32 v0, v2, v170
	s_delay_alu instid0(VALU_DEP_3) | instskip(NEXT) | instid1(VALU_DEP_3)
	v_dual_fmac_f32 v14, v2, v166 :: v_dual_fmac_f32 v75, v3, v161
	v_dual_fmac_f32 v76, v2, v158 :: v_dual_fmac_f32 v77, v3, v153
	s_delay_alu instid0(VALU_DEP_3) | instskip(NEXT) | instid1(VALU_DEP_3)
	v_fmac_f32_e32 v0, v3, v169
	v_dual_fmac_f32 v14, v3, v165 :: v_dual_fmac_f32 v75, v4, v160
	s_delay_alu instid0(VALU_DEP_3) | instskip(NEXT) | instid1(VALU_DEP_3)
	v_dual_fmac_f32 v70, v2, v69 :: v_dual_fmac_f32 v77, v4, v138
	v_fmac_f32_e32 v0, v4, v168
	s_delay_alu instid0(VALU_DEP_3) | instskip(NEXT) | instid1(VALU_DEP_4)
	v_fmac_f32_e32 v14, v4, v164
	v_dual_add_f32 v18, v18, v75 :: v_dual_mul_f32 v75, v1, v142
	s_delay_alu instid0(VALU_DEP_4) | instskip(SKIP_1) | instid1(VALU_DEP_4)
	v_add_f32_e32 v20, v20, v77
	v_mul_f32_e32 v77, v1, v133
	v_dual_fmac_f32 v76, v3, v157 :: v_dual_add_f32 v17, v17, v14
	s_delay_alu instid0(VALU_DEP_4) | instskip(NEXT) | instid1(VALU_DEP_3)
	v_dual_fmac_f32 v75, v2, v141 :: v_dual_mul_f32 v14, v1, v146
	v_fmac_f32_e32 v77, v2, v132
	s_delay_alu instid0(VALU_DEP_3) | instskip(SKIP_1) | instid1(VALU_DEP_4)
	v_fmac_f32_e32 v76, v4, v156
	v_add_f32_e32 v16, v16, v0
	v_fmac_f32_e32 v75, v3, v140
	s_delay_alu instid0(VALU_DEP_4) | instskip(NEXT) | instid1(VALU_DEP_4)
	v_dual_mul_f32 v0, v1, v152 :: v_dual_fmac_f32 v77, v3, v131
	v_dual_add_f32 v19, v19, v76 :: v_dual_mul_f32 v76, v1, v137
	s_delay_alu instid0(VALU_DEP_2) | instskip(NEXT) | instid1(VALU_DEP_3)
	v_dual_fmac_f32 v75, v4, v139 :: v_dual_fmac_f32 v0, v2, v149
	v_dual_fmac_f32 v77, v4, v127 :: v_dual_fmac_f32 v70, v3, v68
	s_delay_alu instid0(VALU_DEP_2) | instskip(NEXT) | instid1(VALU_DEP_3)
	v_dual_fmac_f32 v76, v2, v136 :: v_dual_add_f32 v23, v23, v75
	v_dual_fmac_f32 v0, v3, v148 :: v_dual_mul_f32 v75, v1, v118
	s_delay_alu instid0(VALU_DEP_2) | instskip(NEXT) | instid1(VALU_DEP_4)
	v_dual_add_f32 v25, v25, v77 :: v_dual_fmac_f32 v76, v3, v135
	v_fmac_f32_e32 v70, v4, v67
	s_delay_alu instid0(VALU_DEP_3)
	v_fmac_f32_e32 v0, v4, v147
	v_fmac_f32_e32 v14, v2, v145
	;; [unrolled: 1-line block ×3, first 2 shown]
	v_mul_f32_e32 v77, v1, v110
	v_mul_f32_e32 v50, v1, v50
	v_add_f32_e32 v21, v21, v0
	v_fmac_f32_e32 v14, v3, v144
	v_dual_mul_f32 v74, v1, v74 :: v_dual_fmac_f32 v75, v3, v116
	v_dual_fmac_f32 v77, v2, v109 :: v_dual_fmac_f32 v76, v4, v134
	s_delay_alu instid0(VALU_DEP_3) | instskip(NEXT) | instid1(VALU_DEP_3)
	v_fmac_f32_e32 v14, v4, v143
	v_dual_fmac_f32 v50, v2, v49 :: v_dual_fmac_f32 v75, v4, v115
	s_delay_alu instid0(VALU_DEP_3) | instskip(NEXT) | instid1(VALU_DEP_3)
	v_dual_fmac_f32 v77, v3, v108 :: v_dual_mul_f32 v0, v1, v126
	v_add_f32_e32 v22, v22, v14
	s_delay_alu instid0(VALU_DEP_3) | instskip(NEXT) | instid1(VALU_DEP_4)
	v_fmac_f32_e32 v50, v3, v48
	v_dual_add_f32 v28, v28, v75 :: v_dual_mul_f32 v75, v1, v98
	s_delay_alu instid0(VALU_DEP_4) | instskip(NEXT) | instid1(VALU_DEP_3)
	v_dual_mul_f32 v14, v1, v122 :: v_dual_fmac_f32 v77, v4, v107
	v_fmac_f32_e32 v50, v4, v47
	s_delay_alu instid0(VALU_DEP_3) | instskip(NEXT) | instid1(VALU_DEP_3)
	v_dual_mul_f32 v66, v1, v66 :: v_dual_fmac_f32 v75, v2, v97
	v_fmac_f32_e32 v14, v2, v121
	s_delay_alu instid0(VALU_DEP_4) | instskip(SKIP_2) | instid1(VALU_DEP_4)
	v_dual_add_f32 v30, v30, v77 :: v_dual_add_f32 v39, v39, v70
	v_mul_f32_e32 v77, v1, v90
	v_mul_f32_e32 v54, v1, v54
	v_fmac_f32_e32 v14, v3, v120
	v_fmac_f32_e32 v74, v2, v73
	;; [unrolled: 1-line block ×6, first 2 shown]
	v_add_f32_e32 v24, v24, v76
	v_dual_mul_f32 v76, v1, v114 :: v_dual_fmac_f32 v75, v3, v96
	v_fmac_f32_e32 v74, v3, v72
	v_fmac_f32_e32 v66, v3, v64
	;; [unrolled: 1-line block ×3, first 2 shown]
	s_delay_alu instid0(VALU_DEP_4) | instskip(NEXT) | instid1(VALU_DEP_4)
	v_dual_fmac_f32 v76, v2, v113 :: v_dual_fmac_f32 v75, v4, v95
	v_fmac_f32_e32 v74, v4, v71
	s_delay_alu instid0(VALU_DEP_4) | instskip(NEXT) | instid1(VALU_DEP_4)
	v_fmac_f32_e32 v66, v4, v63
	v_fmac_f32_e32 v54, v4, v51
	s_delay_alu instid0(VALU_DEP_4) | instskip(NEXT) | instid1(VALU_DEP_4)
	v_dual_fmac_f32 v76, v3, v112 :: v_dual_add_f32 v33, v33, v75
	v_dual_fmac_f32 v77, v3, v88 :: v_dual_add_f32 v38, v38, v74
	s_delay_alu instid0(VALU_DEP_4) | instskip(NEXT) | instid1(VALU_DEP_3)
	v_add_f32_e32 v40, v40, v66
	v_fmac_f32_e32 v76, v4, v111
	v_fmac_f32_e32 v0, v2, v125
	v_add_f32_e32 v44, v44, v54
	v_fmac_f32_e32 v77, v4, v87
	v_add_f32_e32 v43, v43, v50
	v_add_f32_e32 v29, v29, v76
	v_fmac_f32_e32 v0, v3, v124
	s_delay_alu instid0(VALU_DEP_4) | instskip(NEXT) | instid1(VALU_DEP_2)
	v_dual_mul_f32 v76, v1, v94 :: v_dual_add_f32 v35, v35, v77
	v_fmac_f32_e32 v0, v4, v123
	s_delay_alu instid0(VALU_DEP_1) | instskip(SKIP_1) | instid1(VALU_DEP_1)
	v_add_f32_e32 v26, v26, v0
	v_mul_f32_e32 v0, v1, v106
	v_fmac_f32_e32 v0, v2, v105
	s_delay_alu instid0(VALU_DEP_1) | instskip(NEXT) | instid1(VALU_DEP_1)
	v_fmac_f32_e32 v0, v3, v104
	v_fmac_f32_e32 v0, v4, v103
	s_delay_alu instid0(VALU_DEP_1) | instskip(SKIP_3) | instid1(VALU_DEP_2)
	v_add_f32_e32 v31, v31, v0
	v_add_f32_e32 v27, v27, v14
	v_mul_f32_e32 v14, v1, v102
	v_mul_f32_e32 v0, v1, v86
	v_fmac_f32_e32 v14, v2, v101
	s_delay_alu instid0(VALU_DEP_2) | instskip(NEXT) | instid1(VALU_DEP_2)
	v_fmac_f32_e32 v0, v2, v85
	v_fmac_f32_e32 v14, v3, v100
	s_delay_alu instid0(VALU_DEP_2) | instskip(NEXT) | instid1(VALU_DEP_2)
	v_fmac_f32_e32 v0, v3, v84
	;; [unrolled: 3-line block ×3, first 2 shown]
	v_add_f32_e32 v32, v32, v14
	v_mul_f32_e32 v14, v1, v82
	s_delay_alu instid0(VALU_DEP_3) | instskip(SKIP_1) | instid1(VALU_DEP_3)
	v_add_f32_e32 v36, v36, v0
	v_mul_f32_e32 v0, v1, v62
	v_fmac_f32_e32 v14, v2, v81
	s_delay_alu instid0(VALU_DEP_2) | instskip(NEXT) | instid1(VALU_DEP_2)
	v_fmac_f32_e32 v0, v2, v61
	v_fmac_f32_e32 v14, v3, v80
	s_delay_alu instid0(VALU_DEP_2) | instskip(NEXT) | instid1(VALU_DEP_2)
	v_fmac_f32_e32 v0, v3, v60
	;; [unrolled: 3-line block ×3, first 2 shown]
	v_dual_fmac_f32 v76, v2, v93 :: v_dual_add_f32 v37, v37, v14
	v_mul_f32_e32 v14, v1, v58
	v_mul_f32_e32 v1, v1, v151
	s_delay_alu instid0(VALU_DEP_4) | instskip(NEXT) | instid1(VALU_DEP_4)
	v_add_f32_e32 v41, v41, v0
	v_fmac_f32_e32 v76, v3, v92
	s_delay_alu instid0(VALU_DEP_4) | instskip(NEXT) | instid1(VALU_DEP_2)
	v_fmac_f32_e32 v14, v2, v57
	v_dual_fmac_f32 v1, v2, v150 :: v_dual_fmac_f32 v76, v4, v91
	s_delay_alu instid0(VALU_DEP_2) | instskip(NEXT) | instid1(VALU_DEP_2)
	v_fmac_f32_e32 v14, v3, v56
	v_dual_fmac_f32 v1, v3, v10 :: v_dual_add_f32 v34, v34, v76
	s_delay_alu instid0(VALU_DEP_2) | instskip(NEXT) | instid1(VALU_DEP_1)
	v_fmac_f32_e32 v14, v4, v55
	v_dual_fmac_f32 v1, v4, v9 :: v_dual_add_f32 v42, v42, v14
	s_delay_alu instid0(VALU_DEP_1)
	v_add_f32_e32 v15, v15, v1
.LBB230_37:                             ;   in Loop: Header=BB230_38 Depth=1
	s_wait_alu 0xfffe
	s_or_b32 exec_lo, exec_lo, s13
	v_add_nc_u32_e32 v130, 4, v130
	v_add_co_u32 v5, s0, v5, 16
	s_wait_alu 0xf1ff
	v_add_co_ci_u32_e64 v6, null, 0, v6, s0
	s_delay_alu instid0(VALU_DEP_3)
	v_cmp_le_i32_e32 vcc_lo, s35, v130
	v_add_nc_u32_e32 v129, 0x80, v129
	v_add_nc_u32_e32 v46, 0x200, v46
	s_or_b32 s6, vcc_lo, s6
	s_wait_alu 0xfffe
	s_and_not1_b32 exec_lo, exec_lo, s6
	s_cbranch_execz .LBB230_99
.LBB230_38:                             ; =>This Inner Loop Header: Depth=1
	v_sub_nc_u32_e32 v0, 0, v129
	s_delay_alu instid0(VALU_DEP_1) | instskip(NEXT) | instid1(VALU_DEP_1)
	v_max_i32_e32 v0, v129, v0
	v_mul_hi_u32 v1, v0, s22
	s_delay_alu instid0(VALU_DEP_1) | instskip(NEXT) | instid1(VALU_DEP_1)
	v_mul_lo_u32 v2, v1, s16
	v_sub_nc_u32_e32 v0, v0, v2
	v_add_nc_u32_e32 v2, 1, v1
	s_delay_alu instid0(VALU_DEP_2) | instskip(SKIP_2) | instid1(VALU_DEP_2)
	v_subrev_nc_u32_e32 v3, s16, v0
	v_cmp_le_u32_e32 vcc_lo, s16, v0
	s_wait_alu 0xfffd
	v_dual_cndmask_b32 v1, v1, v2 :: v_dual_cndmask_b32 v0, v0, v3
	v_ashrrev_i32_e32 v2, 31, v129
	s_delay_alu instid0(VALU_DEP_2) | instskip(NEXT) | instid1(VALU_DEP_3)
	v_add_nc_u32_e32 v3, 1, v1
	v_cmp_le_u32_e32 vcc_lo, s16, v0
	s_delay_alu instid0(VALU_DEP_3) | instskip(SKIP_1) | instid1(VALU_DEP_3)
	v_xor_b32_e32 v2, s23, v2
	s_wait_alu 0xfffd
	v_cndmask_b32_e32 v0, v1, v3, vcc_lo
	s_delay_alu instid0(VALU_DEP_1) | instskip(NEXT) | instid1(VALU_DEP_1)
	v_xor_b32_e32 v0, v0, v2
	v_sub_nc_u32_e32 v0, v0, v2
	s_delay_alu instid0(VALU_DEP_1) | instskip(SKIP_1) | instid1(VALU_DEP_2)
	v_add_nc_u32_e32 v1, s21, v0
	v_cmp_lt_i32_e64 s0, s3, v0
	v_sub_nc_u32_e32 v2, 0, v1
	s_delay_alu instid0(VALU_DEP_1) | instskip(SKIP_1) | instid1(VALU_DEP_1)
	v_max_i32_e32 v2, v1, v2
	s_wait_alu 0xfffe
	v_mul_hi_u32 v3, v2, s12
	s_delay_alu instid0(VALU_DEP_1) | instskip(NEXT) | instid1(VALU_DEP_1)
	v_mul_lo_u32 v3, v3, s2
	v_sub_nc_u32_e32 v2, v2, v3
	s_delay_alu instid0(VALU_DEP_1) | instskip(SKIP_2) | instid1(VALU_DEP_2)
	v_subrev_nc_u32_e32 v3, s2, v2
	v_cmp_le_u32_e32 vcc_lo, s2, v2
	s_wait_alu 0xfffd
	v_cndmask_b32_e32 v2, v2, v3, vcc_lo
	v_ashrrev_i32_e32 v1, 31, v1
	s_delay_alu instid0(VALU_DEP_2) | instskip(SKIP_2) | instid1(VALU_DEP_2)
	v_subrev_nc_u32_e32 v3, s2, v2
	v_cmp_le_u32_e32 vcc_lo, s2, v2
	s_wait_alu 0xfffd
	v_cndmask_b32_e32 v2, v2, v3, vcc_lo
	s_delay_alu instid0(VALU_DEP_1) | instskip(NEXT) | instid1(VALU_DEP_1)
	v_xor_b32_e32 v2, v2, v1
	v_sub_nc_u32_e32 v1, v2, v1
	s_delay_alu instid0(VALU_DEP_1)
	v_cmp_eq_u32_e32 vcc_lo, 0, v1
	s_or_b32 s0, vcc_lo, s0
	s_wait_alu 0xfffe
	s_and_saveexec_b32 s13, s0
	s_cbranch_execz .LBB230_37
; %bb.39:                               ;   in Loop: Header=BB230_38 Depth=1
	global_load_b32 v0, v[5:6], off
	s_load_b32 s14, s[10:11], 0x0
	ds_load_b128 v[1:4], v46
	v_cmp_eq_u32_e32 vcc_lo, s5, v130
	s_wait_loadcnt 0x0
	v_mad_co_i64_i32 v[9:10], null, v0, s4, v[7:8]
	global_load_b32 v0, v[9:10], off
	s_wait_loadcnt 0x0
	v_and_b32_e32 v47, 0xffff, v0
	v_lshrrev_b32_e32 v0, 16, v0
	s_delay_alu instid0(VALU_DEP_2) | instskip(SKIP_1) | instid1(VALU_DEP_3)
	v_cvt_pk_f32_fp8_e32 v[47:48], v47
	v_add_nc_u32_e32 v75, v45, v129
	v_cvt_pk_f32_fp8_e32 v[51:52], v0
	s_wait_kmcnt 0x0
	s_delay_alu instid0(VALU_DEP_3) | instskip(NEXT) | instid1(VALU_DEP_3)
	v_mul_f32_e32 v50, s14, v47
	v_add_nc_u32_e32 v77, 1, v75
	v_dual_mul_f32 v49, s14, v48 :: v_dual_add_nc_u32 v76, 2, v75
	v_dual_mul_f32 v48, s14, v51 :: v_dual_mul_f32 v47, s14, v52
	v_add_nc_u32_e32 v78, 3, v75
	s_and_saveexec_b32 s15, vcc_lo
	s_cbranch_execz .LBB230_41
; %bb.40:                               ;   in Loop: Header=BB230_38 Depth=1
	v_cmp_gt_i32_e64 s0, s34, v75
	s_wait_alu 0xf1ff
	s_delay_alu instid0(VALU_DEP_1) | instskip(SKIP_2) | instid1(VALU_DEP_1)
	v_cndmask_b32_e64 v50, 0, v50, s0
	v_cmp_gt_i32_e64 s0, s34, v77
	s_wait_alu 0xf1ff
	v_cndmask_b32_e64 v49, 0, v49, s0
	v_cmp_gt_i32_e64 s0, s34, v76
	s_wait_alu 0xf1ff
	s_delay_alu instid0(VALU_DEP_1) | instskip(SKIP_2) | instid1(VALU_DEP_1)
	v_cndmask_b32_e64 v48, 0, v48, s0
	v_cmp_gt_i32_e64 s0, s34, v78
	s_wait_alu 0xf1ff
	v_cndmask_b32_e64 v47, 0, v47, s0
.LBB230_41:                             ;   in Loop: Header=BB230_38 Depth=1
	s_wait_alu 0xfffe
	s_or_b32 exec_lo, exec_lo, s15
	global_load_b32 v0, v[9:10], off offset:128
	s_mov_b32 s15, s14
	s_wait_loadcnt 0x0
	v_and_b32_e32 v51, 0xffff, v0
	v_lshrrev_b32_e32 v0, 16, v0
	s_delay_alu instid0(VALU_DEP_2) | instskip(NEXT) | instid1(VALU_DEP_2)
	v_cvt_pk_f32_fp8_e32 v[51:52], v51
	v_cvt_pk_f32_fp8_e32 v[55:56], v0
	s_wait_alu 0xfffe
	s_delay_alu instid0(VALU_DEP_2) | instskip(NEXT) | instid1(VALU_DEP_2)
	v_dual_mul_f32 v54, s14, v51 :: v_dual_mul_f32 v53, s15, v52
	v_dual_mul_f32 v52, s14, v55 :: v_dual_mul_f32 v51, s15, v56
	s_and_saveexec_b32 s17, vcc_lo
	s_cbranch_execz .LBB230_43
; %bb.42:                               ;   in Loop: Header=BB230_38 Depth=1
	v_cmp_gt_i32_e64 s0, s34, v75
	s_wait_alu 0xf1ff
	s_delay_alu instid0(VALU_DEP_1) | instskip(SKIP_2) | instid1(VALU_DEP_1)
	v_cndmask_b32_e64 v54, 0, v54, s0
	v_cmp_gt_i32_e64 s0, s34, v77
	s_wait_alu 0xf1ff
	v_cndmask_b32_e64 v53, 0, v53, s0
	v_cmp_gt_i32_e64 s0, s34, v76
	s_wait_alu 0xf1ff
	s_delay_alu instid0(VALU_DEP_1) | instskip(SKIP_2) | instid1(VALU_DEP_1)
	v_cndmask_b32_e64 v52, 0, v52, s0
	v_cmp_gt_i32_e64 s0, s34, v78
	s_wait_alu 0xf1ff
	v_cndmask_b32_e64 v51, 0, v51, s0
.LBB230_43:                             ;   in Loop: Header=BB230_38 Depth=1
	s_wait_alu 0xfffe
	s_or_b32 exec_lo, exec_lo, s17
	global_load_b32 v0, v[9:10], off offset:256
	s_wait_loadcnt 0x0
	v_and_b32_e32 v55, 0xffff, v0
	v_lshrrev_b32_e32 v0, 16, v0
	s_delay_alu instid0(VALU_DEP_2) | instskip(NEXT) | instid1(VALU_DEP_2)
	v_cvt_pk_f32_fp8_e32 v[55:56], v55
	v_cvt_pk_f32_fp8_e32 v[59:60], v0
	s_delay_alu instid0(VALU_DEP_2) | instskip(NEXT) | instid1(VALU_DEP_2)
	v_dual_mul_f32 v58, s14, v55 :: v_dual_mul_f32 v57, s15, v56
	v_dual_mul_f32 v56, s14, v59 :: v_dual_mul_f32 v55, s15, v60
	s_and_saveexec_b32 s17, vcc_lo
	s_cbranch_execz .LBB230_45
; %bb.44:                               ;   in Loop: Header=BB230_38 Depth=1
	v_cmp_gt_i32_e64 s0, s34, v75
	s_wait_alu 0xf1ff
	s_delay_alu instid0(VALU_DEP_1) | instskip(SKIP_2) | instid1(VALU_DEP_1)
	v_cndmask_b32_e64 v58, 0, v58, s0
	v_cmp_gt_i32_e64 s0, s34, v77
	s_wait_alu 0xf1ff
	v_cndmask_b32_e64 v57, 0, v57, s0
	v_cmp_gt_i32_e64 s0, s34, v76
	s_wait_alu 0xf1ff
	s_delay_alu instid0(VALU_DEP_1) | instskip(SKIP_2) | instid1(VALU_DEP_1)
	v_cndmask_b32_e64 v56, 0, v56, s0
	v_cmp_gt_i32_e64 s0, s34, v78
	s_wait_alu 0xf1ff
	v_cndmask_b32_e64 v55, 0, v55, s0
.LBB230_45:                             ;   in Loop: Header=BB230_38 Depth=1
	s_wait_alu 0xfffe
	s_or_b32 exec_lo, exec_lo, s17
	global_load_b32 v0, v[9:10], off offset:384
	s_wait_loadcnt 0x0
	v_and_b32_e32 v59, 0xffff, v0
	v_lshrrev_b32_e32 v0, 16, v0
	s_delay_alu instid0(VALU_DEP_2) | instskip(NEXT) | instid1(VALU_DEP_2)
	v_cvt_pk_f32_fp8_e32 v[59:60], v59
	v_cvt_pk_f32_fp8_e32 v[63:64], v0
	;; [unrolled: 30-line block ×18, first 2 shown]
	s_delay_alu instid0(VALU_DEP_2) | instskip(NEXT) | instid1(VALU_DEP_2)
	v_dual_mul_f32 v133, s14, v131 :: v_dual_mul_f32 v132, s15, v132
	v_mul_f32_e32 v131, s14, v134
	s_delay_alu instid0(VALU_DEP_3)
	v_mul_f32_e32 v127, s15, v135
	s_and_saveexec_b32 s17, vcc_lo
	s_cbranch_execz .LBB230_79
; %bb.78:                               ;   in Loop: Header=BB230_38 Depth=1
	v_cmp_gt_i32_e64 s0, s34, v75
	s_wait_alu 0xf1ff
	s_delay_alu instid0(VALU_DEP_1) | instskip(SKIP_2) | instid1(VALU_DEP_1)
	v_cndmask_b32_e64 v133, 0, v133, s0
	v_cmp_gt_i32_e64 s0, s34, v77
	s_wait_alu 0xf1ff
	v_cndmask_b32_e64 v132, 0, v132, s0
	v_cmp_gt_i32_e64 s0, s34, v76
	s_wait_alu 0xf1ff
	s_delay_alu instid0(VALU_DEP_1) | instskip(SKIP_2) | instid1(VALU_DEP_1)
	v_cndmask_b32_e64 v131, 0, v131, s0
	v_cmp_gt_i32_e64 s0, s34, v78
	s_wait_alu 0xf1ff
	v_cndmask_b32_e64 v127, 0, v127, s0
.LBB230_79:                             ;   in Loop: Header=BB230_38 Depth=1
	s_wait_alu 0xfffe
	s_or_b32 exec_lo, exec_lo, s17
	global_load_b32 v0, v[9:10], off offset:2560
	s_wait_loadcnt 0x0
	v_and_b32_e32 v14, 0xffff, v0
	v_lshrrev_b32_e32 v0, 16, v0
	s_delay_alu instid0(VALU_DEP_2) | instskip(NEXT) | instid1(VALU_DEP_2)
	v_cvt_pk_f32_fp8_e32 v[134:135], v14
	v_cvt_pk_f32_fp8_e32 v[138:139], v0
	s_delay_alu instid0(VALU_DEP_2) | instskip(NEXT) | instid1(VALU_DEP_2)
	v_dual_mul_f32 v137, s14, v134 :: v_dual_mul_f32 v136, s15, v135
	v_dual_mul_f32 v135, s14, v138 :: v_dual_mul_f32 v134, s15, v139
	s_and_saveexec_b32 s17, vcc_lo
	s_cbranch_execz .LBB230_81
; %bb.80:                               ;   in Loop: Header=BB230_38 Depth=1
	v_cmp_gt_i32_e64 s0, s34, v75
	s_wait_alu 0xf1ff
	s_delay_alu instid0(VALU_DEP_1) | instskip(SKIP_2) | instid1(VALU_DEP_1)
	v_cndmask_b32_e64 v137, 0, v137, s0
	v_cmp_gt_i32_e64 s0, s34, v77
	s_wait_alu 0xf1ff
	v_cndmask_b32_e64 v136, 0, v136, s0
	v_cmp_gt_i32_e64 s0, s34, v76
	s_wait_alu 0xf1ff
	s_delay_alu instid0(VALU_DEP_1) | instskip(SKIP_2) | instid1(VALU_DEP_1)
	v_cndmask_b32_e64 v135, 0, v135, s0
	v_cmp_gt_i32_e64 s0, s34, v78
	s_wait_alu 0xf1ff
	v_cndmask_b32_e64 v134, 0, v134, s0
.LBB230_81:                             ;   in Loop: Header=BB230_38 Depth=1
	s_wait_alu 0xfffe
	s_or_b32 exec_lo, exec_lo, s17
	global_load_b32 v0, v[9:10], off offset:2688
	s_wait_loadcnt 0x0
	v_and_b32_e32 v14, 0xffff, v0
	v_lshrrev_b32_e32 v0, 16, v0
	s_delay_alu instid0(VALU_DEP_2) | instskip(NEXT) | instid1(VALU_DEP_2)
	v_cvt_pk_f32_fp8_e32 v[138:139], v14
	v_cvt_pk_f32_fp8_e32 v[143:144], v0
	s_delay_alu instid0(VALU_DEP_2) | instskip(NEXT) | instid1(VALU_DEP_2)
	v_dual_mul_f32 v142, s14, v138 :: v_dual_mul_f32 v141, s15, v139
	v_dual_mul_f32 v140, s14, v143 :: v_dual_mul_f32 v139, s15, v144
	;; [unrolled: 30-line block ×10, first 2 shown]
	s_and_saveexec_b32 s0, vcc_lo
	s_cbranch_execz .LBB230_36
; %bb.98:                               ;   in Loop: Header=BB230_38 Depth=1
	v_cmp_gt_i32_e32 vcc_lo, s34, v75
	s_wait_alu 0xfffd
	v_cndmask_b32_e32 v151, 0, v151, vcc_lo
	v_cmp_gt_i32_e32 vcc_lo, s34, v77
	s_wait_alu 0xfffd
	v_cndmask_b32_e32 v150, 0, v150, vcc_lo
	;; [unrolled: 3-line block ×4, first 2 shown]
	s_branch .LBB230_36
.LBB230_99:
	s_or_b32 exec_lo, exec_lo, s6
.LBB230_100:
	s_wait_alu 0xfffe
	s_or_b32 exec_lo, exec_lo, s1
	ds_bpermute_b32 v0, v13, v43
	ds_bpermute_b32 v1, v13, v44
	;; [unrolled: 1-line block ×16, first 2 shown]
	s_mov_b32 s0, exec_lo
	s_wait_dscnt 0xe
	v_dual_add_f32 v0, v43, v0 :: v_dual_add_f32 v1, v44, v1
	s_wait_dscnt 0xc
	v_dual_add_f32 v2, v42, v2 :: v_dual_add_f32 v3, v41, v3
	;; [unrolled: 2-line block ×5, first 2 shown]
	ds_bpermute_b32 v36, v12, v0
	ds_bpermute_b32 v37, v12, v1
	;; [unrolled: 1-line block ×9, first 2 shown]
	s_wait_dscnt 0xc
	v_dual_add_f32 v10, v34, v10 :: v_dual_add_f32 v33, v33, v45
	ds_bpermute_b32 v42, v12, v6
	ds_bpermute_b32 v44, v12, v8
	v_add_f32_e32 v32, v32, v46
	s_wait_dscnt 0xc
	v_dual_add_f32 v30, v30, v47 :: v_dual_add_f32 v29, v29, v48
	ds_bpermute_b32 v48, v13, v19
	s_wait_dscnt 0xb
	v_add_f32_e32 v0, v0, v36
	s_wait_dscnt 0xa
	v_add_f32_e32 v34, v1, v37
	s_wait_dscnt 0x8
	v_dual_add_f32 v36, v2, v38 :: v_dual_add_f32 v37, v3, v39
	s_wait_dscnt 0x7
	v_add_f32_e32 v39, v5, v41
	s_wait_dscnt 0x6
	v_add_f32_e32 v41, v7, v43
	ds_bpermute_b32 v2, v11, v34
	s_wait_dscnt 0x6
	v_add_f32_e32 v43, v9, v49
	ds_bpermute_b32 v3, v11, v36
	s_wait_dscnt 0x5
	v_dual_add_f32 v38, v4, v40 :: v_dual_add_f32 v31, v31, v35
	ds_bpermute_b32 v1, v11, v0
	s_wait_dscnt 0x5
	v_add_f32_e32 v40, v6, v42
	ds_bpermute_b32 v6, v11, v39
	ds_bpermute_b32 v5, v11, v38
	s_wait_dscnt 0x6
	v_add_f32_e32 v42, v8, v44
	ds_bpermute_b32 v44, v12, v10
	ds_bpermute_b32 v35, v12, v33
	;; [unrolled: 1-line block ×8, first 2 shown]
	s_wait_dscnt 0xc
	v_dual_add_f32 v19, v19, v48 :: v_dual_add_f32 v2, v34, v2
	s_wait_dscnt 0xb
	v_add_f32_e32 v3, v36, v3
	ds_bpermute_b32 v36, v12, v29
	v_add_f32_e32 v28, v28, v50
	s_wait_dscnt 0xb
	v_add_f32_e32 v1, v0, v1
	ds_bpermute_b32 v7, v11, v40
	ds_bpermute_b32 v0, v13, v27
	s_wait_dscnt 0xb
	v_add_f32_e32 v5, v38, v5
	ds_bpermute_b32 v9, v11, v42
	v_add_f32_e32 v6, v39, v6
	s_wait_dscnt 0xa
	v_dual_add_f32 v34, v10, v44 :: v_dual_add_f32 v33, v33, v35
	ds_bpermute_b32 v35, v13, v26
	s_wait_dscnt 0xa
	v_add_f32_e32 v4, v37, v4
	s_wait_dscnt 0x6
	v_dual_add_f32 v8, v41, v8 :: v_dual_add_f32 v31, v31, v47
	ds_bpermute_b32 v47, v13, v20
	ds_bpermute_b32 v50, v13, v16
	;; [unrolled: 1-line block ×5, first 2 shown]
	s_wait_dscnt 0x9
	v_add_f32_e32 v29, v29, v36
	ds_bpermute_b32 v39, v12, v28
	ds_bpermute_b32 v36, v13, v21
	s_wait_dscnt 0xa
	v_add_f32_e32 v7, v40, v7
	ds_bpermute_b32 v40, v13, v25
	s_wait_dscnt 0x9
	v_dual_add_f32 v32, v32, v46 :: v_dual_add_f32 v9, v42, v9
	ds_bpermute_b32 v42, v13, v23
	ds_bpermute_b32 v46, v13, v22
	v_add_f32_e32 v10, v43, v45
	s_wait_dscnt 0xa
	v_add_f32_e32 v26, v26, v35
	ds_bpermute_b32 v35, v13, v18
	v_add_f32_e32 v30, v30, v49
	ds_bpermute_b32 v49, v11, v29
	ds_bpermute_b32 v43, v11, v31
	s_wait_dscnt 0x9
	v_add_f32_e32 v48, v19, v48
	s_wait_dscnt 0x7
	v_add_f32_e32 v28, v28, v39
	ds_bpermute_b32 v39, v13, v17
	v_add_f32_e32 v0, v27, v0
	ds_bpermute_b32 v27, v13, v24
	s_wait_dscnt 0x7
	v_add_f32_e32 v25, v25, v40
	ds_bpermute_b32 v13, v13, v15
	s_wait_dscnt 0x7
	v_add_f32_e32 v23, v23, v42
	v_add_f32_e32 v21, v21, v36
	ds_bpermute_b32 v40, v12, v26
	ds_bpermute_b32 v41, v11, v32
	s_wait_dscnt 0x7
	v_add_f32_e32 v18, v18, v35
	ds_bpermute_b32 v45, v11, v30
	ds_bpermute_b32 v35, v12, v21
	v_add_f32_e32 v22, v22, v46
	ds_bpermute_b32 v46, v12, v23
	s_wait_dscnt 0x7
	v_add_f32_e32 v17, v17, v39
	ds_bpermute_b32 v44, v12, v0
	s_wait_dscnt 0x7
	v_add_f32_e32 v24, v24, v27
	ds_bpermute_b32 v27, v12, v25
	ds_bpermute_b32 v39, v12, v18
	s_wait_dscnt 0x8
	v_dual_add_f32 v16, v16, v50 :: v_dual_add_f32 v13, v15, v13
	v_add_f32_e32 v20, v20, v47
	ds_bpermute_b32 v15, v12, v17
	ds_bpermute_b32 v42, v11, v28
	s_wait_dscnt 0x6
	v_add_f32_e32 v35, v21, v35
	ds_bpermute_b32 v36, v12, v22
	ds_bpermute_b32 v47, v12, v20
	s_wait_dscnt 0x7
	;; [unrolled: 4-line block ×3, first 2 shown]
	v_add_f32_e32 v0, v0, v44
	ds_bpermute_b32 v44, v12, v24
	s_wait_dscnt 0x8
	v_add_f32_e32 v25, v25, v27
	ds_bpermute_b32 v27, v12, v16
	ds_bpermute_b32 v12, v12, v13
	;; [unrolled: 1-line block ×3, first 2 shown]
	s_wait_dscnt 0x7
	v_add_f32_e32 v36, v22, v36
	ds_bpermute_b32 v52, v11, v36
	s_wait_dscnt 0x4
	v_dual_add_f32 v23, v23, v51 :: v_dual_add_f32 v24, v24, v44
	s_wait_dscnt 0x2
	v_add_f32_e32 v59, v13, v12
	v_dual_add_f32 v26, v26, v40 :: v_dual_add_f32 v47, v20, v47
	ds_bpermute_b32 v40, v11, v0
	v_add_f32_e32 v56, v17, v15
	v_add_f32_e32 v13, v33, v38
	;; [unrolled: 1-line block ×3, first 2 shown]
	s_wait_dscnt 0x2
	v_dual_add_f32 v58, v16, v27 :: v_dual_add_f32 v21, v25, v46
	ds_bpermute_b32 v44, v11, v26
	ds_bpermute_b32 v54, v11, v47
	;; [unrolled: 1-line block ×3, first 2 shown]
	v_add_f32_e32 v12, v34, v37
	ds_bpermute_b32 v37, v11, v58
	ds_bpermute_b32 v38, v11, v59
	v_add_f32_e32 v15, v31, v43
	ds_bpermute_b32 v50, v11, v24
	v_add_f32_e32 v17, v29, v49
	;; [unrolled: 2-line block ×3, first 2 shown]
	v_dual_add_f32 v18, v28, v42 :: v_dual_add_f32 v25, v35, v53
	s_wait_dscnt 0x7
	v_add_f32_e32 v19, v0, v40
	scratch_load_b32 v0, off, off offset:4 th:TH_LOAD_LU ; 4-byte Folded Reload
	ds_bpermute_b32 v34, v11, v56
	v_add_f32_e32 v11, v32, v41
	s_wait_storecnt 0x0
	s_wait_loadcnt_dscnt 0x0
	s_barrier_signal -1
	v_add_f32_e32 v20, v26, v44
	v_add_f32_e32 v26, v47, v54
	;; [unrolled: 1-line block ×3, first 2 shown]
	s_barrier_wait -1
	v_dual_add_f32 v30, v58, v37 :: v_dual_add_f32 v31, v59, v38
	global_inv scope:SCOPE_SE
	v_add_f32_e32 v22, v24, v50
	v_add_f32_e32 v24, v36, v52
	;; [unrolled: 1-line block ×4, first 2 shown]
	v_mul_u32_u24_e32 v34, 0x1e0, v175
	v_lshrrev_b32_e32 v33, 3, v0
	v_and_b32_e32 v0, 0x3c7, v174
	s_delay_alu instid0(VALU_DEP_2) | instskip(NEXT) | instid1(VALU_DEP_2)
	v_lshl_add_u32 v32, v33, 2, 0x200
	v_cmpx_eq_u32_e32 64, v0
	s_cbranch_execz .LBB230_102
; %bb.101:
	s_delay_alu instid0(VALU_DEP_2) | instskip(NEXT) | instid1(VALU_DEP_1)
	v_add_nc_u32_e32 v0, v32, v34
	v_add_nc_u32_e32 v14, 0xfffffc40, v0
	;; [unrolled: 1-line block ×9, first 2 shown]
	ds_store_b32 v14, v1
	ds_store_b32 v35, v2
	;; [unrolled: 1-line block ×8, first 2 shown]
	v_add_nc_u32_e32 v14, 0xfffffcc0, v0
	v_add_nc_u32_e32 v35, 0xfffffcd0, v0
	;; [unrolled: 1-line block ×8, first 2 shown]
	ds_store_b32 v14, v9
	ds_store_b32 v35, v10
	;; [unrolled: 1-line block ×8, first 2 shown]
	v_add_nc_u32_e32 v14, 0xfffffd40, v0
	v_add_nc_u32_e32 v35, 0xfffffd50, v0
	;; [unrolled: 1-line block ×8, first 2 shown]
	ds_store_b32 v14, v18
	ds_store_b32 v35, v19
	;; [unrolled: 1-line block ×8, first 2 shown]
	v_add_nc_u32_e32 v14, 0xfffffdc0, v0
	v_add_nc_u32_e32 v35, 0xfffffdd0, v0
	;; [unrolled: 1-line block ×6, first 2 shown]
	ds_store_b32 v14, v26
	ds_store_b32 v35, v27
	;; [unrolled: 1-line block ×6, first 2 shown]
.LBB230_102:
	s_wait_alu 0xfffe
	s_or_b32 exec_lo, exec_lo, s0
	v_lshlrev_b32_e32 v0, 2, v33
	s_mov_b32 s1, exec_lo
	v_cmp_eq_u32_e32 vcc_lo, 0, v128
	s_wait_loadcnt_dscnt 0x0
	s_barrier_signal -1
	v_add3_u32 v14, 0x200, v34, v0
	s_barrier_wait -1
	global_inv scope:SCOPE_SE
	v_cmpx_gt_u32_e32 64, v174
	s_cbranch_execz .LBB230_135
; %bb.103:
	s_and_saveexec_b32 s0, vcc_lo
	s_cbranch_execnz .LBB230_173
; %bb.104:
	s_wait_alu 0xfffe
	s_or_b32 exec_lo, exec_lo, s0
	s_and_saveexec_b32 s0, vcc_lo
	s_cbranch_execnz .LBB230_174
.LBB230_105:
	s_wait_alu 0xfffe
	s_or_b32 exec_lo, exec_lo, s0
	s_and_saveexec_b32 s0, vcc_lo
	s_cbranch_execnz .LBB230_175
.LBB230_106:
	s_wait_alu 0xfffe
	s_or_b32 exec_lo, exec_lo, s0
	s_and_saveexec_b32 s0, vcc_lo
	s_cbranch_execnz .LBB230_176
.LBB230_107:
	s_wait_alu 0xfffe
	s_or_b32 exec_lo, exec_lo, s0
	s_and_saveexec_b32 s0, vcc_lo
	s_cbranch_execnz .LBB230_177
.LBB230_108:
	s_wait_alu 0xfffe
	s_or_b32 exec_lo, exec_lo, s0
	s_and_saveexec_b32 s0, vcc_lo
	s_cbranch_execnz .LBB230_178
.LBB230_109:
	s_wait_alu 0xfffe
	s_or_b32 exec_lo, exec_lo, s0
	s_and_saveexec_b32 s0, vcc_lo
	s_cbranch_execnz .LBB230_179
.LBB230_110:
	s_wait_alu 0xfffe
	s_or_b32 exec_lo, exec_lo, s0
	s_and_saveexec_b32 s0, vcc_lo
	s_cbranch_execnz .LBB230_180
.LBB230_111:
	s_wait_alu 0xfffe
	s_or_b32 exec_lo, exec_lo, s0
	s_and_saveexec_b32 s0, vcc_lo
	s_cbranch_execnz .LBB230_181
.LBB230_112:
	s_wait_alu 0xfffe
	s_or_b32 exec_lo, exec_lo, s0
	s_and_saveexec_b32 s0, vcc_lo
	s_cbranch_execnz .LBB230_182
.LBB230_113:
	s_wait_alu 0xfffe
	s_or_b32 exec_lo, exec_lo, s0
	s_and_saveexec_b32 s0, vcc_lo
	s_cbranch_execnz .LBB230_183
.LBB230_114:
	s_wait_alu 0xfffe
	s_or_b32 exec_lo, exec_lo, s0
	s_and_saveexec_b32 s0, vcc_lo
	s_cbranch_execnz .LBB230_184
.LBB230_115:
	s_wait_alu 0xfffe
	s_or_b32 exec_lo, exec_lo, s0
	s_and_saveexec_b32 s0, vcc_lo
	s_cbranch_execnz .LBB230_185
.LBB230_116:
	s_wait_alu 0xfffe
	s_or_b32 exec_lo, exec_lo, s0
	s_and_saveexec_b32 s0, vcc_lo
	s_cbranch_execnz .LBB230_186
.LBB230_117:
	s_wait_alu 0xfffe
	s_or_b32 exec_lo, exec_lo, s0
	s_and_saveexec_b32 s0, vcc_lo
	s_cbranch_execnz .LBB230_187
.LBB230_118:
	s_wait_alu 0xfffe
	s_or_b32 exec_lo, exec_lo, s0
	s_and_saveexec_b32 s0, vcc_lo
	s_cbranch_execnz .LBB230_188
.LBB230_119:
	s_wait_alu 0xfffe
	s_or_b32 exec_lo, exec_lo, s0
	s_and_saveexec_b32 s0, vcc_lo
	s_cbranch_execnz .LBB230_189
.LBB230_120:
	s_wait_alu 0xfffe
	s_or_b32 exec_lo, exec_lo, s0
	s_and_saveexec_b32 s0, vcc_lo
	s_cbranch_execnz .LBB230_190
.LBB230_121:
	s_wait_alu 0xfffe
	s_or_b32 exec_lo, exec_lo, s0
	s_and_saveexec_b32 s0, vcc_lo
	s_cbranch_execnz .LBB230_191
.LBB230_122:
	s_wait_alu 0xfffe
	s_or_b32 exec_lo, exec_lo, s0
	s_and_saveexec_b32 s0, vcc_lo
	s_cbranch_execnz .LBB230_192
.LBB230_123:
	s_wait_alu 0xfffe
	s_or_b32 exec_lo, exec_lo, s0
	s_and_saveexec_b32 s0, vcc_lo
	s_cbranch_execnz .LBB230_193
.LBB230_124:
	s_wait_alu 0xfffe
	s_or_b32 exec_lo, exec_lo, s0
	s_and_saveexec_b32 s0, vcc_lo
	s_cbranch_execnz .LBB230_194
.LBB230_125:
	s_wait_alu 0xfffe
	s_or_b32 exec_lo, exec_lo, s0
	s_and_saveexec_b32 s0, vcc_lo
	s_cbranch_execnz .LBB230_195
.LBB230_126:
	s_wait_alu 0xfffe
	s_or_b32 exec_lo, exec_lo, s0
	s_and_saveexec_b32 s0, vcc_lo
	s_cbranch_execnz .LBB230_196
.LBB230_127:
	s_wait_alu 0xfffe
	s_or_b32 exec_lo, exec_lo, s0
	s_and_saveexec_b32 s0, vcc_lo
	s_cbranch_execnz .LBB230_197
.LBB230_128:
	s_wait_alu 0xfffe
	s_or_b32 exec_lo, exec_lo, s0
	s_and_saveexec_b32 s0, vcc_lo
	s_cbranch_execnz .LBB230_198
.LBB230_129:
	s_wait_alu 0xfffe
	s_or_b32 exec_lo, exec_lo, s0
	s_and_saveexec_b32 s0, vcc_lo
	s_cbranch_execnz .LBB230_199
.LBB230_130:
	s_wait_alu 0xfffe
	s_or_b32 exec_lo, exec_lo, s0
	s_and_saveexec_b32 s0, vcc_lo
	s_cbranch_execnz .LBB230_200
.LBB230_131:
	s_wait_alu 0xfffe
	s_or_b32 exec_lo, exec_lo, s0
	s_and_saveexec_b32 s0, vcc_lo
	s_cbranch_execnz .LBB230_201
.LBB230_132:
	s_wait_alu 0xfffe
	s_or_b32 exec_lo, exec_lo, s0
	s_and_saveexec_b32 s0, vcc_lo
	s_cbranch_execz .LBB230_134
.LBB230_133:
	ds_load_b32 v0, v14 offset:464
	s_wait_dscnt 0x0
	v_add_f32_e32 v31, v31, v0
.LBB230_134:
	s_wait_alu 0xfffe
	s_or_b32 exec_lo, exec_lo, s0
.LBB230_135:
	s_wait_alu 0xfffe
	s_or_b32 exec_lo, exec_lo, s1
	v_and_b32_e32 v33, 0x3e7, v174
	s_mov_b32 s1, exec_lo
	s_wait_loadcnt 0x0
	s_barrier_signal -1
	s_barrier_wait -1
	global_inv scope:SCOPE_SE
	v_cmpx_eq_u32_e32 32, v33
	s_cbranch_execz .LBB230_137
; %bb.136:
	ds_store_2addr_b32 v32, v1, v2 offset1:4
	ds_store_2addr_b32 v32, v3, v4 offset0:8 offset1:12
	ds_store_2addr_b32 v32, v5, v6 offset0:16 offset1:20
	;; [unrolled: 1-line block ×14, first 2 shown]
.LBB230_137:
	s_wait_alu 0xfffe
	s_or_b32 exec_lo, exec_lo, s1
	s_delay_alu instid0(SALU_CYCLE_1)
	s_mov_b32 s1, exec_lo
	s_wait_loadcnt_dscnt 0x0
	s_barrier_signal -1
	s_barrier_wait -1
	global_inv scope:SCOPE_SE
	v_cmpx_gt_u32_e32 32, v174
	s_cbranch_execz .LBB230_170
; %bb.138:
	s_and_saveexec_b32 s0, vcc_lo
	s_cbranch_execnz .LBB230_202
; %bb.139:
	s_wait_alu 0xfffe
	s_or_b32 exec_lo, exec_lo, s0
	s_and_saveexec_b32 s0, vcc_lo
	s_cbranch_execnz .LBB230_203
.LBB230_140:
	s_wait_alu 0xfffe
	s_or_b32 exec_lo, exec_lo, s0
	s_and_saveexec_b32 s0, vcc_lo
	s_cbranch_execnz .LBB230_204
.LBB230_141:
	s_wait_alu 0xfffe
	s_or_b32 exec_lo, exec_lo, s0
	s_and_saveexec_b32 s0, vcc_lo
	s_cbranch_execnz .LBB230_205
.LBB230_142:
	s_wait_alu 0xfffe
	s_or_b32 exec_lo, exec_lo, s0
	s_and_saveexec_b32 s0, vcc_lo
	s_cbranch_execnz .LBB230_206
.LBB230_143:
	s_wait_alu 0xfffe
	s_or_b32 exec_lo, exec_lo, s0
	s_and_saveexec_b32 s0, vcc_lo
	s_cbranch_execnz .LBB230_207
.LBB230_144:
	s_wait_alu 0xfffe
	s_or_b32 exec_lo, exec_lo, s0
	s_and_saveexec_b32 s0, vcc_lo
	s_cbranch_execnz .LBB230_208
.LBB230_145:
	s_wait_alu 0xfffe
	s_or_b32 exec_lo, exec_lo, s0
	s_and_saveexec_b32 s0, vcc_lo
	s_cbranch_execnz .LBB230_209
.LBB230_146:
	s_wait_alu 0xfffe
	s_or_b32 exec_lo, exec_lo, s0
	s_and_saveexec_b32 s0, vcc_lo
	s_cbranch_execnz .LBB230_210
.LBB230_147:
	s_wait_alu 0xfffe
	s_or_b32 exec_lo, exec_lo, s0
	s_and_saveexec_b32 s0, vcc_lo
	s_cbranch_execnz .LBB230_211
.LBB230_148:
	s_wait_alu 0xfffe
	s_or_b32 exec_lo, exec_lo, s0
	s_and_saveexec_b32 s0, vcc_lo
	s_cbranch_execnz .LBB230_212
.LBB230_149:
	s_wait_alu 0xfffe
	s_or_b32 exec_lo, exec_lo, s0
	s_and_saveexec_b32 s0, vcc_lo
	s_cbranch_execnz .LBB230_213
.LBB230_150:
	s_wait_alu 0xfffe
	s_or_b32 exec_lo, exec_lo, s0
	s_and_saveexec_b32 s0, vcc_lo
	s_cbranch_execnz .LBB230_214
.LBB230_151:
	s_wait_alu 0xfffe
	s_or_b32 exec_lo, exec_lo, s0
	s_and_saveexec_b32 s0, vcc_lo
	s_cbranch_execnz .LBB230_215
.LBB230_152:
	s_wait_alu 0xfffe
	s_or_b32 exec_lo, exec_lo, s0
	s_and_saveexec_b32 s0, vcc_lo
	s_cbranch_execnz .LBB230_216
.LBB230_153:
	s_wait_alu 0xfffe
	s_or_b32 exec_lo, exec_lo, s0
	s_and_saveexec_b32 s0, vcc_lo
	s_cbranch_execnz .LBB230_217
.LBB230_154:
	s_wait_alu 0xfffe
	s_or_b32 exec_lo, exec_lo, s0
	s_and_saveexec_b32 s0, vcc_lo
	s_cbranch_execnz .LBB230_218
.LBB230_155:
	s_wait_alu 0xfffe
	s_or_b32 exec_lo, exec_lo, s0
	s_and_saveexec_b32 s0, vcc_lo
	s_cbranch_execnz .LBB230_219
.LBB230_156:
	s_wait_alu 0xfffe
	s_or_b32 exec_lo, exec_lo, s0
	s_and_saveexec_b32 s0, vcc_lo
	s_cbranch_execnz .LBB230_220
.LBB230_157:
	s_wait_alu 0xfffe
	s_or_b32 exec_lo, exec_lo, s0
	s_and_saveexec_b32 s0, vcc_lo
	s_cbranch_execnz .LBB230_221
.LBB230_158:
	s_wait_alu 0xfffe
	s_or_b32 exec_lo, exec_lo, s0
	s_and_saveexec_b32 s0, vcc_lo
	s_cbranch_execnz .LBB230_222
.LBB230_159:
	s_wait_alu 0xfffe
	s_or_b32 exec_lo, exec_lo, s0
	s_and_saveexec_b32 s0, vcc_lo
	s_cbranch_execnz .LBB230_223
.LBB230_160:
	s_wait_alu 0xfffe
	s_or_b32 exec_lo, exec_lo, s0
	s_and_saveexec_b32 s0, vcc_lo
	s_cbranch_execnz .LBB230_224
.LBB230_161:
	s_wait_alu 0xfffe
	s_or_b32 exec_lo, exec_lo, s0
	s_and_saveexec_b32 s0, vcc_lo
	s_cbranch_execnz .LBB230_225
.LBB230_162:
	s_wait_alu 0xfffe
	s_or_b32 exec_lo, exec_lo, s0
	s_and_saveexec_b32 s0, vcc_lo
	s_cbranch_execnz .LBB230_226
.LBB230_163:
	s_wait_alu 0xfffe
	s_or_b32 exec_lo, exec_lo, s0
	s_and_saveexec_b32 s0, vcc_lo
	s_cbranch_execnz .LBB230_227
.LBB230_164:
	s_wait_alu 0xfffe
	s_or_b32 exec_lo, exec_lo, s0
	s_and_saveexec_b32 s0, vcc_lo
	s_cbranch_execnz .LBB230_228
.LBB230_165:
	s_wait_alu 0xfffe
	s_or_b32 exec_lo, exec_lo, s0
	s_and_saveexec_b32 s0, vcc_lo
	s_cbranch_execnz .LBB230_229
.LBB230_166:
	s_wait_alu 0xfffe
	s_or_b32 exec_lo, exec_lo, s0
	s_and_saveexec_b32 s0, vcc_lo
	s_cbranch_execnz .LBB230_230
.LBB230_167:
	s_wait_alu 0xfffe
	s_or_b32 exec_lo, exec_lo, s0
	s_and_saveexec_b32 s0, vcc_lo
	s_cbranch_execz .LBB230_169
.LBB230_168:
	ds_load_b32 v0, v14 offset:464
	s_wait_dscnt 0x0
	v_add_f32_e32 v31, v31, v0
.LBB230_169:
	s_wait_alu 0xfffe
	s_or_b32 exec_lo, exec_lo, s0
.LBB230_170:
	s_wait_alu 0xfffe
	s_or_b32 exec_lo, exec_lo, s1
	s_mov_b32 s1, 0
	s_wait_loadcnt 0x0
	s_barrier_signal -1
	s_barrier_wait -1
	global_inv scope:SCOPE_SE
	s_mov_b32 s0, exec_lo
	v_cmpx_eq_u32_e32 0, v33
	s_cbranch_execz .LBB230_172
; %bb.171:
	s_mul_i32 s2, s18, 0x78
	s_mul_i32 s4, s7, s20
	s_wait_alu 0xfffe
	s_ashr_i32 s3, s2, 31
	s_ashr_i32 s5, s4, 31
	s_wait_alu 0xfffe
	s_lshl_b64 s[2:3], s[2:3], 2
	s_lshl_b64 s[4:5], s[4:5], 2
	s_wait_kmcnt 0x0
	s_wait_alu 0xfffe
	s_add_nc_u64 s[2:3], s[8:9], s[2:3]
	v_lshrrev_b32_e32 v0, 1, v174
	s_mul_i32 s0, s33, 0x1e0
	s_wait_alu 0xfffe
	s_add_nc_u64 s[2:3], s[2:3], s[4:5]
	s_wait_alu 0xfffe
	s_add_nc_u64 s[0:1], s[2:3], s[0:1]
	s_clause 0x1d
	global_store_b32 v0, v1, s[0:1]
	global_store_b32 v0, v2, s[0:1] offset:16
	global_store_b32 v0, v3, s[0:1] offset:32
	;; [unrolled: 1-line block ×29, first 2 shown]
.LBB230_172:
	s_nop 0
	s_sendmsg sendmsg(MSG_DEALLOC_VGPRS)
	s_endpgm
.LBB230_173:
	ds_load_b32 v0, v14
	s_wait_dscnt 0x0
	v_add_f32_e32 v1, v1, v0
	s_wait_alu 0xfffe
	s_or_b32 exec_lo, exec_lo, s0
	s_and_saveexec_b32 s0, vcc_lo
	s_cbranch_execz .LBB230_105
.LBB230_174:
	ds_load_b32 v0, v14 offset:16
	s_wait_dscnt 0x0
	v_add_f32_e32 v2, v2, v0
	s_wait_alu 0xfffe
	s_or_b32 exec_lo, exec_lo, s0
	s_and_saveexec_b32 s0, vcc_lo
	s_cbranch_execz .LBB230_106
.LBB230_175:
	ds_load_b32 v0, v14 offset:32
	s_wait_dscnt 0x0
	v_add_f32_e32 v3, v3, v0
	s_wait_alu 0xfffe
	s_or_b32 exec_lo, exec_lo, s0
	s_and_saveexec_b32 s0, vcc_lo
	s_cbranch_execz .LBB230_107
.LBB230_176:
	ds_load_b32 v0, v14 offset:48
	s_wait_dscnt 0x0
	v_add_f32_e32 v4, v4, v0
	s_wait_alu 0xfffe
	s_or_b32 exec_lo, exec_lo, s0
	s_and_saveexec_b32 s0, vcc_lo
	s_cbranch_execz .LBB230_108
.LBB230_177:
	ds_load_b32 v0, v14 offset:64
	s_wait_dscnt 0x0
	v_add_f32_e32 v5, v5, v0
	s_wait_alu 0xfffe
	s_or_b32 exec_lo, exec_lo, s0
	s_and_saveexec_b32 s0, vcc_lo
	s_cbranch_execz .LBB230_109
.LBB230_178:
	ds_load_b32 v0, v14 offset:80
	s_wait_dscnt 0x0
	v_add_f32_e32 v6, v6, v0
	s_wait_alu 0xfffe
	s_or_b32 exec_lo, exec_lo, s0
	s_and_saveexec_b32 s0, vcc_lo
	s_cbranch_execz .LBB230_110
.LBB230_179:
	ds_load_b32 v0, v14 offset:96
	s_wait_dscnt 0x0
	v_add_f32_e32 v7, v7, v0
	s_wait_alu 0xfffe
	s_or_b32 exec_lo, exec_lo, s0
	s_and_saveexec_b32 s0, vcc_lo
	s_cbranch_execz .LBB230_111
.LBB230_180:
	ds_load_b32 v0, v14 offset:112
	s_wait_dscnt 0x0
	v_add_f32_e32 v8, v8, v0
	s_wait_alu 0xfffe
	s_or_b32 exec_lo, exec_lo, s0
	s_and_saveexec_b32 s0, vcc_lo
	s_cbranch_execz .LBB230_112
.LBB230_181:
	ds_load_b32 v0, v14 offset:128
	s_wait_dscnt 0x0
	v_add_f32_e32 v9, v9, v0
	s_wait_alu 0xfffe
	s_or_b32 exec_lo, exec_lo, s0
	s_and_saveexec_b32 s0, vcc_lo
	s_cbranch_execz .LBB230_113
.LBB230_182:
	ds_load_b32 v0, v14 offset:144
	s_wait_dscnt 0x0
	v_add_f32_e32 v10, v10, v0
	s_wait_alu 0xfffe
	s_or_b32 exec_lo, exec_lo, s0
	s_and_saveexec_b32 s0, vcc_lo
	s_cbranch_execz .LBB230_114
.LBB230_183:
	ds_load_b32 v0, v14 offset:160
	s_wait_dscnt 0x0
	v_add_f32_e32 v12, v12, v0
	s_wait_alu 0xfffe
	s_or_b32 exec_lo, exec_lo, s0
	s_and_saveexec_b32 s0, vcc_lo
	s_cbranch_execz .LBB230_115
.LBB230_184:
	ds_load_b32 v0, v14 offset:176
	s_wait_dscnt 0x0
	v_add_f32_e32 v13, v13, v0
	s_wait_alu 0xfffe
	s_or_b32 exec_lo, exec_lo, s0
	s_and_saveexec_b32 s0, vcc_lo
	s_cbranch_execz .LBB230_116
.LBB230_185:
	ds_load_b32 v0, v14 offset:192
	s_wait_dscnt 0x0
	v_add_f32_e32 v11, v11, v0
	s_wait_alu 0xfffe
	s_or_b32 exec_lo, exec_lo, s0
	s_and_saveexec_b32 s0, vcc_lo
	s_cbranch_execz .LBB230_117
.LBB230_186:
	ds_load_b32 v0, v14 offset:208
	s_wait_dscnt 0x0
	v_add_f32_e32 v15, v15, v0
	s_wait_alu 0xfffe
	s_or_b32 exec_lo, exec_lo, s0
	s_and_saveexec_b32 s0, vcc_lo
	s_cbranch_execz .LBB230_118
.LBB230_187:
	ds_load_b32 v0, v14 offset:224
	s_wait_dscnt 0x0
	v_add_f32_e32 v16, v16, v0
	s_wait_alu 0xfffe
	s_or_b32 exec_lo, exec_lo, s0
	s_and_saveexec_b32 s0, vcc_lo
	s_cbranch_execz .LBB230_119
.LBB230_188:
	ds_load_b32 v0, v14 offset:240
	s_wait_dscnt 0x0
	v_add_f32_e32 v17, v17, v0
	s_wait_alu 0xfffe
	s_or_b32 exec_lo, exec_lo, s0
	s_and_saveexec_b32 s0, vcc_lo
	s_cbranch_execz .LBB230_120
.LBB230_189:
	ds_load_b32 v0, v14 offset:256
	s_wait_dscnt 0x0
	v_add_f32_e32 v18, v18, v0
	s_wait_alu 0xfffe
	s_or_b32 exec_lo, exec_lo, s0
	s_and_saveexec_b32 s0, vcc_lo
	s_cbranch_execz .LBB230_121
.LBB230_190:
	ds_load_b32 v0, v14 offset:272
	s_wait_dscnt 0x0
	v_add_f32_e32 v19, v19, v0
	s_wait_alu 0xfffe
	s_or_b32 exec_lo, exec_lo, s0
	s_and_saveexec_b32 s0, vcc_lo
	s_cbranch_execz .LBB230_122
.LBB230_191:
	ds_load_b32 v0, v14 offset:288
	s_wait_dscnt 0x0
	v_add_f32_e32 v20, v20, v0
	s_wait_alu 0xfffe
	s_or_b32 exec_lo, exec_lo, s0
	s_and_saveexec_b32 s0, vcc_lo
	s_cbranch_execz .LBB230_123
.LBB230_192:
	ds_load_b32 v0, v14 offset:304
	s_wait_dscnt 0x0
	v_add_f32_e32 v21, v21, v0
	s_wait_alu 0xfffe
	s_or_b32 exec_lo, exec_lo, s0
	s_and_saveexec_b32 s0, vcc_lo
	s_cbranch_execz .LBB230_124
.LBB230_193:
	ds_load_b32 v0, v14 offset:320
	s_wait_dscnt 0x0
	v_add_f32_e32 v22, v22, v0
	s_wait_alu 0xfffe
	s_or_b32 exec_lo, exec_lo, s0
	s_and_saveexec_b32 s0, vcc_lo
	s_cbranch_execz .LBB230_125
.LBB230_194:
	ds_load_b32 v0, v14 offset:336
	s_wait_dscnt 0x0
	v_add_f32_e32 v23, v23, v0
	s_wait_alu 0xfffe
	s_or_b32 exec_lo, exec_lo, s0
	s_and_saveexec_b32 s0, vcc_lo
	s_cbranch_execz .LBB230_126
.LBB230_195:
	ds_load_b32 v0, v14 offset:352
	s_wait_dscnt 0x0
	v_add_f32_e32 v24, v24, v0
	s_wait_alu 0xfffe
	s_or_b32 exec_lo, exec_lo, s0
	s_and_saveexec_b32 s0, vcc_lo
	s_cbranch_execz .LBB230_127
.LBB230_196:
	ds_load_b32 v0, v14 offset:368
	s_wait_dscnt 0x0
	v_add_f32_e32 v25, v25, v0
	s_wait_alu 0xfffe
	s_or_b32 exec_lo, exec_lo, s0
	s_and_saveexec_b32 s0, vcc_lo
	s_cbranch_execz .LBB230_128
.LBB230_197:
	ds_load_b32 v0, v14 offset:384
	s_wait_dscnt 0x0
	v_add_f32_e32 v26, v26, v0
	s_wait_alu 0xfffe
	s_or_b32 exec_lo, exec_lo, s0
	s_and_saveexec_b32 s0, vcc_lo
	s_cbranch_execz .LBB230_129
.LBB230_198:
	ds_load_b32 v0, v14 offset:400
	s_wait_dscnt 0x0
	v_add_f32_e32 v27, v27, v0
	s_wait_alu 0xfffe
	s_or_b32 exec_lo, exec_lo, s0
	s_and_saveexec_b32 s0, vcc_lo
	s_cbranch_execz .LBB230_130
.LBB230_199:
	ds_load_b32 v0, v14 offset:416
	s_wait_dscnt 0x0
	v_add_f32_e32 v28, v28, v0
	s_wait_alu 0xfffe
	s_or_b32 exec_lo, exec_lo, s0
	s_and_saveexec_b32 s0, vcc_lo
	s_cbranch_execz .LBB230_131
.LBB230_200:
	ds_load_b32 v0, v14 offset:432
	s_wait_dscnt 0x0
	v_add_f32_e32 v29, v29, v0
	s_wait_alu 0xfffe
	s_or_b32 exec_lo, exec_lo, s0
	s_and_saveexec_b32 s0, vcc_lo
	s_cbranch_execz .LBB230_132
.LBB230_201:
	ds_load_b32 v0, v14 offset:448
	s_wait_dscnt 0x0
	v_add_f32_e32 v30, v30, v0
	s_wait_alu 0xfffe
	s_or_b32 exec_lo, exec_lo, s0
	s_and_saveexec_b32 s0, vcc_lo
	s_cbranch_execnz .LBB230_133
	s_branch .LBB230_134
.LBB230_202:
	ds_load_b32 v0, v14
	s_wait_dscnt 0x0
	v_add_f32_e32 v1, v1, v0
	s_wait_alu 0xfffe
	s_or_b32 exec_lo, exec_lo, s0
	s_and_saveexec_b32 s0, vcc_lo
	s_cbranch_execz .LBB230_140
.LBB230_203:
	ds_load_b32 v0, v14 offset:16
	s_wait_dscnt 0x0
	v_add_f32_e32 v2, v2, v0
	s_wait_alu 0xfffe
	s_or_b32 exec_lo, exec_lo, s0
	s_and_saveexec_b32 s0, vcc_lo
	s_cbranch_execz .LBB230_141
.LBB230_204:
	ds_load_b32 v0, v14 offset:32
	s_wait_dscnt 0x0
	v_add_f32_e32 v3, v3, v0
	s_wait_alu 0xfffe
	s_or_b32 exec_lo, exec_lo, s0
	s_and_saveexec_b32 s0, vcc_lo
	s_cbranch_execz .LBB230_142
.LBB230_205:
	ds_load_b32 v0, v14 offset:48
	s_wait_dscnt 0x0
	v_add_f32_e32 v4, v4, v0
	s_wait_alu 0xfffe
	s_or_b32 exec_lo, exec_lo, s0
	s_and_saveexec_b32 s0, vcc_lo
	s_cbranch_execz .LBB230_143
.LBB230_206:
	ds_load_b32 v0, v14 offset:64
	s_wait_dscnt 0x0
	v_add_f32_e32 v5, v5, v0
	s_wait_alu 0xfffe
	s_or_b32 exec_lo, exec_lo, s0
	s_and_saveexec_b32 s0, vcc_lo
	s_cbranch_execz .LBB230_144
.LBB230_207:
	ds_load_b32 v0, v14 offset:80
	s_wait_dscnt 0x0
	v_add_f32_e32 v6, v6, v0
	s_wait_alu 0xfffe
	s_or_b32 exec_lo, exec_lo, s0
	s_and_saveexec_b32 s0, vcc_lo
	s_cbranch_execz .LBB230_145
.LBB230_208:
	ds_load_b32 v0, v14 offset:96
	s_wait_dscnt 0x0
	v_add_f32_e32 v7, v7, v0
	s_wait_alu 0xfffe
	s_or_b32 exec_lo, exec_lo, s0
	s_and_saveexec_b32 s0, vcc_lo
	s_cbranch_execz .LBB230_146
.LBB230_209:
	ds_load_b32 v0, v14 offset:112
	s_wait_dscnt 0x0
	v_add_f32_e32 v8, v8, v0
	s_wait_alu 0xfffe
	s_or_b32 exec_lo, exec_lo, s0
	s_and_saveexec_b32 s0, vcc_lo
	s_cbranch_execz .LBB230_147
.LBB230_210:
	ds_load_b32 v0, v14 offset:128
	s_wait_dscnt 0x0
	v_add_f32_e32 v9, v9, v0
	s_wait_alu 0xfffe
	s_or_b32 exec_lo, exec_lo, s0
	s_and_saveexec_b32 s0, vcc_lo
	s_cbranch_execz .LBB230_148
.LBB230_211:
	ds_load_b32 v0, v14 offset:144
	s_wait_dscnt 0x0
	v_add_f32_e32 v10, v10, v0
	s_wait_alu 0xfffe
	s_or_b32 exec_lo, exec_lo, s0
	s_and_saveexec_b32 s0, vcc_lo
	s_cbranch_execz .LBB230_149
.LBB230_212:
	ds_load_b32 v0, v14 offset:160
	s_wait_dscnt 0x0
	v_add_f32_e32 v12, v12, v0
	s_wait_alu 0xfffe
	s_or_b32 exec_lo, exec_lo, s0
	s_and_saveexec_b32 s0, vcc_lo
	s_cbranch_execz .LBB230_150
.LBB230_213:
	ds_load_b32 v0, v14 offset:176
	s_wait_dscnt 0x0
	v_add_f32_e32 v13, v13, v0
	s_wait_alu 0xfffe
	s_or_b32 exec_lo, exec_lo, s0
	s_and_saveexec_b32 s0, vcc_lo
	s_cbranch_execz .LBB230_151
.LBB230_214:
	ds_load_b32 v0, v14 offset:192
	s_wait_dscnt 0x0
	v_add_f32_e32 v11, v11, v0
	s_wait_alu 0xfffe
	s_or_b32 exec_lo, exec_lo, s0
	s_and_saveexec_b32 s0, vcc_lo
	s_cbranch_execz .LBB230_152
.LBB230_215:
	ds_load_b32 v0, v14 offset:208
	s_wait_dscnt 0x0
	v_add_f32_e32 v15, v15, v0
	s_wait_alu 0xfffe
	s_or_b32 exec_lo, exec_lo, s0
	s_and_saveexec_b32 s0, vcc_lo
	s_cbranch_execz .LBB230_153
.LBB230_216:
	ds_load_b32 v0, v14 offset:224
	s_wait_dscnt 0x0
	v_add_f32_e32 v16, v16, v0
	s_wait_alu 0xfffe
	s_or_b32 exec_lo, exec_lo, s0
	s_and_saveexec_b32 s0, vcc_lo
	s_cbranch_execz .LBB230_154
.LBB230_217:
	ds_load_b32 v0, v14 offset:240
	s_wait_dscnt 0x0
	v_add_f32_e32 v17, v17, v0
	s_wait_alu 0xfffe
	s_or_b32 exec_lo, exec_lo, s0
	s_and_saveexec_b32 s0, vcc_lo
	s_cbranch_execz .LBB230_155
.LBB230_218:
	ds_load_b32 v0, v14 offset:256
	s_wait_dscnt 0x0
	v_add_f32_e32 v18, v18, v0
	s_wait_alu 0xfffe
	s_or_b32 exec_lo, exec_lo, s0
	s_and_saveexec_b32 s0, vcc_lo
	s_cbranch_execz .LBB230_156
.LBB230_219:
	ds_load_b32 v0, v14 offset:272
	s_wait_dscnt 0x0
	v_add_f32_e32 v19, v19, v0
	s_wait_alu 0xfffe
	s_or_b32 exec_lo, exec_lo, s0
	s_and_saveexec_b32 s0, vcc_lo
	s_cbranch_execz .LBB230_157
.LBB230_220:
	ds_load_b32 v0, v14 offset:288
	s_wait_dscnt 0x0
	v_add_f32_e32 v20, v20, v0
	s_wait_alu 0xfffe
	s_or_b32 exec_lo, exec_lo, s0
	s_and_saveexec_b32 s0, vcc_lo
	s_cbranch_execz .LBB230_158
.LBB230_221:
	ds_load_b32 v0, v14 offset:304
	s_wait_dscnt 0x0
	v_add_f32_e32 v21, v21, v0
	s_wait_alu 0xfffe
	s_or_b32 exec_lo, exec_lo, s0
	s_and_saveexec_b32 s0, vcc_lo
	s_cbranch_execz .LBB230_159
.LBB230_222:
	ds_load_b32 v0, v14 offset:320
	s_wait_dscnt 0x0
	v_add_f32_e32 v22, v22, v0
	s_wait_alu 0xfffe
	s_or_b32 exec_lo, exec_lo, s0
	s_and_saveexec_b32 s0, vcc_lo
	s_cbranch_execz .LBB230_160
.LBB230_223:
	ds_load_b32 v0, v14 offset:336
	s_wait_dscnt 0x0
	v_add_f32_e32 v23, v23, v0
	s_wait_alu 0xfffe
	s_or_b32 exec_lo, exec_lo, s0
	s_and_saveexec_b32 s0, vcc_lo
	s_cbranch_execz .LBB230_161
.LBB230_224:
	ds_load_b32 v0, v14 offset:352
	s_wait_dscnt 0x0
	v_add_f32_e32 v24, v24, v0
	s_wait_alu 0xfffe
	s_or_b32 exec_lo, exec_lo, s0
	s_and_saveexec_b32 s0, vcc_lo
	s_cbranch_execz .LBB230_162
.LBB230_225:
	ds_load_b32 v0, v14 offset:368
	s_wait_dscnt 0x0
	v_add_f32_e32 v25, v25, v0
	s_wait_alu 0xfffe
	s_or_b32 exec_lo, exec_lo, s0
	s_and_saveexec_b32 s0, vcc_lo
	s_cbranch_execz .LBB230_163
.LBB230_226:
	ds_load_b32 v0, v14 offset:384
	s_wait_dscnt 0x0
	v_add_f32_e32 v26, v26, v0
	s_wait_alu 0xfffe
	s_or_b32 exec_lo, exec_lo, s0
	s_and_saveexec_b32 s0, vcc_lo
	s_cbranch_execz .LBB230_164
.LBB230_227:
	ds_load_b32 v0, v14 offset:400
	s_wait_dscnt 0x0
	v_add_f32_e32 v27, v27, v0
	s_wait_alu 0xfffe
	s_or_b32 exec_lo, exec_lo, s0
	s_and_saveexec_b32 s0, vcc_lo
	s_cbranch_execz .LBB230_165
.LBB230_228:
	ds_load_b32 v0, v14 offset:416
	s_wait_dscnt 0x0
	v_add_f32_e32 v28, v28, v0
	s_wait_alu 0xfffe
	s_or_b32 exec_lo, exec_lo, s0
	s_and_saveexec_b32 s0, vcc_lo
	s_cbranch_execz .LBB230_166
.LBB230_229:
	ds_load_b32 v0, v14 offset:432
	s_wait_dscnt 0x0
	v_add_f32_e32 v29, v29, v0
	s_wait_alu 0xfffe
	s_or_b32 exec_lo, exec_lo, s0
	s_and_saveexec_b32 s0, vcc_lo
	s_cbranch_execz .LBB230_167
.LBB230_230:
	ds_load_b32 v0, v14 offset:448
	s_wait_dscnt 0x0
	v_add_f32_e32 v30, v30, v0
	s_wait_alu 0xfffe
	s_or_b32 exec_lo, exec_lo, s0
	s_and_saveexec_b32 s0, vcc_lo
	s_cbranch_execnz .LBB230_168
	s_branch .LBB230_169
	.section	.rodata,"a",@progbits
	.p2align	6, 0x0
	.amdhsa_kernel _ZN4vllm25paged_attention_v2_kernelIfhLi120ELi32ELi128ELNS_18Fp8KVCacheDataTypeE1ELb1ELi512EEEvPfS2_PT_PKS3_PKT0_S9_ifPKiSB_iPKfiiiSD_SD_iiiii
		.amdhsa_group_segment_fixed_size 512
		.amdhsa_private_segment_fixed_size 212
		.amdhsa_kernarg_size 400
		.amdhsa_user_sgpr_count 2
		.amdhsa_user_sgpr_dispatch_ptr 0
		.amdhsa_user_sgpr_queue_ptr 0
		.amdhsa_user_sgpr_kernarg_segment_ptr 1
		.amdhsa_user_sgpr_dispatch_id 0
		.amdhsa_user_sgpr_private_segment_size 0
		.amdhsa_wavefront_size32 1
		.amdhsa_uses_dynamic_stack 0
		.amdhsa_enable_private_segment 1
		.amdhsa_system_sgpr_workgroup_id_x 1
		.amdhsa_system_sgpr_workgroup_id_y 1
		.amdhsa_system_sgpr_workgroup_id_z 1
		.amdhsa_system_sgpr_workgroup_info 0
		.amdhsa_system_vgpr_workitem_id 0
		.amdhsa_next_free_vgpr 192
		.amdhsa_next_free_sgpr 44
		.amdhsa_reserve_vcc 1
		.amdhsa_float_round_mode_32 0
		.amdhsa_float_round_mode_16_64 0
		.amdhsa_float_denorm_mode_32 3
		.amdhsa_float_denorm_mode_16_64 3
		.amdhsa_fp16_overflow 0
		.amdhsa_workgroup_processor_mode 1
		.amdhsa_memory_ordered 1
		.amdhsa_forward_progress 1
		.amdhsa_inst_pref_size 138
		.amdhsa_round_robin_scheduling 0
		.amdhsa_exception_fp_ieee_invalid_op 0
		.amdhsa_exception_fp_denorm_src 0
		.amdhsa_exception_fp_ieee_div_zero 0
		.amdhsa_exception_fp_ieee_overflow 0
		.amdhsa_exception_fp_ieee_underflow 0
		.amdhsa_exception_fp_ieee_inexact 0
		.amdhsa_exception_int_div_zero 0
	.end_amdhsa_kernel
	.section	.text._ZN4vllm25paged_attention_v2_kernelIfhLi120ELi32ELi128ELNS_18Fp8KVCacheDataTypeE1ELb1ELi512EEEvPfS2_PT_PKS3_PKT0_S9_ifPKiSB_iPKfiiiSD_SD_iiiii,"axG",@progbits,_ZN4vllm25paged_attention_v2_kernelIfhLi120ELi32ELi128ELNS_18Fp8KVCacheDataTypeE1ELb1ELi512EEEvPfS2_PT_PKS3_PKT0_S9_ifPKiSB_iPKfiiiSD_SD_iiiii,comdat
.Lfunc_end230:
	.size	_ZN4vllm25paged_attention_v2_kernelIfhLi120ELi32ELi128ELNS_18Fp8KVCacheDataTypeE1ELb1ELi512EEEvPfS2_PT_PKS3_PKT0_S9_ifPKiSB_iPKfiiiSD_SD_iiiii, .Lfunc_end230-_ZN4vllm25paged_attention_v2_kernelIfhLi120ELi32ELi128ELNS_18Fp8KVCacheDataTypeE1ELb1ELi512EEEvPfS2_PT_PKS3_PKT0_S9_ifPKiSB_iPKfiiiSD_SD_iiiii
                                        ; -- End function
	.set _ZN4vllm25paged_attention_v2_kernelIfhLi120ELi32ELi128ELNS_18Fp8KVCacheDataTypeE1ELb1ELi512EEEvPfS2_PT_PKS3_PKT0_S9_ifPKiSB_iPKfiiiSD_SD_iiiii.num_vgpr, 192
	.set _ZN4vllm25paged_attention_v2_kernelIfhLi120ELi32ELi128ELNS_18Fp8KVCacheDataTypeE1ELb1ELi512EEEvPfS2_PT_PKS3_PKT0_S9_ifPKiSB_iPKfiiiSD_SD_iiiii.num_agpr, 0
	.set _ZN4vllm25paged_attention_v2_kernelIfhLi120ELi32ELi128ELNS_18Fp8KVCacheDataTypeE1ELb1ELi512EEEvPfS2_PT_PKS3_PKT0_S9_ifPKiSB_iPKfiiiSD_SD_iiiii.numbered_sgpr, 44
	.set _ZN4vllm25paged_attention_v2_kernelIfhLi120ELi32ELi128ELNS_18Fp8KVCacheDataTypeE1ELb1ELi512EEEvPfS2_PT_PKS3_PKT0_S9_ifPKiSB_iPKfiiiSD_SD_iiiii.num_named_barrier, 0
	.set _ZN4vllm25paged_attention_v2_kernelIfhLi120ELi32ELi128ELNS_18Fp8KVCacheDataTypeE1ELb1ELi512EEEvPfS2_PT_PKS3_PKT0_S9_ifPKiSB_iPKfiiiSD_SD_iiiii.private_seg_size, 212
	.set _ZN4vllm25paged_attention_v2_kernelIfhLi120ELi32ELi128ELNS_18Fp8KVCacheDataTypeE1ELb1ELi512EEEvPfS2_PT_PKS3_PKT0_S9_ifPKiSB_iPKfiiiSD_SD_iiiii.uses_vcc, 1
	.set _ZN4vllm25paged_attention_v2_kernelIfhLi120ELi32ELi128ELNS_18Fp8KVCacheDataTypeE1ELb1ELi512EEEvPfS2_PT_PKS3_PKT0_S9_ifPKiSB_iPKfiiiSD_SD_iiiii.uses_flat_scratch, 1
	.set _ZN4vllm25paged_attention_v2_kernelIfhLi120ELi32ELi128ELNS_18Fp8KVCacheDataTypeE1ELb1ELi512EEEvPfS2_PT_PKS3_PKT0_S9_ifPKiSB_iPKfiiiSD_SD_iiiii.has_dyn_sized_stack, 0
	.set _ZN4vllm25paged_attention_v2_kernelIfhLi120ELi32ELi128ELNS_18Fp8KVCacheDataTypeE1ELb1ELi512EEEvPfS2_PT_PKS3_PKT0_S9_ifPKiSB_iPKfiiiSD_SD_iiiii.has_recursion, 0
	.set _ZN4vllm25paged_attention_v2_kernelIfhLi120ELi32ELi128ELNS_18Fp8KVCacheDataTypeE1ELb1ELi512EEEvPfS2_PT_PKS3_PKT0_S9_ifPKiSB_iPKfiiiSD_SD_iiiii.has_indirect_call, 0
	.section	.AMDGPU.csdata,"",@progbits
; Kernel info:
; codeLenInByte = 17600
; TotalNumSgprs: 46
; NumVgprs: 192
; ScratchSize: 212
; MemoryBound: 0
; FloatMode: 240
; IeeeMode: 1
; LDSByteSize: 512 bytes/workgroup (compile time only)
; SGPRBlocks: 0
; VGPRBlocks: 23
; NumSGPRsForWavesPerEU: 46
; NumVGPRsForWavesPerEU: 192
; Occupancy: 8
; WaveLimiterHint : 1
; COMPUTE_PGM_RSRC2:SCRATCH_EN: 1
; COMPUTE_PGM_RSRC2:USER_SGPR: 2
; COMPUTE_PGM_RSRC2:TRAP_HANDLER: 0
; COMPUTE_PGM_RSRC2:TGID_X_EN: 1
; COMPUTE_PGM_RSRC2:TGID_Y_EN: 1
; COMPUTE_PGM_RSRC2:TGID_Z_EN: 1
; COMPUTE_PGM_RSRC2:TIDIG_COMP_CNT: 0
	.section	.text._ZN4vllm25paged_attention_v2_kernelIfhLi128ELi32ELi128ELNS_18Fp8KVCacheDataTypeE1ELb1ELi512EEEvPfS2_PT_PKS3_PKT0_S9_ifPKiSB_iPKfiiiSD_SD_iiiii,"axG",@progbits,_ZN4vllm25paged_attention_v2_kernelIfhLi128ELi32ELi128ELNS_18Fp8KVCacheDataTypeE1ELb1ELi512EEEvPfS2_PT_PKS3_PKT0_S9_ifPKiSB_iPKfiiiSD_SD_iiiii,comdat
	.protected	_ZN4vllm25paged_attention_v2_kernelIfhLi128ELi32ELi128ELNS_18Fp8KVCacheDataTypeE1ELb1ELi512EEEvPfS2_PT_PKS3_PKT0_S9_ifPKiSB_iPKfiiiSD_SD_iiiii ; -- Begin function _ZN4vllm25paged_attention_v2_kernelIfhLi128ELi32ELi128ELNS_18Fp8KVCacheDataTypeE1ELb1ELi512EEEvPfS2_PT_PKS3_PKT0_S9_ifPKiSB_iPKfiiiSD_SD_iiiii
	.globl	_ZN4vllm25paged_attention_v2_kernelIfhLi128ELi32ELi128ELNS_18Fp8KVCacheDataTypeE1ELb1ELi512EEEvPfS2_PT_PKS3_PKT0_S9_ifPKiSB_iPKfiiiSD_SD_iiiii
	.p2align	8
	.type	_ZN4vllm25paged_attention_v2_kernelIfhLi128ELi32ELi128ELNS_18Fp8KVCacheDataTypeE1ELb1ELi512EEEvPfS2_PT_PKS3_PKT0_S9_ifPKiSB_iPKfiiiSD_SD_iiiii,@function
_ZN4vllm25paged_attention_v2_kernelIfhLi128ELi32ELi128ELNS_18Fp8KVCacheDataTypeE1ELb1ELi512EEEvPfS2_PT_PKS3_PKT0_S9_ifPKiSB_iPKfiiiSD_SD_iiiii: ; @_ZN4vllm25paged_attention_v2_kernelIfhLi128ELi32ELi128ELNS_18Fp8KVCacheDataTypeE1ELb1ELi512EEEvPfS2_PT_PKS3_PKT0_S9_ifPKiSB_iPKfiiiSD_SD_iiiii
; %bb.0:
	s_load_b64 s[2:3], s[0:1], 0x40
	s_and_b32 s37, ttmp7, 0xffff
	s_lshr_b32 s36, ttmp7, 16
	s_lshl_b32 s4, s37, 2
	s_lshl_b32 s6, s36, 9
	s_wait_kmcnt 0x0
	s_load_b32 s7, s[2:3], s4 offset:0x0
	s_wait_kmcnt 0x0
	s_cmp_ge_i32 s6, s7
	s_cbranch_scc1 .LBB231_180
; %bb.1:
	s_clause 0x1
	s_load_b32 s38, s[0:1], 0x90
	s_load_b64 s[16:17], s[0:1], 0x30
	s_wait_kmcnt 0x0
	s_abs_i32 s5, s38
	s_abs_i32 s2, s16
	s_delay_alu instid0(SALU_CYCLE_1) | instskip(SKIP_1) | instid1(SALU_CYCLE_2)
	s_cvt_f32_u32 s3, s2
	s_sub_co_i32 s4, 0, s2
	v_rcp_iflag_f32_e32 v1, s3
	s_delay_alu instid0(TRANS32_DEP_1) | instskip(SKIP_2) | instid1(SALU_CYCLE_2)
	v_readfirstlane_b32 s3, v1
	s_mul_f32 s3, s3, 0x4f7ffffe
	s_wait_alu 0xfffe
	s_cvt_u32_f32 s3, s3
	s_wait_alu 0xfffe
	s_delay_alu instid0(SALU_CYCLE_2) | instskip(NEXT) | instid1(SALU_CYCLE_1)
	s_mul_i32 s4, s4, s3
	s_mul_hi_u32 s4, s3, s4
	s_delay_alu instid0(SALU_CYCLE_1)
	s_add_co_i32 s3, s3, s4
	s_xor_b32 s4, s38, s16
	s_wait_alu 0xfffe
	s_mul_hi_u32 s3, s5, s3
	s_ashr_i32 s4, s4, 31
	s_wait_alu 0xfffe
	s_mul_i32 s8, s3, s2
	s_delay_alu instid0(SALU_CYCLE_1)
	s_sub_co_i32 s5, s5, s8
	s_add_co_i32 s8, s3, 1
	s_sub_co_i32 s9, s5, s2
	s_cmp_ge_u32 s5, s2
	s_cselect_b32 s3, s8, s3
	s_cselect_b32 s5, s9, s5
	s_wait_alu 0xfffe
	s_add_co_i32 s8, s3, 1
	s_cmp_ge_u32 s5, s2
	s_mov_b32 s5, 0
	s_cselect_b32 s2, s8, s3
	s_load_b64 s[8:9], s[0:1], 0x50
	s_xor_b32 s2, s2, s4
	s_mov_b32 s34, s5
	s_wait_alu 0xfffe
	s_sub_co_i32 s11, s2, s4
	s_abs_i32 s4, ttmp9
	s_abs_i32 s10, s11
	s_delay_alu instid0(SALU_CYCLE_1) | instskip(SKIP_2) | instid1(SALU_CYCLE_1)
	s_cvt_f32_u32 s2, s10
	s_sub_co_i32 s3, 0, s10
	s_wait_alu 0xfffe
	v_rcp_iflag_f32_e32 v1, s2
	s_delay_alu instid0(TRANS32_DEP_1) | instskip(SKIP_2) | instid1(SALU_CYCLE_2)
	v_readfirstlane_b32 s2, v1
	s_mul_f32 s2, s2, 0x4f7ffffe
	s_wait_alu 0xfffe
	s_cvt_u32_f32 s2, s2
	s_wait_alu 0xfffe
	s_delay_alu instid0(SALU_CYCLE_2)
	s_mul_i32 s3, s3, s2
	s_wait_alu 0xfffe
	s_mul_hi_u32 s3, s2, s3
	s_wait_alu 0xfffe
	s_add_co_i32 s2, s2, s3
	s_mov_b32 s3, s5
	s_wait_kmcnt 0x0
	s_cmp_eq_u64 s[8:9], 0
	s_cbranch_scc1 .LBB231_3
; %bb.2:
	s_mov_b32 s12, ttmp9
	s_ashr_i32 s13, ttmp9, 31
	s_delay_alu instid0(SALU_CYCLE_1) | instskip(NEXT) | instid1(SALU_CYCLE_1)
	s_lshl_b64 s[12:13], s[12:13], 2
	s_add_nc_u64 s[8:9], s[8:9], s[12:13]
	s_load_b32 s34, s[8:9], 0x0
.LBB231_3:
	s_load_b96 s[20:22], s[0:1], 0x58
	s_mul_u64 s[2:3], s[4:5], s[2:3]
	v_cmp_gt_u32_e64 s2, 32, v0
	s_ashr_i32 s5, ttmp9, 31
	s_ashr_i32 s8, s11, 31
	s_lshl_b32 s24, ttmp9, 7
	s_wait_alu 0xfffe
	s_and_saveexec_b32 s9, s2
	s_cbranch_execz .LBB231_5
; %bb.4:
	s_load_b64 s[12:13], s[0:1], 0x18
	s_wait_kmcnt 0x0
	s_mul_i32 s14, s20, s37
	s_ashr_i32 s25, s24, 31
	s_ashr_i32 s15, s14, 31
	v_lshlrev_b32_e32 v5, 4, v0
	s_lshl_b64 s[14:15], s[14:15], 2
	s_delay_alu instid0(SALU_CYCLE_1) | instskip(SKIP_1) | instid1(SALU_CYCLE_1)
	s_add_nc_u64 s[12:13], s[12:13], s[14:15]
	s_lshl_b64 s[14:15], s[24:25], 2
	s_add_nc_u64 s[12:13], s[12:13], s[14:15]
	global_load_b128 v[1:4], v5, s[12:13]
	s_wait_loadcnt 0x0
	ds_store_b128 v5, v[1:4]
.LBB231_5:
	s_or_b32 exec_lo, exec_lo, s9
	s_load_b128 s[12:15], s[0:1], 0x78
	s_mul_i32 s9, s3, s10
	s_xor_b32 s5, s5, s8
	s_sub_co_i32 s4, s4, s9
	s_add_co_i32 s8, s3, 1
	s_sub_co_i32 s9, s4, s10
	s_cmp_ge_u32 s4, s10
                                        ; implicit-def: $sgpr25
	s_cselect_b32 s3, s8, s3
	s_cselect_b32 s4, s9, s4
	s_wait_alu 0xfffe
	s_add_co_i32 s8, s3, 1
	s_cmp_ge_u32 s4, s10
	s_mov_b32 s9, -1
	s_cselect_b32 s4, s8, s3
	s_load_b32 s3, s[0:1], 0x88
	s_xor_b32 s4, s4, s5
	s_wait_dscnt 0x0
	s_sub_co_i32 s23, s4, s5
	s_barrier_signal -1
	s_barrier_wait -1
	s_wait_kmcnt 0x0
	s_abs_i32 s20, s15
	global_inv scope:SCOPE_SE
	s_cvt_f32_u32 s8, s20
	s_delay_alu instid0(SALU_CYCLE_3) | instskip(NEXT) | instid1(TRANS32_DEP_1)
	v_rcp_iflag_f32_e32 v1, s8
	v_readfirstlane_b32 s8, v1
	s_mul_f32 s4, s8, 0x4f7ffffe
	s_add_co_i32 s8, s7, -1
	s_delay_alu instid0(SALU_CYCLE_2) | instskip(SKIP_1) | instid1(SALU_CYCLE_2)
	s_cvt_u32_f32 s10, s4
	s_sub_co_i32 s4, 0, s20
	s_mul_i32 s5, s4, s10
	s_wait_alu 0xfffe
	s_abs_i32 s4, s8
	s_mul_hi_u32 s11, s10, s5
	s_mov_b32 s5, 0
	s_add_co_i32 s26, s10, s11
	s_cmp_lt_i32 s3, 0
	s_mov_b32 s27, s5
	s_cbranch_scc0 .LBB231_7
; %bb.6:
	s_mul_i32 s9, s12, s16
	s_wait_alu 0xfffe
	s_add_co_i32 s9, s23, s9
	s_wait_alu 0xfffe
	s_mul_i32 s9, s9, s3
	s_wait_alu 0xfffe
	s_sub_co_i32 s25, 1, s9
	s_mov_b32 s9, s5
.LBB231_7:
	s_mul_u64 s[18:19], s[4:5], s[26:27]
	s_ashr_i32 s5, s8, 31
	s_wait_alu 0xfffe
	s_and_not1_b32 vcc_lo, exec_lo, s9
	s_ashr_i32 s27, s15, 31
	s_cbranch_vccnz .LBB231_9
; %bb.8:
	s_mul_i32 s8, s38, s12
	s_wait_alu 0xfffe
	s_add_co_i32 s8, s8, ttmp9
	s_wait_alu 0xfffe
	s_mul_i32 s3, s8, s3
	s_wait_alu 0xfffe
	s_add_co_i32 s25, s3, 1
.LBB231_9:
	s_clause 0x3
	s_load_b32 s3, s[0:1], 0x48
	s_load_b64 s[28:29], s[0:1], 0x38
	s_load_b32 s15, s[0:1], 0x98
	s_load_b128 s[8:11], s[0:1], 0x68
	s_mul_i32 s12, s19, s20
	s_xor_b32 s5, s5, s27
	s_sub_co_i32 s4, s4, s12
	s_add_co_i32 s16, s19, 1
	v_lshrrev_b32_e32 v1, 5, v0
	scratch_store_b32 off, v0, off offset:248 ; 4-byte Folded Spill
	v_dual_mov_b32 v161, 0xff7fffff :: v_dual_and_b32 v0, 31, v0
	s_mul_i32 s22, s23, s22
	v_lshl_add_u32 v137, v1, 5, s6
	s_clause 0x1
	scratch_store_b32 off, v1, off offset:252
	scratch_store_b32 off, v0, off
	v_lshlrev_b32_e32 v9, 2, v0
	s_wait_kmcnt 0x0
	s_mul_i32 s30, s3, s37
	s_sub_co_i32 s3, s4, s20
	s_ashr_i32 s31, s30, 31
	s_cmp_ge_u32 s4, s20
	s_cselect_b32 s12, s16, s19
	s_wait_alu 0xfffe
	s_cselect_b32 s3, s3, s4
	s_add_co_i32 s4, s12, 1
	s_wait_alu 0xfffe
	s_cmp_ge_u32 s3, s20
	s_cselect_b32 s3, s4, s12
	s_add_co_i32 s4, s7, 31
	s_lshl_b32 s40, s36, 4
	s_ashr_i32 s12, s4, 31
	v_add_nc_u32_e32 v138, s40, v1
	s_lshr_b32 s12, s12, 27
	s_add_co_i32 s16, s40, 16
	s_add_co_i32 s4, s4, s12
	s_delay_alu instid0(SALU_CYCLE_1)
	s_ashr_i32 s12, s4, 5
	s_wait_alu 0xfffe
	s_xor_b32 s4, s3, s5
	s_min_i32 s33, s16, s12
	v_lshlrev_b32_e32 v10, 2, v138
	v_cmp_gt_i32_e64 s3, s33, v138
	s_sub_co_i32 s39, s4, s5
	s_and_saveexec_b32 s16, s3
	s_cbranch_execz .LBB231_17
; %bb.10:
	scratch_load_b32 v0, off, off           ; 4-byte Folded Reload
	v_mov_b32_e32 v1, 0
	s_load_b64 s[4:5], s[0:1], 0x20
	s_sub_co_i32 s18, s39, s13
	s_ashr_i32 s23, s22, 31
	s_cmp_neq_f32 s34, 0
	ds_load_b128 v[4:7], v1
	v_mov_b32_e32 v145, v138
	v_mov_b32_e32 v161, 0xff7fffff
	s_cselect_b32 vcc_lo, -1, 0
	s_abs_i32 s19, s14
	s_delay_alu instid0(SALU_CYCLE_1) | instskip(NEXT) | instid1(SALU_CYCLE_3)
	s_cvt_f32_u32 s35, s19
	v_rcp_iflag_f32_e32 v2, s35
	s_mov_b32 s35, s21
	s_wait_kmcnt 0x0
	s_add_nc_u64 s[4:5], s[4:5], s[22:23]
	s_wait_dscnt 0x0
	scratch_store_b128 off, v[4:7], off offset:4 ; 16-byte Folded Spill
	ds_load_b128 v[4:7], v1 offset:16
	v_readfirstlane_b32 s23, v2
	s_wait_dscnt 0x0
	scratch_store_b128 off, v[4:7], off offset:20 ; 16-byte Folded Spill
	ds_load_b128 v[4:7], v1 offset:32
	s_wait_dscnt 0x0
	scratch_store_b128 off, v[4:7], off offset:36 ; 16-byte Folded Spill
	ds_load_b128 v[4:7], v1 offset:48
	;; [unrolled: 3-line block ×4, first 2 shown]
	s_wait_dscnt 0x0
	scratch_store_b128 off, v[4:7], off offset:84 ; 16-byte Folded Spill
	s_wait_loadcnt 0x0
	v_lshlrev_b32_e32 v3, 4, v0
	s_delay_alu instid0(VALU_DEP_1)
	v_add_co_u32 v159, s4, s4, v3
	ds_load_b128 v[2:5], v1 offset:96
	s_wait_alu 0xf1ff
	v_add_co_ci_u32_e64 v160, null, s5, 0, s4
	s_mul_f32 s4, s23, 0x4f7ffffe
	s_sub_co_i32 s23, 0, s19
	s_wait_alu 0xfffe
	s_delay_alu instid0(SALU_CYCLE_1)
	s_cvt_u32_f32 s41, s4
	s_lshl_b64 s[4:5], s[30:31], 2
	s_wait_alu 0xfffe
	s_add_nc_u64 s[4:5], s[28:29], s[4:5]
	s_mul_i32 s23, s23, s41
	s_wait_alu 0xfffe
	v_add_co_u32 v131, s4, s4, v10
	s_wait_alu 0xf1ff
	v_add_co_ci_u32_e64 v132, null, s5, 0, s4
	s_mul_hi_u32 s4, s41, s23
	s_mov_b32 s23, 0
	s_wait_alu 0xfffe
	s_add_co_i32 s41, s41, s4
	s_wait_dscnt 0x0
	scratch_store_b128 off, v[2:5], off offset:100 ; 16-byte Folded Spill
	ds_load_b128 v[2:5], v1 offset:112
	s_wait_dscnt 0x0
	scratch_store_b128 off, v[2:5], off offset:116 ; 16-byte Folded Spill
	ds_load_b128 v[2:5], v1 offset:128
	;; [unrolled: 3-line block ×9, first 2 shown]
	ds_load_b128 v[65:68], v1 offset:256
	ds_load_b128 v[69:72], v1 offset:272
	;; [unrolled: 1-line block ×16, first 2 shown]
	v_subrev_nc_u32_e32 v1, s7, v0
	scratch_load_b32 v0, off, off offset:252 ; 4-byte Folded Reload
	s_wait_loadcnt 0x0
	v_lshl_or_b32 v2, v0, 7, v9
	v_lshl_add_u32 v142, v0, 5, s6
	v_add_nc_u32_e32 v0, 1, v1
	scratch_store_b32 off, v9, off offset:256 ; 4-byte Folded Spill
	v_add_nc_u32_e32 v144, 0x220, v2
	scratch_store_b32 off, v0, off offset:244 ; 4-byte Folded Spill
	s_branch .LBB231_12
.LBB231_11:                             ;   in Loop: Header=BB231_12 Depth=1
	s_wait_alu 0xfffe
	s_or_b32 exec_lo, exec_lo, s5
	v_add_nc_u32_e32 v145, 4, v145
	v_add_co_u32 v131, s5, v131, 16
	s_wait_alu 0xf1ff
	v_add_co_ci_u32_e64 v132, null, 0, v132, s5
	s_delay_alu instid0(VALU_DEP_3) | instskip(SKIP_3) | instid1(SALU_CYCLE_1)
	v_cmp_le_i32_e64 s4, s33, v145
	v_add_nc_u32_e32 v142, 0x80, v142
	v_add_nc_u32_e32 v144, 0x200, v144
	s_or_b32 s23, s4, s23
	s_and_not1_b32 exec_lo, exec_lo, s23
	s_cbranch_execz .LBB231_16
.LBB231_12:                             ; =>This Inner Loop Header: Depth=1
	v_sub_nc_u32_e32 v1, 0, v142
	s_delay_alu instid0(VALU_DEP_1) | instskip(NEXT) | instid1(VALU_DEP_1)
	v_max_i32_e32 v1, v142, v1
	v_mul_hi_u32 v2, v1, s26
	s_delay_alu instid0(VALU_DEP_1) | instskip(NEXT) | instid1(VALU_DEP_1)
	v_mul_lo_u32 v3, v2, s20
	v_sub_nc_u32_e32 v1, v1, v3
	v_add_nc_u32_e32 v3, 1, v2
	s_delay_alu instid0(VALU_DEP_2) | instskip(SKIP_2) | instid1(VALU_DEP_1)
	v_subrev_nc_u32_e32 v4, s20, v1
	v_cmp_le_u32_e64 s4, s20, v1
	s_wait_alu 0xf1ff
	v_cndmask_b32_e64 v2, v2, v3, s4
	s_delay_alu instid0(VALU_DEP_3) | instskip(SKIP_1) | instid1(VALU_DEP_3)
	v_cndmask_b32_e64 v1, v1, v4, s4
	v_ashrrev_i32_e32 v3, 31, v142
	v_add_nc_u32_e32 v4, 1, v2
	s_delay_alu instid0(VALU_DEP_3) | instskip(NEXT) | instid1(VALU_DEP_3)
	v_cmp_le_u32_e64 s4, s20, v1
	v_xor_b32_e32 v3, s27, v3
	s_wait_alu 0xf1ff
	s_delay_alu instid0(VALU_DEP_2) | instskip(NEXT) | instid1(VALU_DEP_1)
	v_cndmask_b32_e64 v1, v2, v4, s4
	v_xor_b32_e32 v1, v1, v3
	s_delay_alu instid0(VALU_DEP_1) | instskip(NEXT) | instid1(VALU_DEP_1)
	v_sub_nc_u32_e32 v1, v1, v3
	v_add_nc_u32_e32 v2, s25, v1
	v_cmp_ge_i32_e64 s5, s18, v1
	s_delay_alu instid0(VALU_DEP_2) | instskip(NEXT) | instid1(VALU_DEP_1)
	v_sub_nc_u32_e32 v3, 0, v2
	v_max_i32_e32 v3, v2, v3
	v_ashrrev_i32_e32 v2, 31, v2
	s_wait_alu 0xfffe
	s_delay_alu instid0(VALU_DEP_2) | instskip(NEXT) | instid1(VALU_DEP_1)
	v_mul_hi_u32 v4, v3, s41
	v_mul_lo_u32 v4, v4, s19
	s_delay_alu instid0(VALU_DEP_1) | instskip(NEXT) | instid1(VALU_DEP_1)
	v_sub_nc_u32_e32 v3, v3, v4
	v_subrev_nc_u32_e32 v4, s19, v3
	v_cmp_le_u32_e64 s4, s19, v3
	s_wait_alu 0xf1ff
	s_delay_alu instid0(VALU_DEP_1) | instskip(NEXT) | instid1(VALU_DEP_1)
	v_cndmask_b32_e64 v3, v3, v4, s4
	v_subrev_nc_u32_e32 v4, s19, v3
	v_cmp_le_u32_e64 s4, s19, v3
	s_wait_alu 0xf1ff
	s_delay_alu instid0(VALU_DEP_1) | instskip(NEXT) | instid1(VALU_DEP_1)
	v_cndmask_b32_e64 v3, v3, v4, s4
	v_xor_b32_e32 v3, v3, v2
	s_delay_alu instid0(VALU_DEP_1) | instskip(NEXT) | instid1(VALU_DEP_1)
	v_sub_nc_u32_e32 v2, v3, v2
	v_cmp_ne_u32_e64 s4, 0, v2
	s_and_b32 s4, s4, s5
	s_wait_alu 0xfffe
	s_and_saveexec_b32 s5, s4
	s_wait_alu 0xfffe
	s_xor_b32 s4, exec_lo, s5
; %bb.13:                               ;   in Loop: Header=BB231_12 Depth=1
	v_mov_b32_e32 v1, 0xff7fffff
	ds_store_b32 v144, v1
; %bb.14:                               ;   in Loop: Header=BB231_12 Depth=1
	s_wait_alu 0xfffe
	s_and_not1_saveexec_b32 s5, s4
	s_cbranch_execz .LBB231_11
; %bb.15:                               ;   in Loop: Header=BB231_12 Depth=1
	global_load_b32 v1, v[131:132], off
	s_load_b32 s4, s[8:9], 0x0
	s_clause 0x2
	scratch_load_b128 v[151:154], off, off offset:20
	scratch_load_b128 v[147:150], off, off offset:4
	;; [unrolled: 1-line block ×3, first 2 shown]
	s_wait_loadcnt 0x3
	v_mad_co_i64_i32 v[133:134], null, v1, s35, v[159:160]
	global_load_b128 v[1:4], v[133:134], off
	s_wait_loadcnt 0x0
	v_and_b32_e32 v25, 0xffff, v1
	v_lshrrev_b32_e32 v23, 16, v1
	v_and_b32_e32 v22, 0xffff, v2
	v_lshrrev_b32_e32 v21, 16, v2
	v_and_b32_e32 v20, 0xffff, v3
	v_lshrrev_b32_e32 v19, 16, v3
	v_and_b32_e32 v17, 0xffff, v4
	v_lshrrev_b32_e32 v16, 16, v4
	global_load_b128 v[1:4], v[133:134], off offset:512
	s_wait_loadcnt 0x0
	v_and_b32_e32 v53, 0xffff, v1
	v_lshrrev_b32_e32 v52, 16, v1
	v_and_b32_e32 v50, 0xffff, v2
	v_lshrrev_b32_e32 v49, 16, v2
	v_and_b32_e32 v47, 0xffff, v3
	v_lshrrev_b32_e32 v46, 16, v3
	v_and_b32_e32 v45, 0xffff, v4
	v_lshrrev_b32_e32 v44, 16, v4
	global_load_b128 v[1:4], v[133:134], off offset:1024
	;; [unrolled: 10-line block ×5, first 2 shown]
	s_wait_loadcnt 0x0
	v_and_b32_e32 v48, 0xffff, v1
	v_lshrrev_b32_e32 v40, 16, v1
	v_and_b32_e32 v33, 0xffff, v2
	v_lshrrev_b32_e32 v31, 16, v2
	;; [unrolled: 2-line block ×4, first 2 shown]
	s_clause 0x1
	global_load_b128 v[1:4], v[133:134], off offset:3072
	global_load_b128 v[133:136], v[133:134], off offset:3584
	s_wait_loadcnt 0x1
	v_and_b32_e32 v14, 0xffff, v2
	s_wait_loadcnt 0x0
	v_and_b32_e32 v12, 0xffff, v133
	v_lshrrev_b32_e32 v10, 16, v133
	v_and_b32_e32 v9, 0xffff, v134
	v_lshrrev_b32_e32 v7, 16, v134
	v_cvt_pk_f32_fp8_e32 v[133:134], v25
	v_lshrrev_b32_e32 v13, 16, v2
	v_and_b32_e32 v5, 0xffff, v135
	v_lshrrev_b32_e32 v2, 16, v135
	s_wait_kmcnt 0x0
	v_dual_mul_f32 v25, s4, v134 :: v_dual_and_b32 v18, 0xffff, v1
	v_mul_f32_e32 v135, s4, v133
	v_cvt_pk_f32_fp8_e32 v[133:134], v23
	v_cvt_pk_f32_fp8_e32 v[22:23], v22
	v_lshrrev_b32_e32 v15, 16, v1
	v_and_b32_e32 v11, 0xffff, v3
	v_lshrrev_b32_e32 v8, 16, v3
	v_and_b32_e32 v6, 0xffff, v4
	;; [unrolled: 2-line block ×3, first 2 shown]
	v_lshrrev_b32_e32 v1, 16, v136
	v_dual_mul_f32 v136, s4, v133 :: v_dual_mul_f32 v133, s4, v22
	v_cvt_pk_f32_fp8_e32 v[21:22], v21
	v_dual_mul_f32 v23, s4, v23 :: v_dual_mul_f32 v134, s4, v134
	s_delay_alu instid0(VALU_DEP_2) | instskip(SKIP_1) | instid1(VALU_DEP_4)
	v_mul_f32_e32 v139, s4, v21
	v_cvt_pk_f32_fp8_e32 v[20:21], v20
	v_dual_mul_f32 v22, s4, v22 :: v_dual_mul_f32 v133, v151, v133
	s_delay_alu instid0(VALU_DEP_2) | instskip(SKIP_1) | instid1(VALU_DEP_1)
	v_mul_f32_e32 v190, s4, v20
	v_cvt_pk_f32_fp8_e32 v[19:20], v19
	v_dual_mul_f32 v21, s4, v21 :: v_dual_mul_f32 v140, s4, v20
	s_delay_alu instid0(VALU_DEP_2) | instskip(SKIP_2) | instid1(VALU_DEP_2)
	v_mul_f32_e32 v191, s4, v19
	v_cvt_pk_f32_fp8_e32 v[19:20], v17
	v_cvt_pk_f32_fp8_e32 v[16:17], v16
	v_mul_f32_e32 v20, s4, v20
	s_delay_alu instid0(VALU_DEP_2) | instskip(SKIP_3) | instid1(VALU_DEP_3)
	v_dual_mul_f32 v0, s4, v17 :: v_dual_mul_f32 v129, s4, v16
	v_cvt_pk_f32_fp8_e32 v[16:17], v53
	v_mul_f32_e32 v143, s4, v19
	v_mul_f32_e32 v19, v153, v139
	v_dual_mul_f32 v53, s4, v17 :: v_dual_mul_f32 v130, s4, v16
	v_cvt_pk_f32_fp8_e32 v[16:17], v52
	s_delay_alu instid0(VALU_DEP_1) | instskip(NEXT) | instid1(VALU_DEP_2)
	v_dual_fmac_f32 v19, v149, v136 :: v_dual_mul_f32 v52, s4, v17
	v_mul_f32_e32 v141, s4, v16
	v_cvt_pk_f32_fp8_e32 v[16:17], v50
	s_delay_alu instid0(VALU_DEP_1) | instskip(NEXT) | instid1(VALU_DEP_2)
	v_mul_f32_e32 v50, s4, v17
	v_mul_f32_e32 v166, s4, v16
	v_cvt_pk_f32_fp8_e32 v[16:17], v49
	s_delay_alu instid0(VALU_DEP_1) | instskip(NEXT) | instid1(VALU_DEP_2)
	v_mul_f32_e32 v49, s4, v17
	v_mul_f32_e32 v167, s4, v16
	v_cvt_pk_f32_fp8_e32 v[16:17], v47
	s_delay_alu instid0(VALU_DEP_1) | instskip(SKIP_1) | instid1(VALU_DEP_1)
	v_dual_mul_f32 v47, s4, v17 :: v_dual_mul_f32 v168, s4, v16
	v_cvt_pk_f32_fp8_e32 v[16:17], v46
	v_dual_mul_f32 v46, s4, v17 :: v_dual_mul_f32 v169, s4, v16
	v_cvt_pk_f32_fp8_e32 v[16:17], v45
	s_delay_alu instid0(VALU_DEP_1) | instskip(SKIP_1) | instid1(VALU_DEP_1)
	v_dual_mul_f32 v45, s4, v17 :: v_dual_mul_f32 v170, s4, v16
	v_cvt_pk_f32_fp8_e32 v[16:17], v44
	v_dual_mul_f32 v44, s4, v17 :: v_dual_mul_f32 v171, s4, v16
	;; [unrolled: 5-line block ×6, first 2 shown]
	v_cvt_pk_f32_fp8_e32 v[16:17], v54
	s_delay_alu instid0(VALU_DEP_1) | instskip(NEXT) | instid1(VALU_DEP_2)
	v_mul_f32_e32 v54, s4, v17
	v_mul_f32_e32 v180, s4, v16
	v_cvt_pk_f32_fp8_e32 v[16:17], v55
	s_delay_alu instid0(VALU_DEP_1) | instskip(NEXT) | instid1(VALU_DEP_2)
	v_mul_f32_e32 v55, s4, v17
	v_mul_f32_e32 v181, s4, v16
	;; [unrolled: 4-line block ×6, first 2 shown]
	v_cvt_pk_f32_fp8_e32 v[16:17], v61
	s_delay_alu instid0(VALU_DEP_1) | instskip(SKIP_1) | instid1(VALU_DEP_1)
	v_dual_mul_f32 v61, s4, v17 :: v_dual_mul_f32 v186, s4, v16
	v_cvt_pk_f32_fp8_e32 v[16:17], v62
	v_dual_mul_f32 v62, s4, v17 :: v_dual_mul_f32 v187, s4, v16
	v_cvt_pk_f32_fp8_e32 v[16:17], v64
	s_delay_alu instid0(VALU_DEP_1) | instskip(NEXT) | instid1(VALU_DEP_2)
	v_mul_f32_e32 v64, s4, v17
	v_mul_f32_e32 v188, s4, v16
	v_cvt_pk_f32_fp8_e32 v[16:17], v63
	s_delay_alu instid0(VALU_DEP_1) | instskip(NEXT) | instid1(VALU_DEP_2)
	v_mul_f32_e32 v63, s4, v17
	v_mul_f32_e32 v189, s4, v16
	v_cvt_pk_f32_fp8_e32 v[16:17], v60
	s_delay_alu instid0(VALU_DEP_1) | instskip(NEXT) | instid1(VALU_DEP_2)
	v_mul_f32_e32 v60, s4, v17
	v_dual_mul_f32 v146, s4, v16 :: v_dual_mul_f32 v17, v152, v23
	v_dual_mul_f32 v16, v154, v22 :: v_dual_fmac_f32 v133, v147, v135
	scratch_load_b128 v[151:154], off, off offset:68 ; 16-byte Folded Reload
	v_dual_fmac_f32 v16, v150, v134 :: v_dual_fmac_f32 v17, v148, v25
	scratch_load_b128 v[147:150], off, off offset:52 ; 16-byte Folded Reload
	v_fmac_f32_e32 v16, v158, v140
	s_wait_loadcnt 0x0
	s_delay_alu instid0(VALU_DEP_1) | instskip(NEXT) | instid1(VALU_DEP_1)
	v_dual_fmac_f32 v16, v150, v0 :: v_dual_fmac_f32 v17, v156, v21
	v_fmac_f32_e32 v17, v148, v20
	v_cvt_pk_f32_fp8_e32 v[20:21], v51
	s_delay_alu instid0(VALU_DEP_1) | instskip(SKIP_1) | instid1(VALU_DEP_1)
	v_dual_mul_f32 v22, s4, v21 :: v_dual_mul_f32 v23, s4, v20
	v_cvt_pk_f32_fp8_e32 v[20:21], v41
	v_mul_f32_e32 v25, s4, v21
	s_delay_alu instid0(VALU_DEP_2) | instskip(SKIP_1) | instid1(VALU_DEP_1)
	v_mul_f32_e32 v41, s4, v20
	v_cvt_pk_f32_fp8_e32 v[20:21], v32
	v_dual_fmac_f32 v133, v155, v190 :: v_dual_mul_f32 v32, s4, v20
	s_delay_alu instid0(VALU_DEP_2) | instskip(SKIP_2) | instid1(VALU_DEP_2)
	v_mul_f32_e32 v0, s4, v21
	v_cvt_pk_f32_fp8_e32 v[20:21], v30
	v_fmac_f32_e32 v19, v157, v191
	v_dual_fmac_f32 v133, v147, v143 :: v_dual_mul_f32 v30, s4, v21
	s_delay_alu instid0(VALU_DEP_2) | instskip(SKIP_4) | instid1(VALU_DEP_2)
	v_fmac_f32_e32 v19, v149, v129
	scratch_load_b128 v[147:150], off, off offset:84 ; 16-byte Folded Reload
	v_dual_fmac_f32 v17, v152, v53 :: v_dual_fmac_f32 v16, v154, v52
	v_fmac_f32_e32 v19, v153, v141
	s_wait_loadcnt 0x0
	v_fmac_f32_e32 v17, v148, v50
	scratch_load_b128 v[50:53], off, off offset:100 ; 16-byte Folded Reload
	v_dual_fmac_f32 v16, v150, v49 :: v_dual_fmac_f32 v133, v151, v130
	v_fmac_f32_e32 v19, v149, v167
	s_delay_alu instid0(VALU_DEP_2)
	v_fmac_f32_e32 v133, v147, v166
	scratch_load_b128 v[147:150], off, off offset:132 ; 16-byte Folded Reload
	s_wait_loadcnt 0x1
	v_fmac_f32_e32 v133, v50, v168
	v_fmac_f32_e32 v17, v51, v47
	;; [unrolled: 1-line block ×3, first 2 shown]
	scratch_load_b128 v[49:52], off, off offset:116 ; 16-byte Folded Reload
	v_mul_f32_e32 v47, s4, v20
	v_cvt_pk_f32_fp8_e32 v[20:21], v28
	v_fmac_f32_e32 v16, v53, v46
	s_wait_loadcnt 0x0
	s_delay_alu instid0(VALU_DEP_2)
	v_dual_mul_f32 v28, s4, v21 :: v_dual_fmac_f32 v133, v49, v170
	v_fmac_f32_e32 v17, v50, v45
	v_mul_f32_e32 v45, s4, v20
	v_fmac_f32_e32 v19, v51, v171
	v_cvt_pk_f32_fp8_e32 v[20:21], v48
	v_fmac_f32_e32 v16, v52, v44
	scratch_load_b128 v[48:51], off, off offset:148 ; 16-byte Folded Reload
	v_fmac_f32_e32 v133, v147, v172
	v_fmac_f32_e32 v17, v148, v43
	v_dual_fmac_f32 v19, v149, v173 :: v_dual_fmac_f32 v16, v150, v42
	scratch_load_b128 v[147:150], off, off offset:164 ; 16-byte Folded Reload
	v_dual_mul_f32 v43, s4, v21 :: v_dual_mul_f32 v46, s4, v20
	v_cvt_pk_f32_fp8_e32 v[20:21], v40
	s_wait_loadcnt 0x1
	s_delay_alu instid0(VALU_DEP_1)
	v_dual_mul_f32 v40, s4, v20 :: v_dual_fmac_f32 v133, v48, v174
	v_fmac_f32_e32 v17, v49, v39
	v_dual_fmac_f32 v19, v50, v175 :: v_dual_fmac_f32 v16, v51, v38
	scratch_load_b128 v[48:51], off, off offset:180 ; 16-byte Folded Reload
	v_mul_f32_e32 v39, s4, v21
	s_wait_loadcnt 0x1
	v_fmac_f32_e32 v133, v147, v176
	v_fmac_f32_e32 v17, v148, v37
	v_dual_fmac_f32 v19, v149, v177 :: v_dual_fmac_f32 v16, v150, v36
	scratch_load_b128 v[147:150], off, off offset:196 ; 16-byte Folded Reload
	v_cvt_pk_f32_fp8_e32 v[20:21], v33
	s_delay_alu instid0(VALU_DEP_1)
	v_mul_f32_e32 v37, s4, v20
	s_wait_loadcnt 0x1
	v_fmac_f32_e32 v133, v48, v178
	v_fmac_f32_e32 v17, v49, v35
	v_dual_fmac_f32 v19, v50, v179 :: v_dual_fmac_f32 v16, v51, v34
	scratch_load_b128 v[48:51], off, off offset:212 ; 16-byte Folded Reload
	s_wait_loadcnt 0x1
	v_fmac_f32_e32 v17, v148, v54
	v_dual_fmac_f32 v19, v149, v181 :: v_dual_fmac_f32 v16, v150, v55
	scratch_load_b128 v[52:55], off, off offset:228 ; 16-byte Folded Reload
	s_wait_loadcnt 0x1
	v_dual_fmac_f32 v16, v51, v57 :: v_dual_fmac_f32 v19, v50, v183
	s_wait_loadcnt 0x0
	s_delay_alu instid0(VALU_DEP_1) | instskip(SKIP_1) | instid1(VALU_DEP_1)
	v_dual_fmac_f32 v16, v55, v59 :: v_dual_fmac_f32 v19, v54, v185
	s_wait_dscnt 0x10
	v_dual_fmac_f32 v16, v165, v62 :: v_dual_fmac_f32 v19, v164, v187
	s_wait_dscnt 0xf
	s_delay_alu instid0(VALU_DEP_1) | instskip(SKIP_1) | instid1(VALU_DEP_1)
	v_dual_fmac_f32 v16, v68, v63 :: v_dual_fmac_f32 v19, v67, v189
	s_wait_dscnt 0xe
	v_dual_fmac_f32 v16, v72, v22 :: v_dual_fmac_f32 v19, v71, v23
	s_wait_dscnt 0xd
	s_delay_alu instid0(VALU_DEP_1) | instskip(SKIP_1) | instid1(VALU_DEP_3)
	v_dual_fmac_f32 v16, v76, v0 :: v_dual_mul_f32 v33, s4, v21
	v_cvt_pk_f32_fp8_e32 v[20:21], v31
	v_fmac_f32_e32 v19, v75, v32
	s_wait_dscnt 0xc
	s_delay_alu instid0(VALU_DEP_2) | instskip(NEXT) | instid1(VALU_DEP_3)
	v_dual_fmac_f32 v16, v80, v28 :: v_dual_mul_f32 v31, s4, v21
	v_mul_f32_e32 v35, s4, v20
	v_cvt_pk_f32_fp8_e32 v[20:21], v29
	s_delay_alu instid0(VALU_DEP_1) | instskip(SKIP_1) | instid1(VALU_DEP_1)
	v_dual_mul_f32 v29, s4, v21 :: v_dual_mul_f32 v36, s4, v20
	v_cvt_pk_f32_fp8_e32 v[20:21], v27
	v_dual_mul_f32 v27, s4, v21 :: v_dual_mul_f32 v34, s4, v20
	v_cvt_pk_f32_fp8_e32 v[20:21], v26
	s_delay_alu instid0(VALU_DEP_1) | instskip(NEXT) | instid1(VALU_DEP_2)
	v_mul_f32_e32 v26, s4, v21
	v_mul_f32_e32 v38, s4, v20
	v_cvt_pk_f32_fp8_e32 v[20:21], v24
	s_delay_alu instid0(VALU_DEP_1) | instskip(NEXT) | instid1(VALU_DEP_2)
	v_mul_f32_e32 v24, s4, v21
	v_mul_f32_e32 v42, s4, v20
	v_cvt_pk_f32_fp8_e32 v[20:21], v18
	v_fmac_f32_e32 v19, v79, v45
	s_delay_alu instid0(VALU_DEP_2) | instskip(NEXT) | instid1(VALU_DEP_3)
	v_mul_f32_e32 v18, s4, v21
	v_mul_f32_e32 v44, s4, v20
	v_cvt_pk_f32_fp8_e32 v[20:21], v15
	v_cvt_pk_f32_fp8_e32 v[14:15], v14
	s_wait_dscnt 0xb
	v_fmac_f32_e32 v19, v83, v40
	s_delay_alu instid0(VALU_DEP_3) | instskip(NEXT) | instid1(VALU_DEP_3)
	v_mul_f32_e32 v21, s4, v21
	v_mul_f32_e32 v23, s4, v14
	v_cvt_pk_f32_fp8_e32 v[13:14], v13
	v_dual_mul_f32 v20, s4, v20 :: v_dual_mul_f32 v15, s4, v15
	s_delay_alu instid0(VALU_DEP_2) | instskip(SKIP_2) | instid1(VALU_DEP_1)
	v_mul_f32_e32 v22, s4, v14
	v_fmac_f32_e32 v16, v84, v39
	s_wait_dscnt 0xa
	v_fmac_f32_e32 v16, v88, v31
	v_fmac_f32_e32 v19, v87, v35
	s_wait_dscnt 0x9
	s_delay_alu instid0(VALU_DEP_1) | instskip(SKIP_1) | instid1(VALU_DEP_1)
	v_dual_fmac_f32 v16, v92, v27 :: v_dual_fmac_f32 v19, v91, v34
	s_wait_dscnt 0x8
	v_fmac_f32_e32 v16, v96, v24
	v_fmac_f32_e32 v17, v49, v56
	s_wait_dscnt 0x7
	s_delay_alu instid0(VALU_DEP_2) | instskip(NEXT) | instid1(VALU_DEP_2)
	v_dual_fmac_f32 v19, v95, v42 :: v_dual_fmac_f32 v16, v100, v21
	v_fmac_f32_e32 v17, v53, v58
	s_wait_dscnt 0x6
	s_delay_alu instid0(VALU_DEP_2) | instskip(NEXT) | instid1(VALU_DEP_2)
	v_dual_fmac_f32 v19, v99, v20 :: v_dual_fmac_f32 v16, v104, v22
	v_fmac_f32_e32 v17, v163, v61
	s_delay_alu instid0(VALU_DEP_1) | instskip(NEXT) | instid1(VALU_DEP_1)
	v_fmac_f32_e32 v17, v66, v64
	v_fmac_f32_e32 v17, v70, v60
	s_delay_alu instid0(VALU_DEP_1) | instskip(SKIP_3) | instid1(VALU_DEP_4)
	v_fmac_f32_e32 v17, v74, v25
	v_mul_f32_e32 v25, s4, v13
	v_cvt_pk_f32_fp8_e32 v[13:14], v11
	v_cvt_pk_f32_fp8_e32 v[11:12], v12
	v_fmac_f32_e32 v17, v78, v30
	s_delay_alu instid0(VALU_DEP_3) | instskip(NEXT) | instid1(VALU_DEP_4)
	v_dual_fmac_f32 v19, v103, v25 :: v_dual_mul_f32 v0, s4, v14
	v_mul_f32_e32 v30, s4, v13
	v_cvt_pk_f32_fp8_e32 v[13:14], v8
	s_delay_alu instid0(VALU_DEP_4) | instskip(SKIP_2) | instid1(VALU_DEP_3)
	v_dual_fmac_f32 v17, v82, v43 :: v_dual_mul_f32 v12, s4, v12
	v_fmac_f32_e32 v133, v147, v180
	v_cvt_pk_f32_fp8_e32 v[8:9], v9
	v_dual_mul_f32 v28, s4, v14 :: v_dual_fmac_f32 v17, v86, v33
	v_mul_f32_e32 v32, s4, v13
	v_cvt_pk_f32_fp8_e32 v[13:14], v6
	s_delay_alu instid0(VALU_DEP_4) | instskip(SKIP_2) | instid1(VALU_DEP_3)
	v_mul_f32_e32 v8, s4, v8
	s_wait_dscnt 0x5
	v_dual_fmac_f32 v16, v108, v28 :: v_dual_fmac_f32 v17, v90, v29
	v_dual_fmac_f32 v19, v107, v32 :: v_dual_mul_f32 v6, s4, v14
	v_mul_f32_e32 v29, s4, v13
	v_cvt_pk_f32_fp8_e32 v[13:14], v3
	s_delay_alu instid0(VALU_DEP_4) | instskip(NEXT) | instid1(VALU_DEP_2)
	v_fmac_f32_e32 v17, v94, v26
	v_mul_f32_e32 v3, s4, v14
	s_delay_alu instid0(VALU_DEP_2) | instskip(NEXT) | instid1(VALU_DEP_4)
	v_fmac_f32_e32 v17, v98, v18
	v_dual_mul_f32 v13, s4, v13 :: v_dual_mul_f32 v14, s4, v11
	v_cvt_pk_f32_fp8_e32 v[10:11], v10
	s_wait_dscnt 0x4
	v_fmac_f32_e32 v16, v112, v3
	v_fmac_f32_e32 v17, v102, v15
	;; [unrolled: 1-line block ×3, first 2 shown]
	v_cvt_pk_f32_fp8_e32 v[3:4], v4
	v_fmac_f32_e32 v133, v48, v182
	s_delay_alu instid0(VALU_DEP_4) | instskip(SKIP_2) | instid1(VALU_DEP_2)
	v_dual_mul_f32 v10, s4, v10 :: v_dual_fmac_f32 v17, v106, v0
	v_dual_mul_f32 v0, s4, v9 :: v_dual_mul_f32 v11, s4, v11
	s_wait_dscnt 0x3
	v_fmac_f32_e32 v19, v115, v10
	s_delay_alu instid0(VALU_DEP_3) | instskip(SKIP_1) | instid1(VALU_DEP_2)
	v_fmac_f32_e32 v17, v110, v6
	v_cvt_pk_f32_fp8_e32 v[6:7], v7
	v_dual_fmac_f32 v16, v116, v11 :: v_dual_fmac_f32 v17, v114, v12
	s_delay_alu instid0(VALU_DEP_2) | instskip(SKIP_1) | instid1(VALU_DEP_4)
	v_mul_f32_e32 v9, s4, v6
	v_cvt_pk_f32_fp8_e32 v[5:6], v5
	v_mul_f32_e32 v7, s4, v7
	s_wait_dscnt 0x2
	v_fmac_f32_e32 v17, v118, v0
	v_mul_f32_e32 v0, s4, v4
	v_dual_fmac_f32 v133, v52, v184 :: v_dual_mul_f32 v6, s4, v6
	v_mul_f32_e32 v4, s4, v3
	v_cvt_pk_f32_fp8_e32 v[2:3], v2
	v_fmac_f32_e32 v19, v119, v9
	s_delay_alu instid0(VALU_DEP_4) | instskip(SKIP_3) | instid1(VALU_DEP_3)
	v_fmac_f32_e32 v133, v162, v186
	s_wait_dscnt 0x1
	v_dual_fmac_f32 v17, v122, v6 :: v_dual_fmac_f32 v16, v120, v7
	v_dual_mul_f32 v2, s4, v2 :: v_dual_mul_f32 v3, s4, v3
	v_fmac_f32_e32 v133, v65, v188
	s_wait_dscnt 0x0
	s_delay_alu instid0(VALU_DEP_3) | instskip(SKIP_4) | instid1(VALU_DEP_2)
	v_fmac_f32_e32 v17, v126, v0
	v_mul_f32_e32 v5, s4, v5
	v_fmac_f32_e32 v19, v123, v2
	v_cvt_pk_f32_fp8_e32 v[1:2], v1
	v_fmac_f32_e32 v16, v124, v3
	v_dual_mul_f32 v0, s4, v1 :: v_dual_mul_f32 v1, s4, v2
	v_fmac_f32_e32 v133, v69, v146
	s_delay_alu instid0(VALU_DEP_2) | instskip(SKIP_2) | instid1(VALU_DEP_1)
	v_dual_fmac_f32 v19, v127, v0 :: v_dual_fmac_f32 v16, v128, v1
	scratch_load_b32 v1, off, off           ; 4-byte Folded Reload
	v_fmac_f32_e32 v133, v73, v41
	v_fmac_f32_e32 v133, v77, v47
	s_delay_alu instid0(VALU_DEP_1) | instskip(NEXT) | instid1(VALU_DEP_1)
	v_fmac_f32_e32 v133, v81, v46
	v_fmac_f32_e32 v133, v85, v37
	s_delay_alu instid0(VALU_DEP_1) | instskip(NEXT) | instid1(VALU_DEP_1)
	;; [unrolled: 3-line block ×7, first 2 shown]
	v_add_f32_e32 v0, v133, v17
	v_add_f32_e32 v0, v19, v0
	s_wait_loadcnt 0x0
	s_delay_alu instid0(VALU_DEP_1) | instskip(NEXT) | instid1(VALU_DEP_1)
	v_dual_add_f32 v0, v16, v0 :: v_dual_add_nc_u32 v1, v1, v142
	v_cmp_gt_i32_e64 s4, s7, v1
	scratch_load_b32 v1, off, off offset:244 ; 4-byte Folded Reload
	s_wait_loadcnt 0x0
	v_add_nc_u32_e32 v1, v1, v142
	s_delay_alu instid0(VALU_DEP_1) | instskip(NEXT) | instid1(VALU_DEP_1)
	v_cvt_f32_i32_e32 v1, v1
	v_mul_f32_e32 v1, s34, v1
	s_delay_alu instid0(VALU_DEP_1) | instskip(NEXT) | instid1(VALU_DEP_1)
	v_cndmask_b32_e32 v1, 0, v1, vcc_lo
	v_dual_fmac_f32 v1, s17, v0 :: v_dual_max_num_f32 v0, v161, v161
	s_delay_alu instid0(VALU_DEP_1) | instskip(SKIP_1) | instid1(VALU_DEP_1)
	v_max_num_f32_e32 v0, v0, v1
	s_wait_alu 0xf1ff
	v_cndmask_b32_e64 v161, v161, v0, s4
	v_cndmask_b32_e64 v0, 0, v1, s4
	ds_store_b32 v144, v0
	s_branch .LBB231_11
.LBB231_16:
	s_or_b32 exec_lo, exec_lo, s23
	scratch_load_b32 v9, off, off offset:256 ; 4-byte Folded Reload
	v_lshlrev_b32_e32 v10, 2, v138
.LBB231_17:
	s_or_b32 exec_lo, exec_lo, s16
	s_clause 0x2
	s_load_b128 s[16:19], s[0:1], 0x0
	s_load_b64 s[8:9], s[0:1], 0x10
	s_load_b64 s[34:35], s[0:1], 0x28
	scratch_load_b32 v0, off, off           ; 4-byte Folded Reload
	v_mbcnt_lo_u32_b32 v1, -1, 0
	v_max_num_f32_e32 v5, v161, v161
	s_delay_alu instid0(VALU_DEP_2) | instskip(SKIP_1) | instid1(VALU_DEP_2)
	v_xor_b32_e32 v2, 16, v1
	v_xor_b32_e32 v4, 8, v1
	v_cmp_gt_i32_e32 vcc_lo, 32, v2
	s_wait_alu 0xfffd
	v_cndmask_b32_e32 v2, v1, v2, vcc_lo
	s_delay_alu instid0(VALU_DEP_3) | instskip(NEXT) | instid1(VALU_DEP_2)
	v_cmp_gt_i32_e32 vcc_lo, 32, v4
	v_lshlrev_b32_e32 v2, 2, v2
	s_wait_alu 0xfffd
	v_cndmask_b32_e32 v4, v1, v4, vcc_lo
	ds_bpermute_b32 v3, v2, v161
	s_wait_dscnt 0x0
	v_dual_max_num_f32 v6, v3, v3 :: v_dual_lshlrev_b32 v3, 2, v4
	s_delay_alu instid0(VALU_DEP_1)
	v_max_num_f32_e32 v4, v5, v6
	v_xor_b32_e32 v6, 4, v1
	ds_bpermute_b32 v5, v3, v4
	v_cmp_gt_i32_e32 vcc_lo, 32, v6
	s_wait_alu 0xfffd
	v_cndmask_b32_e32 v6, v1, v6, vcc_lo
	s_delay_alu instid0(VALU_DEP_1) | instskip(SKIP_1) | instid1(VALU_DEP_1)
	v_lshlrev_b32_e32 v13, 2, v6
	v_xor_b32_e32 v6, 2, v1
	v_cmp_gt_i32_e32 vcc_lo, 32, v6
	s_wait_dscnt 0x0
	v_max_num_f32_e32 v5, v5, v5
	s_wait_alu 0xfffd
	v_cndmask_b32_e32 v6, v1, v6, vcc_lo
	s_delay_alu instid0(VALU_DEP_1) | instskip(SKIP_1) | instid1(VALU_DEP_1)
	v_lshlrev_b32_e32 v12, 2, v6
	v_xor_b32_e32 v6, 1, v1
	v_cmp_gt_i32_e32 vcc_lo, 32, v6
	s_wait_alu 0xfffd
	v_cndmask_b32_e32 v6, v1, v6, vcc_lo
	s_delay_alu instid0(VALU_DEP_1) | instskip(SKIP_3) | instid1(VALU_DEP_1)
	v_dual_max_num_f32 v4, v4, v5 :: v_dual_lshlrev_b32 v11, 2, v6
	ds_bpermute_b32 v5, v13, v4
	s_wait_dscnt 0x0
	v_max_num_f32_e32 v5, v5, v5
	v_max_num_f32_e32 v4, v4, v5
	ds_bpermute_b32 v5, v12, v4
	s_wait_dscnt 0x0
	v_max_num_f32_e32 v5, v5, v5
	s_delay_alu instid0(VALU_DEP_1)
	v_max_num_f32_e32 v1, v4, v5
	ds_bpermute_b32 v4, v11, v1
	s_wait_loadcnt 0x0
	v_cmp_eq_u32_e32 vcc_lo, 0, v0
	scratch_load_b32 v0, off, off offset:252 ; 4-byte Folded Reload
	s_wait_loadcnt 0x0
	v_lshlrev_b32_e32 v5, 2, v0
	s_and_saveexec_b32 s0, vcc_lo
	s_cbranch_execz .LBB231_19
; %bb.18:
	s_wait_dscnt 0x0
	v_dual_max_num_f32 v0, v4, v4 :: v_dual_max_num_f32 v1, v1, v1
	s_delay_alu instid0(VALU_DEP_1)
	v_max_num_f32_e32 v0, v1, v0
	ds_store_b32 v5, v0 offset:512
.LBB231_19:
	s_or_b32 exec_lo, exec_lo, s0
	scratch_load_b32 v0, off, off           ; 4-byte Folded Reload
	v_mov_b32_e32 v1, 0xff7fffff
	s_wait_storecnt 0x0
	s_wait_loadcnt_dscnt 0x0
	s_barrier_signal -1
	s_barrier_wait -1
	global_inv scope:SCOPE_SE
	v_cmp_gt_u32_e64 s0, 4, v0
	s_and_saveexec_b32 s1, s0
; %bb.20:
	ds_load_b32 v1, v9 offset:512
; %bb.21:
	s_or_b32 exec_lo, exec_lo, s1
	s_wait_dscnt 0x0
	ds_bpermute_b32 v0, v12, v1
	v_max_num_f32_e32 v1, v1, v1
	s_sub_co_i32 s1, s33, s40
	v_mov_b32_e32 v6, 0
	s_lshl_b32 s1, s1, 5
	s_delay_alu instid0(SALU_CYCLE_1) | instskip(NEXT) | instid1(SALU_CYCLE_1)
	s_add_co_i32 s1, s1, s6
	s_min_i32 s1, s1, s7
	s_delay_alu instid0(SALU_CYCLE_1) | instskip(SKIP_2) | instid1(VALU_DEP_1)
	s_sub_co_i32 s5, s1, s6
	s_wait_dscnt 0x0
	v_max_num_f32_e32 v0, v0, v0
	v_max_num_f32_e32 v0, v1, v0
	ds_bpermute_b32 v1, v11, v0
	s_wait_dscnt 0x0
	v_max_num_f32_e32 v1, v1, v1
	s_delay_alu instid0(VALU_DEP_1)
	v_max_num_f32_e32 v0, v0, v1
	ds_bpermute_b32 v1, v6, v0
	scratch_load_b32 v0, off, off offset:248 ; 4-byte Folded Reload
	s_wait_loadcnt 0x0
	s_wait_alu 0xfffe
	v_cmp_gt_i32_e64 s1, s5, v0
	v_lshl_add_u32 v4, v0, 2, 0x220
	s_and_saveexec_b32 s23, s1
	s_cbranch_execz .LBB231_25
; %bb.22:
	scratch_load_b32 v8, off, off offset:248 ; 4-byte Folded Reload
	v_mov_b32_e32 v6, 0
	s_mov_b32 s40, 0
	s_wait_loadcnt 0x0
	v_lshl_add_u32 v7, v8, 2, 0x220
.LBB231_23:                             ; =>This Inner Loop Header: Depth=1
	ds_load_b32 v0, v7
	v_add_nc_u32_e32 v8, 0x80, v8
	s_delay_alu instid0(VALU_DEP_1) | instskip(SKIP_4) | instid1(VALU_DEP_1)
	v_cmp_le_i32_e64 s4, s5, v8
	s_wait_alu 0xfffe
	s_or_b32 s40, s4, s40
	s_wait_dscnt 0x0
	v_sub_f32_e32 v0, v0, v1
	v_mul_f32_e32 v0, 0x3fb8aa3b, v0
	s_delay_alu instid0(VALU_DEP_1)
	v_exp_f32_e32 v0, v0
	ds_store_b32 v7, v0
	v_dual_add_f32 v6, v6, v0 :: v_dual_add_nc_u32 v7, 0x200, v7
	s_wait_alu 0xfffe
	s_and_not1_b32 exec_lo, exec_lo, s40
	s_cbranch_execnz .LBB231_23
; %bb.24:
	s_or_b32 exec_lo, exec_lo, s40
.LBB231_25:
	s_delay_alu instid0(SALU_CYCLE_1)
	s_or_b32 exec_lo, exec_lo, s23
	ds_bpermute_b32 v0, v2, v6
	s_wait_dscnt 0x0
	v_add_f32_e32 v0, v6, v0
	ds_bpermute_b32 v2, v3, v0
	s_wait_dscnt 0x0
	v_add_f32_e32 v0, v0, v2
	ds_bpermute_b32 v2, v13, v0
	s_wait_dscnt 0x0
	v_add_f32_e32 v0, v0, v2
	ds_bpermute_b32 v2, v12, v0
	s_wait_dscnt 0x0
	v_add_f32_e32 v0, v0, v2
	ds_bpermute_b32 v2, v11, v0
	s_wait_dscnt 0x0
	v_add_f32_e32 v2, v0, v2
	s_and_saveexec_b32 s4, vcc_lo
; %bb.26:
	ds_store_b32 v5, v2 offset:528
; %bb.27:
	s_wait_alu 0xfffe
	s_or_b32 exec_lo, exec_lo, s4
	s_wait_dscnt 0x0
	s_barrier_signal -1
	s_barrier_wait -1
	global_inv scope:SCOPE_SE
	s_and_saveexec_b32 s4, s0
; %bb.28:
	ds_load_b32 v2, v9 offset:528
; %bb.29:
	s_wait_alu 0xfffe
	s_or_b32 exec_lo, exec_lo, s4
	s_wait_dscnt 0x0
	ds_bpermute_b32 v0, v12, v2
	s_wait_dscnt 0x0
	v_add_f32_e32 v0, v2, v0
	ds_bpermute_b32 v2, v11, v0
	s_wait_dscnt 0x0
	v_add_f32_e32 v0, v0, v2
	v_mov_b32_e32 v2, 0
	ds_bpermute_b32 v2, v2, v0
	s_and_saveexec_b32 s0, s1
	s_cbranch_execz .LBB231_32
; %bb.30:
	s_wait_dscnt 0x0
	v_add_f32_e32 v0, 0x358637bd, v2
	s_mov_b32 s1, 0
	s_delay_alu instid0(VALU_DEP_1) | instskip(NEXT) | instid1(VALU_DEP_1)
	v_div_scale_f32 v3, null, v0, v0, 1.0
	v_rcp_f32_e32 v5, v3
	s_delay_alu instid0(TRANS32_DEP_1) | instskip(NEXT) | instid1(VALU_DEP_1)
	v_fma_f32 v6, -v3, v5, 1.0
	v_fmac_f32_e32 v5, v6, v5
	v_div_scale_f32 v7, vcc_lo, 1.0, v0, 1.0
	s_delay_alu instid0(VALU_DEP_1) | instskip(NEXT) | instid1(VALU_DEP_1)
	v_mul_f32_e32 v6, v7, v5
	v_fma_f32 v8, -v3, v6, v7
	s_delay_alu instid0(VALU_DEP_1) | instskip(NEXT) | instid1(VALU_DEP_1)
	v_fmac_f32_e32 v6, v8, v5
	v_fma_f32 v3, -v3, v6, v7
	s_wait_alu 0xfffd
	s_delay_alu instid0(VALU_DEP_1)
	v_div_fmas_f32 v3, v3, v5, v6
	scratch_load_b32 v5, off, off offset:248 ; 4-byte Folded Reload
	v_div_fixup_f32 v3, v3, v0, 1.0
.LBB231_31:                             ; =>This Inner Loop Header: Depth=1
	ds_load_b32 v0, v4
	s_wait_loadcnt_dscnt 0x0
	v_dual_mul_f32 v0, v3, v0 :: v_dual_add_nc_u32 v5, 0x80, v5
	s_delay_alu instid0(VALU_DEP_1) | instskip(SKIP_3) | instid1(SALU_CYCLE_1)
	v_cmp_le_i32_e32 vcc_lo, s5, v5
	ds_store_b32 v4, v0
	v_add_nc_u32_e32 v4, 0x200, v4
	s_or_b32 s1, vcc_lo, s1
	s_and_not1_b32 exec_lo, exec_lo, s1
	s_cbranch_execnz .LBB231_31
.LBB231_32:
	s_or_b32 exec_lo, exec_lo, s0
	s_wait_loadcnt_dscnt 0x0
	s_barrier_signal -1
	scratch_load_b32 v0, off, off offset:248 ; 4-byte Folded Reload
	s_mul_i32 s0, s15, s37
	s_barrier_wait -1
	s_mul_i32 s4, s0, s38
	s_mov_b32 s0, exec_lo
	s_wait_loadcnt 0x0
	global_inv scope:SCOPE_SE
	v_cmpx_eq_u32_e32 0, v0
	s_cbranch_execz .LBB231_34
; %bb.33:
	s_wait_alu 0xfffe
	s_ashr_i32 s5, s4, 31
	s_mul_i32 s40, s15, ttmp9
	s_lshl_b32 s1, s36, 2
	s_wait_alu 0xfffe
	s_lshl_b64 s[42:43], s[4:5], 2
	s_ashr_i32 s41, s40, 31
	v_mov_b32_e32 v0, s1
	s_wait_kmcnt 0x0
	s_add_nc_u64 s[18:19], s[18:19], s[42:43]
	s_wait_alu 0xfffe
	s_lshl_b64 s[36:37], s[40:41], 2
	s_add_nc_u64 s[16:17], s[16:17], s[42:43]
	s_add_nc_u64 s[18:19], s[18:19], s[36:37]
	s_wait_alu 0xfffe
	s_add_nc_u64 s[16:17], s[16:17], s[36:37]
	s_clause 0x1
	global_store_b32 v0, v1, s[18:19]
	global_store_b32 v0, v2, s[16:17]
.LBB231_34:
	s_or_b32 exec_lo, exec_lo, s0
	scratch_load_b32 v0, off, off offset:248 ; 4-byte Folded Reload
	v_dual_mov_b32 v45, 0 :: v_dual_mov_b32 v46, 0
	v_dual_mov_b32 v43, 0 :: v_dual_mov_b32 v42, 0
	;; [unrolled: 1-line block ×16, first 2 shown]
	s_wait_loadcnt 0x0
	v_and_b32_e32 v183, 7, v0
	s_and_saveexec_b32 s1, s3
	s_cbranch_execz .LBB231_104
; %bb.35:
	s_abs_i32 s3, s14
	scratch_load_b32 v1, off, off offset:248 ; 4-byte Folded Reload
	s_wait_alu 0xfffe
	s_cvt_f32_u32 s0, s3
	v_dual_mov_b32 v15, 0 :: v_dual_lshlrev_b32 v2, 4, v183
	s_wait_kmcnt 0x0
	s_lshl_b64 s[18:19], s[30:31], 2
	s_wait_alu 0xfffe
	v_rcp_iflag_f32_e32 v0, s0
	s_add_nc_u64 s[18:19], s[28:29], s[18:19]
	s_sub_co_i32 s17, 0, s3
	s_wait_alu 0xfffe
	v_add_co_u32 v5, s18, s18, v10
	v_dual_mov_b32 v17, 0 :: v_dual_mov_b32 v18, 0
	s_wait_alu 0xf1ff
	v_add_co_ci_u32_e64 v6, null, s19, 0, s18
	v_dual_mov_b32 v22, 0 :: v_dual_mov_b32 v23, 0
	s_delay_alu instid0(TRANS32_DEP_1)
	v_readfirstlane_b32 s0, v0
	scratch_load_b32 v0, off, off offset:252 ; 4-byte Folded Reload
	v_dual_mov_b32 v24, 0 :: v_dual_mov_b32 v25, 0
	v_dual_mov_b32 v26, 0 :: v_dual_mov_b32 v27, 0
	s_mul_f32 s0, s0, 0x4f7ffffe
	v_dual_mov_b32 v28, 0 :: v_dual_mov_b32 v29, 0
	v_dual_mov_b32 v30, 0 :: v_dual_mov_b32 v31, 0
	s_wait_alu 0xfffe
	s_cvt_u32_f32 s0, s0
	v_dual_mov_b32 v32, 0 :: v_dual_mov_b32 v33, 0
	v_dual_mov_b32 v34, 0 :: v_dual_mov_b32 v35, 0
	s_wait_alu 0xfffe
	s_mul_i32 s17, s17, s0
	v_dual_mov_b32 v36, 0 :: v_dual_mov_b32 v37, 0
	v_dual_mov_b32 v38, 0 :: v_dual_mov_b32 v39, 0
	v_dual_mov_b32 v40, 0 :: v_dual_mov_b32 v41, 0
	v_dual_mov_b32 v42, 0 :: v_dual_mov_b32 v43, 0
	v_dual_mov_b32 v44, 0 :: v_dual_mov_b32 v45, 0
	v_mov_b32_e32 v46, 0
	s_ashr_i32 s23, s22, 31
	s_wait_alu 0xfffe
	s_mul_hi_u32 s18, s0, s17
	s_sub_co_i32 s5, s39, s13
	s_mov_b32 s14, s21
	s_add_co_i32 s16, s12, -1
	s_add_nc_u64 s[12:13], s[34:35], s[22:23]
	s_mov_b32 s17, 0
	s_wait_alu 0xfffe
	s_add_co_i32 s18, s0, s18
	v_dual_mov_b32 v16, 0 :: v_dual_mov_b32 v19, 0
	v_dual_mov_b32 v20, 0 :: v_dual_mov_b32 v21, 0
	s_wait_loadcnt 0x1
	v_lshlrev_b32_e32 v1, 2, v1
	s_delay_alu instid0(VALU_DEP_1) | instskip(SKIP_4) | instid1(VALU_DEP_1)
	v_and_b32_e32 v47, 28, v1
	v_and_b32_e32 v48, 0x7c, v1
	v_or_b32_e32 v49, 0xf80, v1
	s_wait_loadcnt 0x0
	v_lshl_or_b32 v0, v0, 7, v2
	v_add_nc_u32_e32 v50, 0x220, v0
	s_branch .LBB231_38
.LBB231_36:                             ;   in Loop: Header=BB231_38 Depth=1
	s_wait_alu 0xfffe
	s_or_b32 exec_lo, exec_lo, s0
	s_wait_dscnt 0x0
	v_mul_f32_e32 v83, v1, v171
	v_mul_f32_e32 v0, v1, v182
	;; [unrolled: 1-line block ×4, first 2 shown]
	s_delay_alu instid0(VALU_DEP_4) | instskip(NEXT) | instid1(VALU_DEP_4)
	v_dual_mul_f32 v78, v1, v78 :: v_dual_fmac_f32 v83, v2, v169
	v_dual_fmac_f32 v0, v2, v181 :: v_dual_mul_f32 v85, v1, v162
	v_mul_f32_e32 v84, v1, v166
	s_delay_alu instid0(VALU_DEP_3) | instskip(NEXT) | instid1(VALU_DEP_3)
	v_dual_fmac_f32 v74, v2, v73 :: v_dual_fmac_f32 v83, v3, v168
	v_fmac_f32_e32 v0, v3, v179
	s_delay_alu instid0(VALU_DEP_4) | instskip(NEXT) | instid1(VALU_DEP_4)
	v_dual_mul_f32 v14, v1, v180 :: v_dual_fmac_f32 v85, v2, v161
	v_dual_fmac_f32 v84, v2, v165 :: v_dual_mul_f32 v135, v1, v158
	v_mul_f32_e32 v82, v1, v174
	s_delay_alu instid0(VALU_DEP_3) | instskip(NEXT) | instid1(VALU_DEP_3)
	v_dual_fmac_f32 v14, v2, v177 :: v_dual_fmac_f32 v85, v3, v160
	v_dual_fmac_f32 v84, v3, v164 :: v_dual_fmac_f32 v135, v2, v157
	v_fmac_f32_e32 v0, v4, v178
	s_delay_alu instid0(VALU_DEP_3) | instskip(NEXT) | instid1(VALU_DEP_4)
	v_dual_fmac_f32 v14, v3, v176 :: v_dual_fmac_f32 v83, v4, v167
	v_fmac_f32_e32 v85, v4, v159
	s_delay_alu instid0(VALU_DEP_4) | instskip(NEXT) | instid1(VALU_DEP_4)
	v_fmac_f32_e32 v135, v3, v156
	v_add_f32_e32 v16, v16, v0
	s_delay_alu instid0(VALU_DEP_4) | instskip(NEXT) | instid1(VALU_DEP_4)
	v_fmac_f32_e32 v14, v4, v175
	v_dual_fmac_f32 v84, v4, v163 :: v_dual_add_f32 v21, v21, v85
	v_dual_fmac_f32 v82, v2, v173 :: v_dual_add_f32 v19, v19, v83
	s_delay_alu instid0(VALU_DEP_3) | instskip(SKIP_1) | instid1(VALU_DEP_3)
	v_add_f32_e32 v17, v17, v14
	v_mul_f32_e32 v83, v1, v142
	v_dual_fmac_f32 v135, v4, v155 :: v_dual_fmac_f32 v82, v3, v172
	v_fmac_f32_e32 v74, v3, v72
	v_fmac_f32_e32 v54, v2, v53
	s_delay_alu instid0(VALU_DEP_4) | instskip(NEXT) | instid1(VALU_DEP_4)
	v_dual_fmac_f32 v83, v2, v141 :: v_dual_mul_f32 v70, v1, v70
	v_fmac_f32_e32 v82, v4, v170
	s_delay_alu instid0(VALU_DEP_4) | instskip(NEXT) | instid1(VALU_DEP_4)
	v_fmac_f32_e32 v74, v4, v71
	v_fmac_f32_e32 v54, v3, v52
	s_delay_alu instid0(VALU_DEP_4) | instskip(NEXT) | instid1(VALU_DEP_4)
	v_dual_fmac_f32 v83, v3, v140 :: v_dual_mul_f32 v0, v1, v154
	v_add_f32_e32 v18, v18, v82
	v_mul_f32_e32 v58, v1, v58
	s_delay_alu instid0(VALU_DEP_4) | instskip(NEXT) | instid1(VALU_DEP_4)
	v_fmac_f32_e32 v54, v4, v51
	v_dual_fmac_f32 v83, v4, v139 :: v_dual_fmac_f32 v0, v2, v153
	v_fmac_f32_e32 v78, v2, v77
	v_fmac_f32_e32 v70, v2, v69
	;; [unrolled: 1-line block ×3, first 2 shown]
	s_delay_alu instid0(VALU_DEP_4) | instskip(SKIP_3) | instid1(VALU_DEP_4)
	v_dual_add_f32 v26, v26, v83 :: v_dual_mul_f32 v83, v1, v118
	v_mul_f32_e32 v82, v1, v146
	v_fmac_f32_e32 v0, v3, v152
	v_fmac_f32_e32 v78, v3, v76
	v_dual_fmac_f32 v70, v3, v68 :: v_dual_fmac_f32 v83, v2, v117
	s_delay_alu instid0(VALU_DEP_4) | instskip(SKIP_1) | instid1(VALU_DEP_4)
	v_fmac_f32_e32 v82, v2, v145
	v_fmac_f32_e32 v58, v3, v56
	;; [unrolled: 1-line block ×3, first 2 shown]
	s_delay_alu instid0(VALU_DEP_4) | instskip(NEXT) | instid1(VALU_DEP_4)
	v_dual_fmac_f32 v70, v4, v67 :: v_dual_fmac_f32 v83, v3, v116
	v_fmac_f32_e32 v82, v3, v144
	s_delay_alu instid0(VALU_DEP_4) | instskip(NEXT) | instid1(VALU_DEP_4)
	v_fmac_f32_e32 v58, v4, v55
	v_add_f32_e32 v40, v40, v78
	s_delay_alu instid0(VALU_DEP_4) | instskip(NEXT) | instid1(VALU_DEP_4)
	v_add_f32_e32 v42, v42, v70
	v_dual_add_f32 v41, v41, v74 :: v_dual_fmac_f32 v82, v4, v143
	v_add_f32_e32 v20, v20, v84
	v_mul_f32_e32 v84, v1, v134
	v_dual_add_f32 v46, v46, v58 :: v_dual_fmac_f32 v83, v4, v115
	s_delay_alu instid0(VALU_DEP_2) | instskip(NEXT) | instid1(VALU_DEP_2)
	v_dual_add_f32 v45, v45, v54 :: v_dual_fmac_f32 v84, v2, v133
	v_add_f32_e32 v31, v31, v83
	s_delay_alu instid0(VALU_DEP_2) | instskip(NEXT) | instid1(VALU_DEP_1)
	v_dual_mul_f32 v83, v1, v98 :: v_dual_fmac_f32 v84, v3, v132
	v_dual_fmac_f32 v83, v2, v97 :: v_dual_fmac_f32 v0, v4, v151
	s_delay_alu instid0(VALU_DEP_2) | instskip(NEXT) | instid1(VALU_DEP_2)
	v_fmac_f32_e32 v84, v4, v131
	v_dual_mul_f32 v14, v1, v150 :: v_dual_fmac_f32 v83, v3, v96
	s_delay_alu instid0(VALU_DEP_3) | instskip(NEXT) | instid1(VALU_DEP_2)
	v_dual_add_f32 v22, v22, v135 :: v_dual_add_f32 v23, v23, v0
	v_dual_add_f32 v27, v27, v84 :: v_dual_fmac_f32 v14, v2, v149
	v_mul_f32_e32 v0, v1, v130
	s_delay_alu instid0(VALU_DEP_4) | instskip(NEXT) | instid1(VALU_DEP_3)
	v_dual_mul_f32 v84, v1, v114 :: v_dual_fmac_f32 v83, v4, v95
	v_fmac_f32_e32 v14, v3, v148
	s_delay_alu instid0(VALU_DEP_3) | instskip(NEXT) | instid1(VALU_DEP_3)
	v_fmac_f32_e32 v0, v2, v129
	v_fmac_f32_e32 v84, v2, v113
	s_delay_alu instid0(VALU_DEP_4) | instskip(NEXT) | instid1(VALU_DEP_3)
	v_add_f32_e32 v36, v36, v83
	v_fmac_f32_e32 v0, v3, v128
	s_delay_alu instid0(VALU_DEP_3) | instskip(NEXT) | instid1(VALU_DEP_2)
	v_fmac_f32_e32 v84, v3, v112
	v_fmac_f32_e32 v0, v4, v127
	s_delay_alu instid0(VALU_DEP_2) | instskip(NEXT) | instid1(VALU_DEP_2)
	v_fmac_f32_e32 v84, v4, v111
	v_add_f32_e32 v28, v28, v0
	v_mul_f32_e32 v0, v1, v110
	s_delay_alu instid0(VALU_DEP_3) | instskip(SKIP_1) | instid1(VALU_DEP_3)
	v_add_f32_e32 v32, v32, v84
	v_mul_f32_e32 v84, v1, v94
	v_fmac_f32_e32 v0, v2, v109
	s_delay_alu instid0(VALU_DEP_2) | instskip(NEXT) | instid1(VALU_DEP_2)
	v_fmac_f32_e32 v84, v2, v93
	v_fmac_f32_e32 v0, v3, v108
	s_delay_alu instid0(VALU_DEP_2) | instskip(NEXT) | instid1(VALU_DEP_2)
	v_fmac_f32_e32 v84, v3, v92
	v_fmac_f32_e32 v0, v4, v107
	;; [unrolled: 1-line block ×3, first 2 shown]
	s_delay_alu instid0(VALU_DEP_2) | instskip(NEXT) | instid1(VALU_DEP_2)
	v_dual_fmac_f32 v84, v4, v91 :: v_dual_add_f32 v33, v33, v0
	v_add_f32_e32 v24, v24, v14
	v_mul_f32_e32 v14, v1, v126
	v_mul_f32_e32 v0, v1, v90
	s_delay_alu instid0(VALU_DEP_4) | instskip(NEXT) | instid1(VALU_DEP_3)
	v_add_f32_e32 v37, v37, v84
	v_dual_add_f32 v25, v25, v82 :: v_dual_fmac_f32 v14, v2, v125
	s_delay_alu instid0(VALU_DEP_3) | instskip(NEXT) | instid1(VALU_DEP_2)
	v_fmac_f32_e32 v0, v2, v89
	v_fmac_f32_e32 v14, v3, v124
	s_delay_alu instid0(VALU_DEP_2) | instskip(NEXT) | instid1(VALU_DEP_2)
	v_fmac_f32_e32 v0, v3, v88
	v_fmac_f32_e32 v14, v4, v123
	s_delay_alu instid0(VALU_DEP_1) | instskip(SKIP_1) | instid1(VALU_DEP_2)
	v_dual_fmac_f32 v0, v4, v87 :: v_dual_add_f32 v29, v29, v14
	v_mul_f32_e32 v14, v1, v106
	v_add_f32_e32 v38, v38, v0
	v_mul_f32_e32 v0, v1, v66
	s_delay_alu instid0(VALU_DEP_3) | instskip(NEXT) | instid1(VALU_DEP_2)
	v_fmac_f32_e32 v14, v2, v105
	v_fmac_f32_e32 v0, v2, v65
	s_delay_alu instid0(VALU_DEP_2) | instskip(NEXT) | instid1(VALU_DEP_2)
	v_fmac_f32_e32 v14, v3, v104
	v_fmac_f32_e32 v0, v3, v64
	s_delay_alu instid0(VALU_DEP_2) | instskip(NEXT) | instid1(VALU_DEP_2)
	v_fmac_f32_e32 v14, v4, v103
	v_fmac_f32_e32 v0, v4, v63
	v_mul_f32_e32 v82, v1, v122
	s_delay_alu instid0(VALU_DEP_3) | instskip(NEXT) | instid1(VALU_DEP_3)
	v_add_f32_e32 v34, v34, v14
	v_dual_mul_f32 v14, v1, v86 :: v_dual_add_f32 v43, v43, v0
	s_delay_alu instid0(VALU_DEP_3) | instskip(NEXT) | instid1(VALU_DEP_2)
	v_fmac_f32_e32 v82, v2, v121
	v_fmac_f32_e32 v14, v2, v81
	s_delay_alu instid0(VALU_DEP_2) | instskip(NEXT) | instid1(VALU_DEP_2)
	v_fmac_f32_e32 v82, v3, v120
	v_fmac_f32_e32 v14, v3, v80
	s_delay_alu instid0(VALU_DEP_2) | instskip(NEXT) | instid1(VALU_DEP_2)
	v_fmac_f32_e32 v82, v4, v119
	v_fmac_f32_e32 v14, v4, v79
	s_delay_alu instid0(VALU_DEP_2) | instskip(SKIP_1) | instid1(VALU_DEP_3)
	v_add_f32_e32 v30, v30, v82
	v_mul_f32_e32 v82, v1, v102
	v_add_f32_e32 v39, v39, v14
	v_mul_f32_e32 v14, v1, v62
	s_delay_alu instid0(VALU_DEP_3) | instskip(NEXT) | instid1(VALU_DEP_2)
	v_dual_mul_f32 v1, v1, v10 :: v_dual_fmac_f32 v82, v2, v101
	v_fmac_f32_e32 v14, v2, v61
	s_delay_alu instid0(VALU_DEP_2) | instskip(NEXT) | instid1(VALU_DEP_2)
	v_dual_fmac_f32 v1, v2, v9 :: v_dual_fmac_f32 v82, v3, v100
	v_fmac_f32_e32 v14, v3, v60
	s_delay_alu instid0(VALU_DEP_2) | instskip(NEXT) | instid1(VALU_DEP_2)
	v_dual_fmac_f32 v1, v3, v8 :: v_dual_fmac_f32 v82, v4, v99
	v_fmac_f32_e32 v14, v4, v59
	s_delay_alu instid0(VALU_DEP_2) | instskip(NEXT) | instid1(VALU_DEP_3)
	v_fmac_f32_e32 v1, v4, v7
	v_add_f32_e32 v35, v35, v82
	s_delay_alu instid0(VALU_DEP_2)
	v_dual_add_f32 v44, v44, v14 :: v_dual_add_f32 v15, v15, v1
.LBB231_37:                             ;   in Loop: Header=BB231_38 Depth=1
	s_wait_alu 0xfffe
	s_or_b32 exec_lo, exec_lo, s19
	v_add_nc_u32_e32 v138, 4, v138
	v_add_co_u32 v5, s0, v5, 16
	s_wait_alu 0xf1ff
	v_add_co_ci_u32_e64 v6, null, 0, v6, s0
	s_delay_alu instid0(VALU_DEP_3)
	v_cmp_le_i32_e32 vcc_lo, s33, v138
	v_add_nc_u32_e32 v137, 0x80, v137
	v_add_nc_u32_e32 v50, 0x200, v50
	s_or_b32 s17, vcc_lo, s17
	s_wait_alu 0xfffe
	s_and_not1_b32 exec_lo, exec_lo, s17
	s_cbranch_execz .LBB231_103
.LBB231_38:                             ; =>This Inner Loop Header: Depth=1
	v_sub_nc_u32_e32 v0, 0, v137
	s_delay_alu instid0(VALU_DEP_1) | instskip(NEXT) | instid1(VALU_DEP_1)
	v_max_i32_e32 v0, v137, v0
	v_mul_hi_u32 v1, v0, s26
	s_delay_alu instid0(VALU_DEP_1) | instskip(NEXT) | instid1(VALU_DEP_1)
	v_mul_lo_u32 v2, v1, s20
	v_sub_nc_u32_e32 v0, v0, v2
	v_add_nc_u32_e32 v2, 1, v1
	s_delay_alu instid0(VALU_DEP_2) | instskip(SKIP_2) | instid1(VALU_DEP_2)
	v_subrev_nc_u32_e32 v3, s20, v0
	v_cmp_le_u32_e32 vcc_lo, s20, v0
	s_wait_alu 0xfffd
	v_dual_cndmask_b32 v1, v1, v2 :: v_dual_cndmask_b32 v0, v0, v3
	v_ashrrev_i32_e32 v2, 31, v137
	s_delay_alu instid0(VALU_DEP_2) | instskip(NEXT) | instid1(VALU_DEP_3)
	v_add_nc_u32_e32 v3, 1, v1
	v_cmp_le_u32_e32 vcc_lo, s20, v0
	s_delay_alu instid0(VALU_DEP_3) | instskip(SKIP_1) | instid1(VALU_DEP_3)
	v_xor_b32_e32 v2, s27, v2
	s_wait_alu 0xfffd
	v_cndmask_b32_e32 v0, v1, v3, vcc_lo
	s_delay_alu instid0(VALU_DEP_1) | instskip(NEXT) | instid1(VALU_DEP_1)
	v_xor_b32_e32 v0, v0, v2
	v_sub_nc_u32_e32 v0, v0, v2
	s_delay_alu instid0(VALU_DEP_1) | instskip(SKIP_1) | instid1(VALU_DEP_2)
	v_add_nc_u32_e32 v1, s25, v0
	v_cmp_lt_i32_e64 s0, s5, v0
	v_sub_nc_u32_e32 v2, 0, v1
	s_delay_alu instid0(VALU_DEP_1) | instskip(SKIP_1) | instid1(VALU_DEP_1)
	v_max_i32_e32 v2, v1, v2
	s_wait_alu 0xfffe
	v_mul_hi_u32 v3, v2, s18
	s_delay_alu instid0(VALU_DEP_1) | instskip(NEXT) | instid1(VALU_DEP_1)
	v_mul_lo_u32 v3, v3, s3
	v_sub_nc_u32_e32 v2, v2, v3
	s_delay_alu instid0(VALU_DEP_1) | instskip(SKIP_2) | instid1(VALU_DEP_2)
	v_subrev_nc_u32_e32 v3, s3, v2
	v_cmp_le_u32_e32 vcc_lo, s3, v2
	s_wait_alu 0xfffd
	v_cndmask_b32_e32 v2, v2, v3, vcc_lo
	v_ashrrev_i32_e32 v1, 31, v1
	s_delay_alu instid0(VALU_DEP_2) | instskip(SKIP_2) | instid1(VALU_DEP_2)
	v_subrev_nc_u32_e32 v3, s3, v2
	v_cmp_le_u32_e32 vcc_lo, s3, v2
	s_wait_alu 0xfffd
	v_cndmask_b32_e32 v2, v2, v3, vcc_lo
	s_delay_alu instid0(VALU_DEP_1) | instskip(NEXT) | instid1(VALU_DEP_1)
	v_xor_b32_e32 v2, v2, v1
	v_sub_nc_u32_e32 v1, v2, v1
	s_delay_alu instid0(VALU_DEP_1)
	v_cmp_eq_u32_e32 vcc_lo, 0, v1
	s_or_b32 s0, vcc_lo, s0
	s_wait_alu 0xfffe
	s_and_saveexec_b32 s19, s0
	s_cbranch_execz .LBB231_37
; %bb.39:                               ;   in Loop: Header=BB231_38 Depth=1
	global_load_b32 v0, v[5:6], off
	s_load_b32 s21, s[10:11], 0x0
	ds_load_b128 v[1:4], v50
	s_wait_loadcnt 0x0
	v_mad_co_i64_i32 v[7:8], null, v0, s14, s[12:13]
	s_delay_alu instid0(VALU_DEP_1) | instskip(SKIP_1) | instid1(VALU_DEP_2)
	v_add_co_u32 v9, vcc_lo, v7, v48
	s_wait_alu 0xfffd
	v_add_co_ci_u32_e64 v10, null, 0, v8, vcc_lo
	v_cmp_eq_u32_e32 vcc_lo, s16, v138
	global_load_b32 v0, v[9:10], off
	s_wait_loadcnt 0x0
	v_and_b32_e32 v51, 0xffff, v0
	v_lshrrev_b32_e32 v0, 16, v0
	s_delay_alu instid0(VALU_DEP_2) | instskip(SKIP_1) | instid1(VALU_DEP_3)
	v_cvt_pk_f32_fp8_e32 v[51:52], v51
	v_add_nc_u32_e32 v82, v47, v137
	v_cvt_pk_f32_fp8_e32 v[55:56], v0
	s_wait_kmcnt 0x0
	s_delay_alu instid0(VALU_DEP_3) | instskip(NEXT) | instid1(VALU_DEP_2)
	v_dual_mul_f32 v54, s21, v51 :: v_dual_mul_f32 v53, s21, v52
	v_dual_mul_f32 v51, s21, v56 :: v_dual_add_nc_u32 v84, 1, v82
	s_delay_alu instid0(VALU_DEP_3)
	v_dual_mul_f32 v52, s21, v55 :: v_dual_add_nc_u32 v83, 2, v82
	v_add_nc_u32_e32 v85, 3, v82
	s_and_saveexec_b32 s22, vcc_lo
	s_cbranch_execz .LBB231_41
; %bb.40:                               ;   in Loop: Header=BB231_38 Depth=1
	v_cmp_gt_i32_e64 s0, s7, v82
	s_wait_alu 0xf1ff
	s_delay_alu instid0(VALU_DEP_1) | instskip(SKIP_2) | instid1(VALU_DEP_1)
	v_cndmask_b32_e64 v54, 0, v54, s0
	v_cmp_gt_i32_e64 s0, s7, v84
	s_wait_alu 0xf1ff
	v_cndmask_b32_e64 v53, 0, v53, s0
	v_cmp_gt_i32_e64 s0, s7, v83
	s_wait_alu 0xf1ff
	s_delay_alu instid0(VALU_DEP_1) | instskip(SKIP_2) | instid1(VALU_DEP_1)
	v_cndmask_b32_e64 v52, 0, v52, s0
	v_cmp_gt_i32_e64 s0, s7, v85
	s_wait_alu 0xf1ff
	v_cndmask_b32_e64 v51, 0, v51, s0
.LBB231_41:                             ;   in Loop: Header=BB231_38 Depth=1
	s_wait_alu 0xfffe
	s_or_b32 exec_lo, exec_lo, s22
	global_load_b32 v0, v[9:10], off offset:128
	s_mov_b32 s22, s21
	s_wait_loadcnt 0x0
	v_and_b32_e32 v55, 0xffff, v0
	v_lshrrev_b32_e32 v0, 16, v0
	s_delay_alu instid0(VALU_DEP_2) | instskip(NEXT) | instid1(VALU_DEP_2)
	v_cvt_pk_f32_fp8_e32 v[55:56], v55
	v_cvt_pk_f32_fp8_e32 v[59:60], v0
	s_wait_alu 0xfffe
	s_delay_alu instid0(VALU_DEP_2) | instskip(NEXT) | instid1(VALU_DEP_2)
	v_dual_mul_f32 v58, s21, v55 :: v_dual_mul_f32 v57, s22, v56
	v_dual_mul_f32 v56, s21, v59 :: v_dual_mul_f32 v55, s22, v60
	s_and_saveexec_b32 s23, vcc_lo
	s_cbranch_execz .LBB231_43
; %bb.42:                               ;   in Loop: Header=BB231_38 Depth=1
	v_cmp_gt_i32_e64 s0, s7, v82
	s_wait_alu 0xf1ff
	s_delay_alu instid0(VALU_DEP_1) | instskip(SKIP_2) | instid1(VALU_DEP_1)
	v_cndmask_b32_e64 v58, 0, v58, s0
	v_cmp_gt_i32_e64 s0, s7, v84
	s_wait_alu 0xf1ff
	v_cndmask_b32_e64 v57, 0, v57, s0
	v_cmp_gt_i32_e64 s0, s7, v83
	s_wait_alu 0xf1ff
	s_delay_alu instid0(VALU_DEP_1) | instskip(SKIP_2) | instid1(VALU_DEP_1)
	v_cndmask_b32_e64 v56, 0, v56, s0
	v_cmp_gt_i32_e64 s0, s7, v85
	s_wait_alu 0xf1ff
	v_cndmask_b32_e64 v55, 0, v55, s0
.LBB231_43:                             ;   in Loop: Header=BB231_38 Depth=1
	s_wait_alu 0xfffe
	s_or_b32 exec_lo, exec_lo, s23
	global_load_b32 v0, v[9:10], off offset:256
	s_wait_loadcnt 0x0
	v_and_b32_e32 v59, 0xffff, v0
	v_lshrrev_b32_e32 v0, 16, v0
	s_delay_alu instid0(VALU_DEP_2) | instskip(NEXT) | instid1(VALU_DEP_2)
	v_cvt_pk_f32_fp8_e32 v[59:60], v59
	v_cvt_pk_f32_fp8_e32 v[63:64], v0
	s_delay_alu instid0(VALU_DEP_2) | instskip(NEXT) | instid1(VALU_DEP_2)
	v_dual_mul_f32 v62, s21, v59 :: v_dual_mul_f32 v61, s22, v60
	v_dual_mul_f32 v60, s21, v63 :: v_dual_mul_f32 v59, s22, v64
	s_and_saveexec_b32 s23, vcc_lo
	s_cbranch_execz .LBB231_45
; %bb.44:                               ;   in Loop: Header=BB231_38 Depth=1
	v_cmp_gt_i32_e64 s0, s7, v82
	s_wait_alu 0xf1ff
	s_delay_alu instid0(VALU_DEP_1) | instskip(SKIP_2) | instid1(VALU_DEP_1)
	v_cndmask_b32_e64 v62, 0, v62, s0
	v_cmp_gt_i32_e64 s0, s7, v84
	s_wait_alu 0xf1ff
	v_cndmask_b32_e64 v61, 0, v61, s0
	v_cmp_gt_i32_e64 s0, s7, v83
	s_wait_alu 0xf1ff
	s_delay_alu instid0(VALU_DEP_1) | instskip(SKIP_2) | instid1(VALU_DEP_1)
	v_cndmask_b32_e64 v60, 0, v60, s0
	v_cmp_gt_i32_e64 s0, s7, v85
	s_wait_alu 0xf1ff
	v_cndmask_b32_e64 v59, 0, v59, s0
.LBB231_45:                             ;   in Loop: Header=BB231_38 Depth=1
	s_wait_alu 0xfffe
	s_or_b32 exec_lo, exec_lo, s23
	global_load_b32 v0, v[9:10], off offset:384
	s_wait_loadcnt 0x0
	v_and_b32_e32 v63, 0xffff, v0
	v_lshrrev_b32_e32 v0, 16, v0
	s_delay_alu instid0(VALU_DEP_2) | instskip(NEXT) | instid1(VALU_DEP_2)
	v_cvt_pk_f32_fp8_e32 v[63:64], v63
	v_cvt_pk_f32_fp8_e32 v[67:68], v0
	s_delay_alu instid0(VALU_DEP_2) | instskip(NEXT) | instid1(VALU_DEP_2)
	v_dual_mul_f32 v66, s21, v63 :: v_dual_mul_f32 v65, s22, v64
	v_dual_mul_f32 v64, s21, v67 :: v_dual_mul_f32 v63, s22, v68
	s_and_saveexec_b32 s23, vcc_lo
	s_cbranch_execz .LBB231_47
; %bb.46:                               ;   in Loop: Header=BB231_38 Depth=1
	v_cmp_gt_i32_e64 s0, s7, v82
	s_wait_alu 0xf1ff
	s_delay_alu instid0(VALU_DEP_1) | instskip(SKIP_2) | instid1(VALU_DEP_1)
	v_cndmask_b32_e64 v66, 0, v66, s0
	v_cmp_gt_i32_e64 s0, s7, v84
	s_wait_alu 0xf1ff
	v_cndmask_b32_e64 v65, 0, v65, s0
	v_cmp_gt_i32_e64 s0, s7, v83
	s_wait_alu 0xf1ff
	s_delay_alu instid0(VALU_DEP_1) | instskip(SKIP_2) | instid1(VALU_DEP_1)
	v_cndmask_b32_e64 v64, 0, v64, s0
	v_cmp_gt_i32_e64 s0, s7, v85
	s_wait_alu 0xf1ff
	v_cndmask_b32_e64 v63, 0, v63, s0
.LBB231_47:                             ;   in Loop: Header=BB231_38 Depth=1
	s_wait_alu 0xfffe
	s_or_b32 exec_lo, exec_lo, s23
	global_load_b32 v0, v[9:10], off offset:512
	s_wait_loadcnt 0x0
	v_and_b32_e32 v67, 0xffff, v0
	v_lshrrev_b32_e32 v0, 16, v0
	s_delay_alu instid0(VALU_DEP_2) | instskip(NEXT) | instid1(VALU_DEP_2)
	v_cvt_pk_f32_fp8_e32 v[67:68], v67
	v_cvt_pk_f32_fp8_e32 v[71:72], v0
	s_delay_alu instid0(VALU_DEP_2) | instskip(NEXT) | instid1(VALU_DEP_2)
	v_dual_mul_f32 v70, s21, v67 :: v_dual_mul_f32 v69, s22, v68
	v_dual_mul_f32 v68, s21, v71 :: v_dual_mul_f32 v67, s22, v72
	s_and_saveexec_b32 s23, vcc_lo
	s_cbranch_execz .LBB231_49
; %bb.48:                               ;   in Loop: Header=BB231_38 Depth=1
	v_cmp_gt_i32_e64 s0, s7, v82
	s_wait_alu 0xf1ff
	s_delay_alu instid0(VALU_DEP_1) | instskip(SKIP_2) | instid1(VALU_DEP_1)
	v_cndmask_b32_e64 v70, 0, v70, s0
	v_cmp_gt_i32_e64 s0, s7, v84
	s_wait_alu 0xf1ff
	v_cndmask_b32_e64 v69, 0, v69, s0
	v_cmp_gt_i32_e64 s0, s7, v83
	s_wait_alu 0xf1ff
	s_delay_alu instid0(VALU_DEP_1) | instskip(SKIP_2) | instid1(VALU_DEP_1)
	v_cndmask_b32_e64 v68, 0, v68, s0
	v_cmp_gt_i32_e64 s0, s7, v85
	s_wait_alu 0xf1ff
	v_cndmask_b32_e64 v67, 0, v67, s0
.LBB231_49:                             ;   in Loop: Header=BB231_38 Depth=1
	s_wait_alu 0xfffe
	s_or_b32 exec_lo, exec_lo, s23
	global_load_b32 v0, v[9:10], off offset:640
	s_wait_loadcnt 0x0
	v_and_b32_e32 v71, 0xffff, v0
	v_lshrrev_b32_e32 v0, 16, v0
	s_delay_alu instid0(VALU_DEP_2) | instskip(NEXT) | instid1(VALU_DEP_2)
	v_cvt_pk_f32_fp8_e32 v[71:72], v71
	v_cvt_pk_f32_fp8_e32 v[75:76], v0
	s_delay_alu instid0(VALU_DEP_2) | instskip(NEXT) | instid1(VALU_DEP_2)
	v_dual_mul_f32 v74, s21, v71 :: v_dual_mul_f32 v73, s22, v72
	v_dual_mul_f32 v72, s21, v75 :: v_dual_mul_f32 v71, s22, v76
	s_and_saveexec_b32 s23, vcc_lo
	s_cbranch_execz .LBB231_51
; %bb.50:                               ;   in Loop: Header=BB231_38 Depth=1
	v_cmp_gt_i32_e64 s0, s7, v82
	s_wait_alu 0xf1ff
	s_delay_alu instid0(VALU_DEP_1) | instskip(SKIP_2) | instid1(VALU_DEP_1)
	v_cndmask_b32_e64 v74, 0, v74, s0
	v_cmp_gt_i32_e64 s0, s7, v84
	s_wait_alu 0xf1ff
	v_cndmask_b32_e64 v73, 0, v73, s0
	v_cmp_gt_i32_e64 s0, s7, v83
	s_wait_alu 0xf1ff
	s_delay_alu instid0(VALU_DEP_1) | instskip(SKIP_2) | instid1(VALU_DEP_1)
	v_cndmask_b32_e64 v72, 0, v72, s0
	v_cmp_gt_i32_e64 s0, s7, v85
	s_wait_alu 0xf1ff
	v_cndmask_b32_e64 v71, 0, v71, s0
.LBB231_51:                             ;   in Loop: Header=BB231_38 Depth=1
	s_wait_alu 0xfffe
	s_or_b32 exec_lo, exec_lo, s23
	global_load_b32 v0, v[9:10], off offset:768
	s_wait_loadcnt 0x0
	v_and_b32_e32 v75, 0xffff, v0
	v_lshrrev_b32_e32 v0, 16, v0
	s_delay_alu instid0(VALU_DEP_2) | instskip(NEXT) | instid1(VALU_DEP_2)
	v_cvt_pk_f32_fp8_e32 v[75:76], v75
	v_cvt_pk_f32_fp8_e32 v[79:80], v0
	s_delay_alu instid0(VALU_DEP_2) | instskip(NEXT) | instid1(VALU_DEP_2)
	v_dual_mul_f32 v78, s21, v75 :: v_dual_mul_f32 v77, s22, v76
	v_dual_mul_f32 v76, s21, v79 :: v_dual_mul_f32 v75, s22, v80
	s_and_saveexec_b32 s23, vcc_lo
	s_cbranch_execz .LBB231_53
; %bb.52:                               ;   in Loop: Header=BB231_38 Depth=1
	v_cmp_gt_i32_e64 s0, s7, v82
	s_wait_alu 0xf1ff
	s_delay_alu instid0(VALU_DEP_1) | instskip(SKIP_2) | instid1(VALU_DEP_1)
	v_cndmask_b32_e64 v78, 0, v78, s0
	v_cmp_gt_i32_e64 s0, s7, v84
	s_wait_alu 0xf1ff
	v_cndmask_b32_e64 v77, 0, v77, s0
	v_cmp_gt_i32_e64 s0, s7, v83
	s_wait_alu 0xf1ff
	s_delay_alu instid0(VALU_DEP_1) | instskip(SKIP_2) | instid1(VALU_DEP_1)
	v_cndmask_b32_e64 v76, 0, v76, s0
	v_cmp_gt_i32_e64 s0, s7, v85
	s_wait_alu 0xf1ff
	v_cndmask_b32_e64 v75, 0, v75, s0
.LBB231_53:                             ;   in Loop: Header=BB231_38 Depth=1
	s_wait_alu 0xfffe
	s_or_b32 exec_lo, exec_lo, s23
	global_load_b32 v0, v[9:10], off offset:896
	s_wait_loadcnt 0x0
	v_and_b32_e32 v79, 0xffff, v0
	v_lshrrev_b32_e32 v0, 16, v0
	s_delay_alu instid0(VALU_DEP_2) | instskip(NEXT) | instid1(VALU_DEP_2)
	v_cvt_pk_f32_fp8_e32 v[79:80], v79
	v_cvt_pk_f32_fp8_e32 v[87:88], v0
	s_delay_alu instid0(VALU_DEP_2) | instskip(NEXT) | instid1(VALU_DEP_2)
	v_dual_mul_f32 v86, s21, v79 :: v_dual_mul_f32 v81, s22, v80
	v_dual_mul_f32 v80, s21, v87 :: v_dual_mul_f32 v79, s22, v88
	s_and_saveexec_b32 s23, vcc_lo
	s_cbranch_execz .LBB231_55
; %bb.54:                               ;   in Loop: Header=BB231_38 Depth=1
	v_cmp_gt_i32_e64 s0, s7, v82
	s_wait_alu 0xf1ff
	s_delay_alu instid0(VALU_DEP_1) | instskip(SKIP_2) | instid1(VALU_DEP_1)
	v_cndmask_b32_e64 v86, 0, v86, s0
	v_cmp_gt_i32_e64 s0, s7, v84
	s_wait_alu 0xf1ff
	v_cndmask_b32_e64 v81, 0, v81, s0
	v_cmp_gt_i32_e64 s0, s7, v83
	s_wait_alu 0xf1ff
	s_delay_alu instid0(VALU_DEP_1) | instskip(SKIP_2) | instid1(VALU_DEP_1)
	v_cndmask_b32_e64 v80, 0, v80, s0
	v_cmp_gt_i32_e64 s0, s7, v85
	s_wait_alu 0xf1ff
	v_cndmask_b32_e64 v79, 0, v79, s0
.LBB231_55:                             ;   in Loop: Header=BB231_38 Depth=1
	s_wait_alu 0xfffe
	s_or_b32 exec_lo, exec_lo, s23
	global_load_b32 v0, v[9:10], off offset:1024
	s_wait_loadcnt 0x0
	v_and_b32_e32 v87, 0xffff, v0
	v_lshrrev_b32_e32 v0, 16, v0
	s_delay_alu instid0(VALU_DEP_2) | instskip(NEXT) | instid1(VALU_DEP_2)
	v_cvt_pk_f32_fp8_e32 v[87:88], v87
	v_cvt_pk_f32_fp8_e32 v[91:92], v0
	s_delay_alu instid0(VALU_DEP_2) | instskip(NEXT) | instid1(VALU_DEP_2)
	v_dual_mul_f32 v90, s21, v87 :: v_dual_mul_f32 v89, s22, v88
	v_dual_mul_f32 v88, s21, v91 :: v_dual_mul_f32 v87, s22, v92
	s_and_saveexec_b32 s23, vcc_lo
	s_cbranch_execz .LBB231_57
; %bb.56:                               ;   in Loop: Header=BB231_38 Depth=1
	v_cmp_gt_i32_e64 s0, s7, v82
	s_wait_alu 0xf1ff
	s_delay_alu instid0(VALU_DEP_1) | instskip(SKIP_2) | instid1(VALU_DEP_1)
	v_cndmask_b32_e64 v90, 0, v90, s0
	v_cmp_gt_i32_e64 s0, s7, v84
	s_wait_alu 0xf1ff
	v_cndmask_b32_e64 v89, 0, v89, s0
	v_cmp_gt_i32_e64 s0, s7, v83
	s_wait_alu 0xf1ff
	s_delay_alu instid0(VALU_DEP_1) | instskip(SKIP_2) | instid1(VALU_DEP_1)
	v_cndmask_b32_e64 v88, 0, v88, s0
	v_cmp_gt_i32_e64 s0, s7, v85
	s_wait_alu 0xf1ff
	v_cndmask_b32_e64 v87, 0, v87, s0
.LBB231_57:                             ;   in Loop: Header=BB231_38 Depth=1
	s_wait_alu 0xfffe
	s_or_b32 exec_lo, exec_lo, s23
	global_load_b32 v0, v[9:10], off offset:1152
	s_wait_loadcnt 0x0
	v_and_b32_e32 v91, 0xffff, v0
	v_lshrrev_b32_e32 v0, 16, v0
	s_delay_alu instid0(VALU_DEP_2) | instskip(NEXT) | instid1(VALU_DEP_2)
	v_cvt_pk_f32_fp8_e32 v[91:92], v91
	v_cvt_pk_f32_fp8_e32 v[95:96], v0
	s_delay_alu instid0(VALU_DEP_2) | instskip(NEXT) | instid1(VALU_DEP_2)
	v_dual_mul_f32 v94, s21, v91 :: v_dual_mul_f32 v93, s22, v92
	v_dual_mul_f32 v92, s21, v95 :: v_dual_mul_f32 v91, s22, v96
	s_and_saveexec_b32 s23, vcc_lo
	s_cbranch_execz .LBB231_59
; %bb.58:                               ;   in Loop: Header=BB231_38 Depth=1
	v_cmp_gt_i32_e64 s0, s7, v82
	s_wait_alu 0xf1ff
	s_delay_alu instid0(VALU_DEP_1) | instskip(SKIP_2) | instid1(VALU_DEP_1)
	v_cndmask_b32_e64 v94, 0, v94, s0
	v_cmp_gt_i32_e64 s0, s7, v84
	s_wait_alu 0xf1ff
	v_cndmask_b32_e64 v93, 0, v93, s0
	v_cmp_gt_i32_e64 s0, s7, v83
	s_wait_alu 0xf1ff
	s_delay_alu instid0(VALU_DEP_1) | instskip(SKIP_2) | instid1(VALU_DEP_1)
	v_cndmask_b32_e64 v92, 0, v92, s0
	v_cmp_gt_i32_e64 s0, s7, v85
	s_wait_alu 0xf1ff
	v_cndmask_b32_e64 v91, 0, v91, s0
.LBB231_59:                             ;   in Loop: Header=BB231_38 Depth=1
	s_wait_alu 0xfffe
	s_or_b32 exec_lo, exec_lo, s23
	global_load_b32 v0, v[9:10], off offset:1280
	s_wait_loadcnt 0x0
	v_and_b32_e32 v95, 0xffff, v0
	v_lshrrev_b32_e32 v0, 16, v0
	s_delay_alu instid0(VALU_DEP_2) | instskip(NEXT) | instid1(VALU_DEP_2)
	v_cvt_pk_f32_fp8_e32 v[95:96], v95
	v_cvt_pk_f32_fp8_e32 v[99:100], v0
	s_delay_alu instid0(VALU_DEP_2) | instskip(NEXT) | instid1(VALU_DEP_2)
	v_dual_mul_f32 v98, s21, v95 :: v_dual_mul_f32 v97, s22, v96
	v_dual_mul_f32 v96, s21, v99 :: v_dual_mul_f32 v95, s22, v100
	s_and_saveexec_b32 s23, vcc_lo
	s_cbranch_execz .LBB231_61
; %bb.60:                               ;   in Loop: Header=BB231_38 Depth=1
	v_cmp_gt_i32_e64 s0, s7, v82
	s_wait_alu 0xf1ff
	s_delay_alu instid0(VALU_DEP_1) | instskip(SKIP_2) | instid1(VALU_DEP_1)
	v_cndmask_b32_e64 v98, 0, v98, s0
	v_cmp_gt_i32_e64 s0, s7, v84
	s_wait_alu 0xf1ff
	v_cndmask_b32_e64 v97, 0, v97, s0
	v_cmp_gt_i32_e64 s0, s7, v83
	s_wait_alu 0xf1ff
	s_delay_alu instid0(VALU_DEP_1) | instskip(SKIP_2) | instid1(VALU_DEP_1)
	v_cndmask_b32_e64 v96, 0, v96, s0
	v_cmp_gt_i32_e64 s0, s7, v85
	s_wait_alu 0xf1ff
	v_cndmask_b32_e64 v95, 0, v95, s0
.LBB231_61:                             ;   in Loop: Header=BB231_38 Depth=1
	s_wait_alu 0xfffe
	s_or_b32 exec_lo, exec_lo, s23
	global_load_b32 v0, v[9:10], off offset:1408
	s_wait_loadcnt 0x0
	v_and_b32_e32 v99, 0xffff, v0
	v_lshrrev_b32_e32 v0, 16, v0
	s_delay_alu instid0(VALU_DEP_2) | instskip(NEXT) | instid1(VALU_DEP_2)
	v_cvt_pk_f32_fp8_e32 v[99:100], v99
	v_cvt_pk_f32_fp8_e32 v[103:104], v0
	s_delay_alu instid0(VALU_DEP_2) | instskip(NEXT) | instid1(VALU_DEP_2)
	v_dual_mul_f32 v102, s21, v99 :: v_dual_mul_f32 v101, s22, v100
	v_dual_mul_f32 v100, s21, v103 :: v_dual_mul_f32 v99, s22, v104
	s_and_saveexec_b32 s23, vcc_lo
	s_cbranch_execz .LBB231_63
; %bb.62:                               ;   in Loop: Header=BB231_38 Depth=1
	v_cmp_gt_i32_e64 s0, s7, v82
	s_wait_alu 0xf1ff
	s_delay_alu instid0(VALU_DEP_1) | instskip(SKIP_2) | instid1(VALU_DEP_1)
	v_cndmask_b32_e64 v102, 0, v102, s0
	v_cmp_gt_i32_e64 s0, s7, v84
	s_wait_alu 0xf1ff
	v_cndmask_b32_e64 v101, 0, v101, s0
	v_cmp_gt_i32_e64 s0, s7, v83
	s_wait_alu 0xf1ff
	s_delay_alu instid0(VALU_DEP_1) | instskip(SKIP_2) | instid1(VALU_DEP_1)
	v_cndmask_b32_e64 v100, 0, v100, s0
	v_cmp_gt_i32_e64 s0, s7, v85
	s_wait_alu 0xf1ff
	v_cndmask_b32_e64 v99, 0, v99, s0
.LBB231_63:                             ;   in Loop: Header=BB231_38 Depth=1
	s_wait_alu 0xfffe
	s_or_b32 exec_lo, exec_lo, s23
	global_load_b32 v0, v[9:10], off offset:1536
	s_wait_loadcnt 0x0
	v_and_b32_e32 v103, 0xffff, v0
	v_lshrrev_b32_e32 v0, 16, v0
	s_delay_alu instid0(VALU_DEP_2) | instskip(NEXT) | instid1(VALU_DEP_2)
	v_cvt_pk_f32_fp8_e32 v[103:104], v103
	v_cvt_pk_f32_fp8_e32 v[107:108], v0
	s_delay_alu instid0(VALU_DEP_2) | instskip(NEXT) | instid1(VALU_DEP_2)
	v_dual_mul_f32 v106, s21, v103 :: v_dual_mul_f32 v105, s22, v104
	v_dual_mul_f32 v104, s21, v107 :: v_dual_mul_f32 v103, s22, v108
	s_and_saveexec_b32 s23, vcc_lo
	s_cbranch_execz .LBB231_65
; %bb.64:                               ;   in Loop: Header=BB231_38 Depth=1
	v_cmp_gt_i32_e64 s0, s7, v82
	s_wait_alu 0xf1ff
	s_delay_alu instid0(VALU_DEP_1) | instskip(SKIP_2) | instid1(VALU_DEP_1)
	v_cndmask_b32_e64 v106, 0, v106, s0
	v_cmp_gt_i32_e64 s0, s7, v84
	s_wait_alu 0xf1ff
	v_cndmask_b32_e64 v105, 0, v105, s0
	v_cmp_gt_i32_e64 s0, s7, v83
	s_wait_alu 0xf1ff
	s_delay_alu instid0(VALU_DEP_1) | instskip(SKIP_2) | instid1(VALU_DEP_1)
	v_cndmask_b32_e64 v104, 0, v104, s0
	v_cmp_gt_i32_e64 s0, s7, v85
	s_wait_alu 0xf1ff
	v_cndmask_b32_e64 v103, 0, v103, s0
.LBB231_65:                             ;   in Loop: Header=BB231_38 Depth=1
	s_wait_alu 0xfffe
	s_or_b32 exec_lo, exec_lo, s23
	global_load_b32 v0, v[9:10], off offset:1664
	s_wait_loadcnt 0x0
	v_and_b32_e32 v107, 0xffff, v0
	v_lshrrev_b32_e32 v0, 16, v0
	s_delay_alu instid0(VALU_DEP_2) | instskip(NEXT) | instid1(VALU_DEP_2)
	v_cvt_pk_f32_fp8_e32 v[107:108], v107
	v_cvt_pk_f32_fp8_e32 v[111:112], v0
	s_delay_alu instid0(VALU_DEP_2) | instskip(NEXT) | instid1(VALU_DEP_2)
	v_dual_mul_f32 v110, s21, v107 :: v_dual_mul_f32 v109, s22, v108
	v_dual_mul_f32 v108, s21, v111 :: v_dual_mul_f32 v107, s22, v112
	s_and_saveexec_b32 s23, vcc_lo
	s_cbranch_execz .LBB231_67
; %bb.66:                               ;   in Loop: Header=BB231_38 Depth=1
	v_cmp_gt_i32_e64 s0, s7, v82
	s_wait_alu 0xf1ff
	s_delay_alu instid0(VALU_DEP_1) | instskip(SKIP_2) | instid1(VALU_DEP_1)
	v_cndmask_b32_e64 v110, 0, v110, s0
	v_cmp_gt_i32_e64 s0, s7, v84
	s_wait_alu 0xf1ff
	v_cndmask_b32_e64 v109, 0, v109, s0
	v_cmp_gt_i32_e64 s0, s7, v83
	s_wait_alu 0xf1ff
	s_delay_alu instid0(VALU_DEP_1) | instskip(SKIP_2) | instid1(VALU_DEP_1)
	v_cndmask_b32_e64 v108, 0, v108, s0
	v_cmp_gt_i32_e64 s0, s7, v85
	s_wait_alu 0xf1ff
	v_cndmask_b32_e64 v107, 0, v107, s0
.LBB231_67:                             ;   in Loop: Header=BB231_38 Depth=1
	s_wait_alu 0xfffe
	s_or_b32 exec_lo, exec_lo, s23
	global_load_b32 v0, v[9:10], off offset:1792
	s_wait_loadcnt 0x0
	v_and_b32_e32 v111, 0xffff, v0
	v_lshrrev_b32_e32 v0, 16, v0
	s_delay_alu instid0(VALU_DEP_2) | instskip(NEXT) | instid1(VALU_DEP_2)
	v_cvt_pk_f32_fp8_e32 v[111:112], v111
	v_cvt_pk_f32_fp8_e32 v[115:116], v0
	s_delay_alu instid0(VALU_DEP_2) | instskip(NEXT) | instid1(VALU_DEP_2)
	v_dual_mul_f32 v114, s21, v111 :: v_dual_mul_f32 v113, s22, v112
	v_dual_mul_f32 v112, s21, v115 :: v_dual_mul_f32 v111, s22, v116
	s_and_saveexec_b32 s23, vcc_lo
	s_cbranch_execz .LBB231_69
; %bb.68:                               ;   in Loop: Header=BB231_38 Depth=1
	v_cmp_gt_i32_e64 s0, s7, v82
	s_wait_alu 0xf1ff
	s_delay_alu instid0(VALU_DEP_1) | instskip(SKIP_2) | instid1(VALU_DEP_1)
	v_cndmask_b32_e64 v114, 0, v114, s0
	v_cmp_gt_i32_e64 s0, s7, v84
	s_wait_alu 0xf1ff
	v_cndmask_b32_e64 v113, 0, v113, s0
	v_cmp_gt_i32_e64 s0, s7, v83
	s_wait_alu 0xf1ff
	s_delay_alu instid0(VALU_DEP_1) | instskip(SKIP_2) | instid1(VALU_DEP_1)
	v_cndmask_b32_e64 v112, 0, v112, s0
	v_cmp_gt_i32_e64 s0, s7, v85
	s_wait_alu 0xf1ff
	v_cndmask_b32_e64 v111, 0, v111, s0
.LBB231_69:                             ;   in Loop: Header=BB231_38 Depth=1
	s_wait_alu 0xfffe
	s_or_b32 exec_lo, exec_lo, s23
	global_load_b32 v0, v[9:10], off offset:1920
	s_wait_loadcnt 0x0
	v_and_b32_e32 v115, 0xffff, v0
	v_lshrrev_b32_e32 v0, 16, v0
	s_delay_alu instid0(VALU_DEP_2) | instskip(NEXT) | instid1(VALU_DEP_2)
	v_cvt_pk_f32_fp8_e32 v[115:116], v115
	v_cvt_pk_f32_fp8_e32 v[119:120], v0
	s_delay_alu instid0(VALU_DEP_2) | instskip(NEXT) | instid1(VALU_DEP_2)
	v_dual_mul_f32 v118, s21, v115 :: v_dual_mul_f32 v117, s22, v116
	v_dual_mul_f32 v116, s21, v119 :: v_dual_mul_f32 v115, s22, v120
	s_and_saveexec_b32 s23, vcc_lo
	s_cbranch_execz .LBB231_71
; %bb.70:                               ;   in Loop: Header=BB231_38 Depth=1
	v_cmp_gt_i32_e64 s0, s7, v82
	s_wait_alu 0xf1ff
	s_delay_alu instid0(VALU_DEP_1) | instskip(SKIP_2) | instid1(VALU_DEP_1)
	v_cndmask_b32_e64 v118, 0, v118, s0
	v_cmp_gt_i32_e64 s0, s7, v84
	s_wait_alu 0xf1ff
	v_cndmask_b32_e64 v117, 0, v117, s0
	v_cmp_gt_i32_e64 s0, s7, v83
	s_wait_alu 0xf1ff
	s_delay_alu instid0(VALU_DEP_1) | instskip(SKIP_2) | instid1(VALU_DEP_1)
	v_cndmask_b32_e64 v116, 0, v116, s0
	v_cmp_gt_i32_e64 s0, s7, v85
	s_wait_alu 0xf1ff
	v_cndmask_b32_e64 v115, 0, v115, s0
.LBB231_71:                             ;   in Loop: Header=BB231_38 Depth=1
	s_wait_alu 0xfffe
	s_or_b32 exec_lo, exec_lo, s23
	global_load_b32 v0, v[9:10], off offset:2048
	s_wait_loadcnt 0x0
	v_and_b32_e32 v119, 0xffff, v0
	v_lshrrev_b32_e32 v0, 16, v0
	s_delay_alu instid0(VALU_DEP_2) | instskip(NEXT) | instid1(VALU_DEP_2)
	v_cvt_pk_f32_fp8_e32 v[119:120], v119
	v_cvt_pk_f32_fp8_e32 v[123:124], v0
	s_delay_alu instid0(VALU_DEP_2) | instskip(NEXT) | instid1(VALU_DEP_2)
	v_dual_mul_f32 v122, s21, v119 :: v_dual_mul_f32 v121, s22, v120
	v_dual_mul_f32 v120, s21, v123 :: v_dual_mul_f32 v119, s22, v124
	s_and_saveexec_b32 s23, vcc_lo
	s_cbranch_execz .LBB231_73
; %bb.72:                               ;   in Loop: Header=BB231_38 Depth=1
	v_cmp_gt_i32_e64 s0, s7, v82
	s_wait_alu 0xf1ff
	s_delay_alu instid0(VALU_DEP_1) | instskip(SKIP_2) | instid1(VALU_DEP_1)
	v_cndmask_b32_e64 v122, 0, v122, s0
	v_cmp_gt_i32_e64 s0, s7, v84
	s_wait_alu 0xf1ff
	v_cndmask_b32_e64 v121, 0, v121, s0
	v_cmp_gt_i32_e64 s0, s7, v83
	s_wait_alu 0xf1ff
	s_delay_alu instid0(VALU_DEP_1) | instskip(SKIP_2) | instid1(VALU_DEP_1)
	v_cndmask_b32_e64 v120, 0, v120, s0
	v_cmp_gt_i32_e64 s0, s7, v85
	s_wait_alu 0xf1ff
	v_cndmask_b32_e64 v119, 0, v119, s0
.LBB231_73:                             ;   in Loop: Header=BB231_38 Depth=1
	s_wait_alu 0xfffe
	s_or_b32 exec_lo, exec_lo, s23
	global_load_b32 v0, v[9:10], off offset:2176
	s_wait_loadcnt 0x0
	v_and_b32_e32 v123, 0xffff, v0
	v_lshrrev_b32_e32 v0, 16, v0
	s_delay_alu instid0(VALU_DEP_2) | instskip(NEXT) | instid1(VALU_DEP_2)
	v_cvt_pk_f32_fp8_e32 v[123:124], v123
	v_cvt_pk_f32_fp8_e32 v[127:128], v0
	s_delay_alu instid0(VALU_DEP_2) | instskip(NEXT) | instid1(VALU_DEP_2)
	v_dual_mul_f32 v126, s21, v123 :: v_dual_mul_f32 v125, s22, v124
	v_dual_mul_f32 v124, s21, v127 :: v_dual_mul_f32 v123, s22, v128
	s_and_saveexec_b32 s23, vcc_lo
	s_cbranch_execz .LBB231_75
; %bb.74:                               ;   in Loop: Header=BB231_38 Depth=1
	v_cmp_gt_i32_e64 s0, s7, v82
	s_wait_alu 0xf1ff
	s_delay_alu instid0(VALU_DEP_1) | instskip(SKIP_2) | instid1(VALU_DEP_1)
	v_cndmask_b32_e64 v126, 0, v126, s0
	v_cmp_gt_i32_e64 s0, s7, v84
	s_wait_alu 0xf1ff
	v_cndmask_b32_e64 v125, 0, v125, s0
	v_cmp_gt_i32_e64 s0, s7, v83
	s_wait_alu 0xf1ff
	s_delay_alu instid0(VALU_DEP_1) | instskip(SKIP_2) | instid1(VALU_DEP_1)
	v_cndmask_b32_e64 v124, 0, v124, s0
	v_cmp_gt_i32_e64 s0, s7, v85
	s_wait_alu 0xf1ff
	v_cndmask_b32_e64 v123, 0, v123, s0
.LBB231_75:                             ;   in Loop: Header=BB231_38 Depth=1
	s_wait_alu 0xfffe
	s_or_b32 exec_lo, exec_lo, s23
	global_load_b32 v0, v[9:10], off offset:2304
	s_wait_loadcnt 0x0
	v_and_b32_e32 v127, 0xffff, v0
	v_lshrrev_b32_e32 v0, 16, v0
	s_delay_alu instid0(VALU_DEP_2) | instskip(NEXT) | instid1(VALU_DEP_2)
	v_cvt_pk_f32_fp8_e32 v[127:128], v127
	v_cvt_pk_f32_fp8_e32 v[131:132], v0
	s_delay_alu instid0(VALU_DEP_2) | instskip(NEXT) | instid1(VALU_DEP_2)
	v_dual_mul_f32 v130, s21, v127 :: v_dual_mul_f32 v129, s22, v128
	v_dual_mul_f32 v128, s21, v131 :: v_dual_mul_f32 v127, s22, v132
	s_and_saveexec_b32 s23, vcc_lo
	s_cbranch_execz .LBB231_77
; %bb.76:                               ;   in Loop: Header=BB231_38 Depth=1
	v_cmp_gt_i32_e64 s0, s7, v82
	s_wait_alu 0xf1ff
	s_delay_alu instid0(VALU_DEP_1) | instskip(SKIP_2) | instid1(VALU_DEP_1)
	v_cndmask_b32_e64 v130, 0, v130, s0
	v_cmp_gt_i32_e64 s0, s7, v84
	s_wait_alu 0xf1ff
	v_cndmask_b32_e64 v129, 0, v129, s0
	v_cmp_gt_i32_e64 s0, s7, v83
	s_wait_alu 0xf1ff
	s_delay_alu instid0(VALU_DEP_1) | instskip(SKIP_2) | instid1(VALU_DEP_1)
	v_cndmask_b32_e64 v128, 0, v128, s0
	v_cmp_gt_i32_e64 s0, s7, v85
	s_wait_alu 0xf1ff
	v_cndmask_b32_e64 v127, 0, v127, s0
.LBB231_77:                             ;   in Loop: Header=BB231_38 Depth=1
	s_wait_alu 0xfffe
	s_or_b32 exec_lo, exec_lo, s23
	global_load_b32 v0, v[9:10], off offset:2432
	s_wait_loadcnt 0x0
	v_and_b32_e32 v14, 0xffff, v0
	v_lshrrev_b32_e32 v0, 16, v0
	s_delay_alu instid0(VALU_DEP_2) | instskip(NEXT) | instid1(VALU_DEP_2)
	v_cvt_pk_f32_fp8_e32 v[131:132], v14
	v_cvt_pk_f32_fp8_e32 v[135:136], v0
	s_delay_alu instid0(VALU_DEP_2) | instskip(NEXT) | instid1(VALU_DEP_2)
	v_dual_mul_f32 v134, s21, v131 :: v_dual_mul_f32 v133, s22, v132
	v_dual_mul_f32 v132, s21, v135 :: v_dual_mul_f32 v131, s22, v136
	s_and_saveexec_b32 s23, vcc_lo
	s_cbranch_execz .LBB231_79
; %bb.78:                               ;   in Loop: Header=BB231_38 Depth=1
	v_cmp_gt_i32_e64 s0, s7, v82
	s_wait_alu 0xf1ff
	s_delay_alu instid0(VALU_DEP_1) | instskip(SKIP_2) | instid1(VALU_DEP_1)
	v_cndmask_b32_e64 v134, 0, v134, s0
	v_cmp_gt_i32_e64 s0, s7, v84
	s_wait_alu 0xf1ff
	v_cndmask_b32_e64 v133, 0, v133, s0
	v_cmp_gt_i32_e64 s0, s7, v83
	s_wait_alu 0xf1ff
	s_delay_alu instid0(VALU_DEP_1) | instskip(SKIP_2) | instid1(VALU_DEP_1)
	v_cndmask_b32_e64 v132, 0, v132, s0
	v_cmp_gt_i32_e64 s0, s7, v85
	s_wait_alu 0xf1ff
	v_cndmask_b32_e64 v131, 0, v131, s0
.LBB231_79:                             ;   in Loop: Header=BB231_38 Depth=1
	s_wait_alu 0xfffe
	s_or_b32 exec_lo, exec_lo, s23
	global_load_b32 v0, v[9:10], off offset:2560
	s_wait_loadcnt 0x0
	v_and_b32_e32 v14, 0xffff, v0
	v_lshrrev_b32_e32 v0, 16, v0
	s_delay_alu instid0(VALU_DEP_2) | instskip(NEXT) | instid1(VALU_DEP_2)
	v_cvt_pk_f32_fp8_e32 v[135:136], v14
	v_cvt_pk_f32_fp8_e32 v[143:144], v0
	s_delay_alu instid0(VALU_DEP_2) | instskip(NEXT) | instid1(VALU_DEP_2)
	v_dual_mul_f32 v142, s21, v135 :: v_dual_mul_f32 v141, s22, v136
	v_dual_mul_f32 v140, s21, v143 :: v_dual_mul_f32 v139, s22, v144
	s_and_saveexec_b32 s23, vcc_lo
	s_cbranch_execz .LBB231_81
; %bb.80:                               ;   in Loop: Header=BB231_38 Depth=1
	v_cmp_gt_i32_e64 s0, s7, v82
	s_wait_alu 0xf1ff
	s_delay_alu instid0(VALU_DEP_1) | instskip(SKIP_2) | instid1(VALU_DEP_1)
	v_cndmask_b32_e64 v142, 0, v142, s0
	v_cmp_gt_i32_e64 s0, s7, v84
	s_wait_alu 0xf1ff
	v_cndmask_b32_e64 v141, 0, v141, s0
	v_cmp_gt_i32_e64 s0, s7, v83
	s_wait_alu 0xf1ff
	s_delay_alu instid0(VALU_DEP_1) | instskip(SKIP_2) | instid1(VALU_DEP_1)
	v_cndmask_b32_e64 v140, 0, v140, s0
	v_cmp_gt_i32_e64 s0, s7, v85
	s_wait_alu 0xf1ff
	v_cndmask_b32_e64 v139, 0, v139, s0
.LBB231_81:                             ;   in Loop: Header=BB231_38 Depth=1
	s_wait_alu 0xfffe
	s_or_b32 exec_lo, exec_lo, s23
	global_load_b32 v0, v[9:10], off offset:2688
	s_wait_loadcnt 0x0
	v_and_b32_e32 v14, 0xffff, v0
	v_lshrrev_b32_e32 v0, 16, v0
	s_delay_alu instid0(VALU_DEP_2) | instskip(NEXT) | instid1(VALU_DEP_2)
	v_cvt_pk_f32_fp8_e32 v[135:136], v14
	v_cvt_pk_f32_fp8_e32 v[147:148], v0
	s_delay_alu instid0(VALU_DEP_2) | instskip(NEXT) | instid1(VALU_DEP_2)
	v_dual_mul_f32 v146, s21, v135 :: v_dual_mul_f32 v145, s22, v136
	v_dual_mul_f32 v144, s21, v147 :: v_dual_mul_f32 v143, s22, v148
	s_and_saveexec_b32 s23, vcc_lo
	s_cbranch_execz .LBB231_83
; %bb.82:                               ;   in Loop: Header=BB231_38 Depth=1
	v_cmp_gt_i32_e64 s0, s7, v82
	s_wait_alu 0xf1ff
	s_delay_alu instid0(VALU_DEP_1) | instskip(SKIP_2) | instid1(VALU_DEP_1)
	v_cndmask_b32_e64 v146, 0, v146, s0
	v_cmp_gt_i32_e64 s0, s7, v84
	s_wait_alu 0xf1ff
	v_cndmask_b32_e64 v145, 0, v145, s0
	v_cmp_gt_i32_e64 s0, s7, v83
	s_wait_alu 0xf1ff
	s_delay_alu instid0(VALU_DEP_1) | instskip(SKIP_2) | instid1(VALU_DEP_1)
	v_cndmask_b32_e64 v144, 0, v144, s0
	v_cmp_gt_i32_e64 s0, s7, v85
	s_wait_alu 0xf1ff
	v_cndmask_b32_e64 v143, 0, v143, s0
.LBB231_83:                             ;   in Loop: Header=BB231_38 Depth=1
	s_wait_alu 0xfffe
	s_or_b32 exec_lo, exec_lo, s23
	global_load_b32 v0, v[9:10], off offset:2816
	s_wait_loadcnt 0x0
	v_and_b32_e32 v14, 0xffff, v0
	v_lshrrev_b32_e32 v0, 16, v0
	s_delay_alu instid0(VALU_DEP_2) | instskip(NEXT) | instid1(VALU_DEP_2)
	v_cvt_pk_f32_fp8_e32 v[135:136], v14
	v_cvt_pk_f32_fp8_e32 v[151:152], v0
	s_delay_alu instid0(VALU_DEP_2) | instskip(NEXT) | instid1(VALU_DEP_2)
	v_dual_mul_f32 v150, s21, v135 :: v_dual_mul_f32 v149, s22, v136
	v_dual_mul_f32 v148, s21, v151 :: v_dual_mul_f32 v147, s22, v152
	s_and_saveexec_b32 s23, vcc_lo
	s_cbranch_execz .LBB231_85
; %bb.84:                               ;   in Loop: Header=BB231_38 Depth=1
	v_cmp_gt_i32_e64 s0, s7, v82
	s_wait_alu 0xf1ff
	s_delay_alu instid0(VALU_DEP_1) | instskip(SKIP_2) | instid1(VALU_DEP_1)
	v_cndmask_b32_e64 v150, 0, v150, s0
	v_cmp_gt_i32_e64 s0, s7, v84
	s_wait_alu 0xf1ff
	v_cndmask_b32_e64 v149, 0, v149, s0
	v_cmp_gt_i32_e64 s0, s7, v83
	s_wait_alu 0xf1ff
	s_delay_alu instid0(VALU_DEP_1) | instskip(SKIP_2) | instid1(VALU_DEP_1)
	v_cndmask_b32_e64 v148, 0, v148, s0
	v_cmp_gt_i32_e64 s0, s7, v85
	s_wait_alu 0xf1ff
	v_cndmask_b32_e64 v147, 0, v147, s0
.LBB231_85:                             ;   in Loop: Header=BB231_38 Depth=1
	s_wait_alu 0xfffe
	s_or_b32 exec_lo, exec_lo, s23
	global_load_b32 v0, v[9:10], off offset:2944
	s_wait_loadcnt 0x0
	v_and_b32_e32 v14, 0xffff, v0
	v_lshrrev_b32_e32 v0, 16, v0
	s_delay_alu instid0(VALU_DEP_2) | instskip(NEXT) | instid1(VALU_DEP_2)
	v_cvt_pk_f32_fp8_e32 v[135:136], v14
	v_cvt_pk_f32_fp8_e32 v[155:156], v0
	s_delay_alu instid0(VALU_DEP_2) | instskip(NEXT) | instid1(VALU_DEP_2)
	v_dual_mul_f32 v154, s21, v135 :: v_dual_mul_f32 v153, s22, v136
	v_dual_mul_f32 v152, s21, v155 :: v_dual_mul_f32 v151, s22, v156
	s_and_saveexec_b32 s23, vcc_lo
	s_cbranch_execz .LBB231_87
; %bb.86:                               ;   in Loop: Header=BB231_38 Depth=1
	v_cmp_gt_i32_e64 s0, s7, v82
	s_wait_alu 0xf1ff
	s_delay_alu instid0(VALU_DEP_1) | instskip(SKIP_2) | instid1(VALU_DEP_1)
	v_cndmask_b32_e64 v154, 0, v154, s0
	v_cmp_gt_i32_e64 s0, s7, v84
	s_wait_alu 0xf1ff
	v_cndmask_b32_e64 v153, 0, v153, s0
	v_cmp_gt_i32_e64 s0, s7, v83
	s_wait_alu 0xf1ff
	s_delay_alu instid0(VALU_DEP_1) | instskip(SKIP_2) | instid1(VALU_DEP_1)
	v_cndmask_b32_e64 v152, 0, v152, s0
	v_cmp_gt_i32_e64 s0, s7, v85
	s_wait_alu 0xf1ff
	v_cndmask_b32_e64 v151, 0, v151, s0
.LBB231_87:                             ;   in Loop: Header=BB231_38 Depth=1
	s_wait_alu 0xfffe
	s_or_b32 exec_lo, exec_lo, s23
	global_load_b32 v0, v[9:10], off offset:3072
	s_wait_loadcnt 0x0
	v_and_b32_e32 v14, 0xffff, v0
	v_lshrrev_b32_e32 v0, 16, v0
	s_delay_alu instid0(VALU_DEP_2) | instskip(NEXT) | instid1(VALU_DEP_2)
	v_cvt_pk_f32_fp8_e32 v[135:136], v14
	v_cvt_pk_f32_fp8_e32 v[159:160], v0
	s_delay_alu instid0(VALU_DEP_2) | instskip(NEXT) | instid1(VALU_DEP_2)
	v_dual_mul_f32 v158, s21, v135 :: v_dual_mul_f32 v157, s22, v136
	v_dual_mul_f32 v156, s21, v159 :: v_dual_mul_f32 v155, s22, v160
	s_and_saveexec_b32 s23, vcc_lo
	s_cbranch_execz .LBB231_89
; %bb.88:                               ;   in Loop: Header=BB231_38 Depth=1
	v_cmp_gt_i32_e64 s0, s7, v82
	s_wait_alu 0xf1ff
	s_delay_alu instid0(VALU_DEP_1) | instskip(SKIP_2) | instid1(VALU_DEP_1)
	v_cndmask_b32_e64 v158, 0, v158, s0
	v_cmp_gt_i32_e64 s0, s7, v84
	s_wait_alu 0xf1ff
	v_cndmask_b32_e64 v157, 0, v157, s0
	v_cmp_gt_i32_e64 s0, s7, v83
	s_wait_alu 0xf1ff
	s_delay_alu instid0(VALU_DEP_1) | instskip(SKIP_2) | instid1(VALU_DEP_1)
	v_cndmask_b32_e64 v156, 0, v156, s0
	v_cmp_gt_i32_e64 s0, s7, v85
	s_wait_alu 0xf1ff
	v_cndmask_b32_e64 v155, 0, v155, s0
.LBB231_89:                             ;   in Loop: Header=BB231_38 Depth=1
	s_wait_alu 0xfffe
	s_or_b32 exec_lo, exec_lo, s23
	global_load_b32 v0, v[9:10], off offset:3200
	s_wait_loadcnt 0x0
	v_and_b32_e32 v14, 0xffff, v0
	v_lshrrev_b32_e32 v0, 16, v0
	s_delay_alu instid0(VALU_DEP_2) | instskip(NEXT) | instid1(VALU_DEP_2)
	v_cvt_pk_f32_fp8_e32 v[135:136], v14
	v_cvt_pk_f32_fp8_e32 v[163:164], v0
	s_delay_alu instid0(VALU_DEP_2) | instskip(NEXT) | instid1(VALU_DEP_2)
	v_dual_mul_f32 v162, s21, v135 :: v_dual_mul_f32 v161, s22, v136
	v_dual_mul_f32 v160, s21, v163 :: v_dual_mul_f32 v159, s22, v164
	s_and_saveexec_b32 s23, vcc_lo
	s_cbranch_execz .LBB231_91
; %bb.90:                               ;   in Loop: Header=BB231_38 Depth=1
	v_cmp_gt_i32_e64 s0, s7, v82
	s_wait_alu 0xf1ff
	s_delay_alu instid0(VALU_DEP_1) | instskip(SKIP_2) | instid1(VALU_DEP_1)
	v_cndmask_b32_e64 v162, 0, v162, s0
	v_cmp_gt_i32_e64 s0, s7, v84
	s_wait_alu 0xf1ff
	v_cndmask_b32_e64 v161, 0, v161, s0
	v_cmp_gt_i32_e64 s0, s7, v83
	s_wait_alu 0xf1ff
	s_delay_alu instid0(VALU_DEP_1) | instskip(SKIP_2) | instid1(VALU_DEP_1)
	v_cndmask_b32_e64 v160, 0, v160, s0
	v_cmp_gt_i32_e64 s0, s7, v85
	s_wait_alu 0xf1ff
	v_cndmask_b32_e64 v159, 0, v159, s0
.LBB231_91:                             ;   in Loop: Header=BB231_38 Depth=1
	s_wait_alu 0xfffe
	s_or_b32 exec_lo, exec_lo, s23
	global_load_b32 v0, v[9:10], off offset:3328
	s_wait_loadcnt 0x0
	v_and_b32_e32 v14, 0xffff, v0
	v_lshrrev_b32_e32 v0, 16, v0
	s_delay_alu instid0(VALU_DEP_2) | instskip(NEXT) | instid1(VALU_DEP_2)
	v_cvt_pk_f32_fp8_e32 v[135:136], v14
	v_cvt_pk_f32_fp8_e32 v[167:168], v0
	s_delay_alu instid0(VALU_DEP_2) | instskip(NEXT) | instid1(VALU_DEP_2)
	v_dual_mul_f32 v166, s21, v135 :: v_dual_mul_f32 v165, s22, v136
	v_dual_mul_f32 v164, s21, v167 :: v_dual_mul_f32 v163, s22, v168
	s_and_saveexec_b32 s23, vcc_lo
	s_cbranch_execz .LBB231_93
; %bb.92:                               ;   in Loop: Header=BB231_38 Depth=1
	v_cmp_gt_i32_e64 s0, s7, v82
	s_wait_alu 0xf1ff
	s_delay_alu instid0(VALU_DEP_1) | instskip(SKIP_2) | instid1(VALU_DEP_1)
	v_cndmask_b32_e64 v166, 0, v166, s0
	v_cmp_gt_i32_e64 s0, s7, v84
	s_wait_alu 0xf1ff
	v_cndmask_b32_e64 v165, 0, v165, s0
	v_cmp_gt_i32_e64 s0, s7, v83
	s_wait_alu 0xf1ff
	s_delay_alu instid0(VALU_DEP_1) | instskip(SKIP_2) | instid1(VALU_DEP_1)
	v_cndmask_b32_e64 v164, 0, v164, s0
	v_cmp_gt_i32_e64 s0, s7, v85
	s_wait_alu 0xf1ff
	v_cndmask_b32_e64 v163, 0, v163, s0
.LBB231_93:                             ;   in Loop: Header=BB231_38 Depth=1
	s_wait_alu 0xfffe
	s_or_b32 exec_lo, exec_lo, s23
	global_load_b32 v0, v[9:10], off offset:3456
	s_wait_loadcnt 0x0
	v_and_b32_e32 v14, 0xffff, v0
	v_lshrrev_b32_e32 v0, 16, v0
	s_delay_alu instid0(VALU_DEP_2) | instskip(NEXT) | instid1(VALU_DEP_2)
	v_cvt_pk_f32_fp8_e32 v[135:136], v14
	v_cvt_pk_f32_fp8_e32 v[172:173], v0
	s_delay_alu instid0(VALU_DEP_2) | instskip(NEXT) | instid1(VALU_DEP_3)
	v_mul_f32_e32 v171, s21, v135
	v_mul_f32_e32 v169, s22, v136
	s_delay_alu instid0(VALU_DEP_3)
	v_dual_mul_f32 v168, s21, v172 :: v_dual_mul_f32 v167, s22, v173
	s_and_saveexec_b32 s23, vcc_lo
	s_cbranch_execz .LBB231_95
; %bb.94:                               ;   in Loop: Header=BB231_38 Depth=1
	v_cmp_gt_i32_e64 s0, s7, v82
	s_wait_alu 0xf1ff
	s_delay_alu instid0(VALU_DEP_1) | instskip(SKIP_2) | instid1(VALU_DEP_1)
	v_cndmask_b32_e64 v171, 0, v171, s0
	v_cmp_gt_i32_e64 s0, s7, v84
	s_wait_alu 0xf1ff
	v_cndmask_b32_e64 v169, 0, v169, s0
	v_cmp_gt_i32_e64 s0, s7, v83
	s_wait_alu 0xf1ff
	s_delay_alu instid0(VALU_DEP_1) | instskip(SKIP_2) | instid1(VALU_DEP_1)
	v_cndmask_b32_e64 v168, 0, v168, s0
	v_cmp_gt_i32_e64 s0, s7, v85
	s_wait_alu 0xf1ff
	v_cndmask_b32_e64 v167, 0, v167, s0
.LBB231_95:                             ;   in Loop: Header=BB231_38 Depth=1
	s_wait_alu 0xfffe
	s_or_b32 exec_lo, exec_lo, s23
	global_load_b32 v0, v[9:10], off offset:3584
	s_wait_loadcnt 0x0
	v_and_b32_e32 v14, 0xffff, v0
	v_lshrrev_b32_e32 v0, 16, v0
	s_delay_alu instid0(VALU_DEP_2) | instskip(NEXT) | instid1(VALU_DEP_2)
	v_cvt_pk_f32_fp8_e32 v[135:136], v14
	v_cvt_pk_f32_fp8_e32 v[175:176], v0
	s_delay_alu instid0(VALU_DEP_2) | instskip(NEXT) | instid1(VALU_DEP_2)
	v_dual_mul_f32 v174, s21, v135 :: v_dual_mul_f32 v173, s22, v136
	v_mul_f32_e32 v172, s21, v175
	s_delay_alu instid0(VALU_DEP_3)
	v_mul_f32_e32 v170, s22, v176
	s_and_saveexec_b32 s23, vcc_lo
	s_cbranch_execz .LBB231_97
; %bb.96:                               ;   in Loop: Header=BB231_38 Depth=1
	v_cmp_gt_i32_e64 s0, s7, v82
	s_wait_alu 0xf1ff
	s_delay_alu instid0(VALU_DEP_1) | instskip(SKIP_2) | instid1(VALU_DEP_1)
	v_cndmask_b32_e64 v174, 0, v174, s0
	v_cmp_gt_i32_e64 s0, s7, v84
	s_wait_alu 0xf1ff
	v_cndmask_b32_e64 v173, 0, v173, s0
	v_cmp_gt_i32_e64 s0, s7, v83
	s_wait_alu 0xf1ff
	s_delay_alu instid0(VALU_DEP_1) | instskip(SKIP_2) | instid1(VALU_DEP_1)
	v_cndmask_b32_e64 v172, 0, v172, s0
	v_cmp_gt_i32_e64 s0, s7, v85
	s_wait_alu 0xf1ff
	v_cndmask_b32_e64 v170, 0, v170, s0
.LBB231_97:                             ;   in Loop: Header=BB231_38 Depth=1
	s_wait_alu 0xfffe
	s_or_b32 exec_lo, exec_lo, s23
	global_load_b32 v0, v[9:10], off offset:3712
	s_wait_loadcnt 0x0
	v_and_b32_e32 v14, 0xffff, v0
	v_lshrrev_b32_e32 v0, 16, v0
	s_delay_alu instid0(VALU_DEP_1) | instskip(NEXT) | instid1(VALU_DEP_1)
	v_cvt_pk_f32_fp8_e32 v[178:179], v0
	v_mul_f32_e32 v175, s22, v179
	s_delay_alu instid0(VALU_DEP_4) | instskip(NEXT) | instid1(VALU_DEP_3)
	v_cvt_pk_f32_fp8_e32 v[135:136], v14
	v_mul_f32_e32 v176, s21, v178
	s_delay_alu instid0(VALU_DEP_2)
	v_dual_mul_f32 v180, s21, v135 :: v_dual_mul_f32 v177, s22, v136
	s_and_saveexec_b32 s23, vcc_lo
	s_cbranch_execz .LBB231_99
; %bb.98:                               ;   in Loop: Header=BB231_38 Depth=1
	v_cmp_gt_i32_e64 s0, s7, v82
	s_wait_alu 0xf1ff
	s_delay_alu instid0(VALU_DEP_1) | instskip(SKIP_2) | instid1(VALU_DEP_1)
	v_cndmask_b32_e64 v180, 0, v180, s0
	v_cmp_gt_i32_e64 s0, s7, v84
	s_wait_alu 0xf1ff
	v_cndmask_b32_e64 v177, 0, v177, s0
	v_cmp_gt_i32_e64 s0, s7, v83
	s_wait_alu 0xf1ff
	s_delay_alu instid0(VALU_DEP_1) | instskip(SKIP_2) | instid1(VALU_DEP_1)
	v_cndmask_b32_e64 v176, 0, v176, s0
	v_cmp_gt_i32_e64 s0, s7, v85
	s_wait_alu 0xf1ff
	v_cndmask_b32_e64 v175, 0, v175, s0
.LBB231_99:                             ;   in Loop: Header=BB231_38 Depth=1
	s_wait_alu 0xfffe
	s_or_b32 exec_lo, exec_lo, s23
	global_load_b32 v0, v[9:10], off offset:3840
	s_wait_loadcnt 0x0
	v_and_b32_e32 v9, 0xffff, v0
	v_lshrrev_b32_e32 v0, 16, v0
	s_delay_alu instid0(VALU_DEP_2) | instskip(NEXT) | instid1(VALU_DEP_2)
	v_cvt_pk_f32_fp8_e32 v[9:10], v9
	v_cvt_pk_f32_fp8_e32 v[135:136], v0
	s_delay_alu instid0(VALU_DEP_2) | instskip(NEXT) | instid1(VALU_DEP_2)
	v_dual_mul_f32 v182, s21, v9 :: v_dual_mul_f32 v181, s22, v10
	v_dual_mul_f32 v179, s21, v135 :: v_dual_mul_f32 v178, s22, v136
	s_and_saveexec_b32 s23, vcc_lo
	s_cbranch_execz .LBB231_101
; %bb.100:                              ;   in Loop: Header=BB231_38 Depth=1
	v_cmp_gt_i32_e64 s0, s7, v82
	s_wait_alu 0xf1ff
	s_delay_alu instid0(VALU_DEP_1) | instskip(SKIP_2) | instid1(VALU_DEP_1)
	v_cndmask_b32_e64 v182, 0, v182, s0
	v_cmp_gt_i32_e64 s0, s7, v84
	s_wait_alu 0xf1ff
	v_cndmask_b32_e64 v181, 0, v181, s0
	v_cmp_gt_i32_e64 s0, s7, v83
	s_wait_alu 0xf1ff
	s_delay_alu instid0(VALU_DEP_1) | instskip(SKIP_2) | instid1(VALU_DEP_1)
	v_cndmask_b32_e64 v179, 0, v179, s0
	v_cmp_gt_i32_e64 s0, s7, v85
	s_wait_alu 0xf1ff
	v_cndmask_b32_e64 v178, 0, v178, s0
.LBB231_101:                            ;   in Loop: Header=BB231_38 Depth=1
	s_wait_alu 0xfffe
	s_or_b32 exec_lo, exec_lo, s23
	v_add_co_u32 v7, s0, v7, v49
	s_wait_alu 0xf1ff
	v_add_co_ci_u32_e64 v8, null, 0, v8, s0
	global_load_b32 v0, v[7:8], off
	s_wait_loadcnt 0x0
	v_and_b32_e32 v7, 0xffff, v0
	v_lshrrev_b32_e32 v0, 16, v0
	s_delay_alu instid0(VALU_DEP_2) | instskip(NEXT) | instid1(VALU_DEP_2)
	v_cvt_pk_f32_fp8_e32 v[7:8], v7
	v_cvt_pk_f32_fp8_e32 v[135:136], v0
	s_delay_alu instid0(VALU_DEP_2) | instskip(NEXT) | instid1(VALU_DEP_2)
	v_dual_mul_f32 v10, s21, v7 :: v_dual_mul_f32 v9, s22, v8
	v_dual_mul_f32 v8, s21, v135 :: v_dual_mul_f32 v7, s22, v136
	s_and_saveexec_b32 s0, vcc_lo
	s_cbranch_execz .LBB231_36
; %bb.102:                              ;   in Loop: Header=BB231_38 Depth=1
	v_cmp_gt_i32_e32 vcc_lo, s7, v82
	s_wait_alu 0xfffd
	v_cndmask_b32_e32 v10, 0, v10, vcc_lo
	v_cmp_gt_i32_e32 vcc_lo, s7, v84
	s_wait_alu 0xfffd
	v_cndmask_b32_e32 v9, 0, v9, vcc_lo
	;; [unrolled: 3-line block ×4, first 2 shown]
	s_branch .LBB231_36
.LBB231_103:
	s_or_b32 exec_lo, exec_lo, s17
.LBB231_104:
	s_wait_alu 0xfffe
	s_or_b32 exec_lo, exec_lo, s1
	ds_bpermute_b32 v0, v13, v45
	ds_bpermute_b32 v1, v13, v46
	;; [unrolled: 1-line block ×17, first 2 shown]
	scratch_load_b32 v14, off, off th:TH_LOAD_LU ; 4-byte Folded Reload
	s_mov_b32 s0, exec_lo
	s_wait_dscnt 0xf
	v_dual_add_f32 v0, v45, v0 :: v_dual_add_f32 v1, v46, v1
	s_wait_dscnt 0xd
	v_dual_add_f32 v4, v42, v4 :: v_dual_add_f32 v5, v41, v5
	s_wait_dscnt 0xc
	v_add_f32_e32 v6, v40, v6
	s_wait_dscnt 0xa
	v_dual_add_f32 v2, v44, v2 :: v_dual_add_f32 v3, v43, v3
	ds_bpermute_b32 v41, v12, v0
	ds_bpermute_b32 v42, v12, v1
	s_wait_dscnt 0xa
	v_dual_add_f32 v7, v39, v7 :: v_dual_add_f32 v8, v38, v8
	s_wait_dscnt 0x8
	v_dual_add_f32 v9, v37, v9 :: v_dual_add_f32 v10, v36, v10
	s_wait_dscnt 0x7
	v_add_f32_e32 v35, v35, v47
	ds_bpermute_b32 v36, v12, v4
	ds_bpermute_b32 v37, v12, v5
	;; [unrolled: 1-line block ×8, first 2 shown]
	s_wait_dscnt 0xe
	v_add_f32_e32 v34, v34, v48
	ds_bpermute_b32 v46, v12, v9
	ds_bpermute_b32 v48, v12, v35
	ds_bpermute_b32 v45, v13, v29
	s_wait_dscnt 0x10
	v_add_f32_e32 v33, v33, v49
	s_wait_dscnt 0xb
	v_dual_add_f32 v0, v0, v41 :: v_dual_add_f32 v41, v1, v42
	v_dual_add_f32 v32, v32, v50 :: v_dual_add_f32 v31, v31, v51
	ds_bpermute_b32 v49, v12, v34
	ds_bpermute_b32 v50, v13, v19
	s_wait_dscnt 0xb
	v_dual_add_f32 v36, v4, v36 :: v_dual_add_f32 v37, v5, v37
	s_wait_dscnt 0xa
	v_add_f32_e32 v38, v6, v38
	s_wait_dscnt 0x8
	v_dual_add_f32 v42, v2, v43 :: v_dual_add_f32 v43, v3, v44
	ds_bpermute_b32 v1, v11, v0
	ds_bpermute_b32 v2, v11, v41
	s_wait_dscnt 0x8
	v_dual_add_f32 v39, v7, v39 :: v_dual_add_f32 v40, v8, v40
	s_wait_dscnt 0x7
	v_add_f32_e32 v47, v10, v47
	ds_bpermute_b32 v6, v11, v37
	ds_bpermute_b32 v7, v11, v38
	;; [unrolled: 1-line block ×4, first 2 shown]
	s_wait_dscnt 0x9
	v_dual_add_f32 v46, v9, v46 :: v_dual_add_f32 v35, v35, v48
	ds_bpermute_b32 v8, v11, v39
	ds_bpermute_b32 v48, v11, v47
	;; [unrolled: 1-line block ×5, first 2 shown]
	v_add_f32_e32 v30, v30, v52
	ds_bpermute_b32 v52, v13, v16
	s_wait_dscnt 0xc
	v_add_f32_e32 v19, v19, v50
	s_wait_dscnt 0xa
	v_dual_add_f32 v1, v0, v1 :: v_dual_add_f32 v2, v41, v2
	ds_bpermute_b32 v0, v12, v33
	ds_bpermute_b32 v41, v13, v28
	;; [unrolled: 1-line block ×3, first 2 shown]
	s_wait_dscnt 0xb
	v_dual_add_f32 v6, v37, v6 :: v_dual_add_f32 v7, v38, v7
	s_wait_dscnt 0xa
	v_dual_add_f32 v38, v29, v45 :: v_dual_add_f32 v3, v42, v3
	ds_bpermute_b32 v42, v11, v35
	s_wait_dscnt 0xa
	v_add_f32_e32 v5, v36, v5
	ds_bpermute_b32 v36, v12, v32
	s_wait_dscnt 0xa
	v_add_f32_e32 v8, v39, v8
	s_wait_dscnt 0x9
	v_add_f32_e32 v29, v47, v48
	ds_bpermute_b32 v39, v12, v38
	s_wait_dscnt 0x9
	v_add_f32_e32 v4, v43, v44
	ds_bpermute_b32 v37, v12, v31
	ds_bpermute_b32 v44, v13, v27
	s_wait_dscnt 0xa
	v_add_f32_e32 v10, v46, v10
	ds_bpermute_b32 v45, v13, v25
	ds_bpermute_b32 v48, v13, v22
	ds_bpermute_b32 v43, v12, v30
	s_wait_dscnt 0x9
	v_dual_add_f32 v0, v33, v0 :: v_dual_add_f32 v33, v28, v41
	v_add_f32_e32 v34, v34, v49
	ds_bpermute_b32 v49, v13, v20
	s_wait_dscnt 0x9
	v_dual_add_f32 v9, v40, v9 :: v_dual_add_f32 v50, v19, v50
	s_wait_dscnt 0x8
	v_add_f32_e32 v28, v35, v42
	ds_bpermute_b32 v35, v13, v26
	ds_bpermute_b32 v42, v12, v33
	s_wait_dscnt 0x9
	v_add_f32_e32 v32, v32, v36
	ds_bpermute_b32 v36, v13, v24
	s_wait_dscnt 0x9
	v_add_f32_e32 v38, v38, v39
	;; [unrolled: 3-line block ×3, first 2 shown]
	s_wait_dscnt 0x8
	v_add_f32_e32 v27, v27, v44
	ds_bpermute_b32 v41, v11, v0
	s_wait_dscnt 0x7
	v_dual_add_f32 v25, v25, v45 :: v_dual_add_f32 v22, v22, v48
	ds_bpermute_b32 v51, v11, v38
	ds_bpermute_b32 v46, v12, v27
	s_wait_dscnt 0x8
	v_add_f32_e32 v30, v30, v43
	ds_bpermute_b32 v43, v13, v23
	ds_bpermute_b32 v40, v11, v34
	;; [unrolled: 1-line block ×4, first 2 shown]
	s_wait_dscnt 0x9
	v_add_f32_e32 v33, v33, v42
	ds_bpermute_b32 v42, v13, v17
	v_add_f32_e32 v26, v26, v35
	ds_bpermute_b32 v35, v13, v18
	ds_bpermute_b32 v13, v13, v15
	s_wait_dscnt 0xb
	v_add_f32_e32 v24, v24, v36
	ds_bpermute_b32 v36, v12, v25
	s_wait_dscnt 0xb
	v_add_f32_e32 v21, v21, v39
	ds_bpermute_b32 v39, v12, v22
	v_add_f32_e32 v16, v16, v52
	s_wait_dscnt 0x9
	v_dual_add_f32 v20, v20, v49 :: v_dual_add_f32 v27, v27, v46
	ds_bpermute_b32 v37, v11, v32
	s_wait_dscnt 0x9
	v_add_f32_e32 v23, v23, v43
	ds_bpermute_b32 v46, v12, v24
	ds_bpermute_b32 v47, v11, v30
	;; [unrolled: 1-line block ×4, first 2 shown]
	s_wait_dscnt 0x9
	v_add_f32_e32 v17, v17, v42
	ds_bpermute_b32 v45, v12, v26
	s_wait_dscnt 0x8
	v_dual_add_f32 v18, v18, v35 :: v_dual_add_f32 v13, v15, v13
	ds_bpermute_b32 v35, v12, v21
	s_wait_dscnt 0x8
	v_add_f32_e32 v25, v25, v36
	ds_bpermute_b32 v49, v12, v20
	s_wait_dscnt 0x8
	v_add_f32_e32 v39, v22, v39
	ds_bpermute_b32 v36, v12, v16
	ds_bpermute_b32 v42, v12, v18
	ds_bpermute_b32 v15, v12, v17
	ds_bpermute_b32 v12, v12, v13
	ds_bpermute_b32 v54, v11, v39
	s_wait_dscnt 0x8
	v_dual_add_f32 v24, v24, v46 :: v_dual_add_f32 v23, v23, v48
	ds_bpermute_b32 v48, v11, v25
	s_wait_dscnt 0x8
	v_add_f32_e32 v26, v26, v45
	ds_bpermute_b32 v45, v11, v27
	ds_bpermute_b32 v53, v11, v23
	s_wait_dscnt 0x9
	v_add_f32_e32 v35, v21, v35
	ds_bpermute_b32 v52, v11, v24
	s_wait_dscnt 0x9
	v_add_f32_e32 v49, v20, v49
	ds_bpermute_b32 v46, v11, v26
	s_wait_dscnt 0x9
	v_add_f32_e32 v36, v16, v36
	s_wait_dscnt 0x8
	v_add_f32_e32 v42, v18, v42
	s_wait_dscnt 0x7
	v_add_f32_e32 v58, v17, v15
	s_wait_dscnt 0x6
	v_dual_add_f32 v60, v13, v12 :: v_dual_add_f32 v13, v0, v41
	v_add_f32_e32 v17, v38, v51
	ds_bpermute_b32 v0, v11, v36
	ds_bpermute_b32 v55, v11, v35
	;; [unrolled: 1-line block ×4, first 2 shown]
	v_add_f32_e32 v12, v34, v40
	ds_bpermute_b32 v34, v11, v58
	v_dual_add_f32 v15, v31, v44 :: v_dual_add_f32 v16, v30, v47
	s_wait_dscnt 0x8
	v_add_f32_e32 v19, v27, v45
	ds_bpermute_b32 v40, v11, v60
	v_add_f32_e32 v11, v32, v37
	scratch_load_b32 v44, off, off offset:248 ; 4-byte Folded Reload
	s_wait_dscnt 0x6
	v_dual_add_f32 v21, v25, v48 :: v_dual_add_f32 v20, v26, v46
	v_add_f32_e32 v22, v24, v52
	v_dual_add_f32 v18, v33, v43 :: v_dual_add_f32 v27, v50, v57
	s_wait_dscnt 0x5
	v_dual_add_f32 v23, v23, v53 :: v_dual_add_f32 v32, v36, v0
	scratch_load_b32 v0, off, off offset:252 th:TH_LOAD_LU ; 4-byte Folded Reload
	s_wait_dscnt 0x4
	v_add_f32_e32 v25, v35, v55
	v_add_f32_e32 v24, v39, v54
	s_wait_dscnt 0x1
	v_dual_add_f32 v26, v49, v56 :: v_dual_add_f32 v31, v58, v34
	v_add_f32_e32 v30, v42, v59
	s_wait_storecnt 0x0
	s_wait_loadcnt_dscnt 0x0
	s_barrier_signal -1
	v_add_f32_e32 v33, v60, v40
	s_barrier_wait -1
	global_inv scope:SCOPE_SE
	v_lshrrev_b32_e32 v35, 3, v14
	s_delay_alu instid0(VALU_DEP_1) | instskip(SKIP_2) | instid1(VALU_DEP_2)
	v_lshl_add_u32 v34, v35, 2, 0x220
	v_and_b32_e32 v37, 0x3c7, v44
	v_lshlrev_b32_e32 v36, 9, v0
	v_cmpx_eq_u32_e32 64, v37
	s_cbranch_execz .LBB231_106
; %bb.105:
	s_delay_alu instid0(VALU_DEP_2) | instskip(NEXT) | instid1(VALU_DEP_1)
	v_add_nc_u32_e32 v0, v34, v36
	v_add_nc_u32_e32 v14, 0xfffffc00, v0
	v_add_nc_u32_e32 v37, 0xfffffc10, v0
	v_add_nc_u32_e32 v38, 0xfffffc20, v0
	v_add_nc_u32_e32 v39, 0xfffffc30, v0
	v_add_nc_u32_e32 v40, 0xfffffc40, v0
	v_add_nc_u32_e32 v41, 0xfffffc50, v0
	v_add_nc_u32_e32 v42, 0xfffffc60, v0
	v_add_nc_u32_e32 v43, 0xfffffc70, v0
	ds_store_b32 v14, v1
	ds_store_b32 v37, v2
	ds_store_b32 v38, v3
	ds_store_b32 v39, v4
	ds_store_b32 v40, v5
	ds_store_b32 v41, v6
	ds_store_b32 v42, v7
	ds_store_b32 v43, v8
	v_add_nc_u32_e32 v14, 0xfffffc80, v0
	v_add_nc_u32_e32 v37, 0xfffffc90, v0
	v_add_nc_u32_e32 v38, 0xfffffca0, v0
	v_add_nc_u32_e32 v39, 0xfffffcb0, v0
	v_add_nc_u32_e32 v40, 0xfffffcc0, v0
	v_add_nc_u32_e32 v41, 0xfffffcd0, v0
	v_add_nc_u32_e32 v42, 0xfffffce0, v0
	v_add_nc_u32_e32 v43, 0xfffffcf0, v0
	ds_store_b32 v14, v9
	ds_store_b32 v37, v10
	ds_store_b32 v38, v29
	ds_store_b32 v39, v28
	ds_store_b32 v40, v12
	ds_store_b32 v41, v13
	ds_store_b32 v42, v11
	ds_store_b32 v43, v15
	v_add_nc_u32_e32 v14, 0xfffffd00, v0
	v_add_nc_u32_e32 v37, 0xfffffd10, v0
	v_add_nc_u32_e32 v38, 0xfffffd20, v0
	v_add_nc_u32_e32 v39, 0xfffffd30, v0
	v_add_nc_u32_e32 v40, 0xfffffd40, v0
	v_add_nc_u32_e32 v41, 0xfffffd50, v0
	v_add_nc_u32_e32 v42, 0xfffffd60, v0
	v_add_nc_u32_e32 v43, 0xfffffd70, v0
	;; [unrolled: 16-line block ×3, first 2 shown]
	ds_store_b32 v14, v24
	ds_store_b32 v37, v25
	;; [unrolled: 1-line block ×8, first 2 shown]
.LBB231_106:
	s_wait_alu 0xfffe
	s_or_b32 exec_lo, exec_lo, s0
	v_lshlrev_b32_e32 v0, 2, v35
	s_mov_b32 s1, exec_lo
	v_cmp_eq_u32_e32 vcc_lo, 0, v183
	s_wait_loadcnt_dscnt 0x0
	s_barrier_signal -1
	v_add3_u32 v14, 0x220, v36, v0
	s_barrier_wait -1
	global_inv scope:SCOPE_SE
	v_cmpx_gt_u32_e32 64, v44
	s_cbranch_execz .LBB231_141
; %bb.107:
	s_and_saveexec_b32 s0, vcc_lo
	s_cbranch_execnz .LBB231_181
; %bb.108:
	s_wait_alu 0xfffe
	s_or_b32 exec_lo, exec_lo, s0
	s_and_saveexec_b32 s0, vcc_lo
	s_cbranch_execnz .LBB231_182
.LBB231_109:
	s_wait_alu 0xfffe
	s_or_b32 exec_lo, exec_lo, s0
	s_and_saveexec_b32 s0, vcc_lo
	s_cbranch_execnz .LBB231_183
.LBB231_110:
	s_wait_alu 0xfffe
	s_or_b32 exec_lo, exec_lo, s0
	s_and_saveexec_b32 s0, vcc_lo
	s_cbranch_execnz .LBB231_184
.LBB231_111:
	s_wait_alu 0xfffe
	s_or_b32 exec_lo, exec_lo, s0
	s_and_saveexec_b32 s0, vcc_lo
	s_cbranch_execnz .LBB231_185
.LBB231_112:
	s_wait_alu 0xfffe
	s_or_b32 exec_lo, exec_lo, s0
	s_and_saveexec_b32 s0, vcc_lo
	s_cbranch_execnz .LBB231_186
.LBB231_113:
	s_wait_alu 0xfffe
	s_or_b32 exec_lo, exec_lo, s0
	s_and_saveexec_b32 s0, vcc_lo
	s_cbranch_execnz .LBB231_187
.LBB231_114:
	s_wait_alu 0xfffe
	s_or_b32 exec_lo, exec_lo, s0
	s_and_saveexec_b32 s0, vcc_lo
	s_cbranch_execnz .LBB231_188
.LBB231_115:
	s_wait_alu 0xfffe
	s_or_b32 exec_lo, exec_lo, s0
	s_and_saveexec_b32 s0, vcc_lo
	s_cbranch_execnz .LBB231_189
.LBB231_116:
	s_wait_alu 0xfffe
	s_or_b32 exec_lo, exec_lo, s0
	s_and_saveexec_b32 s0, vcc_lo
	s_cbranch_execnz .LBB231_190
.LBB231_117:
	s_wait_alu 0xfffe
	s_or_b32 exec_lo, exec_lo, s0
	s_and_saveexec_b32 s0, vcc_lo
	s_cbranch_execnz .LBB231_191
.LBB231_118:
	s_wait_alu 0xfffe
	s_or_b32 exec_lo, exec_lo, s0
	s_and_saveexec_b32 s0, vcc_lo
	s_cbranch_execnz .LBB231_192
.LBB231_119:
	s_wait_alu 0xfffe
	s_or_b32 exec_lo, exec_lo, s0
	s_and_saveexec_b32 s0, vcc_lo
	s_cbranch_execnz .LBB231_193
.LBB231_120:
	s_wait_alu 0xfffe
	s_or_b32 exec_lo, exec_lo, s0
	s_and_saveexec_b32 s0, vcc_lo
	s_cbranch_execnz .LBB231_194
.LBB231_121:
	s_wait_alu 0xfffe
	s_or_b32 exec_lo, exec_lo, s0
	s_and_saveexec_b32 s0, vcc_lo
	s_cbranch_execnz .LBB231_195
.LBB231_122:
	s_wait_alu 0xfffe
	s_or_b32 exec_lo, exec_lo, s0
	s_and_saveexec_b32 s0, vcc_lo
	s_cbranch_execnz .LBB231_196
.LBB231_123:
	s_wait_alu 0xfffe
	s_or_b32 exec_lo, exec_lo, s0
	s_and_saveexec_b32 s0, vcc_lo
	s_cbranch_execnz .LBB231_197
.LBB231_124:
	s_wait_alu 0xfffe
	s_or_b32 exec_lo, exec_lo, s0
	s_and_saveexec_b32 s0, vcc_lo
	s_cbranch_execnz .LBB231_198
.LBB231_125:
	s_wait_alu 0xfffe
	s_or_b32 exec_lo, exec_lo, s0
	s_and_saveexec_b32 s0, vcc_lo
	s_cbranch_execnz .LBB231_199
.LBB231_126:
	s_wait_alu 0xfffe
	s_or_b32 exec_lo, exec_lo, s0
	s_and_saveexec_b32 s0, vcc_lo
	s_cbranch_execnz .LBB231_200
.LBB231_127:
	s_wait_alu 0xfffe
	s_or_b32 exec_lo, exec_lo, s0
	s_and_saveexec_b32 s0, vcc_lo
	s_cbranch_execnz .LBB231_201
.LBB231_128:
	s_wait_alu 0xfffe
	s_or_b32 exec_lo, exec_lo, s0
	s_and_saveexec_b32 s0, vcc_lo
	s_cbranch_execnz .LBB231_202
.LBB231_129:
	s_wait_alu 0xfffe
	s_or_b32 exec_lo, exec_lo, s0
	s_and_saveexec_b32 s0, vcc_lo
	s_cbranch_execnz .LBB231_203
.LBB231_130:
	s_wait_alu 0xfffe
	s_or_b32 exec_lo, exec_lo, s0
	s_and_saveexec_b32 s0, vcc_lo
	s_cbranch_execnz .LBB231_204
.LBB231_131:
	s_wait_alu 0xfffe
	s_or_b32 exec_lo, exec_lo, s0
	s_and_saveexec_b32 s0, vcc_lo
	s_cbranch_execnz .LBB231_205
.LBB231_132:
	s_wait_alu 0xfffe
	s_or_b32 exec_lo, exec_lo, s0
	s_and_saveexec_b32 s0, vcc_lo
	s_cbranch_execnz .LBB231_206
.LBB231_133:
	s_wait_alu 0xfffe
	s_or_b32 exec_lo, exec_lo, s0
	s_and_saveexec_b32 s0, vcc_lo
	s_cbranch_execnz .LBB231_207
.LBB231_134:
	s_wait_alu 0xfffe
	s_or_b32 exec_lo, exec_lo, s0
	s_and_saveexec_b32 s0, vcc_lo
	s_cbranch_execnz .LBB231_208
.LBB231_135:
	s_wait_alu 0xfffe
	s_or_b32 exec_lo, exec_lo, s0
	s_and_saveexec_b32 s0, vcc_lo
	s_cbranch_execnz .LBB231_209
.LBB231_136:
	s_wait_alu 0xfffe
	s_or_b32 exec_lo, exec_lo, s0
	s_and_saveexec_b32 s0, vcc_lo
	s_cbranch_execnz .LBB231_210
.LBB231_137:
	s_wait_alu 0xfffe
	s_or_b32 exec_lo, exec_lo, s0
	s_and_saveexec_b32 s0, vcc_lo
	s_cbranch_execnz .LBB231_211
.LBB231_138:
	s_wait_alu 0xfffe
	s_or_b32 exec_lo, exec_lo, s0
	s_and_saveexec_b32 s0, vcc_lo
	s_cbranch_execz .LBB231_140
.LBB231_139:
	ds_load_b32 v0, v14 offset:496
	s_wait_dscnt 0x0
	v_add_f32_e32 v33, v33, v0
.LBB231_140:
	s_wait_alu 0xfffe
	s_or_b32 exec_lo, exec_lo, s0
.LBB231_141:
	s_wait_alu 0xfffe
	s_or_b32 exec_lo, exec_lo, s1
	v_and_b32_e32 v35, 0x3e7, v44
	s_mov_b32 s1, exec_lo
	s_wait_loadcnt 0x0
	s_barrier_signal -1
	s_barrier_wait -1
	global_inv scope:SCOPE_SE
	v_cmpx_eq_u32_e32 32, v35
	s_cbranch_execz .LBB231_143
; %bb.142:
	ds_store_2addr_b32 v34, v1, v2 offset1:4
	ds_store_2addr_b32 v34, v3, v4 offset0:8 offset1:12
	ds_store_2addr_b32 v34, v5, v6 offset0:16 offset1:20
	;; [unrolled: 1-line block ×15, first 2 shown]
.LBB231_143:
	s_wait_alu 0xfffe
	s_or_b32 exec_lo, exec_lo, s1
	s_wait_loadcnt_dscnt 0x0
	s_barrier_signal -1
	s_barrier_wait -1
	global_inv scope:SCOPE_SE
	s_and_saveexec_b32 s0, s2
	s_cbranch_execz .LBB231_178
; %bb.144:
	s_and_saveexec_b32 s1, vcc_lo
	s_cbranch_execnz .LBB231_212
; %bb.145:
	s_wait_alu 0xfffe
	s_or_b32 exec_lo, exec_lo, s1
	s_and_saveexec_b32 s1, vcc_lo
	s_cbranch_execnz .LBB231_213
.LBB231_146:
	s_wait_alu 0xfffe
	s_or_b32 exec_lo, exec_lo, s1
	s_and_saveexec_b32 s1, vcc_lo
	s_cbranch_execnz .LBB231_214
.LBB231_147:
	s_wait_alu 0xfffe
	s_or_b32 exec_lo, exec_lo, s1
	s_and_saveexec_b32 s1, vcc_lo
	s_cbranch_execnz .LBB231_215
.LBB231_148:
	s_wait_alu 0xfffe
	s_or_b32 exec_lo, exec_lo, s1
	s_and_saveexec_b32 s1, vcc_lo
	s_cbranch_execnz .LBB231_216
.LBB231_149:
	s_wait_alu 0xfffe
	s_or_b32 exec_lo, exec_lo, s1
	s_and_saveexec_b32 s1, vcc_lo
	s_cbranch_execnz .LBB231_217
.LBB231_150:
	s_wait_alu 0xfffe
	s_or_b32 exec_lo, exec_lo, s1
	s_and_saveexec_b32 s1, vcc_lo
	s_cbranch_execnz .LBB231_218
.LBB231_151:
	s_wait_alu 0xfffe
	s_or_b32 exec_lo, exec_lo, s1
	s_and_saveexec_b32 s1, vcc_lo
	s_cbranch_execnz .LBB231_219
.LBB231_152:
	s_wait_alu 0xfffe
	s_or_b32 exec_lo, exec_lo, s1
	s_and_saveexec_b32 s1, vcc_lo
	s_cbranch_execnz .LBB231_220
.LBB231_153:
	s_wait_alu 0xfffe
	s_or_b32 exec_lo, exec_lo, s1
	s_and_saveexec_b32 s1, vcc_lo
	s_cbranch_execnz .LBB231_221
.LBB231_154:
	s_wait_alu 0xfffe
	s_or_b32 exec_lo, exec_lo, s1
	s_and_saveexec_b32 s1, vcc_lo
	s_cbranch_execnz .LBB231_222
.LBB231_155:
	s_wait_alu 0xfffe
	s_or_b32 exec_lo, exec_lo, s1
	s_and_saveexec_b32 s1, vcc_lo
	s_cbranch_execnz .LBB231_223
.LBB231_156:
	s_wait_alu 0xfffe
	s_or_b32 exec_lo, exec_lo, s1
	s_and_saveexec_b32 s1, vcc_lo
	s_cbranch_execnz .LBB231_224
.LBB231_157:
	s_wait_alu 0xfffe
	s_or_b32 exec_lo, exec_lo, s1
	s_and_saveexec_b32 s1, vcc_lo
	s_cbranch_execnz .LBB231_225
.LBB231_158:
	s_wait_alu 0xfffe
	s_or_b32 exec_lo, exec_lo, s1
	s_and_saveexec_b32 s1, vcc_lo
	s_cbranch_execnz .LBB231_226
.LBB231_159:
	s_wait_alu 0xfffe
	s_or_b32 exec_lo, exec_lo, s1
	s_and_saveexec_b32 s1, vcc_lo
	s_cbranch_execnz .LBB231_227
.LBB231_160:
	s_wait_alu 0xfffe
	s_or_b32 exec_lo, exec_lo, s1
	s_and_saveexec_b32 s1, vcc_lo
	s_cbranch_execnz .LBB231_228
.LBB231_161:
	s_wait_alu 0xfffe
	s_or_b32 exec_lo, exec_lo, s1
	s_and_saveexec_b32 s1, vcc_lo
	s_cbranch_execnz .LBB231_229
.LBB231_162:
	s_wait_alu 0xfffe
	s_or_b32 exec_lo, exec_lo, s1
	s_and_saveexec_b32 s1, vcc_lo
	s_cbranch_execnz .LBB231_230
.LBB231_163:
	s_wait_alu 0xfffe
	s_or_b32 exec_lo, exec_lo, s1
	s_and_saveexec_b32 s1, vcc_lo
	s_cbranch_execnz .LBB231_231
.LBB231_164:
	s_wait_alu 0xfffe
	s_or_b32 exec_lo, exec_lo, s1
	s_and_saveexec_b32 s1, vcc_lo
	s_cbranch_execnz .LBB231_232
.LBB231_165:
	s_wait_alu 0xfffe
	s_or_b32 exec_lo, exec_lo, s1
	s_and_saveexec_b32 s1, vcc_lo
	s_cbranch_execnz .LBB231_233
.LBB231_166:
	s_wait_alu 0xfffe
	s_or_b32 exec_lo, exec_lo, s1
	s_and_saveexec_b32 s1, vcc_lo
	s_cbranch_execnz .LBB231_234
.LBB231_167:
	s_wait_alu 0xfffe
	s_or_b32 exec_lo, exec_lo, s1
	s_and_saveexec_b32 s1, vcc_lo
	s_cbranch_execnz .LBB231_235
.LBB231_168:
	s_wait_alu 0xfffe
	s_or_b32 exec_lo, exec_lo, s1
	s_and_saveexec_b32 s1, vcc_lo
	s_cbranch_execnz .LBB231_236
.LBB231_169:
	s_wait_alu 0xfffe
	s_or_b32 exec_lo, exec_lo, s1
	s_and_saveexec_b32 s1, vcc_lo
	s_cbranch_execnz .LBB231_237
.LBB231_170:
	s_wait_alu 0xfffe
	s_or_b32 exec_lo, exec_lo, s1
	s_and_saveexec_b32 s1, vcc_lo
	s_cbranch_execnz .LBB231_238
.LBB231_171:
	s_wait_alu 0xfffe
	s_or_b32 exec_lo, exec_lo, s1
	s_and_saveexec_b32 s1, vcc_lo
	s_cbranch_execnz .LBB231_239
.LBB231_172:
	s_wait_alu 0xfffe
	s_or_b32 exec_lo, exec_lo, s1
	s_and_saveexec_b32 s1, vcc_lo
	s_cbranch_execnz .LBB231_240
.LBB231_173:
	s_wait_alu 0xfffe
	s_or_b32 exec_lo, exec_lo, s1
	s_and_saveexec_b32 s1, vcc_lo
	s_cbranch_execnz .LBB231_241
.LBB231_174:
	s_wait_alu 0xfffe
	s_or_b32 exec_lo, exec_lo, s1
	s_and_saveexec_b32 s1, vcc_lo
	s_cbranch_execnz .LBB231_242
.LBB231_175:
	s_wait_alu 0xfffe
	s_or_b32 exec_lo, exec_lo, s1
	s_and_saveexec_b32 s1, vcc_lo
	s_cbranch_execz .LBB231_177
.LBB231_176:
	ds_load_b32 v0, v14 offset:496
	s_wait_dscnt 0x0
	v_add_f32_e32 v33, v33, v0
.LBB231_177:
	s_wait_alu 0xfffe
	s_or_b32 exec_lo, exec_lo, s1
.LBB231_178:
	s_wait_alu 0xfffe
	s_or_b32 exec_lo, exec_lo, s0
	s_mov_b32 s7, 0
	s_wait_loadcnt 0x0
	s_barrier_signal -1
	s_barrier_wait -1
	global_inv scope:SCOPE_SE
	s_mov_b32 s0, exec_lo
	v_cmpx_eq_u32_e32 0, v35
	s_cbranch_execz .LBB231_180
; %bb.179:
	s_lshl_b32 s0, s4, 7
	s_mul_i32 s2, s15, s24
	s_wait_alu 0xfffe
	s_ashr_i32 s1, s0, 31
	s_ashr_i32 s3, s2, 31
	s_wait_alu 0xfffe
	s_lshl_b64 s[0:1], s[0:1], 2
	s_lshl_b64 s[2:3], s[2:3], 2
	s_wait_kmcnt 0x0
	s_wait_alu 0xfffe
	s_add_nc_u64 s[0:1], s[8:9], s[0:1]
	v_lshrrev_b32_e32 v0, 1, v44
	s_wait_alu 0xfffe
	s_add_nc_u64 s[0:1], s[0:1], s[2:3]
	s_wait_alu 0xfffe
	s_add_nc_u64 s[0:1], s[0:1], s[6:7]
	s_clause 0x1f
	global_store_b32 v0, v1, s[0:1]
	global_store_b32 v0, v2, s[0:1] offset:16
	global_store_b32 v0, v3, s[0:1] offset:32
	global_store_b32 v0, v4, s[0:1] offset:48
	global_store_b32 v0, v5, s[0:1] offset:64
	global_store_b32 v0, v6, s[0:1] offset:80
	global_store_b32 v0, v7, s[0:1] offset:96
	global_store_b32 v0, v8, s[0:1] offset:112
	global_store_b32 v0, v9, s[0:1] offset:128
	global_store_b32 v0, v10, s[0:1] offset:144
	global_store_b32 v0, v29, s[0:1] offset:160
	global_store_b32 v0, v28, s[0:1] offset:176
	global_store_b32 v0, v12, s[0:1] offset:192
	global_store_b32 v0, v13, s[0:1] offset:208
	global_store_b32 v0, v11, s[0:1] offset:224
	global_store_b32 v0, v15, s[0:1] offset:240
	global_store_b32 v0, v16, s[0:1] offset:256
	global_store_b32 v0, v17, s[0:1] offset:272
	global_store_b32 v0, v18, s[0:1] offset:288
	global_store_b32 v0, v19, s[0:1] offset:304
	global_store_b32 v0, v20, s[0:1] offset:320
	global_store_b32 v0, v21, s[0:1] offset:336
	global_store_b32 v0, v22, s[0:1] offset:352
	global_store_b32 v0, v23, s[0:1] offset:368
	global_store_b32 v0, v24, s[0:1] offset:384
	global_store_b32 v0, v25, s[0:1] offset:400
	global_store_b32 v0, v26, s[0:1] offset:416
	global_store_b32 v0, v27, s[0:1] offset:432
	global_store_b32 v0, v30, s[0:1] offset:448
	global_store_b32 v0, v31, s[0:1] offset:464
	global_store_b32 v0, v32, s[0:1] offset:480
	global_store_b32 v0, v33, s[0:1] offset:496
.LBB231_180:
	s_nop 0
	s_sendmsg sendmsg(MSG_DEALLOC_VGPRS)
	s_endpgm
.LBB231_181:
	ds_load_b32 v0, v14
	s_wait_dscnt 0x0
	v_add_f32_e32 v1, v1, v0
	s_wait_alu 0xfffe
	s_or_b32 exec_lo, exec_lo, s0
	s_and_saveexec_b32 s0, vcc_lo
	s_cbranch_execz .LBB231_109
.LBB231_182:
	ds_load_b32 v0, v14 offset:16
	s_wait_dscnt 0x0
	v_add_f32_e32 v2, v2, v0
	s_wait_alu 0xfffe
	s_or_b32 exec_lo, exec_lo, s0
	s_and_saveexec_b32 s0, vcc_lo
	s_cbranch_execz .LBB231_110
.LBB231_183:
	ds_load_b32 v0, v14 offset:32
	s_wait_dscnt 0x0
	v_add_f32_e32 v3, v3, v0
	s_wait_alu 0xfffe
	s_or_b32 exec_lo, exec_lo, s0
	s_and_saveexec_b32 s0, vcc_lo
	s_cbranch_execz .LBB231_111
.LBB231_184:
	ds_load_b32 v0, v14 offset:48
	s_wait_dscnt 0x0
	v_add_f32_e32 v4, v4, v0
	s_wait_alu 0xfffe
	s_or_b32 exec_lo, exec_lo, s0
	s_and_saveexec_b32 s0, vcc_lo
	s_cbranch_execz .LBB231_112
.LBB231_185:
	ds_load_b32 v0, v14 offset:64
	s_wait_dscnt 0x0
	v_add_f32_e32 v5, v5, v0
	s_wait_alu 0xfffe
	s_or_b32 exec_lo, exec_lo, s0
	s_and_saveexec_b32 s0, vcc_lo
	s_cbranch_execz .LBB231_113
.LBB231_186:
	ds_load_b32 v0, v14 offset:80
	s_wait_dscnt 0x0
	v_add_f32_e32 v6, v6, v0
	s_wait_alu 0xfffe
	s_or_b32 exec_lo, exec_lo, s0
	s_and_saveexec_b32 s0, vcc_lo
	s_cbranch_execz .LBB231_114
.LBB231_187:
	ds_load_b32 v0, v14 offset:96
	s_wait_dscnt 0x0
	v_add_f32_e32 v7, v7, v0
	s_wait_alu 0xfffe
	s_or_b32 exec_lo, exec_lo, s0
	s_and_saveexec_b32 s0, vcc_lo
	s_cbranch_execz .LBB231_115
.LBB231_188:
	ds_load_b32 v0, v14 offset:112
	s_wait_dscnt 0x0
	v_add_f32_e32 v8, v8, v0
	s_wait_alu 0xfffe
	s_or_b32 exec_lo, exec_lo, s0
	s_and_saveexec_b32 s0, vcc_lo
	s_cbranch_execz .LBB231_116
.LBB231_189:
	ds_load_b32 v0, v14 offset:128
	s_wait_dscnt 0x0
	v_add_f32_e32 v9, v9, v0
	s_wait_alu 0xfffe
	s_or_b32 exec_lo, exec_lo, s0
	s_and_saveexec_b32 s0, vcc_lo
	s_cbranch_execz .LBB231_117
.LBB231_190:
	ds_load_b32 v0, v14 offset:144
	s_wait_dscnt 0x0
	v_add_f32_e32 v10, v10, v0
	s_wait_alu 0xfffe
	s_or_b32 exec_lo, exec_lo, s0
	s_and_saveexec_b32 s0, vcc_lo
	s_cbranch_execz .LBB231_118
.LBB231_191:
	ds_load_b32 v0, v14 offset:160
	s_wait_dscnt 0x0
	v_add_f32_e32 v29, v29, v0
	s_wait_alu 0xfffe
	s_or_b32 exec_lo, exec_lo, s0
	s_and_saveexec_b32 s0, vcc_lo
	s_cbranch_execz .LBB231_119
.LBB231_192:
	ds_load_b32 v0, v14 offset:176
	s_wait_dscnt 0x0
	v_add_f32_e32 v28, v28, v0
	s_wait_alu 0xfffe
	s_or_b32 exec_lo, exec_lo, s0
	s_and_saveexec_b32 s0, vcc_lo
	s_cbranch_execz .LBB231_120
.LBB231_193:
	ds_load_b32 v0, v14 offset:192
	s_wait_dscnt 0x0
	v_add_f32_e32 v12, v12, v0
	s_wait_alu 0xfffe
	s_or_b32 exec_lo, exec_lo, s0
	s_and_saveexec_b32 s0, vcc_lo
	s_cbranch_execz .LBB231_121
.LBB231_194:
	ds_load_b32 v0, v14 offset:208
	s_wait_dscnt 0x0
	v_add_f32_e32 v13, v13, v0
	s_wait_alu 0xfffe
	s_or_b32 exec_lo, exec_lo, s0
	s_and_saveexec_b32 s0, vcc_lo
	s_cbranch_execz .LBB231_122
.LBB231_195:
	ds_load_b32 v0, v14 offset:224
	s_wait_dscnt 0x0
	v_add_f32_e32 v11, v11, v0
	s_wait_alu 0xfffe
	s_or_b32 exec_lo, exec_lo, s0
	s_and_saveexec_b32 s0, vcc_lo
	s_cbranch_execz .LBB231_123
.LBB231_196:
	ds_load_b32 v0, v14 offset:240
	s_wait_dscnt 0x0
	v_add_f32_e32 v15, v15, v0
	s_wait_alu 0xfffe
	s_or_b32 exec_lo, exec_lo, s0
	s_and_saveexec_b32 s0, vcc_lo
	s_cbranch_execz .LBB231_124
.LBB231_197:
	ds_load_b32 v0, v14 offset:256
	s_wait_dscnt 0x0
	v_add_f32_e32 v16, v16, v0
	s_wait_alu 0xfffe
	s_or_b32 exec_lo, exec_lo, s0
	s_and_saveexec_b32 s0, vcc_lo
	s_cbranch_execz .LBB231_125
.LBB231_198:
	ds_load_b32 v0, v14 offset:272
	s_wait_dscnt 0x0
	v_add_f32_e32 v17, v17, v0
	s_wait_alu 0xfffe
	s_or_b32 exec_lo, exec_lo, s0
	s_and_saveexec_b32 s0, vcc_lo
	s_cbranch_execz .LBB231_126
.LBB231_199:
	ds_load_b32 v0, v14 offset:288
	s_wait_dscnt 0x0
	v_add_f32_e32 v18, v18, v0
	s_wait_alu 0xfffe
	s_or_b32 exec_lo, exec_lo, s0
	s_and_saveexec_b32 s0, vcc_lo
	s_cbranch_execz .LBB231_127
.LBB231_200:
	ds_load_b32 v0, v14 offset:304
	s_wait_dscnt 0x0
	v_add_f32_e32 v19, v19, v0
	s_wait_alu 0xfffe
	s_or_b32 exec_lo, exec_lo, s0
	s_and_saveexec_b32 s0, vcc_lo
	s_cbranch_execz .LBB231_128
.LBB231_201:
	ds_load_b32 v0, v14 offset:320
	s_wait_dscnt 0x0
	v_add_f32_e32 v20, v20, v0
	s_wait_alu 0xfffe
	s_or_b32 exec_lo, exec_lo, s0
	s_and_saveexec_b32 s0, vcc_lo
	s_cbranch_execz .LBB231_129
.LBB231_202:
	ds_load_b32 v0, v14 offset:336
	s_wait_dscnt 0x0
	v_add_f32_e32 v21, v21, v0
	s_wait_alu 0xfffe
	s_or_b32 exec_lo, exec_lo, s0
	s_and_saveexec_b32 s0, vcc_lo
	s_cbranch_execz .LBB231_130
.LBB231_203:
	ds_load_b32 v0, v14 offset:352
	s_wait_dscnt 0x0
	v_add_f32_e32 v22, v22, v0
	s_wait_alu 0xfffe
	s_or_b32 exec_lo, exec_lo, s0
	s_and_saveexec_b32 s0, vcc_lo
	s_cbranch_execz .LBB231_131
.LBB231_204:
	ds_load_b32 v0, v14 offset:368
	s_wait_dscnt 0x0
	v_add_f32_e32 v23, v23, v0
	s_wait_alu 0xfffe
	s_or_b32 exec_lo, exec_lo, s0
	s_and_saveexec_b32 s0, vcc_lo
	s_cbranch_execz .LBB231_132
.LBB231_205:
	ds_load_b32 v0, v14 offset:384
	s_wait_dscnt 0x0
	v_add_f32_e32 v24, v24, v0
	s_wait_alu 0xfffe
	s_or_b32 exec_lo, exec_lo, s0
	s_and_saveexec_b32 s0, vcc_lo
	s_cbranch_execz .LBB231_133
.LBB231_206:
	ds_load_b32 v0, v14 offset:400
	s_wait_dscnt 0x0
	v_add_f32_e32 v25, v25, v0
	s_wait_alu 0xfffe
	s_or_b32 exec_lo, exec_lo, s0
	s_and_saveexec_b32 s0, vcc_lo
	s_cbranch_execz .LBB231_134
.LBB231_207:
	ds_load_b32 v0, v14 offset:416
	s_wait_dscnt 0x0
	v_add_f32_e32 v26, v26, v0
	s_wait_alu 0xfffe
	s_or_b32 exec_lo, exec_lo, s0
	s_and_saveexec_b32 s0, vcc_lo
	s_cbranch_execz .LBB231_135
.LBB231_208:
	ds_load_b32 v0, v14 offset:432
	s_wait_dscnt 0x0
	v_add_f32_e32 v27, v27, v0
	s_wait_alu 0xfffe
	s_or_b32 exec_lo, exec_lo, s0
	s_and_saveexec_b32 s0, vcc_lo
	s_cbranch_execz .LBB231_136
.LBB231_209:
	ds_load_b32 v0, v14 offset:448
	s_wait_dscnt 0x0
	v_add_f32_e32 v30, v30, v0
	s_wait_alu 0xfffe
	s_or_b32 exec_lo, exec_lo, s0
	s_and_saveexec_b32 s0, vcc_lo
	s_cbranch_execz .LBB231_137
.LBB231_210:
	ds_load_b32 v0, v14 offset:464
	s_wait_dscnt 0x0
	v_add_f32_e32 v31, v31, v0
	s_wait_alu 0xfffe
	s_or_b32 exec_lo, exec_lo, s0
	s_and_saveexec_b32 s0, vcc_lo
	s_cbranch_execz .LBB231_138
.LBB231_211:
	ds_load_b32 v0, v14 offset:480
	s_wait_dscnt 0x0
	v_add_f32_e32 v32, v32, v0
	s_wait_alu 0xfffe
	s_or_b32 exec_lo, exec_lo, s0
	s_and_saveexec_b32 s0, vcc_lo
	s_cbranch_execnz .LBB231_139
	s_branch .LBB231_140
.LBB231_212:
	ds_load_b32 v0, v14
	s_wait_dscnt 0x0
	v_add_f32_e32 v1, v1, v0
	s_wait_alu 0xfffe
	s_or_b32 exec_lo, exec_lo, s1
	s_and_saveexec_b32 s1, vcc_lo
	s_cbranch_execz .LBB231_146
.LBB231_213:
	ds_load_b32 v0, v14 offset:16
	s_wait_dscnt 0x0
	v_add_f32_e32 v2, v2, v0
	s_wait_alu 0xfffe
	s_or_b32 exec_lo, exec_lo, s1
	s_and_saveexec_b32 s1, vcc_lo
	s_cbranch_execz .LBB231_147
.LBB231_214:
	ds_load_b32 v0, v14 offset:32
	s_wait_dscnt 0x0
	v_add_f32_e32 v3, v3, v0
	s_wait_alu 0xfffe
	s_or_b32 exec_lo, exec_lo, s1
	s_and_saveexec_b32 s1, vcc_lo
	s_cbranch_execz .LBB231_148
.LBB231_215:
	ds_load_b32 v0, v14 offset:48
	s_wait_dscnt 0x0
	v_add_f32_e32 v4, v4, v0
	s_wait_alu 0xfffe
	s_or_b32 exec_lo, exec_lo, s1
	s_and_saveexec_b32 s1, vcc_lo
	s_cbranch_execz .LBB231_149
.LBB231_216:
	ds_load_b32 v0, v14 offset:64
	s_wait_dscnt 0x0
	v_add_f32_e32 v5, v5, v0
	s_wait_alu 0xfffe
	s_or_b32 exec_lo, exec_lo, s1
	s_and_saveexec_b32 s1, vcc_lo
	s_cbranch_execz .LBB231_150
.LBB231_217:
	ds_load_b32 v0, v14 offset:80
	s_wait_dscnt 0x0
	v_add_f32_e32 v6, v6, v0
	s_wait_alu 0xfffe
	s_or_b32 exec_lo, exec_lo, s1
	s_and_saveexec_b32 s1, vcc_lo
	s_cbranch_execz .LBB231_151
.LBB231_218:
	ds_load_b32 v0, v14 offset:96
	s_wait_dscnt 0x0
	v_add_f32_e32 v7, v7, v0
	s_wait_alu 0xfffe
	s_or_b32 exec_lo, exec_lo, s1
	s_and_saveexec_b32 s1, vcc_lo
	s_cbranch_execz .LBB231_152
.LBB231_219:
	ds_load_b32 v0, v14 offset:112
	s_wait_dscnt 0x0
	v_add_f32_e32 v8, v8, v0
	s_wait_alu 0xfffe
	s_or_b32 exec_lo, exec_lo, s1
	s_and_saveexec_b32 s1, vcc_lo
	s_cbranch_execz .LBB231_153
.LBB231_220:
	ds_load_b32 v0, v14 offset:128
	s_wait_dscnt 0x0
	v_add_f32_e32 v9, v9, v0
	s_wait_alu 0xfffe
	s_or_b32 exec_lo, exec_lo, s1
	s_and_saveexec_b32 s1, vcc_lo
	s_cbranch_execz .LBB231_154
.LBB231_221:
	ds_load_b32 v0, v14 offset:144
	s_wait_dscnt 0x0
	v_add_f32_e32 v10, v10, v0
	s_wait_alu 0xfffe
	s_or_b32 exec_lo, exec_lo, s1
	s_and_saveexec_b32 s1, vcc_lo
	s_cbranch_execz .LBB231_155
.LBB231_222:
	ds_load_b32 v0, v14 offset:160
	s_wait_dscnt 0x0
	v_add_f32_e32 v29, v29, v0
	s_wait_alu 0xfffe
	s_or_b32 exec_lo, exec_lo, s1
	s_and_saveexec_b32 s1, vcc_lo
	s_cbranch_execz .LBB231_156
.LBB231_223:
	ds_load_b32 v0, v14 offset:176
	s_wait_dscnt 0x0
	v_add_f32_e32 v28, v28, v0
	s_wait_alu 0xfffe
	s_or_b32 exec_lo, exec_lo, s1
	s_and_saveexec_b32 s1, vcc_lo
	s_cbranch_execz .LBB231_157
.LBB231_224:
	ds_load_b32 v0, v14 offset:192
	s_wait_dscnt 0x0
	v_add_f32_e32 v12, v12, v0
	s_wait_alu 0xfffe
	s_or_b32 exec_lo, exec_lo, s1
	s_and_saveexec_b32 s1, vcc_lo
	s_cbranch_execz .LBB231_158
.LBB231_225:
	ds_load_b32 v0, v14 offset:208
	s_wait_dscnt 0x0
	v_add_f32_e32 v13, v13, v0
	s_wait_alu 0xfffe
	s_or_b32 exec_lo, exec_lo, s1
	s_and_saveexec_b32 s1, vcc_lo
	s_cbranch_execz .LBB231_159
.LBB231_226:
	ds_load_b32 v0, v14 offset:224
	s_wait_dscnt 0x0
	v_add_f32_e32 v11, v11, v0
	s_wait_alu 0xfffe
	s_or_b32 exec_lo, exec_lo, s1
	s_and_saveexec_b32 s1, vcc_lo
	s_cbranch_execz .LBB231_160
.LBB231_227:
	ds_load_b32 v0, v14 offset:240
	s_wait_dscnt 0x0
	v_add_f32_e32 v15, v15, v0
	s_wait_alu 0xfffe
	s_or_b32 exec_lo, exec_lo, s1
	s_and_saveexec_b32 s1, vcc_lo
	s_cbranch_execz .LBB231_161
.LBB231_228:
	ds_load_b32 v0, v14 offset:256
	s_wait_dscnt 0x0
	v_add_f32_e32 v16, v16, v0
	s_wait_alu 0xfffe
	s_or_b32 exec_lo, exec_lo, s1
	s_and_saveexec_b32 s1, vcc_lo
	s_cbranch_execz .LBB231_162
.LBB231_229:
	ds_load_b32 v0, v14 offset:272
	s_wait_dscnt 0x0
	v_add_f32_e32 v17, v17, v0
	s_wait_alu 0xfffe
	s_or_b32 exec_lo, exec_lo, s1
	s_and_saveexec_b32 s1, vcc_lo
	s_cbranch_execz .LBB231_163
.LBB231_230:
	ds_load_b32 v0, v14 offset:288
	s_wait_dscnt 0x0
	v_add_f32_e32 v18, v18, v0
	s_wait_alu 0xfffe
	s_or_b32 exec_lo, exec_lo, s1
	s_and_saveexec_b32 s1, vcc_lo
	s_cbranch_execz .LBB231_164
.LBB231_231:
	ds_load_b32 v0, v14 offset:304
	s_wait_dscnt 0x0
	v_add_f32_e32 v19, v19, v0
	s_wait_alu 0xfffe
	s_or_b32 exec_lo, exec_lo, s1
	s_and_saveexec_b32 s1, vcc_lo
	s_cbranch_execz .LBB231_165
.LBB231_232:
	ds_load_b32 v0, v14 offset:320
	s_wait_dscnt 0x0
	v_add_f32_e32 v20, v20, v0
	s_wait_alu 0xfffe
	s_or_b32 exec_lo, exec_lo, s1
	s_and_saveexec_b32 s1, vcc_lo
	s_cbranch_execz .LBB231_166
.LBB231_233:
	ds_load_b32 v0, v14 offset:336
	s_wait_dscnt 0x0
	v_add_f32_e32 v21, v21, v0
	s_wait_alu 0xfffe
	s_or_b32 exec_lo, exec_lo, s1
	s_and_saveexec_b32 s1, vcc_lo
	s_cbranch_execz .LBB231_167
.LBB231_234:
	ds_load_b32 v0, v14 offset:352
	s_wait_dscnt 0x0
	v_add_f32_e32 v22, v22, v0
	s_wait_alu 0xfffe
	s_or_b32 exec_lo, exec_lo, s1
	s_and_saveexec_b32 s1, vcc_lo
	s_cbranch_execz .LBB231_168
.LBB231_235:
	ds_load_b32 v0, v14 offset:368
	s_wait_dscnt 0x0
	v_add_f32_e32 v23, v23, v0
	s_wait_alu 0xfffe
	s_or_b32 exec_lo, exec_lo, s1
	s_and_saveexec_b32 s1, vcc_lo
	s_cbranch_execz .LBB231_169
.LBB231_236:
	ds_load_b32 v0, v14 offset:384
	s_wait_dscnt 0x0
	v_add_f32_e32 v24, v24, v0
	s_wait_alu 0xfffe
	s_or_b32 exec_lo, exec_lo, s1
	s_and_saveexec_b32 s1, vcc_lo
	s_cbranch_execz .LBB231_170
.LBB231_237:
	ds_load_b32 v0, v14 offset:400
	s_wait_dscnt 0x0
	v_add_f32_e32 v25, v25, v0
	s_wait_alu 0xfffe
	s_or_b32 exec_lo, exec_lo, s1
	s_and_saveexec_b32 s1, vcc_lo
	s_cbranch_execz .LBB231_171
.LBB231_238:
	ds_load_b32 v0, v14 offset:416
	s_wait_dscnt 0x0
	v_add_f32_e32 v26, v26, v0
	s_wait_alu 0xfffe
	s_or_b32 exec_lo, exec_lo, s1
	s_and_saveexec_b32 s1, vcc_lo
	s_cbranch_execz .LBB231_172
.LBB231_239:
	ds_load_b32 v0, v14 offset:432
	s_wait_dscnt 0x0
	v_add_f32_e32 v27, v27, v0
	s_wait_alu 0xfffe
	s_or_b32 exec_lo, exec_lo, s1
	s_and_saveexec_b32 s1, vcc_lo
	s_cbranch_execz .LBB231_173
.LBB231_240:
	ds_load_b32 v0, v14 offset:448
	s_wait_dscnt 0x0
	v_add_f32_e32 v30, v30, v0
	s_wait_alu 0xfffe
	s_or_b32 exec_lo, exec_lo, s1
	s_and_saveexec_b32 s1, vcc_lo
	s_cbranch_execz .LBB231_174
.LBB231_241:
	ds_load_b32 v0, v14 offset:464
	s_wait_dscnt 0x0
	v_add_f32_e32 v31, v31, v0
	s_wait_alu 0xfffe
	s_or_b32 exec_lo, exec_lo, s1
	s_and_saveexec_b32 s1, vcc_lo
	s_cbranch_execz .LBB231_175
.LBB231_242:
	ds_load_b32 v0, v14 offset:480
	s_wait_dscnt 0x0
	v_add_f32_e32 v32, v32, v0
	s_wait_alu 0xfffe
	s_or_b32 exec_lo, exec_lo, s1
	s_and_saveexec_b32 s1, vcc_lo
	s_cbranch_execnz .LBB231_176
	s_branch .LBB231_177
	.section	.rodata,"a",@progbits
	.p2align	6, 0x0
	.amdhsa_kernel _ZN4vllm25paged_attention_v2_kernelIfhLi128ELi32ELi128ELNS_18Fp8KVCacheDataTypeE1ELb1ELi512EEEvPfS2_PT_PKS3_PKT0_S9_ifPKiSB_iPKfiiiSD_SD_iiiii
		.amdhsa_group_segment_fixed_size 544
		.amdhsa_private_segment_fixed_size 264
		.amdhsa_kernarg_size 400
		.amdhsa_user_sgpr_count 2
		.amdhsa_user_sgpr_dispatch_ptr 0
		.amdhsa_user_sgpr_queue_ptr 0
		.amdhsa_user_sgpr_kernarg_segment_ptr 1
		.amdhsa_user_sgpr_dispatch_id 0
		.amdhsa_user_sgpr_private_segment_size 0
		.amdhsa_wavefront_size32 1
		.amdhsa_uses_dynamic_stack 0
		.amdhsa_enable_private_segment 1
		.amdhsa_system_sgpr_workgroup_id_x 1
		.amdhsa_system_sgpr_workgroup_id_y 1
		.amdhsa_system_sgpr_workgroup_id_z 1
		.amdhsa_system_sgpr_workgroup_info 0
		.amdhsa_system_vgpr_workitem_id 0
		.amdhsa_next_free_vgpr 192
		.amdhsa_next_free_sgpr 44
		.amdhsa_reserve_vcc 1
		.amdhsa_float_round_mode_32 0
		.amdhsa_float_round_mode_16_64 0
		.amdhsa_float_denorm_mode_32 3
		.amdhsa_float_denorm_mode_16_64 3
		.amdhsa_fp16_overflow 0
		.amdhsa_workgroup_processor_mode 1
		.amdhsa_memory_ordered 1
		.amdhsa_forward_progress 1
		.amdhsa_inst_pref_size 147
		.amdhsa_round_robin_scheduling 0
		.amdhsa_exception_fp_ieee_invalid_op 0
		.amdhsa_exception_fp_denorm_src 0
		.amdhsa_exception_fp_ieee_div_zero 0
		.amdhsa_exception_fp_ieee_overflow 0
		.amdhsa_exception_fp_ieee_underflow 0
		.amdhsa_exception_fp_ieee_inexact 0
		.amdhsa_exception_int_div_zero 0
	.end_amdhsa_kernel
	.section	.text._ZN4vllm25paged_attention_v2_kernelIfhLi128ELi32ELi128ELNS_18Fp8KVCacheDataTypeE1ELb1ELi512EEEvPfS2_PT_PKS3_PKT0_S9_ifPKiSB_iPKfiiiSD_SD_iiiii,"axG",@progbits,_ZN4vllm25paged_attention_v2_kernelIfhLi128ELi32ELi128ELNS_18Fp8KVCacheDataTypeE1ELb1ELi512EEEvPfS2_PT_PKS3_PKT0_S9_ifPKiSB_iPKfiiiSD_SD_iiiii,comdat
.Lfunc_end231:
	.size	_ZN4vllm25paged_attention_v2_kernelIfhLi128ELi32ELi128ELNS_18Fp8KVCacheDataTypeE1ELb1ELi512EEEvPfS2_PT_PKS3_PKT0_S9_ifPKiSB_iPKfiiiSD_SD_iiiii, .Lfunc_end231-_ZN4vllm25paged_attention_v2_kernelIfhLi128ELi32ELi128ELNS_18Fp8KVCacheDataTypeE1ELb1ELi512EEEvPfS2_PT_PKS3_PKT0_S9_ifPKiSB_iPKfiiiSD_SD_iiiii
                                        ; -- End function
	.set _ZN4vllm25paged_attention_v2_kernelIfhLi128ELi32ELi128ELNS_18Fp8KVCacheDataTypeE1ELb1ELi512EEEvPfS2_PT_PKS3_PKT0_S9_ifPKiSB_iPKfiiiSD_SD_iiiii.num_vgpr, 192
	.set _ZN4vllm25paged_attention_v2_kernelIfhLi128ELi32ELi128ELNS_18Fp8KVCacheDataTypeE1ELb1ELi512EEEvPfS2_PT_PKS3_PKT0_S9_ifPKiSB_iPKfiiiSD_SD_iiiii.num_agpr, 0
	.set _ZN4vllm25paged_attention_v2_kernelIfhLi128ELi32ELi128ELNS_18Fp8KVCacheDataTypeE1ELb1ELi512EEEvPfS2_PT_PKS3_PKT0_S9_ifPKiSB_iPKfiiiSD_SD_iiiii.numbered_sgpr, 44
	.set _ZN4vllm25paged_attention_v2_kernelIfhLi128ELi32ELi128ELNS_18Fp8KVCacheDataTypeE1ELb1ELi512EEEvPfS2_PT_PKS3_PKT0_S9_ifPKiSB_iPKfiiiSD_SD_iiiii.num_named_barrier, 0
	.set _ZN4vllm25paged_attention_v2_kernelIfhLi128ELi32ELi128ELNS_18Fp8KVCacheDataTypeE1ELb1ELi512EEEvPfS2_PT_PKS3_PKT0_S9_ifPKiSB_iPKfiiiSD_SD_iiiii.private_seg_size, 264
	.set _ZN4vllm25paged_attention_v2_kernelIfhLi128ELi32ELi128ELNS_18Fp8KVCacheDataTypeE1ELb1ELi512EEEvPfS2_PT_PKS3_PKT0_S9_ifPKiSB_iPKfiiiSD_SD_iiiii.uses_vcc, 1
	.set _ZN4vllm25paged_attention_v2_kernelIfhLi128ELi32ELi128ELNS_18Fp8KVCacheDataTypeE1ELb1ELi512EEEvPfS2_PT_PKS3_PKT0_S9_ifPKiSB_iPKfiiiSD_SD_iiiii.uses_flat_scratch, 1
	.set _ZN4vllm25paged_attention_v2_kernelIfhLi128ELi32ELi128ELNS_18Fp8KVCacheDataTypeE1ELb1ELi512EEEvPfS2_PT_PKS3_PKT0_S9_ifPKiSB_iPKfiiiSD_SD_iiiii.has_dyn_sized_stack, 0
	.set _ZN4vllm25paged_attention_v2_kernelIfhLi128ELi32ELi128ELNS_18Fp8KVCacheDataTypeE1ELb1ELi512EEEvPfS2_PT_PKS3_PKT0_S9_ifPKiSB_iPKfiiiSD_SD_iiiii.has_recursion, 0
	.set _ZN4vllm25paged_attention_v2_kernelIfhLi128ELi32ELi128ELNS_18Fp8KVCacheDataTypeE1ELb1ELi512EEEvPfS2_PT_PKS3_PKT0_S9_ifPKiSB_iPKfiiiSD_SD_iiiii.has_indirect_call, 0
	.section	.AMDGPU.csdata,"",@progbits
; Kernel info:
; codeLenInByte = 18780
; TotalNumSgprs: 46
; NumVgprs: 192
; ScratchSize: 264
; MemoryBound: 0
; FloatMode: 240
; IeeeMode: 1
; LDSByteSize: 544 bytes/workgroup (compile time only)
; SGPRBlocks: 0
; VGPRBlocks: 23
; NumSGPRsForWavesPerEU: 46
; NumVGPRsForWavesPerEU: 192
; Occupancy: 8
; WaveLimiterHint : 1
; COMPUTE_PGM_RSRC2:SCRATCH_EN: 1
; COMPUTE_PGM_RSRC2:USER_SGPR: 2
; COMPUTE_PGM_RSRC2:TRAP_HANDLER: 0
; COMPUTE_PGM_RSRC2:TGID_X_EN: 1
; COMPUTE_PGM_RSRC2:TGID_Y_EN: 1
; COMPUTE_PGM_RSRC2:TGID_Z_EN: 1
; COMPUTE_PGM_RSRC2:TIDIG_COMP_CNT: 0
	.section	.text._ZN4vllm25paged_attention_v2_kernelIfhLi192ELi32ELi128ELNS_18Fp8KVCacheDataTypeE1ELb1ELi512EEEvPfS2_PT_PKS3_PKT0_S9_ifPKiSB_iPKfiiiSD_SD_iiiii,"axG",@progbits,_ZN4vllm25paged_attention_v2_kernelIfhLi192ELi32ELi128ELNS_18Fp8KVCacheDataTypeE1ELb1ELi512EEEvPfS2_PT_PKS3_PKT0_S9_ifPKiSB_iPKfiiiSD_SD_iiiii,comdat
	.protected	_ZN4vllm25paged_attention_v2_kernelIfhLi192ELi32ELi128ELNS_18Fp8KVCacheDataTypeE1ELb1ELi512EEEvPfS2_PT_PKS3_PKT0_S9_ifPKiSB_iPKfiiiSD_SD_iiiii ; -- Begin function _ZN4vllm25paged_attention_v2_kernelIfhLi192ELi32ELi128ELNS_18Fp8KVCacheDataTypeE1ELb1ELi512EEEvPfS2_PT_PKS3_PKT0_S9_ifPKiSB_iPKfiiiSD_SD_iiiii
	.globl	_ZN4vllm25paged_attention_v2_kernelIfhLi192ELi32ELi128ELNS_18Fp8KVCacheDataTypeE1ELb1ELi512EEEvPfS2_PT_PKS3_PKT0_S9_ifPKiSB_iPKfiiiSD_SD_iiiii
	.p2align	8
	.type	_ZN4vllm25paged_attention_v2_kernelIfhLi192ELi32ELi128ELNS_18Fp8KVCacheDataTypeE1ELb1ELi512EEEvPfS2_PT_PKS3_PKT0_S9_ifPKiSB_iPKfiiiSD_SD_iiiii,@function
_ZN4vllm25paged_attention_v2_kernelIfhLi192ELi32ELi128ELNS_18Fp8KVCacheDataTypeE1ELb1ELi512EEEvPfS2_PT_PKS3_PKT0_S9_ifPKiSB_iPKfiiiSD_SD_iiiii: ; @_ZN4vllm25paged_attention_v2_kernelIfhLi192ELi32ELi128ELNS_18Fp8KVCacheDataTypeE1ELb1ELi512EEEvPfS2_PT_PKS3_PKT0_S9_ifPKiSB_iPKfiiiSD_SD_iiiii
; %bb.0:
	s_load_b64 s[2:3], s[0:1], 0x40
	s_and_b32 s19, ttmp7, 0xffff
	s_lshr_b32 s33, ttmp7, 16
	s_lshl_b32 s4, s19, 2
	s_lshl_b32 s36, s33, 9
	s_wait_kmcnt 0x0
	s_load_b32 s34, s[2:3], s4 offset:0x0
	s_wait_kmcnt 0x0
	s_cmp_ge_i32 s36, s34
	s_cbranch_scc1 .LBB232_245
; %bb.1:
	s_clause 0x1
	s_load_b32 s37, s[0:1], 0x90
	s_load_b64 s[12:13], s[0:1], 0x30
	s_wait_kmcnt 0x0
	s_abs_i32 s5, s37
	s_abs_i32 s2, s12
	s_delay_alu instid0(SALU_CYCLE_1) | instskip(SKIP_1) | instid1(SALU_CYCLE_2)
	s_cvt_f32_u32 s3, s2
	s_sub_co_i32 s4, 0, s2
	v_rcp_iflag_f32_e32 v1, s3
	s_delay_alu instid0(TRANS32_DEP_1) | instskip(SKIP_2) | instid1(SALU_CYCLE_2)
	v_readfirstlane_b32 s3, v1
	s_mul_f32 s3, s3, 0x4f7ffffe
	s_wait_alu 0xfffe
	s_cvt_u32_f32 s3, s3
	s_wait_alu 0xfffe
	s_delay_alu instid0(SALU_CYCLE_2) | instskip(NEXT) | instid1(SALU_CYCLE_1)
	s_mul_i32 s4, s4, s3
	s_mul_hi_u32 s4, s3, s4
	s_delay_alu instid0(SALU_CYCLE_1)
	s_add_co_i32 s3, s3, s4
	s_xor_b32 s4, s37, s12
	s_wait_alu 0xfffe
	s_mul_hi_u32 s3, s5, s3
	s_ashr_i32 s4, s4, 31
	s_wait_alu 0xfffe
	s_mul_i32 s6, s3, s2
	s_delay_alu instid0(SALU_CYCLE_1)
	s_sub_co_i32 s5, s5, s6
	s_add_co_i32 s6, s3, 1
	s_sub_co_i32 s7, s5, s2
	s_cmp_ge_u32 s5, s2
	s_cselect_b32 s3, s6, s3
	s_cselect_b32 s5, s7, s5
	s_wait_alu 0xfffe
	s_add_co_i32 s6, s3, 1
	s_cmp_ge_u32 s5, s2
	s_cselect_b32 s2, s6, s3
	s_load_b64 s[6:7], s[0:1], 0x50
	s_xor_b32 s2, s2, s4
	s_mov_b32 s3, 0
	s_wait_alu 0xfffe
	s_sub_co_i32 s11, s2, s4
	s_mov_b32 s30, s3
	s_abs_i32 s10, s11
	s_delay_alu instid0(SALU_CYCLE_1) | instskip(SKIP_1) | instid1(SALU_CYCLE_2)
	s_cvt_f32_u32 s2, s10
	s_wait_alu 0xfffe
	v_rcp_iflag_f32_e32 v1, s2
	s_delay_alu instid0(TRANS32_DEP_1) | instskip(SKIP_2) | instid1(SALU_CYCLE_2)
	v_readfirstlane_b32 s2, v1
	s_mul_f32 s2, s2, 0x4f7ffffe
	s_wait_alu 0xfffe
	s_cvt_u32_f32 s4, s2
	s_sub_co_i32 s2, 0, s10
	s_wait_alu 0xfffe
	s_delay_alu instid0(SALU_CYCLE_1)
	s_mul_i32 s2, s2, s4
	s_wait_alu 0xfffe
	s_mul_hi_u32 s5, s4, s2
	s_abs_i32 s2, ttmp9
	s_add_co_i32 s4, s4, s5
	s_mov_b32 s5, s3
	s_wait_kmcnt 0x0
	s_cmp_eq_u64 s[6:7], 0
	s_cbranch_scc1 .LBB232_3
; %bb.2:
	s_mov_b32 s8, ttmp9
	s_ashr_i32 s9, ttmp9, 31
	s_delay_alu instid0(SALU_CYCLE_1) | instskip(NEXT) | instid1(SALU_CYCLE_1)
	s_lshl_b64 s[8:9], s[8:9], 2
	s_add_nc_u64 s[6:7], s[6:7], s[8:9]
	s_load_b32 s30, s[6:7], 0x0
.LBB232_3:
	s_load_b96 s[16:18], s[0:1], 0x58
	s_mul_u64 s[8:9], s[2:3], s[4:5]
	s_ashr_i32 s3, ttmp9, 31
	s_ashr_i32 s8, s11, 31
	s_mul_i32 s20, ttmp9, 0xc0
	s_mov_b32 s4, exec_lo
	v_cmpx_gt_u32_e32 48, v0
	s_cbranch_execz .LBB232_5
; %bb.4:
	s_load_b64 s[6:7], s[0:1], 0x18
	s_wait_kmcnt 0x0
	s_mul_i32 s14, s16, s19
	s_ashr_i32 s21, s20, 31
	s_ashr_i32 s15, s14, 31
	v_lshlrev_b32_e32 v4, 4, v0
	s_lshl_b64 s[14:15], s[14:15], 2
	s_delay_alu instid0(SALU_CYCLE_1) | instskip(SKIP_1) | instid1(SALU_CYCLE_1)
	s_add_nc_u64 s[6:7], s[6:7], s[14:15]
	s_lshl_b64 s[14:15], s[20:21], 2
	s_add_nc_u64 s[6:7], s[6:7], s[14:15]
	global_load_b128 v[5:8], v4, s[6:7]
	s_wait_loadcnt 0x0
	ds_store_b128 v4, v[5:8]
.LBB232_5:
	s_or_b32 exec_lo, exec_lo, s4
	s_load_b128 s[4:7], s[0:1], 0x78
	s_mul_i32 s11, s9, s10
	s_xor_b32 s3, s3, s8
	s_sub_co_i32 s2, s2, s11
	s_add_co_i32 s8, s9, 1
	s_wait_alu 0xfffe
	s_sub_co_i32 s11, s2, s10
	s_cmp_ge_u32 s2, s10
                                        ; implicit-def: $sgpr21
	s_cselect_b32 s8, s8, s9
	s_cselect_b32 s2, s11, s2
	s_add_co_i32 s9, s8, 1
	s_wait_alu 0xfffe
	s_cmp_ge_u32 s2, s10
	s_mov_b32 s10, -1
	s_cselect_b32 s2, s9, s8
	s_load_b32 s8, s[0:1], 0x88
	s_xor_b32 s2, s2, s3
	s_wait_dscnt 0x0
	s_wait_alu 0xfffe
	s_sub_co_i32 s28, s2, s3
	s_barrier_signal -1
	s_barrier_wait -1
	s_wait_kmcnt 0x0
	s_abs_i32 s16, s7
	global_inv scope:SCOPE_SE
	s_cvt_f32_u32 s9, s16
	s_delay_alu instid0(SALU_CYCLE_3) | instskip(NEXT) | instid1(TRANS32_DEP_1)
	v_rcp_iflag_f32_e32 v1, s9
	v_readfirstlane_b32 s9, v1
	s_mul_f32 s2, s9, 0x4f7ffffe
	s_add_co_i32 s9, s34, -1
	s_wait_alu 0xfffe
	s_delay_alu instid0(SALU_CYCLE_1) | instskip(SKIP_2) | instid1(SALU_CYCLE_1)
	s_cvt_u32_f32 s11, s2
	s_sub_co_i32 s2, 0, s16
	s_wait_alu 0xfffe
	s_mul_i32 s3, s2, s11
	s_abs_i32 s2, s9
	s_wait_alu 0xfffe
	s_mul_hi_u32 s14, s11, s3
	s_mov_b32 s3, 0
	s_add_co_i32 s22, s11, s14
	s_cmp_lt_i32 s8, 0
	s_wait_alu 0xfffe
	s_mov_b32 s23, s3
	s_cbranch_scc0 .LBB232_7
; %bb.6:
	s_mul_i32 s10, s4, s12
	s_delay_alu instid0(SALU_CYCLE_1) | instskip(NEXT) | instid1(SALU_CYCLE_1)
	s_add_co_i32 s10, s28, s10
	s_mul_i32 s10, s10, s8
	s_delay_alu instid0(SALU_CYCLE_1)
	s_sub_co_i32 s21, 1, s10
	s_mov_b32 s10, s3
.LBB232_7:
	s_mul_u64 s[14:15], s[2:3], s[22:23]
	s_ashr_i32 s3, s9, 31
	s_and_not1_b32 vcc_lo, exec_lo, s10
	s_ashr_i32 s23, s7, 31
	s_cbranch_vccnz .LBB232_9
; %bb.8:
	s_mul_i32 s4, s37, s4
	s_delay_alu instid0(SALU_CYCLE_1) | instskip(NEXT) | instid1(SALU_CYCLE_1)
	s_add_co_i32 s4, s4, ttmp9
	s_mul_i32 s4, s4, s8
	s_delay_alu instid0(SALU_CYCLE_1)
	s_add_co_i32 s21, s4, 1
.LBB232_9:
	s_clause 0x1
	s_load_b32 s4, s[0:1], 0x48
	s_load_b64 s[24:25], s[0:1], 0x38
	s_mul_i32 s7, s15, s16
	s_xor_b32 s3, s3, s23
	s_sub_co_i32 s2, s2, s7
	s_add_co_i32 s12, s15, 1
	s_clause 0x1
	s_load_b32 s7, s[0:1], 0x98
	s_load_b128 s[8:11], s[0:1], 0x68
	v_lshrrev_b32_e32 v1, 5, v0
	scratch_store_b32 off, v0, off offset:768 ; 4-byte Folded Spill
	v_and_b32_e32 v0, 31, v0
	s_mul_i32 s28, s28, s18
	v_mov_b32_e32 v166, 0xff7fffff
	s_clause 0x1
	scratch_store_b32 off, v1, off offset:772
	scratch_store_b32 off, v0, off offset:752
	v_lshlrev_b32_e32 v7, 2, v0
	s_wait_kmcnt 0x0
	s_mul_i32 s26, s4, s19
	s_sub_co_i32 s4, s2, s16
	s_ashr_i32 s27, s26, 31
	s_cmp_ge_u32 s2, s16
	s_cselect_b32 s12, s12, s15
	s_cselect_b32 s2, s4, s2
	s_add_co_i32 s4, s12, 1
	s_wait_alu 0xfffe
	s_cmp_ge_u32 s2, s16
	s_cselect_b32 s2, s4, s12
	s_add_co_i32 s4, s34, 31
	s_lshl_b32 s40, s33, 4
	s_ashr_i32 s12, s4, 31
	v_add_nc_u32_e32 v189, s40, v1
	s_lshr_b32 s12, s12, 27
	s_add_co_i32 s14, s40, 16
	s_add_co_i32 s4, s4, s12
	s_delay_alu instid0(SALU_CYCLE_1)
	s_ashr_i32 s38, s4, 5
	s_wait_alu 0xfffe
	s_xor_b32 s4, s2, s3
	s_min_i32 s35, s14, s38
	s_sub_co_i32 s39, s4, s3
	v_cmp_gt_i32_e64 s2, s35, v189
	s_and_saveexec_b32 s12, s2
	s_cbranch_execz .LBB232_17
; %bb.10:
	scratch_load_b32 v6, off, off offset:752 ; 4-byte Folded Reload
	s_load_b64 s[42:43], s[0:1], 0x20
	s_sub_co_i32 s14, s39, s5
	s_ashr_i32 s29, s28, 31
	s_cmp_neq_f32 s30, 0
	v_mov_b32_e32 v166, 0xff7fffff
	s_mov_b32 s15, s17
	s_mov_b32 s18, 0
	s_cselect_b32 vcc_lo, -1, 0
	v_mov_b32_e32 v1, 0
	v_mov_b32_e32 v9, v189
	ds_load_b128 v[2:5], v1
	s_wait_kmcnt 0x0
	s_add_nc_u64 s[42:43], s[42:43], s[28:29]
	s_abs_i32 s29, s6
	s_delay_alu instid0(SALU_CYCLE_1)
	s_sub_co_i32 s4, 0, s29
	s_wait_dscnt 0x0
	scratch_store_b128 off, v[2:5], off     ; 16-byte Folded Spill
	ds_load_b128 v[2:5], v1 offset:16
	s_wait_dscnt 0x0
	scratch_store_b128 off, v[2:5], off offset:16 ; 16-byte Folded Spill
	ds_load_b128 v[2:5], v1 offset:32
	s_wait_dscnt 0x0
	scratch_store_b128 off, v[2:5], off offset:32 ; 16-byte Folded Spill
	;; [unrolled: 3-line block ×13, first 2 shown]
	ds_load_b128 v[2:5], v1 offset:224
	s_wait_loadcnt 0x0
	v_lshlrev_b32_e32 v0, 4, v6
	s_delay_alu instid0(VALU_DEP_1)
	v_add_co_u32 v167, s3, s42, v0
	s_wait_alu 0xf1ff
	v_add_co_ci_u32_e64 v168, null, s43, 0, s3
	s_cvt_f32_u32 s3, s29
	s_lshl_b64 s[42:43], s[26:27], 2
	s_wait_dscnt 0x0
	scratch_store_b128 off, v[2:5], off offset:224 ; 16-byte Folded Spill
	ds_load_b128 v[2:5], v1 offset:240
	s_wait_alu 0xfffe
	v_rcp_iflag_f32_e32 v0, s3
	s_add_nc_u64 s[42:43], s[24:25], s[42:43]
	s_delay_alu instid0(TRANS32_DEP_1) | instskip(SKIP_3) | instid1(SALU_CYCLE_2)
	v_readfirstlane_b32 s3, v0
	v_lshlrev_b32_e32 v0, 2, v189
	s_mul_f32 s3, s3, 0x4f7ffffe
	s_wait_alu 0xfffe
	s_cvt_u32_f32 s3, s3
	s_wait_dscnt 0x0
	scratch_store_b128 off, v[2:5], off offset:240 ; 16-byte Folded Spill
	ds_load_b128 v[2:5], v1 offset:256
	s_wait_alu 0xfffe
	s_mul_i32 s4, s4, s3
	s_delay_alu instid0(SALU_CYCLE_1) | instskip(NEXT) | instid1(SALU_CYCLE_1)
	s_mul_hi_u32 s4, s3, s4
	s_add_co_i32 s31, s3, s4
	v_add_co_u32 v190, s3, s42, v0
	v_subrev_nc_u32_e32 v0, s34, v6
	s_wait_alu 0xf1ff
	v_add_co_ci_u32_e64 v191, null, s43, 0, s3
	s_delay_alu instid0(VALU_DEP_2)
	v_add_nc_u32_e32 v0, 1, v0
	s_wait_dscnt 0x0
	scratch_store_b128 off, v[2:5], off offset:256 ; 16-byte Folded Spill
	ds_load_b128 v[2:5], v1 offset:272
	s_wait_dscnt 0x0
	scratch_store_b128 off, v[2:5], off offset:272 ; 16-byte Folded Spill
	ds_load_b128 v[2:5], v1 offset:288
	;; [unrolled: 3-line block ×26, first 2 shown]
	ds_load_b128 v[173:176], v1 offset:688
	ds_load_b128 v[177:180], v1 offset:704
	;; [unrolled: 1-line block ×5, first 2 shown]
	scratch_load_b32 v5, off, off offset:772 ; 4-byte Folded Reload
	s_clause 0x1
	scratch_store_b32 off, v0, off offset:672
	scratch_store_b32 off, v7, off offset:676
	s_wait_loadcnt 0x0
	v_lshl_or_b32 v0, v5, 7, v7
	v_lshl_add_u32 v8, v5, 5, s36
	s_delay_alu instid0(VALU_DEP_2)
	v_add_nc_u32_e32 v7, 0x320, v0
	s_branch .LBB232_12
.LBB232_11:                             ;   in Loop: Header=BB232_12 Depth=1
	s_or_b32 exec_lo, exec_lo, s4
	v_add_nc_u32_e32 v9, 4, v9
	v_add_co_u32 v190, s3, v190, 16
	s_wait_alu 0xf1ff
	v_add_co_ci_u32_e64 v191, null, 0, v191, s3
	s_delay_alu instid0(VALU_DEP_3) | instskip(SKIP_3) | instid1(SALU_CYCLE_1)
	v_cmp_le_i32_e64 s3, s35, v9
	v_add_nc_u32_e32 v8, 0x80, v8
	v_add_nc_u32_e32 v7, 0x200, v7
	s_or_b32 s18, s3, s18
	s_and_not1_b32 exec_lo, exec_lo, s18
	s_cbranch_execz .LBB232_16
.LBB232_12:                             ; =>This Inner Loop Header: Depth=1
	s_delay_alu instid0(VALU_DEP_2) | instskip(NEXT) | instid1(VALU_DEP_1)
	v_sub_nc_u32_e32 v0, 0, v8
	v_max_i32_e32 v0, v8, v0
	s_delay_alu instid0(VALU_DEP_1) | instskip(NEXT) | instid1(VALU_DEP_1)
	v_mul_hi_u32 v5, v0, s22
	v_mul_lo_u32 v6, v5, s16
	s_delay_alu instid0(VALU_DEP_1) | instskip(SKIP_1) | instid1(VALU_DEP_2)
	v_sub_nc_u32_e32 v0, v0, v6
	v_add_nc_u32_e32 v6, 1, v5
	v_subrev_nc_u32_e32 v10, s16, v0
	v_cmp_le_u32_e64 s3, s16, v0
	s_wait_alu 0xf1ff
	s_delay_alu instid0(VALU_DEP_1) | instskip(NEXT) | instid1(VALU_DEP_3)
	v_cndmask_b32_e64 v5, v5, v6, s3
	v_cndmask_b32_e64 v0, v0, v10, s3
	v_ashrrev_i32_e32 v6, 31, v8
	s_delay_alu instid0(VALU_DEP_3) | instskip(NEXT) | instid1(VALU_DEP_3)
	v_add_nc_u32_e32 v10, 1, v5
	v_cmp_le_u32_e64 s3, s16, v0
	s_delay_alu instid0(VALU_DEP_3) | instskip(SKIP_1) | instid1(VALU_DEP_2)
	v_xor_b32_e32 v6, s23, v6
	s_wait_alu 0xf1ff
	v_cndmask_b32_e64 v0, v5, v10, s3
	s_delay_alu instid0(VALU_DEP_1) | instskip(NEXT) | instid1(VALU_DEP_1)
	v_xor_b32_e32 v0, v0, v6
	v_sub_nc_u32_e32 v0, v0, v6
	s_delay_alu instid0(VALU_DEP_1) | instskip(SKIP_1) | instid1(VALU_DEP_2)
	v_add_nc_u32_e32 v5, s21, v0
	v_cmp_ge_i32_e64 s4, s14, v0
	v_sub_nc_u32_e32 v6, 0, v5
	s_delay_alu instid0(VALU_DEP_1) | instskip(SKIP_1) | instid1(VALU_DEP_2)
	v_max_i32_e32 v6, v5, v6
	v_ashrrev_i32_e32 v5, 31, v5
	v_mul_hi_u32 v10, v6, s31
	s_delay_alu instid0(VALU_DEP_1) | instskip(NEXT) | instid1(VALU_DEP_1)
	v_mul_lo_u32 v10, v10, s29
	v_sub_nc_u32_e32 v6, v6, v10
	s_delay_alu instid0(VALU_DEP_1) | instskip(SKIP_2) | instid1(VALU_DEP_1)
	v_subrev_nc_u32_e32 v10, s29, v6
	v_cmp_le_u32_e64 s3, s29, v6
	s_wait_alu 0xf1ff
	v_cndmask_b32_e64 v6, v6, v10, s3
	s_delay_alu instid0(VALU_DEP_1) | instskip(SKIP_2) | instid1(VALU_DEP_1)
	v_subrev_nc_u32_e32 v10, s29, v6
	v_cmp_le_u32_e64 s3, s29, v6
	s_wait_alu 0xf1ff
	v_cndmask_b32_e64 v6, v6, v10, s3
	s_delay_alu instid0(VALU_DEP_1) | instskip(NEXT) | instid1(VALU_DEP_1)
	v_xor_b32_e32 v6, v6, v5
	v_sub_nc_u32_e32 v5, v6, v5
	s_delay_alu instid0(VALU_DEP_1) | instskip(SKIP_3) | instid1(SALU_CYCLE_1)
	v_cmp_ne_u32_e64 s3, 0, v5
	s_and_b32 s3, s3, s4
	s_wait_alu 0xfffe
	s_and_saveexec_b32 s4, s3
	s_xor_b32 s3, exec_lo, s4
; %bb.13:                               ;   in Loop: Header=BB232_12 Depth=1
	v_mov_b32_e32 v0, 0xff7fffff
	ds_store_b32 v7, v0
; %bb.14:                               ;   in Loop: Header=BB232_12 Depth=1
	s_wait_alu 0xfffe
	s_and_not1_saveexec_b32 s4, s3
	s_cbranch_execz .LBB232_11
; %bb.15:                               ;   in Loop: Header=BB232_12 Depth=1
	global_load_b32 v0, v[190:191], off
	s_load_b32 s3, s[8:9], 0x0
	s_clause 0x1
	scratch_load_b128 v[162:165], off, off offset:16
	scratch_load_b128 v[158:161], off, off
	s_wait_loadcnt 0x2
	v_mad_co_i64_i32 v[5:6], null, v0, s15, v[167:168]
	s_clause 0x1
	global_load_b128 v[10:13], v[5:6], off
	global_load_b128 v[103:106], v[5:6], off offset:5632
	s_wait_loadcnt 0x1
	v_and_b32_e32 v30, 0xffff, v10
	v_lshrrev_b32_e32 v29, 16, v10
	v_lshrrev_b32_e32 v27, 16, v11
	;; [unrolled: 1-line block ×4, first 2 shown]
	s_wait_loadcnt 0x0
	v_and_b32_e32 v21, 0xffff, v103
	v_lshrrev_b32_e32 v19, 16, v103
	v_and_b32_e32 v17, 0xffff, v104
	v_lshrrev_b32_e32 v15, 16, v104
	v_cvt_pk_f32_fp8_e32 v[103:104], v30
	v_and_b32_e32 v23, 0xffff, v13
	v_cvt_pk_f32_fp8_e32 v[29:30], v29
	v_and_b32_e32 v28, 0xffff, v11
	v_and_b32_e32 v25, 0xffff, v12
	global_load_b128 v[10:13], v[5:6], off offset:512
	s_wait_kmcnt 0x0
	v_mul_f32_e32 v104, s3, v104
	v_dual_mul_f32 v30, s3, v30 :: v_dual_mul_f32 v103, s3, v103
	s_wait_loadcnt 0x0
	v_and_b32_e32 v44, 0xffff, v10
	v_lshrrev_b32_e32 v45, 16, v10
	v_and_b32_e32 v48, 0xffff, v11
	v_lshrrev_b32_e32 v49, 16, v11
	v_and_b32_e32 v51, 0xffff, v12
	v_lshrrev_b32_e32 v52, 16, v12
	v_and_b32_e32 v54, 0xffff, v13
	v_lshrrev_b32_e32 v56, 16, v13
	global_load_b128 v[10:13], v[5:6], off offset:1024
	s_wait_loadcnt 0x0
	v_and_b32_e32 v58, 0xffff, v10
	v_lshrrev_b32_e32 v57, 16, v10
	v_and_b32_e32 v53, 0xffff, v11
	v_lshrrev_b32_e32 v50, 16, v11
	v_and_b32_e32 v46, 0xffff, v12
	v_lshrrev_b32_e32 v43, 16, v12
	v_and_b32_e32 v42, 0xffff, v13
	v_lshrrev_b32_e32 v40, 16, v13
	global_load_b128 v[10:13], v[5:6], off offset:1536
	;; [unrolled: 10-line block ×8, first 2 shown]
	s_wait_loadcnt 0x0
	v_and_b32_e32 v47, 0xffff, v11
	v_lshrrev_b32_e32 v39, 16, v11
	v_and_b32_e32 v38, 0xffff, v12
	v_lshrrev_b32_e32 v36, 16, v12
	;; [unrolled: 2-line block ×3, first 2 shown]
	global_load_b128 v[11:14], v[5:6], off offset:5120
	v_and_b32_e32 v61, 0xffff, v10
	v_lshrrev_b32_e32 v59, 16, v10
	v_lshrrev_b32_e32 v6, 16, v105
	;; [unrolled: 1-line block ×3, first 2 shown]
	s_wait_loadcnt 0x0
	v_and_b32_e32 v31, 0xffff, v11
	v_lshrrev_b32_e32 v26, 16, v11
	v_and_b32_e32 v11, 0xffff, v14
	v_lshrrev_b32_e32 v10, 16, v14
	v_and_b32_e32 v14, 0xffff, v105
	v_mul_f32_e32 v105, s3, v29
	v_cvt_pk_f32_fp8_e32 v[28:29], v28
	v_and_b32_e32 v20, 0xffff, v12
	v_lshrrev_b32_e32 v18, 16, v12
	v_and_b32_e32 v12, 0xffff, v106
	s_delay_alu instid0(VALU_DEP_4) | instskip(SKIP_2) | instid1(VALU_DEP_2)
	v_mul_f32_e32 v106, s3, v28
	v_cvt_pk_f32_fp8_e32 v[27:28], v27
	v_mul_f32_e32 v29, s3, v29
	v_dual_mul_f32 v107, s3, v28 :: v_dual_mul_f32 v108, s3, v27
	v_cvt_pk_f32_fp8_e32 v[27:28], v25
	v_cvt_pk_f32_fp8_e32 v[24:25], v24
	s_delay_alu instid0(VALU_DEP_1) | instskip(SKIP_1) | instid1(VALU_DEP_3)
	v_dual_mul_f32 v27, s3, v27 :: v_dual_mul_f32 v110, s3, v24
	v_cvt_pk_f32_fp8_e32 v[23:24], v23
	v_dual_mul_f32 v109, s3, v25 :: v_dual_mul_f32 v28, s3, v28
	s_delay_alu instid0(VALU_DEP_2) | instskip(SKIP_1) | instid1(VALU_DEP_4)
	v_dual_mul_f32 v25, v164, v108 :: v_dual_mul_f32 v112, s3, v23
	v_cvt_pk_f32_fp8_e32 v[22:23], v22
	v_dual_mul_f32 v111, s3, v24 :: v_dual_mul_f32 v24, v163, v29
	s_delay_alu instid0(VALU_DEP_3) | instskip(NEXT) | instid1(VALU_DEP_3)
	v_fmac_f32_e32 v25, v160, v105
	v_dual_mul_f32 v113, s3, v23 :: v_dual_mul_f32 v114, s3, v22
	v_cvt_pk_f32_fp8_e32 v[22:23], v44
	s_delay_alu instid0(VALU_DEP_1) | instskip(SKIP_1) | instid1(VALU_DEP_1)
	v_dual_mul_f32 v44, s3, v23 :: v_dual_mul_f32 v115, s3, v22
	v_cvt_pk_f32_fp8_e32 v[22:23], v45
	v_dual_mul_f32 v45, s3, v23 :: v_dual_mul_f32 v116, s3, v22
	v_cvt_pk_f32_fp8_e32 v[22:23], v48
	v_fmac_f32_e32 v24, v159, v104
	s_delay_alu instid0(VALU_DEP_2) | instskip(SKIP_1) | instid1(VALU_DEP_1)
	v_dual_mul_f32 v48, s3, v23 :: v_dual_mul_f32 v117, s3, v22
	v_cvt_pk_f32_fp8_e32 v[22:23], v49
	v_dual_mul_f32 v49, s3, v23 :: v_dual_mul_f32 v118, s3, v22
	v_cvt_pk_f32_fp8_e32 v[22:23], v51
	s_delay_alu instid0(VALU_DEP_1) | instskip(NEXT) | instid1(VALU_DEP_2)
	v_mul_f32_e32 v51, s3, v23
	v_mul_f32_e32 v119, s3, v22
	v_cvt_pk_f32_fp8_e32 v[22:23], v52
	s_delay_alu instid0(VALU_DEP_1) | instskip(NEXT) | instid1(VALU_DEP_2)
	v_mul_f32_e32 v52, s3, v23
	v_mul_f32_e32 v120, s3, v22
	v_cvt_pk_f32_fp8_e32 v[22:23], v54
	s_delay_alu instid0(VALU_DEP_1) | instskip(SKIP_1) | instid1(VALU_DEP_1)
	v_dual_mul_f32 v54, s3, v23 :: v_dual_mul_f32 v121, s3, v22
	v_cvt_pk_f32_fp8_e32 v[22:23], v56
	v_mul_f32_e32 v56, s3, v23
	s_delay_alu instid0(VALU_DEP_2) | instskip(SKIP_1) | instid1(VALU_DEP_1)
	v_mul_f32_e32 v122, s3, v22
	v_cvt_pk_f32_fp8_e32 v[22:23], v58
	v_dual_mul_f32 v58, s3, v23 :: v_dual_mul_f32 v123, s3, v22
	v_cvt_pk_f32_fp8_e32 v[22:23], v57
	s_delay_alu instid0(VALU_DEP_1) | instskip(SKIP_1) | instid1(VALU_DEP_1)
	v_dual_mul_f32 v57, s3, v23 :: v_dual_mul_f32 v124, s3, v22
	v_cvt_pk_f32_fp8_e32 v[22:23], v53
	v_mul_f32_e32 v53, s3, v23
	s_delay_alu instid0(VALU_DEP_2) | instskip(SKIP_1) | instid1(VALU_DEP_1)
	v_mul_f32_e32 v125, s3, v22
	v_cvt_pk_f32_fp8_e32 v[22:23], v50
	v_mul_f32_e32 v50, s3, v23
	s_delay_alu instid0(VALU_DEP_2) | instskip(SKIP_1) | instid1(VALU_DEP_1)
	v_mul_f32_e32 v126, s3, v22
	v_cvt_pk_f32_fp8_e32 v[22:23], v46
	v_dual_mul_f32 v46, s3, v23 :: v_dual_mul_f32 v127, s3, v22
	v_cvt_pk_f32_fp8_e32 v[22:23], v43
	s_delay_alu instid0(VALU_DEP_1) | instskip(SKIP_1) | instid1(VALU_DEP_1)
	v_dual_mul_f32 v43, s3, v23 :: v_dual_mul_f32 v128, s3, v22
	v_cvt_pk_f32_fp8_e32 v[22:23], v42
	v_dual_mul_f32 v42, s3, v23 :: v_dual_mul_f32 v129, s3, v22
	v_cvt_pk_f32_fp8_e32 v[22:23], v40
	s_delay_alu instid0(VALU_DEP_1) | instskip(NEXT) | instid1(VALU_DEP_2)
	v_mul_f32_e32 v40, s3, v23
	v_mul_f32_e32 v130, s3, v22
	v_cvt_pk_f32_fp8_e32 v[22:23], v71
	v_and_b32_e32 v16, 0xffff, v13
	v_lshrrev_b32_e32 v13, 16, v13
	s_delay_alu instid0(VALU_DEP_3) | instskip(NEXT) | instid1(VALU_DEP_4)
	v_mul_f32_e32 v71, s3, v23
	v_mul_f32_e32 v131, s3, v22
	v_cvt_pk_f32_fp8_e32 v[22:23], v72
	s_delay_alu instid0(VALU_DEP_1) | instskip(NEXT) | instid1(VALU_DEP_2)
	v_mul_f32_e32 v72, s3, v23
	v_mul_f32_e32 v132, s3, v22
	v_cvt_pk_f32_fp8_e32 v[22:23], v74
	s_delay_alu instid0(VALU_DEP_1) | instskip(SKIP_1) | instid1(VALU_DEP_1)
	v_dual_mul_f32 v74, s3, v23 :: v_dual_mul_f32 v133, s3, v22
	v_cvt_pk_f32_fp8_e32 v[22:23], v75
	v_dual_mul_f32 v75, s3, v23 :: v_dual_mul_f32 v134, s3, v22
	v_cvt_pk_f32_fp8_e32 v[22:23], v78
	s_delay_alu instid0(VALU_DEP_1) | instskip(SKIP_1) | instid1(VALU_DEP_1)
	v_dual_mul_f32 v78, s3, v23 :: v_dual_mul_f32 v135, s3, v22
	v_cvt_pk_f32_fp8_e32 v[22:23], v79
	v_dual_mul_f32 v79, s3, v23 :: v_dual_mul_f32 v136, s3, v22
	v_cvt_pk_f32_fp8_e32 v[22:23], v81
	s_delay_alu instid0(VALU_DEP_1) | instskip(NEXT) | instid1(VALU_DEP_2)
	v_mul_f32_e32 v81, s3, v23
	v_mul_f32_e32 v137, s3, v22
	v_cvt_pk_f32_fp8_e32 v[22:23], v82
	s_delay_alu instid0(VALU_DEP_1) | instskip(NEXT) | instid1(VALU_DEP_2)
	v_mul_f32_e32 v82, s3, v23
	v_mul_f32_e32 v138, s3, v22
	v_cvt_pk_f32_fp8_e32 v[22:23], v84
	s_delay_alu instid0(VALU_DEP_1) | instskip(SKIP_1) | instid1(VALU_DEP_1)
	v_dual_mul_f32 v84, s3, v23 :: v_dual_mul_f32 v139, s3, v22
	v_cvt_pk_f32_fp8_e32 v[22:23], v83
	v_dual_mul_f32 v83, s3, v23 :: v_dual_mul_f32 v140, s3, v22
	v_cvt_pk_f32_fp8_e32 v[22:23], v80
	s_delay_alu instid0(VALU_DEP_1) | instskip(SKIP_1) | instid1(VALU_DEP_1)
	v_dual_mul_f32 v80, s3, v23 :: v_dual_mul_f32 v141, s3, v22
	v_cvt_pk_f32_fp8_e32 v[22:23], v76
	v_mul_f32_e32 v76, s3, v23
	s_delay_alu instid0(VALU_DEP_2) | instskip(SKIP_1) | instid1(VALU_DEP_1)
	v_mul_f32_e32 v142, s3, v22
	v_cvt_pk_f32_fp8_e32 v[22:23], v73
	v_mul_f32_e32 v73, s3, v23
	s_delay_alu instid0(VALU_DEP_2) | instskip(SKIP_1) | instid1(VALU_DEP_1)
	v_mul_f32_e32 v143, s3, v22
	v_cvt_pk_f32_fp8_e32 v[22:23], v69
	v_dual_mul_f32 v69, s3, v23 :: v_dual_mul_f32 v144, s3, v22
	v_cvt_pk_f32_fp8_e32 v[22:23], v68
	s_delay_alu instid0(VALU_DEP_1) | instskip(SKIP_1) | instid1(VALU_DEP_1)
	v_dual_mul_f32 v68, s3, v23 :: v_dual_mul_f32 v145, s3, v22
	v_cvt_pk_f32_fp8_e32 v[22:23], v66
	v_mul_f32_e32 v66, s3, v23
	s_delay_alu instid0(VALU_DEP_2) | instskip(SKIP_1) | instid1(VALU_DEP_1)
	v_mul_f32_e32 v146, s3, v22
	v_cvt_pk_f32_fp8_e32 v[22:23], v93
	v_mul_f32_e32 v93, s3, v23
	s_delay_alu instid0(VALU_DEP_2) | instskip(SKIP_1) | instid1(VALU_DEP_1)
	v_mul_f32_e32 v147, s3, v22
	;; [unrolled: 4-line block ×7, first 2 shown]
	v_cvt_pk_f32_fp8_e32 v[22:23], v100
	v_dual_mul_f32 v100, s3, v23 :: v_dual_mul_f32 v153, s3, v22
	v_cvt_pk_f32_fp8_e32 v[22:23], v0
	s_delay_alu instid0(VALU_DEP_1) | instskip(NEXT) | instid1(VALU_DEP_2)
	v_mul_f32_e32 v0, s3, v23
	v_mul_f32_e32 v154, s3, v22
	v_cvt_pk_f32_fp8_e32 v[22:23], v102
	s_delay_alu instid0(VALU_DEP_1) | instskip(SKIP_1) | instid1(VALU_DEP_1)
	v_dual_mul_f32 v102, s3, v23 :: v_dual_mul_f32 v155, s3, v22
	v_cvt_pk_f32_fp8_e32 v[22:23], v101
	v_dual_mul_f32 v101, s3, v23 :: v_dual_mul_f32 v156, s3, v22
	v_cvt_pk_f32_fp8_e32 v[22:23], v99
	s_delay_alu instid0(VALU_DEP_1) | instskip(NEXT) | instid1(VALU_DEP_2)
	v_mul_f32_e32 v157, s3, v22
	v_dual_mul_f32 v22, v162, v106 :: v_dual_mul_f32 v99, s3, v23
	v_mul_f32_e32 v23, v165, v107
	s_delay_alu instid0(VALU_DEP_2)
	v_fmac_f32_e32 v22, v158, v103
	scratch_load_b128 v[103:106], off, off offset:32 ; 16-byte Folded Reload
	v_fmac_f32_e32 v23, v161, v30
	scratch_load_b128 v[158:161], off, off offset:48 ; 16-byte Folded Reload
	s_wait_loadcnt 0x1
	v_fmac_f32_e32 v22, v103, v27
	v_dual_fmac_f32 v24, v104, v28 :: v_dual_fmac_f32 v25, v105, v110
	v_fmac_f32_e32 v23, v106, v109
	s_clause 0x1
	scratch_load_b128 v[103:106], off, off offset:64
	scratch_load_b128 v[107:110], off, off offset:80
	v_cvt_pk_f32_fp8_e32 v[27:28], v90
	s_wait_loadcnt 0x2
	v_fmac_f32_e32 v25, v160, v114
	v_fmac_f32_e32 v23, v161, v113
	s_delay_alu instid0(VALU_DEP_3)
	v_dual_mul_f32 v29, s3, v28 :: v_dual_mul_f32 v30, s3, v27
	v_cvt_pk_f32_fp8_e32 v[27:28], v88
	s_wait_loadcnt 0x1
	v_fmac_f32_e32 v25, v105, v116
	v_fmac_f32_e32 v23, v106, v45
	s_wait_loadcnt 0x0
	s_delay_alu instid0(VALU_DEP_2) | instskip(NEXT) | instid1(VALU_DEP_2)
	v_dual_fmac_f32 v25, v109, v118 :: v_dual_fmac_f32 v24, v159, v111
	v_fmac_f32_e32 v23, v110, v49
	v_fmac_f32_e32 v22, v158, v112
	s_delay_alu instid0(VALU_DEP_3) | instskip(NEXT) | instid1(VALU_DEP_2)
	v_fmac_f32_e32 v24, v104, v44
	v_fmac_f32_e32 v22, v103, v115
	scratch_load_b128 v[103:106], off, off offset:96 ; 16-byte Folded Reload
	v_fmac_f32_e32 v24, v108, v48
	v_fmac_f32_e32 v22, v107, v117
	scratch_load_b128 v[107:110], off, off offset:112 ; 16-byte Folded Reload
	s_wait_loadcnt 0x1
	v_fmac_f32_e32 v22, v103, v119
	v_dual_fmac_f32 v24, v104, v51 :: v_dual_fmac_f32 v25, v105, v120
	v_fmac_f32_e32 v23, v106, v52
	scratch_load_b128 v[103:106], off, off offset:128 ; 16-byte Folded Reload
	v_mul_f32_e32 v88, s3, v27
	s_wait_loadcnt 0x1
	v_fmac_f32_e32 v22, v107, v121
	v_fmac_f32_e32 v24, v108, v54
	;; [unrolled: 1-line block ×4, first 2 shown]
	scratch_load_b128 v[107:110], off, off offset:144 ; 16-byte Folded Reload
	s_wait_loadcnt 0x1
	v_fmac_f32_e32 v25, v105, v124
	v_mul_f32_e32 v44, s3, v28
	v_cvt_pk_f32_fp8_e32 v[27:28], v85
	v_dual_fmac_f32 v23, v106, v57 :: v_dual_fmac_f32 v22, v103, v123
	v_fmac_f32_e32 v24, v104, v58
	scratch_load_b128 v[103:106], off, off offset:160 ; 16-byte Folded Reload
	s_wait_loadcnt 0x1
	v_dual_mul_f32 v48, s3, v28 :: v_dual_fmac_f32 v23, v110, v50
	v_mul_f32_e32 v85, s3, v27
	v_cvt_pk_f32_fp8_e32 v[27:28], v70
	v_dual_fmac_f32 v24, v108, v53 :: v_dual_fmac_f32 v25, v109, v126
	s_delay_alu instid0(VALU_DEP_2) | instskip(NEXT) | instid1(VALU_DEP_3)
	v_mul_f32_e32 v45, s3, v28
	v_mul_f32_e32 v51, s3, v27
	v_cvt_pk_f32_fp8_e32 v[27:28], v65
	s_delay_alu instid0(VALU_DEP_1) | instskip(SKIP_1) | instid1(VALU_DEP_1)
	v_dual_mul_f32 v49, s3, v28 :: v_dual_mul_f32 v54, s3, v27
	v_cvt_pk_f32_fp8_e32 v[27:28], v92
	v_mul_f32_e32 v52, s3, v28
	s_delay_alu instid0(VALU_DEP_2) | instskip(SKIP_1) | instid1(VALU_DEP_1)
	v_mul_f32_e32 v58, s3, v27
	v_cvt_pk_f32_fp8_e32 v[27:28], v91
	v_dual_mul_f32 v53, s3, v28 :: v_dual_mul_f32 v56, s3, v27
	v_cvt_pk_f32_fp8_e32 v[27:28], v89
	scratch_load_b128 v[89:92], off, off offset:176 ; 16-byte Folded Reload
	v_mul_f32_e32 v57, s3, v27
	s_wait_loadcnt 0x1
	v_dual_fmac_f32 v23, v106, v43 :: v_dual_fmac_f32 v24, v104, v46
	v_fmac_f32_e32 v25, v105, v128
	s_wait_loadcnt 0x0
	s_delay_alu instid0(VALU_DEP_2) | instskip(NEXT) | instid1(VALU_DEP_3)
	v_dual_fmac_f32 v23, v92, v40 :: v_dual_fmac_f32 v22, v107, v125
	v_fmac_f32_e32 v24, v90, v42
	s_delay_alu instid0(VALU_DEP_3) | instskip(NEXT) | instid1(VALU_DEP_3)
	v_fmac_f32_e32 v25, v91, v130
	v_fmac_f32_e32 v22, v103, v127
	scratch_load_b128 v[103:106], off, off offset:192 ; 16-byte Folded Reload
	v_fmac_f32_e32 v22, v89, v129
	scratch_load_b128 v[89:92], off, off offset:208 ; 16-byte Folded Reload
	s_wait_loadcnt 0x1
	v_fmac_f32_e32 v22, v103, v131
	v_dual_fmac_f32 v24, v104, v71 :: v_dual_fmac_f32 v25, v105, v132
	v_fmac_f32_e32 v23, v106, v72
	scratch_load_b128 v[103:106], off, off offset:224 ; 16-byte Folded Reload
	v_mul_f32_e32 v46, s3, v28
	s_wait_loadcnt 0x1
	v_fmac_f32_e32 v22, v89, v133
	v_fmac_f32_e32 v24, v90, v74
	;; [unrolled: 1-line block ×4, first 2 shown]
	scratch_load_b128 v[89:92], off, off offset:240 ; 16-byte Folded Reload
	v_cvt_pk_f32_fp8_e32 v[27:28], v87
	s_wait_loadcnt 0x1
	v_fmac_f32_e32 v25, v105, v136
	s_delay_alu instid0(VALU_DEP_2) | instskip(NEXT) | instid1(VALU_DEP_3)
	v_dual_mul_f32 v42, s3, v28 :: v_dual_fmac_f32 v23, v106, v79
	v_mul_f32_e32 v50, s3, v27
	v_cvt_pk_f32_fp8_e32 v[27:28], v86
	v_fmac_f32_e32 v24, v104, v78
	s_wait_loadcnt 0x0
	v_fmac_f32_e32 v25, v91, v138
	v_fmac_f32_e32 v23, v92, v82
	v_mul_f32_e32 v43, s3, v28
	v_mul_f32_e32 v65, s3, v27
	v_cvt_pk_f32_fp8_e32 v[27:28], v77
	v_fmac_f32_e32 v24, v90, v81
	s_delay_alu instid0(VALU_DEP_2) | instskip(NEXT) | instid1(VALU_DEP_3)
	v_mul_f32_e32 v40, s3, v28
	v_mul_f32_e32 v70, s3, v27
	v_cvt_pk_f32_fp8_e32 v[27:28], v67
	s_delay_alu instid0(VALU_DEP_1) | instskip(NEXT) | instid1(VALU_DEP_2)
	v_mul_f32_e32 v67, s3, v28
	v_mul_f32_e32 v71, s3, v27
	v_cvt_pk_f32_fp8_e32 v[27:28], v64
	s_delay_alu instid0(VALU_DEP_1) | instskip(NEXT) | instid1(VALU_DEP_2)
	v_mul_f32_e32 v64, s3, v28
	v_mul_f32_e32 v72, s3, v27
	v_cvt_pk_f32_fp8_e32 v[27:28], v63
	s_delay_alu instid0(VALU_DEP_1) | instskip(SKIP_1) | instid1(VALU_DEP_1)
	v_dual_mul_f32 v63, s3, v28 :: v_dual_mul_f32 v74, s3, v27
	v_cvt_pk_f32_fp8_e32 v[27:28], v62
	v_mul_f32_e32 v75, s3, v27
	v_fmac_f32_e32 v22, v103, v135
	scratch_load_b128 v[103:106], off, off offset:256 ; 16-byte Folded Reload
	v_fmac_f32_e32 v22, v89, v137
	scratch_load_b128 v[89:92], off, off offset:272 ; 16-byte Folded Reload
	s_wait_loadcnt 0x1
	v_fmac_f32_e32 v24, v104, v84
	v_dual_fmac_f32 v22, v103, v139 :: v_dual_fmac_f32 v25, v105, v140
	v_fmac_f32_e32 v23, v106, v83
	s_wait_loadcnt 0x0
	s_delay_alu instid0(VALU_DEP_3)
	v_fmac_f32_e32 v24, v90, v80
	scratch_load_b128 v[77:80], off, off offset:288 ; 16-byte Folded Reload
	v_dual_fmac_f32 v22, v89, v141 :: v_dual_fmac_f32 v25, v91, v142
	v_fmac_f32_e32 v23, v92, v76
	scratch_load_b128 v[89:92], off, off offset:416 ; 16-byte Folded Reload
	s_wait_loadcnt 0x1
	v_fmac_f32_e32 v22, v77, v143
	v_dual_fmac_f32 v24, v78, v73 :: v_dual_fmac_f32 v25, v79, v144
	scratch_load_b128 v[76:79], off, off offset:304 ; 16-byte Folded Reload
	v_fmac_f32_e32 v23, v80, v69
	scratch_load_b128 v[80:83], off, off offset:320 ; 16-byte Folded Reload
	s_wait_loadcnt 0x1
	v_fmac_f32_e32 v22, v76, v145
	v_dual_fmac_f32 v24, v77, v68 :: v_dual_fmac_f32 v25, v78, v146
	v_fmac_f32_e32 v23, v79, v66
	scratch_load_b128 v[76:79], off, off offset:336 ; 16-byte Folded Reload
	s_wait_loadcnt 0x1
	v_fmac_f32_e32 v22, v80, v147
	v_dual_fmac_f32 v24, v81, v93 :: v_dual_fmac_f32 v25, v82, v148
	;; [unrolled: 5-line block ×3, first 2 shown]
	v_fmac_f32_e32 v23, v79, v96
	v_mul_f32_e32 v62, s3, v28
	s_wait_loadcnt 0x0
	v_fmac_f32_e32 v22, v80, v151
	scratch_load_b128 v[77:80], off, off offset:368 ; 16-byte Folded Reload
	v_dual_fmac_f32 v24, v81, v97 :: v_dual_fmac_f32 v25, v82, v152
	v_fmac_f32_e32 v23, v83, v98
	scratch_load_b128 v[81:84], off, off offset:384 ; 16-byte Folded Reload
	v_cvt_pk_f32_fp8_e32 v[27:28], v60
	s_delay_alu instid0(VALU_DEP_1) | instskip(SKIP_1) | instid1(VALU_DEP_1)
	v_dual_mul_f32 v60, s3, v28 :: v_dual_mul_f32 v73, s3, v27
	v_cvt_pk_f32_fp8_e32 v[27:28], v55
	v_dual_mul_f32 v55, s3, v28 :: v_dual_mul_f32 v68, s3, v27
	v_cvt_pk_f32_fp8_e32 v[27:28], v41
	s_delay_alu instid0(VALU_DEP_1) | instskip(NEXT) | instid1(VALU_DEP_2)
	v_mul_f32_e32 v41, s3, v28
	v_mul_f32_e32 v69, s3, v27
	v_cvt_pk_f32_fp8_e32 v[27:28], v37
	s_wait_loadcnt 0x1
	s_delay_alu instid0(VALU_DEP_1) | instskip(SKIP_2) | instid1(VALU_DEP_2)
	v_dual_mul_f32 v37, s3, v28 :: v_dual_fmac_f32 v22, v77, v153
	v_dual_fmac_f32 v24, v78, v100 :: v_dual_fmac_f32 v25, v79, v154
	s_wait_loadcnt 0x0
	v_dual_fmac_f32 v23, v80, v0 :: v_dual_fmac_f32 v22, v81, v155
	s_delay_alu instid0(VALU_DEP_2) | instskip(SKIP_4) | instid1(VALU_DEP_1)
	v_fmac_f32_e32 v24, v82, v102
	scratch_load_b128 v[79:82], off, off offset:400 ; 16-byte Folded Reload
	v_fmac_f32_e32 v23, v84, v101
	v_dual_fmac_f32 v25, v83, v156 :: v_dual_mul_f32 v66, s3, v27
	v_cvt_pk_f32_fp8_e32 v[27:28], v35
	v_mul_f32_e32 v35, s3, v28
	s_wait_loadcnt 0x0
	v_dual_fmac_f32 v23, v82, v29 :: v_dual_fmac_f32 v24, v80, v99
	s_delay_alu instid0(VALU_DEP_3) | instskip(SKIP_1) | instid1(VALU_DEP_3)
	v_dual_fmac_f32 v25, v81, v30 :: v_dual_mul_f32 v76, s3, v27
	v_cvt_pk_f32_fp8_e32 v[27:28], v33
	v_dual_fmac_f32 v23, v92, v48 :: v_dual_fmac_f32 v22, v79, v157
	scratch_load_b128 v[79:82], off, off offset:432 ; 16-byte Folded Reload
	v_fmac_f32_e32 v25, v91, v85
	scratch_load_b128 v[83:86], off, off offset:448 ; 16-byte Folded Reload
	v_mul_f32_e32 v33, s3, v28
	v_mul_f32_e32 v77, s3, v27
	v_cvt_pk_f32_fp8_e32 v[27:28], v61
	s_delay_alu instid0(VALU_DEP_1) | instskip(SKIP_1) | instid1(VALU_DEP_1)
	v_dual_mul_f32 v78, s3, v27 :: v_dual_mul_f32 v61, s3, v28
	v_cvt_pk_f32_fp8_e32 v[27:28], v59
	v_mul_f32_e32 v59, s3, v27
	s_wait_loadcnt 0x1
	v_fmac_f32_e32 v25, v81, v54
	v_fmac_f32_e32 v23, v82, v49
	s_wait_loadcnt 0x0
	s_delay_alu instid0(VALU_DEP_2) | instskip(NEXT) | instid1(VALU_DEP_2)
	v_fmac_f32_e32 v25, v85, v56
	v_dual_fmac_f32 v22, v89, v88 :: v_dual_fmac_f32 v23, v86, v53
	v_fmac_f32_e32 v24, v90, v44
	s_delay_alu instid0(VALU_DEP_2) | instskip(NEXT) | instid1(VALU_DEP_2)
	v_fmac_f32_e32 v22, v79, v51
	v_fmac_f32_e32 v24, v80, v45
	scratch_load_b128 v[79:82], off, off offset:464 ; 16-byte Folded Reload
	v_fmac_f32_e32 v24, v84, v52
	scratch_load_b128 v[51:54], off, off offset:496 ; 16-byte Folded Reload
	v_mul_f32_e32 v0, s3, v28
	v_cvt_pk_f32_fp8_e32 v[27:28], v47
	s_wait_loadcnt 0x1
	s_delay_alu instid0(VALU_DEP_1)
	v_dual_mul_f32 v30, s3, v28 :: v_dual_fmac_f32 v23, v82, v42
	v_fmac_f32_e32 v25, v81, v50
	scratch_load_b128 v[47:50], off, off offset:480 ; 16-byte Folded Reload
	v_mul_f32_e32 v44, s3, v27
	v_fmac_f32_e32 v24, v80, v46
	v_cvt_pk_f32_fp8_e32 v[27:28], v39
	s_delay_alu instid0(VALU_DEP_1) | instskip(NEXT) | instid1(VALU_DEP_2)
	v_mul_f32_e32 v29, s3, v28
	v_mul_f32_e32 v39, s3, v27
	v_cvt_pk_f32_fp8_e32 v[27:28], v38
	s_delay_alu instid0(VALU_DEP_1) | instskip(SKIP_3) | instid1(VALU_DEP_2)
	v_mul_f32_e32 v45, s3, v27
	s_wait_loadcnt 0x0
	v_fmac_f32_e32 v25, v49, v70
	v_dual_fmac_f32 v23, v50, v40 :: v_dual_fmac_f32 v24, v48, v43
	v_dual_fmac_f32 v25, v53, v72 :: v_dual_fmac_f32 v22, v83, v58
	s_delay_alu instid0(VALU_DEP_2) | instskip(NEXT) | instid1(VALU_DEP_2)
	v_dual_fmac_f32 v23, v54, v64 :: v_dual_fmac_f32 v24, v52, v67
	v_fmac_f32_e32 v22, v79, v57
	s_delay_alu instid0(VALU_DEP_1)
	v_fmac_f32_e32 v22, v47, v65
	scratch_load_b128 v[47:50], off, off offset:512 ; 16-byte Folded Reload
	v_fmac_f32_e32 v22, v51, v71
	scratch_load_b128 v[51:54], off, off offset:528 ; 16-byte Folded Reload
	v_mul_f32_e32 v38, s3, v28
	v_cvt_pk_f32_fp8_e32 v[27:28], v36
	s_delay_alu instid0(VALU_DEP_1)
	v_mul_f32_e32 v36, s3, v28
	s_wait_loadcnt 0x1
	v_fmac_f32_e32 v22, v47, v74
	v_fmac_f32_e32 v24, v48, v63
	;; [unrolled: 1-line block ×3, first 2 shown]
	s_wait_loadcnt 0x0
	s_delay_alu instid0(VALU_DEP_3)
	v_dual_fmac_f32 v23, v50, v62 :: v_dual_fmac_f32 v22, v51, v73
	scratch_load_b128 v[48:51], off, off offset:544 ; 16-byte Folded Reload
	v_fmac_f32_e32 v24, v52, v60
	v_fmac_f32_e32 v25, v53, v68
	;; [unrolled: 1-line block ×3, first 2 shown]
	scratch_load_b128 v[52:55], off, off offset:560 ; 16-byte Folded Reload
	v_mul_f32_e32 v46, s3, v27
	v_cvt_pk_f32_fp8_e32 v[27:28], v34
	s_delay_alu instid0(VALU_DEP_1)
	v_dual_mul_f32 v34, s3, v28 :: v_dual_mul_f32 v43, s3, v27
	v_cvt_pk_f32_fp8_e32 v[27:28], v32
	s_wait_loadcnt 0x1
	v_fmac_f32_e32 v22, v48, v69
	v_dual_fmac_f32 v24, v49, v41 :: v_dual_fmac_f32 v25, v50, v66
	v_fmac_f32_e32 v23, v51, v37
	scratch_load_b128 v[48:51], off, off offset:576 ; 16-byte Folded Reload
	v_mul_f32_e32 v32, s3, v28
	s_wait_loadcnt 0x1
	v_dual_fmac_f32 v22, v52, v76 :: v_dual_fmac_f32 v25, v54, v77
	v_dual_fmac_f32 v23, v55, v33 :: v_dual_fmac_f32 v24, v53, v35
	scratch_load_b128 v[52:55], off, off offset:592 ; 16-byte Folded Reload
	v_mul_f32_e32 v42, s3, v27
	v_cvt_pk_f32_fp8_e32 v[27:28], v31
	s_delay_alu instid0(VALU_DEP_1) | instskip(SKIP_1) | instid1(VALU_DEP_1)
	v_mul_f32_e32 v31, s3, v27
	v_cvt_pk_f32_fp8_e32 v[26:27], v26
	v_dual_mul_f32 v47, s3, v26 :: v_dual_mul_f32 v40, s3, v27
	v_cvt_pk_f32_fp8_e32 v[26:27], v20
	s_delay_alu instid0(VALU_DEP_1)
	v_mul_f32_e32 v41, s3, v26
	s_wait_loadcnt 0x1
	v_fmac_f32_e32 v22, v48, v78
	v_dual_fmac_f32 v24, v49, v61 :: v_dual_fmac_f32 v25, v50, v59
	v_fmac_f32_e32 v23, v51, v0
	scratch_load_b128 v[48:51], off, off offset:608 ; 16-byte Folded Reload
	s_wait_loadcnt 0x1
	v_fmac_f32_e32 v22, v52, v44
	v_dual_fmac_f32 v24, v53, v30 :: v_dual_fmac_f32 v25, v54, v39
	v_fmac_f32_e32 v23, v55, v29
	scratch_load_b128 v[52:55], off, off offset:624 ; 16-byte Folded Reload
	s_wait_loadcnt 0x1
	v_dual_fmac_f32 v22, v48, v45 :: v_dual_fmac_f32 v25, v50, v46
	v_mul_f32_e32 v20, s3, v27
	v_dual_fmac_f32 v24, v49, v38 :: v_dual_fmac_f32 v23, v51, v36
	v_cvt_pk_f32_fp8_e32 v[26:27], v18
	s_wait_loadcnt 0x0
	v_dual_fmac_f32 v22, v52, v43 :: v_dual_fmac_f32 v25, v54, v42
	scratch_load_b128 v[42:45], off, off offset:640 ; 16-byte Folded Reload
	v_dual_fmac_f32 v24, v53, v34 :: v_dual_fmac_f32 v23, v55, v32
	v_dual_mul_f32 v18, s3, v27 :: v_dual_mul_f32 v35, s3, v26
	v_cvt_pk_f32_fp8_e32 v[26:27], v16
	s_delay_alu instid0(VALU_DEP_1) | instskip(SKIP_1) | instid1(VALU_DEP_1)
	v_dual_mul_f32 v16, s3, v27 :: v_dual_mul_f32 v37, s3, v26
	v_cvt_pk_f32_fp8_e32 v[26:27], v13
	v_dual_mul_f32 v28, s3, v28 :: v_dual_mul_f32 v13, s3, v27
	s_delay_alu instid0(VALU_DEP_2) | instskip(SKIP_3) | instid1(VALU_DEP_1)
	v_mul_f32_e32 v30, s3, v26
	v_cvt_pk_f32_fp8_e32 v[26:27], v11
	v_cvt_pk_f32_fp8_e32 v[10:11], v10
	s_wait_loadcnt 0x0
	v_dual_mul_f32 v29, s3, v10 :: v_dual_fmac_f32 v22, v42, v31
	scratch_load_b128 v[31:34], off, off offset:656 ; 16-byte Folded Reload
	v_fmac_f32_e32 v23, v45, v40
	v_fmac_f32_e32 v25, v44, v47
	s_wait_loadcnt 0x0
	s_delay_alu instid0(VALU_DEP_2) | instskip(NEXT) | instid1(VALU_DEP_2)
	v_fmac_f32_e32 v23, v34, v18
	v_fmac_f32_e32 v25, v33, v35
	v_mul_f32_e32 v0, s3, v27
	v_mul_f32_e32 v27, s3, v11
	v_cvt_pk_f32_fp8_e32 v[10:11], v21
	s_wait_dscnt 0x5
	v_dual_fmac_f32 v23, v172, v13 :: v_dual_mul_f32 v26, s3, v26
	v_fmac_f32_e32 v25, v171, v30
	s_delay_alu instid0(VALU_DEP_3) | instskip(SKIP_1) | instid1(VALU_DEP_3)
	v_mul_f32_e32 v21, s3, v11
	s_wait_dscnt 0x4
	v_dual_fmac_f32 v23, v176, v27 :: v_dual_fmac_f32 v24, v43, v28
	v_mul_f32_e32 v28, s3, v10
	v_cvt_pk_f32_fp8_e32 v[10:11], v19
	v_fmac_f32_e32 v25, v175, v29
	s_delay_alu instid0(VALU_DEP_2) | instskip(SKIP_1) | instid1(VALU_DEP_1)
	v_mul_f32_e32 v19, s3, v11
	s_wait_dscnt 0x3
	v_fmac_f32_e32 v23, v180, v19
	v_fmac_f32_e32 v24, v32, v20
	v_mul_f32_e32 v20, s3, v10
	v_cvt_pk_f32_fp8_e32 v[10:11], v17
	s_delay_alu instid0(VALU_DEP_2) | instskip(NEXT) | instid1(VALU_DEP_2)
	v_fmac_f32_e32 v25, v179, v20
	v_dual_mul_f32 v17, s3, v10 :: v_dual_fmac_f32 v24, v170, v16
	s_delay_alu instid0(VALU_DEP_3) | instskip(SKIP_1) | instid1(VALU_DEP_3)
	v_mul_f32_e32 v16, s3, v11
	v_cvt_pk_f32_fp8_e32 v[10:11], v15
	v_fmac_f32_e32 v24, v174, v0
	s_delay_alu instid0(VALU_DEP_2) | instskip(SKIP_2) | instid1(VALU_DEP_2)
	v_dual_mul_f32 v0, s3, v11 :: v_dual_mul_f32 v15, s3, v10
	v_cvt_pk_f32_fp8_e32 v[10:11], v14
	s_wait_dscnt 0x2
	v_dual_fmac_f32 v24, v178, v21 :: v_dual_fmac_f32 v23, v184, v0
	s_delay_alu instid0(VALU_DEP_3) | instskip(NEXT) | instid1(VALU_DEP_3)
	v_fmac_f32_e32 v25, v183, v15
	v_dual_mul_f32 v13, s3, v11 :: v_dual_mul_f32 v14, s3, v10
	v_cvt_pk_f32_fp8_e32 v[10:11], v12
	s_delay_alu instid0(VALU_DEP_4) | instskip(NEXT) | instid1(VALU_DEP_2)
	v_fmac_f32_e32 v24, v182, v16
	v_mul_f32_e32 v12, s3, v11
	s_delay_alu instid0(VALU_DEP_3) | instskip(SKIP_3) | instid1(VALU_DEP_2)
	v_mul_f32_e32 v16, s3, v10
	v_cvt_pk_f32_fp8_e32 v[10:11], v6
	s_wait_dscnt 0x1
	v_fmac_f32_e32 v24, v186, v13
	v_mul_f32_e32 v6, s3, v10
	s_delay_alu instid0(VALU_DEP_3) | instskip(SKIP_1) | instid1(VALU_DEP_2)
	v_mul_f32_e32 v10, s3, v11
	s_wait_dscnt 0x0
	v_dual_fmac_f32 v24, v2, v12 :: v_dual_fmac_f32 v25, v187, v6
	v_cvt_pk_f32_fp8_e32 v[5:6], v5
	s_delay_alu instid0(VALU_DEP_3) | instskip(NEXT) | instid1(VALU_DEP_2)
	v_dual_fmac_f32 v22, v31, v41 :: v_dual_fmac_f32 v23, v188, v10
	v_dual_mul_f32 v0, s3, v5 :: v_dual_mul_f32 v5, s3, v6
	s_delay_alu instid0(VALU_DEP_1) | instskip(NEXT) | instid1(VALU_DEP_2)
	v_dual_fmac_f32 v22, v169, v37 :: v_dual_fmac_f32 v25, v3, v0
	v_fmac_f32_e32 v23, v4, v5
	scratch_load_b32 v5, off, off offset:752 ; 4-byte Folded Reload
	s_wait_loadcnt 0x0
	v_add_nc_u32_e32 v5, v5, v8
	s_delay_alu instid0(VALU_DEP_1) | instskip(SKIP_3) | instid1(VALU_DEP_1)
	v_cmp_gt_i32_e64 s3, s34, v5
	scratch_load_b32 v5, off, off offset:672 ; 4-byte Folded Reload
	s_wait_loadcnt 0x0
	v_add_nc_u32_e32 v5, v5, v8
	v_cvt_f32_i32_e32 v5, v5
	s_delay_alu instid0(VALU_DEP_1) | instskip(NEXT) | instid1(VALU_DEP_1)
	v_dual_fmac_f32 v22, v173, v26 :: v_dual_mul_f32 v5, s30, v5
	v_dual_fmac_f32 v22, v177, v28 :: v_dual_cndmask_b32 v5, 0, v5
	s_delay_alu instid0(VALU_DEP_1) | instskip(NEXT) | instid1(VALU_DEP_1)
	v_fmac_f32_e32 v22, v181, v17
	v_fmac_f32_e32 v22, v185, v14
	s_delay_alu instid0(VALU_DEP_1) | instskip(NEXT) | instid1(VALU_DEP_1)
	v_fmac_f32_e32 v22, v1, v16
	v_add_f32_e32 v0, v22, v24
	s_delay_alu instid0(VALU_DEP_1) | instskip(NEXT) | instid1(VALU_DEP_1)
	v_add_f32_e32 v0, v25, v0
	v_add_f32_e32 v0, v23, v0
	s_delay_alu instid0(VALU_DEP_1) | instskip(NEXT) | instid1(VALU_DEP_1)
	v_dual_fmac_f32 v5, s13, v0 :: v_dual_max_num_f32 v0, v166, v166
	v_max_num_f32_e32 v0, v0, v5
	s_wait_alu 0xf1ff
	s_delay_alu instid0(VALU_DEP_1)
	v_cndmask_b32_e64 v166, v166, v0, s3
	v_cndmask_b32_e64 v0, 0, v5, s3
	ds_store_b32 v7, v0
	s_branch .LBB232_11
.LBB232_16:
	s_or_b32 exec_lo, exec_lo, s18
	scratch_load_b32 v7, off, off offset:676 ; 4-byte Folded Reload
.LBB232_17:
	s_or_b32 exec_lo, exec_lo, s12
	v_mbcnt_lo_u32_b32 v0, -1, 0
	s_clause 0x2
	s_load_b128 s[12:15], s[0:1], 0x0
	s_load_b64 s[8:9], s[0:1], 0x10
	s_load_b64 s[30:31], s[0:1], 0x28
	s_wait_dscnt 0x0
	v_max_num_f32_e32 v4, v166, v166
	v_xor_b32_e32 v1, 16, v0
	v_xor_b32_e32 v3, 8, v0
	s_delay_alu instid0(VALU_DEP_2) | instskip(SKIP_2) | instid1(VALU_DEP_3)
	v_cmp_gt_i32_e32 vcc_lo, 32, v1
	s_wait_alu 0xfffd
	v_cndmask_b32_e32 v1, v0, v1, vcc_lo
	v_cmp_gt_i32_e32 vcc_lo, 32, v3
	s_delay_alu instid0(VALU_DEP_2)
	v_lshlrev_b32_e32 v1, 2, v1
	s_wait_alu 0xfffd
	v_cndmask_b32_e32 v3, v0, v3, vcc_lo
	ds_bpermute_b32 v2, v1, v166
	s_wait_dscnt 0x0
	v_dual_max_num_f32 v5, v2, v2 :: v_dual_lshlrev_b32 v2, 2, v3
	s_delay_alu instid0(VALU_DEP_1)
	v_max_num_f32_e32 v3, v4, v5
	v_xor_b32_e32 v5, 4, v0
	ds_bpermute_b32 v4, v2, v3
	v_cmp_gt_i32_e32 vcc_lo, 32, v5
	s_wait_alu 0xfffd
	v_cndmask_b32_e32 v5, v0, v5, vcc_lo
	s_delay_alu instid0(VALU_DEP_1) | instskip(SKIP_1) | instid1(VALU_DEP_1)
	v_lshlrev_b32_e32 v11, 2, v5
	v_xor_b32_e32 v5, 2, v0
	v_cmp_gt_i32_e32 vcc_lo, 32, v5
	s_wait_dscnt 0x0
	v_max_num_f32_e32 v4, v4, v4
	s_wait_alu 0xfffd
	v_cndmask_b32_e32 v5, v0, v5, vcc_lo
	s_delay_alu instid0(VALU_DEP_1)
	v_dual_max_num_f32 v3, v3, v4 :: v_dual_lshlrev_b32 v10, 2, v5
	v_xor_b32_e32 v5, 1, v0
	ds_bpermute_b32 v4, v11, v3
	v_cmp_gt_i32_e32 vcc_lo, 32, v5
	s_wait_alu 0xfffd
	v_cndmask_b32_e32 v5, v0, v5, vcc_lo
	s_wait_dscnt 0x0
	s_delay_alu instid0(VALU_DEP_1) | instskip(NEXT) | instid1(VALU_DEP_1)
	v_dual_max_num_f32 v4, v4, v4 :: v_dual_lshlrev_b32 v9, 2, v5
	v_max_num_f32_e32 v3, v3, v4
	ds_bpermute_b32 v4, v10, v3
	s_wait_dscnt 0x0
	v_max_num_f32_e32 v4, v4, v4
	s_delay_alu instid0(VALU_DEP_1)
	v_max_num_f32_e32 v0, v3, v4
	scratch_load_b32 v4, off, off offset:752 ; 4-byte Folded Reload
	ds_bpermute_b32 v3, v9, v0
	s_wait_loadcnt 0x0
	v_cmp_eq_u32_e32 vcc_lo, 0, v4
	scratch_load_b32 v4, off, off offset:772 ; 4-byte Folded Reload
	s_wait_loadcnt 0x0
	v_lshlrev_b32_e32 v4, 2, v4
	s_and_saveexec_b32 s0, vcc_lo
	s_cbranch_execz .LBB232_19
; %bb.18:
	s_wait_dscnt 0x0
	v_dual_max_num_f32 v3, v3, v3 :: v_dual_max_num_f32 v0, v0, v0
	s_delay_alu instid0(VALU_DEP_1)
	v_max_num_f32_e32 v0, v0, v3
	ds_store_b32 v4, v0 offset:768
.LBB232_19:
	s_or_b32 exec_lo, exec_lo, s0
	scratch_load_b32 v0, off, off offset:752 ; 4-byte Folded Reload
	s_wait_storecnt 0x0
	s_wait_loadcnt_dscnt 0x0
	s_barrier_signal -1
	s_barrier_wait -1
	global_inv scope:SCOPE_SE
	v_cmp_gt_u32_e64 s0, 4, v0
	v_mov_b32_e32 v0, 0xff7fffff
	s_and_saveexec_b32 s1, s0
; %bb.20:
	ds_load_b32 v0, v7 offset:768
; %bb.21:
	s_or_b32 exec_lo, exec_lo, s1
	s_wait_dscnt 0x0
	ds_bpermute_b32 v3, v10, v0
	v_max_num_f32_e32 v0, v0, v0
	s_sub_co_i32 s1, s35, s40
	v_mov_b32_e32 v5, 0
	s_lshl_b32 s1, s1, 5
	s_delay_alu instid0(SALU_CYCLE_1) | instskip(NEXT) | instid1(SALU_CYCLE_1)
	s_add_co_i32 s1, s1, s36
	s_min_i32 s1, s1, s34
	s_delay_alu instid0(SALU_CYCLE_1) | instskip(SKIP_2) | instid1(VALU_DEP_1)
	s_sub_co_i32 s4, s1, s36
	s_wait_dscnt 0x0
	v_max_num_f32_e32 v3, v3, v3
	v_max_num_f32_e32 v0, v0, v3
	ds_bpermute_b32 v3, v9, v0
	s_wait_dscnt 0x0
	v_max_num_f32_e32 v3, v3, v3
	s_delay_alu instid0(VALU_DEP_1)
	v_max_num_f32_e32 v0, v0, v3
	scratch_load_b32 v3, off, off offset:768 ; 4-byte Folded Reload
	ds_bpermute_b32 v0, v5, v0
	s_wait_loadcnt 0x0
	v_cmp_gt_i32_e64 s1, s4, v3
	v_lshl_add_u32 v3, v3, 2, 0x320
	s_and_saveexec_b32 s18, s1
	s_cbranch_execz .LBB232_25
; %bb.22:
	v_dual_mov_b32 v12, v7 :: v_dual_mov_b32 v5, 0
	scratch_load_b32 v7, off, off offset:768 ; 4-byte Folded Reload
	s_mov_b32 s29, 0
	s_wait_loadcnt 0x0
	v_lshl_add_u32 v6, v7, 2, 0x320
.LBB232_23:                             ; =>This Inner Loop Header: Depth=1
	ds_load_b32 v8, v6
	v_add_nc_u32_e32 v7, 0x80, v7
	s_delay_alu instid0(VALU_DEP_1) | instskip(SKIP_4) | instid1(VALU_DEP_1)
	v_cmp_le_i32_e64 s3, s4, v7
	s_wait_alu 0xfffe
	s_or_b32 s29, s3, s29
	s_wait_dscnt 0x0
	v_sub_f32_e32 v8, v8, v0
	v_mul_f32_e32 v8, 0x3fb8aa3b, v8
	s_delay_alu instid0(VALU_DEP_1)
	v_exp_f32_e32 v8, v8
	ds_store_b32 v6, v8
	v_dual_add_f32 v5, v5, v8 :: v_dual_add_nc_u32 v6, 0x200, v6
	s_wait_alu 0xfffe
	s_and_not1_b32 exec_lo, exec_lo, s29
	s_cbranch_execnz .LBB232_23
; %bb.24:
	s_or_b32 exec_lo, exec_lo, s29
	v_mov_b32_e32 v7, v12
.LBB232_25:
	s_or_b32 exec_lo, exec_lo, s18
	ds_bpermute_b32 v1, v1, v5
	s_wait_dscnt 0x0
	v_add_f32_e32 v1, v5, v1
	ds_bpermute_b32 v2, v2, v1
	s_wait_dscnt 0x0
	v_add_f32_e32 v1, v1, v2
	;; [unrolled: 3-line block ×5, first 2 shown]
	s_and_saveexec_b32 s3, vcc_lo
; %bb.26:
	ds_store_b32 v4, v1 offset:784
; %bb.27:
	s_wait_alu 0xfffe
	s_or_b32 exec_lo, exec_lo, s3
	s_wait_dscnt 0x0
	s_barrier_signal -1
	s_barrier_wait -1
	global_inv scope:SCOPE_SE
	s_and_saveexec_b32 s3, s0
; %bb.28:
	ds_load_b32 v1, v7 offset:784
; %bb.29:
	s_wait_alu 0xfffe
	s_or_b32 exec_lo, exec_lo, s3
	s_wait_dscnt 0x0
	ds_bpermute_b32 v2, v10, v1
	s_wait_dscnt 0x0
	v_add_f32_e32 v1, v1, v2
	ds_bpermute_b32 v2, v9, v1
	s_wait_dscnt 0x0
	v_dual_add_f32 v1, v1, v2 :: v_dual_mov_b32 v2, 0
	ds_bpermute_b32 v1, v2, v1
	s_and_saveexec_b32 s0, s1
	s_cbranch_execz .LBB232_32
; %bb.30:
	s_wait_dscnt 0x0
	v_add_f32_e32 v2, 0x358637bd, v1
	s_mov_b32 s1, 0
	s_delay_alu instid0(VALU_DEP_1) | instskip(SKIP_1) | instid1(VALU_DEP_2)
	v_div_scale_f32 v4, null, v2, v2, 1.0
	v_div_scale_f32 v7, vcc_lo, 1.0, v2, 1.0
	v_rcp_f32_e32 v5, v4
	s_delay_alu instid0(TRANS32_DEP_1) | instskip(NEXT) | instid1(VALU_DEP_1)
	v_fma_f32 v6, -v4, v5, 1.0
	v_fmac_f32_e32 v5, v6, v5
	s_delay_alu instid0(VALU_DEP_1) | instskip(NEXT) | instid1(VALU_DEP_1)
	v_mul_f32_e32 v6, v7, v5
	v_fma_f32 v8, -v4, v6, v7
	s_delay_alu instid0(VALU_DEP_1) | instskip(NEXT) | instid1(VALU_DEP_1)
	v_fmac_f32_e32 v6, v8, v5
	v_fma_f32 v4, -v4, v6, v7
	s_wait_alu 0xfffd
	s_delay_alu instid0(VALU_DEP_1) | instskip(NEXT) | instid1(VALU_DEP_1)
	v_div_fmas_f32 v4, v4, v5, v6
	v_div_fixup_f32 v2, v4, v2, 1.0
	scratch_load_b32 v4, off, off offset:768 ; 4-byte Folded Reload
.LBB232_31:                             ; =>This Inner Loop Header: Depth=1
	ds_load_b32 v5, v3
	s_wait_loadcnt_dscnt 0x0
	v_dual_mul_f32 v5, v2, v5 :: v_dual_add_nc_u32 v4, 0x80, v4
	s_delay_alu instid0(VALU_DEP_1) | instskip(SKIP_3) | instid1(SALU_CYCLE_1)
	v_cmp_le_i32_e32 vcc_lo, s4, v4
	ds_store_b32 v3, v5
	v_add_nc_u32_e32 v3, 0x200, v3
	s_or_b32 s1, vcc_lo, s1
	s_and_not1_b32 exec_lo, exec_lo, s1
	s_cbranch_execnz .LBB232_31
.LBB232_32:
	s_or_b32 exec_lo, exec_lo, s0
	s_wait_loadcnt_dscnt 0x0
	s_barrier_signal -1
	scratch_load_b32 v2, off, off offset:768 ; 4-byte Folded Reload
	s_mul_i32 s0, s7, s19
	s_barrier_wait -1
	s_mul_i32 s18, s0, s37
	s_mov_b32 s0, exec_lo
	s_wait_loadcnt 0x0
	global_inv scope:SCOPE_SE
	v_cmpx_eq_u32_e32 0, v2
	s_cbranch_execz .LBB232_34
; %bb.33:
	s_ashr_i32 s19, s18, 31
	s_mul_i32 s40, s7, ttmp9
	s_lshl_b32 s1, s33, 2
	s_lshl_b64 s[42:43], s[18:19], 2
	s_wait_alu 0xfffe
	s_ashr_i32 s41, s40, 31
	v_mov_b32_e32 v2, s1
	s_wait_kmcnt 0x0
	s_add_nc_u64 s[14:15], s[14:15], s[42:43]
	s_wait_alu 0xfffe
	s_lshl_b64 s[40:41], s[40:41], 2
	s_add_nc_u64 s[12:13], s[12:13], s[42:43]
	s_wait_alu 0xfffe
	s_add_nc_u64 s[14:15], s[14:15], s[40:41]
	s_add_nc_u64 s[12:13], s[12:13], s[40:41]
	s_clause 0x1
	global_store_b32 v2, v0, s[14:15]
	global_store_b32 v2, v1, s[12:13]
.LBB232_34:
	s_or_b32 exec_lo, exec_lo, s0
	v_dual_mov_b32 v23, 0 :: v_dual_mov_b32 v22, 0
	v_dual_mov_b32 v21, 0 :: v_dual_mov_b32 v20, 0
	;; [unrolled: 1-line block ×22, first 2 shown]
	v_mov_b32_e32 v61, 0
	v_mov_b32_e32 v65, 0
	;; [unrolled: 1-line block ×4, first 2 shown]
	s_and_saveexec_b32 s1, s2
	s_cbranch_execz .LBB232_136
; %bb.35:
	scratch_load_b32 v0, off, off offset:768 ; 4-byte Folded Reload
	s_abs_i32 s6, s6
	s_lshl_b32 s0, s36, 2
	s_cvt_f32_u32 s4, s6
	s_wait_kmcnt 0x0
	s_wait_alu 0xfffe
	s_sub_co_i32 s15, 0x320, s0
	s_mov_b32 s13, s17
	s_sub_co_i32 s17, 0, s6
	v_rcp_iflag_f32_e32 v1, s4
	v_dual_mov_b32 v66, 0 :: v_dual_mov_b32 v63, 0
	v_dual_mov_b32 v62, 0 :: v_dual_mov_b32 v65, 0
	;; [unrolled: 1-line block ×5, first 2 shown]
	s_delay_alu instid0(TRANS32_DEP_1)
	v_readfirstlane_b32 s4, v1
	v_dual_mov_b32 v55, 0 :: v_dual_mov_b32 v58, 0
	v_dual_mov_b32 v69, 0 :: v_dual_mov_b32 v70, 0
	s_mul_f32 s0, s4, 0x4f7ffffe
	v_dual_mov_b32 v71, 0 :: v_dual_mov_b32 v72, 0
	v_dual_mov_b32 v46, 0 :: v_dual_mov_b32 v73, 0
	s_wait_alu 0xfffe
	s_cvt_u32_f32 s0, s0
	v_dual_mov_b32 v38, 0 :: v_dual_mov_b32 v75, 0
	v_dual_mov_b32 v74, 0 :: v_dual_mov_b32 v37, 0
	s_wait_alu 0xfffe
	s_mul_i32 s17, s17, s0
	v_dual_mov_b32 v76, 0 :: v_dual_mov_b32 v39, 0
	v_dual_mov_b32 v77, 0 :: v_dual_mov_b32 v78, 0
	;; [unrolled: 1-line block ×9, first 2 shown]
	v_mov_b32_e32 v27, 0
	v_mov_b32_e32 v29, 0
	;; [unrolled: 1-line block ×5, first 2 shown]
	s_lshl_b64 s[2:3], s[26:27], 2
	s_ashr_i32 s29, s28, 31
	s_wait_alu 0xfffe
	s_mul_hi_u32 s19, s0, s17
	s_sub_co_i32 s12, s39, s5
	s_add_co_i32 s14, s38, -1
	s_add_nc_u64 s[2:3], s[24:25], s[2:3]
	s_add_nc_u64 s[4:5], s[30:31], s[28:29]
	s_mov_b32 s17, 0
	s_add_co_i32 s19, s0, s19
	v_dual_mov_b32 v67, 0 :: v_dual_mov_b32 v68, 0
	v_mov_b32_e32 v54, 0
	s_wait_loadcnt 0x0
	v_lshlrev_b32_e32 v0, 2, v0
	s_delay_alu instid0(VALU_DEP_1)
	v_and_b32_e32 v1, 28, v0
	scratch_store_b32 off, v1, off offset:756 ; 4-byte Folded Spill
	v_and_b32_e32 v1, 0x7c, v0
	v_or_b32_e32 v0, 0xf80, v0
	s_clause 0x1
	scratch_store_b32 off, v1, off offset:760
	scratch_store_b32 off, v0, off offset:764
	s_branch .LBB232_38
.LBB232_36:                             ;   in Loop: Header=BB232_38 Depth=1
	s_wait_alu 0xfffe
	s_or_b32 exec_lo, exec_lo, s0
	s_wait_dscnt 0x0
	v_mul_f32_e32 v46, v1, v46
	v_mul_f32_e32 v45, v1, v45
	;; [unrolled: 1-line block ×4, first 2 shown]
	s_delay_alu instid0(VALU_DEP_4) | instskip(NEXT) | instid1(VALU_DEP_4)
	v_dual_mul_f32 v13, v1, v13 :: v_dual_fmac_f32 v46, v2, v47
	v_dual_mul_f32 v116, v1, v59 :: v_dual_fmac_f32 v45, v2, v52
	s_delay_alu instid0(VALU_DEP_4) | instskip(NEXT) | instid1(VALU_DEP_4)
	v_fmac_f32_e32 v19, v2, v18
	v_fmac_f32_e32 v17, v2, v16
	s_delay_alu instid0(VALU_DEP_3) | instskip(NEXT) | instid1(VALU_DEP_4)
	v_dual_mul_f32 v43, v1, v43 :: v_dual_fmac_f32 v116, v2, v58
	v_dual_mul_f32 v114, v1, v69 :: v_dual_fmac_f32 v45, v3, v51
	v_mul_f32_e32 v16, v1, v187
	v_mul_f32_e32 v115, v1, v65
	s_delay_alu instid0(VALU_DEP_4) | instskip(NEXT) | instid1(VALU_DEP_4)
	v_dual_mul_f32 v112, v1, v74 :: v_dual_fmac_f32 v43, v2, v55
	v_fmac_f32_e32 v114, v2, v68
	v_dual_fmac_f32 v116, v3, v57 :: v_dual_fmac_f32 v45, v4, v50
	s_delay_alu instid0(VALU_DEP_4) | instskip(NEXT) | instid1(VALU_DEP_4)
	v_fmac_f32_e32 v115, v2, v64
	v_fmac_f32_e32 v112, v2, v73
	s_delay_alu instid0(VALU_DEP_4) | instskip(SKIP_1) | instid1(VALU_DEP_4)
	v_dual_fmac_f32 v114, v3, v70 :: v_dual_mul_f32 v41, v1, v41
	v_fmac_f32_e32 v43, v3, v54
	v_fmac_f32_e32 v115, v3, v66
	s_delay_alu instid0(VALU_DEP_4) | instskip(NEXT) | instid1(VALU_DEP_4)
	v_fmac_f32_e32 v112, v3, v72
	v_fmac_f32_e32 v114, v4, v67
	v_dual_fmac_f32 v116, v4, v56 :: v_dual_mul_f32 v37, v1, v37
	s_delay_alu instid0(VALU_DEP_4) | instskip(NEXT) | instid1(VALU_DEP_4)
	v_fmac_f32_e32 v115, v4, v63
	v_dual_fmac_f32 v112, v4, v71 :: v_dual_fmac_f32 v41, v2, v40
	v_dual_fmac_f32 v43, v4, v53 :: v_dual_mul_f32 v28, v1, v28
	v_dual_mul_f32 v23, v1, v23 :: v_dual_fmac_f32 v16, v2, v186
	s_delay_alu instid0(VALU_DEP_3) | instskip(SKIP_1) | instid1(VALU_DEP_4)
	v_fmac_f32_e32 v41, v3, v44
	v_fmac_f32_e32 v13, v2, v12
	;; [unrolled: 1-line block ×4, first 2 shown]
	v_dual_fmac_f32 v23, v2, v22 :: v_dual_mul_f32 v12, v1, v60
	v_mul_f32_e32 v18, v1, v185
	s_delay_alu instid0(VALU_DEP_4) | instskip(NEXT) | instid1(VALU_DEP_4)
	v_fmac_f32_e32 v28, v3, v29
	v_fmac_f32_e32 v37, v3, v35
	s_delay_alu instid0(VALU_DEP_4) | instskip(SKIP_2) | instid1(VALU_DEP_3)
	v_dual_fmac_f32 v23, v3, v25 :: v_dual_fmac_f32 v12, v2, v191
	v_fmac_f32_e32 v17, v3, v15
	v_dual_fmac_f32 v46, v3, v49 :: v_dual_fmac_f32 v41, v4, v42
	v_dual_fmac_f32 v37, v4, v34 :: v_dual_fmac_f32 v12, v3, v8
	v_fmac_f32_e32 v19, v3, v21
	v_dual_mul_f32 v8, v1, v177 :: v_dual_fmac_f32 v23, v4, v24
	v_fmac_f32_e32 v16, v3, v190
	s_delay_alu instid0(VALU_DEP_4) | instskip(NEXT) | instid1(VALU_DEP_4)
	v_fmac_f32_e32 v12, v4, v7
	v_fmac_f32_e32 v19, v4, v20
	s_delay_alu instid0(VALU_DEP_4) | instskip(SKIP_2) | instid1(VALU_DEP_3)
	v_dual_fmac_f32 v8, v2, v176 :: v_dual_fmac_f32 v17, v4, v14
	v_mul_f32_e32 v14, v1, v173
	v_dual_mul_f32 v20, v1, v165 :: v_dual_fmac_f32 v13, v3, v62
	v_fmac_f32_e32 v8, v3, v175
	v_mul_f32_e32 v22, v1, v157
	s_delay_alu instid0(VALU_DEP_4) | instskip(NEXT) | instid1(VALU_DEP_4)
	v_fmac_f32_e32 v14, v2, v172
	v_dual_fmac_f32 v20, v2, v164 :: v_dual_mul_f32 v7, v1, v181
	v_fmac_f32_e32 v13, v4, v61
	v_fmac_f32_e32 v8, v4, v174
	s_delay_alu instid0(VALU_DEP_4) | instskip(NEXT) | instid1(VALU_DEP_4)
	v_dual_fmac_f32 v14, v3, v171 :: v_dual_mul_f32 v15, v1, v169
	v_dual_fmac_f32 v20, v3, v163 :: v_dual_fmac_f32 v7, v2, v180
	v_fmac_f32_e32 v22, v2, v156
	s_delay_alu instid0(VALU_DEP_3) | instskip(NEXT) | instid1(VALU_DEP_3)
	v_dual_fmac_f32 v14, v4, v170 :: v_dual_fmac_f32 v15, v2, v168
	v_dual_fmac_f32 v20, v4, v162 :: v_dual_fmac_f32 v7, v3, v179
	s_delay_alu instid0(VALU_DEP_3) | instskip(NEXT) | instid1(VALU_DEP_3)
	v_dual_mul_f32 v21, v1, v161 :: v_dual_fmac_f32 v22, v3, v155
	v_dual_fmac_f32 v15, v3, v167 :: v_dual_mul_f32 v24, v1, v153
	s_delay_alu instid0(VALU_DEP_3) | instskip(NEXT) | instid1(VALU_DEP_3)
	v_fmac_f32_e32 v7, v4, v178
	v_fmac_f32_e32 v21, v2, v160
	v_mul_f32_e32 v25, v1, v146
	s_delay_alu instid0(VALU_DEP_4) | instskip(SKIP_2) | instid1(VALU_DEP_3)
	v_dual_fmac_f32 v15, v4, v166 :: v_dual_fmac_f32 v24, v2, v0
	v_mul_f32_e32 v0, v1, v150
	v_dual_fmac_f32 v46, v4, v48 :: v_dual_mul_f32 v33, v1, v33
	v_dual_fmac_f32 v25, v2, v145 :: v_dual_fmac_f32 v24, v3, v152
	s_delay_alu instid0(VALU_DEP_3) | instskip(NEXT) | instid1(VALU_DEP_3)
	v_dual_fmac_f32 v0, v2, v149 :: v_dual_fmac_f32 v21, v3, v159
	v_dual_fmac_f32 v22, v4, v154 :: v_dual_fmac_f32 v33, v2, v32
	v_fmac_f32_e32 v28, v4, v26
	s_delay_alu instid0(VALU_DEP_3) | instskip(SKIP_1) | instid1(VALU_DEP_4)
	v_dual_fmac_f32 v0, v3, v148 :: v_dual_fmac_f32 v21, v4, v158
	v_dual_fmac_f32 v25, v3, v144 :: v_dual_fmac_f32 v24, v4, v151
	;; [unrolled: 1-line block ×3, first 2 shown]
	s_delay_alu instid0(VALU_DEP_3) | instskip(NEXT) | instid1(VALU_DEP_3)
	v_dual_fmac_f32 v0, v4, v147 :: v_dual_mul_f32 v27, v1, v138
	v_dual_fmac_f32 v25, v4, v143 :: v_dual_mul_f32 v26, v1, v142
	s_delay_alu instid0(VALU_DEP_3) | instskip(NEXT) | instid1(VALU_DEP_3)
	v_dual_fmac_f32 v18, v2, v184 :: v_dual_fmac_f32 v33, v4, v30
	v_dual_fmac_f32 v27, v2, v137 :: v_dual_mul_f32 v30, v1, v130
	s_delay_alu instid0(VALU_DEP_3) | instskip(SKIP_2) | instid1(VALU_DEP_4)
	v_dual_fmac_f32 v26, v2, v141 :: v_dual_mul_f32 v29, v1, v134
	v_mul_f32_e32 v31, v1, v126
	v_mul_f32_e32 v32, v1, v122
	v_fmac_f32_e32 v30, v2, v129
	s_delay_alu instid0(VALU_DEP_4) | instskip(NEXT) | instid1(VALU_DEP_4)
	v_dual_fmac_f32 v26, v3, v140 :: v_dual_fmac_f32 v29, v2, v133
	v_fmac_f32_e32 v31, v2, v125
	v_fmac_f32_e32 v27, v3, v136
	s_delay_alu instid0(VALU_DEP_4) | instskip(NEXT) | instid1(VALU_DEP_4)
	v_fmac_f32_e32 v30, v3, v128
	v_dual_mul_f32 v34, v1, v118 :: v_dual_fmac_f32 v29, v3, v132
	s_delay_alu instid0(VALU_DEP_4) | instskip(NEXT) | instid1(VALU_DEP_3)
	v_dual_fmac_f32 v31, v3, v124 :: v_dual_mul_f32 v36, v1, v106
	v_dual_fmac_f32 v30, v4, v127 :: v_dual_mul_f32 v35, v1, v110
	s_delay_alu instid0(VALU_DEP_3)
	v_fmac_f32_e32 v29, v4, v131
	v_fmac_f32_e32 v26, v4, v139
	v_dual_fmac_f32 v27, v4, v135 :: v_dual_fmac_f32 v32, v2, v121
	v_dual_fmac_f32 v31, v4, v123 :: v_dual_fmac_f32 v34, v2, v117
	v_fmac_f32_e32 v36, v2, v105
	v_dual_fmac_f32 v35, v2, v109 :: v_dual_mul_f32 v40, v1, v102
	s_delay_alu instid0(VALU_DEP_4) | instskip(NEXT) | instid1(VALU_DEP_4)
	v_dual_fmac_f32 v32, v3, v120 :: v_dual_mul_f32 v47, v1, v90
	v_dual_fmac_f32 v34, v3, v113 :: v_dual_mul_f32 v49, v1, v82
	s_delay_alu instid0(VALU_DEP_3) | instskip(NEXT) | instid1(VALU_DEP_3)
	v_dual_fmac_f32 v35, v3, v108 :: v_dual_fmac_f32 v40, v2, v101
	v_dual_fmac_f32 v36, v3, v104 :: v_dual_fmac_f32 v47, v2, v89
	s_delay_alu instid0(VALU_DEP_3) | instskip(NEXT) | instid1(VALU_DEP_3)
	v_fmac_f32_e32 v49, v2, v81
	v_dual_fmac_f32 v35, v4, v107 :: v_dual_fmac_f32 v40, v3, v100
	s_delay_alu instid0(VALU_DEP_3) | instskip(NEXT) | instid1(VALU_DEP_3)
	v_dual_fmac_f32 v32, v4, v119 :: v_dual_fmac_f32 v47, v3, v88
	v_dual_fmac_f32 v34, v4, v111 :: v_dual_fmac_f32 v49, v3, v80
	v_mul_f32_e32 v42, v1, v98
	s_clause 0x2
	scratch_load_b32 v51, off, off offset:176 th:TH_LOAD_LU
	scratch_load_b32 v59, off, off offset:352 th:TH_LOAD_LU
	scratch_load_b32 v73, off, off offset:544 th:TH_LOAD_LU
	v_dual_fmac_f32 v47, v4, v87 :: v_dual_fmac_f32 v42, v2, v97
	v_fmac_f32_e32 v49, v4, v79
	s_clause 0x1
	scratch_load_b32 v79, off, off offset:688 th:TH_LOAD_LU
	scratch_load_b32 v52, off, off offset:160 th:TH_LOAD_LU
	v_mul_f32_e32 v50, v1, v78
	v_fmac_f32_e32 v42, v3, v96
	v_mul_f32_e32 v44, v1, v94
	v_mul_f32_e32 v48, v1, v86
	v_fmac_f32_e32 v18, v3, v183
	s_clause 0x4
	scratch_load_b32 v65, off, off offset:304 th:TH_LOAD_LU
	scratch_load_b32 v70, off, off offset:480 th:TH_LOAD_LU
	;; [unrolled: 1-line block ×5, first 2 shown]
	v_fmac_f32_e32 v18, v4, v182
	s_clause 0x10
	scratch_load_b32 v74, off, off offset:576 th:TH_LOAD_LU
	scratch_load_b32 v57, off, off offset:384 th:TH_LOAD_LU
	;; [unrolled: 1-line block ×17, first 2 shown]
	s_wait_loadcnt 0x1a
	v_mul_f32_e32 v51, v1, v51
	s_wait_loadcnt 0x19
	v_dual_fmac_f32 v36, v4, v103 :: v_dual_add_f32 v59, v59, v41
	v_fmac_f32_e32 v50, v2, v77
	s_clause 0x1
	scratch_load_b32 v77, off, off offset:656 th:TH_LOAD_LU
	scratch_load_b32 v53, off, off offset:96 th:TH_LOAD_LU
	s_wait_loadcnt 0x19
	v_add_f32_e32 v79, v79, v30
	s_wait_loadcnt 0x18
	v_fmac_f32_e32 v51, v2, v52
	s_clause 0x3
	scratch_load_b32 v52, off, off offset:112 th:TH_LOAD_LU
	scratch_load_b32 v30, off, off offset:728 th:TH_LOAD_LU
	scratch_load_b32 v54, off, off offset:32 th:TH_LOAD_LU
	scratch_load_b32 v41, off, off offset:676 th:TH_LOAD_LU
	v_add_f32_e32 v73, v73, v8
	s_wait_loadcnt 0x1b
	v_add_f32_e32 v65, v65, v43
	scratch_load_b32 v43, off, off offset:680 th:TH_LOAD_LU ; 4-byte Folded Reload
	s_wait_loadcnt 0x19
	v_dual_add_f32 v63, v63, v114 :: v_dual_add_f32 v56, v56, v19
	s_wait_loadcnt 0x18
	v_add_f32_e32 v76, v76, v22
	scratch_load_b32 v22, off, off offset:744 th:TH_LOAD_LU ; 4-byte Folded Reload
	s_wait_loadcnt 0x16
	v_add_f32_e32 v80, v80, v31
	scratch_load_b32 v31, off, off offset:732 th:TH_LOAD_LU ; 4-byte Folded Reload
	v_add_f32_e32 v70, v70, v12
	s_wait_loadcnt 0x16
	v_add_f32_e32 v60, v60, v46
	scratch_load_b32 v46, off, off offset:528 th:TH_LOAD_LU ; 4-byte Folded Reload
	s_wait_loadcnt 0x12
	v_add_f32_e32 v55, v55, v23
	s_wait_loadcnt 0x11
	v_add_f32_e32 v75, v75, v20
	s_clause 0x1
	scratch_load_b32 v20, off, off offset:736 th:TH_LOAD_LU
	scratch_load_b32 v23, off, off offset:748 th:TH_LOAD_LU
	s_wait_loadcnt 0x12
	v_add_f32_e32 v81, v81, v32
	s_wait_loadcnt 0xb
	v_add_f32_e32 v77, v77, v0
	s_wait_loadcnt 0x9
	v_mul_f32_e32 v52, v1, v52
	s_wait_loadcnt 0x6
	v_add_f32_e32 v41, v41, v26
	scratch_load_b32 v26, off, off offset:712 th:TH_LOAD_LU ; 4-byte Folded Reload
	v_fmac_f32_e32 v52, v2, v53
	scratch_load_b32 v53, off, off offset:48 th:TH_LOAD_LU ; 4-byte Folded Reload
	v_fmac_f32_e32 v40, v4, v99
	s_wait_loadcnt 0x7
	v_add_f32_e32 v43, v43, v27
	scratch_load_b32 v27, off, off offset:716 th:TH_LOAD_LU ; 4-byte Folded Reload
	v_add_f32_e32 v61, v61, v45
	scratch_load_b32 v45, off, off offset:684 th:TH_LOAD_LU ; 4-byte Folded Reload
	v_add_f32_e32 v71, v71, v16
	s_wait_loadcnt 0x7
	v_add_f32_e32 v31, v31, v49
	s_wait_loadcnt 0x2
	v_mul_f32_e32 v53, v1, v53
	v_dual_mul_f32 v1, v1, v6 :: v_dual_fmac_f32 v42, v4, v95
	s_delay_alu instid0(VALU_DEP_2) | instskip(NEXT) | instid1(VALU_DEP_2)
	v_fmac_f32_e32 v53, v2, v54
	v_fmac_f32_e32 v1, v2, v5
	;; [unrolled: 1-line block ×3, first 2 shown]
	scratch_load_b32 v54, off, off offset:400 th:TH_LOAD_LU ; 4-byte Folded Reload
	s_wait_loadcnt 0x2
	v_add_f32_e32 v27, v27, v42
	v_dual_fmac_f32 v1, v3, v39 :: v_dual_fmac_f32 v48, v2, v85
	s_clause 0x1
	scratch_load_b32 v2, off, off offset:208 th:TH_LOAD_LU
	scratch_load_b32 v39, off, off offset:640 th:TH_LOAD_LU
	v_add_f32_e32 v64, v64, v116
	v_fmac_f32_e32 v1, v4, v38
	scratch_load_b32 v38, off, off offset:560 th:TH_LOAD_LU ; 4-byte Folded Reload
	v_add_f32_e32 v68, v68, v37
	v_add_f32_e32 v57, v57, v33
	s_clause 0x1
	scratch_load_b32 v37, off, off offset:608 th:TH_LOAD_LU
	scratch_load_b32 v33, off, off offset:700 th:TH_LOAD_LU
	s_wait_loadcnt 0x4
	v_dual_add_f32 v69, v69, v13 :: v_dual_fmac_f32 v50, v3, v2
	scratch_load_b32 v2, off, off offset:144 th:TH_LOAD_LU ; 4-byte Folded Reload
	s_wait_loadcnt 0x4
	v_add_f32_e32 v39, v39, v24
	s_wait_loadcnt 0x0
	v_fmac_f32_e32 v51, v3, v2
	scratch_load_b32 v2, off, off offset:80 th:TH_LOAD_LU ; 4-byte Folded Reload
	s_wait_loadcnt 0x0
	v_fmac_f32_e32 v52, v3, v2
	scratch_load_b32 v2, off, off offset:16 th:TH_LOAD_LU ; 4-byte Folded Reload
	;; [unrolled: 3-line block ×4, first 2 shown]
	v_fmac_f32_e32 v44, v3, v92
	v_add_f32_e32 v20, v20, v50
	s_wait_loadcnt 0x0
	v_fmac_f32_e32 v51, v4, v2
	scratch_load_b32 v2, off, off offset:64 th:TH_LOAD_LU ; 4-byte Folded Reload
	v_add_f32_e32 v78, v78, v25
	scratch_load_b32 v25, off, off offset:708 th:TH_LOAD_LU ; 4-byte Folded Reload
	v_dual_add_f32 v66, v66, v112 :: v_dual_add_f32 v37, v37, v21
	v_dual_add_f32 v46, v46, v7 :: v_dual_add_f32 v33, v33, v34
	s_clause 0x2
	scratch_load_b32 v34, off, off offset:704 th:TH_LOAD_LU
	scratch_load_b32 v21, off, off offset:740 th:TH_LOAD_LU
	;; [unrolled: 1-line block ×3, first 2 shown]
	v_dual_add_f32 v54, v54, v28 :: v_dual_add_f32 v45, v45, v29
	s_clause 0x1
	scratch_load_b32 v28, off, off offset:720 th:TH_LOAD_LU
	scratch_load_b32 v29, off, off offset:724 th:TH_LOAD_LU
	v_fmac_f32_e32 v44, v4, v91
	v_add_f32_e32 v62, v62, v115
	v_add_f32_e32 v58, v58, v17
	;; [unrolled: 1-line block ×6, first 2 shown]
	s_wait_loadcnt 0x6
	v_fmac_f32_e32 v52, v4, v2
	scratch_load_b32 v2, off, off th:TH_LOAD_LU ; 4-byte Folded Reload
	v_fmac_f32_e32 v48, v3, v84
	s_wait_loadcnt 0x6
	v_add_f32_e32 v25, v25, v36
	s_wait_loadcnt 0x4
	v_dual_add_f32 v22, v22, v52 :: v_dual_add_f32 v21, v21, v51
	s_wait_loadcnt 0x2
	v_dual_add_f32 v67, v67, v1 :: v_dual_add_f32 v28, v28, v44
	s_wait_loadcnt 0x1
	v_add_f32_e32 v29, v29, v47
	s_wait_loadcnt 0x0
	v_fmac_f32_e32 v53, v4, v2
	v_fmac_f32_e32 v48, v4, v83
	s_delay_alu instid0(VALU_DEP_2) | instskip(NEXT) | instid1(VALU_DEP_2)
	v_dual_add_f32 v34, v34, v35 :: v_dual_add_f32 v23, v23, v53
	v_add_f32_e32 v30, v30, v48
.LBB232_37:                             ;   in Loop: Header=BB232_38 Depth=1
	s_wait_alu 0xfffe
	s_or_b32 exec_lo, exec_lo, s24
	v_add_nc_u32_e32 v189, 4, v189
	s_delay_alu instid0(VALU_DEP_1)
	v_cmp_le_i32_e32 vcc_lo, s35, v189
	s_or_b32 s17, vcc_lo, s17
	s_wait_alu 0xfffe
	s_and_not1_b32 exec_lo, exec_lo, s17
	s_cbranch_execz .LBB232_135
.LBB232_38:                             ; =>This Inner Loop Header: Depth=1
	v_lshlrev_b32_e32 v0, 5, v189
	s_delay_alu instid0(VALU_DEP_1) | instskip(NEXT) | instid1(VALU_DEP_1)
	v_sub_nc_u32_e32 v1, 0, v0
	v_max_i32_e32 v1, v0, v1
	s_delay_alu instid0(VALU_DEP_1) | instskip(NEXT) | instid1(VALU_DEP_1)
	v_mul_hi_u32 v2, v1, s22
	v_mul_lo_u32 v3, v2, s16
	s_delay_alu instid0(VALU_DEP_1) | instskip(SKIP_1) | instid1(VALU_DEP_2)
	v_sub_nc_u32_e32 v1, v1, v3
	v_add_nc_u32_e32 v3, 1, v2
	v_subrev_nc_u32_e32 v4, s16, v1
	v_cmp_le_u32_e32 vcc_lo, s16, v1
	s_wait_alu 0xfffd
	s_delay_alu instid0(VALU_DEP_2) | instskip(SKIP_1) | instid1(VALU_DEP_2)
	v_dual_cndmask_b32 v2, v2, v3 :: v_dual_cndmask_b32 v1, v1, v4
	v_ashrrev_i32_e32 v3, 31, v0
	v_add_nc_u32_e32 v4, 1, v2
	s_delay_alu instid0(VALU_DEP_3) | instskip(NEXT) | instid1(VALU_DEP_3)
	v_cmp_le_u32_e32 vcc_lo, s16, v1
	v_xor_b32_e32 v3, s23, v3
	s_wait_alu 0xfffd
	s_delay_alu instid0(VALU_DEP_3) | instskip(NEXT) | instid1(VALU_DEP_1)
	v_cndmask_b32_e32 v1, v2, v4, vcc_lo
	v_xor_b32_e32 v1, v1, v3
	s_delay_alu instid0(VALU_DEP_1) | instskip(NEXT) | instid1(VALU_DEP_1)
	v_sub_nc_u32_e32 v1, v1, v3
	v_add_nc_u32_e32 v2, s21, v1
	s_wait_alu 0xfffe
	v_cmp_lt_i32_e64 s0, s12, v1
	s_delay_alu instid0(VALU_DEP_2) | instskip(NEXT) | instid1(VALU_DEP_1)
	v_sub_nc_u32_e32 v3, 0, v2
	v_max_i32_e32 v3, v2, v3
	s_delay_alu instid0(VALU_DEP_1) | instskip(NEXT) | instid1(VALU_DEP_1)
	v_mul_hi_u32 v4, v3, s19
	v_mul_lo_u32 v4, v4, s6
	s_delay_alu instid0(VALU_DEP_1) | instskip(NEXT) | instid1(VALU_DEP_1)
	v_sub_nc_u32_e32 v3, v3, v4
	v_subrev_nc_u32_e32 v4, s6, v3
	v_cmp_le_u32_e32 vcc_lo, s6, v3
	s_wait_alu 0xfffd
	s_delay_alu instid0(VALU_DEP_2) | instskip(NEXT) | instid1(VALU_DEP_1)
	v_cndmask_b32_e32 v3, v3, v4, vcc_lo
	v_subrev_nc_u32_e32 v4, s6, v3
	v_cmp_le_u32_e32 vcc_lo, s6, v3
	s_wait_alu 0xfffd
	s_delay_alu instid0(VALU_DEP_2) | instskip(SKIP_1) | instid1(VALU_DEP_1)
	v_cndmask_b32_e32 v3, v3, v4, vcc_lo
	v_ashrrev_i32_e32 v2, 31, v2
	v_xor_b32_e32 v3, v3, v2
	s_delay_alu instid0(VALU_DEP_1) | instskip(NEXT) | instid1(VALU_DEP_1)
	v_sub_nc_u32_e32 v2, v3, v2
	v_cmp_eq_u32_e32 vcc_lo, 0, v2
	s_or_b32 s0, vcc_lo, s0
	s_wait_alu 0xfffe
	s_and_saveexec_b32 s24, s0
	s_cbranch_execz .LBB232_37
; %bb.39:                               ;   in Loop: Header=BB232_38 Depth=1
	v_ashrrev_i32_e32 v190, 31, v189
	s_clause 0x1f
	scratch_store_b32 off, v23, off offset:748
	scratch_store_b32 off, v22, off offset:744
	;; [unrolled: 1-line block ×32, first 2 shown]
	s_clause 0xf
	scratch_store_b32 off, v69, off offset:464
	scratch_store_b32 off, v58, off offset:448
	;; [unrolled: 1-line block ×16, first 2 shown]
	v_lshlrev_b64_e32 v[1:2], 2, v[189:190]
	s_delay_alu instid0(VALU_DEP_1) | instskip(SKIP_1) | instid1(VALU_DEP_2)
	v_add_co_u32 v1, vcc_lo, s2, v1
	s_wait_alu 0xfffd
	v_add_co_ci_u32_e64 v2, null, s3, v2, vcc_lo
	global_load_b32 v1, v[1:2], off
	s_wait_loadcnt 0x0
	v_mad_co_i64_i32 v[7:8], null, v1, s13, s[4:5]
	scratch_load_b32 v1, off, off offset:760 ; 4-byte Folded Reload
	s_wait_loadcnt 0x0
	v_add_co_u32 v5, vcc_lo, v7, v1
	s_wait_alu 0xfffd
	v_add_co_ci_u32_e64 v6, null, 0, v8, vcc_lo
	v_cmp_eq_u32_e32 vcc_lo, s14, v189
	global_load_b32 v12, v[5:6], off
	scratch_load_b32 v1, off, off offset:756 ; 4-byte Folded Reload
	s_load_b32 s25, s[10:11], 0x0
	s_wait_loadcnt 0x1
	v_lshrrev_b32_e32 v14, 16, v12
	s_wait_loadcnt 0x0
	v_or_b32_e32 v112, v0, v1
	s_delay_alu instid0(VALU_DEP_2) | instskip(NEXT) | instid1(VALU_DEP_2)
	v_cvt_pk_f32_fp8_e32 v[14:15], v14
	v_lshl_add_u32 v0, v112, 2, s15
	v_or_b32_e32 v115, 1, v112
	v_or_b32_e32 v114, 2, v112
	;; [unrolled: 1-line block ×3, first 2 shown]
	ds_load_b128 v[1:4], v0
	v_and_b32_e32 v0, 0xffff, v12
	s_delay_alu instid0(VALU_DEP_1) | instskip(SKIP_1) | instid1(VALU_DEP_1)
	v_cvt_pk_f32_fp8_e32 v[12:13], v0
	s_wait_kmcnt 0x0
	v_mul_f32_e32 v0, s25, v12
	scratch_store_b32 off, v0, off offset:48 ; 4-byte Folded Spill
	v_mul_f32_e32 v0, s25, v13
	scratch_store_b32 off, v0, off offset:32 ; 4-byte Folded Spill
	;; [unrolled: 2-line block ×3, first 2 shown]
	v_mul_f32_e32 v0, s25, v15
	scratch_store_b32 off, v0, off          ; 4-byte Folded Spill
	s_and_saveexec_b32 s26, vcc_lo
	s_cbranch_execz .LBB232_41
; %bb.40:                               ;   in Loop: Header=BB232_38 Depth=1
	scratch_load_b32 v0, off, off offset:48 ; 4-byte Folded Reload
	v_cmp_gt_i32_e64 s0, s34, v112
	s_wait_loadcnt 0x0
	s_wait_alu 0xf1ff
	s_delay_alu instid0(VALU_DEP_1)
	v_cndmask_b32_e64 v0, 0, v0, s0
	v_cmp_gt_i32_e64 s0, s34, v115
	scratch_store_b32 off, v0, off offset:48 ; 4-byte Folded Spill
	scratch_load_b32 v0, off, off offset:32 ; 4-byte Folded Reload
	s_wait_loadcnt 0x0
	s_wait_alu 0xf1ff
	v_cndmask_b32_e64 v0, 0, v0, s0
	v_cmp_gt_i32_e64 s0, s34, v114
	scratch_store_b32 off, v0, off offset:32 ; 4-byte Folded Spill
	scratch_load_b32 v0, off, off offset:16 ; 4-byte Folded Reload
	s_wait_loadcnt 0x0
	s_wait_alu 0xf1ff
	v_cndmask_b32_e64 v0, 0, v0, s0
	v_cmp_gt_i32_e64 s0, s34, v116
	scratch_store_b32 off, v0, off offset:16 ; 4-byte Folded Spill
	scratch_load_b32 v0, off, off           ; 4-byte Folded Reload
	s_wait_loadcnt 0x0
	s_wait_alu 0xf1ff
	v_cndmask_b32_e64 v0, 0, v0, s0
	scratch_store_b32 off, v0, off          ; 4-byte Folded Spill
.LBB232_41:                             ;   in Loop: Header=BB232_38 Depth=1
	s_wait_alu 0xfffe
	s_or_b32 exec_lo, exec_lo, s26
	global_load_b32 v0, v[5:6], off offset:128
	s_mov_b32 s26, s25
	s_wait_loadcnt 0x0
	v_and_b32_e32 v12, 0xffff, v0
	v_lshrrev_b32_e32 v0, 16, v0
	s_delay_alu instid0(VALU_DEP_2) | instskip(NEXT) | instid1(VALU_DEP_2)
	v_cvt_pk_f32_fp8_e32 v[12:13], v12
	v_cvt_pk_f32_fp8_e32 v[14:15], v0
	s_delay_alu instid0(VALU_DEP_2)
	v_mul_f32_e32 v0, s25, v12
	scratch_store_b32 off, v0, off offset:112 ; 4-byte Folded Spill
	s_wait_alu 0xfffe
	v_mul_f32_e32 v0, s26, v13
	scratch_store_b32 off, v0, off offset:96 ; 4-byte Folded Spill
	v_mul_f32_e32 v0, s25, v14
	scratch_store_b32 off, v0, off offset:80 ; 4-byte Folded Spill
	v_mul_f32_e32 v0, s26, v15
	scratch_store_b32 off, v0, off offset:64 ; 4-byte Folded Spill
	s_and_saveexec_b32 s27, vcc_lo
	s_cbranch_execz .LBB232_43
; %bb.42:                               ;   in Loop: Header=BB232_38 Depth=1
	scratch_load_b32 v0, off, off offset:112 ; 4-byte Folded Reload
	v_cmp_gt_i32_e64 s0, s34, v112
	s_wait_loadcnt 0x0
	s_wait_alu 0xf1ff
	s_delay_alu instid0(VALU_DEP_1)
	v_cndmask_b32_e64 v0, 0, v0, s0
	v_cmp_gt_i32_e64 s0, s34, v115
	scratch_store_b32 off, v0, off offset:112 ; 4-byte Folded Spill
	scratch_load_b32 v0, off, off offset:96 ; 4-byte Folded Reload
	s_wait_loadcnt 0x0
	s_wait_alu 0xf1ff
	v_cndmask_b32_e64 v0, 0, v0, s0
	v_cmp_gt_i32_e64 s0, s34, v114
	scratch_store_b32 off, v0, off offset:96 ; 4-byte Folded Spill
	scratch_load_b32 v0, off, off offset:80 ; 4-byte Folded Reload
	s_wait_loadcnt 0x0
	s_wait_alu 0xf1ff
	;; [unrolled: 6-line block ×3, first 2 shown]
	v_cndmask_b32_e64 v0, 0, v0, s0
	scratch_store_b32 off, v0, off offset:64 ; 4-byte Folded Spill
.LBB232_43:                             ;   in Loop: Header=BB232_38 Depth=1
	s_wait_alu 0xfffe
	s_or_b32 exec_lo, exec_lo, s27
	global_load_b32 v0, v[5:6], off offset:256
	s_wait_loadcnt 0x0
	v_and_b32_e32 v12, 0xffff, v0
	v_lshrrev_b32_e32 v0, 16, v0
	s_delay_alu instid0(VALU_DEP_2) | instskip(NEXT) | instid1(VALU_DEP_2)
	v_cvt_pk_f32_fp8_e32 v[12:13], v12
	v_cvt_pk_f32_fp8_e32 v[14:15], v0
	s_delay_alu instid0(VALU_DEP_2)
	v_mul_f32_e32 v0, s25, v12
	scratch_store_b32 off, v0, off offset:176 ; 4-byte Folded Spill
	v_mul_f32_e32 v0, s26, v13
	scratch_store_b32 off, v0, off offset:160 ; 4-byte Folded Spill
	;; [unrolled: 2-line block ×4, first 2 shown]
	s_and_saveexec_b32 s27, vcc_lo
	s_cbranch_execz .LBB232_45
; %bb.44:                               ;   in Loop: Header=BB232_38 Depth=1
	scratch_load_b32 v0, off, off offset:176 ; 4-byte Folded Reload
	v_cmp_gt_i32_e64 s0, s34, v112
	s_wait_loadcnt 0x0
	s_wait_alu 0xf1ff
	s_delay_alu instid0(VALU_DEP_1)
	v_cndmask_b32_e64 v0, 0, v0, s0
	v_cmp_gt_i32_e64 s0, s34, v115
	scratch_store_b32 off, v0, off offset:176 ; 4-byte Folded Spill
	scratch_load_b32 v0, off, off offset:160 ; 4-byte Folded Reload
	s_wait_loadcnt 0x0
	s_wait_alu 0xf1ff
	v_cndmask_b32_e64 v0, 0, v0, s0
	v_cmp_gt_i32_e64 s0, s34, v114
	scratch_store_b32 off, v0, off offset:160 ; 4-byte Folded Spill
	scratch_load_b32 v0, off, off offset:144 ; 4-byte Folded Reload
	s_wait_loadcnt 0x0
	s_wait_alu 0xf1ff
	;; [unrolled: 6-line block ×3, first 2 shown]
	v_cndmask_b32_e64 v0, 0, v0, s0
	scratch_store_b32 off, v0, off offset:128 ; 4-byte Folded Spill
.LBB232_45:                             ;   in Loop: Header=BB232_38 Depth=1
	s_wait_alu 0xfffe
	s_or_b32 exec_lo, exec_lo, s27
	global_load_b32 v0, v[5:6], off offset:384
	s_wait_loadcnt 0x0
	v_and_b32_e32 v12, 0xffff, v0
	v_lshrrev_b32_e32 v0, 16, v0
	s_delay_alu instid0(VALU_DEP_2) | instskip(NEXT) | instid1(VALU_DEP_2)
	v_cvt_pk_f32_fp8_e32 v[12:13], v12
	v_cvt_pk_f32_fp8_e32 v[14:15], v0
	s_delay_alu instid0(VALU_DEP_2) | instskip(NEXT) | instid1(VALU_DEP_2)
	v_mul_f32_e32 v78, s25, v12
	v_dual_mul_f32 v0, s25, v14 :: v_dual_mul_f32 v77, s26, v13
	scratch_store_b32 off, v0, off offset:208 ; 4-byte Folded Spill
	v_mul_f32_e32 v0, s26, v15
	scratch_store_b32 off, v0, off offset:192 ; 4-byte Folded Spill
	s_and_saveexec_b32 s27, vcc_lo
	s_cbranch_execz .LBB232_47
; %bb.46:                               ;   in Loop: Header=BB232_38 Depth=1
	scratch_load_b32 v0, off, off offset:208 ; 4-byte Folded Reload
	v_cmp_gt_i32_e64 s0, s34, v112
	s_wait_alu 0xf1ff
	s_delay_alu instid0(VALU_DEP_1) | instskip(SKIP_2) | instid1(VALU_DEP_1)
	v_cndmask_b32_e64 v78, 0, v78, s0
	v_cmp_gt_i32_e64 s0, s34, v115
	s_wait_alu 0xf1ff
	v_cndmask_b32_e64 v77, 0, v77, s0
	v_cmp_gt_i32_e64 s0, s34, v114
	s_wait_loadcnt 0x0
	s_wait_alu 0xf1ff
	s_delay_alu instid0(VALU_DEP_1)
	v_cndmask_b32_e64 v0, 0, v0, s0
	v_cmp_gt_i32_e64 s0, s34, v116
	scratch_store_b32 off, v0, off offset:208 ; 4-byte Folded Spill
	scratch_load_b32 v0, off, off offset:192 ; 4-byte Folded Reload
	s_wait_loadcnt 0x0
	s_wait_alu 0xf1ff
	v_cndmask_b32_e64 v0, 0, v0, s0
	scratch_store_b32 off, v0, off offset:192 ; 4-byte Folded Spill
.LBB232_47:                             ;   in Loop: Header=BB232_38 Depth=1
	s_wait_alu 0xfffe
	s_or_b32 exec_lo, exec_lo, s27
	global_load_b32 v0, v[5:6], off offset:512
	s_wait_loadcnt 0x0
	v_and_b32_e32 v12, 0xffff, v0
	v_lshrrev_b32_e32 v0, 16, v0
	s_delay_alu instid0(VALU_DEP_2) | instskip(NEXT) | instid1(VALU_DEP_2)
	v_cvt_pk_f32_fp8_e32 v[12:13], v12
	v_cvt_pk_f32_fp8_e32 v[14:15], v0
	s_delay_alu instid0(VALU_DEP_1) | instskip(NEXT) | instid1(VALU_DEP_2)
	v_dual_mul_f32 v82, s25, v12 :: v_dual_mul_f32 v79, s26, v15
	v_dual_mul_f32 v81, s26, v13 :: v_dual_mul_f32 v80, s25, v14
	s_and_saveexec_b32 s27, vcc_lo
	s_cbranch_execz .LBB232_49
; %bb.48:                               ;   in Loop: Header=BB232_38 Depth=1
	v_cmp_gt_i32_e64 s0, s34, v112
	s_wait_alu 0xf1ff
	s_delay_alu instid0(VALU_DEP_1) | instskip(SKIP_2) | instid1(VALU_DEP_1)
	v_cndmask_b32_e64 v82, 0, v82, s0
	v_cmp_gt_i32_e64 s0, s34, v115
	s_wait_alu 0xf1ff
	v_cndmask_b32_e64 v81, 0, v81, s0
	v_cmp_gt_i32_e64 s0, s34, v114
	s_wait_alu 0xf1ff
	s_delay_alu instid0(VALU_DEP_1) | instskip(SKIP_2) | instid1(VALU_DEP_1)
	v_cndmask_b32_e64 v80, 0, v80, s0
	v_cmp_gt_i32_e64 s0, s34, v116
	s_wait_alu 0xf1ff
	v_cndmask_b32_e64 v79, 0, v79, s0
.LBB232_49:                             ;   in Loop: Header=BB232_38 Depth=1
	s_wait_alu 0xfffe
	s_or_b32 exec_lo, exec_lo, s27
	global_load_b32 v0, v[5:6], off offset:640
	s_wait_loadcnt 0x0
	v_and_b32_e32 v12, 0xffff, v0
	v_lshrrev_b32_e32 v0, 16, v0
	s_delay_alu instid0(VALU_DEP_2) | instskip(NEXT) | instid1(VALU_DEP_2)
	v_cvt_pk_f32_fp8_e32 v[12:13], v12
	v_cvt_pk_f32_fp8_e32 v[14:15], v0
	s_delay_alu instid0(VALU_DEP_1) | instskip(NEXT) | instid1(VALU_DEP_2)
	v_dual_mul_f32 v86, s25, v12 :: v_dual_mul_f32 v83, s26, v15
	v_dual_mul_f32 v85, s26, v13 :: v_dual_mul_f32 v84, s25, v14
	s_and_saveexec_b32 s27, vcc_lo
	s_cbranch_execz .LBB232_51
; %bb.50:                               ;   in Loop: Header=BB232_38 Depth=1
	v_cmp_gt_i32_e64 s0, s34, v112
	s_wait_alu 0xf1ff
	s_delay_alu instid0(VALU_DEP_1) | instskip(SKIP_2) | instid1(VALU_DEP_1)
	v_cndmask_b32_e64 v86, 0, v86, s0
	v_cmp_gt_i32_e64 s0, s34, v115
	s_wait_alu 0xf1ff
	v_cndmask_b32_e64 v85, 0, v85, s0
	v_cmp_gt_i32_e64 s0, s34, v114
	s_wait_alu 0xf1ff
	s_delay_alu instid0(VALU_DEP_1) | instskip(SKIP_2) | instid1(VALU_DEP_1)
	v_cndmask_b32_e64 v84, 0, v84, s0
	v_cmp_gt_i32_e64 s0, s34, v116
	s_wait_alu 0xf1ff
	v_cndmask_b32_e64 v83, 0, v83, s0
.LBB232_51:                             ;   in Loop: Header=BB232_38 Depth=1
	;; [unrolled: 30-line block ×8, first 2 shown]
	s_wait_alu 0xfffe
	s_or_b32 exec_lo, exec_lo, s27
	global_load_b32 v0, v[5:6], off offset:1536
	s_wait_loadcnt 0x0
	v_and_b32_e32 v12, 0xffff, v0
	v_lshrrev_b32_e32 v0, 16, v0
	s_delay_alu instid0(VALU_DEP_2) | instskip(NEXT) | instid1(VALU_DEP_2)
	v_cvt_pk_f32_fp8_e32 v[12:13], v12
	v_cvt_pk_f32_fp8_e32 v[14:15], v0
	s_delay_alu instid0(VALU_DEP_1) | instskip(NEXT) | instid1(VALU_DEP_3)
	v_dual_mul_f32 v118, s25, v12 :: v_dual_mul_f32 v113, s25, v14
	v_mul_f32_e32 v117, s26, v13
	s_delay_alu instid0(VALU_DEP_3)
	v_mul_f32_e32 v111, s26, v15
	s_and_saveexec_b32 s27, vcc_lo
	s_cbranch_execz .LBB232_65
; %bb.64:                               ;   in Loop: Header=BB232_38 Depth=1
	v_cmp_gt_i32_e64 s0, s34, v112
	s_wait_alu 0xf1ff
	s_delay_alu instid0(VALU_DEP_1) | instskip(SKIP_2) | instid1(VALU_DEP_1)
	v_cndmask_b32_e64 v118, 0, v118, s0
	v_cmp_gt_i32_e64 s0, s34, v115
	s_wait_alu 0xf1ff
	v_cndmask_b32_e64 v117, 0, v117, s0
	v_cmp_gt_i32_e64 s0, s34, v114
	s_wait_alu 0xf1ff
	s_delay_alu instid0(VALU_DEP_1) | instskip(SKIP_2) | instid1(VALU_DEP_1)
	v_cndmask_b32_e64 v113, 0, v113, s0
	v_cmp_gt_i32_e64 s0, s34, v116
	s_wait_alu 0xf1ff
	v_cndmask_b32_e64 v111, 0, v111, s0
.LBB232_65:                             ;   in Loop: Header=BB232_38 Depth=1
	s_wait_alu 0xfffe
	s_or_b32 exec_lo, exec_lo, s27
	global_load_b32 v0, v[5:6], off offset:1664
	s_wait_loadcnt 0x0
	v_and_b32_e32 v12, 0xffff, v0
	v_lshrrev_b32_e32 v0, 16, v0
	s_delay_alu instid0(VALU_DEP_2) | instskip(NEXT) | instid1(VALU_DEP_2)
	v_cvt_pk_f32_fp8_e32 v[12:13], v12
	v_cvt_pk_f32_fp8_e32 v[14:15], v0
	s_delay_alu instid0(VALU_DEP_1) | instskip(NEXT) | instid1(VALU_DEP_2)
	v_dual_mul_f32 v122, s25, v12 :: v_dual_mul_f32 v119, s26, v15
	v_dual_mul_f32 v121, s26, v13 :: v_dual_mul_f32 v120, s25, v14
	s_and_saveexec_b32 s27, vcc_lo
	s_cbranch_execz .LBB232_67
; %bb.66:                               ;   in Loop: Header=BB232_38 Depth=1
	v_cmp_gt_i32_e64 s0, s34, v112
	s_wait_alu 0xf1ff
	s_delay_alu instid0(VALU_DEP_1) | instskip(SKIP_2) | instid1(VALU_DEP_1)
	v_cndmask_b32_e64 v122, 0, v122, s0
	v_cmp_gt_i32_e64 s0, s34, v115
	s_wait_alu 0xf1ff
	v_cndmask_b32_e64 v121, 0, v121, s0
	v_cmp_gt_i32_e64 s0, s34, v114
	s_wait_alu 0xf1ff
	s_delay_alu instid0(VALU_DEP_1) | instskip(SKIP_2) | instid1(VALU_DEP_1)
	v_cndmask_b32_e64 v120, 0, v120, s0
	v_cmp_gt_i32_e64 s0, s34, v116
	s_wait_alu 0xf1ff
	v_cndmask_b32_e64 v119, 0, v119, s0
.LBB232_67:                             ;   in Loop: Header=BB232_38 Depth=1
	s_wait_alu 0xfffe
	s_or_b32 exec_lo, exec_lo, s27
	global_load_b32 v0, v[5:6], off offset:1792
	s_wait_loadcnt 0x0
	v_and_b32_e32 v12, 0xffff, v0
	v_lshrrev_b32_e32 v0, 16, v0
	s_delay_alu instid0(VALU_DEP_2) | instskip(NEXT) | instid1(VALU_DEP_2)
	v_cvt_pk_f32_fp8_e32 v[12:13], v12
	v_cvt_pk_f32_fp8_e32 v[14:15], v0
	s_delay_alu instid0(VALU_DEP_1) | instskip(NEXT) | instid1(VALU_DEP_2)
	v_dual_mul_f32 v126, s25, v12 :: v_dual_mul_f32 v123, s26, v15
	v_dual_mul_f32 v125, s26, v13 :: v_dual_mul_f32 v124, s25, v14
	;; [unrolled: 30-line block ×8, first 2 shown]
	s_and_saveexec_b32 s27, vcc_lo
	s_cbranch_execz .LBB232_81
; %bb.80:                               ;   in Loop: Header=BB232_38 Depth=1
	v_cmp_gt_i32_e64 s0, s34, v112
	s_wait_alu 0xf1ff
	s_delay_alu instid0(VALU_DEP_1) | instskip(SKIP_2) | instid1(VALU_DEP_1)
	v_cndmask_b32_e64 v150, 0, v150, s0
	v_cmp_gt_i32_e64 s0, s34, v115
	s_wait_alu 0xf1ff
	v_cndmask_b32_e64 v149, 0, v149, s0
	v_cmp_gt_i32_e64 s0, s34, v114
	s_wait_alu 0xf1ff
	s_delay_alu instid0(VALU_DEP_1) | instskip(SKIP_2) | instid1(VALU_DEP_1)
	v_cndmask_b32_e64 v148, 0, v148, s0
	v_cmp_gt_i32_e64 s0, s34, v116
	s_wait_alu 0xf1ff
	v_cndmask_b32_e64 v147, 0, v147, s0
.LBB232_81:                             ;   in Loop: Header=BB232_38 Depth=1
	s_wait_alu 0xfffe
	s_or_b32 exec_lo, exec_lo, s27
	global_load_b32 v0, v[5:6], off offset:2688
	s_wait_loadcnt 0x0
	v_and_b32_e32 v12, 0xffff, v0
	v_lshrrev_b32_e32 v0, 16, v0
	s_delay_alu instid0(VALU_DEP_1) | instskip(NEXT) | instid1(VALU_DEP_1)
	v_cvt_pk_f32_fp8_e32 v[14:15], v0
	v_mul_f32_e32 v151, s26, v15
	s_delay_alu instid0(VALU_DEP_4) | instskip(NEXT) | instid1(VALU_DEP_1)
	v_cvt_pk_f32_fp8_e32 v[12:13], v12
	v_dual_mul_f32 v152, s25, v14 :: v_dual_mul_f32 v153, s25, v12
	s_delay_alu instid0(VALU_DEP_2)
	v_mul_f32_e32 v0, s26, v13
	s_and_saveexec_b32 s27, vcc_lo
	s_cbranch_execz .LBB232_83
; %bb.82:                               ;   in Loop: Header=BB232_38 Depth=1
	v_cmp_gt_i32_e64 s0, s34, v112
	s_wait_alu 0xf1ff
	s_delay_alu instid0(VALU_DEP_1) | instskip(SKIP_2) | instid1(VALU_DEP_1)
	v_cndmask_b32_e64 v153, 0, v153, s0
	v_cmp_gt_i32_e64 s0, s34, v115
	s_wait_alu 0xf1ff
	v_cndmask_b32_e64 v0, 0, v0, s0
	v_cmp_gt_i32_e64 s0, s34, v114
	s_wait_alu 0xf1ff
	s_delay_alu instid0(VALU_DEP_1) | instskip(SKIP_2) | instid1(VALU_DEP_1)
	v_cndmask_b32_e64 v152, 0, v152, s0
	v_cmp_gt_i32_e64 s0, s34, v116
	s_wait_alu 0xf1ff
	v_cndmask_b32_e64 v151, 0, v151, s0
.LBB232_83:                             ;   in Loop: Header=BB232_38 Depth=1
	s_wait_alu 0xfffe
	s_or_b32 exec_lo, exec_lo, s27
	global_load_b32 v12, v[5:6], off offset:2816
	s_wait_loadcnt 0x0
	v_lshrrev_b32_e32 v14, 16, v12
	s_delay_alu instid0(VALU_DEP_1) | instskip(NEXT) | instid1(VALU_DEP_1)
	v_cvt_pk_f32_fp8_e32 v[14:15], v14
	v_dual_mul_f32 v154, s26, v15 :: v_dual_and_b32 v13, 0xffff, v12
	s_delay_alu instid0(VALU_DEP_1) | instskip(NEXT) | instid1(VALU_DEP_3)
	v_cvt_pk_f32_fp8_e32 v[12:13], v13
	v_mul_f32_e32 v155, s25, v14
	s_delay_alu instid0(VALU_DEP_2)
	v_dual_mul_f32 v157, s25, v12 :: v_dual_mul_f32 v156, s26, v13
	s_and_saveexec_b32 s27, vcc_lo
	s_cbranch_execz .LBB232_85
; %bb.84:                               ;   in Loop: Header=BB232_38 Depth=1
	v_cmp_gt_i32_e64 s0, s34, v112
	s_wait_alu 0xf1ff
	s_delay_alu instid0(VALU_DEP_1) | instskip(SKIP_2) | instid1(VALU_DEP_1)
	v_cndmask_b32_e64 v157, 0, v157, s0
	v_cmp_gt_i32_e64 s0, s34, v115
	s_wait_alu 0xf1ff
	v_cndmask_b32_e64 v156, 0, v156, s0
	v_cmp_gt_i32_e64 s0, s34, v114
	s_wait_alu 0xf1ff
	s_delay_alu instid0(VALU_DEP_1) | instskip(SKIP_2) | instid1(VALU_DEP_1)
	v_cndmask_b32_e64 v155, 0, v155, s0
	v_cmp_gt_i32_e64 s0, s34, v116
	s_wait_alu 0xf1ff
	v_cndmask_b32_e64 v154, 0, v154, s0
.LBB232_85:                             ;   in Loop: Header=BB232_38 Depth=1
	s_wait_alu 0xfffe
	s_or_b32 exec_lo, exec_lo, s27
	global_load_b32 v12, v[5:6], off offset:2944
	s_wait_loadcnt 0x0
	v_lshrrev_b32_e32 v14, 16, v12
	s_delay_alu instid0(VALU_DEP_1) | instskip(NEXT) | instid1(VALU_DEP_1)
	v_cvt_pk_f32_fp8_e32 v[14:15], v14
	v_dual_mul_f32 v158, s26, v15 :: v_dual_and_b32 v13, 0xffff, v12
	s_delay_alu instid0(VALU_DEP_1) | instskip(NEXT) | instid1(VALU_DEP_3)
	v_cvt_pk_f32_fp8_e32 v[12:13], v13
	v_mul_f32_e32 v159, s25, v14
	s_delay_alu instid0(VALU_DEP_2)
	v_dual_mul_f32 v161, s25, v12 :: v_dual_mul_f32 v160, s26, v13
	;; [unrolled: 31-line block ×8, first 2 shown]
	s_and_saveexec_b32 s27, vcc_lo
	s_cbranch_execz .LBB232_99
; %bb.98:                               ;   in Loop: Header=BB232_38 Depth=1
	v_cmp_gt_i32_e64 s0, s34, v112
	s_wait_alu 0xf1ff
	s_delay_alu instid0(VALU_DEP_1) | instskip(SKIP_2) | instid1(VALU_DEP_1)
	v_cndmask_b32_e64 v185, 0, v185, s0
	v_cmp_gt_i32_e64 s0, s34, v115
	s_wait_alu 0xf1ff
	v_cndmask_b32_e64 v184, 0, v184, s0
	v_cmp_gt_i32_e64 s0, s34, v114
	s_wait_alu 0xf1ff
	s_delay_alu instid0(VALU_DEP_1) | instskip(SKIP_2) | instid1(VALU_DEP_1)
	v_cndmask_b32_e64 v183, 0, v183, s0
	v_cmp_gt_i32_e64 s0, s34, v116
	s_wait_alu 0xf1ff
	v_cndmask_b32_e64 v182, 0, v182, s0
.LBB232_99:                             ;   in Loop: Header=BB232_38 Depth=1
	s_wait_alu 0xfffe
	s_or_b32 exec_lo, exec_lo, s27
	global_load_b32 v14, v[5:6], off offset:3840
	s_wait_loadcnt 0x0
	v_and_b32_e32 v12, 0xffff, v14
	s_delay_alu instid0(VALU_DEP_1) | instskip(NEXT) | instid1(VALU_DEP_1)
	v_cvt_pk_f32_fp8_e32 v[12:13], v12
	v_dual_mul_f32 v187, s25, v12 :: v_dual_mul_f32 v186, s26, v13
	v_lshrrev_b32_e32 v12, 16, v14
	s_delay_alu instid0(VALU_DEP_1) | instskip(NEXT) | instid1(VALU_DEP_1)
	v_cvt_pk_f32_fp8_e32 v[12:13], v12
	v_mul_f32_e32 v190, s25, v12
	s_delay_alu instid0(VALU_DEP_2)
	v_mul_f32_e32 v188, s26, v13
	s_and_saveexec_b32 s27, vcc_lo
	s_cbranch_execz .LBB232_101
; %bb.100:                              ;   in Loop: Header=BB232_38 Depth=1
	v_cmp_gt_i32_e64 s0, s34, v112
	s_wait_alu 0xf1ff
	s_delay_alu instid0(VALU_DEP_1) | instskip(SKIP_2) | instid1(VALU_DEP_1)
	v_cndmask_b32_e64 v187, 0, v187, s0
	v_cmp_gt_i32_e64 s0, s34, v115
	s_wait_alu 0xf1ff
	v_cndmask_b32_e64 v186, 0, v186, s0
	v_cmp_gt_i32_e64 s0, s34, v114
	s_wait_alu 0xf1ff
	s_delay_alu instid0(VALU_DEP_1) | instskip(SKIP_2) | instid1(VALU_DEP_1)
	v_cndmask_b32_e64 v190, 0, v190, s0
	v_cmp_gt_i32_e64 s0, s34, v116
	s_wait_alu 0xf1ff
	v_cndmask_b32_e64 v188, 0, v188, s0
.LBB232_101:                            ;   in Loop: Header=BB232_38 Depth=1
	s_wait_alu 0xfffe
	s_or_b32 exec_lo, exec_lo, s27
	scratch_load_b32 v12, off, off offset:764 ; 4-byte Folded Reload
	s_wait_loadcnt 0x0
	v_add_co_u32 v7, s0, v7, v12
	s_wait_alu 0xf1ff
	v_add_co_ci_u32_e64 v8, null, 0, v8, s0
	global_load_b32 v7, v[7:8], off
	s_wait_loadcnt 0x0
	v_lshrrev_b32_e32 v12, 16, v7
	s_delay_alu instid0(VALU_DEP_1) | instskip(SKIP_1) | instid1(VALU_DEP_1)
	v_cvt_pk_f32_fp8_e32 v[12:13], v12
	v_and_b32_e32 v8, 0xffff, v7
	v_cvt_pk_f32_fp8_e32 v[7:8], v8
	s_delay_alu instid0(VALU_DEP_1) | instskip(NEXT) | instid1(VALU_DEP_4)
	v_dual_mul_f32 v60, s25, v7 :: v_dual_mul_f32 v191, s26, v8
	v_dual_mul_f32 v8, s25, v12 :: v_dual_mul_f32 v7, s26, v13
	s_and_saveexec_b32 s27, vcc_lo
	s_cbranch_execz .LBB232_103
; %bb.102:                              ;   in Loop: Header=BB232_38 Depth=1
	v_cmp_gt_i32_e64 s0, s34, v112
	s_wait_alu 0xf1ff
	s_delay_alu instid0(VALU_DEP_1) | instskip(SKIP_2) | instid1(VALU_DEP_1)
	v_cndmask_b32_e64 v60, 0, v60, s0
	v_cmp_gt_i32_e64 s0, s34, v115
	s_wait_alu 0xf1ff
	v_cndmask_b32_e64 v191, 0, v191, s0
	v_cmp_gt_i32_e64 s0, s34, v114
	s_wait_alu 0xf1ff
	s_delay_alu instid0(VALU_DEP_1) | instskip(SKIP_2) | instid1(VALU_DEP_1)
	v_cndmask_b32_e64 v8, 0, v8, s0
	v_cmp_gt_i32_e64 s0, s34, v116
	s_wait_alu 0xf1ff
	v_cndmask_b32_e64 v7, 0, v7, s0
.LBB232_103:                            ;   in Loop: Header=BB232_38 Depth=1
	s_wait_alu 0xfffe
	s_or_b32 exec_lo, exec_lo, s27
	global_load_b32 v15, v[5:6], off offset:4096
	s_wait_loadcnt 0x0
	v_and_b32_e32 v12, 0xffff, v15
	s_delay_alu instid0(VALU_DEP_1) | instskip(NEXT) | instid1(VALU_DEP_1)
	v_cvt_pk_f32_fp8_e32 v[13:14], v12
	v_mul_f32_e32 v12, s26, v14
	v_lshrrev_b32_e32 v14, 16, v15
	s_delay_alu instid0(VALU_DEP_3) | instskip(NEXT) | instid1(VALU_DEP_2)
	v_mul_f32_e32 v13, s25, v13
	v_cvt_pk_f32_fp8_e32 v[14:15], v14
	s_delay_alu instid0(VALU_DEP_1)
	v_dual_mul_f32 v62, s25, v14 :: v_dual_mul_f32 v61, s26, v15
	s_and_saveexec_b32 s27, vcc_lo
	s_cbranch_execz .LBB232_105
; %bb.104:                              ;   in Loop: Header=BB232_38 Depth=1
	v_cmp_gt_i32_e64 s0, s34, v112
	s_wait_alu 0xf1ff
	s_delay_alu instid0(VALU_DEP_1) | instskip(SKIP_2) | instid1(VALU_DEP_1)
	v_cndmask_b32_e64 v13, 0, v13, s0
	v_cmp_gt_i32_e64 s0, s34, v115
	s_wait_alu 0xf1ff
	v_cndmask_b32_e64 v12, 0, v12, s0
	v_cmp_gt_i32_e64 s0, s34, v114
	s_wait_alu 0xf1ff
	s_delay_alu instid0(VALU_DEP_1) | instskip(SKIP_2) | instid1(VALU_DEP_1)
	v_cndmask_b32_e64 v62, 0, v62, s0
	v_cmp_gt_i32_e64 s0, s34, v116
	s_wait_alu 0xf1ff
	v_cndmask_b32_e64 v61, 0, v61, s0
.LBB232_105:                            ;   in Loop: Header=BB232_38 Depth=1
	s_wait_alu 0xfffe
	s_or_b32 exec_lo, exec_lo, s27
	global_load_b32 v18, v[5:6], off offset:4224
	s_wait_loadcnt 0x0
	v_and_b32_e32 v14, 0xffff, v18
	s_delay_alu instid0(VALU_DEP_1) | instskip(NEXT) | instid1(VALU_DEP_1)
	v_cvt_pk_f32_fp8_e32 v[14:15], v14
	v_dual_mul_f32 v17, s25, v14 :: v_dual_mul_f32 v16, s26, v15
	v_lshrrev_b32_e32 v14, 16, v18
	s_delay_alu instid0(VALU_DEP_1) | instskip(NEXT) | instid1(VALU_DEP_1)
	v_cvt_pk_f32_fp8_e32 v[18:19], v14
	v_dual_mul_f32 v15, s25, v18 :: v_dual_mul_f32 v14, s26, v19
	s_and_saveexec_b32 s27, vcc_lo
	s_cbranch_execz .LBB232_107
; %bb.106:                              ;   in Loop: Header=BB232_38 Depth=1
	v_cmp_gt_i32_e64 s0, s34, v112
	s_wait_alu 0xf1ff
	s_delay_alu instid0(VALU_DEP_1) | instskip(SKIP_2) | instid1(VALU_DEP_1)
	v_cndmask_b32_e64 v17, 0, v17, s0
	v_cmp_gt_i32_e64 s0, s34, v115
	s_wait_alu 0xf1ff
	v_cndmask_b32_e64 v16, 0, v16, s0
	v_cmp_gt_i32_e64 s0, s34, v114
	s_wait_alu 0xf1ff
	s_delay_alu instid0(VALU_DEP_1) | instskip(SKIP_2) | instid1(VALU_DEP_1)
	v_cndmask_b32_e64 v15, 0, v15, s0
	v_cmp_gt_i32_e64 s0, s34, v116
	s_wait_alu 0xf1ff
	v_cndmask_b32_e64 v14, 0, v14, s0
.LBB232_107:                            ;   in Loop: Header=BB232_38 Depth=1
	s_wait_alu 0xfffe
	s_or_b32 exec_lo, exec_lo, s27
	global_load_b32 v21, v[5:6], off offset:4352
	s_wait_loadcnt 0x0
	v_and_b32_e32 v18, 0xffff, v21
	s_delay_alu instid0(VALU_DEP_1) | instskip(NEXT) | instid1(VALU_DEP_1)
	v_cvt_pk_f32_fp8_e32 v[19:20], v18
	v_mul_f32_e32 v18, s26, v20
	v_lshrrev_b32_e32 v20, 16, v21
	s_delay_alu instid0(VALU_DEP_3) | instskip(NEXT) | instid1(VALU_DEP_2)
	v_mul_f32_e32 v19, s25, v19
	v_cvt_pk_f32_fp8_e32 v[21:22], v20
	s_delay_alu instid0(VALU_DEP_1)
	v_dual_mul_f32 v21, s25, v21 :: v_dual_mul_f32 v20, s26, v22
	s_and_saveexec_b32 s27, vcc_lo
	s_cbranch_execz .LBB232_109
; %bb.108:                              ;   in Loop: Header=BB232_38 Depth=1
	v_cmp_gt_i32_e64 s0, s34, v112
	s_wait_alu 0xf1ff
	s_delay_alu instid0(VALU_DEP_1) | instskip(SKIP_2) | instid1(VALU_DEP_1)
	v_cndmask_b32_e64 v19, 0, v19, s0
	v_cmp_gt_i32_e64 s0, s34, v115
	s_wait_alu 0xf1ff
	v_cndmask_b32_e64 v18, 0, v18, s0
	v_cmp_gt_i32_e64 s0, s34, v114
	s_wait_alu 0xf1ff
	s_delay_alu instid0(VALU_DEP_1) | instskip(SKIP_2) | instid1(VALU_DEP_1)
	v_cndmask_b32_e64 v21, 0, v21, s0
	v_cmp_gt_i32_e64 s0, s34, v116
	s_wait_alu 0xf1ff
	v_cndmask_b32_e64 v20, 0, v20, s0
.LBB232_109:                            ;   in Loop: Header=BB232_38 Depth=1
	s_wait_alu 0xfffe
	s_or_b32 exec_lo, exec_lo, s27
	global_load_b32 v25, v[5:6], off offset:4480
	s_wait_loadcnt 0x0
	v_and_b32_e32 v22, 0xffff, v25
	s_delay_alu instid0(VALU_DEP_1) | instskip(NEXT) | instid1(VALU_DEP_1)
	v_cvt_pk_f32_fp8_e32 v[23:24], v22
	v_mul_f32_e32 v22, s26, v24
	v_lshrrev_b32_e32 v24, 16, v25
	s_delay_alu instid0(VALU_DEP_3) | instskip(NEXT) | instid1(VALU_DEP_2)
	v_mul_f32_e32 v23, s25, v23
	v_cvt_pk_f32_fp8_e32 v[25:26], v24
	s_delay_alu instid0(VALU_DEP_1)
	;; [unrolled: 32-line block ×3, first 2 shown]
	v_dual_mul_f32 v29, s25, v29 :: v_dual_mul_f32 v26, s26, v30
	s_and_saveexec_b32 s27, vcc_lo
	s_cbranch_execz .LBB232_113
; %bb.112:                              ;   in Loop: Header=BB232_38 Depth=1
	v_cmp_gt_i32_e64 s0, s34, v112
	s_wait_alu 0xf1ff
	s_delay_alu instid0(VALU_DEP_1) | instskip(SKIP_2) | instid1(VALU_DEP_1)
	v_cndmask_b32_e64 v28, 0, v28, s0
	v_cmp_gt_i32_e64 s0, s34, v115
	s_wait_alu 0xf1ff
	v_cndmask_b32_e64 v27, 0, v27, s0
	v_cmp_gt_i32_e64 s0, s34, v114
	s_wait_alu 0xf1ff
	s_delay_alu instid0(VALU_DEP_1) | instskip(SKIP_2) | instid1(VALU_DEP_1)
	v_cndmask_b32_e64 v29, 0, v29, s0
	v_cmp_gt_i32_e64 s0, s34, v116
	s_wait_alu 0xf1ff
	v_cndmask_b32_e64 v26, 0, v26, s0
.LBB232_113:                            ;   in Loop: Header=BB232_38 Depth=1
	s_wait_alu 0xfffe
	s_or_b32 exec_lo, exec_lo, s27
	global_load_b32 v34, v[5:6], off offset:4736
	s_wait_loadcnt 0x0
	v_and_b32_e32 v30, 0xffff, v34
	s_delay_alu instid0(VALU_DEP_1) | instskip(NEXT) | instid1(VALU_DEP_1)
	v_cvt_pk_f32_fp8_e32 v[30:31], v30
	v_dual_mul_f32 v33, s25, v30 :: v_dual_mul_f32 v32, s26, v31
	v_lshrrev_b32_e32 v30, 16, v34
	s_delay_alu instid0(VALU_DEP_1) | instskip(NEXT) | instid1(VALU_DEP_1)
	v_cvt_pk_f32_fp8_e32 v[34:35], v30
	v_dual_mul_f32 v31, s25, v34 :: v_dual_mul_f32 v30, s26, v35
	s_and_saveexec_b32 s27, vcc_lo
	s_cbranch_execz .LBB232_115
; %bb.114:                              ;   in Loop: Header=BB232_38 Depth=1
	v_cmp_gt_i32_e64 s0, s34, v112
	s_wait_alu 0xf1ff
	s_delay_alu instid0(VALU_DEP_1) | instskip(SKIP_2) | instid1(VALU_DEP_1)
	v_cndmask_b32_e64 v33, 0, v33, s0
	v_cmp_gt_i32_e64 s0, s34, v115
	s_wait_alu 0xf1ff
	v_cndmask_b32_e64 v32, 0, v32, s0
	v_cmp_gt_i32_e64 s0, s34, v114
	s_wait_alu 0xf1ff
	s_delay_alu instid0(VALU_DEP_1) | instskip(SKIP_2) | instid1(VALU_DEP_1)
	v_cndmask_b32_e64 v31, 0, v31, s0
	v_cmp_gt_i32_e64 s0, s34, v116
	s_wait_alu 0xf1ff
	v_cndmask_b32_e64 v30, 0, v30, s0
.LBB232_115:                            ;   in Loop: Header=BB232_38 Depth=1
	s_wait_alu 0xfffe
	s_or_b32 exec_lo, exec_lo, s27
	global_load_b32 v38, v[5:6], off offset:4864
	s_wait_loadcnt 0x0
	v_and_b32_e32 v34, 0xffff, v38
	s_delay_alu instid0(VALU_DEP_1) | instskip(NEXT) | instid1(VALU_DEP_1)
	v_cvt_pk_f32_fp8_e32 v[34:35], v34
	v_dual_mul_f32 v37, s25, v34 :: v_dual_mul_f32 v36, s26, v35
	v_lshrrev_b32_e32 v34, 16, v38
	s_delay_alu instid0(VALU_DEP_1) | instskip(NEXT) | instid1(VALU_DEP_1)
	v_cvt_pk_f32_fp8_e32 v[38:39], v34
	;; [unrolled: 30-line block ×3, first 2 shown]
	v_mul_f32_e32 v44, s25, v38
	s_delay_alu instid0(VALU_DEP_2)
	v_mul_f32_e32 v42, s26, v39
	s_and_saveexec_b32 s27, vcc_lo
	s_cbranch_execz .LBB232_119
; %bb.118:                              ;   in Loop: Header=BB232_38 Depth=1
	v_cmp_gt_i32_e64 s0, s34, v112
	s_wait_alu 0xf1ff
	s_delay_alu instid0(VALU_DEP_1) | instskip(SKIP_2) | instid1(VALU_DEP_1)
	v_cndmask_b32_e64 v41, 0, v41, s0
	v_cmp_gt_i32_e64 s0, s34, v115
	s_wait_alu 0xf1ff
	v_cndmask_b32_e64 v40, 0, v40, s0
	v_cmp_gt_i32_e64 s0, s34, v114
	s_wait_alu 0xf1ff
	s_delay_alu instid0(VALU_DEP_1) | instskip(SKIP_2) | instid1(VALU_DEP_1)
	v_cndmask_b32_e64 v44, 0, v44, s0
	v_cmp_gt_i32_e64 s0, s34, v116
	s_wait_alu 0xf1ff
	v_cndmask_b32_e64 v42, 0, v42, s0
.LBB232_119:                            ;   in Loop: Header=BB232_38 Depth=1
	s_wait_alu 0xfffe
	s_or_b32 exec_lo, exec_lo, s27
	global_load_b32 v43, v[5:6], off offset:5120
	s_wait_loadcnt 0x0
	v_and_b32_e32 v38, 0xffff, v43
	s_delay_alu instid0(VALU_DEP_1) | instskip(NEXT) | instid1(VALU_DEP_1)
	v_cvt_pk_f32_fp8_e32 v[38:39], v38
	v_dual_mul_f32 v46, s25, v38 :: v_dual_mul_f32 v47, s26, v39
	v_lshrrev_b32_e32 v38, 16, v43
	s_delay_alu instid0(VALU_DEP_1) | instskip(NEXT) | instid1(VALU_DEP_1)
	v_cvt_pk_f32_fp8_e32 v[38:39], v38
	v_dual_mul_f32 v49, s25, v38 :: v_dual_mul_f32 v48, s26, v39
	s_and_saveexec_b32 s27, vcc_lo
	s_cbranch_execz .LBB232_121
; %bb.120:                              ;   in Loop: Header=BB232_38 Depth=1
	v_cmp_gt_i32_e64 s0, s34, v112
	s_wait_alu 0xf1ff
	s_delay_alu instid0(VALU_DEP_1) | instskip(SKIP_2) | instid1(VALU_DEP_1)
	v_cndmask_b32_e64 v46, 0, v46, s0
	v_cmp_gt_i32_e64 s0, s34, v115
	s_wait_alu 0xf1ff
	v_cndmask_b32_e64 v47, 0, v47, s0
	v_cmp_gt_i32_e64 s0, s34, v114
	s_wait_alu 0xf1ff
	s_delay_alu instid0(VALU_DEP_1) | instskip(SKIP_2) | instid1(VALU_DEP_1)
	v_cndmask_b32_e64 v49, 0, v49, s0
	v_cmp_gt_i32_e64 s0, s34, v116
	s_wait_alu 0xf1ff
	v_cndmask_b32_e64 v48, 0, v48, s0
.LBB232_121:                            ;   in Loop: Header=BB232_38 Depth=1
	s_wait_alu 0xfffe
	s_or_b32 exec_lo, exec_lo, s27
	global_load_b32 v43, v[5:6], off offset:5248
	s_wait_loadcnt 0x0
	v_and_b32_e32 v38, 0xffff, v43
	s_delay_alu instid0(VALU_DEP_1) | instskip(NEXT) | instid1(VALU_DEP_1)
	v_cvt_pk_f32_fp8_e32 v[38:39], v38
	v_dual_mul_f32 v45, s25, v38 :: v_dual_mul_f32 v52, s26, v39
	v_lshrrev_b32_e32 v38, 16, v43
	s_delay_alu instid0(VALU_DEP_1) | instskip(NEXT) | instid1(VALU_DEP_1)
	v_cvt_pk_f32_fp8_e32 v[38:39], v38
	v_dual_mul_f32 v51, s25, v38 :: v_dual_mul_f32 v50, s26, v39
	s_and_saveexec_b32 s27, vcc_lo
	s_cbranch_execz .LBB232_123
; %bb.122:                              ;   in Loop: Header=BB232_38 Depth=1
	v_cmp_gt_i32_e64 s0, s34, v112
	s_wait_alu 0xf1ff
	s_delay_alu instid0(VALU_DEP_1) | instskip(SKIP_2) | instid1(VALU_DEP_1)
	v_cndmask_b32_e64 v45, 0, v45, s0
	v_cmp_gt_i32_e64 s0, s34, v115
	s_wait_alu 0xf1ff
	v_cndmask_b32_e64 v52, 0, v52, s0
	v_cmp_gt_i32_e64 s0, s34, v114
	s_wait_alu 0xf1ff
	s_delay_alu instid0(VALU_DEP_1) | instskip(SKIP_2) | instid1(VALU_DEP_1)
	v_cndmask_b32_e64 v51, 0, v51, s0
	v_cmp_gt_i32_e64 s0, s34, v116
	s_wait_alu 0xf1ff
	v_cndmask_b32_e64 v50, 0, v50, s0
.LBB232_123:                            ;   in Loop: Header=BB232_38 Depth=1
	s_wait_alu 0xfffe
	s_or_b32 exec_lo, exec_lo, s27
	global_load_b32 v53, v[5:6], off offset:5376
	s_wait_loadcnt 0x0
	v_and_b32_e32 v38, 0xffff, v53
	s_delay_alu instid0(VALU_DEP_1) | instskip(NEXT) | instid1(VALU_DEP_1)
	v_cvt_pk_f32_fp8_e32 v[38:39], v38
	v_mul_f32_e32 v43, s25, v38
	v_lshrrev_b32_e32 v38, 16, v53
	s_delay_alu instid0(VALU_DEP_3) | instskip(NEXT) | instid1(VALU_DEP_2)
	v_mul_f32_e32 v55, s26, v39
	v_cvt_pk_f32_fp8_e32 v[38:39], v38
	s_delay_alu instid0(VALU_DEP_1)
	v_dual_mul_f32 v54, s25, v38 :: v_dual_mul_f32 v53, s26, v39
	s_and_saveexec_b32 s27, vcc_lo
	s_cbranch_execz .LBB232_125
; %bb.124:                              ;   in Loop: Header=BB232_38 Depth=1
	v_cmp_gt_i32_e64 s0, s34, v112
	s_wait_alu 0xf1ff
	s_delay_alu instid0(VALU_DEP_1) | instskip(SKIP_2) | instid1(VALU_DEP_1)
	v_cndmask_b32_e64 v43, 0, v43, s0
	v_cmp_gt_i32_e64 s0, s34, v115
	s_wait_alu 0xf1ff
	v_cndmask_b32_e64 v55, 0, v55, s0
	v_cmp_gt_i32_e64 s0, s34, v114
	s_wait_alu 0xf1ff
	s_delay_alu instid0(VALU_DEP_1) | instskip(SKIP_2) | instid1(VALU_DEP_1)
	v_cndmask_b32_e64 v54, 0, v54, s0
	v_cmp_gt_i32_e64 s0, s34, v116
	s_wait_alu 0xf1ff
	v_cndmask_b32_e64 v53, 0, v53, s0
.LBB232_125:                            ;   in Loop: Header=BB232_38 Depth=1
	s_wait_alu 0xfffe
	s_or_b32 exec_lo, exec_lo, s27
	global_load_b32 v56, v[5:6], off offset:5504
	s_wait_loadcnt 0x0
	v_and_b32_e32 v38, 0xffff, v56
	s_delay_alu instid0(VALU_DEP_1) | instskip(NEXT) | instid1(VALU_DEP_1)
	v_cvt_pk_f32_fp8_e32 v[38:39], v38
	v_dual_mul_f32 v59, s25, v38 :: v_dual_mul_f32 v58, s26, v39
	v_lshrrev_b32_e32 v38, 16, v56
	s_delay_alu instid0(VALU_DEP_1) | instskip(NEXT) | instid1(VALU_DEP_1)
	v_cvt_pk_f32_fp8_e32 v[38:39], v38
	v_dual_mul_f32 v57, s25, v38 :: v_dual_mul_f32 v56, s26, v39
	s_and_saveexec_b32 s27, vcc_lo
	s_cbranch_execz .LBB232_127
; %bb.126:                              ;   in Loop: Header=BB232_38 Depth=1
	v_cmp_gt_i32_e64 s0, s34, v112
	s_wait_alu 0xf1ff
	s_delay_alu instid0(VALU_DEP_1) | instskip(SKIP_2) | instid1(VALU_DEP_1)
	v_cndmask_b32_e64 v59, 0, v59, s0
	v_cmp_gt_i32_e64 s0, s34, v115
	s_wait_alu 0xf1ff
	v_cndmask_b32_e64 v58, 0, v58, s0
	v_cmp_gt_i32_e64 s0, s34, v114
	s_wait_alu 0xf1ff
	s_delay_alu instid0(VALU_DEP_1) | instskip(SKIP_2) | instid1(VALU_DEP_1)
	v_cndmask_b32_e64 v57, 0, v57, s0
	v_cmp_gt_i32_e64 s0, s34, v116
	s_wait_alu 0xf1ff
	v_cndmask_b32_e64 v56, 0, v56, s0
.LBB232_127:                            ;   in Loop: Header=BB232_38 Depth=1
	s_wait_alu 0xfffe
	s_or_b32 exec_lo, exec_lo, s27
	global_load_b32 v63, v[5:6], off offset:5632
	s_wait_loadcnt 0x0
	v_and_b32_e32 v38, 0xffff, v63
	s_delay_alu instid0(VALU_DEP_1) | instskip(NEXT) | instid1(VALU_DEP_1)
	v_cvt_pk_f32_fp8_e32 v[38:39], v38
	v_dual_mul_f32 v65, s25, v38 :: v_dual_mul_f32 v64, s26, v39
	v_lshrrev_b32_e32 v38, 16, v63
	s_delay_alu instid0(VALU_DEP_1) | instskip(NEXT) | instid1(VALU_DEP_1)
	v_cvt_pk_f32_fp8_e32 v[38:39], v38
	;; [unrolled: 30-line block ×4, first 2 shown]
	v_dual_mul_f32 v72, s25, v38 :: v_dual_mul_f32 v71, s26, v39
	s_and_saveexec_b32 s27, vcc_lo
	s_cbranch_execz .LBB232_133
; %bb.132:                              ;   in Loop: Header=BB232_38 Depth=1
	v_cmp_gt_i32_e64 s0, s34, v112
	s_wait_alu 0xf1ff
	s_delay_alu instid0(VALU_DEP_1) | instskip(SKIP_2) | instid1(VALU_DEP_1)
	v_cndmask_b32_e64 v74, 0, v74, s0
	v_cmp_gt_i32_e64 s0, s34, v115
	s_wait_alu 0xf1ff
	v_cndmask_b32_e64 v73, 0, v73, s0
	v_cmp_gt_i32_e64 s0, s34, v114
	s_wait_alu 0xf1ff
	s_delay_alu instid0(VALU_DEP_1) | instskip(SKIP_2) | instid1(VALU_DEP_1)
	v_cndmask_b32_e64 v72, 0, v72, s0
	v_cmp_gt_i32_e64 s0, s34, v116
	s_wait_alu 0xf1ff
	v_cndmask_b32_e64 v71, 0, v71, s0
.LBB232_133:                            ;   in Loop: Header=BB232_38 Depth=1
	s_wait_alu 0xfffe
	s_or_b32 exec_lo, exec_lo, s27
	global_load_b32 v75, v[5:6], off offset:6016
	s_wait_loadcnt 0x0
	v_and_b32_e32 v5, 0xffff, v75
	s_delay_alu instid0(VALU_DEP_1) | instskip(NEXT) | instid1(VALU_DEP_1)
	v_cvt_pk_f32_fp8_e32 v[38:39], v5
	v_mul_f32_e32 v6, s25, v38
	v_lshrrev_b32_e32 v38, 16, v75
	s_delay_alu instid0(VALU_DEP_1) | instskip(NEXT) | instid1(VALU_DEP_1)
	v_cvt_pk_f32_fp8_e32 v[75:76], v38
	v_dual_mul_f32 v5, s26, v39 :: v_dual_mul_f32 v38, s26, v76
	s_delay_alu instid0(VALU_DEP_2)
	v_mul_f32_e32 v39, s25, v75
	s_and_saveexec_b32 s0, vcc_lo
	s_cbranch_execz .LBB232_36
; %bb.134:                              ;   in Loop: Header=BB232_38 Depth=1
	v_cmp_gt_i32_e32 vcc_lo, s34, v112
	s_wait_alu 0xfffd
	v_cndmask_b32_e32 v6, 0, v6, vcc_lo
	v_cmp_gt_i32_e32 vcc_lo, s34, v115
	s_wait_alu 0xfffd
	v_cndmask_b32_e32 v5, 0, v5, vcc_lo
	;; [unrolled: 3-line block ×4, first 2 shown]
	s_branch .LBB232_36
.LBB232_135:
	s_or_b32 exec_lo, exec_lo, s17
.LBB232_136:
	s_wait_alu 0xfffe
	s_or_b32 exec_lo, exec_lo, s1
	ds_bpermute_b32 v0, v11, v23
	ds_bpermute_b32 v1, v11, v22
	;; [unrolled: 1-line block ×20, first 2 shown]
	s_wait_dscnt 0x12
	v_dual_add_f32 v0, v23, v0 :: v_dual_add_f32 v1, v22, v1
	s_wait_dscnt 0x10
	v_dual_add_f32 v2, v21, v2 :: v_dual_add_f32 v3, v20, v3
	;; [unrolled: 2-line block ×3, first 2 shown]
	ds_bpermute_b32 v21, v10, v0
	ds_bpermute_b32 v22, v10, v1
	;; [unrolled: 1-line block ×4, first 2 shown]
	s_wait_dscnt 0xd
	v_dual_add_f32 v6, v29, v6 :: v_dual_add_f32 v7, v28, v7
	v_dual_add_f32 v8, v27, v8 :: v_dual_add_f32 v13, v25, v13
	v_add_f32_e32 v12, v26, v12
	ds_bpermute_b32 v25, v10, v4
	ds_bpermute_b32 v26, v10, v5
	;; [unrolled: 1-line block ×5, first 2 shown]
	s_wait_dscnt 0x11
	v_add_f32_e32 v14, v34, v14
	ds_bpermute_b32 v29, v10, v8
	ds_bpermute_b32 v20, v11, v43
	;; [unrolled: 1-line block ×3, first 2 shown]
	s_mov_b32 s1, exec_lo
	s_wait_dscnt 0xb
	v_dual_add_f32 v15, v33, v15 :: v_dual_add_f32 v0, v0, v21
	s_wait_dscnt 0xa
	v_add_f32_e32 v21, v1, v22
	ds_bpermute_b32 v30, v10, v12
	s_wait_dscnt 0x9
	v_dual_add_f32 v22, v2, v23 :: v_dual_add_f32 v23, v3, v24
	ds_bpermute_b32 v1, v9, v0
	ds_bpermute_b32 v33, v10, v14
	;; [unrolled: 1-line block ×5, first 2 shown]
	s_wait_dscnt 0xd
	v_add_f32_e32 v25, v4, v25
	ds_bpermute_b32 v3, v9, v22
	s_wait_dscnt 0xc
	v_dual_add_f32 v26, v5, v26 :: v_dual_add_f32 v27, v6, v27
	s_wait_dscnt 0x9
	v_dual_add_f32 v28, v7, v28 :: v_dual_add_f32 v29, v8, v29
	ds_bpermute_b32 v5, v9, v25
	ds_bpermute_b32 v6, v9, v26
	;; [unrolled: 1-line block ×3, first 2 shown]
	v_add_f32_e32 v13, v13, v31
	ds_bpermute_b32 v8, v9, v28
	s_wait_dscnt 0xa
	v_dual_add_f32 v19, v45, v19 :: v_dual_add_f32 v12, v12, v30
	ds_bpermute_b32 v30, v9, v29
	ds_bpermute_b32 v35, v9, v13
	s_wait_dscnt 0xb
	v_add_f32_e32 v1, v0, v1
	s_wait_dscnt 0x9
	v_dual_add_f32 v0, v14, v33 :: v_dual_add_f32 v15, v15, v34
	v_add_f32_e32 v14, v81, v16
	v_dual_add_f32 v16, v80, v17 :: v_dual_add_f32 v17, v79, v18
	ds_bpermute_b32 v31, v9, v12
	s_wait_dscnt 0x7
	v_dual_add_f32 v2, v21, v2 :: v_dual_add_f32 v3, v22, v3
	v_add_f32_e32 v4, v23, v24
	ds_bpermute_b32 v18, v9, v0
	ds_bpermute_b32 v21, v10, v14
	;; [unrolled: 1-line block ×5, first 2 shown]
	s_wait_dscnt 0x8
	v_dual_add_f32 v7, v27, v7 :: v_dual_add_f32 v8, v28, v8
	v_add_f32_e32 v20, v43, v20
	ds_bpermute_b32 v27, v11, v78
	s_wait_dscnt 0x7
	v_add_f32_e32 v43, v13, v35
	ds_bpermute_b32 v13, v11, v77
	v_dual_add_f32 v5, v25, v5 :: v_dual_add_f32 v6, v26, v6
	ds_bpermute_b32 v25, v10, v19
	v_add_f32_e32 v26, v41, v32
	s_wait_dscnt 0x8
	v_dual_add_f32 v41, v29, v30 :: v_dual_add_f32 v42, v12, v31
	ds_bpermute_b32 v12, v10, v20
	ds_bpermute_b32 v29, v11, v39
	s_wait_dscnt 0x9
	v_dual_add_f32 v53, v62, v53 :: v_dual_add_f32 v44, v0, v18
	s_wait_dscnt 0x7
	v_dual_add_f32 v14, v14, v21 :: v_dual_add_f32 v45, v15, v22
	ds_bpermute_b32 v28, v10, v26
	s_wait_dscnt 0x6
	v_dual_add_f32 v0, v16, v23 :: v_dual_add_f32 v15, v17, v24
	ds_bpermute_b32 v17, v11, v76
	ds_bpermute_b32 v16, v9, v14
	;; [unrolled: 1-line block ×4, first 2 shown]
	s_wait_dscnt 0x9
	v_add_f32_e32 v24, v78, v27
	ds_bpermute_b32 v27, v11, v38
	s_wait_dscnt 0x9
	v_add_f32_e32 v13, v77, v13
	ds_bpermute_b32 v21, v9, v0
	;; [unrolled: 3-line block ×3, first 2 shown]
	ds_bpermute_b32 v22, v9, v15
	s_wait_dscnt 0xa
	v_add_f32_e32 v12, v20, v12
	ds_bpermute_b32 v32, v10, v13
	s_wait_dscnt 0x9
	v_add_f32_e32 v20, v26, v28
	v_add_f32_e32 v28, v39, v29
	ds_bpermute_b32 v29, v9, v19
	s_wait_dscnt 0x9
	v_add_f32_e32 v17, v76, v17
	ds_bpermute_b32 v26, v10, v24
	s_wait_dscnt 0x8
	v_add_f32_e32 v18, v37, v18
	v_add_f32_e32 v36, v14, v16
	ds_bpermute_b32 v14, v10, v17
	s_wait_dscnt 0x6
	v_add_f32_e32 v37, v0, v21
	ds_bpermute_b32 v31, v9, v20
	v_add_f32_e32 v0, v75, v23
	v_add_f32_e32 v23, v38, v27
	ds_bpermute_b32 v39, v10, v28
	ds_bpermute_b32 v27, v11, v72
	s_wait_dscnt 0x8
	v_add_f32_e32 v21, v74, v25
	ds_bpermute_b32 v30, v9, v12
	s_wait_dscnt 0x8
	v_add_f32_e32 v33, v15, v22
	s_wait_dscnt 0x7
	v_add_f32_e32 v13, v13, v32
	ds_bpermute_b32 v22, v10, v21
	s_wait_dscnt 0x7
	v_dual_add_f32 v34, v19, v29 :: v_dual_add_f32 v19, v73, v40
	s_wait_dscnt 0x6
	v_add_f32_e32 v15, v24, v26
	ds_bpermute_b32 v24, v10, v23
	ds_bpermute_b32 v25, v10, v0
	;; [unrolled: 1-line block ×3, first 2 shown]
	s_wait_dscnt 0x7
	v_add_f32_e32 v38, v20, v31
	ds_bpermute_b32 v20, v11, v46
	s_wait_dscnt 0x7
	v_add_f32_e32 v26, v28, v39
	ds_bpermute_b32 v29, v10, v19
	v_add_f32_e32 v14, v17, v14
	ds_bpermute_b32 v17, v11, v70
	s_wait_dscnt 0x8
	v_add_f32_e32 v47, v72, v27
	ds_bpermute_b32 v16, v10, v18
	s_wait_dscnt 0x8
	v_add_f32_e32 v35, v12, v30
	ds_bpermute_b32 v30, v9, v13
	ds_bpermute_b32 v12, v9, v15
	;; [unrolled: 1-line block ×3, first 2 shown]
	s_wait_dscnt 0x9
	v_dual_add_f32 v21, v21, v22 :: v_dual_add_f32 v22, v23, v24
	s_wait_dscnt 0x8
	v_add_f32_e32 v0, v0, v25
	ds_bpermute_b32 v31, v9, v26
	ds_bpermute_b32 v32, v9, v21
	s_wait_dscnt 0x8
	v_add_f32_e32 v20, v46, v20
	ds_bpermute_b32 v46, v11, v56
	s_wait_dscnt 0x8
	v_add_f32_e32 v19, v19, v29
	;; [unrolled: 3-line block ×6, first 2 shown]
	ds_bpermute_b32 v24, v9, v16
	ds_bpermute_b32 v49, v10, v20
	v_add_f32_e32 v29, v15, v12
	ds_bpermute_b32 v25, v9, v0
	ds_bpermute_b32 v12, v10, v47
	;; [unrolled: 1-line block ×3, first 2 shown]
	s_wait_dscnt 0xb
	v_add_f32_e32 v28, v26, v31
	s_wait_dscnt 0x8
	v_add_f32_e32 v30, v14, v23
	ds_bpermute_b32 v23, v11, v55
	s_wait_dscnt 0x7
	v_add_f32_e32 v18, v69, v18
	s_wait_dscnt 0x6
	v_add_f32_e32 v13, v17, v13
	ds_bpermute_b32 v15, v10, v48
	s_wait_dscnt 0x6
	v_add_f32_e32 v31, v16, v24
	ds_bpermute_b32 v14, v10, v18
	v_add_f32_e32 v16, v58, v40
	s_wait_dscnt 0x5
	v_dual_add_f32 v26, v0, v25 :: v_dual_add_f32 v25, v21, v32
	s_wait_dscnt 0x2
	v_add_f32_e32 v17, v55, v23
	v_add_f32_e32 v12, v47, v12
	ds_bpermute_b32 v47, v11, v57
	v_add_f32_e32 v20, v20, v49
	ds_bpermute_b32 v49, v11, v60
	v_dual_add_f32 v32, v22, v39 :: v_dual_add_f32 v39, v19, v50
	ds_bpermute_b32 v19, v11, v54
	s_wait_dscnt 0x4
	v_add_f32_e32 v15, v48, v15
	ds_bpermute_b32 v21, v10, v16
	v_add_f32_e32 v0, v56, v46
	ds_bpermute_b32 v23, v11, v59
	s_wait_dscnt 0x5
	v_add_f32_e32 v14, v18, v14
	ds_bpermute_b32 v18, v11, v68
	ds_bpermute_b32 v50, v10, v17
	;; [unrolled: 1-line block ×4, first 2 shown]
	s_wait_dscnt 0x8
	v_add_f32_e32 v47, v57, v47
	ds_bpermute_b32 v57, v11, v66
	s_wait_dscnt 0x8
	v_add_f32_e32 v49, v60, v49
	ds_bpermute_b32 v24, v9, v20
	;; [unrolled: 3-line block ×4, first 2 shown]
	ds_bpermute_b32 v54, v11, v63
	ds_bpermute_b32 v58, v10, v19
	s_wait_dscnt 0x9
	v_dual_add_f32 v18, v68, v18 :: v_dual_add_f32 v23, v59, v23
	ds_bpermute_b32 v59, v10, v47
	s_wait_dscnt 0x9
	v_dual_add_f32 v17, v17, v50 :: v_dual_add_f32 v52, v64, v52
	ds_bpermute_b32 v50, v10, v18
	ds_bpermute_b32 v60, v10, v23
	;; [unrolled: 1-line block ×4, first 2 shown]
	s_wait_dscnt 0x8
	v_dual_add_f32 v57, v66, v57 :: v_dual_add_f32 v0, v0, v22
	ds_bpermute_b32 v22, v11, v65
	ds_bpermute_b32 v11, v11, v67
	s_wait_dscnt 0x9
	v_add_f32_e32 v21, v61, v21
	ds_bpermute_b32 v61, v10, v49
	s_wait_dscnt 0x9
	v_add_f32_e32 v54, v63, v54
	s_wait_dscnt 0x8
	v_add_f32_e32 v19, v19, v58
	ds_bpermute_b32 v64, v10, v52
	ds_bpermute_b32 v62, v10, v21
	;; [unrolled: 1-line block ×3, first 2 shown]
	s_wait_dscnt 0x9
	v_dual_add_f32 v47, v47, v59 :: v_dual_add_f32 v50, v18, v50
	ds_bpermute_b32 v56, v9, v0
	s_wait_dscnt 0x9
	v_add_f32_e32 v23, v23, v60
	ds_bpermute_b32 v18, v9, v19
	ds_bpermute_b32 v59, v9, v47
	;; [unrolled: 1-line block ×3, first 2 shown]
	s_wait_dscnt 0x8
	v_dual_add_f32 v22, v65, v22 :: v_dual_add_f32 v11, v67, v11
	ds_bpermute_b32 v65, v10, v53
	s_wait_dscnt 0x8
	v_add_f32_e32 v49, v49, v61
	ds_bpermute_b32 v66, v10, v54
	ds_bpermute_b32 v63, v10, v22
	;; [unrolled: 1-line block ×5, first 2 shown]
	s_wait_dscnt 0xb
	v_add_f32_e32 v62, v21, v62
	s_wait_dscnt 0xa
	v_dual_add_f32 v52, v52, v64 :: v_dual_add_f32 v57, v57, v58
	ds_bpermute_b32 v61, v9, v23
	ds_bpermute_b32 v21, v9, v49
	s_wait_dscnt 0x7
	v_add_f32_e32 v53, v53, v65
	ds_bpermute_b32 v65, v9, v52
	s_wait_dscnt 0x7
	v_add_f32_e32 v54, v54, v66
	s_wait_dscnt 0x5
	v_dual_add_f32 v63, v22, v63 :: v_dual_add_f32 v68, v11, v10
	v_add_f32_e32 v11, v12, v40
	ds_bpermute_b32 v22, v9, v62
	ds_bpermute_b32 v66, v9, v53
	;; [unrolled: 1-line block ×4, first 2 shown]
	v_add_f32_e32 v10, v20, v24
	ds_bpermute_b32 v69, v9, v57
	v_add_f32_e32 v12, v15, v46
	ds_bpermute_b32 v70, v9, v68
	v_add_f32_e32 v9, v13, v48
	s_wait_dscnt 0x8
	v_dual_add_f32 v13, v14, v51 :: v_dual_add_f32 v20, v23, v61
	v_add_f32_e32 v14, v16, v55
	v_dual_add_f32 v15, v0, v56 :: v_dual_add_f32 v16, v17, v67
	v_add_f32_e32 v17, v19, v18
	v_dual_add_f32 v18, v47, v59 :: v_dual_add_f32 v19, v50, v60
	s_clause 0x2
	scratch_load_b32 v60, off, off offset:768
	scratch_load_b32 v50, off, off offset:772 th:TH_LOAD_LU
	scratch_load_b32 v0, off, off offset:752 th:TH_LOAD_LU
	s_wait_dscnt 0x5
	v_dual_add_f32 v21, v49, v21 :: v_dual_add_f32 v22, v62, v22
	s_wait_dscnt 0x3
	v_dual_add_f32 v40, v53, v66 :: v_dual_add_f32 v23, v63, v64
	v_add_f32_e32 v24, v52, v65
	s_wait_dscnt 0x1
	v_dual_add_f32 v46, v54, v58 :: v_dual_add_f32 v47, v57, v69
	s_wait_storecnt 0x0
	s_wait_loadcnt_dscnt 0x0
	s_barrier_signal -1
	s_barrier_wait -1
	global_inv scope:SCOPE_SE
	v_dual_add_f32 v48, v68, v70 :: v_dual_and_b32 v51, 0x3c0, v60
	v_and_b32_e32 v49, 7, v60
	v_lshrrev_b32_e32 v0, 3, v0
	v_mul_u32_u24_e32 v50, 0x300, v50
	s_delay_alu instid0(VALU_DEP_3) | instskip(NEXT) | instid1(VALU_DEP_3)
	v_cmp_eq_u32_e32 vcc_lo, 0, v49
	v_lshl_add_u32 v49, v0, 2, 0x320
	v_cmpx_eq_u32_e32 64, v51
	s_cbranch_execz .LBB232_139
; %bb.137:
	s_and_b32 exec_lo, exec_lo, vcc_lo
	s_cbranch_execz .LBB232_139
; %bb.138:
	v_add_nc_u32_e32 v51, v49, v50
	s_delay_alu instid0(VALU_DEP_1)
	v_add_nc_u32_e32 v52, 0xfffffa00, v51
	v_add_nc_u32_e32 v53, 0xfffffa10, v51
	v_add_nc_u32_e32 v54, 0xfffffa20, v51
	v_add_nc_u32_e32 v55, 0xfffffa30, v51
	v_add_nc_u32_e32 v56, 0xfffffa40, v51
	v_add_nc_u32_e32 v57, 0xfffffa50, v51
	v_add_nc_u32_e32 v58, 0xfffffa60, v51
	v_add_nc_u32_e32 v59, 0xfffffa70, v51
	ds_store_b32 v52, v1
	ds_store_b32 v53, v2
	ds_store_b32 v54, v3
	ds_store_b32 v55, v4
	ds_store_b32 v56, v5
	ds_store_b32 v57, v6
	ds_store_b32 v58, v7
	ds_store_b32 v59, v8
	v_add_nc_u32_e32 v52, 0xfffffa80, v51
	v_add_nc_u32_e32 v53, 0xfffffa90, v51
	v_add_nc_u32_e32 v54, 0xfffffaa0, v51
	v_add_nc_u32_e32 v55, 0xfffffab0, v51
	v_add_nc_u32_e32 v56, 0xfffffac0, v51
	v_add_nc_u32_e32 v57, 0xfffffad0, v51
	v_add_nc_u32_e32 v58, 0xfffffae0, v51
	v_add_nc_u32_e32 v59, 0xfffffaf0, v51
	ds_store_b32 v52, v41
	ds_store_b32 v53, v42
	ds_store_b32 v54, v43
	ds_store_b32 v55, v44
	ds_store_b32 v56, v45
	ds_store_b32 v57, v36
	ds_store_b32 v58, v37
	ds_store_b32 v59, v33
	v_add_nc_u32_e32 v52, 0xfffffb00, v51
	v_add_nc_u32_e32 v53, 0xfffffb10, v51
	v_add_nc_u32_e32 v54, 0xfffffb20, v51
	v_add_nc_u32_e32 v55, 0xfffffb30, v51
	v_add_nc_u32_e32 v56, 0xfffffb40, v51
	v_add_nc_u32_e32 v57, 0xfffffb50, v51
	v_add_nc_u32_e32 v58, 0xfffffb60, v51
	v_add_nc_u32_e32 v59, 0xfffffb70, v51
	ds_store_b32 v52, v34
	ds_store_b32 v53, v35
	ds_store_b32 v54, v38
	ds_store_b32 v55, v29
	ds_store_b32 v56, v27
	ds_store_b32 v57, v28
	ds_store_b32 v58, v30
	ds_store_b32 v59, v31
	v_add_nc_u32_e32 v52, 0xfffffb80, v51
	v_add_nc_u32_e32 v53, 0xfffffb90, v51
	v_add_nc_u32_e32 v54, 0xfffffba0, v51
	v_add_nc_u32_e32 v55, 0xfffffbb0, v51
	v_add_nc_u32_e32 v56, 0xfffffbc0, v51
	v_add_nc_u32_e32 v57, 0xfffffbd0, v51
	v_add_nc_u32_e32 v58, 0xfffffbe0, v51
	v_add_nc_u32_e32 v59, 0xfffffbf0, v51
	ds_store_b32 v52, v26
	ds_store_b32 v53, v25
	ds_store_b32 v54, v32
	ds_store_b32 v55, v39
	ds_store_b32 v56, v10
	ds_store_b32 v57, v11
	ds_store_b32 v58, v12
	ds_store_b32 v59, v9
	v_add_nc_u32_e32 v52, 0xfffffc00, v51
	v_add_nc_u32_e32 v53, 0xfffffc10, v51
	v_add_nc_u32_e32 v54, 0xfffffc20, v51
	v_add_nc_u32_e32 v55, 0xfffffc30, v51
	v_add_nc_u32_e32 v56, 0xfffffc40, v51
	v_add_nc_u32_e32 v57, 0xfffffc50, v51
	v_add_nc_u32_e32 v58, 0xfffffc60, v51
	v_add_nc_u32_e32 v59, 0xfffffc70, v51
	ds_store_b32 v52, v13
	ds_store_b32 v53, v14
	ds_store_b32 v54, v15
	ds_store_b32 v55, v16
	ds_store_b32 v56, v17
	ds_store_b32 v57, v18
	ds_store_b32 v58, v19
	ds_store_b32 v59, v20
	v_add_nc_u32_e32 v52, 0xfffffc80, v51
	v_add_nc_u32_e32 v53, 0xfffffc90, v51
	v_add_nc_u32_e32 v54, 0xfffffca0, v51
	v_add_nc_u32_e32 v55, 0xfffffcb0, v51
	v_add_nc_u32_e32 v56, 0xfffffcc0, v51
	v_add_nc_u32_e32 v57, 0xfffffcd0, v51
	v_add_nc_u32_e32 v58, 0xfffffce0, v51
	v_add_nc_u32_e32 v51, 0xfffffcf0, v51
	ds_store_b32 v52, v21
	ds_store_b32 v53, v22
	ds_store_b32 v54, v23
	ds_store_b32 v55, v24
	ds_store_b32 v56, v40
	ds_store_b32 v57, v46
	ds_store_b32 v58, v47
	ds_store_b32 v51, v48
.LBB232_139:
	s_wait_alu 0xfffe
	s_or_b32 exec_lo, exec_lo, s1
	v_lshlrev_b32_e32 v0, 2, v0
	s_mov_b32 s1, exec_lo
	s_wait_loadcnt_dscnt 0x0
	s_barrier_signal -1
	s_barrier_wait -1
	v_add3_u32 v0, 0x320, v50, v0
	global_inv scope:SCOPE_SE
	v_cmpx_gt_u32_e32 64, v60
	s_cbranch_execz .LBB232_190
; %bb.140:
	s_and_saveexec_b32 s0, vcc_lo
	s_cbranch_execnz .LBB232_246
; %bb.141:
	s_wait_alu 0xfffe
	s_or_b32 exec_lo, exec_lo, s0
	s_and_saveexec_b32 s0, vcc_lo
	s_cbranch_execnz .LBB232_247
.LBB232_142:
	s_wait_alu 0xfffe
	s_or_b32 exec_lo, exec_lo, s0
	s_and_saveexec_b32 s0, vcc_lo
	s_cbranch_execnz .LBB232_248
.LBB232_143:
	s_wait_alu 0xfffe
	s_or_b32 exec_lo, exec_lo, s0
	s_and_saveexec_b32 s0, vcc_lo
	s_cbranch_execnz .LBB232_249
.LBB232_144:
	s_wait_alu 0xfffe
	s_or_b32 exec_lo, exec_lo, s0
	s_and_saveexec_b32 s0, vcc_lo
	s_cbranch_execnz .LBB232_250
.LBB232_145:
	s_wait_alu 0xfffe
	s_or_b32 exec_lo, exec_lo, s0
	s_and_saveexec_b32 s0, vcc_lo
	s_cbranch_execnz .LBB232_251
.LBB232_146:
	s_wait_alu 0xfffe
	s_or_b32 exec_lo, exec_lo, s0
	s_and_saveexec_b32 s0, vcc_lo
	s_cbranch_execnz .LBB232_252
.LBB232_147:
	s_wait_alu 0xfffe
	s_or_b32 exec_lo, exec_lo, s0
	s_and_saveexec_b32 s0, vcc_lo
	s_cbranch_execnz .LBB232_253
.LBB232_148:
	s_wait_alu 0xfffe
	s_or_b32 exec_lo, exec_lo, s0
	s_and_saveexec_b32 s0, vcc_lo
	s_cbranch_execnz .LBB232_254
.LBB232_149:
	s_wait_alu 0xfffe
	s_or_b32 exec_lo, exec_lo, s0
	s_and_saveexec_b32 s0, vcc_lo
	s_cbranch_execnz .LBB232_255
.LBB232_150:
	s_wait_alu 0xfffe
	s_or_b32 exec_lo, exec_lo, s0
	s_and_saveexec_b32 s0, vcc_lo
	s_cbranch_execnz .LBB232_256
.LBB232_151:
	s_wait_alu 0xfffe
	s_or_b32 exec_lo, exec_lo, s0
	s_and_saveexec_b32 s0, vcc_lo
	s_cbranch_execnz .LBB232_257
.LBB232_152:
	s_wait_alu 0xfffe
	s_or_b32 exec_lo, exec_lo, s0
	s_and_saveexec_b32 s0, vcc_lo
	s_cbranch_execnz .LBB232_258
.LBB232_153:
	s_wait_alu 0xfffe
	s_or_b32 exec_lo, exec_lo, s0
	s_and_saveexec_b32 s0, vcc_lo
	s_cbranch_execnz .LBB232_259
.LBB232_154:
	s_wait_alu 0xfffe
	s_or_b32 exec_lo, exec_lo, s0
	s_and_saveexec_b32 s0, vcc_lo
	s_cbranch_execnz .LBB232_260
.LBB232_155:
	s_wait_alu 0xfffe
	s_or_b32 exec_lo, exec_lo, s0
	s_and_saveexec_b32 s0, vcc_lo
	s_cbranch_execnz .LBB232_261
.LBB232_156:
	s_wait_alu 0xfffe
	s_or_b32 exec_lo, exec_lo, s0
	s_and_saveexec_b32 s0, vcc_lo
	s_cbranch_execnz .LBB232_262
.LBB232_157:
	s_wait_alu 0xfffe
	s_or_b32 exec_lo, exec_lo, s0
	s_and_saveexec_b32 s0, vcc_lo
	s_cbranch_execnz .LBB232_263
.LBB232_158:
	s_wait_alu 0xfffe
	s_or_b32 exec_lo, exec_lo, s0
	s_and_saveexec_b32 s0, vcc_lo
	s_cbranch_execnz .LBB232_264
.LBB232_159:
	s_wait_alu 0xfffe
	s_or_b32 exec_lo, exec_lo, s0
	s_and_saveexec_b32 s0, vcc_lo
	s_cbranch_execnz .LBB232_265
.LBB232_160:
	s_wait_alu 0xfffe
	s_or_b32 exec_lo, exec_lo, s0
	s_and_saveexec_b32 s0, vcc_lo
	s_cbranch_execnz .LBB232_266
.LBB232_161:
	s_wait_alu 0xfffe
	s_or_b32 exec_lo, exec_lo, s0
	s_and_saveexec_b32 s0, vcc_lo
	s_cbranch_execnz .LBB232_267
.LBB232_162:
	s_wait_alu 0xfffe
	s_or_b32 exec_lo, exec_lo, s0
	s_and_saveexec_b32 s0, vcc_lo
	s_cbranch_execnz .LBB232_268
.LBB232_163:
	s_wait_alu 0xfffe
	s_or_b32 exec_lo, exec_lo, s0
	s_and_saveexec_b32 s0, vcc_lo
	s_cbranch_execnz .LBB232_269
.LBB232_164:
	s_wait_alu 0xfffe
	s_or_b32 exec_lo, exec_lo, s0
	s_and_saveexec_b32 s0, vcc_lo
	s_cbranch_execnz .LBB232_270
.LBB232_165:
	s_wait_alu 0xfffe
	s_or_b32 exec_lo, exec_lo, s0
	s_and_saveexec_b32 s0, vcc_lo
	s_cbranch_execnz .LBB232_271
.LBB232_166:
	s_wait_alu 0xfffe
	s_or_b32 exec_lo, exec_lo, s0
	s_and_saveexec_b32 s0, vcc_lo
	s_cbranch_execnz .LBB232_272
.LBB232_167:
	s_wait_alu 0xfffe
	s_or_b32 exec_lo, exec_lo, s0
	s_and_saveexec_b32 s0, vcc_lo
	s_cbranch_execnz .LBB232_273
.LBB232_168:
	s_wait_alu 0xfffe
	s_or_b32 exec_lo, exec_lo, s0
	s_and_saveexec_b32 s0, vcc_lo
	s_cbranch_execnz .LBB232_274
.LBB232_169:
	s_wait_alu 0xfffe
	s_or_b32 exec_lo, exec_lo, s0
	s_and_saveexec_b32 s0, vcc_lo
	s_cbranch_execnz .LBB232_275
.LBB232_170:
	s_wait_alu 0xfffe
	s_or_b32 exec_lo, exec_lo, s0
	s_and_saveexec_b32 s0, vcc_lo
	s_cbranch_execnz .LBB232_276
.LBB232_171:
	s_wait_alu 0xfffe
	s_or_b32 exec_lo, exec_lo, s0
	s_and_saveexec_b32 s0, vcc_lo
	s_cbranch_execnz .LBB232_277
.LBB232_172:
	s_wait_alu 0xfffe
	s_or_b32 exec_lo, exec_lo, s0
	s_and_saveexec_b32 s0, vcc_lo
	s_cbranch_execnz .LBB232_278
.LBB232_173:
	s_wait_alu 0xfffe
	s_or_b32 exec_lo, exec_lo, s0
	s_and_saveexec_b32 s0, vcc_lo
	s_cbranch_execnz .LBB232_279
.LBB232_174:
	s_wait_alu 0xfffe
	s_or_b32 exec_lo, exec_lo, s0
	s_and_saveexec_b32 s0, vcc_lo
	s_cbranch_execnz .LBB232_280
.LBB232_175:
	s_wait_alu 0xfffe
	s_or_b32 exec_lo, exec_lo, s0
	s_and_saveexec_b32 s0, vcc_lo
	s_cbranch_execnz .LBB232_281
.LBB232_176:
	s_wait_alu 0xfffe
	s_or_b32 exec_lo, exec_lo, s0
	s_and_saveexec_b32 s0, vcc_lo
	s_cbranch_execnz .LBB232_282
.LBB232_177:
	s_wait_alu 0xfffe
	s_or_b32 exec_lo, exec_lo, s0
	s_and_saveexec_b32 s0, vcc_lo
	s_cbranch_execnz .LBB232_283
.LBB232_178:
	s_wait_alu 0xfffe
	s_or_b32 exec_lo, exec_lo, s0
	s_and_saveexec_b32 s0, vcc_lo
	s_cbranch_execnz .LBB232_284
.LBB232_179:
	s_wait_alu 0xfffe
	s_or_b32 exec_lo, exec_lo, s0
	s_and_saveexec_b32 s0, vcc_lo
	s_cbranch_execnz .LBB232_285
.LBB232_180:
	s_wait_alu 0xfffe
	s_or_b32 exec_lo, exec_lo, s0
	s_and_saveexec_b32 s0, vcc_lo
	s_cbranch_execnz .LBB232_286
.LBB232_181:
	s_wait_alu 0xfffe
	s_or_b32 exec_lo, exec_lo, s0
	s_and_saveexec_b32 s0, vcc_lo
	s_cbranch_execnz .LBB232_287
.LBB232_182:
	s_wait_alu 0xfffe
	s_or_b32 exec_lo, exec_lo, s0
	s_and_saveexec_b32 s0, vcc_lo
	s_cbranch_execnz .LBB232_288
.LBB232_183:
	s_wait_alu 0xfffe
	s_or_b32 exec_lo, exec_lo, s0
	s_and_saveexec_b32 s0, vcc_lo
	s_cbranch_execnz .LBB232_289
.LBB232_184:
	s_wait_alu 0xfffe
	s_or_b32 exec_lo, exec_lo, s0
	s_and_saveexec_b32 s0, vcc_lo
	s_cbranch_execnz .LBB232_290
.LBB232_185:
	s_wait_alu 0xfffe
	s_or_b32 exec_lo, exec_lo, s0
	s_and_saveexec_b32 s0, vcc_lo
	s_cbranch_execnz .LBB232_291
.LBB232_186:
	s_wait_alu 0xfffe
	s_or_b32 exec_lo, exec_lo, s0
	s_and_saveexec_b32 s0, vcc_lo
	s_cbranch_execnz .LBB232_292
.LBB232_187:
	s_wait_alu 0xfffe
	s_or_b32 exec_lo, exec_lo, s0
	s_and_saveexec_b32 s0, vcc_lo
	s_cbranch_execz .LBB232_189
.LBB232_188:
	ds_load_b32 v50, v0 offset:752
	s_wait_dscnt 0x0
	v_add_f32_e32 v48, v48, v50
.LBB232_189:
	s_wait_alu 0xfffe
	s_or_b32 exec_lo, exec_lo, s0
.LBB232_190:
	s_wait_alu 0xfffe
	s_or_b32 exec_lo, exec_lo, s1
	v_and_b32_e32 v50, 0x3e7, v60
	s_mov_b32 s1, exec_lo
	s_wait_loadcnt 0x0
	s_barrier_signal -1
	s_barrier_wait -1
	global_inv scope:SCOPE_SE
	v_cmpx_eq_u32_e32 32, v50
	s_cbranch_execz .LBB232_192
; %bb.191:
	ds_store_2addr_b32 v49, v1, v2 offset1:4
	ds_store_2addr_b32 v49, v3, v4 offset0:8 offset1:12
	ds_store_2addr_b32 v49, v5, v6 offset0:16 offset1:20
	;; [unrolled: 1-line block ×23, first 2 shown]
.LBB232_192:
	s_wait_alu 0xfffe
	s_or_b32 exec_lo, exec_lo, s1
	s_delay_alu instid0(SALU_CYCLE_1)
	s_mov_b32 s1, exec_lo
	s_wait_loadcnt_dscnt 0x0
	s_barrier_signal -1
	s_barrier_wait -1
	global_inv scope:SCOPE_SE
	v_cmpx_gt_u32_e32 32, v60
	s_cbranch_execz .LBB232_243
; %bb.193:
	s_and_saveexec_b32 s0, vcc_lo
	s_cbranch_execnz .LBB232_293
; %bb.194:
	s_wait_alu 0xfffe
	s_or_b32 exec_lo, exec_lo, s0
	s_and_saveexec_b32 s0, vcc_lo
	s_cbranch_execnz .LBB232_294
.LBB232_195:
	s_wait_alu 0xfffe
	s_or_b32 exec_lo, exec_lo, s0
	s_and_saveexec_b32 s0, vcc_lo
	s_cbranch_execnz .LBB232_295
.LBB232_196:
	s_wait_alu 0xfffe
	s_or_b32 exec_lo, exec_lo, s0
	s_and_saveexec_b32 s0, vcc_lo
	s_cbranch_execnz .LBB232_296
.LBB232_197:
	s_wait_alu 0xfffe
	s_or_b32 exec_lo, exec_lo, s0
	s_and_saveexec_b32 s0, vcc_lo
	s_cbranch_execnz .LBB232_297
.LBB232_198:
	s_wait_alu 0xfffe
	s_or_b32 exec_lo, exec_lo, s0
	s_and_saveexec_b32 s0, vcc_lo
	s_cbranch_execnz .LBB232_298
.LBB232_199:
	s_wait_alu 0xfffe
	s_or_b32 exec_lo, exec_lo, s0
	s_and_saveexec_b32 s0, vcc_lo
	s_cbranch_execnz .LBB232_299
.LBB232_200:
	s_wait_alu 0xfffe
	s_or_b32 exec_lo, exec_lo, s0
	s_and_saveexec_b32 s0, vcc_lo
	s_cbranch_execnz .LBB232_300
.LBB232_201:
	s_wait_alu 0xfffe
	s_or_b32 exec_lo, exec_lo, s0
	s_and_saveexec_b32 s0, vcc_lo
	s_cbranch_execnz .LBB232_301
.LBB232_202:
	s_wait_alu 0xfffe
	s_or_b32 exec_lo, exec_lo, s0
	s_and_saveexec_b32 s0, vcc_lo
	s_cbranch_execnz .LBB232_302
.LBB232_203:
	s_wait_alu 0xfffe
	s_or_b32 exec_lo, exec_lo, s0
	s_and_saveexec_b32 s0, vcc_lo
	s_cbranch_execnz .LBB232_303
.LBB232_204:
	s_wait_alu 0xfffe
	s_or_b32 exec_lo, exec_lo, s0
	s_and_saveexec_b32 s0, vcc_lo
	s_cbranch_execnz .LBB232_304
.LBB232_205:
	s_wait_alu 0xfffe
	s_or_b32 exec_lo, exec_lo, s0
	s_and_saveexec_b32 s0, vcc_lo
	s_cbranch_execnz .LBB232_305
.LBB232_206:
	s_wait_alu 0xfffe
	s_or_b32 exec_lo, exec_lo, s0
	s_and_saveexec_b32 s0, vcc_lo
	s_cbranch_execnz .LBB232_306
.LBB232_207:
	s_wait_alu 0xfffe
	s_or_b32 exec_lo, exec_lo, s0
	s_and_saveexec_b32 s0, vcc_lo
	s_cbranch_execnz .LBB232_307
.LBB232_208:
	s_wait_alu 0xfffe
	s_or_b32 exec_lo, exec_lo, s0
	s_and_saveexec_b32 s0, vcc_lo
	s_cbranch_execnz .LBB232_308
.LBB232_209:
	s_wait_alu 0xfffe
	s_or_b32 exec_lo, exec_lo, s0
	s_and_saveexec_b32 s0, vcc_lo
	s_cbranch_execnz .LBB232_309
.LBB232_210:
	s_wait_alu 0xfffe
	s_or_b32 exec_lo, exec_lo, s0
	s_and_saveexec_b32 s0, vcc_lo
	s_cbranch_execnz .LBB232_310
.LBB232_211:
	s_wait_alu 0xfffe
	s_or_b32 exec_lo, exec_lo, s0
	s_and_saveexec_b32 s0, vcc_lo
	s_cbranch_execnz .LBB232_311
.LBB232_212:
	s_wait_alu 0xfffe
	s_or_b32 exec_lo, exec_lo, s0
	s_and_saveexec_b32 s0, vcc_lo
	s_cbranch_execnz .LBB232_312
.LBB232_213:
	s_wait_alu 0xfffe
	s_or_b32 exec_lo, exec_lo, s0
	s_and_saveexec_b32 s0, vcc_lo
	s_cbranch_execnz .LBB232_313
.LBB232_214:
	s_wait_alu 0xfffe
	s_or_b32 exec_lo, exec_lo, s0
	s_and_saveexec_b32 s0, vcc_lo
	s_cbranch_execnz .LBB232_314
.LBB232_215:
	s_wait_alu 0xfffe
	s_or_b32 exec_lo, exec_lo, s0
	s_and_saveexec_b32 s0, vcc_lo
	s_cbranch_execnz .LBB232_315
.LBB232_216:
	s_wait_alu 0xfffe
	s_or_b32 exec_lo, exec_lo, s0
	s_and_saveexec_b32 s0, vcc_lo
	s_cbranch_execnz .LBB232_316
.LBB232_217:
	s_wait_alu 0xfffe
	s_or_b32 exec_lo, exec_lo, s0
	s_and_saveexec_b32 s0, vcc_lo
	s_cbranch_execnz .LBB232_317
.LBB232_218:
	s_wait_alu 0xfffe
	s_or_b32 exec_lo, exec_lo, s0
	s_and_saveexec_b32 s0, vcc_lo
	s_cbranch_execnz .LBB232_318
.LBB232_219:
	s_wait_alu 0xfffe
	s_or_b32 exec_lo, exec_lo, s0
	s_and_saveexec_b32 s0, vcc_lo
	s_cbranch_execnz .LBB232_319
.LBB232_220:
	s_wait_alu 0xfffe
	s_or_b32 exec_lo, exec_lo, s0
	s_and_saveexec_b32 s0, vcc_lo
	s_cbranch_execnz .LBB232_320
.LBB232_221:
	s_wait_alu 0xfffe
	s_or_b32 exec_lo, exec_lo, s0
	s_and_saveexec_b32 s0, vcc_lo
	s_cbranch_execnz .LBB232_321
.LBB232_222:
	s_wait_alu 0xfffe
	s_or_b32 exec_lo, exec_lo, s0
	s_and_saveexec_b32 s0, vcc_lo
	s_cbranch_execnz .LBB232_322
.LBB232_223:
	s_wait_alu 0xfffe
	s_or_b32 exec_lo, exec_lo, s0
	s_and_saveexec_b32 s0, vcc_lo
	s_cbranch_execnz .LBB232_323
.LBB232_224:
	s_wait_alu 0xfffe
	s_or_b32 exec_lo, exec_lo, s0
	s_and_saveexec_b32 s0, vcc_lo
	s_cbranch_execnz .LBB232_324
.LBB232_225:
	s_wait_alu 0xfffe
	s_or_b32 exec_lo, exec_lo, s0
	s_and_saveexec_b32 s0, vcc_lo
	s_cbranch_execnz .LBB232_325
.LBB232_226:
	s_wait_alu 0xfffe
	s_or_b32 exec_lo, exec_lo, s0
	s_and_saveexec_b32 s0, vcc_lo
	s_cbranch_execnz .LBB232_326
.LBB232_227:
	s_wait_alu 0xfffe
	s_or_b32 exec_lo, exec_lo, s0
	s_and_saveexec_b32 s0, vcc_lo
	s_cbranch_execnz .LBB232_327
.LBB232_228:
	s_wait_alu 0xfffe
	s_or_b32 exec_lo, exec_lo, s0
	s_and_saveexec_b32 s0, vcc_lo
	s_cbranch_execnz .LBB232_328
.LBB232_229:
	s_wait_alu 0xfffe
	s_or_b32 exec_lo, exec_lo, s0
	s_and_saveexec_b32 s0, vcc_lo
	s_cbranch_execnz .LBB232_329
.LBB232_230:
	s_wait_alu 0xfffe
	s_or_b32 exec_lo, exec_lo, s0
	s_and_saveexec_b32 s0, vcc_lo
	s_cbranch_execnz .LBB232_330
.LBB232_231:
	s_wait_alu 0xfffe
	s_or_b32 exec_lo, exec_lo, s0
	s_and_saveexec_b32 s0, vcc_lo
	s_cbranch_execnz .LBB232_331
.LBB232_232:
	s_wait_alu 0xfffe
	s_or_b32 exec_lo, exec_lo, s0
	s_and_saveexec_b32 s0, vcc_lo
	s_cbranch_execnz .LBB232_332
.LBB232_233:
	s_wait_alu 0xfffe
	s_or_b32 exec_lo, exec_lo, s0
	s_and_saveexec_b32 s0, vcc_lo
	s_cbranch_execnz .LBB232_333
.LBB232_234:
	s_wait_alu 0xfffe
	s_or_b32 exec_lo, exec_lo, s0
	s_and_saveexec_b32 s0, vcc_lo
	s_cbranch_execnz .LBB232_334
.LBB232_235:
	s_wait_alu 0xfffe
	s_or_b32 exec_lo, exec_lo, s0
	s_and_saveexec_b32 s0, vcc_lo
	s_cbranch_execnz .LBB232_335
.LBB232_236:
	s_wait_alu 0xfffe
	s_or_b32 exec_lo, exec_lo, s0
	s_and_saveexec_b32 s0, vcc_lo
	s_cbranch_execnz .LBB232_336
.LBB232_237:
	s_wait_alu 0xfffe
	s_or_b32 exec_lo, exec_lo, s0
	s_and_saveexec_b32 s0, vcc_lo
	s_cbranch_execnz .LBB232_337
.LBB232_238:
	s_wait_alu 0xfffe
	s_or_b32 exec_lo, exec_lo, s0
	s_and_saveexec_b32 s0, vcc_lo
	s_cbranch_execnz .LBB232_338
.LBB232_239:
	s_wait_alu 0xfffe
	s_or_b32 exec_lo, exec_lo, s0
	s_and_saveexec_b32 s0, vcc_lo
	s_cbranch_execnz .LBB232_339
.LBB232_240:
	s_wait_alu 0xfffe
	s_or_b32 exec_lo, exec_lo, s0
	s_and_saveexec_b32 s0, vcc_lo
	s_cbranch_execz .LBB232_242
.LBB232_241:
	ds_load_b32 v0, v0 offset:752
	s_wait_dscnt 0x0
	v_add_f32_e32 v48, v48, v0
.LBB232_242:
	s_wait_alu 0xfffe
	s_or_b32 exec_lo, exec_lo, s0
.LBB232_243:
	s_wait_alu 0xfffe
	s_or_b32 exec_lo, exec_lo, s1
	s_mov_b32 s1, 0
	s_wait_loadcnt 0x0
	s_barrier_signal -1
	s_barrier_wait -1
	global_inv scope:SCOPE_SE
	s_mov_b32 s0, exec_lo
	v_cmpx_eq_u32_e32 0, v50
	s_cbranch_execz .LBB232_245
; %bb.244:
	s_mul_i32 s2, s18, 0xc0
	s_mul_i32 s4, s7, s20
	s_wait_alu 0xfffe
	s_ashr_i32 s3, s2, 31
	s_ashr_i32 s5, s4, 31
	s_wait_alu 0xfffe
	s_lshl_b64 s[2:3], s[2:3], 2
	s_lshl_b64 s[4:5], s[4:5], 2
	s_wait_kmcnt 0x0
	s_wait_alu 0xfffe
	s_add_nc_u64 s[2:3], s[8:9], s[2:3]
	v_lshrrev_b32_e32 v0, 1, v60
	s_mul_i32 s0, s33, 0x300
	s_wait_alu 0xfffe
	s_add_nc_u64 s[2:3], s[2:3], s[4:5]
	s_wait_alu 0xfffe
	s_add_nc_u64 s[0:1], s[2:3], s[0:1]
	s_clause 0x1f
	global_store_b32 v0, v1, s[0:1]
	global_store_b32 v0, v2, s[0:1] offset:16
	global_store_b32 v0, v3, s[0:1] offset:32
	global_store_b32 v0, v4, s[0:1] offset:48
	global_store_b32 v0, v5, s[0:1] offset:64
	global_store_b32 v0, v6, s[0:1] offset:80
	global_store_b32 v0, v7, s[0:1] offset:96
	global_store_b32 v0, v8, s[0:1] offset:112
	global_store_b32 v0, v41, s[0:1] offset:128
	global_store_b32 v0, v42, s[0:1] offset:144
	global_store_b32 v0, v43, s[0:1] offset:160
	global_store_b32 v0, v44, s[0:1] offset:176
	global_store_b32 v0, v45, s[0:1] offset:192
	global_store_b32 v0, v36, s[0:1] offset:208
	global_store_b32 v0, v37, s[0:1] offset:224
	global_store_b32 v0, v33, s[0:1] offset:240
	global_store_b32 v0, v34, s[0:1] offset:256
	global_store_b32 v0, v35, s[0:1] offset:272
	global_store_b32 v0, v38, s[0:1] offset:288
	global_store_b32 v0, v29, s[0:1] offset:304
	global_store_b32 v0, v27, s[0:1] offset:320
	global_store_b32 v0, v28, s[0:1] offset:336
	global_store_b32 v0, v30, s[0:1] offset:352
	global_store_b32 v0, v31, s[0:1] offset:368
	global_store_b32 v0, v26, s[0:1] offset:384
	global_store_b32 v0, v25, s[0:1] offset:400
	global_store_b32 v0, v32, s[0:1] offset:416
	global_store_b32 v0, v39, s[0:1] offset:432
	global_store_b32 v0, v10, s[0:1] offset:448
	global_store_b32 v0, v11, s[0:1] offset:464
	global_store_b32 v0, v12, s[0:1] offset:480
	global_store_b32 v0, v9, s[0:1] offset:496
	s_clause 0xf
	global_store_b32 v0, v13, s[0:1] offset:512
	global_store_b32 v0, v14, s[0:1] offset:528
	;; [unrolled: 1-line block ×16, first 2 shown]
.LBB232_245:
	s_nop 0
	s_sendmsg sendmsg(MSG_DEALLOC_VGPRS)
	s_endpgm
.LBB232_246:
	ds_load_b32 v50, v0
	s_wait_dscnt 0x0
	v_add_f32_e32 v1, v1, v50
	s_wait_alu 0xfffe
	s_or_b32 exec_lo, exec_lo, s0
	s_and_saveexec_b32 s0, vcc_lo
	s_cbranch_execz .LBB232_142
.LBB232_247:
	ds_load_b32 v50, v0 offset:16
	s_wait_dscnt 0x0
	v_add_f32_e32 v2, v2, v50
	s_wait_alu 0xfffe
	s_or_b32 exec_lo, exec_lo, s0
	s_and_saveexec_b32 s0, vcc_lo
	s_cbranch_execz .LBB232_143
.LBB232_248:
	ds_load_b32 v50, v0 offset:32
	s_wait_dscnt 0x0
	v_add_f32_e32 v3, v3, v50
	s_wait_alu 0xfffe
	s_or_b32 exec_lo, exec_lo, s0
	s_and_saveexec_b32 s0, vcc_lo
	s_cbranch_execz .LBB232_144
.LBB232_249:
	ds_load_b32 v50, v0 offset:48
	s_wait_dscnt 0x0
	v_add_f32_e32 v4, v4, v50
	s_wait_alu 0xfffe
	s_or_b32 exec_lo, exec_lo, s0
	s_and_saveexec_b32 s0, vcc_lo
	s_cbranch_execz .LBB232_145
.LBB232_250:
	ds_load_b32 v50, v0 offset:64
	s_wait_dscnt 0x0
	v_add_f32_e32 v5, v5, v50
	s_wait_alu 0xfffe
	s_or_b32 exec_lo, exec_lo, s0
	s_and_saveexec_b32 s0, vcc_lo
	s_cbranch_execz .LBB232_146
.LBB232_251:
	ds_load_b32 v50, v0 offset:80
	s_wait_dscnt 0x0
	v_add_f32_e32 v6, v6, v50
	s_wait_alu 0xfffe
	s_or_b32 exec_lo, exec_lo, s0
	s_and_saveexec_b32 s0, vcc_lo
	s_cbranch_execz .LBB232_147
.LBB232_252:
	ds_load_b32 v50, v0 offset:96
	s_wait_dscnt 0x0
	v_add_f32_e32 v7, v7, v50
	s_wait_alu 0xfffe
	s_or_b32 exec_lo, exec_lo, s0
	s_and_saveexec_b32 s0, vcc_lo
	s_cbranch_execz .LBB232_148
.LBB232_253:
	ds_load_b32 v50, v0 offset:112
	s_wait_dscnt 0x0
	v_add_f32_e32 v8, v8, v50
	s_wait_alu 0xfffe
	s_or_b32 exec_lo, exec_lo, s0
	s_and_saveexec_b32 s0, vcc_lo
	s_cbranch_execz .LBB232_149
.LBB232_254:
	ds_load_b32 v50, v0 offset:128
	s_wait_dscnt 0x0
	v_add_f32_e32 v41, v41, v50
	s_wait_alu 0xfffe
	s_or_b32 exec_lo, exec_lo, s0
	s_and_saveexec_b32 s0, vcc_lo
	s_cbranch_execz .LBB232_150
.LBB232_255:
	ds_load_b32 v50, v0 offset:144
	s_wait_dscnt 0x0
	v_add_f32_e32 v42, v42, v50
	s_wait_alu 0xfffe
	s_or_b32 exec_lo, exec_lo, s0
	s_and_saveexec_b32 s0, vcc_lo
	s_cbranch_execz .LBB232_151
.LBB232_256:
	ds_load_b32 v50, v0 offset:160
	s_wait_dscnt 0x0
	v_add_f32_e32 v43, v43, v50
	s_wait_alu 0xfffe
	s_or_b32 exec_lo, exec_lo, s0
	s_and_saveexec_b32 s0, vcc_lo
	s_cbranch_execz .LBB232_152
.LBB232_257:
	ds_load_b32 v50, v0 offset:176
	s_wait_dscnt 0x0
	v_add_f32_e32 v44, v44, v50
	s_wait_alu 0xfffe
	s_or_b32 exec_lo, exec_lo, s0
	s_and_saveexec_b32 s0, vcc_lo
	s_cbranch_execz .LBB232_153
.LBB232_258:
	ds_load_b32 v50, v0 offset:192
	s_wait_dscnt 0x0
	v_add_f32_e32 v45, v45, v50
	s_wait_alu 0xfffe
	s_or_b32 exec_lo, exec_lo, s0
	s_and_saveexec_b32 s0, vcc_lo
	s_cbranch_execz .LBB232_154
.LBB232_259:
	ds_load_b32 v50, v0 offset:208
	s_wait_dscnt 0x0
	v_add_f32_e32 v36, v36, v50
	s_wait_alu 0xfffe
	s_or_b32 exec_lo, exec_lo, s0
	s_and_saveexec_b32 s0, vcc_lo
	s_cbranch_execz .LBB232_155
.LBB232_260:
	ds_load_b32 v50, v0 offset:224
	s_wait_dscnt 0x0
	v_add_f32_e32 v37, v37, v50
	s_wait_alu 0xfffe
	s_or_b32 exec_lo, exec_lo, s0
	s_and_saveexec_b32 s0, vcc_lo
	s_cbranch_execz .LBB232_156
.LBB232_261:
	ds_load_b32 v50, v0 offset:240
	s_wait_dscnt 0x0
	v_add_f32_e32 v33, v33, v50
	s_wait_alu 0xfffe
	s_or_b32 exec_lo, exec_lo, s0
	s_and_saveexec_b32 s0, vcc_lo
	s_cbranch_execz .LBB232_157
.LBB232_262:
	ds_load_b32 v50, v0 offset:256
	s_wait_dscnt 0x0
	v_add_f32_e32 v34, v34, v50
	s_wait_alu 0xfffe
	s_or_b32 exec_lo, exec_lo, s0
	s_and_saveexec_b32 s0, vcc_lo
	s_cbranch_execz .LBB232_158
.LBB232_263:
	ds_load_b32 v50, v0 offset:272
	s_wait_dscnt 0x0
	v_add_f32_e32 v35, v35, v50
	s_wait_alu 0xfffe
	s_or_b32 exec_lo, exec_lo, s0
	s_and_saveexec_b32 s0, vcc_lo
	s_cbranch_execz .LBB232_159
.LBB232_264:
	ds_load_b32 v50, v0 offset:288
	s_wait_dscnt 0x0
	v_add_f32_e32 v38, v38, v50
	s_wait_alu 0xfffe
	s_or_b32 exec_lo, exec_lo, s0
	s_and_saveexec_b32 s0, vcc_lo
	s_cbranch_execz .LBB232_160
.LBB232_265:
	ds_load_b32 v50, v0 offset:304
	s_wait_dscnt 0x0
	v_add_f32_e32 v29, v29, v50
	s_wait_alu 0xfffe
	s_or_b32 exec_lo, exec_lo, s0
	s_and_saveexec_b32 s0, vcc_lo
	s_cbranch_execz .LBB232_161
.LBB232_266:
	ds_load_b32 v50, v0 offset:320
	s_wait_dscnt 0x0
	v_add_f32_e32 v27, v27, v50
	s_wait_alu 0xfffe
	s_or_b32 exec_lo, exec_lo, s0
	s_and_saveexec_b32 s0, vcc_lo
	s_cbranch_execz .LBB232_162
.LBB232_267:
	ds_load_b32 v50, v0 offset:336
	s_wait_dscnt 0x0
	v_add_f32_e32 v28, v28, v50
	s_wait_alu 0xfffe
	s_or_b32 exec_lo, exec_lo, s0
	s_and_saveexec_b32 s0, vcc_lo
	s_cbranch_execz .LBB232_163
.LBB232_268:
	ds_load_b32 v50, v0 offset:352
	s_wait_dscnt 0x0
	v_add_f32_e32 v30, v30, v50
	s_wait_alu 0xfffe
	s_or_b32 exec_lo, exec_lo, s0
	s_and_saveexec_b32 s0, vcc_lo
	s_cbranch_execz .LBB232_164
.LBB232_269:
	ds_load_b32 v50, v0 offset:368
	s_wait_dscnt 0x0
	v_add_f32_e32 v31, v31, v50
	s_wait_alu 0xfffe
	s_or_b32 exec_lo, exec_lo, s0
	s_and_saveexec_b32 s0, vcc_lo
	s_cbranch_execz .LBB232_165
.LBB232_270:
	ds_load_b32 v50, v0 offset:384
	s_wait_dscnt 0x0
	v_add_f32_e32 v26, v26, v50
	s_wait_alu 0xfffe
	s_or_b32 exec_lo, exec_lo, s0
	s_and_saveexec_b32 s0, vcc_lo
	s_cbranch_execz .LBB232_166
.LBB232_271:
	ds_load_b32 v50, v0 offset:400
	s_wait_dscnt 0x0
	v_add_f32_e32 v25, v25, v50
	s_wait_alu 0xfffe
	s_or_b32 exec_lo, exec_lo, s0
	s_and_saveexec_b32 s0, vcc_lo
	s_cbranch_execz .LBB232_167
.LBB232_272:
	ds_load_b32 v50, v0 offset:416
	s_wait_dscnt 0x0
	v_add_f32_e32 v32, v32, v50
	s_wait_alu 0xfffe
	s_or_b32 exec_lo, exec_lo, s0
	s_and_saveexec_b32 s0, vcc_lo
	s_cbranch_execz .LBB232_168
.LBB232_273:
	ds_load_b32 v50, v0 offset:432
	s_wait_dscnt 0x0
	v_add_f32_e32 v39, v39, v50
	s_wait_alu 0xfffe
	s_or_b32 exec_lo, exec_lo, s0
	s_and_saveexec_b32 s0, vcc_lo
	s_cbranch_execz .LBB232_169
.LBB232_274:
	ds_load_b32 v50, v0 offset:448
	s_wait_dscnt 0x0
	v_add_f32_e32 v10, v10, v50
	s_wait_alu 0xfffe
	s_or_b32 exec_lo, exec_lo, s0
	s_and_saveexec_b32 s0, vcc_lo
	s_cbranch_execz .LBB232_170
.LBB232_275:
	ds_load_b32 v50, v0 offset:464
	s_wait_dscnt 0x0
	v_add_f32_e32 v11, v11, v50
	s_wait_alu 0xfffe
	s_or_b32 exec_lo, exec_lo, s0
	s_and_saveexec_b32 s0, vcc_lo
	s_cbranch_execz .LBB232_171
.LBB232_276:
	ds_load_b32 v50, v0 offset:480
	s_wait_dscnt 0x0
	v_add_f32_e32 v12, v12, v50
	s_wait_alu 0xfffe
	s_or_b32 exec_lo, exec_lo, s0
	s_and_saveexec_b32 s0, vcc_lo
	s_cbranch_execz .LBB232_172
.LBB232_277:
	ds_load_b32 v50, v0 offset:496
	s_wait_dscnt 0x0
	v_add_f32_e32 v9, v9, v50
	s_wait_alu 0xfffe
	s_or_b32 exec_lo, exec_lo, s0
	s_and_saveexec_b32 s0, vcc_lo
	s_cbranch_execz .LBB232_173
.LBB232_278:
	ds_load_b32 v50, v0 offset:512
	s_wait_dscnt 0x0
	v_add_f32_e32 v13, v13, v50
	s_wait_alu 0xfffe
	s_or_b32 exec_lo, exec_lo, s0
	s_and_saveexec_b32 s0, vcc_lo
	s_cbranch_execz .LBB232_174
.LBB232_279:
	ds_load_b32 v50, v0 offset:528
	s_wait_dscnt 0x0
	v_add_f32_e32 v14, v14, v50
	s_wait_alu 0xfffe
	s_or_b32 exec_lo, exec_lo, s0
	s_and_saveexec_b32 s0, vcc_lo
	s_cbranch_execz .LBB232_175
.LBB232_280:
	ds_load_b32 v50, v0 offset:544
	s_wait_dscnt 0x0
	v_add_f32_e32 v15, v15, v50
	s_wait_alu 0xfffe
	s_or_b32 exec_lo, exec_lo, s0
	s_and_saveexec_b32 s0, vcc_lo
	s_cbranch_execz .LBB232_176
.LBB232_281:
	ds_load_b32 v50, v0 offset:560
	s_wait_dscnt 0x0
	v_add_f32_e32 v16, v16, v50
	s_wait_alu 0xfffe
	s_or_b32 exec_lo, exec_lo, s0
	s_and_saveexec_b32 s0, vcc_lo
	s_cbranch_execz .LBB232_177
.LBB232_282:
	ds_load_b32 v50, v0 offset:576
	s_wait_dscnt 0x0
	v_add_f32_e32 v17, v17, v50
	s_wait_alu 0xfffe
	s_or_b32 exec_lo, exec_lo, s0
	s_and_saveexec_b32 s0, vcc_lo
	s_cbranch_execz .LBB232_178
.LBB232_283:
	ds_load_b32 v50, v0 offset:592
	s_wait_dscnt 0x0
	v_add_f32_e32 v18, v18, v50
	s_wait_alu 0xfffe
	s_or_b32 exec_lo, exec_lo, s0
	s_and_saveexec_b32 s0, vcc_lo
	s_cbranch_execz .LBB232_179
.LBB232_284:
	ds_load_b32 v50, v0 offset:608
	s_wait_dscnt 0x0
	v_add_f32_e32 v19, v19, v50
	s_wait_alu 0xfffe
	s_or_b32 exec_lo, exec_lo, s0
	s_and_saveexec_b32 s0, vcc_lo
	s_cbranch_execz .LBB232_180
.LBB232_285:
	ds_load_b32 v50, v0 offset:624
	s_wait_dscnt 0x0
	v_add_f32_e32 v20, v20, v50
	s_wait_alu 0xfffe
	s_or_b32 exec_lo, exec_lo, s0
	s_and_saveexec_b32 s0, vcc_lo
	s_cbranch_execz .LBB232_181
.LBB232_286:
	ds_load_b32 v50, v0 offset:640
	s_wait_dscnt 0x0
	v_add_f32_e32 v21, v21, v50
	s_wait_alu 0xfffe
	s_or_b32 exec_lo, exec_lo, s0
	s_and_saveexec_b32 s0, vcc_lo
	s_cbranch_execz .LBB232_182
.LBB232_287:
	ds_load_b32 v50, v0 offset:656
	s_wait_dscnt 0x0
	v_add_f32_e32 v22, v22, v50
	s_wait_alu 0xfffe
	s_or_b32 exec_lo, exec_lo, s0
	s_and_saveexec_b32 s0, vcc_lo
	s_cbranch_execz .LBB232_183
.LBB232_288:
	ds_load_b32 v50, v0 offset:672
	s_wait_dscnt 0x0
	v_add_f32_e32 v23, v23, v50
	s_wait_alu 0xfffe
	s_or_b32 exec_lo, exec_lo, s0
	s_and_saveexec_b32 s0, vcc_lo
	s_cbranch_execz .LBB232_184
.LBB232_289:
	ds_load_b32 v50, v0 offset:688
	s_wait_dscnt 0x0
	v_add_f32_e32 v24, v24, v50
	s_wait_alu 0xfffe
	s_or_b32 exec_lo, exec_lo, s0
	s_and_saveexec_b32 s0, vcc_lo
	s_cbranch_execz .LBB232_185
.LBB232_290:
	ds_load_b32 v50, v0 offset:704
	s_wait_dscnt 0x0
	v_add_f32_e32 v40, v40, v50
	s_wait_alu 0xfffe
	s_or_b32 exec_lo, exec_lo, s0
	s_and_saveexec_b32 s0, vcc_lo
	s_cbranch_execz .LBB232_186
.LBB232_291:
	ds_load_b32 v50, v0 offset:720
	s_wait_dscnt 0x0
	v_add_f32_e32 v46, v46, v50
	s_wait_alu 0xfffe
	s_or_b32 exec_lo, exec_lo, s0
	s_and_saveexec_b32 s0, vcc_lo
	s_cbranch_execz .LBB232_187
.LBB232_292:
	ds_load_b32 v50, v0 offset:736
	s_wait_dscnt 0x0
	v_add_f32_e32 v47, v47, v50
	s_wait_alu 0xfffe
	s_or_b32 exec_lo, exec_lo, s0
	s_and_saveexec_b32 s0, vcc_lo
	s_cbranch_execnz .LBB232_188
	s_branch .LBB232_189
.LBB232_293:
	ds_load_b32 v49, v0
	s_wait_dscnt 0x0
	v_add_f32_e32 v1, v1, v49
	s_wait_alu 0xfffe
	s_or_b32 exec_lo, exec_lo, s0
	s_and_saveexec_b32 s0, vcc_lo
	s_cbranch_execz .LBB232_195
.LBB232_294:
	ds_load_b32 v49, v0 offset:16
	s_wait_dscnt 0x0
	v_add_f32_e32 v2, v2, v49
	s_wait_alu 0xfffe
	s_or_b32 exec_lo, exec_lo, s0
	s_and_saveexec_b32 s0, vcc_lo
	s_cbranch_execz .LBB232_196
.LBB232_295:
	ds_load_b32 v49, v0 offset:32
	s_wait_dscnt 0x0
	v_add_f32_e32 v3, v3, v49
	s_wait_alu 0xfffe
	s_or_b32 exec_lo, exec_lo, s0
	s_and_saveexec_b32 s0, vcc_lo
	s_cbranch_execz .LBB232_197
.LBB232_296:
	ds_load_b32 v49, v0 offset:48
	s_wait_dscnt 0x0
	v_add_f32_e32 v4, v4, v49
	s_wait_alu 0xfffe
	s_or_b32 exec_lo, exec_lo, s0
	s_and_saveexec_b32 s0, vcc_lo
	s_cbranch_execz .LBB232_198
.LBB232_297:
	ds_load_b32 v49, v0 offset:64
	s_wait_dscnt 0x0
	v_add_f32_e32 v5, v5, v49
	s_wait_alu 0xfffe
	s_or_b32 exec_lo, exec_lo, s0
	s_and_saveexec_b32 s0, vcc_lo
	s_cbranch_execz .LBB232_199
.LBB232_298:
	ds_load_b32 v49, v0 offset:80
	s_wait_dscnt 0x0
	v_add_f32_e32 v6, v6, v49
	s_wait_alu 0xfffe
	s_or_b32 exec_lo, exec_lo, s0
	s_and_saveexec_b32 s0, vcc_lo
	s_cbranch_execz .LBB232_200
.LBB232_299:
	ds_load_b32 v49, v0 offset:96
	s_wait_dscnt 0x0
	v_add_f32_e32 v7, v7, v49
	s_wait_alu 0xfffe
	s_or_b32 exec_lo, exec_lo, s0
	s_and_saveexec_b32 s0, vcc_lo
	s_cbranch_execz .LBB232_201
.LBB232_300:
	ds_load_b32 v49, v0 offset:112
	s_wait_dscnt 0x0
	v_add_f32_e32 v8, v8, v49
	s_wait_alu 0xfffe
	s_or_b32 exec_lo, exec_lo, s0
	s_and_saveexec_b32 s0, vcc_lo
	s_cbranch_execz .LBB232_202
.LBB232_301:
	ds_load_b32 v49, v0 offset:128
	s_wait_dscnt 0x0
	v_add_f32_e32 v41, v41, v49
	s_wait_alu 0xfffe
	s_or_b32 exec_lo, exec_lo, s0
	s_and_saveexec_b32 s0, vcc_lo
	s_cbranch_execz .LBB232_203
.LBB232_302:
	ds_load_b32 v49, v0 offset:144
	s_wait_dscnt 0x0
	v_add_f32_e32 v42, v42, v49
	s_wait_alu 0xfffe
	s_or_b32 exec_lo, exec_lo, s0
	s_and_saveexec_b32 s0, vcc_lo
	s_cbranch_execz .LBB232_204
.LBB232_303:
	ds_load_b32 v49, v0 offset:160
	s_wait_dscnt 0x0
	v_add_f32_e32 v43, v43, v49
	s_wait_alu 0xfffe
	s_or_b32 exec_lo, exec_lo, s0
	s_and_saveexec_b32 s0, vcc_lo
	s_cbranch_execz .LBB232_205
.LBB232_304:
	ds_load_b32 v49, v0 offset:176
	s_wait_dscnt 0x0
	v_add_f32_e32 v44, v44, v49
	s_wait_alu 0xfffe
	s_or_b32 exec_lo, exec_lo, s0
	s_and_saveexec_b32 s0, vcc_lo
	s_cbranch_execz .LBB232_206
.LBB232_305:
	ds_load_b32 v49, v0 offset:192
	s_wait_dscnt 0x0
	v_add_f32_e32 v45, v45, v49
	s_wait_alu 0xfffe
	s_or_b32 exec_lo, exec_lo, s0
	s_and_saveexec_b32 s0, vcc_lo
	s_cbranch_execz .LBB232_207
.LBB232_306:
	ds_load_b32 v49, v0 offset:208
	s_wait_dscnt 0x0
	v_add_f32_e32 v36, v36, v49
	s_wait_alu 0xfffe
	s_or_b32 exec_lo, exec_lo, s0
	s_and_saveexec_b32 s0, vcc_lo
	s_cbranch_execz .LBB232_208
.LBB232_307:
	ds_load_b32 v49, v0 offset:224
	s_wait_dscnt 0x0
	v_add_f32_e32 v37, v37, v49
	s_wait_alu 0xfffe
	s_or_b32 exec_lo, exec_lo, s0
	s_and_saveexec_b32 s0, vcc_lo
	s_cbranch_execz .LBB232_209
.LBB232_308:
	ds_load_b32 v49, v0 offset:240
	s_wait_dscnt 0x0
	v_add_f32_e32 v33, v33, v49
	s_wait_alu 0xfffe
	s_or_b32 exec_lo, exec_lo, s0
	s_and_saveexec_b32 s0, vcc_lo
	s_cbranch_execz .LBB232_210
.LBB232_309:
	ds_load_b32 v49, v0 offset:256
	s_wait_dscnt 0x0
	v_add_f32_e32 v34, v34, v49
	s_wait_alu 0xfffe
	s_or_b32 exec_lo, exec_lo, s0
	s_and_saveexec_b32 s0, vcc_lo
	s_cbranch_execz .LBB232_211
.LBB232_310:
	ds_load_b32 v49, v0 offset:272
	s_wait_dscnt 0x0
	v_add_f32_e32 v35, v35, v49
	s_wait_alu 0xfffe
	s_or_b32 exec_lo, exec_lo, s0
	s_and_saveexec_b32 s0, vcc_lo
	s_cbranch_execz .LBB232_212
.LBB232_311:
	ds_load_b32 v49, v0 offset:288
	s_wait_dscnt 0x0
	v_add_f32_e32 v38, v38, v49
	s_wait_alu 0xfffe
	s_or_b32 exec_lo, exec_lo, s0
	s_and_saveexec_b32 s0, vcc_lo
	s_cbranch_execz .LBB232_213
.LBB232_312:
	ds_load_b32 v49, v0 offset:304
	s_wait_dscnt 0x0
	v_add_f32_e32 v29, v29, v49
	s_wait_alu 0xfffe
	s_or_b32 exec_lo, exec_lo, s0
	s_and_saveexec_b32 s0, vcc_lo
	s_cbranch_execz .LBB232_214
.LBB232_313:
	ds_load_b32 v49, v0 offset:320
	s_wait_dscnt 0x0
	v_add_f32_e32 v27, v27, v49
	s_wait_alu 0xfffe
	s_or_b32 exec_lo, exec_lo, s0
	s_and_saveexec_b32 s0, vcc_lo
	s_cbranch_execz .LBB232_215
.LBB232_314:
	ds_load_b32 v49, v0 offset:336
	s_wait_dscnt 0x0
	v_add_f32_e32 v28, v28, v49
	s_wait_alu 0xfffe
	s_or_b32 exec_lo, exec_lo, s0
	s_and_saveexec_b32 s0, vcc_lo
	s_cbranch_execz .LBB232_216
.LBB232_315:
	ds_load_b32 v49, v0 offset:352
	s_wait_dscnt 0x0
	v_add_f32_e32 v30, v30, v49
	s_wait_alu 0xfffe
	s_or_b32 exec_lo, exec_lo, s0
	s_and_saveexec_b32 s0, vcc_lo
	s_cbranch_execz .LBB232_217
.LBB232_316:
	ds_load_b32 v49, v0 offset:368
	s_wait_dscnt 0x0
	v_add_f32_e32 v31, v31, v49
	s_wait_alu 0xfffe
	s_or_b32 exec_lo, exec_lo, s0
	s_and_saveexec_b32 s0, vcc_lo
	s_cbranch_execz .LBB232_218
.LBB232_317:
	ds_load_b32 v49, v0 offset:384
	s_wait_dscnt 0x0
	v_add_f32_e32 v26, v26, v49
	s_wait_alu 0xfffe
	s_or_b32 exec_lo, exec_lo, s0
	s_and_saveexec_b32 s0, vcc_lo
	s_cbranch_execz .LBB232_219
.LBB232_318:
	ds_load_b32 v49, v0 offset:400
	s_wait_dscnt 0x0
	v_add_f32_e32 v25, v25, v49
	s_wait_alu 0xfffe
	s_or_b32 exec_lo, exec_lo, s0
	s_and_saveexec_b32 s0, vcc_lo
	s_cbranch_execz .LBB232_220
.LBB232_319:
	ds_load_b32 v49, v0 offset:416
	s_wait_dscnt 0x0
	v_add_f32_e32 v32, v32, v49
	s_wait_alu 0xfffe
	s_or_b32 exec_lo, exec_lo, s0
	s_and_saveexec_b32 s0, vcc_lo
	s_cbranch_execz .LBB232_221
.LBB232_320:
	ds_load_b32 v49, v0 offset:432
	s_wait_dscnt 0x0
	v_add_f32_e32 v39, v39, v49
	s_wait_alu 0xfffe
	s_or_b32 exec_lo, exec_lo, s0
	s_and_saveexec_b32 s0, vcc_lo
	s_cbranch_execz .LBB232_222
.LBB232_321:
	ds_load_b32 v49, v0 offset:448
	s_wait_dscnt 0x0
	v_add_f32_e32 v10, v10, v49
	s_wait_alu 0xfffe
	s_or_b32 exec_lo, exec_lo, s0
	s_and_saveexec_b32 s0, vcc_lo
	s_cbranch_execz .LBB232_223
.LBB232_322:
	ds_load_b32 v49, v0 offset:464
	s_wait_dscnt 0x0
	v_add_f32_e32 v11, v11, v49
	s_wait_alu 0xfffe
	s_or_b32 exec_lo, exec_lo, s0
	s_and_saveexec_b32 s0, vcc_lo
	s_cbranch_execz .LBB232_224
.LBB232_323:
	ds_load_b32 v49, v0 offset:480
	s_wait_dscnt 0x0
	v_add_f32_e32 v12, v12, v49
	s_wait_alu 0xfffe
	s_or_b32 exec_lo, exec_lo, s0
	s_and_saveexec_b32 s0, vcc_lo
	s_cbranch_execz .LBB232_225
.LBB232_324:
	ds_load_b32 v49, v0 offset:496
	s_wait_dscnt 0x0
	v_add_f32_e32 v9, v9, v49
	s_wait_alu 0xfffe
	s_or_b32 exec_lo, exec_lo, s0
	s_and_saveexec_b32 s0, vcc_lo
	s_cbranch_execz .LBB232_226
.LBB232_325:
	ds_load_b32 v49, v0 offset:512
	s_wait_dscnt 0x0
	v_add_f32_e32 v13, v13, v49
	s_wait_alu 0xfffe
	s_or_b32 exec_lo, exec_lo, s0
	s_and_saveexec_b32 s0, vcc_lo
	s_cbranch_execz .LBB232_227
.LBB232_326:
	ds_load_b32 v49, v0 offset:528
	s_wait_dscnt 0x0
	v_add_f32_e32 v14, v14, v49
	s_wait_alu 0xfffe
	s_or_b32 exec_lo, exec_lo, s0
	s_and_saveexec_b32 s0, vcc_lo
	s_cbranch_execz .LBB232_228
.LBB232_327:
	ds_load_b32 v49, v0 offset:544
	s_wait_dscnt 0x0
	v_add_f32_e32 v15, v15, v49
	s_wait_alu 0xfffe
	s_or_b32 exec_lo, exec_lo, s0
	s_and_saveexec_b32 s0, vcc_lo
	s_cbranch_execz .LBB232_229
.LBB232_328:
	ds_load_b32 v49, v0 offset:560
	s_wait_dscnt 0x0
	v_add_f32_e32 v16, v16, v49
	s_wait_alu 0xfffe
	s_or_b32 exec_lo, exec_lo, s0
	s_and_saveexec_b32 s0, vcc_lo
	s_cbranch_execz .LBB232_230
.LBB232_329:
	ds_load_b32 v49, v0 offset:576
	s_wait_dscnt 0x0
	v_add_f32_e32 v17, v17, v49
	s_wait_alu 0xfffe
	s_or_b32 exec_lo, exec_lo, s0
	s_and_saveexec_b32 s0, vcc_lo
	s_cbranch_execz .LBB232_231
.LBB232_330:
	ds_load_b32 v49, v0 offset:592
	s_wait_dscnt 0x0
	v_add_f32_e32 v18, v18, v49
	s_wait_alu 0xfffe
	s_or_b32 exec_lo, exec_lo, s0
	s_and_saveexec_b32 s0, vcc_lo
	s_cbranch_execz .LBB232_232
.LBB232_331:
	ds_load_b32 v49, v0 offset:608
	s_wait_dscnt 0x0
	v_add_f32_e32 v19, v19, v49
	s_wait_alu 0xfffe
	s_or_b32 exec_lo, exec_lo, s0
	s_and_saveexec_b32 s0, vcc_lo
	s_cbranch_execz .LBB232_233
.LBB232_332:
	ds_load_b32 v49, v0 offset:624
	s_wait_dscnt 0x0
	v_add_f32_e32 v20, v20, v49
	s_wait_alu 0xfffe
	s_or_b32 exec_lo, exec_lo, s0
	s_and_saveexec_b32 s0, vcc_lo
	s_cbranch_execz .LBB232_234
.LBB232_333:
	ds_load_b32 v49, v0 offset:640
	s_wait_dscnt 0x0
	v_add_f32_e32 v21, v21, v49
	s_wait_alu 0xfffe
	s_or_b32 exec_lo, exec_lo, s0
	s_and_saveexec_b32 s0, vcc_lo
	s_cbranch_execz .LBB232_235
.LBB232_334:
	ds_load_b32 v49, v0 offset:656
	s_wait_dscnt 0x0
	v_add_f32_e32 v22, v22, v49
	s_wait_alu 0xfffe
	s_or_b32 exec_lo, exec_lo, s0
	s_and_saveexec_b32 s0, vcc_lo
	s_cbranch_execz .LBB232_236
.LBB232_335:
	ds_load_b32 v49, v0 offset:672
	s_wait_dscnt 0x0
	v_add_f32_e32 v23, v23, v49
	s_wait_alu 0xfffe
	s_or_b32 exec_lo, exec_lo, s0
	s_and_saveexec_b32 s0, vcc_lo
	s_cbranch_execz .LBB232_237
.LBB232_336:
	ds_load_b32 v49, v0 offset:688
	s_wait_dscnt 0x0
	v_add_f32_e32 v24, v24, v49
	s_wait_alu 0xfffe
	s_or_b32 exec_lo, exec_lo, s0
	s_and_saveexec_b32 s0, vcc_lo
	s_cbranch_execz .LBB232_238
.LBB232_337:
	ds_load_b32 v49, v0 offset:704
	s_wait_dscnt 0x0
	v_add_f32_e32 v40, v40, v49
	s_wait_alu 0xfffe
	s_or_b32 exec_lo, exec_lo, s0
	s_and_saveexec_b32 s0, vcc_lo
	s_cbranch_execz .LBB232_239
.LBB232_338:
	ds_load_b32 v49, v0 offset:720
	s_wait_dscnt 0x0
	v_add_f32_e32 v46, v46, v49
	s_wait_alu 0xfffe
	s_or_b32 exec_lo, exec_lo, s0
	s_and_saveexec_b32 s0, vcc_lo
	s_cbranch_execz .LBB232_240
.LBB232_339:
	ds_load_b32 v49, v0 offset:736
	s_wait_dscnt 0x0
	v_add_f32_e32 v47, v47, v49
	s_wait_alu 0xfffe
	s_or_b32 exec_lo, exec_lo, s0
	s_and_saveexec_b32 s0, vcc_lo
	s_cbranch_execnz .LBB232_241
	s_branch .LBB232_242
	.section	.rodata,"a",@progbits
	.p2align	6, 0x0
	.amdhsa_kernel _ZN4vllm25paged_attention_v2_kernelIfhLi192ELi32ELi128ELNS_18Fp8KVCacheDataTypeE1ELb1ELi512EEEvPfS2_PT_PKS3_PKT0_S9_ifPKiSB_iPKfiiiSD_SD_iiiii
		.amdhsa_group_segment_fixed_size 800
		.amdhsa_private_segment_fixed_size 780
		.amdhsa_kernarg_size 400
		.amdhsa_user_sgpr_count 2
		.amdhsa_user_sgpr_dispatch_ptr 0
		.amdhsa_user_sgpr_queue_ptr 0
		.amdhsa_user_sgpr_kernarg_segment_ptr 1
		.amdhsa_user_sgpr_dispatch_id 0
		.amdhsa_user_sgpr_private_segment_size 0
		.amdhsa_wavefront_size32 1
		.amdhsa_uses_dynamic_stack 0
		.amdhsa_enable_private_segment 1
		.amdhsa_system_sgpr_workgroup_id_x 1
		.amdhsa_system_sgpr_workgroup_id_y 1
		.amdhsa_system_sgpr_workgroup_id_z 1
		.amdhsa_system_sgpr_workgroup_info 0
		.amdhsa_system_vgpr_workitem_id 0
		.amdhsa_next_free_vgpr 192
		.amdhsa_next_free_sgpr 44
		.amdhsa_reserve_vcc 1
		.amdhsa_float_round_mode_32 0
		.amdhsa_float_round_mode_16_64 0
		.amdhsa_float_denorm_mode_32 3
		.amdhsa_float_denorm_mode_16_64 3
		.amdhsa_fp16_overflow 0
		.amdhsa_workgroup_processor_mode 1
		.amdhsa_memory_ordered 1
		.amdhsa_forward_progress 1
		.amdhsa_inst_pref_size 224
		.amdhsa_round_robin_scheduling 0
		.amdhsa_exception_fp_ieee_invalid_op 0
		.amdhsa_exception_fp_denorm_src 0
		.amdhsa_exception_fp_ieee_div_zero 0
		.amdhsa_exception_fp_ieee_overflow 0
		.amdhsa_exception_fp_ieee_underflow 0
		.amdhsa_exception_fp_ieee_inexact 0
		.amdhsa_exception_int_div_zero 0
	.end_amdhsa_kernel
	.section	.text._ZN4vllm25paged_attention_v2_kernelIfhLi192ELi32ELi128ELNS_18Fp8KVCacheDataTypeE1ELb1ELi512EEEvPfS2_PT_PKS3_PKT0_S9_ifPKiSB_iPKfiiiSD_SD_iiiii,"axG",@progbits,_ZN4vllm25paged_attention_v2_kernelIfhLi192ELi32ELi128ELNS_18Fp8KVCacheDataTypeE1ELb1ELi512EEEvPfS2_PT_PKS3_PKT0_S9_ifPKiSB_iPKfiiiSD_SD_iiiii,comdat
.Lfunc_end232:
	.size	_ZN4vllm25paged_attention_v2_kernelIfhLi192ELi32ELi128ELNS_18Fp8KVCacheDataTypeE1ELb1ELi512EEEvPfS2_PT_PKS3_PKT0_S9_ifPKiSB_iPKfiiiSD_SD_iiiii, .Lfunc_end232-_ZN4vllm25paged_attention_v2_kernelIfhLi192ELi32ELi128ELNS_18Fp8KVCacheDataTypeE1ELb1ELi512EEEvPfS2_PT_PKS3_PKT0_S9_ifPKiSB_iPKfiiiSD_SD_iiiii
                                        ; -- End function
	.set _ZN4vllm25paged_attention_v2_kernelIfhLi192ELi32ELi128ELNS_18Fp8KVCacheDataTypeE1ELb1ELi512EEEvPfS2_PT_PKS3_PKT0_S9_ifPKiSB_iPKfiiiSD_SD_iiiii.num_vgpr, 192
	.set _ZN4vllm25paged_attention_v2_kernelIfhLi192ELi32ELi128ELNS_18Fp8KVCacheDataTypeE1ELb1ELi512EEEvPfS2_PT_PKS3_PKT0_S9_ifPKiSB_iPKfiiiSD_SD_iiiii.num_agpr, 0
	.set _ZN4vllm25paged_attention_v2_kernelIfhLi192ELi32ELi128ELNS_18Fp8KVCacheDataTypeE1ELb1ELi512EEEvPfS2_PT_PKS3_PKT0_S9_ifPKiSB_iPKfiiiSD_SD_iiiii.numbered_sgpr, 44
	.set _ZN4vllm25paged_attention_v2_kernelIfhLi192ELi32ELi128ELNS_18Fp8KVCacheDataTypeE1ELb1ELi512EEEvPfS2_PT_PKS3_PKT0_S9_ifPKiSB_iPKfiiiSD_SD_iiiii.num_named_barrier, 0
	.set _ZN4vllm25paged_attention_v2_kernelIfhLi192ELi32ELi128ELNS_18Fp8KVCacheDataTypeE1ELb1ELi512EEEvPfS2_PT_PKS3_PKT0_S9_ifPKiSB_iPKfiiiSD_SD_iiiii.private_seg_size, 780
	.set _ZN4vllm25paged_attention_v2_kernelIfhLi192ELi32ELi128ELNS_18Fp8KVCacheDataTypeE1ELb1ELi512EEEvPfS2_PT_PKS3_PKT0_S9_ifPKiSB_iPKfiiiSD_SD_iiiii.uses_vcc, 1
	.set _ZN4vllm25paged_attention_v2_kernelIfhLi192ELi32ELi128ELNS_18Fp8KVCacheDataTypeE1ELb1ELi512EEEvPfS2_PT_PKS3_PKT0_S9_ifPKiSB_iPKfiiiSD_SD_iiiii.uses_flat_scratch, 1
	.set _ZN4vllm25paged_attention_v2_kernelIfhLi192ELi32ELi128ELNS_18Fp8KVCacheDataTypeE1ELb1ELi512EEEvPfS2_PT_PKS3_PKT0_S9_ifPKiSB_iPKfiiiSD_SD_iiiii.has_dyn_sized_stack, 0
	.set _ZN4vllm25paged_attention_v2_kernelIfhLi192ELi32ELi128ELNS_18Fp8KVCacheDataTypeE1ELb1ELi512EEEvPfS2_PT_PKS3_PKT0_S9_ifPKiSB_iPKfiiiSD_SD_iiiii.has_recursion, 0
	.set _ZN4vllm25paged_attention_v2_kernelIfhLi192ELi32ELi128ELNS_18Fp8KVCacheDataTypeE1ELb1ELi512EEEvPfS2_PT_PKS3_PKT0_S9_ifPKiSB_iPKfiiiSD_SD_iiiii.has_indirect_call, 0
	.section	.AMDGPU.csdata,"",@progbits
; Kernel info:
; codeLenInByte = 28604
; TotalNumSgprs: 46
; NumVgprs: 192
; ScratchSize: 780
; MemoryBound: 0
; FloatMode: 240
; IeeeMode: 1
; LDSByteSize: 800 bytes/workgroup (compile time only)
; SGPRBlocks: 0
; VGPRBlocks: 23
; NumSGPRsForWavesPerEU: 46
; NumVGPRsForWavesPerEU: 192
; Occupancy: 8
; WaveLimiterHint : 1
; COMPUTE_PGM_RSRC2:SCRATCH_EN: 1
; COMPUTE_PGM_RSRC2:USER_SGPR: 2
; COMPUTE_PGM_RSRC2:TRAP_HANDLER: 0
; COMPUTE_PGM_RSRC2:TGID_X_EN: 1
; COMPUTE_PGM_RSRC2:TGID_Y_EN: 1
; COMPUTE_PGM_RSRC2:TGID_Z_EN: 1
; COMPUTE_PGM_RSRC2:TIDIG_COMP_CNT: 0
	.section	.text._ZN4vllm25paged_attention_v2_kernelIfhLi256ELi32ELi128ELNS_18Fp8KVCacheDataTypeE1ELb1ELi512EEEvPfS2_PT_PKS3_PKT0_S9_ifPKiSB_iPKfiiiSD_SD_iiiii,"axG",@progbits,_ZN4vllm25paged_attention_v2_kernelIfhLi256ELi32ELi128ELNS_18Fp8KVCacheDataTypeE1ELb1ELi512EEEvPfS2_PT_PKS3_PKT0_S9_ifPKiSB_iPKfiiiSD_SD_iiiii,comdat
	.protected	_ZN4vllm25paged_attention_v2_kernelIfhLi256ELi32ELi128ELNS_18Fp8KVCacheDataTypeE1ELb1ELi512EEEvPfS2_PT_PKS3_PKT0_S9_ifPKiSB_iPKfiiiSD_SD_iiiii ; -- Begin function _ZN4vllm25paged_attention_v2_kernelIfhLi256ELi32ELi128ELNS_18Fp8KVCacheDataTypeE1ELb1ELi512EEEvPfS2_PT_PKS3_PKT0_S9_ifPKiSB_iPKfiiiSD_SD_iiiii
	.globl	_ZN4vllm25paged_attention_v2_kernelIfhLi256ELi32ELi128ELNS_18Fp8KVCacheDataTypeE1ELb1ELi512EEEvPfS2_PT_PKS3_PKT0_S9_ifPKiSB_iPKfiiiSD_SD_iiiii
	.p2align	8
	.type	_ZN4vllm25paged_attention_v2_kernelIfhLi256ELi32ELi128ELNS_18Fp8KVCacheDataTypeE1ELb1ELi512EEEvPfS2_PT_PKS3_PKT0_S9_ifPKiSB_iPKfiiiSD_SD_iiiii,@function
_ZN4vllm25paged_attention_v2_kernelIfhLi256ELi32ELi128ELNS_18Fp8KVCacheDataTypeE1ELb1ELi512EEEvPfS2_PT_PKS3_PKT0_S9_ifPKiSB_iPKfiiiSD_SD_iiiii: ; @_ZN4vllm25paged_attention_v2_kernelIfhLi256ELi32ELi128ELNS_18Fp8KVCacheDataTypeE1ELb1ELi512EEEvPfS2_PT_PKS3_PKT0_S9_ifPKiSB_iPKfiiiSD_SD_iiiii
; %bb.0:
	s_load_b64 s[2:3], s[0:1], 0x40
	s_and_b32 s38, ttmp7, 0xffff
	s_lshr_b32 s33, ttmp7, 16
	s_lshl_b32 s4, s38, 2
	s_lshl_b32 s37, s33, 9
	scratch_store_b32 off, v0, off offset:1356 ; 4-byte Folded Spill
	s_wait_kmcnt 0x0
	s_load_b32 s34, s[2:3], s4 offset:0x0
	s_wait_kmcnt 0x0
	s_cmp_ge_i32 s37, s34
	s_cbranch_scc1 .LBB233_309
; %bb.1:
	s_clause 0x1
	s_load_b32 s39, s[0:1], 0x90
	s_load_b64 s[16:17], s[0:1], 0x30
	s_wait_kmcnt 0x0
	s_abs_i32 s5, s39
	s_abs_i32 s2, s16
	s_delay_alu instid0(SALU_CYCLE_1) | instskip(SKIP_1) | instid1(SALU_CYCLE_2)
	s_cvt_f32_u32 s3, s2
	s_sub_co_i32 s4, 0, s2
	v_rcp_iflag_f32_e32 v0, s3
	s_delay_alu instid0(TRANS32_DEP_1) | instskip(SKIP_2) | instid1(SALU_CYCLE_2)
	v_readfirstlane_b32 s3, v0
	s_mul_f32 s3, s3, 0x4f7ffffe
	s_wait_alu 0xfffe
	s_cvt_u32_f32 s3, s3
	s_wait_alu 0xfffe
	s_delay_alu instid0(SALU_CYCLE_2) | instskip(NEXT) | instid1(SALU_CYCLE_1)
	s_mul_i32 s4, s4, s3
	s_mul_hi_u32 s4, s3, s4
	s_delay_alu instid0(SALU_CYCLE_1)
	s_add_co_i32 s3, s3, s4
	s_xor_b32 s4, s39, s16
	s_wait_alu 0xfffe
	s_mul_hi_u32 s3, s5, s3
	s_ashr_i32 s4, s4, 31
	s_wait_alu 0xfffe
	s_mul_i32 s6, s3, s2
	s_delay_alu instid0(SALU_CYCLE_1)
	s_sub_co_i32 s5, s5, s6
	s_add_co_i32 s6, s3, 1
	s_sub_co_i32 s7, s5, s2
	s_cmp_ge_u32 s5, s2
	s_cselect_b32 s3, s6, s3
	s_cselect_b32 s5, s7, s5
	s_wait_alu 0xfffe
	s_add_co_i32 s6, s3, 1
	s_cmp_ge_u32 s5, s2
	s_mov_b32 s5, 0
	s_cselect_b32 s2, s6, s3
	s_load_b64 s[6:7], s[0:1], 0x50
	s_xor_b32 s2, s2, s4
	s_mov_b32 s30, s5
	s_wait_alu 0xfffe
	s_sub_co_i32 s9, s2, s4
	s_abs_i32 s4, ttmp9
	s_abs_i32 s8, s9
	s_delay_alu instid0(SALU_CYCLE_1) | instskip(SKIP_2) | instid1(SALU_CYCLE_1)
	s_cvt_f32_u32 s2, s8
	s_sub_co_i32 s3, 0, s8
	s_wait_alu 0xfffe
	v_rcp_iflag_f32_e32 v0, s2
	s_delay_alu instid0(TRANS32_DEP_1) | instskip(SKIP_2) | instid1(SALU_CYCLE_2)
	v_readfirstlane_b32 s2, v0
	s_mul_f32 s2, s2, 0x4f7ffffe
	s_wait_alu 0xfffe
	s_cvt_u32_f32 s2, s2
	s_wait_alu 0xfffe
	s_delay_alu instid0(SALU_CYCLE_2)
	s_mul_i32 s3, s3, s2
	s_wait_alu 0xfffe
	s_mul_hi_u32 s3, s2, s3
	s_wait_alu 0xfffe
	s_add_co_i32 s2, s2, s3
	s_mov_b32 s3, s5
	s_wait_kmcnt 0x0
	s_cmp_eq_u64 s[6:7], 0
	s_cbranch_scc1 .LBB233_3
; %bb.2:
	s_mov_b32 s10, ttmp9
	s_ashr_i32 s11, ttmp9, 31
	s_delay_alu instid0(SALU_CYCLE_1) | instskip(NEXT) | instid1(SALU_CYCLE_1)
	s_lshl_b64 s[10:11], s[10:11], 2
	s_add_nc_u64 s[6:7], s[6:7], s[10:11]
	s_load_b32 s30, s[6:7], 0x0
.LBB233_3:
	scratch_load_b32 v0, off, off offset:1356 ; 4-byte Folded Reload
	s_load_b96 s[20:22], s[0:1], 0x58
	s_mul_u64 s[2:3], s[4:5], s[2:3]
	s_ashr_i32 s5, ttmp9, 31
	s_ashr_i32 s9, s9, 31
	s_lshl_b32 s6, ttmp9, 8
	s_wait_loadcnt 0x0
	v_cmp_gt_u32_e64 s2, 64, v0
	s_wait_alu 0xfffe
	s_and_saveexec_b32 s10, s2
	s_cbranch_execz .LBB233_5
; %bb.4:
	scratch_load_b32 v0, off, off offset:1356 ; 4-byte Folded Reload
	s_load_b64 s[12:13], s[0:1], 0x18
	s_wait_kmcnt 0x0
	s_mul_i32 s14, s20, s38
	s_ashr_i32 s7, s6, 31
	s_ashr_i32 s15, s14, 31
	s_delay_alu instid0(SALU_CYCLE_1) | instskip(NEXT) | instid1(SALU_CYCLE_1)
	s_lshl_b64 s[14:15], s[14:15], 2
	s_add_nc_u64 s[12:13], s[12:13], s[14:15]
	s_lshl_b64 s[14:15], s[6:7], 2
	s_delay_alu instid0(SALU_CYCLE_1)
	s_add_nc_u64 s[12:13], s[12:13], s[14:15]
	s_wait_loadcnt 0x0
	v_lshlrev_b32_e32 v4, 4, v0
	global_load_b128 v[0:3], v4, s[12:13]
	s_wait_loadcnt 0x0
	ds_store_b128 v4, v[0:3]
.LBB233_5:
	s_or_b32 exec_lo, exec_lo, s10
	s_load_b128 s[12:15], s[0:1], 0x78
	s_mul_i32 s7, s3, s8
	s_xor_b32 s5, s5, s9
	s_sub_co_i32 s4, s4, s7
	s_add_co_i32 s7, s3, 1
	s_sub_co_i32 s9, s4, s8
	s_cmp_ge_u32 s4, s8
                                        ; implicit-def: $sgpr35
	s_cselect_b32 s3, s7, s3
	s_cselect_b32 s4, s9, s4
	s_wait_alu 0xfffe
	s_add_co_i32 s7, s3, 1
	s_cmp_ge_u32 s4, s8
	s_mov_b32 s8, -1
	s_cselect_b32 s4, s7, s3
	s_load_b32 s3, s[0:1], 0x88
	s_xor_b32 s4, s4, s5
	s_wait_storecnt_dscnt 0x0
	s_sub_co_i32 s23, s4, s5
	s_barrier_signal -1
	s_barrier_wait -1
	s_wait_kmcnt 0x0
	s_abs_i32 s20, s15
	global_inv scope:SCOPE_SE
	s_cvt_f32_u32 s7, s20
	s_delay_alu instid0(SALU_CYCLE_3) | instskip(NEXT) | instid1(TRANS32_DEP_1)
	v_rcp_iflag_f32_e32 v0, s7
	v_readfirstlane_b32 s7, v0
	s_mul_f32 s4, s7, 0x4f7ffffe
	s_add_co_i32 s7, s34, -1
	s_delay_alu instid0(SALU_CYCLE_2) | instskip(SKIP_1) | instid1(SALU_CYCLE_2)
	s_cvt_u32_f32 s9, s4
	s_sub_co_i32 s4, 0, s20
	s_mul_i32 s5, s4, s9
	s_wait_alu 0xfffe
	s_abs_i32 s4, s7
	s_mul_hi_u32 s10, s9, s5
	s_mov_b32 s5, 0
	s_add_co_i32 s24, s9, s10
	s_cmp_lt_i32 s3, 0
	s_mov_b32 s25, s5
	s_cbranch_scc0 .LBB233_7
; %bb.6:
	s_mul_i32 s8, s12, s16
	s_delay_alu instid0(SALU_CYCLE_1) | instskip(NEXT) | instid1(SALU_CYCLE_1)
	s_add_co_i32 s8, s23, s8
	s_mul_i32 s8, s8, s3
	s_delay_alu instid0(SALU_CYCLE_1)
	s_sub_co_i32 s35, 1, s8
	s_mov_b32 s8, s5
.LBB233_7:
	s_mul_u64 s[18:19], s[4:5], s[24:25]
	s_ashr_i32 s5, s7, 31
	s_and_not1_b32 vcc_lo, exec_lo, s8
	s_ashr_i32 s25, s15, 31
	s_cbranch_vccnz .LBB233_9
; %bb.8:
	s_mul_i32 s7, s39, s12
	s_wait_alu 0xfffe
	s_add_co_i32 s7, s7, ttmp9
	s_wait_alu 0xfffe
	s_mul_i32 s3, s7, s3
	s_wait_alu 0xfffe
	s_add_co_i32 s35, s3, 1
.LBB233_9:
	s_mul_i32 s7, s19, s20
	s_clause 0x1
	s_load_b32 s3, s[0:1], 0x48
	s_load_b64 s[26:27], s[0:1], 0x38
	s_sub_co_i32 s4, s4, s7
	s_clause 0x1
	s_load_b32 s7, s[0:1], 0x98
	s_load_b128 s[8:11], s[0:1], 0x68
	scratch_load_b32 v0, off, off offset:1356 ; 4-byte Folded Reload
	s_xor_b32 s5, s5, s25
	s_add_co_i32 s12, s19, 1
	s_mul_i32 s22, s23, s22
	v_mov_b32_e32 v5, 0xff7fffff
	s_wait_kmcnt 0x0
	s_mul_i32 s28, s3, s38
	s_sub_co_i32 s3, s4, s20
	s_ashr_i32 s29, s28, 31
	s_cmp_ge_u32 s4, s20
	s_cselect_b32 s12, s12, s19
	s_wait_alu 0xfffe
	s_cselect_b32 s3, s3, s4
	s_add_co_i32 s4, s12, 1
	s_wait_alu 0xfffe
	s_cmp_ge_u32 s3, s20
	s_cselect_b32 s3, s4, s12
	s_add_co_i32 s4, s34, 31
	s_lshl_b32 s40, s33, 4
	s_ashr_i32 s12, s4, 31
	s_add_co_i32 s15, s40, 16
	s_lshr_b32 s12, s12, 27
	s_delay_alu instid0(SALU_CYCLE_1) | instskip(NEXT) | instid1(SALU_CYCLE_1)
	s_add_co_i32 s4, s4, s12
	s_ashr_i32 s12, s4, 5
	s_wait_alu 0xfffe
	s_xor_b32 s4, s3, s5
	s_min_i32 s36, s15, s12
	s_sub_co_i32 s15, s4, s5
	s_wait_loadcnt 0x0
	v_lshrrev_b32_e32 v1, 5, v0
	v_and_b32_e32 v0, 31, v0
	s_delay_alu instid0(VALU_DEP_2)
	v_add_nc_u32_e32 v2, s40, v1
	scratch_store_b32 off, v1, off offset:1376 ; 4-byte Folded Spill
	v_lshlrev_b32_e32 v12, 2, v0
	scratch_store_b32 off, v0, off offset:1352 ; 4-byte Folded Spill
	v_mov_b32_e32 v1, v2
	v_cmp_gt_i32_e64 s3, s36, v2
	scratch_store_b64 off, v[1:2], off offset:1136 ; 8-byte Folded Spill
	s_and_saveexec_b32 s16, s3
	s_cbranch_execz .LBB233_17
; %bb.10:
	scratch_load_b32 v3, off, off offset:1352 ; 4-byte Folded Reload
	s_load_b64 s[4:5], s[0:1], 0x20
	s_ashr_i32 s23, s22, 31
	s_sub_co_i32 s18, s15, s13
	s_cmp_neq_f32 s30, 0
	s_mov_b32 s19, s21
	v_mov_b32_e32 v1, 0
	scratch_load_b32 v2, off, off offset:1376 ; 4-byte Folded Reload
	s_cselect_b32 vcc_lo, -1, 0
	s_abs_i32 s31, s14
	s_wait_kmcnt 0x0
	s_add_nc_u64 s[4:5], s[4:5], s[22:23]
	s_mov_b32 s23, 0
	s_wait_loadcnt 0x1
	v_lshlrev_b32_e32 v0, 4, v3
	s_delay_alu instid0(VALU_DEP_1)
	v_add_co_u32 v4, s4, s4, v0
	s_wait_alu 0xf1ff
	v_add_co_ci_u32_e64 v5, null, s5, 0, s4
	s_cvt_f32_u32 s4, s31
	s_sub_co_i32 s5, 0, s31
	s_wait_loadcnt 0x0
	v_lshl_add_u32 v102, v2, 5, s37
	scratch_store_b64 off, v[4:5], off offset:100 ; 8-byte Folded Spill
	ds_load_b128 v[4:7], v1
	s_wait_alu 0xfffe
	v_rcp_iflag_f32_e32 v0, s4
	s_delay_alu instid0(TRANS32_DEP_1)
	v_readfirstlane_b32 s4, v0
	s_mul_f32 s4, s4, 0x4f7ffffe
	s_wait_dscnt 0x0
	scratch_store_b128 off, v[4:7], off offset:108 ; 16-byte Folded Spill
	ds_load_b128 v[4:7], v1 offset:16
	s_wait_alu 0xfffe
	s_cvt_u32_f32 s4, s4
	s_wait_alu 0xfffe
	s_delay_alu instid0(SALU_CYCLE_2)
	s_mul_i32 s5, s5, s4
	s_wait_alu 0xfffe
	s_mul_hi_u32 s5, s4, s5
	s_wait_alu 0xfffe
	s_add_co_i32 s41, s4, s5
	s_lshl_b64 s[4:5], s[28:29], 2
	s_wait_alu 0xfffe
	s_add_nc_u64 s[4:5], s[26:27], s[4:5]
	s_wait_dscnt 0x0
	scratch_store_b128 off, v[4:7], off offset:124 ; 16-byte Folded Spill
	ds_load_b128 v[4:7], v1 offset:32
	s_wait_dscnt 0x0
	scratch_store_b128 off, v[4:7], off offset:140 ; 16-byte Folded Spill
	ds_load_b128 v[4:7], v1 offset:48
	;; [unrolled: 3-line block ×62, first 2 shown]
	scratch_load_b64 v[0:1], off, off offset:1136 ; 8-byte Folded Reload
	s_wait_loadcnt 0x0
	v_subrev_nc_u32_e32 v1, s34, v3
	s_wait_dscnt 0x0
	scratch_store_b128 off, v[4:7], off offset:1116 ; 16-byte Folded Spill
	v_dual_mov_b32 v5, 0xff7fffff :: v_dual_mov_b32 v4, v0
	s_delay_alu instid0(VALU_DEP_1) | instskip(SKIP_1) | instid1(VALU_DEP_1)
	v_dual_mov_b32 v73, v4 :: v_dual_lshlrev_b32 v0, 2, v4
	s_wait_alu 0xfffe
	v_add_co_u32 v190, s4, s4, v0
	v_add_nc_u32_e32 v0, 1, v1
	v_lshl_or_b32 v1, v2, 7, v12
	s_wait_alu 0xf1ff
	v_add_co_ci_u32_e64 v191, null, s5, 0, s4
	s_clause 0x1
	scratch_store_b32 off, v0, off offset:1132
	scratch_store_b32 off, v12, off offset:1144
	v_add_nc_u32_e32 v72, 0x420, v1
	s_branch .LBB233_12
.LBB233_11:                             ;   in Loop: Header=BB233_12 Depth=1
	s_wait_alu 0xfffe
	s_or_b32 exec_lo, exec_lo, s5
	v_add_nc_u32_e32 v73, 4, v73
	v_add_co_u32 v190, s4, v190, 16
	s_wait_alu 0xf1ff
	v_add_co_ci_u32_e64 v191, null, 0, v191, s4
	s_delay_alu instid0(VALU_DEP_3) | instskip(SKIP_3) | instid1(SALU_CYCLE_1)
	v_cmp_le_i32_e64 s4, s36, v73
	v_add_nc_u32_e32 v102, 0x80, v102
	v_add_nc_u32_e32 v72, 0x200, v72
	s_or_b32 s23, s4, s23
	s_and_not1_b32 exec_lo, exec_lo, s23
	s_cbranch_execz .LBB233_16
.LBB233_12:                             ; =>This Inner Loop Header: Depth=1
	v_sub_nc_u32_e32 v1, 0, v102
	s_delay_alu instid0(VALU_DEP_1) | instskip(NEXT) | instid1(VALU_DEP_1)
	v_max_i32_e32 v1, v102, v1
	v_mul_hi_u32 v2, v1, s24
	s_delay_alu instid0(VALU_DEP_1) | instskip(NEXT) | instid1(VALU_DEP_1)
	v_mul_lo_u32 v3, v2, s20
	v_sub_nc_u32_e32 v1, v1, v3
	v_add_nc_u32_e32 v3, 1, v2
	s_delay_alu instid0(VALU_DEP_2) | instskip(SKIP_2) | instid1(VALU_DEP_1)
	v_subrev_nc_u32_e32 v4, s20, v1
	v_cmp_le_u32_e64 s4, s20, v1
	s_wait_alu 0xf1ff
	v_cndmask_b32_e64 v2, v2, v3, s4
	s_delay_alu instid0(VALU_DEP_3) | instskip(SKIP_1) | instid1(VALU_DEP_3)
	v_cndmask_b32_e64 v1, v1, v4, s4
	v_ashrrev_i32_e32 v3, 31, v102
	v_add_nc_u32_e32 v4, 1, v2
	s_delay_alu instid0(VALU_DEP_3) | instskip(NEXT) | instid1(VALU_DEP_3)
	v_cmp_le_u32_e64 s4, s20, v1
	v_xor_b32_e32 v3, s25, v3
	s_wait_alu 0xf1ff
	s_delay_alu instid0(VALU_DEP_2) | instskip(NEXT) | instid1(VALU_DEP_1)
	v_cndmask_b32_e64 v1, v2, v4, s4
	v_xor_b32_e32 v1, v1, v3
	s_delay_alu instid0(VALU_DEP_1) | instskip(NEXT) | instid1(VALU_DEP_1)
	v_sub_nc_u32_e32 v1, v1, v3
	v_add_nc_u32_e32 v2, s35, v1
	v_cmp_ge_i32_e64 s5, s18, v1
	s_delay_alu instid0(VALU_DEP_2) | instskip(NEXT) | instid1(VALU_DEP_1)
	v_sub_nc_u32_e32 v3, 0, v2
	v_max_i32_e32 v3, v2, v3
	v_ashrrev_i32_e32 v2, 31, v2
	s_delay_alu instid0(VALU_DEP_2) | instskip(NEXT) | instid1(VALU_DEP_1)
	v_mul_hi_u32 v4, v3, s41
	v_mul_lo_u32 v4, v4, s31
	s_delay_alu instid0(VALU_DEP_1) | instskip(NEXT) | instid1(VALU_DEP_1)
	v_sub_nc_u32_e32 v3, v3, v4
	v_subrev_nc_u32_e32 v4, s31, v3
	v_cmp_le_u32_e64 s4, s31, v3
	s_wait_alu 0xf1ff
	s_delay_alu instid0(VALU_DEP_1) | instskip(NEXT) | instid1(VALU_DEP_1)
	v_cndmask_b32_e64 v3, v3, v4, s4
	v_subrev_nc_u32_e32 v4, s31, v3
	v_cmp_le_u32_e64 s4, s31, v3
	s_wait_alu 0xf1ff
	s_delay_alu instid0(VALU_DEP_1) | instskip(NEXT) | instid1(VALU_DEP_1)
	v_cndmask_b32_e64 v3, v3, v4, s4
	v_xor_b32_e32 v3, v3, v2
	s_delay_alu instid0(VALU_DEP_1) | instskip(NEXT) | instid1(VALU_DEP_1)
	v_sub_nc_u32_e32 v2, v3, v2
	v_cmp_ne_u32_e64 s4, 0, v2
	s_and_b32 s4, s4, s5
	s_wait_alu 0xfffe
	s_and_saveexec_b32 s5, s4
	s_wait_alu 0xfffe
	s_xor_b32 s4, exec_lo, s5
; %bb.13:                               ;   in Loop: Header=BB233_12 Depth=1
	v_mov_b32_e32 v1, 0xff7fffff
	ds_store_b32 v72, v1
; %bb.14:                               ;   in Loop: Header=BB233_12 Depth=1
	s_wait_alu 0xfffe
	s_and_not1_saveexec_b32 s5, s4
	s_cbranch_execz .LBB233_11
; %bb.15:                               ;   in Loop: Header=BB233_12 Depth=1
	global_load_b32 v1, v[190:191], off
	scratch_load_b64 v[2:3], off, off offset:100 ; 8-byte Folded Reload
	s_load_b32 s4, s[8:9], 0x0
	s_wait_loadcnt 0x0
	v_mad_co_i64_i32 v[69:70], null, v1, s19, v[2:3]
	s_clause 0x3
	global_load_b128 v[1:4], v[69:70], off
	global_load_b128 v[27:30], v[69:70], off offset:4096
	global_load_b128 v[74:77], v[69:70], off offset:5120
	;; [unrolled: 1-line block ×3, first 2 shown]
	s_wait_loadcnt 0x3
	v_and_b32_e32 v99, 0xffff, v1
	v_lshrrev_b32_e32 v98, 16, v1
	v_and_b32_e32 v96, 0xffff, v2
	v_lshrrev_b32_e32 v95, 16, v2
	;; [unrolled: 2-line block ×4, first 2 shown]
	global_load_b128 v[1:4], v[69:70], off offset:512
	s_wait_loadcnt 0x2
	v_and_b32_e32 v86, 0xffff, v76
	v_lshrrev_b32_e32 v94, 16, v76
	v_and_b32_e32 v100, 0xffff, v77
	v_lshrrev_b32_e32 v103, 16, v77
	global_load_b128 v[76:79], v[69:70], off offset:5632
	v_lshrrev_b32_e32 v18, 16, v27
	v_lshrrev_b32_e32 v58, 16, v28
	v_and_b32_e32 v56, 0xffff, v29
	v_lshrrev_b32_e32 v53, 16, v29
	v_and_b32_e32 v38, 0xffff, v30
	v_lshrrev_b32_e32 v33, 16, v30
	v_lshrrev_b32_e32 v84, 16, v75
	s_wait_loadcnt 0x1
	v_and_b32_e32 v112, 0xffff, v1
	v_lshrrev_b32_e32 v113, 16, v1
	v_and_b32_e32 v115, 0xffff, v2
	v_lshrrev_b32_e32 v117, 16, v2
	v_and_b32_e32 v119, 0xffff, v3
	v_lshrrev_b32_e32 v120, 16, v3
	v_and_b32_e32 v122, 0xffff, v4
	v_lshrrev_b32_e32 v123, 16, v4
	global_load_b128 v[1:4], v[69:70], off offset:1024
	s_wait_loadcnt 0x1
	v_and_b32_e32 v83, 0xffff, v76
	v_lshrrev_b32_e32 v85, 16, v76
	v_and_b32_e32 v87, 0xffff, v77
	v_lshrrev_b32_e32 v88, 16, v77
	v_and_b32_e32 v90, 0xffff, v78
	v_lshrrev_b32_e32 v97, 16, v78
	v_and_b32_e32 v101, 0xffff, v79
	v_lshrrev_b32_e32 v127, 16, v79
	global_load_b128 v[76:79], v[69:70], off offset:6144
	;; [unrolled: 10-line block ×3, first 2 shown]
	s_wait_loadcnt 0x1
	v_and_b32_e32 v107, 0xffff, v77
	v_lshrrev_b32_e32 v105, 16, v77
	v_lshrrev_b32_e32 v116, 16, v76
	s_wait_loadcnt 0x0
	v_and_b32_e32 v11, 0xffff, v1
	v_lshrrev_b32_e32 v13, 16, v1
	v_and_b32_e32 v16, 0xffff, v2
	v_lshrrev_b32_e32 v17, 16, v2
	v_and_b32_e32 v19, 0xffff, v3
	v_lshrrev_b32_e32 v20, 16, v3
	v_and_b32_e32 v22, 0xffff, v4
	v_lshrrev_b32_e32 v24, 16, v4
	global_load_b128 v[1:4], v[69:70], off offset:2048
	s_wait_loadcnt 0x0
	v_and_b32_e32 v26, 0xffff, v1
	v_lshrrev_b32_e32 v25, 16, v1
	v_and_b32_e32 v21, 0xffff, v2
	v_lshrrev_b32_e32 v9, 16, v2
	v_and_b32_e32 v14, 0xffff, v3
	v_lshrrev_b32_e32 v10, 16, v3
	v_and_b32_e32 v8, 0xffff, v4
	v_lshrrev_b32_e32 v7, 16, v4
	global_load_b128 v[1:4], v[69:70], off offset:2560
	;; [unrolled: 10-line block ×4, first 2 shown]
	s_wait_loadcnt 0x0
	v_and_b32_e32 v65, 0xffff, v3
	v_lshrrev_b32_e32 v66, 16, v3
	v_and_b32_e32 v3, 0xffff, v78
	v_and_b32_e32 v61, 0xffff, v1
	v_lshrrev_b32_e32 v62, 16, v1
	v_and_b32_e32 v63, 0xffff, v2
	v_lshrrev_b32_e32 v64, 16, v2
	scratch_store_b32 off, v3, off offset:92 ; 4-byte Folded Spill
	v_lshrrev_b32_e32 v3, 16, v78
	v_and_b32_e32 v1, 0xffff, v27
	v_and_b32_e32 v2, 0xffff, v28
	global_load_b128 v[27:30], v[69:70], off offset:4608
	v_lshrrev_b32_e32 v0, 16, v4
	scratch_store_b32 off, v3, off offset:80 ; 4-byte Folded Spill
	v_and_b32_e32 v3, 0xffff, v79
	scratch_store_b32 off, v3, off offset:76 ; 4-byte Folded Spill
	v_lshrrev_b32_e32 v3, 16, v79
	global_load_b128 v[77:80], v[69:70], off offset:6656
	scratch_store_b32 off, v3, off offset:68 ; 4-byte Folded Spill
	s_wait_loadcnt 0x1
	v_lshrrev_b32_e32 v59, 16, v27
	v_lshrrev_b32_e32 v45, 16, v29
	;; [unrolled: 1-line block ×4, first 2 shown]
	s_wait_loadcnt 0x0
	v_and_b32_e32 v3, 0xffff, v78
	v_lshrrev_b32_e32 v106, 16, v77
	scratch_store_b32 off, v3, off offset:96 ; 4-byte Folded Spill
	v_lshrrev_b32_e32 v3, 16, v78
	v_mov_b32_e32 v78, v5
	scratch_store_b32 off, v3, off offset:88 ; 4-byte Folded Spill
	v_and_b32_e32 v3, 0xffff, v79
	v_lshrrev_b32_e32 v79, 16, v79
	scratch_store_b32 off, v3, off offset:84 ; 4-byte Folded Spill
	v_and_b32_e32 v3, 0xffff, v80
	scratch_store_b32 off, v3, off offset:72 ; 4-byte Folded Spill
	v_lshrrev_b32_e32 v3, 16, v80
	scratch_store_b32 off, v3, off offset:64 ; 4-byte Folded Spill
	v_and_b32_e32 v3, 0xffff, v136
	scratch_store_b32 off, v3, off offset:60 ; 4-byte Folded Spill
	;; [unrolled: 4-line block ×5, first 2 shown]
	v_lshrrev_b32_e32 v3, 16, v139
	global_load_b128 v[136:139], v[69:70], off offset:7680
	scratch_store_b32 off, v3, off offset:4 ; 4-byte Folded Spill
	s_wait_loadcnt 0x0
	v_and_b32_e32 v3, 0xffff, v136
	scratch_store_b32 off, v3, off offset:52 ; 4-byte Folded Spill
	v_lshrrev_b32_e32 v3, 16, v136
	scratch_store_b32 off, v3, off offset:44 ; 4-byte Folded Spill
	v_and_b32_e32 v3, 0xffff, v137
	scratch_store_b32 off, v3, off offset:36 ; 4-byte Folded Spill
	v_lshrrev_b32_e32 v3, 16, v137
	v_cvt_pk_f32_fp8_e32 v[136:137], v99
	v_cvt_pk_f32_fp8_e32 v[98:99], v98
	scratch_store_b32 off, v3, off offset:28 ; 4-byte Folded Spill
	v_and_b32_e32 v3, 0xffff, v138
	s_wait_kmcnt 0x0
	v_dual_mul_f32 v137, s4, v137 :: v_dual_mul_f32 v136, s4, v136
	scratch_store_b32 off, v3, off offset:24 ; 4-byte Folded Spill
	v_lshrrev_b32_e32 v3, 16, v138
	v_mul_f32_e32 v138, s4, v99
	scratch_store_b32 off, v3, off offset:8 ; 4-byte Folded Spill
	v_and_b32_e32 v3, 0xffff, v139
	scratch_store_b32 off, v3, off offset:16 ; 4-byte Folded Spill
	v_lshrrev_b32_e32 v3, 16, v139
	v_mul_f32_e32 v139, s4, v98
	v_cvt_pk_f32_fp8_e32 v[98:99], v96
	v_cvt_pk_f32_fp8_e32 v[95:96], v95
	scratch_store_b32 off, v3, off          ; 4-byte Folded Spill
	v_mul_f32_e32 v98, s4, v98
	v_mul_f32_e32 v188, s4, v96
	;; [unrolled: 1-line block ×3, first 2 shown]
	v_cvt_pk_f32_fp8_e32 v[95:96], v93
	v_cvt_pk_f32_fp8_e32 v[92:93], v92
	s_delay_alu instid0(VALU_DEP_2) | instskip(NEXT) | instid1(VALU_DEP_2)
	v_dual_mul_f32 v99, s4, v99 :: v_dual_mul_f32 v96, s4, v96
	v_mul_f32_e32 v141, s4, v92
	v_cvt_pk_f32_fp8_e32 v[91:92], v91
	s_delay_alu instid0(VALU_DEP_4) | instskip(NEXT) | instid1(VALU_DEP_2)
	v_mul_f32_e32 v93, s4, v93
	v_dual_mul_f32 v95, s4, v95 :: v_dual_mul_f32 v142, s4, v92
	s_delay_alu instid0(VALU_DEP_3) | instskip(SKIP_1) | instid1(VALU_DEP_1)
	v_mul_f32_e32 v143, s4, v91
	v_cvt_pk_f32_fp8_e32 v[91:92], v89
	v_dual_mul_f32 v89, s4, v92 :: v_dual_mul_f32 v144, s4, v91
	v_cvt_pk_f32_fp8_e32 v[91:92], v112
	s_delay_alu instid0(VALU_DEP_1) | instskip(SKIP_1) | instid1(VALU_DEP_1)
	v_dual_mul_f32 v112, s4, v92 :: v_dual_mul_f32 v145, s4, v91
	v_cvt_pk_f32_fp8_e32 v[91:92], v113
	v_dual_mul_f32 v113, s4, v92 :: v_dual_mul_f32 v146, s4, v91
	v_cvt_pk_f32_fp8_e32 v[91:92], v115
	s_delay_alu instid0(VALU_DEP_1) | instskip(NEXT) | instid1(VALU_DEP_2)
	v_mul_f32_e32 v115, s4, v92
	v_mul_f32_e32 v147, s4, v91
	v_cvt_pk_f32_fp8_e32 v[91:92], v117
	s_delay_alu instid0(VALU_DEP_1) | instskip(SKIP_1) | instid1(VALU_DEP_1)
	v_dual_mul_f32 v117, s4, v92 :: v_dual_mul_f32 v148, s4, v91
	v_cvt_pk_f32_fp8_e32 v[91:92], v119
	v_mul_f32_e32 v119, s4, v92
	s_delay_alu instid0(VALU_DEP_2) | instskip(SKIP_1) | instid1(VALU_DEP_1)
	v_mul_f32_e32 v149, s4, v91
	v_cvt_pk_f32_fp8_e32 v[91:92], v120
	v_mul_f32_e32 v120, s4, v92
	s_delay_alu instid0(VALU_DEP_2) | instskip(SKIP_1) | instid1(VALU_DEP_1)
	v_mul_f32_e32 v150, s4, v91
	v_cvt_pk_f32_fp8_e32 v[91:92], v122
	v_dual_mul_f32 v151, s4, v91 :: v_dual_and_b32 v68, 0xffff, v4
	s_delay_alu instid0(VALU_DEP_2) | instskip(SKIP_1) | instid1(VALU_DEP_1)
	v_mul_f32_e32 v122, s4, v92
	v_cvt_pk_f32_fp8_e32 v[91:92], v123
	v_dual_mul_f32 v123, s4, v92 :: v_dual_mul_f32 v152, s4, v91
	v_cvt_pk_f32_fp8_e32 v[91:92], v125
	s_delay_alu instid0(VALU_DEP_1) | instskip(NEXT) | instid1(VALU_DEP_2)
	v_mul_f32_e32 v125, s4, v92
	v_mul_f32_e32 v153, s4, v91
	v_cvt_pk_f32_fp8_e32 v[91:92], v124
	s_delay_alu instid0(VALU_DEP_1) | instskip(NEXT) | instid1(VALU_DEP_2)
	v_dual_mul_f32 v154, s4, v91 :: v_dual_and_b32 v57, 0xffff, v28
	v_mul_f32_e32 v124, s4, v92
	v_cvt_pk_f32_fp8_e32 v[91:92], v121
	v_and_b32_e32 v60, 0xffff, v27
	s_delay_alu instid0(VALU_DEP_2) | instskip(NEXT) | instid1(VALU_DEP_3)
	v_dual_mul_f32 v155, s4, v91 :: v_dual_and_b32 v54, 0xffff, v29
	v_mul_f32_e32 v121, s4, v92
	v_cvt_pk_f32_fp8_e32 v[91:92], v118
	s_delay_alu instid0(VALU_DEP_1) | instskip(NEXT) | instid1(VALU_DEP_2)
	v_dual_mul_f32 v156, s4, v91 :: v_dual_and_b32 v35, 0xffff, v30
	v_mul_f32_e32 v118, s4, v92
	v_cvt_pk_f32_fp8_e32 v[91:92], v114
	v_and_b32_e32 v81, 0xffff, v74
	v_lshrrev_b32_e32 v74, 16, v74
	s_delay_alu instid0(VALU_DEP_3) | instskip(SKIP_1) | instid1(VALU_DEP_1)
	v_dual_mul_f32 v114, s4, v92 :: v_dual_mul_f32 v157, s4, v91
	v_cvt_pk_f32_fp8_e32 v[91:92], v111
	v_dual_mul_f32 v111, s4, v92 :: v_dual_and_b32 v82, 0xffff, v75
	s_delay_alu instid0(VALU_DEP_2) | instskip(SKIP_1) | instid1(VALU_DEP_1)
	v_mul_f32_e32 v158, s4, v91
	v_cvt_pk_f32_fp8_e32 v[91:92], v110
	v_dual_mul_f32 v110, s4, v92 :: v_dual_mul_f32 v159, s4, v91
	v_cvt_pk_f32_fp8_e32 v[91:92], v109
	s_delay_alu instid0(VALU_DEP_1) | instskip(SKIP_3) | instid1(VALU_DEP_3)
	v_dual_mul_f32 v109, s4, v92 :: v_dual_mul_f32 v160, s4, v91
	v_cvt_pk_f32_fp8_e32 v[91:92], v11
	v_and_b32_e32 v108, 0xffff, v77
	v_cvt_pk_f32_fp8_e32 v[10:11], v10
	v_dual_mul_f32 v161, s4, v92 :: v_dual_mul_f32 v162, s4, v91
	v_cvt_pk_f32_fp8_e32 v[91:92], v13
	s_delay_alu instid0(VALU_DEP_3) | instskip(SKIP_2) | instid1(VALU_DEP_4)
	v_dual_mul_f32 v179, s4, v11 :: v_dual_mul_f32 v180, s4, v10
	v_cvt_pk_f32_fp8_e32 v[10:11], v8
	v_cvt_pk_f32_fp8_e32 v[7:8], v7
	v_dual_mul_f32 v163, s4, v92 :: v_dual_mul_f32 v164, s4, v91
	v_cvt_pk_f32_fp8_e32 v[91:92], v16
	v_cvt_pk_f32_fp8_e32 v[16:17], v17
	s_delay_alu instid0(VALU_DEP_4) | instskip(SKIP_2) | instid1(VALU_DEP_4)
	v_dual_mul_f32 v183, s4, v8 :: v_dual_mul_f32 v184, s4, v7
	v_cvt_pk_f32_fp8_e32 v[7:8], v39
	v_cvt_pk_f32_fp8_e32 v[13:14], v14
	v_dual_mul_f32 v165, s4, v17 :: v_dual_mul_f32 v182, s4, v10
	v_mul_f32_e32 v166, s4, v16
	v_cvt_pk_f32_fp8_e32 v[16:17], v19
	v_mul_f32_e32 v39, s4, v8
	v_mul_f32_e32 v185, s4, v7
	v_cvt_pk_f32_fp8_e32 v[7:8], v40
	v_mul_f32_e32 v177, s4, v14
	v_dual_mul_f32 v167, s4, v17 :: v_dual_mul_f32 v168, s4, v16
	v_cvt_pk_f32_fp8_e32 v[16:17], v20
	s_delay_alu instid0(VALU_DEP_4)
	v_mul_f32_e32 v40, s4, v8
	v_mul_f32_e32 v186, s4, v7
	v_cvt_pk_f32_fp8_e32 v[7:8], v42
	v_mul_f32_e32 v178, s4, v13
	v_dual_mul_f32 v20, s4, v17 :: v_dual_mul_f32 v169, s4, v16
	v_cvt_pk_f32_fp8_e32 v[16:17], v22
	s_delay_alu instid0(VALU_DEP_4)
	v_dual_mul_f32 v42, s4, v8 :: v_dual_mul_f32 v187, s4, v7
	v_cvt_pk_f32_fp8_e32 v[7:8], v43
	scratch_load_b128 v[12:15], off, off offset:124 ; 16-byte Folded Reload
	v_mul_f32_e32 v22, s4, v17
	v_mul_f32_e32 v170, s4, v16
	v_cvt_pk_f32_fp8_e32 v[16:17], v24
	v_dual_mul_f32 v43, s4, v8 :: v_dual_mul_f32 v128, s4, v7
	v_cvt_pk_f32_fp8_e32 v[7:8], v46
	v_dual_mul_f32 v91, s4, v91 :: v_dual_and_b32 v126, 0xffff, v76
	s_delay_alu instid0(VALU_DEP_4) | instskip(SKIP_1) | instid1(VALU_DEP_4)
	v_dual_mul_f32 v24, s4, v17 :: v_dual_mul_f32 v171, s4, v16
	v_cvt_pk_f32_fp8_e32 v[16:17], v26
	v_dual_mul_f32 v46, s4, v8 :: v_dual_mul_f32 v129, s4, v7
	v_cvt_pk_f32_fp8_e32 v[7:8], v47
	v_mul_f32_e32 v92, s4, v92
	s_delay_alu instid0(VALU_DEP_4) | instskip(SKIP_4) | instid1(VALU_DEP_3)
	v_mul_f32_e32 v26, s4, v17
	v_mul_f32_e32 v172, s4, v16
	v_cvt_pk_f32_fp8_e32 v[16:17], v25
	v_dual_mul_f32 v47, s4, v8 :: v_dual_mul_f32 v130, s4, v7
	v_cvt_pk_f32_fp8_e32 v[7:8], v49
	v_mul_f32_e32 v25, s4, v17
	s_delay_alu instid0(VALU_DEP_4) | instskip(SKIP_1) | instid1(VALU_DEP_4)
	v_mul_f32_e32 v173, s4, v16
	v_cvt_pk_f32_fp8_e32 v[16:17], v21
	v_mul_f32_e32 v49, s4, v8
	v_mul_f32_e32 v131, s4, v7
	v_cvt_pk_f32_fp8_e32 v[7:8], v50
	s_delay_alu instid0(VALU_DEP_4) | instskip(SKIP_1) | instid1(VALU_DEP_3)
	v_dual_mul_f32 v21, s4, v17 :: v_dual_mul_f32 v174, s4, v16
	v_cvt_pk_f32_fp8_e32 v[16:17], v9
	v_mul_f32_e32 v50, s4, v8
	s_delay_alu instid0(VALU_DEP_4) | instskip(SKIP_3) | instid1(VALU_DEP_3)
	v_mul_f32_e32 v132, s4, v7
	v_cvt_pk_f32_fp8_e32 v[7:8], v52
	v_mul_f32_e32 v181, s4, v11
	v_dual_mul_f32 v175, s4, v17 :: v_dual_mul_f32 v176, s4, v16
	v_dual_mul_f32 v52, s4, v8 :: v_dual_mul_f32 v133, s4, v7
	v_cvt_pk_f32_fp8_e32 v[7:8], v51
	s_delay_alu instid0(VALU_DEP_1) | instskip(SKIP_1) | instid1(VALU_DEP_1)
	v_dual_mul_f32 v51, s4, v8 :: v_dual_mul_f32 v134, s4, v7
	v_cvt_pk_f32_fp8_e32 v[7:8], v48
	v_dual_mul_f32 v48, s4, v8 :: v_dual_mul_f32 v135, s4, v7
	v_cvt_pk_f32_fp8_e32 v[7:8], v44
	s_delay_alu instid0(VALU_DEP_1) | instskip(SKIP_1) | instid1(VALU_DEP_1)
	v_dual_mul_f32 v44, s4, v8 :: v_dual_mul_f32 v189, s4, v7
	v_cvt_pk_f32_fp8_e32 v[7:8], v41
	v_dual_mul_f32 v41, s4, v8 :: v_dual_mul_f32 v6, s4, v7
	v_cvt_pk_f32_fp8_e32 v[7:8], v37
	s_delay_alu instid0(VALU_DEP_1) | instskip(NEXT) | instid1(VALU_DEP_2)
	v_mul_f32_e32 v37, s4, v8
	v_mul_f32_e32 v5, s4, v7
	v_cvt_pk_f32_fp8_e32 v[7:8], v36
	s_delay_alu instid0(VALU_DEP_1) | instskip(NEXT) | instid1(VALU_DEP_2)
	v_mul_f32_e32 v4, s4, v8
	v_mul_f32_e32 v36, s4, v7
	v_cvt_pk_f32_fp8_e32 v[7:8], v34
	s_delay_alu instid0(VALU_DEP_1) | instskip(SKIP_1) | instid1(VALU_DEP_1)
	v_dual_mul_f32 v27, s4, v8 :: v_dual_mul_f32 v34, s4, v7
	v_cvt_pk_f32_fp8_e32 v[7:8], v61
	v_mul_f32_e32 v61, s4, v8
	s_delay_alu instid0(VALU_DEP_2) | instskip(SKIP_1) | instid1(VALU_DEP_1)
	v_mul_f32_e32 v9, s4, v7
	v_cvt_pk_f32_fp8_e32 v[7:8], v62
	v_dual_mul_f32 v29, s4, v8 :: v_dual_mul_f32 v62, s4, v7
	v_cvt_pk_f32_fp8_e32 v[7:8], v63
	s_delay_alu instid0(VALU_DEP_1) | instskip(NEXT) | instid1(VALU_DEP_2)
	v_mul_f32_e32 v63, s4, v8
	v_mul_f32_e32 v23, s4, v7
	v_cvt_pk_f32_fp8_e32 v[7:8], v64
	s_delay_alu instid0(VALU_DEP_1) | instskip(NEXT) | instid1(VALU_DEP_2)
	v_mul_f32_e32 v32, s4, v8
	v_mul_f32_e32 v64, s4, v7
	;; [unrolled: 4-line block ×3, first 2 shown]
	v_cvt_pk_f32_fp8_e32 v[7:8], v66
	s_delay_alu instid0(VALU_DEP_1) | instskip(SKIP_1) | instid1(VALU_DEP_1)
	v_dual_mul_f32 v66, s4, v8 :: v_dual_mul_f32 v31, s4, v7
	v_cvt_pk_f32_fp8_e32 v[7:8], v68
	v_dual_mul_f32 v68, s4, v8 :: v_dual_mul_f32 v67, s4, v7
	v_cvt_pk_f32_fp8_e32 v[7:8], v0
	s_delay_alu instid0(VALU_DEP_1) | instskip(SKIP_1) | instid1(VALU_DEP_1)
	v_dual_mul_f32 v70, s4, v8 :: v_dual_mul_f32 v75, s4, v7
	v_cvt_pk_f32_fp8_e32 v[7:8], v1
	v_dual_mul_f32 v65, s4, v8 :: v_dual_mul_f32 v104, s4, v7
	v_cvt_pk_f32_fp8_e32 v[7:8], v18
	scratch_load_b128 v[16:19], off, off offset:140 ; 16-byte Folded Reload
	v_mul_f32_e32 v76, s4, v8
	v_mul_f32_e32 v80, s4, v7
	v_cvt_pk_f32_fp8_e32 v[7:8], v2
	scratch_load_b128 v[0:3], off, off offset:108 ; 16-byte Folded Reload
	v_mul_f32_e32 v69, s4, v8
	v_mul_f32_e32 v77, s4, v7
	s_wait_loadcnt 0x2
	v_dual_mul_f32 v7, v12, v98 :: v_dual_mul_f32 v10, v13, v99
	v_mul_f32_e32 v11, v14, v140
	v_mul_f32_e32 v8, v15, v188
	scratch_load_b128 v[12:15], off, off offset:172 ; 16-byte Folded Reload
	s_wait_loadcnt 0x1
	v_dual_fmac_f32 v7, v0, v136 :: v_dual_fmac_f32 v10, v1, v137
	v_dual_fmac_f32 v11, v2, v139 :: v_dual_fmac_f32 v8, v3, v138
	scratch_load_b128 v[0:3], off, off offset:156 ; 16-byte Folded Reload
	v_dual_fmac_f32 v10, v17, v96 :: v_dual_fmac_f32 v11, v18, v141
	v_fmac_f32_e32 v8, v19, v93
	v_cvt_pk_f32_fp8_e32 v[18:19], v56
	s_delay_alu instid0(VALU_DEP_1) | instskip(SKIP_2) | instid1(VALU_DEP_1)
	v_dual_mul_f32 v56, s4, v19 :: v_dual_mul_f32 v93, s4, v18
	v_cvt_pk_f32_fp8_e32 v[18:19], v53
	s_wait_loadcnt 0x0
	v_dual_mul_f32 v53, s4, v19 :: v_dual_fmac_f32 v8, v3, v89
	s_delay_alu instid0(VALU_DEP_2) | instskip(SKIP_2) | instid1(VALU_DEP_2)
	v_mul_f32_e32 v89, s4, v18
	v_cvt_pk_f32_fp8_e32 v[18:19], v38
	v_dual_fmac_f32 v7, v16, v95 :: v_dual_fmac_f32 v10, v1, v142
	v_dual_fmac_f32 v11, v2, v144 :: v_dual_mul_f32 v96, s4, v18
	s_delay_alu instid0(VALU_DEP_2) | instskip(SKIP_3) | instid1(VALU_DEP_3)
	v_fmac_f32_e32 v7, v0, v143
	v_cvt_pk_f32_fp8_e32 v[0:1], v58
	v_mul_f32_e32 v38, s4, v19
	v_cvt_pk_f32_fp8_e32 v[18:19], v33
	v_dual_mul_f32 v58, s4, v1 :: v_dual_mul_f32 v95, s4, v0
	scratch_load_b128 v[0:3], off, off offset:188 ; 16-byte Folded Reload
	v_fmac_f32_e32 v8, v15, v113
	v_dual_fmac_f32 v10, v13, v112 :: v_dual_fmac_f32 v11, v14, v146
	v_mul_f32_e32 v98, s4, v18
	s_wait_loadcnt 0x0
	s_delay_alu instid0(VALU_DEP_3)
	v_fmac_f32_e32 v8, v3, v117
	v_fmac_f32_e32 v7, v12, v145
	scratch_load_b128 v[12:15], off, off offset:204 ; 16-byte Folded Reload
	v_dual_fmac_f32 v10, v1, v115 :: v_dual_fmac_f32 v11, v2, v148
	v_fmac_f32_e32 v7, v0, v147
	scratch_load_b128 v[0:3], off, off offset:220 ; 16-byte Folded Reload
	s_wait_loadcnt 0x1
	v_fmac_f32_e32 v8, v15, v120
	v_fmac_f32_e32 v10, v13, v119
	s_wait_loadcnt 0x0
	s_delay_alu instid0(VALU_DEP_2)
	v_dual_fmac_f32 v8, v3, v123 :: v_dual_fmac_f32 v7, v12, v149
	v_fmac_f32_e32 v11, v14, v150
	scratch_load_b128 v[12:15], off, off offset:236 ; 16-byte Folded Reload
	v_dual_fmac_f32 v10, v1, v122 :: v_dual_fmac_f32 v7, v0, v151
	v_fmac_f32_e32 v11, v2, v152
	scratch_load_b128 v[0:3], off, off offset:252 ; 16-byte Folded Reload
	s_wait_loadcnt 0x1
	v_dual_fmac_f32 v8, v15, v124 :: v_dual_mul_f32 v33, s4, v19
	v_cvt_pk_f32_fp8_e32 v[18:19], v60
	v_dual_fmac_f32 v10, v13, v125 :: v_dual_fmac_f32 v11, v14, v154
	s_wait_loadcnt 0x0
	s_delay_alu instid0(VALU_DEP_3) | instskip(NEXT) | instid1(VALU_DEP_3)
	v_fmac_f32_e32 v8, v3, v118
	v_dual_mul_f32 v60, s4, v19 :: v_dual_mul_f32 v99, s4, v18
	v_cvt_pk_f32_fp8_e32 v[18:19], v59
	v_dual_fmac_f32 v10, v1, v121 :: v_dual_fmac_f32 v11, v2, v156
	s_delay_alu instid0(VALU_DEP_2) | instskip(SKIP_1) | instid1(VALU_DEP_1)
	v_dual_mul_f32 v59, s4, v19 :: v_dual_mul_f32 v112, s4, v18
	v_cvt_pk_f32_fp8_e32 v[18:19], v57
	v_mul_f32_e32 v57, s4, v19
	s_delay_alu instid0(VALU_DEP_2)
	v_mul_f32_e32 v113, s4, v18
	v_cvt_pk_f32_fp8_e32 v[18:19], v55
	v_fmac_f32_e32 v7, v12, v153
	scratch_load_b128 v[12:15], off, off offset:268 ; 16-byte Folded Reload
	v_fmac_f32_e32 v7, v0, v155
	scratch_load_b128 v[0:3], off, off offset:284 ; 16-byte Folded Reload
	s_wait_loadcnt 0x1
	v_fmac_f32_e32 v8, v15, v111
	v_fmac_f32_e32 v10, v13, v114
	s_wait_loadcnt 0x0
	s_delay_alu instid0(VALU_DEP_2)
	v_dual_fmac_f32 v11, v14, v158 :: v_dual_fmac_f32 v8, v3, v109
	v_fmac_f32_e32 v7, v12, v157
	scratch_load_b128 v[12:15], off, off offset:300 ; 16-byte Folded Reload
	v_dual_fmac_f32 v10, v1, v110 :: v_dual_fmac_f32 v11, v2, v160
	v_dual_mul_f32 v110, s4, v18 :: v_dual_fmac_f32 v7, v0, v159
	scratch_load_b128 v[0:3], off, off offset:316 ; 16-byte Folded Reload
	s_wait_loadcnt 0x1
	v_dual_fmac_f32 v7, v12, v162 :: v_dual_fmac_f32 v10, v13, v161
	v_dual_fmac_f32 v11, v14, v164 :: v_dual_fmac_f32 v8, v15, v163
	scratch_load_b128 v[12:15], off, off offset:332 ; 16-byte Folded Reload
	s_wait_loadcnt 0x1
	v_dual_fmac_f32 v7, v0, v91 :: v_dual_fmac_f32 v10, v1, v92
	v_dual_fmac_f32 v11, v2, v166 :: v_dual_fmac_f32 v8, v3, v165
	scratch_load_b128 v[0:3], off, off offset:348 ; 16-byte Folded Reload
	v_mul_f32_e32 v55, s4, v19
	v_cvt_pk_f32_fp8_e32 v[18:19], v54
	s_wait_loadcnt 0x1
	s_delay_alu instid0(VALU_DEP_1)
	v_dual_mul_f32 v54, s4, v19 :: v_dual_fmac_f32 v7, v12, v168
	v_dual_fmac_f32 v10, v13, v167 :: v_dual_fmac_f32 v11, v14, v169
	v_fmac_f32_e32 v8, v15, v20
	scratch_load_b128 v[12:15], off, off offset:364 ; 16-byte Folded Reload
	v_mul_f32_e32 v111, s4, v18
	s_wait_loadcnt 0x1
	v_fmac_f32_e32 v7, v0, v170
	v_dual_fmac_f32 v10, v1, v22 :: v_dual_fmac_f32 v11, v2, v171
	v_fmac_f32_e32 v8, v3, v24
	scratch_load_b128 v[0:3], off, off offset:380 ; 16-byte Folded Reload
	v_cvt_pk_f32_fp8_e32 v[18:19], v45
	s_delay_alu instid0(VALU_DEP_1) | instskip(NEXT) | instid1(VALU_DEP_2)
	v_mul_f32_e32 v91, s4, v18
	v_mul_f32_e32 v45, s4, v19
	v_cvt_pk_f32_fp8_e32 v[18:19], v35
	s_wait_loadcnt 0x1
	s_delay_alu instid0(VALU_DEP_1)
	v_dual_mul_f32 v92, s4, v18 :: v_dual_fmac_f32 v7, v12, v172
	v_dual_fmac_f32 v10, v13, v26 :: v_dual_fmac_f32 v11, v14, v173
	v_fmac_f32_e32 v8, v15, v25
	scratch_load_b128 v[12:15], off, off offset:396 ; 16-byte Folded Reload
	s_wait_loadcnt 0x1
	v_dual_fmac_f32 v7, v0, v174 :: v_dual_fmac_f32 v10, v1, v21
	v_dual_fmac_f32 v11, v2, v176 :: v_dual_fmac_f32 v8, v3, v175
	scratch_load_b128 v[0:3], off, off offset:412 ; 16-byte Folded Reload
	s_wait_loadcnt 0x1
	v_fmac_f32_e32 v8, v15, v179
	v_dual_fmac_f32 v10, v13, v177 :: v_dual_fmac_f32 v11, v14, v180
	v_mul_f32_e32 v35, s4, v19
	v_cvt_pk_f32_fp8_e32 v[18:19], v71
	s_wait_loadcnt 0x0
	v_dual_fmac_f32 v8, v3, v183 :: v_dual_fmac_f32 v7, v12, v178
	scratch_load_b128 v[12:15], off, off offset:428 ; 16-byte Folded Reload
	v_dual_fmac_f32 v10, v1, v181 :: v_dual_fmac_f32 v11, v2, v184
	v_dual_mul_f32 v22, s4, v19 :: v_dual_fmac_f32 v7, v0, v182
	scratch_load_b128 v[0:3], off, off offset:444 ; 16-byte Folded Reload
	v_mul_f32_e32 v71, s4, v18
	v_cvt_pk_f32_fp8_e32 v[18:19], v81
	s_delay_alu instid0(VALU_DEP_1) | instskip(NEXT) | instid1(VALU_DEP_2)
	v_mul_f32_e32 v20, s4, v19
	v_mul_f32_e32 v26, s4, v18
	v_cvt_pk_f32_fp8_e32 v[18:19], v74
	s_delay_alu instid0(VALU_DEP_1)
	v_mul_f32_e32 v24, s4, v18
	s_wait_loadcnt 0x1
	v_fmac_f32_e32 v8, v15, v40
	v_dual_fmac_f32 v10, v13, v39 :: v_dual_fmac_f32 v11, v14, v186
	v_mul_f32_e32 v21, s4, v19
	v_cvt_pk_f32_fp8_e32 v[18:19], v82
	s_wait_loadcnt 0x0
	v_dual_fmac_f32 v8, v3, v43 :: v_dual_fmac_f32 v7, v12, v185
	scratch_load_b128 v[12:15], off, off offset:460 ; 16-byte Folded Reload
	v_dual_fmac_f32 v10, v1, v42 :: v_dual_fmac_f32 v11, v2, v128
	v_dual_mul_f32 v74, s4, v18 :: v_dual_fmac_f32 v7, v0, v187
	scratch_load_b128 v[0:3], off, off offset:476 ; 16-byte Folded Reload
	v_mul_f32_e32 v25, s4, v19
	v_cvt_pk_f32_fp8_e32 v[18:19], v84
	s_delay_alu instid0(VALU_DEP_1) | instskip(SKIP_1) | instid1(VALU_DEP_1)
	v_dual_mul_f32 v81, s4, v19 :: v_dual_mul_f32 v82, s4, v18
	v_cvt_pk_f32_fp8_e32 v[18:19], v86
	v_mul_f32_e32 v84, s4, v18
	s_wait_loadcnt 0x1
	v_dual_fmac_f32 v8, v15, v47 :: v_dual_fmac_f32 v7, v12, v129
	v_fmac_f32_e32 v10, v13, v46
	s_wait_loadcnt 0x0
	s_delay_alu instid0(VALU_DEP_2)
	v_fmac_f32_e32 v8, v3, v50
	v_fmac_f32_e32 v11, v14, v130
	scratch_load_b128 v[12:15], off, off offset:492 ; 16-byte Folded Reload
	v_dual_fmac_f32 v7, v0, v131 :: v_dual_fmac_f32 v10, v1, v49
	v_fmac_f32_e32 v11, v2, v132
	scratch_load_b128 v[0:3], off, off offset:508 ; 16-byte Folded Reload
	v_mul_f32_e32 v39, s4, v19
	v_cvt_pk_f32_fp8_e32 v[18:19], v94
	s_delay_alu instid0(VALU_DEP_1) | instskip(NEXT) | instid1(VALU_DEP_2)
	v_mul_f32_e32 v42, s4, v19
	v_mul_f32_e32 v86, s4, v18
	v_cvt_pk_f32_fp8_e32 v[18:19], v100
	s_delay_alu instid0(VALU_DEP_1) | instskip(NEXT) | instid1(VALU_DEP_2)
	v_mul_f32_e32 v40, s4, v19
	v_mul_f32_e32 v46, s4, v18
	v_cvt_pk_f32_fp8_e32 v[18:19], v103
	s_wait_loadcnt 0x1
	v_fmac_f32_e32 v10, v13, v52
	s_delay_alu instid0(VALU_DEP_2) | instskip(SKIP_1) | instid1(VALU_DEP_2)
	v_dual_fmac_f32 v8, v15, v51 :: v_dual_mul_f32 v49, s4, v18
	s_wait_loadcnt 0x0
	v_dual_fmac_f32 v11, v14, v134 :: v_dual_fmac_f32 v10, v1, v48
	v_mul_f32_e32 v43, s4, v19
	v_cvt_pk_f32_fp8_e32 v[18:19], v83
	s_delay_alu instid0(VALU_DEP_3) | instskip(NEXT) | instid1(VALU_DEP_2)
	v_dual_fmac_f32 v8, v3, v44 :: v_dual_fmac_f32 v11, v2, v189
	v_dual_mul_f32 v47, s4, v19 :: v_dual_mul_f32 v52, s4, v18
	v_cvt_pk_f32_fp8_e32 v[18:19], v85
	s_delay_alu instid0(VALU_DEP_1)
	v_dual_mul_f32 v50, s4, v18 :: v_dual_fmac_f32 v7, v12, v133
	scratch_load_b128 v[12:15], off, off offset:524 ; 16-byte Folded Reload
	v_mul_f32_e32 v48, s4, v19
	v_cvt_pk_f32_fp8_e32 v[18:19], v87
	v_fmac_f32_e32 v7, v0, v135
	scratch_load_b128 v[0:3], off, off offset:540 ; 16-byte Folded Reload
	s_wait_loadcnt 0x1
	v_dual_fmac_f32 v8, v15, v37 :: v_dual_fmac_f32 v7, v12, v6
	v_fmac_f32_e32 v10, v13, v41
	s_wait_loadcnt 0x0
	s_delay_alu instid0(VALU_DEP_2)
	v_dual_fmac_f32 v8, v3, v27 :: v_dual_fmac_f32 v11, v14, v5
	scratch_load_b128 v[12:15], off, off offset:556 ; 16-byte Folded Reload
	v_fmac_f32_e32 v7, v0, v36
	v_fmac_f32_e32 v10, v1, v4
	v_cvt_pk_f32_fp8_e32 v[5:6], v90
	v_fmac_f32_e32 v11, v2, v34
	scratch_load_b128 v[0:3], off, off offset:572 ; 16-byte Folded Reload
	v_mul_f32_e32 v6, s4, v6
	s_wait_loadcnt 0x1
	v_fmac_f32_e32 v8, v15, v29
	v_fmac_f32_e32 v10, v13, v61
	v_mul_f32_e32 v13, s4, v5
	v_cvt_pk_f32_fp8_e32 v[4:5], v97
	s_wait_loadcnt 0x0
	v_dual_mul_f32 v41, s4, v19 :: v_dual_fmac_f32 v8, v3, v32
	v_dual_fmac_f32 v11, v14, v62 :: v_dual_fmac_f32 v10, v1, v63
	s_delay_alu instid0(VALU_DEP_3) | instskip(NEXT) | instid1(VALU_DEP_2)
	v_dual_mul_f32 v51, s4, v18 :: v_dual_mul_f32 v34, s4, v4
	v_dual_mul_f32 v14, s4, v5 :: v_dual_fmac_f32 v11, v2, v64
	scratch_load_b128 v[61:64], off, off offset:588 ; 16-byte Folded Reload
	v_cvt_pk_f32_fp8_e32 v[4:5], v101
	v_fmac_f32_e32 v7, v12, v9
	v_cvt_pk_f32_fp8_e32 v[18:19], v88
	s_delay_alu instid0(VALU_DEP_3) | instskip(SKIP_1) | instid1(VALU_DEP_1)
	v_dual_mul_f32 v9, s4, v5 :: v_dual_mul_f32 v12, s4, v4
	v_cvt_pk_f32_fp8_e32 v[4:5], v127
	v_dual_mul_f32 v18, s4, v18 :: v_dual_mul_f32 v15, s4, v5
	s_delay_alu instid0(VALU_DEP_2)
	v_mul_f32_e32 v16, s4, v4
	v_cvt_pk_f32_fp8_e32 v[4:5], v126
	v_fmac_f32_e32 v7, v0, v23
	scratch_load_b128 v[0:3], off, off offset:604 ; 16-byte Folded Reload
	v_dual_mul_f32 v19, s4, v19 :: v_dual_mul_f32 v4, s4, v4
	s_wait_loadcnt 0x1
	v_fmac_f32_e32 v10, v62, v30
	v_dual_fmac_f32 v8, v64, v66 :: v_dual_fmac_f32 v7, v61, v28
	scratch_load_b128 v[27:30], off, off offset:620 ; 16-byte Folded Reload
	s_wait_loadcnt 0x1
	v_fmac_f32_e32 v10, v1, v68
	v_dual_fmac_f32 v8, v3, v70 :: v_dual_fmac_f32 v7, v0, v67
	scratch_load_b32 v0, off, off offset:92 th:TH_LOAD_LU ; 4-byte Folded Reload
	s_wait_loadcnt 0x1
	v_dual_fmac_f32 v10, v28, v65 :: v_dual_fmac_f32 v11, v63, v31
	scratch_load_b128 v[61:64], off, off offset:636 ; 16-byte Folded Reload
	v_fmac_f32_e32 v8, v30, v76
	v_fmac_f32_e32 v7, v27, v104
	scratch_load_b128 v[65:68], off, off offset:684 ; 16-byte Folded Reload
	v_fmac_f32_e32 v11, v2, v75
	v_cvt_pk_f32_fp8_e32 v[2:3], v116
	s_delay_alu instid0(VALU_DEP_2) | instskip(SKIP_3) | instid1(VALU_DEP_1)
	v_fmac_f32_e32 v11, v29, v80
	scratch_load_b128 v[27:30], off, off offset:652 ; 16-byte Folded Reload
	v_mul_f32_e32 v17, s4, v2
	v_cvt_pk_f32_fp8_e32 v[1:2], v107
	v_mul_f32_e32 v23, s4, v2
	s_wait_loadcnt 0x2
	v_dual_fmac_f32 v7, v61, v77 :: v_dual_fmac_f32 v8, v64, v58
	v_fmac_f32_e32 v10, v62, v69
	s_wait_loadcnt 0x0
	s_delay_alu instid0(VALU_DEP_2)
	v_fmac_f32_e32 v7, v27, v93
	v_mul_f32_e32 v27, s4, v1
	v_cvt_pk_f32_fp8_e32 v[1:2], v105
	v_dual_fmac_f32 v8, v30, v53 :: v_dual_fmac_f32 v11, v63, v95
	v_fmac_f32_e32 v10, v28, v56
	scratch_load_b128 v[61:64], off, off offset:668 ; 16-byte Folded Reload
	v_dual_mul_f32 v28, s4, v2 :: v_dual_fmac_f32 v11, v29, v89
	v_mul_f32_e32 v29, s4, v1
	v_cvt_pk_f32_fp8_e32 v[1:2], v0
	scratch_load_b32 v0, off, off offset:80 th:TH_LOAD_LU ; 4-byte Folded Reload
	v_dual_mul_f32 v30, s4, v2 :: v_dual_mul_f32 v31, s4, v1
	s_wait_loadcnt 0x0
	v_cvt_pk_f32_fp8_e32 v[1:2], v0
	scratch_load_b32 v0, off, off offset:76 th:TH_LOAD_LU ; 4-byte Folded Reload
	v_dual_mul_f32 v3, s4, v3 :: v_dual_fmac_f32 v8, v64, v33
	v_fmac_f32_e32 v10, v62, v38
	v_dual_mul_f32 v32, s4, v2 :: v_dual_mul_f32 v33, s4, v1
	s_wait_loadcnt 0x0
	v_cvt_pk_f32_fp8_e32 v[1:2], v0
	scratch_load_b32 v0, off, off offset:68 th:TH_LOAD_LU ; 4-byte Folded Reload
	v_dual_mul_f32 v5, s4, v5 :: v_dual_fmac_f32 v10, v66, v60
	v_dual_fmac_f32 v8, v68, v59 :: v_dual_fmac_f32 v7, v61, v96
	v_dual_mul_f32 v36, s4, v2 :: v_dual_mul_f32 v37, s4, v1
	s_wait_loadcnt 0x0
	v_cvt_pk_f32_fp8_e32 v[1:2], v0
	v_fmac_f32_e32 v11, v63, v98
	s_clause 0x1
	scratch_load_b128 v[60:63], off, off offset:700
	scratch_load_b32 v0, off, off offset:96 th:TH_LOAD_LU
	v_dual_mul_f32 v38, s4, v1 :: v_dual_fmac_f32 v11, v67, v112
	s_wait_loadcnt 0x1
	v_fmac_f32_e32 v10, v61, v57
	scratch_load_b128 v[56:59], off, off offset:716 ; 16-byte Folded Reload
	v_fmac_f32_e32 v8, v63, v55
	v_fmac_f32_e32 v7, v65, v99
	s_wait_loadcnt 0x0
	s_delay_alu instid0(VALU_DEP_2) | instskip(NEXT) | instid1(VALU_DEP_2)
	v_dual_fmac_f32 v11, v62, v110 :: v_dual_fmac_f32 v8, v59, v45
	v_dual_fmac_f32 v7, v60, v113 :: v_dual_fmac_f32 v10, v57, v54
	s_delay_alu instid0(VALU_DEP_2)
	v_fmac_f32_e32 v11, v58, v91
	scratch_load_b128 v[57:60], off, off offset:748 ; 16-byte Folded Reload
	v_fmac_f32_e32 v7, v56, v111
	scratch_load_b128 v[53:56], off, off offset:732 ; 16-byte Folded Reload
	s_wait_loadcnt 0x0
	v_fmac_f32_e32 v8, v56, v22
	v_dual_fmac_f32 v10, v54, v35 :: v_dual_mul_f32 v35, s4, v2
	v_cvt_pk_f32_fp8_e32 v[1:2], v108
	s_delay_alu instid0(VALU_DEP_3) | instskip(NEXT) | instid1(VALU_DEP_3)
	v_dual_fmac_f32 v8, v60, v21 :: v_dual_fmac_f32 v7, v53, v92
	v_dual_fmac_f32 v11, v55, v71 :: v_dual_fmac_f32 v10, v58, v20
	s_delay_alu instid0(VALU_DEP_3)
	v_mul_f32_e32 v20, s4, v2
	scratch_load_b128 v[53:56], off, off offset:764 ; 16-byte Folded Reload
	v_dual_fmac_f32 v7, v57, v26 :: v_dual_mul_f32 v26, s4, v1
	v_cvt_pk_f32_fp8_e32 v[1:2], v106
	v_fmac_f32_e32 v11, v59, v24
	scratch_load_b128 v[57:60], off, off offset:780 ; 16-byte Folded Reload
	v_mul_f32_e32 v22, s4, v2
	v_mul_f32_e32 v24, s4, v1
	v_cvt_pk_f32_fp8_e32 v[1:2], v0
	scratch_load_b32 v0, off, off offset:88 th:TH_LOAD_LU ; 4-byte Folded Reload
	s_wait_loadcnt 0x2
	v_dual_mul_f32 v21, s4, v2 :: v_dual_fmac_f32 v8, v56, v81
	v_dual_fmac_f32 v7, v53, v74 :: v_dual_fmac_f32 v10, v54, v25
	v_mul_f32_e32 v25, s4, v1
	s_wait_loadcnt 0x0
	v_cvt_pk_f32_fp8_e32 v[1:2], v0
	scratch_load_b32 v0, off, off offset:84 th:TH_LOAD_LU ; 4-byte Folded Reload
	v_fmac_f32_e32 v8, v60, v42
	v_fmac_f32_e32 v11, v55, v82
	scratch_load_b128 v[53:56], off, off offset:796 ; 16-byte Folded Reload
	v_dual_fmac_f32 v10, v58, v39 :: v_dual_mul_f32 v39, s4, v2
	s_wait_loadcnt 0x0
	s_delay_alu instid0(VALU_DEP_1)
	v_fmac_f32_e32 v10, v54, v40
	v_mul_f32_e32 v40, s4, v1
	v_cvt_pk_f32_fp8_e32 v[1:2], v0
	v_dual_fmac_f32 v8, v56, v43 :: v_dual_fmac_f32 v11, v59, v86
	scratch_load_b32 v0, off, off offset:72 th:TH_LOAD_LU ; 4-byte Folded Reload
	v_dual_mul_f32 v44, s4, v1 :: v_dual_fmac_f32 v7, v57, v84
	v_mul_f32_e32 v42, s4, v2
	scratch_load_b128 v[57:60], off, off offset:812 ; 16-byte Folded Reload
	v_cvt_pk_f32_fp8_e32 v[1:2], v79
	s_wait_loadcnt 0x0
	v_dual_fmac_f32 v8, v60, v48 :: v_dual_fmac_f32 v7, v53, v46
	v_fmac_f32_e32 v10, v58, v47
	scratch_load_b128 v[45:48], off, off offset:844 ; 16-byte Folded Reload
	v_fmac_f32_e32 v11, v55, v49
	v_fmac_f32_e32 v7, v57, v52
	scratch_load_b128 v[52:55], off, off offset:828 ; 16-byte Folded Reload
	s_wait_loadcnt 0x0
	v_dual_fmac_f32 v10, v53, v41 :: v_dual_mul_f32 v41, s4, v2
	v_dual_fmac_f32 v8, v55, v19 :: v_dual_mul_f32 v43, s4, v1
	v_cvt_pk_f32_fp8_e32 v[1:2], v0
	scratch_load_b32 v0, off, off offset:64 th:TH_LOAD_LU ; 4-byte Folded Reload
	v_fmac_f32_e32 v10, v46, v6
	v_fmac_f32_e32 v11, v59, v50
	;; [unrolled: 1-line block ×3, first 2 shown]
	v_dual_mul_f32 v6, s4, v2 :: v_dual_fmac_f32 v7, v52, v51
	scratch_load_b128 v[49:52], off, off offset:860 ; 16-byte Folded Reload
	v_fmac_f32_e32 v11, v54, v18
	v_fmac_f32_e32 v7, v45, v13
	s_delay_alu instid0(VALU_DEP_2)
	v_fmac_f32_e32 v11, v47, v34
	scratch_load_b128 v[45:48], off, off offset:876 ; 16-byte Folded Reload
	v_mul_f32_e32 v13, s4, v1
	s_wait_loadcnt 0x2
	v_cvt_pk_f32_fp8_e32 v[1:2], v0
	scratch_load_b32 v0, off, off offset:60 th:TH_LOAD_LU ; 4-byte Folded Reload
	s_wait_loadcnt 0x2
	v_dual_fmac_f32 v7, v49, v12 :: v_dual_fmac_f32 v10, v50, v9
	v_dual_mul_f32 v9, s4, v2 :: v_dual_mul_f32 v12, s4, v1
	v_dual_fmac_f32 v11, v51, v16 :: v_dual_fmac_f32 v8, v52, v15
	s_wait_loadcnt 0x0
	v_cvt_pk_f32_fp8_e32 v[1:2], v0
	scratch_load_b32 v0, off, off offset:56 th:TH_LOAD_LU ; 4-byte Folded Reload
	v_dual_fmac_f32 v7, v45, v4 :: v_dual_fmac_f32 v10, v46, v5
	v_dual_fmac_f32 v11, v47, v17 :: v_dual_mul_f32 v4, s4, v2
	v_mul_f32_e32 v5, s4, v1
	scratch_load_b128 v[14:17], off, off offset:892 ; 16-byte Folded Reload
	v_fmac_f32_e32 v8, v48, v3
	scratch_load_b128 v[45:48], off, off offset:908 ; 16-byte Folded Reload
	s_wait_loadcnt 0x2
	v_cvt_pk_f32_fp8_e32 v[1:2], v0
	scratch_load_b32 v0, off, off offset:48 th:TH_LOAD_LU ; 4-byte Folded Reload
	s_wait_loadcnt 0x2
	v_fmac_f32_e32 v7, v14, v27
	v_fmac_f32_e32 v10, v23, v15
	v_dual_mul_f32 v14, s4, v2 :: v_dual_mul_f32 v15, s4, v1
	v_dual_fmac_f32 v11, v29, v16 :: v_dual_fmac_f32 v8, v28, v17
	s_wait_loadcnt 0x0
	v_cvt_pk_f32_fp8_e32 v[1:2], v0
	scratch_load_b32 v0, off, off offset:40 th:TH_LOAD_LU ; 4-byte Folded Reload
	v_dual_mul_f32 v3, s4, v2 :: v_dual_mul_f32 v16, s4, v1
	s_wait_loadcnt 0x0
	v_cvt_pk_f32_fp8_e32 v[1:2], v0
	scratch_load_b32 v0, off, off offset:32 th:TH_LOAD_LU ; 4-byte Folded Reload
	v_dual_mul_f32 v17, s4, v2 :: v_dual_mul_f32 v18, s4, v1
	s_wait_loadcnt 0x0
	v_cvt_pk_f32_fp8_e32 v[1:2], v0
	scratch_load_b32 v0, off, off offset:20 th:TH_LOAD_LU ; 4-byte Folded Reload
	v_fmac_f32_e32 v10, v30, v46
	scratch_load_b128 v[27:30], off, off offset:924 ; 16-byte Folded Reload
	v_fmac_f32_e32 v7, v31, v45
	v_dual_fmac_f32 v11, v33, v47 :: v_dual_fmac_f32 v8, v32, v48
	scratch_load_b128 v[31:34], off, off offset:940 ; 16-byte Folded Reload
	v_mul_f32_e32 v19, s4, v2
	s_wait_loadcnt 0x1
	v_dual_fmac_f32 v7, v37, v27 :: v_dual_fmac_f32 v10, v36, v28
	v_dual_fmac_f32 v11, v38, v29 :: v_dual_fmac_f32 v8, v35, v30
	s_wait_loadcnt 0x0
	s_delay_alu instid0(VALU_DEP_2)
	v_dual_fmac_f32 v7, v26, v31 :: v_dual_fmac_f32 v10, v20, v32
	v_mul_f32_e32 v20, s4, v1
	scratch_load_b128 v[26:29], off, off offset:956 ; 16-byte Folded Reload
	v_cvt_pk_f32_fp8_e32 v[1:2], v0
	scratch_load_b32 v0, off, off offset:12 th:TH_LOAD_LU ; 4-byte Folded Reload
	v_dual_fmac_f32 v8, v22, v34 :: v_dual_mul_f32 v23, s4, v1
	s_wait_loadcnt 0x1
	v_fmac_f32_e32 v7, v25, v26
	v_dual_fmac_f32 v10, v21, v27 :: v_dual_mul_f32 v21, s4, v2
	s_wait_loadcnt 0x0
	v_cvt_pk_f32_fp8_e32 v[1:2], v0
	v_fmac_f32_e32 v8, v39, v29
	v_fmac_f32_e32 v11, v24, v33
	s_clause 0x1
	scratch_load_b128 v[24:27], off, off offset:972
	scratch_load_b32 v0, off, off offset:4 th:TH_LOAD_LU
	s_wait_loadcnt 0x1
	v_dual_mul_f32 v22, s4, v2 :: v_dual_fmac_f32 v7, v44, v24
	v_fmac_f32_e32 v10, v42, v25
	v_mul_f32_e32 v24, s4, v1
	s_wait_loadcnt 0x0
	v_cvt_pk_f32_fp8_e32 v[1:2], v0
	v_dual_fmac_f32 v8, v41, v27 :: v_dual_fmac_f32 v11, v40, v28
	s_clause 0x1
	scratch_load_b128 v[28:31], off, off offset:988
	scratch_load_b32 v0, off, off offset:52 th:TH_LOAD_LU
	v_fmac_f32_e32 v11, v43, v26
	s_wait_loadcnt 0x1
	v_dual_fmac_f32 v7, v13, v28 :: v_dual_fmac_f32 v10, v6, v29
	v_mul_f32_e32 v6, s4, v2
	s_delay_alu instid0(VALU_DEP_3)
	v_fmac_f32_e32 v11, v12, v30
	scratch_load_b128 v[25:28], off, off offset:1004 ; 16-byte Folded Reload
	v_fmac_f32_e32 v8, v9, v31
	scratch_load_b128 v[29:32], off, off offset:1020 ; 16-byte Folded Reload
	v_mul_f32_e32 v13, s4, v1
	s_wait_loadcnt 0x2
	v_cvt_pk_f32_fp8_e32 v[1:2], v0
	scratch_load_b32 v0, off, off offset:44 th:TH_LOAD_LU ; 4-byte Folded Reload
	s_wait_loadcnt 0x2
	v_fmac_f32_e32 v10, v4, v26
	v_dual_mul_f32 v4, s4, v2 :: v_dual_fmac_f32 v7, v5, v25
	v_dual_fmac_f32 v11, v15, v27 :: v_dual_fmac_f32 v8, v14, v28
	scratch_load_b128 v[25:28], off, off offset:1036 ; 16-byte Folded Reload
	v_mul_f32_e32 v5, s4, v1
	s_wait_loadcnt 0x1
	v_cvt_pk_f32_fp8_e32 v[1:2], v0
	scratch_load_b32 v0, off, off offset:36 th:TH_LOAD_LU ; 4-byte Folded Reload
	v_dual_fmac_f32 v7, v16, v29 :: v_dual_fmac_f32 v10, v3, v30
	v_fmac_f32_e32 v11, v18, v31
	v_dual_mul_f32 v3, s4, v2 :: v_dual_fmac_f32 v8, v17, v32
	scratch_load_b128 v[15:18], off, off offset:1052 ; 16-byte Folded Reload
	v_mul_f32_e32 v9, s4, v1
	s_wait_loadcnt 0x1
	v_cvt_pk_f32_fp8_e32 v[1:2], v0
	scratch_load_b32 v0, off, off offset:28 th:TH_LOAD_LU ; 4-byte Folded Reload
	v_mul_f32_e32 v12, s4, v2
	v_mul_f32_e32 v14, s4, v1
	s_wait_loadcnt 0x0
	v_cvt_pk_f32_fp8_e32 v[1:2], v0
	scratch_load_b32 v0, off, off offset:24 th:TH_LOAD_LU ; 4-byte Folded Reload
	v_dual_fmac_f32 v7, v20, v25 :: v_dual_fmac_f32 v10, v19, v26
	v_fmac_f32_e32 v8, v21, v28
	s_delay_alu instid0(VALU_DEP_2)
	v_fmac_f32_e32 v10, v22, v16
	v_mul_f32_e32 v16, s4, v1
	scratch_load_b128 v[19:22], off, off offset:1068 ; 16-byte Folded Reload
	v_dual_fmac_f32 v8, v6, v18 :: v_dual_fmac_f32 v7, v24, v15
	v_mul_f32_e32 v15, s4, v2
	s_wait_loadcnt 0x1
	v_cvt_pk_f32_fp8_e32 v[1:2], v0
	scratch_load_b32 v0, off, off offset:16 th:TH_LOAD_LU ; 4-byte Folded Reload
	s_wait_loadcnt 0x1
	v_fmac_f32_e32 v10, v4, v20
	v_mul_f32_e32 v4, s4, v2
	v_dual_fmac_f32 v8, v3, v22 :: v_dual_fmac_f32 v7, v5, v19
	v_mul_f32_e32 v5, s4, v1
	s_wait_loadcnt 0x0
	v_cvt_pk_f32_fp8_e32 v[1:2], v0
	scratch_load_b32 v0, off, off offset:8 th:TH_LOAD_LU ; 4-byte Folded Reload
	v_dual_mul_f32 v6, s4, v2 :: v_dual_fmac_f32 v11, v23, v27
	s_delay_alu instid0(VALU_DEP_1)
	v_fmac_f32_e32 v11, v13, v17
	scratch_load_b128 v[17:20], off, off offset:1084 ; 16-byte Folded Reload
	v_fmac_f32_e32 v11, v9, v21
	v_mul_f32_e32 v9, s4, v1
	s_wait_loadcnt 0x1
	v_cvt_pk_f32_fp8_e32 v[1:2], v0
	scratch_load_b32 v0, off, off th:TH_LOAD_LU ; 4-byte Folded Reload
	v_mul_f32_e32 v1, s4, v1
	v_mul_f32_e32 v3, s4, v2
	s_wait_loadcnt 0x1
	v_dual_fmac_f32 v7, v14, v17 :: v_dual_fmac_f32 v10, v12, v18
	v_fmac_f32_e32 v11, v16, v19
	scratch_load_b128 v[16:19], off, off offset:1100 ; 16-byte Folded Reload
	v_fmac_f32_e32 v8, v15, v20
	scratch_load_b128 v[12:15], off, off offset:1116 ; 16-byte Folded Reload
	s_wait_loadcnt 0x1
	v_fmac_f32_e32 v11, v1, v18
	v_cvt_pk_f32_fp8_e32 v[1:2], v0
	v_fmac_f32_e32 v8, v3, v19
	scratch_load_b32 v0, off, off offset:1132 ; 4-byte Folded Reload
	v_fmac_f32_e32 v10, v4, v17
	v_dual_mul_f32 v2, s4, v2 :: v_dual_mul_f32 v1, s4, v1
	s_wait_loadcnt 0x1
	s_delay_alu instid0(VALU_DEP_2) | instskip(NEXT) | instid1(VALU_DEP_2)
	v_fmac_f32_e32 v10, v6, v13
	v_fmac_f32_e32 v8, v2, v15
	scratch_load_b32 v2, off, off offset:1352 ; 4-byte Folded Reload
	v_fmac_f32_e32 v11, v1, v14
	s_wait_loadcnt 0x0
	v_add_nc_u32_e32 v2, v2, v102
	s_delay_alu instid0(VALU_DEP_1) | instskip(SKIP_1) | instid1(VALU_DEP_1)
	v_cmp_gt_i32_e64 s4, s34, v2
	v_add_nc_u32_e32 v2, v0, v102
	v_cvt_f32_i32_e32 v2, v2
	s_delay_alu instid0(VALU_DEP_1) | instskip(NEXT) | instid1(VALU_DEP_1)
	v_mul_f32_e32 v2, s30, v2
	v_dual_cndmask_b32 v2, 0, v2 :: v_dual_fmac_f32 v7, v5, v16
	v_mov_b32_e32 v5, v78
	s_delay_alu instid0(VALU_DEP_2) | instskip(NEXT) | instid1(VALU_DEP_1)
	v_fmac_f32_e32 v7, v9, v12
	v_add_f32_e32 v1, v7, v10
	s_delay_alu instid0(VALU_DEP_1) | instskip(NEXT) | instid1(VALU_DEP_1)
	v_add_f32_e32 v1, v11, v1
	v_add_f32_e32 v1, v8, v1
	s_delay_alu instid0(VALU_DEP_1) | instskip(SKIP_1) | instid1(VALU_DEP_1)
	v_fmac_f32_e32 v2, s17, v1
	v_max_num_f32_e32 v1, v5, v5
	v_max_num_f32_e32 v1, v1, v2
	s_wait_alu 0xf1ff
	s_delay_alu instid0(VALU_DEP_1)
	v_cndmask_b32_e64 v5, v5, v1, s4
	v_cndmask_b32_e64 v1, 0, v2, s4
	ds_store_b32 v72, v1
	s_branch .LBB233_11
.LBB233_16:
	s_or_b32 exec_lo, exec_lo, s23
	scratch_load_b32 v12, off, off offset:1144 ; 4-byte Folded Reload
.LBB233_17:
	s_or_b32 exec_lo, exec_lo, s16
	v_mbcnt_lo_u32_b32 v0, -1, 0
	s_clause 0x2
	s_load_b128 s[16:19], s[0:1], 0x0
	s_load_b64 s[8:9], s[0:1], 0x10
	s_load_b64 s[30:31], s[0:1], 0x28
	v_xor_b32_e32 v1, 16, v0
	v_xor_b32_e32 v3, 8, v0
	s_delay_alu instid0(VALU_DEP_2) | instskip(SKIP_2) | instid1(VALU_DEP_3)
	v_cmp_gt_i32_e32 vcc_lo, 32, v1
	s_wait_alu 0xfffd
	v_cndmask_b32_e32 v1, v0, v1, vcc_lo
	v_cmp_gt_i32_e32 vcc_lo, 32, v3
	v_max_num_f32_e32 v4, v5, v5
	s_delay_alu instid0(VALU_DEP_3)
	v_lshlrev_b32_e32 v1, 2, v1
	s_wait_alu 0xfffd
	v_cndmask_b32_e32 v3, v0, v3, vcc_lo
	ds_bpermute_b32 v2, v1, v5
	s_wait_dscnt 0x0
	v_dual_max_num_f32 v5, v2, v2 :: v_dual_lshlrev_b32 v2, 2, v3
	s_delay_alu instid0(VALU_DEP_1)
	v_max_num_f32_e32 v3, v4, v5
	v_xor_b32_e32 v5, 4, v0
	ds_bpermute_b32 v4, v2, v3
	v_cmp_gt_i32_e32 vcc_lo, 32, v5
	s_wait_alu 0xfffd
	v_cndmask_b32_e32 v5, v0, v5, vcc_lo
	s_delay_alu instid0(VALU_DEP_1) | instskip(SKIP_1) | instid1(VALU_DEP_1)
	v_lshlrev_b32_e32 v11, 2, v5
	v_xor_b32_e32 v5, 2, v0
	v_cmp_gt_i32_e32 vcc_lo, 32, v5
	s_wait_dscnt 0x0
	v_max_num_f32_e32 v4, v4, v4
	s_wait_alu 0xfffd
	v_cndmask_b32_e32 v5, v0, v5, vcc_lo
	s_delay_alu instid0(VALU_DEP_1)
	v_dual_max_num_f32 v3, v3, v4 :: v_dual_lshlrev_b32 v10, 2, v5
	v_xor_b32_e32 v5, 1, v0
	ds_bpermute_b32 v4, v11, v3
	v_cmp_gt_i32_e32 vcc_lo, 32, v5
	s_wait_alu 0xfffd
	v_cndmask_b32_e32 v5, v0, v5, vcc_lo
	s_wait_dscnt 0x0
	s_delay_alu instid0(VALU_DEP_1) | instskip(NEXT) | instid1(VALU_DEP_1)
	v_dual_max_num_f32 v4, v4, v4 :: v_dual_lshlrev_b32 v9, 2, v5
	v_max_num_f32_e32 v3, v3, v4
	ds_bpermute_b32 v4, v10, v3
	s_wait_dscnt 0x0
	v_max_num_f32_e32 v4, v4, v4
	s_delay_alu instid0(VALU_DEP_1)
	v_max_num_f32_e32 v0, v3, v4
	scratch_load_b32 v4, off, off offset:1352 ; 4-byte Folded Reload
	ds_bpermute_b32 v3, v9, v0
	s_wait_loadcnt 0x0
	v_cmp_eq_u32_e32 vcc_lo, 0, v4
	scratch_load_b32 v4, off, off offset:1376 ; 4-byte Folded Reload
	s_wait_loadcnt 0x0
	v_lshlrev_b32_e32 v4, 2, v4
	s_and_saveexec_b32 s0, vcc_lo
	s_cbranch_execz .LBB233_19
; %bb.18:
	s_wait_dscnt 0x0
	v_dual_max_num_f32 v3, v3, v3 :: v_dual_max_num_f32 v0, v0, v0
	s_delay_alu instid0(VALU_DEP_1)
	v_max_num_f32_e32 v0, v0, v3
	ds_store_b32 v4, v0 offset:1024
.LBB233_19:
	s_or_b32 exec_lo, exec_lo, s0
	scratch_load_b32 v0, off, off offset:1352 ; 4-byte Folded Reload
	s_wait_storecnt 0x0
	s_wait_loadcnt_dscnt 0x0
	s_barrier_signal -1
	s_barrier_wait -1
	global_inv scope:SCOPE_SE
	v_cmp_gt_u32_e64 s0, 4, v0
	v_mov_b32_e32 v0, 0xff7fffff
	s_and_saveexec_b32 s1, s0
; %bb.20:
	ds_load_b32 v0, v12 offset:1024
; %bb.21:
	s_or_b32 exec_lo, exec_lo, s1
	s_wait_dscnt 0x0
	ds_bpermute_b32 v3, v10, v0
	v_max_num_f32_e32 v0, v0, v0
	s_sub_co_i32 s1, s36, s40
	v_mov_b32_e32 v5, 0
	s_lshl_b32 s1, s1, 5
	s_delay_alu instid0(SALU_CYCLE_1) | instskip(NEXT) | instid1(SALU_CYCLE_1)
	s_add_co_i32 s1, s1, s37
	s_min_i32 s1, s1, s34
	s_delay_alu instid0(SALU_CYCLE_1) | instskip(SKIP_2) | instid1(VALU_DEP_1)
	s_sub_co_i32 s5, s1, s37
	s_wait_dscnt 0x0
	v_max_num_f32_e32 v3, v3, v3
	v_max_num_f32_e32 v0, v0, v3
	ds_bpermute_b32 v3, v9, v0
	s_wait_dscnt 0x0
	v_max_num_f32_e32 v3, v3, v3
	s_delay_alu instid0(VALU_DEP_1)
	v_max_num_f32_e32 v0, v0, v3
	scratch_load_b32 v3, off, off offset:1356 ; 4-byte Folded Reload
	ds_bpermute_b32 v0, v5, v0
	s_wait_loadcnt 0x0
	s_wait_alu 0xfffe
	v_cmp_gt_i32_e64 s1, s5, v3
	v_lshl_add_u32 v3, v3, 2, 0x420
	s_and_saveexec_b32 s23, s1
	s_cbranch_execz .LBB233_25
; %bb.22:
	scratch_load_b32 v7, off, off offset:1356 ; 4-byte Folded Reload
	v_mov_b32_e32 v5, 0
	s_mov_b32 s40, 0
	s_wait_loadcnt 0x0
	v_lshl_add_u32 v6, v7, 2, 0x420
.LBB233_23:                             ; =>This Inner Loop Header: Depth=1
	ds_load_b32 v8, v6
	v_add_nc_u32_e32 v7, 0x80, v7
	s_delay_alu instid0(VALU_DEP_1) | instskip(SKIP_4) | instid1(VALU_DEP_1)
	v_cmp_le_i32_e64 s4, s5, v7
	s_wait_alu 0xfffe
	s_or_b32 s40, s4, s40
	s_wait_dscnt 0x0
	v_sub_f32_e32 v8, v8, v0
	v_mul_f32_e32 v8, 0x3fb8aa3b, v8
	s_delay_alu instid0(VALU_DEP_1)
	v_exp_f32_e32 v8, v8
	ds_store_b32 v6, v8
	v_dual_add_f32 v5, v5, v8 :: v_dual_add_nc_u32 v6, 0x200, v6
	s_wait_alu 0xfffe
	s_and_not1_b32 exec_lo, exec_lo, s40
	s_cbranch_execnz .LBB233_23
; %bb.24:
	s_or_b32 exec_lo, exec_lo, s40
.LBB233_25:
	s_delay_alu instid0(SALU_CYCLE_1)
	s_or_b32 exec_lo, exec_lo, s23
	ds_bpermute_b32 v1, v1, v5
	s_wait_dscnt 0x0
	v_add_f32_e32 v1, v5, v1
	ds_bpermute_b32 v2, v2, v1
	s_wait_dscnt 0x0
	v_add_f32_e32 v1, v1, v2
	;; [unrolled: 3-line block ×5, first 2 shown]
	s_and_saveexec_b32 s4, vcc_lo
; %bb.26:
	ds_store_b32 v4, v1 offset:1040
; %bb.27:
	s_wait_alu 0xfffe
	s_or_b32 exec_lo, exec_lo, s4
	s_wait_dscnt 0x0
	s_barrier_signal -1
	s_barrier_wait -1
	global_inv scope:SCOPE_SE
	s_and_saveexec_b32 s4, s0
; %bb.28:
	ds_load_b32 v1, v12 offset:1040
; %bb.29:
	s_wait_alu 0xfffe
	s_or_b32 exec_lo, exec_lo, s4
	s_wait_dscnt 0x0
	ds_bpermute_b32 v2, v10, v1
	s_wait_dscnt 0x0
	v_add_f32_e32 v1, v1, v2
	ds_bpermute_b32 v2, v9, v1
	s_wait_dscnt 0x0
	v_dual_add_f32 v1, v1, v2 :: v_dual_mov_b32 v2, 0
	ds_bpermute_b32 v1, v2, v1
	s_and_saveexec_b32 s0, s1
	s_cbranch_execz .LBB233_32
; %bb.30:
	s_wait_dscnt 0x0
	v_add_f32_e32 v2, 0x358637bd, v1
	s_mov_b32 s1, 0
	s_delay_alu instid0(VALU_DEP_1) | instskip(SKIP_1) | instid1(VALU_DEP_2)
	v_div_scale_f32 v4, null, v2, v2, 1.0
	v_div_scale_f32 v7, vcc_lo, 1.0, v2, 1.0
	v_rcp_f32_e32 v5, v4
	s_delay_alu instid0(TRANS32_DEP_1) | instskip(NEXT) | instid1(VALU_DEP_1)
	v_fma_f32 v6, -v4, v5, 1.0
	v_fmac_f32_e32 v5, v6, v5
	s_delay_alu instid0(VALU_DEP_1) | instskip(NEXT) | instid1(VALU_DEP_1)
	v_mul_f32_e32 v6, v7, v5
	v_fma_f32 v8, -v4, v6, v7
	s_delay_alu instid0(VALU_DEP_1) | instskip(NEXT) | instid1(VALU_DEP_1)
	v_fmac_f32_e32 v6, v8, v5
	v_fma_f32 v4, -v4, v6, v7
	s_wait_alu 0xfffd
	s_delay_alu instid0(VALU_DEP_1) | instskip(NEXT) | instid1(VALU_DEP_1)
	v_div_fmas_f32 v4, v4, v5, v6
	v_div_fixup_f32 v2, v4, v2, 1.0
	scratch_load_b32 v4, off, off offset:1356 ; 4-byte Folded Reload
.LBB233_31:                             ; =>This Inner Loop Header: Depth=1
	ds_load_b32 v5, v3
	s_wait_loadcnt_dscnt 0x0
	v_dual_mul_f32 v5, v2, v5 :: v_dual_add_nc_u32 v4, 0x80, v4
	s_delay_alu instid0(VALU_DEP_1) | instskip(SKIP_3) | instid1(SALU_CYCLE_1)
	v_cmp_le_i32_e32 vcc_lo, s5, v4
	ds_store_b32 v3, v5
	v_add_nc_u32_e32 v3, 0x200, v3
	s_or_b32 s1, vcc_lo, s1
	s_and_not1_b32 exec_lo, exec_lo, s1
	s_cbranch_execnz .LBB233_31
.LBB233_32:
	s_or_b32 exec_lo, exec_lo, s0
	s_wait_loadcnt_dscnt 0x0
	s_barrier_signal -1
	scratch_load_b32 v2, off, off offset:1356 ; 4-byte Folded Reload
	s_mul_i32 s0, s7, s38
	s_barrier_wait -1
	s_mul_i32 s4, s0, s39
	s_mov_b32 s0, exec_lo
	s_wait_loadcnt 0x0
	global_inv scope:SCOPE_SE
	v_cmpx_eq_u32_e32 0, v2
	s_cbranch_execz .LBB233_34
; %bb.33:
	s_wait_alu 0xfffe
	s_ashr_i32 s5, s4, 31
	s_mul_i32 s38, s7, ttmp9
	s_lshl_b32 s1, s33, 2
	s_wait_alu 0xfffe
	s_lshl_b64 s[40:41], s[4:5], 2
	s_ashr_i32 s39, s38, 31
	v_mov_b32_e32 v2, s1
	s_wait_kmcnt 0x0
	s_wait_alu 0xfffe
	s_add_nc_u64 s[18:19], s[18:19], s[40:41]
	s_lshl_b64 s[38:39], s[38:39], 2
	s_add_nc_u64 s[16:17], s[16:17], s[40:41]
	s_wait_alu 0xfffe
	s_add_nc_u64 s[18:19], s[18:19], s[38:39]
	s_add_nc_u64 s[16:17], s[16:17], s[38:39]
	s_clause 0x1
	global_store_b32 v2, v0, s[18:19]
	global_store_b32 v2, v1, s[16:17]
.LBB233_34:
	s_or_b32 exec_lo, exec_lo, s0
	v_dual_mov_b32 v23, 0 :: v_dual_mov_b32 v22, 0
	v_dual_mov_b32 v21, 0 :: v_dual_mov_b32 v20, 0
	;; [unrolled: 1-line block ×32, first 2 shown]
	s_and_saveexec_b32 s1, s3
	s_cbranch_execz .LBB233_168
; %bb.35:
	scratch_load_b32 v0, off, off offset:1356 ; 4-byte Folded Reload
	s_abs_i32 s3, s14
	s_lshl_b32 s0, s37, 2
	s_wait_alu 0xfffe
	s_cvt_f32_u32 s14, s3
	s_wait_kmcnt 0x0
	s_sub_co_i32 s18, 0x420, s0
	s_sub_co_i32 s19, 0, s3
	v_dual_mov_b32 v82, 0 :: v_dual_mov_b32 v79, 0
	v_rcp_iflag_f32_e32 v1, s14
	v_dual_mov_b32 v78, 0 :: v_dual_mov_b32 v81, 0
	v_dual_mov_b32 v76, 0 :: v_dual_mov_b32 v75, 0
	;; [unrolled: 1-line block ×5, first 2 shown]
	s_delay_alu instid0(TRANS32_DEP_1)
	v_readfirstlane_b32 s14, v1
	v_dual_mov_b32 v68, 0 :: v_dual_mov_b32 v67, 0
	v_dual_mov_b32 v64, 0 :: v_dual_mov_b32 v65, 0
	s_mul_f32 s0, s14, 0x4f7ffffe
	v_dual_mov_b32 v63, 0 :: v_dual_mov_b32 v62, 0
	v_dual_mov_b32 v77, 0 :: v_dual_mov_b32 v66, 0
	s_wait_alu 0xfffe
	s_cvt_u32_f32 s0, s0
	v_dual_mov_b32 v73, 0 :: v_dual_mov_b32 v86, 0
	v_dual_mov_b32 v87, 0 :: v_dual_mov_b32 v88, 0
	s_wait_alu 0xfffe
	s_mul_i32 s19, s19, s0
	v_dual_mov_b32 v89, 0 :: v_dual_mov_b32 v90, 0
	v_dual_mov_b32 v41, 0 :: v_dual_mov_b32 v54, 0
	;; [unrolled: 1-line block ×18, first 2 shown]
	v_mov_b32_e32 v23, 0
	s_lshl_b64 s[28:29], s[28:29], 2
	s_mov_b32 s16, s21
	s_ashr_i32 s23, s22, 31
	s_wait_alu 0xfffe
	s_mul_hi_u32 s21, s0, s19
	s_sub_co_i32 s5, s15, s13
	s_add_co_i32 s17, s12, -1
	s_add_nc_u64 s[12:13], s[26:27], s[28:29]
	s_add_nc_u64 s[14:15], s[30:31], s[22:23]
	s_mov_b32 s19, 0
	s_wait_alu 0xfffe
	s_add_co_i32 s21, s0, s21
	s_wait_loadcnt 0x0
	v_dual_mov_b32 v83, 0 :: v_dual_lshlrev_b32 v0, 2, v0
	v_mov_b32_e32 v80, 0
	s_delay_alu instid0(VALU_DEP_2)
	v_dual_mov_b32 v84, 0 :: v_dual_and_b32 v1, 28, v0
	scratch_store_b32 off, v1, off offset:1360 ; 4-byte Folded Spill
	v_and_b32_e32 v1, 0x7c, v0
	scratch_store_b32 off, v1, off offset:1364 ; 4-byte Folded Spill
	v_or_b32_e32 v1, 0xf80, v0
	v_or_b32_e32 v0, 0x1f80, v0
	s_clause 0x1
	scratch_store_b32 off, v1, off offset:1368
	scratch_store_b32 off, v0, off offset:1372
	scratch_load_b64 v[0:1], off, off offset:1136 ; 8-byte Folded Reload
	s_branch .LBB233_38
.LBB233_36:                             ;   in Loop: Header=BB233_38 Depth=1
	s_wait_alu 0xfffe
	s_or_b32 exec_lo, exec_lo, s0
	s_wait_dscnt 0x0
	v_mul_f32_e32 v21, v1, v21
	v_mul_f32_e32 v145, v1, v151
	;; [unrolled: 1-line block ×5, first 2 shown]
	v_fmac_f32_e32 v21, v2, v20
	v_fmac_f32_e32 v145, v2, v150
	;; [unrolled: 1-line block ×4, first 2 shown]
	v_mul_f32_e32 v87, v1, v87
	v_fmac_f32_e32 v21, v3, v23
	scratch_load_b32 v23, off, off offset:940 th:TH_LOAD_LU ; 4-byte Folded Reload
	v_fmac_f32_e32 v145, v3, v153
	v_dual_fmac_f32 v142, v3, v159 :: v_dual_mul_f32 v121, v1, v121
	v_mul_f32_e32 v146, v1, v147
	v_mul_f32_e32 v125, v1, v125
	v_dual_mul_f32 v92, v1, v92 :: v_dual_fmac_f32 v87, v2, v86
	s_delay_alu instid0(VALU_DEP_4) | instskip(NEXT) | instid1(VALU_DEP_4)
	v_fmac_f32_e32 v121, v2, v138
	v_fmac_f32_e32 v146, v2, v143
	v_mul_f32_e32 v119, v1, v119
	v_mul_f32_e32 v144, v1, v156
	;; [unrolled: 1-line block ×4, first 2 shown]
	v_fmac_f32_e32 v146, v3, v149
	v_fmac_f32_e32 v119, v2, v141
	v_dual_fmac_f32 v144, v2, v155 :: v_dual_fmac_f32 v145, v4, v152
	s_delay_alu instid0(VALU_DEP_3) | instskip(SKIP_1) | instid1(VALU_DEP_3)
	v_dual_fmac_f32 v125, v2, v130 :: v_dual_fmac_f32 v146, v4, v148
	v_mul_f32_e32 v122, v1, v122
	v_fmac_f32_e32 v144, v3, v157
	v_dual_fmac_f32 v142, v4, v158 :: v_dual_fmac_f32 v119, v3, v140
	v_dual_fmac_f32 v121, v3, v137 :: v_dual_mul_f32 v126, v1, v126
	s_delay_alu instid0(VALU_DEP_3) | instskip(NEXT) | instid1(VALU_DEP_3)
	v_dual_fmac_f32 v144, v4, v154 :: v_dual_fmac_f32 v125, v3, v132
	v_dual_fmac_f32 v122, v2, v134 :: v_dual_fmac_f32 v119, v4, v139
	s_delay_alu instid0(VALU_DEP_3) | instskip(NEXT) | instid1(VALU_DEP_2)
	v_dual_fmac_f32 v121, v4, v136 :: v_dual_fmac_f32 v126, v2, v127
	v_dual_mul_f32 v117, v1, v117 :: v_dual_fmac_f32 v122, v3, v135
	v_mul_f32_e32 v107, v1, v107
	s_delay_alu instid0(VALU_DEP_3) | instskip(NEXT) | instid1(VALU_DEP_3)
	v_dual_fmac_f32 v125, v4, v131 :: v_dual_fmac_f32 v126, v3, v129
	v_dual_fmac_f32 v117, v2, v116 :: v_dual_fmac_f32 v122, v4, v133
	s_delay_alu instid0(VALU_DEP_3) | instskip(SKIP_1) | instid1(VALU_DEP_4)
	v_fmac_f32_e32 v107, v2, v106
	v_fmac_f32_e32 v124, v2, v123
	v_fmac_f32_e32 v126, v4, v128
	s_delay_alu instid0(VALU_DEP_4) | instskip(NEXT) | instid1(VALU_DEP_4)
	v_dual_mul_f32 v112, v1, v112 :: v_dual_fmac_f32 v117, v3, v115
	v_fmac_f32_e32 v107, v3, v109
	s_delay_alu instid0(VALU_DEP_4) | instskip(NEXT) | instid1(VALU_DEP_3)
	v_fmac_f32_e32 v124, v3, v120
	v_dual_fmac_f32 v103, v3, v105 :: v_dual_fmac_f32 v112, v2, v111
	s_delay_alu instid0(VALU_DEP_4) | instskip(NEXT) | instid1(VALU_DEP_4)
	v_fmac_f32_e32 v117, v4, v114
	v_dual_fmac_f32 v107, v4, v108 :: v_dual_fmac_f32 v92, v2, v91
	s_delay_alu instid0(VALU_DEP_4) | instskip(NEXT) | instid1(VALU_DEP_4)
	v_dual_fmac_f32 v124, v4, v118 :: v_dual_mul_f32 v101, v1, v101
	v_dual_fmac_f32 v112, v3, v113 :: v_dual_fmac_f32 v103, v4, v104
	s_delay_alu instid0(VALU_DEP_3) | instskip(SKIP_1) | instid1(VALU_DEP_3)
	v_fmac_f32_e32 v92, v3, v93
	v_mul_f32_e32 v97, v1, v97
	v_dual_fmac_f32 v101, v2, v100 :: v_dual_fmac_f32 v112, v4, v110
	v_mul_f32_e32 v66, v1, v66
	s_delay_alu instid0(VALU_DEP_3) | instskip(NEXT) | instid1(VALU_DEP_3)
	v_dual_fmac_f32 v92, v4, v90 :: v_dual_fmac_f32 v97, v2, v96
	v_dual_fmac_f32 v101, v3, v99 :: v_dual_mul_f32 v46, v1, v46
	s_delay_alu instid0(VALU_DEP_3) | instskip(SKIP_1) | instid1(VALU_DEP_4)
	v_fmac_f32_e32 v66, v2, v65
	v_fmac_f32_e32 v15, v2, v12
	v_fmac_f32_e32 v97, v3, v95
	s_delay_alu instid0(VALU_DEP_4) | instskip(NEXT) | instid1(VALU_DEP_4)
	v_dual_fmac_f32 v101, v4, v98 :: v_dual_fmac_f32 v46, v2, v45
	v_fmac_f32_e32 v66, v3, v67
	v_mul_f32_e32 v83, v1, v83
	v_fmac_f32_e32 v17, v2, v16
	v_fmac_f32_e32 v21, v4, v22
	s_delay_alu instid0(VALU_DEP_4) | instskip(NEXT) | instid1(VALU_DEP_4)
	v_dual_fmac_f32 v15, v3, v14 :: v_dual_fmac_f32 v66, v4, v64
	v_dual_fmac_f32 v83, v2, v82 :: v_dual_fmac_f32 v46, v3, v47
	v_fmac_f32_e32 v87, v3, v89
	v_dual_fmac_f32 v17, v3, v19 :: v_dual_mul_f32 v26, v1, v26
	s_delay_alu instid0(VALU_DEP_3) | instskip(SKIP_2) | instid1(VALU_DEP_4)
	v_fmac_f32_e32 v83, v3, v85
	v_fmac_f32_e32 v97, v4, v94
	;; [unrolled: 1-line block ×3, first 2 shown]
	v_dual_fmac_f32 v17, v4, v18 :: v_dual_fmac_f32 v26, v2, v25
	v_fmac_f32_e32 v87, v4, v88
	v_dual_fmac_f32 v83, v4, v84 :: v_dual_mul_f32 v12, v1, v79
	s_delay_alu instid0(VALU_DEP_3) | instskip(SKIP_2) | instid1(VALU_DEP_4)
	v_dual_mul_f32 v73, v1, v73 :: v_dual_fmac_f32 v26, v3, v27
	v_mul_f32_e32 v77, v1, v77
	v_mul_f32_e32 v16, v1, v188
	v_dual_mul_f32 v57, v1, v57 :: v_dual_fmac_f32 v12, v2, v0
	s_delay_alu instid0(VALU_DEP_4) | instskip(NEXT) | instid1(VALU_DEP_4)
	v_dual_fmac_f32 v73, v2, v70 :: v_dual_fmac_f32 v26, v4, v24
	v_dual_fmac_f32 v77, v2, v76 :: v_dual_mul_f32 v0, v1, v191
	s_delay_alu instid0(VALU_DEP_4) | instskip(NEXT) | instid1(VALU_DEP_2)
	v_dual_mul_f32 v61, v1, v61 :: v_dual_fmac_f32 v16, v2, v187
	v_dual_mul_f32 v18, v1, v184 :: v_dual_fmac_f32 v77, v3, v75
	s_delay_alu instid0(VALU_DEP_3) | instskip(SKIP_1) | instid1(VALU_DEP_4)
	v_fmac_f32_e32 v0, v2, v190
	v_fmac_f32_e32 v57, v2, v56
	v_dual_fmac_f32 v61, v2, v60 :: v_dual_fmac_f32 v12, v3, v81
	s_delay_alu instid0(VALU_DEP_4) | instskip(NEXT) | instid1(VALU_DEP_4)
	v_dual_fmac_f32 v73, v3, v69 :: v_dual_fmac_f32 v18, v2, v183
	v_fmac_f32_e32 v0, v3, v78
	s_delay_alu instid0(VALU_DEP_4) | instskip(SKIP_2) | instid1(VALU_DEP_4)
	v_dual_fmac_f32 v57, v3, v59 :: v_dual_mul_f32 v20, v1, v169
	v_mul_f32_e32 v41, v1, v41
	v_dual_fmac_f32 v61, v3, v63 :: v_dual_fmac_f32 v12, v4, v80
	v_fmac_f32_e32 v0, v4, v164
	s_delay_alu instid0(VALU_DEP_4) | instskip(NEXT) | instid1(VALU_DEP_4)
	v_dual_fmac_f32 v57, v4, v58 :: v_dual_fmac_f32 v20, v2, v168
	v_dual_fmac_f32 v41, v2, v40 :: v_dual_mul_f32 v22, v1, v166
	v_mul_f32_e32 v37, v1, v37
	v_dual_fmac_f32 v77, v4, v74 :: v_dual_mul_f32 v14, v1, v177
	v_dual_mul_f32 v55, v1, v55 :: v_dual_fmac_f32 v18, v3, v182
	v_dual_fmac_f32 v73, v4, v68 :: v_dual_fmac_f32 v16, v3, v186
	s_delay_alu instid0(VALU_DEP_3) | instskip(NEXT) | instid1(VALU_DEP_3)
	v_dual_fmac_f32 v61, v4, v62 :: v_dual_fmac_f32 v14, v2, v176
	v_fmac_f32_e32 v55, v2, v54
	s_delay_alu instid0(VALU_DEP_4) | instskip(NEXT) | instid1(VALU_DEP_4)
	v_dual_mul_f32 v51, v1, v51 :: v_dual_fmac_f32 v18, v4, v181
	v_fmac_f32_e32 v16, v4, v185
	s_delay_alu instid0(VALU_DEP_4) | instskip(NEXT) | instid1(VALU_DEP_4)
	v_fmac_f32_e32 v14, v3, v175
	v_fmac_f32_e32 v55, v3, v53
	s_delay_alu instid0(VALU_DEP_4) | instskip(SKIP_1) | instid1(VALU_DEP_4)
	v_fmac_f32_e32 v51, v2, v50
	v_mul_f32_e32 v31, v1, v31
	v_dual_mul_f32 v19, v1, v173 :: v_dual_fmac_f32 v14, v4, v174
	v_fmac_f32_e32 v20, v3, v167
	s_clause 0x1
	scratch_load_b32 v24, off, off offset:876 th:TH_LOAD_LU
	scratch_load_b32 v25, off, off offset:812 th:TH_LOAD_LU
	v_fmac_f32_e32 v19, v2, v172
	s_clause 0x3
	scratch_load_b32 v27, off, off offset:748 th:TH_LOAD_LU
	scratch_load_b32 v58, off, off offset:1280 th:TH_LOAD_LU
	scratch_load_b32 v93, off, off offset:1264 th:TH_LOAD_LU
	scratch_load_b32 v50, off, off offset:1248 th:TH_LOAD_LU
	v_fmac_f32_e32 v19, v3, v171
	s_clause 0x3
	scratch_load_b32 v60, off, off offset:1288 th:TH_LOAD_LU
	scratch_load_b32 v56, off, off offset:1272 th:TH_LOAD_LU
	;; [unrolled: 6-line block ×3, first 2 shown]
	scratch_load_b32 v54, off, off offset:1216 th:TH_LOAD_LU
	scratch_load_b32 v88, off, off offset:1200 th:TH_LOAD_LU
	;; [unrolled: 1-line block ×26, first 2 shown]
	s_wait_loadcnt 0x26
	v_fmac_f32_e32 v22, v2, v23
	scratch_load_b32 v23, off, off offset:924 th:TH_LOAD_LU ; 4-byte Folded Reload
	v_fmac_f32_e32 v55, v4, v52
	v_fmac_f32_e32 v37, v2, v36
	s_clause 0x1
	scratch_load_b32 v36, off, off offset:300 th:TH_LOAD_LU
	scratch_load_b32 v52, off, off offset:1256 th:TH_LOAD_LU
	s_wait_loadcnt 0x24
	v_add_f32_e32 v93, v93, v19
	scratch_load_b32 v19, off, off offset:1332 th:TH_LOAD_LU ; 4-byte Folded Reload
	s_wait_loadcnt 0x24
	v_add_f32_e32 v50, v50, v16
	s_wait_loadcnt 0x1b
	v_add_f32_e32 v62, v62, v77
	scratch_load_b32 v77, off, off offset:1180 th:TH_LOAD_LU ; 4-byte Folded Reload
	s_wait_loadcnt 0x1a
	v_add_f32_e32 v64, v64, v92
	s_clause 0x1
	scratch_load_b32 v92, off, off offset:1236 th:TH_LOAD_LU
	scratch_load_b32 v47, off, off offset:24 th:TH_LOAD_LU
	s_wait_loadcnt 0x19
	v_add_f32_e32 v86, v86, v57
	scratch_load_b32 v57, off, off offset:1276 th:TH_LOAD_LU ; 4-byte Folded Reload
	s_wait_loadcnt 0x19
	v_add_f32_e32 v63, v63, v83
	s_wait_loadcnt 0x16
	v_add_f32_e32 v89, v89, v46
	;; [unrolled: 2-line block ×3, first 2 shown]
	s_clause 0x1
	scratch_load_b32 v87, off, off offset:1196 th:TH_LOAD_LU
	scratch_load_b32 v46, off, off offset:1220 th:TH_LOAD_LU
	s_wait_loadcnt 0x12
	v_dual_add_f32 v68, v68, v101 :: v_dual_add_f32 v81, v81, v119
	s_wait_loadcnt 0x9
	v_dual_add_f32 v85, v85, v126 :: v_dual_fmac_f32 v22, v3, v23
	scratch_load_b32 v23, off, off offset:956 th:TH_LOAD_LU ; 4-byte Folded Reload
	v_fmac_f32_e32 v51, v3, v49
	scratch_load_b32 v49, off, off offset:1244 th:TH_LOAD_LU ; 4-byte Folded Reload
	s_wait_loadcnt 0x7
	v_add_f32_e32 v77, v77, v73
	scratch_load_b32 v73, off, off offset:1184 th:TH_LOAD_LU ; 4-byte Folded Reload
	s_wait_loadcnt 0x2
	v_fmac_f32_e32 v20, v4, v23
	scratch_load_b32 v23, off, off offset:908 th:TH_LOAD_LU ; 4-byte Folded Reload
	v_fmac_f32_e32 v31, v2, v30
	scratch_load_b32 v30, off, off offset:556 th:TH_LOAD_LU ; 4-byte Folded Reload
	v_dual_add_f32 v67, v67, v97 :: v_dual_add_f32 v94, v94, v20
	scratch_load_b32 v20, off, off offset:1336 th:TH_LOAD_LU ; 4-byte Folded Reload
	s_wait_loadcnt 0x2
	v_dual_add_f32 v49, v49, v0 :: v_dual_fmac_f32 v22, v4, v23
	scratch_load_b32 v23, off, off offset:892 th:TH_LOAD_LU ; 4-byte Folded Reload
	v_fmac_f32_e32 v31, v3, v29
	scratch_load_b32 v29, off, off offset:620 th:TH_LOAD_LU ; 4-byte Folded Reload
	v_add_f32_e32 v56, v56, v22
	scratch_load_b32 v22, off, off offset:1344 th:TH_LOAD_LU ; 4-byte Folded Reload
	v_fmac_f32_e32 v31, v4, v28
	scratch_load_b32 v28, off, off offset:684 th:TH_LOAD_LU ; 4-byte Folded Reload
	v_add_f32_e32 v72, v72, v103
	s_wait_loadcnt 0x3
	v_mul_f32_e32 v23, v1, v23
	s_delay_alu instid0(VALU_DEP_1)
	v_fmac_f32_e32 v23, v2, v24
	scratch_load_b32 v24, off, off offset:828 th:TH_LOAD_LU ; 4-byte Folded Reload
	v_fmac_f32_e32 v41, v3, v43
	scratch_load_b32 v43, off, off offset:72 th:TH_LOAD_LU ; 4-byte Folded Reload
	s_wait_loadcnt 0x1
	v_dual_mul_f32 v24, v1, v24 :: v_dual_fmac_f32 v37, v3, v39
	scratch_load_b32 v39, off, off offset:172 th:TH_LOAD_LU ; 4-byte Folded Reload
	v_fmac_f32_e32 v24, v2, v25
	scratch_load_b32 v25, off, off offset:764 th:TH_LOAD_LU ; 4-byte Folded Reload
	s_wait_loadcnt 0x0
	v_mul_f32_e32 v25, v1, v25
	s_delay_alu instid0(VALU_DEP_1) | instskip(SKIP_3) | instid1(VALU_DEP_1)
	v_fmac_f32_e32 v25, v2, v27
	scratch_load_b32 v27, off, off offset:700 th:TH_LOAD_LU ; 4-byte Folded Reload
	s_wait_loadcnt 0x0
	v_mul_f32_e32 v27, v1, v27
	v_fmac_f32_e32 v27, v2, v28
	scratch_load_b32 v28, off, off offset:636 th:TH_LOAD_LU ; 4-byte Folded Reload
	v_fmac_f32_e32 v41, v4, v42
	scratch_load_b32 v42, off, off offset:88 th:TH_LOAD_LU ; 4-byte Folded Reload
	s_wait_loadcnt 0x1
	v_mul_f32_e32 v28, v1, v28
	v_dual_fmac_f32 v51, v4, v48 :: v_dual_add_f32 v90, v90, v41
	s_clause 0x1
	scratch_load_b32 v41, off, off offset:1212 th:TH_LOAD_LU
	scratch_load_b32 v48, off, off offset:8 th:TH_LOAD_LU
	v_fmac_f32_e32 v28, v2, v29
	scratch_load_b32 v29, off, off offset:860 th:TH_LOAD_LU ; 4-byte Folded Reload
	v_add_f32_e32 v88, v88, v51
	s_clause 0x1
	scratch_load_b32 v51, off, off offset:1252 th:TH_LOAD_LU
	scratch_load_b32 v45, off, off offset:40 th:TH_LOAD_LU
	v_add_f32_e32 v79, v79, v144
	v_add_f32_e32 v75, v75, v125
	s_wait_loadcnt 0x2
	v_fmac_f32_e32 v23, v3, v29
	scratch_load_b32 v29, off, off offset:796 th:TH_LOAD_LU ; 4-byte Folded Reload
	v_fmac_f32_e32 v37, v4, v38
	scratch_load_b32 v38, off, off offset:236 th:TH_LOAD_LU ; 4-byte Folded Reload
	s_wait_loadcnt 0x3
	v_add_f32_e32 v51, v51, v18
	s_wait_loadcnt 0x1
	v_fmac_f32_e32 v24, v3, v29
	scratch_load_b32 v29, off, off offset:732 th:TH_LOAD_LU ; 4-byte Folded Reload
	v_add_f32_e32 v41, v41, v37
	scratch_load_b32 v37, off, off offset:1224 th:TH_LOAD_LU ; 4-byte Folded Reload
	s_wait_loadcnt 0x1
	v_dual_add_f32 v80, v80, v146 :: v_dual_fmac_f32 v25, v3, v29
	scratch_load_b32 v29, off, off offset:668 th:TH_LOAD_LU ; 4-byte Folded Reload
	s_wait_loadcnt 0x1
	v_add_f32_e32 v37, v37, v26
	s_clause 0x1
	scratch_load_b32 v26, off, off offset:1304 th:TH_LOAD_LU
	scratch_load_b32 v83, off, off offset:972 th:TH_LOAD_LU
	v_add_f32_e32 v73, v73, v66
	scratch_load_b32 v66, off, off offset:1188 th:TH_LOAD_LU ; 4-byte Folded Reload
	s_wait_loadcnt 0x3
	v_fmac_f32_e32 v27, v3, v29
	scratch_load_b32 v29, off, off offset:604 th:TH_LOAD_LU ; 4-byte Folded Reload
	s_wait_loadcnt 0x0
	v_dual_mul_f32 v35, v1, v35 :: v_dual_fmac_f32 v28, v3, v29
	scratch_load_b32 v29, off, off offset:844 th:TH_LOAD_LU ; 4-byte Folded Reload
	s_wait_loadcnt 0x0
	v_fmac_f32_e32 v23, v4, v29
	scratch_load_b32 v29, off, off offset:780 th:TH_LOAD_LU ; 4-byte Folded Reload
	v_fmac_f32_e32 v35, v2, v34
	scratch_load_b32 v34, off, off offset:364 th:TH_LOAD_LU ; 4-byte Folded Reload
	s_wait_loadcnt 0x1
	v_fmac_f32_e32 v24, v4, v29
	scratch_load_b32 v29, off, off offset:716 th:TH_LOAD_LU ; 4-byte Folded Reload
	v_fmac_f32_e32 v35, v3, v33
	scratch_load_b32 v33, off, off offset:428 th:TH_LOAD_LU ; 4-byte Folded Reload
	v_dual_add_f32 v53, v53, v14 :: v_dual_add_f32 v58, v58, v24
	scratch_load_b32 v24, off, off offset:1296 th:TH_LOAD_LU ; 4-byte Folded Reload
	v_fmac_f32_e32 v35, v4, v32
	scratch_load_b32 v32, off, off offset:492 th:TH_LOAD_LU ; 4-byte Folded Reload
	s_wait_loadcnt 0x3
	v_fmac_f32_e32 v25, v4, v29
	scratch_load_b32 v29, off, off offset:652 th:TH_LOAD_LU ; 4-byte Folded Reload
	s_wait_loadcnt 0x0
	v_fmac_f32_e32 v27, v4, v29
	scratch_load_b32 v29, off, off offset:588 th:TH_LOAD_LU ; 4-byte Folded Reload
	v_add_f32_e32 v60, v60, v27
	s_clause 0x1
	scratch_load_b32 v27, off, off offset:1308 th:TH_LOAD_LU
	scratch_load_b32 v44, off, off offset:56 th:TH_LOAD_LU
	v_add_f32_e32 v70, v70, v117
	s_wait_loadcnt 0x2
	v_fmac_f32_e32 v28, v4, v29
	scratch_load_b32 v29, off, off offset:572 th:TH_LOAD_LU ; 4-byte Folded Reload
	s_wait_loadcnt 0x0
	v_mul_f32_e32 v29, v1, v29
	s_delay_alu instid0(VALU_DEP_1) | instskip(SKIP_3) | instid1(VALU_DEP_1)
	v_fmac_f32_e32 v29, v2, v30
	scratch_load_b32 v30, off, off offset:508 th:TH_LOAD_LU ; 4-byte Folded Reload
	s_wait_loadcnt 0x0
	v_mul_f32_e32 v30, v1, v30
	v_fmac_f32_e32 v30, v2, v32
	scratch_load_b32 v32, off, off offset:444 th:TH_LOAD_LU ; 4-byte Folded Reload
	s_wait_loadcnt 0x0
	v_mul_f32_e32 v32, v1, v32
	s_delay_alu instid0(VALU_DEP_1) | instskip(SKIP_3) | instid1(VALU_DEP_1)
	v_fmac_f32_e32 v32, v2, v33
	scratch_load_b32 v33, off, off offset:380 th:TH_LOAD_LU ; 4-byte Folded Reload
	s_wait_loadcnt 0x0
	v_mul_f32_e32 v33, v1, v33
	v_fmac_f32_e32 v33, v2, v34
	scratch_load_b32 v34, off, off offset:316 th:TH_LOAD_LU ; 4-byte Folded Reload
	s_wait_loadcnt 0x0
	v_mul_f32_e32 v34, v1, v34
	s_delay_alu instid0(VALU_DEP_1)
	v_fmac_f32_e32 v34, v2, v36
	scratch_load_b32 v36, off, off offset:540 th:TH_LOAD_LU ; 4-byte Folded Reload
	s_wait_loadcnt 0x0
	v_fmac_f32_e32 v29, v3, v36
	scratch_load_b32 v36, off, off offset:476 th:TH_LOAD_LU ; 4-byte Folded Reload
	s_wait_loadcnt 0x0
	;; [unrolled: 3-line block ×3, first 2 shown]
	v_fmac_f32_e32 v32, v3, v36
	scratch_load_b32 v36, off, off offset:348 th:TH_LOAD_LU ; 4-byte Folded Reload
	v_add_f32_e32 v91, v91, v17
	s_wait_loadcnt 0x0
	v_fmac_f32_e32 v33, v3, v36
	scratch_load_b32 v36, off, off offset:284 th:TH_LOAD_LU ; 4-byte Folded Reload
	s_wait_loadcnt 0x0
	v_fmac_f32_e32 v34, v3, v36
	scratch_load_b32 v36, off, off offset:524 th:TH_LOAD_LU ; 4-byte Folded Reload
	;; [unrolled: 3-line block ×3, first 2 shown]
	v_dual_add_f32 v71, v71, v107 :: v_dual_add_f32 v24, v24, v29
	scratch_load_b32 v29, off, off offset:1316 th:TH_LOAD_LU ; 4-byte Folded Reload
	v_add_f32_e32 v69, v69, v112
	s_wait_loadcnt 0x1
	v_fmac_f32_e32 v30, v4, v36
	scratch_load_b32 v36, off, off offset:396 th:TH_LOAD_LU ; 4-byte Folded Reload
	s_wait_loadcnt 0x0
	v_fmac_f32_e32 v32, v4, v36
	scratch_load_b32 v36, off, off offset:332 th:TH_LOAD_LU ; 4-byte Folded Reload
	v_add_f32_e32 v26, v26, v32
	scratch_load_b32 v32, off, off offset:1328 th:TH_LOAD_LU ; 4-byte Folded Reload
	v_add_f32_e32 v87, v87, v55
	scratch_load_b32 v55, off, off offset:1228 th:TH_LOAD_LU ; 4-byte Folded Reload
	s_wait_loadcnt 0x2
	v_dual_add_f32 v82, v82, v142 :: v_dual_fmac_f32 v33, v4, v36
	scratch_load_b32 v36, off, off offset:268 th:TH_LOAD_LU ; 4-byte Folded Reload
	s_wait_loadcnt 0x0
	v_fmac_f32_e32 v34, v4, v36
	scratch_load_b32 v36, off, off offset:252 th:TH_LOAD_LU ; 4-byte Folded Reload
	s_wait_loadcnt 0x0
	v_dual_fmac_f32 v15, v4, v13 :: v_dual_mul_f32 v36, v1, v36
	s_delay_alu instid0(VALU_DEP_1) | instskip(NEXT) | instid1(VALU_DEP_2)
	v_add_f32_e32 v92, v92, v15
	v_fmac_f32_e32 v36, v2, v38
	scratch_load_b32 v38, off, off offset:188 th:TH_LOAD_LU ; 4-byte Folded Reload
	v_dual_add_f32 v54, v54, v35 :: v_dual_add_f32 v59, v59, v25
	scratch_load_b32 v25, off, off offset:1300 th:TH_LOAD_LU ; 4-byte Folded Reload
	v_dual_add_f32 v74, v74, v124 :: v_dual_add_f32 v57, v57, v23
	scratch_load_b32 v23, off, off offset:1348 th:TH_LOAD_LU ; 4-byte Folded Reload
	v_add_f32_e32 v55, v55, v21
	scratch_load_b32 v21, off, off offset:1340 th:TH_LOAD_LU ; 4-byte Folded Reload
	v_add_f32_e32 v78, v78, v145
	v_add_f32_e32 v84, v84, v121
	s_wait_loadcnt 0x3
	v_mul_f32_e32 v38, v1, v38
	v_dual_mul_f32 v13, v1, v180 :: v_dual_add_f32 v46, v46, v31
	s_wait_loadcnt 0x2
	v_add_f32_e32 v25, v25, v30
	scratch_load_b32 v30, off, off offset:1320 th:TH_LOAD_LU ; 4-byte Folded Reload
	v_fmac_f32_e32 v38, v2, v39
	scratch_load_b32 v39, off, off offset:124 th:TH_LOAD_LU ; 4-byte Folded Reload
	v_add_f32_e32 v66, v66, v61
	s_clause 0x1
	scratch_load_b32 v61, off, off offset:1292 th:TH_LOAD_LU
	scratch_load_b32 v31, off, off offset:1324 th:TH_LOAD_LU
	v_add_f32_e32 v27, v27, v33
	s_wait_loadcnt 0x2
	v_mul_f32_e32 v39, v1, v39
	s_wait_loadcnt 0x1
	v_add_f32_e32 v61, v61, v28
	scratch_load_b32 v28, off, off offset:1312 th:TH_LOAD_LU ; 4-byte Folded Reload
	v_fmac_f32_e32 v39, v2, v40
	scratch_load_b32 v40, off, off offset:92 th:TH_LOAD_LU ; 4-byte Folded Reload
	s_wait_loadcnt 0x1
	v_dual_fmac_f32 v13, v2, v179 :: v_dual_add_f32 v28, v28, v34
	s_wait_loadcnt 0x0
	v_mul_f32_e32 v40, v1, v40
	s_delay_alu instid0(VALU_DEP_1) | instskip(SKIP_3) | instid1(VALU_DEP_1)
	v_fmac_f32_e32 v40, v2, v42
	scratch_load_b32 v42, off, off offset:76 th:TH_LOAD_LU ; 4-byte Folded Reload
	s_wait_loadcnt 0x0
	v_mul_f32_e32 v42, v1, v42
	v_dual_fmac_f32 v13, v3, v178 :: v_dual_fmac_f32 v42, v2, v43
	scratch_load_b32 v43, off, off offset:220 th:TH_LOAD_LU ; 4-byte Folded Reload
	s_wait_loadcnt 0x0
	v_fmac_f32_e32 v36, v3, v43
	scratch_load_b32 v43, off, off offset:156 th:TH_LOAD_LU ; 4-byte Folded Reload
	s_wait_loadcnt 0x0
	v_dual_fmac_f32 v13, v4, v189 :: v_dual_fmac_f32 v38, v3, v43
	scratch_load_b32 v43, off, off offset:100 th:TH_LOAD_LU ; 4-byte Folded Reload
	s_wait_loadcnt 0x0
	v_dual_add_f32 v52, v52, v13 :: v_dual_fmac_f32 v39, v3, v43
	scratch_load_b32 v43, off, off offset:84 th:TH_LOAD_LU ; 4-byte Folded Reload
	s_wait_loadcnt 0x0
	v_fmac_f32_e32 v40, v3, v43
	scratch_load_b32 v43, off, off offset:68 th:TH_LOAD_LU ; 4-byte Folded Reload
	s_wait_loadcnt 0x0
	v_fmac_f32_e32 v42, v3, v43
	;; [unrolled: 3-line block ×3, first 2 shown]
	scratch_load_b32 v43, off, off offset:140 th:TH_LOAD_LU ; 4-byte Folded Reload
	s_wait_loadcnt 0x0
	v_dual_add_f32 v29, v29, v36 :: v_dual_fmac_f32 v38, v4, v43
	scratch_load_b32 v43, off, off offset:96 th:TH_LOAD_LU ; 4-byte Folded Reload
	s_wait_loadcnt 0x0
	v_dual_add_f32 v30, v30, v38 :: v_dual_fmac_f32 v39, v4, v43
	scratch_load_b32 v43, off, off offset:80 th:TH_LOAD_LU ; 4-byte Folded Reload
	v_add_f32_e32 v31, v31, v39
	s_wait_loadcnt 0x0
	v_fmac_f32_e32 v40, v4, v43
	scratch_load_b32 v43, off, off offset:64 th:TH_LOAD_LU ; 4-byte Folded Reload
	v_add_f32_e32 v32, v32, v40
	s_wait_loadcnt 0x0
	v_fmac_f32_e32 v42, v4, v43
	scratch_load_b32 v43, off, off offset:60 th:TH_LOAD_LU ; 4-byte Folded Reload
	v_add_f32_e32 v19, v19, v42
	s_wait_loadcnt 0x0
	v_mul_f32_e32 v43, v1, v43
	s_delay_alu instid0(VALU_DEP_1) | instskip(SKIP_3) | instid1(VALU_DEP_1)
	v_fmac_f32_e32 v43, v2, v44
	scratch_load_b32 v44, off, off offset:44 th:TH_LOAD_LU ; 4-byte Folded Reload
	s_wait_loadcnt 0x0
	v_mul_f32_e32 v44, v1, v44
	v_fmac_f32_e32 v44, v2, v45
	scratch_load_b32 v45, off, off offset:28 th:TH_LOAD_LU ; 4-byte Folded Reload
	s_wait_loadcnt 0x0
	v_mul_f32_e32 v45, v1, v45
	s_delay_alu instid0(VALU_DEP_1) | instskip(SKIP_4) | instid1(VALU_DEP_2)
	v_fmac_f32_e32 v45, v2, v47
	scratch_load_b32 v47, off, off offset:12 th:TH_LOAD_LU ; 4-byte Folded Reload
	s_wait_loadcnt 0x0
	v_mul_f32_e32 v47, v1, v47
	v_mul_f32_e32 v1, v1, v8
	v_fmac_f32_e32 v47, v2, v48
	s_delay_alu instid0(VALU_DEP_2)
	v_fmac_f32_e32 v1, v2, v7
	s_clause 0x1
	scratch_load_b32 v2, off, off offset:52 th:TH_LOAD_LU
	scratch_load_b32 v48, off, off offset:1240 th:TH_LOAD_LU
	v_add_f32_e32 v76, v76, v122
	v_fmac_f32_e32 v1, v3, v6
	s_delay_alu instid0(VALU_DEP_1) | instskip(NEXT) | instid1(VALU_DEP_1)
	v_fmac_f32_e32 v1, v4, v5
	v_add_f32_e32 v83, v83, v1
	s_wait_loadcnt 0x1
	v_fmac_f32_e32 v43, v3, v2
	scratch_load_b32 v2, off, off offset:36 th:TH_LOAD_LU ; 4-byte Folded Reload
	s_wait_loadcnt 0x1
	v_add_f32_e32 v48, v48, v12
	s_wait_loadcnt 0x0
	v_fmac_f32_e32 v44, v3, v2
	scratch_load_b32 v2, off, off offset:20 th:TH_LOAD_LU ; 4-byte Folded Reload
	s_wait_loadcnt 0x0
	v_fmac_f32_e32 v45, v3, v2
	scratch_load_b32 v2, off, off offset:4 th:TH_LOAD_LU ; 4-byte Folded Reload
	;; [unrolled: 3-line block ×4, first 2 shown]
	v_add_f32_e32 v20, v20, v43
	s_wait_loadcnt 0x0
	v_fmac_f32_e32 v44, v4, v2
	scratch_load_b32 v2, off, off offset:16 th:TH_LOAD_LU ; 4-byte Folded Reload
	v_add_f32_e32 v21, v21, v44
	s_wait_loadcnt 0x0
	v_fmac_f32_e32 v45, v4, v2
	scratch_load_b32 v2, off, off th:TH_LOAD_LU ; 4-byte Folded Reload
	s_wait_loadcnt 0x0
	v_dual_add_f32 v22, v22, v45 :: v_dual_fmac_f32 v47, v4, v2
	s_delay_alu instid0(VALU_DEP_1)
	v_add_f32_e32 v23, v23, v47
.LBB233_37:                             ;   in Loop: Header=BB233_38 Depth=1
	s_wait_alu 0xfffe
	s_or_b32 exec_lo, exec_lo, s22
	v_mov_b32_e32 v0, v165
	s_delay_alu instid0(VALU_DEP_1) | instskip(NEXT) | instid1(VALU_DEP_1)
	v_add_nc_u32_e32 v0, 4, v0
	v_cmp_le_i32_e32 vcc_lo, s36, v0
	s_or_b32 s19, vcc_lo, s19
	s_wait_alu 0xfffe
	s_and_not1_b32 exec_lo, exec_lo, s19
	s_cbranch_execz .LBB233_167
.LBB233_38:                             ; =>This Inner Loop Header: Depth=1
	s_wait_loadcnt 0x0
	v_dual_mov_b32 v165, v0 :: v_dual_lshlrev_b32 v0, 5, v0
	s_delay_alu instid0(VALU_DEP_1) | instskip(NEXT) | instid1(VALU_DEP_1)
	v_sub_nc_u32_e32 v1, 0, v0
	v_max_i32_e32 v1, v0, v1
	s_delay_alu instid0(VALU_DEP_1) | instskip(NEXT) | instid1(VALU_DEP_1)
	v_mul_hi_u32 v2, v1, s24
	v_mul_lo_u32 v3, v2, s20
	s_delay_alu instid0(VALU_DEP_1) | instskip(SKIP_1) | instid1(VALU_DEP_2)
	v_sub_nc_u32_e32 v1, v1, v3
	v_add_nc_u32_e32 v3, 1, v2
	v_subrev_nc_u32_e32 v4, s20, v1
	v_cmp_le_u32_e32 vcc_lo, s20, v1
	s_wait_alu 0xfffd
	s_delay_alu instid0(VALU_DEP_2) | instskip(SKIP_1) | instid1(VALU_DEP_2)
	v_dual_cndmask_b32 v2, v2, v3 :: v_dual_cndmask_b32 v1, v1, v4
	v_ashrrev_i32_e32 v3, 31, v0
	v_add_nc_u32_e32 v4, 1, v2
	s_delay_alu instid0(VALU_DEP_3) | instskip(NEXT) | instid1(VALU_DEP_3)
	v_cmp_le_u32_e32 vcc_lo, s20, v1
	v_xor_b32_e32 v3, s25, v3
	s_wait_alu 0xfffd
	s_delay_alu instid0(VALU_DEP_3) | instskip(NEXT) | instid1(VALU_DEP_1)
	v_cndmask_b32_e32 v1, v2, v4, vcc_lo
	v_xor_b32_e32 v1, v1, v3
	s_delay_alu instid0(VALU_DEP_1) | instskip(NEXT) | instid1(VALU_DEP_1)
	v_sub_nc_u32_e32 v1, v1, v3
	v_add_nc_u32_e32 v2, s35, v1
	v_cmp_lt_i32_e64 s0, s5, v1
	s_delay_alu instid0(VALU_DEP_2) | instskip(NEXT) | instid1(VALU_DEP_1)
	v_sub_nc_u32_e32 v3, 0, v2
	v_max_i32_e32 v3, v2, v3
	s_wait_alu 0xfffe
	s_delay_alu instid0(VALU_DEP_1) | instskip(NEXT) | instid1(VALU_DEP_1)
	v_mul_hi_u32 v4, v3, s21
	v_mul_lo_u32 v4, v4, s3
	s_delay_alu instid0(VALU_DEP_1) | instskip(NEXT) | instid1(VALU_DEP_1)
	v_sub_nc_u32_e32 v3, v3, v4
	v_subrev_nc_u32_e32 v4, s3, v3
	v_cmp_le_u32_e32 vcc_lo, s3, v3
	s_wait_alu 0xfffd
	s_delay_alu instid0(VALU_DEP_2) | instskip(SKIP_1) | instid1(VALU_DEP_2)
	v_cndmask_b32_e32 v3, v3, v4, vcc_lo
	v_ashrrev_i32_e32 v2, 31, v2
	v_subrev_nc_u32_e32 v4, s3, v3
	v_cmp_le_u32_e32 vcc_lo, s3, v3
	s_wait_alu 0xfffd
	s_delay_alu instid0(VALU_DEP_2) | instskip(NEXT) | instid1(VALU_DEP_1)
	v_cndmask_b32_e32 v3, v3, v4, vcc_lo
	v_xor_b32_e32 v3, v3, v2
	s_delay_alu instid0(VALU_DEP_1) | instskip(NEXT) | instid1(VALU_DEP_1)
	v_sub_nc_u32_e32 v2, v3, v2
	v_cmp_eq_u32_e32 vcc_lo, 0, v2
	s_or_b32 s0, vcc_lo, s0
	s_wait_alu 0xfffe
	s_and_saveexec_b32 s22, s0
	s_cbranch_execz .LBB233_37
; %bb.39:                               ;   in Loop: Header=BB233_38 Depth=1
	v_mov_b32_e32 v15, v165
	s_clause 0x1f
	scratch_store_b32 off, v23, off offset:1348
	scratch_store_b32 off, v22, off offset:1344
	;; [unrolled: 1-line block ×32, first 2 shown]
	s_clause 0x1f
	scratch_store_b32 off, v46, off offset:1220
	scratch_store_b32 off, v54, off offset:1216
	scratch_store_b32 off, v41, off offset:1212
	scratch_store_b32 off, v90, off offset:1208
	scratch_store_b32 off, v89, off offset:1204
	scratch_store_b32 off, v88, off offset:1200
	scratch_store_b32 off, v87, off offset:1196
	scratch_store_b32 off, v86, off offset:1192
	scratch_store_b32 off, v66, off offset:1188
	scratch_store_b32 off, v73, off offset:1184
	scratch_store_b32 off, v77, off offset:1180
	scratch_store_b32 off, v62, off offset:1176
	scratch_store_b32 off, v63, off offset:1172
	scratch_store_b32 off, v65, off offset:1168
	scratch_store_b32 off, v64, off offset:1164
	scratch_store_b32 off, v67, off offset:1160
	scratch_store_b32 off, v68, off offset:1156
	scratch_store_b32 off, v72, off offset:1152
	scratch_store_b32 off, v71, off offset:1148
	scratch_store_b32 off, v69, off offset:1144
	scratch_store_b32 off, v70, off offset:1136
	scratch_store_b32 off, v74, off offset:1132
	scratch_store_b32 off, v85, off offset:1116
	scratch_store_b32 off, v75, off offset:1100
	scratch_store_b32 off, v76, off offset:1084
	scratch_store_b32 off, v84, off offset:1068
	scratch_store_b32 off, v81, off offset:1052
	scratch_store_b32 off, v80, off offset:1036
	scratch_store_b32 off, v78, off offset:1020
	scratch_store_b32 off, v79, off offset:1004
	scratch_store_b32 off, v82, off offset:988
	scratch_store_b32 off, v83, off offset:972
	v_ashrrev_i32_e32 v16, 31, v15
	s_delay_alu instid0(VALU_DEP_1) | instskip(NEXT) | instid1(VALU_DEP_1)
	v_lshlrev_b64_e32 v[1:2], 2, v[15:16]
	v_add_co_u32 v1, vcc_lo, s12, v1
	s_wait_alu 0xfffd
	s_delay_alu instid0(VALU_DEP_2)
	v_add_co_ci_u32_e64 v2, null, s13, v2, vcc_lo
	global_load_b32 v1, v[1:2], off
	s_wait_loadcnt 0x0
	v_mad_co_i64_i32 v[5:6], null, v1, s16, s[14:15]
	scratch_load_b32 v1, off, off offset:1364 ; 4-byte Folded Reload
	s_wait_loadcnt 0x0
	v_add_co_u32 v7, vcc_lo, v5, v1
	s_wait_alu 0xfffd
	v_add_co_ci_u32_e64 v8, null, 0, v6, vcc_lo
	global_load_b32 v12, v[7:8], off
	scratch_load_b32 v1, off, off offset:1360 ; 4-byte Folded Reload
	s_load_b32 s23, s[10:11], 0x0
	s_wait_loadcnt 0x1
	v_lshrrev_b32_e32 v14, 16, v12
	s_wait_loadcnt 0x0
	v_or_b32_e32 v142, v0, v1
	s_delay_alu instid0(VALU_DEP_1)
	v_lshl_add_u32 v0, v142, 2, s18
	v_or_b32_e32 v145, 1, v142
	v_or_b32_e32 v144, 2, v142
	;; [unrolled: 1-line block ×3, first 2 shown]
	ds_load_b128 v[1:4], v0
	v_and_b32_e32 v0, 0xffff, v12
	v_cmp_eq_u32_e32 vcc_lo, s17, v15
	v_cvt_pk_f32_fp8_e32 v[14:15], v14
	s_delay_alu instid0(VALU_DEP_3) | instskip(SKIP_1) | instid1(VALU_DEP_1)
	v_cvt_pk_f32_fp8_e32 v[12:13], v0
	s_wait_kmcnt 0x0
	v_mul_f32_e32 v0, s23, v12
	scratch_store_b32 off, v0, off offset:12 ; 4-byte Folded Spill
	v_mul_f32_e32 v0, s23, v13
	scratch_store_b32 off, v0, off offset:8 ; 4-byte Folded Spill
	;; [unrolled: 2-line block ×3, first 2 shown]
	v_mul_f32_e32 v0, s23, v15
	scratch_store_b32 off, v0, off          ; 4-byte Folded Spill
	s_and_saveexec_b32 s26, vcc_lo
	s_cbranch_execz .LBB233_41
; %bb.40:                               ;   in Loop: Header=BB233_38 Depth=1
	scratch_load_b32 v0, off, off offset:12 ; 4-byte Folded Reload
	v_cmp_gt_i32_e64 s0, s34, v142
	s_wait_loadcnt 0x0
	s_wait_alu 0xf1ff
	s_delay_alu instid0(VALU_DEP_1)
	v_cndmask_b32_e64 v0, 0, v0, s0
	v_cmp_gt_i32_e64 s0, s34, v145
	scratch_store_b32 off, v0, off offset:12 ; 4-byte Folded Spill
	scratch_load_b32 v0, off, off offset:8  ; 4-byte Folded Reload
	s_wait_loadcnt 0x0
	s_wait_alu 0xf1ff
	v_cndmask_b32_e64 v0, 0, v0, s0
	v_cmp_gt_i32_e64 s0, s34, v144
	scratch_store_b32 off, v0, off offset:8 ; 4-byte Folded Spill
	scratch_load_b32 v0, off, off offset:4  ; 4-byte Folded Reload
	s_wait_loadcnt 0x0
	s_wait_alu 0xf1ff
	v_cndmask_b32_e64 v0, 0, v0, s0
	v_cmp_gt_i32_e64 s0, s34, v146
	scratch_store_b32 off, v0, off offset:4 ; 4-byte Folded Spill
	scratch_load_b32 v0, off, off           ; 4-byte Folded Reload
	s_wait_loadcnt 0x0
	s_wait_alu 0xf1ff
	v_cndmask_b32_e64 v0, 0, v0, s0
	scratch_store_b32 off, v0, off          ; 4-byte Folded Spill
.LBB233_41:                             ;   in Loop: Header=BB233_38 Depth=1
	s_wait_alu 0xfffe
	s_or_b32 exec_lo, exec_lo, s26
	global_load_b32 v0, v[7:8], off offset:128
	s_mov_b32 s26, s23
	s_wait_loadcnt 0x0
	v_and_b32_e32 v12, 0xffff, v0
	v_lshrrev_b32_e32 v0, 16, v0
	s_delay_alu instid0(VALU_DEP_2) | instskip(NEXT) | instid1(VALU_DEP_2)
	v_cvt_pk_f32_fp8_e32 v[12:13], v12
	v_cvt_pk_f32_fp8_e32 v[14:15], v0
	s_delay_alu instid0(VALU_DEP_2)
	v_mul_f32_e32 v0, s23, v12
	scratch_store_b32 off, v0, off offset:28 ; 4-byte Folded Spill
	s_wait_alu 0xfffe
	v_mul_f32_e32 v0, s26, v13
	scratch_store_b32 off, v0, off offset:24 ; 4-byte Folded Spill
	v_mul_f32_e32 v0, s23, v14
	scratch_store_b32 off, v0, off offset:20 ; 4-byte Folded Spill
	v_mul_f32_e32 v0, s26, v15
	scratch_store_b32 off, v0, off offset:16 ; 4-byte Folded Spill
	s_and_saveexec_b32 s27, vcc_lo
	s_cbranch_execz .LBB233_43
; %bb.42:                               ;   in Loop: Header=BB233_38 Depth=1
	scratch_load_b32 v0, off, off offset:28 ; 4-byte Folded Reload
	v_cmp_gt_i32_e64 s0, s34, v142
	s_wait_loadcnt 0x0
	s_wait_alu 0xf1ff
	s_delay_alu instid0(VALU_DEP_1)
	v_cndmask_b32_e64 v0, 0, v0, s0
	v_cmp_gt_i32_e64 s0, s34, v145
	scratch_store_b32 off, v0, off offset:28 ; 4-byte Folded Spill
	scratch_load_b32 v0, off, off offset:24 ; 4-byte Folded Reload
	s_wait_loadcnt 0x0
	s_wait_alu 0xf1ff
	v_cndmask_b32_e64 v0, 0, v0, s0
	v_cmp_gt_i32_e64 s0, s34, v144
	scratch_store_b32 off, v0, off offset:24 ; 4-byte Folded Spill
	scratch_load_b32 v0, off, off offset:20 ; 4-byte Folded Reload
	s_wait_loadcnt 0x0
	s_wait_alu 0xf1ff
	v_cndmask_b32_e64 v0, 0, v0, s0
	v_cmp_gt_i32_e64 s0, s34, v146
	scratch_store_b32 off, v0, off offset:20 ; 4-byte Folded Spill
	scratch_load_b32 v0, off, off offset:16 ; 4-byte Folded Reload
	s_wait_loadcnt 0x0
	s_wait_alu 0xf1ff
	v_cndmask_b32_e64 v0, 0, v0, s0
	scratch_store_b32 off, v0, off offset:16 ; 4-byte Folded Spill
.LBB233_43:                             ;   in Loop: Header=BB233_38 Depth=1
	s_wait_alu 0xfffe
	s_or_b32 exec_lo, exec_lo, s27
	global_load_b32 v0, v[7:8], off offset:256
	s_wait_loadcnt 0x0
	v_and_b32_e32 v12, 0xffff, v0
	v_lshrrev_b32_e32 v0, 16, v0
	s_delay_alu instid0(VALU_DEP_2) | instskip(NEXT) | instid1(VALU_DEP_2)
	v_cvt_pk_f32_fp8_e32 v[12:13], v12
	v_cvt_pk_f32_fp8_e32 v[14:15], v0
	s_delay_alu instid0(VALU_DEP_2)
	v_mul_f32_e32 v0, s23, v12
	scratch_store_b32 off, v0, off offset:44 ; 4-byte Folded Spill
	v_mul_f32_e32 v0, s26, v13
	scratch_store_b32 off, v0, off offset:40 ; 4-byte Folded Spill
	v_mul_f32_e32 v0, s23, v14
	scratch_store_b32 off, v0, off offset:36 ; 4-byte Folded Spill
	v_mul_f32_e32 v0, s26, v15
	scratch_store_b32 off, v0, off offset:32 ; 4-byte Folded Spill
	s_and_saveexec_b32 s27, vcc_lo
	s_cbranch_execz .LBB233_45
; %bb.44:                               ;   in Loop: Header=BB233_38 Depth=1
	scratch_load_b32 v0, off, off offset:44 ; 4-byte Folded Reload
	v_cmp_gt_i32_e64 s0, s34, v142
	s_wait_loadcnt 0x0
	s_wait_alu 0xf1ff
	s_delay_alu instid0(VALU_DEP_1)
	v_cndmask_b32_e64 v0, 0, v0, s0
	v_cmp_gt_i32_e64 s0, s34, v145
	scratch_store_b32 off, v0, off offset:44 ; 4-byte Folded Spill
	scratch_load_b32 v0, off, off offset:40 ; 4-byte Folded Reload
	s_wait_loadcnt 0x0
	s_wait_alu 0xf1ff
	v_cndmask_b32_e64 v0, 0, v0, s0
	v_cmp_gt_i32_e64 s0, s34, v144
	scratch_store_b32 off, v0, off offset:40 ; 4-byte Folded Spill
	scratch_load_b32 v0, off, off offset:36 ; 4-byte Folded Reload
	s_wait_loadcnt 0x0
	s_wait_alu 0xf1ff
	v_cndmask_b32_e64 v0, 0, v0, s0
	v_cmp_gt_i32_e64 s0, s34, v146
	scratch_store_b32 off, v0, off offset:36 ; 4-byte Folded Spill
	scratch_load_b32 v0, off, off offset:32 ; 4-byte Folded Reload
	s_wait_loadcnt 0x0
	s_wait_alu 0xf1ff
	v_cndmask_b32_e64 v0, 0, v0, s0
	scratch_store_b32 off, v0, off offset:32 ; 4-byte Folded Spill
.LBB233_45:                             ;   in Loop: Header=BB233_38 Depth=1
	s_wait_alu 0xfffe
	s_or_b32 exec_lo, exec_lo, s27
	global_load_b32 v0, v[7:8], off offset:384
	s_wait_loadcnt 0x0
	v_and_b32_e32 v12, 0xffff, v0
	v_lshrrev_b32_e32 v0, 16, v0
	s_delay_alu instid0(VALU_DEP_2) | instskip(NEXT) | instid1(VALU_DEP_2)
	v_cvt_pk_f32_fp8_e32 v[12:13], v12
	v_cvt_pk_f32_fp8_e32 v[14:15], v0
	s_delay_alu instid0(VALU_DEP_2)
	v_mul_f32_e32 v0, s23, v12
	scratch_store_b32 off, v0, off offset:60 ; 4-byte Folded Spill
	v_mul_f32_e32 v0, s26, v13
	scratch_store_b32 off, v0, off offset:56 ; 4-byte Folded Spill
	v_mul_f32_e32 v0, s23, v14
	scratch_store_b32 off, v0, off offset:52 ; 4-byte Folded Spill
	v_mul_f32_e32 v0, s26, v15
	scratch_store_b32 off, v0, off offset:48 ; 4-byte Folded Spill
	s_and_saveexec_b32 s27, vcc_lo
	s_cbranch_execz .LBB233_47
; %bb.46:                               ;   in Loop: Header=BB233_38 Depth=1
	scratch_load_b32 v0, off, off offset:60 ; 4-byte Folded Reload
	v_cmp_gt_i32_e64 s0, s34, v142
	s_wait_loadcnt 0x0
	s_wait_alu 0xf1ff
	s_delay_alu instid0(VALU_DEP_1)
	v_cndmask_b32_e64 v0, 0, v0, s0
	v_cmp_gt_i32_e64 s0, s34, v145
	scratch_store_b32 off, v0, off offset:60 ; 4-byte Folded Spill
	scratch_load_b32 v0, off, off offset:56 ; 4-byte Folded Reload
	s_wait_loadcnt 0x0
	s_wait_alu 0xf1ff
	v_cndmask_b32_e64 v0, 0, v0, s0
	v_cmp_gt_i32_e64 s0, s34, v144
	scratch_store_b32 off, v0, off offset:56 ; 4-byte Folded Spill
	scratch_load_b32 v0, off, off offset:52 ; 4-byte Folded Reload
	s_wait_loadcnt 0x0
	s_wait_alu 0xf1ff
	v_cndmask_b32_e64 v0, 0, v0, s0
	v_cmp_gt_i32_e64 s0, s34, v146
	scratch_store_b32 off, v0, off offset:52 ; 4-byte Folded Spill
	scratch_load_b32 v0, off, off offset:48 ; 4-byte Folded Reload
	s_wait_loadcnt 0x0
	s_wait_alu 0xf1ff
	v_cndmask_b32_e64 v0, 0, v0, s0
	scratch_store_b32 off, v0, off offset:48 ; 4-byte Folded Spill
.LBB233_47:                             ;   in Loop: Header=BB233_38 Depth=1
	s_wait_alu 0xfffe
	s_or_b32 exec_lo, exec_lo, s27
	global_load_b32 v0, v[7:8], off offset:512
	s_wait_loadcnt 0x0
	v_and_b32_e32 v12, 0xffff, v0
	v_lshrrev_b32_e32 v0, 16, v0
	s_delay_alu instid0(VALU_DEP_2) | instskip(NEXT) | instid1(VALU_DEP_2)
	v_cvt_pk_f32_fp8_e32 v[12:13], v12
	v_cvt_pk_f32_fp8_e32 v[14:15], v0
	s_delay_alu instid0(VALU_DEP_2)
	v_mul_f32_e32 v0, s23, v12
	scratch_store_b32 off, v0, off offset:76 ; 4-byte Folded Spill
	v_mul_f32_e32 v0, s26, v13
	scratch_store_b32 off, v0, off offset:72 ; 4-byte Folded Spill
	v_mul_f32_e32 v0, s23, v14
	scratch_store_b32 off, v0, off offset:68 ; 4-byte Folded Spill
	v_mul_f32_e32 v0, s26, v15
	scratch_store_b32 off, v0, off offset:64 ; 4-byte Folded Spill
	s_and_saveexec_b32 s27, vcc_lo
	s_cbranch_execz .LBB233_49
; %bb.48:                               ;   in Loop: Header=BB233_38 Depth=1
	scratch_load_b32 v0, off, off offset:76 ; 4-byte Folded Reload
	v_cmp_gt_i32_e64 s0, s34, v142
	s_wait_loadcnt 0x0
	s_wait_alu 0xf1ff
	s_delay_alu instid0(VALU_DEP_1)
	v_cndmask_b32_e64 v0, 0, v0, s0
	v_cmp_gt_i32_e64 s0, s34, v145
	scratch_store_b32 off, v0, off offset:76 ; 4-byte Folded Spill
	scratch_load_b32 v0, off, off offset:72 ; 4-byte Folded Reload
	s_wait_loadcnt 0x0
	s_wait_alu 0xf1ff
	v_cndmask_b32_e64 v0, 0, v0, s0
	v_cmp_gt_i32_e64 s0, s34, v144
	scratch_store_b32 off, v0, off offset:72 ; 4-byte Folded Spill
	scratch_load_b32 v0, off, off offset:68 ; 4-byte Folded Reload
	s_wait_loadcnt 0x0
	s_wait_alu 0xf1ff
	v_cndmask_b32_e64 v0, 0, v0, s0
	v_cmp_gt_i32_e64 s0, s34, v146
	scratch_store_b32 off, v0, off offset:68 ; 4-byte Folded Spill
	scratch_load_b32 v0, off, off offset:64 ; 4-byte Folded Reload
	s_wait_loadcnt 0x0
	s_wait_alu 0xf1ff
	v_cndmask_b32_e64 v0, 0, v0, s0
	scratch_store_b32 off, v0, off offset:64 ; 4-byte Folded Spill
.LBB233_49:                             ;   in Loop: Header=BB233_38 Depth=1
	s_wait_alu 0xfffe
	s_or_b32 exec_lo, exec_lo, s27
	global_load_b32 v0, v[7:8], off offset:640
	s_wait_loadcnt 0x0
	v_and_b32_e32 v12, 0xffff, v0
	v_lshrrev_b32_e32 v0, 16, v0
	s_delay_alu instid0(VALU_DEP_2) | instskip(NEXT) | instid1(VALU_DEP_2)
	v_cvt_pk_f32_fp8_e32 v[12:13], v12
	v_cvt_pk_f32_fp8_e32 v[14:15], v0
	s_delay_alu instid0(VALU_DEP_2)
	v_mul_f32_e32 v0, s23, v12
	scratch_store_b32 off, v0, off offset:92 ; 4-byte Folded Spill
	v_mul_f32_e32 v0, s26, v13
	scratch_store_b32 off, v0, off offset:88 ; 4-byte Folded Spill
	v_mul_f32_e32 v0, s23, v14
	scratch_store_b32 off, v0, off offset:84 ; 4-byte Folded Spill
	v_mul_f32_e32 v0, s26, v15
	scratch_store_b32 off, v0, off offset:80 ; 4-byte Folded Spill
	s_and_saveexec_b32 s27, vcc_lo
	s_cbranch_execz .LBB233_51
; %bb.50:                               ;   in Loop: Header=BB233_38 Depth=1
	scratch_load_b32 v0, off, off offset:92 ; 4-byte Folded Reload
	v_cmp_gt_i32_e64 s0, s34, v142
	s_wait_loadcnt 0x0
	s_wait_alu 0xf1ff
	s_delay_alu instid0(VALU_DEP_1)
	v_cndmask_b32_e64 v0, 0, v0, s0
	v_cmp_gt_i32_e64 s0, s34, v145
	scratch_store_b32 off, v0, off offset:92 ; 4-byte Folded Spill
	scratch_load_b32 v0, off, off offset:88 ; 4-byte Folded Reload
	s_wait_loadcnt 0x0
	s_wait_alu 0xf1ff
	v_cndmask_b32_e64 v0, 0, v0, s0
	v_cmp_gt_i32_e64 s0, s34, v144
	scratch_store_b32 off, v0, off offset:88 ; 4-byte Folded Spill
	scratch_load_b32 v0, off, off offset:84 ; 4-byte Folded Reload
	s_wait_loadcnt 0x0
	s_wait_alu 0xf1ff
	v_cndmask_b32_e64 v0, 0, v0, s0
	v_cmp_gt_i32_e64 s0, s34, v146
	scratch_store_b32 off, v0, off offset:84 ; 4-byte Folded Spill
	scratch_load_b32 v0, off, off offset:80 ; 4-byte Folded Reload
	s_wait_loadcnt 0x0
	s_wait_alu 0xf1ff
	v_cndmask_b32_e64 v0, 0, v0, s0
	scratch_store_b32 off, v0, off offset:80 ; 4-byte Folded Spill
.LBB233_51:                             ;   in Loop: Header=BB233_38 Depth=1
	s_wait_alu 0xfffe
	s_or_b32 exec_lo, exec_lo, s27
	global_load_b32 v0, v[7:8], off offset:768
	s_wait_loadcnt 0x0
	v_and_b32_e32 v12, 0xffff, v0
	v_lshrrev_b32_e32 v0, 16, v0
	s_delay_alu instid0(VALU_DEP_2) | instskip(NEXT) | instid1(VALU_DEP_2)
	v_cvt_pk_f32_fp8_e32 v[12:13], v12
	v_cvt_pk_f32_fp8_e32 v[14:15], v0
	s_delay_alu instid0(VALU_DEP_2)
	v_mul_f32_e32 v0, s23, v12
	scratch_store_b32 off, v0, off offset:124 ; 4-byte Folded Spill
	v_mul_f32_e32 v0, s26, v13
	scratch_store_b32 off, v0, off offset:108 ; 4-byte Folded Spill
	v_mul_f32_e32 v0, s23, v14
	scratch_store_b32 off, v0, off offset:100 ; 4-byte Folded Spill
	v_mul_f32_e32 v0, s26, v15
	scratch_store_b32 off, v0, off offset:96 ; 4-byte Folded Spill
	s_and_saveexec_b32 s27, vcc_lo
	s_cbranch_execz .LBB233_53
; %bb.52:                               ;   in Loop: Header=BB233_38 Depth=1
	scratch_load_b32 v0, off, off offset:124 ; 4-byte Folded Reload
	v_cmp_gt_i32_e64 s0, s34, v142
	s_wait_loadcnt 0x0
	s_wait_alu 0xf1ff
	s_delay_alu instid0(VALU_DEP_1)
	v_cndmask_b32_e64 v0, 0, v0, s0
	v_cmp_gt_i32_e64 s0, s34, v145
	scratch_store_b32 off, v0, off offset:124 ; 4-byte Folded Spill
	scratch_load_b32 v0, off, off offset:108 ; 4-byte Folded Reload
	s_wait_loadcnt 0x0
	s_wait_alu 0xf1ff
	v_cndmask_b32_e64 v0, 0, v0, s0
	v_cmp_gt_i32_e64 s0, s34, v144
	scratch_store_b32 off, v0, off offset:108 ; 4-byte Folded Spill
	scratch_load_b32 v0, off, off offset:100 ; 4-byte Folded Reload
	s_wait_loadcnt 0x0
	s_wait_alu 0xf1ff
	v_cndmask_b32_e64 v0, 0, v0, s0
	v_cmp_gt_i32_e64 s0, s34, v146
	scratch_store_b32 off, v0, off offset:100 ; 4-byte Folded Spill
	scratch_load_b32 v0, off, off offset:96 ; 4-byte Folded Reload
	s_wait_loadcnt 0x0
	s_wait_alu 0xf1ff
	v_cndmask_b32_e64 v0, 0, v0, s0
	scratch_store_b32 off, v0, off offset:96 ; 4-byte Folded Spill
.LBB233_53:                             ;   in Loop: Header=BB233_38 Depth=1
	s_wait_alu 0xfffe
	s_or_b32 exec_lo, exec_lo, s27
	global_load_b32 v0, v[7:8], off offset:896
	s_wait_loadcnt 0x0
	v_and_b32_e32 v12, 0xffff, v0
	v_lshrrev_b32_e32 v0, 16, v0
	s_delay_alu instid0(VALU_DEP_2) | instskip(NEXT) | instid1(VALU_DEP_2)
	v_cvt_pk_f32_fp8_e32 v[12:13], v12
	v_cvt_pk_f32_fp8_e32 v[14:15], v0
	s_delay_alu instid0(VALU_DEP_2)
	v_mul_f32_e32 v0, s23, v12
	scratch_store_b32 off, v0, off offset:188 ; 4-byte Folded Spill
	v_mul_f32_e32 v0, s26, v13
	scratch_store_b32 off, v0, off offset:172 ; 4-byte Folded Spill
	v_mul_f32_e32 v0, s23, v14
	scratch_store_b32 off, v0, off offset:156 ; 4-byte Folded Spill
	v_mul_f32_e32 v0, s26, v15
	scratch_store_b32 off, v0, off offset:140 ; 4-byte Folded Spill
	s_and_saveexec_b32 s27, vcc_lo
	s_cbranch_execz .LBB233_55
; %bb.54:                               ;   in Loop: Header=BB233_38 Depth=1
	scratch_load_b32 v0, off, off offset:188 ; 4-byte Folded Reload
	v_cmp_gt_i32_e64 s0, s34, v142
	s_wait_loadcnt 0x0
	s_wait_alu 0xf1ff
	s_delay_alu instid0(VALU_DEP_1)
	v_cndmask_b32_e64 v0, 0, v0, s0
	v_cmp_gt_i32_e64 s0, s34, v145
	scratch_store_b32 off, v0, off offset:188 ; 4-byte Folded Spill
	scratch_load_b32 v0, off, off offset:172 ; 4-byte Folded Reload
	s_wait_loadcnt 0x0
	s_wait_alu 0xf1ff
	v_cndmask_b32_e64 v0, 0, v0, s0
	v_cmp_gt_i32_e64 s0, s34, v144
	scratch_store_b32 off, v0, off offset:172 ; 4-byte Folded Spill
	scratch_load_b32 v0, off, off offset:156 ; 4-byte Folded Reload
	s_wait_loadcnt 0x0
	s_wait_alu 0xf1ff
	v_cndmask_b32_e64 v0, 0, v0, s0
	v_cmp_gt_i32_e64 s0, s34, v146
	scratch_store_b32 off, v0, off offset:156 ; 4-byte Folded Spill
	scratch_load_b32 v0, off, off offset:140 ; 4-byte Folded Reload
	s_wait_loadcnt 0x0
	s_wait_alu 0xf1ff
	v_cndmask_b32_e64 v0, 0, v0, s0
	scratch_store_b32 off, v0, off offset:140 ; 4-byte Folded Spill
.LBB233_55:                             ;   in Loop: Header=BB233_38 Depth=1
	s_wait_alu 0xfffe
	s_or_b32 exec_lo, exec_lo, s27
	global_load_b32 v0, v[7:8], off offset:1024
	s_wait_loadcnt 0x0
	v_and_b32_e32 v12, 0xffff, v0
	v_lshrrev_b32_e32 v0, 16, v0
	s_delay_alu instid0(VALU_DEP_2) | instskip(NEXT) | instid1(VALU_DEP_2)
	v_cvt_pk_f32_fp8_e32 v[12:13], v12
	v_cvt_pk_f32_fp8_e32 v[14:15], v0
	s_delay_alu instid0(VALU_DEP_2)
	v_mul_f32_e32 v0, s23, v12
	scratch_store_b32 off, v0, off offset:252 ; 4-byte Folded Spill
	v_mul_f32_e32 v0, s26, v13
	scratch_store_b32 off, v0, off offset:236 ; 4-byte Folded Spill
	v_mul_f32_e32 v0, s23, v14
	scratch_store_b32 off, v0, off offset:220 ; 4-byte Folded Spill
	v_mul_f32_e32 v0, s26, v15
	scratch_store_b32 off, v0, off offset:204 ; 4-byte Folded Spill
	s_and_saveexec_b32 s27, vcc_lo
	s_cbranch_execz .LBB233_57
; %bb.56:                               ;   in Loop: Header=BB233_38 Depth=1
	scratch_load_b32 v0, off, off offset:252 ; 4-byte Folded Reload
	v_cmp_gt_i32_e64 s0, s34, v142
	s_wait_loadcnt 0x0
	s_wait_alu 0xf1ff
	s_delay_alu instid0(VALU_DEP_1)
	v_cndmask_b32_e64 v0, 0, v0, s0
	v_cmp_gt_i32_e64 s0, s34, v145
	scratch_store_b32 off, v0, off offset:252 ; 4-byte Folded Spill
	scratch_load_b32 v0, off, off offset:236 ; 4-byte Folded Reload
	s_wait_loadcnt 0x0
	s_wait_alu 0xf1ff
	v_cndmask_b32_e64 v0, 0, v0, s0
	v_cmp_gt_i32_e64 s0, s34, v144
	scratch_store_b32 off, v0, off offset:236 ; 4-byte Folded Spill
	scratch_load_b32 v0, off, off offset:220 ; 4-byte Folded Reload
	s_wait_loadcnt 0x0
	s_wait_alu 0xf1ff
	v_cndmask_b32_e64 v0, 0, v0, s0
	v_cmp_gt_i32_e64 s0, s34, v146
	scratch_store_b32 off, v0, off offset:220 ; 4-byte Folded Spill
	scratch_load_b32 v0, off, off offset:204 ; 4-byte Folded Reload
	s_wait_loadcnt 0x0
	s_wait_alu 0xf1ff
	v_cndmask_b32_e64 v0, 0, v0, s0
	scratch_store_b32 off, v0, off offset:204 ; 4-byte Folded Spill
.LBB233_57:                             ;   in Loop: Header=BB233_38 Depth=1
	s_wait_alu 0xfffe
	s_or_b32 exec_lo, exec_lo, s27
	global_load_b32 v0, v[7:8], off offset:1152
	s_wait_loadcnt 0x0
	v_and_b32_e32 v12, 0xffff, v0
	v_lshrrev_b32_e32 v0, 16, v0
	s_delay_alu instid0(VALU_DEP_2) | instskip(NEXT) | instid1(VALU_DEP_2)
	v_cvt_pk_f32_fp8_e32 v[12:13], v12
	v_cvt_pk_f32_fp8_e32 v[14:15], v0
	s_delay_alu instid0(VALU_DEP_2)
	v_mul_f32_e32 v0, s23, v12
	scratch_store_b32 off, v0, off offset:316 ; 4-byte Folded Spill
	v_mul_f32_e32 v0, s26, v13
	scratch_store_b32 off, v0, off offset:300 ; 4-byte Folded Spill
	v_mul_f32_e32 v0, s23, v14
	scratch_store_b32 off, v0, off offset:284 ; 4-byte Folded Spill
	v_mul_f32_e32 v0, s26, v15
	scratch_store_b32 off, v0, off offset:268 ; 4-byte Folded Spill
	s_and_saveexec_b32 s27, vcc_lo
	s_cbranch_execz .LBB233_59
; %bb.58:                               ;   in Loop: Header=BB233_38 Depth=1
	scratch_load_b32 v0, off, off offset:316 ; 4-byte Folded Reload
	v_cmp_gt_i32_e64 s0, s34, v142
	s_wait_loadcnt 0x0
	s_wait_alu 0xf1ff
	s_delay_alu instid0(VALU_DEP_1)
	v_cndmask_b32_e64 v0, 0, v0, s0
	v_cmp_gt_i32_e64 s0, s34, v145
	scratch_store_b32 off, v0, off offset:316 ; 4-byte Folded Spill
	scratch_load_b32 v0, off, off offset:300 ; 4-byte Folded Reload
	s_wait_loadcnt 0x0
	s_wait_alu 0xf1ff
	v_cndmask_b32_e64 v0, 0, v0, s0
	v_cmp_gt_i32_e64 s0, s34, v144
	scratch_store_b32 off, v0, off offset:300 ; 4-byte Folded Spill
	scratch_load_b32 v0, off, off offset:284 ; 4-byte Folded Reload
	s_wait_loadcnt 0x0
	s_wait_alu 0xf1ff
	v_cndmask_b32_e64 v0, 0, v0, s0
	v_cmp_gt_i32_e64 s0, s34, v146
	scratch_store_b32 off, v0, off offset:284 ; 4-byte Folded Spill
	scratch_load_b32 v0, off, off offset:268 ; 4-byte Folded Reload
	s_wait_loadcnt 0x0
	s_wait_alu 0xf1ff
	v_cndmask_b32_e64 v0, 0, v0, s0
	scratch_store_b32 off, v0, off offset:268 ; 4-byte Folded Spill
.LBB233_59:                             ;   in Loop: Header=BB233_38 Depth=1
	s_wait_alu 0xfffe
	s_or_b32 exec_lo, exec_lo, s27
	global_load_b32 v0, v[7:8], off offset:1280
	s_wait_loadcnt 0x0
	v_and_b32_e32 v12, 0xffff, v0
	v_lshrrev_b32_e32 v0, 16, v0
	s_delay_alu instid0(VALU_DEP_2) | instskip(NEXT) | instid1(VALU_DEP_2)
	v_cvt_pk_f32_fp8_e32 v[12:13], v12
	v_cvt_pk_f32_fp8_e32 v[14:15], v0
	s_delay_alu instid0(VALU_DEP_2)
	v_mul_f32_e32 v0, s23, v12
	scratch_store_b32 off, v0, off offset:380 ; 4-byte Folded Spill
	v_mul_f32_e32 v0, s26, v13
	scratch_store_b32 off, v0, off offset:364 ; 4-byte Folded Spill
	v_mul_f32_e32 v0, s23, v14
	scratch_store_b32 off, v0, off offset:348 ; 4-byte Folded Spill
	v_mul_f32_e32 v0, s26, v15
	scratch_store_b32 off, v0, off offset:332 ; 4-byte Folded Spill
	s_and_saveexec_b32 s27, vcc_lo
	s_cbranch_execz .LBB233_61
; %bb.60:                               ;   in Loop: Header=BB233_38 Depth=1
	scratch_load_b32 v0, off, off offset:380 ; 4-byte Folded Reload
	v_cmp_gt_i32_e64 s0, s34, v142
	s_wait_loadcnt 0x0
	s_wait_alu 0xf1ff
	s_delay_alu instid0(VALU_DEP_1)
	v_cndmask_b32_e64 v0, 0, v0, s0
	v_cmp_gt_i32_e64 s0, s34, v145
	scratch_store_b32 off, v0, off offset:380 ; 4-byte Folded Spill
	scratch_load_b32 v0, off, off offset:364 ; 4-byte Folded Reload
	s_wait_loadcnt 0x0
	s_wait_alu 0xf1ff
	v_cndmask_b32_e64 v0, 0, v0, s0
	v_cmp_gt_i32_e64 s0, s34, v144
	scratch_store_b32 off, v0, off offset:364 ; 4-byte Folded Spill
	scratch_load_b32 v0, off, off offset:348 ; 4-byte Folded Reload
	s_wait_loadcnt 0x0
	s_wait_alu 0xf1ff
	v_cndmask_b32_e64 v0, 0, v0, s0
	v_cmp_gt_i32_e64 s0, s34, v146
	scratch_store_b32 off, v0, off offset:348 ; 4-byte Folded Spill
	scratch_load_b32 v0, off, off offset:332 ; 4-byte Folded Reload
	s_wait_loadcnt 0x0
	s_wait_alu 0xf1ff
	v_cndmask_b32_e64 v0, 0, v0, s0
	scratch_store_b32 off, v0, off offset:332 ; 4-byte Folded Spill
.LBB233_61:                             ;   in Loop: Header=BB233_38 Depth=1
	s_wait_alu 0xfffe
	s_or_b32 exec_lo, exec_lo, s27
	global_load_b32 v0, v[7:8], off offset:1408
	s_wait_loadcnt 0x0
	v_and_b32_e32 v12, 0xffff, v0
	v_lshrrev_b32_e32 v0, 16, v0
	s_delay_alu instid0(VALU_DEP_2) | instskip(NEXT) | instid1(VALU_DEP_2)
	v_cvt_pk_f32_fp8_e32 v[12:13], v12
	v_cvt_pk_f32_fp8_e32 v[14:15], v0
	s_delay_alu instid0(VALU_DEP_2)
	v_mul_f32_e32 v0, s23, v12
	scratch_store_b32 off, v0, off offset:444 ; 4-byte Folded Spill
	v_mul_f32_e32 v0, s26, v13
	scratch_store_b32 off, v0, off offset:428 ; 4-byte Folded Spill
	v_mul_f32_e32 v0, s23, v14
	scratch_store_b32 off, v0, off offset:412 ; 4-byte Folded Spill
	v_mul_f32_e32 v0, s26, v15
	scratch_store_b32 off, v0, off offset:396 ; 4-byte Folded Spill
	s_and_saveexec_b32 s27, vcc_lo
	s_cbranch_execz .LBB233_63
; %bb.62:                               ;   in Loop: Header=BB233_38 Depth=1
	scratch_load_b32 v0, off, off offset:444 ; 4-byte Folded Reload
	v_cmp_gt_i32_e64 s0, s34, v142
	s_wait_loadcnt 0x0
	s_wait_alu 0xf1ff
	s_delay_alu instid0(VALU_DEP_1)
	v_cndmask_b32_e64 v0, 0, v0, s0
	v_cmp_gt_i32_e64 s0, s34, v145
	scratch_store_b32 off, v0, off offset:444 ; 4-byte Folded Spill
	scratch_load_b32 v0, off, off offset:428 ; 4-byte Folded Reload
	s_wait_loadcnt 0x0
	s_wait_alu 0xf1ff
	v_cndmask_b32_e64 v0, 0, v0, s0
	v_cmp_gt_i32_e64 s0, s34, v144
	scratch_store_b32 off, v0, off offset:428 ; 4-byte Folded Spill
	scratch_load_b32 v0, off, off offset:412 ; 4-byte Folded Reload
	s_wait_loadcnt 0x0
	s_wait_alu 0xf1ff
	v_cndmask_b32_e64 v0, 0, v0, s0
	v_cmp_gt_i32_e64 s0, s34, v146
	scratch_store_b32 off, v0, off offset:412 ; 4-byte Folded Spill
	scratch_load_b32 v0, off, off offset:396 ; 4-byte Folded Reload
	s_wait_loadcnt 0x0
	s_wait_alu 0xf1ff
	v_cndmask_b32_e64 v0, 0, v0, s0
	scratch_store_b32 off, v0, off offset:396 ; 4-byte Folded Spill
.LBB233_63:                             ;   in Loop: Header=BB233_38 Depth=1
	s_wait_alu 0xfffe
	s_or_b32 exec_lo, exec_lo, s27
	global_load_b32 v0, v[7:8], off offset:1536
	s_wait_loadcnt 0x0
	v_and_b32_e32 v12, 0xffff, v0
	v_lshrrev_b32_e32 v0, 16, v0
	s_delay_alu instid0(VALU_DEP_2) | instskip(NEXT) | instid1(VALU_DEP_2)
	v_cvt_pk_f32_fp8_e32 v[12:13], v12
	v_cvt_pk_f32_fp8_e32 v[14:15], v0
	s_delay_alu instid0(VALU_DEP_2)
	v_mul_f32_e32 v0, s23, v12
	scratch_store_b32 off, v0, off offset:508 ; 4-byte Folded Spill
	v_mul_f32_e32 v0, s26, v13
	scratch_store_b32 off, v0, off offset:492 ; 4-byte Folded Spill
	v_mul_f32_e32 v0, s23, v14
	scratch_store_b32 off, v0, off offset:476 ; 4-byte Folded Spill
	v_mul_f32_e32 v0, s26, v15
	scratch_store_b32 off, v0, off offset:460 ; 4-byte Folded Spill
	s_and_saveexec_b32 s27, vcc_lo
	s_cbranch_execz .LBB233_65
; %bb.64:                               ;   in Loop: Header=BB233_38 Depth=1
	scratch_load_b32 v0, off, off offset:508 ; 4-byte Folded Reload
	v_cmp_gt_i32_e64 s0, s34, v142
	s_wait_loadcnt 0x0
	s_wait_alu 0xf1ff
	s_delay_alu instid0(VALU_DEP_1)
	v_cndmask_b32_e64 v0, 0, v0, s0
	v_cmp_gt_i32_e64 s0, s34, v145
	scratch_store_b32 off, v0, off offset:508 ; 4-byte Folded Spill
	scratch_load_b32 v0, off, off offset:492 ; 4-byte Folded Reload
	s_wait_loadcnt 0x0
	s_wait_alu 0xf1ff
	v_cndmask_b32_e64 v0, 0, v0, s0
	v_cmp_gt_i32_e64 s0, s34, v144
	scratch_store_b32 off, v0, off offset:492 ; 4-byte Folded Spill
	scratch_load_b32 v0, off, off offset:476 ; 4-byte Folded Reload
	s_wait_loadcnt 0x0
	s_wait_alu 0xf1ff
	v_cndmask_b32_e64 v0, 0, v0, s0
	v_cmp_gt_i32_e64 s0, s34, v146
	scratch_store_b32 off, v0, off offset:476 ; 4-byte Folded Spill
	scratch_load_b32 v0, off, off offset:460 ; 4-byte Folded Reload
	s_wait_loadcnt 0x0
	s_wait_alu 0xf1ff
	v_cndmask_b32_e64 v0, 0, v0, s0
	scratch_store_b32 off, v0, off offset:460 ; 4-byte Folded Spill
.LBB233_65:                             ;   in Loop: Header=BB233_38 Depth=1
	s_wait_alu 0xfffe
	s_or_b32 exec_lo, exec_lo, s27
	global_load_b32 v0, v[7:8], off offset:1664
	s_wait_loadcnt 0x0
	v_and_b32_e32 v12, 0xffff, v0
	v_lshrrev_b32_e32 v0, 16, v0
	s_delay_alu instid0(VALU_DEP_2) | instskip(NEXT) | instid1(VALU_DEP_2)
	v_cvt_pk_f32_fp8_e32 v[12:13], v12
	v_cvt_pk_f32_fp8_e32 v[14:15], v0
	s_delay_alu instid0(VALU_DEP_2)
	v_mul_f32_e32 v0, s23, v12
	scratch_store_b32 off, v0, off offset:572 ; 4-byte Folded Spill
	v_mul_f32_e32 v0, s26, v13
	scratch_store_b32 off, v0, off offset:556 ; 4-byte Folded Spill
	v_mul_f32_e32 v0, s23, v14
	scratch_store_b32 off, v0, off offset:540 ; 4-byte Folded Spill
	v_mul_f32_e32 v0, s26, v15
	scratch_store_b32 off, v0, off offset:524 ; 4-byte Folded Spill
	s_and_saveexec_b32 s27, vcc_lo
	s_cbranch_execz .LBB233_67
; %bb.66:                               ;   in Loop: Header=BB233_38 Depth=1
	scratch_load_b32 v0, off, off offset:572 ; 4-byte Folded Reload
	v_cmp_gt_i32_e64 s0, s34, v142
	s_wait_loadcnt 0x0
	s_wait_alu 0xf1ff
	s_delay_alu instid0(VALU_DEP_1)
	v_cndmask_b32_e64 v0, 0, v0, s0
	v_cmp_gt_i32_e64 s0, s34, v145
	scratch_store_b32 off, v0, off offset:572 ; 4-byte Folded Spill
	scratch_load_b32 v0, off, off offset:556 ; 4-byte Folded Reload
	s_wait_loadcnt 0x0
	s_wait_alu 0xf1ff
	v_cndmask_b32_e64 v0, 0, v0, s0
	v_cmp_gt_i32_e64 s0, s34, v144
	scratch_store_b32 off, v0, off offset:556 ; 4-byte Folded Spill
	scratch_load_b32 v0, off, off offset:540 ; 4-byte Folded Reload
	s_wait_loadcnt 0x0
	s_wait_alu 0xf1ff
	v_cndmask_b32_e64 v0, 0, v0, s0
	v_cmp_gt_i32_e64 s0, s34, v146
	scratch_store_b32 off, v0, off offset:540 ; 4-byte Folded Spill
	scratch_load_b32 v0, off, off offset:524 ; 4-byte Folded Reload
	s_wait_loadcnt 0x0
	s_wait_alu 0xf1ff
	v_cndmask_b32_e64 v0, 0, v0, s0
	scratch_store_b32 off, v0, off offset:524 ; 4-byte Folded Spill
.LBB233_67:                             ;   in Loop: Header=BB233_38 Depth=1
	s_wait_alu 0xfffe
	s_or_b32 exec_lo, exec_lo, s27
	global_load_b32 v0, v[7:8], off offset:1792
	s_wait_loadcnt 0x0
	v_and_b32_e32 v12, 0xffff, v0
	v_lshrrev_b32_e32 v0, 16, v0
	s_delay_alu instid0(VALU_DEP_2) | instskip(NEXT) | instid1(VALU_DEP_2)
	v_cvt_pk_f32_fp8_e32 v[12:13], v12
	v_cvt_pk_f32_fp8_e32 v[14:15], v0
	s_delay_alu instid0(VALU_DEP_2)
	v_mul_f32_e32 v0, s23, v12
	scratch_store_b32 off, v0, off offset:636 ; 4-byte Folded Spill
	v_mul_f32_e32 v0, s26, v13
	scratch_store_b32 off, v0, off offset:620 ; 4-byte Folded Spill
	v_mul_f32_e32 v0, s23, v14
	scratch_store_b32 off, v0, off offset:604 ; 4-byte Folded Spill
	v_mul_f32_e32 v0, s26, v15
	scratch_store_b32 off, v0, off offset:588 ; 4-byte Folded Spill
	s_and_saveexec_b32 s27, vcc_lo
	s_cbranch_execz .LBB233_69
; %bb.68:                               ;   in Loop: Header=BB233_38 Depth=1
	scratch_load_b32 v0, off, off offset:636 ; 4-byte Folded Reload
	v_cmp_gt_i32_e64 s0, s34, v142
	s_wait_loadcnt 0x0
	s_wait_alu 0xf1ff
	s_delay_alu instid0(VALU_DEP_1)
	v_cndmask_b32_e64 v0, 0, v0, s0
	v_cmp_gt_i32_e64 s0, s34, v145
	scratch_store_b32 off, v0, off offset:636 ; 4-byte Folded Spill
	scratch_load_b32 v0, off, off offset:620 ; 4-byte Folded Reload
	s_wait_loadcnt 0x0
	s_wait_alu 0xf1ff
	v_cndmask_b32_e64 v0, 0, v0, s0
	v_cmp_gt_i32_e64 s0, s34, v144
	scratch_store_b32 off, v0, off offset:620 ; 4-byte Folded Spill
	scratch_load_b32 v0, off, off offset:604 ; 4-byte Folded Reload
	s_wait_loadcnt 0x0
	s_wait_alu 0xf1ff
	v_cndmask_b32_e64 v0, 0, v0, s0
	v_cmp_gt_i32_e64 s0, s34, v146
	scratch_store_b32 off, v0, off offset:604 ; 4-byte Folded Spill
	scratch_load_b32 v0, off, off offset:588 ; 4-byte Folded Reload
	s_wait_loadcnt 0x0
	s_wait_alu 0xf1ff
	v_cndmask_b32_e64 v0, 0, v0, s0
	scratch_store_b32 off, v0, off offset:588 ; 4-byte Folded Spill
.LBB233_69:                             ;   in Loop: Header=BB233_38 Depth=1
	s_wait_alu 0xfffe
	s_or_b32 exec_lo, exec_lo, s27
	global_load_b32 v0, v[7:8], off offset:1920
	s_wait_loadcnt 0x0
	v_and_b32_e32 v12, 0xffff, v0
	v_lshrrev_b32_e32 v0, 16, v0
	s_delay_alu instid0(VALU_DEP_2) | instskip(NEXT) | instid1(VALU_DEP_2)
	v_cvt_pk_f32_fp8_e32 v[12:13], v12
	v_cvt_pk_f32_fp8_e32 v[14:15], v0
	s_delay_alu instid0(VALU_DEP_2)
	v_mul_f32_e32 v0, s23, v12
	scratch_store_b32 off, v0, off offset:700 ; 4-byte Folded Spill
	v_mul_f32_e32 v0, s26, v13
	scratch_store_b32 off, v0, off offset:684 ; 4-byte Folded Spill
	v_mul_f32_e32 v0, s23, v14
	scratch_store_b32 off, v0, off offset:668 ; 4-byte Folded Spill
	v_mul_f32_e32 v0, s26, v15
	scratch_store_b32 off, v0, off offset:652 ; 4-byte Folded Spill
	s_and_saveexec_b32 s27, vcc_lo
	s_cbranch_execz .LBB233_71
; %bb.70:                               ;   in Loop: Header=BB233_38 Depth=1
	scratch_load_b32 v0, off, off offset:700 ; 4-byte Folded Reload
	v_cmp_gt_i32_e64 s0, s34, v142
	s_wait_loadcnt 0x0
	s_wait_alu 0xf1ff
	s_delay_alu instid0(VALU_DEP_1)
	v_cndmask_b32_e64 v0, 0, v0, s0
	v_cmp_gt_i32_e64 s0, s34, v145
	scratch_store_b32 off, v0, off offset:700 ; 4-byte Folded Spill
	scratch_load_b32 v0, off, off offset:684 ; 4-byte Folded Reload
	s_wait_loadcnt 0x0
	s_wait_alu 0xf1ff
	v_cndmask_b32_e64 v0, 0, v0, s0
	v_cmp_gt_i32_e64 s0, s34, v144
	scratch_store_b32 off, v0, off offset:684 ; 4-byte Folded Spill
	scratch_load_b32 v0, off, off offset:668 ; 4-byte Folded Reload
	s_wait_loadcnt 0x0
	s_wait_alu 0xf1ff
	v_cndmask_b32_e64 v0, 0, v0, s0
	v_cmp_gt_i32_e64 s0, s34, v146
	scratch_store_b32 off, v0, off offset:668 ; 4-byte Folded Spill
	scratch_load_b32 v0, off, off offset:652 ; 4-byte Folded Reload
	s_wait_loadcnt 0x0
	s_wait_alu 0xf1ff
	v_cndmask_b32_e64 v0, 0, v0, s0
	scratch_store_b32 off, v0, off offset:652 ; 4-byte Folded Spill
.LBB233_71:                             ;   in Loop: Header=BB233_38 Depth=1
	s_wait_alu 0xfffe
	s_or_b32 exec_lo, exec_lo, s27
	global_load_b32 v0, v[7:8], off offset:2048
	s_wait_loadcnt 0x0
	v_and_b32_e32 v12, 0xffff, v0
	v_lshrrev_b32_e32 v0, 16, v0
	s_delay_alu instid0(VALU_DEP_2) | instskip(NEXT) | instid1(VALU_DEP_2)
	v_cvt_pk_f32_fp8_e32 v[12:13], v12
	v_cvt_pk_f32_fp8_e32 v[14:15], v0
	s_delay_alu instid0(VALU_DEP_2)
	v_mul_f32_e32 v0, s23, v12
	scratch_store_b32 off, v0, off offset:764 ; 4-byte Folded Spill
	v_mul_f32_e32 v0, s26, v13
	scratch_store_b32 off, v0, off offset:748 ; 4-byte Folded Spill
	v_mul_f32_e32 v0, s23, v14
	scratch_store_b32 off, v0, off offset:732 ; 4-byte Folded Spill
	v_mul_f32_e32 v0, s26, v15
	scratch_store_b32 off, v0, off offset:716 ; 4-byte Folded Spill
	s_and_saveexec_b32 s27, vcc_lo
	s_cbranch_execz .LBB233_73
; %bb.72:                               ;   in Loop: Header=BB233_38 Depth=1
	scratch_load_b32 v0, off, off offset:764 ; 4-byte Folded Reload
	v_cmp_gt_i32_e64 s0, s34, v142
	s_wait_loadcnt 0x0
	s_wait_alu 0xf1ff
	s_delay_alu instid0(VALU_DEP_1)
	v_cndmask_b32_e64 v0, 0, v0, s0
	v_cmp_gt_i32_e64 s0, s34, v145
	scratch_store_b32 off, v0, off offset:764 ; 4-byte Folded Spill
	scratch_load_b32 v0, off, off offset:748 ; 4-byte Folded Reload
	s_wait_loadcnt 0x0
	s_wait_alu 0xf1ff
	v_cndmask_b32_e64 v0, 0, v0, s0
	v_cmp_gt_i32_e64 s0, s34, v144
	scratch_store_b32 off, v0, off offset:748 ; 4-byte Folded Spill
	scratch_load_b32 v0, off, off offset:732 ; 4-byte Folded Reload
	s_wait_loadcnt 0x0
	s_wait_alu 0xf1ff
	v_cndmask_b32_e64 v0, 0, v0, s0
	v_cmp_gt_i32_e64 s0, s34, v146
	scratch_store_b32 off, v0, off offset:732 ; 4-byte Folded Spill
	scratch_load_b32 v0, off, off offset:716 ; 4-byte Folded Reload
	s_wait_loadcnt 0x0
	s_wait_alu 0xf1ff
	v_cndmask_b32_e64 v0, 0, v0, s0
	scratch_store_b32 off, v0, off offset:716 ; 4-byte Folded Spill
.LBB233_73:                             ;   in Loop: Header=BB233_38 Depth=1
	s_wait_alu 0xfffe
	s_or_b32 exec_lo, exec_lo, s27
	global_load_b32 v0, v[7:8], off offset:2176
	s_wait_loadcnt 0x0
	v_and_b32_e32 v12, 0xffff, v0
	v_lshrrev_b32_e32 v0, 16, v0
	s_delay_alu instid0(VALU_DEP_2) | instskip(NEXT) | instid1(VALU_DEP_2)
	v_cvt_pk_f32_fp8_e32 v[12:13], v12
	v_cvt_pk_f32_fp8_e32 v[14:15], v0
	s_delay_alu instid0(VALU_DEP_2)
	v_mul_f32_e32 v0, s23, v12
	scratch_store_b32 off, v0, off offset:828 ; 4-byte Folded Spill
	v_mul_f32_e32 v0, s26, v13
	scratch_store_b32 off, v0, off offset:812 ; 4-byte Folded Spill
	v_mul_f32_e32 v0, s23, v14
	scratch_store_b32 off, v0, off offset:796 ; 4-byte Folded Spill
	v_mul_f32_e32 v0, s26, v15
	scratch_store_b32 off, v0, off offset:780 ; 4-byte Folded Spill
	s_and_saveexec_b32 s27, vcc_lo
	s_cbranch_execz .LBB233_75
; %bb.74:                               ;   in Loop: Header=BB233_38 Depth=1
	scratch_load_b32 v0, off, off offset:828 ; 4-byte Folded Reload
	v_cmp_gt_i32_e64 s0, s34, v142
	s_wait_loadcnt 0x0
	s_wait_alu 0xf1ff
	s_delay_alu instid0(VALU_DEP_1)
	v_cndmask_b32_e64 v0, 0, v0, s0
	v_cmp_gt_i32_e64 s0, s34, v145
	scratch_store_b32 off, v0, off offset:828 ; 4-byte Folded Spill
	scratch_load_b32 v0, off, off offset:812 ; 4-byte Folded Reload
	s_wait_loadcnt 0x0
	s_wait_alu 0xf1ff
	v_cndmask_b32_e64 v0, 0, v0, s0
	v_cmp_gt_i32_e64 s0, s34, v144
	scratch_store_b32 off, v0, off offset:812 ; 4-byte Folded Spill
	scratch_load_b32 v0, off, off offset:796 ; 4-byte Folded Reload
	s_wait_loadcnt 0x0
	s_wait_alu 0xf1ff
	v_cndmask_b32_e64 v0, 0, v0, s0
	v_cmp_gt_i32_e64 s0, s34, v146
	scratch_store_b32 off, v0, off offset:796 ; 4-byte Folded Spill
	scratch_load_b32 v0, off, off offset:780 ; 4-byte Folded Reload
	s_wait_loadcnt 0x0
	s_wait_alu 0xf1ff
	v_cndmask_b32_e64 v0, 0, v0, s0
	scratch_store_b32 off, v0, off offset:780 ; 4-byte Folded Spill
.LBB233_75:                             ;   in Loop: Header=BB233_38 Depth=1
	s_wait_alu 0xfffe
	s_or_b32 exec_lo, exec_lo, s27
	global_load_b32 v0, v[7:8], off offset:2304
	s_wait_loadcnt 0x0
	v_and_b32_e32 v12, 0xffff, v0
	v_lshrrev_b32_e32 v0, 16, v0
	s_delay_alu instid0(VALU_DEP_2) | instskip(NEXT) | instid1(VALU_DEP_2)
	v_cvt_pk_f32_fp8_e32 v[12:13], v12
	v_cvt_pk_f32_fp8_e32 v[14:15], v0
	s_delay_alu instid0(VALU_DEP_2)
	v_mul_f32_e32 v0, s23, v12
	scratch_store_b32 off, v0, off offset:892 ; 4-byte Folded Spill
	v_mul_f32_e32 v0, s26, v13
	scratch_store_b32 off, v0, off offset:876 ; 4-byte Folded Spill
	v_mul_f32_e32 v0, s23, v14
	scratch_store_b32 off, v0, off offset:860 ; 4-byte Folded Spill
	;; [unrolled: 2-line block ×3, first 2 shown]
	s_and_saveexec_b32 s27, vcc_lo
	s_cbranch_execz .LBB233_77
; %bb.76:                               ;   in Loop: Header=BB233_38 Depth=1
	scratch_load_b32 v0, off, off offset:892 ; 4-byte Folded Reload
	v_cmp_gt_i32_e64 s0, s34, v142
	s_wait_loadcnt 0x0
	s_wait_alu 0xf1ff
	s_delay_alu instid0(VALU_DEP_1)
	v_cndmask_b32_e64 v0, 0, v0, s0
	v_cmp_gt_i32_e64 s0, s34, v145
	scratch_store_b32 off, v0, off offset:892 ; 4-byte Folded Spill
	scratch_load_b32 v0, off, off offset:876 ; 4-byte Folded Reload
	s_wait_loadcnt 0x0
	s_wait_alu 0xf1ff
	v_cndmask_b32_e64 v0, 0, v0, s0
	v_cmp_gt_i32_e64 s0, s34, v144
	scratch_store_b32 off, v0, off offset:876 ; 4-byte Folded Spill
	scratch_load_b32 v0, off, off offset:860 ; 4-byte Folded Reload
	s_wait_loadcnt 0x0
	s_wait_alu 0xf1ff
	;; [unrolled: 6-line block ×3, first 2 shown]
	v_cndmask_b32_e64 v0, 0, v0, s0
	scratch_store_b32 off, v0, off offset:844 ; 4-byte Folded Spill
.LBB233_77:                             ;   in Loop: Header=BB233_38 Depth=1
	s_wait_alu 0xfffe
	s_or_b32 exec_lo, exec_lo, s27
	global_load_b32 v0, v[7:8], off offset:2432
	s_wait_loadcnt 0x0
	v_and_b32_e32 v12, 0xffff, v0
	v_lshrrev_b32_e32 v0, 16, v0
	s_delay_alu instid0(VALU_DEP_2) | instskip(NEXT) | instid1(VALU_DEP_2)
	v_cvt_pk_f32_fp8_e32 v[12:13], v12
	v_cvt_pk_f32_fp8_e32 v[14:15], v0
	s_delay_alu instid0(VALU_DEP_2) | instskip(NEXT) | instid1(VALU_DEP_3)
	v_mul_f32_e32 v0, s26, v13
	v_mul_f32_e32 v166, s23, v12
	scratch_store_b32 off, v0, off offset:940 ; 4-byte Folded Spill
	v_mul_f32_e32 v0, s23, v14
	scratch_store_b32 off, v0, off offset:924 ; 4-byte Folded Spill
	;; [unrolled: 2-line block ×3, first 2 shown]
	s_and_saveexec_b32 s27, vcc_lo
	s_cbranch_execz .LBB233_79
; %bb.78:                               ;   in Loop: Header=BB233_38 Depth=1
	scratch_load_b32 v0, off, off offset:940 ; 4-byte Folded Reload
	v_cmp_gt_i32_e64 s0, s34, v142
	s_wait_alu 0xf1ff
	s_delay_alu instid0(VALU_DEP_1) | instskip(SKIP_3) | instid1(VALU_DEP_1)
	v_cndmask_b32_e64 v166, 0, v166, s0
	v_cmp_gt_i32_e64 s0, s34, v145
	s_wait_loadcnt 0x0
	s_wait_alu 0xf1ff
	v_cndmask_b32_e64 v0, 0, v0, s0
	v_cmp_gt_i32_e64 s0, s34, v144
	scratch_store_b32 off, v0, off offset:940 ; 4-byte Folded Spill
	scratch_load_b32 v0, off, off offset:924 ; 4-byte Folded Reload
	s_wait_loadcnt 0x0
	s_wait_alu 0xf1ff
	v_cndmask_b32_e64 v0, 0, v0, s0
	v_cmp_gt_i32_e64 s0, s34, v146
	scratch_store_b32 off, v0, off offset:924 ; 4-byte Folded Spill
	scratch_load_b32 v0, off, off offset:908 ; 4-byte Folded Reload
	s_wait_loadcnt 0x0
	s_wait_alu 0xf1ff
	v_cndmask_b32_e64 v0, 0, v0, s0
	scratch_store_b32 off, v0, off offset:908 ; 4-byte Folded Spill
.LBB233_79:                             ;   in Loop: Header=BB233_38 Depth=1
	s_wait_alu 0xfffe
	s_or_b32 exec_lo, exec_lo, s27
	global_load_b32 v0, v[7:8], off offset:2560
	s_wait_loadcnt 0x0
	v_and_b32_e32 v12, 0xffff, v0
	v_lshrrev_b32_e32 v0, 16, v0
	s_delay_alu instid0(VALU_DEP_1) | instskip(NEXT) | instid1(VALU_DEP_1)
	v_cvt_pk_f32_fp8_e32 v[14:15], v0
	v_mul_f32_e32 v167, s23, v14
	s_delay_alu instid0(VALU_DEP_4) | instskip(NEXT) | instid1(VALU_DEP_1)
	v_cvt_pk_f32_fp8_e32 v[12:13], v12
	v_dual_mul_f32 v0, s26, v15 :: v_dual_mul_f32 v169, s23, v12
	s_delay_alu instid0(VALU_DEP_2)
	v_mul_f32_e32 v168, s26, v13
	scratch_store_b32 off, v0, off offset:956 ; 4-byte Folded Spill
	s_and_saveexec_b32 s27, vcc_lo
	s_cbranch_execz .LBB233_81
; %bb.80:                               ;   in Loop: Header=BB233_38 Depth=1
	scratch_load_b32 v0, off, off offset:956 ; 4-byte Folded Reload
	v_cmp_gt_i32_e64 s0, s34, v142
	s_wait_alu 0xf1ff
	s_delay_alu instid0(VALU_DEP_1) | instskip(SKIP_2) | instid1(VALU_DEP_1)
	v_cndmask_b32_e64 v169, 0, v169, s0
	v_cmp_gt_i32_e64 s0, s34, v145
	s_wait_alu 0xf1ff
	v_cndmask_b32_e64 v168, 0, v168, s0
	v_cmp_gt_i32_e64 s0, s34, v144
	s_wait_alu 0xf1ff
	s_delay_alu instid0(VALU_DEP_1) | instskip(SKIP_3) | instid1(VALU_DEP_1)
	v_cndmask_b32_e64 v167, 0, v167, s0
	v_cmp_gt_i32_e64 s0, s34, v146
	s_wait_loadcnt 0x0
	s_wait_alu 0xf1ff
	v_cndmask_b32_e64 v0, 0, v0, s0
	scratch_store_b32 off, v0, off offset:956 ; 4-byte Folded Spill
.LBB233_81:                             ;   in Loop: Header=BB233_38 Depth=1
	s_wait_alu 0xfffe
	s_or_b32 exec_lo, exec_lo, s27
	global_load_b32 v0, v[7:8], off offset:2688
	s_wait_loadcnt 0x0
	v_and_b32_e32 v12, 0xffff, v0
	v_lshrrev_b32_e32 v0, 16, v0
	s_delay_alu instid0(VALU_DEP_1) | instskip(NEXT) | instid1(VALU_DEP_1)
	v_cvt_pk_f32_fp8_e32 v[14:15], v0
	v_mul_f32_e32 v171, s23, v14
	s_delay_alu instid0(VALU_DEP_4) | instskip(NEXT) | instid1(VALU_DEP_1)
	v_cvt_pk_f32_fp8_e32 v[12:13], v12
	v_dual_mul_f32 v170, s26, v15 :: v_dual_mul_f32 v173, s23, v12
	s_delay_alu instid0(VALU_DEP_2)
	v_mul_f32_e32 v172, s26, v13
	s_and_saveexec_b32 s27, vcc_lo
	s_cbranch_execz .LBB233_83
; %bb.82:                               ;   in Loop: Header=BB233_38 Depth=1
	v_cmp_gt_i32_e64 s0, s34, v142
	s_wait_alu 0xf1ff
	s_delay_alu instid0(VALU_DEP_1) | instskip(SKIP_2) | instid1(VALU_DEP_1)
	v_cndmask_b32_e64 v173, 0, v173, s0
	v_cmp_gt_i32_e64 s0, s34, v145
	s_wait_alu 0xf1ff
	v_cndmask_b32_e64 v172, 0, v172, s0
	v_cmp_gt_i32_e64 s0, s34, v144
	s_wait_alu 0xf1ff
	s_delay_alu instid0(VALU_DEP_1) | instskip(SKIP_2) | instid1(VALU_DEP_1)
	v_cndmask_b32_e64 v171, 0, v171, s0
	v_cmp_gt_i32_e64 s0, s34, v146
	s_wait_alu 0xf1ff
	v_cndmask_b32_e64 v170, 0, v170, s0
.LBB233_83:                             ;   in Loop: Header=BB233_38 Depth=1
	s_wait_alu 0xfffe
	s_or_b32 exec_lo, exec_lo, s27
	global_load_b32 v0, v[7:8], off offset:2816
	s_wait_loadcnt 0x0
	v_and_b32_e32 v12, 0xffff, v0
	v_lshrrev_b32_e32 v0, 16, v0
	s_delay_alu instid0(VALU_DEP_1) | instskip(NEXT) | instid1(VALU_DEP_1)
	v_cvt_pk_f32_fp8_e32 v[14:15], v0
	v_mul_f32_e32 v175, s23, v14
	s_delay_alu instid0(VALU_DEP_4) | instskip(NEXT) | instid1(VALU_DEP_1)
	v_cvt_pk_f32_fp8_e32 v[12:13], v12
	v_dual_mul_f32 v174, s26, v15 :: v_dual_mul_f32 v177, s23, v12
	s_delay_alu instid0(VALU_DEP_2)
	v_mul_f32_e32 v176, s26, v13
	s_and_saveexec_b32 s27, vcc_lo
	s_cbranch_execz .LBB233_85
; %bb.84:                               ;   in Loop: Header=BB233_38 Depth=1
	v_cmp_gt_i32_e64 s0, s34, v142
	s_wait_alu 0xf1ff
	s_delay_alu instid0(VALU_DEP_1) | instskip(SKIP_2) | instid1(VALU_DEP_1)
	v_cndmask_b32_e64 v177, 0, v177, s0
	v_cmp_gt_i32_e64 s0, s34, v145
	s_wait_alu 0xf1ff
	v_cndmask_b32_e64 v176, 0, v176, s0
	v_cmp_gt_i32_e64 s0, s34, v144
	s_wait_alu 0xf1ff
	s_delay_alu instid0(VALU_DEP_1) | instskip(SKIP_2) | instid1(VALU_DEP_1)
	v_cndmask_b32_e64 v175, 0, v175, s0
	v_cmp_gt_i32_e64 s0, s34, v146
	s_wait_alu 0xf1ff
	v_cndmask_b32_e64 v174, 0, v174, s0
.LBB233_85:                             ;   in Loop: Header=BB233_38 Depth=1
	s_wait_alu 0xfffe
	s_or_b32 exec_lo, exec_lo, s27
	global_load_b32 v0, v[7:8], off offset:2944
	s_wait_loadcnt 0x0
	v_and_b32_e32 v12, 0xffff, v0
	v_lshrrev_b32_e32 v0, 16, v0
	s_delay_alu instid0(VALU_DEP_2) | instskip(NEXT) | instid1(VALU_DEP_2)
	v_cvt_pk_f32_fp8_e32 v[12:13], v12
	v_cvt_pk_f32_fp8_e32 v[14:15], v0
	s_delay_alu instid0(VALU_DEP_1) | instskip(NEXT) | instid1(VALU_DEP_2)
	v_dual_mul_f32 v180, s23, v12 :: v_dual_mul_f32 v189, s26, v15
	v_dual_mul_f32 v179, s26, v13 :: v_dual_mul_f32 v178, s23, v14
	s_and_saveexec_b32 s27, vcc_lo
	s_cbranch_execz .LBB233_87
; %bb.86:                               ;   in Loop: Header=BB233_38 Depth=1
	v_cmp_gt_i32_e64 s0, s34, v142
	s_wait_alu 0xf1ff
	s_delay_alu instid0(VALU_DEP_1) | instskip(SKIP_2) | instid1(VALU_DEP_1)
	v_cndmask_b32_e64 v180, 0, v180, s0
	v_cmp_gt_i32_e64 s0, s34, v145
	s_wait_alu 0xf1ff
	v_cndmask_b32_e64 v179, 0, v179, s0
	v_cmp_gt_i32_e64 s0, s34, v144
	s_wait_alu 0xf1ff
	s_delay_alu instid0(VALU_DEP_1) | instskip(SKIP_2) | instid1(VALU_DEP_1)
	v_cndmask_b32_e64 v178, 0, v178, s0
	v_cmp_gt_i32_e64 s0, s34, v146
	s_wait_alu 0xf1ff
	v_cndmask_b32_e64 v189, 0, v189, s0
.LBB233_87:                             ;   in Loop: Header=BB233_38 Depth=1
	s_wait_alu 0xfffe
	s_or_b32 exec_lo, exec_lo, s27
	global_load_b32 v0, v[7:8], off offset:3072
	s_wait_loadcnt 0x0
	v_and_b32_e32 v12, 0xffff, v0
	v_lshrrev_b32_e32 v0, 16, v0
	s_delay_alu instid0(VALU_DEP_2) | instskip(NEXT) | instid1(VALU_DEP_2)
	v_cvt_pk_f32_fp8_e32 v[12:13], v12
	v_cvt_pk_f32_fp8_e32 v[14:15], v0
	s_delay_alu instid0(VALU_DEP_1) | instskip(NEXT) | instid1(VALU_DEP_2)
	v_dual_mul_f32 v184, s23, v12 :: v_dual_mul_f32 v181, s26, v15
	v_dual_mul_f32 v183, s26, v13 :: v_dual_mul_f32 v182, s23, v14
	;; [unrolled: 30-line block ×3, first 2 shown]
	s_and_saveexec_b32 s27, vcc_lo
	s_cbranch_execz .LBB233_91
; %bb.90:                               ;   in Loop: Header=BB233_38 Depth=1
	v_cmp_gt_i32_e64 s0, s34, v142
	s_wait_alu 0xf1ff
	s_delay_alu instid0(VALU_DEP_1) | instskip(SKIP_2) | instid1(VALU_DEP_1)
	v_cndmask_b32_e64 v188, 0, v188, s0
	v_cmp_gt_i32_e64 s0, s34, v145
	s_wait_alu 0xf1ff
	v_cndmask_b32_e64 v187, 0, v187, s0
	v_cmp_gt_i32_e64 s0, s34, v144
	s_wait_alu 0xf1ff
	s_delay_alu instid0(VALU_DEP_1) | instskip(SKIP_2) | instid1(VALU_DEP_1)
	v_cndmask_b32_e64 v186, 0, v186, s0
	v_cmp_gt_i32_e64 s0, s34, v146
	s_wait_alu 0xf1ff
	v_cndmask_b32_e64 v185, 0, v185, s0
.LBB233_91:                             ;   in Loop: Header=BB233_38 Depth=1
	s_wait_alu 0xfffe
	s_or_b32 exec_lo, exec_lo, s27
	global_load_b32 v0, v[7:8], off offset:3328
	s_wait_loadcnt 0x0
	v_and_b32_e32 v12, 0xffff, v0
	v_lshrrev_b32_e32 v0, 16, v0
	s_delay_alu instid0(VALU_DEP_2) | instskip(NEXT) | instid1(VALU_DEP_1)
	v_cvt_pk_f32_fp8_e32 v[12:13], v12
	v_dual_mul_f32 v191, s23, v12 :: v_dual_mul_f32 v190, s26, v13
	s_delay_alu instid0(VALU_DEP_3) | instskip(NEXT) | instid1(VALU_DEP_1)
	v_cvt_pk_f32_fp8_e32 v[12:13], v0
	v_mul_f32_e32 v78, s23, v12
	s_delay_alu instid0(VALU_DEP_2)
	v_mul_f32_e32 v164, s26, v13
	s_and_saveexec_b32 s27, vcc_lo
	s_cbranch_execz .LBB233_93
; %bb.92:                               ;   in Loop: Header=BB233_38 Depth=1
	v_cmp_gt_i32_e64 s0, s34, v142
	s_wait_alu 0xf1ff
	s_delay_alu instid0(VALU_DEP_1) | instskip(SKIP_2) | instid1(VALU_DEP_1)
	v_cndmask_b32_e64 v191, 0, v191, s0
	v_cmp_gt_i32_e64 s0, s34, v145
	s_wait_alu 0xf1ff
	v_cndmask_b32_e64 v190, 0, v190, s0
	v_cmp_gt_i32_e64 s0, s34, v144
	s_wait_alu 0xf1ff
	s_delay_alu instid0(VALU_DEP_1) | instskip(SKIP_2) | instid1(VALU_DEP_1)
	v_cndmask_b32_e64 v78, 0, v78, s0
	v_cmp_gt_i32_e64 s0, s34, v146
	s_wait_alu 0xf1ff
	v_cndmask_b32_e64 v164, 0, v164, s0
.LBB233_93:                             ;   in Loop: Header=BB233_38 Depth=1
	s_wait_alu 0xfffe
	s_or_b32 exec_lo, exec_lo, s27
	global_load_b32 v14, v[7:8], off offset:3456
	s_wait_loadcnt 0x0
	v_and_b32_e32 v0, 0xffff, v14
	s_delay_alu instid0(VALU_DEP_1) | instskip(NEXT) | instid1(VALU_DEP_1)
	v_cvt_pk_f32_fp8_e32 v[12:13], v0
	v_mul_f32_e32 v79, s23, v12
	v_lshrrev_b32_e32 v12, 16, v14
	s_delay_alu instid0(VALU_DEP_3) | instskip(NEXT) | instid1(VALU_DEP_2)
	v_mul_f32_e32 v0, s26, v13
	v_cvt_pk_f32_fp8_e32 v[12:13], v12
	s_delay_alu instid0(VALU_DEP_1)
	v_dual_mul_f32 v81, s23, v12 :: v_dual_mul_f32 v80, s26, v13
	s_and_saveexec_b32 s27, vcc_lo
	s_cbranch_execz .LBB233_95
; %bb.94:                               ;   in Loop: Header=BB233_38 Depth=1
	v_cmp_gt_i32_e64 s0, s34, v142
	s_wait_alu 0xf1ff
	s_delay_alu instid0(VALU_DEP_1) | instskip(SKIP_2) | instid1(VALU_DEP_1)
	v_cndmask_b32_e64 v79, 0, v79, s0
	v_cmp_gt_i32_e64 s0, s34, v145
	s_wait_alu 0xf1ff
	v_cndmask_b32_e64 v0, 0, v0, s0
	v_cmp_gt_i32_e64 s0, s34, v144
	s_wait_alu 0xf1ff
	s_delay_alu instid0(VALU_DEP_1) | instskip(SKIP_2) | instid1(VALU_DEP_1)
	v_cndmask_b32_e64 v81, 0, v81, s0
	v_cmp_gt_i32_e64 s0, s34, v146
	s_wait_alu 0xf1ff
	v_cndmask_b32_e64 v80, 0, v80, s0
.LBB233_95:                             ;   in Loop: Header=BB233_38 Depth=1
	s_wait_alu 0xfffe
	s_or_b32 exec_lo, exec_lo, s27
	global_load_b32 v14, v[7:8], off offset:3584
	s_wait_loadcnt 0x0
	v_and_b32_e32 v12, 0xffff, v14
	s_delay_alu instid0(VALU_DEP_1) | instskip(NEXT) | instid1(VALU_DEP_1)
	v_cvt_pk_f32_fp8_e32 v[12:13], v12
	v_dual_mul_f32 v15, s23, v12 :: v_dual_mul_f32 v12, s26, v13
	v_lshrrev_b32_e32 v13, 16, v14
	s_delay_alu instid0(VALU_DEP_1) | instskip(NEXT) | instid1(VALU_DEP_1)
	v_cvt_pk_f32_fp8_e32 v[16:17], v13
	v_dual_mul_f32 v14, s23, v16 :: v_dual_mul_f32 v13, s26, v17
	s_and_saveexec_b32 s27, vcc_lo
	s_cbranch_execz .LBB233_97
; %bb.96:                               ;   in Loop: Header=BB233_38 Depth=1
	v_cmp_gt_i32_e64 s0, s34, v142
	s_wait_alu 0xf1ff
	s_delay_alu instid0(VALU_DEP_1) | instskip(SKIP_2) | instid1(VALU_DEP_1)
	v_cndmask_b32_e64 v15, 0, v15, s0
	v_cmp_gt_i32_e64 s0, s34, v145
	s_wait_alu 0xf1ff
	v_cndmask_b32_e64 v12, 0, v12, s0
	v_cmp_gt_i32_e64 s0, s34, v144
	s_wait_alu 0xf1ff
	s_delay_alu instid0(VALU_DEP_1) | instskip(SKIP_2) | instid1(VALU_DEP_1)
	v_cndmask_b32_e64 v14, 0, v14, s0
	v_cmp_gt_i32_e64 s0, s34, v146
	s_wait_alu 0xf1ff
	v_cndmask_b32_e64 v13, 0, v13, s0
.LBB233_97:                             ;   in Loop: Header=BB233_38 Depth=1
	s_wait_alu 0xfffe
	s_or_b32 exec_lo, exec_lo, s27
	global_load_b32 v19, v[7:8], off offset:3712
	s_wait_loadcnt 0x0
	v_and_b32_e32 v16, 0xffff, v19
	s_delay_alu instid0(VALU_DEP_1) | instskip(NEXT) | instid1(VALU_DEP_1)
	v_cvt_pk_f32_fp8_e32 v[17:18], v16
	v_mul_f32_e32 v16, s26, v18
	v_lshrrev_b32_e32 v18, 16, v19
	s_delay_alu instid0(VALU_DEP_3) | instskip(NEXT) | instid1(VALU_DEP_2)
	v_mul_f32_e32 v17, s23, v17
	v_cvt_pk_f32_fp8_e32 v[19:20], v18
	s_delay_alu instid0(VALU_DEP_1)
	v_dual_mul_f32 v19, s23, v19 :: v_dual_mul_f32 v18, s26, v20
	s_and_saveexec_b32 s27, vcc_lo
	s_cbranch_execz .LBB233_99
; %bb.98:                               ;   in Loop: Header=BB233_38 Depth=1
	v_cmp_gt_i32_e64 s0, s34, v142
	s_wait_alu 0xf1ff
	s_delay_alu instid0(VALU_DEP_1) | instskip(SKIP_2) | instid1(VALU_DEP_1)
	v_cndmask_b32_e64 v17, 0, v17, s0
	v_cmp_gt_i32_e64 s0, s34, v145
	s_wait_alu 0xf1ff
	v_cndmask_b32_e64 v16, 0, v16, s0
	v_cmp_gt_i32_e64 s0, s34, v144
	s_wait_alu 0xf1ff
	s_delay_alu instid0(VALU_DEP_1) | instskip(SKIP_2) | instid1(VALU_DEP_1)
	v_cndmask_b32_e64 v19, 0, v19, s0
	v_cmp_gt_i32_e64 s0, s34, v146
	s_wait_alu 0xf1ff
	v_cndmask_b32_e64 v18, 0, v18, s0
.LBB233_99:                             ;   in Loop: Header=BB233_38 Depth=1
	s_wait_alu 0xfffe
	s_or_b32 exec_lo, exec_lo, s27
	global_load_b32 v23, v[7:8], off offset:3840
	s_wait_loadcnt 0x0
	v_and_b32_e32 v20, 0xffff, v23
	s_delay_alu instid0(VALU_DEP_1) | instskip(NEXT) | instid1(VALU_DEP_1)
	v_cvt_pk_f32_fp8_e32 v[21:22], v20
	v_mul_f32_e32 v20, s26, v22
	v_lshrrev_b32_e32 v22, 16, v23
	s_delay_alu instid0(VALU_DEP_3) | instskip(NEXT) | instid1(VALU_DEP_2)
	v_mul_f32_e32 v21, s23, v21
	v_cvt_pk_f32_fp8_e32 v[23:24], v22
	s_delay_alu instid0(VALU_DEP_1)
	v_dual_mul_f32 v23, s23, v23 :: v_dual_mul_f32 v22, s26, v24
	s_and_saveexec_b32 s27, vcc_lo
	s_cbranch_execz .LBB233_101
; %bb.100:                              ;   in Loop: Header=BB233_38 Depth=1
	v_cmp_gt_i32_e64 s0, s34, v142
	s_wait_alu 0xf1ff
	s_delay_alu instid0(VALU_DEP_1) | instskip(SKIP_2) | instid1(VALU_DEP_1)
	v_cndmask_b32_e64 v21, 0, v21, s0
	v_cmp_gt_i32_e64 s0, s34, v145
	s_wait_alu 0xf1ff
	v_cndmask_b32_e64 v20, 0, v20, s0
	v_cmp_gt_i32_e64 s0, s34, v144
	s_wait_alu 0xf1ff
	s_delay_alu instid0(VALU_DEP_1) | instskip(SKIP_2) | instid1(VALU_DEP_1)
	v_cndmask_b32_e64 v23, 0, v23, s0
	v_cmp_gt_i32_e64 s0, s34, v146
	s_wait_alu 0xf1ff
	v_cndmask_b32_e64 v22, 0, v22, s0
.LBB233_101:                            ;   in Loop: Header=BB233_38 Depth=1
	s_wait_alu 0xfffe
	s_or_b32 exec_lo, exec_lo, s27
	scratch_load_b32 v24, off, off offset:1368 ; 4-byte Folded Reload
	s_wait_loadcnt 0x0
	v_add_co_u32 v24, s0, v5, v24
	s_wait_alu 0xf1ff
	v_add_co_ci_u32_e64 v25, null, 0, v6, s0
	global_load_b32 v27, v[24:25], off
	s_wait_loadcnt 0x0
	v_and_b32_e32 v24, 0xffff, v27
	s_delay_alu instid0(VALU_DEP_1) | instskip(NEXT) | instid1(VALU_DEP_1)
	v_cvt_pk_f32_fp8_e32 v[24:25], v24
	v_mul_f32_e32 v26, s23, v24
	v_lshrrev_b32_e32 v24, 16, v27
	s_delay_alu instid0(VALU_DEP_3) | instskip(NEXT) | instid1(VALU_DEP_2)
	v_mul_f32_e32 v25, s26, v25
	v_cvt_pk_f32_fp8_e32 v[27:28], v24
	s_delay_alu instid0(VALU_DEP_1)
	v_dual_mul_f32 v27, s23, v27 :: v_dual_mul_f32 v24, s26, v28
	s_and_saveexec_b32 s27, vcc_lo
	s_cbranch_execz .LBB233_103
; %bb.102:                              ;   in Loop: Header=BB233_38 Depth=1
	v_cmp_gt_i32_e64 s0, s34, v142
	s_wait_alu 0xf1ff
	s_delay_alu instid0(VALU_DEP_1) | instskip(SKIP_2) | instid1(VALU_DEP_1)
	v_cndmask_b32_e64 v26, 0, v26, s0
	v_cmp_gt_i32_e64 s0, s34, v145
	s_wait_alu 0xf1ff
	v_cndmask_b32_e64 v25, 0, v25, s0
	v_cmp_gt_i32_e64 s0, s34, v144
	s_wait_alu 0xf1ff
	s_delay_alu instid0(VALU_DEP_1) | instskip(SKIP_2) | instid1(VALU_DEP_1)
	v_cndmask_b32_e64 v27, 0, v27, s0
	v_cmp_gt_i32_e64 s0, s34, v146
	s_wait_alu 0xf1ff
	v_cndmask_b32_e64 v24, 0, v24, s0
.LBB233_103:                            ;   in Loop: Header=BB233_38 Depth=1
	s_wait_alu 0xfffe
	s_or_b32 exec_lo, exec_lo, s27
	global_load_b32 v32, v[7:8], off offset:4096
	s_wait_loadcnt 0x0
	v_and_b32_e32 v28, 0xffff, v32
	s_delay_alu instid0(VALU_DEP_1) | instskip(NEXT) | instid1(VALU_DEP_1)
	v_cvt_pk_f32_fp8_e32 v[28:29], v28
	v_dual_mul_f32 v31, s23, v28 :: v_dual_mul_f32 v30, s26, v29
	v_lshrrev_b32_e32 v28, 16, v32
	s_delay_alu instid0(VALU_DEP_1) | instskip(NEXT) | instid1(VALU_DEP_1)
	v_cvt_pk_f32_fp8_e32 v[32:33], v28
	v_dual_mul_f32 v29, s23, v32 :: v_dual_mul_f32 v28, s26, v33
	s_and_saveexec_b32 s27, vcc_lo
	s_cbranch_execz .LBB233_105
; %bb.104:                              ;   in Loop: Header=BB233_38 Depth=1
	v_cmp_gt_i32_e64 s0, s34, v142
	s_wait_alu 0xf1ff
	s_delay_alu instid0(VALU_DEP_1) | instskip(SKIP_2) | instid1(VALU_DEP_1)
	v_cndmask_b32_e64 v31, 0, v31, s0
	v_cmp_gt_i32_e64 s0, s34, v145
	s_wait_alu 0xf1ff
	v_cndmask_b32_e64 v30, 0, v30, s0
	v_cmp_gt_i32_e64 s0, s34, v144
	s_wait_alu 0xf1ff
	s_delay_alu instid0(VALU_DEP_1) | instskip(SKIP_2) | instid1(VALU_DEP_1)
	v_cndmask_b32_e64 v29, 0, v29, s0
	v_cmp_gt_i32_e64 s0, s34, v146
	s_wait_alu 0xf1ff
	v_cndmask_b32_e64 v28, 0, v28, s0
.LBB233_105:                            ;   in Loop: Header=BB233_38 Depth=1
	s_wait_alu 0xfffe
	s_or_b32 exec_lo, exec_lo, s27
	global_load_b32 v36, v[7:8], off offset:4224
	s_wait_loadcnt 0x0
	v_and_b32_e32 v32, 0xffff, v36
	s_delay_alu instid0(VALU_DEP_1) | instskip(NEXT) | instid1(VALU_DEP_1)
	v_cvt_pk_f32_fp8_e32 v[32:33], v32
	v_dual_mul_f32 v35, s23, v32 :: v_dual_mul_f32 v34, s26, v33
	v_lshrrev_b32_e32 v32, 16, v36
	s_delay_alu instid0(VALU_DEP_1) | instskip(NEXT) | instid1(VALU_DEP_1)
	v_cvt_pk_f32_fp8_e32 v[36:37], v32
	v_dual_mul_f32 v33, s23, v36 :: v_dual_mul_f32 v32, s26, v37
	s_and_saveexec_b32 s27, vcc_lo
	s_cbranch_execz .LBB233_107
; %bb.106:                              ;   in Loop: Header=BB233_38 Depth=1
	v_cmp_gt_i32_e64 s0, s34, v142
	s_wait_alu 0xf1ff
	s_delay_alu instid0(VALU_DEP_1) | instskip(SKIP_2) | instid1(VALU_DEP_1)
	v_cndmask_b32_e64 v35, 0, v35, s0
	v_cmp_gt_i32_e64 s0, s34, v145
	s_wait_alu 0xf1ff
	v_cndmask_b32_e64 v34, 0, v34, s0
	v_cmp_gt_i32_e64 s0, s34, v144
	s_wait_alu 0xf1ff
	s_delay_alu instid0(VALU_DEP_1) | instskip(SKIP_2) | instid1(VALU_DEP_1)
	v_cndmask_b32_e64 v33, 0, v33, s0
	v_cmp_gt_i32_e64 s0, s34, v146
	s_wait_alu 0xf1ff
	v_cndmask_b32_e64 v32, 0, v32, s0
.LBB233_107:                            ;   in Loop: Header=BB233_38 Depth=1
	s_wait_alu 0xfffe
	s_or_b32 exec_lo, exec_lo, s27
	global_load_b32 v39, v[7:8], off offset:4352
	s_wait_loadcnt 0x0
	v_and_b32_e32 v36, 0xffff, v39
	s_delay_alu instid0(VALU_DEP_1) | instskip(NEXT) | instid1(VALU_DEP_1)
	v_cvt_pk_f32_fp8_e32 v[37:38], v36
	v_mul_f32_e32 v36, s26, v38
	v_lshrrev_b32_e32 v38, 16, v39
	s_delay_alu instid0(VALU_DEP_3) | instskip(NEXT) | instid1(VALU_DEP_2)
	v_mul_f32_e32 v37, s23, v37
	v_cvt_pk_f32_fp8_e32 v[39:40], v38
	s_delay_alu instid0(VALU_DEP_1)
	v_dual_mul_f32 v39, s23, v39 :: v_dual_mul_f32 v38, s26, v40
	s_and_saveexec_b32 s27, vcc_lo
	s_cbranch_execz .LBB233_109
; %bb.108:                              ;   in Loop: Header=BB233_38 Depth=1
	v_cmp_gt_i32_e64 s0, s34, v142
	s_wait_alu 0xf1ff
	s_delay_alu instid0(VALU_DEP_1) | instskip(SKIP_2) | instid1(VALU_DEP_1)
	v_cndmask_b32_e64 v37, 0, v37, s0
	v_cmp_gt_i32_e64 s0, s34, v145
	s_wait_alu 0xf1ff
	v_cndmask_b32_e64 v36, 0, v36, s0
	v_cmp_gt_i32_e64 s0, s34, v144
	s_wait_alu 0xf1ff
	s_delay_alu instid0(VALU_DEP_1) | instskip(SKIP_2) | instid1(VALU_DEP_1)
	v_cndmask_b32_e64 v39, 0, v39, s0
	v_cmp_gt_i32_e64 s0, s34, v146
	s_wait_alu 0xf1ff
	v_cndmask_b32_e64 v38, 0, v38, s0
.LBB233_109:                            ;   in Loop: Header=BB233_38 Depth=1
	s_wait_alu 0xfffe
	s_or_b32 exec_lo, exec_lo, s27
	global_load_b32 v43, v[7:8], off offset:4480
	s_wait_loadcnt 0x0
	v_and_b32_e32 v40, 0xffff, v43
	s_delay_alu instid0(VALU_DEP_1) | instskip(NEXT) | instid1(VALU_DEP_1)
	v_cvt_pk_f32_fp8_e32 v[41:42], v40
	v_mul_f32_e32 v40, s26, v42
	v_lshrrev_b32_e32 v42, 16, v43
	s_delay_alu instid0(VALU_DEP_3) | instskip(NEXT) | instid1(VALU_DEP_2)
	v_mul_f32_e32 v41, s23, v41
	v_cvt_pk_f32_fp8_e32 v[43:44], v42
	s_delay_alu instid0(VALU_DEP_1)
	;; [unrolled: 32-line block ×3, first 2 shown]
	v_dual_mul_f32 v47, s23, v47 :: v_dual_mul_f32 v44, s26, v48
	s_and_saveexec_b32 s27, vcc_lo
	s_cbranch_execz .LBB233_113
; %bb.112:                              ;   in Loop: Header=BB233_38 Depth=1
	v_cmp_gt_i32_e64 s0, s34, v142
	s_wait_alu 0xf1ff
	s_delay_alu instid0(VALU_DEP_1) | instskip(SKIP_2) | instid1(VALU_DEP_1)
	v_cndmask_b32_e64 v46, 0, v46, s0
	v_cmp_gt_i32_e64 s0, s34, v145
	s_wait_alu 0xf1ff
	v_cndmask_b32_e64 v45, 0, v45, s0
	v_cmp_gt_i32_e64 s0, s34, v144
	s_wait_alu 0xf1ff
	s_delay_alu instid0(VALU_DEP_1) | instskip(SKIP_2) | instid1(VALU_DEP_1)
	v_cndmask_b32_e64 v47, 0, v47, s0
	v_cmp_gt_i32_e64 s0, s34, v146
	s_wait_alu 0xf1ff
	v_cndmask_b32_e64 v44, 0, v44, s0
.LBB233_113:                            ;   in Loop: Header=BB233_38 Depth=1
	s_wait_alu 0xfffe
	s_or_b32 exec_lo, exec_lo, s27
	global_load_b32 v52, v[7:8], off offset:4736
	s_wait_loadcnt 0x0
	v_and_b32_e32 v48, 0xffff, v52
	s_delay_alu instid0(VALU_DEP_1) | instskip(NEXT) | instid1(VALU_DEP_1)
	v_cvt_pk_f32_fp8_e32 v[48:49], v48
	v_dual_mul_f32 v51, s23, v48 :: v_dual_mul_f32 v50, s26, v49
	v_lshrrev_b32_e32 v48, 16, v52
	s_delay_alu instid0(VALU_DEP_1) | instskip(NEXT) | instid1(VALU_DEP_1)
	v_cvt_pk_f32_fp8_e32 v[52:53], v48
	v_dual_mul_f32 v49, s23, v52 :: v_dual_mul_f32 v48, s26, v53
	s_and_saveexec_b32 s27, vcc_lo
	s_cbranch_execz .LBB233_115
; %bb.114:                              ;   in Loop: Header=BB233_38 Depth=1
	v_cmp_gt_i32_e64 s0, s34, v142
	s_wait_alu 0xf1ff
	s_delay_alu instid0(VALU_DEP_1) | instskip(SKIP_2) | instid1(VALU_DEP_1)
	v_cndmask_b32_e64 v51, 0, v51, s0
	v_cmp_gt_i32_e64 s0, s34, v145
	s_wait_alu 0xf1ff
	v_cndmask_b32_e64 v50, 0, v50, s0
	v_cmp_gt_i32_e64 s0, s34, v144
	s_wait_alu 0xf1ff
	s_delay_alu instid0(VALU_DEP_1) | instskip(SKIP_2) | instid1(VALU_DEP_1)
	v_cndmask_b32_e64 v49, 0, v49, s0
	v_cmp_gt_i32_e64 s0, s34, v146
	s_wait_alu 0xf1ff
	v_cndmask_b32_e64 v48, 0, v48, s0
.LBB233_115:                            ;   in Loop: Header=BB233_38 Depth=1
	s_wait_alu 0xfffe
	s_or_b32 exec_lo, exec_lo, s27
	global_load_b32 v56, v[7:8], off offset:4864
	s_wait_loadcnt 0x0
	v_and_b32_e32 v52, 0xffff, v56
	s_delay_alu instid0(VALU_DEP_1) | instskip(NEXT) | instid1(VALU_DEP_1)
	v_cvt_pk_f32_fp8_e32 v[52:53], v52
	v_dual_mul_f32 v55, s23, v52 :: v_dual_mul_f32 v54, s26, v53
	v_lshrrev_b32_e32 v52, 16, v56
	s_delay_alu instid0(VALU_DEP_1) | instskip(NEXT) | instid1(VALU_DEP_1)
	v_cvt_pk_f32_fp8_e32 v[56:57], v52
	v_dual_mul_f32 v53, s23, v56 :: v_dual_mul_f32 v52, s26, v57
	s_and_saveexec_b32 s27, vcc_lo
	s_cbranch_execz .LBB233_117
; %bb.116:                              ;   in Loop: Header=BB233_38 Depth=1
	v_cmp_gt_i32_e64 s0, s34, v142
	s_wait_alu 0xf1ff
	s_delay_alu instid0(VALU_DEP_1) | instskip(SKIP_2) | instid1(VALU_DEP_1)
	v_cndmask_b32_e64 v55, 0, v55, s0
	v_cmp_gt_i32_e64 s0, s34, v145
	s_wait_alu 0xf1ff
	v_cndmask_b32_e64 v54, 0, v54, s0
	v_cmp_gt_i32_e64 s0, s34, v144
	s_wait_alu 0xf1ff
	s_delay_alu instid0(VALU_DEP_1) | instskip(SKIP_2) | instid1(VALU_DEP_1)
	v_cndmask_b32_e64 v53, 0, v53, s0
	v_cmp_gt_i32_e64 s0, s34, v146
	s_wait_alu 0xf1ff
	v_cndmask_b32_e64 v52, 0, v52, s0
.LBB233_117:                            ;   in Loop: Header=BB233_38 Depth=1
	s_wait_alu 0xfffe
	s_or_b32 exec_lo, exec_lo, s27
	global_load_b32 v59, v[7:8], off offset:4992
	s_wait_loadcnt 0x0
	v_and_b32_e32 v56, 0xffff, v59
	s_delay_alu instid0(VALU_DEP_1) | instskip(NEXT) | instid1(VALU_DEP_1)
	v_cvt_pk_f32_fp8_e32 v[57:58], v56
	v_mul_f32_e32 v56, s26, v58
	v_lshrrev_b32_e32 v58, 16, v59
	s_delay_alu instid0(VALU_DEP_3) | instskip(NEXT) | instid1(VALU_DEP_2)
	v_mul_f32_e32 v57, s23, v57
	v_cvt_pk_f32_fp8_e32 v[59:60], v58
	s_delay_alu instid0(VALU_DEP_1)
	v_dual_mul_f32 v59, s23, v59 :: v_dual_mul_f32 v58, s26, v60
	s_and_saveexec_b32 s27, vcc_lo
	s_cbranch_execz .LBB233_119
; %bb.118:                              ;   in Loop: Header=BB233_38 Depth=1
	v_cmp_gt_i32_e64 s0, s34, v142
	s_wait_alu 0xf1ff
	s_delay_alu instid0(VALU_DEP_1) | instskip(SKIP_2) | instid1(VALU_DEP_1)
	v_cndmask_b32_e64 v57, 0, v57, s0
	v_cmp_gt_i32_e64 s0, s34, v145
	s_wait_alu 0xf1ff
	v_cndmask_b32_e64 v56, 0, v56, s0
	v_cmp_gt_i32_e64 s0, s34, v144
	s_wait_alu 0xf1ff
	s_delay_alu instid0(VALU_DEP_1) | instskip(SKIP_2) | instid1(VALU_DEP_1)
	v_cndmask_b32_e64 v59, 0, v59, s0
	v_cmp_gt_i32_e64 s0, s34, v146
	s_wait_alu 0xf1ff
	v_cndmask_b32_e64 v58, 0, v58, s0
.LBB233_119:                            ;   in Loop: Header=BB233_38 Depth=1
	s_wait_alu 0xfffe
	s_or_b32 exec_lo, exec_lo, s27
	global_load_b32 v63, v[7:8], off offset:5120
	s_wait_loadcnt 0x0
	v_and_b32_e32 v60, 0xffff, v63
	s_delay_alu instid0(VALU_DEP_1) | instskip(NEXT) | instid1(VALU_DEP_1)
	v_cvt_pk_f32_fp8_e32 v[61:62], v60
	v_mul_f32_e32 v60, s26, v62
	v_lshrrev_b32_e32 v62, 16, v63
	s_delay_alu instid0(VALU_DEP_3) | instskip(NEXT) | instid1(VALU_DEP_2)
	v_mul_f32_e32 v61, s23, v61
	v_cvt_pk_f32_fp8_e32 v[63:64], v62
	s_delay_alu instid0(VALU_DEP_1)
	;; [unrolled: 32-line block ×3, first 2 shown]
	v_dual_mul_f32 v67, s23, v67 :: v_dual_mul_f32 v64, s26, v68
	s_and_saveexec_b32 s27, vcc_lo
	s_cbranch_execz .LBB233_123
; %bb.122:                              ;   in Loop: Header=BB233_38 Depth=1
	v_cmp_gt_i32_e64 s0, s34, v142
	s_wait_alu 0xf1ff
	s_delay_alu instid0(VALU_DEP_1) | instskip(SKIP_2) | instid1(VALU_DEP_1)
	v_cndmask_b32_e64 v66, 0, v66, s0
	v_cmp_gt_i32_e64 s0, s34, v145
	s_wait_alu 0xf1ff
	v_cndmask_b32_e64 v65, 0, v65, s0
	v_cmp_gt_i32_e64 s0, s34, v144
	s_wait_alu 0xf1ff
	s_delay_alu instid0(VALU_DEP_1) | instskip(SKIP_2) | instid1(VALU_DEP_1)
	v_cndmask_b32_e64 v67, 0, v67, s0
	v_cmp_gt_i32_e64 s0, s34, v146
	s_wait_alu 0xf1ff
	v_cndmask_b32_e64 v64, 0, v64, s0
.LBB233_123:                            ;   in Loop: Header=BB233_38 Depth=1
	s_wait_alu 0xfffe
	s_or_b32 exec_lo, exec_lo, s27
	global_load_b32 v74, v[7:8], off offset:5376
	s_wait_loadcnt 0x0
	v_and_b32_e32 v68, 0xffff, v74
	s_delay_alu instid0(VALU_DEP_1) | instskip(NEXT) | instid1(VALU_DEP_1)
	v_cvt_pk_f32_fp8_e32 v[68:69], v68
	v_dual_mul_f32 v73, s23, v68 :: v_dual_mul_f32 v70, s26, v69
	v_lshrrev_b32_e32 v68, 16, v74
	s_delay_alu instid0(VALU_DEP_1) | instskip(NEXT) | instid1(VALU_DEP_1)
	v_cvt_pk_f32_fp8_e32 v[74:75], v68
	v_dual_mul_f32 v69, s23, v74 :: v_dual_mul_f32 v68, s26, v75
	s_and_saveexec_b32 s27, vcc_lo
	s_cbranch_execz .LBB233_125
; %bb.124:                              ;   in Loop: Header=BB233_38 Depth=1
	v_cmp_gt_i32_e64 s0, s34, v142
	s_wait_alu 0xf1ff
	s_delay_alu instid0(VALU_DEP_1) | instskip(SKIP_2) | instid1(VALU_DEP_1)
	v_cndmask_b32_e64 v73, 0, v73, s0
	v_cmp_gt_i32_e64 s0, s34, v145
	s_wait_alu 0xf1ff
	v_cndmask_b32_e64 v70, 0, v70, s0
	v_cmp_gt_i32_e64 s0, s34, v144
	s_wait_alu 0xf1ff
	s_delay_alu instid0(VALU_DEP_1) | instskip(SKIP_2) | instid1(VALU_DEP_1)
	v_cndmask_b32_e64 v69, 0, v69, s0
	v_cmp_gt_i32_e64 s0, s34, v146
	s_wait_alu 0xf1ff
	v_cndmask_b32_e64 v68, 0, v68, s0
.LBB233_125:                            ;   in Loop: Header=BB233_38 Depth=1
	s_wait_alu 0xfffe
	s_or_b32 exec_lo, exec_lo, s27
	global_load_b32 v82, v[7:8], off offset:5504
	s_wait_loadcnt 0x0
	v_and_b32_e32 v74, 0xffff, v82
	s_delay_alu instid0(VALU_DEP_1) | instskip(NEXT) | instid1(VALU_DEP_1)
	v_cvt_pk_f32_fp8_e32 v[74:75], v74
	v_dual_mul_f32 v77, s23, v74 :: v_dual_mul_f32 v76, s26, v75
	v_lshrrev_b32_e32 v74, 16, v82
	s_delay_alu instid0(VALU_DEP_1) | instskip(NEXT) | instid1(VALU_DEP_1)
	v_cvt_pk_f32_fp8_e32 v[82:83], v74
	v_dual_mul_f32 v75, s23, v82 :: v_dual_mul_f32 v74, s26, v83
	s_and_saveexec_b32 s27, vcc_lo
	s_cbranch_execz .LBB233_127
; %bb.126:                              ;   in Loop: Header=BB233_38 Depth=1
	v_cmp_gt_i32_e64 s0, s34, v142
	s_wait_alu 0xf1ff
	s_delay_alu instid0(VALU_DEP_1) | instskip(SKIP_2) | instid1(VALU_DEP_1)
	v_cndmask_b32_e64 v77, 0, v77, s0
	v_cmp_gt_i32_e64 s0, s34, v145
	s_wait_alu 0xf1ff
	v_cndmask_b32_e64 v76, 0, v76, s0
	v_cmp_gt_i32_e64 s0, s34, v144
	s_wait_alu 0xf1ff
	s_delay_alu instid0(VALU_DEP_1) | instskip(SKIP_2) | instid1(VALU_DEP_1)
	v_cndmask_b32_e64 v75, 0, v75, s0
	v_cmp_gt_i32_e64 s0, s34, v146
	s_wait_alu 0xf1ff
	v_cndmask_b32_e64 v74, 0, v74, s0
.LBB233_127:                            ;   in Loop: Header=BB233_38 Depth=1
	s_wait_alu 0xfffe
	s_or_b32 exec_lo, exec_lo, s27
	global_load_b32 v85, v[7:8], off offset:5632
	s_wait_loadcnt 0x0
	v_and_b32_e32 v82, 0xffff, v85
	s_delay_alu instid0(VALU_DEP_1) | instskip(NEXT) | instid1(VALU_DEP_1)
	v_cvt_pk_f32_fp8_e32 v[83:84], v82
	v_mul_f32_e32 v82, s26, v84
	v_lshrrev_b32_e32 v84, 16, v85
	s_delay_alu instid0(VALU_DEP_3) | instskip(NEXT) | instid1(VALU_DEP_2)
	v_mul_f32_e32 v83, s23, v83
	v_cvt_pk_f32_fp8_e32 v[85:86], v84
	s_delay_alu instid0(VALU_DEP_1)
	v_dual_mul_f32 v85, s23, v85 :: v_dual_mul_f32 v84, s26, v86
	s_and_saveexec_b32 s27, vcc_lo
	s_cbranch_execz .LBB233_129
; %bb.128:                              ;   in Loop: Header=BB233_38 Depth=1
	v_cmp_gt_i32_e64 s0, s34, v142
	s_wait_alu 0xf1ff
	s_delay_alu instid0(VALU_DEP_1) | instskip(SKIP_2) | instid1(VALU_DEP_1)
	v_cndmask_b32_e64 v83, 0, v83, s0
	v_cmp_gt_i32_e64 s0, s34, v145
	s_wait_alu 0xf1ff
	v_cndmask_b32_e64 v82, 0, v82, s0
	v_cmp_gt_i32_e64 s0, s34, v144
	s_wait_alu 0xf1ff
	s_delay_alu instid0(VALU_DEP_1) | instskip(SKIP_2) | instid1(VALU_DEP_1)
	v_cndmask_b32_e64 v85, 0, v85, s0
	v_cmp_gt_i32_e64 s0, s34, v146
	s_wait_alu 0xf1ff
	v_cndmask_b32_e64 v84, 0, v84, s0
.LBB233_129:                            ;   in Loop: Header=BB233_38 Depth=1
	s_wait_alu 0xfffe
	s_or_b32 exec_lo, exec_lo, s27
	global_load_b32 v89, v[7:8], off offset:5760
	s_wait_loadcnt 0x0
	v_and_b32_e32 v86, 0xffff, v89
	s_delay_alu instid0(VALU_DEP_1) | instskip(NEXT) | instid1(VALU_DEP_1)
	v_cvt_pk_f32_fp8_e32 v[87:88], v86
	v_mul_f32_e32 v86, s26, v88
	v_lshrrev_b32_e32 v88, 16, v89
	s_delay_alu instid0(VALU_DEP_3) | instskip(NEXT) | instid1(VALU_DEP_2)
	v_mul_f32_e32 v87, s23, v87
	v_cvt_pk_f32_fp8_e32 v[89:90], v88
	s_delay_alu instid0(VALU_DEP_1)
	;; [unrolled: 32-line block ×3, first 2 shown]
	v_dual_mul_f32 v93, s23, v93 :: v_dual_mul_f32 v90, s26, v94
	s_and_saveexec_b32 s27, vcc_lo
	s_cbranch_execz .LBB233_133
; %bb.132:                              ;   in Loop: Header=BB233_38 Depth=1
	v_cmp_gt_i32_e64 s0, s34, v142
	s_wait_alu 0xf1ff
	s_delay_alu instid0(VALU_DEP_1) | instskip(SKIP_2) | instid1(VALU_DEP_1)
	v_cndmask_b32_e64 v92, 0, v92, s0
	v_cmp_gt_i32_e64 s0, s34, v145
	s_wait_alu 0xf1ff
	v_cndmask_b32_e64 v91, 0, v91, s0
	v_cmp_gt_i32_e64 s0, s34, v144
	s_wait_alu 0xf1ff
	s_delay_alu instid0(VALU_DEP_1) | instskip(SKIP_2) | instid1(VALU_DEP_1)
	v_cndmask_b32_e64 v93, 0, v93, s0
	v_cmp_gt_i32_e64 s0, s34, v146
	s_wait_alu 0xf1ff
	v_cndmask_b32_e64 v90, 0, v90, s0
.LBB233_133:                            ;   in Loop: Header=BB233_38 Depth=1
	s_wait_alu 0xfffe
	s_or_b32 exec_lo, exec_lo, s27
	global_load_b32 v98, v[7:8], off offset:6016
	s_wait_loadcnt 0x0
	v_and_b32_e32 v94, 0xffff, v98
	s_delay_alu instid0(VALU_DEP_1) | instskip(NEXT) | instid1(VALU_DEP_1)
	v_cvt_pk_f32_fp8_e32 v[94:95], v94
	v_dual_mul_f32 v97, s23, v94 :: v_dual_mul_f32 v96, s26, v95
	v_lshrrev_b32_e32 v94, 16, v98
	s_delay_alu instid0(VALU_DEP_1) | instskip(NEXT) | instid1(VALU_DEP_1)
	v_cvt_pk_f32_fp8_e32 v[98:99], v94
	v_dual_mul_f32 v95, s23, v98 :: v_dual_mul_f32 v94, s26, v99
	s_and_saveexec_b32 s27, vcc_lo
	s_cbranch_execz .LBB233_135
; %bb.134:                              ;   in Loop: Header=BB233_38 Depth=1
	v_cmp_gt_i32_e64 s0, s34, v142
	s_wait_alu 0xf1ff
	s_delay_alu instid0(VALU_DEP_1) | instskip(SKIP_2) | instid1(VALU_DEP_1)
	v_cndmask_b32_e64 v97, 0, v97, s0
	v_cmp_gt_i32_e64 s0, s34, v145
	s_wait_alu 0xf1ff
	v_cndmask_b32_e64 v96, 0, v96, s0
	v_cmp_gt_i32_e64 s0, s34, v144
	s_wait_alu 0xf1ff
	s_delay_alu instid0(VALU_DEP_1) | instskip(SKIP_2) | instid1(VALU_DEP_1)
	v_cndmask_b32_e64 v95, 0, v95, s0
	v_cmp_gt_i32_e64 s0, s34, v146
	s_wait_alu 0xf1ff
	v_cndmask_b32_e64 v94, 0, v94, s0
.LBB233_135:                            ;   in Loop: Header=BB233_38 Depth=1
	s_wait_alu 0xfffe
	s_or_b32 exec_lo, exec_lo, s27
	global_load_b32 v102, v[7:8], off offset:6144
	s_wait_loadcnt 0x0
	v_and_b32_e32 v98, 0xffff, v102
	s_delay_alu instid0(VALU_DEP_1) | instskip(NEXT) | instid1(VALU_DEP_1)
	v_cvt_pk_f32_fp8_e32 v[98:99], v98
	v_dual_mul_f32 v101, s23, v98 :: v_dual_mul_f32 v100, s26, v99
	v_lshrrev_b32_e32 v98, 16, v102
	s_delay_alu instid0(VALU_DEP_1) | instskip(NEXT) | instid1(VALU_DEP_1)
	v_cvt_pk_f32_fp8_e32 v[102:103], v98
	v_dual_mul_f32 v99, s23, v102 :: v_dual_mul_f32 v98, s26, v103
	s_and_saveexec_b32 s27, vcc_lo
	s_cbranch_execz .LBB233_137
; %bb.136:                              ;   in Loop: Header=BB233_38 Depth=1
	v_cmp_gt_i32_e64 s0, s34, v142
	s_wait_alu 0xf1ff
	s_delay_alu instid0(VALU_DEP_1) | instskip(SKIP_2) | instid1(VALU_DEP_1)
	v_cndmask_b32_e64 v101, 0, v101, s0
	v_cmp_gt_i32_e64 s0, s34, v145
	s_wait_alu 0xf1ff
	v_cndmask_b32_e64 v100, 0, v100, s0
	v_cmp_gt_i32_e64 s0, s34, v144
	s_wait_alu 0xf1ff
	s_delay_alu instid0(VALU_DEP_1) | instskip(SKIP_2) | instid1(VALU_DEP_1)
	v_cndmask_b32_e64 v99, 0, v99, s0
	v_cmp_gt_i32_e64 s0, s34, v146
	s_wait_alu 0xf1ff
	v_cndmask_b32_e64 v98, 0, v98, s0
.LBB233_137:                            ;   in Loop: Header=BB233_38 Depth=1
	s_wait_alu 0xfffe
	s_or_b32 exec_lo, exec_lo, s27
	global_load_b32 v105, v[7:8], off offset:6272
	s_wait_loadcnt 0x0
	v_and_b32_e32 v102, 0xffff, v105
	s_delay_alu instid0(VALU_DEP_1) | instskip(NEXT) | instid1(VALU_DEP_1)
	v_cvt_pk_f32_fp8_e32 v[103:104], v102
	v_mul_f32_e32 v102, s26, v104
	v_lshrrev_b32_e32 v104, 16, v105
	s_delay_alu instid0(VALU_DEP_3) | instskip(NEXT) | instid1(VALU_DEP_2)
	v_mul_f32_e32 v103, s23, v103
	v_cvt_pk_f32_fp8_e32 v[105:106], v104
	s_delay_alu instid0(VALU_DEP_1)
	v_dual_mul_f32 v105, s23, v105 :: v_dual_mul_f32 v104, s26, v106
	s_and_saveexec_b32 s27, vcc_lo
	s_cbranch_execz .LBB233_139
; %bb.138:                              ;   in Loop: Header=BB233_38 Depth=1
	v_cmp_gt_i32_e64 s0, s34, v142
	s_wait_alu 0xf1ff
	s_delay_alu instid0(VALU_DEP_1) | instskip(SKIP_2) | instid1(VALU_DEP_1)
	v_cndmask_b32_e64 v103, 0, v103, s0
	v_cmp_gt_i32_e64 s0, s34, v145
	s_wait_alu 0xf1ff
	v_cndmask_b32_e64 v102, 0, v102, s0
	v_cmp_gt_i32_e64 s0, s34, v144
	s_wait_alu 0xf1ff
	s_delay_alu instid0(VALU_DEP_1) | instskip(SKIP_2) | instid1(VALU_DEP_1)
	v_cndmask_b32_e64 v105, 0, v105, s0
	v_cmp_gt_i32_e64 s0, s34, v146
	s_wait_alu 0xf1ff
	v_cndmask_b32_e64 v104, 0, v104, s0
.LBB233_139:                            ;   in Loop: Header=BB233_38 Depth=1
	s_wait_alu 0xfffe
	s_or_b32 exec_lo, exec_lo, s27
	global_load_b32 v109, v[7:8], off offset:6400
	s_wait_loadcnt 0x0
	v_and_b32_e32 v106, 0xffff, v109
	s_delay_alu instid0(VALU_DEP_1) | instskip(NEXT) | instid1(VALU_DEP_1)
	v_cvt_pk_f32_fp8_e32 v[107:108], v106
	v_mul_f32_e32 v106, s26, v108
	v_lshrrev_b32_e32 v108, 16, v109
	s_delay_alu instid0(VALU_DEP_3) | instskip(NEXT) | instid1(VALU_DEP_2)
	v_mul_f32_e32 v107, s23, v107
	v_cvt_pk_f32_fp8_e32 v[109:110], v108
	s_delay_alu instid0(VALU_DEP_1)
	;; [unrolled: 32-line block ×3, first 2 shown]
	v_dual_mul_f32 v113, s23, v113 :: v_dual_mul_f32 v110, s26, v114
	s_and_saveexec_b32 s27, vcc_lo
	s_cbranch_execz .LBB233_143
; %bb.142:                              ;   in Loop: Header=BB233_38 Depth=1
	v_cmp_gt_i32_e64 s0, s34, v142
	s_wait_alu 0xf1ff
	s_delay_alu instid0(VALU_DEP_1) | instskip(SKIP_2) | instid1(VALU_DEP_1)
	v_cndmask_b32_e64 v112, 0, v112, s0
	v_cmp_gt_i32_e64 s0, s34, v145
	s_wait_alu 0xf1ff
	v_cndmask_b32_e64 v111, 0, v111, s0
	v_cmp_gt_i32_e64 s0, s34, v144
	s_wait_alu 0xf1ff
	s_delay_alu instid0(VALU_DEP_1) | instskip(SKIP_2) | instid1(VALU_DEP_1)
	v_cndmask_b32_e64 v113, 0, v113, s0
	v_cmp_gt_i32_e64 s0, s34, v146
	s_wait_alu 0xf1ff
	v_cndmask_b32_e64 v110, 0, v110, s0
.LBB233_143:                            ;   in Loop: Header=BB233_38 Depth=1
	s_wait_alu 0xfffe
	s_or_b32 exec_lo, exec_lo, s27
	global_load_b32 v118, v[7:8], off offset:6656
	s_wait_loadcnt 0x0
	v_and_b32_e32 v114, 0xffff, v118
	s_delay_alu instid0(VALU_DEP_1) | instskip(NEXT) | instid1(VALU_DEP_1)
	v_cvt_pk_f32_fp8_e32 v[114:115], v114
	v_dual_mul_f32 v117, s23, v114 :: v_dual_mul_f32 v116, s26, v115
	v_lshrrev_b32_e32 v114, 16, v118
	s_delay_alu instid0(VALU_DEP_1) | instskip(NEXT) | instid1(VALU_DEP_1)
	v_cvt_pk_f32_fp8_e32 v[118:119], v114
	v_dual_mul_f32 v115, s23, v118 :: v_dual_mul_f32 v114, s26, v119
	s_and_saveexec_b32 s27, vcc_lo
	s_cbranch_execz .LBB233_145
; %bb.144:                              ;   in Loop: Header=BB233_38 Depth=1
	v_cmp_gt_i32_e64 s0, s34, v142
	s_wait_alu 0xf1ff
	s_delay_alu instid0(VALU_DEP_1) | instskip(SKIP_2) | instid1(VALU_DEP_1)
	v_cndmask_b32_e64 v117, 0, v117, s0
	v_cmp_gt_i32_e64 s0, s34, v145
	s_wait_alu 0xf1ff
	v_cndmask_b32_e64 v116, 0, v116, s0
	v_cmp_gt_i32_e64 s0, s34, v144
	s_wait_alu 0xf1ff
	s_delay_alu instid0(VALU_DEP_1) | instskip(SKIP_2) | instid1(VALU_DEP_1)
	v_cndmask_b32_e64 v115, 0, v115, s0
	v_cmp_gt_i32_e64 s0, s34, v146
	s_wait_alu 0xf1ff
	v_cndmask_b32_e64 v114, 0, v114, s0
.LBB233_145:                            ;   in Loop: Header=BB233_38 Depth=1
	s_wait_alu 0xfffe
	s_or_b32 exec_lo, exec_lo, s27
	global_load_b32 v120, v[7:8], off offset:6784
	s_wait_loadcnt 0x0
	v_and_b32_e32 v118, 0xffff, v120
	s_delay_alu instid0(VALU_DEP_1) | instskip(NEXT) | instid1(VALU_DEP_1)
	v_cvt_pk_f32_fp8_e32 v[118:119], v118
	v_mul_f32_e32 v124, s23, v118
	v_lshrrev_b32_e32 v118, 16, v120
	s_delay_alu instid0(VALU_DEP_3) | instskip(NEXT) | instid1(VALU_DEP_2)
	v_mul_f32_e32 v123, s26, v119
	v_cvt_pk_f32_fp8_e32 v[118:119], v118
	s_delay_alu instid0(VALU_DEP_1) | instskip(NEXT) | instid1(VALU_DEP_2)
	v_mul_f32_e32 v120, s23, v118
	v_mul_f32_e32 v118, s26, v119
	s_and_saveexec_b32 s27, vcc_lo
	s_cbranch_execz .LBB233_147
; %bb.146:                              ;   in Loop: Header=BB233_38 Depth=1
	v_cmp_gt_i32_e64 s0, s34, v142
	s_wait_alu 0xf1ff
	s_delay_alu instid0(VALU_DEP_1) | instskip(SKIP_2) | instid1(VALU_DEP_1)
	v_cndmask_b32_e64 v124, 0, v124, s0
	v_cmp_gt_i32_e64 s0, s34, v145
	s_wait_alu 0xf1ff
	v_cndmask_b32_e64 v123, 0, v123, s0
	v_cmp_gt_i32_e64 s0, s34, v144
	s_wait_alu 0xf1ff
	s_delay_alu instid0(VALU_DEP_1) | instskip(SKIP_2) | instid1(VALU_DEP_1)
	v_cndmask_b32_e64 v120, 0, v120, s0
	v_cmp_gt_i32_e64 s0, s34, v146
	s_wait_alu 0xf1ff
	v_cndmask_b32_e64 v118, 0, v118, s0
.LBB233_147:                            ;   in Loop: Header=BB233_38 Depth=1
	s_wait_alu 0xfffe
	s_or_b32 exec_lo, exec_lo, s27
	global_load_b32 v119, v[7:8], off offset:6912
	s_wait_loadcnt 0x0
	v_and_b32_e32 v121, 0xffff, v119
	v_lshrrev_b32_e32 v119, 16, v119
	s_delay_alu instid0(VALU_DEP_2) | instskip(NEXT) | instid1(VALU_DEP_1)
	v_cvt_pk_f32_fp8_e32 v[121:122], v121
	v_dual_mul_f32 v126, s23, v121 :: v_dual_mul_f32 v127, s26, v122
	s_delay_alu instid0(VALU_DEP_3) | instskip(NEXT) | instid1(VALU_DEP_1)
	v_cvt_pk_f32_fp8_e32 v[121:122], v119
	v_dual_mul_f32 v129, s23, v121 :: v_dual_mul_f32 v128, s26, v122
	s_and_saveexec_b32 s27, vcc_lo
	s_cbranch_execz .LBB233_149
; %bb.148:                              ;   in Loop: Header=BB233_38 Depth=1
	v_cmp_gt_i32_e64 s0, s34, v142
	s_wait_alu 0xf1ff
	s_delay_alu instid0(VALU_DEP_1) | instskip(SKIP_2) | instid1(VALU_DEP_1)
	v_cndmask_b32_e64 v126, 0, v126, s0
	v_cmp_gt_i32_e64 s0, s34, v145
	s_wait_alu 0xf1ff
	v_cndmask_b32_e64 v127, 0, v127, s0
	v_cmp_gt_i32_e64 s0, s34, v144
	s_wait_alu 0xf1ff
	s_delay_alu instid0(VALU_DEP_1) | instskip(SKIP_2) | instid1(VALU_DEP_1)
	v_cndmask_b32_e64 v129, 0, v129, s0
	v_cmp_gt_i32_e64 s0, s34, v146
	s_wait_alu 0xf1ff
	v_cndmask_b32_e64 v128, 0, v128, s0
.LBB233_149:                            ;   in Loop: Header=BB233_38 Depth=1
	s_wait_alu 0xfffe
	s_or_b32 exec_lo, exec_lo, s27
	global_load_b32 v119, v[7:8], off offset:7040
	s_wait_loadcnt 0x0
	v_and_b32_e32 v121, 0xffff, v119
	v_lshrrev_b32_e32 v119, 16, v119
	s_delay_alu instid0(VALU_DEP_2) | instskip(NEXT) | instid1(VALU_DEP_1)
	v_cvt_pk_f32_fp8_e32 v[121:122], v121
	v_dual_mul_f32 v125, s23, v121 :: v_dual_mul_f32 v130, s26, v122
	s_delay_alu instid0(VALU_DEP_3) | instskip(NEXT) | instid1(VALU_DEP_1)
	v_cvt_pk_f32_fp8_e32 v[121:122], v119
	v_dual_mul_f32 v132, s23, v121 :: v_dual_mul_f32 v131, s26, v122
	s_and_saveexec_b32 s27, vcc_lo
	s_cbranch_execz .LBB233_151
; %bb.150:                              ;   in Loop: Header=BB233_38 Depth=1
	v_cmp_gt_i32_e64 s0, s34, v142
	s_wait_alu 0xf1ff
	s_delay_alu instid0(VALU_DEP_1) | instskip(SKIP_2) | instid1(VALU_DEP_1)
	v_cndmask_b32_e64 v125, 0, v125, s0
	v_cmp_gt_i32_e64 s0, s34, v145
	s_wait_alu 0xf1ff
	v_cndmask_b32_e64 v130, 0, v130, s0
	v_cmp_gt_i32_e64 s0, s34, v144
	s_wait_alu 0xf1ff
	s_delay_alu instid0(VALU_DEP_1) | instskip(SKIP_2) | instid1(VALU_DEP_1)
	v_cndmask_b32_e64 v132, 0, v132, s0
	v_cmp_gt_i32_e64 s0, s34, v146
	s_wait_alu 0xf1ff
	v_cndmask_b32_e64 v131, 0, v131, s0
.LBB233_151:                            ;   in Loop: Header=BB233_38 Depth=1
	s_wait_alu 0xfffe
	s_or_b32 exec_lo, exec_lo, s27
	global_load_b32 v119, v[7:8], off offset:7168
	s_wait_loadcnt 0x0
	v_and_b32_e32 v121, 0xffff, v119
	v_lshrrev_b32_e32 v119, 16, v119
	s_delay_alu instid0(VALU_DEP_2) | instskip(NEXT) | instid1(VALU_DEP_2)
	v_cvt_pk_f32_fp8_e32 v[133:134], v121
	v_cvt_pk_f32_fp8_e32 v[135:136], v119
	s_delay_alu instid0(VALU_DEP_2) | instskip(NEXT) | instid1(VALU_DEP_2)
	v_mul_f32_e32 v122, s23, v133
	v_dual_mul_f32 v134, s26, v134 :: v_dual_mul_f32 v135, s23, v135
	s_delay_alu instid0(VALU_DEP_3)
	v_mul_f32_e32 v133, s26, v136
	s_and_saveexec_b32 s27, vcc_lo
	s_cbranch_execz .LBB233_153
; %bb.152:                              ;   in Loop: Header=BB233_38 Depth=1
	v_cmp_gt_i32_e64 s0, s34, v142
	s_wait_alu 0xf1ff
	s_delay_alu instid0(VALU_DEP_1) | instskip(SKIP_2) | instid1(VALU_DEP_1)
	v_cndmask_b32_e64 v122, 0, v122, s0
	v_cmp_gt_i32_e64 s0, s34, v145
	s_wait_alu 0xf1ff
	v_cndmask_b32_e64 v134, 0, v134, s0
	v_cmp_gt_i32_e64 s0, s34, v144
	s_wait_alu 0xf1ff
	s_delay_alu instid0(VALU_DEP_1) | instskip(SKIP_2) | instid1(VALU_DEP_1)
	v_cndmask_b32_e64 v135, 0, v135, s0
	v_cmp_gt_i32_e64 s0, s34, v146
	s_wait_alu 0xf1ff
	v_cndmask_b32_e64 v133, 0, v133, s0
.LBB233_153:                            ;   in Loop: Header=BB233_38 Depth=1
	s_wait_alu 0xfffe
	s_or_b32 exec_lo, exec_lo, s27
	global_load_b32 v119, v[7:8], off offset:7296
	s_wait_loadcnt 0x0
	v_and_b32_e32 v121, 0xffff, v119
	v_lshrrev_b32_e32 v119, 16, v119
	s_delay_alu instid0(VALU_DEP_2) | instskip(NEXT) | instid1(VALU_DEP_2)
	v_cvt_pk_f32_fp8_e32 v[136:137], v121
	v_cvt_pk_f32_fp8_e32 v[139:140], v119
	s_delay_alu instid0(VALU_DEP_2) | instskip(NEXT) | instid1(VALU_DEP_2)
	v_dual_mul_f32 v121, s23, v136 :: v_dual_mul_f32 v138, s26, v137
	v_dual_mul_f32 v137, s23, v139 :: v_dual_mul_f32 v136, s26, v140
	s_and_saveexec_b32 s27, vcc_lo
	s_cbranch_execz .LBB233_155
; %bb.154:                              ;   in Loop: Header=BB233_38 Depth=1
	v_cmp_gt_i32_e64 s0, s34, v142
	s_wait_alu 0xf1ff
	s_delay_alu instid0(VALU_DEP_1) | instskip(SKIP_2) | instid1(VALU_DEP_1)
	v_cndmask_b32_e64 v121, 0, v121, s0
	v_cmp_gt_i32_e64 s0, s34, v145
	s_wait_alu 0xf1ff
	v_cndmask_b32_e64 v138, 0, v138, s0
	v_cmp_gt_i32_e64 s0, s34, v144
	s_wait_alu 0xf1ff
	s_delay_alu instid0(VALU_DEP_1) | instskip(SKIP_2) | instid1(VALU_DEP_1)
	v_cndmask_b32_e64 v137, 0, v137, s0
	v_cmp_gt_i32_e64 s0, s34, v146
	s_wait_alu 0xf1ff
	v_cndmask_b32_e64 v136, 0, v136, s0
.LBB233_155:                            ;   in Loop: Header=BB233_38 Depth=1
	s_wait_alu 0xfffe
	s_or_b32 exec_lo, exec_lo, s27
	global_load_b32 v143, v[7:8], off offset:7424
	s_wait_loadcnt 0x0
	v_and_b32_e32 v119, 0xffff, v143
	v_lshrrev_b32_e32 v71, 16, v143
	s_delay_alu instid0(VALU_DEP_2) | instskip(NEXT) | instid1(VALU_DEP_2)
	v_cvt_pk_f32_fp8_e32 v[139:140], v119
	v_cvt_pk_f32_fp8_e32 v[147:148], v71
	s_delay_alu instid0(VALU_DEP_2) | instskip(NEXT) | instid1(VALU_DEP_2)
	v_mul_f32_e32 v119, s23, v139
	v_dual_mul_f32 v141, s26, v140 :: v_dual_mul_f32 v140, s23, v147
	s_delay_alu instid0(VALU_DEP_3)
	v_mul_f32_e32 v139, s26, v148
	s_and_saveexec_b32 s27, vcc_lo
	s_cbranch_execz .LBB233_157
; %bb.156:                              ;   in Loop: Header=BB233_38 Depth=1
	v_cmp_gt_i32_e64 s0, s34, v142
	s_wait_alu 0xf1ff
	s_delay_alu instid0(VALU_DEP_1) | instskip(SKIP_2) | instid1(VALU_DEP_1)
	v_cndmask_b32_e64 v119, 0, v119, s0
	v_cmp_gt_i32_e64 s0, s34, v145
	s_wait_alu 0xf1ff
	v_cndmask_b32_e64 v141, 0, v141, s0
	v_cmp_gt_i32_e64 s0, s34, v144
	s_wait_alu 0xf1ff
	s_delay_alu instid0(VALU_DEP_1) | instskip(SKIP_2) | instid1(VALU_DEP_1)
	v_cndmask_b32_e64 v140, 0, v140, s0
	v_cmp_gt_i32_e64 s0, s34, v146
	s_wait_alu 0xf1ff
	v_cndmask_b32_e64 v139, 0, v139, s0
.LBB233_157:                            ;   in Loop: Header=BB233_38 Depth=1
	s_wait_alu 0xfffe
	s_or_b32 exec_lo, exec_lo, s27
	global_load_b32 v71, v[7:8], off offset:7552
	s_wait_loadcnt 0x0
	v_and_b32_e32 v72, 0xffff, v71
	v_lshrrev_b32_e32 v71, 16, v71
	s_delay_alu instid0(VALU_DEP_2) | instskip(NEXT) | instid1(VALU_DEP_2)
	v_cvt_pk_f32_fp8_e32 v[147:148], v72
	v_cvt_pk_f32_fp8_e32 v[149:150], v71
	s_delay_alu instid0(VALU_DEP_2) | instskip(NEXT) | instid1(VALU_DEP_3)
	v_mul_f32_e32 v147, s23, v147
	v_mul_f32_e32 v143, s26, v148
	s_delay_alu instid0(VALU_DEP_3)
	v_dual_mul_f32 v149, s23, v149 :: v_dual_mul_f32 v148, s26, v150
	s_and_saveexec_b32 s27, vcc_lo
	s_cbranch_execz .LBB233_159
; %bb.158:                              ;   in Loop: Header=BB233_38 Depth=1
	v_cmp_gt_i32_e64 s0, s34, v142
	s_wait_alu 0xf1ff
	s_delay_alu instid0(VALU_DEP_1) | instskip(SKIP_2) | instid1(VALU_DEP_1)
	v_cndmask_b32_e64 v147, 0, v147, s0
	v_cmp_gt_i32_e64 s0, s34, v145
	s_wait_alu 0xf1ff
	v_cndmask_b32_e64 v143, 0, v143, s0
	v_cmp_gt_i32_e64 s0, s34, v144
	s_wait_alu 0xf1ff
	s_delay_alu instid0(VALU_DEP_1) | instskip(SKIP_2) | instid1(VALU_DEP_1)
	v_cndmask_b32_e64 v149, 0, v149, s0
	v_cmp_gt_i32_e64 s0, s34, v146
	s_wait_alu 0xf1ff
	v_cndmask_b32_e64 v148, 0, v148, s0
.LBB233_159:                            ;   in Loop: Header=BB233_38 Depth=1
	s_wait_alu 0xfffe
	s_or_b32 exec_lo, exec_lo, s27
	global_load_b32 v71, v[7:8], off offset:7680
	s_wait_loadcnt 0x0
	v_and_b32_e32 v72, 0xffff, v71
	v_lshrrev_b32_e32 v71, 16, v71
	s_delay_alu instid0(VALU_DEP_1) | instskip(NEXT) | instid1(VALU_DEP_1)
	v_cvt_pk_f32_fp8_e32 v[153:154], v71
	v_mul_f32_e32 v153, s23, v153
	s_delay_alu instid0(VALU_DEP_4) | instskip(NEXT) | instid1(VALU_DEP_1)
	v_cvt_pk_f32_fp8_e32 v[151:152], v72
	v_dual_mul_f32 v151, s23, v151 :: v_dual_mul_f32 v150, s26, v152
	s_delay_alu instid0(VALU_DEP_4)
	v_mul_f32_e32 v152, s26, v154
	s_and_saveexec_b32 s27, vcc_lo
	s_cbranch_execz .LBB233_161
; %bb.160:                              ;   in Loop: Header=BB233_38 Depth=1
	v_cmp_gt_i32_e64 s0, s34, v142
	s_wait_alu 0xf1ff
	s_delay_alu instid0(VALU_DEP_1) | instskip(SKIP_2) | instid1(VALU_DEP_1)
	v_cndmask_b32_e64 v151, 0, v151, s0
	v_cmp_gt_i32_e64 s0, s34, v145
	s_wait_alu 0xf1ff
	v_cndmask_b32_e64 v150, 0, v150, s0
	v_cmp_gt_i32_e64 s0, s34, v144
	s_wait_alu 0xf1ff
	s_delay_alu instid0(VALU_DEP_1) | instskip(SKIP_2) | instid1(VALU_DEP_1)
	v_cndmask_b32_e64 v153, 0, v153, s0
	v_cmp_gt_i32_e64 s0, s34, v146
	s_wait_alu 0xf1ff
	v_cndmask_b32_e64 v152, 0, v152, s0
.LBB233_161:                            ;   in Loop: Header=BB233_38 Depth=1
	s_wait_alu 0xfffe
	s_or_b32 exec_lo, exec_lo, s27
	global_load_b32 v71, v[7:8], off offset:7808
	s_wait_loadcnt 0x0
	v_and_b32_e32 v72, 0xffff, v71
	v_lshrrev_b32_e32 v71, 16, v71
	s_delay_alu instid0(VALU_DEP_1) | instskip(NEXT) | instid1(VALU_DEP_1)
	v_cvt_pk_f32_fp8_e32 v[157:158], v71
	v_mul_f32_e32 v157, s23, v157
	s_delay_alu instid0(VALU_DEP_4) | instskip(NEXT) | instid1(VALU_DEP_1)
	v_cvt_pk_f32_fp8_e32 v[154:155], v72
	v_dual_mul_f32 v156, s23, v154 :: v_dual_mul_f32 v155, s26, v155
	s_delay_alu instid0(VALU_DEP_4)
	v_mul_f32_e32 v154, s26, v158
	s_and_saveexec_b32 s27, vcc_lo
	s_cbranch_execz .LBB233_163
; %bb.162:                              ;   in Loop: Header=BB233_38 Depth=1
	v_cmp_gt_i32_e64 s0, s34, v142
	s_wait_alu 0xf1ff
	s_delay_alu instid0(VALU_DEP_1) | instskip(SKIP_2) | instid1(VALU_DEP_1)
	v_cndmask_b32_e64 v156, 0, v156, s0
	v_cmp_gt_i32_e64 s0, s34, v145
	s_wait_alu 0xf1ff
	v_cndmask_b32_e64 v155, 0, v155, s0
	v_cmp_gt_i32_e64 s0, s34, v144
	s_wait_alu 0xf1ff
	s_delay_alu instid0(VALU_DEP_1) | instskip(SKIP_2) | instid1(VALU_DEP_1)
	v_cndmask_b32_e64 v157, 0, v157, s0
	v_cmp_gt_i32_e64 s0, s34, v146
	s_wait_alu 0xf1ff
	v_cndmask_b32_e64 v154, 0, v154, s0
.LBB233_163:                            ;   in Loop: Header=BB233_38 Depth=1
	s_wait_alu 0xfffe
	s_or_b32 exec_lo, exec_lo, s27
	global_load_b32 v71, v[7:8], off offset:7936
	s_wait_loadcnt 0x0
	v_and_b32_e32 v7, 0xffff, v71
	s_delay_alu instid0(VALU_DEP_1) | instskip(NEXT) | instid1(VALU_DEP_1)
	v_cvt_pk_f32_fp8_e32 v[7:8], v7
	v_mul_f32_e32 v161, s23, v7
	v_lshrrev_b32_e32 v7, 16, v71
	s_delay_alu instid0(VALU_DEP_3) | instskip(NEXT) | instid1(VALU_DEP_2)
	v_mul_f32_e32 v160, s26, v8
	v_cvt_pk_f32_fp8_e32 v[7:8], v7
	s_delay_alu instid0(VALU_DEP_1)
	v_dual_mul_f32 v159, s23, v7 :: v_dual_mul_f32 v158, s26, v8
	s_and_saveexec_b32 s27, vcc_lo
	s_cbranch_execz .LBB233_165
; %bb.164:                              ;   in Loop: Header=BB233_38 Depth=1
	v_cmp_gt_i32_e64 s0, s34, v142
	s_wait_alu 0xf1ff
	s_delay_alu instid0(VALU_DEP_1) | instskip(SKIP_2) | instid1(VALU_DEP_1)
	v_cndmask_b32_e64 v161, 0, v161, s0
	v_cmp_gt_i32_e64 s0, s34, v145
	s_wait_alu 0xf1ff
	v_cndmask_b32_e64 v160, 0, v160, s0
	v_cmp_gt_i32_e64 s0, s34, v144
	s_wait_alu 0xf1ff
	s_delay_alu instid0(VALU_DEP_1) | instskip(SKIP_2) | instid1(VALU_DEP_1)
	v_cndmask_b32_e64 v159, 0, v159, s0
	v_cmp_gt_i32_e64 s0, s34, v146
	s_wait_alu 0xf1ff
	v_cndmask_b32_e64 v158, 0, v158, s0
.LBB233_165:                            ;   in Loop: Header=BB233_38 Depth=1
	s_wait_alu 0xfffe
	s_or_b32 exec_lo, exec_lo, s27
	scratch_load_b32 v7, off, off offset:1372 ; 4-byte Folded Reload
	s_wait_loadcnt 0x0
	v_add_co_u32 v5, s0, v5, v7
	s_wait_alu 0xf1ff
	v_add_co_ci_u32_e64 v6, null, 0, v6, s0
	global_load_b32 v5, v[5:6], off
	s_wait_loadcnt 0x0
	v_lshrrev_b32_e32 v7, 16, v5
	s_delay_alu instid0(VALU_DEP_1) | instskip(SKIP_1) | instid1(VALU_DEP_1)
	v_cvt_pk_f32_fp8_e32 v[162:163], v7
	v_and_b32_e32 v6, 0xffff, v5
	v_cvt_pk_f32_fp8_e32 v[5:6], v6
	s_delay_alu instid0(VALU_DEP_1) | instskip(NEXT) | instid1(VALU_DEP_4)
	v_dual_mul_f32 v8, s23, v5 :: v_dual_mul_f32 v7, s26, v6
	v_dual_mul_f32 v6, s23, v162 :: v_dual_mul_f32 v5, s26, v163
	s_and_saveexec_b32 s0, vcc_lo
	s_cbranch_execz .LBB233_36
; %bb.166:                              ;   in Loop: Header=BB233_38 Depth=1
	v_cmp_gt_i32_e32 vcc_lo, s34, v142
	s_wait_alu 0xfffd
	v_cndmask_b32_e32 v8, 0, v8, vcc_lo
	v_cmp_gt_i32_e32 vcc_lo, s34, v145
	s_wait_alu 0xfffd
	v_cndmask_b32_e32 v7, 0, v7, vcc_lo
	;; [unrolled: 3-line block ×4, first 2 shown]
	s_branch .LBB233_36
.LBB233_167:
	s_or_b32 exec_lo, exec_lo, s19
.LBB233_168:
	s_wait_alu 0xfffe
	s_or_b32 exec_lo, exec_lo, s1
	ds_bpermute_b32 v0, v11, v23
	ds_bpermute_b32 v1, v11, v22
	ds_bpermute_b32 v2, v11, v21
	ds_bpermute_b32 v3, v11, v20
	ds_bpermute_b32 v4, v11, v19
	ds_bpermute_b32 v6, v11, v31
	ds_bpermute_b32 v5, v11, v32
	ds_bpermute_b32 v7, v11, v30
	ds_bpermute_b32 v8, v11, v29
	ds_bpermute_b32 v12, v11, v28
	ds_bpermute_b32 v13, v11, v27
	ds_bpermute_b32 v15, v11, v25
	ds_bpermute_b32 v16, v11, v24
	ds_bpermute_b32 v14, v11, v26
	ds_bpermute_b32 v18, v11, v60
	ds_bpermute_b32 v33, v11, v57
	ds_bpermute_b32 v17, v11, v61
	ds_bpermute_b32 v40, v11, v62
	s_mov_b32 s1, exec_lo
	s_wait_dscnt 0x10
	v_dual_add_f32 v0, v23, v0 :: v_dual_add_f32 v1, v22, v1
	s_wait_dscnt 0xe
	v_dual_add_f32 v2, v21, v2 :: v_dual_add_f32 v3, v20, v3
	s_wait_dscnt 0xd
	v_add_f32_e32 v4, v19, v4
	ds_bpermute_b32 v19, v10, v0
	s_wait_dscnt 0xb
	v_dual_add_f32 v6, v31, v6 :: v_dual_add_f32 v7, v30, v7
	ds_bpermute_b32 v20, v10, v1
	ds_bpermute_b32 v21, v10, v2
	;; [unrolled: 1-line block ×3, first 2 shown]
	v_add_f32_e32 v5, v32, v5
	ds_bpermute_b32 v23, v10, v4
	s_wait_dscnt 0xc
	v_dual_add_f32 v8, v29, v8 :: v_dual_add_f32 v13, v27, v13
	s_wait_dscnt 0xb
	v_dual_add_f32 v12, v28, v12 :: v_dual_add_f32 v15, v25, v15
	ds_bpermute_b32 v25, v10, v6
	ds_bpermute_b32 v27, v10, v8
	;; [unrolled: 1-line block ×3, first 2 shown]
	s_wait_dscnt 0xd
	v_add_f32_e32 v16, v24, v16
	ds_bpermute_b32 v24, v10, v5
	s_wait_dscnt 0xd
	v_add_f32_e32 v14, v26, v14
	ds_bpermute_b32 v26, v10, v7
	ds_bpermute_b32 v28, v10, v12
	s_wait_dscnt 0xa
	v_add_f32_e32 v0, v0, v19
	ds_bpermute_b32 v31, v11, v59
	ds_bpermute_b32 v32, v11, v58
	s_wait_dscnt 0xa
	v_dual_add_f32 v19, v1, v20 :: v_dual_add_f32 v20, v2, v21
	s_wait_dscnt 0x9
	v_add_f32_e32 v21, v3, v22
	ds_bpermute_b32 v30, v10, v14
	s_wait_dscnt 0x9
	v_add_f32_e32 v22, v4, v23
	ds_bpermute_b32 v2, v9, v19
	ds_bpermute_b32 v34, v10, v15
	;; [unrolled: 1-line block ×4, first 2 shown]
	s_wait_dscnt 0xc
	v_add_f32_e32 v25, v6, v25
	ds_bpermute_b32 v1, v9, v0
	s_wait_dscnt 0xc
	v_add_f32_e32 v27, v8, v27
	ds_bpermute_b32 v3, v9, v20
	;; [unrolled: 3-line block ×3, first 2 shown]
	s_wait_dscnt 0xc
	v_add_f32_e32 v24, v5, v24
	s_wait_dscnt 0xb
	v_add_f32_e32 v26, v7, v26
	;; [unrolled: 2-line block ×3, first 2 shown]
	ds_bpermute_b32 v7, v9, v25
	v_dual_add_f32 v18, v60, v18 :: v_dual_add_f32 v17, v61, v17
	s_wait_dscnt 0x7
	v_add_f32_e32 v2, v19, v2
	ds_bpermute_b32 v19, v11, v56
	v_add_f32_e32 v32, v58, v32
	s_wait_dscnt 0x6
	v_dual_add_f32 v4, v21, v4 :: v_dual_add_f32 v15, v15, v34
	s_wait_dscnt 0x4
	v_add_f32_e32 v1, v0, v1
	ds_bpermute_b32 v6, v9, v24
	s_wait_dscnt 0x4
	v_add_f32_e32 v3, v20, v3
	ds_bpermute_b32 v8, v9, v26
	;; [unrolled: 3-line block ×3, first 2 shown]
	v_dual_add_f32 v0, v14, v30 :: v_dual_add_f32 v23, v59, v31
	s_wait_dscnt 0x4
	v_add_f32_e32 v7, v25, v7
	ds_bpermute_b32 v31, v10, v18
	ds_bpermute_b32 v21, v9, v13
	;; [unrolled: 1-line block ×7, first 2 shown]
	s_wait_dscnt 0xa
	v_add_f32_e32 v19, v56, v19
	ds_bpermute_b32 v25, v10, v32
	s_wait_dscnt 0xa
	v_add_f32_e32 v6, v24, v6
	v_add_f32_e32 v24, v57, v33
	s_wait_dscnt 0x9
	v_add_f32_e32 v8, v26, v8
	s_wait_dscnt 0x8
	v_add_f32_e32 v57, v12, v20
	ds_bpermute_b32 v12, v10, v19
	ds_bpermute_b32 v26, v10, v24
	;; [unrolled: 1-line block ×3, first 2 shown]
	s_wait_dscnt 0x8
	v_add_f32_e32 v59, v0, v22
	ds_bpermute_b32 v0, v11, v94
	s_wait_dscnt 0x7
	v_dual_add_f32 v60, v15, v28 :: v_dual_add_f32 v15, v18, v31
	ds_bpermute_b32 v18, v11, v52
	ds_bpermute_b32 v31, v11, v92
	;; [unrolled: 1-line block ×3, first 2 shown]
	s_wait_dscnt 0x6
	v_add_f32_e32 v12, v19, v12
	s_wait_dscnt 0x5
	v_add_f32_e32 v24, v24, v26
	ds_bpermute_b32 v26, v11, v50
	ds_bpermute_b32 v19, v9, v24
	v_add_f32_e32 v58, v13, v21
	ds_bpermute_b32 v13, v11, v93
	v_add_f32_e32 v16, v16, v35
	s_wait_dscnt 0x5
	v_add_f32_e32 v18, v52, v18
	v_add_f32_e32 v20, v51, v20
	s_wait_dscnt 0x3
	v_add_f32_e32 v52, v15, v22
	s_wait_dscnt 0x0
	v_dual_add_f32 v22, v50, v26 :: v_dual_add_f32 v13, v93, v13
	ds_bpermute_b32 v29, v9, v16
	v_add_f32_e32 v56, v27, v14
	ds_bpermute_b32 v27, v11, v49
	ds_bpermute_b32 v33, v10, v13
	s_wait_dscnt 0x2
	v_dual_add_f32 v0, v94, v0 :: v_dual_add_f32 v61, v16, v29
	v_dual_add_f32 v16, v23, v34 :: v_dual_add_f32 v23, v32, v25
	ds_bpermute_b32 v29, v11, v48
	s_wait_dscnt 0x1
	v_add_f32_e32 v13, v13, v33
	ds_bpermute_b32 v32, v10, v0
	ds_bpermute_b32 v25, v9, v16
	v_add_f32_e32 v14, v17, v30
	ds_bpermute_b32 v17, v11, v53
	ds_bpermute_b32 v28, v9, v23
	s_wait_dscnt 0x3
	v_add_f32_e32 v0, v0, v32
	ds_bpermute_b32 v32, v11, v41
	s_wait_dscnt 0x1
	v_dual_add_f32 v17, v53, v17 :: v_dual_add_f32 v50, v23, v28
	ds_bpermute_b32 v28, v11, v55
	v_dual_add_f32 v26, v49, v27 :: v_dual_add_f32 v49, v16, v25
	ds_bpermute_b32 v21, v9, v14
	v_add_f32_e32 v23, v48, v29
	ds_bpermute_b32 v25, v11, v91
	ds_bpermute_b32 v30, v9, v12
	;; [unrolled: 1-line block ×3, first 2 shown]
	s_wait_dscnt 0x3
	v_add_f32_e32 v51, v14, v21
	v_add_f32_e32 v53, v24, v19
	ds_bpermute_b32 v24, v10, v23
	ds_bpermute_b32 v14, v10, v17
	s_wait_dscnt 0x1
	v_add_f32_e32 v23, v23, v24
	v_add_f32_e32 v24, v91, v25
	v_add_f32_e32 v25, v55, v28
	ds_bpermute_b32 v19, v10, v26
	s_wait_dscnt 0x1
	v_add_f32_e32 v14, v17, v14
	ds_bpermute_b32 v17, v9, v13
	ds_bpermute_b32 v16, v10, v22
	;; [unrolled: 1-line block ×4, first 2 shown]
	s_wait_dscnt 0x4
	v_add_f32_e32 v19, v26, v19
	ds_bpermute_b32 v15, v10, v18
	ds_bpermute_b32 v26, v11, v54
	s_wait_dscnt 0x5
	v_add_f32_e32 v44, v13, v17
	ds_bpermute_b32 v34, v9, v19
	s_wait_dscnt 0x2
	v_add_f32_e32 v15, v18, v15
	;; [unrolled: 3-line block ×3, first 2 shown]
	s_wait_dscnt 0x1
	v_add_f32_e32 v47, v19, v34
	ds_bpermute_b32 v19, v11, v88
	s_wait_dscnt 0x1
	v_add_f32_e32 v18, v20, v21
	ds_bpermute_b32 v21, v9, v14
	v_add_f32_e32 v48, v12, v30
	v_add_f32_e32 v12, v92, v31
	ds_bpermute_b32 v20, v11, v46
	ds_bpermute_b32 v31, v9, v15
	;; [unrolled: 1-line block ×3, first 2 shown]
	s_wait_dscnt 0x3
	v_dual_add_f32 v45, v14, v21 :: v_dual_add_f32 v14, v41, v32
	ds_bpermute_b32 v17, v10, v14
	s_wait_dscnt 0x1
	v_dual_add_f32 v12, v12, v27 :: v_dual_add_f32 v27, v37, v29
	ds_bpermute_b32 v35, v9, v12
	v_add_f32_e32 v16, v22, v16
	ds_bpermute_b32 v22, v9, v18
	ds_bpermute_b32 v37, v10, v27
	s_wait_dscnt 0x3
	v_add_f32_e32 v14, v14, v17
	ds_bpermute_b32 v32, v9, v14
	s_wait_dscnt 0x3
	v_add_f32_e32 v55, v12, v35
	;; [unrolled: 3-line block ×3, first 2 shown]
	ds_bpermute_b32 v30, v9, v0
	ds_bpermute_b32 v18, v11, v89
	v_add_f32_e32 v20, v46, v20
	s_wait_dscnt 0x3
	v_dual_add_f32 v22, v27, v37 :: v_dual_add_f32 v37, v14, v32
	ds_bpermute_b32 v27, v9, v22
	s_wait_dscnt 0x2
	v_add_f32_e32 v43, v0, v30
	s_wait_dscnt 0x1
	v_add_f32_e32 v17, v89, v18
	ds_bpermute_b32 v0, v10, v20
	v_add_f32_e32 v18, v88, v19
	ds_bpermute_b32 v30, v11, v77
	ds_bpermute_b32 v38, v10, v17
	s_wait_dscnt 0x2
	v_add_f32_e32 v20, v20, v0
	ds_bpermute_b32 v19, v9, v20
	s_wait_dscnt 0x0
	v_add_f32_e32 v34, v20, v19
	ds_bpermute_b32 v19, v11, v63
	v_add_f32_e32 v12, v25, v36
	ds_bpermute_b32 v25, v11, v86
	;; [unrolled: 2-line block ×3, first 2 shown]
	ds_bpermute_b32 v20, v11, v65
	s_wait_dscnt 0x3
	v_add_f32_e32 v19, v63, v19
	ds_bpermute_b32 v26, v9, v12
	s_wait_dscnt 0x3
	v_add_f32_e32 v25, v86, v25
	;; [unrolled: 3-line block ×3, first 2 shown]
	ds_bpermute_b32 v29, v10, v24
	v_add_f32_e32 v42, v16, v33
	ds_bpermute_b32 v16, v10, v13
	s_wait_dscnt 0x4
	v_add_f32_e32 v20, v65, v20
	v_dual_add_f32 v14, v17, v38 :: v_dual_add_f32 v17, v62, v40
	ds_bpermute_b32 v39, v10, v18
	ds_bpermute_b32 v62, v11, v72
	v_add_f32_e32 v33, v22, v27
	ds_bpermute_b32 v27, v11, v64
	s_wait_dscnt 0x6
	v_add_f32_e32 v36, v12, v26
	s_wait_dscnt 0x4
	v_add_f32_e32 v21, v24, v29
	ds_bpermute_b32 v24, v11, v87
	s_wait_dscnt 0x4
	v_add_f32_e32 v13, v13, v16
	ds_bpermute_b32 v16, v10, v15
	ds_bpermute_b32 v29, v11, v73
	;; [unrolled: 1-line block ×3, first 2 shown]
	v_add_f32_e32 v54, v23, v28
	ds_bpermute_b32 v23, v9, v21
	ds_bpermute_b32 v28, v11, v66
	s_wait_dscnt 0x5
	v_add_f32_e32 v24, v87, v24
	s_wait_dscnt 0x4
	v_add_f32_e32 v15, v15, v16
	;; [unrolled: 2-line block ×3, first 2 shown]
	ds_bpermute_b32 v13, v9, v15
	s_wait_dscnt 0x2
	v_add_f32_e32 v0, v21, v23
	ds_bpermute_b32 v23, v10, v25
	s_wait_dscnt 0x2
	v_add_f32_e32 v12, v66, v28
	;; [unrolled: 3-line block ×4, first 2 shown]
	s_wait_dscnt 0x0
	v_add_f32_e32 v68, v68, v25
	v_add_f32_e32 v18, v18, v39
	ds_bpermute_b32 v32, v9, v18
	v_add_f32_e32 v26, v73, v29
	ds_bpermute_b32 v29, v10, v12
	ds_bpermute_b32 v73, v11, v82
	s_wait_dscnt 0x1
	v_add_f32_e32 v24, v12, v29
	v_add_f32_e32 v29, v15, v13
	ds_bpermute_b32 v15, v10, v20
	ds_bpermute_b32 v12, v11, v67
	v_add_f32_e32 v13, v18, v32
	ds_bpermute_b32 v16, v10, v26
	s_wait_dscnt 0x3
	v_add_f32_e32 v73, v82, v73
	s_wait_dscnt 0x2
	v_add_f32_e32 v15, v20, v15
	ds_bpermute_b32 v31, v9, v14
	s_wait_dscnt 0x2
	v_add_f32_e32 v67, v67, v12
	s_wait_dscnt 0x1
	v_add_f32_e32 v16, v26, v16
	ds_bpermute_b32 v26, v9, v21
	ds_bpermute_b32 v18, v10, v67
	s_wait_dscnt 0x2
	v_add_f32_e32 v12, v14, v31
	ds_bpermute_b32 v31, v11, v69
	s_wait_dscnt 0x0
	v_add_f32_e32 v31, v69, v31
	ds_bpermute_b32 v38, v9, v24
	v_dual_add_f32 v64, v64, v27 :: v_dual_add_f32 v27, v21, v26
	ds_bpermute_b32 v69, v11, v78
	ds_bpermute_b32 v21, v10, v68
	s_wait_dscnt 0x2
	v_add_f32_e32 v26, v24, v38
	v_add_f32_e32 v24, v71, v63
	ds_bpermute_b32 v63, v11, v75
	ds_bpermute_b32 v38, v9, v15
	s_wait_dscnt 0x2
	v_add_f32_e32 v21, v68, v21
	ds_bpermute_b32 v68, v11, v80
	v_add_f32_e32 v69, v78, v69
	s_wait_dscnt 0x2
	v_add_f32_e32 v63, v75, v63
	ds_bpermute_b32 v39, v9, v16
	v_add_f32_e32 v28, v77, v30
	ds_bpermute_b32 v30, v10, v17
	s_wait_dscnt 0x1
	v_add_f32_e32 v25, v16, v39
	ds_bpermute_b32 v22, v10, v28
	s_wait_dscnt 0x1
	v_add_f32_e32 v17, v17, v30
	ds_bpermute_b32 v30, v10, v19
	ds_bpermute_b32 v66, v9, v17
	s_wait_dscnt 0x2
	v_add_f32_e32 v22, v28, v22
	ds_bpermute_b32 v28, v9, v23
	s_wait_dscnt 0x2
	v_add_f32_e32 v19, v19, v30
	s_wait_dscnt 0x1
	v_add_f32_e32 v30, v17, v66
	ds_bpermute_b32 v66, v10, v31
	ds_bpermute_b32 v17, v11, v70
	;; [unrolled: 1-line block ×3, first 2 shown]
	s_wait_dscnt 0x3
	v_dual_add_f32 v14, v23, v28 :: v_dual_add_f32 v23, v72, v62
	ds_bpermute_b32 v62, v11, v85
	s_wait_dscnt 0x3
	v_add_f32_e32 v31, v31, v66
	ds_bpermute_b32 v65, v10, v64
	ds_bpermute_b32 v16, v10, v23
	s_wait_dscnt 0x4
	v_add_f32_e32 v17, v70, v17
	ds_bpermute_b32 v70, v11, v79
	s_wait_dscnt 0x2
	v_add_f32_e32 v20, v64, v65
	;; [unrolled: 3-line block ×3, first 2 shown]
	ds_bpermute_b32 v40, v9, v22
	ds_bpermute_b32 v16, v11, v84
	s_wait_dscnt 0x3
	v_add_f32_e32 v70, v79, v70
	ds_bpermute_b32 v71, v9, v23
	ds_bpermute_b32 v82, v10, v70
	s_wait_dscnt 0x4
	v_add_f32_e32 v65, v76, v65
	ds_bpermute_b32 v76, v10, v63
	s_wait_dscnt 0x4
	v_add_f32_e32 v28, v22, v40
	;; [unrolled: 3-line block ×3, first 2 shown]
	ds_bpermute_b32 v77, v10, v65
	ds_bpermute_b32 v78, v10, v16
	s_wait_dscnt 0x3
	v_add_f32_e32 v63, v63, v76
	ds_bpermute_b32 v39, v9, v20
	s_wait_dscnt 0x3
	v_add_f32_e32 v40, v74, v40
	;; [unrolled: 3-line block ×3, first 2 shown]
	ds_bpermute_b32 v22, v10, v24
	ds_bpermute_b32 v77, v9, v63
	;; [unrolled: 1-line block ×4, first 2 shown]
	s_wait_dscnt 0x4
	v_add_f32_e32 v74, v17, v74
	ds_bpermute_b32 v17, v10, v73
	s_wait_dscnt 0x4
	v_add_f32_e32 v22, v24, v22
	ds_bpermute_b32 v24, v11, v81
	ds_bpermute_b32 v11, v11, v83
	s_wait_dscnt 0x2
	v_add_f32_e32 v73, v73, v17
	s_wait_dscnt 0x1
	v_dual_add_f32 v17, v23, v71 :: v_dual_add_f32 v24, v81, v24
	ds_bpermute_b32 v81, v10, v69
	v_add_f32_e32 v18, v67, v18
	s_wait_dscnt 0x1
	v_add_f32_e32 v11, v83, v11
	ds_bpermute_b32 v83, v9, v31
	v_add_f32_e32 v68, v80, v68
	ds_bpermute_b32 v79, v10, v24
	v_add_f32_e32 v23, v63, v77
	scratch_load_b32 v63, off, off offset:1356 ; 4-byte Folded Reload
	ds_bpermute_b32 v67, v9, v21
	ds_bpermute_b32 v80, v10, v68
	;; [unrolled: 1-line block ×4, first 2 shown]
	s_wait_dscnt 0x6
	v_add_f32_e32 v69, v69, v81
	ds_bpermute_b32 v64, v9, v18
	v_add_f32_e32 v62, v85, v62
	ds_bpermute_b32 v85, v9, v69
	s_wait_dscnt 0x6
	v_add_f32_e32 v79, v24, v79
	ds_bpermute_b32 v66, v10, v62
	ds_bpermute_b32 v10, v10, v11
	v_add_f32_e32 v24, v65, v84
	ds_bpermute_b32 v81, v9, v79
	s_wait_dscnt 0x2
	v_add_f32_e32 v62, v62, v66
	ds_bpermute_b32 v66, v9, v74
	s_wait_dscnt 0x2
	v_add_f32_e32 v87, v11, v10
	v_add_f32_e32 v11, v15, v38
	v_dual_add_f32 v15, v20, v39 :: v_dual_add_f32 v10, v19, v32
	v_add_f32_e32 v19, v31, v83
	v_add_f32_e32 v39, v69, v85
	ds_bpermute_b32 v76, v9, v62
	ds_bpermute_b32 v89, v9, v87
	s_wait_dscnt 0x3
	v_add_f32_e32 v32, v79, v81
	s_wait_dscnt 0x2
	v_add_f32_e32 v20, v74, v66
	scratch_load_b32 v66, off, off offset:1376 th:TH_LOAD_LU ; 4-byte Folded Reload
	v_add_f32_e32 v78, v16, v78
	v_add_f32_e32 v68, v68, v80
	;; [unrolled: 1-line block ×3, first 2 shown]
	ds_bpermute_b32 v80, v9, v78
	s_wait_dscnt 0x0
	v_dual_add_f32 v40, v40, v75 :: v_dual_add_f32 v31, v78, v80
	ds_bpermute_b32 v75, v9, v40
	s_wait_dscnt 0x0
	v_dual_add_f32 v21, v40, v75 :: v_dual_add_f32 v70, v70, v82
	ds_bpermute_b32 v82, v9, v68
	ds_bpermute_b32 v86, v9, v70
	v_add_f32_e32 v9, v18, v64
	v_add_f32_e32 v18, v22, v72
	;; [unrolled: 1-line block ×3, first 2 shown]
	scratch_load_b32 v62, off, off offset:1352 th:TH_LOAD_LU ; 4-byte Folded Reload
	s_wait_storecnt 0x0
	s_wait_loadcnt_dscnt 0x0
	s_barrier_signal -1
	s_barrier_wait -1
	global_inv scope:SCOPE_SE
	v_and_b32_e32 v65, 7, v63
	v_dual_add_f32 v38, v68, v82 :: v_dual_and_b32 v67, 0x3c0, v63
	v_dual_add_f32 v63, v87, v89 :: v_dual_add_f32 v40, v70, v86
	s_delay_alu instid0(VALU_DEP_3) | instskip(SKIP_3) | instid1(VALU_DEP_2)
	v_cmp_eq_u32_e32 vcc_lo, 0, v65
	v_lshlrev_b32_e32 v66, 10, v66
	v_lshrrev_b32_e32 v64, 3, v62
	v_add_f32_e32 v62, v73, v88
	v_lshl_add_u32 v65, v64, 2, 0x420
	v_cmpx_eq_u32_e32 64, v67
	s_cbranch_execz .LBB233_171
; %bb.169:
	s_and_b32 exec_lo, exec_lo, vcc_lo
	s_cbranch_execz .LBB233_171
; %bb.170:
	v_add_nc_u32_e32 v67, v65, v66
	s_delay_alu instid0(VALU_DEP_1)
	v_add_nc_u32_e32 v68, 0xfffff800, v67
	v_add_nc_u32_e32 v69, 0xfffff810, v67
	v_add_nc_u32_e32 v70, 0xfffff820, v67
	v_add_nc_u32_e32 v71, 0xfffff830, v67
	v_add_nc_u32_e32 v72, 0xfffff840, v67
	v_add_nc_u32_e32 v73, 0xfffff850, v67
	v_add_nc_u32_e32 v74, 0xfffff860, v67
	v_add_nc_u32_e32 v75, 0xfffff870, v67
	ds_store_b32 v68, v1
	ds_store_b32 v69, v2
	ds_store_b32 v70, v3
	ds_store_b32 v71, v4
	ds_store_b32 v72, v5
	ds_store_b32 v73, v6
	ds_store_b32 v74, v7
	ds_store_b32 v75, v8
	v_add_nc_u32_e32 v68, 0xfffff880, v67
	v_add_nc_u32_e32 v69, 0xfffff890, v67
	v_add_nc_u32_e32 v70, 0xfffff8a0, v67
	v_add_nc_u32_e32 v71, 0xfffff8b0, v67
	v_add_nc_u32_e32 v72, 0xfffff8c0, v67
	v_add_nc_u32_e32 v73, 0xfffff8d0, v67
	v_add_nc_u32_e32 v74, 0xfffff8e0, v67
	v_add_nc_u32_e32 v75, 0xfffff8f0, v67
	ds_store_b32 v68, v56
	ds_store_b32 v69, v57
	ds_store_b32 v70, v58
	ds_store_b32 v71, v59
	ds_store_b32 v72, v60
	ds_store_b32 v73, v61
	ds_store_b32 v74, v51
	ds_store_b32 v75, v52
	;; [unrolled: 16-line block ×8, first 2 shown]
.LBB233_171:
	s_wait_alu 0xfffe
	s_or_b32 exec_lo, exec_lo, s1
	v_lshlrev_b32_e32 v64, 2, v64
	s_wait_loadcnt_dscnt 0x0
	s_barrier_signal -1
	s_barrier_wait -1
	global_inv scope:SCOPE_SE
	v_add3_u32 v64, 0x420, v66, v64
	s_and_saveexec_b32 s0, s2
	s_cbranch_execz .LBB233_238
; %bb.172:
	s_and_saveexec_b32 s1, vcc_lo
	s_cbranch_execnz .LBB233_310
; %bb.173:
	s_wait_alu 0xfffe
	s_or_b32 exec_lo, exec_lo, s1
	s_and_saveexec_b32 s1, vcc_lo
	s_cbranch_execnz .LBB233_311
.LBB233_174:
	s_wait_alu 0xfffe
	s_or_b32 exec_lo, exec_lo, s1
	s_and_saveexec_b32 s1, vcc_lo
	s_cbranch_execnz .LBB233_312
.LBB233_175:
	s_wait_alu 0xfffe
	s_or_b32 exec_lo, exec_lo, s1
	s_and_saveexec_b32 s1, vcc_lo
	s_cbranch_execnz .LBB233_313
.LBB233_176:
	s_wait_alu 0xfffe
	s_or_b32 exec_lo, exec_lo, s1
	s_and_saveexec_b32 s1, vcc_lo
	s_cbranch_execnz .LBB233_314
.LBB233_177:
	s_wait_alu 0xfffe
	s_or_b32 exec_lo, exec_lo, s1
	s_and_saveexec_b32 s1, vcc_lo
	s_cbranch_execnz .LBB233_315
.LBB233_178:
	s_wait_alu 0xfffe
	s_or_b32 exec_lo, exec_lo, s1
	s_and_saveexec_b32 s1, vcc_lo
	s_cbranch_execnz .LBB233_316
.LBB233_179:
	s_wait_alu 0xfffe
	s_or_b32 exec_lo, exec_lo, s1
	s_and_saveexec_b32 s1, vcc_lo
	s_cbranch_execnz .LBB233_317
.LBB233_180:
	s_wait_alu 0xfffe
	s_or_b32 exec_lo, exec_lo, s1
	s_and_saveexec_b32 s1, vcc_lo
	s_cbranch_execnz .LBB233_318
.LBB233_181:
	s_wait_alu 0xfffe
	s_or_b32 exec_lo, exec_lo, s1
	s_and_saveexec_b32 s1, vcc_lo
	s_cbranch_execnz .LBB233_319
.LBB233_182:
	s_wait_alu 0xfffe
	s_or_b32 exec_lo, exec_lo, s1
	s_and_saveexec_b32 s1, vcc_lo
	s_cbranch_execnz .LBB233_320
.LBB233_183:
	s_wait_alu 0xfffe
	s_or_b32 exec_lo, exec_lo, s1
	s_and_saveexec_b32 s1, vcc_lo
	s_cbranch_execnz .LBB233_321
.LBB233_184:
	s_wait_alu 0xfffe
	s_or_b32 exec_lo, exec_lo, s1
	s_and_saveexec_b32 s1, vcc_lo
	s_cbranch_execnz .LBB233_322
.LBB233_185:
	s_wait_alu 0xfffe
	s_or_b32 exec_lo, exec_lo, s1
	s_and_saveexec_b32 s1, vcc_lo
	s_cbranch_execnz .LBB233_323
.LBB233_186:
	s_wait_alu 0xfffe
	s_or_b32 exec_lo, exec_lo, s1
	s_and_saveexec_b32 s1, vcc_lo
	s_cbranch_execnz .LBB233_324
.LBB233_187:
	s_wait_alu 0xfffe
	s_or_b32 exec_lo, exec_lo, s1
	s_and_saveexec_b32 s1, vcc_lo
	s_cbranch_execnz .LBB233_325
.LBB233_188:
	s_wait_alu 0xfffe
	s_or_b32 exec_lo, exec_lo, s1
	s_and_saveexec_b32 s1, vcc_lo
	s_cbranch_execnz .LBB233_326
.LBB233_189:
	s_wait_alu 0xfffe
	s_or_b32 exec_lo, exec_lo, s1
	s_and_saveexec_b32 s1, vcc_lo
	s_cbranch_execnz .LBB233_327
.LBB233_190:
	s_wait_alu 0xfffe
	s_or_b32 exec_lo, exec_lo, s1
	s_and_saveexec_b32 s1, vcc_lo
	s_cbranch_execnz .LBB233_328
.LBB233_191:
	s_wait_alu 0xfffe
	s_or_b32 exec_lo, exec_lo, s1
	s_and_saveexec_b32 s1, vcc_lo
	s_cbranch_execnz .LBB233_329
.LBB233_192:
	s_wait_alu 0xfffe
	s_or_b32 exec_lo, exec_lo, s1
	s_and_saveexec_b32 s1, vcc_lo
	s_cbranch_execnz .LBB233_330
.LBB233_193:
	s_wait_alu 0xfffe
	s_or_b32 exec_lo, exec_lo, s1
	s_and_saveexec_b32 s1, vcc_lo
	s_cbranch_execnz .LBB233_331
.LBB233_194:
	s_wait_alu 0xfffe
	s_or_b32 exec_lo, exec_lo, s1
	s_and_saveexec_b32 s1, vcc_lo
	s_cbranch_execnz .LBB233_332
.LBB233_195:
	s_wait_alu 0xfffe
	s_or_b32 exec_lo, exec_lo, s1
	s_and_saveexec_b32 s1, vcc_lo
	s_cbranch_execnz .LBB233_333
.LBB233_196:
	s_wait_alu 0xfffe
	s_or_b32 exec_lo, exec_lo, s1
	s_and_saveexec_b32 s1, vcc_lo
	s_cbranch_execnz .LBB233_334
.LBB233_197:
	s_wait_alu 0xfffe
	s_or_b32 exec_lo, exec_lo, s1
	s_and_saveexec_b32 s1, vcc_lo
	s_cbranch_execnz .LBB233_335
.LBB233_198:
	s_wait_alu 0xfffe
	s_or_b32 exec_lo, exec_lo, s1
	s_and_saveexec_b32 s1, vcc_lo
	s_cbranch_execnz .LBB233_336
.LBB233_199:
	s_wait_alu 0xfffe
	s_or_b32 exec_lo, exec_lo, s1
	s_and_saveexec_b32 s1, vcc_lo
	s_cbranch_execnz .LBB233_337
.LBB233_200:
	s_wait_alu 0xfffe
	s_or_b32 exec_lo, exec_lo, s1
	s_and_saveexec_b32 s1, vcc_lo
	s_cbranch_execnz .LBB233_338
.LBB233_201:
	s_wait_alu 0xfffe
	s_or_b32 exec_lo, exec_lo, s1
	s_and_saveexec_b32 s1, vcc_lo
	s_cbranch_execnz .LBB233_339
.LBB233_202:
	s_wait_alu 0xfffe
	s_or_b32 exec_lo, exec_lo, s1
	s_and_saveexec_b32 s1, vcc_lo
	s_cbranch_execnz .LBB233_340
.LBB233_203:
	s_wait_alu 0xfffe
	s_or_b32 exec_lo, exec_lo, s1
	s_and_saveexec_b32 s1, vcc_lo
	s_cbranch_execnz .LBB233_341
.LBB233_204:
	s_wait_alu 0xfffe
	s_or_b32 exec_lo, exec_lo, s1
	s_and_saveexec_b32 s1, vcc_lo
	s_cbranch_execnz .LBB233_342
.LBB233_205:
	s_wait_alu 0xfffe
	s_or_b32 exec_lo, exec_lo, s1
	s_and_saveexec_b32 s1, vcc_lo
	s_cbranch_execnz .LBB233_343
.LBB233_206:
	s_wait_alu 0xfffe
	s_or_b32 exec_lo, exec_lo, s1
	s_and_saveexec_b32 s1, vcc_lo
	s_cbranch_execnz .LBB233_344
.LBB233_207:
	s_wait_alu 0xfffe
	s_or_b32 exec_lo, exec_lo, s1
	s_and_saveexec_b32 s1, vcc_lo
	s_cbranch_execnz .LBB233_345
.LBB233_208:
	s_wait_alu 0xfffe
	s_or_b32 exec_lo, exec_lo, s1
	s_and_saveexec_b32 s1, vcc_lo
	s_cbranch_execnz .LBB233_346
.LBB233_209:
	s_wait_alu 0xfffe
	s_or_b32 exec_lo, exec_lo, s1
	s_and_saveexec_b32 s1, vcc_lo
	s_cbranch_execnz .LBB233_347
.LBB233_210:
	s_wait_alu 0xfffe
	s_or_b32 exec_lo, exec_lo, s1
	s_and_saveexec_b32 s1, vcc_lo
	s_cbranch_execnz .LBB233_348
.LBB233_211:
	s_wait_alu 0xfffe
	s_or_b32 exec_lo, exec_lo, s1
	s_and_saveexec_b32 s1, vcc_lo
	s_cbranch_execnz .LBB233_349
.LBB233_212:
	s_wait_alu 0xfffe
	s_or_b32 exec_lo, exec_lo, s1
	s_and_saveexec_b32 s1, vcc_lo
	s_cbranch_execnz .LBB233_350
.LBB233_213:
	s_wait_alu 0xfffe
	s_or_b32 exec_lo, exec_lo, s1
	s_and_saveexec_b32 s1, vcc_lo
	s_cbranch_execnz .LBB233_351
.LBB233_214:
	s_wait_alu 0xfffe
	s_or_b32 exec_lo, exec_lo, s1
	s_and_saveexec_b32 s1, vcc_lo
	s_cbranch_execnz .LBB233_352
.LBB233_215:
	s_wait_alu 0xfffe
	s_or_b32 exec_lo, exec_lo, s1
	s_and_saveexec_b32 s1, vcc_lo
	s_cbranch_execnz .LBB233_353
.LBB233_216:
	s_wait_alu 0xfffe
	s_or_b32 exec_lo, exec_lo, s1
	s_and_saveexec_b32 s1, vcc_lo
	s_cbranch_execnz .LBB233_354
.LBB233_217:
	s_wait_alu 0xfffe
	s_or_b32 exec_lo, exec_lo, s1
	s_and_saveexec_b32 s1, vcc_lo
	s_cbranch_execnz .LBB233_355
.LBB233_218:
	s_wait_alu 0xfffe
	s_or_b32 exec_lo, exec_lo, s1
	s_and_saveexec_b32 s1, vcc_lo
	s_cbranch_execnz .LBB233_356
.LBB233_219:
	s_wait_alu 0xfffe
	s_or_b32 exec_lo, exec_lo, s1
	s_and_saveexec_b32 s1, vcc_lo
	s_cbranch_execnz .LBB233_357
.LBB233_220:
	s_wait_alu 0xfffe
	s_or_b32 exec_lo, exec_lo, s1
	s_and_saveexec_b32 s1, vcc_lo
	s_cbranch_execnz .LBB233_358
.LBB233_221:
	s_wait_alu 0xfffe
	s_or_b32 exec_lo, exec_lo, s1
	s_and_saveexec_b32 s1, vcc_lo
	s_cbranch_execnz .LBB233_359
.LBB233_222:
	s_wait_alu 0xfffe
	s_or_b32 exec_lo, exec_lo, s1
	s_and_saveexec_b32 s1, vcc_lo
	s_cbranch_execnz .LBB233_360
.LBB233_223:
	s_wait_alu 0xfffe
	s_or_b32 exec_lo, exec_lo, s1
	s_and_saveexec_b32 s1, vcc_lo
	s_cbranch_execnz .LBB233_361
.LBB233_224:
	s_wait_alu 0xfffe
	s_or_b32 exec_lo, exec_lo, s1
	s_and_saveexec_b32 s1, vcc_lo
	s_cbranch_execnz .LBB233_362
.LBB233_225:
	s_wait_alu 0xfffe
	s_or_b32 exec_lo, exec_lo, s1
	s_and_saveexec_b32 s1, vcc_lo
	s_cbranch_execnz .LBB233_363
.LBB233_226:
	s_wait_alu 0xfffe
	s_or_b32 exec_lo, exec_lo, s1
	s_and_saveexec_b32 s1, vcc_lo
	s_cbranch_execnz .LBB233_364
.LBB233_227:
	s_wait_alu 0xfffe
	s_or_b32 exec_lo, exec_lo, s1
	s_and_saveexec_b32 s1, vcc_lo
	s_cbranch_execnz .LBB233_365
.LBB233_228:
	s_wait_alu 0xfffe
	s_or_b32 exec_lo, exec_lo, s1
	s_and_saveexec_b32 s1, vcc_lo
	s_cbranch_execnz .LBB233_366
.LBB233_229:
	s_wait_alu 0xfffe
	s_or_b32 exec_lo, exec_lo, s1
	s_and_saveexec_b32 s1, vcc_lo
	s_cbranch_execnz .LBB233_367
.LBB233_230:
	s_wait_alu 0xfffe
	s_or_b32 exec_lo, exec_lo, s1
	s_and_saveexec_b32 s1, vcc_lo
	s_cbranch_execnz .LBB233_368
.LBB233_231:
	s_wait_alu 0xfffe
	s_or_b32 exec_lo, exec_lo, s1
	s_and_saveexec_b32 s1, vcc_lo
	s_cbranch_execnz .LBB233_369
.LBB233_232:
	s_wait_alu 0xfffe
	s_or_b32 exec_lo, exec_lo, s1
	s_and_saveexec_b32 s1, vcc_lo
	s_cbranch_execnz .LBB233_370
.LBB233_233:
	s_wait_alu 0xfffe
	s_or_b32 exec_lo, exec_lo, s1
	s_and_saveexec_b32 s1, vcc_lo
	s_cbranch_execnz .LBB233_371
.LBB233_234:
	s_wait_alu 0xfffe
	s_or_b32 exec_lo, exec_lo, s1
	s_and_saveexec_b32 s1, vcc_lo
	s_cbranch_execnz .LBB233_372
.LBB233_235:
	s_wait_alu 0xfffe
	s_or_b32 exec_lo, exec_lo, s1
	s_and_saveexec_b32 s1, vcc_lo
	s_cbranch_execz .LBB233_237
.LBB233_236:
	ds_load_b32 v66, v64 offset:1008
	s_wait_dscnt 0x0
	v_add_f32_e32 v63, v63, v66
.LBB233_237:
	s_wait_alu 0xfffe
	s_or_b32 exec_lo, exec_lo, s1
.LBB233_238:
	s_wait_alu 0xfffe
	s_or_b32 exec_lo, exec_lo, s0
	scratch_load_b32 v66, off, off offset:1356 ; 4-byte Folded Reload
	s_mov_b32 s1, exec_lo
	s_wait_loadcnt 0x0
	s_barrier_signal -1
	s_barrier_wait -1
	global_inv scope:SCOPE_SE
	v_and_b32_e32 v66, 0x3e7, v66
	s_delay_alu instid0(VALU_DEP_1)
	v_cmpx_eq_u32_e32 32, v66
	s_cbranch_execz .LBB233_240
; %bb.239:
	ds_store_2addr_b32 v65, v1, v2 offset1:4
	ds_store_2addr_b32 v65, v3, v4 offset0:8 offset1:12
	ds_store_2addr_b32 v65, v5, v6 offset0:16 offset1:20
	;; [unrolled: 1-line block ×31, first 2 shown]
.LBB233_240:
	s_wait_alu 0xfffe
	s_or_b32 exec_lo, exec_lo, s1
	scratch_load_b32 v65, off, off offset:1356 ; 4-byte Folded Reload
	s_mov_b32 s1, exec_lo
	s_wait_loadcnt_dscnt 0x0
	s_barrier_signal -1
	s_barrier_wait -1
	global_inv scope:SCOPE_SE
	v_cmpx_gt_u32_e32 32, v65
	s_cbranch_execz .LBB233_307
; %bb.241:
	s_and_saveexec_b32 s0, vcc_lo
	s_cbranch_execnz .LBB233_373
; %bb.242:
	s_wait_alu 0xfffe
	s_or_b32 exec_lo, exec_lo, s0
	s_and_saveexec_b32 s0, vcc_lo
	s_cbranch_execnz .LBB233_374
.LBB233_243:
	s_wait_alu 0xfffe
	s_or_b32 exec_lo, exec_lo, s0
	s_and_saveexec_b32 s0, vcc_lo
	s_cbranch_execnz .LBB233_375
.LBB233_244:
	s_wait_alu 0xfffe
	s_or_b32 exec_lo, exec_lo, s0
	s_and_saveexec_b32 s0, vcc_lo
	s_cbranch_execnz .LBB233_376
.LBB233_245:
	s_wait_alu 0xfffe
	s_or_b32 exec_lo, exec_lo, s0
	s_and_saveexec_b32 s0, vcc_lo
	s_cbranch_execnz .LBB233_377
.LBB233_246:
	s_wait_alu 0xfffe
	s_or_b32 exec_lo, exec_lo, s0
	s_and_saveexec_b32 s0, vcc_lo
	s_cbranch_execnz .LBB233_378
.LBB233_247:
	s_wait_alu 0xfffe
	s_or_b32 exec_lo, exec_lo, s0
	s_and_saveexec_b32 s0, vcc_lo
	s_cbranch_execnz .LBB233_379
.LBB233_248:
	s_wait_alu 0xfffe
	s_or_b32 exec_lo, exec_lo, s0
	s_and_saveexec_b32 s0, vcc_lo
	s_cbranch_execnz .LBB233_380
.LBB233_249:
	s_wait_alu 0xfffe
	s_or_b32 exec_lo, exec_lo, s0
	s_and_saveexec_b32 s0, vcc_lo
	s_cbranch_execnz .LBB233_381
.LBB233_250:
	s_wait_alu 0xfffe
	s_or_b32 exec_lo, exec_lo, s0
	s_and_saveexec_b32 s0, vcc_lo
	s_cbranch_execnz .LBB233_382
.LBB233_251:
	s_wait_alu 0xfffe
	s_or_b32 exec_lo, exec_lo, s0
	s_and_saveexec_b32 s0, vcc_lo
	s_cbranch_execnz .LBB233_383
.LBB233_252:
	s_wait_alu 0xfffe
	s_or_b32 exec_lo, exec_lo, s0
	s_and_saveexec_b32 s0, vcc_lo
	s_cbranch_execnz .LBB233_384
.LBB233_253:
	s_wait_alu 0xfffe
	s_or_b32 exec_lo, exec_lo, s0
	s_and_saveexec_b32 s0, vcc_lo
	s_cbranch_execnz .LBB233_385
.LBB233_254:
	s_wait_alu 0xfffe
	s_or_b32 exec_lo, exec_lo, s0
	s_and_saveexec_b32 s0, vcc_lo
	s_cbranch_execnz .LBB233_386
.LBB233_255:
	s_wait_alu 0xfffe
	s_or_b32 exec_lo, exec_lo, s0
	s_and_saveexec_b32 s0, vcc_lo
	s_cbranch_execnz .LBB233_387
.LBB233_256:
	s_wait_alu 0xfffe
	s_or_b32 exec_lo, exec_lo, s0
	s_and_saveexec_b32 s0, vcc_lo
	s_cbranch_execnz .LBB233_388
.LBB233_257:
	s_wait_alu 0xfffe
	s_or_b32 exec_lo, exec_lo, s0
	s_and_saveexec_b32 s0, vcc_lo
	s_cbranch_execnz .LBB233_389
.LBB233_258:
	s_wait_alu 0xfffe
	s_or_b32 exec_lo, exec_lo, s0
	s_and_saveexec_b32 s0, vcc_lo
	s_cbranch_execnz .LBB233_390
.LBB233_259:
	s_wait_alu 0xfffe
	s_or_b32 exec_lo, exec_lo, s0
	s_and_saveexec_b32 s0, vcc_lo
	s_cbranch_execnz .LBB233_391
.LBB233_260:
	s_wait_alu 0xfffe
	s_or_b32 exec_lo, exec_lo, s0
	s_and_saveexec_b32 s0, vcc_lo
	s_cbranch_execnz .LBB233_392
.LBB233_261:
	s_wait_alu 0xfffe
	s_or_b32 exec_lo, exec_lo, s0
	s_and_saveexec_b32 s0, vcc_lo
	s_cbranch_execnz .LBB233_393
.LBB233_262:
	s_wait_alu 0xfffe
	s_or_b32 exec_lo, exec_lo, s0
	s_and_saveexec_b32 s0, vcc_lo
	s_cbranch_execnz .LBB233_394
.LBB233_263:
	s_wait_alu 0xfffe
	s_or_b32 exec_lo, exec_lo, s0
	s_and_saveexec_b32 s0, vcc_lo
	s_cbranch_execnz .LBB233_395
.LBB233_264:
	s_wait_alu 0xfffe
	s_or_b32 exec_lo, exec_lo, s0
	s_and_saveexec_b32 s0, vcc_lo
	s_cbranch_execnz .LBB233_396
.LBB233_265:
	s_wait_alu 0xfffe
	s_or_b32 exec_lo, exec_lo, s0
	s_and_saveexec_b32 s0, vcc_lo
	s_cbranch_execnz .LBB233_397
.LBB233_266:
	s_wait_alu 0xfffe
	s_or_b32 exec_lo, exec_lo, s0
	s_and_saveexec_b32 s0, vcc_lo
	s_cbranch_execnz .LBB233_398
.LBB233_267:
	s_wait_alu 0xfffe
	s_or_b32 exec_lo, exec_lo, s0
	s_and_saveexec_b32 s0, vcc_lo
	s_cbranch_execnz .LBB233_399
.LBB233_268:
	s_wait_alu 0xfffe
	s_or_b32 exec_lo, exec_lo, s0
	s_and_saveexec_b32 s0, vcc_lo
	s_cbranch_execnz .LBB233_400
.LBB233_269:
	s_wait_alu 0xfffe
	s_or_b32 exec_lo, exec_lo, s0
	s_and_saveexec_b32 s0, vcc_lo
	s_cbranch_execnz .LBB233_401
.LBB233_270:
	s_wait_alu 0xfffe
	s_or_b32 exec_lo, exec_lo, s0
	s_and_saveexec_b32 s0, vcc_lo
	s_cbranch_execnz .LBB233_402
.LBB233_271:
	s_wait_alu 0xfffe
	s_or_b32 exec_lo, exec_lo, s0
	s_and_saveexec_b32 s0, vcc_lo
	s_cbranch_execnz .LBB233_403
.LBB233_272:
	s_wait_alu 0xfffe
	s_or_b32 exec_lo, exec_lo, s0
	s_and_saveexec_b32 s0, vcc_lo
	s_cbranch_execnz .LBB233_404
.LBB233_273:
	s_wait_alu 0xfffe
	s_or_b32 exec_lo, exec_lo, s0
	s_and_saveexec_b32 s0, vcc_lo
	s_cbranch_execnz .LBB233_405
.LBB233_274:
	s_wait_alu 0xfffe
	s_or_b32 exec_lo, exec_lo, s0
	s_and_saveexec_b32 s0, vcc_lo
	s_cbranch_execnz .LBB233_406
.LBB233_275:
	s_wait_alu 0xfffe
	s_or_b32 exec_lo, exec_lo, s0
	s_and_saveexec_b32 s0, vcc_lo
	s_cbranch_execnz .LBB233_407
.LBB233_276:
	s_wait_alu 0xfffe
	s_or_b32 exec_lo, exec_lo, s0
	s_and_saveexec_b32 s0, vcc_lo
	s_cbranch_execnz .LBB233_408
.LBB233_277:
	s_wait_alu 0xfffe
	s_or_b32 exec_lo, exec_lo, s0
	s_and_saveexec_b32 s0, vcc_lo
	s_cbranch_execnz .LBB233_409
.LBB233_278:
	s_wait_alu 0xfffe
	s_or_b32 exec_lo, exec_lo, s0
	s_and_saveexec_b32 s0, vcc_lo
	s_cbranch_execnz .LBB233_410
.LBB233_279:
	s_wait_alu 0xfffe
	s_or_b32 exec_lo, exec_lo, s0
	s_and_saveexec_b32 s0, vcc_lo
	s_cbranch_execnz .LBB233_411
.LBB233_280:
	s_wait_alu 0xfffe
	s_or_b32 exec_lo, exec_lo, s0
	s_and_saveexec_b32 s0, vcc_lo
	s_cbranch_execnz .LBB233_412
.LBB233_281:
	s_wait_alu 0xfffe
	s_or_b32 exec_lo, exec_lo, s0
	s_and_saveexec_b32 s0, vcc_lo
	s_cbranch_execnz .LBB233_413
.LBB233_282:
	s_wait_alu 0xfffe
	s_or_b32 exec_lo, exec_lo, s0
	s_and_saveexec_b32 s0, vcc_lo
	s_cbranch_execnz .LBB233_414
.LBB233_283:
	s_wait_alu 0xfffe
	s_or_b32 exec_lo, exec_lo, s0
	s_and_saveexec_b32 s0, vcc_lo
	s_cbranch_execnz .LBB233_415
.LBB233_284:
	s_wait_alu 0xfffe
	s_or_b32 exec_lo, exec_lo, s0
	s_and_saveexec_b32 s0, vcc_lo
	s_cbranch_execnz .LBB233_416
.LBB233_285:
	s_wait_alu 0xfffe
	s_or_b32 exec_lo, exec_lo, s0
	s_and_saveexec_b32 s0, vcc_lo
	s_cbranch_execnz .LBB233_417
.LBB233_286:
	s_wait_alu 0xfffe
	s_or_b32 exec_lo, exec_lo, s0
	s_and_saveexec_b32 s0, vcc_lo
	s_cbranch_execnz .LBB233_418
.LBB233_287:
	s_wait_alu 0xfffe
	s_or_b32 exec_lo, exec_lo, s0
	s_and_saveexec_b32 s0, vcc_lo
	s_cbranch_execnz .LBB233_419
.LBB233_288:
	s_wait_alu 0xfffe
	s_or_b32 exec_lo, exec_lo, s0
	s_and_saveexec_b32 s0, vcc_lo
	s_cbranch_execnz .LBB233_420
.LBB233_289:
	s_wait_alu 0xfffe
	s_or_b32 exec_lo, exec_lo, s0
	s_and_saveexec_b32 s0, vcc_lo
	s_cbranch_execnz .LBB233_421
.LBB233_290:
	s_wait_alu 0xfffe
	s_or_b32 exec_lo, exec_lo, s0
	s_and_saveexec_b32 s0, vcc_lo
	s_cbranch_execnz .LBB233_422
.LBB233_291:
	s_wait_alu 0xfffe
	s_or_b32 exec_lo, exec_lo, s0
	s_and_saveexec_b32 s0, vcc_lo
	s_cbranch_execnz .LBB233_423
.LBB233_292:
	s_wait_alu 0xfffe
	s_or_b32 exec_lo, exec_lo, s0
	s_and_saveexec_b32 s0, vcc_lo
	s_cbranch_execnz .LBB233_424
.LBB233_293:
	s_wait_alu 0xfffe
	s_or_b32 exec_lo, exec_lo, s0
	s_and_saveexec_b32 s0, vcc_lo
	s_cbranch_execnz .LBB233_425
.LBB233_294:
	s_wait_alu 0xfffe
	s_or_b32 exec_lo, exec_lo, s0
	s_and_saveexec_b32 s0, vcc_lo
	s_cbranch_execnz .LBB233_426
.LBB233_295:
	s_wait_alu 0xfffe
	s_or_b32 exec_lo, exec_lo, s0
	s_and_saveexec_b32 s0, vcc_lo
	s_cbranch_execnz .LBB233_427
.LBB233_296:
	s_wait_alu 0xfffe
	s_or_b32 exec_lo, exec_lo, s0
	s_and_saveexec_b32 s0, vcc_lo
	s_cbranch_execnz .LBB233_428
.LBB233_297:
	s_wait_alu 0xfffe
	s_or_b32 exec_lo, exec_lo, s0
	s_and_saveexec_b32 s0, vcc_lo
	s_cbranch_execnz .LBB233_429
.LBB233_298:
	s_wait_alu 0xfffe
	s_or_b32 exec_lo, exec_lo, s0
	s_and_saveexec_b32 s0, vcc_lo
	s_cbranch_execnz .LBB233_430
.LBB233_299:
	s_wait_alu 0xfffe
	s_or_b32 exec_lo, exec_lo, s0
	s_and_saveexec_b32 s0, vcc_lo
	s_cbranch_execnz .LBB233_431
.LBB233_300:
	s_wait_alu 0xfffe
	s_or_b32 exec_lo, exec_lo, s0
	s_and_saveexec_b32 s0, vcc_lo
	s_cbranch_execnz .LBB233_432
.LBB233_301:
	s_wait_alu 0xfffe
	s_or_b32 exec_lo, exec_lo, s0
	s_and_saveexec_b32 s0, vcc_lo
	s_cbranch_execnz .LBB233_433
.LBB233_302:
	s_wait_alu 0xfffe
	s_or_b32 exec_lo, exec_lo, s0
	s_and_saveexec_b32 s0, vcc_lo
	s_cbranch_execnz .LBB233_434
.LBB233_303:
	s_wait_alu 0xfffe
	s_or_b32 exec_lo, exec_lo, s0
	s_and_saveexec_b32 s0, vcc_lo
	s_cbranch_execnz .LBB233_435
.LBB233_304:
	s_wait_alu 0xfffe
	s_or_b32 exec_lo, exec_lo, s0
	s_and_saveexec_b32 s0, vcc_lo
	s_cbranch_execz .LBB233_306
.LBB233_305:
	ds_load_b32 v64, v64 offset:1008
	s_wait_dscnt 0x0
	v_add_f32_e32 v63, v63, v64
.LBB233_306:
	s_wait_alu 0xfffe
	s_or_b32 exec_lo, exec_lo, s0
.LBB233_307:
	s_wait_alu 0xfffe
	s_or_b32 exec_lo, exec_lo, s1
	s_mov_b32 s1, 0
	s_wait_loadcnt 0x0
	s_barrier_signal -1
	s_barrier_wait -1
	global_inv scope:SCOPE_SE
	s_mov_b32 s0, exec_lo
	v_cmpx_eq_u32_e32 0, v66
	s_cbranch_execz .LBB233_309
; %bb.308:
	scratch_load_b32 v64, off, off offset:1356 th:TH_LOAD_LU ; 4-byte Folded Reload
	s_lshl_b32 s2, s4, 8
	s_mul_i32 s4, s7, s6
	s_wait_alu 0xfffe
	s_ashr_i32 s3, s2, 31
	s_ashr_i32 s5, s4, 31
	s_wait_alu 0xfffe
	s_lshl_b64 s[2:3], s[2:3], 2
	s_lshl_b64 s[4:5], s[4:5], 2
	s_wait_kmcnt 0x0
	s_wait_alu 0xfffe
	s_add_nc_u64 s[2:3], s[8:9], s[2:3]
	s_lshl_b32 s0, s33, 10
	s_wait_alu 0xfffe
	s_add_nc_u64 s[2:3], s[2:3], s[4:5]
	s_wait_alu 0xfffe
	s_add_nc_u64 s[0:1], s[2:3], s[0:1]
	s_wait_loadcnt 0x0
	v_lshrrev_b32_e32 v64, 1, v64
	s_clause 0x1f
	global_store_b32 v64, v1, s[0:1]
	global_store_b32 v64, v2, s[0:1] offset:16
	global_store_b32 v64, v3, s[0:1] offset:32
	;; [unrolled: 1-line block ×31, first 2 shown]
	s_clause 0x1f
	global_store_b32 v64, v34, s[0:1] offset:512
	global_store_b32 v64, v35, s[0:1] offset:528
	;; [unrolled: 1-line block ×32, first 2 shown]
.LBB233_309:
	s_nop 0
	s_sendmsg sendmsg(MSG_DEALLOC_VGPRS)
	s_endpgm
.LBB233_310:
	ds_load_b32 v66, v64
	s_wait_dscnt 0x0
	v_add_f32_e32 v1, v1, v66
	s_wait_alu 0xfffe
	s_or_b32 exec_lo, exec_lo, s1
	s_and_saveexec_b32 s1, vcc_lo
	s_cbranch_execz .LBB233_174
.LBB233_311:
	ds_load_b32 v66, v64 offset:16
	s_wait_dscnt 0x0
	v_add_f32_e32 v2, v2, v66
	s_wait_alu 0xfffe
	s_or_b32 exec_lo, exec_lo, s1
	s_and_saveexec_b32 s1, vcc_lo
	s_cbranch_execz .LBB233_175
.LBB233_312:
	ds_load_b32 v66, v64 offset:32
	s_wait_dscnt 0x0
	v_add_f32_e32 v3, v3, v66
	s_wait_alu 0xfffe
	s_or_b32 exec_lo, exec_lo, s1
	s_and_saveexec_b32 s1, vcc_lo
	s_cbranch_execz .LBB233_176
.LBB233_313:
	ds_load_b32 v66, v64 offset:48
	s_wait_dscnt 0x0
	v_add_f32_e32 v4, v4, v66
	s_wait_alu 0xfffe
	s_or_b32 exec_lo, exec_lo, s1
	s_and_saveexec_b32 s1, vcc_lo
	s_cbranch_execz .LBB233_177
.LBB233_314:
	ds_load_b32 v66, v64 offset:64
	s_wait_dscnt 0x0
	v_add_f32_e32 v5, v5, v66
	s_wait_alu 0xfffe
	s_or_b32 exec_lo, exec_lo, s1
	s_and_saveexec_b32 s1, vcc_lo
	s_cbranch_execz .LBB233_178
.LBB233_315:
	ds_load_b32 v66, v64 offset:80
	s_wait_dscnt 0x0
	v_add_f32_e32 v6, v6, v66
	s_wait_alu 0xfffe
	s_or_b32 exec_lo, exec_lo, s1
	s_and_saveexec_b32 s1, vcc_lo
	s_cbranch_execz .LBB233_179
.LBB233_316:
	ds_load_b32 v66, v64 offset:96
	s_wait_dscnt 0x0
	v_add_f32_e32 v7, v7, v66
	s_wait_alu 0xfffe
	s_or_b32 exec_lo, exec_lo, s1
	s_and_saveexec_b32 s1, vcc_lo
	s_cbranch_execz .LBB233_180
.LBB233_317:
	ds_load_b32 v66, v64 offset:112
	s_wait_dscnt 0x0
	v_add_f32_e32 v8, v8, v66
	s_wait_alu 0xfffe
	s_or_b32 exec_lo, exec_lo, s1
	s_and_saveexec_b32 s1, vcc_lo
	s_cbranch_execz .LBB233_181
.LBB233_318:
	ds_load_b32 v66, v64 offset:128
	s_wait_dscnt 0x0
	v_add_f32_e32 v56, v56, v66
	s_wait_alu 0xfffe
	s_or_b32 exec_lo, exec_lo, s1
	s_and_saveexec_b32 s1, vcc_lo
	s_cbranch_execz .LBB233_182
.LBB233_319:
	ds_load_b32 v66, v64 offset:144
	s_wait_dscnt 0x0
	v_add_f32_e32 v57, v57, v66
	s_wait_alu 0xfffe
	s_or_b32 exec_lo, exec_lo, s1
	s_and_saveexec_b32 s1, vcc_lo
	s_cbranch_execz .LBB233_183
.LBB233_320:
	ds_load_b32 v66, v64 offset:160
	s_wait_dscnt 0x0
	v_add_f32_e32 v58, v58, v66
	s_wait_alu 0xfffe
	s_or_b32 exec_lo, exec_lo, s1
	s_and_saveexec_b32 s1, vcc_lo
	s_cbranch_execz .LBB233_184
.LBB233_321:
	ds_load_b32 v66, v64 offset:176
	s_wait_dscnt 0x0
	v_add_f32_e32 v59, v59, v66
	s_wait_alu 0xfffe
	s_or_b32 exec_lo, exec_lo, s1
	s_and_saveexec_b32 s1, vcc_lo
	s_cbranch_execz .LBB233_185
.LBB233_322:
	ds_load_b32 v66, v64 offset:192
	s_wait_dscnt 0x0
	v_add_f32_e32 v60, v60, v66
	s_wait_alu 0xfffe
	s_or_b32 exec_lo, exec_lo, s1
	s_and_saveexec_b32 s1, vcc_lo
	s_cbranch_execz .LBB233_186
.LBB233_323:
	ds_load_b32 v66, v64 offset:208
	s_wait_dscnt 0x0
	v_add_f32_e32 v61, v61, v66
	s_wait_alu 0xfffe
	s_or_b32 exec_lo, exec_lo, s1
	s_and_saveexec_b32 s1, vcc_lo
	s_cbranch_execz .LBB233_187
.LBB233_324:
	ds_load_b32 v66, v64 offset:224
	s_wait_dscnt 0x0
	v_add_f32_e32 v51, v51, v66
	s_wait_alu 0xfffe
	s_or_b32 exec_lo, exec_lo, s1
	s_and_saveexec_b32 s1, vcc_lo
	s_cbranch_execz .LBB233_188
.LBB233_325:
	ds_load_b32 v66, v64 offset:240
	s_wait_dscnt 0x0
	v_add_f32_e32 v52, v52, v66
	s_wait_alu 0xfffe
	s_or_b32 exec_lo, exec_lo, s1
	s_and_saveexec_b32 s1, vcc_lo
	s_cbranch_execz .LBB233_189
.LBB233_326:
	ds_load_b32 v66, v64 offset:256
	s_wait_dscnt 0x0
	v_add_f32_e32 v49, v49, v66
	s_wait_alu 0xfffe
	s_or_b32 exec_lo, exec_lo, s1
	s_and_saveexec_b32 s1, vcc_lo
	s_cbranch_execz .LBB233_190
.LBB233_327:
	ds_load_b32 v66, v64 offset:272
	s_wait_dscnt 0x0
	v_add_f32_e32 v50, v50, v66
	s_wait_alu 0xfffe
	s_or_b32 exec_lo, exec_lo, s1
	s_and_saveexec_b32 s1, vcc_lo
	s_cbranch_execz .LBB233_191
.LBB233_328:
	ds_load_b32 v66, v64 offset:288
	s_wait_dscnt 0x0
	v_add_f32_e32 v53, v53, v66
	s_wait_alu 0xfffe
	s_or_b32 exec_lo, exec_lo, s1
	s_and_saveexec_b32 s1, vcc_lo
	s_cbranch_execz .LBB233_192
.LBB233_329:
	ds_load_b32 v66, v64 offset:304
	s_wait_dscnt 0x0
	v_add_f32_e32 v48, v48, v66
	s_wait_alu 0xfffe
	s_or_b32 exec_lo, exec_lo, s1
	s_and_saveexec_b32 s1, vcc_lo
	s_cbranch_execz .LBB233_193
.LBB233_330:
	ds_load_b32 v66, v64 offset:320
	s_wait_dscnt 0x0
	v_add_f32_e32 v43, v43, v66
	s_wait_alu 0xfffe
	s_or_b32 exec_lo, exec_lo, s1
	s_and_saveexec_b32 s1, vcc_lo
	s_cbranch_execz .LBB233_194
.LBB233_331:
	ds_load_b32 v66, v64 offset:336
	s_wait_dscnt 0x0
	v_add_f32_e32 v44, v44, v66
	s_wait_alu 0xfffe
	s_or_b32 exec_lo, exec_lo, s1
	s_and_saveexec_b32 s1, vcc_lo
	s_cbranch_execz .LBB233_195
.LBB233_332:
	ds_load_b32 v66, v64 offset:352
	s_wait_dscnt 0x0
	v_add_f32_e32 v45, v45, v66
	s_wait_alu 0xfffe
	s_or_b32 exec_lo, exec_lo, s1
	s_and_saveexec_b32 s1, vcc_lo
	s_cbranch_execz .LBB233_196
.LBB233_333:
	ds_load_b32 v66, v64 offset:368
	s_wait_dscnt 0x0
	v_add_f32_e32 v46, v46, v66
	s_wait_alu 0xfffe
	s_or_b32 exec_lo, exec_lo, s1
	s_and_saveexec_b32 s1, vcc_lo
	s_cbranch_execz .LBB233_197
.LBB233_334:
	ds_load_b32 v66, v64 offset:384
	s_wait_dscnt 0x0
	v_add_f32_e32 v41, v41, v66
	s_wait_alu 0xfffe
	s_or_b32 exec_lo, exec_lo, s1
	s_and_saveexec_b32 s1, vcc_lo
	s_cbranch_execz .LBB233_198
.LBB233_335:
	ds_load_b32 v66, v64 offset:400
	s_wait_dscnt 0x0
	v_add_f32_e32 v42, v42, v66
	s_wait_alu 0xfffe
	s_or_b32 exec_lo, exec_lo, s1
	s_and_saveexec_b32 s1, vcc_lo
	s_cbranch_execz .LBB233_199
.LBB233_336:
	ds_load_b32 v66, v64 offset:416
	s_wait_dscnt 0x0
	v_add_f32_e32 v47, v47, v66
	s_wait_alu 0xfffe
	s_or_b32 exec_lo, exec_lo, s1
	s_and_saveexec_b32 s1, vcc_lo
	s_cbranch_execz .LBB233_200
.LBB233_337:
	ds_load_b32 v66, v64 offset:432
	s_wait_dscnt 0x0
	v_add_f32_e32 v54, v54, v66
	s_wait_alu 0xfffe
	s_or_b32 exec_lo, exec_lo, s1
	s_and_saveexec_b32 s1, vcc_lo
	s_cbranch_execz .LBB233_201
.LBB233_338:
	ds_load_b32 v66, v64 offset:448
	s_wait_dscnt 0x0
	v_add_f32_e32 v55, v55, v66
	s_wait_alu 0xfffe
	s_or_b32 exec_lo, exec_lo, s1
	s_and_saveexec_b32 s1, vcc_lo
	s_cbranch_execz .LBB233_202
.LBB233_339:
	ds_load_b32 v66, v64 offset:464
	s_wait_dscnt 0x0
	v_add_f32_e32 v0, v0, v66
	s_wait_alu 0xfffe
	s_or_b32 exec_lo, exec_lo, s1
	s_and_saveexec_b32 s1, vcc_lo
	s_cbranch_execz .LBB233_203
.LBB233_340:
	ds_load_b32 v66, v64 offset:480
	s_wait_dscnt 0x0
	v_add_f32_e32 v36, v36, v66
	s_wait_alu 0xfffe
	s_or_b32 exec_lo, exec_lo, s1
	s_and_saveexec_b32 s1, vcc_lo
	s_cbranch_execz .LBB233_204
.LBB233_341:
	ds_load_b32 v66, v64 offset:496
	s_wait_dscnt 0x0
	v_add_f32_e32 v33, v33, v66
	s_wait_alu 0xfffe
	s_or_b32 exec_lo, exec_lo, s1
	s_and_saveexec_b32 s1, vcc_lo
	s_cbranch_execz .LBB233_205
.LBB233_342:
	ds_load_b32 v66, v64 offset:512
	s_wait_dscnt 0x0
	v_add_f32_e32 v34, v34, v66
	s_wait_alu 0xfffe
	s_or_b32 exec_lo, exec_lo, s1
	s_and_saveexec_b32 s1, vcc_lo
	s_cbranch_execz .LBB233_206
.LBB233_343:
	ds_load_b32 v66, v64 offset:528
	s_wait_dscnt 0x0
	v_add_f32_e32 v35, v35, v66
	s_wait_alu 0xfffe
	s_or_b32 exec_lo, exec_lo, s1
	s_and_saveexec_b32 s1, vcc_lo
	s_cbranch_execz .LBB233_207
.LBB233_344:
	ds_load_b32 v66, v64 offset:544
	s_wait_dscnt 0x0
	v_add_f32_e32 v37, v37, v66
	s_wait_alu 0xfffe
	s_or_b32 exec_lo, exec_lo, s1
	s_and_saveexec_b32 s1, vcc_lo
	s_cbranch_execz .LBB233_208
.LBB233_345:
	ds_load_b32 v66, v64 offset:560
	s_wait_dscnt 0x0
	v_add_f32_e32 v29, v29, v66
	s_wait_alu 0xfffe
	s_or_b32 exec_lo, exec_lo, s1
	s_and_saveexec_b32 s1, vcc_lo
	s_cbranch_execz .LBB233_209
.LBB233_346:
	ds_load_b32 v66, v64 offset:576
	s_wait_dscnt 0x0
	v_add_f32_e32 v12, v12, v66
	s_wait_alu 0xfffe
	s_or_b32 exec_lo, exec_lo, s1
	s_and_saveexec_b32 s1, vcc_lo
	s_cbranch_execz .LBB233_210
.LBB233_347:
	ds_load_b32 v66, v64 offset:592
	s_wait_dscnt 0x0
	v_add_f32_e32 v13, v13, v66
	s_wait_alu 0xfffe
	s_or_b32 exec_lo, exec_lo, s1
	s_and_saveexec_b32 s1, vcc_lo
	s_cbranch_execz .LBB233_211
.LBB233_348:
	ds_load_b32 v66, v64 offset:608
	s_wait_dscnt 0x0
	v_add_f32_e32 v27, v27, v66
	s_wait_alu 0xfffe
	s_or_b32 exec_lo, exec_lo, s1
	s_and_saveexec_b32 s1, vcc_lo
	s_cbranch_execz .LBB233_212
.LBB233_349:
	ds_load_b32 v66, v64 offset:624
	s_wait_dscnt 0x0
	v_add_f32_e32 v14, v14, v66
	s_wait_alu 0xfffe
	s_or_b32 exec_lo, exec_lo, s1
	s_and_saveexec_b32 s1, vcc_lo
	s_cbranch_execz .LBB233_213
.LBB233_350:
	ds_load_b32 v66, v64 offset:640
	s_wait_dscnt 0x0
	v_add_f32_e32 v26, v26, v66
	s_wait_alu 0xfffe
	s_or_b32 exec_lo, exec_lo, s1
	s_and_saveexec_b32 s1, vcc_lo
	s_cbranch_execz .LBB233_214
.LBB233_351:
	ds_load_b32 v66, v64 offset:656
	s_wait_dscnt 0x0
	v_add_f32_e32 v25, v25, v66
	s_wait_alu 0xfffe
	s_or_b32 exec_lo, exec_lo, s1
	s_and_saveexec_b32 s1, vcc_lo
	s_cbranch_execz .LBB233_215
.LBB233_352:
	ds_load_b32 v66, v64 offset:672
	s_wait_dscnt 0x0
	v_add_f32_e32 v28, v28, v66
	s_wait_alu 0xfffe
	s_or_b32 exec_lo, exec_lo, s1
	s_and_saveexec_b32 s1, vcc_lo
	s_cbranch_execz .LBB233_216
.LBB233_353:
	ds_load_b32 v66, v64 offset:688
	s_wait_dscnt 0x0
	v_add_f32_e32 v30, v30, v66
	s_wait_alu 0xfffe
	s_or_b32 exec_lo, exec_lo, s1
	s_and_saveexec_b32 s1, vcc_lo
	s_cbranch_execz .LBB233_217
.LBB233_354:
	ds_load_b32 v66, v64 offset:704
	s_wait_dscnt 0x0
	v_add_f32_e32 v10, v10, v66
	s_wait_alu 0xfffe
	s_or_b32 exec_lo, exec_lo, s1
	s_and_saveexec_b32 s1, vcc_lo
	s_cbranch_execz .LBB233_218
.LBB233_355:
	ds_load_b32 v66, v64 offset:720
	s_wait_dscnt 0x0
	v_add_f32_e32 v11, v11, v66
	s_wait_alu 0xfffe
	s_or_b32 exec_lo, exec_lo, s1
	s_and_saveexec_b32 s1, vcc_lo
	s_cbranch_execz .LBB233_219
.LBB233_356:
	ds_load_b32 v66, v64 offset:736
	s_wait_dscnt 0x0
	v_add_f32_e32 v15, v15, v66
	s_wait_alu 0xfffe
	s_or_b32 exec_lo, exec_lo, s1
	s_and_saveexec_b32 s1, vcc_lo
	s_cbranch_execz .LBB233_220
.LBB233_357:
	ds_load_b32 v66, v64 offset:752
	s_wait_dscnt 0x0
	v_add_f32_e32 v9, v9, v66
	s_wait_alu 0xfffe
	s_or_b32 exec_lo, exec_lo, s1
	s_and_saveexec_b32 s1, vcc_lo
	s_cbranch_execz .LBB233_221
.LBB233_358:
	ds_load_b32 v66, v64 offset:768
	s_wait_dscnt 0x0
	v_add_f32_e32 v16, v16, v66
	s_wait_alu 0xfffe
	s_or_b32 exec_lo, exec_lo, s1
	s_and_saveexec_b32 s1, vcc_lo
	s_cbranch_execz .LBB233_222
.LBB233_359:
	ds_load_b32 v66, v64 offset:784
	s_wait_dscnt 0x0
	v_add_f32_e32 v17, v17, v66
	s_wait_alu 0xfffe
	s_or_b32 exec_lo, exec_lo, s1
	s_and_saveexec_b32 s1, vcc_lo
	s_cbranch_execz .LBB233_223
.LBB233_360:
	ds_load_b32 v66, v64 offset:800
	s_wait_dscnt 0x0
	v_add_f32_e32 v18, v18, v66
	s_wait_alu 0xfffe
	s_or_b32 exec_lo, exec_lo, s1
	s_and_saveexec_b32 s1, vcc_lo
	s_cbranch_execz .LBB233_224
.LBB233_361:
	ds_load_b32 v66, v64 offset:816
	s_wait_dscnt 0x0
	v_add_f32_e32 v19, v19, v66
	s_wait_alu 0xfffe
	s_or_b32 exec_lo, exec_lo, s1
	s_and_saveexec_b32 s1, vcc_lo
	s_cbranch_execz .LBB233_225
.LBB233_362:
	ds_load_b32 v66, v64 offset:832
	s_wait_dscnt 0x0
	v_add_f32_e32 v20, v20, v66
	s_wait_alu 0xfffe
	s_or_b32 exec_lo, exec_lo, s1
	s_and_saveexec_b32 s1, vcc_lo
	s_cbranch_execz .LBB233_226
.LBB233_363:
	ds_load_b32 v66, v64 offset:848
	s_wait_dscnt 0x0
	v_add_f32_e32 v21, v21, v66
	s_wait_alu 0xfffe
	s_or_b32 exec_lo, exec_lo, s1
	s_and_saveexec_b32 s1, vcc_lo
	s_cbranch_execz .LBB233_227
.LBB233_364:
	ds_load_b32 v66, v64 offset:864
	s_wait_dscnt 0x0
	v_add_f32_e32 v22, v22, v66
	s_wait_alu 0xfffe
	s_or_b32 exec_lo, exec_lo, s1
	s_and_saveexec_b32 s1, vcc_lo
	s_cbranch_execz .LBB233_228
.LBB233_365:
	ds_load_b32 v66, v64 offset:880
	s_wait_dscnt 0x0
	v_add_f32_e32 v23, v23, v66
	s_wait_alu 0xfffe
	s_or_b32 exec_lo, exec_lo, s1
	s_and_saveexec_b32 s1, vcc_lo
	s_cbranch_execz .LBB233_229
.LBB233_366:
	ds_load_b32 v66, v64 offset:896
	s_wait_dscnt 0x0
	v_add_f32_e32 v24, v24, v66
	s_wait_alu 0xfffe
	s_or_b32 exec_lo, exec_lo, s1
	s_and_saveexec_b32 s1, vcc_lo
	s_cbranch_execz .LBB233_230
.LBB233_367:
	ds_load_b32 v66, v64 offset:912
	s_wait_dscnt 0x0
	v_add_f32_e32 v31, v31, v66
	s_wait_alu 0xfffe
	s_or_b32 exec_lo, exec_lo, s1
	s_and_saveexec_b32 s1, vcc_lo
	s_cbranch_execz .LBB233_231
.LBB233_368:
	ds_load_b32 v66, v64 offset:928
	s_wait_dscnt 0x0
	v_add_f32_e32 v32, v32, v66
	s_wait_alu 0xfffe
	s_or_b32 exec_lo, exec_lo, s1
	s_and_saveexec_b32 s1, vcc_lo
	s_cbranch_execz .LBB233_232
.LBB233_369:
	ds_load_b32 v66, v64 offset:944
	s_wait_dscnt 0x0
	v_add_f32_e32 v38, v38, v66
	s_wait_alu 0xfffe
	s_or_b32 exec_lo, exec_lo, s1
	s_and_saveexec_b32 s1, vcc_lo
	s_cbranch_execz .LBB233_233
.LBB233_370:
	ds_load_b32 v66, v64 offset:960
	s_wait_dscnt 0x0
	v_add_f32_e32 v39, v39, v66
	s_wait_alu 0xfffe
	s_or_b32 exec_lo, exec_lo, s1
	s_and_saveexec_b32 s1, vcc_lo
	s_cbranch_execz .LBB233_234
.LBB233_371:
	ds_load_b32 v66, v64 offset:976
	s_wait_dscnt 0x0
	v_add_f32_e32 v40, v40, v66
	s_wait_alu 0xfffe
	s_or_b32 exec_lo, exec_lo, s1
	s_and_saveexec_b32 s1, vcc_lo
	s_cbranch_execz .LBB233_235
.LBB233_372:
	ds_load_b32 v66, v64 offset:992
	s_wait_dscnt 0x0
	v_add_f32_e32 v62, v62, v66
	s_wait_alu 0xfffe
	s_or_b32 exec_lo, exec_lo, s1
	s_and_saveexec_b32 s1, vcc_lo
	s_cbranch_execnz .LBB233_236
	s_branch .LBB233_237
.LBB233_373:
	ds_load_b32 v65, v64
	s_wait_dscnt 0x0
	v_add_f32_e32 v1, v1, v65
	s_wait_alu 0xfffe
	s_or_b32 exec_lo, exec_lo, s0
	s_and_saveexec_b32 s0, vcc_lo
	s_cbranch_execz .LBB233_243
.LBB233_374:
	ds_load_b32 v65, v64 offset:16
	s_wait_dscnt 0x0
	v_add_f32_e32 v2, v2, v65
	s_wait_alu 0xfffe
	s_or_b32 exec_lo, exec_lo, s0
	s_and_saveexec_b32 s0, vcc_lo
	s_cbranch_execz .LBB233_244
.LBB233_375:
	ds_load_b32 v65, v64 offset:32
	s_wait_dscnt 0x0
	v_add_f32_e32 v3, v3, v65
	s_wait_alu 0xfffe
	s_or_b32 exec_lo, exec_lo, s0
	s_and_saveexec_b32 s0, vcc_lo
	s_cbranch_execz .LBB233_245
.LBB233_376:
	ds_load_b32 v65, v64 offset:48
	s_wait_dscnt 0x0
	v_add_f32_e32 v4, v4, v65
	s_wait_alu 0xfffe
	s_or_b32 exec_lo, exec_lo, s0
	s_and_saveexec_b32 s0, vcc_lo
	s_cbranch_execz .LBB233_246
.LBB233_377:
	ds_load_b32 v65, v64 offset:64
	s_wait_dscnt 0x0
	v_add_f32_e32 v5, v5, v65
	s_wait_alu 0xfffe
	s_or_b32 exec_lo, exec_lo, s0
	s_and_saveexec_b32 s0, vcc_lo
	s_cbranch_execz .LBB233_247
.LBB233_378:
	ds_load_b32 v65, v64 offset:80
	s_wait_dscnt 0x0
	v_add_f32_e32 v6, v6, v65
	s_wait_alu 0xfffe
	s_or_b32 exec_lo, exec_lo, s0
	s_and_saveexec_b32 s0, vcc_lo
	s_cbranch_execz .LBB233_248
.LBB233_379:
	ds_load_b32 v65, v64 offset:96
	s_wait_dscnt 0x0
	v_add_f32_e32 v7, v7, v65
	s_wait_alu 0xfffe
	s_or_b32 exec_lo, exec_lo, s0
	s_and_saveexec_b32 s0, vcc_lo
	s_cbranch_execz .LBB233_249
.LBB233_380:
	ds_load_b32 v65, v64 offset:112
	s_wait_dscnt 0x0
	v_add_f32_e32 v8, v8, v65
	s_wait_alu 0xfffe
	s_or_b32 exec_lo, exec_lo, s0
	s_and_saveexec_b32 s0, vcc_lo
	s_cbranch_execz .LBB233_250
.LBB233_381:
	ds_load_b32 v65, v64 offset:128
	s_wait_dscnt 0x0
	v_add_f32_e32 v56, v56, v65
	s_wait_alu 0xfffe
	s_or_b32 exec_lo, exec_lo, s0
	s_and_saveexec_b32 s0, vcc_lo
	s_cbranch_execz .LBB233_251
.LBB233_382:
	ds_load_b32 v65, v64 offset:144
	s_wait_dscnt 0x0
	v_add_f32_e32 v57, v57, v65
	s_wait_alu 0xfffe
	s_or_b32 exec_lo, exec_lo, s0
	s_and_saveexec_b32 s0, vcc_lo
	s_cbranch_execz .LBB233_252
.LBB233_383:
	ds_load_b32 v65, v64 offset:160
	s_wait_dscnt 0x0
	v_add_f32_e32 v58, v58, v65
	s_wait_alu 0xfffe
	s_or_b32 exec_lo, exec_lo, s0
	s_and_saveexec_b32 s0, vcc_lo
	s_cbranch_execz .LBB233_253
.LBB233_384:
	ds_load_b32 v65, v64 offset:176
	s_wait_dscnt 0x0
	v_add_f32_e32 v59, v59, v65
	s_wait_alu 0xfffe
	s_or_b32 exec_lo, exec_lo, s0
	s_and_saveexec_b32 s0, vcc_lo
	s_cbranch_execz .LBB233_254
.LBB233_385:
	ds_load_b32 v65, v64 offset:192
	s_wait_dscnt 0x0
	v_add_f32_e32 v60, v60, v65
	s_wait_alu 0xfffe
	s_or_b32 exec_lo, exec_lo, s0
	s_and_saveexec_b32 s0, vcc_lo
	s_cbranch_execz .LBB233_255
.LBB233_386:
	ds_load_b32 v65, v64 offset:208
	s_wait_dscnt 0x0
	v_add_f32_e32 v61, v61, v65
	s_wait_alu 0xfffe
	s_or_b32 exec_lo, exec_lo, s0
	s_and_saveexec_b32 s0, vcc_lo
	s_cbranch_execz .LBB233_256
.LBB233_387:
	ds_load_b32 v65, v64 offset:224
	s_wait_dscnt 0x0
	v_add_f32_e32 v51, v51, v65
	s_wait_alu 0xfffe
	s_or_b32 exec_lo, exec_lo, s0
	s_and_saveexec_b32 s0, vcc_lo
	s_cbranch_execz .LBB233_257
.LBB233_388:
	ds_load_b32 v65, v64 offset:240
	s_wait_dscnt 0x0
	v_add_f32_e32 v52, v52, v65
	s_wait_alu 0xfffe
	s_or_b32 exec_lo, exec_lo, s0
	s_and_saveexec_b32 s0, vcc_lo
	s_cbranch_execz .LBB233_258
.LBB233_389:
	ds_load_b32 v65, v64 offset:256
	s_wait_dscnt 0x0
	v_add_f32_e32 v49, v49, v65
	s_wait_alu 0xfffe
	s_or_b32 exec_lo, exec_lo, s0
	s_and_saveexec_b32 s0, vcc_lo
	s_cbranch_execz .LBB233_259
.LBB233_390:
	ds_load_b32 v65, v64 offset:272
	s_wait_dscnt 0x0
	v_add_f32_e32 v50, v50, v65
	s_wait_alu 0xfffe
	s_or_b32 exec_lo, exec_lo, s0
	s_and_saveexec_b32 s0, vcc_lo
	s_cbranch_execz .LBB233_260
.LBB233_391:
	ds_load_b32 v65, v64 offset:288
	s_wait_dscnt 0x0
	v_add_f32_e32 v53, v53, v65
	s_wait_alu 0xfffe
	s_or_b32 exec_lo, exec_lo, s0
	s_and_saveexec_b32 s0, vcc_lo
	s_cbranch_execz .LBB233_261
.LBB233_392:
	ds_load_b32 v65, v64 offset:304
	s_wait_dscnt 0x0
	v_add_f32_e32 v48, v48, v65
	s_wait_alu 0xfffe
	s_or_b32 exec_lo, exec_lo, s0
	s_and_saveexec_b32 s0, vcc_lo
	s_cbranch_execz .LBB233_262
.LBB233_393:
	ds_load_b32 v65, v64 offset:320
	s_wait_dscnt 0x0
	v_add_f32_e32 v43, v43, v65
	s_wait_alu 0xfffe
	s_or_b32 exec_lo, exec_lo, s0
	s_and_saveexec_b32 s0, vcc_lo
	s_cbranch_execz .LBB233_263
.LBB233_394:
	ds_load_b32 v65, v64 offset:336
	s_wait_dscnt 0x0
	v_add_f32_e32 v44, v44, v65
	s_wait_alu 0xfffe
	s_or_b32 exec_lo, exec_lo, s0
	s_and_saveexec_b32 s0, vcc_lo
	s_cbranch_execz .LBB233_264
.LBB233_395:
	ds_load_b32 v65, v64 offset:352
	s_wait_dscnt 0x0
	v_add_f32_e32 v45, v45, v65
	s_wait_alu 0xfffe
	s_or_b32 exec_lo, exec_lo, s0
	s_and_saveexec_b32 s0, vcc_lo
	s_cbranch_execz .LBB233_265
.LBB233_396:
	ds_load_b32 v65, v64 offset:368
	s_wait_dscnt 0x0
	v_add_f32_e32 v46, v46, v65
	s_wait_alu 0xfffe
	s_or_b32 exec_lo, exec_lo, s0
	s_and_saveexec_b32 s0, vcc_lo
	s_cbranch_execz .LBB233_266
.LBB233_397:
	ds_load_b32 v65, v64 offset:384
	s_wait_dscnt 0x0
	v_add_f32_e32 v41, v41, v65
	s_wait_alu 0xfffe
	s_or_b32 exec_lo, exec_lo, s0
	s_and_saveexec_b32 s0, vcc_lo
	s_cbranch_execz .LBB233_267
.LBB233_398:
	ds_load_b32 v65, v64 offset:400
	s_wait_dscnt 0x0
	v_add_f32_e32 v42, v42, v65
	s_wait_alu 0xfffe
	s_or_b32 exec_lo, exec_lo, s0
	s_and_saveexec_b32 s0, vcc_lo
	s_cbranch_execz .LBB233_268
.LBB233_399:
	ds_load_b32 v65, v64 offset:416
	s_wait_dscnt 0x0
	v_add_f32_e32 v47, v47, v65
	s_wait_alu 0xfffe
	s_or_b32 exec_lo, exec_lo, s0
	s_and_saveexec_b32 s0, vcc_lo
	s_cbranch_execz .LBB233_269
.LBB233_400:
	ds_load_b32 v65, v64 offset:432
	s_wait_dscnt 0x0
	v_add_f32_e32 v54, v54, v65
	s_wait_alu 0xfffe
	s_or_b32 exec_lo, exec_lo, s0
	s_and_saveexec_b32 s0, vcc_lo
	s_cbranch_execz .LBB233_270
.LBB233_401:
	ds_load_b32 v65, v64 offset:448
	s_wait_dscnt 0x0
	v_add_f32_e32 v55, v55, v65
	s_wait_alu 0xfffe
	s_or_b32 exec_lo, exec_lo, s0
	s_and_saveexec_b32 s0, vcc_lo
	s_cbranch_execz .LBB233_271
.LBB233_402:
	ds_load_b32 v65, v64 offset:464
	s_wait_dscnt 0x0
	v_add_f32_e32 v0, v0, v65
	s_wait_alu 0xfffe
	s_or_b32 exec_lo, exec_lo, s0
	s_and_saveexec_b32 s0, vcc_lo
	s_cbranch_execz .LBB233_272
.LBB233_403:
	ds_load_b32 v65, v64 offset:480
	s_wait_dscnt 0x0
	v_add_f32_e32 v36, v36, v65
	s_wait_alu 0xfffe
	s_or_b32 exec_lo, exec_lo, s0
	s_and_saveexec_b32 s0, vcc_lo
	s_cbranch_execz .LBB233_273
.LBB233_404:
	ds_load_b32 v65, v64 offset:496
	s_wait_dscnt 0x0
	v_add_f32_e32 v33, v33, v65
	s_wait_alu 0xfffe
	s_or_b32 exec_lo, exec_lo, s0
	s_and_saveexec_b32 s0, vcc_lo
	s_cbranch_execz .LBB233_274
.LBB233_405:
	ds_load_b32 v65, v64 offset:512
	s_wait_dscnt 0x0
	v_add_f32_e32 v34, v34, v65
	s_wait_alu 0xfffe
	s_or_b32 exec_lo, exec_lo, s0
	s_and_saveexec_b32 s0, vcc_lo
	s_cbranch_execz .LBB233_275
.LBB233_406:
	ds_load_b32 v65, v64 offset:528
	s_wait_dscnt 0x0
	v_add_f32_e32 v35, v35, v65
	s_wait_alu 0xfffe
	s_or_b32 exec_lo, exec_lo, s0
	s_and_saveexec_b32 s0, vcc_lo
	s_cbranch_execz .LBB233_276
.LBB233_407:
	ds_load_b32 v65, v64 offset:544
	s_wait_dscnt 0x0
	v_add_f32_e32 v37, v37, v65
	s_wait_alu 0xfffe
	s_or_b32 exec_lo, exec_lo, s0
	s_and_saveexec_b32 s0, vcc_lo
	s_cbranch_execz .LBB233_277
.LBB233_408:
	ds_load_b32 v65, v64 offset:560
	s_wait_dscnt 0x0
	v_add_f32_e32 v29, v29, v65
	s_wait_alu 0xfffe
	s_or_b32 exec_lo, exec_lo, s0
	s_and_saveexec_b32 s0, vcc_lo
	s_cbranch_execz .LBB233_278
.LBB233_409:
	ds_load_b32 v65, v64 offset:576
	s_wait_dscnt 0x0
	v_add_f32_e32 v12, v12, v65
	s_wait_alu 0xfffe
	s_or_b32 exec_lo, exec_lo, s0
	s_and_saveexec_b32 s0, vcc_lo
	s_cbranch_execz .LBB233_279
.LBB233_410:
	ds_load_b32 v65, v64 offset:592
	s_wait_dscnt 0x0
	v_add_f32_e32 v13, v13, v65
	s_wait_alu 0xfffe
	s_or_b32 exec_lo, exec_lo, s0
	s_and_saveexec_b32 s0, vcc_lo
	s_cbranch_execz .LBB233_280
.LBB233_411:
	ds_load_b32 v65, v64 offset:608
	s_wait_dscnt 0x0
	v_add_f32_e32 v27, v27, v65
	s_wait_alu 0xfffe
	s_or_b32 exec_lo, exec_lo, s0
	s_and_saveexec_b32 s0, vcc_lo
	s_cbranch_execz .LBB233_281
.LBB233_412:
	ds_load_b32 v65, v64 offset:624
	s_wait_dscnt 0x0
	v_add_f32_e32 v14, v14, v65
	s_wait_alu 0xfffe
	s_or_b32 exec_lo, exec_lo, s0
	s_and_saveexec_b32 s0, vcc_lo
	s_cbranch_execz .LBB233_282
.LBB233_413:
	ds_load_b32 v65, v64 offset:640
	s_wait_dscnt 0x0
	v_add_f32_e32 v26, v26, v65
	s_wait_alu 0xfffe
	s_or_b32 exec_lo, exec_lo, s0
	s_and_saveexec_b32 s0, vcc_lo
	s_cbranch_execz .LBB233_283
.LBB233_414:
	ds_load_b32 v65, v64 offset:656
	s_wait_dscnt 0x0
	v_add_f32_e32 v25, v25, v65
	s_wait_alu 0xfffe
	s_or_b32 exec_lo, exec_lo, s0
	s_and_saveexec_b32 s0, vcc_lo
	s_cbranch_execz .LBB233_284
.LBB233_415:
	ds_load_b32 v65, v64 offset:672
	s_wait_dscnt 0x0
	v_add_f32_e32 v28, v28, v65
	s_wait_alu 0xfffe
	s_or_b32 exec_lo, exec_lo, s0
	s_and_saveexec_b32 s0, vcc_lo
	s_cbranch_execz .LBB233_285
.LBB233_416:
	ds_load_b32 v65, v64 offset:688
	s_wait_dscnt 0x0
	v_add_f32_e32 v30, v30, v65
	s_wait_alu 0xfffe
	s_or_b32 exec_lo, exec_lo, s0
	s_and_saveexec_b32 s0, vcc_lo
	s_cbranch_execz .LBB233_286
.LBB233_417:
	ds_load_b32 v65, v64 offset:704
	s_wait_dscnt 0x0
	v_add_f32_e32 v10, v10, v65
	s_wait_alu 0xfffe
	s_or_b32 exec_lo, exec_lo, s0
	s_and_saveexec_b32 s0, vcc_lo
	s_cbranch_execz .LBB233_287
.LBB233_418:
	ds_load_b32 v65, v64 offset:720
	s_wait_dscnt 0x0
	v_add_f32_e32 v11, v11, v65
	s_wait_alu 0xfffe
	s_or_b32 exec_lo, exec_lo, s0
	s_and_saveexec_b32 s0, vcc_lo
	s_cbranch_execz .LBB233_288
.LBB233_419:
	ds_load_b32 v65, v64 offset:736
	s_wait_dscnt 0x0
	v_add_f32_e32 v15, v15, v65
	s_wait_alu 0xfffe
	s_or_b32 exec_lo, exec_lo, s0
	s_and_saveexec_b32 s0, vcc_lo
	s_cbranch_execz .LBB233_289
.LBB233_420:
	ds_load_b32 v65, v64 offset:752
	s_wait_dscnt 0x0
	v_add_f32_e32 v9, v9, v65
	s_wait_alu 0xfffe
	s_or_b32 exec_lo, exec_lo, s0
	s_and_saveexec_b32 s0, vcc_lo
	s_cbranch_execz .LBB233_290
.LBB233_421:
	ds_load_b32 v65, v64 offset:768
	s_wait_dscnt 0x0
	v_add_f32_e32 v16, v16, v65
	s_wait_alu 0xfffe
	s_or_b32 exec_lo, exec_lo, s0
	s_and_saveexec_b32 s0, vcc_lo
	s_cbranch_execz .LBB233_291
.LBB233_422:
	ds_load_b32 v65, v64 offset:784
	s_wait_dscnt 0x0
	v_add_f32_e32 v17, v17, v65
	s_wait_alu 0xfffe
	s_or_b32 exec_lo, exec_lo, s0
	s_and_saveexec_b32 s0, vcc_lo
	s_cbranch_execz .LBB233_292
.LBB233_423:
	ds_load_b32 v65, v64 offset:800
	s_wait_dscnt 0x0
	v_add_f32_e32 v18, v18, v65
	s_wait_alu 0xfffe
	s_or_b32 exec_lo, exec_lo, s0
	s_and_saveexec_b32 s0, vcc_lo
	s_cbranch_execz .LBB233_293
.LBB233_424:
	ds_load_b32 v65, v64 offset:816
	s_wait_dscnt 0x0
	v_add_f32_e32 v19, v19, v65
	s_wait_alu 0xfffe
	s_or_b32 exec_lo, exec_lo, s0
	s_and_saveexec_b32 s0, vcc_lo
	s_cbranch_execz .LBB233_294
.LBB233_425:
	ds_load_b32 v65, v64 offset:832
	s_wait_dscnt 0x0
	v_add_f32_e32 v20, v20, v65
	s_wait_alu 0xfffe
	s_or_b32 exec_lo, exec_lo, s0
	s_and_saveexec_b32 s0, vcc_lo
	s_cbranch_execz .LBB233_295
.LBB233_426:
	ds_load_b32 v65, v64 offset:848
	s_wait_dscnt 0x0
	v_add_f32_e32 v21, v21, v65
	s_wait_alu 0xfffe
	s_or_b32 exec_lo, exec_lo, s0
	s_and_saveexec_b32 s0, vcc_lo
	s_cbranch_execz .LBB233_296
.LBB233_427:
	ds_load_b32 v65, v64 offset:864
	s_wait_dscnt 0x0
	v_add_f32_e32 v22, v22, v65
	s_wait_alu 0xfffe
	s_or_b32 exec_lo, exec_lo, s0
	s_and_saveexec_b32 s0, vcc_lo
	s_cbranch_execz .LBB233_297
.LBB233_428:
	ds_load_b32 v65, v64 offset:880
	s_wait_dscnt 0x0
	v_add_f32_e32 v23, v23, v65
	s_wait_alu 0xfffe
	s_or_b32 exec_lo, exec_lo, s0
	s_and_saveexec_b32 s0, vcc_lo
	s_cbranch_execz .LBB233_298
.LBB233_429:
	ds_load_b32 v65, v64 offset:896
	s_wait_dscnt 0x0
	v_add_f32_e32 v24, v24, v65
	s_wait_alu 0xfffe
	s_or_b32 exec_lo, exec_lo, s0
	s_and_saveexec_b32 s0, vcc_lo
	s_cbranch_execz .LBB233_299
.LBB233_430:
	ds_load_b32 v65, v64 offset:912
	s_wait_dscnt 0x0
	v_add_f32_e32 v31, v31, v65
	s_wait_alu 0xfffe
	s_or_b32 exec_lo, exec_lo, s0
	s_and_saveexec_b32 s0, vcc_lo
	s_cbranch_execz .LBB233_300
.LBB233_431:
	ds_load_b32 v65, v64 offset:928
	s_wait_dscnt 0x0
	v_add_f32_e32 v32, v32, v65
	s_wait_alu 0xfffe
	s_or_b32 exec_lo, exec_lo, s0
	s_and_saveexec_b32 s0, vcc_lo
	s_cbranch_execz .LBB233_301
.LBB233_432:
	ds_load_b32 v65, v64 offset:944
	s_wait_dscnt 0x0
	v_add_f32_e32 v38, v38, v65
	s_wait_alu 0xfffe
	s_or_b32 exec_lo, exec_lo, s0
	s_and_saveexec_b32 s0, vcc_lo
	s_cbranch_execz .LBB233_302
.LBB233_433:
	ds_load_b32 v65, v64 offset:960
	s_wait_dscnt 0x0
	v_add_f32_e32 v39, v39, v65
	s_wait_alu 0xfffe
	s_or_b32 exec_lo, exec_lo, s0
	s_and_saveexec_b32 s0, vcc_lo
	s_cbranch_execz .LBB233_303
.LBB233_434:
	ds_load_b32 v65, v64 offset:976
	s_wait_dscnt 0x0
	v_add_f32_e32 v40, v40, v65
	s_wait_alu 0xfffe
	s_or_b32 exec_lo, exec_lo, s0
	s_and_saveexec_b32 s0, vcc_lo
	s_cbranch_execz .LBB233_304
.LBB233_435:
	ds_load_b32 v65, v64 offset:992
	s_wait_dscnt 0x0
	v_add_f32_e32 v62, v62, v65
	s_wait_alu 0xfffe
	s_or_b32 exec_lo, exec_lo, s0
	s_and_saveexec_b32 s0, vcc_lo
	s_cbranch_execnz .LBB233_305
	s_branch .LBB233_306
	.section	.rodata,"a",@progbits
	.p2align	6, 0x0
	.amdhsa_kernel _ZN4vllm25paged_attention_v2_kernelIfhLi256ELi32ELi128ELNS_18Fp8KVCacheDataTypeE1ELb1ELi512EEEvPfS2_PT_PKS3_PKT0_S9_ifPKiSB_iPKfiiiSD_SD_iiiii
		.amdhsa_group_segment_fixed_size 1056
		.amdhsa_private_segment_fixed_size 1384
		.amdhsa_kernarg_size 400
		.amdhsa_user_sgpr_count 2
		.amdhsa_user_sgpr_dispatch_ptr 0
		.amdhsa_user_sgpr_queue_ptr 0
		.amdhsa_user_sgpr_kernarg_segment_ptr 1
		.amdhsa_user_sgpr_dispatch_id 0
		.amdhsa_user_sgpr_private_segment_size 0
		.amdhsa_wavefront_size32 1
		.amdhsa_uses_dynamic_stack 0
		.amdhsa_enable_private_segment 1
		.amdhsa_system_sgpr_workgroup_id_x 1
		.amdhsa_system_sgpr_workgroup_id_y 1
		.amdhsa_system_sgpr_workgroup_id_z 1
		.amdhsa_system_sgpr_workgroup_info 0
		.amdhsa_system_vgpr_workitem_id 0
		.amdhsa_next_free_vgpr 192
		.amdhsa_next_free_sgpr 42
		.amdhsa_reserve_vcc 1
		.amdhsa_float_round_mode_32 0
		.amdhsa_float_round_mode_16_64 0
		.amdhsa_float_denorm_mode_32 3
		.amdhsa_float_denorm_mode_16_64 3
		.amdhsa_fp16_overflow 0
		.amdhsa_workgroup_processor_mode 1
		.amdhsa_memory_ordered 1
		.amdhsa_forward_progress 1
		.amdhsa_inst_pref_size 255
		.amdhsa_round_robin_scheduling 0
		.amdhsa_exception_fp_ieee_invalid_op 0
		.amdhsa_exception_fp_denorm_src 0
		.amdhsa_exception_fp_ieee_div_zero 0
		.amdhsa_exception_fp_ieee_overflow 0
		.amdhsa_exception_fp_ieee_underflow 0
		.amdhsa_exception_fp_ieee_inexact 0
		.amdhsa_exception_int_div_zero 0
	.end_amdhsa_kernel
	.section	.text._ZN4vllm25paged_attention_v2_kernelIfhLi256ELi32ELi128ELNS_18Fp8KVCacheDataTypeE1ELb1ELi512EEEvPfS2_PT_PKS3_PKT0_S9_ifPKiSB_iPKfiiiSD_SD_iiiii,"axG",@progbits,_ZN4vllm25paged_attention_v2_kernelIfhLi256ELi32ELi128ELNS_18Fp8KVCacheDataTypeE1ELb1ELi512EEEvPfS2_PT_PKS3_PKT0_S9_ifPKiSB_iPKfiiiSD_SD_iiiii,comdat
.Lfunc_end233:
	.size	_ZN4vllm25paged_attention_v2_kernelIfhLi256ELi32ELi128ELNS_18Fp8KVCacheDataTypeE1ELb1ELi512EEEvPfS2_PT_PKS3_PKT0_S9_ifPKiSB_iPKfiiiSD_SD_iiiii, .Lfunc_end233-_ZN4vllm25paged_attention_v2_kernelIfhLi256ELi32ELi128ELNS_18Fp8KVCacheDataTypeE1ELb1ELi512EEEvPfS2_PT_PKS3_PKT0_S9_ifPKiSB_iPKfiiiSD_SD_iiiii
                                        ; -- End function
	.set _ZN4vllm25paged_attention_v2_kernelIfhLi256ELi32ELi128ELNS_18Fp8KVCacheDataTypeE1ELb1ELi512EEEvPfS2_PT_PKS3_PKT0_S9_ifPKiSB_iPKfiiiSD_SD_iiiii.num_vgpr, 192
	.set _ZN4vllm25paged_attention_v2_kernelIfhLi256ELi32ELi128ELNS_18Fp8KVCacheDataTypeE1ELb1ELi512EEEvPfS2_PT_PKS3_PKT0_S9_ifPKiSB_iPKfiiiSD_SD_iiiii.num_agpr, 0
	.set _ZN4vllm25paged_attention_v2_kernelIfhLi256ELi32ELi128ELNS_18Fp8KVCacheDataTypeE1ELb1ELi512EEEvPfS2_PT_PKS3_PKT0_S9_ifPKiSB_iPKfiiiSD_SD_iiiii.numbered_sgpr, 42
	.set _ZN4vllm25paged_attention_v2_kernelIfhLi256ELi32ELi128ELNS_18Fp8KVCacheDataTypeE1ELb1ELi512EEEvPfS2_PT_PKS3_PKT0_S9_ifPKiSB_iPKfiiiSD_SD_iiiii.num_named_barrier, 0
	.set _ZN4vllm25paged_attention_v2_kernelIfhLi256ELi32ELi128ELNS_18Fp8KVCacheDataTypeE1ELb1ELi512EEEvPfS2_PT_PKS3_PKT0_S9_ifPKiSB_iPKfiiiSD_SD_iiiii.private_seg_size, 1384
	.set _ZN4vllm25paged_attention_v2_kernelIfhLi256ELi32ELi128ELNS_18Fp8KVCacheDataTypeE1ELb1ELi512EEEvPfS2_PT_PKS3_PKT0_S9_ifPKiSB_iPKfiiiSD_SD_iiiii.uses_vcc, 1
	.set _ZN4vllm25paged_attention_v2_kernelIfhLi256ELi32ELi128ELNS_18Fp8KVCacheDataTypeE1ELb1ELi512EEEvPfS2_PT_PKS3_PKT0_S9_ifPKiSB_iPKfiiiSD_SD_iiiii.uses_flat_scratch, 1
	.set _ZN4vllm25paged_attention_v2_kernelIfhLi256ELi32ELi128ELNS_18Fp8KVCacheDataTypeE1ELb1ELi512EEEvPfS2_PT_PKS3_PKT0_S9_ifPKiSB_iPKfiiiSD_SD_iiiii.has_dyn_sized_stack, 0
	.set _ZN4vllm25paged_attention_v2_kernelIfhLi256ELi32ELi128ELNS_18Fp8KVCacheDataTypeE1ELb1ELi512EEEvPfS2_PT_PKS3_PKT0_S9_ifPKiSB_iPKfiiiSD_SD_iiiii.has_recursion, 0
	.set _ZN4vllm25paged_attention_v2_kernelIfhLi256ELi32ELi128ELNS_18Fp8KVCacheDataTypeE1ELb1ELi512EEEvPfS2_PT_PKS3_PKT0_S9_ifPKiSB_iPKfiiiSD_SD_iiiii.has_indirect_call, 0
	.section	.AMDGPU.csdata,"",@progbits
; Kernel info:
; codeLenInByte = 40972
; TotalNumSgprs: 44
; NumVgprs: 192
; ScratchSize: 1384
; MemoryBound: 0
; FloatMode: 240
; IeeeMode: 1
; LDSByteSize: 1056 bytes/workgroup (compile time only)
; SGPRBlocks: 0
; VGPRBlocks: 23
; NumSGPRsForWavesPerEU: 44
; NumVGPRsForWavesPerEU: 192
; Occupancy: 8
; WaveLimiterHint : 1
; COMPUTE_PGM_RSRC2:SCRATCH_EN: 1
; COMPUTE_PGM_RSRC2:USER_SGPR: 2
; COMPUTE_PGM_RSRC2:TRAP_HANDLER: 0
; COMPUTE_PGM_RSRC2:TGID_X_EN: 1
; COMPUTE_PGM_RSRC2:TGID_Y_EN: 1
; COMPUTE_PGM_RSRC2:TGID_Z_EN: 1
; COMPUTE_PGM_RSRC2:TIDIG_COMP_CNT: 0
	.section	.text._ZN4vllm25paged_attention_v2_kernelIfhLi32ELi32ELi128ELNS_18Fp8KVCacheDataTypeE1ELb0ELi512EEEvPfS2_PT_PKS3_PKT0_S9_ifPKiSB_iPKfiiiSD_SD_iiiii,"axG",@progbits,_ZN4vllm25paged_attention_v2_kernelIfhLi32ELi32ELi128ELNS_18Fp8KVCacheDataTypeE1ELb0ELi512EEEvPfS2_PT_PKS3_PKT0_S9_ifPKiSB_iPKfiiiSD_SD_iiiii,comdat
	.protected	_ZN4vllm25paged_attention_v2_kernelIfhLi32ELi32ELi128ELNS_18Fp8KVCacheDataTypeE1ELb0ELi512EEEvPfS2_PT_PKS3_PKT0_S9_ifPKiSB_iPKfiiiSD_SD_iiiii ; -- Begin function _ZN4vllm25paged_attention_v2_kernelIfhLi32ELi32ELi128ELNS_18Fp8KVCacheDataTypeE1ELb0ELi512EEEvPfS2_PT_PKS3_PKT0_S9_ifPKiSB_iPKfiiiSD_SD_iiiii
	.globl	_ZN4vllm25paged_attention_v2_kernelIfhLi32ELi32ELi128ELNS_18Fp8KVCacheDataTypeE1ELb0ELi512EEEvPfS2_PT_PKS3_PKT0_S9_ifPKiSB_iPKfiiiSD_SD_iiiii
	.p2align	8
	.type	_ZN4vllm25paged_attention_v2_kernelIfhLi32ELi32ELi128ELNS_18Fp8KVCacheDataTypeE1ELb0ELi512EEEvPfS2_PT_PKS3_PKT0_S9_ifPKiSB_iPKfiiiSD_SD_iiiii,@function
_ZN4vllm25paged_attention_v2_kernelIfhLi32ELi32ELi128ELNS_18Fp8KVCacheDataTypeE1ELb0ELi512EEEvPfS2_PT_PKS3_PKT0_S9_ifPKiSB_iPKfiiiSD_SD_iiiii: ; @_ZN4vllm25paged_attention_v2_kernelIfhLi32ELi32ELi128ELNS_18Fp8KVCacheDataTypeE1ELb0ELi512EEEvPfS2_PT_PKS3_PKT0_S9_ifPKiSB_iPKfiiiSD_SD_iiiii
; %bb.0:
	s_load_b64 s[2:3], s[0:1], 0x40
	s_and_b32 s15, ttmp7, 0xffff
	s_lshr_b32 s26, ttmp7, 16
	s_lshl_b32 s4, s15, 2
	s_lshl_b32 s28, s26, 9
	s_wait_kmcnt 0x0
	s_load_b32 s27, s[2:3], s4 offset:0x0
	s_wait_kmcnt 0x0
	s_cmp_ge_i32 s28, s27
	s_cbranch_scc1 .LBB234_74
; %bb.1:
	s_clause 0x1
	s_load_b32 s29, s[0:1], 0x90
	s_load_b64 s[8:9], s[0:1], 0x30
	s_wait_kmcnt 0x0
	s_abs_i32 s5, s29
	s_abs_i32 s2, s8
	s_delay_alu instid0(SALU_CYCLE_1) | instskip(SKIP_1) | instid1(SALU_CYCLE_2)
	s_cvt_f32_u32 s3, s2
	s_sub_co_i32 s4, 0, s2
	v_rcp_iflag_f32_e32 v1, s3
	s_delay_alu instid0(TRANS32_DEP_1) | instskip(SKIP_2) | instid1(SALU_CYCLE_2)
	v_readfirstlane_b32 s3, v1
	s_mul_f32 s3, s3, 0x4f7ffffe
	s_wait_alu 0xfffe
	s_cvt_u32_f32 s3, s3
	s_wait_alu 0xfffe
	s_delay_alu instid0(SALU_CYCLE_2) | instskip(NEXT) | instid1(SALU_CYCLE_1)
	s_mul_i32 s4, s4, s3
	s_mul_hi_u32 s4, s3, s4
	s_delay_alu instid0(SALU_CYCLE_1)
	s_add_co_i32 s3, s3, s4
	s_xor_b32 s4, s29, s8
	s_wait_alu 0xfffe
	s_mul_hi_u32 s3, s5, s3
	s_ashr_i32 s4, s4, 31
	s_wait_alu 0xfffe
	s_mul_i32 s6, s3, s2
	s_delay_alu instid0(SALU_CYCLE_1)
	s_sub_co_i32 s5, s5, s6
	s_add_co_i32 s6, s3, 1
	s_sub_co_i32 s7, s5, s2
	s_cmp_ge_u32 s5, s2
	s_cselect_b32 s3, s6, s3
	s_cselect_b32 s5, s7, s5
	s_wait_alu 0xfffe
	s_add_co_i32 s6, s3, 1
	s_cmp_ge_u32 s5, s2
	s_cselect_b32 s2, s6, s3
	s_load_b64 s[6:7], s[0:1], 0x50
	s_xor_b32 s2, s2, s4
	s_mov_b32 s3, 0
	s_wait_alu 0xfffe
	s_sub_co_i32 s11, s2, s4
	s_mov_b32 s8, s3
	s_abs_i32 s10, s11
	s_delay_alu instid0(SALU_CYCLE_1) | instskip(SKIP_1) | instid1(SALU_CYCLE_2)
	s_cvt_f32_u32 s2, s10
	s_wait_alu 0xfffe
	v_rcp_iflag_f32_e32 v1, s2
	s_delay_alu instid0(TRANS32_DEP_1) | instskip(SKIP_2) | instid1(SALU_CYCLE_2)
	v_readfirstlane_b32 s2, v1
	s_mul_f32 s2, s2, 0x4f7ffffe
	s_wait_alu 0xfffe
	s_cvt_u32_f32 s4, s2
	s_sub_co_i32 s2, 0, s10
	s_wait_alu 0xfffe
	s_delay_alu instid0(SALU_CYCLE_1)
	s_mul_i32 s2, s2, s4
	s_wait_alu 0xfffe
	s_mul_hi_u32 s5, s4, s2
	s_abs_i32 s2, ttmp9
	s_add_co_i32 s4, s4, s5
	s_mov_b32 s5, s3
	s_wait_kmcnt 0x0
	s_cmp_eq_u64 s[6:7], 0
	s_cbranch_scc1 .LBB234_3
; %bb.2:
	s_mov_b32 s12, ttmp9
	s_ashr_i32 s13, ttmp9, 31
	s_delay_alu instid0(SALU_CYCLE_1) | instskip(NEXT) | instid1(SALU_CYCLE_1)
	s_lshl_b64 s[12:13], s[12:13], 2
	s_add_nc_u64 s[6:7], s[6:7], s[12:13]
	s_load_b32 s8, s[6:7], 0x0
.LBB234_3:
	s_load_b96 s[12:14], s[0:1], 0x58
	s_mul_u64 s[4:5], s[2:3], s[4:5]
	s_ashr_i32 s3, ttmp9, 31
	s_ashr_i32 s4, s11, 31
	s_lshl_b32 s16, ttmp9, 5
	s_mov_b32 s6, exec_lo
	v_cmpx_gt_u32_e32 8, v0
	s_cbranch_execz .LBB234_5
; %bb.4:
	s_load_b64 s[18:19], s[0:1], 0x18
	s_wait_kmcnt 0x0
	s_mul_i32 s20, s12, s15
	s_ashr_i32 s17, s16, 31
	s_ashr_i32 s21, s20, 31
	v_lshlrev_b32_e32 v5, 4, v0
	s_lshl_b64 s[20:21], s[20:21], 2
	s_delay_alu instid0(SALU_CYCLE_1) | instskip(SKIP_1) | instid1(SALU_CYCLE_1)
	s_add_nc_u64 s[18:19], s[18:19], s[20:21]
	s_lshl_b64 s[20:21], s[16:17], 2
	s_add_nc_u64 s[18:19], s[18:19], s[20:21]
	global_load_b128 v[1:4], v5, s[18:19]
	s_wait_loadcnt 0x0
	ds_store_b128 v5, v[1:4]
.LBB234_5:
	s_or_b32 exec_lo, exec_lo, s6
	s_add_co_i32 s6, s27, 31
	s_lshl_b32 s31, s26, 4
	s_ashr_i32 s7, s6, 31
	s_wait_alu 0xfffe
	s_xor_b32 s3, s3, s4
	s_lshr_b32 s7, s7, 27
	s_add_co_i32 s4, s31, 16
	s_add_co_i32 s6, s6, s7
	s_clause 0x1
	s_load_b64 s[18:19], s[0:1], 0x38
	s_load_b32 s11, s[0:1], 0x48
	s_ashr_i32 s30, s6, 5
	s_mul_i32 s6, s5, s10
	s_min_i32 s17, s4, s30
	s_sub_co_i32 s2, s2, s6
	s_add_co_i32 s4, s5, 1
	s_wait_alu 0xfffe
	s_sub_co_i32 s6, s2, s10
	s_cmp_ge_u32 s2, s10
	v_lshrrev_b32_e32 v37, 5, v0
	s_cselect_b32 s20, s4, s5
	s_cselect_b32 s2, s6, s2
	s_wait_kmcnt 0x0
	s_clause 0x1
	s_load_b32 s12, s[0:1], 0x98
	s_load_b128 s[4:7], s[0:1], 0x68
	s_add_co_i32 s21, s20, 1
	s_cmp_ge_u32 s2, s10
	v_and_b32_e32 v38, 31, v0
	v_dual_mov_b32 v42, 0xff7fffff :: v_dual_add_nc_u32 v39, s31, v37
	s_cselect_b32 s2, s21, s20
	s_wait_dscnt 0x0
	s_wait_alu 0xfffe
	s_xor_b32 s2, s2, s3
	v_lshlrev_b32_e32 v41, 2, v38
	s_wait_alu 0xfffe
	s_sub_co_i32 s3, s2, s3
	v_cmp_gt_i32_e64 s2, s17, v39
	v_lshlrev_b32_e32 v40, 2, v39
	s_mul_i32 s20, s11, s15
	s_wait_alu 0xfffe
	s_mul_i32 s22, s3, s14
	s_ashr_i32 s21, s20, 31
	s_barrier_signal -1
	s_barrier_wait -1
	global_inv scope:SCOPE_SE
	s_and_saveexec_b32 s10, s2
	s_cbranch_execz .LBB234_9
; %bb.6:
	s_load_b64 s[24:25], s[0:1], 0x20
	v_lshl_or_b32 v36, v37, 7, v41
	v_mov_b32_e32 v29, 0
	s_wait_kmcnt 0x0
	s_load_b32 s5, s[4:5], 0x0
	v_dual_mov_b32 v42, 0xff7fffff :: v_dual_lshlrev_b32 v33, 4, v38
	v_add_nc_u32_e32 v44, 0xa0, v36
	ds_load_b128 v[1:4], v29
	ds_load_b128 v[5:8], v29 offset:16
	ds_load_b128 v[9:12], v29 offset:32
	;; [unrolled: 1-line block ×7, first 2 shown]
	s_ashr_i32 s23, s22, 31
	s_cmp_neq_f32 s8, 0
	v_lshlrev_b32_e32 v35, 5, v37
	v_mov_b32_e32 v45, v39
	s_mov_b32 s11, s13
	s_cselect_b32 vcc_lo, -1, 0
	s_mov_b32 s14, 0
	v_add3_u32 v43, s28, v35, v38
	s_add_nc_u64 s[24:25], s[24:25], s[22:23]
	s_delay_alu instid0(SALU_CYCLE_1)
	v_add_co_u32 v33, s3, s24, v33
	s_wait_alu 0xf1ff
	v_add_co_ci_u32_e64 v34, null, s25, 0, s3
	s_lshl_b64 s[24:25], s[20:21], 2
	s_wait_kmcnt 0x0
	s_mov_b32 s23, s5
	s_wait_alu 0xfffe
	s_add_nc_u64 s[24:25], s[18:19], s[24:25]
	s_wait_alu 0xfffe
	v_add_co_u32 v35, s3, s24, v40
	s_wait_alu 0xf1ff
	v_add_co_ci_u32_e64 v36, null, s25, 0, s3
	s_sub_co_i32 s24, 1, s27
.LBB234_7:                              ; =>This Inner Loop Header: Depth=1
	global_load_b32 v46, v[35:36], off
	v_add_co_u32 v35, s3, v35, 16
	s_wait_alu 0xf1ff
	v_add_co_ci_u32_e64 v36, null, 0, v36, s3
	v_cmp_gt_i32_e64 s3, s27, v43
	v_add_nc_u32_e32 v45, 4, v45
	s_delay_alu instid0(VALU_DEP_1)
	v_cmp_le_i32_e64 s4, s17, v45
	s_or_b32 s14, s4, s14
	s_wait_loadcnt 0x0
	v_mad_co_i64_i32 v[50:51], null, v46, s11, v[33:34]
	s_clause 0x1
	global_load_b128 v[46:49], v[50:51], off
	global_load_b128 v[50:53], v[50:51], off offset:512
	s_wait_loadcnt 0x1
	v_lshrrev_b32_e32 v55, 16, v46
	v_lshrrev_b32_e32 v57, 16, v47
	v_and_b32_e32 v58, 0xffff, v48
	v_lshrrev_b32_e32 v59, 16, v48
	v_and_b32_e32 v60, 0xffff, v49
	v_lshrrev_b32_e32 v61, 16, v49
	s_wait_loadcnt 0x0
	v_and_b32_e32 v70, 0xffff, v52
	v_lshrrev_b32_e32 v72, 16, v52
	v_and_b32_e32 v74, 0xffff, v53
	v_lshrrev_b32_e32 v76, 16, v53
	v_cvt_pk_f32_fp8_e32 v[48:49], v55
	s_wait_alu 0xfffe
	v_add_nc_u32_e32 v54, s24, v43
	v_cvt_pk_f32_fp8_e32 v[52:53], v57
	v_and_b32_e32 v56, 0xffff, v47
	v_and_b32_e32 v62, 0xffff, v50
	v_lshrrev_b32_e32 v64, 16, v50
	v_and_b32_e32 v66, 0xffff, v51
	v_lshrrev_b32_e32 v68, 16, v51
	v_mul_f32_e32 v49, s23, v49
	v_cvt_f32_i32_e32 v79, v54
	v_mul_f32_e32 v53, s23, v53
	v_cvt_pk_f32_fp8_e32 v[50:51], v56
	v_and_b32_e32 v54, 0xffff, v46
	v_cvt_pk_f32_fp8_e32 v[56:57], v59
	v_cvt_pk_f32_fp8_e32 v[64:65], v64
	s_wait_dscnt 0x6
	v_mul_f32_e32 v53, v8, v53
	v_mul_f32_e32 v51, s23, v51
	v_cvt_pk_f32_fp8_e32 v[46:47], v54
	v_cvt_pk_f32_fp8_e32 v[54:55], v58
	;; [unrolled: 1-line block ×3, first 2 shown]
	v_max_num_f32_e32 v78, v42, v42
	v_cvt_pk_f32_fp8_e32 v[60:61], v61
	v_mul_f32_e32 v47, s23, v47
	v_mul_f32_e32 v57, s23, v57
	v_cvt_pk_f32_fp8_e32 v[62:63], v62
	v_dual_mul_f32 v58, s5, v58 :: v_dual_mul_f32 v51, v6, v51
	v_mul_f32_e32 v55, s23, v55
	v_mul_f32_e32 v61, s23, v61
	v_cvt_pk_f32_fp8_e32 v[66:67], v66
	v_mul_f32_e32 v60, s5, v60
	v_dual_mul_f32 v62, s5, v62 :: v_dual_fmac_f32 v51, v2, v47
	v_cvt_pk_f32_fp8_e32 v[68:69], v68
	v_mul_f32_e32 v59, s23, v59
	v_mul_f32_e32 v63, s23, v63
	v_cvt_pk_f32_fp8_e32 v[70:71], v70
	v_dual_mul_f32 v64, s5, v64 :: v_dual_fmac_f32 v53, v4, v49
	s_wait_dscnt 0x5
	v_dual_mul_f32 v66, s5, v66 :: v_dual_fmac_f32 v51, v10, v55
	v_cvt_pk_f32_fp8_e32 v[72:73], v72
	v_dual_mul_f32 v50, s5, v50 :: v_dual_mul_f32 v71, s23, v71
	v_mul_f32_e32 v67, s23, v67
	v_cvt_pk_f32_fp8_e32 v[74:75], v74
	v_dual_mul_f32 v68, s5, v68 :: v_dual_fmac_f32 v53, v12, v57
	s_wait_dscnt 0x4
	v_dual_mul_f32 v70, s5, v70 :: v_dual_fmac_f32 v51, v14, v59
	v_cvt_pk_f32_fp8_e32 v[76:77], v76
	v_dual_mul_f32 v46, s5, v46 :: v_dual_mul_f32 v65, s23, v65
	v_dual_mul_f32 v52, s5, v52 :: v_dual_mul_f32 v73, s23, v73
	v_dual_mul_f32 v72, s5, v72 :: v_dual_fmac_f32 v53, v16, v61
	s_wait_dscnt 0x3
	v_dual_mul_f32 v74, s5, v74 :: v_dual_fmac_f32 v51, v18, v63
	v_mul_f32_e32 v50, v5, v50
	v_dual_mul_f32 v48, s5, v48 :: v_dual_mul_f32 v69, s23, v69
	v_dual_mul_f32 v54, s5, v54 :: v_dual_mul_f32 v75, s23, v75
	v_dual_mul_f32 v76, s5, v76 :: v_dual_fmac_f32 v53, v20, v65
	s_wait_dscnt 0x2
	v_dual_mul_f32 v52, v7, v52 :: v_dual_fmac_f32 v51, v22, v67
	v_fmac_f32_e32 v50, v1, v46
	v_dual_mul_f32 v56, s5, v56 :: v_dual_mul_f32 v77, s23, v77
	v_fmac_f32_e32 v53, v24, v69
	s_wait_dscnt 0x1
	v_dual_fmac_f32 v51, v26, v71 :: v_dual_fmac_f32 v52, v3, v48
	v_dual_fmac_f32 v50, v9, v54 :: v_dual_mul_f32 v47, s8, v79
	s_delay_alu instid0(VALU_DEP_3) | instskip(SKIP_1) | instid1(VALU_DEP_3)
	v_fmac_f32_e32 v53, v28, v73
	s_wait_dscnt 0x0
	v_dual_fmac_f32 v51, v30, v75 :: v_dual_fmac_f32 v52, v11, v56
	s_delay_alu instid0(VALU_DEP_3) | instskip(NEXT) | instid1(VALU_DEP_3)
	v_dual_fmac_f32 v50, v13, v58 :: v_dual_cndmask_b32 v47, 0, v47
	v_fmac_f32_e32 v53, v32, v77
	s_delay_alu instid0(VALU_DEP_3) | instskip(NEXT) | instid1(VALU_DEP_3)
	v_dual_fmac_f32 v52, v15, v60 :: v_dual_add_nc_u32 v43, 0x80, v43
	v_fmac_f32_e32 v50, v17, v62
	s_delay_alu instid0(VALU_DEP_2) | instskip(NEXT) | instid1(VALU_DEP_2)
	v_fmac_f32_e32 v52, v19, v64
	v_fmac_f32_e32 v50, v21, v66
	s_delay_alu instid0(VALU_DEP_2) | instskip(NEXT) | instid1(VALU_DEP_2)
	v_fmac_f32_e32 v52, v23, v68
	;; [unrolled: 3-line block ×4, first 2 shown]
	v_add_f32_e32 v46, v50, v51
	s_delay_alu instid0(VALU_DEP_1) | instskip(NEXT) | instid1(VALU_DEP_1)
	v_add_f32_e32 v46, v52, v46
	v_add_f32_e32 v46, v53, v46
	s_delay_alu instid0(VALU_DEP_1) | instskip(NEXT) | instid1(VALU_DEP_1)
	v_fmac_f32_e32 v47, s9, v46
	v_cndmask_b32_e64 v46, 0, v47, s3
	v_max_num_f32_e32 v47, v78, v47
	ds_store_b32 v44, v46
	v_cndmask_b32_e64 v42, v42, v47, s3
	v_add_nc_u32_e32 v44, 0x200, v44
	s_and_not1_b32 exec_lo, exec_lo, s14
	s_cbranch_execnz .LBB234_7
; %bb.8:
	s_or_b32 exec_lo, exec_lo, s14
.LBB234_9:
	s_delay_alu instid0(SALU_CYCLE_1)
	s_or_b32 exec_lo, exec_lo, s10
	v_mbcnt_lo_u32_b32 v1, -1, 0
	s_load_b128 s[8:11], s[0:1], 0x0
	s_wait_kmcnt 0x0
	s_clause 0x1
	s_load_b64 s[4:5], s[0:1], 0x10
	s_load_b64 s[24:25], s[0:1], 0x28
	v_xor_b32_e32 v2, 16, v1
	v_xor_b32_e32 v4, 8, v1
	s_delay_alu instid0(VALU_DEP_2) | instskip(SKIP_2) | instid1(VALU_DEP_3)
	v_cmp_gt_i32_e32 vcc_lo, 32, v2
	s_wait_alu 0xfffd
	v_cndmask_b32_e32 v2, v1, v2, vcc_lo
	v_cmp_gt_i32_e32 vcc_lo, 32, v4
	v_max_num_f32_e32 v5, v42, v42
	s_delay_alu instid0(VALU_DEP_3)
	v_lshlrev_b32_e32 v2, 2, v2
	s_wait_alu 0xfffd
	v_cndmask_b32_e32 v4, v1, v4, vcc_lo
	ds_bpermute_b32 v3, v2, v42
	s_wait_dscnt 0x0
	v_dual_max_num_f32 v6, v3, v3 :: v_dual_lshlrev_b32 v3, 2, v4
	s_delay_alu instid0(VALU_DEP_1)
	v_max_num_f32_e32 v4, v5, v6
	v_xor_b32_e32 v6, 4, v1
	ds_bpermute_b32 v5, v3, v4
	v_cmp_gt_i32_e32 vcc_lo, 32, v6
	s_wait_alu 0xfffd
	v_cndmask_b32_e32 v6, v1, v6, vcc_lo
	s_wait_dscnt 0x0
	v_max_num_f32_e32 v5, v5, v5
	s_delay_alu instid0(VALU_DEP_2) | instskip(SKIP_1) | instid1(VALU_DEP_3)
	v_lshlrev_b32_e32 v13, 2, v6
	v_xor_b32_e32 v6, 2, v1
	v_max_num_f32_e32 v4, v4, v5
	s_delay_alu instid0(VALU_DEP_2) | instskip(SKIP_3) | instid1(VALU_DEP_1)
	v_cmp_gt_i32_e32 vcc_lo, 32, v6
	ds_bpermute_b32 v5, v13, v4
	s_wait_alu 0xfffd
	v_cndmask_b32_e32 v6, v1, v6, vcc_lo
	v_lshlrev_b32_e32 v12, 2, v6
	v_xor_b32_e32 v6, 1, v1
	s_delay_alu instid0(VALU_DEP_1)
	v_cmp_gt_i32_e32 vcc_lo, 32, v6
	s_wait_alu 0xfffd
	v_cndmask_b32_e32 v6, v1, v6, vcc_lo
	v_cmp_eq_u32_e32 vcc_lo, 0, v38
	s_wait_dscnt 0x0
	v_max_num_f32_e32 v5, v5, v5
	s_delay_alu instid0(VALU_DEP_1) | instskip(SKIP_3) | instid1(VALU_DEP_1)
	v_dual_max_num_f32 v4, v4, v5 :: v_dual_lshlrev_b32 v11, 2, v6
	ds_bpermute_b32 v5, v12, v4
	s_wait_dscnt 0x0
	v_max_num_f32_e32 v5, v5, v5
	v_max_num_f32_e32 v1, v4, v5
	v_lshlrev_b32_e32 v5, 2, v37
	ds_bpermute_b32 v4, v11, v1
	s_and_saveexec_b32 s0, vcc_lo
	s_cbranch_execz .LBB234_11
; %bb.10:
	s_wait_dscnt 0x0
	v_dual_max_num_f32 v4, v4, v4 :: v_dual_max_num_f32 v1, v1, v1
	s_delay_alu instid0(VALU_DEP_1)
	v_max_num_f32_e32 v1, v1, v4
	ds_store_b32 v5, v1 offset:128
.LBB234_11:
	s_or_b32 exec_lo, exec_lo, s0
	v_cmp_gt_u32_e64 s0, 4, v38
	v_mov_b32_e32 v1, 0xff7fffff
	s_wait_loadcnt_dscnt 0x0
	s_barrier_signal -1
	s_barrier_wait -1
	global_inv scope:SCOPE_SE
	s_and_saveexec_b32 s1, s0
; %bb.12:
	ds_load_b32 v1, v41 offset:128
; %bb.13:
	s_or_b32 exec_lo, exec_lo, s1
	s_wait_dscnt 0x0
	ds_bpermute_b32 v4, v12, v1
	v_max_num_f32_e32 v1, v1, v1
	s_sub_co_i32 s1, s17, s31
	v_mov_b32_e32 v6, 0
	s_lshl_b32 s1, s1, 5
	s_delay_alu instid0(SALU_CYCLE_1) | instskip(NEXT) | instid1(SALU_CYCLE_1)
	s_add_co_i32 s1, s1, s28
	s_min_i32 s1, s1, s27
	s_delay_alu instid0(SALU_CYCLE_1) | instskip(NEXT) | instid1(SALU_CYCLE_1)
	s_sub_co_i32 s14, s1, s28
	v_cmp_gt_i32_e64 s1, s14, v0
	s_wait_dscnt 0x0
	v_max_num_f32_e32 v4, v4, v4
	s_delay_alu instid0(VALU_DEP_1) | instskip(SKIP_3) | instid1(VALU_DEP_1)
	v_max_num_f32_e32 v1, v1, v4
	ds_bpermute_b32 v4, v11, v1
	s_wait_dscnt 0x0
	v_max_num_f32_e32 v4, v4, v4
	v_max_num_f32_e32 v1, v1, v4
	v_lshl_add_u32 v4, v0, 2, 0xa0
	ds_bpermute_b32 v1, v6, v1
	s_and_saveexec_b32 s23, s1
	s_cbranch_execz .LBB234_17
; %bb.14:
	v_lshl_add_u32 v7, v0, 2, 0xa0
	v_mov_b32_e32 v6, 0
	v_mov_b32_e32 v8, v0
	s_mov_b32 s31, 0
.LBB234_15:                             ; =>This Inner Loop Header: Depth=1
	ds_load_b32 v9, v7
	v_add_nc_u32_e32 v8, 0x80, v8
	s_delay_alu instid0(VALU_DEP_1) | instskip(SKIP_4) | instid1(VALU_DEP_1)
	v_cmp_le_i32_e64 s3, s14, v8
	s_wait_alu 0xfffe
	s_or_b32 s31, s3, s31
	s_wait_dscnt 0x0
	v_sub_f32_e32 v9, v9, v1
	v_mul_f32_e32 v9, 0x3fb8aa3b, v9
	s_delay_alu instid0(VALU_DEP_1)
	v_exp_f32_e32 v9, v9
	ds_store_b32 v7, v9
	v_dual_add_f32 v6, v6, v9 :: v_dual_add_nc_u32 v7, 0x200, v7
	s_wait_alu 0xfffe
	s_and_not1_b32 exec_lo, exec_lo, s31
	s_cbranch_execnz .LBB234_15
; %bb.16:
	s_or_b32 exec_lo, exec_lo, s31
.LBB234_17:
	s_wait_alu 0xfffe
	s_or_b32 exec_lo, exec_lo, s23
	ds_bpermute_b32 v2, v2, v6
	s_wait_dscnt 0x0
	v_add_f32_e32 v2, v6, v2
	ds_bpermute_b32 v3, v3, v2
	s_wait_dscnt 0x0
	v_add_f32_e32 v2, v2, v3
	;; [unrolled: 3-line block ×5, first 2 shown]
	s_and_saveexec_b32 s3, vcc_lo
; %bb.18:
	ds_store_b32 v5, v2 offset:144
; %bb.19:
	s_wait_alu 0xfffe
	s_or_b32 exec_lo, exec_lo, s3
	s_wait_loadcnt_dscnt 0x0
	s_barrier_signal -1
	s_barrier_wait -1
	global_inv scope:SCOPE_SE
	s_and_saveexec_b32 s3, s0
; %bb.20:
	ds_load_b32 v2, v41 offset:144
; %bb.21:
	s_wait_alu 0xfffe
	s_or_b32 exec_lo, exec_lo, s3
	s_wait_dscnt 0x0
	ds_bpermute_b32 v3, v12, v2
	s_wait_dscnt 0x0
	v_add_f32_e32 v2, v2, v3
	ds_bpermute_b32 v3, v11, v2
	s_wait_dscnt 0x0
	v_dual_add_f32 v2, v2, v3 :: v_dual_mov_b32 v3, 0
	ds_bpermute_b32 v2, v3, v2
	s_and_saveexec_b32 s0, s1
	s_cbranch_execz .LBB234_24
; %bb.22:
	s_wait_dscnt 0x0
	v_add_f32_e32 v3, 0x358637bd, v2
	s_mov_b32 s1, 0
	s_delay_alu instid0(VALU_DEP_1) | instskip(SKIP_1) | instid1(VALU_DEP_2)
	v_div_scale_f32 v5, null, v3, v3, 1.0
	v_div_scale_f32 v8, vcc_lo, 1.0, v3, 1.0
	v_rcp_f32_e32 v6, v5
	s_delay_alu instid0(TRANS32_DEP_1) | instskip(NEXT) | instid1(VALU_DEP_1)
	v_fma_f32 v7, -v5, v6, 1.0
	v_fmac_f32_e32 v6, v7, v6
	s_delay_alu instid0(VALU_DEP_1) | instskip(NEXT) | instid1(VALU_DEP_1)
	v_mul_f32_e32 v7, v8, v6
	v_fma_f32 v9, -v5, v7, v8
	s_delay_alu instid0(VALU_DEP_1) | instskip(NEXT) | instid1(VALU_DEP_1)
	v_fmac_f32_e32 v7, v9, v6
	v_fma_f32 v5, -v5, v7, v8
	s_wait_alu 0xfffd
	s_delay_alu instid0(VALU_DEP_1) | instskip(NEXT) | instid1(VALU_DEP_1)
	v_div_fmas_f32 v5, v5, v6, v7
	v_div_fixup_f32 v3, v5, v3, 1.0
	v_mov_b32_e32 v5, v0
.LBB234_23:                             ; =>This Inner Loop Header: Depth=1
	ds_load_b32 v6, v4
	s_wait_dscnt 0x0
	v_dual_mul_f32 v6, v3, v6 :: v_dual_add_nc_u32 v5, 0x80, v5
	s_delay_alu instid0(VALU_DEP_1) | instskip(SKIP_3) | instid1(SALU_CYCLE_1)
	v_cmp_le_i32_e32 vcc_lo, s14, v5
	ds_store_b32 v4, v6
	v_add_nc_u32_e32 v4, 0x200, v4
	s_or_b32 s1, vcc_lo, s1
	s_and_not1_b32 exec_lo, exec_lo, s1
	s_cbranch_execnz .LBB234_23
.LBB234_24:
	s_or_b32 exec_lo, exec_lo, s0
	s_mul_i32 s0, s12, s15
	s_wait_loadcnt_dscnt 0x0
	s_mul_i32 s14, s0, s29
	s_mov_b32 s0, exec_lo
	s_barrier_signal -1
	s_barrier_wait -1
	global_inv scope:SCOPE_SE
	v_cmpx_eq_u32_e32 0, v0
	s_cbranch_execz .LBB234_26
; %bb.25:
	s_wait_alu 0xfffe
	s_ashr_i32 s15, s14, 31
	s_mul_i32 s34, s12, ttmp9
	s_lshl_b32 s1, s26, 2
	s_wait_alu 0xfffe
	s_lshl_b64 s[36:37], s[14:15], 2
	s_ashr_i32 s35, s34, 31
	v_mov_b32_e32 v3, s1
	s_add_nc_u64 s[10:11], s[10:11], s[36:37]
	s_lshl_b64 s[34:35], s[34:35], 2
	s_add_nc_u64 s[8:9], s[8:9], s[36:37]
	s_wait_alu 0xfffe
	s_add_nc_u64 s[10:11], s[10:11], s[34:35]
	s_add_nc_u64 s[8:9], s[8:9], s[34:35]
	s_clause 0x1
	global_store_b32 v3, v1, s[10:11]
	global_store_b32 v3, v2, s[8:9]
.LBB234_26:
	s_or_b32 exec_lo, exec_lo, s0
	v_dual_mov_b32 v20, 0 :: v_dual_mov_b32 v21, 0
	v_dual_mov_b32 v19, 0 :: v_dual_and_b32 v14, 7, v0
	v_dual_mov_b32 v22, 0 :: v_dual_mov_b32 v17, 0
	v_dual_mov_b32 v18, 0 :: v_dual_mov_b32 v15, 0
	v_mov_b32_e32 v16, 0
	s_and_saveexec_b32 s1, s2
	s_cbranch_execz .LBB234_46
; %bb.27:
	s_load_b32 s3, s[6:7], 0x0
	v_dual_mov_b32 v16, 0 :: v_dual_lshlrev_b32 v1, 2, v0
	v_dual_mov_b32 v15, 0 :: v_dual_lshlrev_b32 v2, 4, v14
	s_ashr_i32 s23, s22, 31
	s_delay_alu instid0(VALU_DEP_2)
	v_dual_mov_b32 v18, 0 :: v_dual_and_b32 v3, 28, v1
	v_dual_mov_b32 v22, 0 :: v_dual_and_b32 v1, 0x7c, v1
	s_wait_kmcnt 0x0
	s_wait_alu 0xfffe
	s_add_nc_u64 s[8:9], s[24:25], s[22:23]
	s_lshl_b64 s[6:7], s[20:21], 2
	v_lshl_add_u32 v4, v37, 5, s28
	v_lshl_or_b32 v2, v37, 7, v2
	s_wait_alu 0xfffe
	v_add_co_u32 v5, s0, s8, v1
	s_add_nc_u64 s[6:7], s[18:19], s[6:7]
	s_wait_alu 0xf1ff
	v_add_co_ci_u32_e64 v6, null, s9, 0, s0
	v_add_co_u32 v7, s0, s6, v40
	v_add3_u32 v23, v4, v3, 3
	v_dual_mov_b32 v17, 0 :: v_dual_add_nc_u32 v24, 0xa0, v2
	s_wait_alu 0xf1ff
	v_add_co_ci_u32_e64 v8, null, s7, 0, s0
	v_dual_mov_b32 v19, 0 :: v_dual_mov_b32 v20, 0
	v_mov_b32_e32 v21, 0
	s_mov_b32 s2, s13
	s_mov_b32 s6, s3
	s_add_co_i32 s30, s30, -1
	s_mov_b32 s7, 0
	s_branch .LBB234_29
.LBB234_28:                             ;   in Loop: Header=BB234_29 Depth=1
	s_wait_alu 0xfffe
	s_or_b32 exec_lo, exec_lo, s0
	s_wait_dscnt 0x0
	v_mul_f32_e32 v41, v1, v50
	v_mul_f32_e32 v40, v1, v55
	v_add_co_u32 v7, s0, v7, 16
	s_delay_alu instid0(VALU_DEP_3) | instskip(NEXT) | instid1(VALU_DEP_3)
	v_dual_fmac_f32 v41, v2, v49 :: v_dual_add_nc_u32 v24, 0x200, v24
	v_dual_mul_f32 v35, v1, v60 :: v_dual_fmac_f32 v40, v2, v53
	s_wait_alu 0xf1ff
	v_add_co_ci_u32_e64 v8, null, 0, v8, s0
	s_delay_alu instid0(VALU_DEP_2) | instskip(NEXT) | instid1(VALU_DEP_3)
	v_dual_mul_f32 v46, v1, v46 :: v_dual_fmac_f32 v35, v2, v59
	v_fmac_f32_e32 v40, v3, v52
	v_dual_mul_f32 v42, v1, v42 :: v_dual_fmac_f32 v41, v3, v48
	s_delay_alu instid0(VALU_DEP_3) | instskip(SKIP_1) | instid1(VALU_DEP_4)
	v_dual_fmac_f32 v46, v2, v45 :: v_dual_fmac_f32 v35, v3, v56
	v_mul_f32_e32 v32, v1, v32
	v_fmac_f32_e32 v40, v4, v51
	s_delay_alu instid0(VALU_DEP_4) | instskip(NEXT) | instid1(VALU_DEP_4)
	v_dual_mul_f32 v28, v1, v28 :: v_dual_fmac_f32 v41, v4, v47
	v_dual_mul_f32 v1, v1, v58 :: v_dual_fmac_f32 v46, v3, v44
	v_fmac_f32_e32 v35, v4, v54
	s_delay_alu instid0(VALU_DEP_4) | instskip(SKIP_1) | instid1(VALU_DEP_4)
	v_add_f32_e32 v17, v17, v40
	v_add_nc_u32_e32 v23, 0x80, v23
	v_fmac_f32_e32 v1, v2, v57
	v_add_f32_e32 v18, v18, v41
	v_add_f32_e32 v16, v16, v35
	v_add_nc_u32_e32 v39, 4, v39
	s_delay_alu instid0(VALU_DEP_4) | instskip(NEXT) | instid1(VALU_DEP_2)
	v_dual_fmac_f32 v1, v3, v10 :: v_dual_fmac_f32 v32, v2, v31
	v_cmp_le_i32_e32 vcc_lo, s17, v39
	s_delay_alu instid0(VALU_DEP_2) | instskip(SKIP_1) | instid1(VALU_DEP_4)
	v_fmac_f32_e32 v1, v4, v9
	v_fmac_f32_e32 v46, v4, v43
	;; [unrolled: 1-line block ×3, first 2 shown]
	s_or_b32 s7, vcc_lo, s7
	s_delay_alu instid0(VALU_DEP_3) | instskip(NEXT) | instid1(VALU_DEP_2)
	v_dual_add_f32 v15, v15, v1 :: v_dual_fmac_f32 v42, v2, v36
	v_dual_add_f32 v19, v19, v46 :: v_dual_fmac_f32 v32, v4, v29
	s_delay_alu instid0(VALU_DEP_2) | instskip(NEXT) | instid1(VALU_DEP_2)
	v_fmac_f32_e32 v42, v3, v34
	v_add_f32_e32 v22, v22, v32
	s_delay_alu instid0(VALU_DEP_2) | instskip(NEXT) | instid1(VALU_DEP_1)
	v_fmac_f32_e32 v42, v4, v33
	v_dual_fmac_f32 v28, v2, v27 :: v_dual_add_f32 v21, v21, v42
	s_delay_alu instid0(VALU_DEP_1) | instskip(NEXT) | instid1(VALU_DEP_1)
	v_fmac_f32_e32 v28, v3, v26
	v_fmac_f32_e32 v28, v4, v25
	s_delay_alu instid0(VALU_DEP_1)
	v_add_f32_e32 v20, v20, v28
	s_wait_alu 0xfffe
	s_and_not1_b32 exec_lo, exec_lo, s7
	s_cbranch_execz .LBB234_45
.LBB234_29:                             ; =>This Inner Loop Header: Depth=1
	global_load_b32 v1, v[7:8], off
	s_wait_alu 0xfffe
	v_cmp_eq_u32_e32 vcc_lo, s30, v39
	v_add_nc_u32_e32 v41, -1, v23
	s_wait_loadcnt 0x0
	v_mad_co_i64_i32 v[9:10], null, v1, s2, v[5:6]
	ds_load_b128 v[1:4], v24
	global_load_b32 v25, v[9:10], off
	s_wait_loadcnt 0x0
	v_lshrrev_b32_e32 v27, 16, v25
	s_delay_alu instid0(VALU_DEP_1) | instskip(SKIP_1) | instid1(VALU_DEP_1)
	v_cvt_pk_f32_fp8_e32 v[29:30], v27
	v_and_b32_e32 v26, 0xffff, v25
	v_cvt_pk_f32_fp8_e32 v[25:26], v26
	v_add_nc_u32_e32 v35, -3, v23
	s_delay_alu instid0(VALU_DEP_2) | instskip(NEXT) | instid1(VALU_DEP_3)
	v_dual_mul_f32 v27, s6, v26 :: v_dual_add_nc_u32 v40, -2, v23
	v_mul_f32_e32 v28, s3, v25
	v_dual_mul_f32 v26, s3, v29 :: v_dual_mul_f32 v25, s6, v30
	s_and_saveexec_b32 s8, vcc_lo
	s_cbranch_execz .LBB234_31
; %bb.30:                               ;   in Loop: Header=BB234_29 Depth=1
	v_cmp_gt_i32_e64 s0, s27, v35
	s_wait_alu 0xf1ff
	s_delay_alu instid0(VALU_DEP_1) | instskip(SKIP_2) | instid1(VALU_DEP_1)
	v_cndmask_b32_e64 v28, 0, v28, s0
	v_cmp_gt_i32_e64 s0, s27, v40
	s_wait_alu 0xf1ff
	v_cndmask_b32_e64 v27, 0, v27, s0
	v_cmp_gt_i32_e64 s0, s27, v41
	s_wait_alu 0xf1ff
	s_delay_alu instid0(VALU_DEP_1) | instskip(SKIP_2) | instid1(VALU_DEP_1)
	v_cndmask_b32_e64 v26, 0, v26, s0
	v_cmp_gt_i32_e64 s0, s27, v23
	s_wait_alu 0xf1ff
	v_cndmask_b32_e64 v25, 0, v25, s0
.LBB234_31:                             ;   in Loop: Header=BB234_29 Depth=1
	s_wait_alu 0xfffe
	s_or_b32 exec_lo, exec_lo, s8
	global_load_b32 v29, v[9:10], off offset:128
	s_wait_loadcnt 0x0
	v_lshrrev_b32_e32 v31, 16, v29
	s_delay_alu instid0(VALU_DEP_1) | instskip(SKIP_1) | instid1(VALU_DEP_1)
	v_cvt_pk_f32_fp8_e32 v[33:34], v31
	v_and_b32_e32 v30, 0xffff, v29
	v_cvt_pk_f32_fp8_e32 v[29:30], v30
	s_delay_alu instid0(VALU_DEP_1) | instskip(NEXT) | instid1(VALU_DEP_4)
	v_dual_mul_f32 v32, s3, v29 :: v_dual_mul_f32 v31, s6, v30
	v_dual_mul_f32 v30, s3, v33 :: v_dual_mul_f32 v29, s6, v34
	s_and_saveexec_b32 s8, vcc_lo
	s_cbranch_execz .LBB234_33
; %bb.32:                               ;   in Loop: Header=BB234_29 Depth=1
	v_cmp_gt_i32_e64 s0, s27, v35
	s_wait_alu 0xf1ff
	s_delay_alu instid0(VALU_DEP_1) | instskip(SKIP_2) | instid1(VALU_DEP_1)
	v_cndmask_b32_e64 v32, 0, v32, s0
	v_cmp_gt_i32_e64 s0, s27, v40
	s_wait_alu 0xf1ff
	v_cndmask_b32_e64 v31, 0, v31, s0
	v_cmp_gt_i32_e64 s0, s27, v41
	s_wait_alu 0xf1ff
	s_delay_alu instid0(VALU_DEP_1) | instskip(SKIP_2) | instid1(VALU_DEP_1)
	v_cndmask_b32_e64 v30, 0, v30, s0
	v_cmp_gt_i32_e64 s0, s27, v23
	s_wait_alu 0xf1ff
	v_cndmask_b32_e64 v29, 0, v29, s0
.LBB234_33:                             ;   in Loop: Header=BB234_29 Depth=1
	s_wait_alu 0xfffe
	s_or_b32 exec_lo, exec_lo, s8
	global_load_b32 v33, v[9:10], off offset:256
	s_wait_loadcnt 0x0
	v_lshrrev_b32_e32 v36, 16, v33
	s_delay_alu instid0(VALU_DEP_1) | instskip(SKIP_1) | instid1(VALU_DEP_1)
	v_cvt_pk_f32_fp8_e32 v[43:44], v36
	v_and_b32_e32 v34, 0xffff, v33
	v_cvt_pk_f32_fp8_e32 v[33:34], v34
	s_delay_alu instid0(VALU_DEP_1) | instskip(NEXT) | instid1(VALU_DEP_2)
	v_mul_f32_e32 v42, s3, v33
	v_mul_f32_e32 v36, s6, v34
	v_dual_mul_f32 v34, s3, v43 :: v_dual_mul_f32 v33, s6, v44
	s_and_saveexec_b32 s8, vcc_lo
	s_cbranch_execz .LBB234_35
; %bb.34:                               ;   in Loop: Header=BB234_29 Depth=1
	v_cmp_gt_i32_e64 s0, s27, v35
	s_wait_alu 0xf1ff
	s_delay_alu instid0(VALU_DEP_1) | instskip(SKIP_2) | instid1(VALU_DEP_1)
	v_cndmask_b32_e64 v42, 0, v42, s0
	v_cmp_gt_i32_e64 s0, s27, v40
	s_wait_alu 0xf1ff
	v_cndmask_b32_e64 v36, 0, v36, s0
	v_cmp_gt_i32_e64 s0, s27, v41
	s_wait_alu 0xf1ff
	s_delay_alu instid0(VALU_DEP_1) | instskip(SKIP_2) | instid1(VALU_DEP_1)
	v_cndmask_b32_e64 v34, 0, v34, s0
	v_cmp_gt_i32_e64 s0, s27, v23
	s_wait_alu 0xf1ff
	v_cndmask_b32_e64 v33, 0, v33, s0
.LBB234_35:                             ;   in Loop: Header=BB234_29 Depth=1
	s_wait_alu 0xfffe
	s_or_b32 exec_lo, exec_lo, s8
	global_load_b32 v43, v[9:10], off offset:384
	s_wait_loadcnt 0x0
	v_lshrrev_b32_e32 v45, 16, v43
	s_delay_alu instid0(VALU_DEP_1) | instskip(SKIP_1) | instid1(VALU_DEP_1)
	v_cvt_pk_f32_fp8_e32 v[47:48], v45
	v_and_b32_e32 v44, 0xffff, v43
	v_cvt_pk_f32_fp8_e32 v[43:44], v44
	s_delay_alu instid0(VALU_DEP_1) | instskip(NEXT) | instid1(VALU_DEP_4)
	v_dual_mul_f32 v46, s3, v43 :: v_dual_mul_f32 v45, s6, v44
	v_dual_mul_f32 v44, s3, v47 :: v_dual_mul_f32 v43, s6, v48
	s_and_saveexec_b32 s8, vcc_lo
	s_cbranch_execz .LBB234_37
; %bb.36:                               ;   in Loop: Header=BB234_29 Depth=1
	v_cmp_gt_i32_e64 s0, s27, v35
	s_wait_alu 0xf1ff
	s_delay_alu instid0(VALU_DEP_1) | instskip(SKIP_2) | instid1(VALU_DEP_1)
	v_cndmask_b32_e64 v46, 0, v46, s0
	v_cmp_gt_i32_e64 s0, s27, v40
	s_wait_alu 0xf1ff
	v_cndmask_b32_e64 v45, 0, v45, s0
	v_cmp_gt_i32_e64 s0, s27, v41
	s_wait_alu 0xf1ff
	s_delay_alu instid0(VALU_DEP_1) | instskip(SKIP_2) | instid1(VALU_DEP_1)
	v_cndmask_b32_e64 v44, 0, v44, s0
	v_cmp_gt_i32_e64 s0, s27, v23
	s_wait_alu 0xf1ff
	v_cndmask_b32_e64 v43, 0, v43, s0
.LBB234_37:                             ;   in Loop: Header=BB234_29 Depth=1
	s_wait_alu 0xfffe
	s_or_b32 exec_lo, exec_lo, s8
	global_load_b32 v47, v[9:10], off offset:512
	s_wait_loadcnt 0x0
	v_lshrrev_b32_e32 v49, 16, v47
	s_delay_alu instid0(VALU_DEP_1) | instskip(SKIP_1) | instid1(VALU_DEP_1)
	v_cvt_pk_f32_fp8_e32 v[51:52], v49
	v_and_b32_e32 v48, 0xffff, v47
	v_cvt_pk_f32_fp8_e32 v[47:48], v48
	s_delay_alu instid0(VALU_DEP_1) | instskip(NEXT) | instid1(VALU_DEP_4)
	v_dual_mul_f32 v50, s3, v47 :: v_dual_mul_f32 v49, s6, v48
	v_dual_mul_f32 v48, s3, v51 :: v_dual_mul_f32 v47, s6, v52
	s_and_saveexec_b32 s8, vcc_lo
	s_cbranch_execz .LBB234_39
; %bb.38:                               ;   in Loop: Header=BB234_29 Depth=1
	v_cmp_gt_i32_e64 s0, s27, v35
	s_wait_alu 0xf1ff
	s_delay_alu instid0(VALU_DEP_1) | instskip(SKIP_2) | instid1(VALU_DEP_1)
	v_cndmask_b32_e64 v50, 0, v50, s0
	v_cmp_gt_i32_e64 s0, s27, v40
	s_wait_alu 0xf1ff
	v_cndmask_b32_e64 v49, 0, v49, s0
	v_cmp_gt_i32_e64 s0, s27, v41
	s_wait_alu 0xf1ff
	s_delay_alu instid0(VALU_DEP_1) | instskip(SKIP_2) | instid1(VALU_DEP_1)
	v_cndmask_b32_e64 v48, 0, v48, s0
	v_cmp_gt_i32_e64 s0, s27, v23
	s_wait_alu 0xf1ff
	v_cndmask_b32_e64 v47, 0, v47, s0
.LBB234_39:                             ;   in Loop: Header=BB234_29 Depth=1
	s_wait_alu 0xfffe
	s_or_b32 exec_lo, exec_lo, s8
	global_load_b32 v51, v[9:10], off offset:640
	s_wait_loadcnt 0x0
	v_lshrrev_b32_e32 v53, 16, v51
	s_delay_alu instid0(VALU_DEP_1) | instskip(SKIP_1) | instid1(VALU_DEP_1)
	v_cvt_pk_f32_fp8_e32 v[56:57], v53
	v_and_b32_e32 v52, 0xffff, v51
	v_cvt_pk_f32_fp8_e32 v[51:52], v52
	s_delay_alu instid0(VALU_DEP_1) | instskip(NEXT) | instid1(VALU_DEP_2)
	v_mul_f32_e32 v55, s3, v51
	v_mul_f32_e32 v53, s6, v52
	v_dual_mul_f32 v52, s3, v56 :: v_dual_mul_f32 v51, s6, v57
	s_and_saveexec_b32 s8, vcc_lo
	s_cbranch_execz .LBB234_41
; %bb.40:                               ;   in Loop: Header=BB234_29 Depth=1
	v_cmp_gt_i32_e64 s0, s27, v35
	s_wait_alu 0xf1ff
	s_delay_alu instid0(VALU_DEP_1) | instskip(SKIP_2) | instid1(VALU_DEP_1)
	v_cndmask_b32_e64 v55, 0, v55, s0
	v_cmp_gt_i32_e64 s0, s27, v40
	s_wait_alu 0xf1ff
	v_cndmask_b32_e64 v53, 0, v53, s0
	v_cmp_gt_i32_e64 s0, s27, v41
	s_wait_alu 0xf1ff
	s_delay_alu instid0(VALU_DEP_1) | instskip(SKIP_2) | instid1(VALU_DEP_1)
	v_cndmask_b32_e64 v52, 0, v52, s0
	v_cmp_gt_i32_e64 s0, s27, v23
	s_wait_alu 0xf1ff
	v_cndmask_b32_e64 v51, 0, v51, s0
.LBB234_41:                             ;   in Loop: Header=BB234_29 Depth=1
	s_wait_alu 0xfffe
	s_or_b32 exec_lo, exec_lo, s8
	global_load_b32 v54, v[9:10], off offset:768
	s_wait_loadcnt 0x0
	v_and_b32_e32 v56, 0xffff, v54
	v_lshrrev_b32_e32 v54, 16, v54
	s_delay_alu instid0(VALU_DEP_2) | instskip(NEXT) | instid1(VALU_DEP_2)
	v_cvt_pk_f32_fp8_e32 v[56:57], v56
	v_cvt_pk_f32_fp8_e32 v[61:62], v54
	s_delay_alu instid0(VALU_DEP_2) | instskip(NEXT) | instid1(VALU_DEP_2)
	v_dual_mul_f32 v60, s3, v56 :: v_dual_mul_f32 v59, s6, v57
	v_mul_f32_e32 v56, s3, v61
	s_delay_alu instid0(VALU_DEP_3)
	v_mul_f32_e32 v54, s6, v62
	s_and_saveexec_b32 s8, vcc_lo
	s_cbranch_execz .LBB234_43
; %bb.42:                               ;   in Loop: Header=BB234_29 Depth=1
	v_cmp_gt_i32_e64 s0, s27, v35
	s_wait_alu 0xf1ff
	s_delay_alu instid0(VALU_DEP_1) | instskip(SKIP_2) | instid1(VALU_DEP_1)
	v_cndmask_b32_e64 v60, 0, v60, s0
	v_cmp_gt_i32_e64 s0, s27, v40
	s_wait_alu 0xf1ff
	v_cndmask_b32_e64 v59, 0, v59, s0
	v_cmp_gt_i32_e64 s0, s27, v41
	s_wait_alu 0xf1ff
	s_delay_alu instid0(VALU_DEP_1) | instskip(SKIP_2) | instid1(VALU_DEP_1)
	v_cndmask_b32_e64 v56, 0, v56, s0
	v_cmp_gt_i32_e64 s0, s27, v23
	s_wait_alu 0xf1ff
	v_cndmask_b32_e64 v54, 0, v54, s0
.LBB234_43:                             ;   in Loop: Header=BB234_29 Depth=1
	s_wait_alu 0xfffe
	s_or_b32 exec_lo, exec_lo, s8
	global_load_b32 v9, v[9:10], off offset:896
	s_wait_loadcnt 0x0
	v_lshrrev_b32_e32 v57, 16, v9
	s_delay_alu instid0(VALU_DEP_1) | instskip(SKIP_1) | instid1(VALU_DEP_1)
	v_cvt_pk_f32_fp8_e32 v[61:62], v57
	v_and_b32_e32 v10, 0xffff, v9
	v_cvt_pk_f32_fp8_e32 v[9:10], v10
	s_delay_alu instid0(VALU_DEP_1) | instskip(NEXT) | instid1(VALU_DEP_4)
	v_dual_mul_f32 v58, s3, v9 :: v_dual_mul_f32 v57, s6, v10
	v_dual_mul_f32 v10, s3, v61 :: v_dual_mul_f32 v9, s6, v62
	s_and_saveexec_b32 s0, vcc_lo
	s_cbranch_execz .LBB234_28
; %bb.44:                               ;   in Loop: Header=BB234_29 Depth=1
	v_cmp_gt_i32_e32 vcc_lo, s27, v35
	s_wait_alu 0xfffd
	v_cndmask_b32_e32 v58, 0, v58, vcc_lo
	v_cmp_gt_i32_e32 vcc_lo, s27, v40
	s_wait_alu 0xfffd
	v_cndmask_b32_e32 v57, 0, v57, vcc_lo
	;; [unrolled: 3-line block ×4, first 2 shown]
	s_branch .LBB234_28
.LBB234_45:
	s_or_b32 exec_lo, exec_lo, s7
.LBB234_46:
	s_wait_alu 0xfffe
	s_or_b32 exec_lo, exec_lo, s1
	ds_bpermute_b32 v1, v13, v20
	ds_bpermute_b32 v2, v13, v22
	;; [unrolled: 1-line block ×8, first 2 shown]
	s_mov_b32 s0, exec_lo
	s_wait_storecnt 0x0
	s_wait_loadcnt_dscnt 0x0
	s_barrier_signal -1
	s_barrier_wait -1
	global_inv scope:SCOPE_SE
	v_dual_add_f32 v1, v20, v1 :: v_dual_add_f32 v2, v22, v2
	v_dual_add_f32 v3, v21, v3 :: v_dual_add_f32 v4, v19, v4
	;; [unrolled: 1-line block ×4, first 2 shown]
	ds_bpermute_b32 v9, v12, v1
	ds_bpermute_b32 v10, v12, v2
	;; [unrolled: 1-line block ×8, first 2 shown]
	s_wait_dscnt 0x6
	v_dual_add_f32 v1, v1, v9 :: v_dual_add_f32 v2, v2, v10
	s_wait_dscnt 0x4
	v_dual_add_f32 v3, v3, v13 :: v_dual_add_f32 v4, v4, v15
	;; [unrolled: 2-line block ×4, first 2 shown]
	ds_bpermute_b32 v12, v11, v1
	ds_bpermute_b32 v13, v11, v2
	;; [unrolled: 1-line block ×8, first 2 shown]
	v_lshrrev_b32_e32 v9, 3, v38
	v_and_b32_e32 v20, 0x3c7, v0
	s_delay_alu instid0(VALU_DEP_2)
	v_lshl_add_u32 v10, v9, 2, 0xa0
	s_wait_dscnt 0x6
	v_dual_add_f32 v1, v1, v12 :: v_dual_add_f32 v2, v2, v13
	s_wait_dscnt 0x4
	v_dual_add_f32 v3, v3, v15 :: v_dual_add_f32 v4, v4, v16
	;; [unrolled: 2-line block ×3, first 2 shown]
	s_wait_dscnt 0x1
	v_add_f32_e32 v7, v7, v19
	s_wait_dscnt 0x0
	v_add_f32_e32 v8, v8, v11
	v_cmpx_eq_u32_e32 64, v20
	s_cbranch_execz .LBB234_48
; %bb.47:
	v_lshl_add_u32 v11, v37, 7, v10
	s_delay_alu instid0(VALU_DEP_1)
	v_add_nc_u32_e32 v12, 0xffffff00, v11
	v_add_nc_u32_e32 v13, 0xffffff10, v11
	;; [unrolled: 1-line block ×8, first 2 shown]
	ds_store_b32 v12, v1
	ds_store_b32 v13, v2
	;; [unrolled: 1-line block ×8, first 2 shown]
.LBB234_48:
	s_wait_alu 0xfffe
	s_or_b32 exec_lo, exec_lo, s0
	v_and_b32_e32 v11, 0x3e0, v0
	v_lshlrev_b32_e32 v9, 2, v9
	s_mov_b32 s1, exec_lo
	v_cmp_eq_u32_e32 vcc_lo, 0, v14
	s_wait_loadcnt_dscnt 0x0
	v_lshlrev_b32_e32 v11, 2, v11
	s_barrier_signal -1
	s_barrier_wait -1
	global_inv scope:SCOPE_SE
	v_add3_u32 v9, 0xa0, v11, v9
	v_cmpx_gt_u32_e32 64, v0
	s_cbranch_execz .LBB234_59
; %bb.49:
	s_and_saveexec_b32 s0, vcc_lo
	s_cbranch_execnz .LBB234_75
; %bb.50:
	s_wait_alu 0xfffe
	s_or_b32 exec_lo, exec_lo, s0
	s_and_saveexec_b32 s0, vcc_lo
	s_cbranch_execnz .LBB234_76
.LBB234_51:
	s_wait_alu 0xfffe
	s_or_b32 exec_lo, exec_lo, s0
	s_and_saveexec_b32 s0, vcc_lo
	s_cbranch_execnz .LBB234_77
.LBB234_52:
	s_wait_alu 0xfffe
	s_or_b32 exec_lo, exec_lo, s0
	s_and_saveexec_b32 s0, vcc_lo
	s_cbranch_execnz .LBB234_78
.LBB234_53:
	s_wait_alu 0xfffe
	s_or_b32 exec_lo, exec_lo, s0
	s_and_saveexec_b32 s0, vcc_lo
	s_cbranch_execnz .LBB234_79
.LBB234_54:
	s_wait_alu 0xfffe
	s_or_b32 exec_lo, exec_lo, s0
	s_and_saveexec_b32 s0, vcc_lo
	s_cbranch_execnz .LBB234_80
.LBB234_55:
	s_wait_alu 0xfffe
	s_or_b32 exec_lo, exec_lo, s0
	s_and_saveexec_b32 s0, vcc_lo
	s_cbranch_execnz .LBB234_81
.LBB234_56:
	s_wait_alu 0xfffe
	s_or_b32 exec_lo, exec_lo, s0
	s_and_saveexec_b32 s0, vcc_lo
	s_cbranch_execz .LBB234_58
.LBB234_57:
	ds_load_b32 v11, v9 offset:112
	s_wait_dscnt 0x0
	v_add_f32_e32 v8, v8, v11
.LBB234_58:
	s_wait_alu 0xfffe
	s_or_b32 exec_lo, exec_lo, s0
.LBB234_59:
	s_wait_alu 0xfffe
	s_or_b32 exec_lo, exec_lo, s1
	v_and_b32_e32 v11, 0x3e7, v0
	s_mov_b32 s1, exec_lo
	s_wait_loadcnt 0x0
	s_barrier_signal -1
	s_barrier_wait -1
	global_inv scope:SCOPE_SE
	v_cmpx_eq_u32_e32 32, v11
	s_cbranch_execz .LBB234_61
; %bb.60:
	ds_store_2addr_b32 v10, v1, v2 offset1:4
	ds_store_2addr_b32 v10, v3, v4 offset0:8 offset1:12
	ds_store_2addr_b32 v10, v5, v6 offset0:16 offset1:20
	ds_store_2addr_b32 v10, v7, v8 offset0:24 offset1:28
.LBB234_61:
	s_wait_alu 0xfffe
	s_or_b32 exec_lo, exec_lo, s1
	s_delay_alu instid0(SALU_CYCLE_1)
	s_mov_b32 s1, exec_lo
	s_wait_loadcnt_dscnt 0x0
	s_barrier_signal -1
	s_barrier_wait -1
	global_inv scope:SCOPE_SE
	v_cmpx_gt_u32_e32 32, v0
	s_cbranch_execz .LBB234_72
; %bb.62:
	s_and_saveexec_b32 s0, vcc_lo
	s_cbranch_execnz .LBB234_82
; %bb.63:
	s_wait_alu 0xfffe
	s_or_b32 exec_lo, exec_lo, s0
	s_and_saveexec_b32 s0, vcc_lo
	s_cbranch_execnz .LBB234_83
.LBB234_64:
	s_wait_alu 0xfffe
	s_or_b32 exec_lo, exec_lo, s0
	s_and_saveexec_b32 s0, vcc_lo
	s_cbranch_execnz .LBB234_84
.LBB234_65:
	s_wait_alu 0xfffe
	s_or_b32 exec_lo, exec_lo, s0
	s_and_saveexec_b32 s0, vcc_lo
	s_cbranch_execnz .LBB234_85
.LBB234_66:
	s_wait_alu 0xfffe
	s_or_b32 exec_lo, exec_lo, s0
	s_and_saveexec_b32 s0, vcc_lo
	s_cbranch_execnz .LBB234_86
.LBB234_67:
	s_wait_alu 0xfffe
	s_or_b32 exec_lo, exec_lo, s0
	s_and_saveexec_b32 s0, vcc_lo
	s_cbranch_execnz .LBB234_87
.LBB234_68:
	s_wait_alu 0xfffe
	s_or_b32 exec_lo, exec_lo, s0
	s_and_saveexec_b32 s0, vcc_lo
	s_cbranch_execnz .LBB234_88
.LBB234_69:
	s_wait_alu 0xfffe
	s_or_b32 exec_lo, exec_lo, s0
	s_and_saveexec_b32 s0, vcc_lo
	s_cbranch_execz .LBB234_71
.LBB234_70:
	ds_load_b32 v9, v9 offset:112
	s_wait_dscnt 0x0
	v_add_f32_e32 v8, v8, v9
.LBB234_71:
	s_wait_alu 0xfffe
	s_or_b32 exec_lo, exec_lo, s0
.LBB234_72:
	s_wait_alu 0xfffe
	s_or_b32 exec_lo, exec_lo, s1
	s_mov_b32 s1, 0
	s_wait_loadcnt 0x0
	s_barrier_signal -1
	s_barrier_wait -1
	global_inv scope:SCOPE_SE
	s_mov_b32 s0, exec_lo
	v_cmpx_eq_u32_e32 0, v11
	s_cbranch_execz .LBB234_74
; %bb.73:
	s_lshl_b32 s2, s14, 5
	s_mul_i32 s6, s12, s16
	s_wait_alu 0xfffe
	s_ashr_i32 s3, s2, 31
	s_ashr_i32 s7, s6, 31
	s_wait_alu 0xfffe
	s_lshl_b64 s[2:3], s[2:3], 2
	s_lshl_b64 s[6:7], s[6:7], 2
	s_wait_kmcnt 0x0
	s_wait_alu 0xfffe
	s_add_nc_u64 s[2:3], s[4:5], s[2:3]
	v_lshrrev_b32_e32 v0, 1, v0
	s_lshl_b32 s0, s26, 7
	s_wait_alu 0xfffe
	s_add_nc_u64 s[2:3], s[2:3], s[6:7]
	s_wait_alu 0xfffe
	s_add_nc_u64 s[0:1], s[2:3], s[0:1]
	s_clause 0x7
	global_store_b32 v0, v1, s[0:1]
	global_store_b32 v0, v2, s[0:1] offset:16
	global_store_b32 v0, v3, s[0:1] offset:32
	;; [unrolled: 1-line block ×7, first 2 shown]
.LBB234_74:
	s_endpgm
.LBB234_75:
	ds_load_b32 v11, v9
	s_wait_dscnt 0x0
	v_add_f32_e32 v1, v1, v11
	s_wait_alu 0xfffe
	s_or_b32 exec_lo, exec_lo, s0
	s_and_saveexec_b32 s0, vcc_lo
	s_cbranch_execz .LBB234_51
.LBB234_76:
	ds_load_b32 v11, v9 offset:16
	s_wait_dscnt 0x0
	v_add_f32_e32 v2, v2, v11
	s_wait_alu 0xfffe
	s_or_b32 exec_lo, exec_lo, s0
	s_and_saveexec_b32 s0, vcc_lo
	s_cbranch_execz .LBB234_52
.LBB234_77:
	ds_load_b32 v11, v9 offset:32
	s_wait_dscnt 0x0
	v_add_f32_e32 v3, v3, v11
	s_wait_alu 0xfffe
	s_or_b32 exec_lo, exec_lo, s0
	s_and_saveexec_b32 s0, vcc_lo
	s_cbranch_execz .LBB234_53
.LBB234_78:
	ds_load_b32 v11, v9 offset:48
	s_wait_dscnt 0x0
	v_add_f32_e32 v4, v4, v11
	s_wait_alu 0xfffe
	s_or_b32 exec_lo, exec_lo, s0
	s_and_saveexec_b32 s0, vcc_lo
	s_cbranch_execz .LBB234_54
.LBB234_79:
	ds_load_b32 v11, v9 offset:64
	s_wait_dscnt 0x0
	v_add_f32_e32 v5, v5, v11
	s_wait_alu 0xfffe
	s_or_b32 exec_lo, exec_lo, s0
	s_and_saveexec_b32 s0, vcc_lo
	s_cbranch_execz .LBB234_55
.LBB234_80:
	ds_load_b32 v11, v9 offset:80
	s_wait_dscnt 0x0
	v_add_f32_e32 v6, v6, v11
	s_wait_alu 0xfffe
	s_or_b32 exec_lo, exec_lo, s0
	s_and_saveexec_b32 s0, vcc_lo
	s_cbranch_execz .LBB234_56
.LBB234_81:
	ds_load_b32 v11, v9 offset:96
	s_wait_dscnt 0x0
	v_add_f32_e32 v7, v7, v11
	s_wait_alu 0xfffe
	s_or_b32 exec_lo, exec_lo, s0
	s_and_saveexec_b32 s0, vcc_lo
	s_cbranch_execnz .LBB234_57
	s_branch .LBB234_58
.LBB234_82:
	ds_load_b32 v10, v9
	s_wait_dscnt 0x0
	v_add_f32_e32 v1, v1, v10
	s_wait_alu 0xfffe
	s_or_b32 exec_lo, exec_lo, s0
	s_and_saveexec_b32 s0, vcc_lo
	s_cbranch_execz .LBB234_64
.LBB234_83:
	ds_load_b32 v10, v9 offset:16
	s_wait_dscnt 0x0
	v_add_f32_e32 v2, v2, v10
	s_wait_alu 0xfffe
	s_or_b32 exec_lo, exec_lo, s0
	s_and_saveexec_b32 s0, vcc_lo
	s_cbranch_execz .LBB234_65
.LBB234_84:
	ds_load_b32 v10, v9 offset:32
	s_wait_dscnt 0x0
	v_add_f32_e32 v3, v3, v10
	s_wait_alu 0xfffe
	s_or_b32 exec_lo, exec_lo, s0
	s_and_saveexec_b32 s0, vcc_lo
	s_cbranch_execz .LBB234_66
.LBB234_85:
	ds_load_b32 v10, v9 offset:48
	s_wait_dscnt 0x0
	v_add_f32_e32 v4, v4, v10
	s_wait_alu 0xfffe
	s_or_b32 exec_lo, exec_lo, s0
	s_and_saveexec_b32 s0, vcc_lo
	s_cbranch_execz .LBB234_67
.LBB234_86:
	ds_load_b32 v10, v9 offset:64
	s_wait_dscnt 0x0
	v_add_f32_e32 v5, v5, v10
	s_wait_alu 0xfffe
	s_or_b32 exec_lo, exec_lo, s0
	s_and_saveexec_b32 s0, vcc_lo
	s_cbranch_execz .LBB234_68
.LBB234_87:
	ds_load_b32 v10, v9 offset:80
	s_wait_dscnt 0x0
	v_add_f32_e32 v6, v6, v10
	s_wait_alu 0xfffe
	s_or_b32 exec_lo, exec_lo, s0
	s_and_saveexec_b32 s0, vcc_lo
	s_cbranch_execz .LBB234_69
.LBB234_88:
	ds_load_b32 v10, v9 offset:96
	s_wait_dscnt 0x0
	v_add_f32_e32 v7, v7, v10
	s_wait_alu 0xfffe
	s_or_b32 exec_lo, exec_lo, s0
	s_and_saveexec_b32 s0, vcc_lo
	s_cbranch_execnz .LBB234_70
	s_branch .LBB234_71
	.section	.rodata,"a",@progbits
	.p2align	6, 0x0
	.amdhsa_kernel _ZN4vllm25paged_attention_v2_kernelIfhLi32ELi32ELi128ELNS_18Fp8KVCacheDataTypeE1ELb0ELi512EEEvPfS2_PT_PKS3_PKT0_S9_ifPKiSB_iPKfiiiSD_SD_iiiii
		.amdhsa_group_segment_fixed_size 160
		.amdhsa_private_segment_fixed_size 0
		.amdhsa_kernarg_size 400
		.amdhsa_user_sgpr_count 2
		.amdhsa_user_sgpr_dispatch_ptr 0
		.amdhsa_user_sgpr_queue_ptr 0
		.amdhsa_user_sgpr_kernarg_segment_ptr 1
		.amdhsa_user_sgpr_dispatch_id 0
		.amdhsa_user_sgpr_private_segment_size 0
		.amdhsa_wavefront_size32 1
		.amdhsa_uses_dynamic_stack 0
		.amdhsa_enable_private_segment 0
		.amdhsa_system_sgpr_workgroup_id_x 1
		.amdhsa_system_sgpr_workgroup_id_y 1
		.amdhsa_system_sgpr_workgroup_id_z 1
		.amdhsa_system_sgpr_workgroup_info 0
		.amdhsa_system_vgpr_workitem_id 0
		.amdhsa_next_free_vgpr 80
		.amdhsa_next_free_sgpr 38
		.amdhsa_reserve_vcc 1
		.amdhsa_float_round_mode_32 0
		.amdhsa_float_round_mode_16_64 0
		.amdhsa_float_denorm_mode_32 3
		.amdhsa_float_denorm_mode_16_64 3
		.amdhsa_fp16_overflow 0
		.amdhsa_workgroup_processor_mode 1
		.amdhsa_memory_ordered 1
		.amdhsa_forward_progress 1
		.amdhsa_inst_pref_size 50
		.amdhsa_round_robin_scheduling 0
		.amdhsa_exception_fp_ieee_invalid_op 0
		.amdhsa_exception_fp_denorm_src 0
		.amdhsa_exception_fp_ieee_div_zero 0
		.amdhsa_exception_fp_ieee_overflow 0
		.amdhsa_exception_fp_ieee_underflow 0
		.amdhsa_exception_fp_ieee_inexact 0
		.amdhsa_exception_int_div_zero 0
	.end_amdhsa_kernel
	.section	.text._ZN4vllm25paged_attention_v2_kernelIfhLi32ELi32ELi128ELNS_18Fp8KVCacheDataTypeE1ELb0ELi512EEEvPfS2_PT_PKS3_PKT0_S9_ifPKiSB_iPKfiiiSD_SD_iiiii,"axG",@progbits,_ZN4vllm25paged_attention_v2_kernelIfhLi32ELi32ELi128ELNS_18Fp8KVCacheDataTypeE1ELb0ELi512EEEvPfS2_PT_PKS3_PKT0_S9_ifPKiSB_iPKfiiiSD_SD_iiiii,comdat
.Lfunc_end234:
	.size	_ZN4vllm25paged_attention_v2_kernelIfhLi32ELi32ELi128ELNS_18Fp8KVCacheDataTypeE1ELb0ELi512EEEvPfS2_PT_PKS3_PKT0_S9_ifPKiSB_iPKfiiiSD_SD_iiiii, .Lfunc_end234-_ZN4vllm25paged_attention_v2_kernelIfhLi32ELi32ELi128ELNS_18Fp8KVCacheDataTypeE1ELb0ELi512EEEvPfS2_PT_PKS3_PKT0_S9_ifPKiSB_iPKfiiiSD_SD_iiiii
                                        ; -- End function
	.set _ZN4vllm25paged_attention_v2_kernelIfhLi32ELi32ELi128ELNS_18Fp8KVCacheDataTypeE1ELb0ELi512EEEvPfS2_PT_PKS3_PKT0_S9_ifPKiSB_iPKfiiiSD_SD_iiiii.num_vgpr, 80
	.set _ZN4vllm25paged_attention_v2_kernelIfhLi32ELi32ELi128ELNS_18Fp8KVCacheDataTypeE1ELb0ELi512EEEvPfS2_PT_PKS3_PKT0_S9_ifPKiSB_iPKfiiiSD_SD_iiiii.num_agpr, 0
	.set _ZN4vllm25paged_attention_v2_kernelIfhLi32ELi32ELi128ELNS_18Fp8KVCacheDataTypeE1ELb0ELi512EEEvPfS2_PT_PKS3_PKT0_S9_ifPKiSB_iPKfiiiSD_SD_iiiii.numbered_sgpr, 38
	.set _ZN4vllm25paged_attention_v2_kernelIfhLi32ELi32ELi128ELNS_18Fp8KVCacheDataTypeE1ELb0ELi512EEEvPfS2_PT_PKS3_PKT0_S9_ifPKiSB_iPKfiiiSD_SD_iiiii.num_named_barrier, 0
	.set _ZN4vllm25paged_attention_v2_kernelIfhLi32ELi32ELi128ELNS_18Fp8KVCacheDataTypeE1ELb0ELi512EEEvPfS2_PT_PKS3_PKT0_S9_ifPKiSB_iPKfiiiSD_SD_iiiii.private_seg_size, 0
	.set _ZN4vllm25paged_attention_v2_kernelIfhLi32ELi32ELi128ELNS_18Fp8KVCacheDataTypeE1ELb0ELi512EEEvPfS2_PT_PKS3_PKT0_S9_ifPKiSB_iPKfiiiSD_SD_iiiii.uses_vcc, 1
	.set _ZN4vllm25paged_attention_v2_kernelIfhLi32ELi32ELi128ELNS_18Fp8KVCacheDataTypeE1ELb0ELi512EEEvPfS2_PT_PKS3_PKT0_S9_ifPKiSB_iPKfiiiSD_SD_iiiii.uses_flat_scratch, 0
	.set _ZN4vllm25paged_attention_v2_kernelIfhLi32ELi32ELi128ELNS_18Fp8KVCacheDataTypeE1ELb0ELi512EEEvPfS2_PT_PKS3_PKT0_S9_ifPKiSB_iPKfiiiSD_SD_iiiii.has_dyn_sized_stack, 0
	.set _ZN4vllm25paged_attention_v2_kernelIfhLi32ELi32ELi128ELNS_18Fp8KVCacheDataTypeE1ELb0ELi512EEEvPfS2_PT_PKS3_PKT0_S9_ifPKiSB_iPKfiiiSD_SD_iiiii.has_recursion, 0
	.set _ZN4vllm25paged_attention_v2_kernelIfhLi32ELi32ELi128ELNS_18Fp8KVCacheDataTypeE1ELb0ELi512EEEvPfS2_PT_PKS3_PKT0_S9_ifPKiSB_iPKfiiiSD_SD_iiiii.has_indirect_call, 0
	.section	.AMDGPU.csdata,"",@progbits
; Kernel info:
; codeLenInByte = 6296
; TotalNumSgprs: 40
; NumVgprs: 80
; ScratchSize: 0
; MemoryBound: 0
; FloatMode: 240
; IeeeMode: 1
; LDSByteSize: 160 bytes/workgroup (compile time only)
; SGPRBlocks: 0
; VGPRBlocks: 9
; NumSGPRsForWavesPerEU: 40
; NumVGPRsForWavesPerEU: 80
; Occupancy: 16
; WaveLimiterHint : 1
; COMPUTE_PGM_RSRC2:SCRATCH_EN: 0
; COMPUTE_PGM_RSRC2:USER_SGPR: 2
; COMPUTE_PGM_RSRC2:TRAP_HANDLER: 0
; COMPUTE_PGM_RSRC2:TGID_X_EN: 1
; COMPUTE_PGM_RSRC2:TGID_Y_EN: 1
; COMPUTE_PGM_RSRC2:TGID_Z_EN: 1
; COMPUTE_PGM_RSRC2:TIDIG_COMP_CNT: 0
	.section	.text._ZN4vllm25paged_attention_v2_kernelIfhLi64ELi32ELi128ELNS_18Fp8KVCacheDataTypeE1ELb0ELi512EEEvPfS2_PT_PKS3_PKT0_S9_ifPKiSB_iPKfiiiSD_SD_iiiii,"axG",@progbits,_ZN4vllm25paged_attention_v2_kernelIfhLi64ELi32ELi128ELNS_18Fp8KVCacheDataTypeE1ELb0ELi512EEEvPfS2_PT_PKS3_PKT0_S9_ifPKiSB_iPKfiiiSD_SD_iiiii,comdat
	.protected	_ZN4vllm25paged_attention_v2_kernelIfhLi64ELi32ELi128ELNS_18Fp8KVCacheDataTypeE1ELb0ELi512EEEvPfS2_PT_PKS3_PKT0_S9_ifPKiSB_iPKfiiiSD_SD_iiiii ; -- Begin function _ZN4vllm25paged_attention_v2_kernelIfhLi64ELi32ELi128ELNS_18Fp8KVCacheDataTypeE1ELb0ELi512EEEvPfS2_PT_PKS3_PKT0_S9_ifPKiSB_iPKfiiiSD_SD_iiiii
	.globl	_ZN4vllm25paged_attention_v2_kernelIfhLi64ELi32ELi128ELNS_18Fp8KVCacheDataTypeE1ELb0ELi512EEEvPfS2_PT_PKS3_PKT0_S9_ifPKiSB_iPKfiiiSD_SD_iiiii
	.p2align	8
	.type	_ZN4vllm25paged_attention_v2_kernelIfhLi64ELi32ELi128ELNS_18Fp8KVCacheDataTypeE1ELb0ELi512EEEvPfS2_PT_PKS3_PKT0_S9_ifPKiSB_iPKfiiiSD_SD_iiiii,@function
_ZN4vllm25paged_attention_v2_kernelIfhLi64ELi32ELi128ELNS_18Fp8KVCacheDataTypeE1ELb0ELi512EEEvPfS2_PT_PKS3_PKT0_S9_ifPKiSB_iPKfiiiSD_SD_iiiii: ; @_ZN4vllm25paged_attention_v2_kernelIfhLi64ELi32ELi128ELNS_18Fp8KVCacheDataTypeE1ELb0ELi512EEEvPfS2_PT_PKS3_PKT0_S9_ifPKiSB_iPKfiiiSD_SD_iiiii
; %bb.0:
	s_load_b64 s[2:3], s[0:1], 0x40
	s_and_b32 s15, ttmp7, 0xffff
	s_lshr_b32 s26, ttmp7, 16
	s_lshl_b32 s4, s15, 2
	s_lshl_b32 s28, s26, 9
	s_wait_kmcnt 0x0
	s_load_b32 s27, s[2:3], s4 offset:0x0
	s_wait_kmcnt 0x0
	s_cmp_ge_i32 s28, s27
	s_cbranch_scc1 .LBB235_106
; %bb.1:
	s_clause 0x1
	s_load_b32 s29, s[0:1], 0x90
	s_load_b64 s[8:9], s[0:1], 0x30
	s_wait_kmcnt 0x0
	s_abs_i32 s5, s29
	s_abs_i32 s2, s8
	s_delay_alu instid0(SALU_CYCLE_1) | instskip(SKIP_1) | instid1(SALU_CYCLE_2)
	s_cvt_f32_u32 s3, s2
	s_sub_co_i32 s4, 0, s2
	v_rcp_iflag_f32_e32 v1, s3
	s_delay_alu instid0(TRANS32_DEP_1) | instskip(SKIP_2) | instid1(SALU_CYCLE_2)
	v_readfirstlane_b32 s3, v1
	s_mul_f32 s3, s3, 0x4f7ffffe
	s_wait_alu 0xfffe
	s_cvt_u32_f32 s3, s3
	s_wait_alu 0xfffe
	s_delay_alu instid0(SALU_CYCLE_2) | instskip(NEXT) | instid1(SALU_CYCLE_1)
	s_mul_i32 s4, s4, s3
	s_mul_hi_u32 s4, s3, s4
	s_delay_alu instid0(SALU_CYCLE_1)
	s_add_co_i32 s3, s3, s4
	s_xor_b32 s4, s29, s8
	s_wait_alu 0xfffe
	s_mul_hi_u32 s3, s5, s3
	s_ashr_i32 s4, s4, 31
	s_wait_alu 0xfffe
	s_mul_i32 s6, s3, s2
	s_delay_alu instid0(SALU_CYCLE_1)
	s_sub_co_i32 s5, s5, s6
	s_add_co_i32 s6, s3, 1
	s_sub_co_i32 s7, s5, s2
	s_cmp_ge_u32 s5, s2
	s_cselect_b32 s3, s6, s3
	s_cselect_b32 s5, s7, s5
	s_wait_alu 0xfffe
	s_add_co_i32 s6, s3, 1
	s_cmp_ge_u32 s5, s2
	s_cselect_b32 s2, s6, s3
	s_load_b64 s[6:7], s[0:1], 0x50
	s_xor_b32 s2, s2, s4
	s_mov_b32 s3, 0
	s_wait_alu 0xfffe
	s_sub_co_i32 s11, s2, s4
	s_mov_b32 s8, s3
	s_abs_i32 s10, s11
	s_delay_alu instid0(SALU_CYCLE_1) | instskip(SKIP_1) | instid1(SALU_CYCLE_2)
	s_cvt_f32_u32 s2, s10
	s_wait_alu 0xfffe
	v_rcp_iflag_f32_e32 v1, s2
	s_delay_alu instid0(TRANS32_DEP_1) | instskip(SKIP_2) | instid1(SALU_CYCLE_2)
	v_readfirstlane_b32 s2, v1
	s_mul_f32 s2, s2, 0x4f7ffffe
	s_wait_alu 0xfffe
	s_cvt_u32_f32 s4, s2
	s_sub_co_i32 s2, 0, s10
	s_wait_alu 0xfffe
	s_delay_alu instid0(SALU_CYCLE_1)
	s_mul_i32 s2, s2, s4
	s_wait_alu 0xfffe
	s_mul_hi_u32 s5, s4, s2
	s_abs_i32 s2, ttmp9
	s_add_co_i32 s4, s4, s5
	s_mov_b32 s5, s3
	s_wait_kmcnt 0x0
	s_cmp_eq_u64 s[6:7], 0
	s_cbranch_scc1 .LBB235_3
; %bb.2:
	s_mov_b32 s12, ttmp9
	s_ashr_i32 s13, ttmp9, 31
	s_delay_alu instid0(SALU_CYCLE_1) | instskip(NEXT) | instid1(SALU_CYCLE_1)
	s_lshl_b64 s[12:13], s[12:13], 2
	s_add_nc_u64 s[6:7], s[6:7], s[12:13]
	s_load_b32 s8, s[6:7], 0x0
.LBB235_3:
	s_load_b96 s[12:14], s[0:1], 0x58
	s_mul_u64 s[4:5], s[2:3], s[4:5]
	s_ashr_i32 s3, ttmp9, 31
	s_ashr_i32 s4, s11, 31
	s_lshl_b32 s16, ttmp9, 6
	s_mov_b32 s6, exec_lo
	v_cmpx_gt_u32_e32 16, v0
	s_cbranch_execz .LBB235_5
; %bb.4:
	s_load_b64 s[18:19], s[0:1], 0x18
	s_wait_kmcnt 0x0
	s_mul_i32 s20, s12, s15
	s_ashr_i32 s17, s16, 31
	s_ashr_i32 s21, s20, 31
	v_lshlrev_b32_e32 v5, 4, v0
	s_lshl_b64 s[20:21], s[20:21], 2
	s_delay_alu instid0(SALU_CYCLE_1) | instskip(SKIP_1) | instid1(SALU_CYCLE_1)
	s_add_nc_u64 s[18:19], s[18:19], s[20:21]
	s_lshl_b64 s[20:21], s[16:17], 2
	s_add_nc_u64 s[18:19], s[18:19], s[20:21]
	global_load_b128 v[1:4], v5, s[18:19]
	s_wait_loadcnt 0x0
	ds_store_b128 v5, v[1:4]
.LBB235_5:
	s_or_b32 exec_lo, exec_lo, s6
	s_add_co_i32 s6, s27, 31
	s_lshl_b32 s31, s26, 4
	s_ashr_i32 s7, s6, 31
	s_wait_alu 0xfffe
	s_xor_b32 s3, s3, s4
	s_lshr_b32 s7, s7, 27
	s_add_co_i32 s4, s31, 16
	s_add_co_i32 s6, s6, s7
	s_clause 0x1
	s_load_b64 s[18:19], s[0:1], 0x38
	s_load_b32 s11, s[0:1], 0x48
	s_ashr_i32 s30, s6, 5
	s_mul_i32 s6, s5, s10
	s_min_i32 s17, s4, s30
	s_sub_co_i32 s2, s2, s6
	s_add_co_i32 s4, s5, 1
	s_wait_alu 0xfffe
	s_sub_co_i32 s6, s2, s10
	s_cmp_ge_u32 s2, s10
	v_lshrrev_b32_e32 v146, 5, v0
	s_cselect_b32 s20, s4, s5
	s_cselect_b32 s2, s6, s2
	s_wait_kmcnt 0x0
	s_clause 0x1
	s_load_b32 s12, s[0:1], 0x98
	s_load_b128 s[4:7], s[0:1], 0x68
	s_add_co_i32 s21, s20, 1
	s_cmp_ge_u32 s2, s10
	v_dual_mov_b32 v86, 0xff7fffff :: v_dual_and_b32 v147, 31, v0
	v_add_nc_u32_e32 v150, s31, v146
	s_cselect_b32 s2, s21, s20
	s_wait_dscnt 0x0
	s_wait_alu 0xfffe
	s_xor_b32 s2, s2, s3
	v_lshlrev_b32_e32 v145, 2, v147
	s_wait_alu 0xfffe
	s_sub_co_i32 s3, s2, s3
	v_cmp_gt_i32_e64 s2, s17, v150
	v_lshlrev_b32_e32 v144, 2, v150
	s_mul_i32 s20, s11, s15
	s_wait_alu 0xfffe
	s_mul_i32 s22, s3, s14
	s_ashr_i32 s21, s20, 31
	s_barrier_signal -1
	s_barrier_wait -1
	global_inv scope:SCOPE_SE
	s_and_saveexec_b32 s10, s2
	s_cbranch_execz .LBB235_9
; %bb.6:
	v_dual_mov_b32 v61, 0 :: v_dual_lshlrev_b32 v66, 5, v146
	s_load_b64 s[24:25], s[0:1], 0x20
	v_dual_mov_b32 v86, 0xff7fffff :: v_dual_lshlrev_b32 v65, 4, v147
	ds_load_b128 v[1:4], v61
	ds_load_b128 v[5:8], v61 offset:16
	ds_load_b128 v[9:12], v61 offset:32
	;; [unrolled: 1-line block ×15, first 2 shown]
	s_wait_kmcnt 0x0
	s_load_b32 s5, s[4:5], 0x0
	s_ashr_i32 s23, s22, 31
	s_cmp_neq_f32 s8, 0
	v_lshl_or_b32 v67, v146, 7, v145
	v_add3_u32 v87, s28, v66, v147
	v_mov_b32_e32 v89, v150
	s_cselect_b32 vcc_lo, -1, 0
	s_mov_b32 s11, s13
	v_add_nc_u32_e32 v88, 0x120, v67
	s_mov_b32 s14, 0
	s_add_nc_u64 s[24:25], s[24:25], s[22:23]
	s_delay_alu instid0(SALU_CYCLE_1)
	v_add_co_u32 v148, s3, s24, v65
	s_wait_alu 0xf1ff
	v_add_co_ci_u32_e64 v149, null, s25, 0, s3
	s_lshl_b64 s[24:25], s[20:21], 2
	s_wait_kmcnt 0x0
	s_mov_b32 s23, s5
	s_wait_alu 0xfffe
	s_add_nc_u64 s[24:25], s[18:19], s[24:25]
	s_wait_alu 0xfffe
	v_add_co_u32 v79, s3, s24, v144
	s_wait_alu 0xf1ff
	v_add_co_ci_u32_e64 v80, null, s25, 0, s3
	s_sub_co_i32 s24, 1, s27
.LBB235_7:                              ; =>This Inner Loop Header: Depth=1
	global_load_b32 v65, v[79:80], off
	s_wait_alu 0xfffe
	v_add_nc_u32_e32 v94, s24, v87
	v_add_co_u32 v79, s3, v79, 16
	s_wait_alu 0xf1ff
	v_add_co_ci_u32_e64 v80, null, 0, v80, s3
	s_delay_alu instid0(VALU_DEP_3) | instskip(SKIP_3) | instid1(VALU_DEP_2)
	v_cvt_f32_i32_e32 v143, v94
	v_cmp_gt_i32_e64 s3, s27, v87
	v_add_nc_u32_e32 v89, 4, v89
	v_add_nc_u32_e32 v87, 0x80, v87
	v_cmp_le_i32_e64 s4, s17, v89
	s_or_b32 s14, s4, s14
	s_wait_loadcnt 0x0
	v_mad_co_i64_i32 v[90:91], null, v65, s11, v[148:149]
	s_clause 0x3
	global_load_b128 v[65:68], v[90:91], off
	global_load_b128 v[69:72], v[90:91], off offset:512
	global_load_b128 v[73:76], v[90:91], off offset:1024
	;; [unrolled: 1-line block ×3, first 2 shown]
	v_max_num_f32_e32 v142, v86, v86
	s_wait_loadcnt 0x3
	v_lshrrev_b32_e32 v97, 16, v66
	v_lshrrev_b32_e32 v101, 16, v68
	;; [unrolled: 1-line block ×4, first 2 shown]
	s_wait_loadcnt 0x2
	v_lshrrev_b32_e32 v105, 16, v70
	v_lshrrev_b32_e32 v107, 16, v71
	v_and_b32_e32 v108, 0xffff, v72
	v_lshrrev_b32_e32 v109, 16, v72
	s_wait_loadcnt 0x0
	v_and_b32_e32 v82, 0xffff, v92
	v_lshrrev_b32_e32 v77, 16, v92
	v_and_b32_e32 v78, 0xffff, v93
	v_lshrrev_b32_e32 v83, 16, v93
	v_cvt_pk_f32_fp8_e32 v[92:93], v101
	v_and_b32_e32 v106, 0xffff, v71
	v_cvt_pk_f32_fp8_e32 v[71:72], v97
	v_and_b32_e32 v100, 0xffff, v68
	v_and_b32_e32 v96, 0xffff, v66
	;; [unrolled: 1-line block ×3, first 2 shown]
	v_lshrrev_b32_e32 v103, 16, v69
	v_lshrrev_b32_e32 v120, 16, v75
	v_and_b32_e32 v122, 0xffff, v76
	v_lshrrev_b32_e32 v124, 16, v76
	v_and_b32_e32 v126, 0xffff, v90
	v_lshrrev_b32_e32 v84, 16, v90
	v_and_b32_e32 v85, 0xffff, v91
	v_lshrrev_b32_e32 v81, 16, v91
	v_cvt_pk_f32_fp8_e32 v[67:68], v95
	v_dual_mul_f32 v71, s5, v71 :: v_dual_and_b32 v94, 0xffff, v65
	v_cvt_pk_f32_fp8_e32 v[90:91], v100
	v_and_b32_e32 v104, 0xffff, v70
	v_cvt_pk_f32_fp8_e32 v[100:101], v105
	v_and_b32_e32 v118, 0xffff, v75
	v_cvt_pk_f32_fp8_e32 v[75:76], v99
	v_and_b32_e32 v102, 0xffff, v69
	v_and_b32_e32 v110, 0xffff, v73
	v_lshrrev_b32_e32 v112, 16, v73
	v_lshrrev_b32_e32 v116, 16, v74
	v_cvt_pk_f32_fp8_e32 v[69:70], v96
	v_cvt_pk_f32_fp8_e32 v[96:97], v103
	v_and_b32_e32 v114, 0xffff, v74
	v_cvt_pk_f32_fp8_e32 v[73:74], v98
	v_cvt_pk_f32_fp8_e32 v[136:137], v77
	v_mul_f32_e32 v67, s5, v67
	v_cvt_pk_f32_fp8_e32 v[65:66], v94
	v_mul_f32_e32 v75, s5, v75
	;; [unrolled: 2-line block ×3, first 2 shown]
	v_cvt_pk_f32_fp8_e32 v[98:99], v104
	v_cvt_pk_f32_fp8_e32 v[104:105], v107
	;; [unrolled: 1-line block ×4, first 2 shown]
	v_mul_f32_e32 v69, s5, v69
	v_mul_f32_e32 v81, s23, v93
	v_cvt_pk_f32_fp8_e32 v[102:103], v106
	v_mul_f32_e32 v83, s23, v95
	v_cvt_pk_f32_fp8_e32 v[106:107], v108
	;; [unrolled: 2-line block ×3, first 2 shown]
	v_cvt_pk_f32_fp8_e32 v[108:109], v109
	v_cvt_pk_f32_fp8_e32 v[112:113], v112
	;; [unrolled: 1-line block ×4, first 2 shown]
	v_mul_f32_e32 v65, s5, v65
	v_mul_f32_e32 v85, s23, v97
	v_cvt_pk_f32_fp8_e32 v[114:115], v114
	v_mul_f32_e32 v99, s23, v107
	v_cvt_pk_f32_fp8_e32 v[134:135], v82
	v_mul_f32_e32 v82, s5, v92
	v_mul_f32_e32 v92, s5, v98
	;; [unrolled: 1-line block ×3, first 2 shown]
	s_wait_dscnt 0xe
	v_dual_mul_f32 v104, s5, v110 :: v_dual_mul_f32 v69, v5, v69
	v_cvt_pk_f32_fp8_e32 v[116:117], v116
	v_cvt_pk_f32_fp8_e32 v[128:129], v84
	v_mul_f32_e32 v73, s5, v73
	v_mul_f32_e32 v93, s23, v101
	v_cvt_pk_f32_fp8_e32 v[118:119], v118
	v_mul_f32_e32 v95, s23, v103
	v_cvt_pk_f32_fp8_e32 v[122:123], v122
	;; [unrolled: 2-line block ×3, first 2 shown]
	v_mul_f32_e32 v84, s5, v94
	v_dual_mul_f32 v94, s5, v100 :: v_dual_mul_f32 v103, s23, v111
	v_cvt_pk_f32_fp8_e32 v[138:139], v78
	v_mul_f32_e32 v78, s5, v90
	v_mul_f32_e32 v90, s5, v96
	;; [unrolled: 1-line block ×5, first 2 shown]
	v_dual_mul_f32 v106, s5, v112 :: v_dual_mul_f32 v71, v7, v71
	v_dual_mul_f32 v108, s5, v114 :: v_dual_fmac_f32 v69, v1, v65
	v_cvt_pk_f32_fp8_e32 v[120:121], v120
	s_delay_alu instid0(VALU_DEP_3) | instskip(SKIP_1) | instid1(VALU_DEP_3)
	v_dual_mul_f32 v110, s5, v116 :: v_dual_fmac_f32 v71, v3, v67
	s_wait_dscnt 0xd
	v_dual_mul_f32 v112, s5, v118 :: v_dual_fmac_f32 v69, v9, v73
	v_dual_mul_f32 v70, s23, v70 :: v_dual_mul_f32 v107, s23, v115
	s_delay_alu instid0(VALU_DEP_3)
	v_dual_mul_f32 v114, s5, v120 :: v_dual_fmac_f32 v71, v11, v75
	v_dual_mul_f32 v115, s23, v123 :: v_dual_mul_f32 v118, s5, v124
	s_wait_dscnt 0xc
	v_fmac_f32_e32 v69, v13, v78
	v_dual_mul_f32 v66, s23, v66 :: v_dual_mul_f32 v101, s23, v109
	v_dual_mul_f32 v72, s23, v72 :: v_dual_mul_f32 v109, s23, v117
	;; [unrolled: 1-line block ×3, first 2 shown]
	v_mul_f32_e32 v117, s23, v125
	v_dual_mul_f32 v119, s23, v127 :: v_dual_mul_f32 v116, s5, v122
	s_wait_dscnt 0xb
	v_fmac_f32_e32 v69, v17, v84
	v_dual_mul_f32 v122, s5, v128 :: v_dual_fmac_f32 v71, v15, v82
	v_dual_mul_f32 v68, s23, v68 :: v_dual_mul_f32 v105, s23, v113
	v_dual_mul_f32 v76, s23, v76 :: v_dual_mul_f32 v113, s23, v121
	v_mul_f32_e32 v121, s23, v129
	v_dual_mul_f32 v123, s23, v131 :: v_dual_mul_f32 v120, s5, v126
	s_wait_dscnt 0xa
	v_fmac_f32_e32 v69, v21, v92
	v_dual_mul_f32 v126, s5, v132 :: v_dual_fmac_f32 v71, v19, v90
	v_mul_f32_e32 v125, s23, v133
	v_dual_mul_f32 v127, s23, v135 :: v_dual_mul_f32 v124, s5, v130
	s_wait_dscnt 0x9
	v_fmac_f32_e32 v69, v25, v96
	v_dual_mul_f32 v130, s5, v136 :: v_dual_fmac_f32 v71, v23, v94
	v_mul_f32_e32 v129, s23, v137
	v_dual_mul_f32 v131, s23, v139 :: v_dual_mul_f32 v128, s5, v134
	s_wait_dscnt 0x8
	v_fmac_f32_e32 v69, v29, v100
	v_dual_mul_f32 v134, s5, v140 :: v_dual_fmac_f32 v71, v27, v98
	v_dual_mul_f32 v132, s5, v138 :: v_dual_mul_f32 v133, s23, v141
	v_mul_f32_e32 v72, v8, v72
	s_wait_dscnt 0x7
	v_dual_fmac_f32 v69, v33, v104 :: v_dual_mul_f32 v70, v6, v70
	s_delay_alu instid0(VALU_DEP_2) | instskip(SKIP_1) | instid1(VALU_DEP_2)
	v_dual_fmac_f32 v71, v31, v102 :: v_dual_fmac_f32 v72, v4, v68
	s_wait_dscnt 0x6
	v_dual_fmac_f32 v69, v37, v108 :: v_dual_fmac_f32 v70, v2, v66
	s_delay_alu instid0(VALU_DEP_2) | instskip(NEXT) | instid1(VALU_DEP_3)
	v_dual_fmac_f32 v71, v35, v106 :: v_dual_mul_f32 v66, s8, v143
	v_fmac_f32_e32 v72, v12, v76
	s_wait_dscnt 0x5
	s_delay_alu instid0(VALU_DEP_3) | instskip(NEXT) | instid1(VALU_DEP_3)
	v_dual_fmac_f32 v69, v41, v112 :: v_dual_fmac_f32 v70, v10, v74
	v_fmac_f32_e32 v71, v39, v110
	s_wait_dscnt 0x4
	s_delay_alu instid0(VALU_DEP_2) | instskip(NEXT) | instid1(VALU_DEP_2)
	v_dual_cndmask_b32 v66, 0, v66 :: v_dual_fmac_f32 v69, v45, v116
	v_dual_fmac_f32 v70, v14, v77 :: v_dual_fmac_f32 v71, v43, v114
	s_wait_dscnt 0x3
	s_delay_alu instid0(VALU_DEP_2) | instskip(NEXT) | instid1(VALU_DEP_2)
	v_dual_fmac_f32 v72, v16, v81 :: v_dual_fmac_f32 v69, v49, v120
	v_dual_fmac_f32 v70, v18, v83 :: v_dual_fmac_f32 v71, v47, v118
	s_wait_dscnt 0x2
	s_delay_alu instid0(VALU_DEP_2) | instskip(NEXT) | instid1(VALU_DEP_2)
	v_dual_fmac_f32 v72, v20, v85 :: v_dual_fmac_f32 v69, v53, v124
	;; [unrolled: 4-line block ×4, first 2 shown]
	v_dual_fmac_f32 v70, v30, v99 :: v_dual_fmac_f32 v71, v59, v130
	s_delay_alu instid0(VALU_DEP_1) | instskip(NEXT) | instid1(VALU_DEP_2)
	v_dual_fmac_f32 v72, v32, v101 :: v_dual_fmac_f32 v71, v63, v134
	v_fmac_f32_e32 v70, v34, v103
	s_delay_alu instid0(VALU_DEP_1) | instskip(NEXT) | instid1(VALU_DEP_1)
	v_fmac_f32_e32 v70, v38, v107
	v_fmac_f32_e32 v70, v42, v111
	s_delay_alu instid0(VALU_DEP_1) | instskip(NEXT) | instid1(VALU_DEP_1)
	v_fmac_f32_e32 v70, v46, v115
	v_fmac_f32_e32 v70, v50, v119
	s_delay_alu instid0(VALU_DEP_1) | instskip(NEXT) | instid1(VALU_DEP_1)
	v_fmac_f32_e32 v70, v54, v123
	v_fmac_f32_e32 v70, v58, v127
	s_delay_alu instid0(VALU_DEP_1) | instskip(NEXT) | instid1(VALU_DEP_1)
	v_fmac_f32_e32 v70, v62, v131
	v_dual_fmac_f32 v72, v36, v105 :: v_dual_add_f32 v65, v69, v70
	s_delay_alu instid0(VALU_DEP_1) | instskip(NEXT) | instid1(VALU_DEP_2)
	v_fmac_f32_e32 v72, v40, v109
	v_add_f32_e32 v65, v71, v65
	s_delay_alu instid0(VALU_DEP_2) | instskip(NEXT) | instid1(VALU_DEP_1)
	v_fmac_f32_e32 v72, v44, v113
	v_fmac_f32_e32 v72, v48, v117
	s_delay_alu instid0(VALU_DEP_1) | instskip(NEXT) | instid1(VALU_DEP_1)
	v_fmac_f32_e32 v72, v52, v121
	v_fmac_f32_e32 v72, v56, v125
	s_delay_alu instid0(VALU_DEP_1) | instskip(NEXT) | instid1(VALU_DEP_1)
	;; [unrolled: 3-line block ×3, first 2 shown]
	v_add_f32_e32 v65, v72, v65
	v_fmac_f32_e32 v66, s9, v65
	s_delay_alu instid0(VALU_DEP_1)
	v_cndmask_b32_e64 v65, 0, v66, s3
	v_max_num_f32_e32 v66, v142, v66
	ds_store_b32 v88, v65
	v_cndmask_b32_e64 v86, v86, v66, s3
	v_add_nc_u32_e32 v88, 0x200, v88
	s_and_not1_b32 exec_lo, exec_lo, s14
	s_cbranch_execnz .LBB235_7
; %bb.8:
	s_or_b32 exec_lo, exec_lo, s14
.LBB235_9:
	s_delay_alu instid0(SALU_CYCLE_1)
	s_or_b32 exec_lo, exec_lo, s10
	v_mbcnt_lo_u32_b32 v1, -1, 0
	s_load_b128 s[8:11], s[0:1], 0x0
	s_wait_kmcnt 0x0
	s_clause 0x1
	s_load_b64 s[4:5], s[0:1], 0x10
	s_load_b64 s[24:25], s[0:1], 0x28
	v_xor_b32_e32 v2, 16, v1
	v_xor_b32_e32 v4, 8, v1
	s_delay_alu instid0(VALU_DEP_2) | instskip(SKIP_2) | instid1(VALU_DEP_3)
	v_cmp_gt_i32_e32 vcc_lo, 32, v2
	s_wait_alu 0xfffd
	v_cndmask_b32_e32 v2, v1, v2, vcc_lo
	v_cmp_gt_i32_e32 vcc_lo, 32, v4
	v_max_num_f32_e32 v5, v86, v86
	s_delay_alu instid0(VALU_DEP_3)
	v_lshlrev_b32_e32 v2, 2, v2
	s_wait_alu 0xfffd
	v_cndmask_b32_e32 v4, v1, v4, vcc_lo
	ds_bpermute_b32 v3, v2, v86
	s_wait_dscnt 0x0
	v_dual_max_num_f32 v6, v3, v3 :: v_dual_lshlrev_b32 v3, 2, v4
	s_delay_alu instid0(VALU_DEP_1)
	v_max_num_f32_e32 v4, v5, v6
	v_xor_b32_e32 v6, 4, v1
	ds_bpermute_b32 v5, v3, v4
	v_cmp_gt_i32_e32 vcc_lo, 32, v6
	s_wait_alu 0xfffd
	v_cndmask_b32_e32 v6, v1, v6, vcc_lo
	s_wait_dscnt 0x0
	v_max_num_f32_e32 v5, v5, v5
	s_delay_alu instid0(VALU_DEP_2) | instskip(SKIP_1) | instid1(VALU_DEP_3)
	v_lshlrev_b32_e32 v13, 2, v6
	v_xor_b32_e32 v6, 2, v1
	v_max_num_f32_e32 v4, v4, v5
	s_delay_alu instid0(VALU_DEP_2) | instskip(SKIP_3) | instid1(VALU_DEP_1)
	v_cmp_gt_i32_e32 vcc_lo, 32, v6
	ds_bpermute_b32 v5, v13, v4
	s_wait_alu 0xfffd
	v_cndmask_b32_e32 v6, v1, v6, vcc_lo
	v_lshlrev_b32_e32 v12, 2, v6
	v_xor_b32_e32 v6, 1, v1
	s_delay_alu instid0(VALU_DEP_1)
	v_cmp_gt_i32_e32 vcc_lo, 32, v6
	s_wait_alu 0xfffd
	v_cndmask_b32_e32 v6, v1, v6, vcc_lo
	v_cmp_eq_u32_e32 vcc_lo, 0, v147
	s_wait_dscnt 0x0
	v_max_num_f32_e32 v5, v5, v5
	s_delay_alu instid0(VALU_DEP_1) | instskip(SKIP_3) | instid1(VALU_DEP_1)
	v_dual_max_num_f32 v4, v4, v5 :: v_dual_lshlrev_b32 v11, 2, v6
	ds_bpermute_b32 v5, v12, v4
	s_wait_dscnt 0x0
	v_max_num_f32_e32 v5, v5, v5
	v_max_num_f32_e32 v1, v4, v5
	v_lshlrev_b32_e32 v5, 2, v146
	ds_bpermute_b32 v4, v11, v1
	s_and_saveexec_b32 s0, vcc_lo
	s_cbranch_execz .LBB235_11
; %bb.10:
	s_wait_dscnt 0x0
	v_dual_max_num_f32 v4, v4, v4 :: v_dual_max_num_f32 v1, v1, v1
	s_delay_alu instid0(VALU_DEP_1)
	v_max_num_f32_e32 v1, v1, v4
	ds_store_b32 v5, v1 offset:256
.LBB235_11:
	s_or_b32 exec_lo, exec_lo, s0
	v_cmp_gt_u32_e64 s0, 4, v147
	v_mov_b32_e32 v1, 0xff7fffff
	s_wait_loadcnt_dscnt 0x0
	s_barrier_signal -1
	s_barrier_wait -1
	global_inv scope:SCOPE_SE
	s_and_saveexec_b32 s1, s0
; %bb.12:
	ds_load_b32 v1, v145 offset:256
; %bb.13:
	s_or_b32 exec_lo, exec_lo, s1
	s_wait_dscnt 0x0
	ds_bpermute_b32 v4, v12, v1
	v_max_num_f32_e32 v1, v1, v1
	s_sub_co_i32 s1, s17, s31
	v_mov_b32_e32 v6, 0
	s_lshl_b32 s1, s1, 5
	s_delay_alu instid0(SALU_CYCLE_1) | instskip(NEXT) | instid1(SALU_CYCLE_1)
	s_add_co_i32 s1, s1, s28
	s_min_i32 s1, s1, s27
	s_delay_alu instid0(SALU_CYCLE_1) | instskip(NEXT) | instid1(SALU_CYCLE_1)
	s_sub_co_i32 s14, s1, s28
	v_cmp_gt_i32_e64 s1, s14, v0
	s_wait_dscnt 0x0
	v_max_num_f32_e32 v4, v4, v4
	s_delay_alu instid0(VALU_DEP_1) | instskip(SKIP_3) | instid1(VALU_DEP_1)
	v_max_num_f32_e32 v1, v1, v4
	ds_bpermute_b32 v4, v11, v1
	s_wait_dscnt 0x0
	v_max_num_f32_e32 v4, v4, v4
	v_max_num_f32_e32 v1, v1, v4
	v_lshl_add_u32 v4, v0, 2, 0x120
	ds_bpermute_b32 v1, v6, v1
	s_and_saveexec_b32 s23, s1
	s_cbranch_execz .LBB235_17
; %bb.14:
	v_lshl_add_u32 v7, v0, 2, 0x120
	v_mov_b32_e32 v6, 0
	v_mov_b32_e32 v8, v0
	s_mov_b32 s31, 0
.LBB235_15:                             ; =>This Inner Loop Header: Depth=1
	ds_load_b32 v9, v7
	v_add_nc_u32_e32 v8, 0x80, v8
	s_delay_alu instid0(VALU_DEP_1) | instskip(SKIP_4) | instid1(VALU_DEP_1)
	v_cmp_le_i32_e64 s3, s14, v8
	s_wait_alu 0xfffe
	s_or_b32 s31, s3, s31
	s_wait_dscnt 0x0
	v_sub_f32_e32 v9, v9, v1
	v_mul_f32_e32 v9, 0x3fb8aa3b, v9
	s_delay_alu instid0(VALU_DEP_1)
	v_exp_f32_e32 v9, v9
	ds_store_b32 v7, v9
	v_dual_add_f32 v6, v6, v9 :: v_dual_add_nc_u32 v7, 0x200, v7
	s_wait_alu 0xfffe
	s_and_not1_b32 exec_lo, exec_lo, s31
	s_cbranch_execnz .LBB235_15
; %bb.16:
	s_or_b32 exec_lo, exec_lo, s31
.LBB235_17:
	s_wait_alu 0xfffe
	s_or_b32 exec_lo, exec_lo, s23
	ds_bpermute_b32 v2, v2, v6
	s_wait_dscnt 0x0
	v_add_f32_e32 v2, v6, v2
	ds_bpermute_b32 v3, v3, v2
	s_wait_dscnt 0x0
	v_add_f32_e32 v2, v2, v3
	;; [unrolled: 3-line block ×5, first 2 shown]
	s_and_saveexec_b32 s3, vcc_lo
; %bb.18:
	ds_store_b32 v5, v2 offset:272
; %bb.19:
	s_wait_alu 0xfffe
	s_or_b32 exec_lo, exec_lo, s3
	s_wait_loadcnt_dscnt 0x0
	s_barrier_signal -1
	s_barrier_wait -1
	global_inv scope:SCOPE_SE
	s_and_saveexec_b32 s3, s0
; %bb.20:
	ds_load_b32 v2, v145 offset:272
; %bb.21:
	s_wait_alu 0xfffe
	s_or_b32 exec_lo, exec_lo, s3
	s_wait_dscnt 0x0
	ds_bpermute_b32 v3, v12, v2
	s_wait_dscnt 0x0
	v_add_f32_e32 v2, v2, v3
	ds_bpermute_b32 v3, v11, v2
	s_wait_dscnt 0x0
	v_dual_add_f32 v2, v2, v3 :: v_dual_mov_b32 v3, 0
	ds_bpermute_b32 v2, v3, v2
	s_and_saveexec_b32 s0, s1
	s_cbranch_execz .LBB235_24
; %bb.22:
	s_wait_dscnt 0x0
	v_add_f32_e32 v3, 0x358637bd, v2
	s_mov_b32 s1, 0
	s_delay_alu instid0(VALU_DEP_1) | instskip(SKIP_1) | instid1(VALU_DEP_2)
	v_div_scale_f32 v5, null, v3, v3, 1.0
	v_div_scale_f32 v8, vcc_lo, 1.0, v3, 1.0
	v_rcp_f32_e32 v6, v5
	s_delay_alu instid0(TRANS32_DEP_1) | instskip(NEXT) | instid1(VALU_DEP_1)
	v_fma_f32 v7, -v5, v6, 1.0
	v_fmac_f32_e32 v6, v7, v6
	s_delay_alu instid0(VALU_DEP_1) | instskip(NEXT) | instid1(VALU_DEP_1)
	v_mul_f32_e32 v7, v8, v6
	v_fma_f32 v9, -v5, v7, v8
	s_delay_alu instid0(VALU_DEP_1) | instskip(NEXT) | instid1(VALU_DEP_1)
	v_fmac_f32_e32 v7, v9, v6
	v_fma_f32 v5, -v5, v7, v8
	s_wait_alu 0xfffd
	s_delay_alu instid0(VALU_DEP_1) | instskip(NEXT) | instid1(VALU_DEP_1)
	v_div_fmas_f32 v5, v5, v6, v7
	v_div_fixup_f32 v3, v5, v3, 1.0
	v_mov_b32_e32 v5, v0
.LBB235_23:                             ; =>This Inner Loop Header: Depth=1
	ds_load_b32 v6, v4
	s_wait_dscnt 0x0
	v_dual_mul_f32 v6, v3, v6 :: v_dual_add_nc_u32 v5, 0x80, v5
	s_delay_alu instid0(VALU_DEP_1) | instskip(SKIP_3) | instid1(SALU_CYCLE_1)
	v_cmp_le_i32_e32 vcc_lo, s14, v5
	ds_store_b32 v4, v6
	v_add_nc_u32_e32 v4, 0x200, v4
	s_or_b32 s1, vcc_lo, s1
	s_and_not1_b32 exec_lo, exec_lo, s1
	s_cbranch_execnz .LBB235_23
.LBB235_24:
	s_or_b32 exec_lo, exec_lo, s0
	s_mul_i32 s0, s12, s15
	s_wait_loadcnt_dscnt 0x0
	s_mul_i32 s14, s0, s29
	s_mov_b32 s0, exec_lo
	s_barrier_signal -1
	s_barrier_wait -1
	global_inv scope:SCOPE_SE
	v_cmpx_eq_u32_e32 0, v0
	s_cbranch_execz .LBB235_26
; %bb.25:
	s_wait_alu 0xfffe
	s_ashr_i32 s15, s14, 31
	s_mul_i32 s34, s12, ttmp9
	s_lshl_b32 s1, s26, 2
	s_wait_alu 0xfffe
	s_lshl_b64 s[36:37], s[14:15], 2
	s_ashr_i32 s35, s34, 31
	v_mov_b32_e32 v3, s1
	s_add_nc_u64 s[10:11], s[10:11], s[36:37]
	s_lshl_b64 s[34:35], s[34:35], 2
	s_add_nc_u64 s[8:9], s[8:9], s[36:37]
	s_wait_alu 0xfffe
	s_add_nc_u64 s[10:11], s[10:11], s[34:35]
	s_add_nc_u64 s[8:9], s[8:9], s[34:35]
	s_clause 0x1
	global_store_b32 v3, v1, s[10:11]
	global_store_b32 v3, v2, s[8:9]
.LBB235_26:
	s_or_b32 exec_lo, exec_lo, s0
	v_dual_mov_b32 v28, 0 :: v_dual_mov_b32 v29, 0
	v_dual_mov_b32 v27, 0 :: v_dual_and_b32 v14, 7, v0
	v_dual_mov_b32 v30, 0 :: v_dual_mov_b32 v25, 0
	v_dual_mov_b32 v26, 0 :: v_dual_mov_b32 v23, 0
	;; [unrolled: 1-line block ×6, first 2 shown]
	v_mov_b32_e32 v16, 0
	s_and_saveexec_b32 s1, s2
	s_cbranch_execz .LBB235_62
; %bb.27:
	s_load_b32 s3, s[6:7], 0x0
	v_dual_mov_b32 v16, 0 :: v_dual_lshlrev_b32 v1, 2, v0
	v_dual_mov_b32 v15, 0 :: v_dual_lshlrev_b32 v2, 4, v14
	s_ashr_i32 s23, s22, 31
	s_delay_alu instid0(VALU_DEP_2)
	v_dual_mov_b32 v18, 0 :: v_dual_and_b32 v3, 28, v1
	v_dual_mov_b32 v20, 0 :: v_dual_and_b32 v1, 0x7c, v1
	s_wait_kmcnt 0x0
	s_wait_alu 0xfffe
	s_add_nc_u64 s[8:9], s[24:25], s[22:23]
	s_lshl_b64 s[6:7], s[20:21], 2
	v_lshl_add_u32 v4, v146, 5, s28
	v_lshl_or_b32 v2, v146, 7, v2
	s_wait_alu 0xfffe
	v_add_co_u32 v5, s0, s8, v1
	s_add_nc_u64 s[6:7], s[18:19], s[6:7]
	s_wait_alu 0xf1ff
	v_add_co_ci_u32_e64 v6, null, s9, 0, s0
	v_add_co_u32 v7, s0, s6, v144
	v_add3_u32 v31, v4, v3, 3
	v_dual_mov_b32 v17, 0 :: v_dual_add_nc_u32 v32, 0x120, v2
	s_wait_alu 0xf1ff
	v_add_co_ci_u32_e64 v8, null, s7, 0, s0
	v_dual_mov_b32 v19, 0 :: v_dual_mov_b32 v22, 0
	v_dual_mov_b32 v21, 0 :: v_dual_mov_b32 v24, 0
	v_dual_mov_b32 v23, 0 :: v_dual_mov_b32 v26, 0
	v_dual_mov_b32 v25, 0 :: v_dual_mov_b32 v30, 0
	v_dual_mov_b32 v27, 0 :: v_dual_mov_b32 v28, 0
	v_mov_b32_e32 v29, 0
	s_mov_b32 s2, s13
	s_mov_b32 s6, s3
	s_add_co_i32 s30, s30, -1
	s_mov_b32 s7, 0
	s_branch .LBB235_29
.LBB235_28:                             ;   in Loop: Header=BB235_29 Depth=1
	s_wait_alu 0xfffe
	s_or_b32 exec_lo, exec_lo, s0
	s_wait_dscnt 0x0
	v_mul_f32_e32 v50, v1, v96
	v_mul_f32_e32 v49, v1, v100
	;; [unrolled: 1-line block ×3, first 2 shown]
	v_add_co_u32 v7, s0, v7, 16
	s_delay_alu instid0(VALU_DEP_4) | instskip(NEXT) | instid1(VALU_DEP_4)
	v_dual_fmac_f32 v50, v2, v95 :: v_dual_mul_f32 v51, v1, v92
	v_fmac_f32_e32 v49, v2, v99
	s_delay_alu instid0(VALU_DEP_4) | instskip(NEXT) | instid1(VALU_DEP_3)
	v_dual_fmac_f32 v55, v2, v54 :: v_dual_add_nc_u32 v32, 0x200, v32
	v_fmac_f32_e32 v50, v3, v94
	v_mul_f32_e32 v81, v1, v86
	s_delay_alu instid0(VALU_DEP_4) | instskip(NEXT) | instid1(VALU_DEP_4)
	v_fmac_f32_e32 v49, v3, v98
	v_fmac_f32_e32 v55, v3, v53
	s_delay_alu instid0(VALU_DEP_4) | instskip(NEXT) | instid1(VALU_DEP_4)
	v_dual_fmac_f32 v50, v4, v93 :: v_dual_add_nc_u32 v31, 0x80, v31
	v_fmac_f32_e32 v81, v2, v85
	s_delay_alu instid0(VALU_DEP_4) | instskip(SKIP_1) | instid1(VALU_DEP_4)
	v_dual_fmac_f32 v49, v4, v97 :: v_dual_mul_f32 v48, v1, v48
	v_mul_f32_e32 v79, v1, v79
	v_add_f32_e32 v17, v17, v50
	v_mul_f32_e32 v50, v1, v67
	s_delay_alu instid0(VALU_DEP_4)
	v_dual_mul_f32 v75, v1, v75 :: v_dual_add_f32 v16, v16, v49
	v_fmac_f32_e32 v55, v4, v52
	s_wait_alu 0xf1ff
	v_add_co_ci_u32_e64 v8, null, 0, v8, s0
	v_fmac_f32_e32 v50, v2, v66
	v_fmac_f32_e32 v79, v2, v78
	v_add_f32_e32 v26, v26, v55
	v_mul_f32_e32 v44, v1, v44
	v_add_nc_u32_e32 v150, 4, v150
	v_dual_fmac_f32 v50, v3, v65 :: v_dual_fmac_f32 v75, v2, v74
	s_delay_alu instid0(VALU_DEP_3) | instskip(NEXT) | instid1(VALU_DEP_2)
	v_dual_fmac_f32 v79, v3, v77 :: v_dual_fmac_f32 v44, v2, v43
	v_dual_mul_f32 v49, v1, v71 :: v_dual_fmac_f32 v50, v4, v64
	s_delay_alu instid0(VALU_DEP_3) | instskip(NEXT) | instid1(VALU_DEP_3)
	v_fmac_f32_e32 v75, v3, v73
	v_dual_fmac_f32 v79, v4, v76 :: v_dual_fmac_f32 v44, v3, v42
	s_delay_alu instid0(VALU_DEP_3) | instskip(SKIP_1) | instid1(VALU_DEP_3)
	v_fmac_f32_e32 v49, v2, v70
	v_fmac_f32_e32 v51, v2, v90
	v_dual_add_f32 v23, v23, v50 :: v_dual_add_f32 v20, v20, v79
	s_delay_alu instid0(VALU_DEP_4) | instskip(NEXT) | instid1(VALU_DEP_4)
	v_fmac_f32_e32 v44, v4, v41
	v_dual_fmac_f32 v49, v3, v69 :: v_dual_mul_f32 v40, v1, v40
	v_cmp_le_i32_e32 vcc_lo, s17, v150
	v_dual_fmac_f32 v48, v2, v47 :: v_dual_fmac_f32 v75, v4, v72
	s_delay_alu instid0(VALU_DEP_3) | instskip(NEXT) | instid1(VALU_DEP_4)
	v_fmac_f32_e32 v49, v4, v68
	v_dual_fmac_f32 v51, v3, v88 :: v_dual_fmac_f32 v40, v2, v39
	v_add_f32_e32 v29, v29, v44
	s_or_b32 s7, vcc_lo, s7
	s_delay_alu instid0(VALU_DEP_2) | instskip(SKIP_3) | instid1(VALU_DEP_4)
	v_dual_add_f32 v22, v22, v49 :: v_dual_fmac_f32 v51, v4, v87
	v_mul_f32_e32 v36, v1, v36
	v_dual_fmac_f32 v48, v3, v46 :: v_dual_add_f32 v21, v21, v75
	v_fmac_f32_e32 v40, v3, v38
	v_add_f32_e32 v18, v18, v51
	s_delay_alu instid0(VALU_DEP_3) | instskip(SKIP_3) | instid1(VALU_DEP_4)
	v_dual_mul_f32 v51, v1, v63 :: v_dual_fmac_f32 v48, v4, v45
	v_fmac_f32_e32 v36, v2, v35
	v_mul_f32_e32 v59, v1, v59
	v_mul_f32_e32 v1, v1, v91
	v_dual_fmac_f32 v51, v2, v62 :: v_dual_fmac_f32 v40, v4, v37
	s_delay_alu instid0(VALU_DEP_4) | instskip(SKIP_1) | instid1(VALU_DEP_4)
	v_fmac_f32_e32 v36, v3, v34
	v_add_f32_e32 v27, v27, v48
	v_fmac_f32_e32 v1, v2, v89
	s_delay_alu instid0(VALU_DEP_4) | instskip(NEXT) | instid1(VALU_DEP_4)
	v_dual_fmac_f32 v51, v3, v61 :: v_dual_add_f32 v30, v30, v40
	v_dual_fmac_f32 v36, v4, v33 :: v_dual_fmac_f32 v59, v2, v58
	s_delay_alu instid0(VALU_DEP_3) | instskip(NEXT) | instid1(VALU_DEP_3)
	v_fmac_f32_e32 v1, v3, v10
	v_fmac_f32_e32 v51, v4, v60
	;; [unrolled: 1-line block ×3, first 2 shown]
	s_delay_alu instid0(VALU_DEP_4) | instskip(NEXT) | instid1(VALU_DEP_4)
	v_dual_add_f32 v28, v28, v36 :: v_dual_fmac_f32 v59, v3, v57
	v_fmac_f32_e32 v1, v4, v9
	s_delay_alu instid0(VALU_DEP_4) | instskip(NEXT) | instid1(VALU_DEP_4)
	v_add_f32_e32 v24, v24, v51
	v_fmac_f32_e32 v81, v4, v80
	s_delay_alu instid0(VALU_DEP_4) | instskip(NEXT) | instid1(VALU_DEP_4)
	v_fmac_f32_e32 v59, v4, v56
	v_add_f32_e32 v15, v15, v1
	s_delay_alu instid0(VALU_DEP_3) | instskip(NEXT) | instid1(VALU_DEP_3)
	v_add_f32_e32 v19, v19, v81
	v_add_f32_e32 v25, v25, v59
	s_wait_alu 0xfffe
	s_and_not1_b32 exec_lo, exec_lo, s7
	s_cbranch_execz .LBB235_61
.LBB235_29:                             ; =>This Inner Loop Header: Depth=1
	global_load_b32 v1, v[7:8], off
	s_wait_alu 0xfffe
	v_cmp_eq_u32_e32 vcc_lo, s30, v150
	v_add_nc_u32_e32 v51, -1, v31
	s_wait_loadcnt 0x0
	v_mad_co_i64_i32 v[9:10], null, v1, s2, v[5:6]
	ds_load_b128 v[1:4], v32
	global_load_b32 v33, v[9:10], off
	s_wait_loadcnt 0x0
	v_lshrrev_b32_e32 v35, 16, v33
	s_delay_alu instid0(VALU_DEP_1) | instskip(SKIP_1) | instid1(VALU_DEP_1)
	v_cvt_pk_f32_fp8_e32 v[37:38], v35
	v_and_b32_e32 v34, 0xffff, v33
	v_cvt_pk_f32_fp8_e32 v[33:34], v34
	v_add_nc_u32_e32 v49, -3, v31
	s_delay_alu instid0(VALU_DEP_2) | instskip(NEXT) | instid1(VALU_DEP_3)
	v_dual_mul_f32 v35, s6, v34 :: v_dual_add_nc_u32 v50, -2, v31
	v_mul_f32_e32 v36, s3, v33
	v_dual_mul_f32 v34, s3, v37 :: v_dual_mul_f32 v33, s6, v38
	s_and_saveexec_b32 s8, vcc_lo
	s_cbranch_execz .LBB235_31
; %bb.30:                               ;   in Loop: Header=BB235_29 Depth=1
	v_cmp_gt_i32_e64 s0, s27, v49
	s_wait_alu 0xf1ff
	s_delay_alu instid0(VALU_DEP_1) | instskip(SKIP_2) | instid1(VALU_DEP_1)
	v_cndmask_b32_e64 v36, 0, v36, s0
	v_cmp_gt_i32_e64 s0, s27, v50
	s_wait_alu 0xf1ff
	v_cndmask_b32_e64 v35, 0, v35, s0
	v_cmp_gt_i32_e64 s0, s27, v51
	s_wait_alu 0xf1ff
	s_delay_alu instid0(VALU_DEP_1) | instskip(SKIP_2) | instid1(VALU_DEP_1)
	v_cndmask_b32_e64 v34, 0, v34, s0
	v_cmp_gt_i32_e64 s0, s27, v31
	s_wait_alu 0xf1ff
	v_cndmask_b32_e64 v33, 0, v33, s0
.LBB235_31:                             ;   in Loop: Header=BB235_29 Depth=1
	s_wait_alu 0xfffe
	s_or_b32 exec_lo, exec_lo, s8
	global_load_b32 v37, v[9:10], off offset:128
	s_wait_loadcnt 0x0
	v_lshrrev_b32_e32 v39, 16, v37
	s_delay_alu instid0(VALU_DEP_1) | instskip(SKIP_1) | instid1(VALU_DEP_1)
	v_cvt_pk_f32_fp8_e32 v[41:42], v39
	v_and_b32_e32 v38, 0xffff, v37
	v_cvt_pk_f32_fp8_e32 v[37:38], v38
	s_delay_alu instid0(VALU_DEP_1) | instskip(NEXT) | instid1(VALU_DEP_4)
	v_dual_mul_f32 v40, s3, v37 :: v_dual_mul_f32 v39, s6, v38
	v_dual_mul_f32 v38, s3, v41 :: v_dual_mul_f32 v37, s6, v42
	s_and_saveexec_b32 s8, vcc_lo
	s_cbranch_execz .LBB235_33
; %bb.32:                               ;   in Loop: Header=BB235_29 Depth=1
	v_cmp_gt_i32_e64 s0, s27, v49
	s_wait_alu 0xf1ff
	s_delay_alu instid0(VALU_DEP_1) | instskip(SKIP_2) | instid1(VALU_DEP_1)
	v_cndmask_b32_e64 v40, 0, v40, s0
	v_cmp_gt_i32_e64 s0, s27, v50
	s_wait_alu 0xf1ff
	v_cndmask_b32_e64 v39, 0, v39, s0
	v_cmp_gt_i32_e64 s0, s27, v51
	s_wait_alu 0xf1ff
	s_delay_alu instid0(VALU_DEP_1) | instskip(SKIP_2) | instid1(VALU_DEP_1)
	v_cndmask_b32_e64 v38, 0, v38, s0
	v_cmp_gt_i32_e64 s0, s27, v31
	s_wait_alu 0xf1ff
	v_cndmask_b32_e64 v37, 0, v37, s0
.LBB235_33:                             ;   in Loop: Header=BB235_29 Depth=1
	s_wait_alu 0xfffe
	s_or_b32 exec_lo, exec_lo, s8
	global_load_b32 v41, v[9:10], off offset:256
	s_wait_loadcnt 0x0
	v_lshrrev_b32_e32 v43, 16, v41
	s_delay_alu instid0(VALU_DEP_1) | instskip(SKIP_1) | instid1(VALU_DEP_1)
	v_cvt_pk_f32_fp8_e32 v[45:46], v43
	v_and_b32_e32 v42, 0xffff, v41
	v_cvt_pk_f32_fp8_e32 v[41:42], v42
	s_delay_alu instid0(VALU_DEP_1) | instskip(NEXT) | instid1(VALU_DEP_4)
	v_dual_mul_f32 v44, s3, v41 :: v_dual_mul_f32 v43, s6, v42
	v_dual_mul_f32 v42, s3, v45 :: v_dual_mul_f32 v41, s6, v46
	s_and_saveexec_b32 s8, vcc_lo
	s_cbranch_execz .LBB235_35
; %bb.34:                               ;   in Loop: Header=BB235_29 Depth=1
	v_cmp_gt_i32_e64 s0, s27, v49
	s_wait_alu 0xf1ff
	s_delay_alu instid0(VALU_DEP_1) | instskip(SKIP_2) | instid1(VALU_DEP_1)
	v_cndmask_b32_e64 v44, 0, v44, s0
	v_cmp_gt_i32_e64 s0, s27, v50
	s_wait_alu 0xf1ff
	v_cndmask_b32_e64 v43, 0, v43, s0
	v_cmp_gt_i32_e64 s0, s27, v51
	s_wait_alu 0xf1ff
	s_delay_alu instid0(VALU_DEP_1) | instskip(SKIP_2) | instid1(VALU_DEP_1)
	v_cndmask_b32_e64 v42, 0, v42, s0
	v_cmp_gt_i32_e64 s0, s27, v31
	s_wait_alu 0xf1ff
	v_cndmask_b32_e64 v41, 0, v41, s0
.LBB235_35:                             ;   in Loop: Header=BB235_29 Depth=1
	s_wait_alu 0xfffe
	s_or_b32 exec_lo, exec_lo, s8
	global_load_b32 v45, v[9:10], off offset:384
	s_wait_loadcnt 0x0
	v_and_b32_e32 v46, 0xffff, v45
	v_lshrrev_b32_e32 v47, 16, v45
	s_delay_alu instid0(VALU_DEP_2) | instskip(NEXT) | instid1(VALU_DEP_2)
	v_cvt_pk_f32_fp8_e32 v[45:46], v46
	v_cvt_pk_f32_fp8_e32 v[52:53], v47
	s_delay_alu instid0(VALU_DEP_2) | instskip(NEXT) | instid1(VALU_DEP_2)
	v_dual_mul_f32 v48, s3, v45 :: v_dual_mul_f32 v47, s6, v46
	v_dual_mul_f32 v46, s3, v52 :: v_dual_mul_f32 v45, s6, v53
	s_and_saveexec_b32 s8, vcc_lo
	s_cbranch_execz .LBB235_37
; %bb.36:                               ;   in Loop: Header=BB235_29 Depth=1
	v_cmp_gt_i32_e64 s0, s27, v49
	s_wait_alu 0xf1ff
	s_delay_alu instid0(VALU_DEP_1) | instskip(SKIP_2) | instid1(VALU_DEP_1)
	v_cndmask_b32_e64 v48, 0, v48, s0
	v_cmp_gt_i32_e64 s0, s27, v50
	s_wait_alu 0xf1ff
	v_cndmask_b32_e64 v47, 0, v47, s0
	v_cmp_gt_i32_e64 s0, s27, v51
	s_wait_alu 0xf1ff
	s_delay_alu instid0(VALU_DEP_1) | instskip(SKIP_2) | instid1(VALU_DEP_1)
	v_cndmask_b32_e64 v46, 0, v46, s0
	v_cmp_gt_i32_e64 s0, s27, v31
	s_wait_alu 0xf1ff
	v_cndmask_b32_e64 v45, 0, v45, s0
.LBB235_37:                             ;   in Loop: Header=BB235_29 Depth=1
	s_wait_alu 0xfffe
	s_or_b32 exec_lo, exec_lo, s8
	global_load_b32 v52, v[9:10], off offset:512
	s_wait_loadcnt 0x0
	v_lshrrev_b32_e32 v54, 16, v52
	s_delay_alu instid0(VALU_DEP_1) | instskip(SKIP_1) | instid1(VALU_DEP_1)
	v_cvt_pk_f32_fp8_e32 v[56:57], v54
	v_and_b32_e32 v53, 0xffff, v52
	v_cvt_pk_f32_fp8_e32 v[52:53], v53
	s_delay_alu instid0(VALU_DEP_1) | instskip(NEXT) | instid1(VALU_DEP_4)
	v_dual_mul_f32 v55, s3, v52 :: v_dual_mul_f32 v54, s6, v53
	v_dual_mul_f32 v53, s3, v56 :: v_dual_mul_f32 v52, s6, v57
	s_and_saveexec_b32 s8, vcc_lo
	s_cbranch_execz .LBB235_39
; %bb.38:                               ;   in Loop: Header=BB235_29 Depth=1
	v_cmp_gt_i32_e64 s0, s27, v49
	s_wait_alu 0xf1ff
	s_delay_alu instid0(VALU_DEP_1) | instskip(SKIP_2) | instid1(VALU_DEP_1)
	v_cndmask_b32_e64 v55, 0, v55, s0
	v_cmp_gt_i32_e64 s0, s27, v50
	s_wait_alu 0xf1ff
	v_cndmask_b32_e64 v54, 0, v54, s0
	v_cmp_gt_i32_e64 s0, s27, v51
	s_wait_alu 0xf1ff
	s_delay_alu instid0(VALU_DEP_1) | instskip(SKIP_2) | instid1(VALU_DEP_1)
	v_cndmask_b32_e64 v53, 0, v53, s0
	v_cmp_gt_i32_e64 s0, s27, v31
	s_wait_alu 0xf1ff
	v_cndmask_b32_e64 v52, 0, v52, s0
.LBB235_39:                             ;   in Loop: Header=BB235_29 Depth=1
	s_wait_alu 0xfffe
	s_or_b32 exec_lo, exec_lo, s8
	global_load_b32 v56, v[9:10], off offset:640
	s_wait_loadcnt 0x0
	v_lshrrev_b32_e32 v58, 16, v56
	s_delay_alu instid0(VALU_DEP_1) | instskip(SKIP_1) | instid1(VALU_DEP_1)
	v_cvt_pk_f32_fp8_e32 v[60:61], v58
	v_and_b32_e32 v57, 0xffff, v56
	v_cvt_pk_f32_fp8_e32 v[56:57], v57
	s_delay_alu instid0(VALU_DEP_1) | instskip(NEXT) | instid1(VALU_DEP_4)
	;; [unrolled: 30-line block ×7, first 2 shown]
	v_dual_mul_f32 v79, s3, v76 :: v_dual_mul_f32 v78, s6, v77
	v_dual_mul_f32 v77, s3, v84 :: v_dual_mul_f32 v76, s6, v85
	s_and_saveexec_b32 s8, vcc_lo
	s_cbranch_execz .LBB235_51
; %bb.50:                               ;   in Loop: Header=BB235_29 Depth=1
	v_cmp_gt_i32_e64 s0, s27, v49
	s_wait_alu 0xf1ff
	s_delay_alu instid0(VALU_DEP_1) | instskip(SKIP_2) | instid1(VALU_DEP_1)
	v_cndmask_b32_e64 v79, 0, v79, s0
	v_cmp_gt_i32_e64 s0, s27, v50
	s_wait_alu 0xf1ff
	v_cndmask_b32_e64 v78, 0, v78, s0
	v_cmp_gt_i32_e64 s0, s27, v51
	s_wait_alu 0xf1ff
	s_delay_alu instid0(VALU_DEP_1) | instskip(SKIP_2) | instid1(VALU_DEP_1)
	v_cndmask_b32_e64 v77, 0, v77, s0
	v_cmp_gt_i32_e64 s0, s27, v31
	s_wait_alu 0xf1ff
	v_cndmask_b32_e64 v76, 0, v76, s0
.LBB235_51:                             ;   in Loop: Header=BB235_29 Depth=1
	s_wait_alu 0xfffe
	s_or_b32 exec_lo, exec_lo, s8
	global_load_b32 v80, v[9:10], off offset:1408
	s_wait_loadcnt 0x0
	v_and_b32_e32 v81, 0xffff, v80
	v_lshrrev_b32_e32 v80, 16, v80
	s_delay_alu instid0(VALU_DEP_2) | instskip(NEXT) | instid1(VALU_DEP_2)
	v_cvt_pk_f32_fp8_e32 v[84:85], v81
	v_cvt_pk_f32_fp8_e32 v[87:88], v80
	s_delay_alu instid0(VALU_DEP_2) | instskip(NEXT) | instid1(VALU_DEP_2)
	v_dual_mul_f32 v86, s3, v84 :: v_dual_mul_f32 v85, s6, v85
	v_mul_f32_e32 v84, s3, v87
	s_delay_alu instid0(VALU_DEP_3)
	v_mul_f32_e32 v80, s6, v88
	s_and_saveexec_b32 s8, vcc_lo
	s_cbranch_execz .LBB235_53
; %bb.52:                               ;   in Loop: Header=BB235_29 Depth=1
	v_cmp_gt_i32_e64 s0, s27, v49
	s_wait_alu 0xf1ff
	s_delay_alu instid0(VALU_DEP_1) | instskip(SKIP_2) | instid1(VALU_DEP_1)
	v_cndmask_b32_e64 v86, 0, v86, s0
	v_cmp_gt_i32_e64 s0, s27, v50
	s_wait_alu 0xf1ff
	v_cndmask_b32_e64 v85, 0, v85, s0
	v_cmp_gt_i32_e64 s0, s27, v51
	s_wait_alu 0xf1ff
	s_delay_alu instid0(VALU_DEP_1) | instskip(SKIP_2) | instid1(VALU_DEP_1)
	v_cndmask_b32_e64 v84, 0, v84, s0
	v_cmp_gt_i32_e64 s0, s27, v31
	s_wait_alu 0xf1ff
	v_cndmask_b32_e64 v80, 0, v80, s0
.LBB235_53:                             ;   in Loop: Header=BB235_29 Depth=1
	s_wait_alu 0xfffe
	s_or_b32 exec_lo, exec_lo, s8
	global_load_b32 v81, v[9:10], off offset:1536
	s_wait_loadcnt 0x0
	v_and_b32_e32 v82, 0xffff, v81
	v_lshrrev_b32_e32 v81, 16, v81
	s_delay_alu instid0(VALU_DEP_2) | instskip(NEXT) | instid1(VALU_DEP_2)
	v_cvt_pk_f32_fp8_e32 v[87:88], v82
	v_cvt_pk_f32_fp8_e32 v[93:94], v81
	s_delay_alu instid0(VALU_DEP_2) | instskip(NEXT) | instid1(VALU_DEP_3)
	v_mul_f32_e32 v92, s3, v87
	v_mul_f32_e32 v90, s6, v88
	s_delay_alu instid0(VALU_DEP_3)
	v_dual_mul_f32 v88, s3, v93 :: v_dual_mul_f32 v87, s6, v94
	s_and_saveexec_b32 s8, vcc_lo
	s_cbranch_execz .LBB235_55
; %bb.54:                               ;   in Loop: Header=BB235_29 Depth=1
	v_cmp_gt_i32_e64 s0, s27, v49
	s_wait_alu 0xf1ff
	s_delay_alu instid0(VALU_DEP_1) | instskip(SKIP_2) | instid1(VALU_DEP_1)
	v_cndmask_b32_e64 v92, 0, v92, s0
	v_cmp_gt_i32_e64 s0, s27, v50
	s_wait_alu 0xf1ff
	v_cndmask_b32_e64 v90, 0, v90, s0
	v_cmp_gt_i32_e64 s0, s27, v51
	s_wait_alu 0xf1ff
	s_delay_alu instid0(VALU_DEP_1) | instskip(SKIP_2) | instid1(VALU_DEP_1)
	v_cndmask_b32_e64 v88, 0, v88, s0
	v_cmp_gt_i32_e64 s0, s27, v31
	s_wait_alu 0xf1ff
	v_cndmask_b32_e64 v87, 0, v87, s0
.LBB235_55:                             ;   in Loop: Header=BB235_29 Depth=1
	s_wait_alu 0xfffe
	s_or_b32 exec_lo, exec_lo, s8
	global_load_b32 v81, v[9:10], off offset:1664
	s_wait_loadcnt 0x0
	v_and_b32_e32 v82, 0xffff, v81
	v_lshrrev_b32_e32 v81, 16, v81
	s_delay_alu instid0(VALU_DEP_2) | instskip(NEXT) | instid1(VALU_DEP_2)
	v_cvt_pk_f32_fp8_e32 v[93:94], v82
	v_cvt_pk_f32_fp8_e32 v[97:98], v81
	s_delay_alu instid0(VALU_DEP_1) | instskip(NEXT) | instid1(VALU_DEP_2)
	v_dual_mul_f32 v96, s3, v93 :: v_dual_mul_f32 v93, s6, v98
	v_dual_mul_f32 v95, s6, v94 :: v_dual_mul_f32 v94, s3, v97
	s_and_saveexec_b32 s8, vcc_lo
	s_cbranch_execz .LBB235_57
; %bb.56:                               ;   in Loop: Header=BB235_29 Depth=1
	v_cmp_gt_i32_e64 s0, s27, v49
	s_wait_alu 0xf1ff
	s_delay_alu instid0(VALU_DEP_1) | instskip(SKIP_2) | instid1(VALU_DEP_1)
	v_cndmask_b32_e64 v96, 0, v96, s0
	v_cmp_gt_i32_e64 s0, s27, v50
	s_wait_alu 0xf1ff
	v_cndmask_b32_e64 v95, 0, v95, s0
	v_cmp_gt_i32_e64 s0, s27, v51
	s_wait_alu 0xf1ff
	s_delay_alu instid0(VALU_DEP_1) | instskip(SKIP_2) | instid1(VALU_DEP_1)
	v_cndmask_b32_e64 v94, 0, v94, s0
	v_cmp_gt_i32_e64 s0, s27, v31
	s_wait_alu 0xf1ff
	v_cndmask_b32_e64 v93, 0, v93, s0
.LBB235_57:                             ;   in Loop: Header=BB235_29 Depth=1
	s_wait_alu 0xfffe
	s_or_b32 exec_lo, exec_lo, s8
	global_load_b32 v81, v[9:10], off offset:1792
	s_wait_loadcnt 0x0
	v_and_b32_e32 v82, 0xffff, v81
	v_lshrrev_b32_e32 v81, 16, v81
	s_delay_alu instid0(VALU_DEP_2) | instskip(NEXT) | instid1(VALU_DEP_2)
	v_cvt_pk_f32_fp8_e32 v[97:98], v82
	v_cvt_pk_f32_fp8_e32 v[101:102], v81
	s_delay_alu instid0(VALU_DEP_1) | instskip(NEXT) | instid1(VALU_DEP_2)
	v_dual_mul_f32 v100, s3, v97 :: v_dual_mul_f32 v97, s6, v102
	v_dual_mul_f32 v99, s6, v98 :: v_dual_mul_f32 v98, s3, v101
	s_and_saveexec_b32 s8, vcc_lo
	s_cbranch_execz .LBB235_59
; %bb.58:                               ;   in Loop: Header=BB235_29 Depth=1
	v_cmp_gt_i32_e64 s0, s27, v49
	s_wait_alu 0xf1ff
	s_delay_alu instid0(VALU_DEP_1) | instskip(SKIP_2) | instid1(VALU_DEP_1)
	v_cndmask_b32_e64 v100, 0, v100, s0
	v_cmp_gt_i32_e64 s0, s27, v50
	s_wait_alu 0xf1ff
	v_cndmask_b32_e64 v99, 0, v99, s0
	v_cmp_gt_i32_e64 s0, s27, v51
	s_wait_alu 0xf1ff
	s_delay_alu instid0(VALU_DEP_1) | instskip(SKIP_2) | instid1(VALU_DEP_1)
	v_cndmask_b32_e64 v98, 0, v98, s0
	v_cmp_gt_i32_e64 s0, s27, v31
	s_wait_alu 0xf1ff
	v_cndmask_b32_e64 v97, 0, v97, s0
.LBB235_59:                             ;   in Loop: Header=BB235_29 Depth=1
	s_wait_alu 0xfffe
	s_or_b32 exec_lo, exec_lo, s8
	global_load_b32 v9, v[9:10], off offset:1920
	s_wait_loadcnt 0x0
	v_lshrrev_b32_e32 v81, 16, v9
	s_delay_alu instid0(VALU_DEP_1) | instskip(SKIP_1) | instid1(VALU_DEP_1)
	v_cvt_pk_f32_fp8_e32 v[101:102], v81
	v_and_b32_e32 v10, 0xffff, v9
	v_cvt_pk_f32_fp8_e32 v[9:10], v10
	s_delay_alu instid0(VALU_DEP_1) | instskip(NEXT) | instid1(VALU_DEP_2)
	v_mul_f32_e32 v91, s3, v9
	v_dual_mul_f32 v89, s6, v10 :: v_dual_mul_f32 v10, s3, v101
	v_mul_f32_e32 v9, s6, v102
	s_and_saveexec_b32 s0, vcc_lo
	s_cbranch_execz .LBB235_28
; %bb.60:                               ;   in Loop: Header=BB235_29 Depth=1
	v_cmp_gt_i32_e32 vcc_lo, s27, v49
	s_wait_alu 0xfffd
	v_cndmask_b32_e32 v91, 0, v91, vcc_lo
	v_cmp_gt_i32_e32 vcc_lo, s27, v50
	s_wait_alu 0xfffd
	v_cndmask_b32_e32 v89, 0, v89, vcc_lo
	;; [unrolled: 3-line block ×4, first 2 shown]
	s_branch .LBB235_28
.LBB235_61:
	s_or_b32 exec_lo, exec_lo, s7
.LBB235_62:
	s_wait_alu 0xfffe
	s_or_b32 exec_lo, exec_lo, s1
	ds_bpermute_b32 v3, v13, v29
	ds_bpermute_b32 v4, v13, v27
	;; [unrolled: 1-line block ×16, first 2 shown]
	s_mov_b32 s0, exec_lo
	s_wait_storecnt 0x0
	s_wait_loadcnt_dscnt 0x0
	s_barrier_signal -1
	s_barrier_wait -1
	v_dual_add_f32 v3, v29, v3 :: v_dual_add_f32 v4, v27, v4
	v_add_f32_e32 v1, v28, v1
	v_add_f32_e32 v5, v26, v5
	v_dual_add_f32 v7, v24, v7 :: v_dual_add_f32 v8, v23, v8
	ds_bpermute_b32 v23, v12, v4
	v_add_f32_e32 v2, v30, v2
	v_add_f32_e32 v6, v25, v6
	ds_bpermute_b32 v24, v12, v1
	v_dual_add_f32 v9, v22, v9 :: v_dual_add_f32 v10, v21, v10
	ds_bpermute_b32 v21, v12, v5
	v_dual_add_f32 v20, v20, v31 :: v_dual_add_f32 v19, v19, v32
	v_dual_add_f32 v18, v18, v33 :: v_dual_add_f32 v17, v17, v34
	v_add_f32_e32 v16, v16, v35
	ds_bpermute_b32 v31, v12, v20
	ds_bpermute_b32 v32, v12, v19
	;; [unrolled: 1-line block ×7, first 2 shown]
	s_wait_dscnt 0x9
	v_dual_add_f32 v13, v15, v13 :: v_dual_add_f32 v4, v4, v23
	ds_bpermute_b32 v29, v12, v9
	ds_bpermute_b32 v30, v12, v10
	s_wait_dscnt 0xa
	v_add_f32_e32 v1, v1, v24
	ds_bpermute_b32 v24, v12, v18
	ds_bpermute_b32 v15, v12, v17
	s_wait_dscnt 0xb
	v_add_f32_e32 v5, v5, v21
	ds_bpermute_b32 v21, v12, v16
	ds_bpermute_b32 v12, v12, v13
	;; [unrolled: 1-line block ×3, first 2 shown]
	s_wait_dscnt 0x0
	global_inv scope:SCOPE_SE
	v_dual_add_f32 v20, v20, v31 :: v_dual_add_f32 v19, v19, v32
	v_dual_add_f32 v2, v2, v25 :: v_dual_add_f32 v3, v3, v26
	;; [unrolled: 1-line block ×3, first 2 shown]
	v_add_f32_e32 v8, v8, v28
	ds_bpermute_b32 v31, v11, v20
	ds_bpermute_b32 v32, v11, v19
	v_dual_add_f32 v9, v9, v29 :: v_dual_add_f32 v10, v10, v30
	ds_bpermute_b32 v25, v11, v2
	v_dual_add_f32 v18, v18, v24 :: v_dual_add_f32 v15, v17, v15
	;; [unrolled: 2-line block ×3, first 2 shown]
	ds_bpermute_b32 v22, v11, v4
	ds_bpermute_b32 v27, v11, v5
	;; [unrolled: 1-line block ×11, first 2 shown]
	s_wait_dscnt 0xd
	v_dual_add_f32 v11, v20, v31 :: v_dual_add_f32 v12, v19, v32
	v_lshrrev_b32_e32 v19, 3, v147
	s_wait_dscnt 0xc
	v_dual_add_f32 v1, v1, v23 :: v_dual_add_f32 v2, v2, v25
	v_lshlrev_b32_e32 v20, 8, v146
	s_wait_dscnt 0xb
	v_add_f32_e32 v3, v3, v26
	s_wait_dscnt 0x9
	v_dual_add_f32 v4, v4, v22 :: v_dual_add_f32 v5, v5, v27
	s_wait_dscnt 0x7
	v_dual_add_f32 v6, v6, v28 :: v_dual_add_f32 v7, v7, v33
	;; [unrolled: 2-line block ×3, first 2 shown]
	s_wait_dscnt 0x4
	v_add_f32_e32 v10, v10, v24
	s_wait_dscnt 0x3
	v_dual_add_f32 v13, v18, v17 :: v_dual_and_b32 v22, 0x3c7, v0
	s_wait_dscnt 0x1
	v_dual_add_f32 v15, v15, v34 :: v_dual_add_f32 v16, v16, v35
	s_wait_dscnt 0x0
	v_add_f32_e32 v17, v21, v36
	v_lshl_add_u32 v18, v19, 2, 0x120
	v_cmpx_eq_u32_e32 64, v22
	s_cbranch_execz .LBB235_64
; %bb.63:
	s_delay_alu instid0(VALU_DEP_2) | instskip(NEXT) | instid1(VALU_DEP_1)
	v_add_nc_u32_e32 v21, v18, v20
	v_add_nc_u32_e32 v22, 0xfffffe00, v21
	v_add_nc_u32_e32 v23, 0xfffffe10, v21
	v_add_nc_u32_e32 v24, 0xfffffe20, v21
	v_add_nc_u32_e32 v25, 0xfffffe30, v21
	v_add_nc_u32_e32 v26, 0xfffffe40, v21
	v_add_nc_u32_e32 v27, 0xfffffe50, v21
	v_add_nc_u32_e32 v28, 0xfffffe60, v21
	v_add_nc_u32_e32 v29, 0xfffffe70, v21
	ds_store_b32 v22, v1
	ds_store_b32 v23, v2
	;; [unrolled: 1-line block ×8, first 2 shown]
	v_add_nc_u32_e32 v22, 0xfffffe80, v21
	v_add_nc_u32_e32 v23, 0xfffffe90, v21
	;; [unrolled: 1-line block ×8, first 2 shown]
	ds_store_b32 v22, v9
	ds_store_b32 v23, v10
	;; [unrolled: 1-line block ×8, first 2 shown]
.LBB235_64:
	s_wait_alu 0xfffe
	s_or_b32 exec_lo, exec_lo, s0
	v_lshlrev_b32_e32 v19, 2, v19
	v_cmp_eq_u32_e32 vcc_lo, 0, v14
	s_mov_b32 s1, exec_lo
	s_wait_loadcnt_dscnt 0x0
	s_barrier_signal -1
	v_add3_u32 v14, 0x120, v20, v19
	s_barrier_wait -1
	global_inv scope:SCOPE_SE
	v_cmpx_gt_u32_e32 64, v0
	s_cbranch_execz .LBB235_83
; %bb.65:
	s_and_saveexec_b32 s0, vcc_lo
	s_cbranch_execnz .LBB235_107
; %bb.66:
	s_wait_alu 0xfffe
	s_or_b32 exec_lo, exec_lo, s0
	s_and_saveexec_b32 s0, vcc_lo
	s_cbranch_execnz .LBB235_108
.LBB235_67:
	s_wait_alu 0xfffe
	s_or_b32 exec_lo, exec_lo, s0
	s_and_saveexec_b32 s0, vcc_lo
	s_cbranch_execnz .LBB235_109
.LBB235_68:
	s_wait_alu 0xfffe
	s_or_b32 exec_lo, exec_lo, s0
	s_and_saveexec_b32 s0, vcc_lo
	s_cbranch_execnz .LBB235_110
.LBB235_69:
	s_wait_alu 0xfffe
	s_or_b32 exec_lo, exec_lo, s0
	s_and_saveexec_b32 s0, vcc_lo
	s_cbranch_execnz .LBB235_111
.LBB235_70:
	s_wait_alu 0xfffe
	s_or_b32 exec_lo, exec_lo, s0
	s_and_saveexec_b32 s0, vcc_lo
	s_cbranch_execnz .LBB235_112
.LBB235_71:
	s_wait_alu 0xfffe
	s_or_b32 exec_lo, exec_lo, s0
	s_and_saveexec_b32 s0, vcc_lo
	s_cbranch_execnz .LBB235_113
.LBB235_72:
	s_wait_alu 0xfffe
	s_or_b32 exec_lo, exec_lo, s0
	s_and_saveexec_b32 s0, vcc_lo
	s_cbranch_execnz .LBB235_114
.LBB235_73:
	s_wait_alu 0xfffe
	s_or_b32 exec_lo, exec_lo, s0
	s_and_saveexec_b32 s0, vcc_lo
	s_cbranch_execnz .LBB235_115
.LBB235_74:
	s_wait_alu 0xfffe
	s_or_b32 exec_lo, exec_lo, s0
	s_and_saveexec_b32 s0, vcc_lo
	s_cbranch_execnz .LBB235_116
.LBB235_75:
	s_wait_alu 0xfffe
	s_or_b32 exec_lo, exec_lo, s0
	s_and_saveexec_b32 s0, vcc_lo
	s_cbranch_execnz .LBB235_117
.LBB235_76:
	s_wait_alu 0xfffe
	s_or_b32 exec_lo, exec_lo, s0
	s_and_saveexec_b32 s0, vcc_lo
	s_cbranch_execnz .LBB235_118
.LBB235_77:
	s_wait_alu 0xfffe
	s_or_b32 exec_lo, exec_lo, s0
	s_and_saveexec_b32 s0, vcc_lo
	s_cbranch_execnz .LBB235_119
.LBB235_78:
	s_wait_alu 0xfffe
	s_or_b32 exec_lo, exec_lo, s0
	s_and_saveexec_b32 s0, vcc_lo
	s_cbranch_execnz .LBB235_120
.LBB235_79:
	s_wait_alu 0xfffe
	s_or_b32 exec_lo, exec_lo, s0
	s_and_saveexec_b32 s0, vcc_lo
	s_cbranch_execnz .LBB235_121
.LBB235_80:
	s_wait_alu 0xfffe
	s_or_b32 exec_lo, exec_lo, s0
	s_and_saveexec_b32 s0, vcc_lo
	s_cbranch_execz .LBB235_82
.LBB235_81:
	ds_load_b32 v19, v14 offset:240
	s_wait_dscnt 0x0
	v_add_f32_e32 v17, v17, v19
.LBB235_82:
	s_wait_alu 0xfffe
	s_or_b32 exec_lo, exec_lo, s0
.LBB235_83:
	s_wait_alu 0xfffe
	s_or_b32 exec_lo, exec_lo, s1
	v_and_b32_e32 v19, 0x3e7, v0
	s_mov_b32 s1, exec_lo
	s_wait_loadcnt 0x0
	s_barrier_signal -1
	s_barrier_wait -1
	global_inv scope:SCOPE_SE
	v_cmpx_eq_u32_e32 32, v19
	s_cbranch_execz .LBB235_85
; %bb.84:
	ds_store_2addr_b32 v18, v1, v2 offset1:4
	ds_store_2addr_b32 v18, v3, v4 offset0:8 offset1:12
	ds_store_2addr_b32 v18, v5, v6 offset0:16 offset1:20
	;; [unrolled: 1-line block ×7, first 2 shown]
.LBB235_85:
	s_wait_alu 0xfffe
	s_or_b32 exec_lo, exec_lo, s1
	s_delay_alu instid0(SALU_CYCLE_1)
	s_mov_b32 s1, exec_lo
	s_wait_loadcnt_dscnt 0x0
	s_barrier_signal -1
	s_barrier_wait -1
	global_inv scope:SCOPE_SE
	v_cmpx_gt_u32_e32 32, v0
	s_cbranch_execz .LBB235_104
; %bb.86:
	s_and_saveexec_b32 s0, vcc_lo
	s_cbranch_execnz .LBB235_122
; %bb.87:
	s_wait_alu 0xfffe
	s_or_b32 exec_lo, exec_lo, s0
	s_and_saveexec_b32 s0, vcc_lo
	s_cbranch_execnz .LBB235_123
.LBB235_88:
	s_wait_alu 0xfffe
	s_or_b32 exec_lo, exec_lo, s0
	s_and_saveexec_b32 s0, vcc_lo
	s_cbranch_execnz .LBB235_124
.LBB235_89:
	s_wait_alu 0xfffe
	s_or_b32 exec_lo, exec_lo, s0
	s_and_saveexec_b32 s0, vcc_lo
	s_cbranch_execnz .LBB235_125
.LBB235_90:
	s_wait_alu 0xfffe
	s_or_b32 exec_lo, exec_lo, s0
	s_and_saveexec_b32 s0, vcc_lo
	s_cbranch_execnz .LBB235_126
.LBB235_91:
	s_wait_alu 0xfffe
	s_or_b32 exec_lo, exec_lo, s0
	s_and_saveexec_b32 s0, vcc_lo
	s_cbranch_execnz .LBB235_127
.LBB235_92:
	s_wait_alu 0xfffe
	s_or_b32 exec_lo, exec_lo, s0
	s_and_saveexec_b32 s0, vcc_lo
	s_cbranch_execnz .LBB235_128
.LBB235_93:
	s_wait_alu 0xfffe
	s_or_b32 exec_lo, exec_lo, s0
	s_and_saveexec_b32 s0, vcc_lo
	s_cbranch_execnz .LBB235_129
.LBB235_94:
	s_wait_alu 0xfffe
	s_or_b32 exec_lo, exec_lo, s0
	s_and_saveexec_b32 s0, vcc_lo
	s_cbranch_execnz .LBB235_130
.LBB235_95:
	s_wait_alu 0xfffe
	s_or_b32 exec_lo, exec_lo, s0
	s_and_saveexec_b32 s0, vcc_lo
	s_cbranch_execnz .LBB235_131
.LBB235_96:
	s_wait_alu 0xfffe
	s_or_b32 exec_lo, exec_lo, s0
	s_and_saveexec_b32 s0, vcc_lo
	s_cbranch_execnz .LBB235_132
.LBB235_97:
	s_wait_alu 0xfffe
	s_or_b32 exec_lo, exec_lo, s0
	s_and_saveexec_b32 s0, vcc_lo
	s_cbranch_execnz .LBB235_133
.LBB235_98:
	s_wait_alu 0xfffe
	s_or_b32 exec_lo, exec_lo, s0
	s_and_saveexec_b32 s0, vcc_lo
	s_cbranch_execnz .LBB235_134
.LBB235_99:
	s_wait_alu 0xfffe
	s_or_b32 exec_lo, exec_lo, s0
	s_and_saveexec_b32 s0, vcc_lo
	s_cbranch_execnz .LBB235_135
.LBB235_100:
	s_wait_alu 0xfffe
	s_or_b32 exec_lo, exec_lo, s0
	s_and_saveexec_b32 s0, vcc_lo
	s_cbranch_execnz .LBB235_136
.LBB235_101:
	s_wait_alu 0xfffe
	s_or_b32 exec_lo, exec_lo, s0
	s_and_saveexec_b32 s0, vcc_lo
	s_cbranch_execz .LBB235_103
.LBB235_102:
	ds_load_b32 v14, v14 offset:240
	s_wait_dscnt 0x0
	v_add_f32_e32 v17, v17, v14
.LBB235_103:
	s_wait_alu 0xfffe
	s_or_b32 exec_lo, exec_lo, s0
.LBB235_104:
	s_wait_alu 0xfffe
	s_or_b32 exec_lo, exec_lo, s1
	s_mov_b32 s1, 0
	s_wait_loadcnt 0x0
	s_barrier_signal -1
	s_barrier_wait -1
	global_inv scope:SCOPE_SE
	s_mov_b32 s0, exec_lo
	v_cmpx_eq_u32_e32 0, v19
	s_cbranch_execz .LBB235_106
; %bb.105:
	s_lshl_b32 s2, s14, 6
	s_mul_i32 s6, s12, s16
	s_wait_alu 0xfffe
	s_ashr_i32 s3, s2, 31
	s_ashr_i32 s7, s6, 31
	s_wait_alu 0xfffe
	s_lshl_b64 s[2:3], s[2:3], 2
	s_lshl_b64 s[6:7], s[6:7], 2
	s_wait_kmcnt 0x0
	s_wait_alu 0xfffe
	s_add_nc_u64 s[2:3], s[4:5], s[2:3]
	v_lshrrev_b32_e32 v0, 1, v0
	s_lshl_b32 s0, s26, 8
	s_wait_alu 0xfffe
	s_add_nc_u64 s[2:3], s[2:3], s[6:7]
	s_wait_alu 0xfffe
	s_add_nc_u64 s[0:1], s[2:3], s[0:1]
	s_clause 0xf
	global_store_b32 v0, v1, s[0:1]
	global_store_b32 v0, v2, s[0:1] offset:16
	global_store_b32 v0, v3, s[0:1] offset:32
	;; [unrolled: 1-line block ×15, first 2 shown]
.LBB235_106:
	s_nop 0
	s_sendmsg sendmsg(MSG_DEALLOC_VGPRS)
	s_endpgm
.LBB235_107:
	ds_load_b32 v19, v14
	s_wait_dscnt 0x0
	v_add_f32_e32 v1, v1, v19
	s_wait_alu 0xfffe
	s_or_b32 exec_lo, exec_lo, s0
	s_and_saveexec_b32 s0, vcc_lo
	s_cbranch_execz .LBB235_67
.LBB235_108:
	ds_load_b32 v19, v14 offset:16
	s_wait_dscnt 0x0
	v_add_f32_e32 v2, v2, v19
	s_wait_alu 0xfffe
	s_or_b32 exec_lo, exec_lo, s0
	s_and_saveexec_b32 s0, vcc_lo
	s_cbranch_execz .LBB235_68
.LBB235_109:
	ds_load_b32 v19, v14 offset:32
	s_wait_dscnt 0x0
	v_add_f32_e32 v3, v3, v19
	s_wait_alu 0xfffe
	s_or_b32 exec_lo, exec_lo, s0
	s_and_saveexec_b32 s0, vcc_lo
	s_cbranch_execz .LBB235_69
.LBB235_110:
	ds_load_b32 v19, v14 offset:48
	s_wait_dscnt 0x0
	v_add_f32_e32 v4, v4, v19
	s_wait_alu 0xfffe
	s_or_b32 exec_lo, exec_lo, s0
	s_and_saveexec_b32 s0, vcc_lo
	s_cbranch_execz .LBB235_70
.LBB235_111:
	ds_load_b32 v19, v14 offset:64
	s_wait_dscnt 0x0
	v_add_f32_e32 v5, v5, v19
	s_wait_alu 0xfffe
	s_or_b32 exec_lo, exec_lo, s0
	s_and_saveexec_b32 s0, vcc_lo
	s_cbranch_execz .LBB235_71
.LBB235_112:
	ds_load_b32 v19, v14 offset:80
	s_wait_dscnt 0x0
	v_add_f32_e32 v6, v6, v19
	s_wait_alu 0xfffe
	s_or_b32 exec_lo, exec_lo, s0
	s_and_saveexec_b32 s0, vcc_lo
	s_cbranch_execz .LBB235_72
.LBB235_113:
	ds_load_b32 v19, v14 offset:96
	s_wait_dscnt 0x0
	v_add_f32_e32 v7, v7, v19
	s_wait_alu 0xfffe
	s_or_b32 exec_lo, exec_lo, s0
	s_and_saveexec_b32 s0, vcc_lo
	s_cbranch_execz .LBB235_73
.LBB235_114:
	ds_load_b32 v19, v14 offset:112
	s_wait_dscnt 0x0
	v_add_f32_e32 v8, v8, v19
	s_wait_alu 0xfffe
	s_or_b32 exec_lo, exec_lo, s0
	s_and_saveexec_b32 s0, vcc_lo
	s_cbranch_execz .LBB235_74
.LBB235_115:
	ds_load_b32 v19, v14 offset:128
	s_wait_dscnt 0x0
	v_add_f32_e32 v9, v9, v19
	s_wait_alu 0xfffe
	s_or_b32 exec_lo, exec_lo, s0
	s_and_saveexec_b32 s0, vcc_lo
	s_cbranch_execz .LBB235_75
.LBB235_116:
	ds_load_b32 v19, v14 offset:144
	s_wait_dscnt 0x0
	v_add_f32_e32 v10, v10, v19
	s_wait_alu 0xfffe
	s_or_b32 exec_lo, exec_lo, s0
	s_and_saveexec_b32 s0, vcc_lo
	s_cbranch_execz .LBB235_76
.LBB235_117:
	ds_load_b32 v19, v14 offset:160
	s_wait_dscnt 0x0
	v_add_f32_e32 v11, v11, v19
	s_wait_alu 0xfffe
	s_or_b32 exec_lo, exec_lo, s0
	s_and_saveexec_b32 s0, vcc_lo
	s_cbranch_execz .LBB235_77
.LBB235_118:
	ds_load_b32 v19, v14 offset:176
	s_wait_dscnt 0x0
	v_add_f32_e32 v12, v12, v19
	s_wait_alu 0xfffe
	s_or_b32 exec_lo, exec_lo, s0
	s_and_saveexec_b32 s0, vcc_lo
	s_cbranch_execz .LBB235_78
.LBB235_119:
	ds_load_b32 v19, v14 offset:192
	s_wait_dscnt 0x0
	v_add_f32_e32 v13, v13, v19
	s_wait_alu 0xfffe
	s_or_b32 exec_lo, exec_lo, s0
	s_and_saveexec_b32 s0, vcc_lo
	s_cbranch_execz .LBB235_79
.LBB235_120:
	ds_load_b32 v19, v14 offset:208
	s_wait_dscnt 0x0
	v_add_f32_e32 v15, v15, v19
	s_wait_alu 0xfffe
	s_or_b32 exec_lo, exec_lo, s0
	s_and_saveexec_b32 s0, vcc_lo
	s_cbranch_execz .LBB235_80
.LBB235_121:
	ds_load_b32 v19, v14 offset:224
	s_wait_dscnt 0x0
	v_add_f32_e32 v16, v16, v19
	s_wait_alu 0xfffe
	s_or_b32 exec_lo, exec_lo, s0
	s_and_saveexec_b32 s0, vcc_lo
	s_cbranch_execnz .LBB235_81
	s_branch .LBB235_82
.LBB235_122:
	ds_load_b32 v18, v14
	s_wait_dscnt 0x0
	v_add_f32_e32 v1, v1, v18
	s_wait_alu 0xfffe
	s_or_b32 exec_lo, exec_lo, s0
	s_and_saveexec_b32 s0, vcc_lo
	s_cbranch_execz .LBB235_88
.LBB235_123:
	ds_load_b32 v18, v14 offset:16
	s_wait_dscnt 0x0
	v_add_f32_e32 v2, v2, v18
	s_wait_alu 0xfffe
	s_or_b32 exec_lo, exec_lo, s0
	s_and_saveexec_b32 s0, vcc_lo
	s_cbranch_execz .LBB235_89
.LBB235_124:
	ds_load_b32 v18, v14 offset:32
	s_wait_dscnt 0x0
	v_add_f32_e32 v3, v3, v18
	s_wait_alu 0xfffe
	s_or_b32 exec_lo, exec_lo, s0
	s_and_saveexec_b32 s0, vcc_lo
	s_cbranch_execz .LBB235_90
.LBB235_125:
	ds_load_b32 v18, v14 offset:48
	s_wait_dscnt 0x0
	v_add_f32_e32 v4, v4, v18
	s_wait_alu 0xfffe
	s_or_b32 exec_lo, exec_lo, s0
	s_and_saveexec_b32 s0, vcc_lo
	s_cbranch_execz .LBB235_91
.LBB235_126:
	ds_load_b32 v18, v14 offset:64
	s_wait_dscnt 0x0
	v_add_f32_e32 v5, v5, v18
	s_wait_alu 0xfffe
	s_or_b32 exec_lo, exec_lo, s0
	s_and_saveexec_b32 s0, vcc_lo
	s_cbranch_execz .LBB235_92
.LBB235_127:
	ds_load_b32 v18, v14 offset:80
	s_wait_dscnt 0x0
	v_add_f32_e32 v6, v6, v18
	s_wait_alu 0xfffe
	s_or_b32 exec_lo, exec_lo, s0
	s_and_saveexec_b32 s0, vcc_lo
	s_cbranch_execz .LBB235_93
.LBB235_128:
	ds_load_b32 v18, v14 offset:96
	s_wait_dscnt 0x0
	v_add_f32_e32 v7, v7, v18
	s_wait_alu 0xfffe
	s_or_b32 exec_lo, exec_lo, s0
	s_and_saveexec_b32 s0, vcc_lo
	s_cbranch_execz .LBB235_94
.LBB235_129:
	ds_load_b32 v18, v14 offset:112
	s_wait_dscnt 0x0
	v_add_f32_e32 v8, v8, v18
	s_wait_alu 0xfffe
	s_or_b32 exec_lo, exec_lo, s0
	s_and_saveexec_b32 s0, vcc_lo
	s_cbranch_execz .LBB235_95
.LBB235_130:
	ds_load_b32 v18, v14 offset:128
	s_wait_dscnt 0x0
	v_add_f32_e32 v9, v9, v18
	s_wait_alu 0xfffe
	s_or_b32 exec_lo, exec_lo, s0
	s_and_saveexec_b32 s0, vcc_lo
	s_cbranch_execz .LBB235_96
.LBB235_131:
	ds_load_b32 v18, v14 offset:144
	s_wait_dscnt 0x0
	v_add_f32_e32 v10, v10, v18
	s_wait_alu 0xfffe
	s_or_b32 exec_lo, exec_lo, s0
	s_and_saveexec_b32 s0, vcc_lo
	s_cbranch_execz .LBB235_97
.LBB235_132:
	ds_load_b32 v18, v14 offset:160
	s_wait_dscnt 0x0
	v_add_f32_e32 v11, v11, v18
	s_wait_alu 0xfffe
	s_or_b32 exec_lo, exec_lo, s0
	s_and_saveexec_b32 s0, vcc_lo
	s_cbranch_execz .LBB235_98
.LBB235_133:
	ds_load_b32 v18, v14 offset:176
	s_wait_dscnt 0x0
	v_add_f32_e32 v12, v12, v18
	s_wait_alu 0xfffe
	s_or_b32 exec_lo, exec_lo, s0
	s_and_saveexec_b32 s0, vcc_lo
	s_cbranch_execz .LBB235_99
.LBB235_134:
	ds_load_b32 v18, v14 offset:192
	s_wait_dscnt 0x0
	v_add_f32_e32 v13, v13, v18
	s_wait_alu 0xfffe
	s_or_b32 exec_lo, exec_lo, s0
	s_and_saveexec_b32 s0, vcc_lo
	s_cbranch_execz .LBB235_100
.LBB235_135:
	ds_load_b32 v18, v14 offset:208
	s_wait_dscnt 0x0
	v_add_f32_e32 v15, v15, v18
	s_wait_alu 0xfffe
	s_or_b32 exec_lo, exec_lo, s0
	s_and_saveexec_b32 s0, vcc_lo
	s_cbranch_execz .LBB235_101
.LBB235_136:
	ds_load_b32 v18, v14 offset:224
	s_wait_dscnt 0x0
	v_add_f32_e32 v16, v16, v18
	s_wait_alu 0xfffe
	s_or_b32 exec_lo, exec_lo, s0
	s_and_saveexec_b32 s0, vcc_lo
	s_cbranch_execnz .LBB235_102
	s_branch .LBB235_103
	.section	.rodata,"a",@progbits
	.p2align	6, 0x0
	.amdhsa_kernel _ZN4vllm25paged_attention_v2_kernelIfhLi64ELi32ELi128ELNS_18Fp8KVCacheDataTypeE1ELb0ELi512EEEvPfS2_PT_PKS3_PKT0_S9_ifPKiSB_iPKfiiiSD_SD_iiiii
		.amdhsa_group_segment_fixed_size 288
		.amdhsa_private_segment_fixed_size 0
		.amdhsa_kernarg_size 400
		.amdhsa_user_sgpr_count 2
		.amdhsa_user_sgpr_dispatch_ptr 0
		.amdhsa_user_sgpr_queue_ptr 0
		.amdhsa_user_sgpr_kernarg_segment_ptr 1
		.amdhsa_user_sgpr_dispatch_id 0
		.amdhsa_user_sgpr_private_segment_size 0
		.amdhsa_wavefront_size32 1
		.amdhsa_uses_dynamic_stack 0
		.amdhsa_enable_private_segment 0
		.amdhsa_system_sgpr_workgroup_id_x 1
		.amdhsa_system_sgpr_workgroup_id_y 1
		.amdhsa_system_sgpr_workgroup_id_z 1
		.amdhsa_system_sgpr_workgroup_info 0
		.amdhsa_system_vgpr_workitem_id 0
		.amdhsa_next_free_vgpr 151
		.amdhsa_next_free_sgpr 38
		.amdhsa_reserve_vcc 1
		.amdhsa_float_round_mode_32 0
		.amdhsa_float_round_mode_16_64 0
		.amdhsa_float_denorm_mode_32 3
		.amdhsa_float_denorm_mode_16_64 3
		.amdhsa_fp16_overflow 0
		.amdhsa_workgroup_processor_mode 1
		.amdhsa_memory_ordered 1
		.amdhsa_forward_progress 1
		.amdhsa_inst_pref_size 77
		.amdhsa_round_robin_scheduling 0
		.amdhsa_exception_fp_ieee_invalid_op 0
		.amdhsa_exception_fp_denorm_src 0
		.amdhsa_exception_fp_ieee_div_zero 0
		.amdhsa_exception_fp_ieee_overflow 0
		.amdhsa_exception_fp_ieee_underflow 0
		.amdhsa_exception_fp_ieee_inexact 0
		.amdhsa_exception_int_div_zero 0
	.end_amdhsa_kernel
	.section	.text._ZN4vllm25paged_attention_v2_kernelIfhLi64ELi32ELi128ELNS_18Fp8KVCacheDataTypeE1ELb0ELi512EEEvPfS2_PT_PKS3_PKT0_S9_ifPKiSB_iPKfiiiSD_SD_iiiii,"axG",@progbits,_ZN4vllm25paged_attention_v2_kernelIfhLi64ELi32ELi128ELNS_18Fp8KVCacheDataTypeE1ELb0ELi512EEEvPfS2_PT_PKS3_PKT0_S9_ifPKiSB_iPKfiiiSD_SD_iiiii,comdat
.Lfunc_end235:
	.size	_ZN4vllm25paged_attention_v2_kernelIfhLi64ELi32ELi128ELNS_18Fp8KVCacheDataTypeE1ELb0ELi512EEEvPfS2_PT_PKS3_PKT0_S9_ifPKiSB_iPKfiiiSD_SD_iiiii, .Lfunc_end235-_ZN4vllm25paged_attention_v2_kernelIfhLi64ELi32ELi128ELNS_18Fp8KVCacheDataTypeE1ELb0ELi512EEEvPfS2_PT_PKS3_PKT0_S9_ifPKiSB_iPKfiiiSD_SD_iiiii
                                        ; -- End function
	.set _ZN4vllm25paged_attention_v2_kernelIfhLi64ELi32ELi128ELNS_18Fp8KVCacheDataTypeE1ELb0ELi512EEEvPfS2_PT_PKS3_PKT0_S9_ifPKiSB_iPKfiiiSD_SD_iiiii.num_vgpr, 151
	.set _ZN4vllm25paged_attention_v2_kernelIfhLi64ELi32ELi128ELNS_18Fp8KVCacheDataTypeE1ELb0ELi512EEEvPfS2_PT_PKS3_PKT0_S9_ifPKiSB_iPKfiiiSD_SD_iiiii.num_agpr, 0
	.set _ZN4vllm25paged_attention_v2_kernelIfhLi64ELi32ELi128ELNS_18Fp8KVCacheDataTypeE1ELb0ELi512EEEvPfS2_PT_PKS3_PKT0_S9_ifPKiSB_iPKfiiiSD_SD_iiiii.numbered_sgpr, 38
	.set _ZN4vllm25paged_attention_v2_kernelIfhLi64ELi32ELi128ELNS_18Fp8KVCacheDataTypeE1ELb0ELi512EEEvPfS2_PT_PKS3_PKT0_S9_ifPKiSB_iPKfiiiSD_SD_iiiii.num_named_barrier, 0
	.set _ZN4vllm25paged_attention_v2_kernelIfhLi64ELi32ELi128ELNS_18Fp8KVCacheDataTypeE1ELb0ELi512EEEvPfS2_PT_PKS3_PKT0_S9_ifPKiSB_iPKfiiiSD_SD_iiiii.private_seg_size, 0
	.set _ZN4vllm25paged_attention_v2_kernelIfhLi64ELi32ELi128ELNS_18Fp8KVCacheDataTypeE1ELb0ELi512EEEvPfS2_PT_PKS3_PKT0_S9_ifPKiSB_iPKfiiiSD_SD_iiiii.uses_vcc, 1
	.set _ZN4vllm25paged_attention_v2_kernelIfhLi64ELi32ELi128ELNS_18Fp8KVCacheDataTypeE1ELb0ELi512EEEvPfS2_PT_PKS3_PKT0_S9_ifPKiSB_iPKfiiiSD_SD_iiiii.uses_flat_scratch, 0
	.set _ZN4vllm25paged_attention_v2_kernelIfhLi64ELi32ELi128ELNS_18Fp8KVCacheDataTypeE1ELb0ELi512EEEvPfS2_PT_PKS3_PKT0_S9_ifPKiSB_iPKfiiiSD_SD_iiiii.has_dyn_sized_stack, 0
	.set _ZN4vllm25paged_attention_v2_kernelIfhLi64ELi32ELi128ELNS_18Fp8KVCacheDataTypeE1ELb0ELi512EEEvPfS2_PT_PKS3_PKT0_S9_ifPKiSB_iPKfiiiSD_SD_iiiii.has_recursion, 0
	.set _ZN4vllm25paged_attention_v2_kernelIfhLi64ELi32ELi128ELNS_18Fp8KVCacheDataTypeE1ELb0ELi512EEEvPfS2_PT_PKS3_PKT0_S9_ifPKiSB_iPKfiiiSD_SD_iiiii.has_indirect_call, 0
	.section	.AMDGPU.csdata,"",@progbits
; Kernel info:
; codeLenInByte = 9780
; TotalNumSgprs: 40
; NumVgprs: 151
; ScratchSize: 0
; MemoryBound: 0
; FloatMode: 240
; IeeeMode: 1
; LDSByteSize: 288 bytes/workgroup (compile time only)
; SGPRBlocks: 0
; VGPRBlocks: 18
; NumSGPRsForWavesPerEU: 40
; NumVGPRsForWavesPerEU: 151
; Occupancy: 9
; WaveLimiterHint : 1
; COMPUTE_PGM_RSRC2:SCRATCH_EN: 0
; COMPUTE_PGM_RSRC2:USER_SGPR: 2
; COMPUTE_PGM_RSRC2:TRAP_HANDLER: 0
; COMPUTE_PGM_RSRC2:TGID_X_EN: 1
; COMPUTE_PGM_RSRC2:TGID_Y_EN: 1
; COMPUTE_PGM_RSRC2:TGID_Z_EN: 1
; COMPUTE_PGM_RSRC2:TIDIG_COMP_CNT: 0
	.section	.text._ZN4vllm25paged_attention_v2_kernelIfhLi80ELi32ELi128ELNS_18Fp8KVCacheDataTypeE1ELb0ELi512EEEvPfS2_PT_PKS3_PKT0_S9_ifPKiSB_iPKfiiiSD_SD_iiiii,"axG",@progbits,_ZN4vllm25paged_attention_v2_kernelIfhLi80ELi32ELi128ELNS_18Fp8KVCacheDataTypeE1ELb0ELi512EEEvPfS2_PT_PKS3_PKT0_S9_ifPKiSB_iPKfiiiSD_SD_iiiii,comdat
	.protected	_ZN4vllm25paged_attention_v2_kernelIfhLi80ELi32ELi128ELNS_18Fp8KVCacheDataTypeE1ELb0ELi512EEEvPfS2_PT_PKS3_PKT0_S9_ifPKiSB_iPKfiiiSD_SD_iiiii ; -- Begin function _ZN4vllm25paged_attention_v2_kernelIfhLi80ELi32ELi128ELNS_18Fp8KVCacheDataTypeE1ELb0ELi512EEEvPfS2_PT_PKS3_PKT0_S9_ifPKiSB_iPKfiiiSD_SD_iiiii
	.globl	_ZN4vllm25paged_attention_v2_kernelIfhLi80ELi32ELi128ELNS_18Fp8KVCacheDataTypeE1ELb0ELi512EEEvPfS2_PT_PKS3_PKT0_S9_ifPKiSB_iPKfiiiSD_SD_iiiii
	.p2align	8
	.type	_ZN4vllm25paged_attention_v2_kernelIfhLi80ELi32ELi128ELNS_18Fp8KVCacheDataTypeE1ELb0ELi512EEEvPfS2_PT_PKS3_PKT0_S9_ifPKiSB_iPKfiiiSD_SD_iiiii,@function
_ZN4vllm25paged_attention_v2_kernelIfhLi80ELi32ELi128ELNS_18Fp8KVCacheDataTypeE1ELb0ELi512EEEvPfS2_PT_PKS3_PKT0_S9_ifPKiSB_iPKfiiiSD_SD_iiiii: ; @_ZN4vllm25paged_attention_v2_kernelIfhLi80ELi32ELi128ELNS_18Fp8KVCacheDataTypeE1ELb0ELi512EEEvPfS2_PT_PKS3_PKT0_S9_ifPKiSB_iPKfiiiSD_SD_iiiii
; %bb.0:
	s_load_b64 s[2:3], s[0:1], 0x40
	s_and_b32 s15, ttmp7, 0xffff
	s_lshr_b32 s26, ttmp7, 16
	s_lshl_b32 s4, s15, 2
	s_lshl_b32 s28, s26, 9
	s_wait_kmcnt 0x0
	s_load_b32 s27, s[2:3], s4 offset:0x0
	s_wait_kmcnt 0x0
	s_cmp_ge_i32 s28, s27
	s_cbranch_scc1 .LBB236_122
; %bb.1:
	s_clause 0x1
	s_load_b32 s30, s[0:1], 0x90
	s_load_b64 s[8:9], s[0:1], 0x30
	s_wait_kmcnt 0x0
	s_abs_i32 s5, s30
	s_abs_i32 s2, s8
	s_delay_alu instid0(SALU_CYCLE_1) | instskip(SKIP_1) | instid1(SALU_CYCLE_2)
	s_cvt_f32_u32 s3, s2
	s_sub_co_i32 s4, 0, s2
	v_rcp_iflag_f32_e32 v1, s3
	s_delay_alu instid0(TRANS32_DEP_1) | instskip(SKIP_2) | instid1(SALU_CYCLE_2)
	v_readfirstlane_b32 s3, v1
	s_mul_f32 s3, s3, 0x4f7ffffe
	s_wait_alu 0xfffe
	s_cvt_u32_f32 s3, s3
	s_wait_alu 0xfffe
	s_delay_alu instid0(SALU_CYCLE_2) | instskip(NEXT) | instid1(SALU_CYCLE_1)
	s_mul_i32 s4, s4, s3
	s_mul_hi_u32 s4, s3, s4
	s_delay_alu instid0(SALU_CYCLE_1)
	s_add_co_i32 s3, s3, s4
	s_xor_b32 s4, s30, s8
	s_wait_alu 0xfffe
	s_mul_hi_u32 s3, s5, s3
	s_ashr_i32 s4, s4, 31
	s_wait_alu 0xfffe
	s_mul_i32 s6, s3, s2
	s_delay_alu instid0(SALU_CYCLE_1)
	s_sub_co_i32 s5, s5, s6
	s_add_co_i32 s6, s3, 1
	s_sub_co_i32 s7, s5, s2
	s_cmp_ge_u32 s5, s2
	s_cselect_b32 s3, s6, s3
	s_cselect_b32 s5, s7, s5
	s_wait_alu 0xfffe
	s_add_co_i32 s6, s3, 1
	s_cmp_ge_u32 s5, s2
	s_cselect_b32 s2, s6, s3
	s_load_b64 s[6:7], s[0:1], 0x50
	s_xor_b32 s2, s2, s4
	s_mov_b32 s3, 0
	s_wait_alu 0xfffe
	s_sub_co_i32 s11, s2, s4
	s_mov_b32 s8, s3
	s_abs_i32 s10, s11
	s_delay_alu instid0(SALU_CYCLE_1) | instskip(SKIP_1) | instid1(SALU_CYCLE_2)
	s_cvt_f32_u32 s2, s10
	s_wait_alu 0xfffe
	v_rcp_iflag_f32_e32 v1, s2
	s_delay_alu instid0(TRANS32_DEP_1) | instskip(SKIP_2) | instid1(SALU_CYCLE_2)
	v_readfirstlane_b32 s2, v1
	s_mul_f32 s2, s2, 0x4f7ffffe
	s_wait_alu 0xfffe
	s_cvt_u32_f32 s4, s2
	s_sub_co_i32 s2, 0, s10
	s_wait_alu 0xfffe
	s_delay_alu instid0(SALU_CYCLE_1)
	s_mul_i32 s2, s2, s4
	s_wait_alu 0xfffe
	s_mul_hi_u32 s5, s4, s2
	s_abs_i32 s2, ttmp9
	s_add_co_i32 s4, s4, s5
	s_mov_b32 s5, s3
	s_wait_kmcnt 0x0
	s_cmp_eq_u64 s[6:7], 0
	s_cbranch_scc1 .LBB236_3
; %bb.2:
	s_mov_b32 s12, ttmp9
	s_ashr_i32 s13, ttmp9, 31
	s_delay_alu instid0(SALU_CYCLE_1) | instskip(NEXT) | instid1(SALU_CYCLE_1)
	s_lshl_b64 s[12:13], s[12:13], 2
	s_add_nc_u64 s[6:7], s[6:7], s[12:13]
	s_load_b32 s8, s[6:7], 0x0
.LBB236_3:
	s_load_b96 s[12:14], s[0:1], 0x58
	s_mul_u64 s[4:5], s[2:3], s[4:5]
	s_ashr_i32 s3, ttmp9, 31
	s_ashr_i32 s4, s11, 31
	s_mul_i32 s16, ttmp9, 0x50
	s_mov_b32 s6, exec_lo
	v_cmpx_gt_u32_e32 20, v0
	s_cbranch_execz .LBB236_5
; %bb.4:
	s_load_b64 s[18:19], s[0:1], 0x18
	s_wait_kmcnt 0x0
	s_mul_i32 s20, s12, s15
	s_ashr_i32 s17, s16, 31
	s_ashr_i32 s21, s20, 31
	v_lshlrev_b32_e32 v5, 4, v0
	s_lshl_b64 s[20:21], s[20:21], 2
	s_delay_alu instid0(SALU_CYCLE_1) | instskip(SKIP_1) | instid1(SALU_CYCLE_1)
	s_add_nc_u64 s[18:19], s[18:19], s[20:21]
	s_lshl_b64 s[20:21], s[16:17], 2
	s_add_nc_u64 s[18:19], s[18:19], s[20:21]
	global_load_b128 v[1:4], v5, s[18:19]
	s_wait_loadcnt 0x0
	ds_store_b128 v5, v[1:4]
.LBB236_5:
	s_or_b32 exec_lo, exec_lo, s6
	s_add_co_i32 s6, s27, 31
	s_lshl_b32 s31, s26, 4
	s_ashr_i32 s7, s6, 31
	s_wait_alu 0xfffe
	s_xor_b32 s3, s3, s4
	s_lshr_b32 s7, s7, 27
	s_add_co_i32 s4, s31, 16
	s_add_co_i32 s6, s6, s7
	s_clause 0x1
	s_load_b64 s[18:19], s[0:1], 0x38
	s_load_b32 s11, s[0:1], 0x48
	s_ashr_i32 s29, s6, 5
	s_mul_i32 s6, s5, s10
	s_min_i32 s17, s4, s29
	s_sub_co_i32 s2, s2, s6
	s_add_co_i32 s4, s5, 1
	s_wait_alu 0xfffe
	s_sub_co_i32 s6, s2, s10
	s_cmp_ge_u32 s2, s10
	v_lshrrev_b32_e32 v191, 5, v0
	s_cselect_b32 s20, s4, s5
	s_cselect_b32 s2, s6, s2
	s_wait_kmcnt 0x0
	s_clause 0x1
	s_load_b32 s12, s[0:1], 0x98
	s_load_b128 s[4:7], s[0:1], 0x68
	s_add_co_i32 s21, s20, 1
	s_cmp_ge_u32 s2, s10
	v_and_b32_e32 v106, 31, v0
	v_add_nc_u32_e32 v188, s31, v191
	s_cselect_b32 s2, s21, s20
	v_mov_b32_e32 v110, 0xff7fffff
	s_wait_alu 0xfffe
	s_xor_b32 s2, s2, s3
	v_lshlrev_b32_e32 v14, 2, v106
	s_wait_alu 0xfffe
	s_sub_co_i32 s3, s2, s3
	v_cmp_gt_i32_e64 s2, s17, v188
	v_lshlrev_b32_e32 v10, 2, v188
	s_mul_i32 s20, s11, s15
	s_wait_alu 0xfffe
	s_mul_i32 s22, s3, s14
	s_ashr_i32 s21, s20, 31
	s_wait_dscnt 0x0
	s_barrier_signal -1
	s_barrier_wait -1
	global_inv scope:SCOPE_SE
	s_and_saveexec_b32 s10, s2
	s_cbranch_execz .LBB236_9
; %bb.6:
	v_dual_mov_b32 v77, 0 :: v_dual_lshlrev_b32 v82, 5, v191
	s_load_b64 s[24:25], s[0:1], 0x20
	s_wait_kmcnt 0x0
	s_load_b32 s5, s[4:5], 0x0
	v_dual_mov_b32 v110, 0xff7fffff :: v_dual_lshlrev_b32 v81, 4, v106
	ds_load_b128 v[1:4], v77
	s_ashr_i32 s23, s22, 31
	s_cmp_neq_f32 s8, 0
	v_lshl_or_b32 v83, v191, 7, v14
	v_add3_u32 v111, s28, v82, v106
	v_mov_b32_e32 v113, v188
	s_cselect_b32 vcc_lo, -1, 0
	s_mov_b32 s11, s13
	v_add_nc_u32_e32 v112, 0x160, v83
	s_mov_b32 s14, 0
	s_add_nc_u64 s[24:25], s[24:25], s[22:23]
	s_wait_kmcnt 0x0
	s_mov_b32 s23, s5
	v_add_co_u32 v189, s3, s24, v81
	s_wait_dscnt 0x0
	scratch_store_b128 off, v[1:4], off     ; 16-byte Folded Spill
	ds_load_b128 v[1:4], v77 offset:16
	s_wait_alu 0xf1ff
	v_add_co_ci_u32_e64 v190, null, s25, 0, s3
	s_lshl_b64 s[24:25], s[20:21], 2
	s_wait_alu 0xfffe
	s_add_nc_u64 s[24:25], s[18:19], s[24:25]
	s_wait_alu 0xfffe
	v_add_co_u32 v103, s3, s24, v10
	s_wait_alu 0xf1ff
	v_add_co_ci_u32_e64 v104, null, s25, 0, s3
	s_sub_co_i32 s24, 1, s27
	s_wait_dscnt 0x0
	scratch_store_b128 off, v[1:4], off offset:16 ; 16-byte Folded Spill
	ds_load_b128 v[176:179], v77 offset:32
	ds_load_b128 v[180:183], v77 offset:48
	ds_load_b128 v[184:187], v77 offset:64
	ds_load_b128 v[21:24], v77 offset:80
	ds_load_b128 v[25:28], v77 offset:96
	ds_load_b128 v[29:32], v77 offset:112
	ds_load_b128 v[33:36], v77 offset:128
	ds_load_b128 v[37:40], v77 offset:144
	ds_load_b128 v[41:44], v77 offset:160
	ds_load_b128 v[45:48], v77 offset:176
	ds_load_b128 v[49:52], v77 offset:192
	ds_load_b128 v[53:56], v77 offset:208
	ds_load_b128 v[57:60], v77 offset:224
	ds_load_b128 v[61:64], v77 offset:240
	ds_load_b128 v[65:68], v77 offset:256
	ds_load_b128 v[69:72], v77 offset:272
	ds_load_b128 v[73:76], v77 offset:288
	ds_load_b128 v[77:80], v77 offset:304
	scratch_store_b32 off, v14, off offset:32 ; 4-byte Folded Spill
.LBB236_7:                              ; =>This Inner Loop Header: Depth=1
	global_load_b32 v81, v[103:104], off
	s_wait_alu 0xfffe
	v_add_nc_u32_e32 v114, s24, v111
	v_add_co_u32 v103, s3, v103, 16
	s_wait_alu 0xf1ff
	v_add_co_ci_u32_e64 v104, null, 0, v104, s3
	s_delay_alu instid0(VALU_DEP_3) | instskip(SKIP_3) | instid1(VALU_DEP_2)
	v_cvt_f32_i32_e32 v175, v114
	v_cmp_gt_i32_e64 s3, s27, v111
	v_add_nc_u32_e32 v113, 4, v113
	v_add_nc_u32_e32 v111, 0x80, v111
	v_cmp_le_i32_e64 s4, s17, v113
	s_or_b32 s14, s4, s14
	s_wait_loadcnt 0x0
	v_mad_co_i64_i32 v[97:98], null, v81, s11, v[189:190]
	s_clause 0x4
	global_load_b128 v[81:84], v[97:98], off
	global_load_b128 v[85:88], v[97:98], off offset:512
	global_load_b128 v[89:92], v[97:98], off offset:1024
	;; [unrolled: 1-line block ×4, first 2 shown]
	v_max_num_f32_e32 v174, v110, v110
	s_wait_loadcnt 0x4
	v_lshrrev_b32_e32 v119, 16, v83
	v_lshrrev_b32_e32 v117, 16, v82
	s_wait_loadcnt 0x2
	v_and_b32_e32 v107, 0xffff, v91
	v_lshrrev_b32_e32 v1, 16, v91
	v_and_b32_e32 v2, 0xffff, v92
	v_lshrrev_b32_e32 v3, 16, v92
	s_wait_loadcnt 0x1
	v_and_b32_e32 v11, 0xffff, v96
	v_cvt_pk_f32_fp8_e32 v[91:92], v119
	v_and_b32_e32 v122, 0xffff, v85
	v_lshrrev_b32_e32 v121, 16, v84
	v_and_b32_e32 v126, 0xffff, v87
	v_lshrrev_b32_e32 v127, 16, v87
	v_lshrrev_b32_e32 v109, 16, v88
	;; [unrolled: 1-line block ×3, first 2 shown]
	s_wait_loadcnt 0x0
	v_and_b32_e32 v10, 0xffff, v97
	v_lshrrev_b32_e32 v13, 16, v97
	v_and_b32_e32 v16, 0xffff, v98
	v_lshrrev_b32_e32 v14, 16, v98
	v_cvt_pk_f32_fp8_e32 v[154:155], v11
	v_mul_f32_e32 v11, s23, v92
	v_cvt_pk_f32_fp8_e32 v[97:98], v122
	v_and_b32_e32 v108, 0xffff, v88
	v_cvt_pk_f32_fp8_e32 v[87:88], v117
	v_and_b32_e32 v116, 0xffff, v82
	v_lshrrev_b32_e32 v123, 16, v85
	v_lshrrev_b32_e32 v125, 16, v86
	;; [unrolled: 1-line block ×3, first 2 shown]
	v_and_b32_e32 v8, 0xffff, v95
	v_lshrrev_b32_e32 v9, 16, v95
	v_lshrrev_b32_e32 v12, 16, v96
	v_cvt_pk_f32_fp8_e32 v[95:96], v121
	v_and_b32_e32 v124, 0xffff, v86
	v_cvt_pk_f32_fp8_e32 v[148:149], v7
	v_mul_f32_e32 v7, s23, v88
	v_cvt_pk_f32_fp8_e32 v[85:86], v116
	v_and_b32_e32 v118, 0xffff, v83
	v_and_b32_e32 v105, 0xffff, v89
	v_lshrrev_b32_e32 v106, 16, v89
	v_and_b32_e32 v101, 0xffff, v90
	v_lshrrev_b32_e32 v102, 16, v90
	v_cvt_pk_f32_fp8_e32 v[144:145], v5
	v_mul_f32_e32 v5, s23, v86
	v_cvt_pk_f32_fp8_e32 v[89:90], v118
	v_and_b32_e32 v120, 0xffff, v84
	v_lshrrev_b32_e32 v115, 16, v81
	v_and_b32_e32 v15, 0xffff, v99
	v_lshrrev_b32_e32 v17, 16, v99
	;; [unrolled: 2-line block ×3, first 2 shown]
	v_cvt_pk_f32_fp8_e32 v[99:100], v123
	v_and_b32_e32 v4, 0xffff, v93
	v_cvt_pk_f32_fp8_e32 v[116:117], v125
	v_and_b32_e32 v6, 0xffff, v94
	v_cvt_pk_f32_fp8_e32 v[152:153], v9
	v_mul_f32_e32 v9, s23, v90
	v_cvt_pk_f32_fp8_e32 v[93:94], v120
	v_cvt_pk_f32_fp8_e32 v[83:84], v115
	v_and_b32_e32 v114, 0xffff, v81
	v_cvt_pk_f32_fp8_e32 v[160:161], v13
	v_cvt_pk_f32_fp8_e32 v[120:121], v127
	v_mul_f32_e32 v13, s23, v94
	v_cvt_pk_f32_fp8_e32 v[118:119], v126
	v_cvt_pk_f32_fp8_e32 v[140:141], v3
	v_cvt_pk_f32_fp8_e32 v[150:151], v8
	v_cvt_pk_f32_fp8_e32 v[168:169], v17
	v_mul_f32_e32 v3, s23, v84
	v_cvt_pk_f32_fp8_e32 v[81:82], v114
	v_mul_f32_e32 v17, s23, v98
	v_cvt_pk_f32_fp8_e32 v[122:123], v108
	;; [unrolled: 2-line block ×3, first 2 shown]
	v_dual_mul_f32 v4, s5, v83 :: v_dual_mul_f32 v83, s23, v117
	v_cvt_pk_f32_fp8_e32 v[146:147], v6
	v_dual_mul_f32 v6, s5, v85 :: v_dual_mul_f32 v85, s23, v119
	v_cvt_pk_f32_fp8_e32 v[158:159], v10
	v_mul_f32_e32 v10, s5, v89
	v_cvt_pk_f32_fp8_e32 v[166:167], v15
	v_mul_f32_e32 v15, s23, v96
	v_cvt_pk_f32_fp8_e32 v[114:115], v124
	v_cvt_pk_f32_fp8_e32 v[124:125], v109
	;; [unrolled: 1-line block ×4, first 2 shown]
	v_dual_mul_f32 v8, s5, v87 :: v_dual_mul_f32 v87, s23, v121
	v_dual_mul_f32 v90, s5, v122 :: v_dual_mul_f32 v119, s23, v147
	;; [unrolled: 1-line block ×3, first 2 shown]
	v_mul_f32_e32 v122, s5, v148
	v_mul_f32_e32 v124, s5, v150
	scratch_load_b128 v[147:150], off, off offset:16 ; 16-byte Folded Reload
	v_cvt_pk_f32_fp8_e32 v[126:127], v105
	v_cvt_pk_f32_fp8_e32 v[136:137], v1
	v_mul_f32_e32 v89, s23, v123
	v_cvt_pk_f32_fp8_e32 v[162:163], v16
	v_mul_f32_e32 v16, s5, v95
	v_dual_mul_f32 v94, s5, v126 :: v_dual_mul_f32 v123, s23, v151
	v_dual_mul_f32 v95, s23, v129 :: v_dual_mul_f32 v126, s5, v152
	v_mul_f32_e32 v1, s23, v82
	v_cvt_pk_f32_fp8_e32 v[132:133], v102
	v_cvt_pk_f32_fp8_e32 v[138:139], v2
	;; [unrolled: 1-line block ×3, first 2 shown]
	v_mul_f32_e32 v2, s5, v81
	v_cvt_pk_f32_fp8_e32 v[130:131], v101
	v_mul_f32_e32 v96, s5, v128
	v_cvt_pk_f32_fp8_e32 v[134:135], v107
	v_dual_mul_f32 v100, s5, v132 :: v_dual_mul_f32 v129, s23, v157
	s_delay_alu instid0(VALU_DEP_4) | instskip(SKIP_1) | instid1(VALU_DEP_4)
	v_mul_f32_e32 v98, s5, v130
	v_cvt_pk_f32_fp8_e32 v[164:165], v14
	v_mul_f32_e32 v102, s5, v134
	v_mul_f32_e32 v106, s5, v136
	;; [unrolled: 1-line block ×3, first 2 shown]
	v_dual_mul_f32 v81, s23, v115 :: v_dual_mul_f32 v82, s5, v114
	v_mul_f32_e32 v101, s23, v135
	v_mul_f32_e32 v91, s23, v125
	v_cvt_pk_f32_fp8_e32 v[170:171], v20
	v_dual_mul_f32 v108, s5, v138 :: v_dual_mul_f32 v135, s23, v163
	v_mul_f32_e32 v114, s5, v140
	v_dual_mul_f32 v84, s5, v116 :: v_dual_mul_f32 v107, s23, v139
	v_dual_mul_f32 v86, s5, v118 :: v_dual_mul_f32 v115, s23, v143
	;; [unrolled: 1-line block ×3, first 2 shown]
	v_mul_f32_e32 v118, s5, v144
	v_dual_mul_f32 v88, s5, v120 :: v_dual_mul_f32 v117, s23, v145
	v_dual_mul_f32 v120, s5, v146 :: v_dual_mul_f32 v143, s23, v171
	;; [unrolled: 1-line block ×5, first 2 shown]
	v_mul_f32_e32 v99, s23, v133
	v_mul_f32_e32 v105, s23, v137
	;; [unrolled: 1-line block ×8, first 2 shown]
	s_wait_loadcnt 0x0
	v_dual_mul_f32 v145, s23, v173 :: v_dual_mul_f32 v6, v147, v6
	v_dual_mul_f32 v5, v148, v5 :: v_dual_mul_f32 v8, v149, v8
	v_mul_f32_e32 v7, v150, v7
	scratch_load_b128 v[147:150], off, off  ; 16-byte Folded Reload
	v_mul_f32_e32 v128, s5, v154
	s_wait_loadcnt 0x0
	v_dual_mul_f32 v130, s5, v156 :: v_dual_fmac_f32 v7, v150, v3
	v_dual_fmac_f32 v5, v148, v1 :: v_dual_mul_f32 v132, s5, v158
	s_wait_dscnt 0x11
	s_delay_alu instid0(VALU_DEP_2) | instskip(NEXT) | instid1(VALU_DEP_2)
	v_dual_mul_f32 v134, s5, v160 :: v_dual_fmac_f32 v7, v179, v11
	v_dual_fmac_f32 v5, v177, v9 :: v_dual_mul_f32 v136, s5, v162
	s_wait_dscnt 0x10
	s_delay_alu instid0(VALU_DEP_2) | instskip(NEXT) | instid1(VALU_DEP_2)
	;; [unrolled: 4-line block ×4, first 2 shown]
	v_dual_mul_f32 v146, s5, v172 :: v_dual_fmac_f32 v7, v24, v83
	v_fmac_f32_e32 v5, v22, v81
	s_wait_dscnt 0xd
	s_delay_alu instid0(VALU_DEP_2) | instskip(NEXT) | instid1(VALU_DEP_2)
	v_fmac_f32_e32 v7, v28, v87
	v_dual_fmac_f32 v5, v26, v85 :: v_dual_fmac_f32 v6, v147, v2
	v_fmac_f32_e32 v8, v149, v4
	v_mul_f32_e32 v2, s8, v175
	s_wait_dscnt 0xc
	v_fmac_f32_e32 v7, v32, v91
	v_dual_fmac_f32 v5, v30, v89 :: v_dual_fmac_f32 v6, v176, v10
	v_fmac_f32_e32 v8, v178, v12
	s_wait_dscnt 0xb
	s_delay_alu instid0(VALU_DEP_3) | instskip(NEXT) | instid1(VALU_DEP_3)
	v_dual_cndmask_b32 v2, 0, v2 :: v_dual_fmac_f32 v7, v36, v95
	v_dual_fmac_f32 v5, v34, v93 :: v_dual_fmac_f32 v6, v180, v14
	s_wait_dscnt 0xa
	s_delay_alu instid0(VALU_DEP_2) | instskip(NEXT) | instid1(VALU_DEP_2)
	v_dual_fmac_f32 v8, v182, v16 :: v_dual_fmac_f32 v7, v40, v99
	v_dual_fmac_f32 v5, v38, v97 :: v_dual_fmac_f32 v6, v184, v18
	s_wait_dscnt 0x9
	s_delay_alu instid0(VALU_DEP_2) | instskip(NEXT) | instid1(VALU_DEP_2)
	v_dual_fmac_f32 v8, v186, v20 :: v_dual_fmac_f32 v7, v44, v105
	;; [unrolled: 4-line block ×9, first 2 shown]
	v_dual_fmac_f32 v5, v70, v135 :: v_dual_fmac_f32 v6, v49, v116
	s_wait_dscnt 0x1
	s_delay_alu instid0(VALU_DEP_2) | instskip(NEXT) | instid1(VALU_DEP_2)
	v_fmac_f32_e32 v7, v76, v141
	v_dual_fmac_f32 v5, v74, v139 :: v_dual_fmac_f32 v6, v53, v120
	s_wait_dscnt 0x0
	s_delay_alu instid0(VALU_DEP_2) | instskip(NEXT) | instid1(VALU_DEP_2)
	v_dual_fmac_f32 v8, v51, v118 :: v_dual_fmac_f32 v7, v80, v145
	v_dual_fmac_f32 v5, v78, v143 :: v_dual_fmac_f32 v6, v57, v124
	s_delay_alu instid0(VALU_DEP_1) | instskip(NEXT) | instid1(VALU_DEP_1)
	v_fmac_f32_e32 v6, v61, v128
	v_fmac_f32_e32 v6, v65, v132
	s_delay_alu instid0(VALU_DEP_1) | instskip(NEXT) | instid1(VALU_DEP_1)
	v_fmac_f32_e32 v6, v69, v136
	v_fmac_f32_e32 v6, v73, v140
	s_delay_alu instid0(VALU_DEP_1) | instskip(NEXT) | instid1(VALU_DEP_1)
	v_fmac_f32_e32 v6, v77, v144
	v_dual_fmac_f32 v8, v55, v122 :: v_dual_add_f32 v1, v6, v5
	s_delay_alu instid0(VALU_DEP_1) | instskip(NEXT) | instid1(VALU_DEP_1)
	v_fmac_f32_e32 v8, v59, v126
	v_fmac_f32_e32 v8, v63, v130
	s_delay_alu instid0(VALU_DEP_1) | instskip(NEXT) | instid1(VALU_DEP_1)
	v_fmac_f32_e32 v8, v67, v134
	v_fmac_f32_e32 v8, v71, v138
	s_delay_alu instid0(VALU_DEP_1) | instskip(NEXT) | instid1(VALU_DEP_1)
	v_fmac_f32_e32 v8, v75, v142
	v_fmac_f32_e32 v8, v79, v146
	s_delay_alu instid0(VALU_DEP_1) | instskip(NEXT) | instid1(VALU_DEP_1)
	v_add_f32_e32 v1, v8, v1
	v_add_f32_e32 v1, v7, v1
	s_delay_alu instid0(VALU_DEP_1) | instskip(NEXT) | instid1(VALU_DEP_1)
	v_fmac_f32_e32 v2, s9, v1
	v_cndmask_b32_e64 v1, 0, v2, s3
	v_max_num_f32_e32 v2, v174, v2
	ds_store_b32 v112, v1
	v_cndmask_b32_e64 v110, v110, v2, s3
	v_add_nc_u32_e32 v112, 0x200, v112
	s_and_not1_b32 exec_lo, exec_lo, s14
	s_cbranch_execnz .LBB236_7
; %bb.8:
	s_or_b32 exec_lo, exec_lo, s14
	scratch_load_b32 v14, off, off offset:32 ; 4-byte Folded Reload
	v_and_b32_e32 v106, 31, v0
	v_lshlrev_b32_e32 v10, 2, v188
.LBB236_9:
	s_or_b32 exec_lo, exec_lo, s10
	v_mbcnt_lo_u32_b32 v1, -1, 0
	s_load_b128 s[8:11], s[0:1], 0x0
	s_wait_kmcnt 0x0
	s_clause 0x1
	s_load_b64 s[4:5], s[0:1], 0x10
	s_load_b64 s[24:25], s[0:1], 0x28
	v_xor_b32_e32 v2, 16, v1
	v_xor_b32_e32 v4, 8, v1
	s_delay_alu instid0(VALU_DEP_2) | instskip(SKIP_2) | instid1(VALU_DEP_3)
	v_cmp_gt_i32_e32 vcc_lo, 32, v2
	s_wait_alu 0xfffd
	v_cndmask_b32_e32 v2, v1, v2, vcc_lo
	v_cmp_gt_i32_e32 vcc_lo, 32, v4
	v_max_num_f32_e32 v5, v110, v110
	s_delay_alu instid0(VALU_DEP_3)
	v_lshlrev_b32_e32 v2, 2, v2
	s_wait_alu 0xfffd
	v_cndmask_b32_e32 v4, v1, v4, vcc_lo
	ds_bpermute_b32 v3, v2, v110
	s_wait_dscnt 0x0
	v_dual_max_num_f32 v6, v3, v3 :: v_dual_lshlrev_b32 v3, 2, v4
	s_delay_alu instid0(VALU_DEP_1)
	v_max_num_f32_e32 v4, v5, v6
	v_xor_b32_e32 v6, 4, v1
	ds_bpermute_b32 v5, v3, v4
	v_cmp_gt_i32_e32 vcc_lo, 32, v6
	s_wait_alu 0xfffd
	v_cndmask_b32_e32 v6, v1, v6, vcc_lo
	s_wait_dscnt 0x0
	v_max_num_f32_e32 v5, v5, v5
	s_delay_alu instid0(VALU_DEP_2) | instskip(SKIP_1) | instid1(VALU_DEP_3)
	v_lshlrev_b32_e32 v13, 2, v6
	v_xor_b32_e32 v6, 2, v1
	v_max_num_f32_e32 v4, v4, v5
	s_delay_alu instid0(VALU_DEP_2) | instskip(SKIP_3) | instid1(VALU_DEP_1)
	v_cmp_gt_i32_e32 vcc_lo, 32, v6
	ds_bpermute_b32 v5, v13, v4
	s_wait_alu 0xfffd
	v_cndmask_b32_e32 v6, v1, v6, vcc_lo
	v_lshlrev_b32_e32 v12, 2, v6
	v_xor_b32_e32 v6, 1, v1
	s_delay_alu instid0(VALU_DEP_1)
	v_cmp_gt_i32_e32 vcc_lo, 32, v6
	s_wait_alu 0xfffd
	v_cndmask_b32_e32 v6, v1, v6, vcc_lo
	v_cmp_eq_u32_e32 vcc_lo, 0, v106
	s_wait_dscnt 0x0
	v_max_num_f32_e32 v5, v5, v5
	s_delay_alu instid0(VALU_DEP_1) | instskip(SKIP_3) | instid1(VALU_DEP_1)
	v_dual_max_num_f32 v4, v4, v5 :: v_dual_lshlrev_b32 v11, 2, v6
	ds_bpermute_b32 v5, v12, v4
	s_wait_dscnt 0x0
	v_max_num_f32_e32 v5, v5, v5
	v_max_num_f32_e32 v1, v4, v5
	v_lshlrev_b32_e32 v5, 2, v191
	ds_bpermute_b32 v4, v11, v1
	s_and_saveexec_b32 s0, vcc_lo
	s_cbranch_execz .LBB236_11
; %bb.10:
	s_wait_dscnt 0x0
	v_dual_max_num_f32 v4, v4, v4 :: v_dual_max_num_f32 v1, v1, v1
	s_delay_alu instid0(VALU_DEP_1)
	v_max_num_f32_e32 v1, v1, v4
	ds_store_b32 v5, v1 offset:320
.LBB236_11:
	s_or_b32 exec_lo, exec_lo, s0
	v_cmp_gt_u32_e64 s0, 4, v106
	v_mov_b32_e32 v1, 0xff7fffff
	s_wait_storecnt 0x0
	s_wait_loadcnt_dscnt 0x0
	s_barrier_signal -1
	s_barrier_wait -1
	global_inv scope:SCOPE_SE
	s_and_saveexec_b32 s1, s0
; %bb.12:
	ds_load_b32 v1, v14 offset:320
; %bb.13:
	s_or_b32 exec_lo, exec_lo, s1
	s_wait_dscnt 0x0
	ds_bpermute_b32 v4, v12, v1
	v_max_num_f32_e32 v1, v1, v1
	s_sub_co_i32 s1, s17, s31
	v_mov_b32_e32 v6, 0
	s_lshl_b32 s1, s1, 5
	s_delay_alu instid0(SALU_CYCLE_1) | instskip(NEXT) | instid1(SALU_CYCLE_1)
	s_add_co_i32 s1, s1, s28
	s_min_i32 s1, s1, s27
	s_delay_alu instid0(SALU_CYCLE_1) | instskip(NEXT) | instid1(SALU_CYCLE_1)
	s_sub_co_i32 s14, s1, s28
	v_cmp_gt_i32_e64 s1, s14, v0
	s_wait_dscnt 0x0
	v_max_num_f32_e32 v4, v4, v4
	s_delay_alu instid0(VALU_DEP_1) | instskip(SKIP_3) | instid1(VALU_DEP_1)
	v_max_num_f32_e32 v1, v1, v4
	ds_bpermute_b32 v4, v11, v1
	s_wait_dscnt 0x0
	v_max_num_f32_e32 v4, v4, v4
	v_max_num_f32_e32 v1, v1, v4
	v_lshl_add_u32 v4, v0, 2, 0x160
	ds_bpermute_b32 v1, v6, v1
	s_and_saveexec_b32 s23, s1
	s_cbranch_execz .LBB236_17
; %bb.14:
	v_lshl_add_u32 v7, v0, 2, 0x160
	v_mov_b32_e32 v6, 0
	v_mov_b32_e32 v8, v0
	s_mov_b32 s31, 0
.LBB236_15:                             ; =>This Inner Loop Header: Depth=1
	ds_load_b32 v9, v7
	v_add_nc_u32_e32 v8, 0x80, v8
	s_delay_alu instid0(VALU_DEP_1) | instskip(SKIP_4) | instid1(VALU_DEP_1)
	v_cmp_le_i32_e64 s3, s14, v8
	s_wait_alu 0xfffe
	s_or_b32 s31, s3, s31
	s_wait_dscnt 0x0
	v_sub_f32_e32 v9, v9, v1
	v_mul_f32_e32 v9, 0x3fb8aa3b, v9
	s_delay_alu instid0(VALU_DEP_1)
	v_exp_f32_e32 v9, v9
	ds_store_b32 v7, v9
	v_dual_add_f32 v6, v6, v9 :: v_dual_add_nc_u32 v7, 0x200, v7
	s_wait_alu 0xfffe
	s_and_not1_b32 exec_lo, exec_lo, s31
	s_cbranch_execnz .LBB236_15
; %bb.16:
	s_or_b32 exec_lo, exec_lo, s31
.LBB236_17:
	s_wait_alu 0xfffe
	s_or_b32 exec_lo, exec_lo, s23
	ds_bpermute_b32 v2, v2, v6
	s_wait_dscnt 0x0
	v_add_f32_e32 v2, v6, v2
	ds_bpermute_b32 v3, v3, v2
	s_wait_dscnt 0x0
	v_add_f32_e32 v2, v2, v3
	;; [unrolled: 3-line block ×5, first 2 shown]
	s_and_saveexec_b32 s3, vcc_lo
; %bb.18:
	ds_store_b32 v5, v2 offset:336
; %bb.19:
	s_wait_alu 0xfffe
	s_or_b32 exec_lo, exec_lo, s3
	s_wait_loadcnt_dscnt 0x0
	s_barrier_signal -1
	s_barrier_wait -1
	global_inv scope:SCOPE_SE
	s_and_saveexec_b32 s3, s0
; %bb.20:
	ds_load_b32 v2, v14 offset:336
; %bb.21:
	s_wait_alu 0xfffe
	s_or_b32 exec_lo, exec_lo, s3
	s_wait_dscnt 0x0
	ds_bpermute_b32 v3, v12, v2
	s_wait_dscnt 0x0
	v_add_f32_e32 v2, v2, v3
	ds_bpermute_b32 v3, v11, v2
	s_wait_dscnt 0x0
	v_dual_add_f32 v2, v2, v3 :: v_dual_mov_b32 v3, 0
	ds_bpermute_b32 v2, v3, v2
	s_and_saveexec_b32 s0, s1
	s_cbranch_execz .LBB236_24
; %bb.22:
	s_wait_dscnt 0x0
	v_add_f32_e32 v3, 0x358637bd, v2
	s_mov_b32 s1, 0
	s_delay_alu instid0(VALU_DEP_1) | instskip(SKIP_1) | instid1(VALU_DEP_2)
	v_div_scale_f32 v5, null, v3, v3, 1.0
	v_div_scale_f32 v8, vcc_lo, 1.0, v3, 1.0
	v_rcp_f32_e32 v6, v5
	s_delay_alu instid0(TRANS32_DEP_1) | instskip(NEXT) | instid1(VALU_DEP_1)
	v_fma_f32 v7, -v5, v6, 1.0
	v_fmac_f32_e32 v6, v7, v6
	s_delay_alu instid0(VALU_DEP_1) | instskip(NEXT) | instid1(VALU_DEP_1)
	v_mul_f32_e32 v7, v8, v6
	v_fma_f32 v9, -v5, v7, v8
	s_delay_alu instid0(VALU_DEP_1) | instskip(NEXT) | instid1(VALU_DEP_1)
	v_fmac_f32_e32 v7, v9, v6
	v_fma_f32 v5, -v5, v7, v8
	s_wait_alu 0xfffd
	s_delay_alu instid0(VALU_DEP_1) | instskip(NEXT) | instid1(VALU_DEP_1)
	v_div_fmas_f32 v5, v5, v6, v7
	v_div_fixup_f32 v3, v5, v3, 1.0
	v_mov_b32_e32 v5, v0
.LBB236_23:                             ; =>This Inner Loop Header: Depth=1
	ds_load_b32 v6, v4
	s_wait_dscnt 0x0
	v_dual_mul_f32 v6, v3, v6 :: v_dual_add_nc_u32 v5, 0x80, v5
	s_delay_alu instid0(VALU_DEP_1) | instskip(SKIP_3) | instid1(SALU_CYCLE_1)
	v_cmp_le_i32_e32 vcc_lo, s14, v5
	ds_store_b32 v4, v6
	v_add_nc_u32_e32 v4, 0x200, v4
	s_or_b32 s1, vcc_lo, s1
	s_and_not1_b32 exec_lo, exec_lo, s1
	s_cbranch_execnz .LBB236_23
.LBB236_24:
	s_or_b32 exec_lo, exec_lo, s0
	s_mul_i32 s0, s12, s15
	s_wait_loadcnt_dscnt 0x0
	s_mul_i32 s14, s0, s30
	s_mov_b32 s0, exec_lo
	s_barrier_signal -1
	s_barrier_wait -1
	global_inv scope:SCOPE_SE
	v_cmpx_eq_u32_e32 0, v0
	s_cbranch_execz .LBB236_26
; %bb.25:
	s_wait_alu 0xfffe
	s_ashr_i32 s15, s14, 31
	s_mul_i32 s30, s12, ttmp9
	s_lshl_b32 s1, s26, 2
	s_wait_alu 0xfffe
	s_lshl_b64 s[34:35], s[14:15], 2
	s_ashr_i32 s31, s30, 31
	v_mov_b32_e32 v3, s1
	s_add_nc_u64 s[10:11], s[10:11], s[34:35]
	s_wait_alu 0xfffe
	s_lshl_b64 s[30:31], s[30:31], 2
	s_add_nc_u64 s[8:9], s[8:9], s[34:35]
	s_wait_alu 0xfffe
	s_add_nc_u64 s[10:11], s[10:11], s[30:31]
	s_add_nc_u64 s[8:9], s[8:9], s[30:31]
	s_clause 0x1
	global_store_b32 v3, v1, s[10:11]
	global_store_b32 v3, v2, s[8:9]
.LBB236_26:
	s_or_b32 exec_lo, exec_lo, s0
	v_dual_mov_b32 v32, 0 :: v_dual_mov_b32 v33, 0
	v_dual_mov_b32 v31, 0 :: v_dual_and_b32 v14, 7, v0
	v_dual_mov_b32 v34, 0 :: v_dual_mov_b32 v29, 0
	v_dual_mov_b32 v30, 0 :: v_dual_mov_b32 v27, 0
	;; [unrolled: 1-line block ×8, first 2 shown]
	v_mov_b32_e32 v16, 0
	s_and_saveexec_b32 s1, s2
	s_cbranch_execz .LBB236_70
; %bb.27:
	s_load_b32 s3, s[6:7], 0x0
	v_dual_mov_b32 v16, 0 :: v_dual_lshlrev_b32 v1, 2, v0
	v_dual_mov_b32 v15, 0 :: v_dual_lshlrev_b32 v2, 4, v14
	s_ashr_i32 s23, s22, 31
	s_delay_alu instid0(VALU_DEP_2)
	v_dual_mov_b32 v18, 0 :: v_dual_and_b32 v3, 28, v1
	v_dual_mov_b32 v20, 0 :: v_dual_and_b32 v1, 0x7c, v1
	s_wait_kmcnt 0x0
	s_wait_alu 0xfffe
	s_add_nc_u64 s[8:9], s[24:25], s[22:23]
	s_lshl_b64 s[6:7], s[20:21], 2
	v_lshl_add_u32 v4, v191, 5, s28
	v_lshl_or_b32 v2, v191, 7, v2
	s_wait_alu 0xfffe
	v_add_co_u32 v5, s0, s8, v1
	s_add_nc_u64 s[6:7], s[18:19], s[6:7]
	s_wait_alu 0xf1ff
	v_add_co_ci_u32_e64 v6, null, s9, 0, s0
	v_add_co_u32 v7, s0, s6, v10
	v_add3_u32 v35, v4, v3, 3
	v_dual_mov_b32 v17, 0 :: v_dual_add_nc_u32 v36, 0x160, v2
	s_wait_alu 0xf1ff
	v_add_co_ci_u32_e64 v8, null, s7, 0, s0
	v_dual_mov_b32 v19, 0 :: v_dual_mov_b32 v22, 0
	v_dual_mov_b32 v21, 0 :: v_dual_mov_b32 v24, 0
	;; [unrolled: 1-line block ×7, first 2 shown]
	v_mov_b32_e32 v33, 0
	s_mov_b32 s2, s13
	s_mov_b32 s6, s3
	s_add_co_i32 s29, s29, -1
	s_mov_b32 s7, 0
	s_branch .LBB236_29
.LBB236_28:                             ;   in Loop: Header=BB236_29 Depth=1
	s_wait_alu 0xfffe
	s_or_b32 exec_lo, exec_lo, s0
	s_wait_dscnt 0x0
	v_mul_f32_e32 v59, v1, v112
	v_mul_f32_e32 v56, v1, v120
	v_add_nc_u32_e32 v188, 4, v188
	v_add_co_u32 v7, s0, v7, 16
	s_delay_alu instid0(VALU_DEP_4) | instskip(NEXT) | instid1(VALU_DEP_4)
	v_fmac_f32_e32 v59, v2, v111
	v_fmac_f32_e32 v56, v2, v119
	v_mul_f32_e32 v99, v1, v99
	v_cmp_le_i32_e32 vcc_lo, s17, v188
	v_add_nc_u32_e32 v36, 0x200, v36
	s_wait_alu 0xf1ff
	v_add_co_ci_u32_e64 v8, null, 0, v8, s0
	v_fmac_f32_e32 v56, v3, v118
	v_dual_mul_f32 v58, v1, v116 :: v_dual_fmac_f32 v99, v2, v98
	v_mul_f32_e32 v105, v1, v108
	s_delay_alu instid0(VALU_DEP_3) | instskip(NEXT) | instid1(VALU_DEP_3)
	v_dual_fmac_f32 v59, v3, v110 :: v_dual_fmac_f32 v56, v4, v117
	v_dual_fmac_f32 v58, v2, v115 :: v_dual_fmac_f32 v99, v3, v97
	s_delay_alu instid0(VALU_DEP_3) | instskip(NEXT) | instid1(VALU_DEP_3)
	v_fmac_f32_e32 v105, v2, v104
	v_fmac_f32_e32 v59, v4, v109
	s_delay_alu instid0(VALU_DEP_4) | instskip(NEXT) | instid1(VALU_DEP_4)
	v_add_f32_e32 v16, v16, v56
	v_dual_fmac_f32 v58, v3, v114 :: v_dual_fmac_f32 v99, v4, v96
	s_delay_alu instid0(VALU_DEP_4) | instskip(SKIP_2) | instid1(VALU_DEP_4)
	v_fmac_f32_e32 v105, v3, v103
	v_mul_f32_e32 v56, v1, v95
	v_add_f32_e32 v18, v18, v59
	v_fmac_f32_e32 v58, v4, v113
	s_or_b32 s7, vcc_lo, s7
	s_delay_alu instid0(VALU_DEP_3) | instskip(SKIP_1) | instid1(VALU_DEP_3)
	v_dual_fmac_f32 v105, v4, v101 :: v_dual_fmac_f32 v56, v2, v94
	v_mul_f32_e32 v83, v1, v83
	v_add_f32_e32 v17, v17, v58
	s_delay_alu instid0(VALU_DEP_3) | instskip(NEXT) | instid1(VALU_DEP_4)
	v_dual_mul_f32 v58, v1, v91 :: v_dual_add_f32 v19, v19, v105
	v_dual_mul_f32 v59, v1, v87 :: v_dual_fmac_f32 v56, v3, v93
	v_add_f32_e32 v20, v20, v99
	s_delay_alu instid0(VALU_DEP_3) | instskip(NEXT) | instid1(VALU_DEP_3)
	v_dual_fmac_f32 v58, v2, v90 :: v_dual_mul_f32 v79, v1, v79
	v_dual_fmac_f32 v59, v2, v86 :: v_dual_fmac_f32 v56, v4, v92
	v_mul_f32_e32 v52, v1, v52
	s_delay_alu instid0(VALU_DEP_3) | instskip(NEXT) | instid1(VALU_DEP_4)
	v_dual_fmac_f32 v58, v3, v89 :: v_dual_fmac_f32 v83, v2, v82
	v_dual_fmac_f32 v79, v2, v78 :: v_dual_mul_f32 v44, v1, v44
	s_delay_alu instid0(VALU_DEP_3) | instskip(NEXT) | instid1(VALU_DEP_3)
	v_fmac_f32_e32 v52, v2, v51
	v_dual_fmac_f32 v58, v4, v88 :: v_dual_fmac_f32 v59, v3, v85
	s_delay_alu instid0(VALU_DEP_3) | instskip(SKIP_1) | instid1(VALU_DEP_3)
	v_dual_fmac_f32 v83, v3, v81 :: v_dual_fmac_f32 v44, v2, v43
	v_mul_f32_e32 v48, v1, v48
	v_add_f32_e32 v22, v22, v58
	v_mul_f32_e32 v58, v1, v71
	v_add_f32_e32 v21, v21, v56
	v_dual_mul_f32 v56, v1, v75 :: v_dual_fmac_f32 v59, v4, v84
	v_mul_f32_e32 v40, v1, v40
	s_delay_alu instid0(VALU_DEP_4) | instskip(SKIP_1) | instid1(VALU_DEP_4)
	v_fmac_f32_e32 v58, v2, v70
	v_fmac_f32_e32 v48, v2, v47
	v_dual_fmac_f32 v56, v2, v74 :: v_dual_fmac_f32 v83, v4, v80
	v_fmac_f32_e32 v52, v3, v50
	s_delay_alu instid0(VALU_DEP_4) | instskip(SKIP_1) | instid1(VALU_DEP_4)
	v_fmac_f32_e32 v58, v3, v69
	v_fmac_f32_e32 v40, v2, v39
	;; [unrolled: 1-line block ×3, first 2 shown]
	v_add_f32_e32 v23, v23, v59
	v_dual_fmac_f32 v79, v3, v77 :: v_dual_add_f32 v24, v24, v83
	v_fmac_f32_e32 v58, v4, v68
	s_delay_alu instid0(VALU_DEP_4) | instskip(NEXT) | instid1(VALU_DEP_3)
	v_dual_fmac_f32 v56, v4, v72 :: v_dual_mul_f32 v59, v1, v67
	v_dual_fmac_f32 v79, v4, v76 :: v_dual_fmac_f32 v48, v3, v46
	s_delay_alu instid0(VALU_DEP_3) | instskip(NEXT) | instid1(VALU_DEP_3)
	v_dual_add_f32 v27, v27, v58 :: v_dual_fmac_f32 v52, v4, v49
	v_add_f32_e32 v26, v26, v56
	s_delay_alu instid0(VALU_DEP_4) | instskip(NEXT) | instid1(VALU_DEP_4)
	v_fmac_f32_e32 v59, v2, v66
	v_dual_add_f32 v25, v25, v79 :: v_dual_fmac_f32 v44, v3, v42
	v_dual_fmac_f32 v48, v4, v45 :: v_dual_add_nc_u32 v35, 0x80, v35
	s_delay_alu instid0(VALU_DEP_3) | instskip(NEXT) | instid1(VALU_DEP_2)
	v_fmac_f32_e32 v59, v3, v65
	v_dual_fmac_f32 v44, v4, v41 :: v_dual_add_f32 v33, v33, v48
	s_delay_alu instid0(VALU_DEP_2) | instskip(NEXT) | instid1(VALU_DEP_1)
	v_fmac_f32_e32 v59, v4, v64
	v_dual_mul_f32 v57, v1, v57 :: v_dual_add_f32 v28, v28, v59
	s_delay_alu instid0(VALU_DEP_1) | instskip(NEXT) | instid1(VALU_DEP_1)
	v_fmac_f32_e32 v57, v2, v55
	v_fmac_f32_e32 v57, v3, v54
	s_delay_alu instid0(VALU_DEP_1) | instskip(SKIP_1) | instid1(VALU_DEP_2)
	v_fmac_f32_e32 v57, v4, v53
	v_mul_f32_e32 v63, v1, v63
	v_dual_mul_f32 v1, v1, v102 :: v_dual_add_f32 v30, v30, v57
	s_delay_alu instid0(VALU_DEP_2) | instskip(NEXT) | instid1(VALU_DEP_2)
	v_fmac_f32_e32 v63, v2, v62
	v_fmac_f32_e32 v1, v2, v100
	s_delay_alu instid0(VALU_DEP_2) | instskip(NEXT) | instid1(VALU_DEP_2)
	v_fmac_f32_e32 v63, v3, v61
	v_fmac_f32_e32 v1, v3, v10
	s_delay_alu instid0(VALU_DEP_2) | instskip(NEXT) | instid1(VALU_DEP_2)
	v_dual_fmac_f32 v40, v3, v38 :: v_dual_fmac_f32 v63, v4, v60
	v_fmac_f32_e32 v1, v4, v9
	s_delay_alu instid0(VALU_DEP_2) | instskip(NEXT) | instid1(VALU_DEP_3)
	v_dual_add_f32 v31, v31, v52 :: v_dual_fmac_f32 v40, v4, v37
	v_dual_add_f32 v34, v34, v44 :: v_dual_add_f32 v29, v29, v63
	s_delay_alu instid0(VALU_DEP_2)
	v_dual_add_f32 v15, v15, v1 :: v_dual_add_f32 v32, v32, v40
	s_wait_alu 0xfffe
	s_and_not1_b32 exec_lo, exec_lo, s7
	s_cbranch_execz .LBB236_69
.LBB236_29:                             ; =>This Inner Loop Header: Depth=1
	global_load_b32 v1, v[7:8], off
	s_wait_alu 0xfffe
	v_cmp_eq_u32_e32 vcc_lo, s29, v188
	v_add_nc_u32_e32 v58, -2, v35
	v_add_nc_u32_e32 v59, -1, v35
	s_wait_loadcnt 0x0
	v_mad_co_i64_i32 v[9:10], null, v1, s2, v[5:6]
	ds_load_b128 v[1:4], v36
	global_load_b32 v37, v[9:10], off
	s_wait_loadcnt 0x0
	v_lshrrev_b32_e32 v39, 16, v37
	s_delay_alu instid0(VALU_DEP_1) | instskip(SKIP_1) | instid1(VALU_DEP_1)
	v_cvt_pk_f32_fp8_e32 v[41:42], v39
	v_and_b32_e32 v38, 0xffff, v37
	v_cvt_pk_f32_fp8_e32 v[37:38], v38
	s_delay_alu instid0(VALU_DEP_1) | instskip(NEXT) | instid1(VALU_DEP_2)
	v_dual_mul_f32 v39, s6, v38 :: v_dual_add_nc_u32 v56, -3, v35
	v_mul_f32_e32 v40, s3, v37
	v_dual_mul_f32 v38, s3, v41 :: v_dual_mul_f32 v37, s6, v42
	s_and_saveexec_b32 s8, vcc_lo
	s_cbranch_execz .LBB236_31
; %bb.30:                               ;   in Loop: Header=BB236_29 Depth=1
	v_cmp_gt_i32_e64 s0, s27, v56
	s_wait_alu 0xf1ff
	s_delay_alu instid0(VALU_DEP_1) | instskip(SKIP_2) | instid1(VALU_DEP_1)
	v_cndmask_b32_e64 v40, 0, v40, s0
	v_cmp_gt_i32_e64 s0, s27, v58
	s_wait_alu 0xf1ff
	v_cndmask_b32_e64 v39, 0, v39, s0
	v_cmp_gt_i32_e64 s0, s27, v59
	s_wait_alu 0xf1ff
	s_delay_alu instid0(VALU_DEP_1) | instskip(SKIP_2) | instid1(VALU_DEP_1)
	v_cndmask_b32_e64 v38, 0, v38, s0
	v_cmp_gt_i32_e64 s0, s27, v35
	s_wait_alu 0xf1ff
	v_cndmask_b32_e64 v37, 0, v37, s0
.LBB236_31:                             ;   in Loop: Header=BB236_29 Depth=1
	s_wait_alu 0xfffe
	s_or_b32 exec_lo, exec_lo, s8
	global_load_b32 v41, v[9:10], off offset:128
	s_wait_loadcnt 0x0
	v_lshrrev_b32_e32 v43, 16, v41
	s_delay_alu instid0(VALU_DEP_1) | instskip(SKIP_1) | instid1(VALU_DEP_1)
	v_cvt_pk_f32_fp8_e32 v[45:46], v43
	v_and_b32_e32 v42, 0xffff, v41
	v_cvt_pk_f32_fp8_e32 v[41:42], v42
	s_delay_alu instid0(VALU_DEP_1) | instskip(NEXT) | instid1(VALU_DEP_4)
	v_dual_mul_f32 v44, s3, v41 :: v_dual_mul_f32 v43, s6, v42
	v_dual_mul_f32 v42, s3, v45 :: v_dual_mul_f32 v41, s6, v46
	s_and_saveexec_b32 s8, vcc_lo
	s_cbranch_execz .LBB236_33
; %bb.32:                               ;   in Loop: Header=BB236_29 Depth=1
	v_cmp_gt_i32_e64 s0, s27, v56
	s_wait_alu 0xf1ff
	s_delay_alu instid0(VALU_DEP_1) | instskip(SKIP_2) | instid1(VALU_DEP_1)
	v_cndmask_b32_e64 v44, 0, v44, s0
	v_cmp_gt_i32_e64 s0, s27, v58
	s_wait_alu 0xf1ff
	v_cndmask_b32_e64 v43, 0, v43, s0
	v_cmp_gt_i32_e64 s0, s27, v59
	s_wait_alu 0xf1ff
	s_delay_alu instid0(VALU_DEP_1) | instskip(SKIP_2) | instid1(VALU_DEP_1)
	v_cndmask_b32_e64 v42, 0, v42, s0
	v_cmp_gt_i32_e64 s0, s27, v35
	s_wait_alu 0xf1ff
	v_cndmask_b32_e64 v41, 0, v41, s0
.LBB236_33:                             ;   in Loop: Header=BB236_29 Depth=1
	s_wait_alu 0xfffe
	s_or_b32 exec_lo, exec_lo, s8
	global_load_b32 v45, v[9:10], off offset:256
	s_wait_loadcnt 0x0
	v_lshrrev_b32_e32 v47, 16, v45
	s_delay_alu instid0(VALU_DEP_1) | instskip(SKIP_1) | instid1(VALU_DEP_1)
	v_cvt_pk_f32_fp8_e32 v[49:50], v47
	v_and_b32_e32 v46, 0xffff, v45
	v_cvt_pk_f32_fp8_e32 v[45:46], v46
	s_delay_alu instid0(VALU_DEP_1) | instskip(NEXT) | instid1(VALU_DEP_4)
	v_dual_mul_f32 v48, s3, v45 :: v_dual_mul_f32 v47, s6, v46
	;; [unrolled: 30-line block ×3, first 2 shown]
	v_dual_mul_f32 v50, s3, v53 :: v_dual_mul_f32 v49, s6, v54
	s_and_saveexec_b32 s8, vcc_lo
	s_cbranch_execz .LBB236_37
; %bb.36:                               ;   in Loop: Header=BB236_29 Depth=1
	v_cmp_gt_i32_e64 s0, s27, v56
	s_wait_alu 0xf1ff
	s_delay_alu instid0(VALU_DEP_1) | instskip(SKIP_2) | instid1(VALU_DEP_1)
	v_cndmask_b32_e64 v52, 0, v52, s0
	v_cmp_gt_i32_e64 s0, s27, v58
	s_wait_alu 0xf1ff
	v_cndmask_b32_e64 v51, 0, v51, s0
	v_cmp_gt_i32_e64 s0, s27, v59
	s_wait_alu 0xf1ff
	s_delay_alu instid0(VALU_DEP_1) | instskip(SKIP_2) | instid1(VALU_DEP_1)
	v_cndmask_b32_e64 v50, 0, v50, s0
	v_cmp_gt_i32_e64 s0, s27, v35
	s_wait_alu 0xf1ff
	v_cndmask_b32_e64 v49, 0, v49, s0
.LBB236_37:                             ;   in Loop: Header=BB236_29 Depth=1
	s_wait_alu 0xfffe
	s_or_b32 exec_lo, exec_lo, s8
	global_load_b32 v53, v[9:10], off offset:512
	s_wait_loadcnt 0x0
	v_and_b32_e32 v54, 0xffff, v53
	v_lshrrev_b32_e32 v55, 16, v53
	s_delay_alu instid0(VALU_DEP_2) | instskip(NEXT) | instid1(VALU_DEP_2)
	v_cvt_pk_f32_fp8_e32 v[53:54], v54
	v_cvt_pk_f32_fp8_e32 v[60:61], v55
	s_delay_alu instid0(VALU_DEP_2) | instskip(NEXT) | instid1(VALU_DEP_2)
	v_mul_f32_e32 v57, s3, v53
	v_dual_mul_f32 v55, s6, v54 :: v_dual_mul_f32 v54, s3, v60
	s_delay_alu instid0(VALU_DEP_3)
	v_mul_f32_e32 v53, s6, v61
	s_and_saveexec_b32 s8, vcc_lo
	s_cbranch_execz .LBB236_39
; %bb.38:                               ;   in Loop: Header=BB236_29 Depth=1
	v_cmp_gt_i32_e64 s0, s27, v56
	s_wait_alu 0xf1ff
	s_delay_alu instid0(VALU_DEP_1) | instskip(SKIP_2) | instid1(VALU_DEP_1)
	v_cndmask_b32_e64 v57, 0, v57, s0
	v_cmp_gt_i32_e64 s0, s27, v58
	s_wait_alu 0xf1ff
	v_cndmask_b32_e64 v55, 0, v55, s0
	v_cmp_gt_i32_e64 s0, s27, v59
	s_wait_alu 0xf1ff
	s_delay_alu instid0(VALU_DEP_1) | instskip(SKIP_2) | instid1(VALU_DEP_1)
	v_cndmask_b32_e64 v54, 0, v54, s0
	v_cmp_gt_i32_e64 s0, s27, v35
	s_wait_alu 0xf1ff
	v_cndmask_b32_e64 v53, 0, v53, s0
.LBB236_39:                             ;   in Loop: Header=BB236_29 Depth=1
	s_wait_alu 0xfffe
	s_or_b32 exec_lo, exec_lo, s8
	global_load_b32 v60, v[9:10], off offset:640
	s_wait_loadcnt 0x0
	v_lshrrev_b32_e32 v62, 16, v60
	s_delay_alu instid0(VALU_DEP_1) | instskip(SKIP_1) | instid1(VALU_DEP_1)
	v_cvt_pk_f32_fp8_e32 v[64:65], v62
	v_and_b32_e32 v61, 0xffff, v60
	v_cvt_pk_f32_fp8_e32 v[60:61], v61
	s_delay_alu instid0(VALU_DEP_1) | instskip(NEXT) | instid1(VALU_DEP_4)
	v_dual_mul_f32 v63, s3, v60 :: v_dual_mul_f32 v62, s6, v61
	v_dual_mul_f32 v61, s3, v64 :: v_dual_mul_f32 v60, s6, v65
	s_and_saveexec_b32 s8, vcc_lo
	s_cbranch_execz .LBB236_41
; %bb.40:                               ;   in Loop: Header=BB236_29 Depth=1
	v_cmp_gt_i32_e64 s0, s27, v56
	s_wait_alu 0xf1ff
	s_delay_alu instid0(VALU_DEP_1) | instskip(SKIP_2) | instid1(VALU_DEP_1)
	v_cndmask_b32_e64 v63, 0, v63, s0
	v_cmp_gt_i32_e64 s0, s27, v58
	s_wait_alu 0xf1ff
	v_cndmask_b32_e64 v62, 0, v62, s0
	v_cmp_gt_i32_e64 s0, s27, v59
	s_wait_alu 0xf1ff
	s_delay_alu instid0(VALU_DEP_1) | instskip(SKIP_2) | instid1(VALU_DEP_1)
	v_cndmask_b32_e64 v61, 0, v61, s0
	v_cmp_gt_i32_e64 s0, s27, v35
	s_wait_alu 0xf1ff
	v_cndmask_b32_e64 v60, 0, v60, s0
.LBB236_41:                             ;   in Loop: Header=BB236_29 Depth=1
	s_wait_alu 0xfffe
	s_or_b32 exec_lo, exec_lo, s8
	global_load_b32 v64, v[9:10], off offset:768
	s_wait_loadcnt 0x0
	v_lshrrev_b32_e32 v66, 16, v64
	s_delay_alu instid0(VALU_DEP_1) | instskip(SKIP_1) | instid1(VALU_DEP_1)
	v_cvt_pk_f32_fp8_e32 v[68:69], v66
	v_and_b32_e32 v65, 0xffff, v64
	v_cvt_pk_f32_fp8_e32 v[64:65], v65
	s_delay_alu instid0(VALU_DEP_1) | instskip(NEXT) | instid1(VALU_DEP_4)
	v_dual_mul_f32 v67, s3, v64 :: v_dual_mul_f32 v66, s6, v65
	v_dual_mul_f32 v65, s3, v68 :: v_dual_mul_f32 v64, s6, v69
	;; [unrolled: 30-line block ×10, first 2 shown]
	s_and_saveexec_b32 s8, vcc_lo
	s_cbranch_execz .LBB236_59
; %bb.58:                               ;   in Loop: Header=BB236_29 Depth=1
	v_cmp_gt_i32_e64 s0, s27, v56
	s_wait_alu 0xf1ff
	s_delay_alu instid0(VALU_DEP_1) | instskip(SKIP_2) | instid1(VALU_DEP_1)
	v_cndmask_b32_e64 v99, 0, v99, s0
	v_cmp_gt_i32_e64 s0, s27, v58
	s_wait_alu 0xf1ff
	v_cndmask_b32_e64 v98, 0, v98, s0
	v_cmp_gt_i32_e64 s0, s27, v59
	s_wait_alu 0xf1ff
	s_delay_alu instid0(VALU_DEP_1) | instskip(SKIP_2) | instid1(VALU_DEP_1)
	v_cndmask_b32_e64 v97, 0, v97, s0
	v_cmp_gt_i32_e64 s0, s27, v35
	s_wait_alu 0xf1ff
	v_cndmask_b32_e64 v96, 0, v96, s0
.LBB236_59:                             ;   in Loop: Header=BB236_29 Depth=1
	s_wait_alu 0xfffe
	s_or_b32 exec_lo, exec_lo, s8
	global_load_b32 v100, v[9:10], off offset:1920
	s_wait_loadcnt 0x0
	v_and_b32_e32 v101, 0xffff, v100
	v_lshrrev_b32_e32 v102, 16, v100
	s_delay_alu instid0(VALU_DEP_2) | instskip(NEXT) | instid1(VALU_DEP_2)
	v_cvt_pk_f32_fp8_e32 v[100:101], v101
	v_cvt_pk_f32_fp8_e32 v[109:110], v102
	s_delay_alu instid0(VALU_DEP_1) | instskip(NEXT) | instid1(VALU_DEP_2)
	v_dual_mul_f32 v108, s3, v100 :: v_dual_mul_f32 v103, s3, v109
	v_dual_mul_f32 v104, s6, v101 :: v_dual_mul_f32 v101, s6, v110
	s_and_saveexec_b32 s8, vcc_lo
	s_cbranch_execz .LBB236_61
; %bb.60:                               ;   in Loop: Header=BB236_29 Depth=1
	v_cmp_gt_i32_e64 s0, s27, v56
	s_wait_alu 0xf1ff
	s_delay_alu instid0(VALU_DEP_1) | instskip(SKIP_2) | instid1(VALU_DEP_1)
	v_cndmask_b32_e64 v108, 0, v108, s0
	v_cmp_gt_i32_e64 s0, s27, v58
	s_wait_alu 0xf1ff
	v_cndmask_b32_e64 v104, 0, v104, s0
	v_cmp_gt_i32_e64 s0, s27, v59
	s_wait_alu 0xf1ff
	s_delay_alu instid0(VALU_DEP_1) | instskip(SKIP_2) | instid1(VALU_DEP_1)
	v_cndmask_b32_e64 v103, 0, v103, s0
	v_cmp_gt_i32_e64 s0, s27, v35
	s_wait_alu 0xf1ff
	v_cndmask_b32_e64 v101, 0, v101, s0
.LBB236_61:                             ;   in Loop: Header=BB236_29 Depth=1
	s_wait_alu 0xfffe
	s_or_b32 exec_lo, exec_lo, s8
	global_load_b32 v100, v[9:10], off offset:2048
	s_wait_loadcnt 0x0
	v_and_b32_e32 v102, 0xffff, v100
	v_lshrrev_b32_e32 v100, 16, v100
	s_delay_alu instid0(VALU_DEP_2) | instskip(NEXT) | instid1(VALU_DEP_2)
	v_cvt_pk_f32_fp8_e32 v[109:110], v102
	v_cvt_pk_f32_fp8_e32 v[113:114], v100
	s_delay_alu instid0(VALU_DEP_1) | instskip(NEXT) | instid1(VALU_DEP_2)
	v_dual_mul_f32 v112, s3, v109 :: v_dual_mul_f32 v109, s6, v114
	v_dual_mul_f32 v111, s6, v110 :: v_dual_mul_f32 v110, s3, v113
	;; [unrolled: 30-line block ×4, first 2 shown]
	s_and_saveexec_b32 s8, vcc_lo
	s_cbranch_execz .LBB236_67
; %bb.66:                               ;   in Loop: Header=BB236_29 Depth=1
	v_cmp_gt_i32_e64 s0, s27, v56
	s_wait_alu 0xf1ff
	s_delay_alu instid0(VALU_DEP_1) | instskip(SKIP_2) | instid1(VALU_DEP_1)
	v_cndmask_b32_e64 v120, 0, v120, s0
	v_cmp_gt_i32_e64 s0, s27, v58
	s_wait_alu 0xf1ff
	v_cndmask_b32_e64 v119, 0, v119, s0
	v_cmp_gt_i32_e64 s0, s27, v59
	s_wait_alu 0xf1ff
	s_delay_alu instid0(VALU_DEP_1) | instskip(SKIP_2) | instid1(VALU_DEP_1)
	v_cndmask_b32_e64 v118, 0, v118, s0
	v_cmp_gt_i32_e64 s0, s27, v35
	s_wait_alu 0xf1ff
	v_cndmask_b32_e64 v117, 0, v117, s0
.LBB236_67:                             ;   in Loop: Header=BB236_29 Depth=1
	s_wait_alu 0xfffe
	s_or_b32 exec_lo, exec_lo, s8
	global_load_b32 v9, v[9:10], off offset:2432
	s_wait_loadcnt 0x0
	v_lshrrev_b32_e32 v100, 16, v9
	s_delay_alu instid0(VALU_DEP_1) | instskip(SKIP_1) | instid1(VALU_DEP_1)
	v_cvt_pk_f32_fp8_e32 v[121:122], v100
	v_and_b32_e32 v10, 0xffff, v9
	v_cvt_pk_f32_fp8_e32 v[9:10], v10
	s_delay_alu instid0(VALU_DEP_1) | instskip(NEXT) | instid1(VALU_DEP_2)
	v_mul_f32_e32 v102, s3, v9
	v_mul_f32_e32 v100, s6, v10
	v_dual_mul_f32 v10, s3, v121 :: v_dual_mul_f32 v9, s6, v122
	s_and_saveexec_b32 s0, vcc_lo
	s_cbranch_execz .LBB236_28
; %bb.68:                               ;   in Loop: Header=BB236_29 Depth=1
	v_cmp_gt_i32_e32 vcc_lo, s27, v56
	s_wait_alu 0xfffd
	v_cndmask_b32_e32 v102, 0, v102, vcc_lo
	v_cmp_gt_i32_e32 vcc_lo, s27, v58
	s_wait_alu 0xfffd
	v_cndmask_b32_e32 v100, 0, v100, vcc_lo
	;; [unrolled: 3-line block ×4, first 2 shown]
	s_branch .LBB236_28
.LBB236_69:
	s_or_b32 exec_lo, exec_lo, s7
.LBB236_70:
	s_wait_alu 0xfffe
	s_or_b32 exec_lo, exec_lo, s1
	ds_bpermute_b32 v7, v13, v28
	ds_bpermute_b32 v8, v13, v27
	ds_bpermute_b32 v1, v13, v32
	ds_bpermute_b32 v2, v13, v34
	ds_bpermute_b32 v3, v13, v33
	ds_bpermute_b32 v9, v13, v26
	ds_bpermute_b32 v10, v13, v25
	ds_bpermute_b32 v4, v13, v31
	ds_bpermute_b32 v5, v13, v30
	ds_bpermute_b32 v6, v13, v29
	ds_bpermute_b32 v36, v13, v23
	ds_bpermute_b32 v35, v13, v24
	ds_bpermute_b32 v37, v13, v22
	ds_bpermute_b32 v38, v13, v21
	ds_bpermute_b32 v39, v13, v20
	ds_bpermute_b32 v40, v13, v19
	ds_bpermute_b32 v41, v13, v18
	s_mov_b32 s0, exec_lo
	s_wait_storecnt 0x0
	s_wait_loadcnt_dscnt 0x0
	s_barrier_signal -1
	v_dual_add_f32 v7, v28, v7 :: v_dual_add_f32 v8, v27, v8
	v_dual_add_f32 v1, v32, v1 :: v_dual_add_f32 v2, v34, v2
	v_add_f32_e32 v3, v33, v3
	ds_bpermute_b32 v34, v12, v7
	v_dual_add_f32 v9, v26, v9 :: v_dual_add_f32 v10, v25, v10
	ds_bpermute_b32 v26, v13, v17
	ds_bpermute_b32 v27, v13, v16
	ds_bpermute_b32 v25, v12, v8
	ds_bpermute_b32 v13, v13, v15
	v_dual_add_f32 v4, v31, v4 :: v_dual_add_f32 v5, v30, v5
	v_add_f32_e32 v6, v29, v6
	ds_bpermute_b32 v28, v12, v1
	ds_bpermute_b32 v29, v12, v2
	;; [unrolled: 1-line block ×4, first 2 shown]
	v_dual_add_f32 v23, v23, v36 :: v_dual_add_f32 v22, v22, v37
	v_dual_add_f32 v21, v21, v38 :: v_dual_add_f32 v20, v20, v39
	;; [unrolled: 1-line block ×3, first 2 shown]
	s_wait_dscnt 0x8
	v_dual_add_f32 v7, v7, v34 :: v_dual_add_f32 v24, v24, v35
	ds_bpermute_b32 v34, v12, v10
	s_wait_dscnt 0x7
	v_dual_add_f32 v17, v17, v26 :: v_dual_add_f32 v16, v16, v27
	s_wait_dscnt 0x6
	v_add_f32_e32 v8, v8, v25
	ds_bpermute_b32 v36, v12, v23
	s_wait_dscnt 0x6
	v_add_f32_e32 v13, v15, v13
	ds_bpermute_b32 v32, v12, v5
	ds_bpermute_b32 v33, v12, v6
	;; [unrolled: 1-line block ×3, first 2 shown]
	s_wait_dscnt 0x7
	v_dual_add_f32 v1, v1, v28 :: v_dual_add_f32 v2, v2, v29
	s_wait_dscnt 0x5
	v_dual_add_f32 v3, v3, v30 :: v_dual_add_f32 v4, v4, v31
	ds_bpermute_b32 v25, v12, v24
	ds_bpermute_b32 v37, v12, v22
	;; [unrolled: 1-line block ×13, first 2 shown]
	s_wait_dscnt 0x10
	v_dual_add_f32 v10, v10, v34 :: v_dual_add_f32 v23, v23, v36
	s_wait_dscnt 0xe
	v_dual_add_f32 v5, v5, v32 :: v_dual_add_f32 v6, v6, v33
	s_wait_dscnt 0xd
	v_add_f32_e32 v9, v9, v42
	ds_bpermute_b32 v31, v11, v4
	ds_bpermute_b32 v36, v11, v10
	s_wait_dscnt 0xe
	v_add_f32_e32 v24, v24, v25
	s_wait_dscnt 0xc
	v_dual_add_f32 v22, v22, v37 :: v_dual_add_f32 v21, v21, v38
	ds_bpermute_b32 v37, v11, v23
	s_wait_dscnt 0xb
	v_dual_add_f32 v20, v20, v39 :: v_dual_add_f32 v19, v19, v40
	s_wait_dscnt 0x8
	v_dual_add_f32 v18, v18, v26 :: v_dual_add_f32 v27, v16, v27
	v_add_f32_e32 v42, v17, v15
	s_wait_dscnt 0x7
	v_add_f32_e32 v44, v13, v12
	ds_bpermute_b32 v32, v11, v5
	ds_bpermute_b32 v33, v11, v6
	;; [unrolled: 1-line block ×10, first 2 shown]
	s_wait_dscnt 0xf
	v_dual_add_f32 v1, v1, v28 :: v_dual_add_f32 v2, v2, v29
	ds_bpermute_b32 v29, v11, v27
	s_wait_dscnt 0xf
	v_add_f32_e32 v3, v3, v30
	ds_bpermute_b32 v28, v11, v42
	s_wait_dscnt 0xf
	v_add_f32_e32 v7, v7, v35
	;; [unrolled: 3-line block ×3, first 2 shown]
	v_lshrrev_b32_e32 v23, 3, v106
	s_wait_dscnt 0xc
	v_dual_add_f32 v4, v4, v31 :: v_dual_add_f32 v5, v5, v32
	s_wait_dscnt 0xb
	v_add_f32_e32 v6, v6, v33
	s_wait_dscnt 0x9
	v_dual_add_f32 v8, v8, v25 :: v_dual_add_f32 v9, v9, v34
	s_wait_dscnt 0x8
	v_dual_add_f32 v10, v10, v36 :: v_dual_add_f32 v11, v24, v41
	s_wait_dscnt 0x7
	v_add_f32_e32 v13, v22, v38
	s_wait_dscnt 0x5
	v_dual_add_f32 v15, v21, v26 :: v_dual_add_f32 v16, v20, v39
	s_wait_dscnt 0x3
	v_dual_add_f32 v17, v19, v40 :: v_dual_add_f32 v18, v18, v43
	s_wait_dscnt 0x2
	v_dual_add_f32 v20, v27, v29 :: v_dual_and_b32 v25, 0x3c7, v0
	v_lshl_add_u32 v22, v23, 2, 0x160
	s_wait_dscnt 0x1
	v_add_f32_e32 v19, v42, v28
	v_mul_u32_u24_e32 v24, 0x140, v191
	s_wait_dscnt 0x0
	v_add_f32_e32 v21, v44, v45
	s_barrier_wait -1
	global_inv scope:SCOPE_SE
	v_cmpx_eq_u32_e32 64, v25
	s_cbranch_execz .LBB236_72
; %bb.71:
	v_add_nc_u32_e32 v25, v22, v24
	s_delay_alu instid0(VALU_DEP_1)
	v_add_nc_u32_e32 v26, 0xfffffd80, v25
	v_add_nc_u32_e32 v27, 0xfffffd90, v25
	;; [unrolled: 1-line block ×8, first 2 shown]
	ds_store_b32 v26, v1
	ds_store_b32 v27, v2
	;; [unrolled: 1-line block ×8, first 2 shown]
	v_add_nc_u32_e32 v26, 0xfffffe00, v25
	v_add_nc_u32_e32 v27, 0xfffffe10, v25
	;; [unrolled: 1-line block ×12, first 2 shown]
	ds_store_b32 v26, v9
	ds_store_b32 v27, v10
	;; [unrolled: 1-line block ×12, first 2 shown]
.LBB236_72:
	s_wait_alu 0xfffe
	s_or_b32 exec_lo, exec_lo, s0
	v_lshlrev_b32_e32 v23, 2, v23
	v_cmp_eq_u32_e32 vcc_lo, 0, v14
	s_mov_b32 s1, exec_lo
	s_wait_loadcnt_dscnt 0x0
	s_barrier_signal -1
	v_add3_u32 v14, 0x160, v24, v23
	s_barrier_wait -1
	global_inv scope:SCOPE_SE
	v_cmpx_gt_u32_e32 64, v0
	s_cbranch_execz .LBB236_95
; %bb.73:
	s_and_saveexec_b32 s0, vcc_lo
	s_cbranch_execnz .LBB236_123
; %bb.74:
	s_wait_alu 0xfffe
	s_or_b32 exec_lo, exec_lo, s0
	s_and_saveexec_b32 s0, vcc_lo
	s_cbranch_execnz .LBB236_124
.LBB236_75:
	s_wait_alu 0xfffe
	s_or_b32 exec_lo, exec_lo, s0
	s_and_saveexec_b32 s0, vcc_lo
	s_cbranch_execnz .LBB236_125
.LBB236_76:
	s_wait_alu 0xfffe
	s_or_b32 exec_lo, exec_lo, s0
	s_and_saveexec_b32 s0, vcc_lo
	s_cbranch_execnz .LBB236_126
.LBB236_77:
	s_wait_alu 0xfffe
	s_or_b32 exec_lo, exec_lo, s0
	s_and_saveexec_b32 s0, vcc_lo
	s_cbranch_execnz .LBB236_127
.LBB236_78:
	s_wait_alu 0xfffe
	s_or_b32 exec_lo, exec_lo, s0
	s_and_saveexec_b32 s0, vcc_lo
	s_cbranch_execnz .LBB236_128
.LBB236_79:
	s_wait_alu 0xfffe
	s_or_b32 exec_lo, exec_lo, s0
	s_and_saveexec_b32 s0, vcc_lo
	s_cbranch_execnz .LBB236_129
.LBB236_80:
	s_wait_alu 0xfffe
	s_or_b32 exec_lo, exec_lo, s0
	s_and_saveexec_b32 s0, vcc_lo
	s_cbranch_execnz .LBB236_130
.LBB236_81:
	s_wait_alu 0xfffe
	s_or_b32 exec_lo, exec_lo, s0
	s_and_saveexec_b32 s0, vcc_lo
	s_cbranch_execnz .LBB236_131
.LBB236_82:
	s_wait_alu 0xfffe
	s_or_b32 exec_lo, exec_lo, s0
	s_and_saveexec_b32 s0, vcc_lo
	s_cbranch_execnz .LBB236_132
.LBB236_83:
	s_wait_alu 0xfffe
	s_or_b32 exec_lo, exec_lo, s0
	s_and_saveexec_b32 s0, vcc_lo
	s_cbranch_execnz .LBB236_133
.LBB236_84:
	s_wait_alu 0xfffe
	s_or_b32 exec_lo, exec_lo, s0
	s_and_saveexec_b32 s0, vcc_lo
	s_cbranch_execnz .LBB236_134
.LBB236_85:
	s_wait_alu 0xfffe
	s_or_b32 exec_lo, exec_lo, s0
	s_and_saveexec_b32 s0, vcc_lo
	s_cbranch_execnz .LBB236_135
.LBB236_86:
	s_wait_alu 0xfffe
	s_or_b32 exec_lo, exec_lo, s0
	s_and_saveexec_b32 s0, vcc_lo
	s_cbranch_execnz .LBB236_136
.LBB236_87:
	s_wait_alu 0xfffe
	s_or_b32 exec_lo, exec_lo, s0
	s_and_saveexec_b32 s0, vcc_lo
	s_cbranch_execnz .LBB236_137
.LBB236_88:
	s_wait_alu 0xfffe
	s_or_b32 exec_lo, exec_lo, s0
	s_and_saveexec_b32 s0, vcc_lo
	s_cbranch_execnz .LBB236_138
.LBB236_89:
	s_wait_alu 0xfffe
	s_or_b32 exec_lo, exec_lo, s0
	s_and_saveexec_b32 s0, vcc_lo
	s_cbranch_execnz .LBB236_139
.LBB236_90:
	s_wait_alu 0xfffe
	s_or_b32 exec_lo, exec_lo, s0
	s_and_saveexec_b32 s0, vcc_lo
	s_cbranch_execnz .LBB236_140
.LBB236_91:
	s_wait_alu 0xfffe
	s_or_b32 exec_lo, exec_lo, s0
	s_and_saveexec_b32 s0, vcc_lo
	s_cbranch_execnz .LBB236_141
.LBB236_92:
	s_wait_alu 0xfffe
	s_or_b32 exec_lo, exec_lo, s0
	s_and_saveexec_b32 s0, vcc_lo
	s_cbranch_execz .LBB236_94
.LBB236_93:
	ds_load_b32 v23, v14 offset:304
	s_wait_dscnt 0x0
	v_add_f32_e32 v21, v21, v23
.LBB236_94:
	s_wait_alu 0xfffe
	s_or_b32 exec_lo, exec_lo, s0
.LBB236_95:
	s_wait_alu 0xfffe
	s_or_b32 exec_lo, exec_lo, s1
	v_and_b32_e32 v23, 0x3e7, v0
	s_mov_b32 s1, exec_lo
	s_wait_loadcnt 0x0
	s_barrier_signal -1
	s_barrier_wait -1
	global_inv scope:SCOPE_SE
	v_cmpx_eq_u32_e32 32, v23
	s_cbranch_execz .LBB236_97
; %bb.96:
	ds_store_2addr_b32 v22, v1, v2 offset1:4
	ds_store_2addr_b32 v22, v3, v4 offset0:8 offset1:12
	ds_store_2addr_b32 v22, v5, v6 offset0:16 offset1:20
	;; [unrolled: 1-line block ×9, first 2 shown]
.LBB236_97:
	s_wait_alu 0xfffe
	s_or_b32 exec_lo, exec_lo, s1
	s_delay_alu instid0(SALU_CYCLE_1)
	s_mov_b32 s1, exec_lo
	s_wait_loadcnt_dscnt 0x0
	s_barrier_signal -1
	s_barrier_wait -1
	global_inv scope:SCOPE_SE
	v_cmpx_gt_u32_e32 32, v0
	s_cbranch_execz .LBB236_120
; %bb.98:
	s_and_saveexec_b32 s0, vcc_lo
	s_cbranch_execnz .LBB236_142
; %bb.99:
	s_wait_alu 0xfffe
	s_or_b32 exec_lo, exec_lo, s0
	s_and_saveexec_b32 s0, vcc_lo
	s_cbranch_execnz .LBB236_143
.LBB236_100:
	s_wait_alu 0xfffe
	s_or_b32 exec_lo, exec_lo, s0
	s_and_saveexec_b32 s0, vcc_lo
	s_cbranch_execnz .LBB236_144
.LBB236_101:
	s_wait_alu 0xfffe
	s_or_b32 exec_lo, exec_lo, s0
	s_and_saveexec_b32 s0, vcc_lo
	s_cbranch_execnz .LBB236_145
.LBB236_102:
	s_wait_alu 0xfffe
	s_or_b32 exec_lo, exec_lo, s0
	s_and_saveexec_b32 s0, vcc_lo
	s_cbranch_execnz .LBB236_146
.LBB236_103:
	s_wait_alu 0xfffe
	s_or_b32 exec_lo, exec_lo, s0
	s_and_saveexec_b32 s0, vcc_lo
	s_cbranch_execnz .LBB236_147
.LBB236_104:
	s_wait_alu 0xfffe
	s_or_b32 exec_lo, exec_lo, s0
	s_and_saveexec_b32 s0, vcc_lo
	s_cbranch_execnz .LBB236_148
.LBB236_105:
	s_wait_alu 0xfffe
	s_or_b32 exec_lo, exec_lo, s0
	s_and_saveexec_b32 s0, vcc_lo
	s_cbranch_execnz .LBB236_149
.LBB236_106:
	s_wait_alu 0xfffe
	s_or_b32 exec_lo, exec_lo, s0
	s_and_saveexec_b32 s0, vcc_lo
	s_cbranch_execnz .LBB236_150
.LBB236_107:
	s_wait_alu 0xfffe
	s_or_b32 exec_lo, exec_lo, s0
	s_and_saveexec_b32 s0, vcc_lo
	s_cbranch_execnz .LBB236_151
.LBB236_108:
	s_wait_alu 0xfffe
	s_or_b32 exec_lo, exec_lo, s0
	s_and_saveexec_b32 s0, vcc_lo
	s_cbranch_execnz .LBB236_152
.LBB236_109:
	s_wait_alu 0xfffe
	s_or_b32 exec_lo, exec_lo, s0
	s_and_saveexec_b32 s0, vcc_lo
	s_cbranch_execnz .LBB236_153
.LBB236_110:
	s_wait_alu 0xfffe
	s_or_b32 exec_lo, exec_lo, s0
	s_and_saveexec_b32 s0, vcc_lo
	s_cbranch_execnz .LBB236_154
.LBB236_111:
	s_wait_alu 0xfffe
	s_or_b32 exec_lo, exec_lo, s0
	s_and_saveexec_b32 s0, vcc_lo
	s_cbranch_execnz .LBB236_155
.LBB236_112:
	s_wait_alu 0xfffe
	s_or_b32 exec_lo, exec_lo, s0
	s_and_saveexec_b32 s0, vcc_lo
	s_cbranch_execnz .LBB236_156
.LBB236_113:
	s_wait_alu 0xfffe
	s_or_b32 exec_lo, exec_lo, s0
	s_and_saveexec_b32 s0, vcc_lo
	s_cbranch_execnz .LBB236_157
.LBB236_114:
	s_wait_alu 0xfffe
	s_or_b32 exec_lo, exec_lo, s0
	s_and_saveexec_b32 s0, vcc_lo
	s_cbranch_execnz .LBB236_158
.LBB236_115:
	s_wait_alu 0xfffe
	s_or_b32 exec_lo, exec_lo, s0
	s_and_saveexec_b32 s0, vcc_lo
	s_cbranch_execnz .LBB236_159
.LBB236_116:
	s_wait_alu 0xfffe
	s_or_b32 exec_lo, exec_lo, s0
	s_and_saveexec_b32 s0, vcc_lo
	s_cbranch_execnz .LBB236_160
.LBB236_117:
	s_wait_alu 0xfffe
	s_or_b32 exec_lo, exec_lo, s0
	s_and_saveexec_b32 s0, vcc_lo
	s_cbranch_execz .LBB236_119
.LBB236_118:
	ds_load_b32 v14, v14 offset:304
	s_wait_dscnt 0x0
	v_add_f32_e32 v21, v21, v14
.LBB236_119:
	s_wait_alu 0xfffe
	s_or_b32 exec_lo, exec_lo, s0
.LBB236_120:
	s_wait_alu 0xfffe
	s_or_b32 exec_lo, exec_lo, s1
	s_mov_b32 s1, 0
	s_wait_loadcnt 0x0
	s_barrier_signal -1
	s_barrier_wait -1
	global_inv scope:SCOPE_SE
	s_mov_b32 s0, exec_lo
	v_cmpx_eq_u32_e32 0, v23
	s_cbranch_execz .LBB236_122
; %bb.121:
	s_mul_i32 s2, s14, 0x50
	s_mul_i32 s6, s12, s16
	s_wait_alu 0xfffe
	s_ashr_i32 s3, s2, 31
	s_ashr_i32 s7, s6, 31
	s_wait_alu 0xfffe
	s_lshl_b64 s[2:3], s[2:3], 2
	s_lshl_b64 s[6:7], s[6:7], 2
	s_wait_kmcnt 0x0
	s_wait_alu 0xfffe
	s_add_nc_u64 s[2:3], s[4:5], s[2:3]
	v_lshrrev_b32_e32 v0, 1, v0
	s_mul_i32 s0, s26, 0x140
	s_wait_alu 0xfffe
	s_add_nc_u64 s[2:3], s[2:3], s[6:7]
	s_wait_alu 0xfffe
	s_add_nc_u64 s[0:1], s[2:3], s[0:1]
	s_clause 0x13
	global_store_b32 v0, v1, s[0:1]
	global_store_b32 v0, v2, s[0:1] offset:16
	global_store_b32 v0, v3, s[0:1] offset:32
	;; [unrolled: 1-line block ×19, first 2 shown]
.LBB236_122:
	s_nop 0
	s_sendmsg sendmsg(MSG_DEALLOC_VGPRS)
	s_endpgm
.LBB236_123:
	ds_load_b32 v23, v14
	s_wait_dscnt 0x0
	v_add_f32_e32 v1, v1, v23
	s_wait_alu 0xfffe
	s_or_b32 exec_lo, exec_lo, s0
	s_and_saveexec_b32 s0, vcc_lo
	s_cbranch_execz .LBB236_75
.LBB236_124:
	ds_load_b32 v23, v14 offset:16
	s_wait_dscnt 0x0
	v_add_f32_e32 v2, v2, v23
	s_wait_alu 0xfffe
	s_or_b32 exec_lo, exec_lo, s0
	s_and_saveexec_b32 s0, vcc_lo
	s_cbranch_execz .LBB236_76
.LBB236_125:
	ds_load_b32 v23, v14 offset:32
	s_wait_dscnt 0x0
	v_add_f32_e32 v3, v3, v23
	s_wait_alu 0xfffe
	s_or_b32 exec_lo, exec_lo, s0
	s_and_saveexec_b32 s0, vcc_lo
	s_cbranch_execz .LBB236_77
.LBB236_126:
	ds_load_b32 v23, v14 offset:48
	s_wait_dscnt 0x0
	v_add_f32_e32 v4, v4, v23
	s_wait_alu 0xfffe
	s_or_b32 exec_lo, exec_lo, s0
	s_and_saveexec_b32 s0, vcc_lo
	s_cbranch_execz .LBB236_78
.LBB236_127:
	ds_load_b32 v23, v14 offset:64
	s_wait_dscnt 0x0
	v_add_f32_e32 v5, v5, v23
	s_wait_alu 0xfffe
	s_or_b32 exec_lo, exec_lo, s0
	s_and_saveexec_b32 s0, vcc_lo
	s_cbranch_execz .LBB236_79
.LBB236_128:
	ds_load_b32 v23, v14 offset:80
	s_wait_dscnt 0x0
	v_add_f32_e32 v6, v6, v23
	s_wait_alu 0xfffe
	s_or_b32 exec_lo, exec_lo, s0
	s_and_saveexec_b32 s0, vcc_lo
	s_cbranch_execz .LBB236_80
.LBB236_129:
	ds_load_b32 v23, v14 offset:96
	s_wait_dscnt 0x0
	v_add_f32_e32 v7, v7, v23
	s_wait_alu 0xfffe
	s_or_b32 exec_lo, exec_lo, s0
	s_and_saveexec_b32 s0, vcc_lo
	s_cbranch_execz .LBB236_81
.LBB236_130:
	ds_load_b32 v23, v14 offset:112
	s_wait_dscnt 0x0
	v_add_f32_e32 v8, v8, v23
	s_wait_alu 0xfffe
	s_or_b32 exec_lo, exec_lo, s0
	s_and_saveexec_b32 s0, vcc_lo
	s_cbranch_execz .LBB236_82
.LBB236_131:
	ds_load_b32 v23, v14 offset:128
	s_wait_dscnt 0x0
	v_add_f32_e32 v9, v9, v23
	s_wait_alu 0xfffe
	s_or_b32 exec_lo, exec_lo, s0
	s_and_saveexec_b32 s0, vcc_lo
	s_cbranch_execz .LBB236_83
.LBB236_132:
	ds_load_b32 v23, v14 offset:144
	s_wait_dscnt 0x0
	v_add_f32_e32 v10, v10, v23
	s_wait_alu 0xfffe
	s_or_b32 exec_lo, exec_lo, s0
	s_and_saveexec_b32 s0, vcc_lo
	s_cbranch_execz .LBB236_84
.LBB236_133:
	ds_load_b32 v23, v14 offset:160
	s_wait_dscnt 0x0
	v_add_f32_e32 v11, v11, v23
	s_wait_alu 0xfffe
	s_or_b32 exec_lo, exec_lo, s0
	s_and_saveexec_b32 s0, vcc_lo
	s_cbranch_execz .LBB236_85
.LBB236_134:
	ds_load_b32 v23, v14 offset:176
	s_wait_dscnt 0x0
	v_add_f32_e32 v12, v12, v23
	s_wait_alu 0xfffe
	s_or_b32 exec_lo, exec_lo, s0
	s_and_saveexec_b32 s0, vcc_lo
	s_cbranch_execz .LBB236_86
.LBB236_135:
	ds_load_b32 v23, v14 offset:192
	s_wait_dscnt 0x0
	v_add_f32_e32 v13, v13, v23
	s_wait_alu 0xfffe
	s_or_b32 exec_lo, exec_lo, s0
	s_and_saveexec_b32 s0, vcc_lo
	s_cbranch_execz .LBB236_87
.LBB236_136:
	ds_load_b32 v23, v14 offset:208
	s_wait_dscnt 0x0
	v_add_f32_e32 v15, v15, v23
	s_wait_alu 0xfffe
	s_or_b32 exec_lo, exec_lo, s0
	s_and_saveexec_b32 s0, vcc_lo
	s_cbranch_execz .LBB236_88
.LBB236_137:
	ds_load_b32 v23, v14 offset:224
	s_wait_dscnt 0x0
	v_add_f32_e32 v16, v16, v23
	s_wait_alu 0xfffe
	s_or_b32 exec_lo, exec_lo, s0
	s_and_saveexec_b32 s0, vcc_lo
	s_cbranch_execz .LBB236_89
.LBB236_138:
	ds_load_b32 v23, v14 offset:240
	s_wait_dscnt 0x0
	v_add_f32_e32 v17, v17, v23
	s_wait_alu 0xfffe
	s_or_b32 exec_lo, exec_lo, s0
	s_and_saveexec_b32 s0, vcc_lo
	s_cbranch_execz .LBB236_90
.LBB236_139:
	ds_load_b32 v23, v14 offset:256
	s_wait_dscnt 0x0
	v_add_f32_e32 v18, v18, v23
	s_wait_alu 0xfffe
	s_or_b32 exec_lo, exec_lo, s0
	s_and_saveexec_b32 s0, vcc_lo
	s_cbranch_execz .LBB236_91
.LBB236_140:
	ds_load_b32 v23, v14 offset:272
	s_wait_dscnt 0x0
	v_add_f32_e32 v19, v19, v23
	s_wait_alu 0xfffe
	s_or_b32 exec_lo, exec_lo, s0
	s_and_saveexec_b32 s0, vcc_lo
	s_cbranch_execz .LBB236_92
.LBB236_141:
	ds_load_b32 v23, v14 offset:288
	s_wait_dscnt 0x0
	v_add_f32_e32 v20, v20, v23
	s_wait_alu 0xfffe
	s_or_b32 exec_lo, exec_lo, s0
	s_and_saveexec_b32 s0, vcc_lo
	s_cbranch_execnz .LBB236_93
	s_branch .LBB236_94
.LBB236_142:
	ds_load_b32 v22, v14
	s_wait_dscnt 0x0
	v_add_f32_e32 v1, v1, v22
	s_wait_alu 0xfffe
	s_or_b32 exec_lo, exec_lo, s0
	s_and_saveexec_b32 s0, vcc_lo
	s_cbranch_execz .LBB236_100
.LBB236_143:
	ds_load_b32 v22, v14 offset:16
	s_wait_dscnt 0x0
	v_add_f32_e32 v2, v2, v22
	s_wait_alu 0xfffe
	s_or_b32 exec_lo, exec_lo, s0
	s_and_saveexec_b32 s0, vcc_lo
	s_cbranch_execz .LBB236_101
.LBB236_144:
	ds_load_b32 v22, v14 offset:32
	s_wait_dscnt 0x0
	v_add_f32_e32 v3, v3, v22
	s_wait_alu 0xfffe
	s_or_b32 exec_lo, exec_lo, s0
	s_and_saveexec_b32 s0, vcc_lo
	s_cbranch_execz .LBB236_102
.LBB236_145:
	ds_load_b32 v22, v14 offset:48
	s_wait_dscnt 0x0
	v_add_f32_e32 v4, v4, v22
	s_wait_alu 0xfffe
	s_or_b32 exec_lo, exec_lo, s0
	s_and_saveexec_b32 s0, vcc_lo
	s_cbranch_execz .LBB236_103
.LBB236_146:
	ds_load_b32 v22, v14 offset:64
	s_wait_dscnt 0x0
	v_add_f32_e32 v5, v5, v22
	s_wait_alu 0xfffe
	s_or_b32 exec_lo, exec_lo, s0
	s_and_saveexec_b32 s0, vcc_lo
	s_cbranch_execz .LBB236_104
.LBB236_147:
	ds_load_b32 v22, v14 offset:80
	s_wait_dscnt 0x0
	v_add_f32_e32 v6, v6, v22
	s_wait_alu 0xfffe
	s_or_b32 exec_lo, exec_lo, s0
	s_and_saveexec_b32 s0, vcc_lo
	s_cbranch_execz .LBB236_105
.LBB236_148:
	ds_load_b32 v22, v14 offset:96
	s_wait_dscnt 0x0
	v_add_f32_e32 v7, v7, v22
	s_wait_alu 0xfffe
	s_or_b32 exec_lo, exec_lo, s0
	s_and_saveexec_b32 s0, vcc_lo
	s_cbranch_execz .LBB236_106
.LBB236_149:
	ds_load_b32 v22, v14 offset:112
	s_wait_dscnt 0x0
	v_add_f32_e32 v8, v8, v22
	s_wait_alu 0xfffe
	s_or_b32 exec_lo, exec_lo, s0
	s_and_saveexec_b32 s0, vcc_lo
	s_cbranch_execz .LBB236_107
.LBB236_150:
	ds_load_b32 v22, v14 offset:128
	s_wait_dscnt 0x0
	v_add_f32_e32 v9, v9, v22
	s_wait_alu 0xfffe
	s_or_b32 exec_lo, exec_lo, s0
	s_and_saveexec_b32 s0, vcc_lo
	s_cbranch_execz .LBB236_108
.LBB236_151:
	ds_load_b32 v22, v14 offset:144
	s_wait_dscnt 0x0
	v_add_f32_e32 v10, v10, v22
	s_wait_alu 0xfffe
	s_or_b32 exec_lo, exec_lo, s0
	s_and_saveexec_b32 s0, vcc_lo
	s_cbranch_execz .LBB236_109
.LBB236_152:
	ds_load_b32 v22, v14 offset:160
	s_wait_dscnt 0x0
	v_add_f32_e32 v11, v11, v22
	s_wait_alu 0xfffe
	s_or_b32 exec_lo, exec_lo, s0
	s_and_saveexec_b32 s0, vcc_lo
	s_cbranch_execz .LBB236_110
.LBB236_153:
	ds_load_b32 v22, v14 offset:176
	s_wait_dscnt 0x0
	v_add_f32_e32 v12, v12, v22
	s_wait_alu 0xfffe
	s_or_b32 exec_lo, exec_lo, s0
	s_and_saveexec_b32 s0, vcc_lo
	s_cbranch_execz .LBB236_111
.LBB236_154:
	ds_load_b32 v22, v14 offset:192
	s_wait_dscnt 0x0
	v_add_f32_e32 v13, v13, v22
	s_wait_alu 0xfffe
	s_or_b32 exec_lo, exec_lo, s0
	s_and_saveexec_b32 s0, vcc_lo
	s_cbranch_execz .LBB236_112
.LBB236_155:
	ds_load_b32 v22, v14 offset:208
	s_wait_dscnt 0x0
	v_add_f32_e32 v15, v15, v22
	s_wait_alu 0xfffe
	s_or_b32 exec_lo, exec_lo, s0
	s_and_saveexec_b32 s0, vcc_lo
	s_cbranch_execz .LBB236_113
.LBB236_156:
	ds_load_b32 v22, v14 offset:224
	s_wait_dscnt 0x0
	v_add_f32_e32 v16, v16, v22
	s_wait_alu 0xfffe
	s_or_b32 exec_lo, exec_lo, s0
	s_and_saveexec_b32 s0, vcc_lo
	s_cbranch_execz .LBB236_114
.LBB236_157:
	ds_load_b32 v22, v14 offset:240
	s_wait_dscnt 0x0
	v_add_f32_e32 v17, v17, v22
	s_wait_alu 0xfffe
	s_or_b32 exec_lo, exec_lo, s0
	s_and_saveexec_b32 s0, vcc_lo
	s_cbranch_execz .LBB236_115
.LBB236_158:
	ds_load_b32 v22, v14 offset:256
	s_wait_dscnt 0x0
	v_add_f32_e32 v18, v18, v22
	s_wait_alu 0xfffe
	s_or_b32 exec_lo, exec_lo, s0
	s_and_saveexec_b32 s0, vcc_lo
	s_cbranch_execz .LBB236_116
.LBB236_159:
	ds_load_b32 v22, v14 offset:272
	s_wait_dscnt 0x0
	v_add_f32_e32 v19, v19, v22
	s_wait_alu 0xfffe
	s_or_b32 exec_lo, exec_lo, s0
	s_and_saveexec_b32 s0, vcc_lo
	s_cbranch_execz .LBB236_117
.LBB236_160:
	ds_load_b32 v22, v14 offset:288
	s_wait_dscnt 0x0
	v_add_f32_e32 v20, v20, v22
	s_wait_alu 0xfffe
	s_or_b32 exec_lo, exec_lo, s0
	s_and_saveexec_b32 s0, vcc_lo
	s_cbranch_execnz .LBB236_118
	s_branch .LBB236_119
	.section	.rodata,"a",@progbits
	.p2align	6, 0x0
	.amdhsa_kernel _ZN4vllm25paged_attention_v2_kernelIfhLi80ELi32ELi128ELNS_18Fp8KVCacheDataTypeE1ELb0ELi512EEEvPfS2_PT_PKS3_PKT0_S9_ifPKiSB_iPKfiiiSD_SD_iiiii
		.amdhsa_group_segment_fixed_size 352
		.amdhsa_private_segment_fixed_size 40
		.amdhsa_kernarg_size 400
		.amdhsa_user_sgpr_count 2
		.amdhsa_user_sgpr_dispatch_ptr 0
		.amdhsa_user_sgpr_queue_ptr 0
		.amdhsa_user_sgpr_kernarg_segment_ptr 1
		.amdhsa_user_sgpr_dispatch_id 0
		.amdhsa_user_sgpr_private_segment_size 0
		.amdhsa_wavefront_size32 1
		.amdhsa_uses_dynamic_stack 0
		.amdhsa_enable_private_segment 1
		.amdhsa_system_sgpr_workgroup_id_x 1
		.amdhsa_system_sgpr_workgroup_id_y 1
		.amdhsa_system_sgpr_workgroup_id_z 1
		.amdhsa_system_sgpr_workgroup_info 0
		.amdhsa_system_vgpr_workitem_id 0
		.amdhsa_next_free_vgpr 192
		.amdhsa_next_free_sgpr 36
		.amdhsa_reserve_vcc 1
		.amdhsa_float_round_mode_32 0
		.amdhsa_float_round_mode_16_64 0
		.amdhsa_float_denorm_mode_32 3
		.amdhsa_float_denorm_mode_16_64 3
		.amdhsa_fp16_overflow 0
		.amdhsa_workgroup_processor_mode 1
		.amdhsa_memory_ordered 1
		.amdhsa_forward_progress 1
		.amdhsa_inst_pref_size 92
		.amdhsa_round_robin_scheduling 0
		.amdhsa_exception_fp_ieee_invalid_op 0
		.amdhsa_exception_fp_denorm_src 0
		.amdhsa_exception_fp_ieee_div_zero 0
		.amdhsa_exception_fp_ieee_overflow 0
		.amdhsa_exception_fp_ieee_underflow 0
		.amdhsa_exception_fp_ieee_inexact 0
		.amdhsa_exception_int_div_zero 0
	.end_amdhsa_kernel
	.section	.text._ZN4vllm25paged_attention_v2_kernelIfhLi80ELi32ELi128ELNS_18Fp8KVCacheDataTypeE1ELb0ELi512EEEvPfS2_PT_PKS3_PKT0_S9_ifPKiSB_iPKfiiiSD_SD_iiiii,"axG",@progbits,_ZN4vllm25paged_attention_v2_kernelIfhLi80ELi32ELi128ELNS_18Fp8KVCacheDataTypeE1ELb0ELi512EEEvPfS2_PT_PKS3_PKT0_S9_ifPKiSB_iPKfiiiSD_SD_iiiii,comdat
.Lfunc_end236:
	.size	_ZN4vllm25paged_attention_v2_kernelIfhLi80ELi32ELi128ELNS_18Fp8KVCacheDataTypeE1ELb0ELi512EEEvPfS2_PT_PKS3_PKT0_S9_ifPKiSB_iPKfiiiSD_SD_iiiii, .Lfunc_end236-_ZN4vllm25paged_attention_v2_kernelIfhLi80ELi32ELi128ELNS_18Fp8KVCacheDataTypeE1ELb0ELi512EEEvPfS2_PT_PKS3_PKT0_S9_ifPKiSB_iPKfiiiSD_SD_iiiii
                                        ; -- End function
	.set _ZN4vllm25paged_attention_v2_kernelIfhLi80ELi32ELi128ELNS_18Fp8KVCacheDataTypeE1ELb0ELi512EEEvPfS2_PT_PKS3_PKT0_S9_ifPKiSB_iPKfiiiSD_SD_iiiii.num_vgpr, 192
	.set _ZN4vllm25paged_attention_v2_kernelIfhLi80ELi32ELi128ELNS_18Fp8KVCacheDataTypeE1ELb0ELi512EEEvPfS2_PT_PKS3_PKT0_S9_ifPKiSB_iPKfiiiSD_SD_iiiii.num_agpr, 0
	.set _ZN4vllm25paged_attention_v2_kernelIfhLi80ELi32ELi128ELNS_18Fp8KVCacheDataTypeE1ELb0ELi512EEEvPfS2_PT_PKS3_PKT0_S9_ifPKiSB_iPKfiiiSD_SD_iiiii.numbered_sgpr, 36
	.set _ZN4vllm25paged_attention_v2_kernelIfhLi80ELi32ELi128ELNS_18Fp8KVCacheDataTypeE1ELb0ELi512EEEvPfS2_PT_PKS3_PKT0_S9_ifPKiSB_iPKfiiiSD_SD_iiiii.num_named_barrier, 0
	.set _ZN4vllm25paged_attention_v2_kernelIfhLi80ELi32ELi128ELNS_18Fp8KVCacheDataTypeE1ELb0ELi512EEEvPfS2_PT_PKS3_PKT0_S9_ifPKiSB_iPKfiiiSD_SD_iiiii.private_seg_size, 40
	.set _ZN4vllm25paged_attention_v2_kernelIfhLi80ELi32ELi128ELNS_18Fp8KVCacheDataTypeE1ELb0ELi512EEEvPfS2_PT_PKS3_PKT0_S9_ifPKiSB_iPKfiiiSD_SD_iiiii.uses_vcc, 1
	.set _ZN4vllm25paged_attention_v2_kernelIfhLi80ELi32ELi128ELNS_18Fp8KVCacheDataTypeE1ELb0ELi512EEEvPfS2_PT_PKS3_PKT0_S9_ifPKiSB_iPKfiiiSD_SD_iiiii.uses_flat_scratch, 0
	.set _ZN4vllm25paged_attention_v2_kernelIfhLi80ELi32ELi128ELNS_18Fp8KVCacheDataTypeE1ELb0ELi512EEEvPfS2_PT_PKS3_PKT0_S9_ifPKiSB_iPKfiiiSD_SD_iiiii.has_dyn_sized_stack, 0
	.set _ZN4vllm25paged_attention_v2_kernelIfhLi80ELi32ELi128ELNS_18Fp8KVCacheDataTypeE1ELb0ELi512EEEvPfS2_PT_PKS3_PKT0_S9_ifPKiSB_iPKfiiiSD_SD_iiiii.has_recursion, 0
	.set _ZN4vllm25paged_attention_v2_kernelIfhLi80ELi32ELi128ELNS_18Fp8KVCacheDataTypeE1ELb0ELi512EEEvPfS2_PT_PKS3_PKT0_S9_ifPKiSB_iPKfiiiSD_SD_iiiii.has_indirect_call, 0
	.section	.AMDGPU.csdata,"",@progbits
; Kernel info:
; codeLenInByte = 11676
; TotalNumSgprs: 38
; NumVgprs: 192
; ScratchSize: 40
; MemoryBound: 0
; FloatMode: 240
; IeeeMode: 1
; LDSByteSize: 352 bytes/workgroup (compile time only)
; SGPRBlocks: 0
; VGPRBlocks: 23
; NumSGPRsForWavesPerEU: 38
; NumVGPRsForWavesPerEU: 192
; Occupancy: 8
; WaveLimiterHint : 1
; COMPUTE_PGM_RSRC2:SCRATCH_EN: 1
; COMPUTE_PGM_RSRC2:USER_SGPR: 2
; COMPUTE_PGM_RSRC2:TRAP_HANDLER: 0
; COMPUTE_PGM_RSRC2:TGID_X_EN: 1
; COMPUTE_PGM_RSRC2:TGID_Y_EN: 1
; COMPUTE_PGM_RSRC2:TGID_Z_EN: 1
; COMPUTE_PGM_RSRC2:TIDIG_COMP_CNT: 0
	.section	.text._ZN4vllm25paged_attention_v2_kernelIfhLi96ELi32ELi128ELNS_18Fp8KVCacheDataTypeE1ELb0ELi512EEEvPfS2_PT_PKS3_PKT0_S9_ifPKiSB_iPKfiiiSD_SD_iiiii,"axG",@progbits,_ZN4vllm25paged_attention_v2_kernelIfhLi96ELi32ELi128ELNS_18Fp8KVCacheDataTypeE1ELb0ELi512EEEvPfS2_PT_PKS3_PKT0_S9_ifPKiSB_iPKfiiiSD_SD_iiiii,comdat
	.protected	_ZN4vllm25paged_attention_v2_kernelIfhLi96ELi32ELi128ELNS_18Fp8KVCacheDataTypeE1ELb0ELi512EEEvPfS2_PT_PKS3_PKT0_S9_ifPKiSB_iPKfiiiSD_SD_iiiii ; -- Begin function _ZN4vllm25paged_attention_v2_kernelIfhLi96ELi32ELi128ELNS_18Fp8KVCacheDataTypeE1ELb0ELi512EEEvPfS2_PT_PKS3_PKT0_S9_ifPKiSB_iPKfiiiSD_SD_iiiii
	.globl	_ZN4vllm25paged_attention_v2_kernelIfhLi96ELi32ELi128ELNS_18Fp8KVCacheDataTypeE1ELb0ELi512EEEvPfS2_PT_PKS3_PKT0_S9_ifPKiSB_iPKfiiiSD_SD_iiiii
	.p2align	8
	.type	_ZN4vllm25paged_attention_v2_kernelIfhLi96ELi32ELi128ELNS_18Fp8KVCacheDataTypeE1ELb0ELi512EEEvPfS2_PT_PKS3_PKT0_S9_ifPKiSB_iPKfiiiSD_SD_iiiii,@function
_ZN4vllm25paged_attention_v2_kernelIfhLi96ELi32ELi128ELNS_18Fp8KVCacheDataTypeE1ELb0ELi512EEEvPfS2_PT_PKS3_PKT0_S9_ifPKiSB_iPKfiiiSD_SD_iiiii: ; @_ZN4vllm25paged_attention_v2_kernelIfhLi96ELi32ELi128ELNS_18Fp8KVCacheDataTypeE1ELb0ELi512EEEvPfS2_PT_PKS3_PKT0_S9_ifPKiSB_iPKfiiiSD_SD_iiiii
; %bb.0:
	s_load_b64 s[2:3], s[0:1], 0x40
	s_and_b32 s15, ttmp7, 0xffff
	s_lshr_b32 s26, ttmp7, 16
	s_lshl_b32 s4, s15, 2
	s_lshl_b32 s28, s26, 9
	s_wait_kmcnt 0x0
	s_load_b32 s27, s[2:3], s4 offset:0x0
	s_wait_kmcnt 0x0
	s_cmp_ge_i32 s28, s27
	s_cbranch_scc1 .LBB237_138
; %bb.1:
	s_clause 0x1
	s_load_b32 s30, s[0:1], 0x90
	s_load_b64 s[8:9], s[0:1], 0x30
	v_mov_b32_e32 v102, v0
	s_wait_kmcnt 0x0
	s_abs_i32 s5, s30
	s_abs_i32 s2, s8
	s_delay_alu instid0(SALU_CYCLE_1) | instskip(SKIP_1) | instid1(SALU_CYCLE_2)
	s_cvt_f32_u32 s3, s2
	s_sub_co_i32 s4, 0, s2
	v_rcp_iflag_f32_e32 v1, s3
	s_delay_alu instid0(TRANS32_DEP_1) | instskip(SKIP_2) | instid1(SALU_CYCLE_2)
	v_readfirstlane_b32 s3, v1
	s_mul_f32 s3, s3, 0x4f7ffffe
	s_wait_alu 0xfffe
	s_cvt_u32_f32 s3, s3
	s_wait_alu 0xfffe
	s_delay_alu instid0(SALU_CYCLE_2) | instskip(NEXT) | instid1(SALU_CYCLE_1)
	s_mul_i32 s4, s4, s3
	s_mul_hi_u32 s4, s3, s4
	s_delay_alu instid0(SALU_CYCLE_1)
	s_add_co_i32 s3, s3, s4
	s_xor_b32 s4, s30, s8
	s_wait_alu 0xfffe
	s_mul_hi_u32 s3, s5, s3
	s_ashr_i32 s4, s4, 31
	s_wait_alu 0xfffe
	s_mul_i32 s6, s3, s2
	s_delay_alu instid0(SALU_CYCLE_1)
	s_sub_co_i32 s5, s5, s6
	s_add_co_i32 s6, s3, 1
	s_sub_co_i32 s7, s5, s2
	s_cmp_ge_u32 s5, s2
	s_cselect_b32 s3, s6, s3
	s_cselect_b32 s5, s7, s5
	s_wait_alu 0xfffe
	s_add_co_i32 s6, s3, 1
	s_cmp_ge_u32 s5, s2
	s_cselect_b32 s2, s6, s3
	s_load_b64 s[6:7], s[0:1], 0x50
	s_xor_b32 s2, s2, s4
	s_mov_b32 s3, 0
	s_wait_alu 0xfffe
	s_sub_co_i32 s11, s2, s4
	s_mov_b32 s8, s3
	s_abs_i32 s10, s11
	s_delay_alu instid0(SALU_CYCLE_1) | instskip(SKIP_1) | instid1(SALU_CYCLE_2)
	s_cvt_f32_u32 s2, s10
	s_wait_alu 0xfffe
	v_rcp_iflag_f32_e32 v1, s2
	s_delay_alu instid0(TRANS32_DEP_1) | instskip(SKIP_2) | instid1(SALU_CYCLE_2)
	v_readfirstlane_b32 s2, v1
	s_mul_f32 s2, s2, 0x4f7ffffe
	s_wait_alu 0xfffe
	s_cvt_u32_f32 s4, s2
	s_sub_co_i32 s2, 0, s10
	s_wait_alu 0xfffe
	s_delay_alu instid0(SALU_CYCLE_1)
	s_mul_i32 s2, s2, s4
	s_wait_alu 0xfffe
	s_mul_hi_u32 s5, s4, s2
	s_abs_i32 s2, ttmp9
	s_add_co_i32 s4, s4, s5
	s_mov_b32 s5, s3
	s_wait_kmcnt 0x0
	s_cmp_eq_u64 s[6:7], 0
	s_cbranch_scc1 .LBB237_3
; %bb.2:
	s_mov_b32 s12, ttmp9
	s_ashr_i32 s13, ttmp9, 31
	s_delay_alu instid0(SALU_CYCLE_1) | instskip(NEXT) | instid1(SALU_CYCLE_1)
	s_lshl_b64 s[12:13], s[12:13], 2
	s_add_nc_u64 s[6:7], s[6:7], s[12:13]
	s_load_b32 s8, s[6:7], 0x0
.LBB237_3:
	s_load_b96 s[12:14], s[0:1], 0x58
	s_mul_u64 s[4:5], s[2:3], s[4:5]
	s_ashr_i32 s3, ttmp9, 31
	s_ashr_i32 s4, s11, 31
	s_mul_i32 s16, ttmp9, 0x60
	s_mov_b32 s6, exec_lo
	v_cmpx_gt_u32_e32 24, v102
	s_cbranch_execz .LBB237_5
; %bb.4:
	s_load_b64 s[18:19], s[0:1], 0x18
	s_wait_kmcnt 0x0
	s_mul_i32 s20, s12, s15
	s_ashr_i32 s17, s16, 31
	s_ashr_i32 s21, s20, 31
	v_lshlrev_b32_e32 v5, 4, v102
	s_lshl_b64 s[20:21], s[20:21], 2
	s_delay_alu instid0(SALU_CYCLE_1) | instskip(SKIP_1) | instid1(SALU_CYCLE_1)
	s_add_nc_u64 s[18:19], s[18:19], s[20:21]
	s_lshl_b64 s[20:21], s[16:17], 2
	s_add_nc_u64 s[18:19], s[18:19], s[20:21]
	global_load_b128 v[1:4], v5, s[18:19]
	s_wait_loadcnt 0x0
	ds_store_b128 v5, v[1:4]
.LBB237_5:
	s_or_b32 exec_lo, exec_lo, s6
	s_add_co_i32 s6, s27, 31
	s_lshl_b32 s31, s26, 4
	s_ashr_i32 s7, s6, 31
	s_wait_alu 0xfffe
	s_xor_b32 s3, s3, s4
	s_lshr_b32 s7, s7, 27
	s_add_co_i32 s4, s31, 16
	s_add_co_i32 s6, s6, s7
	s_clause 0x1
	s_load_b64 s[18:19], s[0:1], 0x38
	s_load_b32 s11, s[0:1], 0x48
	s_ashr_i32 s29, s6, 5
	s_mul_i32 s6, s5, s10
	s_min_i32 s17, s4, s29
	s_sub_co_i32 s2, s2, s6
	s_add_co_i32 s4, s5, 1
	s_wait_alu 0xfffe
	s_sub_co_i32 s6, s2, s10
	s_cmp_ge_u32 s2, s10
	v_lshrrev_b32_e32 v103, 5, v102
	s_cselect_b32 s20, s4, s5
	s_cselect_b32 s2, s6, s2
	s_wait_kmcnt 0x0
	s_clause 0x1
	s_load_b32 s12, s[0:1], 0x98
	s_load_b128 s[4:7], s[0:1], 0x68
	s_add_co_i32 s21, s20, 1
	s_cmp_ge_u32 s2, s10
	v_dual_mov_b32 v106, 0xff7fffff :: v_dual_and_b32 v143, 31, v102
	v_add_nc_u32_e32 v144, s31, v103
	s_cselect_b32 s2, s21, s20
	s_wait_dscnt 0x0
	s_wait_alu 0xfffe
	s_xor_b32 s2, s2, s3
	v_lshlrev_b32_e32 v10, 2, v143
	s_wait_alu 0xfffe
	s_sub_co_i32 s3, s2, s3
	v_cmp_gt_i32_e64 s2, s17, v144
	v_lshlrev_b32_e32 v9, 2, v144
	s_mul_i32 s20, s11, s15
	s_wait_alu 0xfffe
	s_mul_i32 s22, s3, s14
	s_ashr_i32 s21, s20, 31
	s_barrier_signal -1
	s_barrier_wait -1
	global_inv scope:SCOPE_SE
	s_and_saveexec_b32 s10, s2
	s_cbranch_execz .LBB237_9
; %bb.6:
	v_lshl_or_b32 v100, v103, 7, v10
	v_mov_b32_e32 v93, 0
	s_load_b64 s[24:25], s[0:1], 0x20
	s_wait_kmcnt 0x0
	s_load_b32 s5, s[4:5], 0x0
	v_dual_mov_b32 v106, 0xff7fffff :: v_dual_lshlrev_b32 v97, 4, v143
	v_add_nc_u32_e32 v108, 0x1a0, v100
	ds_load_b128 v[0:3], v93
	scratch_store_b32 off, v102, off offset:72 ; 4-byte Folded Spill
	s_ashr_i32 s23, s22, 31
	s_cmp_neq_f32 s8, 0
	v_lshlrev_b32_e32 v99, 5, v103
	v_mov_b32_e32 v139, v144
	v_mov_b32_e32 v109, v144
	s_cselect_b32 vcc_lo, -1, 0
	s_mov_b32 s11, s13
	v_add3_u32 v107, s28, v99, v143
	s_mov_b32 s14, 0
	s_add_nc_u64 s[24:25], s[24:25], s[22:23]
	s_wait_kmcnt 0x0
	s_mov_b32 s23, s5
	s_wait_dscnt 0x0
	scratch_store_b128 off, v[0:3], off     ; 16-byte Folded Spill
	ds_load_b128 v[0:3], v93 offset:16
	s_wait_dscnt 0x0
	scratch_store_b128 off, v[0:3], off offset:16 ; 16-byte Folded Spill
	ds_load_b128 v[0:3], v93 offset:32
	s_wait_dscnt 0x0
	scratch_store_b128 off, v[0:3], off offset:32 ; 16-byte Folded Spill
	;; [unrolled: 3-line block ×3, first 2 shown]
	ds_load_b128 v[154:157], v93 offset:64
	ds_load_b128 v[158:161], v93 offset:80
	;; [unrolled: 1-line block ×14, first 2 shown]
	s_clause 0x1
	scratch_store_b32 off, v103, off offset:76
	scratch_store_b32 off, v10, off offset:88
	ds_load_b128 v[73:76], v93 offset:288
	ds_load_b128 v[77:80], v93 offset:304
	;; [unrolled: 1-line block ×6, first 2 shown]
	v_add_co_u32 v0, s3, s24, v97
	s_wait_alu 0xf1ff
	v_add_co_ci_u32_e64 v1, null, s25, 0, s3
	s_lshl_b64 s[24:25], s[20:21], 2
	s_clause 0x2
	scratch_store_b32 off, v143, off offset:80
	scratch_store_b32 off, v9, off offset:84
	scratch_store_b64 off, v[0:1], off offset:64
	s_wait_alu 0xfffe
	s_add_nc_u64 s[24:25], s[18:19], s[24:25]
	s_wait_alu 0xfffe
	v_add_co_u32 v99, s3, s24, v9
	s_wait_alu 0xf1ff
	v_add_co_ci_u32_e64 v100, null, s25, 0, s3
	s_sub_co_i32 s24, 1, s27
.LBB237_7:                              ; =>This Inner Loop Header: Depth=1
	global_load_b32 v110, v[99:100], off
	s_clause 0x2
	scratch_load_b64 v[0:1], off, off offset:64
	scratch_load_b128 v[150:153], off, off offset:16
	scratch_load_b128 v[146:149], off, off
	v_cmp_gt_i32_e64 s3, s27, v107
	v_add_nc_u32_e32 v109, 4, v109
	s_delay_alu instid0(VALU_DEP_1)
	v_cmp_le_i32_e64 s4, s17, v109
	s_or_b32 s14, s4, s14
	s_wait_loadcnt 0x2
	v_mad_co_i64_i32 v[122:123], null, v110, s11, v[0:1]
	global_load_b128 v[118:121], v[122:123], off
	s_wait_loadcnt 0x0
	v_and_b32_e32 v117, 0xffff, v118
	v_lshrrev_b32_e32 v116, 16, v118
	v_and_b32_e32 v115, 0xffff, v119
	v_lshrrev_b32_e32 v114, 16, v119
	v_and_b32_e32 v113, 0xffff, v120
	v_lshrrev_b32_e32 v112, 16, v120
	v_and_b32_e32 v111, 0xffff, v121
	v_lshrrev_b32_e32 v110, 16, v121
	global_load_b128 v[118:121], v[122:123], off offset:512
	s_wait_loadcnt 0x0
	v_and_b32_e32 v124, 0xffff, v118
	v_lshrrev_b32_e32 v125, 16, v118
	v_and_b32_e32 v126, 0xffff, v119
	v_lshrrev_b32_e32 v127, 16, v119
	v_and_b32_e32 v104, 0xffff, v120
	v_lshrrev_b32_e32 v101, 16, v120
	v_and_b32_e32 v102, 0xffff, v121
	v_lshrrev_b32_e32 v105, 16, v121
	global_load_b128 v[118:121], v[122:123], off offset:1024
	;; [unrolled: 10-line block ×5, first 2 shown]
	s_wait_loadcnt 0x0
	v_and_b32_e32 v22, 0xffff, v118
	v_lshrrev_b32_e32 v23, 16, v118
	v_cvt_pk_f32_fp8_e32 v[117:118], v117
	s_delay_alu instid0(VALU_DEP_1) | instskip(SKIP_1) | instid1(VALU_DEP_1)
	v_mul_f32_e32 v140, s5, v117
	v_cvt_pk_f32_fp8_e32 v[116:117], v116
	v_dual_mul_f32 v118, s23, v118 :: v_dual_mul_f32 v141, s5, v116
	v_cvt_pk_f32_fp8_e32 v[115:116], v115
	s_delay_alu instid0(VALU_DEP_1) | instskip(SKIP_1) | instid1(VALU_DEP_3)
	v_dual_mul_f32 v117, s23, v117 :: v_dual_mul_f32 v142, s5, v115
	v_cvt_pk_f32_fp8_e32 v[114:115], v114
	v_mul_f32_e32 v116, s23, v116
	s_delay_alu instid0(VALU_DEP_2) | instskip(SKIP_1) | instid1(VALU_DEP_4)
	v_mul_f32_e32 v162, s5, v114
	v_cvt_pk_f32_fp8_e32 v[113:114], v113
	v_mul_f32_e32 v115, s23, v115
	v_and_b32_e32 v123, 0xffff, v121
	v_lshrrev_b32_e32 v121, 16, v121
	s_delay_alu instid0(VALU_DEP_4) | instskip(SKIP_2) | instid1(VALU_DEP_2)
	v_mul_f32_e32 v163, s5, v113
	v_cvt_pk_f32_fp8_e32 v[112:113], v112
	v_dual_mul_f32 v115, v153, v115 :: v_dual_mul_f32 v114, s23, v114
	v_mul_f32_e32 v164, s5, v112
	v_cvt_pk_f32_fp8_e32 v[111:112], v111
	s_delay_alu instid0(VALU_DEP_4) | instskip(NEXT) | instid1(VALU_DEP_4)
	v_mul_f32_e32 v113, s23, v113
	v_fmac_f32_e32 v115, v149, v117
	s_delay_alu instid0(VALU_DEP_3) | instskip(SKIP_1) | instid1(VALU_DEP_1)
	v_mul_f32_e32 v165, s5, v111
	v_cvt_pk_f32_fp8_e32 v[110:111], v110
	v_dual_mul_f32 v166, s23, v111 :: v_dual_mul_f32 v167, s5, v110
	v_cvt_pk_f32_fp8_e32 v[110:111], v124
	s_delay_alu instid0(VALU_DEP_1) | instskip(NEXT) | instid1(VALU_DEP_2)
	v_mul_f32_e32 v124, s23, v111
	v_mul_f32_e32 v168, s5, v110
	v_cvt_pk_f32_fp8_e32 v[110:111], v125
	s_delay_alu instid0(VALU_DEP_1) | instskip(NEXT) | instid1(VALU_DEP_2)
	v_mul_f32_e32 v125, s23, v111
	v_mul_f32_e32 v169, s5, v110
	;; [unrolled: 4-line block ×7, first 2 shown]
	v_cvt_pk_f32_fp8_e32 v[110:111], v105
	v_and_b32_e32 v24, 0xffff, v119
	v_lshrrev_b32_e32 v119, 16, v119
	s_delay_alu instid0(VALU_DEP_3) | instskip(NEXT) | instid1(VALU_DEP_4)
	v_mul_f32_e32 v105, s23, v111
	v_mul_f32_e32 v175, s5, v110
	v_cvt_pk_f32_fp8_e32 v[110:111], v97
	s_delay_alu instid0(VALU_DEP_1) | instskip(SKIP_3) | instid1(VALU_DEP_3)
	v_dual_mul_f32 v97, s23, v111 :: v_dual_mul_f32 v176, s5, v110
	v_cvt_pk_f32_fp8_e32 v[110:111], v98
	v_and_b32_e32 v122, 0xffff, v120
	v_lshrrev_b32_e32 v120, 16, v120
	v_dual_mul_f32 v98, s23, v111 :: v_dual_mul_f32 v177, s5, v110
	v_cvt_pk_f32_fp8_e32 v[110:111], v103
	s_delay_alu instid0(VALU_DEP_1) | instskip(NEXT) | instid1(VALU_DEP_2)
	v_dual_mul_f32 v112, s23, v112 :: v_dual_mul_f32 v103, s23, v111
	v_mul_f32_e32 v178, s5, v110
	v_cvt_pk_f32_fp8_e32 v[110:111], v1
	s_delay_alu instid0(VALU_DEP_1) | instskip(NEXT) | instid1(VALU_DEP_2)
	v_mul_f32_e32 v1, s23, v111
	v_mul_f32_e32 v179, s5, v110
	v_cvt_pk_f32_fp8_e32 v[110:111], v2
	s_delay_alu instid0(VALU_DEP_1) | instskip(NEXT) | instid1(VALU_DEP_2)
	v_mul_f32_e32 v2, s23, v111
	;; [unrolled: 4-line block ×3, first 2 shown]
	v_mul_f32_e32 v181, s5, v110
	v_cvt_pk_f32_fp8_e32 v[110:111], v4
	v_mul_f32_e32 v116, v151, v116
	s_delay_alu instid0(VALU_DEP_2) | instskip(NEXT) | instid1(VALU_DEP_3)
	v_mul_f32_e32 v4, s23, v111
	v_mul_f32_e32 v182, s5, v110
	v_cvt_pk_f32_fp8_e32 v[110:111], v5
	s_delay_alu instid0(VALU_DEP_1) | instskip(NEXT) | instid1(VALU_DEP_2)
	v_dual_fmac_f32 v116, v147, v118 :: v_dual_mul_f32 v5, s23, v111
	v_mul_f32_e32 v183, s5, v110
	v_cvt_pk_f32_fp8_e32 v[110:111], v6
	s_delay_alu instid0(VALU_DEP_1) | instskip(NEXT) | instid1(VALU_DEP_2)
	v_mul_f32_e32 v6, s23, v111
	v_mul_f32_e32 v184, s5, v110
	v_cvt_pk_f32_fp8_e32 v[110:111], v7
	s_delay_alu instid0(VALU_DEP_1) | instskip(NEXT) | instid1(VALU_DEP_2)
	v_mul_f32_e32 v7, s23, v111
	v_mul_f32_e32 v185, s5, v110
	v_cvt_pk_f32_fp8_e32 v[110:111], v8
	s_delay_alu instid0(VALU_DEP_1) | instskip(NEXT) | instid1(VALU_DEP_2)
	v_mul_f32_e32 v8, s23, v111
	v_mul_f32_e32 v186, s5, v110
	v_cvt_pk_f32_fp8_e32 v[110:111], v9
	s_delay_alu instid0(VALU_DEP_1) | instskip(NEXT) | instid1(VALU_DEP_2)
	v_mul_f32_e32 v9, s23, v111
	v_mul_f32_e32 v187, s5, v110
	v_cvt_pk_f32_fp8_e32 v[110:111], v10
	v_mul_f32_e32 v118, v152, v162
	s_delay_alu instid0(VALU_DEP_2) | instskip(NEXT) | instid1(VALU_DEP_3)
	v_mul_f32_e32 v10, s23, v111
	v_mul_f32_e32 v188, s5, v110
	v_cvt_pk_f32_fp8_e32 v[110:111], v11
	s_delay_alu instid0(VALU_DEP_1) | instskip(NEXT) | instid1(VALU_DEP_2)
	v_dual_fmac_f32 v118, v148, v141 :: v_dual_mul_f32 v11, s23, v111
	v_mul_f32_e32 v189, s5, v110
	v_cvt_pk_f32_fp8_e32 v[110:111], v12
	s_delay_alu instid0(VALU_DEP_1) | instskip(NEXT) | instid1(VALU_DEP_2)
	v_mul_f32_e32 v12, s23, v111
	v_mul_f32_e32 v190, s5, v110
	v_cvt_pk_f32_fp8_e32 v[110:111], v13
	s_delay_alu instid0(VALU_DEP_1) | instskip(NEXT) | instid1(VALU_DEP_2)
	v_mul_f32_e32 v13, s23, v111
	;; [unrolled: 4-line block ×8, first 2 shown]
	v_mul_f32_e32 v131, s5, v110
	v_cvt_pk_f32_fp8_e32 v[110:111], v20
	s_delay_alu instid0(VALU_DEP_1) | instskip(SKIP_1) | instid1(VALU_DEP_1)
	v_dual_mul_f32 v20, s23, v111 :: v_dual_mul_f32 v145, s5, v110
	v_cvt_pk_f32_fp8_e32 v[110:111], v21
	v_dual_mul_f32 v21, s23, v111 :: v_dual_mul_f32 v0, s5, v110
	v_cvt_pk_f32_fp8_e32 v[110:111], v22
	s_delay_alu instid0(VALU_DEP_1) | instskip(NEXT) | instid1(VALU_DEP_2)
	v_mul_f32_e32 v22, s23, v111
	v_mul_f32_e32 v132, s5, v110
	v_cvt_pk_f32_fp8_e32 v[110:111], v23
	s_delay_alu instid0(VALU_DEP_1) | instskip(NEXT) | instid1(VALU_DEP_2)
	v_mul_f32_e32 v23, s23, v111
	v_mul_f32_e32 v133, s5, v110
	v_cvt_pk_f32_fp8_e32 v[110:111], v24
	s_delay_alu instid0(VALU_DEP_1) | instskip(NEXT) | instid1(VALU_DEP_2)
	v_mul_f32_e32 v24, s23, v111
	v_mul_f32_e32 v134, s5, v110
	v_cvt_pk_f32_fp8_e32 v[110:111], v119
	s_delay_alu instid0(VALU_DEP_1) | instskip(NEXT) | instid1(VALU_DEP_2)
	v_mul_f32_e32 v119, s23, v111
	v_mul_f32_e32 v135, s5, v110
	v_cvt_pk_f32_fp8_e32 v[110:111], v122
	s_delay_alu instid0(VALU_DEP_1) | instskip(NEXT) | instid1(VALU_DEP_2)
	v_mul_f32_e32 v122, s23, v111
	v_mul_f32_e32 v136, s5, v110
	v_cvt_pk_f32_fp8_e32 v[110:111], v120
	s_delay_alu instid0(VALU_DEP_1) | instskip(SKIP_1) | instid1(VALU_DEP_1)
	v_dual_mul_f32 v120, s23, v111 :: v_dual_mul_f32 v137, s5, v110
	v_cvt_pk_f32_fp8_e32 v[110:111], v123
	v_dual_mul_f32 v123, s23, v111 :: v_dual_mul_f32 v138, s5, v110
	v_cvt_pk_f32_fp8_e32 v[110:111], v121
	v_mul_f32_e32 v121, v150, v142
	s_delay_alu instid0(VALU_DEP_2) | instskip(NEXT) | instid1(VALU_DEP_2)
	v_mul_f32_e32 v111, s23, v111
	v_fmac_f32_e32 v121, v146, v140
	scratch_load_b128 v[146:149], off, off offset:32 ; 16-byte Folded Reload
	s_wait_loadcnt 0x0
	v_dual_fmac_f32 v121, v146, v163 :: v_dual_fmac_f32 v116, v147, v114
	v_dual_fmac_f32 v118, v148, v164 :: v_dual_fmac_f32 v115, v149, v113
	scratch_load_b128 v[146:149], off, off offset:48 ; 16-byte Folded Reload
	s_wait_loadcnt 0x0
	v_fmac_f32_e32 v121, v146, v165
	v_fmac_f32_e32 v115, v149, v166
	s_wait_dscnt 0x13
	s_delay_alu instid0(VALU_DEP_2) | instskip(NEXT) | instid1(VALU_DEP_2)
	v_fmac_f32_e32 v121, v154, v168
	v_fmac_f32_e32 v115, v157, v125
	s_wait_dscnt 0x12
	s_delay_alu instid0(VALU_DEP_2) | instskip(NEXT) | instid1(VALU_DEP_2)
	v_fmac_f32_e32 v121, v158, v170
	v_dual_fmac_f32 v115, v161, v127 :: v_dual_mul_f32 v110, s5, v110
	s_wait_dscnt 0x11
	s_delay_alu instid0(VALU_DEP_2) | instskip(NEXT) | instid1(VALU_DEP_2)
	v_fmac_f32_e32 v121, v25, v172
	v_fmac_f32_e32 v115, v28, v101
	s_wait_dscnt 0x10
	s_delay_alu instid0(VALU_DEP_2) | instskip(NEXT) | instid1(VALU_DEP_2)
	v_fmac_f32_e32 v121, v29, v174
	v_dual_fmac_f32 v115, v32, v105 :: v_dual_fmac_f32 v116, v147, v112
	s_wait_dscnt 0xf
	s_delay_alu instid0(VALU_DEP_2) | instskip(NEXT) | instid1(VALU_DEP_2)
	v_fmac_f32_e32 v121, v33, v176
	v_dual_fmac_f32 v115, v36, v98 :: v_dual_fmac_f32 v116, v155, v124
	s_wait_dscnt 0xe
	s_delay_alu instid0(VALU_DEP_2) | instskip(NEXT) | instid1(VALU_DEP_2)
	v_dual_fmac_f32 v121, v37, v178 :: v_dual_fmac_f32 v118, v148, v167
	v_dual_fmac_f32 v115, v40, v1 :: v_dual_fmac_f32 v116, v159, v126
	s_wait_alu 0xfffe
	v_add_nc_u32_e32 v1, s24, v107
	s_wait_dscnt 0xd
	v_dual_fmac_f32 v121, v41, v180 :: v_dual_fmac_f32 v118, v156, v169
	v_dual_fmac_f32 v115, v44, v3 :: v_dual_fmac_f32 v116, v26, v104
	s_delay_alu instid0(VALU_DEP_3) | instskip(SKIP_1) | instid1(VALU_DEP_3)
	v_cvt_f32_i32_e32 v1, v1
	s_wait_dscnt 0xc
	v_dual_fmac_f32 v121, v45, v182 :: v_dual_fmac_f32 v118, v160, v171
	s_delay_alu instid0(VALU_DEP_3)
	v_fmac_f32_e32 v115, v48, v5
	v_add_nc_u32_e32 v107, 0x80, v107
	v_mul_f32_e32 v1, s8, v1
	s_wait_dscnt 0xb
	v_dual_fmac_f32 v121, v49, v184 :: v_dual_fmac_f32 v118, v27, v173
	v_dual_fmac_f32 v115, v52, v7 :: v_dual_fmac_f32 v116, v30, v102
	s_delay_alu instid0(VALU_DEP_3) | instskip(SKIP_1) | instid1(VALU_DEP_3)
	v_cndmask_b32_e32 v1, 0, v1, vcc_lo
	s_wait_dscnt 0xa
	v_dual_fmac_f32 v121, v53, v186 :: v_dual_fmac_f32 v118, v31, v175
	s_delay_alu instid0(VALU_DEP_3) | instskip(SKIP_1) | instid1(VALU_DEP_2)
	v_fmac_f32_e32 v115, v56, v9
	s_wait_dscnt 0x9
	v_dual_fmac_f32 v116, v34, v97 :: v_dual_fmac_f32 v121, v57, v188
	s_delay_alu instid0(VALU_DEP_2) | instskip(SKIP_1) | instid1(VALU_DEP_2)
	v_dual_fmac_f32 v118, v35, v177 :: v_dual_fmac_f32 v115, v60, v11
	s_wait_dscnt 0x8
	v_dual_fmac_f32 v116, v38, v103 :: v_dual_fmac_f32 v121, v61, v190
	s_delay_alu instid0(VALU_DEP_2) | instskip(SKIP_1) | instid1(VALU_DEP_2)
	v_dual_fmac_f32 v118, v39, v179 :: v_dual_fmac_f32 v115, v64, v13
	s_wait_dscnt 0x7
	v_dual_fmac_f32 v116, v42, v2 :: v_dual_fmac_f32 v121, v65, v128
	s_delay_alu instid0(VALU_DEP_2) | instskip(NEXT) | instid1(VALU_DEP_2)
	v_dual_fmac_f32 v118, v43, v181 :: v_dual_fmac_f32 v115, v68, v15
	v_fmac_f32_e32 v116, v46, v4
	s_wait_dscnt 0x6
	s_delay_alu instid0(VALU_DEP_2) | instskip(NEXT) | instid1(VALU_DEP_2)
	v_dual_fmac_f32 v121, v69, v144 :: v_dual_fmac_f32 v118, v47, v183
	v_dual_fmac_f32 v115, v72, v17 :: v_dual_fmac_f32 v116, v50, v6
	s_wait_dscnt 0x5
	s_delay_alu instid0(VALU_DEP_2) | instskip(NEXT) | instid1(VALU_DEP_2)
	v_dual_fmac_f32 v121, v73, v130 :: v_dual_fmac_f32 v118, v51, v185
	v_dual_fmac_f32 v115, v76, v19 :: v_dual_fmac_f32 v116, v54, v8
	;; [unrolled: 4-line block ×5, first 2 shown]
	s_wait_dscnt 0x1
	s_delay_alu instid0(VALU_DEP_2) | instskip(NEXT) | instid1(VALU_DEP_2)
	v_dual_fmac_f32 v121, v89, v136 :: v_dual_fmac_f32 v118, v67, v143
	v_fmac_f32_e32 v115, v92, v120
	s_wait_dscnt 0x0
	s_delay_alu instid0(VALU_DEP_2) | instskip(NEXT) | instid1(VALU_DEP_2)
	v_dual_fmac_f32 v116, v70, v16 :: v_dual_fmac_f32 v121, v93, v138
	v_dual_fmac_f32 v118, v71, v129 :: v_dual_fmac_f32 v115, v96, v111
	s_delay_alu instid0(VALU_DEP_2) | instskip(NEXT) | instid1(VALU_DEP_2)
	v_fmac_f32_e32 v116, v74, v18
	v_fmac_f32_e32 v118, v75, v131
	s_delay_alu instid0(VALU_DEP_2) | instskip(NEXT) | instid1(VALU_DEP_2)
	v_fmac_f32_e32 v116, v78, v20
	v_fmac_f32_e32 v118, v79, v0
	;; [unrolled: 3-line block ×6, first 2 shown]
	s_delay_alu instid0(VALU_DEP_2) | instskip(NEXT) | instid1(VALU_DEP_1)
	v_add_f32_e32 v0, v121, v116
	v_add_f32_e32 v0, v118, v0
	s_delay_alu instid0(VALU_DEP_1) | instskip(NEXT) | instid1(VALU_DEP_1)
	v_add_f32_e32 v0, v115, v0
	v_dual_fmac_f32 v1, s9, v0 :: v_dual_max_num_f32 v0, v106, v106
	s_delay_alu instid0(VALU_DEP_1) | instskip(SKIP_1) | instid1(VALU_DEP_2)
	v_max_num_f32_e32 v0, v0, v1
	v_cndmask_b32_e64 v1, 0, v1, s3
	v_cndmask_b32_e64 v106, v106, v0, s3
	v_add_co_u32 v99, s3, v99, 16
	ds_store_b32 v108, v1
	s_wait_alu 0xf1ff
	v_add_co_ci_u32_e64 v100, null, 0, v100, s3
	v_add_nc_u32_e32 v108, 0x200, v108
	s_and_not1_b32 exec_lo, exec_lo, s14
	s_cbranch_execnz .LBB237_7
; %bb.8:
	s_or_b32 exec_lo, exec_lo, s14
	s_clause 0x4
	scratch_load_b32 v102, off, off offset:72
	scratch_load_b32 v103, off, off offset:76
	;; [unrolled: 1-line block ×5, first 2 shown]
	v_mov_b32_e32 v144, v139
.LBB237_9:
	s_or_b32 exec_lo, exec_lo, s10
	v_mbcnt_lo_u32_b32 v1, -1, 0
	s_load_b128 s[8:11], s[0:1], 0x0
	s_wait_kmcnt 0x0
	s_clause 0x1
	s_load_b64 s[4:5], s[0:1], 0x10
	s_load_b64 s[24:25], s[0:1], 0x28
	v_xor_b32_e32 v2, 16, v1
	v_xor_b32_e32 v4, 8, v1
	s_delay_alu instid0(VALU_DEP_2) | instskip(SKIP_2) | instid1(VALU_DEP_3)
	v_cmp_gt_i32_e32 vcc_lo, 32, v2
	s_wait_alu 0xfffd
	v_cndmask_b32_e32 v2, v1, v2, vcc_lo
	v_cmp_gt_i32_e32 vcc_lo, 32, v4
	v_max_num_f32_e32 v5, v106, v106
	s_delay_alu instid0(VALU_DEP_3)
	v_lshlrev_b32_e32 v2, 2, v2
	s_wait_alu 0xfffd
	v_cndmask_b32_e32 v4, v1, v4, vcc_lo
	ds_bpermute_b32 v3, v2, v106
	s_wait_dscnt 0x0
	v_dual_max_num_f32 v6, v3, v3 :: v_dual_lshlrev_b32 v3, 2, v4
	s_delay_alu instid0(VALU_DEP_1)
	v_max_num_f32_e32 v4, v5, v6
	v_xor_b32_e32 v6, 4, v1
	ds_bpermute_b32 v5, v3, v4
	v_cmp_gt_i32_e32 vcc_lo, 32, v6
	s_wait_alu 0xfffd
	v_cndmask_b32_e32 v6, v1, v6, vcc_lo
	s_wait_dscnt 0x0
	v_max_num_f32_e32 v5, v5, v5
	s_delay_alu instid0(VALU_DEP_2) | instskip(SKIP_1) | instid1(VALU_DEP_3)
	v_lshlrev_b32_e32 v13, 2, v6
	v_xor_b32_e32 v6, 2, v1
	v_max_num_f32_e32 v4, v4, v5
	s_delay_alu instid0(VALU_DEP_2) | instskip(SKIP_3) | instid1(VALU_DEP_1)
	v_cmp_gt_i32_e32 vcc_lo, 32, v6
	ds_bpermute_b32 v5, v13, v4
	s_wait_alu 0xfffd
	v_cndmask_b32_e32 v6, v1, v6, vcc_lo
	v_lshlrev_b32_e32 v12, 2, v6
	v_xor_b32_e32 v6, 1, v1
	s_delay_alu instid0(VALU_DEP_1)
	v_cmp_gt_i32_e32 vcc_lo, 32, v6
	s_wait_alu 0xfffd
	v_cndmask_b32_e32 v6, v1, v6, vcc_lo
	s_wait_loadcnt 0x2
	v_cmp_eq_u32_e32 vcc_lo, 0, v143
	s_wait_dscnt 0x0
	v_max_num_f32_e32 v5, v5, v5
	s_delay_alu instid0(VALU_DEP_1) | instskip(SKIP_3) | instid1(VALU_DEP_1)
	v_dual_max_num_f32 v4, v4, v5 :: v_dual_lshlrev_b32 v11, 2, v6
	ds_bpermute_b32 v5, v12, v4
	s_wait_dscnt 0x0
	v_max_num_f32_e32 v5, v5, v5
	v_max_num_f32_e32 v1, v4, v5
	v_lshlrev_b32_e32 v5, 2, v103
	ds_bpermute_b32 v4, v11, v1
	s_and_saveexec_b32 s0, vcc_lo
	s_cbranch_execz .LBB237_11
; %bb.10:
	s_wait_dscnt 0x0
	v_dual_max_num_f32 v0, v4, v4 :: v_dual_max_num_f32 v1, v1, v1
	s_delay_alu instid0(VALU_DEP_1)
	v_max_num_f32_e32 v0, v1, v0
	ds_store_b32 v5, v0 offset:384
.LBB237_11:
	s_or_b32 exec_lo, exec_lo, s0
	v_cmp_gt_u32_e64 s0, 4, v143
	v_mov_b32_e32 v1, 0xff7fffff
	s_wait_storecnt 0x0
	s_wait_loadcnt_dscnt 0x0
	s_barrier_signal -1
	s_barrier_wait -1
	global_inv scope:SCOPE_SE
	s_and_saveexec_b32 s1, s0
; %bb.12:
	ds_load_b32 v1, v10 offset:384
; %bb.13:
	s_or_b32 exec_lo, exec_lo, s1
	s_wait_dscnt 0x0
	ds_bpermute_b32 v0, v12, v1
	v_max_num_f32_e32 v1, v1, v1
	s_sub_co_i32 s1, s17, s31
	v_lshl_add_u32 v4, v102, 2, 0x1a0
	s_lshl_b32 s1, s1, 5
	v_mov_b32_e32 v6, 0
	s_add_co_i32 s1, s1, s28
	s_delay_alu instid0(SALU_CYCLE_1) | instskip(NEXT) | instid1(SALU_CYCLE_1)
	s_min_i32 s1, s1, s27
	s_sub_co_i32 s14, s1, s28
	s_delay_alu instid0(SALU_CYCLE_1) | instskip(SKIP_2) | instid1(VALU_DEP_1)
	v_cmp_gt_i32_e64 s1, s14, v102
	s_wait_dscnt 0x0
	v_max_num_f32_e32 v0, v0, v0
	v_max_num_f32_e32 v0, v1, v0
	ds_bpermute_b32 v1, v11, v0
	s_wait_dscnt 0x0
	v_max_num_f32_e32 v1, v1, v1
	s_delay_alu instid0(VALU_DEP_1)
	v_max_num_f32_e32 v0, v0, v1
	ds_bpermute_b32 v1, v6, v0
	s_and_saveexec_b32 s23, s1
	s_cbranch_execz .LBB237_17
; %bb.14:
	v_lshl_add_u32 v7, v102, 2, 0x1a0
	v_mov_b32_e32 v6, 0
	v_mov_b32_e32 v8, v102
	s_mov_b32 s31, 0
.LBB237_15:                             ; =>This Inner Loop Header: Depth=1
	ds_load_b32 v0, v7
	v_add_nc_u32_e32 v8, 0x80, v8
	s_delay_alu instid0(VALU_DEP_1) | instskip(SKIP_4) | instid1(VALU_DEP_1)
	v_cmp_le_i32_e64 s3, s14, v8
	s_wait_alu 0xfffe
	s_or_b32 s31, s3, s31
	s_wait_dscnt 0x0
	v_sub_f32_e32 v0, v0, v1
	v_mul_f32_e32 v0, 0x3fb8aa3b, v0
	s_delay_alu instid0(VALU_DEP_1)
	v_exp_f32_e32 v0, v0
	ds_store_b32 v7, v0
	v_dual_add_f32 v6, v6, v0 :: v_dual_add_nc_u32 v7, 0x200, v7
	s_wait_alu 0xfffe
	s_and_not1_b32 exec_lo, exec_lo, s31
	s_cbranch_execnz .LBB237_15
; %bb.16:
	s_or_b32 exec_lo, exec_lo, s31
.LBB237_17:
	s_wait_alu 0xfffe
	s_or_b32 exec_lo, exec_lo, s23
	ds_bpermute_b32 v0, v2, v6
	s_wait_dscnt 0x0
	v_add_f32_e32 v0, v6, v0
	ds_bpermute_b32 v2, v3, v0
	s_wait_dscnt 0x0
	v_add_f32_e32 v0, v0, v2
	;; [unrolled: 3-line block ×5, first 2 shown]
	s_and_saveexec_b32 s3, vcc_lo
; %bb.18:
	ds_store_b32 v5, v2 offset:400
; %bb.19:
	s_wait_alu 0xfffe
	s_or_b32 exec_lo, exec_lo, s3
	s_wait_loadcnt_dscnt 0x0
	s_barrier_signal -1
	s_barrier_wait -1
	global_inv scope:SCOPE_SE
	s_and_saveexec_b32 s3, s0
; %bb.20:
	ds_load_b32 v2, v10 offset:400
; %bb.21:
	s_wait_alu 0xfffe
	s_or_b32 exec_lo, exec_lo, s3
	s_wait_dscnt 0x0
	ds_bpermute_b32 v0, v12, v2
	s_wait_dscnt 0x0
	v_add_f32_e32 v0, v2, v0
	ds_bpermute_b32 v2, v11, v0
	s_wait_dscnt 0x0
	v_add_f32_e32 v0, v0, v2
	v_mov_b32_e32 v2, 0
	ds_bpermute_b32 v2, v2, v0
	s_and_saveexec_b32 s0, s1
	s_cbranch_execz .LBB237_24
; %bb.22:
	s_wait_dscnt 0x0
	v_add_f32_e32 v0, 0x358637bd, v2
	s_mov_b32 s1, 0
	s_delay_alu instid0(VALU_DEP_1) | instskip(NEXT) | instid1(VALU_DEP_1)
	v_div_scale_f32 v3, null, v0, v0, 1.0
	v_rcp_f32_e32 v5, v3
	s_delay_alu instid0(TRANS32_DEP_1) | instskip(NEXT) | instid1(VALU_DEP_1)
	v_fma_f32 v6, -v3, v5, 1.0
	v_fmac_f32_e32 v5, v6, v5
	v_div_scale_f32 v7, vcc_lo, 1.0, v0, 1.0
	s_delay_alu instid0(VALU_DEP_1) | instskip(NEXT) | instid1(VALU_DEP_1)
	v_mul_f32_e32 v6, v7, v5
	v_fma_f32 v8, -v3, v6, v7
	s_delay_alu instid0(VALU_DEP_1) | instskip(NEXT) | instid1(VALU_DEP_1)
	v_fmac_f32_e32 v6, v8, v5
	v_fma_f32 v3, -v3, v6, v7
	s_wait_alu 0xfffd
	s_delay_alu instid0(VALU_DEP_1) | instskip(SKIP_1) | instid1(VALU_DEP_2)
	v_div_fmas_f32 v3, v3, v5, v6
	v_mov_b32_e32 v5, v102
	v_div_fixup_f32 v3, v3, v0, 1.0
.LBB237_23:                             ; =>This Inner Loop Header: Depth=1
	ds_load_b32 v0, v4
	s_wait_dscnt 0x0
	v_dual_mul_f32 v0, v3, v0 :: v_dual_add_nc_u32 v5, 0x80, v5
	s_delay_alu instid0(VALU_DEP_1) | instskip(SKIP_3) | instid1(SALU_CYCLE_1)
	v_cmp_le_i32_e32 vcc_lo, s14, v5
	ds_store_b32 v4, v0
	v_add_nc_u32_e32 v4, 0x200, v4
	s_or_b32 s1, vcc_lo, s1
	s_and_not1_b32 exec_lo, exec_lo, s1
	s_cbranch_execnz .LBB237_23
.LBB237_24:
	s_or_b32 exec_lo, exec_lo, s0
	s_mul_i32 s0, s12, s15
	s_wait_loadcnt_dscnt 0x0
	s_mul_i32 s14, s0, s30
	s_mov_b32 s0, exec_lo
	s_barrier_signal -1
	s_barrier_wait -1
	global_inv scope:SCOPE_SE
	v_cmpx_eq_u32_e32 0, v102
	s_cbranch_execz .LBB237_26
; %bb.25:
	s_wait_alu 0xfffe
	s_ashr_i32 s15, s14, 31
	s_mul_i32 s30, s12, ttmp9
	s_lshl_b32 s1, s26, 2
	s_wait_alu 0xfffe
	s_lshl_b64 s[34:35], s[14:15], 2
	s_ashr_i32 s31, s30, 31
	v_mov_b32_e32 v0, s1
	s_add_nc_u64 s[10:11], s[10:11], s[34:35]
	s_wait_alu 0xfffe
	s_lshl_b64 s[30:31], s[30:31], 2
	s_add_nc_u64 s[8:9], s[8:9], s[34:35]
	s_wait_alu 0xfffe
	s_add_nc_u64 s[10:11], s[10:11], s[30:31]
	s_add_nc_u64 s[8:9], s[8:9], s[30:31]
	s_clause 0x1
	global_store_b32 v0, v1, s[10:11]
	global_store_b32 v0, v2, s[8:9]
.LBB237_26:
	s_or_b32 exec_lo, exec_lo, s0
	v_dual_mov_b32 v36, 0 :: v_dual_mov_b32 v37, 0
	v_dual_mov_b32 v35, 0 :: v_dual_and_b32 v14, 7, v102
	v_dual_mov_b32 v38, 0 :: v_dual_mov_b32 v33, 0
	v_dual_mov_b32 v34, 0 :: v_dual_mov_b32 v31, 0
	;; [unrolled: 1-line block ×10, first 2 shown]
	v_mov_b32_e32 v16, 0
	s_and_saveexec_b32 s1, s2
	s_cbranch_execz .LBB237_78
; %bb.27:
	s_load_b32 s3, s[6:7], 0x0
	v_dual_mov_b32 v15, 0 :: v_dual_lshlrev_b32 v0, 2, v102
	v_dual_mov_b32 v16, 0 :: v_dual_lshlrev_b32 v1, 4, v14
	s_ashr_i32 s23, s22, 31
	s_delay_alu instid0(VALU_DEP_2)
	v_dual_mov_b32 v17, 0 :: v_dual_and_b32 v2, 28, v0
	v_dual_mov_b32 v19, 0 :: v_dual_and_b32 v0, 0x7c, v0
	s_wait_kmcnt 0x0
	s_wait_alu 0xfffe
	s_add_nc_u64 s[8:9], s[24:25], s[22:23]
	s_lshl_b64 s[6:7], s[20:21], 2
	v_lshl_add_u32 v3, v103, 5, s28
	v_lshl_or_b32 v1, v103, 7, v1
	s_wait_alu 0xfffe
	v_add_co_u32 v5, s0, s8, v0
	s_add_nc_u64 s[6:7], s[18:19], s[6:7]
	s_wait_alu 0xf1ff
	v_add_co_ci_u32_e64 v6, null, s9, 0, s0
	v_add_co_u32 v7, s0, s6, v9
	v_add3_u32 v39, v3, v2, 3
	v_dual_mov_b32 v21, 0 :: v_dual_add_nc_u32 v40, 0x1a0, v1
	s_wait_alu 0xf1ff
	v_add_co_ci_u32_e64 v8, null, s7, 0, s0
	v_dual_mov_b32 v18, 0 :: v_dual_mov_b32 v23, 0
	v_dual_mov_b32 v20, 0 :: v_dual_mov_b32 v25, 0
	;; [unrolled: 1-line block ×8, first 2 shown]
	v_mov_b32_e32 v34, 0
	v_mov_b32_e32 v38, 0
	;; [unrolled: 1-line block ×3, first 2 shown]
	s_mov_b32 s2, s13
	s_mov_b32 s6, s3
	s_add_co_i32 s8, s29, -1
	s_mov_b32 s7, 0
	s_branch .LBB237_29
.LBB237_28:                             ;   in Loop: Header=BB237_29 Depth=1
	s_wait_alu 0xfffe
	s_or_b32 exec_lo, exec_lo, s0
	s_wait_dscnt 0x0
	v_mul_f32_e32 v65, v1, v132
	v_mul_f32_e32 v0, v1, v140
	;; [unrolled: 1-line block ×4, first 2 shown]
	v_dual_mul_f32 v52, v1, v52 :: v_dual_add_nc_u32 v39, 0x80, v39
	v_fmac_f32_e32 v65, v2, v131
	v_fmac_f32_e32 v0, v2, v139
	;; [unrolled: 1-line block ×4, first 2 shown]
	s_delay_alu instid0(VALU_DEP_4) | instskip(NEXT) | instid1(VALU_DEP_4)
	v_dual_mul_f32 v48, v1, v48 :: v_dual_fmac_f32 v65, v3, v130
	v_fmac_f32_e32 v0, v3, v138
	s_delay_alu instid0(VALU_DEP_4) | instskip(NEXT) | instid1(VALU_DEP_4)
	v_fmac_f32_e32 v67, v3, v126
	v_fmac_f32_e32 v64, v3, v134
	s_delay_alu instid0(VALU_DEP_4) | instskip(NEXT) | instid1(VALU_DEP_4)
	v_dual_mul_f32 v44, v1, v44 :: v_dual_fmac_f32 v65, v4, v129
	v_fmac_f32_e32 v0, v4, v137
	s_delay_alu instid0(VALU_DEP_4) | instskip(NEXT) | instid1(VALU_DEP_4)
	v_fmac_f32_e32 v67, v4, v125
	v_dual_fmac_f32 v64, v4, v133 :: v_dual_mul_f32 v101, v1, v124
	s_delay_alu instid0(VALU_DEP_4) | instskip(NEXT) | instid1(VALU_DEP_3)
	v_add_f32_e32 v18, v18, v65
	v_dual_add_f32 v16, v16, v0 :: v_dual_add_f32 v19, v19, v67
	s_delay_alu instid0(VALU_DEP_3) | instskip(NEXT) | instid1(VALU_DEP_4)
	v_dual_mul_f32 v0, v1, v118 :: v_dual_fmac_f32 v101, v2, v121
	v_add_f32_e32 v17, v17, v64
	v_mul_f32_e32 v64, v1, v114
	v_fmac_f32_e32 v52, v2, v51
	s_delay_alu instid0(VALU_DEP_4) | instskip(NEXT) | instid1(VALU_DEP_3)
	v_dual_fmac_f32 v0, v2, v117 :: v_dual_fmac_f32 v101, v3, v120
	v_dual_mul_f32 v65, v1, v110 :: v_dual_fmac_f32 v64, v2, v113
	s_delay_alu instid0(VALU_DEP_2) | instskip(NEXT) | instid1(VALU_DEP_2)
	v_dual_mul_f32 v67, v1, v106 :: v_dual_fmac_f32 v0, v3, v116
	v_dual_fmac_f32 v52, v3, v50 :: v_dual_fmac_f32 v65, v2, v109
	s_delay_alu instid0(VALU_DEP_2) | instskip(NEXT) | instid1(VALU_DEP_3)
	v_dual_fmac_f32 v64, v3, v112 :: v_dual_fmac_f32 v67, v2, v105
	v_fmac_f32_e32 v0, v4, v115
	s_delay_alu instid0(VALU_DEP_3) | instskip(NEXT) | instid1(VALU_DEP_3)
	v_dual_fmac_f32 v48, v2, v47 :: v_dual_fmac_f32 v65, v3, v108
	v_fmac_f32_e32 v64, v4, v111
	v_fmac_f32_e32 v101, v4, v119
	;; [unrolled: 1-line block ×5, first 2 shown]
	v_add_f32_e32 v22, v22, v64
	v_dual_fmac_f32 v67, v3, v104 :: v_dual_add_f32 v20, v20, v101
	v_mul_f32_e32 v64, v1, v95
	v_fmac_f32_e32 v44, v3, v42
	v_add_nc_u32_e32 v144, 4, v144
	s_delay_alu instid0(VALU_DEP_4) | instskip(SKIP_3) | instid1(VALU_DEP_4)
	v_fmac_f32_e32 v67, v4, v100
	v_add_f32_e32 v21, v21, v0
	v_mul_f32_e32 v0, v1, v99
	v_dual_fmac_f32 v65, v4, v107 :: v_dual_fmac_f32 v64, v2, v94
	v_add_f32_e32 v24, v24, v67
	s_delay_alu instid0(VALU_DEP_3) | instskip(NEXT) | instid1(VALU_DEP_3)
	v_dual_mul_f32 v83, v1, v83 :: v_dual_fmac_f32 v0, v2, v98
	v_add_f32_e32 v23, v23, v65
	v_mul_f32_e32 v65, v1, v91
	v_dual_mul_f32 v67, v1, v87 :: v_dual_fmac_f32 v64, v3, v93
	s_delay_alu instid0(VALU_DEP_4) | instskip(NEXT) | instid1(VALU_DEP_3)
	v_dual_fmac_f32 v0, v3, v97 :: v_dual_fmac_f32 v83, v2, v82
	v_fmac_f32_e32 v65, v2, v90
	s_delay_alu instid0(VALU_DEP_3) | instskip(NEXT) | instid1(VALU_DEP_3)
	v_dual_fmac_f32 v67, v2, v86 :: v_dual_fmac_f32 v64, v4, v92
	v_fmac_f32_e32 v0, v4, v96
	s_delay_alu instid0(VALU_DEP_3) | instskip(NEXT) | instid1(VALU_DEP_3)
	v_dual_mul_f32 v66, v1, v66 :: v_dual_fmac_f32 v65, v3, v89
	v_dual_fmac_f32 v67, v3, v85 :: v_dual_add_f32 v26, v26, v64
	v_mul_f32_e32 v64, v1, v75
	s_delay_alu instid0(VALU_DEP_4) | instskip(NEXT) | instid1(VALU_DEP_4)
	v_add_f32_e32 v25, v25, v0
	v_dual_mul_f32 v0, v1, v79 :: v_dual_fmac_f32 v65, v4, v88
	s_delay_alu instid0(VALU_DEP_4) | instskip(NEXT) | instid1(VALU_DEP_4)
	v_fmac_f32_e32 v67, v4, v84
	v_dual_fmac_f32 v83, v3, v81 :: v_dual_fmac_f32 v64, v2, v74
	s_delay_alu instid0(VALU_DEP_3) | instskip(SKIP_1) | instid1(VALU_DEP_4)
	v_dual_fmac_f32 v0, v2, v78 :: v_dual_add_f32 v27, v27, v65
	v_mul_f32_e32 v60, v1, v60
	v_add_f32_e32 v28, v28, v67
	s_delay_alu instid0(VALU_DEP_3) | instskip(SKIP_1) | instid1(VALU_DEP_2)
	v_dual_fmac_f32 v83, v4, v80 :: v_dual_fmac_f32 v0, v3, v77
	v_dual_mul_f32 v65, v1, v71 :: v_dual_fmac_f32 v64, v3, v73
	v_dual_fmac_f32 v48, v4, v45 :: v_dual_add_f32 v29, v29, v83
	s_delay_alu instid0(VALU_DEP_2) | instskip(NEXT) | instid1(VALU_DEP_3)
	v_dual_fmac_f32 v0, v4, v76 :: v_dual_fmac_f32 v65, v2, v70
	v_fmac_f32_e32 v64, v4, v72
	v_fmac_f32_e32 v66, v2, v63
	;; [unrolled: 1-line block ×3, first 2 shown]
	s_delay_alu instid0(VALU_DEP_4) | instskip(SKIP_1) | instid1(VALU_DEP_4)
	v_dual_add_f32 v30, v30, v0 :: v_dual_fmac_f32 v65, v3, v69
	v_fmac_f32_e32 v60, v2, v59
	v_fmac_f32_e32 v66, v3, v62
	v_mul_f32_e32 v0, v1, v56
	v_mul_f32_e32 v1, v1, v123
	v_fmac_f32_e32 v65, v4, v68
	v_cmp_le_i32_e32 vcc_lo, s17, v144
	v_dual_add_f32 v37, v37, v52 :: v_dual_fmac_f32 v66, v4, v61
	s_delay_alu instid0(VALU_DEP_3) | instskip(SKIP_2) | instid1(VALU_DEP_4)
	v_dual_add_f32 v31, v31, v64 :: v_dual_add_f32 v32, v32, v65
	v_fmac_f32_e32 v1, v2, v122
	v_add_co_u32 v7, s0, v7, 16
	v_dual_add_f32 v33, v33, v66 :: v_dual_add_f32 v38, v38, v48
	s_delay_alu instid0(VALU_DEP_3) | instskip(SKIP_2) | instid1(VALU_DEP_3)
	v_dual_fmac_f32 v1, v3, v10 :: v_dual_fmac_f32 v0, v2, v55
	v_fmac_f32_e32 v60, v3, v58
	v_add_f32_e32 v36, v36, v44
	v_dual_fmac_f32 v1, v4, v9 :: v_dual_add_nc_u32 v40, 0x200, v40
	s_delay_alu instid0(VALU_DEP_4)
	v_fmac_f32_e32 v0, v3, v54
	s_wait_alu 0xf1ff
	v_add_co_ci_u32_e64 v8, null, 0, v8, s0
	s_or_b32 s7, vcc_lo, s7
	v_add_f32_e32 v15, v15, v1
	v_fmac_f32_e32 v0, v4, v53
	s_delay_alu instid0(VALU_DEP_1) | instskip(NEXT) | instid1(VALU_DEP_1)
	v_dual_fmac_f32 v60, v4, v57 :: v_dual_add_f32 v35, v35, v0
	v_add_f32_e32 v34, v34, v60
	s_wait_alu 0xfffe
	s_and_not1_b32 exec_lo, exec_lo, s7
	s_cbranch_execz .LBB237_77
.LBB237_29:                             ; =>This Inner Loop Header: Depth=1
	global_load_b32 v0, v[7:8], off
	ds_load_b128 v[1:4], v40
	s_wait_alu 0xfffe
	v_cmp_eq_u32_e32 vcc_lo, s8, v144
	v_add_nc_u32_e32 v67, -1, v39
	s_wait_loadcnt 0x0
	v_mad_co_i64_i32 v[9:10], null, v0, s2, v[5:6]
	global_load_b32 v0, v[9:10], off
	s_wait_loadcnt 0x0
	v_and_b32_e32 v41, 0xffff, v0
	v_lshrrev_b32_e32 v0, 16, v0
	s_delay_alu instid0(VALU_DEP_2) | instskip(NEXT) | instid1(VALU_DEP_2)
	v_cvt_pk_f32_fp8_e32 v[41:42], v41
	v_cvt_pk_f32_fp8_e32 v[45:46], v0
	v_add_nc_u32_e32 v64, -3, v39
	s_delay_alu instid0(VALU_DEP_3) | instskip(NEXT) | instid1(VALU_DEP_3)
	v_dual_mul_f32 v44, s3, v41 :: v_dual_add_nc_u32 v65, -2, v39
	v_dual_mul_f32 v43, s6, v42 :: v_dual_mul_f32 v42, s3, v45
	s_delay_alu instid0(VALU_DEP_4)
	v_mul_f32_e32 v41, s6, v46
	s_and_saveexec_b32 s9, vcc_lo
	s_cbranch_execz .LBB237_31
; %bb.30:                               ;   in Loop: Header=BB237_29 Depth=1
	v_cmp_gt_i32_e64 s0, s27, v64
	s_wait_alu 0xf1ff
	s_delay_alu instid0(VALU_DEP_1) | instskip(SKIP_2) | instid1(VALU_DEP_1)
	v_cndmask_b32_e64 v44, 0, v44, s0
	v_cmp_gt_i32_e64 s0, s27, v65
	s_wait_alu 0xf1ff
	v_cndmask_b32_e64 v43, 0, v43, s0
	v_cmp_gt_i32_e64 s0, s27, v67
	s_wait_alu 0xf1ff
	s_delay_alu instid0(VALU_DEP_1) | instskip(SKIP_2) | instid1(VALU_DEP_1)
	v_cndmask_b32_e64 v42, 0, v42, s0
	v_cmp_gt_i32_e64 s0, s27, v39
	s_wait_alu 0xf1ff
	v_cndmask_b32_e64 v41, 0, v41, s0
.LBB237_31:                             ;   in Loop: Header=BB237_29 Depth=1
	s_wait_alu 0xfffe
	s_or_b32 exec_lo, exec_lo, s9
	global_load_b32 v0, v[9:10], off offset:128
	s_wait_loadcnt 0x0
	v_and_b32_e32 v45, 0xffff, v0
	v_lshrrev_b32_e32 v0, 16, v0
	s_delay_alu instid0(VALU_DEP_2) | instskip(NEXT) | instid1(VALU_DEP_2)
	v_cvt_pk_f32_fp8_e32 v[45:46], v45
	v_cvt_pk_f32_fp8_e32 v[49:50], v0
	s_delay_alu instid0(VALU_DEP_2) | instskip(NEXT) | instid1(VALU_DEP_2)
	v_dual_mul_f32 v48, s3, v45 :: v_dual_mul_f32 v47, s6, v46
	v_dual_mul_f32 v46, s3, v49 :: v_dual_mul_f32 v45, s6, v50
	s_and_saveexec_b32 s9, vcc_lo
	s_cbranch_execz .LBB237_33
; %bb.32:                               ;   in Loop: Header=BB237_29 Depth=1
	v_cmp_gt_i32_e64 s0, s27, v64
	s_wait_alu 0xf1ff
	s_delay_alu instid0(VALU_DEP_1) | instskip(SKIP_2) | instid1(VALU_DEP_1)
	v_cndmask_b32_e64 v48, 0, v48, s0
	v_cmp_gt_i32_e64 s0, s27, v65
	s_wait_alu 0xf1ff
	v_cndmask_b32_e64 v47, 0, v47, s0
	v_cmp_gt_i32_e64 s0, s27, v67
	s_wait_alu 0xf1ff
	s_delay_alu instid0(VALU_DEP_1) | instskip(SKIP_2) | instid1(VALU_DEP_1)
	v_cndmask_b32_e64 v46, 0, v46, s0
	v_cmp_gt_i32_e64 s0, s27, v39
	s_wait_alu 0xf1ff
	v_cndmask_b32_e64 v45, 0, v45, s0
.LBB237_33:                             ;   in Loop: Header=BB237_29 Depth=1
	s_wait_alu 0xfffe
	s_or_b32 exec_lo, exec_lo, s9
	global_load_b32 v0, v[9:10], off offset:256
	s_wait_loadcnt 0x0
	v_and_b32_e32 v49, 0xffff, v0
	v_lshrrev_b32_e32 v0, 16, v0
	s_delay_alu instid0(VALU_DEP_2) | instskip(NEXT) | instid1(VALU_DEP_2)
	v_cvt_pk_f32_fp8_e32 v[49:50], v49
	v_cvt_pk_f32_fp8_e32 v[53:54], v0
	s_delay_alu instid0(VALU_DEP_2) | instskip(NEXT) | instid1(VALU_DEP_2)
	v_dual_mul_f32 v52, s3, v49 :: v_dual_mul_f32 v51, s6, v50
	v_dual_mul_f32 v50, s3, v53 :: v_dual_mul_f32 v49, s6, v54
	;; [unrolled: 30-line block ×13, first 2 shown]
	s_and_saveexec_b32 s9, vcc_lo
	s_cbranch_execz .LBB237_57
; %bb.56:                               ;   in Loop: Header=BB237_29 Depth=1
	v_cmp_gt_i32_e64 s0, s27, v64
	s_wait_alu 0xf1ff
	s_delay_alu instid0(VALU_DEP_1) | instskip(SKIP_2) | instid1(VALU_DEP_1)
	v_cndmask_b32_e64 v99, 0, v99, s0
	v_cmp_gt_i32_e64 s0, s27, v65
	s_wait_alu 0xf1ff
	v_cndmask_b32_e64 v98, 0, v98, s0
	v_cmp_gt_i32_e64 s0, s27, v67
	s_wait_alu 0xf1ff
	s_delay_alu instid0(VALU_DEP_1) | instskip(SKIP_2) | instid1(VALU_DEP_1)
	v_cndmask_b32_e64 v97, 0, v97, s0
	v_cmp_gt_i32_e64 s0, s27, v39
	s_wait_alu 0xf1ff
	v_cndmask_b32_e64 v96, 0, v96, s0
.LBB237_57:                             ;   in Loop: Header=BB237_29 Depth=1
	s_wait_alu 0xfffe
	s_or_b32 exec_lo, exec_lo, s9
	global_load_b32 v0, v[9:10], off offset:1792
	s_wait_loadcnt 0x0
	v_and_b32_e32 v100, 0xffff, v0
	v_lshrrev_b32_e32 v0, 16, v0
	s_delay_alu instid0(VALU_DEP_2) | instskip(NEXT) | instid1(VALU_DEP_2)
	v_cvt_pk_f32_fp8_e32 v[104:105], v100
	v_cvt_pk_f32_fp8_e32 v[107:108], v0
	s_delay_alu instid0(VALU_DEP_2) | instskip(NEXT) | instid1(VALU_DEP_2)
	v_dual_mul_f32 v106, s3, v104 :: v_dual_mul_f32 v105, s6, v105
	v_mul_f32_e32 v104, s3, v107
	s_delay_alu instid0(VALU_DEP_3)
	v_mul_f32_e32 v100, s6, v108
	s_and_saveexec_b32 s9, vcc_lo
	s_cbranch_execz .LBB237_59
; %bb.58:                               ;   in Loop: Header=BB237_29 Depth=1
	v_cmp_gt_i32_e64 s0, s27, v64
	s_wait_alu 0xf1ff
	s_delay_alu instid0(VALU_DEP_1) | instskip(SKIP_2) | instid1(VALU_DEP_1)
	v_cndmask_b32_e64 v106, 0, v106, s0
	v_cmp_gt_i32_e64 s0, s27, v65
	s_wait_alu 0xf1ff
	v_cndmask_b32_e64 v105, 0, v105, s0
	v_cmp_gt_i32_e64 s0, s27, v67
	s_wait_alu 0xf1ff
	s_delay_alu instid0(VALU_DEP_1) | instskip(SKIP_2) | instid1(VALU_DEP_1)
	v_cndmask_b32_e64 v104, 0, v104, s0
	v_cmp_gt_i32_e64 s0, s27, v39
	s_wait_alu 0xf1ff
	v_cndmask_b32_e64 v100, 0, v100, s0
.LBB237_59:                             ;   in Loop: Header=BB237_29 Depth=1
	s_wait_alu 0xfffe
	s_or_b32 exec_lo, exec_lo, s9
	global_load_b32 v0, v[9:10], off offset:1920
	s_wait_loadcnt 0x0
	v_and_b32_e32 v101, 0xffff, v0
	v_lshrrev_b32_e32 v0, 16, v0
	s_delay_alu instid0(VALU_DEP_2) | instskip(NEXT) | instid1(VALU_DEP_2)
	v_cvt_pk_f32_fp8_e32 v[107:108], v101
	v_cvt_pk_f32_fp8_e32 v[111:112], v0
	s_delay_alu instid0(VALU_DEP_2) | instskip(NEXT) | instid1(VALU_DEP_2)
	v_dual_mul_f32 v110, s3, v107 :: v_dual_mul_f32 v109, s6, v108
	v_dual_mul_f32 v108, s3, v111 :: v_dual_mul_f32 v107, s6, v112
	s_and_saveexec_b32 s9, vcc_lo
	s_cbranch_execz .LBB237_61
; %bb.60:                               ;   in Loop: Header=BB237_29 Depth=1
	v_cmp_gt_i32_e64 s0, s27, v64
	s_wait_alu 0xf1ff
	s_delay_alu instid0(VALU_DEP_1) | instskip(SKIP_2) | instid1(VALU_DEP_1)
	v_cndmask_b32_e64 v110, 0, v110, s0
	v_cmp_gt_i32_e64 s0, s27, v65
	s_wait_alu 0xf1ff
	v_cndmask_b32_e64 v109, 0, v109, s0
	v_cmp_gt_i32_e64 s0, s27, v67
	s_wait_alu 0xf1ff
	s_delay_alu instid0(VALU_DEP_1) | instskip(SKIP_2) | instid1(VALU_DEP_1)
	v_cndmask_b32_e64 v108, 0, v108, s0
	v_cmp_gt_i32_e64 s0, s27, v39
	s_wait_alu 0xf1ff
	v_cndmask_b32_e64 v107, 0, v107, s0
.LBB237_61:                             ;   in Loop: Header=BB237_29 Depth=1
	s_wait_alu 0xfffe
	s_or_b32 exec_lo, exec_lo, s9
	global_load_b32 v0, v[9:10], off offset:2048
	s_wait_loadcnt 0x0
	v_and_b32_e32 v101, 0xffff, v0
	v_lshrrev_b32_e32 v0, 16, v0
	s_delay_alu instid0(VALU_DEP_2) | instskip(NEXT) | instid1(VALU_DEP_2)
	v_cvt_pk_f32_fp8_e32 v[111:112], v101
	v_cvt_pk_f32_fp8_e32 v[115:116], v0
	s_delay_alu instid0(VALU_DEP_2) | instskip(NEXT) | instid1(VALU_DEP_2)
	v_dual_mul_f32 v114, s3, v111 :: v_dual_mul_f32 v113, s6, v112
	v_dual_mul_f32 v112, s3, v115 :: v_dual_mul_f32 v111, s6, v116
	;; [unrolled: 30-line block ×9, first 2 shown]
	s_and_saveexec_b32 s0, vcc_lo
	s_cbranch_execz .LBB237_28
; %bb.76:                               ;   in Loop: Header=BB237_29 Depth=1
	v_cmp_gt_i32_e32 vcc_lo, s27, v64
	s_wait_alu 0xfffd
	v_cndmask_b32_e32 v123, 0, v123, vcc_lo
	v_cmp_gt_i32_e32 vcc_lo, s27, v65
	s_wait_alu 0xfffd
	v_cndmask_b32_e32 v122, 0, v122, vcc_lo
	;; [unrolled: 3-line block ×4, first 2 shown]
	s_branch .LBB237_28
.LBB237_77:
	s_or_b32 exec_lo, exec_lo, s7
.LBB237_78:
	s_wait_alu 0xfffe
	s_or_b32 exec_lo, exec_lo, s1
	ds_bpermute_b32 v0, v13, v36
	ds_bpermute_b32 v1, v13, v38
	;; [unrolled: 1-line block ×19, first 2 shown]
	s_mov_b32 s0, exec_lo
	s_wait_dscnt 0x11
	v_dual_add_f32 v0, v36, v0 :: v_dual_add_f32 v1, v38, v1
	s_wait_dscnt 0xf
	v_dual_add_f32 v2, v37, v2 :: v_dual_add_f32 v3, v35, v3
	;; [unrolled: 2-line block ×3, first 2 shown]
	ds_bpermute_b32 v36, v12, v0
	ds_bpermute_b32 v37, v12, v1
	;; [unrolled: 1-line block ×4, first 2 shown]
	s_wait_dscnt 0xf
	v_dual_add_f32 v8, v30, v8 :: v_dual_add_f32 v9, v29, v9
	ds_bpermute_b32 v31, v12, v7
	ds_bpermute_b32 v30, v12, v6
	;; [unrolled: 1-line block ×4, first 2 shown]
	s_wait_dscnt 0x11
	v_dual_add_f32 v4, v34, v4 :: v_dual_add_f32 v5, v33, v5
	s_wait_dscnt 0xe
	v_dual_add_f32 v10, v28, v10 :: v_dual_add_f32 v27, v27, v39
	ds_bpermute_b32 v33, v12, v9
	ds_bpermute_b32 v28, v12, v4
	;; [unrolled: 1-line block ×3, first 2 shown]
	s_wait_dscnt 0xf
	v_add_f32_e32 v26, v26, v40
	ds_bpermute_b32 v34, v12, v10
	s_wait_dscnt 0xb
	v_dual_add_f32 v23, v23, v43 :: v_dual_add_f32 v0, v0, v36
	s_wait_dscnt 0x9
	v_dual_add_f32 v36, v1, v37 :: v_dual_add_f32 v37, v2, v38
	s_wait_dscnt 0x8
	v_add_f32_e32 v38, v3, v45
	ds_bpermute_b32 v45, v13, v18
	ds_bpermute_b32 v1, v11, v0
	s_wait_dscnt 0x9
	v_add_f32_e32 v31, v7, v31
	ds_bpermute_b32 v3, v11, v37
	ds_bpermute_b32 v2, v11, v36
	s_wait_dscnt 0x8
	v_add_f32_e32 v32, v8, v32
	v_add_f32_e32 v30, v6, v30
	ds_bpermute_b32 v40, v12, v27
	ds_bpermute_b32 v8, v11, v31
	s_wait_storecnt 0x0
	s_wait_loadcnt_dscnt 0x0
	v_dual_add_f32 v33, v9, v33 :: v_dual_add_f32 v28, v4, v28
	v_add_f32_e32 v29, v5, v29
	ds_bpermute_b32 v9, v11, v32
	v_add_f32_e32 v34, v10, v34
	ds_bpermute_b32 v10, v11, v33
	ds_bpermute_b32 v5, v11, v28
	ds_bpermute_b32 v6, v11, v29
	s_barrier_signal -1
	s_barrier_wait -1
	v_add_f32_e32 v21, v21, v35
	v_add_f32_e32 v1, v0, v1
	v_dual_add_f32 v0, v25, v41 :: v_dual_add_f32 v19, v19, v47
	v_add_f32_e32 v3, v37, v3
	ds_bpermute_b32 v39, v11, v38
	ds_bpermute_b32 v41, v12, v23
	v_add_f32_e32 v2, v36, v2
	ds_bpermute_b32 v25, v13, v17
	ds_bpermute_b32 v37, v13, v16
	;; [unrolled: 1-line block ×4, first 2 shown]
	v_add_f32_e32 v24, v24, v42
	v_add_f32_e32 v22, v22, v44
	ds_bpermute_b32 v42, v12, v21
	v_add_f32_e32 v20, v20, v46
	v_dual_add_f32 v18, v18, v45 :: v_dual_add_f32 v27, v27, v40
	ds_bpermute_b32 v44, v12, v19
	ds_bpermute_b32 v7, v11, v30
	s_wait_dscnt 0x0
	global_inv scope:SCOPE_SE
	v_add_f32_e32 v9, v32, v9
	v_dual_add_f32 v5, v28, v5 :: v_dual_add_f32 v4, v38, v39
	ds_bpermute_b32 v38, v12, v0
	v_add_f32_e32 v23, v23, v41
	ds_bpermute_b32 v35, v12, v22
	v_add_f32_e32 v17, v17, v25
	v_add_f32_e32 v13, v15, v13
	;; [unrolled: 1-line block ×3, first 2 shown]
	ds_bpermute_b32 v40, v12, v24
	v_add_f32_e32 v15, v26, v36
	ds_bpermute_b32 v43, v12, v20
	ds_bpermute_b32 v26, v12, v17
	;; [unrolled: 1-line block ×3, first 2 shown]
	v_add_f32_e32 v21, v21, v42
	ds_bpermute_b32 v25, v12, v18
	ds_bpermute_b32 v12, v12, v13
	;; [unrolled: 1-line block ×4, first 2 shown]
	v_dual_add_f32 v42, v19, v44 :: v_dual_add_f32 v7, v30, v7
	s_wait_dscnt 0x9
	v_add_f32_e32 v0, v0, v38
	ds_bpermute_b32 v38, v11, v15
	s_wait_dscnt 0x9
	v_add_f32_e32 v22, v22, v35
	ds_bpermute_b32 v35, v11, v23
	ds_bpermute_b32 v45, v11, v42
	v_add_f32_e32 v10, v33, v10
	s_wait_dscnt 0xa
	v_add_f32_e32 v24, v24, v40
	ds_bpermute_b32 v19, v11, v22
	s_wait_dscnt 0xa
	v_add_f32_e32 v20, v20, v43
	s_wait_dscnt 0x9
	v_add_f32_e32 v26, v17, v26
	ds_bpermute_b32 v43, v11, v21
	ds_bpermute_b32 v41, v11, v24
	s_wait_dscnt 0x9
	v_add_f32_e32 v25, v18, v25
	s_wait_dscnt 0x8
	v_add_f32_e32 v47, v13, v12
	v_add_f32_e32 v36, v16, v36
	ds_bpermute_b32 v40, v11, v0
	ds_bpermute_b32 v28, v11, v26
	;; [unrolled: 1-line block ×3, first 2 shown]
	v_add_f32_e32 v6, v29, v6
	ds_bpermute_b32 v48, v11, v47
	v_add_f32_e32 v8, v31, v8
	s_wait_dscnt 0x9
	v_add_f32_e32 v13, v15, v38
	ds_bpermute_b32 v44, v11, v20
	s_wait_dscnt 0x9
	v_add_f32_e32 v17, v23, v35
	ds_bpermute_b32 v29, v11, v36
	v_dual_add_f32 v11, v34, v39 :: v_dual_add_f32 v12, v27, v37
	v_lshrrev_b32_e32 v27, 3, v143
	s_wait_dscnt 0x8
	v_add_f32_e32 v18, v22, v19
	s_wait_dscnt 0x6
	v_dual_add_f32 v19, v21, v43 :: v_dual_add_f32 v16, v24, v41
	v_add_f32_e32 v21, v42, v45
	s_wait_dscnt 0x5
	v_add_f32_e32 v15, v0, v40
	s_wait_dscnt 0x3
	v_dual_add_f32 v23, v26, v28 :: v_dual_add_f32 v22, v25, v46
	s_wait_dscnt 0x2
	v_dual_add_f32 v25, v47, v48 :: v_dual_and_b32 v0, 0x3c7, v102
	v_lshl_add_u32 v26, v27, 2, 0x1a0
	v_mul_u32_u24_e32 v28, 0x180, v103
	s_wait_dscnt 0x1
	v_add_f32_e32 v20, v20, v44
	s_wait_dscnt 0x0
	v_add_f32_e32 v24, v36, v29
	v_cmpx_eq_u32_e32 64, v0
	s_cbranch_execz .LBB237_80
; %bb.79:
	v_add_nc_u32_e32 v0, v26, v28
	s_delay_alu instid0(VALU_DEP_1)
	v_add_nc_u32_e32 v29, 0xfffffd00, v0
	v_add_nc_u32_e32 v30, 0xfffffd10, v0
	v_add_nc_u32_e32 v31, 0xfffffd20, v0
	v_add_nc_u32_e32 v32, 0xfffffd30, v0
	v_add_nc_u32_e32 v33, 0xfffffd40, v0
	v_add_nc_u32_e32 v34, 0xfffffd50, v0
	v_add_nc_u32_e32 v35, 0xfffffd60, v0
	v_add_nc_u32_e32 v36, 0xfffffd70, v0
	ds_store_b32 v29, v1
	ds_store_b32 v30, v2
	ds_store_b32 v31, v3
	ds_store_b32 v32, v4
	ds_store_b32 v33, v5
	ds_store_b32 v34, v6
	ds_store_b32 v35, v7
	ds_store_b32 v36, v8
	v_add_nc_u32_e32 v29, 0xfffffd80, v0
	v_add_nc_u32_e32 v30, 0xfffffd90, v0
	v_add_nc_u32_e32 v31, 0xfffffda0, v0
	v_add_nc_u32_e32 v32, 0xfffffdb0, v0
	v_add_nc_u32_e32 v33, 0xfffffdc0, v0
	v_add_nc_u32_e32 v34, 0xfffffdd0, v0
	v_add_nc_u32_e32 v35, 0xfffffde0, v0
	v_add_nc_u32_e32 v36, 0xfffffdf0, v0
	ds_store_b32 v29, v9
	ds_store_b32 v30, v10
	ds_store_b32 v31, v11
	ds_store_b32 v32, v12
	ds_store_b32 v33, v13
	ds_store_b32 v34, v15
	ds_store_b32 v35, v16
	ds_store_b32 v36, v17
	;; [unrolled: 16-line block ×3, first 2 shown]
.LBB237_80:
	s_wait_alu 0xfffe
	s_or_b32 exec_lo, exec_lo, s0
	v_lshlrev_b32_e32 v0, 2, v27
	v_cmp_eq_u32_e32 vcc_lo, 0, v14
	s_mov_b32 s1, exec_lo
	s_wait_loadcnt_dscnt 0x0
	s_barrier_signal -1
	v_add3_u32 v14, 0x1a0, v28, v0
	s_barrier_wait -1
	global_inv scope:SCOPE_SE
	v_cmpx_gt_u32_e32 64, v102
	s_cbranch_execz .LBB237_107
; %bb.81:
	s_and_saveexec_b32 s0, vcc_lo
	s_cbranch_execnz .LBB237_139
; %bb.82:
	s_wait_alu 0xfffe
	s_or_b32 exec_lo, exec_lo, s0
	s_and_saveexec_b32 s0, vcc_lo
	s_cbranch_execnz .LBB237_140
.LBB237_83:
	s_wait_alu 0xfffe
	s_or_b32 exec_lo, exec_lo, s0
	s_and_saveexec_b32 s0, vcc_lo
	s_cbranch_execnz .LBB237_141
.LBB237_84:
	s_wait_alu 0xfffe
	s_or_b32 exec_lo, exec_lo, s0
	s_and_saveexec_b32 s0, vcc_lo
	s_cbranch_execnz .LBB237_142
.LBB237_85:
	s_wait_alu 0xfffe
	s_or_b32 exec_lo, exec_lo, s0
	s_and_saveexec_b32 s0, vcc_lo
	s_cbranch_execnz .LBB237_143
.LBB237_86:
	s_wait_alu 0xfffe
	s_or_b32 exec_lo, exec_lo, s0
	s_and_saveexec_b32 s0, vcc_lo
	s_cbranch_execnz .LBB237_144
.LBB237_87:
	s_wait_alu 0xfffe
	s_or_b32 exec_lo, exec_lo, s0
	s_and_saveexec_b32 s0, vcc_lo
	s_cbranch_execnz .LBB237_145
.LBB237_88:
	s_wait_alu 0xfffe
	s_or_b32 exec_lo, exec_lo, s0
	s_and_saveexec_b32 s0, vcc_lo
	s_cbranch_execnz .LBB237_146
.LBB237_89:
	s_wait_alu 0xfffe
	s_or_b32 exec_lo, exec_lo, s0
	s_and_saveexec_b32 s0, vcc_lo
	s_cbranch_execnz .LBB237_147
.LBB237_90:
	s_wait_alu 0xfffe
	s_or_b32 exec_lo, exec_lo, s0
	s_and_saveexec_b32 s0, vcc_lo
	s_cbranch_execnz .LBB237_148
.LBB237_91:
	s_wait_alu 0xfffe
	s_or_b32 exec_lo, exec_lo, s0
	s_and_saveexec_b32 s0, vcc_lo
	s_cbranch_execnz .LBB237_149
.LBB237_92:
	s_wait_alu 0xfffe
	s_or_b32 exec_lo, exec_lo, s0
	s_and_saveexec_b32 s0, vcc_lo
	s_cbranch_execnz .LBB237_150
.LBB237_93:
	s_wait_alu 0xfffe
	s_or_b32 exec_lo, exec_lo, s0
	s_and_saveexec_b32 s0, vcc_lo
	s_cbranch_execnz .LBB237_151
.LBB237_94:
	s_wait_alu 0xfffe
	s_or_b32 exec_lo, exec_lo, s0
	s_and_saveexec_b32 s0, vcc_lo
	s_cbranch_execnz .LBB237_152
.LBB237_95:
	s_wait_alu 0xfffe
	s_or_b32 exec_lo, exec_lo, s0
	s_and_saveexec_b32 s0, vcc_lo
	s_cbranch_execnz .LBB237_153
.LBB237_96:
	s_wait_alu 0xfffe
	s_or_b32 exec_lo, exec_lo, s0
	s_and_saveexec_b32 s0, vcc_lo
	s_cbranch_execnz .LBB237_154
.LBB237_97:
	s_wait_alu 0xfffe
	s_or_b32 exec_lo, exec_lo, s0
	s_and_saveexec_b32 s0, vcc_lo
	s_cbranch_execnz .LBB237_155
.LBB237_98:
	s_wait_alu 0xfffe
	s_or_b32 exec_lo, exec_lo, s0
	s_and_saveexec_b32 s0, vcc_lo
	s_cbranch_execnz .LBB237_156
.LBB237_99:
	s_wait_alu 0xfffe
	s_or_b32 exec_lo, exec_lo, s0
	s_and_saveexec_b32 s0, vcc_lo
	s_cbranch_execnz .LBB237_157
.LBB237_100:
	s_wait_alu 0xfffe
	s_or_b32 exec_lo, exec_lo, s0
	s_and_saveexec_b32 s0, vcc_lo
	s_cbranch_execnz .LBB237_158
.LBB237_101:
	s_wait_alu 0xfffe
	s_or_b32 exec_lo, exec_lo, s0
	s_and_saveexec_b32 s0, vcc_lo
	s_cbranch_execnz .LBB237_159
.LBB237_102:
	s_wait_alu 0xfffe
	s_or_b32 exec_lo, exec_lo, s0
	s_and_saveexec_b32 s0, vcc_lo
	s_cbranch_execnz .LBB237_160
.LBB237_103:
	s_wait_alu 0xfffe
	s_or_b32 exec_lo, exec_lo, s0
	s_and_saveexec_b32 s0, vcc_lo
	s_cbranch_execnz .LBB237_161
.LBB237_104:
	s_wait_alu 0xfffe
	s_or_b32 exec_lo, exec_lo, s0
	s_and_saveexec_b32 s0, vcc_lo
	s_cbranch_execz .LBB237_106
.LBB237_105:
	ds_load_b32 v0, v14 offset:368
	s_wait_dscnt 0x0
	v_add_f32_e32 v25, v25, v0
.LBB237_106:
	s_wait_alu 0xfffe
	s_or_b32 exec_lo, exec_lo, s0
.LBB237_107:
	s_wait_alu 0xfffe
	s_or_b32 exec_lo, exec_lo, s1
	v_and_b32_e32 v27, 0x3e7, v102
	s_mov_b32 s1, exec_lo
	s_wait_loadcnt 0x0
	s_barrier_signal -1
	s_barrier_wait -1
	global_inv scope:SCOPE_SE
	v_cmpx_eq_u32_e32 32, v27
	s_cbranch_execz .LBB237_109
; %bb.108:
	ds_store_2addr_b32 v26, v1, v2 offset1:4
	ds_store_2addr_b32 v26, v3, v4 offset0:8 offset1:12
	ds_store_2addr_b32 v26, v5, v6 offset0:16 offset1:20
	;; [unrolled: 1-line block ×11, first 2 shown]
.LBB237_109:
	s_wait_alu 0xfffe
	s_or_b32 exec_lo, exec_lo, s1
	s_delay_alu instid0(SALU_CYCLE_1)
	s_mov_b32 s1, exec_lo
	s_wait_loadcnt_dscnt 0x0
	s_barrier_signal -1
	s_barrier_wait -1
	global_inv scope:SCOPE_SE
	v_cmpx_gt_u32_e32 32, v102
	s_cbranch_execz .LBB237_136
; %bb.110:
	s_and_saveexec_b32 s0, vcc_lo
	s_cbranch_execnz .LBB237_162
; %bb.111:
	s_wait_alu 0xfffe
	s_or_b32 exec_lo, exec_lo, s0
	s_and_saveexec_b32 s0, vcc_lo
	s_cbranch_execnz .LBB237_163
.LBB237_112:
	s_wait_alu 0xfffe
	s_or_b32 exec_lo, exec_lo, s0
	s_and_saveexec_b32 s0, vcc_lo
	s_cbranch_execnz .LBB237_164
.LBB237_113:
	s_wait_alu 0xfffe
	s_or_b32 exec_lo, exec_lo, s0
	s_and_saveexec_b32 s0, vcc_lo
	s_cbranch_execnz .LBB237_165
.LBB237_114:
	s_wait_alu 0xfffe
	s_or_b32 exec_lo, exec_lo, s0
	s_and_saveexec_b32 s0, vcc_lo
	s_cbranch_execnz .LBB237_166
.LBB237_115:
	s_wait_alu 0xfffe
	s_or_b32 exec_lo, exec_lo, s0
	s_and_saveexec_b32 s0, vcc_lo
	s_cbranch_execnz .LBB237_167
.LBB237_116:
	s_wait_alu 0xfffe
	s_or_b32 exec_lo, exec_lo, s0
	s_and_saveexec_b32 s0, vcc_lo
	s_cbranch_execnz .LBB237_168
.LBB237_117:
	s_wait_alu 0xfffe
	s_or_b32 exec_lo, exec_lo, s0
	s_and_saveexec_b32 s0, vcc_lo
	s_cbranch_execnz .LBB237_169
.LBB237_118:
	s_wait_alu 0xfffe
	s_or_b32 exec_lo, exec_lo, s0
	s_and_saveexec_b32 s0, vcc_lo
	s_cbranch_execnz .LBB237_170
.LBB237_119:
	s_wait_alu 0xfffe
	s_or_b32 exec_lo, exec_lo, s0
	s_and_saveexec_b32 s0, vcc_lo
	s_cbranch_execnz .LBB237_171
.LBB237_120:
	s_wait_alu 0xfffe
	s_or_b32 exec_lo, exec_lo, s0
	s_and_saveexec_b32 s0, vcc_lo
	s_cbranch_execnz .LBB237_172
.LBB237_121:
	s_wait_alu 0xfffe
	s_or_b32 exec_lo, exec_lo, s0
	s_and_saveexec_b32 s0, vcc_lo
	s_cbranch_execnz .LBB237_173
.LBB237_122:
	s_wait_alu 0xfffe
	s_or_b32 exec_lo, exec_lo, s0
	s_and_saveexec_b32 s0, vcc_lo
	s_cbranch_execnz .LBB237_174
.LBB237_123:
	s_wait_alu 0xfffe
	s_or_b32 exec_lo, exec_lo, s0
	s_and_saveexec_b32 s0, vcc_lo
	s_cbranch_execnz .LBB237_175
.LBB237_124:
	s_wait_alu 0xfffe
	s_or_b32 exec_lo, exec_lo, s0
	s_and_saveexec_b32 s0, vcc_lo
	s_cbranch_execnz .LBB237_176
.LBB237_125:
	s_wait_alu 0xfffe
	s_or_b32 exec_lo, exec_lo, s0
	s_and_saveexec_b32 s0, vcc_lo
	s_cbranch_execnz .LBB237_177
.LBB237_126:
	s_wait_alu 0xfffe
	s_or_b32 exec_lo, exec_lo, s0
	s_and_saveexec_b32 s0, vcc_lo
	s_cbranch_execnz .LBB237_178
.LBB237_127:
	s_wait_alu 0xfffe
	s_or_b32 exec_lo, exec_lo, s0
	s_and_saveexec_b32 s0, vcc_lo
	s_cbranch_execnz .LBB237_179
.LBB237_128:
	s_wait_alu 0xfffe
	s_or_b32 exec_lo, exec_lo, s0
	s_and_saveexec_b32 s0, vcc_lo
	s_cbranch_execnz .LBB237_180
.LBB237_129:
	s_wait_alu 0xfffe
	s_or_b32 exec_lo, exec_lo, s0
	s_and_saveexec_b32 s0, vcc_lo
	s_cbranch_execnz .LBB237_181
.LBB237_130:
	s_wait_alu 0xfffe
	s_or_b32 exec_lo, exec_lo, s0
	s_and_saveexec_b32 s0, vcc_lo
	s_cbranch_execnz .LBB237_182
.LBB237_131:
	s_wait_alu 0xfffe
	s_or_b32 exec_lo, exec_lo, s0
	s_and_saveexec_b32 s0, vcc_lo
	s_cbranch_execnz .LBB237_183
.LBB237_132:
	s_wait_alu 0xfffe
	s_or_b32 exec_lo, exec_lo, s0
	s_and_saveexec_b32 s0, vcc_lo
	s_cbranch_execnz .LBB237_184
.LBB237_133:
	s_wait_alu 0xfffe
	s_or_b32 exec_lo, exec_lo, s0
	s_and_saveexec_b32 s0, vcc_lo
	s_cbranch_execz .LBB237_135
.LBB237_134:
	ds_load_b32 v0, v14 offset:368
	s_wait_dscnt 0x0
	v_add_f32_e32 v25, v25, v0
.LBB237_135:
	s_wait_alu 0xfffe
	s_or_b32 exec_lo, exec_lo, s0
.LBB237_136:
	s_wait_alu 0xfffe
	s_or_b32 exec_lo, exec_lo, s1
	s_mov_b32 s1, 0
	s_wait_loadcnt 0x0
	s_barrier_signal -1
	s_barrier_wait -1
	global_inv scope:SCOPE_SE
	s_mov_b32 s0, exec_lo
	v_cmpx_eq_u32_e32 0, v27
	s_cbranch_execz .LBB237_138
; %bb.137:
	s_mul_i32 s2, s14, 0x60
	s_mul_i32 s6, s12, s16
	s_wait_alu 0xfffe
	s_ashr_i32 s3, s2, 31
	s_ashr_i32 s7, s6, 31
	s_wait_alu 0xfffe
	s_lshl_b64 s[2:3], s[2:3], 2
	s_lshl_b64 s[6:7], s[6:7], 2
	s_wait_kmcnt 0x0
	s_wait_alu 0xfffe
	s_add_nc_u64 s[2:3], s[4:5], s[2:3]
	v_lshrrev_b32_e32 v0, 1, v102
	s_mul_i32 s0, s26, 0x180
	s_wait_alu 0xfffe
	s_add_nc_u64 s[2:3], s[2:3], s[6:7]
	s_wait_alu 0xfffe
	s_add_nc_u64 s[0:1], s[2:3], s[0:1]
	s_clause 0x17
	global_store_b32 v0, v1, s[0:1]
	global_store_b32 v0, v2, s[0:1] offset:16
	global_store_b32 v0, v3, s[0:1] offset:32
	;; [unrolled: 1-line block ×23, first 2 shown]
.LBB237_138:
	s_nop 0
	s_sendmsg sendmsg(MSG_DEALLOC_VGPRS)
	s_endpgm
.LBB237_139:
	ds_load_b32 v0, v14
	s_wait_dscnt 0x0
	v_add_f32_e32 v1, v1, v0
	s_wait_alu 0xfffe
	s_or_b32 exec_lo, exec_lo, s0
	s_and_saveexec_b32 s0, vcc_lo
	s_cbranch_execz .LBB237_83
.LBB237_140:
	ds_load_b32 v0, v14 offset:16
	s_wait_dscnt 0x0
	v_add_f32_e32 v2, v2, v0
	s_wait_alu 0xfffe
	s_or_b32 exec_lo, exec_lo, s0
	s_and_saveexec_b32 s0, vcc_lo
	s_cbranch_execz .LBB237_84
.LBB237_141:
	ds_load_b32 v0, v14 offset:32
	s_wait_dscnt 0x0
	v_add_f32_e32 v3, v3, v0
	s_wait_alu 0xfffe
	s_or_b32 exec_lo, exec_lo, s0
	s_and_saveexec_b32 s0, vcc_lo
	s_cbranch_execz .LBB237_85
.LBB237_142:
	ds_load_b32 v0, v14 offset:48
	s_wait_dscnt 0x0
	v_add_f32_e32 v4, v4, v0
	s_wait_alu 0xfffe
	s_or_b32 exec_lo, exec_lo, s0
	s_and_saveexec_b32 s0, vcc_lo
	s_cbranch_execz .LBB237_86
.LBB237_143:
	ds_load_b32 v0, v14 offset:64
	s_wait_dscnt 0x0
	v_add_f32_e32 v5, v5, v0
	s_wait_alu 0xfffe
	s_or_b32 exec_lo, exec_lo, s0
	s_and_saveexec_b32 s0, vcc_lo
	s_cbranch_execz .LBB237_87
.LBB237_144:
	ds_load_b32 v0, v14 offset:80
	s_wait_dscnt 0x0
	v_add_f32_e32 v6, v6, v0
	s_wait_alu 0xfffe
	s_or_b32 exec_lo, exec_lo, s0
	s_and_saveexec_b32 s0, vcc_lo
	s_cbranch_execz .LBB237_88
.LBB237_145:
	ds_load_b32 v0, v14 offset:96
	s_wait_dscnt 0x0
	v_add_f32_e32 v7, v7, v0
	s_wait_alu 0xfffe
	s_or_b32 exec_lo, exec_lo, s0
	s_and_saveexec_b32 s0, vcc_lo
	s_cbranch_execz .LBB237_89
.LBB237_146:
	ds_load_b32 v0, v14 offset:112
	s_wait_dscnt 0x0
	v_add_f32_e32 v8, v8, v0
	s_wait_alu 0xfffe
	s_or_b32 exec_lo, exec_lo, s0
	s_and_saveexec_b32 s0, vcc_lo
	s_cbranch_execz .LBB237_90
.LBB237_147:
	ds_load_b32 v0, v14 offset:128
	s_wait_dscnt 0x0
	v_add_f32_e32 v9, v9, v0
	s_wait_alu 0xfffe
	s_or_b32 exec_lo, exec_lo, s0
	s_and_saveexec_b32 s0, vcc_lo
	s_cbranch_execz .LBB237_91
.LBB237_148:
	ds_load_b32 v0, v14 offset:144
	s_wait_dscnt 0x0
	v_add_f32_e32 v10, v10, v0
	s_wait_alu 0xfffe
	s_or_b32 exec_lo, exec_lo, s0
	s_and_saveexec_b32 s0, vcc_lo
	s_cbranch_execz .LBB237_92
.LBB237_149:
	ds_load_b32 v0, v14 offset:160
	s_wait_dscnt 0x0
	v_add_f32_e32 v11, v11, v0
	s_wait_alu 0xfffe
	s_or_b32 exec_lo, exec_lo, s0
	s_and_saveexec_b32 s0, vcc_lo
	s_cbranch_execz .LBB237_93
.LBB237_150:
	ds_load_b32 v0, v14 offset:176
	s_wait_dscnt 0x0
	v_add_f32_e32 v12, v12, v0
	s_wait_alu 0xfffe
	s_or_b32 exec_lo, exec_lo, s0
	s_and_saveexec_b32 s0, vcc_lo
	s_cbranch_execz .LBB237_94
.LBB237_151:
	ds_load_b32 v0, v14 offset:192
	s_wait_dscnt 0x0
	v_add_f32_e32 v13, v13, v0
	s_wait_alu 0xfffe
	s_or_b32 exec_lo, exec_lo, s0
	s_and_saveexec_b32 s0, vcc_lo
	s_cbranch_execz .LBB237_95
.LBB237_152:
	ds_load_b32 v0, v14 offset:208
	s_wait_dscnt 0x0
	v_add_f32_e32 v15, v15, v0
	s_wait_alu 0xfffe
	s_or_b32 exec_lo, exec_lo, s0
	s_and_saveexec_b32 s0, vcc_lo
	s_cbranch_execz .LBB237_96
.LBB237_153:
	ds_load_b32 v0, v14 offset:224
	s_wait_dscnt 0x0
	v_add_f32_e32 v16, v16, v0
	s_wait_alu 0xfffe
	s_or_b32 exec_lo, exec_lo, s0
	s_and_saveexec_b32 s0, vcc_lo
	s_cbranch_execz .LBB237_97
.LBB237_154:
	ds_load_b32 v0, v14 offset:240
	s_wait_dscnt 0x0
	v_add_f32_e32 v17, v17, v0
	s_wait_alu 0xfffe
	s_or_b32 exec_lo, exec_lo, s0
	s_and_saveexec_b32 s0, vcc_lo
	s_cbranch_execz .LBB237_98
.LBB237_155:
	ds_load_b32 v0, v14 offset:256
	s_wait_dscnt 0x0
	v_add_f32_e32 v18, v18, v0
	s_wait_alu 0xfffe
	s_or_b32 exec_lo, exec_lo, s0
	s_and_saveexec_b32 s0, vcc_lo
	s_cbranch_execz .LBB237_99
.LBB237_156:
	ds_load_b32 v0, v14 offset:272
	s_wait_dscnt 0x0
	v_add_f32_e32 v19, v19, v0
	s_wait_alu 0xfffe
	s_or_b32 exec_lo, exec_lo, s0
	s_and_saveexec_b32 s0, vcc_lo
	s_cbranch_execz .LBB237_100
.LBB237_157:
	ds_load_b32 v0, v14 offset:288
	s_wait_dscnt 0x0
	v_add_f32_e32 v20, v20, v0
	s_wait_alu 0xfffe
	s_or_b32 exec_lo, exec_lo, s0
	s_and_saveexec_b32 s0, vcc_lo
	s_cbranch_execz .LBB237_101
.LBB237_158:
	ds_load_b32 v0, v14 offset:304
	s_wait_dscnt 0x0
	v_add_f32_e32 v21, v21, v0
	s_wait_alu 0xfffe
	s_or_b32 exec_lo, exec_lo, s0
	s_and_saveexec_b32 s0, vcc_lo
	s_cbranch_execz .LBB237_102
.LBB237_159:
	ds_load_b32 v0, v14 offset:320
	s_wait_dscnt 0x0
	v_add_f32_e32 v22, v22, v0
	s_wait_alu 0xfffe
	s_or_b32 exec_lo, exec_lo, s0
	s_and_saveexec_b32 s0, vcc_lo
	s_cbranch_execz .LBB237_103
.LBB237_160:
	ds_load_b32 v0, v14 offset:336
	s_wait_dscnt 0x0
	v_add_f32_e32 v23, v23, v0
	s_wait_alu 0xfffe
	s_or_b32 exec_lo, exec_lo, s0
	s_and_saveexec_b32 s0, vcc_lo
	s_cbranch_execz .LBB237_104
.LBB237_161:
	ds_load_b32 v0, v14 offset:352
	s_wait_dscnt 0x0
	v_add_f32_e32 v24, v24, v0
	s_wait_alu 0xfffe
	s_or_b32 exec_lo, exec_lo, s0
	s_and_saveexec_b32 s0, vcc_lo
	s_cbranch_execnz .LBB237_105
	s_branch .LBB237_106
.LBB237_162:
	ds_load_b32 v0, v14
	s_wait_dscnt 0x0
	v_add_f32_e32 v1, v1, v0
	s_wait_alu 0xfffe
	s_or_b32 exec_lo, exec_lo, s0
	s_and_saveexec_b32 s0, vcc_lo
	s_cbranch_execz .LBB237_112
.LBB237_163:
	ds_load_b32 v0, v14 offset:16
	s_wait_dscnt 0x0
	v_add_f32_e32 v2, v2, v0
	s_wait_alu 0xfffe
	s_or_b32 exec_lo, exec_lo, s0
	s_and_saveexec_b32 s0, vcc_lo
	s_cbranch_execz .LBB237_113
.LBB237_164:
	ds_load_b32 v0, v14 offset:32
	s_wait_dscnt 0x0
	v_add_f32_e32 v3, v3, v0
	s_wait_alu 0xfffe
	s_or_b32 exec_lo, exec_lo, s0
	s_and_saveexec_b32 s0, vcc_lo
	s_cbranch_execz .LBB237_114
.LBB237_165:
	ds_load_b32 v0, v14 offset:48
	s_wait_dscnt 0x0
	v_add_f32_e32 v4, v4, v0
	s_wait_alu 0xfffe
	s_or_b32 exec_lo, exec_lo, s0
	s_and_saveexec_b32 s0, vcc_lo
	s_cbranch_execz .LBB237_115
.LBB237_166:
	ds_load_b32 v0, v14 offset:64
	s_wait_dscnt 0x0
	v_add_f32_e32 v5, v5, v0
	s_wait_alu 0xfffe
	s_or_b32 exec_lo, exec_lo, s0
	s_and_saveexec_b32 s0, vcc_lo
	s_cbranch_execz .LBB237_116
.LBB237_167:
	ds_load_b32 v0, v14 offset:80
	s_wait_dscnt 0x0
	v_add_f32_e32 v6, v6, v0
	s_wait_alu 0xfffe
	s_or_b32 exec_lo, exec_lo, s0
	s_and_saveexec_b32 s0, vcc_lo
	s_cbranch_execz .LBB237_117
.LBB237_168:
	ds_load_b32 v0, v14 offset:96
	s_wait_dscnt 0x0
	v_add_f32_e32 v7, v7, v0
	s_wait_alu 0xfffe
	s_or_b32 exec_lo, exec_lo, s0
	s_and_saveexec_b32 s0, vcc_lo
	s_cbranch_execz .LBB237_118
.LBB237_169:
	ds_load_b32 v0, v14 offset:112
	s_wait_dscnt 0x0
	v_add_f32_e32 v8, v8, v0
	s_wait_alu 0xfffe
	s_or_b32 exec_lo, exec_lo, s0
	s_and_saveexec_b32 s0, vcc_lo
	s_cbranch_execz .LBB237_119
.LBB237_170:
	ds_load_b32 v0, v14 offset:128
	s_wait_dscnt 0x0
	v_add_f32_e32 v9, v9, v0
	s_wait_alu 0xfffe
	s_or_b32 exec_lo, exec_lo, s0
	s_and_saveexec_b32 s0, vcc_lo
	s_cbranch_execz .LBB237_120
.LBB237_171:
	ds_load_b32 v0, v14 offset:144
	s_wait_dscnt 0x0
	v_add_f32_e32 v10, v10, v0
	s_wait_alu 0xfffe
	s_or_b32 exec_lo, exec_lo, s0
	s_and_saveexec_b32 s0, vcc_lo
	s_cbranch_execz .LBB237_121
.LBB237_172:
	ds_load_b32 v0, v14 offset:160
	s_wait_dscnt 0x0
	v_add_f32_e32 v11, v11, v0
	s_wait_alu 0xfffe
	s_or_b32 exec_lo, exec_lo, s0
	s_and_saveexec_b32 s0, vcc_lo
	s_cbranch_execz .LBB237_122
.LBB237_173:
	ds_load_b32 v0, v14 offset:176
	s_wait_dscnt 0x0
	v_add_f32_e32 v12, v12, v0
	s_wait_alu 0xfffe
	s_or_b32 exec_lo, exec_lo, s0
	s_and_saveexec_b32 s0, vcc_lo
	s_cbranch_execz .LBB237_123
.LBB237_174:
	ds_load_b32 v0, v14 offset:192
	s_wait_dscnt 0x0
	v_add_f32_e32 v13, v13, v0
	s_wait_alu 0xfffe
	s_or_b32 exec_lo, exec_lo, s0
	s_and_saveexec_b32 s0, vcc_lo
	s_cbranch_execz .LBB237_124
.LBB237_175:
	ds_load_b32 v0, v14 offset:208
	s_wait_dscnt 0x0
	v_add_f32_e32 v15, v15, v0
	s_wait_alu 0xfffe
	s_or_b32 exec_lo, exec_lo, s0
	s_and_saveexec_b32 s0, vcc_lo
	s_cbranch_execz .LBB237_125
.LBB237_176:
	ds_load_b32 v0, v14 offset:224
	s_wait_dscnt 0x0
	v_add_f32_e32 v16, v16, v0
	s_wait_alu 0xfffe
	s_or_b32 exec_lo, exec_lo, s0
	s_and_saveexec_b32 s0, vcc_lo
	s_cbranch_execz .LBB237_126
.LBB237_177:
	ds_load_b32 v0, v14 offset:240
	s_wait_dscnt 0x0
	v_add_f32_e32 v17, v17, v0
	s_wait_alu 0xfffe
	s_or_b32 exec_lo, exec_lo, s0
	s_and_saveexec_b32 s0, vcc_lo
	s_cbranch_execz .LBB237_127
.LBB237_178:
	ds_load_b32 v0, v14 offset:256
	s_wait_dscnt 0x0
	v_add_f32_e32 v18, v18, v0
	s_wait_alu 0xfffe
	s_or_b32 exec_lo, exec_lo, s0
	s_and_saveexec_b32 s0, vcc_lo
	s_cbranch_execz .LBB237_128
.LBB237_179:
	ds_load_b32 v0, v14 offset:272
	s_wait_dscnt 0x0
	v_add_f32_e32 v19, v19, v0
	s_wait_alu 0xfffe
	s_or_b32 exec_lo, exec_lo, s0
	s_and_saveexec_b32 s0, vcc_lo
	s_cbranch_execz .LBB237_129
.LBB237_180:
	ds_load_b32 v0, v14 offset:288
	s_wait_dscnt 0x0
	v_add_f32_e32 v20, v20, v0
	s_wait_alu 0xfffe
	s_or_b32 exec_lo, exec_lo, s0
	s_and_saveexec_b32 s0, vcc_lo
	s_cbranch_execz .LBB237_130
.LBB237_181:
	ds_load_b32 v0, v14 offset:304
	s_wait_dscnt 0x0
	v_add_f32_e32 v21, v21, v0
	s_wait_alu 0xfffe
	s_or_b32 exec_lo, exec_lo, s0
	s_and_saveexec_b32 s0, vcc_lo
	s_cbranch_execz .LBB237_131
.LBB237_182:
	ds_load_b32 v0, v14 offset:320
	s_wait_dscnt 0x0
	v_add_f32_e32 v22, v22, v0
	s_wait_alu 0xfffe
	s_or_b32 exec_lo, exec_lo, s0
	s_and_saveexec_b32 s0, vcc_lo
	s_cbranch_execz .LBB237_132
.LBB237_183:
	ds_load_b32 v0, v14 offset:336
	s_wait_dscnt 0x0
	v_add_f32_e32 v23, v23, v0
	s_wait_alu 0xfffe
	s_or_b32 exec_lo, exec_lo, s0
	s_and_saveexec_b32 s0, vcc_lo
	s_cbranch_execz .LBB237_133
.LBB237_184:
	ds_load_b32 v0, v14 offset:352
	s_wait_dscnt 0x0
	v_add_f32_e32 v24, v24, v0
	s_wait_alu 0xfffe
	s_or_b32 exec_lo, exec_lo, s0
	s_and_saveexec_b32 s0, vcc_lo
	s_cbranch_execnz .LBB237_134
	s_branch .LBB237_135
	.section	.rodata,"a",@progbits
	.p2align	6, 0x0
	.amdhsa_kernel _ZN4vllm25paged_attention_v2_kernelIfhLi96ELi32ELi128ELNS_18Fp8KVCacheDataTypeE1ELb0ELi512EEEvPfS2_PT_PKS3_PKT0_S9_ifPKiSB_iPKfiiiSD_SD_iiiii
		.amdhsa_group_segment_fixed_size 416
		.amdhsa_private_segment_fixed_size 96
		.amdhsa_kernarg_size 400
		.amdhsa_user_sgpr_count 2
		.amdhsa_user_sgpr_dispatch_ptr 0
		.amdhsa_user_sgpr_queue_ptr 0
		.amdhsa_user_sgpr_kernarg_segment_ptr 1
		.amdhsa_user_sgpr_dispatch_id 0
		.amdhsa_user_sgpr_private_segment_size 0
		.amdhsa_wavefront_size32 1
		.amdhsa_uses_dynamic_stack 0
		.amdhsa_enable_private_segment 1
		.amdhsa_system_sgpr_workgroup_id_x 1
		.amdhsa_system_sgpr_workgroup_id_y 1
		.amdhsa_system_sgpr_workgroup_id_z 1
		.amdhsa_system_sgpr_workgroup_info 0
		.amdhsa_system_vgpr_workitem_id 0
		.amdhsa_next_free_vgpr 192
		.amdhsa_next_free_sgpr 36
		.amdhsa_reserve_vcc 1
		.amdhsa_float_round_mode_32 0
		.amdhsa_float_round_mode_16_64 0
		.amdhsa_float_denorm_mode_32 3
		.amdhsa_float_denorm_mode_16_64 3
		.amdhsa_fp16_overflow 0
		.amdhsa_workgroup_processor_mode 1
		.amdhsa_memory_ordered 1
		.amdhsa_forward_progress 1
		.amdhsa_inst_pref_size 108
		.amdhsa_round_robin_scheduling 0
		.amdhsa_exception_fp_ieee_invalid_op 0
		.amdhsa_exception_fp_denorm_src 0
		.amdhsa_exception_fp_ieee_div_zero 0
		.amdhsa_exception_fp_ieee_overflow 0
		.amdhsa_exception_fp_ieee_underflow 0
		.amdhsa_exception_fp_ieee_inexact 0
		.amdhsa_exception_int_div_zero 0
	.end_amdhsa_kernel
	.section	.text._ZN4vllm25paged_attention_v2_kernelIfhLi96ELi32ELi128ELNS_18Fp8KVCacheDataTypeE1ELb0ELi512EEEvPfS2_PT_PKS3_PKT0_S9_ifPKiSB_iPKfiiiSD_SD_iiiii,"axG",@progbits,_ZN4vllm25paged_attention_v2_kernelIfhLi96ELi32ELi128ELNS_18Fp8KVCacheDataTypeE1ELb0ELi512EEEvPfS2_PT_PKS3_PKT0_S9_ifPKiSB_iPKfiiiSD_SD_iiiii,comdat
.Lfunc_end237:
	.size	_ZN4vllm25paged_attention_v2_kernelIfhLi96ELi32ELi128ELNS_18Fp8KVCacheDataTypeE1ELb0ELi512EEEvPfS2_PT_PKS3_PKT0_S9_ifPKiSB_iPKfiiiSD_SD_iiiii, .Lfunc_end237-_ZN4vllm25paged_attention_v2_kernelIfhLi96ELi32ELi128ELNS_18Fp8KVCacheDataTypeE1ELb0ELi512EEEvPfS2_PT_PKS3_PKT0_S9_ifPKiSB_iPKfiiiSD_SD_iiiii
                                        ; -- End function
	.set _ZN4vllm25paged_attention_v2_kernelIfhLi96ELi32ELi128ELNS_18Fp8KVCacheDataTypeE1ELb0ELi512EEEvPfS2_PT_PKS3_PKT0_S9_ifPKiSB_iPKfiiiSD_SD_iiiii.num_vgpr, 192
	.set _ZN4vllm25paged_attention_v2_kernelIfhLi96ELi32ELi128ELNS_18Fp8KVCacheDataTypeE1ELb0ELi512EEEvPfS2_PT_PKS3_PKT0_S9_ifPKiSB_iPKfiiiSD_SD_iiiii.num_agpr, 0
	.set _ZN4vllm25paged_attention_v2_kernelIfhLi96ELi32ELi128ELNS_18Fp8KVCacheDataTypeE1ELb0ELi512EEEvPfS2_PT_PKS3_PKT0_S9_ifPKiSB_iPKfiiiSD_SD_iiiii.numbered_sgpr, 36
	.set _ZN4vllm25paged_attention_v2_kernelIfhLi96ELi32ELi128ELNS_18Fp8KVCacheDataTypeE1ELb0ELi512EEEvPfS2_PT_PKS3_PKT0_S9_ifPKiSB_iPKfiiiSD_SD_iiiii.num_named_barrier, 0
	.set _ZN4vllm25paged_attention_v2_kernelIfhLi96ELi32ELi128ELNS_18Fp8KVCacheDataTypeE1ELb0ELi512EEEvPfS2_PT_PKS3_PKT0_S9_ifPKiSB_iPKfiiiSD_SD_iiiii.private_seg_size, 96
	.set _ZN4vllm25paged_attention_v2_kernelIfhLi96ELi32ELi128ELNS_18Fp8KVCacheDataTypeE1ELb0ELi512EEEvPfS2_PT_PKS3_PKT0_S9_ifPKiSB_iPKfiiiSD_SD_iiiii.uses_vcc, 1
	.set _ZN4vllm25paged_attention_v2_kernelIfhLi96ELi32ELi128ELNS_18Fp8KVCacheDataTypeE1ELb0ELi512EEEvPfS2_PT_PKS3_PKT0_S9_ifPKiSB_iPKfiiiSD_SD_iiiii.uses_flat_scratch, 1
	.set _ZN4vllm25paged_attention_v2_kernelIfhLi96ELi32ELi128ELNS_18Fp8KVCacheDataTypeE1ELb0ELi512EEEvPfS2_PT_PKS3_PKT0_S9_ifPKiSB_iPKfiiiSD_SD_iiiii.has_dyn_sized_stack, 0
	.set _ZN4vllm25paged_attention_v2_kernelIfhLi96ELi32ELi128ELNS_18Fp8KVCacheDataTypeE1ELb0ELi512EEEvPfS2_PT_PKS3_PKT0_S9_ifPKiSB_iPKfiiiSD_SD_iiiii.has_recursion, 0
	.set _ZN4vllm25paged_attention_v2_kernelIfhLi96ELi32ELi128ELNS_18Fp8KVCacheDataTypeE1ELb0ELi512EEEvPfS2_PT_PKS3_PKT0_S9_ifPKiSB_iPKfiiiSD_SD_iiiii.has_indirect_call, 0
	.section	.AMDGPU.csdata,"",@progbits
; Kernel info:
; codeLenInByte = 13756
; TotalNumSgprs: 38
; NumVgprs: 192
; ScratchSize: 96
; MemoryBound: 0
; FloatMode: 240
; IeeeMode: 1
; LDSByteSize: 416 bytes/workgroup (compile time only)
; SGPRBlocks: 0
; VGPRBlocks: 23
; NumSGPRsForWavesPerEU: 38
; NumVGPRsForWavesPerEU: 192
; Occupancy: 8
; WaveLimiterHint : 1
; COMPUTE_PGM_RSRC2:SCRATCH_EN: 1
; COMPUTE_PGM_RSRC2:USER_SGPR: 2
; COMPUTE_PGM_RSRC2:TRAP_HANDLER: 0
; COMPUTE_PGM_RSRC2:TGID_X_EN: 1
; COMPUTE_PGM_RSRC2:TGID_Y_EN: 1
; COMPUTE_PGM_RSRC2:TGID_Z_EN: 1
; COMPUTE_PGM_RSRC2:TIDIG_COMP_CNT: 0
	.section	.text._ZN4vllm25paged_attention_v2_kernelIfhLi112ELi32ELi128ELNS_18Fp8KVCacheDataTypeE1ELb0ELi512EEEvPfS2_PT_PKS3_PKT0_S9_ifPKiSB_iPKfiiiSD_SD_iiiii,"axG",@progbits,_ZN4vllm25paged_attention_v2_kernelIfhLi112ELi32ELi128ELNS_18Fp8KVCacheDataTypeE1ELb0ELi512EEEvPfS2_PT_PKS3_PKT0_S9_ifPKiSB_iPKfiiiSD_SD_iiiii,comdat
	.protected	_ZN4vllm25paged_attention_v2_kernelIfhLi112ELi32ELi128ELNS_18Fp8KVCacheDataTypeE1ELb0ELi512EEEvPfS2_PT_PKS3_PKT0_S9_ifPKiSB_iPKfiiiSD_SD_iiiii ; -- Begin function _ZN4vllm25paged_attention_v2_kernelIfhLi112ELi32ELi128ELNS_18Fp8KVCacheDataTypeE1ELb0ELi512EEEvPfS2_PT_PKS3_PKT0_S9_ifPKiSB_iPKfiiiSD_SD_iiiii
	.globl	_ZN4vllm25paged_attention_v2_kernelIfhLi112ELi32ELi128ELNS_18Fp8KVCacheDataTypeE1ELb0ELi512EEEvPfS2_PT_PKS3_PKT0_S9_ifPKiSB_iPKfiiiSD_SD_iiiii
	.p2align	8
	.type	_ZN4vllm25paged_attention_v2_kernelIfhLi112ELi32ELi128ELNS_18Fp8KVCacheDataTypeE1ELb0ELi512EEEvPfS2_PT_PKS3_PKT0_S9_ifPKiSB_iPKfiiiSD_SD_iiiii,@function
_ZN4vllm25paged_attention_v2_kernelIfhLi112ELi32ELi128ELNS_18Fp8KVCacheDataTypeE1ELb0ELi512EEEvPfS2_PT_PKS3_PKT0_S9_ifPKiSB_iPKfiiiSD_SD_iiiii: ; @_ZN4vllm25paged_attention_v2_kernelIfhLi112ELi32ELi128ELNS_18Fp8KVCacheDataTypeE1ELb0ELi512EEEvPfS2_PT_PKS3_PKT0_S9_ifPKiSB_iPKfiiiSD_SD_iiiii
; %bb.0:
	s_load_b64 s[2:3], s[0:1], 0x40
	s_and_b32 s15, ttmp7, 0xffff
	s_lshr_b32 s26, ttmp7, 16
	s_lshl_b32 s4, s15, 2
	s_lshl_b32 s28, s26, 9
	s_wait_kmcnt 0x0
	s_load_b32 s27, s[2:3], s4 offset:0x0
	s_wait_kmcnt 0x0
	s_cmp_ge_i32 s28, s27
	s_cbranch_scc1 .LBB238_154
; %bb.1:
	s_clause 0x1
	s_load_b32 s30, s[0:1], 0x90
	s_load_b64 s[8:9], s[0:1], 0x30
	v_mov_b32_e32 v190, v0
	s_wait_kmcnt 0x0
	s_abs_i32 s5, s30
	s_abs_i32 s2, s8
	s_delay_alu instid0(SALU_CYCLE_1) | instskip(SKIP_1) | instid1(SALU_CYCLE_2)
	s_cvt_f32_u32 s3, s2
	s_sub_co_i32 s4, 0, s2
	v_rcp_iflag_f32_e32 v1, s3
	s_delay_alu instid0(TRANS32_DEP_1) | instskip(SKIP_2) | instid1(SALU_CYCLE_2)
	v_readfirstlane_b32 s3, v1
	s_mul_f32 s3, s3, 0x4f7ffffe
	s_wait_alu 0xfffe
	s_cvt_u32_f32 s3, s3
	s_wait_alu 0xfffe
	s_delay_alu instid0(SALU_CYCLE_2) | instskip(NEXT) | instid1(SALU_CYCLE_1)
	s_mul_i32 s4, s4, s3
	s_mul_hi_u32 s4, s3, s4
	s_delay_alu instid0(SALU_CYCLE_1)
	s_add_co_i32 s3, s3, s4
	s_xor_b32 s4, s30, s8
	s_wait_alu 0xfffe
	s_mul_hi_u32 s3, s5, s3
	s_ashr_i32 s4, s4, 31
	s_wait_alu 0xfffe
	s_mul_i32 s6, s3, s2
	s_delay_alu instid0(SALU_CYCLE_1)
	s_sub_co_i32 s5, s5, s6
	s_add_co_i32 s6, s3, 1
	s_sub_co_i32 s7, s5, s2
	s_cmp_ge_u32 s5, s2
	s_cselect_b32 s3, s6, s3
	s_cselect_b32 s5, s7, s5
	s_wait_alu 0xfffe
	s_add_co_i32 s6, s3, 1
	s_cmp_ge_u32 s5, s2
	s_cselect_b32 s2, s6, s3
	s_load_b64 s[6:7], s[0:1], 0x50
	s_xor_b32 s2, s2, s4
	s_mov_b32 s3, 0
	s_wait_alu 0xfffe
	s_sub_co_i32 s11, s2, s4
	s_mov_b32 s8, s3
	s_abs_i32 s10, s11
	s_delay_alu instid0(SALU_CYCLE_1) | instskip(SKIP_1) | instid1(SALU_CYCLE_2)
	s_cvt_f32_u32 s2, s10
	s_wait_alu 0xfffe
	v_rcp_iflag_f32_e32 v1, s2
	s_delay_alu instid0(TRANS32_DEP_1) | instskip(SKIP_2) | instid1(SALU_CYCLE_2)
	v_readfirstlane_b32 s2, v1
	s_mul_f32 s2, s2, 0x4f7ffffe
	s_wait_alu 0xfffe
	s_cvt_u32_f32 s4, s2
	s_sub_co_i32 s2, 0, s10
	s_wait_alu 0xfffe
	s_delay_alu instid0(SALU_CYCLE_1)
	s_mul_i32 s2, s2, s4
	s_wait_alu 0xfffe
	s_mul_hi_u32 s5, s4, s2
	s_abs_i32 s2, ttmp9
	s_add_co_i32 s4, s4, s5
	s_mov_b32 s5, s3
	s_wait_kmcnt 0x0
	s_cmp_eq_u64 s[6:7], 0
	s_cbranch_scc1 .LBB238_3
; %bb.2:
	s_mov_b32 s12, ttmp9
	s_ashr_i32 s13, ttmp9, 31
	s_delay_alu instid0(SALU_CYCLE_1) | instskip(NEXT) | instid1(SALU_CYCLE_1)
	s_lshl_b64 s[12:13], s[12:13], 2
	s_add_nc_u64 s[6:7], s[6:7], s[12:13]
	s_load_b32 s8, s[6:7], 0x0
.LBB238_3:
	s_load_b96 s[12:14], s[0:1], 0x58
	s_mul_u64 s[4:5], s[2:3], s[4:5]
	s_ashr_i32 s3, ttmp9, 31
	s_ashr_i32 s4, s11, 31
	s_mul_i32 s16, ttmp9, 0x70
	s_mov_b32 s6, exec_lo
	v_cmpx_gt_u32_e32 28, v190
	s_cbranch_execz .LBB238_5
; %bb.4:
	s_load_b64 s[18:19], s[0:1], 0x18
	s_wait_kmcnt 0x0
	s_mul_i32 s20, s12, s15
	s_ashr_i32 s17, s16, 31
	s_ashr_i32 s21, s20, 31
	v_lshlrev_b32_e32 v5, 4, v190
	s_lshl_b64 s[20:21], s[20:21], 2
	s_delay_alu instid0(SALU_CYCLE_1) | instskip(SKIP_1) | instid1(SALU_CYCLE_1)
	s_add_nc_u64 s[18:19], s[18:19], s[20:21]
	s_lshl_b64 s[20:21], s[16:17], 2
	s_add_nc_u64 s[18:19], s[18:19], s[20:21]
	global_load_b128 v[1:4], v5, s[18:19]
	s_wait_loadcnt 0x0
	ds_store_b128 v5, v[1:4]
.LBB238_5:
	s_or_b32 exec_lo, exec_lo, s6
	s_add_co_i32 s6, s27, 31
	s_lshl_b32 s31, s26, 4
	s_ashr_i32 s7, s6, 31
	s_wait_alu 0xfffe
	s_xor_b32 s3, s3, s4
	s_lshr_b32 s7, s7, 27
	s_add_co_i32 s4, s31, 16
	s_add_co_i32 s6, s6, s7
	s_clause 0x1
	s_load_b64 s[18:19], s[0:1], 0x38
	s_load_b32 s11, s[0:1], 0x48
	s_ashr_i32 s29, s6, 5
	s_mul_i32 s6, s5, s10
	s_min_i32 s17, s4, s29
	s_sub_co_i32 s2, s2, s6
	s_add_co_i32 s4, s5, 1
	s_wait_alu 0xfffe
	s_sub_co_i32 s6, s2, s10
	s_cmp_ge_u32 s2, s10
	v_lshrrev_b32_e32 v142, 5, v190
	s_cselect_b32 s20, s4, s5
	s_cselect_b32 s2, s6, s2
	s_wait_kmcnt 0x0
	s_clause 0x1
	s_load_b32 s12, s[0:1], 0x98
	s_load_b128 s[4:7], s[0:1], 0x68
	s_add_co_i32 s21, s20, 1
	s_cmp_ge_u32 s2, s10
	v_and_b32_e32 v144, 31, v190
	v_dual_mov_b32 v122, 0xff7fffff :: v_dual_add_nc_u32 v163, s31, v142
	s_cselect_b32 s2, s21, s20
	s_wait_dscnt 0x0
	s_wait_alu 0xfffe
	s_xor_b32 s2, s2, s3
	v_lshlrev_b32_e32 v10, 2, v144
	s_wait_alu 0xfffe
	s_sub_co_i32 s3, s2, s3
	v_cmp_gt_i32_e64 s2, s17, v163
	v_lshlrev_b32_e32 v9, 2, v163
	s_mul_i32 s20, s11, s15
	s_wait_alu 0xfffe
	s_mul_i32 s22, s3, s14
	s_ashr_i32 s21, s20, 31
	s_barrier_signal -1
	s_barrier_wait -1
	global_inv scope:SCOPE_SE
	s_and_saveexec_b32 s10, s2
	s_cbranch_execz .LBB238_9
; %bb.6:
	v_dual_mov_b32 v1, 0 :: v_dual_lshlrev_b32 v2, 4, v144
	s_load_b64 s[24:25], s[0:1], 0x20
	s_wait_kmcnt 0x0
	s_load_b32 s5, s[4:5], 0x0
	s_ashr_i32 s23, s22, 31
	ds_load_b128 v[3:6], v1
	s_cmp_neq_f32 s8, 0
	s_mov_b32 s11, s13
	s_mov_b32 s14, 0
	v_mov_b32_e32 v122, 0xff7fffff
	s_cselect_b32 vcc_lo, -1, 0
	v_mov_b32_e32 v125, v163
	s_add_nc_u64 s[24:25], s[24:25], s[22:23]
	s_wait_kmcnt 0x0
	s_mov_b32 s23, s5
	v_add_co_u32 v0, s3, s24, v2
	s_wait_dscnt 0x0
	scratch_store_b128 off, v[3:6], off     ; 16-byte Folded Spill
	ds_load_b128 v[3:6], v1 offset:16
	s_wait_dscnt 0x0
	scratch_store_b128 off, v[3:6], off offset:16 ; 16-byte Folded Spill
	ds_load_b128 v[3:6], v1 offset:32
	s_wait_dscnt 0x0
	scratch_store_b128 off, v[3:6], off offset:32 ; 16-byte Folded Spill
	;; [unrolled: 3-line block ×11, first 2 shown]
	ds_load_b128 v[49:52], v1 offset:192
	ds_load_b128 v[53:56], v1 offset:208
	;; [unrolled: 1-line block ×6, first 2 shown]
	scratch_store_b32 off, v10, off offset:208 ; 4-byte Folded Spill
	ds_load_b128 v[73:76], v1 offset:288
	ds_load_b128 v[77:80], v1 offset:304
	;; [unrolled: 1-line block ×10, first 2 shown]
	s_wait_alu 0xf1ff
	v_add_co_ci_u32_e64 v1, null, s25, 0, s3
	s_lshl_b64 s[24:25], s[20:21], 2
	v_lshlrev_b32_e32 v3, 5, v142
	v_lshl_or_b32 v4, v142, 7, v10
	s_wait_alu 0xfffe
	s_add_nc_u64 s[24:25], s[18:19], s[24:25]
	s_clause 0x2
	scratch_store_b64 off, v[0:1], off offset:192
	scratch_store_b32 off, v9, off offset:204
	scratch_store_b32 off, v163, off offset:200
	s_wait_alu 0xfffe
	v_add_co_u32 v115, s3, s24, v9
	v_add3_u32 v123, s28, v3, v144
	v_add_nc_u32_e32 v124, 0x1e0, v4
	s_wait_alu 0xf1ff
	v_add_co_ci_u32_e64 v116, null, s25, 0, s3
	s_sub_co_i32 s24, 1, s27
.LBB238_7:                              ; =>This Inner Loop Header: Depth=1
	global_load_b32 v1, v[115:116], off
	s_clause 0x2
	scratch_load_b64 v[2:3], off, off offset:192
	scratch_load_b128 v[186:189], off, off offset:16
	scratch_load_b128 v[182:185], off, off
	v_cmp_gt_i32_e64 s3, s27, v123
	v_add_nc_u32_e32 v125, 4, v125
	s_delay_alu instid0(VALU_DEP_1)
	v_cmp_le_i32_e64 s4, s17, v125
	s_or_b32 s14, s4, s14
	s_wait_loadcnt 0x2
	v_mad_co_i64_i32 v[157:158], null, v1, s11, v[2:3]
	s_clause 0x2
	global_load_b128 v[1:4], v[157:158], off
	global_load_b128 v[8:11], v[157:158], off offset:512
	global_load_b128 v[153:156], v[157:158], off offset:1024
	s_wait_loadcnt 0x2
	v_and_b32_e32 v114, 0xffff, v1
	v_lshrrev_b32_e32 v113, 16, v1
	v_and_b32_e32 v121, 0xffff, v2
	v_lshrrev_b32_e32 v118, 16, v2
	;; [unrolled: 2-line block ×4, first 2 shown]
	s_wait_loadcnt 0x1
	v_and_b32_e32 v3, 0xffff, v8
	v_lshrrev_b32_e32 v4, 16, v8
	v_and_b32_e32 v12, 0xffff, v11
	v_lshrrev_b32_e32 v13, 16, v11
	s_wait_loadcnt 0x0
	v_and_b32_e32 v15, 0xffff, v153
	v_lshrrev_b32_e32 v14, 16, v153
	v_and_b32_e32 v11, 0xffff, v154
	v_lshrrev_b32_e32 v8, 16, v154
	;; [unrolled: 2-line block ×4, first 2 shown]
	global_load_b128 v[153:156], v[157:158], off offset:1536
	v_lshrrev_b32_e32 v7, 16, v9
	s_wait_loadcnt 0x0
	v_and_b32_e32 v16, 0xffff, v153
	v_lshrrev_b32_e32 v17, 16, v153
	v_and_b32_e32 v18, 0xffff, v154
	v_lshrrev_b32_e32 v19, 16, v154
	v_and_b32_e32 v20, 0xffff, v155
	v_lshrrev_b32_e32 v21, 16, v155
	v_and_b32_e32 v22, 0xffff, v156
	v_lshrrev_b32_e32 v23, 16, v156
	global_load_b128 v[153:156], v[157:158], off offset:2048
	s_wait_loadcnt 0x0
	v_and_b32_e32 v24, 0xffff, v153
	v_lshrrev_b32_e32 v25, 16, v153
	v_and_b32_e32 v26, 0xffff, v154
	v_lshrrev_b32_e32 v27, 16, v154
	v_and_b32_e32 v28, 0xffff, v155
	v_lshrrev_b32_e32 v29, 16, v155
	v_and_b32_e32 v30, 0xffff, v156
	v_lshrrev_b32_e32 v31, 16, v156
	global_load_b128 v[153:156], v[157:158], off offset:2560
	;; [unrolled: 10-line block ×3, first 2 shown]
	s_wait_loadcnt 0x0
	v_and_b32_e32 v40, 0xffff, v153
	v_lshrrev_b32_e32 v41, 16, v153
	v_and_b32_e32 v42, 0xffff, v154
	v_lshrrev_b32_e32 v43, 16, v154
	v_cvt_pk_f32_fp8_e32 v[153:154], v114
	v_cvt_pk_f32_fp8_e32 v[113:114], v113
	v_and_b32_e32 v6, 0xffff, v9
	v_and_b32_e32 v44, 0xffff, v155
	v_lshrrev_b32_e32 v45, 16, v155
	s_delay_alu instid0(VALU_DEP_4)
	v_dual_mul_f32 v140, s5, v153 :: v_dual_mul_f32 v143, s23, v114
	v_mul_f32_e32 v153, s5, v113
	v_cvt_pk_f32_fp8_e32 v[113:114], v121
	v_mul_f32_e32 v48, s23, v154
	v_and_b32_e32 v46, 0xffff, v156
	v_lshrrev_b32_e32 v47, 16, v156
	s_delay_alu instid0(VALU_DEP_4) | instskip(SKIP_1) | instid1(VALU_DEP_1)
	v_dual_mul_f32 v121, s23, v114 :: v_dual_mul_f32 v154, s5, v113
	v_cvt_pk_f32_fp8_e32 v[113:114], v118
	v_dual_mul_f32 v121, v187, v121 :: v_dual_mul_f32 v118, s23, v114
	s_delay_alu instid0(VALU_DEP_2) | instskip(SKIP_4) | instid1(VALU_DEP_4)
	v_mul_f32_e32 v155, s5, v113
	v_cvt_pk_f32_fp8_e32 v[113:114], v117
	v_and_b32_e32 v9, 0xffff, v10
	v_lshrrev_b32_e32 v10, 16, v10
	v_fmac_f32_e32 v121, v183, v48
	v_dual_mul_f32 v117, s23, v114 :: v_dual_mul_f32 v156, s5, v113
	v_cvt_pk_f32_fp8_e32 v[113:114], v120
	s_delay_alu instid0(VALU_DEP_1) | instskip(SKIP_1) | instid1(VALU_DEP_1)
	v_dual_mul_f32 v120, s23, v114 :: v_dual_mul_f32 v157, s5, v113
	v_cvt_pk_f32_fp8_e32 v[113:114], v127
	v_dual_mul_f32 v127, s23, v114 :: v_dual_mul_f32 v158, s5, v113
	v_cvt_pk_f32_fp8_e32 v[113:114], v126
	s_delay_alu instid0(VALU_DEP_1) | instskip(SKIP_2) | instid1(VALU_DEP_2)
	v_dual_mul_f32 v126, s23, v114 :: v_dual_mul_f32 v191, s5, v113
	v_cvt_pk_f32_fp8_e32 v[113:114], v3
	v_cvt_pk_f32_fp8_e32 v[3:4], v4
	v_mul_f32_e32 v114, s23, v114
	s_delay_alu instid0(VALU_DEP_2) | instskip(SKIP_2) | instid1(VALU_DEP_2)
	v_dual_mul_f32 v128, s23, v4 :: v_dual_mul_f32 v141, s5, v3
	v_cvt_pk_f32_fp8_e32 v[3:4], v6
	v_dual_mul_f32 v113, s5, v113 :: v_dual_mul_f32 v48, v188, v155
	v_mul_f32_e32 v6, s23, v4
	s_delay_alu instid0(VALU_DEP_3) | instskip(SKIP_1) | instid1(VALU_DEP_1)
	v_mul_f32_e32 v142, s5, v3
	v_cvt_pk_f32_fp8_e32 v[3:4], v7
	v_mul_f32_e32 v7, s23, v4
	s_delay_alu instid0(VALU_DEP_2) | instskip(SKIP_1) | instid1(VALU_DEP_1)
	v_mul_f32_e32 v129, s5, v3
	v_cvt_pk_f32_fp8_e32 v[3:4], v9
	v_dual_mul_f32 v9, s23, v4 :: v_dual_mul_f32 v130, s5, v3
	v_cvt_pk_f32_fp8_e32 v[3:4], v10
	s_delay_alu instid0(VALU_DEP_1) | instskip(SKIP_1) | instid1(VALU_DEP_1)
	v_dual_mul_f32 v10, s23, v4 :: v_dual_mul_f32 v131, s5, v3
	v_cvt_pk_f32_fp8_e32 v[3:4], v12
	v_mul_f32_e32 v12, s23, v4
	s_delay_alu instid0(VALU_DEP_2) | instskip(SKIP_1) | instid1(VALU_DEP_1)
	v_mul_f32_e32 v144, s5, v3
	v_cvt_pk_f32_fp8_e32 v[3:4], v13
	v_dual_mul_f32 v13, s23, v4 :: v_dual_mul_f32 v0, s5, v3
	v_cvt_pk_f32_fp8_e32 v[3:4], v15
	s_delay_alu instid0(VALU_DEP_1) | instskip(SKIP_1) | instid1(VALU_DEP_1)
	v_dual_mul_f32 v15, s23, v4 :: v_dual_mul_f32 v132, s5, v3
	v_cvt_pk_f32_fp8_e32 v[3:4], v14
	v_dual_mul_f32 v14, s23, v4 :: v_dual_mul_f32 v133, s5, v3
	v_cvt_pk_f32_fp8_e32 v[3:4], v11
	s_delay_alu instid0(VALU_DEP_1) | instskip(SKIP_1) | instid1(VALU_DEP_1)
	v_dual_mul_f32 v11, s23, v4 :: v_dual_mul_f32 v134, s5, v3
	v_cvt_pk_f32_fp8_e32 v[3:4], v8
	v_dual_mul_f32 v8, s23, v4 :: v_dual_mul_f32 v135, s5, v3
	v_cvt_pk_f32_fp8_e32 v[3:4], v5
	s_delay_alu instid0(VALU_DEP_1) | instskip(SKIP_1) | instid1(VALU_DEP_1)
	v_mul_f32_e32 v5, s5, v3
	v_cvt_pk_f32_fp8_e32 v[2:3], v2
	v_mul_f32_e32 v136, s5, v2
	v_cvt_pk_f32_fp8_e32 v[1:2], v1
	s_delay_alu instid0(VALU_DEP_3) | instskip(NEXT) | instid1(VALU_DEP_2)
	v_mul_f32_e32 v3, s23, v3
	v_dual_mul_f32 v137, s23, v2 :: v_dual_mul_f32 v138, s5, v1
	v_cvt_pk_f32_fp8_e32 v[1:2], v119
	s_delay_alu instid0(VALU_DEP_1) | instskip(NEXT) | instid1(VALU_DEP_2)
	v_dual_fmac_f32 v48, v184, v153 :: v_dual_mul_f32 v119, s23, v2
	v_mul_f32_e32 v139, s5, v1
	v_cvt_pk_f32_fp8_e32 v[1:2], v16
	s_delay_alu instid0(VALU_DEP_1) | instskip(SKIP_1) | instid1(VALU_DEP_1)
	v_dual_mul_f32 v16, s23, v2 :: v_dual_mul_f32 v145, s5, v1
	v_cvt_pk_f32_fp8_e32 v[1:2], v17
	v_dual_mul_f32 v17, s23, v2 :: v_dual_mul_f32 v146, s5, v1
	v_cvt_pk_f32_fp8_e32 v[1:2], v18
	v_mul_f32_e32 v118, v189, v118
	s_delay_alu instid0(VALU_DEP_2) | instskip(SKIP_1) | instid1(VALU_DEP_1)
	v_dual_mul_f32 v18, s23, v2 :: v_dual_mul_f32 v147, s5, v1
	v_cvt_pk_f32_fp8_e32 v[1:2], v19
	v_dual_fmac_f32 v118, v185, v143 :: v_dual_mul_f32 v19, s23, v2
	s_delay_alu instid0(VALU_DEP_2) | instskip(SKIP_1) | instid1(VALU_DEP_1)
	v_mul_f32_e32 v148, s5, v1
	v_cvt_pk_f32_fp8_e32 v[1:2], v20
	v_dual_mul_f32 v20, s23, v2 :: v_dual_mul_f32 v149, s5, v1
	v_cvt_pk_f32_fp8_e32 v[1:2], v21
	s_delay_alu instid0(VALU_DEP_1) | instskip(SKIP_1) | instid1(VALU_DEP_1)
	v_dual_mul_f32 v21, s23, v2 :: v_dual_mul_f32 v150, s5, v1
	v_cvt_pk_f32_fp8_e32 v[1:2], v22
	v_dual_mul_f32 v22, s23, v2 :: v_dual_mul_f32 v151, s5, v1
	v_cvt_pk_f32_fp8_e32 v[1:2], v23
	s_delay_alu instid0(VALU_DEP_1) | instskip(NEXT) | instid1(VALU_DEP_2)
	v_dual_mul_f32 v4, s23, v4 :: v_dual_mul_f32 v23, s23, v2
	v_mul_f32_e32 v152, s5, v1
	v_cvt_pk_f32_fp8_e32 v[1:2], v24
	s_delay_alu instid0(VALU_DEP_1) | instskip(SKIP_1) | instid1(VALU_DEP_1)
	v_dual_mul_f32 v24, s23, v2 :: v_dual_mul_f32 v159, s5, v1
	v_cvt_pk_f32_fp8_e32 v[1:2], v25
	v_dual_mul_f32 v25, s23, v2 :: v_dual_mul_f32 v160, s5, v1
	v_cvt_pk_f32_fp8_e32 v[1:2], v26
	s_delay_alu instid0(VALU_DEP_1) | instskip(SKIP_1) | instid1(VALU_DEP_1)
	v_dual_mul_f32 v26, s23, v2 :: v_dual_mul_f32 v161, s5, v1
	v_cvt_pk_f32_fp8_e32 v[1:2], v27
	v_dual_mul_f32 v27, s23, v2 :: v_dual_mul_f32 v162, s5, v1
	;; [unrolled: 5-line block ×11, first 2 shown]
	v_cvt_pk_f32_fp8_e32 v[1:2], v46
	s_delay_alu instid0(VALU_DEP_1) | instskip(SKIP_2) | instid1(VALU_DEP_2)
	v_dual_mul_f32 v46, s23, v2 :: v_dual_mul_f32 v181, s5, v1
	v_cvt_pk_f32_fp8_e32 v[1:2], v47
	v_mul_f32_e32 v47, v186, v154
	v_mul_f32_e32 v1, s5, v1
	s_delay_alu instid0(VALU_DEP_2)
	v_fmac_f32_e32 v47, v182, v140
	scratch_load_b128 v[182:185], off, off offset:32 ; 16-byte Folded Reload
	s_wait_loadcnt 0x0
	v_fmac_f32_e32 v47, v182, v156
	scratch_load_b128 v[153:156], off, off offset:48 ; 16-byte Folded Reload
	v_fmac_f32_e32 v121, v183, v117
	v_fmac_f32_e32 v48, v184, v157
	v_fmac_f32_e32 v118, v185, v120
	s_wait_loadcnt 0x0
	v_fmac_f32_e32 v47, v153, v158
	v_fmac_f32_e32 v121, v154, v127
	;; [unrolled: 1-line block ×4, first 2 shown]
	scratch_load_b128 v[153:156], off, off offset:64 ; 16-byte Folded Reload
	s_wait_loadcnt 0x0
	v_fmac_f32_e32 v47, v153, v113
	v_dual_fmac_f32 v121, v154, v114 :: v_dual_fmac_f32 v48, v155, v141
	v_fmac_f32_e32 v118, v156, v128
	scratch_load_b128 v[153:156], off, off offset:80 ; 16-byte Folded Reload
	s_wait_loadcnt 0x0
	v_fmac_f32_e32 v48, v155, v129
	scratch_load_b128 v[126:129], off, off offset:96 ; 16-byte Folded Reload
	v_fmac_f32_e32 v47, v153, v142
	v_dual_fmac_f32 v121, v154, v6 :: v_dual_fmac_f32 v118, v156, v7
	s_wait_loadcnt 0x0
	s_delay_alu instid0(VALU_DEP_1) | instskip(NEXT) | instid1(VALU_DEP_3)
	v_dual_mul_f32 v2, s23, v2 :: v_dual_fmac_f32 v121, v127, v9
	v_dual_fmac_f32 v47, v126, v130 :: v_dual_fmac_f32 v48, v128, v131
	s_delay_alu instid0(VALU_DEP_3)
	v_fmac_f32_e32 v118, v129, v10
	scratch_load_b128 v[126:129], off, off offset:112 ; 16-byte Folded Reload
	s_wait_loadcnt 0x0
	v_fmac_f32_e32 v47, v126, v144
	v_fmac_f32_e32 v121, v127, v12
	;; [unrolled: 1-line block ×4, first 2 shown]
	scratch_load_b128 v[126:129], off, off offset:128 ; 16-byte Folded Reload
	s_wait_loadcnt 0x0
	v_dual_fmac_f32 v121, v127, v15 :: v_dual_fmac_f32 v118, v129, v14
	scratch_load_b128 v[12:15], off, off offset:144 ; 16-byte Folded Reload
	v_fmac_f32_e32 v47, v126, v132
	s_wait_loadcnt 0x0
	v_fmac_f32_e32 v118, v15, v8
	scratch_load_b128 v[6:9], off, off offset:160 ; 16-byte Folded Reload
	v_fmac_f32_e32 v47, v12, v134
	v_fmac_f32_e32 v121, v13, v11
	s_wait_loadcnt 0x0
	s_delay_alu instid0(VALU_DEP_2) | instskip(NEXT) | instid1(VALU_DEP_2)
	v_fmac_f32_e32 v47, v6, v5
	v_dual_fmac_f32 v121, v7, v4 :: v_dual_fmac_f32 v118, v9, v3
	scratch_load_b128 v[3:6], off, off offset:176 ; 16-byte Folded Reload
	s_wait_loadcnt 0x0
	v_fmac_f32_e32 v47, v3, v138
	v_fmac_f32_e32 v121, v4, v137
	s_wait_dscnt 0xf
	s_delay_alu instid0(VALU_DEP_2) | instskip(NEXT) | instid1(VALU_DEP_2)
	v_fmac_f32_e32 v47, v49, v145
	v_dual_fmac_f32 v48, v128, v133 :: v_dual_fmac_f32 v121, v50, v16
	s_wait_dscnt 0xe
	s_delay_alu instid0(VALU_DEP_2) | instskip(NEXT) | instid1(VALU_DEP_2)
	v_fmac_f32_e32 v47, v53, v147
	v_fmac_f32_e32 v48, v14, v135
	s_delay_alu instid0(VALU_DEP_3) | instskip(SKIP_1) | instid1(VALU_DEP_2)
	v_fmac_f32_e32 v121, v54, v18
	s_wait_dscnt 0xd
	v_dual_fmac_f32 v47, v57, v149 :: v_dual_fmac_f32 v48, v8, v136
	s_delay_alu instid0(VALU_DEP_2) | instskip(SKIP_1) | instid1(VALU_DEP_2)
	v_fmac_f32_e32 v121, v58, v20
	s_wait_dscnt 0xc
	v_fmac_f32_e32 v47, v61, v151
	s_delay_alu instid0(VALU_DEP_2) | instskip(SKIP_1) | instid1(VALU_DEP_2)
	v_dual_fmac_f32 v121, v62, v22 :: v_dual_fmac_f32 v48, v5, v139
	s_wait_dscnt 0xb
	v_fmac_f32_e32 v47, v65, v159
	v_fmac_f32_e32 v118, v6, v119
	s_delay_alu instid0(VALU_DEP_3) | instskip(SKIP_1) | instid1(VALU_DEP_3)
	v_dual_fmac_f32 v121, v66, v24 :: v_dual_fmac_f32 v48, v51, v146
	s_wait_dscnt 0xa
	v_fmac_f32_e32 v47, v69, v161
	s_delay_alu instid0(VALU_DEP_2) | instskip(SKIP_1) | instid1(VALU_DEP_2)
	v_dual_fmac_f32 v118, v52, v17 :: v_dual_fmac_f32 v121, v70, v26
	s_wait_dscnt 0x9
	v_dual_fmac_f32 v48, v55, v148 :: v_dual_fmac_f32 v47, v73, v163
	s_delay_alu instid0(VALU_DEP_2) | instskip(SKIP_1) | instid1(VALU_DEP_2)
	v_dual_fmac_f32 v118, v56, v19 :: v_dual_fmac_f32 v121, v74, v28
	s_wait_dscnt 0x8
	v_dual_fmac_f32 v48, v59, v150 :: v_dual_fmac_f32 v47, v77, v165
	s_delay_alu instid0(VALU_DEP_2) | instskip(SKIP_1) | instid1(VALU_DEP_2)
	v_dual_fmac_f32 v118, v60, v21 :: v_dual_fmac_f32 v121, v78, v30
	s_wait_dscnt 0x7
	v_dual_fmac_f32 v48, v63, v152 :: v_dual_fmac_f32 v47, v81, v167
	s_delay_alu instid0(VALU_DEP_2) | instskip(SKIP_1) | instid1(VALU_DEP_2)
	v_dual_fmac_f32 v118, v64, v23 :: v_dual_fmac_f32 v121, v82, v32
	s_wait_dscnt 0x6
	v_dual_fmac_f32 v48, v67, v160 :: v_dual_fmac_f32 v47, v85, v169
	s_delay_alu instid0(VALU_DEP_2) | instskip(SKIP_1) | instid1(VALU_DEP_2)
	v_dual_fmac_f32 v118, v68, v25 :: v_dual_fmac_f32 v121, v86, v34
	s_wait_dscnt 0x5
	v_dual_fmac_f32 v48, v71, v162 :: v_dual_fmac_f32 v47, v89, v171
	s_delay_alu instid0(VALU_DEP_2) | instskip(SKIP_1) | instid1(VALU_DEP_2)
	v_dual_fmac_f32 v118, v72, v27 :: v_dual_fmac_f32 v121, v90, v36
	s_wait_dscnt 0x4
	v_dual_fmac_f32 v48, v75, v164 :: v_dual_fmac_f32 v47, v93, v173
	s_delay_alu instid0(VALU_DEP_2) | instskip(SKIP_1) | instid1(VALU_DEP_2)
	v_dual_fmac_f32 v118, v76, v29 :: v_dual_fmac_f32 v121, v94, v38
	s_wait_dscnt 0x3
	v_dual_fmac_f32 v48, v79, v166 :: v_dual_fmac_f32 v47, v97, v175
	s_delay_alu instid0(VALU_DEP_2) | instskip(SKIP_1) | instid1(VALU_DEP_2)
	v_dual_fmac_f32 v118, v80, v31 :: v_dual_fmac_f32 v121, v98, v40
	s_wait_dscnt 0x2
	v_dual_fmac_f32 v48, v83, v168 :: v_dual_fmac_f32 v47, v101, v177
	s_delay_alu instid0(VALU_DEP_2) | instskip(SKIP_1) | instid1(VALU_DEP_2)
	v_dual_fmac_f32 v118, v84, v33 :: v_dual_fmac_f32 v121, v102, v42
	s_wait_dscnt 0x1
	v_dual_fmac_f32 v48, v87, v170 :: v_dual_fmac_f32 v47, v105, v179
	s_delay_alu instid0(VALU_DEP_2) | instskip(SKIP_1) | instid1(VALU_DEP_2)
	v_dual_fmac_f32 v118, v88, v35 :: v_dual_fmac_f32 v121, v106, v44
	s_wait_dscnt 0x0
	v_dual_fmac_f32 v48, v91, v172 :: v_dual_fmac_f32 v47, v109, v181
	s_delay_alu instid0(VALU_DEP_2) | instskip(NEXT) | instid1(VALU_DEP_2)
	v_dual_fmac_f32 v118, v92, v37 :: v_dual_fmac_f32 v121, v110, v46
	v_fmac_f32_e32 v48, v95, v174
	s_delay_alu instid0(VALU_DEP_2) | instskip(NEXT) | instid1(VALU_DEP_2)
	v_add_f32_e32 v0, v47, v121
	v_fmac_f32_e32 v48, v99, v176
	s_delay_alu instid0(VALU_DEP_1) | instskip(NEXT) | instid1(VALU_DEP_1)
	v_fmac_f32_e32 v48, v103, v178
	v_fmac_f32_e32 v48, v107, v180
	s_wait_alu 0xfffe
	s_delay_alu instid0(VALU_DEP_1) | instskip(NEXT) | instid1(VALU_DEP_1)
	v_dual_fmac_f32 v48, v111, v1 :: v_dual_add_nc_u32 v1, s24, v123
	v_dual_add_f32 v0, v48, v0 :: v_dual_add_nc_u32 v123, 0x80, v123
	s_delay_alu instid0(VALU_DEP_2) | instskip(NEXT) | instid1(VALU_DEP_1)
	v_cvt_f32_i32_e32 v1, v1
	v_dual_fmac_f32 v118, v96, v39 :: v_dual_mul_f32 v1, s8, v1
	s_delay_alu instid0(VALU_DEP_1) | instskip(NEXT) | instid1(VALU_DEP_2)
	v_cndmask_b32_e32 v1, 0, v1, vcc_lo
	v_fmac_f32_e32 v118, v100, v41
	s_delay_alu instid0(VALU_DEP_1) | instskip(NEXT) | instid1(VALU_DEP_1)
	v_fmac_f32_e32 v118, v104, v43
	v_fmac_f32_e32 v118, v108, v45
	s_delay_alu instid0(VALU_DEP_1) | instskip(NEXT) | instid1(VALU_DEP_1)
	v_fmac_f32_e32 v118, v112, v2
	v_add_f32_e32 v0, v118, v0
	s_delay_alu instid0(VALU_DEP_1) | instskip(NEXT) | instid1(VALU_DEP_1)
	v_dual_fmac_f32 v1, s9, v0 :: v_dual_max_num_f32 v0, v122, v122
	v_max_num_f32_e32 v0, v0, v1
	v_cndmask_b32_e64 v1, 0, v1, s3
	s_delay_alu instid0(VALU_DEP_2)
	v_cndmask_b32_e64 v122, v122, v0, s3
	v_add_co_u32 v115, s3, v115, 16
	ds_store_b32 v124, v1
	s_wait_alu 0xf1ff
	v_add_co_ci_u32_e64 v116, null, 0, v116, s3
	v_add_nc_u32_e32 v124, 0x200, v124
	s_and_not1_b32 exec_lo, exec_lo, s14
	s_cbranch_execnz .LBB238_7
; %bb.8:
	s_or_b32 exec_lo, exec_lo, s14
	s_clause 0x2
	scratch_load_b32 v163, off, off offset:200
	scratch_load_b32 v9, off, off offset:204
	;; [unrolled: 1-line block ×3, first 2 shown]
	v_lshrrev_b32_e32 v142, 5, v190
	v_and_b32_e32 v144, 31, v190
.LBB238_9:
	s_or_b32 exec_lo, exec_lo, s10
	v_mbcnt_lo_u32_b32 v1, -1, 0
	s_load_b128 s[8:11], s[0:1], 0x0
	s_wait_kmcnt 0x0
	s_clause 0x1
	s_load_b64 s[4:5], s[0:1], 0x10
	s_load_b64 s[24:25], s[0:1], 0x28
	v_xor_b32_e32 v2, 16, v1
	v_xor_b32_e32 v4, 8, v1
	s_delay_alu instid0(VALU_DEP_2) | instskip(SKIP_2) | instid1(VALU_DEP_3)
	v_cmp_gt_i32_e32 vcc_lo, 32, v2
	s_wait_alu 0xfffd
	v_cndmask_b32_e32 v2, v1, v2, vcc_lo
	v_cmp_gt_i32_e32 vcc_lo, 32, v4
	v_max_num_f32_e32 v5, v122, v122
	s_delay_alu instid0(VALU_DEP_3)
	v_lshlrev_b32_e32 v2, 2, v2
	s_wait_alu 0xfffd
	v_cndmask_b32_e32 v4, v1, v4, vcc_lo
	ds_bpermute_b32 v3, v2, v122
	s_wait_dscnt 0x0
	v_dual_max_num_f32 v6, v3, v3 :: v_dual_lshlrev_b32 v3, 2, v4
	s_delay_alu instid0(VALU_DEP_1)
	v_max_num_f32_e32 v4, v5, v6
	v_xor_b32_e32 v6, 4, v1
	ds_bpermute_b32 v5, v3, v4
	v_cmp_gt_i32_e32 vcc_lo, 32, v6
	s_wait_alu 0xfffd
	v_cndmask_b32_e32 v6, v1, v6, vcc_lo
	s_wait_dscnt 0x0
	v_max_num_f32_e32 v5, v5, v5
	s_delay_alu instid0(VALU_DEP_2) | instskip(SKIP_1) | instid1(VALU_DEP_3)
	v_lshlrev_b32_e32 v13, 2, v6
	v_xor_b32_e32 v6, 2, v1
	v_max_num_f32_e32 v4, v4, v5
	s_delay_alu instid0(VALU_DEP_2) | instskip(SKIP_3) | instid1(VALU_DEP_1)
	v_cmp_gt_i32_e32 vcc_lo, 32, v6
	ds_bpermute_b32 v5, v13, v4
	s_wait_alu 0xfffd
	v_cndmask_b32_e32 v6, v1, v6, vcc_lo
	v_lshlrev_b32_e32 v12, 2, v6
	v_xor_b32_e32 v6, 1, v1
	s_delay_alu instid0(VALU_DEP_1)
	v_cmp_gt_i32_e32 vcc_lo, 32, v6
	s_wait_alu 0xfffd
	v_cndmask_b32_e32 v6, v1, v6, vcc_lo
	v_cmp_eq_u32_e32 vcc_lo, 0, v144
	s_wait_dscnt 0x0
	v_max_num_f32_e32 v5, v5, v5
	s_delay_alu instid0(VALU_DEP_1) | instskip(SKIP_3) | instid1(VALU_DEP_1)
	v_dual_max_num_f32 v4, v4, v5 :: v_dual_lshlrev_b32 v11, 2, v6
	ds_bpermute_b32 v5, v12, v4
	s_wait_dscnt 0x0
	v_max_num_f32_e32 v5, v5, v5
	v_max_num_f32_e32 v1, v4, v5
	v_lshlrev_b32_e32 v5, 2, v142
	ds_bpermute_b32 v4, v11, v1
	s_and_saveexec_b32 s0, vcc_lo
	s_cbranch_execz .LBB238_11
; %bb.10:
	s_wait_dscnt 0x0
	v_dual_max_num_f32 v0, v4, v4 :: v_dual_max_num_f32 v1, v1, v1
	s_delay_alu instid0(VALU_DEP_1)
	v_max_num_f32_e32 v0, v1, v0
	ds_store_b32 v5, v0 offset:448
.LBB238_11:
	s_or_b32 exec_lo, exec_lo, s0
	v_cmp_gt_u32_e64 s0, 4, v144
	v_mov_b32_e32 v1, 0xff7fffff
	s_wait_storecnt 0x0
	s_wait_loadcnt_dscnt 0x0
	s_barrier_signal -1
	s_barrier_wait -1
	global_inv scope:SCOPE_SE
	s_and_saveexec_b32 s1, s0
; %bb.12:
	ds_load_b32 v1, v10 offset:448
; %bb.13:
	s_or_b32 exec_lo, exec_lo, s1
	s_wait_dscnt 0x0
	ds_bpermute_b32 v0, v12, v1
	v_max_num_f32_e32 v1, v1, v1
	s_sub_co_i32 s1, s17, s31
	v_lshl_add_u32 v4, v190, 2, 0x1e0
	s_lshl_b32 s1, s1, 5
	v_mov_b32_e32 v6, 0
	s_add_co_i32 s1, s1, s28
	s_delay_alu instid0(SALU_CYCLE_1) | instskip(NEXT) | instid1(SALU_CYCLE_1)
	s_min_i32 s1, s1, s27
	s_sub_co_i32 s14, s1, s28
	s_delay_alu instid0(SALU_CYCLE_1) | instskip(SKIP_2) | instid1(VALU_DEP_1)
	v_cmp_gt_i32_e64 s1, s14, v190
	s_wait_dscnt 0x0
	v_max_num_f32_e32 v0, v0, v0
	v_max_num_f32_e32 v0, v1, v0
	ds_bpermute_b32 v1, v11, v0
	s_wait_dscnt 0x0
	v_max_num_f32_e32 v1, v1, v1
	s_delay_alu instid0(VALU_DEP_1)
	v_max_num_f32_e32 v0, v0, v1
	ds_bpermute_b32 v1, v6, v0
	s_and_saveexec_b32 s23, s1
	s_cbranch_execz .LBB238_17
; %bb.14:
	v_lshl_add_u32 v7, v190, 2, 0x1e0
	v_mov_b32_e32 v6, 0
	v_mov_b32_e32 v8, v190
	s_mov_b32 s31, 0
.LBB238_15:                             ; =>This Inner Loop Header: Depth=1
	ds_load_b32 v0, v7
	v_add_nc_u32_e32 v8, 0x80, v8
	s_delay_alu instid0(VALU_DEP_1) | instskip(SKIP_4) | instid1(VALU_DEP_1)
	v_cmp_le_i32_e64 s3, s14, v8
	s_wait_alu 0xfffe
	s_or_b32 s31, s3, s31
	s_wait_dscnt 0x0
	v_sub_f32_e32 v0, v0, v1
	v_mul_f32_e32 v0, 0x3fb8aa3b, v0
	s_delay_alu instid0(VALU_DEP_1)
	v_exp_f32_e32 v0, v0
	ds_store_b32 v7, v0
	v_dual_add_f32 v6, v6, v0 :: v_dual_add_nc_u32 v7, 0x200, v7
	s_wait_alu 0xfffe
	s_and_not1_b32 exec_lo, exec_lo, s31
	s_cbranch_execnz .LBB238_15
; %bb.16:
	s_or_b32 exec_lo, exec_lo, s31
.LBB238_17:
	s_wait_alu 0xfffe
	s_or_b32 exec_lo, exec_lo, s23
	ds_bpermute_b32 v0, v2, v6
	s_wait_dscnt 0x0
	v_add_f32_e32 v0, v6, v0
	ds_bpermute_b32 v2, v3, v0
	s_wait_dscnt 0x0
	v_add_f32_e32 v0, v0, v2
	;; [unrolled: 3-line block ×5, first 2 shown]
	s_and_saveexec_b32 s3, vcc_lo
; %bb.18:
	ds_store_b32 v5, v2 offset:464
; %bb.19:
	s_wait_alu 0xfffe
	s_or_b32 exec_lo, exec_lo, s3
	s_wait_loadcnt_dscnt 0x0
	s_barrier_signal -1
	s_barrier_wait -1
	global_inv scope:SCOPE_SE
	s_and_saveexec_b32 s3, s0
; %bb.20:
	ds_load_b32 v2, v10 offset:464
; %bb.21:
	s_wait_alu 0xfffe
	s_or_b32 exec_lo, exec_lo, s3
	s_wait_dscnt 0x0
	ds_bpermute_b32 v0, v12, v2
	s_wait_dscnt 0x0
	v_add_f32_e32 v0, v2, v0
	ds_bpermute_b32 v2, v11, v0
	s_wait_dscnt 0x0
	v_add_f32_e32 v0, v0, v2
	v_mov_b32_e32 v2, 0
	ds_bpermute_b32 v2, v2, v0
	s_and_saveexec_b32 s0, s1
	s_cbranch_execz .LBB238_24
; %bb.22:
	s_wait_dscnt 0x0
	v_add_f32_e32 v0, 0x358637bd, v2
	s_mov_b32 s1, 0
	s_delay_alu instid0(VALU_DEP_1) | instskip(NEXT) | instid1(VALU_DEP_1)
	v_div_scale_f32 v3, null, v0, v0, 1.0
	v_rcp_f32_e32 v5, v3
	s_delay_alu instid0(TRANS32_DEP_1) | instskip(NEXT) | instid1(VALU_DEP_1)
	v_fma_f32 v6, -v3, v5, 1.0
	v_fmac_f32_e32 v5, v6, v5
	v_div_scale_f32 v7, vcc_lo, 1.0, v0, 1.0
	s_delay_alu instid0(VALU_DEP_1) | instskip(NEXT) | instid1(VALU_DEP_1)
	v_mul_f32_e32 v6, v7, v5
	v_fma_f32 v8, -v3, v6, v7
	s_delay_alu instid0(VALU_DEP_1) | instskip(NEXT) | instid1(VALU_DEP_1)
	v_fmac_f32_e32 v6, v8, v5
	v_fma_f32 v3, -v3, v6, v7
	s_wait_alu 0xfffd
	s_delay_alu instid0(VALU_DEP_1) | instskip(SKIP_1) | instid1(VALU_DEP_2)
	v_div_fmas_f32 v3, v3, v5, v6
	v_mov_b32_e32 v5, v190
	v_div_fixup_f32 v3, v3, v0, 1.0
.LBB238_23:                             ; =>This Inner Loop Header: Depth=1
	ds_load_b32 v0, v4
	s_wait_dscnt 0x0
	v_dual_mul_f32 v0, v3, v0 :: v_dual_add_nc_u32 v5, 0x80, v5
	s_delay_alu instid0(VALU_DEP_1) | instskip(SKIP_3) | instid1(SALU_CYCLE_1)
	v_cmp_le_i32_e32 vcc_lo, s14, v5
	ds_store_b32 v4, v0
	v_add_nc_u32_e32 v4, 0x200, v4
	s_or_b32 s1, vcc_lo, s1
	s_and_not1_b32 exec_lo, exec_lo, s1
	s_cbranch_execnz .LBB238_23
.LBB238_24:
	s_or_b32 exec_lo, exec_lo, s0
	s_mul_i32 s0, s12, s15
	s_wait_loadcnt_dscnt 0x0
	s_mul_i32 s14, s0, s30
	s_mov_b32 s0, exec_lo
	s_barrier_signal -1
	s_barrier_wait -1
	global_inv scope:SCOPE_SE
	v_cmpx_eq_u32_e32 0, v190
	s_cbranch_execz .LBB238_26
; %bb.25:
	s_wait_alu 0xfffe
	s_ashr_i32 s15, s14, 31
	s_mul_i32 s30, s12, ttmp9
	s_lshl_b32 s1, s26, 2
	s_wait_alu 0xfffe
	s_lshl_b64 s[34:35], s[14:15], 2
	s_ashr_i32 s31, s30, 31
	v_mov_b32_e32 v0, s1
	s_add_nc_u64 s[10:11], s[10:11], s[34:35]
	s_wait_alu 0xfffe
	s_lshl_b64 s[30:31], s[30:31], 2
	s_add_nc_u64 s[8:9], s[8:9], s[34:35]
	s_wait_alu 0xfffe
	s_add_nc_u64 s[10:11], s[10:11], s[30:31]
	s_add_nc_u64 s[8:9], s[8:9], s[30:31]
	s_clause 0x1
	global_store_b32 v0, v1, s[10:11]
	global_store_b32 v0, v2, s[8:9]
.LBB238_26:
	s_or_b32 exec_lo, exec_lo, s0
	v_dual_mov_b32 v40, 0 :: v_dual_and_b32 v141, 7, v190
	v_dual_mov_b32 v42, 0 :: v_dual_mov_b32 v41, 0
	v_dual_mov_b32 v39, 0 :: v_dual_mov_b32 v38, 0
	v_dual_mov_b32 v37, 0 :: v_dual_mov_b32 v36, 0
	v_dual_mov_b32 v35, 0 :: v_dual_mov_b32 v34, 0
	v_dual_mov_b32 v33, 0 :: v_dual_mov_b32 v32, 0
	v_dual_mov_b32 v31, 0 :: v_dual_mov_b32 v30, 0
	v_dual_mov_b32 v29, 0 :: v_dual_mov_b32 v28, 0
	v_dual_mov_b32 v27, 0 :: v_dual_mov_b32 v26, 0
	v_dual_mov_b32 v25, 0 :: v_dual_mov_b32 v24, 0
	v_dual_mov_b32 v23, 0 :: v_dual_mov_b32 v22, 0
	v_dual_mov_b32 v21, 0 :: v_dual_mov_b32 v20, 0
	v_dual_mov_b32 v19, 0 :: v_dual_mov_b32 v18, 0
	v_dual_mov_b32 v17, 0 :: v_dual_mov_b32 v16, 0
	v_mov_b32_e32 v15, 0
	s_and_saveexec_b32 s1, s2
	s_cbranch_execz .LBB238_86
; %bb.27:
	s_load_b32 s3, s[6:7], 0x0
	v_dual_mov_b32 v15, 0 :: v_dual_lshlrev_b32 v0, 2, v190
	v_dual_mov_b32 v16, 0 :: v_dual_lshlrev_b32 v1, 4, v141
	s_ashr_i32 s23, s22, 31
	s_delay_alu instid0(VALU_DEP_2)
	v_dual_mov_b32 v17, 0 :: v_dual_and_b32 v2, 28, v0
	v_dual_mov_b32 v19, 0 :: v_dual_and_b32 v0, 0x7c, v0
	s_wait_kmcnt 0x0
	s_wait_alu 0xfffe
	s_add_nc_u64 s[8:9], s[24:25], s[22:23]
	s_lshl_b64 s[6:7], s[20:21], 2
	v_lshl_add_u32 v3, v142, 5, s28
	v_lshl_or_b32 v1, v142, 7, v1
	s_wait_alu 0xfffe
	v_add_co_u32 v5, s0, s8, v0
	s_add_nc_u64 s[6:7], s[18:19], s[6:7]
	s_wait_alu 0xf1ff
	v_add_co_ci_u32_e64 v6, null, s9, 0, s0
	v_add_co_u32 v7, s0, s6, v9
	v_add3_u32 v43, v3, v2, 3
	v_dual_mov_b32 v21, 0 :: v_dual_add_nc_u32 v44, 0x1e0, v1
	s_wait_alu 0xf1ff
	v_add_co_ci_u32_e64 v8, null, s7, 0, s0
	v_dual_mov_b32 v18, 0 :: v_dual_mov_b32 v23, 0
	v_dual_mov_b32 v20, 0 :: v_dual_mov_b32 v25, 0
	;; [unrolled: 1-line block ×10, first 2 shown]
	v_mov_b32_e32 v38, 0
	v_mov_b32_e32 v42, 0
	;; [unrolled: 1-line block ×3, first 2 shown]
	s_mov_b32 s2, s13
	s_mov_b32 s6, s3
	s_add_co_i32 s8, s29, -1
	s_mov_b32 s7, 0
	s_branch .LBB238_29
.LBB238_28:                             ;   in Loop: Header=BB238_29 Depth=1
	s_wait_alu 0xfffe
	s_or_b32 exec_lo, exec_lo, s0
	s_wait_dscnt 0x0
	v_mul_f32_e32 v73, v1, v148
	v_mul_f32_e32 v0, v1, v160
	;; [unrolled: 1-line block ×4, first 2 shown]
	s_delay_alu instid0(VALU_DEP_4) | instskip(SKIP_3) | instid1(VALU_DEP_4)
	v_dual_mul_f32 v52, v1, v52 :: v_dual_fmac_f32 v73, v2, v147
	v_mul_f32_e32 v14, v1, v157
	v_fmac_f32_e32 v0, v2, v159
	v_fmac_f32_e32 v68, v2, v67
	v_dual_mul_f32 v48, v1, v48 :: v_dual_fmac_f32 v73, v3, v146
	v_mul_f32_e32 v74, v1, v119
	v_mul_f32_e32 v119, v1, v140
	v_mul_f32_e32 v72, v1, v152
	s_delay_alu instid0(VALU_DEP_4) | instskip(NEXT) | instid1(VALU_DEP_3)
	v_dual_fmac_f32 v68, v3, v66 :: v_dual_fmac_f32 v73, v4, v145
	v_dual_mul_f32 v134, v1, v134 :: v_dual_fmac_f32 v119, v2, v137
	v_fmac_f32_e32 v14, v2, v155
	s_delay_alu instid0(VALU_DEP_3) | instskip(NEXT) | instid1(VALU_DEP_4)
	v_fmac_f32_e32 v68, v4, v65
	v_add_f32_e32 v19, v19, v73
	s_delay_alu instid0(VALU_DEP_4) | instskip(NEXT) | instid1(VALU_DEP_4)
	v_dual_fmac_f32 v134, v2, v133 :: v_dual_fmac_f32 v119, v3, v136
	v_fmac_f32_e32 v14, v3, v154
	v_dual_fmac_f32 v0, v3, v158 :: v_dual_mul_f32 v73, v1, v111
	v_fmac_f32_e32 v64, v2, v63
	s_delay_alu instid0(VALU_DEP_4) | instskip(NEXT) | instid1(VALU_DEP_4)
	v_fmac_f32_e32 v119, v4, v135
	v_fmac_f32_e32 v14, v4, v153
	;; [unrolled: 1-line block ×5, first 2 shown]
	v_add_f32_e32 v21, v21, v119
	v_add_f32_e32 v17, v17, v14
	v_fmac_f32_e32 v72, v3, v150
	v_fmac_f32_e32 v73, v2, v110
	v_mul_f32_e32 v130, v1, v130
	v_dual_mul_f32 v14, v1, v122 :: v_dual_add_nc_u32 v163, 4, v163
	s_delay_alu instid0(VALU_DEP_4) | instskip(NEXT) | instid1(VALU_DEP_4)
	v_fmac_f32_e32 v72, v4, v149
	v_dual_fmac_f32 v73, v3, v109 :: v_dual_fmac_f32 v74, v2, v143
	s_delay_alu instid0(VALU_DEP_4) | instskip(NEXT) | instid1(VALU_DEP_4)
	v_fmac_f32_e32 v130, v2, v129
	v_fmac_f32_e32 v14, v2, v121
	s_delay_alu instid0(VALU_DEP_3) | instskip(SKIP_2) | instid1(VALU_DEP_4)
	v_dual_fmac_f32 v64, v3, v62 :: v_dual_fmac_f32 v73, v4, v108
	v_add_f32_e32 v18, v18, v72
	v_mul_f32_e32 v72, v1, v115
	v_fmac_f32_e32 v14, v3, v120
	v_dual_fmac_f32 v52, v3, v50 :: v_dual_add_nc_u32 v43, 0x80, v43
	s_delay_alu instid0(VALU_DEP_3) | instskip(SKIP_1) | instid1(VALU_DEP_4)
	v_dual_add_f32 v27, v27, v73 :: v_dual_fmac_f32 v72, v2, v114
	v_dual_mul_f32 v73, v1, v91 :: v_dual_fmac_f32 v134, v3, v132
	v_fmac_f32_e32 v14, v4, v116
	v_fmac_f32_e32 v48, v3, v46
	s_delay_alu instid0(VALU_DEP_3) | instskip(NEXT) | instid1(VALU_DEP_4)
	v_dual_fmac_f32 v72, v3, v113 :: v_dual_fmac_f32 v73, v2, v90
	v_fmac_f32_e32 v134, v4, v131
	v_fmac_f32_e32 v64, v4, v61
	;; [unrolled: 1-line block ×3, first 2 shown]
	s_delay_alu instid0(VALU_DEP_4) | instskip(SKIP_3) | instid1(VALU_DEP_4)
	v_dual_fmac_f32 v72, v4, v112 :: v_dual_fmac_f32 v73, v3, v89
	v_fmac_f32_e32 v74, v3, v118
	v_add_f32_e32 v22, v22, v134
	v_fmac_f32_e32 v48, v4, v45
	v_add_f32_e32 v26, v26, v72
	v_dual_mul_f32 v72, v1, v95 :: v_dual_fmac_f32 v73, v4, v88
	v_cmp_le_i32_e32 vcc_lo, s17, v163
	v_add_co_u32 v7, s0, v7, 16
	s_delay_alu instid0(VALU_DEP_3) | instskip(NEXT) | instid1(VALU_DEP_4)
	v_fmac_f32_e32 v72, v2, v94
	v_add_f32_e32 v32, v32, v73
	v_add_f32_e32 v38, v38, v64
	;; [unrolled: 1-line block ×4, first 2 shown]
	v_fmac_f32_e32 v72, v3, v93
	v_add_nc_u32_e32 v44, 0x200, v44
	s_wait_alu 0xf1ff
	v_add_co_ci_u32_e64 v8, null, 0, v8, s0
	s_or_b32 s7, vcc_lo, s7
	v_fmac_f32_e32 v72, v4, v92
	v_dual_fmac_f32 v74, v4, v117 :: v_dual_add_f32 v37, v37, v68
	v_add_f32_e32 v25, v25, v14
	s_delay_alu instid0(VALU_DEP_3) | instskip(NEXT) | instid1(VALU_DEP_3)
	v_dual_mul_f32 v14, v1, v99 :: v_dual_add_f32 v31, v31, v72
	v_add_f32_e32 v20, v20, v74
	v_mul_f32_e32 v74, v1, v107
	v_mul_f32_e32 v72, v1, v75
	s_delay_alu instid0(VALU_DEP_4) | instskip(NEXT) | instid1(VALU_DEP_3)
	v_fmac_f32_e32 v14, v2, v98
	v_fmac_f32_e32 v74, v2, v106
	s_delay_alu instid0(VALU_DEP_3) | instskip(NEXT) | instid1(VALU_DEP_3)
	v_fmac_f32_e32 v72, v2, v71
	v_fmac_f32_e32 v14, v3, v97
	s_delay_alu instid0(VALU_DEP_3) | instskip(NEXT) | instid1(VALU_DEP_3)
	;; [unrolled: 3-line block ×4, first 2 shown]
	v_fmac_f32_e32 v72, v4, v69
	v_add_f32_e32 v30, v30, v14
	v_mul_f32_e32 v14, v1, v79
	s_delay_alu instid0(VALU_DEP_4) | instskip(SKIP_2) | instid1(VALU_DEP_4)
	v_add_f32_e32 v28, v28, v74
	v_mul_f32_e32 v74, v1, v87
	v_add_f32_e32 v36, v36, v72
	v_fmac_f32_e32 v14, v2, v78
	s_delay_alu instid0(VALU_DEP_3) | instskip(NEXT) | instid1(VALU_DEP_2)
	v_fmac_f32_e32 v74, v2, v86
	v_fmac_f32_e32 v14, v3, v77
	s_delay_alu instid0(VALU_DEP_2) | instskip(NEXT) | instid1(VALU_DEP_2)
	v_fmac_f32_e32 v74, v3, v85
	v_fmac_f32_e32 v14, v4, v76
	s_delay_alu instid0(VALU_DEP_2) | instskip(SKIP_1) | instid1(VALU_DEP_3)
	v_fmac_f32_e32 v74, v4, v84
	v_fmac_f32_e32 v130, v3, v128
	v_dual_add_f32 v35, v35, v14 :: v_dual_mul_f32 v14, v1, v56
	s_delay_alu instid0(VALU_DEP_2) | instskip(SKIP_1) | instid1(VALU_DEP_2)
	v_dual_add_f32 v33, v33, v74 :: v_dual_fmac_f32 v130, v4, v127
	v_fmac_f32_e32 v0, v4, v156
	v_dual_fmac_f32 v14, v2, v55 :: v_dual_add_f32 v23, v23, v130
	s_delay_alu instid0(VALU_DEP_2) | instskip(SKIP_1) | instid1(VALU_DEP_3)
	v_add_f32_e32 v16, v16, v0
	v_mul_f32_e32 v0, v1, v126
	v_fmac_f32_e32 v14, v3, v54
	s_delay_alu instid0(VALU_DEP_2) | instskip(NEXT) | instid1(VALU_DEP_2)
	v_fmac_f32_e32 v0, v2, v125
	v_fmac_f32_e32 v14, v4, v53
	s_delay_alu instid0(VALU_DEP_1) | instskip(NEXT) | instid1(VALU_DEP_1)
	v_dual_fmac_f32 v0, v3, v124 :: v_dual_add_f32 v41, v41, v14
	v_fmac_f32_e32 v0, v4, v123
	s_delay_alu instid0(VALU_DEP_1) | instskip(SKIP_1) | instid1(VALU_DEP_1)
	v_add_f32_e32 v24, v24, v0
	v_mul_f32_e32 v0, v1, v103
	v_fmac_f32_e32 v0, v2, v102
	s_delay_alu instid0(VALU_DEP_1) | instskip(NEXT) | instid1(VALU_DEP_1)
	v_fmac_f32_e32 v0, v3, v101
	v_fmac_f32_e32 v0, v4, v100
	s_delay_alu instid0(VALU_DEP_1) | instskip(SKIP_1) | instid1(VALU_DEP_1)
	v_add_f32_e32 v29, v29, v0
	v_mul_f32_e32 v0, v1, v83
	v_fmac_f32_e32 v0, v2, v82
	s_delay_alu instid0(VALU_DEP_1) | instskip(NEXT) | instid1(VALU_DEP_1)
	v_fmac_f32_e32 v0, v3, v81
	v_fmac_f32_e32 v0, v4, v80
	s_delay_alu instid0(VALU_DEP_1) | instskip(SKIP_2) | instid1(VALU_DEP_2)
	v_add_f32_e32 v34, v34, v0
	v_mul_f32_e32 v0, v1, v60
	v_mul_f32_e32 v1, v1, v139
	v_fmac_f32_e32 v0, v2, v59
	s_delay_alu instid0(VALU_DEP_2) | instskip(NEXT) | instid1(VALU_DEP_2)
	v_fmac_f32_e32 v1, v2, v138
	v_fmac_f32_e32 v0, v3, v58
	s_delay_alu instid0(VALU_DEP_1) | instskip(NEXT) | instid1(VALU_DEP_1)
	v_dual_fmac_f32 v1, v3, v10 :: v_dual_fmac_f32 v0, v4, v57
	v_fmac_f32_e32 v1, v4, v9
	s_delay_alu instid0(VALU_DEP_2) | instskip(NEXT) | instid1(VALU_DEP_2)
	v_add_f32_e32 v39, v39, v0
	v_add_f32_e32 v15, v15, v1
	s_wait_alu 0xfffe
	s_and_not1_b32 exec_lo, exec_lo, s7
	s_cbranch_execz .LBB238_85
.LBB238_29:                             ; =>This Inner Loop Header: Depth=1
	global_load_b32 v0, v[7:8], off
	ds_load_b128 v[1:4], v44
	s_wait_alu 0xfffe
	v_cmp_eq_u32_e32 vcc_lo, s8, v163
	v_add_nc_u32_e32 v74, -1, v43
	s_wait_loadcnt 0x0
	v_mad_co_i64_i32 v[9:10], null, v0, s2, v[5:6]
	global_load_b32 v0, v[9:10], off
	s_wait_loadcnt 0x0
	v_and_b32_e32 v45, 0xffff, v0
	v_lshrrev_b32_e32 v0, 16, v0
	s_delay_alu instid0(VALU_DEP_2) | instskip(NEXT) | instid1(VALU_DEP_2)
	v_cvt_pk_f32_fp8_e32 v[45:46], v45
	v_cvt_pk_f32_fp8_e32 v[49:50], v0
	v_add_nc_u32_e32 v72, -3, v43
	s_delay_alu instid0(VALU_DEP_3) | instskip(NEXT) | instid1(VALU_DEP_3)
	v_dual_mul_f32 v48, s3, v45 :: v_dual_add_nc_u32 v73, -2, v43
	v_dual_mul_f32 v47, s6, v46 :: v_dual_mul_f32 v46, s3, v49
	s_delay_alu instid0(VALU_DEP_4)
	v_mul_f32_e32 v45, s6, v50
	s_and_saveexec_b32 s9, vcc_lo
	s_cbranch_execz .LBB238_31
; %bb.30:                               ;   in Loop: Header=BB238_29 Depth=1
	v_cmp_gt_i32_e64 s0, s27, v72
	s_wait_alu 0xf1ff
	s_delay_alu instid0(VALU_DEP_1) | instskip(SKIP_2) | instid1(VALU_DEP_1)
	v_cndmask_b32_e64 v48, 0, v48, s0
	v_cmp_gt_i32_e64 s0, s27, v73
	s_wait_alu 0xf1ff
	v_cndmask_b32_e64 v47, 0, v47, s0
	v_cmp_gt_i32_e64 s0, s27, v74
	s_wait_alu 0xf1ff
	s_delay_alu instid0(VALU_DEP_1) | instskip(SKIP_2) | instid1(VALU_DEP_1)
	v_cndmask_b32_e64 v46, 0, v46, s0
	v_cmp_gt_i32_e64 s0, s27, v43
	s_wait_alu 0xf1ff
	v_cndmask_b32_e64 v45, 0, v45, s0
.LBB238_31:                             ;   in Loop: Header=BB238_29 Depth=1
	s_wait_alu 0xfffe
	s_or_b32 exec_lo, exec_lo, s9
	global_load_b32 v0, v[9:10], off offset:128
	s_wait_loadcnt 0x0
	v_and_b32_e32 v49, 0xffff, v0
	v_lshrrev_b32_e32 v0, 16, v0
	s_delay_alu instid0(VALU_DEP_2) | instskip(NEXT) | instid1(VALU_DEP_2)
	v_cvt_pk_f32_fp8_e32 v[49:50], v49
	v_cvt_pk_f32_fp8_e32 v[53:54], v0
	s_delay_alu instid0(VALU_DEP_2) | instskip(NEXT) | instid1(VALU_DEP_2)
	v_dual_mul_f32 v52, s3, v49 :: v_dual_mul_f32 v51, s6, v50
	v_dual_mul_f32 v50, s3, v53 :: v_dual_mul_f32 v49, s6, v54
	s_and_saveexec_b32 s9, vcc_lo
	s_cbranch_execz .LBB238_33
; %bb.32:                               ;   in Loop: Header=BB238_29 Depth=1
	v_cmp_gt_i32_e64 s0, s27, v72
	s_wait_alu 0xf1ff
	s_delay_alu instid0(VALU_DEP_1) | instskip(SKIP_2) | instid1(VALU_DEP_1)
	v_cndmask_b32_e64 v52, 0, v52, s0
	v_cmp_gt_i32_e64 s0, s27, v73
	s_wait_alu 0xf1ff
	v_cndmask_b32_e64 v51, 0, v51, s0
	v_cmp_gt_i32_e64 s0, s27, v74
	s_wait_alu 0xf1ff
	s_delay_alu instid0(VALU_DEP_1) | instskip(SKIP_2) | instid1(VALU_DEP_1)
	v_cndmask_b32_e64 v50, 0, v50, s0
	v_cmp_gt_i32_e64 s0, s27, v43
	s_wait_alu 0xf1ff
	v_cndmask_b32_e64 v49, 0, v49, s0
.LBB238_33:                             ;   in Loop: Header=BB238_29 Depth=1
	s_wait_alu 0xfffe
	s_or_b32 exec_lo, exec_lo, s9
	global_load_b32 v0, v[9:10], off offset:256
	s_wait_loadcnt 0x0
	v_and_b32_e32 v53, 0xffff, v0
	v_lshrrev_b32_e32 v0, 16, v0
	s_delay_alu instid0(VALU_DEP_2) | instskip(NEXT) | instid1(VALU_DEP_2)
	v_cvt_pk_f32_fp8_e32 v[53:54], v53
	v_cvt_pk_f32_fp8_e32 v[57:58], v0
	s_delay_alu instid0(VALU_DEP_2) | instskip(NEXT) | instid1(VALU_DEP_2)
	v_dual_mul_f32 v56, s3, v53 :: v_dual_mul_f32 v55, s6, v54
	v_dual_mul_f32 v54, s3, v57 :: v_dual_mul_f32 v53, s6, v58
	;; [unrolled: 30-line block ×5, first 2 shown]
	s_and_saveexec_b32 s9, vcc_lo
	s_cbranch_execz .LBB238_41
; %bb.40:                               ;   in Loop: Header=BB238_29 Depth=1
	v_cmp_gt_i32_e64 s0, s27, v72
	s_wait_alu 0xf1ff
	s_delay_alu instid0(VALU_DEP_1) | instskip(SKIP_2) | instid1(VALU_DEP_1)
	v_cndmask_b32_e64 v68, 0, v68, s0
	v_cmp_gt_i32_e64 s0, s27, v73
	s_wait_alu 0xf1ff
	v_cndmask_b32_e64 v67, 0, v67, s0
	v_cmp_gt_i32_e64 s0, s27, v74
	s_wait_alu 0xf1ff
	s_delay_alu instid0(VALU_DEP_1) | instskip(SKIP_2) | instid1(VALU_DEP_1)
	v_cndmask_b32_e64 v66, 0, v66, s0
	v_cmp_gt_i32_e64 s0, s27, v43
	s_wait_alu 0xf1ff
	v_cndmask_b32_e64 v65, 0, v65, s0
.LBB238_41:                             ;   in Loop: Header=BB238_29 Depth=1
	s_wait_alu 0xfffe
	s_or_b32 exec_lo, exec_lo, s9
	global_load_b32 v0, v[9:10], off offset:768
	s_wait_loadcnt 0x0
	v_and_b32_e32 v69, 0xffff, v0
	v_lshrrev_b32_e32 v0, 16, v0
	s_delay_alu instid0(VALU_DEP_2) | instskip(NEXT) | instid1(VALU_DEP_2)
	v_cvt_pk_f32_fp8_e32 v[69:70], v69
	v_cvt_pk_f32_fp8_e32 v[76:77], v0
	s_delay_alu instid0(VALU_DEP_2) | instskip(NEXT) | instid1(VALU_DEP_2)
	v_mul_f32_e32 v75, s3, v69
	v_dual_mul_f32 v71, s6, v70 :: v_dual_mul_f32 v70, s3, v76
	s_delay_alu instid0(VALU_DEP_3)
	v_mul_f32_e32 v69, s6, v77
	s_and_saveexec_b32 s9, vcc_lo
	s_cbranch_execz .LBB238_43
; %bb.42:                               ;   in Loop: Header=BB238_29 Depth=1
	v_cmp_gt_i32_e64 s0, s27, v72
	s_wait_alu 0xf1ff
	s_delay_alu instid0(VALU_DEP_1) | instskip(SKIP_2) | instid1(VALU_DEP_1)
	v_cndmask_b32_e64 v75, 0, v75, s0
	v_cmp_gt_i32_e64 s0, s27, v73
	s_wait_alu 0xf1ff
	v_cndmask_b32_e64 v71, 0, v71, s0
	v_cmp_gt_i32_e64 s0, s27, v74
	s_wait_alu 0xf1ff
	s_delay_alu instid0(VALU_DEP_1) | instskip(SKIP_2) | instid1(VALU_DEP_1)
	v_cndmask_b32_e64 v70, 0, v70, s0
	v_cmp_gt_i32_e64 s0, s27, v43
	s_wait_alu 0xf1ff
	v_cndmask_b32_e64 v69, 0, v69, s0
.LBB238_43:                             ;   in Loop: Header=BB238_29 Depth=1
	s_wait_alu 0xfffe
	s_or_b32 exec_lo, exec_lo, s9
	global_load_b32 v0, v[9:10], off offset:896
	s_wait_loadcnt 0x0
	v_and_b32_e32 v76, 0xffff, v0
	v_lshrrev_b32_e32 v0, 16, v0
	s_delay_alu instid0(VALU_DEP_2) | instskip(NEXT) | instid1(VALU_DEP_2)
	v_cvt_pk_f32_fp8_e32 v[76:77], v76
	v_cvt_pk_f32_fp8_e32 v[80:81], v0
	s_delay_alu instid0(VALU_DEP_2) | instskip(NEXT) | instid1(VALU_DEP_2)
	v_dual_mul_f32 v79, s3, v76 :: v_dual_mul_f32 v78, s6, v77
	v_dual_mul_f32 v77, s3, v80 :: v_dual_mul_f32 v76, s6, v81
	s_and_saveexec_b32 s9, vcc_lo
	s_cbranch_execz .LBB238_45
; %bb.44:                               ;   in Loop: Header=BB238_29 Depth=1
	v_cmp_gt_i32_e64 s0, s27, v72
	s_wait_alu 0xf1ff
	s_delay_alu instid0(VALU_DEP_1) | instskip(SKIP_2) | instid1(VALU_DEP_1)
	v_cndmask_b32_e64 v79, 0, v79, s0
	v_cmp_gt_i32_e64 s0, s27, v73
	s_wait_alu 0xf1ff
	v_cndmask_b32_e64 v78, 0, v78, s0
	v_cmp_gt_i32_e64 s0, s27, v74
	s_wait_alu 0xf1ff
	s_delay_alu instid0(VALU_DEP_1) | instskip(SKIP_2) | instid1(VALU_DEP_1)
	v_cndmask_b32_e64 v77, 0, v77, s0
	v_cmp_gt_i32_e64 s0, s27, v43
	s_wait_alu 0xf1ff
	v_cndmask_b32_e64 v76, 0, v76, s0
.LBB238_45:                             ;   in Loop: Header=BB238_29 Depth=1
	s_wait_alu 0xfffe
	s_or_b32 exec_lo, exec_lo, s9
	global_load_b32 v0, v[9:10], off offset:1024
	s_wait_loadcnt 0x0
	v_and_b32_e32 v80, 0xffff, v0
	v_lshrrev_b32_e32 v0, 16, v0
	s_delay_alu instid0(VALU_DEP_2) | instskip(NEXT) | instid1(VALU_DEP_2)
	v_cvt_pk_f32_fp8_e32 v[80:81], v80
	v_cvt_pk_f32_fp8_e32 v[84:85], v0
	s_delay_alu instid0(VALU_DEP_2) | instskip(NEXT) | instid1(VALU_DEP_2)
	v_dual_mul_f32 v83, s3, v80 :: v_dual_mul_f32 v82, s6, v81
	v_dual_mul_f32 v81, s3, v84 :: v_dual_mul_f32 v80, s6, v85
	;; [unrolled: 30-line block ×10, first 2 shown]
	s_and_saveexec_b32 s9, vcc_lo
	s_cbranch_execz .LBB238_63
; %bb.62:                               ;   in Loop: Header=BB238_29 Depth=1
	v_cmp_gt_i32_e64 s0, s27, v72
	s_wait_alu 0xf1ff
	s_delay_alu instid0(VALU_DEP_1) | instskip(SKIP_2) | instid1(VALU_DEP_1)
	v_cndmask_b32_e64 v115, 0, v115, s0
	v_cmp_gt_i32_e64 s0, s27, v73
	s_wait_alu 0xf1ff
	v_cndmask_b32_e64 v114, 0, v114, s0
	v_cmp_gt_i32_e64 s0, s27, v74
	s_wait_alu 0xf1ff
	s_delay_alu instid0(VALU_DEP_1) | instskip(SKIP_2) | instid1(VALU_DEP_1)
	v_cndmask_b32_e64 v113, 0, v113, s0
	v_cmp_gt_i32_e64 s0, s27, v43
	s_wait_alu 0xf1ff
	v_cndmask_b32_e64 v112, 0, v112, s0
.LBB238_63:                             ;   in Loop: Header=BB238_29 Depth=1
	s_wait_alu 0xfffe
	s_or_b32 exec_lo, exec_lo, s9
	global_load_b32 v0, v[9:10], off offset:2176
	s_wait_loadcnt 0x0
	v_and_b32_e32 v116, 0xffff, v0
	v_lshrrev_b32_e32 v0, 16, v0
	s_delay_alu instid0(VALU_DEP_2) | instskip(NEXT) | instid1(VALU_DEP_2)
	v_cvt_pk_f32_fp8_e32 v[116:117], v116
	v_cvt_pk_f32_fp8_e32 v[118:119], v0
	s_delay_alu instid0(VALU_DEP_2) | instskip(NEXT) | instid1(VALU_DEP_2)
	v_dual_mul_f32 v122, s3, v116 :: v_dual_mul_f32 v121, s6, v117
	v_mul_f32_e32 v120, s3, v118
	s_delay_alu instid0(VALU_DEP_3)
	v_mul_f32_e32 v116, s6, v119
	s_and_saveexec_b32 s9, vcc_lo
	s_cbranch_execz .LBB238_65
; %bb.64:                               ;   in Loop: Header=BB238_29 Depth=1
	v_cmp_gt_i32_e64 s0, s27, v72
	s_wait_alu 0xf1ff
	s_delay_alu instid0(VALU_DEP_1) | instskip(SKIP_2) | instid1(VALU_DEP_1)
	v_cndmask_b32_e64 v122, 0, v122, s0
	v_cmp_gt_i32_e64 s0, s27, v73
	s_wait_alu 0xf1ff
	v_cndmask_b32_e64 v121, 0, v121, s0
	v_cmp_gt_i32_e64 s0, s27, v74
	s_wait_alu 0xf1ff
	s_delay_alu instid0(VALU_DEP_1) | instskip(SKIP_2) | instid1(VALU_DEP_1)
	v_cndmask_b32_e64 v120, 0, v120, s0
	v_cmp_gt_i32_e64 s0, s27, v43
	s_wait_alu 0xf1ff
	v_cndmask_b32_e64 v116, 0, v116, s0
.LBB238_65:                             ;   in Loop: Header=BB238_29 Depth=1
	s_wait_alu 0xfffe
	s_or_b32 exec_lo, exec_lo, s9
	global_load_b32 v0, v[9:10], off offset:2304
	s_wait_loadcnt 0x0
	v_and_b32_e32 v117, 0xffff, v0
	v_lshrrev_b32_e32 v0, 16, v0
	s_delay_alu instid0(VALU_DEP_1) | instskip(NEXT) | instid1(VALU_DEP_1)
	v_cvt_pk_f32_fp8_e32 v[127:128], v0
	v_mul_f32_e32 v124, s3, v127
	s_delay_alu instid0(VALU_DEP_4) | instskip(NEXT) | instid1(VALU_DEP_1)
	v_cvt_pk_f32_fp8_e32 v[117:118], v117
	v_dual_mul_f32 v123, s6, v128 :: v_dual_mul_f32 v126, s3, v117
	s_delay_alu instid0(VALU_DEP_2)
	v_mul_f32_e32 v125, s6, v118
	s_and_saveexec_b32 s9, vcc_lo
	s_cbranch_execz .LBB238_67
; %bb.66:                               ;   in Loop: Header=BB238_29 Depth=1
	v_cmp_gt_i32_e64 s0, s27, v72
	s_wait_alu 0xf1ff
	s_delay_alu instid0(VALU_DEP_1) | instskip(SKIP_2) | instid1(VALU_DEP_1)
	v_cndmask_b32_e64 v126, 0, v126, s0
	v_cmp_gt_i32_e64 s0, s27, v73
	s_wait_alu 0xf1ff
	v_cndmask_b32_e64 v125, 0, v125, s0
	v_cmp_gt_i32_e64 s0, s27, v74
	s_wait_alu 0xf1ff
	s_delay_alu instid0(VALU_DEP_1) | instskip(SKIP_2) | instid1(VALU_DEP_1)
	v_cndmask_b32_e64 v124, 0, v124, s0
	v_cmp_gt_i32_e64 s0, s27, v43
	s_wait_alu 0xf1ff
	v_cndmask_b32_e64 v123, 0, v123, s0
.LBB238_67:                             ;   in Loop: Header=BB238_29 Depth=1
	s_wait_alu 0xfffe
	s_or_b32 exec_lo, exec_lo, s9
	global_load_b32 v0, v[9:10], off offset:2432
	s_wait_loadcnt 0x0
	v_and_b32_e32 v117, 0xffff, v0
	v_lshrrev_b32_e32 v0, 16, v0
	s_delay_alu instid0(VALU_DEP_1) | instskip(NEXT) | instid1(VALU_DEP_1)
	v_cvt_pk_f32_fp8_e32 v[131:132], v0
	v_mul_f32_e32 v128, s3, v131
	s_delay_alu instid0(VALU_DEP_4) | instskip(NEXT) | instid1(VALU_DEP_1)
	v_cvt_pk_f32_fp8_e32 v[117:118], v117
	v_dual_mul_f32 v127, s6, v132 :: v_dual_mul_f32 v130, s3, v117
	s_delay_alu instid0(VALU_DEP_2)
	;; [unrolled: 32-line block ×4, first 2 shown]
	v_mul_f32_e32 v137, s6, v118
	s_and_saveexec_b32 s9, vcc_lo
	s_cbranch_execz .LBB238_73
; %bb.72:                               ;   in Loop: Header=BB238_29 Depth=1
	v_cmp_gt_i32_e64 s0, s27, v72
	s_wait_alu 0xf1ff
	s_delay_alu instid0(VALU_DEP_1) | instskip(SKIP_2) | instid1(VALU_DEP_1)
	v_cndmask_b32_e64 v140, 0, v140, s0
	v_cmp_gt_i32_e64 s0, s27, v73
	s_wait_alu 0xf1ff
	v_cndmask_b32_e64 v137, 0, v137, s0
	v_cmp_gt_i32_e64 s0, s27, v74
	s_wait_alu 0xf1ff
	s_delay_alu instid0(VALU_DEP_1) | instskip(SKIP_2) | instid1(VALU_DEP_1)
	v_cndmask_b32_e64 v136, 0, v136, s0
	v_cmp_gt_i32_e64 s0, s27, v43
	s_wait_alu 0xf1ff
	v_cndmask_b32_e64 v135, 0, v135, s0
.LBB238_73:                             ;   in Loop: Header=BB238_29 Depth=1
	s_wait_alu 0xfffe
	s_or_b32 exec_lo, exec_lo, s9
	global_load_b32 v0, v[9:10], off offset:2816
	s_wait_loadcnt 0x0
	v_and_b32_e32 v117, 0xffff, v0
	v_lshrrev_b32_e32 v0, 16, v0
	s_delay_alu instid0(VALU_DEP_2) | instskip(NEXT) | instid1(VALU_DEP_2)
	v_cvt_pk_f32_fp8_e32 v[117:118], v117
	v_cvt_pk_f32_fp8_e32 v[138:139], v0
	s_delay_alu instid0(VALU_DEP_2) | instskip(NEXT) | instid1(VALU_DEP_3)
	v_mul_f32_e32 v119, s3, v117
	v_mul_f32_e32 v143, s6, v118
	s_delay_alu instid0(VALU_DEP_3)
	v_dual_mul_f32 v118, s3, v138 :: v_dual_mul_f32 v117, s6, v139
	s_and_saveexec_b32 s9, vcc_lo
	s_cbranch_execz .LBB238_75
; %bb.74:                               ;   in Loop: Header=BB238_29 Depth=1
	v_cmp_gt_i32_e64 s0, s27, v72
	s_wait_alu 0xf1ff
	s_delay_alu instid0(VALU_DEP_1) | instskip(SKIP_2) | instid1(VALU_DEP_1)
	v_cndmask_b32_e64 v119, 0, v119, s0
	v_cmp_gt_i32_e64 s0, s27, v73
	s_wait_alu 0xf1ff
	v_cndmask_b32_e64 v143, 0, v143, s0
	v_cmp_gt_i32_e64 s0, s27, v74
	s_wait_alu 0xf1ff
	s_delay_alu instid0(VALU_DEP_1) | instskip(SKIP_2) | instid1(VALU_DEP_1)
	v_cndmask_b32_e64 v118, 0, v118, s0
	v_cmp_gt_i32_e64 s0, s27, v43
	s_wait_alu 0xf1ff
	v_cndmask_b32_e64 v117, 0, v117, s0
.LBB238_75:                             ;   in Loop: Header=BB238_29 Depth=1
	s_wait_alu 0xfffe
	s_or_b32 exec_lo, exec_lo, s9
	global_load_b32 v0, v[9:10], off offset:2944
	s_wait_loadcnt 0x0
	v_and_b32_e32 v14, 0xffff, v0
	v_lshrrev_b32_e32 v0, 16, v0
	s_delay_alu instid0(VALU_DEP_2) | instskip(NEXT) | instid1(VALU_DEP_2)
	v_cvt_pk_f32_fp8_e32 v[138:139], v14
	v_cvt_pk_f32_fp8_e32 v[149:150], v0
	s_delay_alu instid0(VALU_DEP_2) | instskip(NEXT) | instid1(VALU_DEP_2)
	v_dual_mul_f32 v148, s3, v138 :: v_dual_mul_f32 v147, s6, v139
	v_dual_mul_f32 v146, s3, v149 :: v_dual_mul_f32 v145, s6, v150
	s_and_saveexec_b32 s9, vcc_lo
	s_cbranch_execz .LBB238_77
; %bb.76:                               ;   in Loop: Header=BB238_29 Depth=1
	v_cmp_gt_i32_e64 s0, s27, v72
	s_wait_alu 0xf1ff
	s_delay_alu instid0(VALU_DEP_1) | instskip(SKIP_2) | instid1(VALU_DEP_1)
	v_cndmask_b32_e64 v148, 0, v148, s0
	v_cmp_gt_i32_e64 s0, s27, v73
	s_wait_alu 0xf1ff
	v_cndmask_b32_e64 v147, 0, v147, s0
	v_cmp_gt_i32_e64 s0, s27, v74
	s_wait_alu 0xf1ff
	s_delay_alu instid0(VALU_DEP_1) | instskip(SKIP_2) | instid1(VALU_DEP_1)
	v_cndmask_b32_e64 v146, 0, v146, s0
	v_cmp_gt_i32_e64 s0, s27, v43
	s_wait_alu 0xf1ff
	v_cndmask_b32_e64 v145, 0, v145, s0
.LBB238_77:                             ;   in Loop: Header=BB238_29 Depth=1
	s_wait_alu 0xfffe
	s_or_b32 exec_lo, exec_lo, s9
	global_load_b32 v0, v[9:10], off offset:3072
	s_wait_loadcnt 0x0
	v_and_b32_e32 v14, 0xffff, v0
	v_lshrrev_b32_e32 v0, 16, v0
	s_delay_alu instid0(VALU_DEP_2) | instskip(NEXT) | instid1(VALU_DEP_2)
	v_cvt_pk_f32_fp8_e32 v[138:139], v14
	v_cvt_pk_f32_fp8_e32 v[153:154], v0
	s_delay_alu instid0(VALU_DEP_2) | instskip(NEXT) | instid1(VALU_DEP_2)
	v_dual_mul_f32 v152, s3, v138 :: v_dual_mul_f32 v151, s6, v139
	v_dual_mul_f32 v150, s3, v153 :: v_dual_mul_f32 v149, s6, v154
	s_and_saveexec_b32 s9, vcc_lo
	s_cbranch_execz .LBB238_79
; %bb.78:                               ;   in Loop: Header=BB238_29 Depth=1
	v_cmp_gt_i32_e64 s0, s27, v72
	s_wait_alu 0xf1ff
	s_delay_alu instid0(VALU_DEP_1) | instskip(SKIP_2) | instid1(VALU_DEP_1)
	v_cndmask_b32_e64 v152, 0, v152, s0
	v_cmp_gt_i32_e64 s0, s27, v73
	s_wait_alu 0xf1ff
	v_cndmask_b32_e64 v151, 0, v151, s0
	v_cmp_gt_i32_e64 s0, s27, v74
	s_wait_alu 0xf1ff
	s_delay_alu instid0(VALU_DEP_1) | instskip(SKIP_2) | instid1(VALU_DEP_1)
	v_cndmask_b32_e64 v150, 0, v150, s0
	v_cmp_gt_i32_e64 s0, s27, v43
	s_wait_alu 0xf1ff
	v_cndmask_b32_e64 v149, 0, v149, s0
.LBB238_79:                             ;   in Loop: Header=BB238_29 Depth=1
	s_wait_alu 0xfffe
	s_or_b32 exec_lo, exec_lo, s9
	global_load_b32 v0, v[9:10], off offset:3200
	s_wait_loadcnt 0x0
	v_and_b32_e32 v14, 0xffff, v0
	v_lshrrev_b32_e32 v0, 16, v0
	s_delay_alu instid0(VALU_DEP_2) | instskip(NEXT) | instid1(VALU_DEP_2)
	v_cvt_pk_f32_fp8_e32 v[138:139], v14
	v_cvt_pk_f32_fp8_e32 v[158:159], v0
	s_delay_alu instid0(VALU_DEP_2) | instskip(NEXT) | instid1(VALU_DEP_2)
	v_mul_f32_e32 v157, s3, v138
	v_dual_mul_f32 v155, s6, v139 :: v_dual_mul_f32 v154, s3, v158
	s_delay_alu instid0(VALU_DEP_3)
	v_mul_f32_e32 v153, s6, v159
	s_and_saveexec_b32 s9, vcc_lo
	s_cbranch_execz .LBB238_81
; %bb.80:                               ;   in Loop: Header=BB238_29 Depth=1
	v_cmp_gt_i32_e64 s0, s27, v72
	s_wait_alu 0xf1ff
	s_delay_alu instid0(VALU_DEP_1) | instskip(SKIP_2) | instid1(VALU_DEP_1)
	v_cndmask_b32_e64 v157, 0, v157, s0
	v_cmp_gt_i32_e64 s0, s27, v73
	s_wait_alu 0xf1ff
	v_cndmask_b32_e64 v155, 0, v155, s0
	v_cmp_gt_i32_e64 s0, s27, v74
	s_wait_alu 0xf1ff
	s_delay_alu instid0(VALU_DEP_1) | instskip(SKIP_2) | instid1(VALU_DEP_1)
	v_cndmask_b32_e64 v154, 0, v154, s0
	v_cmp_gt_i32_e64 s0, s27, v43
	s_wait_alu 0xf1ff
	v_cndmask_b32_e64 v153, 0, v153, s0
.LBB238_81:                             ;   in Loop: Header=BB238_29 Depth=1
	s_wait_alu 0xfffe
	s_or_b32 exec_lo, exec_lo, s9
	global_load_b32 v0, v[9:10], off offset:3328
	s_wait_loadcnt 0x0
	v_and_b32_e32 v14, 0xffff, v0
	v_lshrrev_b32_e32 v0, 16, v0
	s_delay_alu instid0(VALU_DEP_2) | instskip(NEXT) | instid1(VALU_DEP_2)
	v_cvt_pk_f32_fp8_e32 v[138:139], v14
	v_cvt_pk_f32_fp8_e32 v[161:162], v0
	s_delay_alu instid0(VALU_DEP_2) | instskip(NEXT) | instid1(VALU_DEP_2)
	v_dual_mul_f32 v160, s3, v138 :: v_dual_mul_f32 v159, s6, v139
	v_mul_f32_e32 v158, s3, v161
	s_delay_alu instid0(VALU_DEP_3)
	v_mul_f32_e32 v156, s6, v162
	s_and_saveexec_b32 s9, vcc_lo
	s_cbranch_execz .LBB238_83
; %bb.82:                               ;   in Loop: Header=BB238_29 Depth=1
	v_cmp_gt_i32_e64 s0, s27, v72
	s_wait_alu 0xf1ff
	s_delay_alu instid0(VALU_DEP_1) | instskip(SKIP_2) | instid1(VALU_DEP_1)
	v_cndmask_b32_e64 v160, 0, v160, s0
	v_cmp_gt_i32_e64 s0, s27, v73
	s_wait_alu 0xf1ff
	v_cndmask_b32_e64 v159, 0, v159, s0
	v_cmp_gt_i32_e64 s0, s27, v74
	s_wait_alu 0xf1ff
	s_delay_alu instid0(VALU_DEP_1) | instskip(SKIP_2) | instid1(VALU_DEP_1)
	v_cndmask_b32_e64 v158, 0, v158, s0
	v_cmp_gt_i32_e64 s0, s27, v43
	s_wait_alu 0xf1ff
	v_cndmask_b32_e64 v156, 0, v156, s0
.LBB238_83:                             ;   in Loop: Header=BB238_29 Depth=1
	s_wait_alu 0xfffe
	s_or_b32 exec_lo, exec_lo, s9
	global_load_b32 v0, v[9:10], off offset:3456
	s_wait_loadcnt 0x0
	v_and_b32_e32 v9, 0xffff, v0
	v_lshrrev_b32_e32 v0, 16, v0
	s_delay_alu instid0(VALU_DEP_2) | instskip(NEXT) | instid1(VALU_DEP_2)
	v_cvt_pk_f32_fp8_e32 v[9:10], v9
	v_cvt_pk_f32_fp8_e32 v[161:162], v0
	s_delay_alu instid0(VALU_DEP_2) | instskip(NEXT) | instid1(VALU_DEP_2)
	v_dual_mul_f32 v139, s3, v9 :: v_dual_mul_f32 v138, s6, v10
	v_dual_mul_f32 v10, s3, v161 :: v_dual_mul_f32 v9, s6, v162
	s_and_saveexec_b32 s0, vcc_lo
	s_cbranch_execz .LBB238_28
; %bb.84:                               ;   in Loop: Header=BB238_29 Depth=1
	v_cmp_gt_i32_e32 vcc_lo, s27, v72
	s_wait_alu 0xfffd
	v_cndmask_b32_e32 v139, 0, v139, vcc_lo
	v_cmp_gt_i32_e32 vcc_lo, s27, v73
	s_wait_alu 0xfffd
	v_cndmask_b32_e32 v138, 0, v138, vcc_lo
	;; [unrolled: 3-line block ×4, first 2 shown]
	s_branch .LBB238_28
.LBB238_85:
	s_or_b32 exec_lo, exec_lo, s7
.LBB238_86:
	s_wait_alu 0xfffe
	s_or_b32 exec_lo, exec_lo, s1
	ds_bpermute_b32 v0, v13, v40
	ds_bpermute_b32 v1, v13, v42
	;; [unrolled: 1-line block ×13, first 2 shown]
	s_mov_b32 s0, exec_lo
	s_wait_storecnt 0x0
	s_wait_loadcnt_dscnt 0x0
	s_barrier_signal -1
	s_barrier_wait -1
	global_inv scope:SCOPE_SE
	v_dual_add_f32 v0, v40, v0 :: v_dual_add_f32 v1, v42, v1
	v_dual_add_f32 v2, v41, v2 :: v_dual_add_f32 v3, v39, v3
	;; [unrolled: 1-line block ×4, first 2 shown]
	ds_bpermute_b32 v10, v12, v0
	ds_bpermute_b32 v35, v12, v1
	;; [unrolled: 1-line block ×8, first 2 shown]
	v_dual_add_f32 v8, v34, v8 :: v_dual_add_f32 v9, v33, v9
	ds_bpermute_b32 v33, v13, v30
	ds_bpermute_b32 v34, v13, v29
	ds_bpermute_b32 v42, v13, v32
	ds_bpermute_b32 v45, v12, v8
	ds_bpermute_b32 v46, v12, v9
	s_wait_dscnt 0xc
	v_dual_add_f32 v31, v31, v43 :: v_dual_add_f32 v0, v0, v10
	s_wait_dscnt 0xa
	v_dual_add_f32 v10, v1, v35 :: v_dual_add_f32 v35, v2, v36
	s_wait_dscnt 0x8
	v_dual_add_f32 v36, v3, v37 :: v_dual_add_f32 v37, v4, v38
	s_wait_dscnt 0x6
	v_dual_add_f32 v38, v5, v39 :: v_dual_add_f32 v39, v6, v40
	s_wait_dscnt 0x5
	v_add_f32_e32 v40, v7, v41
	ds_bpermute_b32 v1, v11, v0
	ds_bpermute_b32 v3, v11, v35
	;; [unrolled: 1-line block ×4, first 2 shown]
	s_wait_dscnt 0x8
	v_add_f32_e32 v30, v30, v33
	ds_bpermute_b32 v33, v13, v27
	s_wait_dscnt 0x8
	v_add_f32_e32 v29, v29, v34
	ds_bpermute_b32 v41, v11, v40
	;; [unrolled: 3-line block ×3, first 2 shown]
	v_add_f32_e32 v32, v32, v42
	v_add_f32_e32 v28, v28, v44
	ds_bpermute_b32 v2, v11, v10
	ds_bpermute_b32 v7, v11, v39
	;; [unrolled: 1-line block ×5, first 2 shown]
	s_wait_dscnt 0xc
	v_add_f32_e32 v46, v9, v46
	ds_bpermute_b32 v9, v11, v45
	s_wait_dscnt 0xc
	v_add_f32_e32 v1, v0, v1
	s_wait_dscnt 0xb
	v_add_f32_e32 v3, v35, v3
	ds_bpermute_b32 v43, v12, v30
	s_wait_dscnt 0xa
	v_dual_add_f32 v4, v36, v4 :: v_dual_add_f32 v5, v37, v5
	ds_bpermute_b32 v0, v13, v26
	ds_bpermute_b32 v35, v12, v28
	;; [unrolled: 1-line block ×4, first 2 shown]
	s_wait_dscnt 0xb
	v_dual_add_f32 v6, v38, v6 :: v_dual_add_f32 v27, v27, v33
	v_add_f32_e32 v8, v40, v41
	ds_bpermute_b32 v33, v13, v24
	ds_bpermute_b32 v41, v13, v22
	s_wait_dscnt 0xb
	v_dual_add_f32 v2, v10, v2 :: v_dual_add_f32 v7, v39, v7
	s_wait_dscnt 0x9
	v_add_f32_e32 v32, v32, v34
	v_add_f32_e32 v31, v31, v42
	ds_bpermute_b32 v39, v12, v27
	s_wait_dscnt 0x9
	v_add_f32_e32 v29, v29, v44
	ds_bpermute_b32 v42, v13, v21
	ds_bpermute_b32 v44, v13, v19
	s_wait_dscnt 0x9
	v_add_f32_e32 v30, v30, v43
	ds_bpermute_b32 v43, v13, v20
	;; [unrolled: 4-line block ×3, first 2 shown]
	s_wait_dscnt 0x9
	v_dual_add_f32 v28, v28, v35 :: v_dual_add_f32 v25, v25, v36
	ds_bpermute_b32 v35, v13, v17
	ds_bpermute_b32 v13, v13, v15
	s_wait_dscnt 0xa
	v_add_f32_e32 v23, v23, v37
	s_wait_dscnt 0x9
	v_add_f32_e32 v24, v24, v33
	ds_bpermute_b32 v33, v12, v25
	s_wait_dscnt 0x9
	v_add_f32_e32 v22, v22, v41
	ds_bpermute_b32 v38, v11, v31
	ds_bpermute_b32 v41, v12, v23
	s_wait_dscnt 0xa
	v_dual_add_f32 v16, v16, v48 :: v_dual_add_f32 v27, v27, v39
	ds_bpermute_b32 v36, v12, v0
	s_wait_dscnt 0xa
	v_add_f32_e32 v21, v21, v42
	s_wait_dscnt 0x9
	v_add_f32_e32 v19, v19, v44
	ds_bpermute_b32 v39, v12, v24
	s_wait_dscnt 0x9
	v_add_f32_e32 v20, v20, v43
	ds_bpermute_b32 v34, v11, v32
	ds_bpermute_b32 v40, v11, v30
	s_wait_dscnt 0x9
	v_add_f32_e32 v18, v18, v26
	ds_bpermute_b32 v26, v12, v21
	ds_bpermute_b32 v44, v12, v19
	s_wait_dscnt 0xa
	v_add_f32_e32 v17, v17, v35
	s_wait_dscnt 0x9
	v_add_f32_e32 v13, v15, v13
	ds_bpermute_b32 v42, v12, v22
	ds_bpermute_b32 v43, v12, v20
	s_wait_dscnt 0xa
	v_add_f32_e32 v25, v25, v33
	ds_bpermute_b32 v35, v12, v18
	ds_bpermute_b32 v15, v12, v17
	s_wait_dscnt 0xa
	v_add_f32_e32 v23, v23, v41
	ds_bpermute_b32 v33, v12, v16
	ds_bpermute_b32 v12, v12, v13
	s_wait_dscnt 0xb
	v_add_f32_e32 v0, v0, v36
	ds_bpermute_b32 v47, v11, v29
	ds_bpermute_b32 v37, v11, v28
	s_wait_dscnt 0xc
	v_add_f32_e32 v24, v24, v39
	ds_bpermute_b32 v36, v11, v27
	ds_bpermute_b32 v41, v11, v25
	v_dual_add_f32 v9, v45, v9 :: v_dual_add_f32 v10, v46, v10
	s_wait_dscnt 0xb
	v_add_f32_e32 v26, v21, v26
	s_wait_dscnt 0xa
	v_add_f32_e32 v44, v19, v44
	s_wait_dscnt 0x8
	v_dual_add_f32 v22, v22, v42 :: v_dual_add_f32 v43, v20, v43
	ds_bpermute_b32 v42, v11, v23
	s_wait_dscnt 0x8
	v_add_f32_e32 v35, v18, v35
	s_wait_dscnt 0x7
	v_add_f32_e32 v53, v17, v15
	ds_bpermute_b32 v39, v11, v0
	s_wait_dscnt 0x7
	v_add_f32_e32 v33, v16, v33
	s_wait_dscnt 0x6
	v_add_f32_e32 v55, v13, v12
	ds_bpermute_b32 v48, v11, v24
	ds_bpermute_b32 v49, v11, v22
	;; [unrolled: 1-line block ×9, first 2 shown]
	v_dual_add_f32 v12, v31, v38 :: v_dual_add_f32 v13, v30, v40
	v_lshrrev_b32_e32 v31, 3, v144
	v_add_f32_e32 v11, v32, v34
	s_wait_dscnt 0xd
	v_dual_add_f32 v15, v29, v47 :: v_dual_add_f32 v16, v28, v37
	s_wait_dscnt 0xc
	v_add_f32_e32 v17, v27, v36
	s_wait_dscnt 0x9
	v_dual_add_f32 v19, v25, v41 :: v_dual_add_f32 v18, v0, v39
	v_add_f32_e32 v21, v23, v42
	v_and_b32_e32 v0, 0x3c7, v190
	s_wait_dscnt 0x8
	v_add_f32_e32 v20, v24, v48
	s_wait_dscnt 0x7
	v_add_f32_e32 v22, v22, v49
	s_wait_dscnt 0x5
	v_dual_add_f32 v23, v26, v50 :: v_dual_add_f32 v24, v43, v51
	s_wait_dscnt 0x3
	v_dual_add_f32 v25, v44, v52 :: v_dual_add_f32 v26, v35, v54
	s_wait_dscnt 0x2
	v_add_f32_e32 v27, v53, v45
	s_wait_dscnt 0x0
	v_dual_add_f32 v28, v33, v46 :: v_dual_add_f32 v29, v55, v56
	v_lshl_add_u32 v30, v31, 2, 0x1e0
	v_mul_u32_u24_e32 v32, 0x1c0, v142
	v_cmpx_eq_u32_e32 64, v0
	s_cbranch_execz .LBB238_88
; %bb.87:
	s_delay_alu instid0(VALU_DEP_2) | instskip(NEXT) | instid1(VALU_DEP_1)
	v_add_nc_u32_e32 v0, v30, v32
	v_add_nc_u32_e32 v14, 0xfffffc80, v0
	;; [unrolled: 1-line block ×9, first 2 shown]
	ds_store_b32 v14, v1
	ds_store_b32 v33, v2
	;; [unrolled: 1-line block ×8, first 2 shown]
	v_add_nc_u32_e32 v14, 0xfffffd00, v0
	v_add_nc_u32_e32 v33, 0xfffffd10, v0
	;; [unrolled: 1-line block ×8, first 2 shown]
	ds_store_b32 v14, v9
	ds_store_b32 v33, v10
	;; [unrolled: 1-line block ×8, first 2 shown]
	v_add_nc_u32_e32 v14, 0xfffffd80, v0
	v_add_nc_u32_e32 v33, 0xfffffd90, v0
	;; [unrolled: 1-line block ×12, first 2 shown]
	ds_store_b32 v14, v18
	ds_store_b32 v33, v19
	;; [unrolled: 1-line block ×12, first 2 shown]
.LBB238_88:
	s_wait_alu 0xfffe
	s_or_b32 exec_lo, exec_lo, s0
	v_lshlrev_b32_e32 v0, 2, v31
	s_mov_b32 s1, exec_lo
	v_cmp_eq_u32_e32 vcc_lo, 0, v141
	s_wait_loadcnt_dscnt 0x0
	s_barrier_signal -1
	v_add3_u32 v14, 0x1e0, v32, v0
	s_barrier_wait -1
	global_inv scope:SCOPE_SE
	v_cmpx_gt_u32_e32 64, v190
	s_cbranch_execz .LBB238_119
; %bb.89:
	s_and_saveexec_b32 s0, vcc_lo
	s_cbranch_execnz .LBB238_155
; %bb.90:
	s_wait_alu 0xfffe
	s_or_b32 exec_lo, exec_lo, s0
	s_and_saveexec_b32 s0, vcc_lo
	s_cbranch_execnz .LBB238_156
.LBB238_91:
	s_wait_alu 0xfffe
	s_or_b32 exec_lo, exec_lo, s0
	s_and_saveexec_b32 s0, vcc_lo
	s_cbranch_execnz .LBB238_157
.LBB238_92:
	s_wait_alu 0xfffe
	s_or_b32 exec_lo, exec_lo, s0
	s_and_saveexec_b32 s0, vcc_lo
	s_cbranch_execnz .LBB238_158
.LBB238_93:
	s_wait_alu 0xfffe
	s_or_b32 exec_lo, exec_lo, s0
	s_and_saveexec_b32 s0, vcc_lo
	s_cbranch_execnz .LBB238_159
.LBB238_94:
	s_wait_alu 0xfffe
	s_or_b32 exec_lo, exec_lo, s0
	s_and_saveexec_b32 s0, vcc_lo
	s_cbranch_execnz .LBB238_160
.LBB238_95:
	s_wait_alu 0xfffe
	s_or_b32 exec_lo, exec_lo, s0
	s_and_saveexec_b32 s0, vcc_lo
	s_cbranch_execnz .LBB238_161
.LBB238_96:
	s_wait_alu 0xfffe
	s_or_b32 exec_lo, exec_lo, s0
	s_and_saveexec_b32 s0, vcc_lo
	s_cbranch_execnz .LBB238_162
.LBB238_97:
	s_wait_alu 0xfffe
	s_or_b32 exec_lo, exec_lo, s0
	s_and_saveexec_b32 s0, vcc_lo
	s_cbranch_execnz .LBB238_163
.LBB238_98:
	s_wait_alu 0xfffe
	s_or_b32 exec_lo, exec_lo, s0
	s_and_saveexec_b32 s0, vcc_lo
	s_cbranch_execnz .LBB238_164
.LBB238_99:
	s_wait_alu 0xfffe
	s_or_b32 exec_lo, exec_lo, s0
	s_and_saveexec_b32 s0, vcc_lo
	s_cbranch_execnz .LBB238_165
.LBB238_100:
	s_wait_alu 0xfffe
	s_or_b32 exec_lo, exec_lo, s0
	s_and_saveexec_b32 s0, vcc_lo
	s_cbranch_execnz .LBB238_166
.LBB238_101:
	s_wait_alu 0xfffe
	s_or_b32 exec_lo, exec_lo, s0
	s_and_saveexec_b32 s0, vcc_lo
	s_cbranch_execnz .LBB238_167
.LBB238_102:
	s_wait_alu 0xfffe
	s_or_b32 exec_lo, exec_lo, s0
	s_and_saveexec_b32 s0, vcc_lo
	s_cbranch_execnz .LBB238_168
.LBB238_103:
	s_wait_alu 0xfffe
	s_or_b32 exec_lo, exec_lo, s0
	s_and_saveexec_b32 s0, vcc_lo
	s_cbranch_execnz .LBB238_169
.LBB238_104:
	s_wait_alu 0xfffe
	s_or_b32 exec_lo, exec_lo, s0
	s_and_saveexec_b32 s0, vcc_lo
	s_cbranch_execnz .LBB238_170
.LBB238_105:
	s_wait_alu 0xfffe
	s_or_b32 exec_lo, exec_lo, s0
	s_and_saveexec_b32 s0, vcc_lo
	s_cbranch_execnz .LBB238_171
.LBB238_106:
	s_wait_alu 0xfffe
	s_or_b32 exec_lo, exec_lo, s0
	s_and_saveexec_b32 s0, vcc_lo
	s_cbranch_execnz .LBB238_172
.LBB238_107:
	s_wait_alu 0xfffe
	s_or_b32 exec_lo, exec_lo, s0
	s_and_saveexec_b32 s0, vcc_lo
	s_cbranch_execnz .LBB238_173
.LBB238_108:
	s_wait_alu 0xfffe
	s_or_b32 exec_lo, exec_lo, s0
	s_and_saveexec_b32 s0, vcc_lo
	s_cbranch_execnz .LBB238_174
.LBB238_109:
	s_wait_alu 0xfffe
	s_or_b32 exec_lo, exec_lo, s0
	s_and_saveexec_b32 s0, vcc_lo
	s_cbranch_execnz .LBB238_175
.LBB238_110:
	s_wait_alu 0xfffe
	s_or_b32 exec_lo, exec_lo, s0
	s_and_saveexec_b32 s0, vcc_lo
	s_cbranch_execnz .LBB238_176
.LBB238_111:
	s_wait_alu 0xfffe
	s_or_b32 exec_lo, exec_lo, s0
	s_and_saveexec_b32 s0, vcc_lo
	s_cbranch_execnz .LBB238_177
.LBB238_112:
	s_wait_alu 0xfffe
	s_or_b32 exec_lo, exec_lo, s0
	s_and_saveexec_b32 s0, vcc_lo
	s_cbranch_execnz .LBB238_178
.LBB238_113:
	s_wait_alu 0xfffe
	s_or_b32 exec_lo, exec_lo, s0
	s_and_saveexec_b32 s0, vcc_lo
	s_cbranch_execnz .LBB238_179
.LBB238_114:
	s_wait_alu 0xfffe
	s_or_b32 exec_lo, exec_lo, s0
	s_and_saveexec_b32 s0, vcc_lo
	s_cbranch_execnz .LBB238_180
.LBB238_115:
	s_wait_alu 0xfffe
	s_or_b32 exec_lo, exec_lo, s0
	s_and_saveexec_b32 s0, vcc_lo
	s_cbranch_execnz .LBB238_181
.LBB238_116:
	s_wait_alu 0xfffe
	s_or_b32 exec_lo, exec_lo, s0
	s_and_saveexec_b32 s0, vcc_lo
	s_cbranch_execz .LBB238_118
.LBB238_117:
	ds_load_b32 v0, v14 offset:432
	s_wait_dscnt 0x0
	v_add_f32_e32 v29, v29, v0
.LBB238_118:
	s_wait_alu 0xfffe
	s_or_b32 exec_lo, exec_lo, s0
.LBB238_119:
	s_wait_alu 0xfffe
	s_or_b32 exec_lo, exec_lo, s1
	v_and_b32_e32 v31, 0x3e7, v190
	s_mov_b32 s1, exec_lo
	s_wait_loadcnt 0x0
	s_barrier_signal -1
	s_barrier_wait -1
	global_inv scope:SCOPE_SE
	v_cmpx_eq_u32_e32 32, v31
	s_cbranch_execz .LBB238_121
; %bb.120:
	ds_store_2addr_b32 v30, v1, v2 offset1:4
	ds_store_2addr_b32 v30, v3, v4 offset0:8 offset1:12
	ds_store_2addr_b32 v30, v5, v6 offset0:16 offset1:20
	;; [unrolled: 1-line block ×13, first 2 shown]
.LBB238_121:
	s_wait_alu 0xfffe
	s_or_b32 exec_lo, exec_lo, s1
	s_delay_alu instid0(SALU_CYCLE_1)
	s_mov_b32 s1, exec_lo
	s_wait_loadcnt_dscnt 0x0
	s_barrier_signal -1
	s_barrier_wait -1
	global_inv scope:SCOPE_SE
	v_cmpx_gt_u32_e32 32, v190
	s_cbranch_execz .LBB238_152
; %bb.122:
	s_and_saveexec_b32 s0, vcc_lo
	s_cbranch_execnz .LBB238_182
; %bb.123:
	s_wait_alu 0xfffe
	s_or_b32 exec_lo, exec_lo, s0
	s_and_saveexec_b32 s0, vcc_lo
	s_cbranch_execnz .LBB238_183
.LBB238_124:
	s_wait_alu 0xfffe
	s_or_b32 exec_lo, exec_lo, s0
	s_and_saveexec_b32 s0, vcc_lo
	s_cbranch_execnz .LBB238_184
.LBB238_125:
	s_wait_alu 0xfffe
	s_or_b32 exec_lo, exec_lo, s0
	s_and_saveexec_b32 s0, vcc_lo
	s_cbranch_execnz .LBB238_185
.LBB238_126:
	s_wait_alu 0xfffe
	s_or_b32 exec_lo, exec_lo, s0
	s_and_saveexec_b32 s0, vcc_lo
	s_cbranch_execnz .LBB238_186
.LBB238_127:
	s_wait_alu 0xfffe
	s_or_b32 exec_lo, exec_lo, s0
	s_and_saveexec_b32 s0, vcc_lo
	s_cbranch_execnz .LBB238_187
.LBB238_128:
	s_wait_alu 0xfffe
	s_or_b32 exec_lo, exec_lo, s0
	s_and_saveexec_b32 s0, vcc_lo
	s_cbranch_execnz .LBB238_188
.LBB238_129:
	s_wait_alu 0xfffe
	s_or_b32 exec_lo, exec_lo, s0
	s_and_saveexec_b32 s0, vcc_lo
	s_cbranch_execnz .LBB238_189
.LBB238_130:
	s_wait_alu 0xfffe
	s_or_b32 exec_lo, exec_lo, s0
	s_and_saveexec_b32 s0, vcc_lo
	s_cbranch_execnz .LBB238_190
.LBB238_131:
	s_wait_alu 0xfffe
	s_or_b32 exec_lo, exec_lo, s0
	s_and_saveexec_b32 s0, vcc_lo
	s_cbranch_execnz .LBB238_191
.LBB238_132:
	s_wait_alu 0xfffe
	s_or_b32 exec_lo, exec_lo, s0
	s_and_saveexec_b32 s0, vcc_lo
	s_cbranch_execnz .LBB238_192
.LBB238_133:
	s_wait_alu 0xfffe
	s_or_b32 exec_lo, exec_lo, s0
	s_and_saveexec_b32 s0, vcc_lo
	s_cbranch_execnz .LBB238_193
.LBB238_134:
	s_wait_alu 0xfffe
	s_or_b32 exec_lo, exec_lo, s0
	s_and_saveexec_b32 s0, vcc_lo
	s_cbranch_execnz .LBB238_194
.LBB238_135:
	s_wait_alu 0xfffe
	s_or_b32 exec_lo, exec_lo, s0
	s_and_saveexec_b32 s0, vcc_lo
	s_cbranch_execnz .LBB238_195
.LBB238_136:
	s_wait_alu 0xfffe
	s_or_b32 exec_lo, exec_lo, s0
	s_and_saveexec_b32 s0, vcc_lo
	s_cbranch_execnz .LBB238_196
.LBB238_137:
	s_wait_alu 0xfffe
	s_or_b32 exec_lo, exec_lo, s0
	s_and_saveexec_b32 s0, vcc_lo
	s_cbranch_execnz .LBB238_197
.LBB238_138:
	s_wait_alu 0xfffe
	s_or_b32 exec_lo, exec_lo, s0
	s_and_saveexec_b32 s0, vcc_lo
	s_cbranch_execnz .LBB238_198
.LBB238_139:
	s_wait_alu 0xfffe
	s_or_b32 exec_lo, exec_lo, s0
	s_and_saveexec_b32 s0, vcc_lo
	s_cbranch_execnz .LBB238_199
.LBB238_140:
	s_wait_alu 0xfffe
	s_or_b32 exec_lo, exec_lo, s0
	s_and_saveexec_b32 s0, vcc_lo
	s_cbranch_execnz .LBB238_200
.LBB238_141:
	s_wait_alu 0xfffe
	s_or_b32 exec_lo, exec_lo, s0
	s_and_saveexec_b32 s0, vcc_lo
	s_cbranch_execnz .LBB238_201
.LBB238_142:
	s_wait_alu 0xfffe
	s_or_b32 exec_lo, exec_lo, s0
	s_and_saveexec_b32 s0, vcc_lo
	s_cbranch_execnz .LBB238_202
.LBB238_143:
	s_wait_alu 0xfffe
	s_or_b32 exec_lo, exec_lo, s0
	s_and_saveexec_b32 s0, vcc_lo
	s_cbranch_execnz .LBB238_203
.LBB238_144:
	s_wait_alu 0xfffe
	s_or_b32 exec_lo, exec_lo, s0
	s_and_saveexec_b32 s0, vcc_lo
	s_cbranch_execnz .LBB238_204
.LBB238_145:
	s_wait_alu 0xfffe
	s_or_b32 exec_lo, exec_lo, s0
	s_and_saveexec_b32 s0, vcc_lo
	s_cbranch_execnz .LBB238_205
.LBB238_146:
	s_wait_alu 0xfffe
	s_or_b32 exec_lo, exec_lo, s0
	s_and_saveexec_b32 s0, vcc_lo
	s_cbranch_execnz .LBB238_206
.LBB238_147:
	s_wait_alu 0xfffe
	s_or_b32 exec_lo, exec_lo, s0
	s_and_saveexec_b32 s0, vcc_lo
	s_cbranch_execnz .LBB238_207
.LBB238_148:
	s_wait_alu 0xfffe
	s_or_b32 exec_lo, exec_lo, s0
	s_and_saveexec_b32 s0, vcc_lo
	s_cbranch_execnz .LBB238_208
.LBB238_149:
	s_wait_alu 0xfffe
	s_or_b32 exec_lo, exec_lo, s0
	s_and_saveexec_b32 s0, vcc_lo
	s_cbranch_execz .LBB238_151
.LBB238_150:
	ds_load_b32 v0, v14 offset:432
	s_wait_dscnt 0x0
	v_add_f32_e32 v29, v29, v0
.LBB238_151:
	s_wait_alu 0xfffe
	s_or_b32 exec_lo, exec_lo, s0
.LBB238_152:
	s_wait_alu 0xfffe
	s_or_b32 exec_lo, exec_lo, s1
	s_mov_b32 s1, 0
	s_wait_loadcnt 0x0
	s_barrier_signal -1
	s_barrier_wait -1
	global_inv scope:SCOPE_SE
	s_mov_b32 s0, exec_lo
	v_cmpx_eq_u32_e32 0, v31
	s_cbranch_execz .LBB238_154
; %bb.153:
	s_mul_i32 s2, s14, 0x70
	s_mul_i32 s6, s12, s16
	s_wait_alu 0xfffe
	s_ashr_i32 s3, s2, 31
	s_ashr_i32 s7, s6, 31
	s_wait_alu 0xfffe
	s_lshl_b64 s[2:3], s[2:3], 2
	s_lshl_b64 s[6:7], s[6:7], 2
	s_wait_kmcnt 0x0
	s_wait_alu 0xfffe
	s_add_nc_u64 s[2:3], s[4:5], s[2:3]
	v_lshrrev_b32_e32 v0, 1, v190
	s_mul_i32 s0, s26, 0x1c0
	s_wait_alu 0xfffe
	s_add_nc_u64 s[2:3], s[2:3], s[6:7]
	s_wait_alu 0xfffe
	s_add_nc_u64 s[0:1], s[2:3], s[0:1]
	s_clause 0x1b
	global_store_b32 v0, v1, s[0:1]
	global_store_b32 v0, v2, s[0:1] offset:16
	global_store_b32 v0, v3, s[0:1] offset:32
	;; [unrolled: 1-line block ×27, first 2 shown]
.LBB238_154:
	s_nop 0
	s_sendmsg sendmsg(MSG_DEALLOC_VGPRS)
	s_endpgm
.LBB238_155:
	ds_load_b32 v0, v14
	s_wait_dscnt 0x0
	v_add_f32_e32 v1, v1, v0
	s_wait_alu 0xfffe
	s_or_b32 exec_lo, exec_lo, s0
	s_and_saveexec_b32 s0, vcc_lo
	s_cbranch_execz .LBB238_91
.LBB238_156:
	ds_load_b32 v0, v14 offset:16
	s_wait_dscnt 0x0
	v_add_f32_e32 v2, v2, v0
	s_wait_alu 0xfffe
	s_or_b32 exec_lo, exec_lo, s0
	s_and_saveexec_b32 s0, vcc_lo
	s_cbranch_execz .LBB238_92
.LBB238_157:
	ds_load_b32 v0, v14 offset:32
	s_wait_dscnt 0x0
	v_add_f32_e32 v3, v3, v0
	s_wait_alu 0xfffe
	s_or_b32 exec_lo, exec_lo, s0
	s_and_saveexec_b32 s0, vcc_lo
	s_cbranch_execz .LBB238_93
.LBB238_158:
	ds_load_b32 v0, v14 offset:48
	s_wait_dscnt 0x0
	v_add_f32_e32 v4, v4, v0
	s_wait_alu 0xfffe
	s_or_b32 exec_lo, exec_lo, s0
	s_and_saveexec_b32 s0, vcc_lo
	s_cbranch_execz .LBB238_94
.LBB238_159:
	ds_load_b32 v0, v14 offset:64
	s_wait_dscnt 0x0
	v_add_f32_e32 v5, v5, v0
	s_wait_alu 0xfffe
	s_or_b32 exec_lo, exec_lo, s0
	s_and_saveexec_b32 s0, vcc_lo
	s_cbranch_execz .LBB238_95
.LBB238_160:
	ds_load_b32 v0, v14 offset:80
	s_wait_dscnt 0x0
	v_add_f32_e32 v6, v6, v0
	s_wait_alu 0xfffe
	s_or_b32 exec_lo, exec_lo, s0
	s_and_saveexec_b32 s0, vcc_lo
	s_cbranch_execz .LBB238_96
.LBB238_161:
	ds_load_b32 v0, v14 offset:96
	s_wait_dscnt 0x0
	v_add_f32_e32 v7, v7, v0
	s_wait_alu 0xfffe
	s_or_b32 exec_lo, exec_lo, s0
	s_and_saveexec_b32 s0, vcc_lo
	s_cbranch_execz .LBB238_97
.LBB238_162:
	ds_load_b32 v0, v14 offset:112
	s_wait_dscnt 0x0
	v_add_f32_e32 v8, v8, v0
	s_wait_alu 0xfffe
	s_or_b32 exec_lo, exec_lo, s0
	s_and_saveexec_b32 s0, vcc_lo
	s_cbranch_execz .LBB238_98
.LBB238_163:
	ds_load_b32 v0, v14 offset:128
	s_wait_dscnt 0x0
	v_add_f32_e32 v9, v9, v0
	s_wait_alu 0xfffe
	s_or_b32 exec_lo, exec_lo, s0
	s_and_saveexec_b32 s0, vcc_lo
	s_cbranch_execz .LBB238_99
.LBB238_164:
	ds_load_b32 v0, v14 offset:144
	s_wait_dscnt 0x0
	v_add_f32_e32 v10, v10, v0
	s_wait_alu 0xfffe
	s_or_b32 exec_lo, exec_lo, s0
	s_and_saveexec_b32 s0, vcc_lo
	s_cbranch_execz .LBB238_100
.LBB238_165:
	ds_load_b32 v0, v14 offset:160
	s_wait_dscnt 0x0
	v_add_f32_e32 v11, v11, v0
	s_wait_alu 0xfffe
	s_or_b32 exec_lo, exec_lo, s0
	s_and_saveexec_b32 s0, vcc_lo
	s_cbranch_execz .LBB238_101
.LBB238_166:
	ds_load_b32 v0, v14 offset:176
	s_wait_dscnt 0x0
	v_add_f32_e32 v12, v12, v0
	s_wait_alu 0xfffe
	s_or_b32 exec_lo, exec_lo, s0
	s_and_saveexec_b32 s0, vcc_lo
	s_cbranch_execz .LBB238_102
.LBB238_167:
	ds_load_b32 v0, v14 offset:192
	s_wait_dscnt 0x0
	v_add_f32_e32 v13, v13, v0
	s_wait_alu 0xfffe
	s_or_b32 exec_lo, exec_lo, s0
	s_and_saveexec_b32 s0, vcc_lo
	s_cbranch_execz .LBB238_103
.LBB238_168:
	ds_load_b32 v0, v14 offset:208
	s_wait_dscnt 0x0
	v_add_f32_e32 v15, v15, v0
	s_wait_alu 0xfffe
	s_or_b32 exec_lo, exec_lo, s0
	s_and_saveexec_b32 s0, vcc_lo
	s_cbranch_execz .LBB238_104
.LBB238_169:
	ds_load_b32 v0, v14 offset:224
	s_wait_dscnt 0x0
	v_add_f32_e32 v16, v16, v0
	s_wait_alu 0xfffe
	s_or_b32 exec_lo, exec_lo, s0
	s_and_saveexec_b32 s0, vcc_lo
	s_cbranch_execz .LBB238_105
.LBB238_170:
	ds_load_b32 v0, v14 offset:240
	s_wait_dscnt 0x0
	v_add_f32_e32 v17, v17, v0
	s_wait_alu 0xfffe
	s_or_b32 exec_lo, exec_lo, s0
	s_and_saveexec_b32 s0, vcc_lo
	s_cbranch_execz .LBB238_106
.LBB238_171:
	ds_load_b32 v0, v14 offset:256
	s_wait_dscnt 0x0
	v_add_f32_e32 v18, v18, v0
	s_wait_alu 0xfffe
	s_or_b32 exec_lo, exec_lo, s0
	s_and_saveexec_b32 s0, vcc_lo
	s_cbranch_execz .LBB238_107
.LBB238_172:
	ds_load_b32 v0, v14 offset:272
	s_wait_dscnt 0x0
	v_add_f32_e32 v19, v19, v0
	s_wait_alu 0xfffe
	s_or_b32 exec_lo, exec_lo, s0
	s_and_saveexec_b32 s0, vcc_lo
	s_cbranch_execz .LBB238_108
.LBB238_173:
	ds_load_b32 v0, v14 offset:288
	s_wait_dscnt 0x0
	v_add_f32_e32 v20, v20, v0
	s_wait_alu 0xfffe
	s_or_b32 exec_lo, exec_lo, s0
	s_and_saveexec_b32 s0, vcc_lo
	s_cbranch_execz .LBB238_109
.LBB238_174:
	ds_load_b32 v0, v14 offset:304
	s_wait_dscnt 0x0
	v_add_f32_e32 v21, v21, v0
	s_wait_alu 0xfffe
	s_or_b32 exec_lo, exec_lo, s0
	s_and_saveexec_b32 s0, vcc_lo
	s_cbranch_execz .LBB238_110
.LBB238_175:
	ds_load_b32 v0, v14 offset:320
	s_wait_dscnt 0x0
	v_add_f32_e32 v22, v22, v0
	s_wait_alu 0xfffe
	s_or_b32 exec_lo, exec_lo, s0
	s_and_saveexec_b32 s0, vcc_lo
	s_cbranch_execz .LBB238_111
.LBB238_176:
	ds_load_b32 v0, v14 offset:336
	s_wait_dscnt 0x0
	v_add_f32_e32 v23, v23, v0
	s_wait_alu 0xfffe
	s_or_b32 exec_lo, exec_lo, s0
	s_and_saveexec_b32 s0, vcc_lo
	s_cbranch_execz .LBB238_112
.LBB238_177:
	ds_load_b32 v0, v14 offset:352
	s_wait_dscnt 0x0
	v_add_f32_e32 v24, v24, v0
	s_wait_alu 0xfffe
	s_or_b32 exec_lo, exec_lo, s0
	s_and_saveexec_b32 s0, vcc_lo
	s_cbranch_execz .LBB238_113
.LBB238_178:
	ds_load_b32 v0, v14 offset:368
	s_wait_dscnt 0x0
	v_add_f32_e32 v25, v25, v0
	s_wait_alu 0xfffe
	s_or_b32 exec_lo, exec_lo, s0
	s_and_saveexec_b32 s0, vcc_lo
	s_cbranch_execz .LBB238_114
.LBB238_179:
	ds_load_b32 v0, v14 offset:384
	s_wait_dscnt 0x0
	v_add_f32_e32 v26, v26, v0
	s_wait_alu 0xfffe
	s_or_b32 exec_lo, exec_lo, s0
	s_and_saveexec_b32 s0, vcc_lo
	s_cbranch_execz .LBB238_115
.LBB238_180:
	ds_load_b32 v0, v14 offset:400
	s_wait_dscnt 0x0
	v_add_f32_e32 v27, v27, v0
	s_wait_alu 0xfffe
	s_or_b32 exec_lo, exec_lo, s0
	s_and_saveexec_b32 s0, vcc_lo
	s_cbranch_execz .LBB238_116
.LBB238_181:
	ds_load_b32 v0, v14 offset:416
	s_wait_dscnt 0x0
	v_add_f32_e32 v28, v28, v0
	s_wait_alu 0xfffe
	s_or_b32 exec_lo, exec_lo, s0
	s_and_saveexec_b32 s0, vcc_lo
	s_cbranch_execnz .LBB238_117
	s_branch .LBB238_118
.LBB238_182:
	ds_load_b32 v0, v14
	s_wait_dscnt 0x0
	v_add_f32_e32 v1, v1, v0
	s_wait_alu 0xfffe
	s_or_b32 exec_lo, exec_lo, s0
	s_and_saveexec_b32 s0, vcc_lo
	s_cbranch_execz .LBB238_124
.LBB238_183:
	ds_load_b32 v0, v14 offset:16
	s_wait_dscnt 0x0
	v_add_f32_e32 v2, v2, v0
	s_wait_alu 0xfffe
	s_or_b32 exec_lo, exec_lo, s0
	s_and_saveexec_b32 s0, vcc_lo
	s_cbranch_execz .LBB238_125
.LBB238_184:
	ds_load_b32 v0, v14 offset:32
	s_wait_dscnt 0x0
	v_add_f32_e32 v3, v3, v0
	s_wait_alu 0xfffe
	s_or_b32 exec_lo, exec_lo, s0
	s_and_saveexec_b32 s0, vcc_lo
	s_cbranch_execz .LBB238_126
.LBB238_185:
	ds_load_b32 v0, v14 offset:48
	s_wait_dscnt 0x0
	v_add_f32_e32 v4, v4, v0
	s_wait_alu 0xfffe
	s_or_b32 exec_lo, exec_lo, s0
	s_and_saveexec_b32 s0, vcc_lo
	s_cbranch_execz .LBB238_127
.LBB238_186:
	ds_load_b32 v0, v14 offset:64
	s_wait_dscnt 0x0
	v_add_f32_e32 v5, v5, v0
	s_wait_alu 0xfffe
	s_or_b32 exec_lo, exec_lo, s0
	s_and_saveexec_b32 s0, vcc_lo
	s_cbranch_execz .LBB238_128
.LBB238_187:
	ds_load_b32 v0, v14 offset:80
	s_wait_dscnt 0x0
	v_add_f32_e32 v6, v6, v0
	s_wait_alu 0xfffe
	s_or_b32 exec_lo, exec_lo, s0
	s_and_saveexec_b32 s0, vcc_lo
	s_cbranch_execz .LBB238_129
.LBB238_188:
	ds_load_b32 v0, v14 offset:96
	s_wait_dscnt 0x0
	v_add_f32_e32 v7, v7, v0
	s_wait_alu 0xfffe
	s_or_b32 exec_lo, exec_lo, s0
	s_and_saveexec_b32 s0, vcc_lo
	s_cbranch_execz .LBB238_130
.LBB238_189:
	ds_load_b32 v0, v14 offset:112
	s_wait_dscnt 0x0
	v_add_f32_e32 v8, v8, v0
	s_wait_alu 0xfffe
	s_or_b32 exec_lo, exec_lo, s0
	s_and_saveexec_b32 s0, vcc_lo
	s_cbranch_execz .LBB238_131
.LBB238_190:
	ds_load_b32 v0, v14 offset:128
	s_wait_dscnt 0x0
	v_add_f32_e32 v9, v9, v0
	s_wait_alu 0xfffe
	s_or_b32 exec_lo, exec_lo, s0
	s_and_saveexec_b32 s0, vcc_lo
	s_cbranch_execz .LBB238_132
.LBB238_191:
	ds_load_b32 v0, v14 offset:144
	s_wait_dscnt 0x0
	v_add_f32_e32 v10, v10, v0
	s_wait_alu 0xfffe
	s_or_b32 exec_lo, exec_lo, s0
	s_and_saveexec_b32 s0, vcc_lo
	s_cbranch_execz .LBB238_133
.LBB238_192:
	ds_load_b32 v0, v14 offset:160
	s_wait_dscnt 0x0
	v_add_f32_e32 v11, v11, v0
	s_wait_alu 0xfffe
	s_or_b32 exec_lo, exec_lo, s0
	s_and_saveexec_b32 s0, vcc_lo
	s_cbranch_execz .LBB238_134
.LBB238_193:
	ds_load_b32 v0, v14 offset:176
	s_wait_dscnt 0x0
	v_add_f32_e32 v12, v12, v0
	s_wait_alu 0xfffe
	s_or_b32 exec_lo, exec_lo, s0
	s_and_saveexec_b32 s0, vcc_lo
	s_cbranch_execz .LBB238_135
.LBB238_194:
	ds_load_b32 v0, v14 offset:192
	s_wait_dscnt 0x0
	v_add_f32_e32 v13, v13, v0
	s_wait_alu 0xfffe
	s_or_b32 exec_lo, exec_lo, s0
	s_and_saveexec_b32 s0, vcc_lo
	s_cbranch_execz .LBB238_136
.LBB238_195:
	ds_load_b32 v0, v14 offset:208
	s_wait_dscnt 0x0
	v_add_f32_e32 v15, v15, v0
	s_wait_alu 0xfffe
	s_or_b32 exec_lo, exec_lo, s0
	s_and_saveexec_b32 s0, vcc_lo
	s_cbranch_execz .LBB238_137
.LBB238_196:
	ds_load_b32 v0, v14 offset:224
	s_wait_dscnt 0x0
	v_add_f32_e32 v16, v16, v0
	s_wait_alu 0xfffe
	s_or_b32 exec_lo, exec_lo, s0
	s_and_saveexec_b32 s0, vcc_lo
	s_cbranch_execz .LBB238_138
.LBB238_197:
	ds_load_b32 v0, v14 offset:240
	s_wait_dscnt 0x0
	v_add_f32_e32 v17, v17, v0
	s_wait_alu 0xfffe
	s_or_b32 exec_lo, exec_lo, s0
	s_and_saveexec_b32 s0, vcc_lo
	s_cbranch_execz .LBB238_139
.LBB238_198:
	ds_load_b32 v0, v14 offset:256
	s_wait_dscnt 0x0
	v_add_f32_e32 v18, v18, v0
	s_wait_alu 0xfffe
	s_or_b32 exec_lo, exec_lo, s0
	s_and_saveexec_b32 s0, vcc_lo
	s_cbranch_execz .LBB238_140
.LBB238_199:
	ds_load_b32 v0, v14 offset:272
	s_wait_dscnt 0x0
	v_add_f32_e32 v19, v19, v0
	s_wait_alu 0xfffe
	s_or_b32 exec_lo, exec_lo, s0
	s_and_saveexec_b32 s0, vcc_lo
	s_cbranch_execz .LBB238_141
.LBB238_200:
	ds_load_b32 v0, v14 offset:288
	s_wait_dscnt 0x0
	v_add_f32_e32 v20, v20, v0
	s_wait_alu 0xfffe
	s_or_b32 exec_lo, exec_lo, s0
	s_and_saveexec_b32 s0, vcc_lo
	s_cbranch_execz .LBB238_142
.LBB238_201:
	ds_load_b32 v0, v14 offset:304
	s_wait_dscnt 0x0
	v_add_f32_e32 v21, v21, v0
	s_wait_alu 0xfffe
	s_or_b32 exec_lo, exec_lo, s0
	s_and_saveexec_b32 s0, vcc_lo
	s_cbranch_execz .LBB238_143
.LBB238_202:
	ds_load_b32 v0, v14 offset:320
	s_wait_dscnt 0x0
	v_add_f32_e32 v22, v22, v0
	s_wait_alu 0xfffe
	s_or_b32 exec_lo, exec_lo, s0
	s_and_saveexec_b32 s0, vcc_lo
	s_cbranch_execz .LBB238_144
.LBB238_203:
	ds_load_b32 v0, v14 offset:336
	s_wait_dscnt 0x0
	v_add_f32_e32 v23, v23, v0
	s_wait_alu 0xfffe
	s_or_b32 exec_lo, exec_lo, s0
	s_and_saveexec_b32 s0, vcc_lo
	s_cbranch_execz .LBB238_145
.LBB238_204:
	ds_load_b32 v0, v14 offset:352
	s_wait_dscnt 0x0
	v_add_f32_e32 v24, v24, v0
	s_wait_alu 0xfffe
	s_or_b32 exec_lo, exec_lo, s0
	s_and_saveexec_b32 s0, vcc_lo
	s_cbranch_execz .LBB238_146
.LBB238_205:
	ds_load_b32 v0, v14 offset:368
	s_wait_dscnt 0x0
	v_add_f32_e32 v25, v25, v0
	s_wait_alu 0xfffe
	s_or_b32 exec_lo, exec_lo, s0
	s_and_saveexec_b32 s0, vcc_lo
	s_cbranch_execz .LBB238_147
.LBB238_206:
	ds_load_b32 v0, v14 offset:384
	s_wait_dscnt 0x0
	v_add_f32_e32 v26, v26, v0
	s_wait_alu 0xfffe
	s_or_b32 exec_lo, exec_lo, s0
	s_and_saveexec_b32 s0, vcc_lo
	s_cbranch_execz .LBB238_148
.LBB238_207:
	ds_load_b32 v0, v14 offset:400
	s_wait_dscnt 0x0
	v_add_f32_e32 v27, v27, v0
	s_wait_alu 0xfffe
	s_or_b32 exec_lo, exec_lo, s0
	s_and_saveexec_b32 s0, vcc_lo
	s_cbranch_execz .LBB238_149
.LBB238_208:
	ds_load_b32 v0, v14 offset:416
	s_wait_dscnt 0x0
	v_add_f32_e32 v28, v28, v0
	s_wait_alu 0xfffe
	s_or_b32 exec_lo, exec_lo, s0
	s_and_saveexec_b32 s0, vcc_lo
	s_cbranch_execnz .LBB238_150
	s_branch .LBB238_151
	.section	.rodata,"a",@progbits
	.p2align	6, 0x0
	.amdhsa_kernel _ZN4vllm25paged_attention_v2_kernelIfhLi112ELi32ELi128ELNS_18Fp8KVCacheDataTypeE1ELb0ELi512EEEvPfS2_PT_PKS3_PKT0_S9_ifPKiSB_iPKfiiiSD_SD_iiiii
		.amdhsa_group_segment_fixed_size 480
		.amdhsa_private_segment_fixed_size 216
		.amdhsa_kernarg_size 400
		.amdhsa_user_sgpr_count 2
		.amdhsa_user_sgpr_dispatch_ptr 0
		.amdhsa_user_sgpr_queue_ptr 0
		.amdhsa_user_sgpr_kernarg_segment_ptr 1
		.amdhsa_user_sgpr_dispatch_id 0
		.amdhsa_user_sgpr_private_segment_size 0
		.amdhsa_wavefront_size32 1
		.amdhsa_uses_dynamic_stack 0
		.amdhsa_enable_private_segment 1
		.amdhsa_system_sgpr_workgroup_id_x 1
		.amdhsa_system_sgpr_workgroup_id_y 1
		.amdhsa_system_sgpr_workgroup_id_z 1
		.amdhsa_system_sgpr_workgroup_info 0
		.amdhsa_system_vgpr_workitem_id 0
		.amdhsa_next_free_vgpr 192
		.amdhsa_next_free_sgpr 36
		.amdhsa_reserve_vcc 1
		.amdhsa_float_round_mode_32 0
		.amdhsa_float_round_mode_16_64 0
		.amdhsa_float_denorm_mode_32 3
		.amdhsa_float_denorm_mode_16_64 3
		.amdhsa_fp16_overflow 0
		.amdhsa_workgroup_processor_mode 1
		.amdhsa_memory_ordered 1
		.amdhsa_forward_progress 1
		.amdhsa_inst_pref_size 123
		.amdhsa_round_robin_scheduling 0
		.amdhsa_exception_fp_ieee_invalid_op 0
		.amdhsa_exception_fp_denorm_src 0
		.amdhsa_exception_fp_ieee_div_zero 0
		.amdhsa_exception_fp_ieee_overflow 0
		.amdhsa_exception_fp_ieee_underflow 0
		.amdhsa_exception_fp_ieee_inexact 0
		.amdhsa_exception_int_div_zero 0
	.end_amdhsa_kernel
	.section	.text._ZN4vllm25paged_attention_v2_kernelIfhLi112ELi32ELi128ELNS_18Fp8KVCacheDataTypeE1ELb0ELi512EEEvPfS2_PT_PKS3_PKT0_S9_ifPKiSB_iPKfiiiSD_SD_iiiii,"axG",@progbits,_ZN4vllm25paged_attention_v2_kernelIfhLi112ELi32ELi128ELNS_18Fp8KVCacheDataTypeE1ELb0ELi512EEEvPfS2_PT_PKS3_PKT0_S9_ifPKiSB_iPKfiiiSD_SD_iiiii,comdat
.Lfunc_end238:
	.size	_ZN4vllm25paged_attention_v2_kernelIfhLi112ELi32ELi128ELNS_18Fp8KVCacheDataTypeE1ELb0ELi512EEEvPfS2_PT_PKS3_PKT0_S9_ifPKiSB_iPKfiiiSD_SD_iiiii, .Lfunc_end238-_ZN4vllm25paged_attention_v2_kernelIfhLi112ELi32ELi128ELNS_18Fp8KVCacheDataTypeE1ELb0ELi512EEEvPfS2_PT_PKS3_PKT0_S9_ifPKiSB_iPKfiiiSD_SD_iiiii
                                        ; -- End function
	.set _ZN4vllm25paged_attention_v2_kernelIfhLi112ELi32ELi128ELNS_18Fp8KVCacheDataTypeE1ELb0ELi512EEEvPfS2_PT_PKS3_PKT0_S9_ifPKiSB_iPKfiiiSD_SD_iiiii.num_vgpr, 192
	.set _ZN4vllm25paged_attention_v2_kernelIfhLi112ELi32ELi128ELNS_18Fp8KVCacheDataTypeE1ELb0ELi512EEEvPfS2_PT_PKS3_PKT0_S9_ifPKiSB_iPKfiiiSD_SD_iiiii.num_agpr, 0
	.set _ZN4vllm25paged_attention_v2_kernelIfhLi112ELi32ELi128ELNS_18Fp8KVCacheDataTypeE1ELb0ELi512EEEvPfS2_PT_PKS3_PKT0_S9_ifPKiSB_iPKfiiiSD_SD_iiiii.numbered_sgpr, 36
	.set _ZN4vllm25paged_attention_v2_kernelIfhLi112ELi32ELi128ELNS_18Fp8KVCacheDataTypeE1ELb0ELi512EEEvPfS2_PT_PKS3_PKT0_S9_ifPKiSB_iPKfiiiSD_SD_iiiii.num_named_barrier, 0
	.set _ZN4vllm25paged_attention_v2_kernelIfhLi112ELi32ELi128ELNS_18Fp8KVCacheDataTypeE1ELb0ELi512EEEvPfS2_PT_PKS3_PKT0_S9_ifPKiSB_iPKfiiiSD_SD_iiiii.private_seg_size, 216
	.set _ZN4vllm25paged_attention_v2_kernelIfhLi112ELi32ELi128ELNS_18Fp8KVCacheDataTypeE1ELb0ELi512EEEvPfS2_PT_PKS3_PKT0_S9_ifPKiSB_iPKfiiiSD_SD_iiiii.uses_vcc, 1
	.set _ZN4vllm25paged_attention_v2_kernelIfhLi112ELi32ELi128ELNS_18Fp8KVCacheDataTypeE1ELb0ELi512EEEvPfS2_PT_PKS3_PKT0_S9_ifPKiSB_iPKfiiiSD_SD_iiiii.uses_flat_scratch, 1
	.set _ZN4vllm25paged_attention_v2_kernelIfhLi112ELi32ELi128ELNS_18Fp8KVCacheDataTypeE1ELb0ELi512EEEvPfS2_PT_PKS3_PKT0_S9_ifPKiSB_iPKfiiiSD_SD_iiiii.has_dyn_sized_stack, 0
	.set _ZN4vllm25paged_attention_v2_kernelIfhLi112ELi32ELi128ELNS_18Fp8KVCacheDataTypeE1ELb0ELi512EEEvPfS2_PT_PKS3_PKT0_S9_ifPKiSB_iPKfiiiSD_SD_iiiii.has_recursion, 0
	.set _ZN4vllm25paged_attention_v2_kernelIfhLi112ELi32ELi128ELNS_18Fp8KVCacheDataTypeE1ELb0ELi512EEEvPfS2_PT_PKS3_PKT0_S9_ifPKiSB_iPKfiiiSD_SD_iiiii.has_indirect_call, 0
	.section	.AMDGPU.csdata,"",@progbits
; Kernel info:
; codeLenInByte = 15732
; TotalNumSgprs: 38
; NumVgprs: 192
; ScratchSize: 216
; MemoryBound: 0
; FloatMode: 240
; IeeeMode: 1
; LDSByteSize: 480 bytes/workgroup (compile time only)
; SGPRBlocks: 0
; VGPRBlocks: 23
; NumSGPRsForWavesPerEU: 38
; NumVGPRsForWavesPerEU: 192
; Occupancy: 8
; WaveLimiterHint : 1
; COMPUTE_PGM_RSRC2:SCRATCH_EN: 1
; COMPUTE_PGM_RSRC2:USER_SGPR: 2
; COMPUTE_PGM_RSRC2:TRAP_HANDLER: 0
; COMPUTE_PGM_RSRC2:TGID_X_EN: 1
; COMPUTE_PGM_RSRC2:TGID_Y_EN: 1
; COMPUTE_PGM_RSRC2:TGID_Z_EN: 1
; COMPUTE_PGM_RSRC2:TIDIG_COMP_CNT: 0
	.section	.text._ZN4vllm25paged_attention_v2_kernelIfhLi120ELi32ELi128ELNS_18Fp8KVCacheDataTypeE1ELb0ELi512EEEvPfS2_PT_PKS3_PKT0_S9_ifPKiSB_iPKfiiiSD_SD_iiiii,"axG",@progbits,_ZN4vllm25paged_attention_v2_kernelIfhLi120ELi32ELi128ELNS_18Fp8KVCacheDataTypeE1ELb0ELi512EEEvPfS2_PT_PKS3_PKT0_S9_ifPKiSB_iPKfiiiSD_SD_iiiii,comdat
	.protected	_ZN4vllm25paged_attention_v2_kernelIfhLi120ELi32ELi128ELNS_18Fp8KVCacheDataTypeE1ELb0ELi512EEEvPfS2_PT_PKS3_PKT0_S9_ifPKiSB_iPKfiiiSD_SD_iiiii ; -- Begin function _ZN4vllm25paged_attention_v2_kernelIfhLi120ELi32ELi128ELNS_18Fp8KVCacheDataTypeE1ELb0ELi512EEEvPfS2_PT_PKS3_PKT0_S9_ifPKiSB_iPKfiiiSD_SD_iiiii
	.globl	_ZN4vllm25paged_attention_v2_kernelIfhLi120ELi32ELi128ELNS_18Fp8KVCacheDataTypeE1ELb0ELi512EEEvPfS2_PT_PKS3_PKT0_S9_ifPKiSB_iPKfiiiSD_SD_iiiii
	.p2align	8
	.type	_ZN4vllm25paged_attention_v2_kernelIfhLi120ELi32ELi128ELNS_18Fp8KVCacheDataTypeE1ELb0ELi512EEEvPfS2_PT_PKS3_PKT0_S9_ifPKiSB_iPKfiiiSD_SD_iiiii,@function
_ZN4vllm25paged_attention_v2_kernelIfhLi120ELi32ELi128ELNS_18Fp8KVCacheDataTypeE1ELb0ELi512EEEvPfS2_PT_PKS3_PKT0_S9_ifPKiSB_iPKfiiiSD_SD_iiiii: ; @_ZN4vllm25paged_attention_v2_kernelIfhLi120ELi32ELi128ELNS_18Fp8KVCacheDataTypeE1ELb0ELi512EEEvPfS2_PT_PKS3_PKT0_S9_ifPKiSB_iPKfiiiSD_SD_iiiii
; %bb.0:
	s_load_b64 s[2:3], s[0:1], 0x40
	s_and_b32 s15, ttmp7, 0xffff
	s_lshr_b32 s26, ttmp7, 16
	s_lshl_b32 s4, s15, 2
	s_lshl_b32 s28, s26, 9
	s_wait_kmcnt 0x0
	s_load_b32 s27, s[2:3], s4 offset:0x0
	s_wait_kmcnt 0x0
	s_cmp_ge_i32 s28, s27
	s_cbranch_scc1 .LBB239_162
; %bb.1:
	s_clause 0x1
	s_load_b32 s30, s[0:1], 0x90
	s_load_b64 s[8:9], s[0:1], 0x30
	v_mov_b32_e32 v148, v0
	s_wait_kmcnt 0x0
	s_abs_i32 s5, s30
	s_abs_i32 s2, s8
	s_delay_alu instid0(SALU_CYCLE_1) | instskip(SKIP_1) | instid1(SALU_CYCLE_2)
	s_cvt_f32_u32 s3, s2
	s_sub_co_i32 s4, 0, s2
	v_rcp_iflag_f32_e32 v1, s3
	s_delay_alu instid0(TRANS32_DEP_1) | instskip(SKIP_2) | instid1(SALU_CYCLE_2)
	v_readfirstlane_b32 s3, v1
	s_mul_f32 s3, s3, 0x4f7ffffe
	s_wait_alu 0xfffe
	s_cvt_u32_f32 s3, s3
	s_wait_alu 0xfffe
	s_delay_alu instid0(SALU_CYCLE_2) | instskip(NEXT) | instid1(SALU_CYCLE_1)
	s_mul_i32 s4, s4, s3
	s_mul_hi_u32 s4, s3, s4
	s_delay_alu instid0(SALU_CYCLE_1)
	s_add_co_i32 s3, s3, s4
	s_xor_b32 s4, s30, s8
	s_wait_alu 0xfffe
	s_mul_hi_u32 s3, s5, s3
	s_ashr_i32 s4, s4, 31
	s_wait_alu 0xfffe
	s_mul_i32 s6, s3, s2
	s_delay_alu instid0(SALU_CYCLE_1)
	s_sub_co_i32 s5, s5, s6
	s_add_co_i32 s6, s3, 1
	s_sub_co_i32 s7, s5, s2
	s_cmp_ge_u32 s5, s2
	s_cselect_b32 s3, s6, s3
	s_cselect_b32 s5, s7, s5
	s_wait_alu 0xfffe
	s_add_co_i32 s6, s3, 1
	s_cmp_ge_u32 s5, s2
	s_cselect_b32 s2, s6, s3
	s_load_b64 s[6:7], s[0:1], 0x50
	s_xor_b32 s2, s2, s4
	s_mov_b32 s3, 0
	s_wait_alu 0xfffe
	s_sub_co_i32 s11, s2, s4
	s_mov_b32 s8, s3
	s_abs_i32 s10, s11
	s_delay_alu instid0(SALU_CYCLE_1) | instskip(SKIP_1) | instid1(SALU_CYCLE_2)
	s_cvt_f32_u32 s2, s10
	s_wait_alu 0xfffe
	v_rcp_iflag_f32_e32 v1, s2
	s_delay_alu instid0(TRANS32_DEP_1) | instskip(SKIP_2) | instid1(SALU_CYCLE_2)
	v_readfirstlane_b32 s2, v1
	s_mul_f32 s2, s2, 0x4f7ffffe
	s_wait_alu 0xfffe
	s_cvt_u32_f32 s4, s2
	s_sub_co_i32 s2, 0, s10
	s_wait_alu 0xfffe
	s_delay_alu instid0(SALU_CYCLE_1)
	s_mul_i32 s2, s2, s4
	s_wait_alu 0xfffe
	s_mul_hi_u32 s5, s4, s2
	s_abs_i32 s2, ttmp9
	s_add_co_i32 s4, s4, s5
	s_mov_b32 s5, s3
	s_wait_kmcnt 0x0
	s_cmp_eq_u64 s[6:7], 0
	s_cbranch_scc1 .LBB239_3
; %bb.2:
	s_mov_b32 s12, ttmp9
	s_ashr_i32 s13, ttmp9, 31
	s_delay_alu instid0(SALU_CYCLE_1) | instskip(NEXT) | instid1(SALU_CYCLE_1)
	s_lshl_b64 s[12:13], s[12:13], 2
	s_add_nc_u64 s[6:7], s[6:7], s[12:13]
	s_load_b32 s8, s[6:7], 0x0
.LBB239_3:
	s_load_b96 s[12:14], s[0:1], 0x58
	s_mul_u64 s[4:5], s[2:3], s[4:5]
	s_ashr_i32 s3, ttmp9, 31
	s_ashr_i32 s4, s11, 31
	s_mul_i32 s16, ttmp9, 0x78
	s_mov_b32 s6, exec_lo
	v_cmpx_gt_u32_e32 30, v148
	s_cbranch_execz .LBB239_5
; %bb.4:
	s_load_b64 s[18:19], s[0:1], 0x18
	s_wait_kmcnt 0x0
	s_mul_i32 s20, s12, s15
	s_ashr_i32 s17, s16, 31
	s_ashr_i32 s21, s20, 31
	v_lshlrev_b32_e32 v5, 4, v148
	s_lshl_b64 s[20:21], s[20:21], 2
	s_delay_alu instid0(SALU_CYCLE_1) | instskip(SKIP_1) | instid1(SALU_CYCLE_1)
	s_add_nc_u64 s[18:19], s[18:19], s[20:21]
	s_lshl_b64 s[20:21], s[16:17], 2
	s_add_nc_u64 s[18:19], s[18:19], s[20:21]
	global_load_b128 v[1:4], v5, s[18:19]
	s_wait_loadcnt 0x0
	ds_store_b128 v5, v[1:4]
.LBB239_5:
	s_or_b32 exec_lo, exec_lo, s6
	s_add_co_i32 s6, s27, 31
	s_lshl_b32 s31, s26, 4
	s_ashr_i32 s7, s6, 31
	s_wait_alu 0xfffe
	s_xor_b32 s3, s3, s4
	s_lshr_b32 s7, s7, 27
	s_add_co_i32 s4, s31, 16
	s_add_co_i32 s6, s6, s7
	s_clause 0x1
	s_load_b64 s[18:19], s[0:1], 0x38
	s_load_b32 s11, s[0:1], 0x48
	s_ashr_i32 s29, s6, 5
	s_mul_i32 s6, s5, s10
	s_min_i32 s17, s4, s29
	s_sub_co_i32 s2, s2, s6
	s_add_co_i32 s4, s5, 1
	s_wait_alu 0xfffe
	s_sub_co_i32 s6, s2, s10
	s_cmp_ge_u32 s2, s10
	v_lshrrev_b32_e32 v149, 5, v148
	s_cselect_b32 s20, s4, s5
	s_cselect_b32 s2, s6, s2
	s_wait_kmcnt 0x0
	s_clause 0x1
	s_load_b32 s12, s[0:1], 0x98
	s_load_b128 s[4:7], s[0:1], 0x68
	s_add_co_i32 s21, s20, 1
	s_cmp_ge_u32 s2, s10
	v_dual_mov_b32 v130, 0xff7fffff :: v_dual_and_b32 v173, 31, v148
	v_add_nc_u32_e32 v174, s31, v149
	s_cselect_b32 s2, s21, s20
	s_wait_dscnt 0x0
	s_wait_alu 0xfffe
	s_xor_b32 s2, s2, s3
	v_lshlrev_b32_e32 v10, 2, v173
	s_wait_alu 0xfffe
	s_sub_co_i32 s3, s2, s3
	v_cmp_gt_i32_e64 s2, s17, v174
	v_lshlrev_b32_e32 v9, 2, v174
	s_mul_i32 s20, s11, s15
	s_wait_alu 0xfffe
	s_mul_i32 s22, s3, s14
	s_ashr_i32 s21, s20, 31
	s_barrier_signal -1
	s_barrier_wait -1
	global_inv scope:SCOPE_SE
	s_and_saveexec_b32 s10, s2
	s_cbranch_execz .LBB239_9
; %bb.6:
	v_dual_mov_b32 v1, 0 :: v_dual_lshlrev_b32 v2, 4, v173
	s_load_b64 s[24:25], s[0:1], 0x20
	s_wait_kmcnt 0x0
	s_load_b32 s5, s[4:5], 0x0
	s_ashr_i32 s23, s22, 31
	ds_load_b128 v[3:6], v1
	scratch_store_b32 off, v148, off offset:264 ; 4-byte Folded Spill
	s_cmp_neq_f32 s8, 0
	s_mov_b32 s11, s13
	s_mov_b32 s14, 0
	v_mov_b32_e32 v130, 0xff7fffff
	s_cselect_b32 vcc_lo, -1, 0
	v_mov_b32_e32 v133, v174
	s_add_nc_u64 s[24:25], s[24:25], s[22:23]
	s_wait_kmcnt 0x0
	s_mov_b32 s23, s5
	v_add_co_u32 v0, s3, s24, v2
	s_wait_dscnt 0x0
	scratch_store_b128 off, v[3:6], off     ; 16-byte Folded Spill
	ds_load_b128 v[3:6], v1 offset:16
	s_wait_dscnt 0x0
	scratch_store_b128 off, v[3:6], off offset:16 ; 16-byte Folded Spill
	ds_load_b128 v[3:6], v1 offset:32
	s_wait_dscnt 0x0
	scratch_store_b128 off, v[3:6], off offset:32 ; 16-byte Folded Spill
	;; [unrolled: 3-line block ×15, first 2 shown]
	ds_load_b128 v[65:68], v1 offset:256
	ds_load_b128 v[69:72], v1 offset:272
	s_clause 0x1
	scratch_store_b32 off, v149, off offset:268
	scratch_store_b32 off, v10, off offset:284
	ds_load_b128 v[73:76], v1 offset:288
	ds_load_b128 v[77:80], v1 offset:304
	;; [unrolled: 1-line block ×12, first 2 shown]
	s_wait_alu 0xf1ff
	v_add_co_ci_u32_e64 v1, null, s25, 0, s3
	s_lshl_b64 s[24:25], s[20:21], 2
	v_lshlrev_b32_e32 v3, 5, v149
	v_lshl_or_b32 v4, v149, 7, v10
	s_wait_alu 0xfffe
	s_add_nc_u64 s[24:25], s[18:19], s[24:25]
	s_clause 0x3
	scratch_store_b64 off, v[0:1], off offset:256
	scratch_store_b32 off, v173, off offset:272
	scratch_store_b32 off, v9, off offset:280
	;; [unrolled: 1-line block ×3, first 2 shown]
	s_wait_alu 0xfffe
	v_add_co_u32 v123, s3, s24, v9
	v_add3_u32 v131, s28, v3, v173
	v_add_nc_u32_e32 v132, 0x200, v4
	s_wait_alu 0xf1ff
	v_add_co_ci_u32_e64 v124, null, s25, 0, s3
	s_sub_co_i32 s24, 1, s27
.LBB239_7:                              ; =>This Inner Loop Header: Depth=1
	global_load_b32 v1, v[123:124], off
	s_clause 0x2
	scratch_load_b64 v[2:3], off, off offset:256
	scratch_load_b128 v[61:64], off, off offset:16
	scratch_load_b128 v[57:60], off, off
	v_cmp_gt_i32_e64 s3, s27, v131
	v_add_nc_u32_e32 v133, 4, v133
	s_delay_alu instid0(VALU_DEP_1)
	v_cmp_le_i32_e64 s4, s17, v133
	s_or_b32 s14, s4, s14
	s_wait_loadcnt 0x2
	v_mad_co_i64_i32 v[144:145], null, v1, s11, v[2:3]
	s_clause 0x4
	global_load_b128 v[4:7], v[144:145], off
	global_load_b128 v[12:15], v[144:145], off offset:512
	global_load_b128 v[20:23], v[144:145], off offset:1024
	;; [unrolled: 1-line block ×4, first 2 shown]
	s_wait_loadcnt 0x4
	v_and_b32_e32 v3, 0xffff, v4
	v_lshrrev_b32_e32 v2, 16, v4
	v_and_b32_e32 v1, 0xffff, v5
	v_lshrrev_b32_e32 v127, 16, v5
	v_and_b32_e32 v122, 0xffff, v6
	v_lshrrev_b32_e32 v121, 16, v6
	v_and_b32_e32 v126, 0xffff, v7
	v_lshrrev_b32_e32 v125, 16, v7
	s_wait_loadcnt 0x3
	v_and_b32_e32 v7, 0xffff, v12
	v_lshrrev_b32_e32 v8, 16, v12
	v_and_b32_e32 v16, 0xffff, v15
	v_lshrrev_b32_e32 v17, 16, v15
	s_wait_loadcnt 0x2
	v_and_b32_e32 v19, 0xffff, v20
	v_lshrrev_b32_e32 v18, 16, v20
	v_and_b32_e32 v15, 0xffff, v21
	v_lshrrev_b32_e32 v12, 16, v21
	;; [unrolled: 2-line block ×4, first 2 shown]
	s_wait_loadcnt 0x1
	v_and_b32_e32 v23, 0xffff, v28
	v_lshrrev_b32_e32 v24, 16, v28
	v_and_b32_e32 v32, 0xffff, v31
	v_lshrrev_b32_e32 v33, 16, v31
	s_wait_loadcnt 0x0
	v_and_b32_e32 v35, 0xffff, v178
	v_lshrrev_b32_e32 v34, 16, v178
	v_and_b32_e32 v31, 0xffff, v179
	v_lshrrev_b32_e32 v28, 16, v179
	;; [unrolled: 2-line block ×4, first 2 shown]
	global_load_b128 v[178:181], v[144:145], off offset:2560
	v_lshrrev_b32_e32 v11, 16, v13
	v_lshrrev_b32_e32 v27, 16, v29
	s_wait_loadcnt 0x0
	v_and_b32_e32 v36, 0xffff, v178
	v_lshrrev_b32_e32 v37, 16, v178
	v_and_b32_e32 v38, 0xffff, v179
	v_lshrrev_b32_e32 v39, 16, v179
	;; [unrolled: 2-line block ×4, first 2 shown]
	s_clause 0x1
	global_load_b128 v[178:181], v[144:145], off offset:3072
	global_load_b64 v[144:145], v[144:145], off offset:3584
	s_wait_loadcnt 0x1
	v_and_b32_e32 v44, 0xffff, v178
	s_wait_loadcnt 0x0
	v_and_b32_e32 v51, 0xffff, v144
	v_lshrrev_b32_e32 v53, 16, v144
	v_and_b32_e32 v56, 0xffff, v145
	v_lshrrev_b32_e32 v54, 16, v145
	v_cvt_pk_f32_fp8_e32 v[144:145], v3
	v_cvt_pk_f32_fp8_e32 v[2:3], v2
	v_lshrrev_b32_e32 v45, 16, v178
	v_and_b32_e32 v46, 0xffff, v179
	v_lshrrev_b32_e32 v47, 16, v179
	v_dual_mul_f32 v55, s23, v145 :: v_dual_mul_f32 v144, s5, v144
	v_mul_f32_e32 v145, s5, v2
	v_cvt_pk_f32_fp8_e32 v[1:2], v1
	v_and_b32_e32 v48, 0xffff, v180
	v_lshrrev_b32_e32 v49, 16, v180
	v_and_b32_e32 v52, 0xffff, v181
	v_lshrrev_b32_e32 v50, 16, v181
	v_dual_mul_f32 v178, s23, v2 :: v_dual_mul_f32 v179, s5, v1
	v_cvt_pk_f32_fp8_e32 v[1:2], v127
	v_and_b32_e32 v26, 0xffff, v29
	v_dual_mul_f32 v3, s23, v3 :: v_dual_and_b32 v10, 0xffff, v13
	s_delay_alu instid0(VALU_DEP_4) | instskip(NEXT) | instid1(VALU_DEP_4)
	v_mul_f32_e32 v141, v62, v178
	v_dual_mul_f32 v127, s23, v2 :: v_dual_mul_f32 v180, s5, v1
	v_cvt_pk_f32_fp8_e32 v[1:2], v122
	s_delay_alu instid0(VALU_DEP_1) | instskip(NEXT) | instid1(VALU_DEP_2)
	v_dual_fmac_f32 v141, v58, v55 :: v_dual_mul_f32 v122, s23, v2
	v_mul_f32_e32 v181, s5, v1
	v_cvt_pk_f32_fp8_e32 v[1:2], v121
	v_and_b32_e32 v13, 0xffff, v14
	v_lshrrev_b32_e32 v14, 16, v14
	s_delay_alu instid0(VALU_DEP_3) | instskip(SKIP_1) | instid1(VALU_DEP_1)
	v_dual_mul_f32 v121, s23, v2 :: v_dual_mul_f32 v128, s5, v1
	v_cvt_pk_f32_fp8_e32 v[1:2], v126
	v_dual_mul_f32 v126, s23, v2 :: v_dual_mul_f32 v191, s5, v1
	v_cvt_pk_f32_fp8_e32 v[1:2], v125
	s_delay_alu instid0(VALU_DEP_1) | instskip(NEXT) | instid1(VALU_DEP_2)
	v_mul_f32_e32 v125, s23, v2
	v_mul_f32_e32 v129, s5, v1
	v_cvt_pk_f32_fp8_e32 v[1:2], v7
	s_delay_alu instid0(VALU_DEP_1) | instskip(SKIP_1) | instid1(VALU_DEP_1)
	v_dual_mul_f32 v7, s23, v2 :: v_dual_mul_f32 v142, s5, v1
	v_cvt_pk_f32_fp8_e32 v[1:2], v8
	v_dual_mul_f32 v127, v64, v127 :: v_dual_mul_f32 v8, s23, v2
	s_delay_alu instid0(VALU_DEP_2) | instskip(SKIP_3) | instid1(VALU_DEP_3)
	v_mul_f32_e32 v143, s5, v1
	v_cvt_pk_f32_fp8_e32 v[1:2], v10
	v_and_b32_e32 v29, 0xffff, v30
	v_lshrrev_b32_e32 v30, 16, v30
	v_mul_f32_e32 v10, s23, v2
	s_delay_alu instid0(VALU_DEP_4) | instskip(SKIP_2) | instid1(VALU_DEP_2)
	v_mul_f32_e32 v190, s5, v1
	v_cvt_pk_f32_fp8_e32 v[1:2], v11
	v_fmac_f32_e32 v127, v60, v3
	v_dual_mul_f32 v11, s23, v2 :: v_dual_mul_f32 v0, s5, v1
	v_cvt_pk_f32_fp8_e32 v[1:2], v13
	s_delay_alu instid0(VALU_DEP_1) | instskip(SKIP_1) | instid1(VALU_DEP_1)
	v_dual_mul_f32 v13, s23, v2 :: v_dual_mul_f32 v150, s5, v1
	v_cvt_pk_f32_fp8_e32 v[1:2], v14
	v_dual_mul_f32 v14, s23, v2 :: v_dual_mul_f32 v151, s5, v1
	v_cvt_pk_f32_fp8_e32 v[1:2], v16
	s_delay_alu instid0(VALU_DEP_1) | instskip(NEXT) | instid1(VALU_DEP_2)
	v_mul_f32_e32 v16, s23, v2
	v_mul_f32_e32 v152, s5, v1
	v_cvt_pk_f32_fp8_e32 v[1:2], v17
	s_delay_alu instid0(VALU_DEP_1) | instskip(NEXT) | instid1(VALU_DEP_2)
	v_mul_f32_e32 v17, s23, v2
	v_mul_f32_e32 v153, s5, v1
	v_cvt_pk_f32_fp8_e32 v[1:2], v19
	s_delay_alu instid0(VALU_DEP_1) | instskip(SKIP_1) | instid1(VALU_DEP_1)
	v_dual_mul_f32 v19, s23, v2 :: v_dual_mul_f32 v154, s5, v1
	v_cvt_pk_f32_fp8_e32 v[1:2], v18
	v_dual_mul_f32 v18, s23, v2 :: v_dual_mul_f32 v155, s5, v1
	v_cvt_pk_f32_fp8_e32 v[1:2], v15
	s_delay_alu instid0(VALU_DEP_1) | instskip(SKIP_1) | instid1(VALU_DEP_1)
	v_dual_mul_f32 v15, s23, v2 :: v_dual_mul_f32 v156, s5, v1
	v_cvt_pk_f32_fp8_e32 v[1:2], v12
	v_dual_mul_f32 v12, s23, v2 :: v_dual_mul_f32 v157, s5, v1
	;; [unrolled: 5-line block ×5, first 2 shown]
	v_cvt_pk_f32_fp8_e32 v[1:2], v26
	s_delay_alu instid0(VALU_DEP_1) | instskip(NEXT) | instid1(VALU_DEP_2)
	v_mul_f32_e32 v26, s23, v2
	v_mul_f32_e32 v164, s5, v1
	v_cvt_pk_f32_fp8_e32 v[1:2], v27
	s_delay_alu instid0(VALU_DEP_1) | instskip(NEXT) | instid1(VALU_DEP_2)
	v_mul_f32_e32 v27, s23, v2
	v_mul_f32_e32 v165, s5, v1
	v_cvt_pk_f32_fp8_e32 v[1:2], v29
	s_delay_alu instid0(VALU_DEP_1) | instskip(SKIP_1) | instid1(VALU_DEP_1)
	v_dual_mul_f32 v29, s23, v2 :: v_dual_mul_f32 v166, s5, v1
	v_cvt_pk_f32_fp8_e32 v[1:2], v30
	v_dual_mul_f32 v30, s23, v2 :: v_dual_mul_f32 v167, s5, v1
	v_cvt_pk_f32_fp8_e32 v[1:2], v32
	s_delay_alu instid0(VALU_DEP_1) | instskip(NEXT) | instid1(VALU_DEP_2)
	v_mul_f32_e32 v32, s23, v2
	v_mul_f32_e32 v168, s5, v1
	v_cvt_pk_f32_fp8_e32 v[1:2], v33
	s_delay_alu instid0(VALU_DEP_1) | instskip(NEXT) | instid1(VALU_DEP_2)
	v_mul_f32_e32 v33, s23, v2
	v_mul_f32_e32 v169, s5, v1
	v_cvt_pk_f32_fp8_e32 v[1:2], v35
	s_delay_alu instid0(VALU_DEP_1) | instskip(SKIP_1) | instid1(VALU_DEP_1)
	v_dual_mul_f32 v35, s23, v2 :: v_dual_mul_f32 v170, s5, v1
	v_cvt_pk_f32_fp8_e32 v[1:2], v34
	v_dual_mul_f32 v34, s23, v2 :: v_dual_mul_f32 v171, s5, v1
	v_cvt_pk_f32_fp8_e32 v[1:2], v31
	s_delay_alu instid0(VALU_DEP_1) | instskip(SKIP_1) | instid1(VALU_DEP_1)
	v_dual_mul_f32 v31, s23, v2 :: v_dual_mul_f32 v172, s5, v1
	v_cvt_pk_f32_fp8_e32 v[1:2], v28
	v_dual_mul_f32 v28, s23, v2 :: v_dual_mul_f32 v173, s5, v1
	;; [unrolled: 5-line block ×4, first 2 shown]
	v_cvt_pk_f32_fp8_e32 v[1:2], v36
	s_delay_alu instid0(VALU_DEP_1) | instskip(NEXT) | instid1(VALU_DEP_2)
	v_mul_f32_e32 v36, s23, v2
	v_mul_f32_e32 v182, s5, v1
	v_cvt_pk_f32_fp8_e32 v[1:2], v37
	s_delay_alu instid0(VALU_DEP_1) | instskip(NEXT) | instid1(VALU_DEP_2)
	v_mul_f32_e32 v37, s23, v2
	v_mul_f32_e32 v183, s5, v1
	;; [unrolled: 4-line block ×15, first 2 shown]
	v_cvt_pk_f32_fp8_e32 v[1:2], v50
	s_delay_alu instid0(VALU_DEP_1) | instskip(SKIP_1) | instid1(VALU_DEP_1)
	v_dual_mul_f32 v50, s23, v2 :: v_dual_mul_f32 v137, s5, v1
	v_cvt_pk_f32_fp8_e32 v[1:2], v51
	v_dual_mul_f32 v51, s23, v2 :: v_dual_mul_f32 v138, s5, v1
	v_cvt_pk_f32_fp8_e32 v[1:2], v53
	s_delay_alu instid0(VALU_DEP_1) | instskip(NEXT) | instid1(VALU_DEP_2)
	v_mul_f32_e32 v53, s23, v2
	v_mul_f32_e32 v139, s5, v1
	v_cvt_pk_f32_fp8_e32 v[1:2], v56
	s_delay_alu instid0(VALU_DEP_1) | instskip(NEXT) | instid1(VALU_DEP_2)
	v_mul_f32_e32 v56, s23, v2
	v_mul_f32_e32 v140, s5, v1
	v_cvt_pk_f32_fp8_e32 v[1:2], v54
	s_delay_alu instid0(VALU_DEP_1) | instskip(NEXT) | instid1(VALU_DEP_1)
	v_dual_mul_f32 v54, v61, v179 :: v_dual_mul_f32 v1, s5, v1
	v_fmac_f32_e32 v54, v57, v144
	s_delay_alu instid0(VALU_DEP_3) | instskip(NEXT) | instid1(VALU_DEP_1)
	v_dual_mul_f32 v55, v63, v180 :: v_dual_mul_f32 v2, s23, v2
	v_fmac_f32_e32 v55, v59, v145
	scratch_load_b128 v[57:60], off, off offset:32 ; 16-byte Folded Reload
	s_wait_loadcnt 0x0
	v_dual_fmac_f32 v54, v57, v181 :: v_dual_fmac_f32 v141, v58, v122
	v_fmac_f32_e32 v55, v59, v128
	v_fmac_f32_e32 v127, v60, v121
	scratch_load_b128 v[57:60], off, off offset:48 ; 16-byte Folded Reload
	s_wait_loadcnt 0x0
	v_dual_fmac_f32 v54, v57, v191 :: v_dual_fmac_f32 v141, v58, v126
	v_fmac_f32_e32 v55, v59, v129
	;; [unrolled: 5-line block ×3, first 2 shown]
	v_fmac_f32_e32 v127, v60, v8
	scratch_load_b128 v[57:60], off, off offset:80 ; 16-byte Folded Reload
	s_wait_loadcnt 0x0
	v_fmac_f32_e32 v54, v57, v190
	v_fmac_f32_e32 v141, v58, v10
	;; [unrolled: 1-line block ×4, first 2 shown]
	scratch_load_b128 v[57:60], off, off offset:96 ; 16-byte Folded Reload
	s_wait_loadcnt 0x0
	v_dual_fmac_f32 v54, v57, v150 :: v_dual_fmac_f32 v141, v58, v13
	v_fmac_f32_e32 v55, v59, v151
	v_fmac_f32_e32 v127, v60, v14
	scratch_load_b128 v[57:60], off, off offset:112 ; 16-byte Folded Reload
	s_wait_loadcnt 0x0
	v_fmac_f32_e32 v54, v57, v152
	v_fmac_f32_e32 v141, v58, v16
	;; [unrolled: 1-line block ×4, first 2 shown]
	scratch_load_b128 v[57:60], off, off offset:128 ; 16-byte Folded Reload
	s_wait_loadcnt 0x0
	v_fmac_f32_e32 v141, v58, v19
	v_fmac_f32_e32 v127, v60, v18
	scratch_load_b128 v[16:19], off, off offset:144 ; 16-byte Folded Reload
	v_dual_fmac_f32 v54, v57, v154 :: v_dual_fmac_f32 v55, v59, v155
	s_wait_loadcnt 0x0
	v_fmac_f32_e32 v127, v19, v12
	scratch_load_b128 v[10:13], off, off offset:160 ; 16-byte Folded Reload
	v_dual_fmac_f32 v141, v17, v15 :: v_dual_fmac_f32 v54, v16, v156
	v_fmac_f32_e32 v55, v18, v157
	s_wait_loadcnt 0x0
	s_delay_alu instid0(VALU_DEP_2) | instskip(SKIP_4) | instid1(VALU_DEP_1)
	v_fmac_f32_e32 v141, v11, v9
	v_fmac_f32_e32 v127, v13, v6
	scratch_load_b128 v[6:9], off, off offset:176 ; 16-byte Folded Reload
	v_dual_fmac_f32 v54, v10, v158 :: v_dual_fmac_f32 v55, v12, v159
	s_wait_loadcnt 0x0
	v_dual_fmac_f32 v54, v6, v160 :: v_dual_fmac_f32 v141, v7, v5
	v_fmac_f32_e32 v127, v9, v4
	scratch_load_b128 v[3:6], off, off offset:192 ; 16-byte Folded Reload
	s_wait_loadcnt 0x0
	v_dual_fmac_f32 v55, v8, v161 :: v_dual_fmac_f32 v54, v3, v162
	v_fmac_f32_e32 v141, v4, v23
	s_delay_alu instid0(VALU_DEP_2)
	v_fmac_f32_e32 v55, v5, v163
	v_fmac_f32_e32 v127, v6, v24
	scratch_load_b128 v[3:6], off, off offset:208 ; 16-byte Folded Reload
	s_wait_loadcnt 0x0
	v_dual_fmac_f32 v54, v3, v164 :: v_dual_fmac_f32 v141, v4, v26
	v_fmac_f32_e32 v55, v5, v165
	v_fmac_f32_e32 v127, v6, v27
	scratch_load_b128 v[3:6], off, off offset:224 ; 16-byte Folded Reload
	s_wait_loadcnt 0x0
	v_dual_fmac_f32 v54, v3, v166 :: v_dual_fmac_f32 v141, v4, v29
	v_fmac_f32_e32 v55, v5, v167
	v_fmac_f32_e32 v127, v6, v30
	scratch_load_b128 v[3:6], off, off offset:240 ; 16-byte Folded Reload
	s_wait_loadcnt 0x0
	v_fmac_f32_e32 v54, v3, v168
	v_fmac_f32_e32 v141, v4, v32
	;; [unrolled: 1-line block ×3, first 2 shown]
	s_wait_dscnt 0xd
	s_delay_alu instid0(VALU_DEP_3) | instskip(NEXT) | instid1(VALU_DEP_3)
	v_dual_fmac_f32 v127, v6, v33 :: v_dual_fmac_f32 v54, v65, v170
	v_fmac_f32_e32 v141, v66, v35
	s_delay_alu instid0(VALU_DEP_3) | instskip(SKIP_1) | instid1(VALU_DEP_3)
	v_fmac_f32_e32 v55, v67, v171
	s_wait_dscnt 0xc
	v_dual_fmac_f32 v127, v68, v34 :: v_dual_fmac_f32 v54, v69, v172
	s_delay_alu instid0(VALU_DEP_3) | instskip(NEXT) | instid1(VALU_DEP_3)
	v_fmac_f32_e32 v141, v70, v31
	v_fmac_f32_e32 v55, v71, v173
	s_wait_dscnt 0xb
	s_delay_alu instid0(VALU_DEP_3) | instskip(NEXT) | instid1(VALU_DEP_3)
	v_dual_fmac_f32 v127, v72, v28 :: v_dual_fmac_f32 v54, v73, v174
	v_fmac_f32_e32 v141, v74, v25
	s_delay_alu instid0(VALU_DEP_3) | instskip(SKIP_1) | instid1(VALU_DEP_3)
	v_fmac_f32_e32 v55, v75, v175
	s_wait_dscnt 0xa
	v_dual_fmac_f32 v127, v76, v22 :: v_dual_fmac_f32 v54, v77, v176
	s_delay_alu instid0(VALU_DEP_3) | instskip(NEXT) | instid1(VALU_DEP_3)
	v_fmac_f32_e32 v141, v78, v21
	v_fmac_f32_e32 v55, v79, v177
	s_wait_dscnt 0x9
	s_delay_alu instid0(VALU_DEP_3) | instskip(NEXT) | instid1(VALU_DEP_3)
	v_dual_fmac_f32 v127, v80, v20 :: v_dual_fmac_f32 v54, v81, v182
	v_fmac_f32_e32 v141, v82, v36
	s_delay_alu instid0(VALU_DEP_3) | instskip(SKIP_1) | instid1(VALU_DEP_3)
	v_fmac_f32_e32 v55, v83, v183
	s_wait_dscnt 0x8
	v_dual_fmac_f32 v127, v84, v37 :: v_dual_fmac_f32 v54, v85, v184
	s_delay_alu instid0(VALU_DEP_3) | instskip(NEXT) | instid1(VALU_DEP_3)
	v_fmac_f32_e32 v141, v86, v38
	v_fmac_f32_e32 v55, v87, v185
	s_wait_dscnt 0x7
	s_delay_alu instid0(VALU_DEP_3) | instskip(NEXT) | instid1(VALU_DEP_3)
	v_dual_fmac_f32 v127, v88, v39 :: v_dual_fmac_f32 v54, v89, v186
	v_fmac_f32_e32 v141, v90, v40
	s_delay_alu instid0(VALU_DEP_3) | instskip(SKIP_1) | instid1(VALU_DEP_3)
	v_fmac_f32_e32 v55, v91, v187
	s_wait_dscnt 0x6
	v_dual_fmac_f32 v127, v92, v41 :: v_dual_fmac_f32 v54, v93, v188
	s_delay_alu instid0(VALU_DEP_3) | instskip(NEXT) | instid1(VALU_DEP_3)
	v_fmac_f32_e32 v141, v94, v42
	v_fmac_f32_e32 v55, v95, v189
	s_wait_dscnt 0x5
	s_delay_alu instid0(VALU_DEP_3) | instskip(NEXT) | instid1(VALU_DEP_3)
	v_dual_fmac_f32 v127, v96, v43 :: v_dual_fmac_f32 v54, v97, v146
	v_fmac_f32_e32 v141, v98, v44
	s_delay_alu instid0(VALU_DEP_3) | instskip(SKIP_1) | instid1(VALU_DEP_3)
	v_fmac_f32_e32 v55, v99, v147
	s_wait_dscnt 0x4
	v_dual_fmac_f32 v127, v100, v45 :: v_dual_fmac_f32 v54, v101, v148
	s_delay_alu instid0(VALU_DEP_3) | instskip(NEXT) | instid1(VALU_DEP_3)
	v_fmac_f32_e32 v141, v102, v46
	v_fmac_f32_e32 v55, v103, v149
	s_wait_dscnt 0x3
	s_delay_alu instid0(VALU_DEP_3) | instskip(NEXT) | instid1(VALU_DEP_3)
	v_dual_fmac_f32 v127, v104, v47 :: v_dual_fmac_f32 v54, v105, v134
	v_fmac_f32_e32 v141, v106, v48
	s_delay_alu instid0(VALU_DEP_3) | instskip(SKIP_1) | instid1(VALU_DEP_3)
	v_fmac_f32_e32 v55, v107, v135
	s_wait_dscnt 0x2
	v_dual_fmac_f32 v127, v108, v49 :: v_dual_fmac_f32 v54, v109, v136
	s_delay_alu instid0(VALU_DEP_3) | instskip(NEXT) | instid1(VALU_DEP_3)
	v_fmac_f32_e32 v141, v110, v52
	v_fmac_f32_e32 v55, v111, v137
	s_delay_alu instid0(VALU_DEP_3) | instskip(SKIP_1) | instid1(VALU_DEP_3)
	v_fmac_f32_e32 v127, v112, v50
	s_wait_dscnt 0x1
	v_dual_fmac_f32 v54, v113, v138 :: v_dual_fmac_f32 v141, v114, v51
	s_delay_alu instid0(VALU_DEP_3) | instskip(SKIP_1) | instid1(VALU_DEP_2)
	v_fmac_f32_e32 v55, v115, v139
	s_wait_dscnt 0x0
	v_dual_fmac_f32 v127, v116, v53 :: v_dual_fmac_f32 v54, v117, v140
	s_delay_alu instid0(VALU_DEP_3) | instskip(NEXT) | instid1(VALU_DEP_3)
	v_fmac_f32_e32 v141, v118, v56
	v_fmac_f32_e32 v55, v119, v1
	s_wait_alu 0xfffe
	v_add_nc_u32_e32 v1, s24, v131
	v_fmac_f32_e32 v127, v120, v2
	v_dual_add_f32 v0, v54, v141 :: v_dual_add_nc_u32 v131, 0x80, v131
	s_delay_alu instid0(VALU_DEP_3) | instskip(NEXT) | instid1(VALU_DEP_1)
	v_cvt_f32_i32_e32 v1, v1
	v_dual_add_f32 v0, v55, v0 :: v_dual_mul_f32 v1, s8, v1
	s_delay_alu instid0(VALU_DEP_1) | instskip(NEXT) | instid1(VALU_DEP_1)
	v_dual_add_f32 v0, v127, v0 :: v_dual_cndmask_b32 v1, 0, v1
	v_dual_fmac_f32 v1, s9, v0 :: v_dual_max_num_f32 v0, v130, v130
	s_delay_alu instid0(VALU_DEP_1) | instskip(SKIP_1) | instid1(VALU_DEP_2)
	v_max_num_f32_e32 v0, v0, v1
	v_cndmask_b32_e64 v1, 0, v1, s3
	v_cndmask_b32_e64 v130, v130, v0, s3
	v_add_co_u32 v123, s3, v123, 16
	ds_store_b32 v132, v1
	s_wait_alu 0xf1ff
	v_add_co_ci_u32_e64 v124, null, 0, v124, s3
	v_add_nc_u32_e32 v132, 0x200, v132
	s_and_not1_b32 exec_lo, exec_lo, s14
	s_cbranch_execnz .LBB239_7
; %bb.8:
	s_or_b32 exec_lo, exec_lo, s14
	s_clause 0x5
	scratch_load_b32 v148, off, off offset:264
	scratch_load_b32 v149, off, off offset:268
	;; [unrolled: 1-line block ×6, first 2 shown]
.LBB239_9:
	s_or_b32 exec_lo, exec_lo, s10
	v_mbcnt_lo_u32_b32 v1, -1, 0
	s_load_b128 s[8:11], s[0:1], 0x0
	s_wait_kmcnt 0x0
	s_clause 0x1
	s_load_b64 s[4:5], s[0:1], 0x10
	s_load_b64 s[24:25], s[0:1], 0x28
	v_xor_b32_e32 v2, 16, v1
	v_xor_b32_e32 v4, 8, v1
	s_delay_alu instid0(VALU_DEP_2) | instskip(SKIP_2) | instid1(VALU_DEP_3)
	v_cmp_gt_i32_e32 vcc_lo, 32, v2
	s_wait_alu 0xfffd
	v_cndmask_b32_e32 v2, v1, v2, vcc_lo
	v_cmp_gt_i32_e32 vcc_lo, 32, v4
	v_max_num_f32_e32 v5, v130, v130
	s_delay_alu instid0(VALU_DEP_3)
	v_lshlrev_b32_e32 v2, 2, v2
	s_wait_alu 0xfffd
	v_cndmask_b32_e32 v4, v1, v4, vcc_lo
	ds_bpermute_b32 v3, v2, v130
	s_wait_dscnt 0x0
	v_dual_max_num_f32 v6, v3, v3 :: v_dual_lshlrev_b32 v3, 2, v4
	s_delay_alu instid0(VALU_DEP_1)
	v_max_num_f32_e32 v4, v5, v6
	v_xor_b32_e32 v6, 4, v1
	ds_bpermute_b32 v5, v3, v4
	v_cmp_gt_i32_e32 vcc_lo, 32, v6
	s_wait_alu 0xfffd
	v_cndmask_b32_e32 v6, v1, v6, vcc_lo
	s_wait_dscnt 0x0
	v_max_num_f32_e32 v5, v5, v5
	s_delay_alu instid0(VALU_DEP_2) | instskip(SKIP_1) | instid1(VALU_DEP_3)
	v_lshlrev_b32_e32 v13, 2, v6
	v_xor_b32_e32 v6, 2, v1
	v_max_num_f32_e32 v4, v4, v5
	s_delay_alu instid0(VALU_DEP_2) | instskip(SKIP_3) | instid1(VALU_DEP_1)
	v_cmp_gt_i32_e32 vcc_lo, 32, v6
	ds_bpermute_b32 v5, v13, v4
	s_wait_alu 0xfffd
	v_cndmask_b32_e32 v6, v1, v6, vcc_lo
	v_lshlrev_b32_e32 v12, 2, v6
	v_xor_b32_e32 v6, 1, v1
	s_delay_alu instid0(VALU_DEP_1)
	v_cmp_gt_i32_e32 vcc_lo, 32, v6
	s_wait_alu 0xfffd
	v_cndmask_b32_e32 v6, v1, v6, vcc_lo
	s_wait_loadcnt 0x3
	v_cmp_eq_u32_e32 vcc_lo, 0, v173
	s_wait_dscnt 0x0
	v_max_num_f32_e32 v5, v5, v5
	s_delay_alu instid0(VALU_DEP_1) | instskip(SKIP_3) | instid1(VALU_DEP_1)
	v_dual_max_num_f32 v4, v4, v5 :: v_dual_lshlrev_b32 v11, 2, v6
	ds_bpermute_b32 v5, v12, v4
	s_wait_dscnt 0x0
	v_max_num_f32_e32 v5, v5, v5
	v_max_num_f32_e32 v1, v4, v5
	v_lshlrev_b32_e32 v5, 2, v149
	ds_bpermute_b32 v4, v11, v1
	s_and_saveexec_b32 s0, vcc_lo
	s_cbranch_execz .LBB239_11
; %bb.10:
	s_wait_dscnt 0x0
	v_dual_max_num_f32 v0, v4, v4 :: v_dual_max_num_f32 v1, v1, v1
	s_delay_alu instid0(VALU_DEP_1)
	v_max_num_f32_e32 v0, v1, v0
	ds_store_b32 v5, v0 offset:480
.LBB239_11:
	s_or_b32 exec_lo, exec_lo, s0
	v_cmp_gt_u32_e64 s0, 4, v173
	v_mov_b32_e32 v1, 0xff7fffff
	s_wait_storecnt 0x0
	s_wait_loadcnt_dscnt 0x0
	s_barrier_signal -1
	s_barrier_wait -1
	global_inv scope:SCOPE_SE
	s_and_saveexec_b32 s1, s0
; %bb.12:
	ds_load_b32 v1, v10 offset:480
; %bb.13:
	s_or_b32 exec_lo, exec_lo, s1
	s_wait_dscnt 0x0
	ds_bpermute_b32 v0, v12, v1
	v_max_num_f32_e32 v1, v1, v1
	s_sub_co_i32 s1, s17, s31
	v_lshl_add_u32 v4, v148, 2, 0x200
	s_lshl_b32 s1, s1, 5
	v_mov_b32_e32 v6, 0
	s_add_co_i32 s1, s1, s28
	s_delay_alu instid0(SALU_CYCLE_1) | instskip(NEXT) | instid1(SALU_CYCLE_1)
	s_min_i32 s1, s1, s27
	s_sub_co_i32 s14, s1, s28
	s_delay_alu instid0(SALU_CYCLE_1) | instskip(SKIP_2) | instid1(VALU_DEP_1)
	v_cmp_gt_i32_e64 s1, s14, v148
	s_wait_dscnt 0x0
	v_max_num_f32_e32 v0, v0, v0
	v_max_num_f32_e32 v0, v1, v0
	ds_bpermute_b32 v1, v11, v0
	s_wait_dscnt 0x0
	v_max_num_f32_e32 v1, v1, v1
	s_delay_alu instid0(VALU_DEP_1)
	v_max_num_f32_e32 v0, v0, v1
	ds_bpermute_b32 v1, v6, v0
	s_and_saveexec_b32 s23, s1
	s_cbranch_execz .LBB239_17
; %bb.14:
	v_lshl_add_u32 v7, v148, 2, 0x200
	v_mov_b32_e32 v6, 0
	v_mov_b32_e32 v8, v148
	s_mov_b32 s31, 0
.LBB239_15:                             ; =>This Inner Loop Header: Depth=1
	ds_load_b32 v0, v7
	v_add_nc_u32_e32 v8, 0x80, v8
	s_delay_alu instid0(VALU_DEP_1) | instskip(SKIP_4) | instid1(VALU_DEP_1)
	v_cmp_le_i32_e64 s3, s14, v8
	s_wait_alu 0xfffe
	s_or_b32 s31, s3, s31
	s_wait_dscnt 0x0
	v_sub_f32_e32 v0, v0, v1
	v_mul_f32_e32 v0, 0x3fb8aa3b, v0
	s_delay_alu instid0(VALU_DEP_1)
	v_exp_f32_e32 v0, v0
	ds_store_b32 v7, v0
	v_dual_add_f32 v6, v6, v0 :: v_dual_add_nc_u32 v7, 0x200, v7
	s_wait_alu 0xfffe
	s_and_not1_b32 exec_lo, exec_lo, s31
	s_cbranch_execnz .LBB239_15
; %bb.16:
	s_or_b32 exec_lo, exec_lo, s31
.LBB239_17:
	s_wait_alu 0xfffe
	s_or_b32 exec_lo, exec_lo, s23
	ds_bpermute_b32 v0, v2, v6
	s_wait_dscnt 0x0
	v_add_f32_e32 v0, v6, v0
	ds_bpermute_b32 v2, v3, v0
	s_wait_dscnt 0x0
	v_add_f32_e32 v0, v0, v2
	;; [unrolled: 3-line block ×5, first 2 shown]
	s_and_saveexec_b32 s3, vcc_lo
; %bb.18:
	ds_store_b32 v5, v2 offset:496
; %bb.19:
	s_wait_alu 0xfffe
	s_or_b32 exec_lo, exec_lo, s3
	s_wait_loadcnt_dscnt 0x0
	s_barrier_signal -1
	s_barrier_wait -1
	global_inv scope:SCOPE_SE
	s_and_saveexec_b32 s3, s0
; %bb.20:
	ds_load_b32 v2, v10 offset:496
; %bb.21:
	s_wait_alu 0xfffe
	s_or_b32 exec_lo, exec_lo, s3
	s_wait_dscnt 0x0
	ds_bpermute_b32 v0, v12, v2
	s_wait_dscnt 0x0
	v_add_f32_e32 v0, v2, v0
	ds_bpermute_b32 v2, v11, v0
	s_wait_dscnt 0x0
	v_add_f32_e32 v0, v0, v2
	v_mov_b32_e32 v2, 0
	ds_bpermute_b32 v2, v2, v0
	s_and_saveexec_b32 s0, s1
	s_cbranch_execz .LBB239_24
; %bb.22:
	s_wait_dscnt 0x0
	v_add_f32_e32 v0, 0x358637bd, v2
	s_mov_b32 s1, 0
	s_delay_alu instid0(VALU_DEP_1) | instskip(NEXT) | instid1(VALU_DEP_1)
	v_div_scale_f32 v3, null, v0, v0, 1.0
	v_rcp_f32_e32 v5, v3
	s_delay_alu instid0(TRANS32_DEP_1) | instskip(NEXT) | instid1(VALU_DEP_1)
	v_fma_f32 v6, -v3, v5, 1.0
	v_fmac_f32_e32 v5, v6, v5
	v_div_scale_f32 v7, vcc_lo, 1.0, v0, 1.0
	s_delay_alu instid0(VALU_DEP_1) | instskip(NEXT) | instid1(VALU_DEP_1)
	v_mul_f32_e32 v6, v7, v5
	v_fma_f32 v8, -v3, v6, v7
	s_delay_alu instid0(VALU_DEP_1) | instskip(NEXT) | instid1(VALU_DEP_1)
	v_fmac_f32_e32 v6, v8, v5
	v_fma_f32 v3, -v3, v6, v7
	s_wait_alu 0xfffd
	s_delay_alu instid0(VALU_DEP_1) | instskip(SKIP_1) | instid1(VALU_DEP_2)
	v_div_fmas_f32 v3, v3, v5, v6
	v_mov_b32_e32 v5, v148
	v_div_fixup_f32 v3, v3, v0, 1.0
.LBB239_23:                             ; =>This Inner Loop Header: Depth=1
	ds_load_b32 v0, v4
	s_wait_dscnt 0x0
	v_dual_mul_f32 v0, v3, v0 :: v_dual_add_nc_u32 v5, 0x80, v5
	s_delay_alu instid0(VALU_DEP_1) | instskip(SKIP_3) | instid1(SALU_CYCLE_1)
	v_cmp_le_i32_e32 vcc_lo, s14, v5
	ds_store_b32 v4, v0
	v_add_nc_u32_e32 v4, 0x200, v4
	s_or_b32 s1, vcc_lo, s1
	s_and_not1_b32 exec_lo, exec_lo, s1
	s_cbranch_execnz .LBB239_23
.LBB239_24:
	s_or_b32 exec_lo, exec_lo, s0
	s_mul_i32 s0, s12, s15
	s_wait_loadcnt_dscnt 0x0
	s_mul_i32 s14, s0, s30
	s_mov_b32 s0, exec_lo
	s_barrier_signal -1
	s_barrier_wait -1
	global_inv scope:SCOPE_SE
	v_cmpx_eq_u32_e32 0, v148
	s_cbranch_execz .LBB239_26
; %bb.25:
	s_wait_alu 0xfffe
	s_ashr_i32 s15, s14, 31
	s_mul_i32 s30, s12, ttmp9
	s_lshl_b32 s1, s26, 2
	s_wait_alu 0xfffe
	s_lshl_b64 s[34:35], s[14:15], 2
	s_ashr_i32 s31, s30, 31
	v_mov_b32_e32 v0, s1
	s_add_nc_u64 s[10:11], s[10:11], s[34:35]
	s_wait_alu 0xfffe
	s_lshl_b64 s[30:31], s[30:31], 2
	s_add_nc_u64 s[8:9], s[8:9], s[34:35]
	s_wait_alu 0xfffe
	s_add_nc_u64 s[10:11], s[10:11], s[30:31]
	s_add_nc_u64 s[8:9], s[8:9], s[30:31]
	s_clause 0x1
	global_store_b32 v0, v1, s[10:11]
	global_store_b32 v0, v2, s[8:9]
.LBB239_26:
	s_or_b32 exec_lo, exec_lo, s0
	v_dual_mov_b32 v42, 0 :: v_dual_mov_b32 v43, 0
	v_dual_mov_b32 v41, 0 :: v_dual_and_b32 v14, 7, v148
	v_dual_mov_b32 v44, 0 :: v_dual_mov_b32 v39, 0
	v_dual_mov_b32 v40, 0 :: v_dual_mov_b32 v37, 0
	;; [unrolled: 1-line block ×13, first 2 shown]
	v_mov_b32_e32 v16, 0
	s_and_saveexec_b32 s1, s2
	s_cbranch_execz .LBB239_90
; %bb.27:
	s_load_b32 s3, s[6:7], 0x0
	v_dual_mov_b32 v15, 0 :: v_dual_lshlrev_b32 v0, 2, v148
	v_dual_mov_b32 v16, 0 :: v_dual_lshlrev_b32 v1, 4, v14
	s_ashr_i32 s23, s22, 31
	s_delay_alu instid0(VALU_DEP_2)
	v_dual_mov_b32 v17, 0 :: v_dual_and_b32 v2, 28, v0
	v_dual_mov_b32 v19, 0 :: v_dual_and_b32 v0, 0x7c, v0
	s_wait_kmcnt 0x0
	s_wait_alu 0xfffe
	s_add_nc_u64 s[8:9], s[24:25], s[22:23]
	s_lshl_b64 s[6:7], s[20:21], 2
	v_lshl_add_u32 v3, v149, 5, s28
	v_lshl_or_b32 v1, v149, 7, v1
	s_wait_alu 0xfffe
	v_add_co_u32 v5, s0, s8, v0
	s_add_nc_u64 s[6:7], s[18:19], s[6:7]
	s_wait_alu 0xf1ff
	v_add_co_ci_u32_e64 v6, null, s9, 0, s0
	v_add_co_u32 v7, s0, s6, v9
	v_add3_u32 v45, v3, v2, 3
	v_dual_mov_b32 v21, 0 :: v_dual_add_nc_u32 v46, 0x200, v1
	s_wait_alu 0xf1ff
	v_add_co_ci_u32_e64 v8, null, s7, 0, s0
	v_dual_mov_b32 v18, 0 :: v_dual_mov_b32 v23, 0
	v_dual_mov_b32 v20, 0 :: v_dual_mov_b32 v25, 0
	;; [unrolled: 1-line block ×11, first 2 shown]
	v_mov_b32_e32 v40, 0
	v_mov_b32_e32 v44, 0
	;; [unrolled: 1-line block ×3, first 2 shown]
	s_mov_b32 s2, s13
	s_mov_b32 s6, s3
	s_add_co_i32 s8, s29, -1
	s_mov_b32 s7, 0
	s_branch .LBB239_29
.LBB239_28:                             ;   in Loop: Header=BB239_29 Depth=1
	s_wait_alu 0xfffe
	s_or_b32 exec_lo, exec_lo, s0
	s_wait_dscnt 0x0
	v_mul_f32_e32 v77, v1, v162
	v_mul_f32_e32 v0, v1, v170
	;; [unrolled: 1-line block ×4, first 2 shown]
	v_dual_mul_f32 v58, v1, v58 :: v_dual_add_nc_u32 v45, 0x80, v45
	v_fmac_f32_e32 v77, v2, v161
	v_dual_fmac_f32 v0, v2, v169 :: v_dual_mul_f32 v147, v1, v154
	v_fmac_f32_e32 v79, v2, v157
	v_fmac_f32_e32 v76, v2, v165
	v_mul_f32_e32 v54, v1, v54
	s_delay_alu instid0(VALU_DEP_4) | instskip(SKIP_1) | instid1(VALU_DEP_4)
	v_dual_fmac_f32 v0, v3, v168 :: v_dual_fmac_f32 v147, v2, v153
	v_fmac_f32_e32 v77, v3, v160
	v_fmac_f32_e32 v76, v3, v164
	s_delay_alu instid0(VALU_DEP_3) | instskip(NEXT) | instid1(VALU_DEP_3)
	v_dual_fmac_f32 v79, v3, v156 :: v_dual_fmac_f32 v0, v4, v167
	v_dual_mul_f32 v50, v1, v50 :: v_dual_fmac_f32 v77, v4, v159
	s_delay_alu instid0(VALU_DEP_3) | instskip(NEXT) | instid1(VALU_DEP_3)
	v_fmac_f32_e32 v76, v4, v163
	v_dual_fmac_f32 v79, v4, v155 :: v_dual_fmac_f32 v58, v2, v57
	v_fmac_f32_e32 v54, v2, v53
	s_delay_alu instid0(VALU_DEP_3) | instskip(SKIP_1) | instid1(VALU_DEP_4)
	v_dual_fmac_f32 v50, v2, v49 :: v_dual_add_f32 v17, v17, v76
	v_mul_f32_e32 v76, v1, v144
	v_dual_add_f32 v16, v16, v0 :: v_dual_add_f32 v19, v19, v79
	v_dual_mul_f32 v0, v1, v150 :: v_dual_fmac_f32 v147, v3, v152
	v_dual_add_f32 v18, v18, v77 :: v_dual_mul_f32 v77, v1, v140
	s_delay_alu instid0(VALU_DEP_4) | instskip(NEXT) | instid1(VALU_DEP_3)
	v_dual_mul_f32 v79, v1, v136 :: v_dual_fmac_f32 v76, v2, v143
	v_fmac_f32_e32 v0, v2, v127
	s_delay_alu instid0(VALU_DEP_4)
	v_fmac_f32_e32 v147, v4, v151
	v_mul_f32_e32 v127, v1, v132
	v_fmac_f32_e32 v58, v3, v56
	v_fmac_f32_e32 v76, v3, v142
	v_dual_fmac_f32 v0, v3, v146 :: v_dual_fmac_f32 v77, v2, v139
	v_fmac_f32_e32 v79, v2, v135
	s_delay_alu instid0(VALU_DEP_3) | instskip(NEXT) | instid1(VALU_DEP_3)
	v_dual_fmac_f32 v127, v2, v131 :: v_dual_fmac_f32 v76, v4, v141
	v_dual_fmac_f32 v0, v4, v145 :: v_dual_fmac_f32 v77, v3, v138
	s_delay_alu instid0(VALU_DEP_3) | instskip(NEXT) | instid1(VALU_DEP_3)
	v_dual_fmac_f32 v79, v3, v134 :: v_dual_fmac_f32 v58, v4, v55
	v_add_f32_e32 v22, v22, v76
	s_delay_alu instid0(VALU_DEP_3) | instskip(SKIP_4) | instid1(VALU_DEP_4)
	v_add_f32_e32 v21, v21, v0
	v_mul_f32_e32 v0, v1, v128
	v_mul_f32_e32 v76, v1, v121
	v_fmac_f32_e32 v77, v4, v137
	v_dual_fmac_f32 v79, v4, v133 :: v_dual_fmac_f32 v54, v3, v52
	v_fmac_f32_e32 v0, v2, v124
	s_delay_alu instid0(VALU_DEP_4) | instskip(NEXT) | instid1(VALU_DEP_3)
	v_dual_fmac_f32 v76, v2, v120 :: v_dual_fmac_f32 v127, v3, v130
	v_add_f32_e32 v24, v24, v79
	v_fmac_f32_e32 v50, v3, v48
	s_delay_alu instid0(VALU_DEP_4) | instskip(NEXT) | instid1(VALU_DEP_4)
	v_fmac_f32_e32 v0, v3, v123
	v_dual_fmac_f32 v76, v3, v119 :: v_dual_fmac_f32 v127, v4, v129
	v_dual_add_f32 v23, v23, v77 :: v_dual_add_nc_u32 v174, 4, v174
	s_delay_alu instid0(VALU_DEP_3) | instskip(NEXT) | instid1(VALU_DEP_3)
	v_dual_fmac_f32 v0, v4, v122 :: v_dual_mul_f32 v77, v1, v117
	v_dual_add_f32 v25, v25, v127 :: v_dual_fmac_f32 v76, v4, v118
	v_mul_f32_e32 v66, v1, v66
	s_delay_alu instid0(VALU_DEP_3) | instskip(NEXT) | instid1(VALU_DEP_4)
	v_add_f32_e32 v26, v26, v0
	v_dual_fmac_f32 v77, v2, v116 :: v_dual_mul_f32 v0, v1, v105
	s_delay_alu instid0(VALU_DEP_4) | instskip(SKIP_1) | instid1(VALU_DEP_3)
	v_dual_add_f32 v27, v27, v76 :: v_dual_mul_f32 v76, v1, v101
	v_mul_f32_e32 v109, v1, v109
	v_dual_mul_f32 v79, v1, v113 :: v_dual_fmac_f32 v0, v2, v104
	v_fmac_f32_e32 v66, v2, v65
	s_delay_alu instid0(VALU_DEP_4) | instskip(NEXT) | instid1(VALU_DEP_4)
	v_fmac_f32_e32 v76, v2, v100
	v_fmac_f32_e32 v109, v2, v108
	s_delay_alu instid0(VALU_DEP_4) | instskip(NEXT) | instid1(VALU_DEP_4)
	v_dual_mul_f32 v89, v1, v89 :: v_dual_fmac_f32 v0, v3, v103
	v_fmac_f32_e32 v66, v3, v64
	s_delay_alu instid0(VALU_DEP_4) | instskip(NEXT) | instid1(VALU_DEP_4)
	v_fmac_f32_e32 v76, v3, v99
	v_fmac_f32_e32 v109, v3, v107
	s_delay_alu instid0(VALU_DEP_4) | instskip(SKIP_1) | instid1(VALU_DEP_4)
	v_dual_fmac_f32 v89, v2, v88 :: v_dual_fmac_f32 v0, v4, v102
	v_fmac_f32_e32 v54, v4, v51
	v_fmac_f32_e32 v76, v4, v98
	s_delay_alu instid0(VALU_DEP_4) | instskip(SKIP_2) | instid1(VALU_DEP_4)
	v_fmac_f32_e32 v109, v4, v106
	v_fmac_f32_e32 v77, v3, v115
	v_dual_add_f32 v31, v31, v0 :: v_dual_mul_f32 v0, v1, v85
	v_add_f32_e32 v32, v32, v76
	s_delay_alu instid0(VALU_DEP_3) | instskip(SKIP_3) | instid1(VALU_DEP_3)
	v_dual_add_f32 v30, v30, v109 :: v_dual_fmac_f32 v77, v4, v114
	v_dual_fmac_f32 v79, v2, v112 :: v_dual_mul_f32 v76, v1, v81
	v_mul_f32_e32 v74, v1, v74
	v_fmac_f32_e32 v0, v2, v84
	v_dual_add_f32 v28, v28, v77 :: v_dual_fmac_f32 v79, v3, v111
	v_mul_f32_e32 v77, v1, v97
	v_mul_f32_e32 v70, v1, v70
	v_dual_fmac_f32 v76, v2, v80 :: v_dual_fmac_f32 v89, v3, v87
	s_delay_alu instid0(VALU_DEP_4) | instskip(NEXT) | instid1(VALU_DEP_4)
	v_fmac_f32_e32 v79, v4, v110
	v_fmac_f32_e32 v77, v2, v96
	;; [unrolled: 1-line block ×4, first 2 shown]
	s_delay_alu instid0(VALU_DEP_4) | instskip(SKIP_2) | instid1(VALU_DEP_3)
	v_dual_fmac_f32 v70, v2, v69 :: v_dual_add_f32 v29, v29, v79
	v_mul_f32_e32 v79, v1, v93
	v_fmac_f32_e32 v77, v3, v95
	v_dual_fmac_f32 v89, v4, v86 :: v_dual_fmac_f32 v70, v3, v68
	s_delay_alu instid0(VALU_DEP_3) | instskip(NEXT) | instid1(VALU_DEP_3)
	v_dual_fmac_f32 v0, v4, v82 :: v_dual_fmac_f32 v79, v2, v92
	v_fmac_f32_e32 v77, v4, v94
	v_fmac_f32_e32 v76, v3, v78
	s_delay_alu instid0(VALU_DEP_4) | instskip(NEXT) | instid1(VALU_DEP_4)
	v_fmac_f32_e32 v70, v4, v67
	v_dual_add_f32 v36, v36, v0 :: v_dual_fmac_f32 v79, v3, v91
	v_mul_f32_e32 v0, v1, v62
	v_mul_f32_e32 v1, v1, v126
	v_dual_add_f32 v33, v33, v77 :: v_dual_fmac_f32 v74, v3, v72
	s_delay_alu instid0(VALU_DEP_4) | instskip(SKIP_1) | instid1(VALU_DEP_4)
	v_fmac_f32_e32 v79, v4, v90
	v_add_f32_e32 v43, v43, v58
	v_dual_fmac_f32 v1, v2, v125 :: v_dual_fmac_f32 v66, v4, v63
	v_dual_add_f32 v35, v35, v89 :: v_dual_fmac_f32 v76, v4, v75
	s_delay_alu instid0(VALU_DEP_2) | instskip(SKIP_3) | instid1(VALU_DEP_4)
	v_dual_fmac_f32 v74, v4, v71 :: v_dual_fmac_f32 v1, v3, v10
	v_fmac_f32_e32 v50, v4, v47
	v_cmp_le_i32_e32 vcc_lo, s17, v174
	v_add_co_u32 v7, s0, v7, 16
	v_fmac_f32_e32 v1, v4, v9
	v_fmac_f32_e32 v0, v2, v61
	v_add_f32_e32 v20, v20, v147
	v_dual_add_f32 v34, v34, v79 :: v_dual_add_f32 v37, v37, v76
	v_add_f32_e32 v39, v39, v70
	s_delay_alu instid0(VALU_DEP_4) | instskip(SKIP_3) | instid1(VALU_DEP_4)
	v_fmac_f32_e32 v0, v3, v60
	v_dual_add_f32 v40, v40, v66 :: v_dual_add_f32 v15, v15, v1
	v_add_f32_e32 v44, v44, v54
	v_add_f32_e32 v42, v42, v50
	v_fmac_f32_e32 v0, v4, v59
	v_add_f32_e32 v38, v38, v74
	v_add_nc_u32_e32 v46, 0x200, v46
	s_wait_alu 0xf1ff
	v_add_co_ci_u32_e64 v8, null, 0, v8, s0
	v_add_f32_e32 v41, v41, v0
	s_or_b32 s7, vcc_lo, s7
	s_wait_alu 0xfffe
	s_and_not1_b32 exec_lo, exec_lo, s7
	s_cbranch_execz .LBB239_89
.LBB239_29:                             ; =>This Inner Loop Header: Depth=1
	global_load_b32 v0, v[7:8], off
	ds_load_b128 v[1:4], v46
	s_wait_alu 0xfffe
	v_cmp_eq_u32_e32 vcc_lo, s8, v174
	v_add_nc_u32_e32 v79, -1, v45
	s_wait_loadcnt 0x0
	v_mad_co_i64_i32 v[9:10], null, v0, s2, v[5:6]
	global_load_b32 v0, v[9:10], off
	s_wait_loadcnt 0x0
	v_and_b32_e32 v47, 0xffff, v0
	v_lshrrev_b32_e32 v0, 16, v0
	s_delay_alu instid0(VALU_DEP_2) | instskip(NEXT) | instid1(VALU_DEP_2)
	v_cvt_pk_f32_fp8_e32 v[47:48], v47
	v_cvt_pk_f32_fp8_e32 v[51:52], v0
	v_add_nc_u32_e32 v76, -3, v45
	s_delay_alu instid0(VALU_DEP_3) | instskip(NEXT) | instid1(VALU_DEP_3)
	v_dual_mul_f32 v50, s3, v47 :: v_dual_add_nc_u32 v77, -2, v45
	v_dual_mul_f32 v49, s6, v48 :: v_dual_mul_f32 v48, s3, v51
	s_delay_alu instid0(VALU_DEP_4)
	v_mul_f32_e32 v47, s6, v52
	s_and_saveexec_b32 s9, vcc_lo
	s_cbranch_execz .LBB239_31
; %bb.30:                               ;   in Loop: Header=BB239_29 Depth=1
	v_cmp_gt_i32_e64 s0, s27, v76
	s_wait_alu 0xf1ff
	s_delay_alu instid0(VALU_DEP_1) | instskip(SKIP_2) | instid1(VALU_DEP_1)
	v_cndmask_b32_e64 v50, 0, v50, s0
	v_cmp_gt_i32_e64 s0, s27, v77
	s_wait_alu 0xf1ff
	v_cndmask_b32_e64 v49, 0, v49, s0
	v_cmp_gt_i32_e64 s0, s27, v79
	s_wait_alu 0xf1ff
	s_delay_alu instid0(VALU_DEP_1) | instskip(SKIP_2) | instid1(VALU_DEP_1)
	v_cndmask_b32_e64 v48, 0, v48, s0
	v_cmp_gt_i32_e64 s0, s27, v45
	s_wait_alu 0xf1ff
	v_cndmask_b32_e64 v47, 0, v47, s0
.LBB239_31:                             ;   in Loop: Header=BB239_29 Depth=1
	s_wait_alu 0xfffe
	s_or_b32 exec_lo, exec_lo, s9
	global_load_b32 v0, v[9:10], off offset:128
	s_wait_loadcnt 0x0
	v_and_b32_e32 v51, 0xffff, v0
	v_lshrrev_b32_e32 v0, 16, v0
	s_delay_alu instid0(VALU_DEP_2) | instskip(NEXT) | instid1(VALU_DEP_2)
	v_cvt_pk_f32_fp8_e32 v[51:52], v51
	v_cvt_pk_f32_fp8_e32 v[55:56], v0
	s_delay_alu instid0(VALU_DEP_2) | instskip(NEXT) | instid1(VALU_DEP_2)
	v_dual_mul_f32 v54, s3, v51 :: v_dual_mul_f32 v53, s6, v52
	v_dual_mul_f32 v52, s3, v55 :: v_dual_mul_f32 v51, s6, v56
	s_and_saveexec_b32 s9, vcc_lo
	s_cbranch_execz .LBB239_33
; %bb.32:                               ;   in Loop: Header=BB239_29 Depth=1
	v_cmp_gt_i32_e64 s0, s27, v76
	s_wait_alu 0xf1ff
	s_delay_alu instid0(VALU_DEP_1) | instskip(SKIP_2) | instid1(VALU_DEP_1)
	v_cndmask_b32_e64 v54, 0, v54, s0
	v_cmp_gt_i32_e64 s0, s27, v77
	s_wait_alu 0xf1ff
	v_cndmask_b32_e64 v53, 0, v53, s0
	v_cmp_gt_i32_e64 s0, s27, v79
	s_wait_alu 0xf1ff
	s_delay_alu instid0(VALU_DEP_1) | instskip(SKIP_2) | instid1(VALU_DEP_1)
	v_cndmask_b32_e64 v52, 0, v52, s0
	v_cmp_gt_i32_e64 s0, s27, v45
	s_wait_alu 0xf1ff
	v_cndmask_b32_e64 v51, 0, v51, s0
.LBB239_33:                             ;   in Loop: Header=BB239_29 Depth=1
	s_wait_alu 0xfffe
	s_or_b32 exec_lo, exec_lo, s9
	global_load_b32 v0, v[9:10], off offset:256
	s_wait_loadcnt 0x0
	v_and_b32_e32 v55, 0xffff, v0
	v_lshrrev_b32_e32 v0, 16, v0
	s_delay_alu instid0(VALU_DEP_2) | instskip(NEXT) | instid1(VALU_DEP_2)
	v_cvt_pk_f32_fp8_e32 v[55:56], v55
	v_cvt_pk_f32_fp8_e32 v[59:60], v0
	s_delay_alu instid0(VALU_DEP_2) | instskip(NEXT) | instid1(VALU_DEP_2)
	v_dual_mul_f32 v58, s3, v55 :: v_dual_mul_f32 v57, s6, v56
	v_dual_mul_f32 v56, s3, v59 :: v_dual_mul_f32 v55, s6, v60
	s_and_saveexec_b32 s9, vcc_lo
	s_cbranch_execz .LBB239_35
; %bb.34:                               ;   in Loop: Header=BB239_29 Depth=1
	v_cmp_gt_i32_e64 s0, s27, v76
	s_wait_alu 0xf1ff
	s_delay_alu instid0(VALU_DEP_1) | instskip(SKIP_2) | instid1(VALU_DEP_1)
	v_cndmask_b32_e64 v58, 0, v58, s0
	v_cmp_gt_i32_e64 s0, s27, v77
	s_wait_alu 0xf1ff
	v_cndmask_b32_e64 v57, 0, v57, s0
	v_cmp_gt_i32_e64 s0, s27, v79
	s_wait_alu 0xf1ff
	s_delay_alu instid0(VALU_DEP_1) | instskip(SKIP_2) | instid1(VALU_DEP_1)
	v_cndmask_b32_e64 v56, 0, v56, s0
	v_cmp_gt_i32_e64 s0, s27, v45
	s_wait_alu 0xf1ff
	v_cndmask_b32_e64 v55, 0, v55, s0
.LBB239_35:                             ;   in Loop: Header=BB239_29 Depth=1
	s_wait_alu 0xfffe
	s_or_b32 exec_lo, exec_lo, s9
	global_load_b32 v0, v[9:10], off offset:384
	s_wait_loadcnt 0x0
	v_and_b32_e32 v59, 0xffff, v0
	v_lshrrev_b32_e32 v0, 16, v0
	s_delay_alu instid0(VALU_DEP_2) | instskip(NEXT) | instid1(VALU_DEP_2)
	v_cvt_pk_f32_fp8_e32 v[59:60], v59
	v_cvt_pk_f32_fp8_e32 v[63:64], v0
	s_delay_alu instid0(VALU_DEP_2) | instskip(NEXT) | instid1(VALU_DEP_2)
	v_dual_mul_f32 v62, s3, v59 :: v_dual_mul_f32 v61, s6, v60
	v_dual_mul_f32 v60, s3, v63 :: v_dual_mul_f32 v59, s6, v64
	s_and_saveexec_b32 s9, vcc_lo
	s_cbranch_execz .LBB239_37
; %bb.36:                               ;   in Loop: Header=BB239_29 Depth=1
	v_cmp_gt_i32_e64 s0, s27, v76
	s_wait_alu 0xf1ff
	s_delay_alu instid0(VALU_DEP_1) | instskip(SKIP_2) | instid1(VALU_DEP_1)
	v_cndmask_b32_e64 v62, 0, v62, s0
	v_cmp_gt_i32_e64 s0, s27, v77
	s_wait_alu 0xf1ff
	v_cndmask_b32_e64 v61, 0, v61, s0
	v_cmp_gt_i32_e64 s0, s27, v79
	s_wait_alu 0xf1ff
	s_delay_alu instid0(VALU_DEP_1) | instskip(SKIP_2) | instid1(VALU_DEP_1)
	v_cndmask_b32_e64 v60, 0, v60, s0
	v_cmp_gt_i32_e64 s0, s27, v45
	s_wait_alu 0xf1ff
	v_cndmask_b32_e64 v59, 0, v59, s0
.LBB239_37:                             ;   in Loop: Header=BB239_29 Depth=1
	s_wait_alu 0xfffe
	s_or_b32 exec_lo, exec_lo, s9
	global_load_b32 v0, v[9:10], off offset:512
	s_wait_loadcnt 0x0
	v_and_b32_e32 v63, 0xffff, v0
	v_lshrrev_b32_e32 v0, 16, v0
	s_delay_alu instid0(VALU_DEP_2) | instskip(NEXT) | instid1(VALU_DEP_2)
	v_cvt_pk_f32_fp8_e32 v[63:64], v63
	v_cvt_pk_f32_fp8_e32 v[67:68], v0
	s_delay_alu instid0(VALU_DEP_2) | instskip(NEXT) | instid1(VALU_DEP_2)
	v_dual_mul_f32 v66, s3, v63 :: v_dual_mul_f32 v65, s6, v64
	v_dual_mul_f32 v64, s3, v67 :: v_dual_mul_f32 v63, s6, v68
	s_and_saveexec_b32 s9, vcc_lo
	s_cbranch_execz .LBB239_39
; %bb.38:                               ;   in Loop: Header=BB239_29 Depth=1
	v_cmp_gt_i32_e64 s0, s27, v76
	s_wait_alu 0xf1ff
	s_delay_alu instid0(VALU_DEP_1) | instskip(SKIP_2) | instid1(VALU_DEP_1)
	v_cndmask_b32_e64 v66, 0, v66, s0
	v_cmp_gt_i32_e64 s0, s27, v77
	s_wait_alu 0xf1ff
	v_cndmask_b32_e64 v65, 0, v65, s0
	v_cmp_gt_i32_e64 s0, s27, v79
	s_wait_alu 0xf1ff
	s_delay_alu instid0(VALU_DEP_1) | instskip(SKIP_2) | instid1(VALU_DEP_1)
	v_cndmask_b32_e64 v64, 0, v64, s0
	v_cmp_gt_i32_e64 s0, s27, v45
	s_wait_alu 0xf1ff
	v_cndmask_b32_e64 v63, 0, v63, s0
.LBB239_39:                             ;   in Loop: Header=BB239_29 Depth=1
	s_wait_alu 0xfffe
	s_or_b32 exec_lo, exec_lo, s9
	global_load_b32 v0, v[9:10], off offset:640
	s_wait_loadcnt 0x0
	v_and_b32_e32 v67, 0xffff, v0
	v_lshrrev_b32_e32 v0, 16, v0
	s_delay_alu instid0(VALU_DEP_2) | instskip(NEXT) | instid1(VALU_DEP_2)
	v_cvt_pk_f32_fp8_e32 v[67:68], v67
	v_cvt_pk_f32_fp8_e32 v[71:72], v0
	s_delay_alu instid0(VALU_DEP_2) | instskip(NEXT) | instid1(VALU_DEP_2)
	v_dual_mul_f32 v70, s3, v67 :: v_dual_mul_f32 v69, s6, v68
	v_dual_mul_f32 v68, s3, v71 :: v_dual_mul_f32 v67, s6, v72
	s_and_saveexec_b32 s9, vcc_lo
	s_cbranch_execz .LBB239_41
; %bb.40:                               ;   in Loop: Header=BB239_29 Depth=1
	v_cmp_gt_i32_e64 s0, s27, v76
	s_wait_alu 0xf1ff
	s_delay_alu instid0(VALU_DEP_1) | instskip(SKIP_2) | instid1(VALU_DEP_1)
	v_cndmask_b32_e64 v70, 0, v70, s0
	v_cmp_gt_i32_e64 s0, s27, v77
	s_wait_alu 0xf1ff
	v_cndmask_b32_e64 v69, 0, v69, s0
	v_cmp_gt_i32_e64 s0, s27, v79
	s_wait_alu 0xf1ff
	s_delay_alu instid0(VALU_DEP_1) | instskip(SKIP_2) | instid1(VALU_DEP_1)
	v_cndmask_b32_e64 v68, 0, v68, s0
	v_cmp_gt_i32_e64 s0, s27, v45
	s_wait_alu 0xf1ff
	v_cndmask_b32_e64 v67, 0, v67, s0
.LBB239_41:                             ;   in Loop: Header=BB239_29 Depth=1
	s_wait_alu 0xfffe
	s_or_b32 exec_lo, exec_lo, s9
	global_load_b32 v0, v[9:10], off offset:768
	s_wait_loadcnt 0x0
	v_and_b32_e32 v71, 0xffff, v0
	v_lshrrev_b32_e32 v0, 16, v0
	s_delay_alu instid0(VALU_DEP_2) | instskip(NEXT) | instid1(VALU_DEP_2)
	v_cvt_pk_f32_fp8_e32 v[71:72], v71
	v_cvt_pk_f32_fp8_e32 v[80:81], v0
	s_delay_alu instid0(VALU_DEP_2) | instskip(NEXT) | instid1(VALU_DEP_2)
	v_dual_mul_f32 v74, s3, v71 :: v_dual_mul_f32 v73, s6, v72
	v_dual_mul_f32 v72, s3, v80 :: v_dual_mul_f32 v71, s6, v81
	s_and_saveexec_b32 s9, vcc_lo
	s_cbranch_execz .LBB239_43
; %bb.42:                               ;   in Loop: Header=BB239_29 Depth=1
	v_cmp_gt_i32_e64 s0, s27, v76
	s_wait_alu 0xf1ff
	s_delay_alu instid0(VALU_DEP_1) | instskip(SKIP_2) | instid1(VALU_DEP_1)
	v_cndmask_b32_e64 v74, 0, v74, s0
	v_cmp_gt_i32_e64 s0, s27, v77
	s_wait_alu 0xf1ff
	v_cndmask_b32_e64 v73, 0, v73, s0
	v_cmp_gt_i32_e64 s0, s27, v79
	s_wait_alu 0xf1ff
	s_delay_alu instid0(VALU_DEP_1) | instskip(SKIP_2) | instid1(VALU_DEP_1)
	v_cndmask_b32_e64 v72, 0, v72, s0
	v_cmp_gt_i32_e64 s0, s27, v45
	s_wait_alu 0xf1ff
	v_cndmask_b32_e64 v71, 0, v71, s0
.LBB239_43:                             ;   in Loop: Header=BB239_29 Depth=1
	s_wait_alu 0xfffe
	s_or_b32 exec_lo, exec_lo, s9
	global_load_b32 v0, v[9:10], off offset:896
	s_wait_loadcnt 0x0
	v_and_b32_e32 v75, 0xffff, v0
	v_lshrrev_b32_e32 v0, 16, v0
	s_delay_alu instid0(VALU_DEP_2) | instskip(NEXT) | instid1(VALU_DEP_2)
	v_cvt_pk_f32_fp8_e32 v[81:82], v75
	v_cvt_pk_f32_fp8_e32 v[83:84], v0
	s_delay_alu instid0(VALU_DEP_1) | instskip(NEXT) | instid1(VALU_DEP_2)
	v_dual_mul_f32 v81, s3, v81 :: v_dual_mul_f32 v78, s3, v83
	v_dual_mul_f32 v80, s6, v82 :: v_dual_mul_f32 v75, s6, v84
	s_and_saveexec_b32 s9, vcc_lo
	s_cbranch_execz .LBB239_45
; %bb.44:                               ;   in Loop: Header=BB239_29 Depth=1
	v_cmp_gt_i32_e64 s0, s27, v76
	s_wait_alu 0xf1ff
	s_delay_alu instid0(VALU_DEP_1) | instskip(SKIP_2) | instid1(VALU_DEP_1)
	v_cndmask_b32_e64 v81, 0, v81, s0
	v_cmp_gt_i32_e64 s0, s27, v77
	s_wait_alu 0xf1ff
	v_cndmask_b32_e64 v80, 0, v80, s0
	v_cmp_gt_i32_e64 s0, s27, v79
	s_wait_alu 0xf1ff
	s_delay_alu instid0(VALU_DEP_1) | instskip(SKIP_2) | instid1(VALU_DEP_1)
	v_cndmask_b32_e64 v78, 0, v78, s0
	v_cmp_gt_i32_e64 s0, s27, v45
	s_wait_alu 0xf1ff
	v_cndmask_b32_e64 v75, 0, v75, s0
.LBB239_45:                             ;   in Loop: Header=BB239_29 Depth=1
	s_wait_alu 0xfffe
	s_or_b32 exec_lo, exec_lo, s9
	global_load_b32 v0, v[9:10], off offset:1024
	s_wait_loadcnt 0x0
	v_and_b32_e32 v82, 0xffff, v0
	v_lshrrev_b32_e32 v0, 16, v0
	s_delay_alu instid0(VALU_DEP_2) | instskip(NEXT) | instid1(VALU_DEP_2)
	v_cvt_pk_f32_fp8_e32 v[82:83], v82
	v_cvt_pk_f32_fp8_e32 v[86:87], v0
	s_delay_alu instid0(VALU_DEP_2) | instskip(NEXT) | instid1(VALU_DEP_2)
	v_dual_mul_f32 v85, s3, v82 :: v_dual_mul_f32 v84, s6, v83
	v_dual_mul_f32 v83, s3, v86 :: v_dual_mul_f32 v82, s6, v87
	s_and_saveexec_b32 s9, vcc_lo
	s_cbranch_execz .LBB239_47
; %bb.46:                               ;   in Loop: Header=BB239_29 Depth=1
	v_cmp_gt_i32_e64 s0, s27, v76
	s_wait_alu 0xf1ff
	s_delay_alu instid0(VALU_DEP_1) | instskip(SKIP_2) | instid1(VALU_DEP_1)
	v_cndmask_b32_e64 v85, 0, v85, s0
	v_cmp_gt_i32_e64 s0, s27, v77
	s_wait_alu 0xf1ff
	v_cndmask_b32_e64 v84, 0, v84, s0
	v_cmp_gt_i32_e64 s0, s27, v79
	s_wait_alu 0xf1ff
	s_delay_alu instid0(VALU_DEP_1) | instskip(SKIP_2) | instid1(VALU_DEP_1)
	v_cndmask_b32_e64 v83, 0, v83, s0
	v_cmp_gt_i32_e64 s0, s27, v45
	s_wait_alu 0xf1ff
	v_cndmask_b32_e64 v82, 0, v82, s0
.LBB239_47:                             ;   in Loop: Header=BB239_29 Depth=1
	s_wait_alu 0xfffe
	s_or_b32 exec_lo, exec_lo, s9
	global_load_b32 v0, v[9:10], off offset:1152
	s_wait_loadcnt 0x0
	v_and_b32_e32 v86, 0xffff, v0
	v_lshrrev_b32_e32 v0, 16, v0
	s_delay_alu instid0(VALU_DEP_2) | instskip(NEXT) | instid1(VALU_DEP_2)
	v_cvt_pk_f32_fp8_e32 v[86:87], v86
	v_cvt_pk_f32_fp8_e32 v[90:91], v0
	s_delay_alu instid0(VALU_DEP_2) | instskip(NEXT) | instid1(VALU_DEP_2)
	;; [unrolled: 30-line block ×11, first 2 shown]
	v_mul_f32_e32 v128, s3, v122
	v_dual_mul_f32 v124, s6, v123 :: v_dual_mul_f32 v123, s3, v125
	s_delay_alu instid0(VALU_DEP_3)
	v_mul_f32_e32 v122, s6, v126
	s_and_saveexec_b32 s9, vcc_lo
	s_cbranch_execz .LBB239_67
; %bb.66:                               ;   in Loop: Header=BB239_29 Depth=1
	v_cmp_gt_i32_e64 s0, s27, v76
	s_wait_alu 0xf1ff
	s_delay_alu instid0(VALU_DEP_1) | instskip(SKIP_2) | instid1(VALU_DEP_1)
	v_cndmask_b32_e64 v128, 0, v128, s0
	v_cmp_gt_i32_e64 s0, s27, v77
	s_wait_alu 0xf1ff
	v_cndmask_b32_e64 v124, 0, v124, s0
	v_cmp_gt_i32_e64 s0, s27, v79
	s_wait_alu 0xf1ff
	s_delay_alu instid0(VALU_DEP_1) | instskip(SKIP_2) | instid1(VALU_DEP_1)
	v_cndmask_b32_e64 v123, 0, v123, s0
	v_cmp_gt_i32_e64 s0, s27, v45
	s_wait_alu 0xf1ff
	v_cndmask_b32_e64 v122, 0, v122, s0
.LBB239_67:                             ;   in Loop: Header=BB239_29 Depth=1
	s_wait_alu 0xfffe
	s_or_b32 exec_lo, exec_lo, s9
	global_load_b32 v0, v[9:10], off offset:2432
	s_wait_loadcnt 0x0
	v_and_b32_e32 v125, 0xffff, v0
	v_lshrrev_b32_e32 v0, 16, v0
	s_delay_alu instid0(VALU_DEP_1) | instskip(NEXT) | instid1(VALU_DEP_1)
	v_cvt_pk_f32_fp8_e32 v[133:134], v0
	v_mul_f32_e32 v130, s3, v133
	s_delay_alu instid0(VALU_DEP_4) | instskip(NEXT) | instid1(VALU_DEP_1)
	v_cvt_pk_f32_fp8_e32 v[125:126], v125
	v_dual_mul_f32 v129, s6, v134 :: v_dual_mul_f32 v132, s3, v125
	s_delay_alu instid0(VALU_DEP_2)
	v_mul_f32_e32 v131, s6, v126
	s_and_saveexec_b32 s9, vcc_lo
	s_cbranch_execz .LBB239_69
; %bb.68:                               ;   in Loop: Header=BB239_29 Depth=1
	v_cmp_gt_i32_e64 s0, s27, v76
	s_wait_alu 0xf1ff
	s_delay_alu instid0(VALU_DEP_1) | instskip(SKIP_2) | instid1(VALU_DEP_1)
	v_cndmask_b32_e64 v132, 0, v132, s0
	v_cmp_gt_i32_e64 s0, s27, v77
	s_wait_alu 0xf1ff
	v_cndmask_b32_e64 v131, 0, v131, s0
	v_cmp_gt_i32_e64 s0, s27, v79
	s_wait_alu 0xf1ff
	s_delay_alu instid0(VALU_DEP_1) | instskip(SKIP_2) | instid1(VALU_DEP_1)
	v_cndmask_b32_e64 v130, 0, v130, s0
	v_cmp_gt_i32_e64 s0, s27, v45
	s_wait_alu 0xf1ff
	v_cndmask_b32_e64 v129, 0, v129, s0
.LBB239_69:                             ;   in Loop: Header=BB239_29 Depth=1
	s_wait_alu 0xfffe
	s_or_b32 exec_lo, exec_lo, s9
	global_load_b32 v0, v[9:10], off offset:2560
	s_wait_loadcnt 0x0
	v_and_b32_e32 v125, 0xffff, v0
	v_lshrrev_b32_e32 v0, 16, v0
	s_delay_alu instid0(VALU_DEP_1) | instskip(NEXT) | instid1(VALU_DEP_1)
	v_cvt_pk_f32_fp8_e32 v[137:138], v0
	v_mul_f32_e32 v134, s3, v137
	s_delay_alu instid0(VALU_DEP_4) | instskip(NEXT) | instid1(VALU_DEP_1)
	v_cvt_pk_f32_fp8_e32 v[125:126], v125
	v_dual_mul_f32 v133, s6, v138 :: v_dual_mul_f32 v136, s3, v125
	s_delay_alu instid0(VALU_DEP_2)
	v_mul_f32_e32 v135, s6, v126
	s_and_saveexec_b32 s9, vcc_lo
	s_cbranch_execz .LBB239_71
; %bb.70:                               ;   in Loop: Header=BB239_29 Depth=1
	v_cmp_gt_i32_e64 s0, s27, v76
	s_wait_alu 0xf1ff
	s_delay_alu instid0(VALU_DEP_1) | instskip(SKIP_2) | instid1(VALU_DEP_1)
	v_cndmask_b32_e64 v136, 0, v136, s0
	v_cmp_gt_i32_e64 s0, s27, v77
	s_wait_alu 0xf1ff
	v_cndmask_b32_e64 v135, 0, v135, s0
	v_cmp_gt_i32_e64 s0, s27, v79
	s_wait_alu 0xf1ff
	s_delay_alu instid0(VALU_DEP_1) | instskip(SKIP_2) | instid1(VALU_DEP_1)
	v_cndmask_b32_e64 v134, 0, v134, s0
	v_cmp_gt_i32_e64 s0, s27, v45
	s_wait_alu 0xf1ff
	v_cndmask_b32_e64 v133, 0, v133, s0
.LBB239_71:                             ;   in Loop: Header=BB239_29 Depth=1
	s_wait_alu 0xfffe
	s_or_b32 exec_lo, exec_lo, s9
	global_load_b32 v0, v[9:10], off offset:2688
	s_wait_loadcnt 0x0
	v_and_b32_e32 v125, 0xffff, v0
	v_lshrrev_b32_e32 v0, 16, v0
	s_delay_alu instid0(VALU_DEP_1) | instskip(NEXT) | instid1(VALU_DEP_1)
	v_cvt_pk_f32_fp8_e32 v[141:142], v0
	v_mul_f32_e32 v138, s3, v141
	s_delay_alu instid0(VALU_DEP_4) | instskip(NEXT) | instid1(VALU_DEP_1)
	v_cvt_pk_f32_fp8_e32 v[125:126], v125
	v_dual_mul_f32 v137, s6, v142 :: v_dual_mul_f32 v140, s3, v125
	s_delay_alu instid0(VALU_DEP_2)
	v_mul_f32_e32 v139, s6, v126
	s_and_saveexec_b32 s9, vcc_lo
	s_cbranch_execz .LBB239_73
; %bb.72:                               ;   in Loop: Header=BB239_29 Depth=1
	v_cmp_gt_i32_e64 s0, s27, v76
	s_wait_alu 0xf1ff
	s_delay_alu instid0(VALU_DEP_1) | instskip(SKIP_2) | instid1(VALU_DEP_1)
	v_cndmask_b32_e64 v140, 0, v140, s0
	v_cmp_gt_i32_e64 s0, s27, v77
	s_wait_alu 0xf1ff
	v_cndmask_b32_e64 v139, 0, v139, s0
	v_cmp_gt_i32_e64 s0, s27, v79
	s_wait_alu 0xf1ff
	s_delay_alu instid0(VALU_DEP_1) | instskip(SKIP_2) | instid1(VALU_DEP_1)
	v_cndmask_b32_e64 v138, 0, v138, s0
	v_cmp_gt_i32_e64 s0, s27, v45
	s_wait_alu 0xf1ff
	v_cndmask_b32_e64 v137, 0, v137, s0
.LBB239_73:                             ;   in Loop: Header=BB239_29 Depth=1
	s_wait_alu 0xfffe
	s_or_b32 exec_lo, exec_lo, s9
	global_load_b32 v0, v[9:10], off offset:2816
	s_wait_loadcnt 0x0
	v_and_b32_e32 v125, 0xffff, v0
	v_lshrrev_b32_e32 v0, 16, v0
	s_delay_alu instid0(VALU_DEP_1) | instskip(NEXT) | instid1(VALU_DEP_1)
	v_cvt_pk_f32_fp8_e32 v[145:146], v0
	v_mul_f32_e32 v142, s3, v145
	s_delay_alu instid0(VALU_DEP_4) | instskip(NEXT) | instid1(VALU_DEP_1)
	v_cvt_pk_f32_fp8_e32 v[125:126], v125
	v_dual_mul_f32 v141, s6, v146 :: v_dual_mul_f32 v144, s3, v125
	s_delay_alu instid0(VALU_DEP_2)
	v_mul_f32_e32 v143, s6, v126
	s_and_saveexec_b32 s9, vcc_lo
	s_cbranch_execz .LBB239_75
; %bb.74:                               ;   in Loop: Header=BB239_29 Depth=1
	v_cmp_gt_i32_e64 s0, s27, v76
	s_wait_alu 0xf1ff
	s_delay_alu instid0(VALU_DEP_1) | instskip(SKIP_2) | instid1(VALU_DEP_1)
	v_cndmask_b32_e64 v144, 0, v144, s0
	v_cmp_gt_i32_e64 s0, s27, v77
	s_wait_alu 0xf1ff
	v_cndmask_b32_e64 v143, 0, v143, s0
	v_cmp_gt_i32_e64 s0, s27, v79
	s_wait_alu 0xf1ff
	s_delay_alu instid0(VALU_DEP_1) | instskip(SKIP_2) | instid1(VALU_DEP_1)
	v_cndmask_b32_e64 v142, 0, v142, s0
	v_cmp_gt_i32_e64 s0, s27, v45
	s_wait_alu 0xf1ff
	v_cndmask_b32_e64 v141, 0, v141, s0
.LBB239_75:                             ;   in Loop: Header=BB239_29 Depth=1
	s_wait_alu 0xfffe
	s_or_b32 exec_lo, exec_lo, s9
	global_load_b32 v0, v[9:10], off offset:2944
	s_wait_loadcnt 0x0
	v_and_b32_e32 v125, 0xffff, v0
	v_lshrrev_b32_e32 v0, 16, v0
	s_delay_alu instid0(VALU_DEP_1) | instskip(NEXT) | instid1(VALU_DEP_1)
	v_cvt_pk_f32_fp8_e32 v[151:152], v0
	v_mul_f32_e32 v146, s3, v151
	s_delay_alu instid0(VALU_DEP_4) | instskip(NEXT) | instid1(VALU_DEP_1)
	v_cvt_pk_f32_fp8_e32 v[125:126], v125
	v_dual_mul_f32 v145, s6, v152 :: v_dual_mul_f32 v150, s3, v125
	s_delay_alu instid0(VALU_DEP_2)
	v_mul_f32_e32 v127, s6, v126
	s_and_saveexec_b32 s9, vcc_lo
	s_cbranch_execz .LBB239_77
; %bb.76:                               ;   in Loop: Header=BB239_29 Depth=1
	v_cmp_gt_i32_e64 s0, s27, v76
	s_wait_alu 0xf1ff
	s_delay_alu instid0(VALU_DEP_1) | instskip(SKIP_2) | instid1(VALU_DEP_1)
	v_cndmask_b32_e64 v150, 0, v150, s0
	v_cmp_gt_i32_e64 s0, s27, v77
	s_wait_alu 0xf1ff
	v_cndmask_b32_e64 v127, 0, v127, s0
	v_cmp_gt_i32_e64 s0, s27, v79
	s_wait_alu 0xf1ff
	s_delay_alu instid0(VALU_DEP_1) | instskip(SKIP_2) | instid1(VALU_DEP_1)
	v_cndmask_b32_e64 v146, 0, v146, s0
	v_cmp_gt_i32_e64 s0, s27, v45
	s_wait_alu 0xf1ff
	v_cndmask_b32_e64 v145, 0, v145, s0
.LBB239_77:                             ;   in Loop: Header=BB239_29 Depth=1
	s_wait_alu 0xfffe
	s_or_b32 exec_lo, exec_lo, s9
	global_load_b32 v0, v[9:10], off offset:3072
	s_wait_loadcnt 0x0
	v_and_b32_e32 v125, 0xffff, v0
	v_lshrrev_b32_e32 v0, 16, v0
	s_delay_alu instid0(VALU_DEP_1) | instskip(NEXT) | instid1(VALU_DEP_1)
	v_cvt_pk_f32_fp8_e32 v[155:156], v0
	v_mul_f32_e32 v152, s3, v155
	s_delay_alu instid0(VALU_DEP_4) | instskip(NEXT) | instid1(VALU_DEP_1)
	v_cvt_pk_f32_fp8_e32 v[125:126], v125
	v_dual_mul_f32 v151, s6, v156 :: v_dual_mul_f32 v154, s3, v125
	s_delay_alu instid0(VALU_DEP_2)
	v_mul_f32_e32 v153, s6, v126
	s_and_saveexec_b32 s9, vcc_lo
	s_cbranch_execz .LBB239_79
; %bb.78:                               ;   in Loop: Header=BB239_29 Depth=1
	v_cmp_gt_i32_e64 s0, s27, v76
	s_wait_alu 0xf1ff
	s_delay_alu instid0(VALU_DEP_1) | instskip(SKIP_2) | instid1(VALU_DEP_1)
	v_cndmask_b32_e64 v154, 0, v154, s0
	v_cmp_gt_i32_e64 s0, s27, v77
	s_wait_alu 0xf1ff
	v_cndmask_b32_e64 v153, 0, v153, s0
	v_cmp_gt_i32_e64 s0, s27, v79
	s_wait_alu 0xf1ff
	s_delay_alu instid0(VALU_DEP_1) | instskip(SKIP_2) | instid1(VALU_DEP_1)
	v_cndmask_b32_e64 v152, 0, v152, s0
	v_cmp_gt_i32_e64 s0, s27, v45
	s_wait_alu 0xf1ff
	v_cndmask_b32_e64 v151, 0, v151, s0
.LBB239_79:                             ;   in Loop: Header=BB239_29 Depth=1
	s_wait_alu 0xfffe
	s_or_b32 exec_lo, exec_lo, s9
	global_load_b32 v0, v[9:10], off offset:3200
	s_wait_loadcnt 0x0
	v_and_b32_e32 v125, 0xffff, v0
	v_lshrrev_b32_e32 v0, 16, v0
	s_delay_alu instid0(VALU_DEP_1) | instskip(NEXT) | instid1(VALU_DEP_1)
	v_cvt_pk_f32_fp8_e32 v[159:160], v0
	v_mul_f32_e32 v156, s3, v159
	s_delay_alu instid0(VALU_DEP_4) | instskip(NEXT) | instid1(VALU_DEP_1)
	v_cvt_pk_f32_fp8_e32 v[125:126], v125
	v_dual_mul_f32 v155, s6, v160 :: v_dual_mul_f32 v158, s3, v125
	s_delay_alu instid0(VALU_DEP_2)
	v_mul_f32_e32 v157, s6, v126
	s_and_saveexec_b32 s9, vcc_lo
	s_cbranch_execz .LBB239_81
; %bb.80:                               ;   in Loop: Header=BB239_29 Depth=1
	v_cmp_gt_i32_e64 s0, s27, v76
	s_wait_alu 0xf1ff
	s_delay_alu instid0(VALU_DEP_1) | instskip(SKIP_2) | instid1(VALU_DEP_1)
	v_cndmask_b32_e64 v158, 0, v158, s0
	v_cmp_gt_i32_e64 s0, s27, v77
	s_wait_alu 0xf1ff
	v_cndmask_b32_e64 v157, 0, v157, s0
	v_cmp_gt_i32_e64 s0, s27, v79
	s_wait_alu 0xf1ff
	s_delay_alu instid0(VALU_DEP_1) | instskip(SKIP_2) | instid1(VALU_DEP_1)
	v_cndmask_b32_e64 v156, 0, v156, s0
	v_cmp_gt_i32_e64 s0, s27, v45
	s_wait_alu 0xf1ff
	v_cndmask_b32_e64 v155, 0, v155, s0
.LBB239_81:                             ;   in Loop: Header=BB239_29 Depth=1
	s_wait_alu 0xfffe
	s_or_b32 exec_lo, exec_lo, s9
	global_load_b32 v0, v[9:10], off offset:3328
	s_wait_loadcnt 0x0
	v_and_b32_e32 v125, 0xffff, v0
	v_lshrrev_b32_e32 v0, 16, v0
	s_delay_alu instid0(VALU_DEP_1) | instskip(NEXT) | instid1(VALU_DEP_1)
	v_cvt_pk_f32_fp8_e32 v[163:164], v0
	v_mul_f32_e32 v160, s3, v163
	s_delay_alu instid0(VALU_DEP_4) | instskip(NEXT) | instid1(VALU_DEP_1)
	v_cvt_pk_f32_fp8_e32 v[125:126], v125
	v_dual_mul_f32 v159, s6, v164 :: v_dual_mul_f32 v162, s3, v125
	s_delay_alu instid0(VALU_DEP_2)
	v_mul_f32_e32 v161, s6, v126
	s_and_saveexec_b32 s9, vcc_lo
	s_cbranch_execz .LBB239_83
; %bb.82:                               ;   in Loop: Header=BB239_29 Depth=1
	v_cmp_gt_i32_e64 s0, s27, v76
	s_wait_alu 0xf1ff
	s_delay_alu instid0(VALU_DEP_1) | instskip(SKIP_2) | instid1(VALU_DEP_1)
	v_cndmask_b32_e64 v162, 0, v162, s0
	v_cmp_gt_i32_e64 s0, s27, v77
	s_wait_alu 0xf1ff
	v_cndmask_b32_e64 v161, 0, v161, s0
	v_cmp_gt_i32_e64 s0, s27, v79
	s_wait_alu 0xf1ff
	s_delay_alu instid0(VALU_DEP_1) | instskip(SKIP_2) | instid1(VALU_DEP_1)
	v_cndmask_b32_e64 v160, 0, v160, s0
	v_cmp_gt_i32_e64 s0, s27, v45
	s_wait_alu 0xf1ff
	v_cndmask_b32_e64 v159, 0, v159, s0
.LBB239_83:                             ;   in Loop: Header=BB239_29 Depth=1
	s_wait_alu 0xfffe
	s_or_b32 exec_lo, exec_lo, s9
	global_load_b32 v0, v[9:10], off offset:3456
	s_wait_loadcnt 0x0
	v_and_b32_e32 v125, 0xffff, v0
	v_lshrrev_b32_e32 v0, 16, v0
	s_delay_alu instid0(VALU_DEP_1) | instskip(NEXT) | instid1(VALU_DEP_1)
	v_cvt_pk_f32_fp8_e32 v[167:168], v0
	v_mul_f32_e32 v164, s3, v167
	s_delay_alu instid0(VALU_DEP_4) | instskip(NEXT) | instid1(VALU_DEP_1)
	v_cvt_pk_f32_fp8_e32 v[125:126], v125
	v_dual_mul_f32 v163, s6, v168 :: v_dual_mul_f32 v166, s3, v125
	s_delay_alu instid0(VALU_DEP_2)
	v_mul_f32_e32 v165, s6, v126
	s_and_saveexec_b32 s9, vcc_lo
	s_cbranch_execz .LBB239_85
; %bb.84:                               ;   in Loop: Header=BB239_29 Depth=1
	v_cmp_gt_i32_e64 s0, s27, v76
	s_wait_alu 0xf1ff
	s_delay_alu instid0(VALU_DEP_1) | instskip(SKIP_2) | instid1(VALU_DEP_1)
	v_cndmask_b32_e64 v166, 0, v166, s0
	v_cmp_gt_i32_e64 s0, s27, v77
	s_wait_alu 0xf1ff
	v_cndmask_b32_e64 v165, 0, v165, s0
	v_cmp_gt_i32_e64 s0, s27, v79
	s_wait_alu 0xf1ff
	s_delay_alu instid0(VALU_DEP_1) | instskip(SKIP_2) | instid1(VALU_DEP_1)
	v_cndmask_b32_e64 v164, 0, v164, s0
	v_cmp_gt_i32_e64 s0, s27, v45
	s_wait_alu 0xf1ff
	v_cndmask_b32_e64 v163, 0, v163, s0
.LBB239_85:                             ;   in Loop: Header=BB239_29 Depth=1
	s_wait_alu 0xfffe
	s_or_b32 exec_lo, exec_lo, s9
	global_load_b32 v0, v[9:10], off offset:3584
	s_wait_loadcnt 0x0
	v_and_b32_e32 v125, 0xffff, v0
	v_lshrrev_b32_e32 v0, 16, v0
	s_delay_alu instid0(VALU_DEP_1) | instskip(NEXT) | instid1(VALU_DEP_1)
	v_cvt_pk_f32_fp8_e32 v[171:172], v0
	v_mul_f32_e32 v168, s3, v171
	s_delay_alu instid0(VALU_DEP_4) | instskip(NEXT) | instid1(VALU_DEP_1)
	v_cvt_pk_f32_fp8_e32 v[125:126], v125
	v_dual_mul_f32 v167, s6, v172 :: v_dual_mul_f32 v170, s3, v125
	s_delay_alu instid0(VALU_DEP_2)
	v_mul_f32_e32 v169, s6, v126
	s_and_saveexec_b32 s9, vcc_lo
	s_cbranch_execz .LBB239_87
; %bb.86:                               ;   in Loop: Header=BB239_29 Depth=1
	v_cmp_gt_i32_e64 s0, s27, v76
	s_wait_alu 0xf1ff
	s_delay_alu instid0(VALU_DEP_1) | instskip(SKIP_2) | instid1(VALU_DEP_1)
	v_cndmask_b32_e64 v170, 0, v170, s0
	v_cmp_gt_i32_e64 s0, s27, v77
	s_wait_alu 0xf1ff
	v_cndmask_b32_e64 v169, 0, v169, s0
	v_cmp_gt_i32_e64 s0, s27, v79
	s_wait_alu 0xf1ff
	s_delay_alu instid0(VALU_DEP_1) | instskip(SKIP_2) | instid1(VALU_DEP_1)
	v_cndmask_b32_e64 v168, 0, v168, s0
	v_cmp_gt_i32_e64 s0, s27, v45
	s_wait_alu 0xf1ff
	v_cndmask_b32_e64 v167, 0, v167, s0
.LBB239_87:                             ;   in Loop: Header=BB239_29 Depth=1
	s_wait_alu 0xfffe
	s_or_b32 exec_lo, exec_lo, s9
	global_load_b32 v0, v[9:10], off offset:3712
	s_wait_loadcnt 0x0
	v_and_b32_e32 v9, 0xffff, v0
	v_lshrrev_b32_e32 v0, 16, v0
	s_delay_alu instid0(VALU_DEP_2) | instskip(NEXT) | instid1(VALU_DEP_2)
	v_cvt_pk_f32_fp8_e32 v[9:10], v9
	v_cvt_pk_f32_fp8_e32 v[171:172], v0
	s_delay_alu instid0(VALU_DEP_2) | instskip(NEXT) | instid1(VALU_DEP_2)
	v_dual_mul_f32 v126, s3, v9 :: v_dual_mul_f32 v125, s6, v10
	v_dual_mul_f32 v10, s3, v171 :: v_dual_mul_f32 v9, s6, v172
	s_and_saveexec_b32 s0, vcc_lo
	s_cbranch_execz .LBB239_28
; %bb.88:                               ;   in Loop: Header=BB239_29 Depth=1
	v_cmp_gt_i32_e32 vcc_lo, s27, v76
	s_wait_alu 0xfffd
	v_cndmask_b32_e32 v126, 0, v126, vcc_lo
	v_cmp_gt_i32_e32 vcc_lo, s27, v77
	s_wait_alu 0xfffd
	v_cndmask_b32_e32 v125, 0, v125, vcc_lo
	;; [unrolled: 3-line block ×4, first 2 shown]
	s_branch .LBB239_28
.LBB239_89:
	s_or_b32 exec_lo, exec_lo, s7
.LBB239_90:
	s_wait_alu 0xfffe
	s_or_b32 exec_lo, exec_lo, s1
	ds_bpermute_b32 v0, v13, v42
	ds_bpermute_b32 v1, v13, v44
	;; [unrolled: 1-line block ×16, first 2 shown]
	s_mov_b32 s0, exec_lo
	s_wait_storecnt 0x0
	s_wait_loadcnt_dscnt 0x0
	s_barrier_signal -1
	s_barrier_wait -1
	v_dual_add_f32 v0, v42, v0 :: v_dual_add_f32 v1, v44, v1
	v_dual_add_f32 v2, v43, v2 :: v_dual_add_f32 v3, v41, v3
	;; [unrolled: 1-line block ×5, first 2 shown]
	ds_bpermute_b32 v36, v12, v0
	ds_bpermute_b32 v37, v12, v1
	ds_bpermute_b32 v38, v12, v2
	ds_bpermute_b32 v39, v12, v3
	ds_bpermute_b32 v41, v12, v5
	ds_bpermute_b32 v43, v12, v7
	ds_bpermute_b32 v49, v12, v9
	ds_bpermute_b32 v40, v12, v4
	ds_bpermute_b32 v35, v13, v31
	v_dual_add_f32 v10, v34, v10 :: v_dual_add_f32 v33, v33, v45
	ds_bpermute_b32 v42, v12, v6
	ds_bpermute_b32 v44, v12, v8
	v_add_f32_e32 v32, v32, v46
	v_dual_add_f32 v30, v30, v47 :: v_dual_add_f32 v29, v29, v48
	ds_bpermute_b32 v48, v13, v19
	s_wait_dscnt 0x0
	global_inv scope:SCOPE_SE
	v_add_f32_e32 v0, v0, v36
	v_add_f32_e32 v34, v1, v37
	v_dual_add_f32 v36, v2, v38 :: v_dual_add_f32 v37, v3, v39
	v_add_f32_e32 v39, v5, v41
	v_add_f32_e32 v41, v7, v43
	ds_bpermute_b32 v2, v11, v34
	v_add_f32_e32 v43, v9, v49
	ds_bpermute_b32 v3, v11, v36
	v_dual_add_f32 v38, v4, v40 :: v_dual_add_f32 v31, v31, v35
	ds_bpermute_b32 v1, v11, v0
	v_add_f32_e32 v40, v6, v42
	ds_bpermute_b32 v6, v11, v39
	ds_bpermute_b32 v5, v11, v38
	v_add_f32_e32 v42, v8, v44
	ds_bpermute_b32 v44, v12, v10
	ds_bpermute_b32 v35, v12, v33
	;; [unrolled: 1-line block ×8, first 2 shown]
	s_wait_dscnt 0xc
	v_dual_add_f32 v19, v19, v48 :: v_dual_add_f32 v2, v34, v2
	s_wait_dscnt 0xb
	v_add_f32_e32 v3, v36, v3
	ds_bpermute_b32 v36, v12, v29
	v_add_f32_e32 v28, v28, v50
	s_wait_dscnt 0xb
	v_add_f32_e32 v1, v0, v1
	ds_bpermute_b32 v7, v11, v40
	ds_bpermute_b32 v0, v13, v27
	s_wait_dscnt 0xb
	v_add_f32_e32 v5, v38, v5
	ds_bpermute_b32 v9, v11, v42
	v_add_f32_e32 v6, v39, v6
	s_wait_dscnt 0xa
	v_dual_add_f32 v34, v10, v44 :: v_dual_add_f32 v33, v33, v35
	ds_bpermute_b32 v35, v13, v26
	s_wait_dscnt 0xa
	v_add_f32_e32 v4, v37, v4
	s_wait_dscnt 0x6
	v_dual_add_f32 v8, v41, v8 :: v_dual_add_f32 v31, v31, v47
	ds_bpermute_b32 v47, v13, v20
	ds_bpermute_b32 v50, v13, v16
	;; [unrolled: 1-line block ×5, first 2 shown]
	s_wait_dscnt 0x9
	v_add_f32_e32 v29, v29, v36
	ds_bpermute_b32 v39, v12, v28
	ds_bpermute_b32 v36, v13, v21
	s_wait_dscnt 0xa
	v_add_f32_e32 v7, v40, v7
	ds_bpermute_b32 v40, v13, v25
	s_wait_dscnt 0x9
	v_dual_add_f32 v32, v32, v46 :: v_dual_add_f32 v9, v42, v9
	ds_bpermute_b32 v42, v13, v23
	ds_bpermute_b32 v46, v13, v22
	v_add_f32_e32 v10, v43, v45
	s_wait_dscnt 0xa
	v_add_f32_e32 v26, v26, v35
	ds_bpermute_b32 v35, v13, v18
	v_add_f32_e32 v30, v30, v49
	ds_bpermute_b32 v43, v11, v31
	ds_bpermute_b32 v49, v11, v29
	s_wait_dscnt 0x9
	v_add_f32_e32 v48, v19, v48
	s_wait_dscnt 0x7
	v_add_f32_e32 v28, v28, v39
	ds_bpermute_b32 v39, v13, v17
	v_add_f32_e32 v0, v27, v0
	ds_bpermute_b32 v27, v13, v24
	s_wait_dscnt 0x7
	v_add_f32_e32 v25, v25, v40
	ds_bpermute_b32 v13, v13, v15
	s_wait_dscnt 0x7
	v_add_f32_e32 v23, v23, v42
	v_add_f32_e32 v21, v21, v36
	ds_bpermute_b32 v40, v12, v26
	ds_bpermute_b32 v41, v11, v32
	s_wait_dscnt 0x7
	v_add_f32_e32 v18, v18, v35
	ds_bpermute_b32 v45, v11, v30
	ds_bpermute_b32 v35, v12, v21
	v_add_f32_e32 v22, v22, v46
	ds_bpermute_b32 v46, v12, v23
	s_wait_dscnt 0x7
	v_add_f32_e32 v17, v17, v39
	ds_bpermute_b32 v44, v12, v0
	s_wait_dscnt 0x7
	v_add_f32_e32 v24, v24, v27
	ds_bpermute_b32 v27, v12, v25
	ds_bpermute_b32 v39, v12, v18
	s_wait_dscnt 0x8
	v_dual_add_f32 v16, v16, v50 :: v_dual_add_f32 v13, v15, v13
	v_add_f32_e32 v20, v20, v47
	ds_bpermute_b32 v15, v12, v17
	ds_bpermute_b32 v42, v11, v28
	s_wait_dscnt 0x6
	v_add_f32_e32 v35, v21, v35
	ds_bpermute_b32 v36, v12, v22
	ds_bpermute_b32 v47, v12, v20
	s_wait_dscnt 0x7
	;; [unrolled: 4-line block ×3, first 2 shown]
	v_add_f32_e32 v0, v0, v44
	ds_bpermute_b32 v44, v12, v24
	s_wait_dscnt 0x8
	v_add_f32_e32 v25, v25, v27
	ds_bpermute_b32 v27, v12, v16
	ds_bpermute_b32 v12, v12, v13
	;; [unrolled: 1-line block ×3, first 2 shown]
	s_wait_dscnt 0x7
	v_add_f32_e32 v36, v22, v36
	ds_bpermute_b32 v52, v11, v36
	s_wait_dscnt 0x4
	v_dual_add_f32 v23, v23, v51 :: v_dual_add_f32 v24, v24, v44
	s_wait_dscnt 0x2
	v_add_f32_e32 v59, v13, v12
	v_dual_add_f32 v26, v26, v40 :: v_dual_add_f32 v47, v20, v47
	ds_bpermute_b32 v40, v11, v0
	v_add_f32_e32 v56, v17, v15
	v_add_f32_e32 v13, v33, v38
	;; [unrolled: 1-line block ×3, first 2 shown]
	s_wait_dscnt 0x2
	v_dual_add_f32 v58, v16, v27 :: v_dual_add_f32 v21, v25, v46
	ds_bpermute_b32 v44, v11, v26
	ds_bpermute_b32 v54, v11, v47
	;; [unrolled: 1-line block ×3, first 2 shown]
	v_add_f32_e32 v12, v34, v37
	ds_bpermute_b32 v37, v11, v58
	ds_bpermute_b32 v38, v11, v59
	v_add_f32_e32 v15, v31, v43
	ds_bpermute_b32 v50, v11, v24
	v_add_f32_e32 v17, v29, v49
	ds_bpermute_b32 v55, v11, v48
	v_lshrrev_b32_e32 v33, 3, v173
	v_add_f32_e32 v16, v30, v45
	v_dual_add_f32 v18, v28, v42 :: v_dual_add_f32 v25, v35, v53
	s_wait_dscnt 0x7
	v_add_f32_e32 v19, v0, v40
	ds_bpermute_b32 v34, v11, v56
	v_dual_add_f32 v11, v32, v41 :: v_dual_and_b32 v0, 0x3c7, v148
	v_lshl_add_u32 v32, v33, 2, 0x200
	s_wait_dscnt 0x7
	v_add_f32_e32 v20, v26, v44
	s_wait_dscnt 0x6
	v_add_f32_e32 v26, v47, v54
	;; [unrolled: 2-line block ×3, first 2 shown]
	s_wait_dscnt 0x3
	v_dual_add_f32 v30, v58, v37 :: v_dual_add_f32 v31, v59, v38
	s_wait_dscnt 0x2
	v_add_f32_e32 v22, v24, v50
	v_add_f32_e32 v24, v36, v52
	s_wait_dscnt 0x1
	v_add_f32_e32 v27, v48, v55
	s_wait_dscnt 0x0
	v_add_f32_e32 v29, v56, v34
	v_mul_u32_u24_e32 v34, 0x1e0, v149
	v_cmpx_eq_u32_e32 64, v0
	s_cbranch_execz .LBB239_92
; %bb.91:
	s_delay_alu instid0(VALU_DEP_2) | instskip(NEXT) | instid1(VALU_DEP_1)
	v_add_nc_u32_e32 v0, v32, v34
	v_add_nc_u32_e32 v35, 0xfffffc40, v0
	;; [unrolled: 1-line block ×9, first 2 shown]
	ds_store_b32 v35, v1
	ds_store_b32 v36, v2
	ds_store_b32 v37, v3
	ds_store_b32 v38, v4
	ds_store_b32 v39, v5
	ds_store_b32 v40, v6
	ds_store_b32 v41, v7
	ds_store_b32 v42, v8
	v_add_nc_u32_e32 v35, 0xfffffcc0, v0
	v_add_nc_u32_e32 v36, 0xfffffcd0, v0
	;; [unrolled: 1-line block ×8, first 2 shown]
	ds_store_b32 v35, v9
	ds_store_b32 v36, v10
	;; [unrolled: 1-line block ×8, first 2 shown]
	v_add_nc_u32_e32 v35, 0xfffffd40, v0
	v_add_nc_u32_e32 v36, 0xfffffd50, v0
	;; [unrolled: 1-line block ×8, first 2 shown]
	ds_store_b32 v35, v18
	ds_store_b32 v36, v19
	;; [unrolled: 1-line block ×8, first 2 shown]
	v_add_nc_u32_e32 v35, 0xfffffdc0, v0
	v_add_nc_u32_e32 v36, 0xfffffdd0, v0
	;; [unrolled: 1-line block ×6, first 2 shown]
	ds_store_b32 v35, v26
	ds_store_b32 v36, v27
	;; [unrolled: 1-line block ×6, first 2 shown]
.LBB239_92:
	s_wait_alu 0xfffe
	s_or_b32 exec_lo, exec_lo, s0
	v_lshlrev_b32_e32 v0, 2, v33
	v_cmp_eq_u32_e32 vcc_lo, 0, v14
	s_mov_b32 s1, exec_lo
	s_wait_loadcnt_dscnt 0x0
	s_barrier_signal -1
	v_add3_u32 v14, 0x200, v34, v0
	s_barrier_wait -1
	global_inv scope:SCOPE_SE
	v_cmpx_gt_u32_e32 64, v148
	s_cbranch_execz .LBB239_125
; %bb.93:
	s_and_saveexec_b32 s0, vcc_lo
	s_cbranch_execnz .LBB239_163
; %bb.94:
	s_wait_alu 0xfffe
	s_or_b32 exec_lo, exec_lo, s0
	s_and_saveexec_b32 s0, vcc_lo
	s_cbranch_execnz .LBB239_164
.LBB239_95:
	s_wait_alu 0xfffe
	s_or_b32 exec_lo, exec_lo, s0
	s_and_saveexec_b32 s0, vcc_lo
	s_cbranch_execnz .LBB239_165
.LBB239_96:
	s_wait_alu 0xfffe
	s_or_b32 exec_lo, exec_lo, s0
	s_and_saveexec_b32 s0, vcc_lo
	s_cbranch_execnz .LBB239_166
.LBB239_97:
	s_wait_alu 0xfffe
	s_or_b32 exec_lo, exec_lo, s0
	s_and_saveexec_b32 s0, vcc_lo
	s_cbranch_execnz .LBB239_167
.LBB239_98:
	s_wait_alu 0xfffe
	s_or_b32 exec_lo, exec_lo, s0
	s_and_saveexec_b32 s0, vcc_lo
	s_cbranch_execnz .LBB239_168
.LBB239_99:
	s_wait_alu 0xfffe
	s_or_b32 exec_lo, exec_lo, s0
	s_and_saveexec_b32 s0, vcc_lo
	s_cbranch_execnz .LBB239_169
.LBB239_100:
	s_wait_alu 0xfffe
	s_or_b32 exec_lo, exec_lo, s0
	s_and_saveexec_b32 s0, vcc_lo
	s_cbranch_execnz .LBB239_170
.LBB239_101:
	s_wait_alu 0xfffe
	s_or_b32 exec_lo, exec_lo, s0
	s_and_saveexec_b32 s0, vcc_lo
	s_cbranch_execnz .LBB239_171
.LBB239_102:
	s_wait_alu 0xfffe
	s_or_b32 exec_lo, exec_lo, s0
	s_and_saveexec_b32 s0, vcc_lo
	s_cbranch_execnz .LBB239_172
.LBB239_103:
	s_wait_alu 0xfffe
	s_or_b32 exec_lo, exec_lo, s0
	s_and_saveexec_b32 s0, vcc_lo
	s_cbranch_execnz .LBB239_173
.LBB239_104:
	s_wait_alu 0xfffe
	s_or_b32 exec_lo, exec_lo, s0
	s_and_saveexec_b32 s0, vcc_lo
	s_cbranch_execnz .LBB239_174
.LBB239_105:
	s_wait_alu 0xfffe
	s_or_b32 exec_lo, exec_lo, s0
	s_and_saveexec_b32 s0, vcc_lo
	s_cbranch_execnz .LBB239_175
.LBB239_106:
	s_wait_alu 0xfffe
	s_or_b32 exec_lo, exec_lo, s0
	s_and_saveexec_b32 s0, vcc_lo
	s_cbranch_execnz .LBB239_176
.LBB239_107:
	s_wait_alu 0xfffe
	s_or_b32 exec_lo, exec_lo, s0
	s_and_saveexec_b32 s0, vcc_lo
	s_cbranch_execnz .LBB239_177
.LBB239_108:
	s_wait_alu 0xfffe
	s_or_b32 exec_lo, exec_lo, s0
	s_and_saveexec_b32 s0, vcc_lo
	s_cbranch_execnz .LBB239_178
.LBB239_109:
	s_wait_alu 0xfffe
	s_or_b32 exec_lo, exec_lo, s0
	s_and_saveexec_b32 s0, vcc_lo
	s_cbranch_execnz .LBB239_179
.LBB239_110:
	s_wait_alu 0xfffe
	s_or_b32 exec_lo, exec_lo, s0
	s_and_saveexec_b32 s0, vcc_lo
	s_cbranch_execnz .LBB239_180
.LBB239_111:
	s_wait_alu 0xfffe
	s_or_b32 exec_lo, exec_lo, s0
	s_and_saveexec_b32 s0, vcc_lo
	s_cbranch_execnz .LBB239_181
.LBB239_112:
	s_wait_alu 0xfffe
	s_or_b32 exec_lo, exec_lo, s0
	s_and_saveexec_b32 s0, vcc_lo
	s_cbranch_execnz .LBB239_182
.LBB239_113:
	s_wait_alu 0xfffe
	s_or_b32 exec_lo, exec_lo, s0
	s_and_saveexec_b32 s0, vcc_lo
	s_cbranch_execnz .LBB239_183
.LBB239_114:
	s_wait_alu 0xfffe
	s_or_b32 exec_lo, exec_lo, s0
	s_and_saveexec_b32 s0, vcc_lo
	s_cbranch_execnz .LBB239_184
.LBB239_115:
	s_wait_alu 0xfffe
	s_or_b32 exec_lo, exec_lo, s0
	s_and_saveexec_b32 s0, vcc_lo
	s_cbranch_execnz .LBB239_185
.LBB239_116:
	s_wait_alu 0xfffe
	s_or_b32 exec_lo, exec_lo, s0
	s_and_saveexec_b32 s0, vcc_lo
	s_cbranch_execnz .LBB239_186
.LBB239_117:
	s_wait_alu 0xfffe
	s_or_b32 exec_lo, exec_lo, s0
	s_and_saveexec_b32 s0, vcc_lo
	s_cbranch_execnz .LBB239_187
.LBB239_118:
	s_wait_alu 0xfffe
	s_or_b32 exec_lo, exec_lo, s0
	s_and_saveexec_b32 s0, vcc_lo
	s_cbranch_execnz .LBB239_188
.LBB239_119:
	s_wait_alu 0xfffe
	s_or_b32 exec_lo, exec_lo, s0
	s_and_saveexec_b32 s0, vcc_lo
	s_cbranch_execnz .LBB239_189
.LBB239_120:
	s_wait_alu 0xfffe
	s_or_b32 exec_lo, exec_lo, s0
	s_and_saveexec_b32 s0, vcc_lo
	s_cbranch_execnz .LBB239_190
.LBB239_121:
	s_wait_alu 0xfffe
	s_or_b32 exec_lo, exec_lo, s0
	s_and_saveexec_b32 s0, vcc_lo
	s_cbranch_execnz .LBB239_191
.LBB239_122:
	s_wait_alu 0xfffe
	s_or_b32 exec_lo, exec_lo, s0
	s_and_saveexec_b32 s0, vcc_lo
	s_cbranch_execz .LBB239_124
.LBB239_123:
	ds_load_b32 v0, v14 offset:464
	s_wait_dscnt 0x0
	v_add_f32_e32 v31, v31, v0
.LBB239_124:
	s_wait_alu 0xfffe
	s_or_b32 exec_lo, exec_lo, s0
.LBB239_125:
	s_wait_alu 0xfffe
	s_or_b32 exec_lo, exec_lo, s1
	v_and_b32_e32 v33, 0x3e7, v148
	s_mov_b32 s1, exec_lo
	s_wait_loadcnt 0x0
	s_barrier_signal -1
	s_barrier_wait -1
	global_inv scope:SCOPE_SE
	v_cmpx_eq_u32_e32 32, v33
	s_cbranch_execz .LBB239_127
; %bb.126:
	ds_store_2addr_b32 v32, v1, v2 offset1:4
	ds_store_2addr_b32 v32, v3, v4 offset0:8 offset1:12
	ds_store_2addr_b32 v32, v5, v6 offset0:16 offset1:20
	;; [unrolled: 1-line block ×14, first 2 shown]
.LBB239_127:
	s_wait_alu 0xfffe
	s_or_b32 exec_lo, exec_lo, s1
	s_delay_alu instid0(SALU_CYCLE_1)
	s_mov_b32 s1, exec_lo
	s_wait_loadcnt_dscnt 0x0
	s_barrier_signal -1
	s_barrier_wait -1
	global_inv scope:SCOPE_SE
	v_cmpx_gt_u32_e32 32, v148
	s_cbranch_execz .LBB239_160
; %bb.128:
	s_and_saveexec_b32 s0, vcc_lo
	s_cbranch_execnz .LBB239_192
; %bb.129:
	s_wait_alu 0xfffe
	s_or_b32 exec_lo, exec_lo, s0
	s_and_saveexec_b32 s0, vcc_lo
	s_cbranch_execnz .LBB239_193
.LBB239_130:
	s_wait_alu 0xfffe
	s_or_b32 exec_lo, exec_lo, s0
	s_and_saveexec_b32 s0, vcc_lo
	s_cbranch_execnz .LBB239_194
.LBB239_131:
	s_wait_alu 0xfffe
	s_or_b32 exec_lo, exec_lo, s0
	s_and_saveexec_b32 s0, vcc_lo
	s_cbranch_execnz .LBB239_195
.LBB239_132:
	s_wait_alu 0xfffe
	s_or_b32 exec_lo, exec_lo, s0
	s_and_saveexec_b32 s0, vcc_lo
	s_cbranch_execnz .LBB239_196
.LBB239_133:
	s_wait_alu 0xfffe
	s_or_b32 exec_lo, exec_lo, s0
	s_and_saveexec_b32 s0, vcc_lo
	s_cbranch_execnz .LBB239_197
.LBB239_134:
	s_wait_alu 0xfffe
	s_or_b32 exec_lo, exec_lo, s0
	s_and_saveexec_b32 s0, vcc_lo
	s_cbranch_execnz .LBB239_198
.LBB239_135:
	s_wait_alu 0xfffe
	s_or_b32 exec_lo, exec_lo, s0
	s_and_saveexec_b32 s0, vcc_lo
	s_cbranch_execnz .LBB239_199
.LBB239_136:
	s_wait_alu 0xfffe
	s_or_b32 exec_lo, exec_lo, s0
	s_and_saveexec_b32 s0, vcc_lo
	s_cbranch_execnz .LBB239_200
.LBB239_137:
	s_wait_alu 0xfffe
	s_or_b32 exec_lo, exec_lo, s0
	s_and_saveexec_b32 s0, vcc_lo
	s_cbranch_execnz .LBB239_201
.LBB239_138:
	s_wait_alu 0xfffe
	s_or_b32 exec_lo, exec_lo, s0
	s_and_saveexec_b32 s0, vcc_lo
	s_cbranch_execnz .LBB239_202
.LBB239_139:
	s_wait_alu 0xfffe
	s_or_b32 exec_lo, exec_lo, s0
	s_and_saveexec_b32 s0, vcc_lo
	s_cbranch_execnz .LBB239_203
.LBB239_140:
	s_wait_alu 0xfffe
	s_or_b32 exec_lo, exec_lo, s0
	s_and_saveexec_b32 s0, vcc_lo
	s_cbranch_execnz .LBB239_204
.LBB239_141:
	s_wait_alu 0xfffe
	s_or_b32 exec_lo, exec_lo, s0
	s_and_saveexec_b32 s0, vcc_lo
	s_cbranch_execnz .LBB239_205
.LBB239_142:
	s_wait_alu 0xfffe
	s_or_b32 exec_lo, exec_lo, s0
	s_and_saveexec_b32 s0, vcc_lo
	s_cbranch_execnz .LBB239_206
.LBB239_143:
	s_wait_alu 0xfffe
	s_or_b32 exec_lo, exec_lo, s0
	s_and_saveexec_b32 s0, vcc_lo
	s_cbranch_execnz .LBB239_207
.LBB239_144:
	s_wait_alu 0xfffe
	s_or_b32 exec_lo, exec_lo, s0
	s_and_saveexec_b32 s0, vcc_lo
	s_cbranch_execnz .LBB239_208
.LBB239_145:
	s_wait_alu 0xfffe
	s_or_b32 exec_lo, exec_lo, s0
	s_and_saveexec_b32 s0, vcc_lo
	s_cbranch_execnz .LBB239_209
.LBB239_146:
	s_wait_alu 0xfffe
	s_or_b32 exec_lo, exec_lo, s0
	s_and_saveexec_b32 s0, vcc_lo
	s_cbranch_execnz .LBB239_210
.LBB239_147:
	s_wait_alu 0xfffe
	s_or_b32 exec_lo, exec_lo, s0
	s_and_saveexec_b32 s0, vcc_lo
	s_cbranch_execnz .LBB239_211
.LBB239_148:
	s_wait_alu 0xfffe
	s_or_b32 exec_lo, exec_lo, s0
	s_and_saveexec_b32 s0, vcc_lo
	s_cbranch_execnz .LBB239_212
.LBB239_149:
	s_wait_alu 0xfffe
	s_or_b32 exec_lo, exec_lo, s0
	s_and_saveexec_b32 s0, vcc_lo
	s_cbranch_execnz .LBB239_213
.LBB239_150:
	s_wait_alu 0xfffe
	s_or_b32 exec_lo, exec_lo, s0
	s_and_saveexec_b32 s0, vcc_lo
	s_cbranch_execnz .LBB239_214
.LBB239_151:
	s_wait_alu 0xfffe
	s_or_b32 exec_lo, exec_lo, s0
	s_and_saveexec_b32 s0, vcc_lo
	s_cbranch_execnz .LBB239_215
.LBB239_152:
	s_wait_alu 0xfffe
	s_or_b32 exec_lo, exec_lo, s0
	s_and_saveexec_b32 s0, vcc_lo
	s_cbranch_execnz .LBB239_216
.LBB239_153:
	s_wait_alu 0xfffe
	s_or_b32 exec_lo, exec_lo, s0
	s_and_saveexec_b32 s0, vcc_lo
	s_cbranch_execnz .LBB239_217
.LBB239_154:
	s_wait_alu 0xfffe
	s_or_b32 exec_lo, exec_lo, s0
	s_and_saveexec_b32 s0, vcc_lo
	s_cbranch_execnz .LBB239_218
.LBB239_155:
	s_wait_alu 0xfffe
	s_or_b32 exec_lo, exec_lo, s0
	s_and_saveexec_b32 s0, vcc_lo
	s_cbranch_execnz .LBB239_219
.LBB239_156:
	s_wait_alu 0xfffe
	s_or_b32 exec_lo, exec_lo, s0
	s_and_saveexec_b32 s0, vcc_lo
	s_cbranch_execnz .LBB239_220
.LBB239_157:
	s_wait_alu 0xfffe
	s_or_b32 exec_lo, exec_lo, s0
	s_and_saveexec_b32 s0, vcc_lo
	s_cbranch_execz .LBB239_159
.LBB239_158:
	ds_load_b32 v0, v14 offset:464
	s_wait_dscnt 0x0
	v_add_f32_e32 v31, v31, v0
.LBB239_159:
	s_wait_alu 0xfffe
	s_or_b32 exec_lo, exec_lo, s0
.LBB239_160:
	s_wait_alu 0xfffe
	s_or_b32 exec_lo, exec_lo, s1
	s_mov_b32 s1, 0
	s_wait_loadcnt 0x0
	s_barrier_signal -1
	s_barrier_wait -1
	global_inv scope:SCOPE_SE
	s_mov_b32 s0, exec_lo
	v_cmpx_eq_u32_e32 0, v33
	s_cbranch_execz .LBB239_162
; %bb.161:
	s_mul_i32 s2, s14, 0x78
	s_mul_i32 s6, s12, s16
	s_wait_alu 0xfffe
	s_ashr_i32 s3, s2, 31
	s_ashr_i32 s7, s6, 31
	s_wait_alu 0xfffe
	s_lshl_b64 s[2:3], s[2:3], 2
	s_lshl_b64 s[6:7], s[6:7], 2
	s_wait_kmcnt 0x0
	s_wait_alu 0xfffe
	s_add_nc_u64 s[2:3], s[4:5], s[2:3]
	v_lshrrev_b32_e32 v0, 1, v148
	s_mul_i32 s0, s26, 0x1e0
	s_wait_alu 0xfffe
	s_add_nc_u64 s[2:3], s[2:3], s[6:7]
	s_wait_alu 0xfffe
	s_add_nc_u64 s[0:1], s[2:3], s[0:1]
	s_clause 0x1d
	global_store_b32 v0, v1, s[0:1]
	global_store_b32 v0, v2, s[0:1] offset:16
	global_store_b32 v0, v3, s[0:1] offset:32
	;; [unrolled: 1-line block ×29, first 2 shown]
.LBB239_162:
	s_nop 0
	s_sendmsg sendmsg(MSG_DEALLOC_VGPRS)
	s_endpgm
.LBB239_163:
	ds_load_b32 v0, v14
	s_wait_dscnt 0x0
	v_add_f32_e32 v1, v1, v0
	s_wait_alu 0xfffe
	s_or_b32 exec_lo, exec_lo, s0
	s_and_saveexec_b32 s0, vcc_lo
	s_cbranch_execz .LBB239_95
.LBB239_164:
	ds_load_b32 v0, v14 offset:16
	s_wait_dscnt 0x0
	v_add_f32_e32 v2, v2, v0
	s_wait_alu 0xfffe
	s_or_b32 exec_lo, exec_lo, s0
	s_and_saveexec_b32 s0, vcc_lo
	s_cbranch_execz .LBB239_96
.LBB239_165:
	ds_load_b32 v0, v14 offset:32
	s_wait_dscnt 0x0
	v_add_f32_e32 v3, v3, v0
	s_wait_alu 0xfffe
	s_or_b32 exec_lo, exec_lo, s0
	s_and_saveexec_b32 s0, vcc_lo
	s_cbranch_execz .LBB239_97
.LBB239_166:
	ds_load_b32 v0, v14 offset:48
	s_wait_dscnt 0x0
	v_add_f32_e32 v4, v4, v0
	s_wait_alu 0xfffe
	s_or_b32 exec_lo, exec_lo, s0
	s_and_saveexec_b32 s0, vcc_lo
	s_cbranch_execz .LBB239_98
.LBB239_167:
	ds_load_b32 v0, v14 offset:64
	s_wait_dscnt 0x0
	v_add_f32_e32 v5, v5, v0
	s_wait_alu 0xfffe
	s_or_b32 exec_lo, exec_lo, s0
	s_and_saveexec_b32 s0, vcc_lo
	s_cbranch_execz .LBB239_99
.LBB239_168:
	ds_load_b32 v0, v14 offset:80
	s_wait_dscnt 0x0
	v_add_f32_e32 v6, v6, v0
	s_wait_alu 0xfffe
	s_or_b32 exec_lo, exec_lo, s0
	s_and_saveexec_b32 s0, vcc_lo
	s_cbranch_execz .LBB239_100
.LBB239_169:
	ds_load_b32 v0, v14 offset:96
	s_wait_dscnt 0x0
	v_add_f32_e32 v7, v7, v0
	s_wait_alu 0xfffe
	s_or_b32 exec_lo, exec_lo, s0
	s_and_saveexec_b32 s0, vcc_lo
	s_cbranch_execz .LBB239_101
.LBB239_170:
	ds_load_b32 v0, v14 offset:112
	s_wait_dscnt 0x0
	v_add_f32_e32 v8, v8, v0
	s_wait_alu 0xfffe
	s_or_b32 exec_lo, exec_lo, s0
	s_and_saveexec_b32 s0, vcc_lo
	s_cbranch_execz .LBB239_102
.LBB239_171:
	ds_load_b32 v0, v14 offset:128
	s_wait_dscnt 0x0
	v_add_f32_e32 v9, v9, v0
	s_wait_alu 0xfffe
	s_or_b32 exec_lo, exec_lo, s0
	s_and_saveexec_b32 s0, vcc_lo
	s_cbranch_execz .LBB239_103
.LBB239_172:
	ds_load_b32 v0, v14 offset:144
	s_wait_dscnt 0x0
	v_add_f32_e32 v10, v10, v0
	s_wait_alu 0xfffe
	s_or_b32 exec_lo, exec_lo, s0
	s_and_saveexec_b32 s0, vcc_lo
	s_cbranch_execz .LBB239_104
.LBB239_173:
	ds_load_b32 v0, v14 offset:160
	s_wait_dscnt 0x0
	v_add_f32_e32 v12, v12, v0
	s_wait_alu 0xfffe
	s_or_b32 exec_lo, exec_lo, s0
	s_and_saveexec_b32 s0, vcc_lo
	s_cbranch_execz .LBB239_105
.LBB239_174:
	ds_load_b32 v0, v14 offset:176
	s_wait_dscnt 0x0
	v_add_f32_e32 v13, v13, v0
	s_wait_alu 0xfffe
	s_or_b32 exec_lo, exec_lo, s0
	s_and_saveexec_b32 s0, vcc_lo
	s_cbranch_execz .LBB239_106
.LBB239_175:
	ds_load_b32 v0, v14 offset:192
	s_wait_dscnt 0x0
	v_add_f32_e32 v11, v11, v0
	s_wait_alu 0xfffe
	s_or_b32 exec_lo, exec_lo, s0
	s_and_saveexec_b32 s0, vcc_lo
	s_cbranch_execz .LBB239_107
.LBB239_176:
	ds_load_b32 v0, v14 offset:208
	s_wait_dscnt 0x0
	v_add_f32_e32 v15, v15, v0
	s_wait_alu 0xfffe
	s_or_b32 exec_lo, exec_lo, s0
	s_and_saveexec_b32 s0, vcc_lo
	s_cbranch_execz .LBB239_108
.LBB239_177:
	ds_load_b32 v0, v14 offset:224
	s_wait_dscnt 0x0
	v_add_f32_e32 v16, v16, v0
	s_wait_alu 0xfffe
	s_or_b32 exec_lo, exec_lo, s0
	s_and_saveexec_b32 s0, vcc_lo
	s_cbranch_execz .LBB239_109
.LBB239_178:
	ds_load_b32 v0, v14 offset:240
	s_wait_dscnt 0x0
	v_add_f32_e32 v17, v17, v0
	s_wait_alu 0xfffe
	s_or_b32 exec_lo, exec_lo, s0
	s_and_saveexec_b32 s0, vcc_lo
	s_cbranch_execz .LBB239_110
.LBB239_179:
	ds_load_b32 v0, v14 offset:256
	s_wait_dscnt 0x0
	v_add_f32_e32 v18, v18, v0
	s_wait_alu 0xfffe
	s_or_b32 exec_lo, exec_lo, s0
	s_and_saveexec_b32 s0, vcc_lo
	s_cbranch_execz .LBB239_111
.LBB239_180:
	ds_load_b32 v0, v14 offset:272
	s_wait_dscnt 0x0
	v_add_f32_e32 v19, v19, v0
	s_wait_alu 0xfffe
	s_or_b32 exec_lo, exec_lo, s0
	s_and_saveexec_b32 s0, vcc_lo
	s_cbranch_execz .LBB239_112
.LBB239_181:
	ds_load_b32 v0, v14 offset:288
	s_wait_dscnt 0x0
	v_add_f32_e32 v20, v20, v0
	s_wait_alu 0xfffe
	s_or_b32 exec_lo, exec_lo, s0
	s_and_saveexec_b32 s0, vcc_lo
	s_cbranch_execz .LBB239_113
.LBB239_182:
	ds_load_b32 v0, v14 offset:304
	s_wait_dscnt 0x0
	v_add_f32_e32 v21, v21, v0
	s_wait_alu 0xfffe
	s_or_b32 exec_lo, exec_lo, s0
	s_and_saveexec_b32 s0, vcc_lo
	s_cbranch_execz .LBB239_114
.LBB239_183:
	ds_load_b32 v0, v14 offset:320
	s_wait_dscnt 0x0
	v_add_f32_e32 v22, v22, v0
	s_wait_alu 0xfffe
	s_or_b32 exec_lo, exec_lo, s0
	s_and_saveexec_b32 s0, vcc_lo
	s_cbranch_execz .LBB239_115
.LBB239_184:
	ds_load_b32 v0, v14 offset:336
	s_wait_dscnt 0x0
	v_add_f32_e32 v23, v23, v0
	s_wait_alu 0xfffe
	s_or_b32 exec_lo, exec_lo, s0
	s_and_saveexec_b32 s0, vcc_lo
	s_cbranch_execz .LBB239_116
.LBB239_185:
	ds_load_b32 v0, v14 offset:352
	s_wait_dscnt 0x0
	v_add_f32_e32 v24, v24, v0
	s_wait_alu 0xfffe
	s_or_b32 exec_lo, exec_lo, s0
	s_and_saveexec_b32 s0, vcc_lo
	s_cbranch_execz .LBB239_117
.LBB239_186:
	ds_load_b32 v0, v14 offset:368
	s_wait_dscnt 0x0
	v_add_f32_e32 v25, v25, v0
	s_wait_alu 0xfffe
	s_or_b32 exec_lo, exec_lo, s0
	s_and_saveexec_b32 s0, vcc_lo
	s_cbranch_execz .LBB239_118
.LBB239_187:
	ds_load_b32 v0, v14 offset:384
	s_wait_dscnt 0x0
	v_add_f32_e32 v26, v26, v0
	s_wait_alu 0xfffe
	s_or_b32 exec_lo, exec_lo, s0
	s_and_saveexec_b32 s0, vcc_lo
	s_cbranch_execz .LBB239_119
.LBB239_188:
	ds_load_b32 v0, v14 offset:400
	s_wait_dscnt 0x0
	v_add_f32_e32 v27, v27, v0
	s_wait_alu 0xfffe
	s_or_b32 exec_lo, exec_lo, s0
	s_and_saveexec_b32 s0, vcc_lo
	s_cbranch_execz .LBB239_120
.LBB239_189:
	ds_load_b32 v0, v14 offset:416
	s_wait_dscnt 0x0
	v_add_f32_e32 v28, v28, v0
	s_wait_alu 0xfffe
	s_or_b32 exec_lo, exec_lo, s0
	s_and_saveexec_b32 s0, vcc_lo
	s_cbranch_execz .LBB239_121
.LBB239_190:
	ds_load_b32 v0, v14 offset:432
	s_wait_dscnt 0x0
	v_add_f32_e32 v29, v29, v0
	s_wait_alu 0xfffe
	s_or_b32 exec_lo, exec_lo, s0
	s_and_saveexec_b32 s0, vcc_lo
	s_cbranch_execz .LBB239_122
.LBB239_191:
	ds_load_b32 v0, v14 offset:448
	s_wait_dscnt 0x0
	v_add_f32_e32 v30, v30, v0
	s_wait_alu 0xfffe
	s_or_b32 exec_lo, exec_lo, s0
	s_and_saveexec_b32 s0, vcc_lo
	s_cbranch_execnz .LBB239_123
	s_branch .LBB239_124
.LBB239_192:
	ds_load_b32 v0, v14
	s_wait_dscnt 0x0
	v_add_f32_e32 v1, v1, v0
	s_wait_alu 0xfffe
	s_or_b32 exec_lo, exec_lo, s0
	s_and_saveexec_b32 s0, vcc_lo
	s_cbranch_execz .LBB239_130
.LBB239_193:
	ds_load_b32 v0, v14 offset:16
	s_wait_dscnt 0x0
	v_add_f32_e32 v2, v2, v0
	s_wait_alu 0xfffe
	s_or_b32 exec_lo, exec_lo, s0
	s_and_saveexec_b32 s0, vcc_lo
	s_cbranch_execz .LBB239_131
.LBB239_194:
	ds_load_b32 v0, v14 offset:32
	s_wait_dscnt 0x0
	v_add_f32_e32 v3, v3, v0
	s_wait_alu 0xfffe
	s_or_b32 exec_lo, exec_lo, s0
	s_and_saveexec_b32 s0, vcc_lo
	s_cbranch_execz .LBB239_132
.LBB239_195:
	ds_load_b32 v0, v14 offset:48
	s_wait_dscnt 0x0
	v_add_f32_e32 v4, v4, v0
	s_wait_alu 0xfffe
	s_or_b32 exec_lo, exec_lo, s0
	s_and_saveexec_b32 s0, vcc_lo
	s_cbranch_execz .LBB239_133
.LBB239_196:
	ds_load_b32 v0, v14 offset:64
	s_wait_dscnt 0x0
	v_add_f32_e32 v5, v5, v0
	s_wait_alu 0xfffe
	s_or_b32 exec_lo, exec_lo, s0
	s_and_saveexec_b32 s0, vcc_lo
	s_cbranch_execz .LBB239_134
.LBB239_197:
	ds_load_b32 v0, v14 offset:80
	s_wait_dscnt 0x0
	v_add_f32_e32 v6, v6, v0
	s_wait_alu 0xfffe
	s_or_b32 exec_lo, exec_lo, s0
	s_and_saveexec_b32 s0, vcc_lo
	s_cbranch_execz .LBB239_135
.LBB239_198:
	ds_load_b32 v0, v14 offset:96
	s_wait_dscnt 0x0
	v_add_f32_e32 v7, v7, v0
	s_wait_alu 0xfffe
	s_or_b32 exec_lo, exec_lo, s0
	s_and_saveexec_b32 s0, vcc_lo
	s_cbranch_execz .LBB239_136
.LBB239_199:
	ds_load_b32 v0, v14 offset:112
	s_wait_dscnt 0x0
	v_add_f32_e32 v8, v8, v0
	s_wait_alu 0xfffe
	s_or_b32 exec_lo, exec_lo, s0
	s_and_saveexec_b32 s0, vcc_lo
	s_cbranch_execz .LBB239_137
.LBB239_200:
	ds_load_b32 v0, v14 offset:128
	s_wait_dscnt 0x0
	v_add_f32_e32 v9, v9, v0
	s_wait_alu 0xfffe
	s_or_b32 exec_lo, exec_lo, s0
	s_and_saveexec_b32 s0, vcc_lo
	s_cbranch_execz .LBB239_138
.LBB239_201:
	ds_load_b32 v0, v14 offset:144
	s_wait_dscnt 0x0
	v_add_f32_e32 v10, v10, v0
	s_wait_alu 0xfffe
	s_or_b32 exec_lo, exec_lo, s0
	s_and_saveexec_b32 s0, vcc_lo
	s_cbranch_execz .LBB239_139
.LBB239_202:
	ds_load_b32 v0, v14 offset:160
	s_wait_dscnt 0x0
	v_add_f32_e32 v12, v12, v0
	s_wait_alu 0xfffe
	s_or_b32 exec_lo, exec_lo, s0
	s_and_saveexec_b32 s0, vcc_lo
	s_cbranch_execz .LBB239_140
.LBB239_203:
	ds_load_b32 v0, v14 offset:176
	s_wait_dscnt 0x0
	v_add_f32_e32 v13, v13, v0
	s_wait_alu 0xfffe
	s_or_b32 exec_lo, exec_lo, s0
	s_and_saveexec_b32 s0, vcc_lo
	s_cbranch_execz .LBB239_141
.LBB239_204:
	ds_load_b32 v0, v14 offset:192
	s_wait_dscnt 0x0
	v_add_f32_e32 v11, v11, v0
	s_wait_alu 0xfffe
	s_or_b32 exec_lo, exec_lo, s0
	s_and_saveexec_b32 s0, vcc_lo
	s_cbranch_execz .LBB239_142
.LBB239_205:
	ds_load_b32 v0, v14 offset:208
	s_wait_dscnt 0x0
	v_add_f32_e32 v15, v15, v0
	s_wait_alu 0xfffe
	s_or_b32 exec_lo, exec_lo, s0
	s_and_saveexec_b32 s0, vcc_lo
	s_cbranch_execz .LBB239_143
.LBB239_206:
	ds_load_b32 v0, v14 offset:224
	s_wait_dscnt 0x0
	v_add_f32_e32 v16, v16, v0
	s_wait_alu 0xfffe
	s_or_b32 exec_lo, exec_lo, s0
	s_and_saveexec_b32 s0, vcc_lo
	s_cbranch_execz .LBB239_144
.LBB239_207:
	ds_load_b32 v0, v14 offset:240
	s_wait_dscnt 0x0
	v_add_f32_e32 v17, v17, v0
	s_wait_alu 0xfffe
	s_or_b32 exec_lo, exec_lo, s0
	s_and_saveexec_b32 s0, vcc_lo
	s_cbranch_execz .LBB239_145
.LBB239_208:
	ds_load_b32 v0, v14 offset:256
	s_wait_dscnt 0x0
	v_add_f32_e32 v18, v18, v0
	s_wait_alu 0xfffe
	s_or_b32 exec_lo, exec_lo, s0
	s_and_saveexec_b32 s0, vcc_lo
	s_cbranch_execz .LBB239_146
.LBB239_209:
	ds_load_b32 v0, v14 offset:272
	s_wait_dscnt 0x0
	v_add_f32_e32 v19, v19, v0
	s_wait_alu 0xfffe
	s_or_b32 exec_lo, exec_lo, s0
	s_and_saveexec_b32 s0, vcc_lo
	s_cbranch_execz .LBB239_147
.LBB239_210:
	ds_load_b32 v0, v14 offset:288
	s_wait_dscnt 0x0
	v_add_f32_e32 v20, v20, v0
	s_wait_alu 0xfffe
	s_or_b32 exec_lo, exec_lo, s0
	s_and_saveexec_b32 s0, vcc_lo
	s_cbranch_execz .LBB239_148
.LBB239_211:
	ds_load_b32 v0, v14 offset:304
	s_wait_dscnt 0x0
	v_add_f32_e32 v21, v21, v0
	s_wait_alu 0xfffe
	s_or_b32 exec_lo, exec_lo, s0
	s_and_saveexec_b32 s0, vcc_lo
	s_cbranch_execz .LBB239_149
.LBB239_212:
	ds_load_b32 v0, v14 offset:320
	s_wait_dscnt 0x0
	v_add_f32_e32 v22, v22, v0
	s_wait_alu 0xfffe
	s_or_b32 exec_lo, exec_lo, s0
	s_and_saveexec_b32 s0, vcc_lo
	s_cbranch_execz .LBB239_150
.LBB239_213:
	ds_load_b32 v0, v14 offset:336
	s_wait_dscnt 0x0
	v_add_f32_e32 v23, v23, v0
	s_wait_alu 0xfffe
	s_or_b32 exec_lo, exec_lo, s0
	s_and_saveexec_b32 s0, vcc_lo
	s_cbranch_execz .LBB239_151
.LBB239_214:
	ds_load_b32 v0, v14 offset:352
	s_wait_dscnt 0x0
	v_add_f32_e32 v24, v24, v0
	s_wait_alu 0xfffe
	s_or_b32 exec_lo, exec_lo, s0
	s_and_saveexec_b32 s0, vcc_lo
	s_cbranch_execz .LBB239_152
.LBB239_215:
	ds_load_b32 v0, v14 offset:368
	s_wait_dscnt 0x0
	v_add_f32_e32 v25, v25, v0
	s_wait_alu 0xfffe
	s_or_b32 exec_lo, exec_lo, s0
	s_and_saveexec_b32 s0, vcc_lo
	s_cbranch_execz .LBB239_153
.LBB239_216:
	ds_load_b32 v0, v14 offset:384
	s_wait_dscnt 0x0
	v_add_f32_e32 v26, v26, v0
	s_wait_alu 0xfffe
	s_or_b32 exec_lo, exec_lo, s0
	s_and_saveexec_b32 s0, vcc_lo
	s_cbranch_execz .LBB239_154
.LBB239_217:
	ds_load_b32 v0, v14 offset:400
	s_wait_dscnt 0x0
	v_add_f32_e32 v27, v27, v0
	s_wait_alu 0xfffe
	s_or_b32 exec_lo, exec_lo, s0
	s_and_saveexec_b32 s0, vcc_lo
	s_cbranch_execz .LBB239_155
.LBB239_218:
	ds_load_b32 v0, v14 offset:416
	s_wait_dscnt 0x0
	v_add_f32_e32 v28, v28, v0
	s_wait_alu 0xfffe
	s_or_b32 exec_lo, exec_lo, s0
	s_and_saveexec_b32 s0, vcc_lo
	s_cbranch_execz .LBB239_156
.LBB239_219:
	ds_load_b32 v0, v14 offset:432
	s_wait_dscnt 0x0
	v_add_f32_e32 v29, v29, v0
	s_wait_alu 0xfffe
	s_or_b32 exec_lo, exec_lo, s0
	s_and_saveexec_b32 s0, vcc_lo
	s_cbranch_execz .LBB239_157
.LBB239_220:
	ds_load_b32 v0, v14 offset:448
	s_wait_dscnt 0x0
	v_add_f32_e32 v30, v30, v0
	s_wait_alu 0xfffe
	s_or_b32 exec_lo, exec_lo, s0
	s_and_saveexec_b32 s0, vcc_lo
	s_cbranch_execnz .LBB239_158
	s_branch .LBB239_159
	.section	.rodata,"a",@progbits
	.p2align	6, 0x0
	.amdhsa_kernel _ZN4vllm25paged_attention_v2_kernelIfhLi120ELi32ELi128ELNS_18Fp8KVCacheDataTypeE1ELb0ELi512EEEvPfS2_PT_PKS3_PKT0_S9_ifPKiSB_iPKfiiiSD_SD_iiiii
		.amdhsa_group_segment_fixed_size 512
		.amdhsa_private_segment_fixed_size 292
		.amdhsa_kernarg_size 400
		.amdhsa_user_sgpr_count 2
		.amdhsa_user_sgpr_dispatch_ptr 0
		.amdhsa_user_sgpr_queue_ptr 0
		.amdhsa_user_sgpr_kernarg_segment_ptr 1
		.amdhsa_user_sgpr_dispatch_id 0
		.amdhsa_user_sgpr_private_segment_size 0
		.amdhsa_wavefront_size32 1
		.amdhsa_uses_dynamic_stack 0
		.amdhsa_enable_private_segment 1
		.amdhsa_system_sgpr_workgroup_id_x 1
		.amdhsa_system_sgpr_workgroup_id_y 1
		.amdhsa_system_sgpr_workgroup_id_z 1
		.amdhsa_system_sgpr_workgroup_info 0
		.amdhsa_system_vgpr_workitem_id 0
		.amdhsa_next_free_vgpr 192
		.amdhsa_next_free_sgpr 36
		.amdhsa_reserve_vcc 1
		.amdhsa_float_round_mode_32 0
		.amdhsa_float_round_mode_16_64 0
		.amdhsa_float_denorm_mode_32 3
		.amdhsa_float_denorm_mode_16_64 3
		.amdhsa_fp16_overflow 0
		.amdhsa_workgroup_processor_mode 1
		.amdhsa_memory_ordered 1
		.amdhsa_forward_progress 1
		.amdhsa_inst_pref_size 131
		.amdhsa_round_robin_scheduling 0
		.amdhsa_exception_fp_ieee_invalid_op 0
		.amdhsa_exception_fp_denorm_src 0
		.amdhsa_exception_fp_ieee_div_zero 0
		.amdhsa_exception_fp_ieee_overflow 0
		.amdhsa_exception_fp_ieee_underflow 0
		.amdhsa_exception_fp_ieee_inexact 0
		.amdhsa_exception_int_div_zero 0
	.end_amdhsa_kernel
	.section	.text._ZN4vllm25paged_attention_v2_kernelIfhLi120ELi32ELi128ELNS_18Fp8KVCacheDataTypeE1ELb0ELi512EEEvPfS2_PT_PKS3_PKT0_S9_ifPKiSB_iPKfiiiSD_SD_iiiii,"axG",@progbits,_ZN4vllm25paged_attention_v2_kernelIfhLi120ELi32ELi128ELNS_18Fp8KVCacheDataTypeE1ELb0ELi512EEEvPfS2_PT_PKS3_PKT0_S9_ifPKiSB_iPKfiiiSD_SD_iiiii,comdat
.Lfunc_end239:
	.size	_ZN4vllm25paged_attention_v2_kernelIfhLi120ELi32ELi128ELNS_18Fp8KVCacheDataTypeE1ELb0ELi512EEEvPfS2_PT_PKS3_PKT0_S9_ifPKiSB_iPKfiiiSD_SD_iiiii, .Lfunc_end239-_ZN4vllm25paged_attention_v2_kernelIfhLi120ELi32ELi128ELNS_18Fp8KVCacheDataTypeE1ELb0ELi512EEEvPfS2_PT_PKS3_PKT0_S9_ifPKiSB_iPKfiiiSD_SD_iiiii
                                        ; -- End function
	.set _ZN4vllm25paged_attention_v2_kernelIfhLi120ELi32ELi128ELNS_18Fp8KVCacheDataTypeE1ELb0ELi512EEEvPfS2_PT_PKS3_PKT0_S9_ifPKiSB_iPKfiiiSD_SD_iiiii.num_vgpr, 192
	.set _ZN4vllm25paged_attention_v2_kernelIfhLi120ELi32ELi128ELNS_18Fp8KVCacheDataTypeE1ELb0ELi512EEEvPfS2_PT_PKS3_PKT0_S9_ifPKiSB_iPKfiiiSD_SD_iiiii.num_agpr, 0
	.set _ZN4vllm25paged_attention_v2_kernelIfhLi120ELi32ELi128ELNS_18Fp8KVCacheDataTypeE1ELb0ELi512EEEvPfS2_PT_PKS3_PKT0_S9_ifPKiSB_iPKfiiiSD_SD_iiiii.numbered_sgpr, 36
	.set _ZN4vllm25paged_attention_v2_kernelIfhLi120ELi32ELi128ELNS_18Fp8KVCacheDataTypeE1ELb0ELi512EEEvPfS2_PT_PKS3_PKT0_S9_ifPKiSB_iPKfiiiSD_SD_iiiii.num_named_barrier, 0
	.set _ZN4vllm25paged_attention_v2_kernelIfhLi120ELi32ELi128ELNS_18Fp8KVCacheDataTypeE1ELb0ELi512EEEvPfS2_PT_PKS3_PKT0_S9_ifPKiSB_iPKfiiiSD_SD_iiiii.private_seg_size, 292
	.set _ZN4vllm25paged_attention_v2_kernelIfhLi120ELi32ELi128ELNS_18Fp8KVCacheDataTypeE1ELb0ELi512EEEvPfS2_PT_PKS3_PKT0_S9_ifPKiSB_iPKfiiiSD_SD_iiiii.uses_vcc, 1
	.set _ZN4vllm25paged_attention_v2_kernelIfhLi120ELi32ELi128ELNS_18Fp8KVCacheDataTypeE1ELb0ELi512EEEvPfS2_PT_PKS3_PKT0_S9_ifPKiSB_iPKfiiiSD_SD_iiiii.uses_flat_scratch, 1
	.set _ZN4vllm25paged_attention_v2_kernelIfhLi120ELi32ELi128ELNS_18Fp8KVCacheDataTypeE1ELb0ELi512EEEvPfS2_PT_PKS3_PKT0_S9_ifPKiSB_iPKfiiiSD_SD_iiiii.has_dyn_sized_stack, 0
	.set _ZN4vllm25paged_attention_v2_kernelIfhLi120ELi32ELi128ELNS_18Fp8KVCacheDataTypeE1ELb0ELi512EEEvPfS2_PT_PKS3_PKT0_S9_ifPKiSB_iPKfiiiSD_SD_iiiii.has_recursion, 0
	.set _ZN4vllm25paged_attention_v2_kernelIfhLi120ELi32ELi128ELNS_18Fp8KVCacheDataTypeE1ELb0ELi512EEEvPfS2_PT_PKS3_PKT0_S9_ifPKiSB_iPKfiiiSD_SD_iiiii.has_indirect_call, 0
	.section	.AMDGPU.csdata,"",@progbits
; Kernel info:
; codeLenInByte = 16736
; TotalNumSgprs: 38
; NumVgprs: 192
; ScratchSize: 292
; MemoryBound: 0
; FloatMode: 240
; IeeeMode: 1
; LDSByteSize: 512 bytes/workgroup (compile time only)
; SGPRBlocks: 0
; VGPRBlocks: 23
; NumSGPRsForWavesPerEU: 38
; NumVGPRsForWavesPerEU: 192
; Occupancy: 8
; WaveLimiterHint : 1
; COMPUTE_PGM_RSRC2:SCRATCH_EN: 1
; COMPUTE_PGM_RSRC2:USER_SGPR: 2
; COMPUTE_PGM_RSRC2:TRAP_HANDLER: 0
; COMPUTE_PGM_RSRC2:TGID_X_EN: 1
; COMPUTE_PGM_RSRC2:TGID_Y_EN: 1
; COMPUTE_PGM_RSRC2:TGID_Z_EN: 1
; COMPUTE_PGM_RSRC2:TIDIG_COMP_CNT: 0
	.section	.text._ZN4vllm25paged_attention_v2_kernelIfhLi128ELi32ELi128ELNS_18Fp8KVCacheDataTypeE1ELb0ELi512EEEvPfS2_PT_PKS3_PKT0_S9_ifPKiSB_iPKfiiiSD_SD_iiiii,"axG",@progbits,_ZN4vllm25paged_attention_v2_kernelIfhLi128ELi32ELi128ELNS_18Fp8KVCacheDataTypeE1ELb0ELi512EEEvPfS2_PT_PKS3_PKT0_S9_ifPKiSB_iPKfiiiSD_SD_iiiii,comdat
	.protected	_ZN4vllm25paged_attention_v2_kernelIfhLi128ELi32ELi128ELNS_18Fp8KVCacheDataTypeE1ELb0ELi512EEEvPfS2_PT_PKS3_PKT0_S9_ifPKiSB_iPKfiiiSD_SD_iiiii ; -- Begin function _ZN4vllm25paged_attention_v2_kernelIfhLi128ELi32ELi128ELNS_18Fp8KVCacheDataTypeE1ELb0ELi512EEEvPfS2_PT_PKS3_PKT0_S9_ifPKiSB_iPKfiiiSD_SD_iiiii
	.globl	_ZN4vllm25paged_attention_v2_kernelIfhLi128ELi32ELi128ELNS_18Fp8KVCacheDataTypeE1ELb0ELi512EEEvPfS2_PT_PKS3_PKT0_S9_ifPKiSB_iPKfiiiSD_SD_iiiii
	.p2align	8
	.type	_ZN4vllm25paged_attention_v2_kernelIfhLi128ELi32ELi128ELNS_18Fp8KVCacheDataTypeE1ELb0ELi512EEEvPfS2_PT_PKS3_PKT0_S9_ifPKiSB_iPKfiiiSD_SD_iiiii,@function
_ZN4vllm25paged_attention_v2_kernelIfhLi128ELi32ELi128ELNS_18Fp8KVCacheDataTypeE1ELb0ELi512EEEvPfS2_PT_PKS3_PKT0_S9_ifPKiSB_iPKfiiiSD_SD_iiiii: ; @_ZN4vllm25paged_attention_v2_kernelIfhLi128ELi32ELi128ELNS_18Fp8KVCacheDataTypeE1ELb0ELi512EEEvPfS2_PT_PKS3_PKT0_S9_ifPKiSB_iPKfiiiSD_SD_iiiii
; %bb.0:
	s_load_b64 s[2:3], s[0:1], 0x40
	s_and_b32 s30, ttmp7, 0xffff
	s_lshr_b32 s29, ttmp7, 16
	s_lshl_b32 s4, s30, 2
	s_lshl_b32 s16, s29, 9
	s_wait_kmcnt 0x0
	s_load_b32 s17, s[2:3], s4 offset:0x0
	s_wait_kmcnt 0x0
	s_cmp_ge_i32 s16, s17
	s_cbranch_scc1 .LBB240_170
; %bb.1:
	s_clause 0x1
	s_load_b32 s31, s[0:1], 0x90
	s_load_b64 s[8:9], s[0:1], 0x30
	v_mov_b32_e32 v183, v0
	s_wait_kmcnt 0x0
	s_abs_i32 s5, s31
	s_abs_i32 s2, s8
	s_delay_alu instid0(SALU_CYCLE_1) | instskip(SKIP_1) | instid1(SALU_CYCLE_2)
	s_cvt_f32_u32 s3, s2
	s_sub_co_i32 s4, 0, s2
	v_rcp_iflag_f32_e32 v1, s3
	s_delay_alu instid0(TRANS32_DEP_1) | instskip(SKIP_2) | instid1(SALU_CYCLE_2)
	v_readfirstlane_b32 s3, v1
	s_mul_f32 s3, s3, 0x4f7ffffe
	s_wait_alu 0xfffe
	s_cvt_u32_f32 s3, s3
	s_wait_alu 0xfffe
	s_delay_alu instid0(SALU_CYCLE_2) | instskip(NEXT) | instid1(SALU_CYCLE_1)
	s_mul_i32 s4, s4, s3
	s_mul_hi_u32 s4, s3, s4
	s_delay_alu instid0(SALU_CYCLE_1)
	s_add_co_i32 s3, s3, s4
	s_xor_b32 s4, s31, s8
	s_wait_alu 0xfffe
	s_mul_hi_u32 s3, s5, s3
	s_ashr_i32 s4, s4, 31
	s_wait_alu 0xfffe
	s_mul_i32 s6, s3, s2
	s_delay_alu instid0(SALU_CYCLE_1)
	s_sub_co_i32 s5, s5, s6
	s_add_co_i32 s6, s3, 1
	s_sub_co_i32 s7, s5, s2
	s_cmp_ge_u32 s5, s2
	s_cselect_b32 s3, s6, s3
	s_cselect_b32 s5, s7, s5
	s_wait_alu 0xfffe
	s_add_co_i32 s6, s3, 1
	s_cmp_ge_u32 s5, s2
	s_mov_b32 s5, 0
	s_cselect_b32 s2, s6, s3
	s_load_b64 s[6:7], s[0:1], 0x50
	s_xor_b32 s2, s2, s4
	s_mov_b32 s8, s5
	s_wait_alu 0xfffe
	s_sub_co_i32 s11, s2, s4
	s_abs_i32 s4, ttmp9
	s_abs_i32 s10, s11
	s_delay_alu instid0(SALU_CYCLE_1) | instskip(SKIP_2) | instid1(SALU_CYCLE_1)
	s_cvt_f32_u32 s2, s10
	s_sub_co_i32 s3, 0, s10
	s_wait_alu 0xfffe
	v_rcp_iflag_f32_e32 v1, s2
	s_delay_alu instid0(TRANS32_DEP_1) | instskip(SKIP_2) | instid1(SALU_CYCLE_2)
	v_readfirstlane_b32 s2, v1
	s_mul_f32 s2, s2, 0x4f7ffffe
	s_wait_alu 0xfffe
	s_cvt_u32_f32 s2, s2
	s_wait_alu 0xfffe
	s_delay_alu instid0(SALU_CYCLE_2)
	s_mul_i32 s3, s3, s2
	s_wait_alu 0xfffe
	s_mul_hi_u32 s3, s2, s3
	s_wait_alu 0xfffe
	s_add_co_i32 s2, s2, s3
	s_mov_b32 s3, s5
	s_wait_kmcnt 0x0
	s_cmp_eq_u64 s[6:7], 0
	s_cbranch_scc1 .LBB240_3
; %bb.2:
	s_mov_b32 s12, ttmp9
	s_ashr_i32 s13, ttmp9, 31
	s_delay_alu instid0(SALU_CYCLE_1) | instskip(NEXT) | instid1(SALU_CYCLE_1)
	s_lshl_b64 s[12:13], s[12:13], 2
	s_add_nc_u64 s[6:7], s[6:7], s[12:13]
	s_load_b32 s8, s[6:7], 0x0
.LBB240_3:
	s_load_b96 s[12:14], s[0:1], 0x58
	s_mul_u64 s[2:3], s[4:5], s[2:3]
	v_cmp_gt_u32_e64 s2, 32, v183
	s_ashr_i32 s5, ttmp9, 31
	s_ashr_i32 s6, s11, 31
	s_lshl_b32 s18, ttmp9, 7
	s_wait_alu 0xfffe
	s_and_saveexec_b32 s7, s2
	s_cbranch_execz .LBB240_5
; %bb.4:
	s_load_b64 s[20:21], s[0:1], 0x18
	s_wait_kmcnt 0x0
	s_mul_i32 s22, s12, s30
	s_ashr_i32 s19, s18, 31
	s_ashr_i32 s23, s22, 31
	v_lshlrev_b32_e32 v5, 4, v183
	s_lshl_b64 s[22:23], s[22:23], 2
	s_delay_alu instid0(SALU_CYCLE_1) | instskip(SKIP_1) | instid1(SALU_CYCLE_1)
	s_add_nc_u64 s[20:21], s[20:21], s[22:23]
	s_lshl_b64 s[22:23], s[18:19], 2
	s_add_nc_u64 s[20:21], s[20:21], s[22:23]
	global_load_b128 v[1:4], v5, s[20:21]
	s_wait_loadcnt 0x0
	ds_store_b128 v5, v[1:4]
.LBB240_5:
	s_or_b32 exec_lo, exec_lo, s7
	s_add_co_i32 s7, s17, 31
	s_lshl_b32 s33, s29, 4
	s_ashr_i32 s11, s7, 31
	s_xor_b32 s15, s5, s6
	s_lshr_b32 s11, s11, 27
	s_mul_i32 s6, s3, s10
	s_add_co_i32 s7, s7, s11
	s_add_co_i32 s5, s33, 16
	s_ashr_i32 s28, s7, 5
	s_sub_co_i32 s4, s4, s6
	s_clause 0x1
	s_load_b64 s[20:21], s[0:1], 0x38
	s_load_b32 s11, s[0:1], 0x48
	s_min_i32 s19, s5, s28
	s_add_co_i32 s5, s3, 1
	s_sub_co_i32 s6, s4, s10
	s_cmp_ge_u32 s4, s10
	v_lshrrev_b32_e32 v184, 5, v183
	s_cselect_b32 s3, s5, s3
	s_cselect_b32 s22, s6, s4
	s_wait_kmcnt 0x0
	s_clause 0x1
	s_load_b32 s12, s[0:1], 0x98
	s_load_b128 s[4:7], s[0:1], 0x68
	s_add_co_i32 s23, s3, 1
	s_cmp_ge_u32 s22, s10
	v_dual_mov_b32 v138, 0xff7fffff :: v_dual_and_b32 v185, 31, v183
	v_add_nc_u32_e32 v186, s33, v184
	s_cselect_b32 s3, s23, s3
	s_wait_dscnt 0x0
	s_wait_alu 0xfffe
	s_xor_b32 s3, s3, s15
	v_lshlrev_b32_e32 v10, 2, v185
	s_wait_alu 0xfffe
	s_sub_co_i32 s10, s3, s15
	v_cmp_gt_i32_e64 s3, s19, v186
	v_lshlrev_b32_e32 v9, 2, v186
	s_mul_i32 s22, s11, s30
	s_mul_i32 s24, s10, s14
	s_ashr_i32 s23, s22, 31
	s_barrier_signal -1
	s_barrier_wait -1
	global_inv scope:SCOPE_SE
	s_and_saveexec_b32 s10, s3
	s_cbranch_execz .LBB240_9
; %bb.6:
	v_dual_mov_b32 v1, 0 :: v_dual_lshlrev_b32 v2, 4, v185
	s_wait_kmcnt 0x0
	s_load_b32 s14, s[4:5], 0x0
	s_load_b64 s[26:27], s[0:1], 0x20
	s_ashr_i32 s25, s24, 31
	ds_load_b128 v[3:6], v1
	scratch_store_b32 off, v183, off offset:328 ; 4-byte Folded Spill
	s_cmp_neq_f32 s8, 0
	v_mov_b32_e32 v80, v186
	s_mov_b32 s11, s13
	s_mov_b32 s15, 0
	s_cselect_b32 vcc_lo, -1, 0
	v_dual_mov_b32 v138, 0xff7fffff :: v_dual_mov_b32 v141, v186
	s_wait_kmcnt 0x0
	s_add_nc_u64 s[4:5], s[26:27], s[24:25]
	s_mov_b32 s25, s14
	s_wait_dscnt 0x0
	scratch_store_b128 off, v[3:6], off     ; 16-byte Folded Spill
	ds_load_b128 v[3:6], v1 offset:16
	v_add_co_u32 v0, s4, s4, v2
	s_sub_co_i32 s26, 1, s17
	s_wait_dscnt 0x0
	scratch_store_b128 off, v[3:6], off offset:16 ; 16-byte Folded Spill
	ds_load_b128 v[3:6], v1 offset:32
	s_wait_dscnt 0x0
	scratch_store_b128 off, v[3:6], off offset:32 ; 16-byte Folded Spill
	ds_load_b128 v[3:6], v1 offset:48
	;; [unrolled: 3-line block ×16, first 2 shown]
	s_wait_dscnt 0x0
	s_clause 0x2
	scratch_store_b128 off, v[3:6], off offset:272
	scratch_store_b32 off, v184, off offset:332
	scratch_store_b32 off, v10, off offset:344
	ds_load_b128 v[5:8], v1 offset:288
	v_lshlrev_b32_e32 v3, 5, v184
	v_lshl_or_b32 v4, v184, 7, v10
	s_delay_alu instid0(VALU_DEP_2) | instskip(NEXT) | instid1(VALU_DEP_2)
	v_add3_u32 v139, s16, v3, v185
	v_add_nc_u32_e32 v140, 0x220, v4
	s_wait_dscnt 0x0
	scratch_store_b128 off, v[5:8], off offset:288 ; 16-byte Folded Spill
	ds_load_b128 v[5:8], v1 offset:304
	s_wait_dscnt 0x0
	scratch_store_b128 off, v[5:8], off offset:304 ; 16-byte Folded Spill
	ds_load_b128 v[81:84], v1 offset:320
	ds_load_b128 v[85:88], v1 offset:336
	;; [unrolled: 1-line block ×12, first 2 shown]
	s_wait_alu 0xf1ff
	v_add_co_ci_u32_e64 v1, null, s5, 0, s4
	s_lshl_b64 s[4:5], s[22:23], 2
	s_clause 0x2
	scratch_store_b32 off, v185, off offset:336
	scratch_store_b32 off, v9, off offset:340
	scratch_store_b64 off, v[0:1], off offset:320
	s_wait_alu 0xfffe
	s_add_nc_u64 s[4:5], s[20:21], s[4:5]
	s_wait_alu 0xfffe
	v_add_co_u32 v131, s4, s4, v9
	s_wait_alu 0xf1ff
	v_add_co_ci_u32_e64 v132, null, s5, 0, s4
.LBB240_7:                              ; =>This Inner Loop Header: Depth=1
	global_load_b32 v1, v[131:132], off
	s_clause 0x2
	scratch_load_b64 v[2:3], off, off offset:320
	scratch_load_b128 v[76:79], off, off offset:16
	scratch_load_b128 v[72:75], off, off
	v_cmp_gt_i32_e64 s4, s17, v139
	v_add_nc_u32_e32 v141, 4, v141
	s_delay_alu instid0(VALU_DEP_1)
	v_cmp_le_i32_e64 s5, s19, v141
	s_or_b32 s15, s5, s15
	s_wait_loadcnt 0x2
	v_mad_co_i64_i32 v[186:187], null, v1, s11, v[2:3]
	s_clause 0x4
	global_load_b128 v[9:12], v[186:187], off
	global_load_b128 v[17:20], v[186:187], off offset:512
	global_load_b128 v[25:28], v[186:187], off offset:1024
	;; [unrolled: 1-line block ×4, first 2 shown]
	s_wait_loadcnt 0x4
	v_and_b32_e32 v8, 0xffff, v9
	v_lshrrev_b32_e32 v7, 16, v9
	v_and_b32_e32 v6, 0xffff, v10
	v_lshrrev_b32_e32 v5, 16, v10
	;; [unrolled: 2-line block ×4, first 2 shown]
	s_wait_loadcnt 0x3
	v_and_b32_e32 v12, 0xffff, v17
	v_lshrrev_b32_e32 v13, 16, v17
	v_and_b32_e32 v21, 0xffff, v20
	v_lshrrev_b32_e32 v22, 16, v20
	s_wait_loadcnt 0x2
	v_and_b32_e32 v24, 0xffff, v25
	v_lshrrev_b32_e32 v23, 16, v25
	v_and_b32_e32 v20, 0xffff, v26
	v_lshrrev_b32_e32 v17, 16, v26
	;; [unrolled: 2-line block ×4, first 2 shown]
	s_wait_loadcnt 0x1
	v_and_b32_e32 v28, 0xffff, v33
	v_lshrrev_b32_e32 v29, 16, v33
	v_and_b32_e32 v37, 0xffff, v36
	v_lshrrev_b32_e32 v38, 16, v36
	s_wait_loadcnt 0x0
	v_and_b32_e32 v40, 0xffff, v182
	v_lshrrev_b32_e32 v39, 16, v182
	v_and_b32_e32 v36, 0xffff, v183
	v_lshrrev_b32_e32 v33, 16, v183
	;; [unrolled: 2-line block ×4, first 2 shown]
	global_load_b128 v[182:185], v[186:187], off offset:2560
	v_lshrrev_b32_e32 v16, 16, v18
	v_lshrrev_b32_e32 v32, 16, v34
	s_wait_loadcnt 0x0
	v_and_b32_e32 v41, 0xffff, v182
	v_lshrrev_b32_e32 v42, 16, v182
	v_and_b32_e32 v43, 0xffff, v183
	v_lshrrev_b32_e32 v44, 16, v183
	;; [unrolled: 2-line block ×4, first 2 shown]
	global_load_b128 v[182:185], v[186:187], off offset:3072
	s_wait_loadcnt 0x0
	v_and_b32_e32 v0, 0xffff, v182
	v_lshrrev_b32_e32 v49, 16, v182
	v_and_b32_e32 v50, 0xffff, v183
	v_lshrrev_b32_e32 v51, 16, v183
	;; [unrolled: 2-line block ×4, first 2 shown]
	global_load_b128 v[182:185], v[186:187], off offset:3584
	s_wait_loadcnt 0x0
	v_and_b32_e32 v56, 0xffff, v182
	v_lshrrev_b32_e32 v57, 16, v182
	v_and_b32_e32 v58, 0xffff, v183
	v_lshrrev_b32_e32 v59, 16, v183
	v_cvt_pk_f32_fp8_e32 v[182:183], v8
	v_cvt_pk_f32_fp8_e32 v[7:8], v7
	v_and_b32_e32 v15, 0xffff, v18
	v_and_b32_e32 v60, 0xffff, v184
	v_lshrrev_b32_e32 v61, 16, v184
	v_mul_f32_e32 v64, s25, v183
	v_mul_f32_e32 v183, s14, v7
	v_cvt_pk_f32_fp8_e32 v[6:7], v6
	v_and_b32_e32 v62, 0xffff, v185
	v_lshrrev_b32_e32 v63, 16, v185
	v_dual_mul_f32 v8, s25, v8 :: v_dual_and_b32 v31, 0xffff, v34
	s_delay_alu instid0(VALU_DEP_4) | instskip(SKIP_2) | instid1(VALU_DEP_2)
	v_mul_f32_e32 v184, s14, v6
	v_cvt_pk_f32_fp8_e32 v[5:6], v5
	v_dual_mul_f32 v182, s14, v182 :: v_dual_mul_f32 v7, s25, v7
	v_mul_f32_e32 v185, s14, v5
	v_cvt_pk_f32_fp8_e32 v[4:5], v4
	s_delay_alu instid0(VALU_DEP_3) | instskip(NEXT) | instid1(VALU_DEP_2)
	v_dual_mul_f32 v6, s25, v6 :: v_dual_mul_f32 v7, v77, v7
	v_mul_f32_e32 v186, s14, v4
	v_cvt_pk_f32_fp8_e32 v[3:4], v3
	s_delay_alu instid0(VALU_DEP_4) | instskip(NEXT) | instid1(VALU_DEP_4)
	v_mul_f32_e32 v5, s25, v5
	v_fmac_f32_e32 v7, v73, v64
	s_delay_alu instid0(VALU_DEP_3) | instskip(SKIP_3) | instid1(VALU_DEP_3)
	v_mul_f32_e32 v187, s14, v3
	v_cvt_pk_f32_fp8_e32 v[2:3], v2
	v_and_b32_e32 v18, 0xffff, v19
	v_lshrrev_b32_e32 v19, 16, v19
	v_mul_f32_e32 v137, s14, v2
	v_cvt_pk_f32_fp8_e32 v[1:2], v1
	v_mul_f32_e32 v3, s25, v3
	s_delay_alu instid0(VALU_DEP_2) | instskip(SKIP_1) | instid1(VALU_DEP_1)
	v_dual_mul_f32 v129, s25, v2 :: v_dual_mul_f32 v130, s14, v1
	v_cvt_pk_f32_fp8_e32 v[1:2], v12
	v_mul_f32_e32 v12, s25, v2
	s_delay_alu instid0(VALU_DEP_2) | instskip(SKIP_1) | instid1(VALU_DEP_1)
	v_mul_f32_e32 v158, s14, v1
	v_cvt_pk_f32_fp8_e32 v[1:2], v13
	v_mul_f32_e32 v13, s25, v2
	s_delay_alu instid0(VALU_DEP_2) | instskip(SKIP_1) | instid1(VALU_DEP_1)
	v_mul_f32_e32 v159, s14, v1
	v_cvt_pk_f32_fp8_e32 v[1:2], v15
	v_dual_mul_f32 v15, s25, v2 :: v_dual_mul_f32 v160, s14, v1
	v_cvt_pk_f32_fp8_e32 v[1:2], v16
	v_and_b32_e32 v34, 0xffff, v35
	v_lshrrev_b32_e32 v35, 16, v35
	s_delay_alu instid0(VALU_DEP_3) | instskip(SKIP_1) | instid1(VALU_DEP_1)
	v_dual_mul_f32 v16, s25, v2 :: v_dual_mul_f32 v161, s14, v1
	v_cvt_pk_f32_fp8_e32 v[1:2], v18
	v_mul_f32_e32 v18, s25, v2
	s_delay_alu instid0(VALU_DEP_2) | instskip(SKIP_1) | instid1(VALU_DEP_1)
	v_mul_f32_e32 v162, s14, v1
	v_cvt_pk_f32_fp8_e32 v[1:2], v19
	v_mul_f32_e32 v19, s25, v2
	s_delay_alu instid0(VALU_DEP_2) | instskip(SKIP_1) | instid1(VALU_DEP_1)
	v_mul_f32_e32 v163, s14, v1
	v_cvt_pk_f32_fp8_e32 v[1:2], v21
	v_dual_mul_f32 v21, s25, v2 :: v_dual_mul_f32 v164, s14, v1
	v_cvt_pk_f32_fp8_e32 v[1:2], v22
	s_delay_alu instid0(VALU_DEP_1) | instskip(SKIP_1) | instid1(VALU_DEP_1)
	v_dual_mul_f32 v22, s25, v2 :: v_dual_mul_f32 v165, s14, v1
	v_cvt_pk_f32_fp8_e32 v[1:2], v24
	v_mul_f32_e32 v24, s25, v2
	s_delay_alu instid0(VALU_DEP_2) | instskip(SKIP_1) | instid1(VALU_DEP_1)
	v_mul_f32_e32 v166, s14, v1
	v_cvt_pk_f32_fp8_e32 v[1:2], v23
	v_mul_f32_e32 v23, s25, v2
	s_delay_alu instid0(VALU_DEP_2) | instskip(SKIP_1) | instid1(VALU_DEP_1)
	v_mul_f32_e32 v167, s14, v1
	;; [unrolled: 4-line block ×9, first 2 shown]
	v_cvt_pk_f32_fp8_e32 v[1:2], v29
	v_dual_mul_f32 v4, s25, v4 :: v_dual_mul_f32 v175, s14, v1
	s_delay_alu instid0(VALU_DEP_2) | instskip(SKIP_1) | instid1(VALU_DEP_1)
	v_mul_f32_e32 v29, s25, v2
	v_cvt_pk_f32_fp8_e32 v[1:2], v31
	v_dual_mul_f32 v31, s25, v2 :: v_dual_mul_f32 v176, s14, v1
	v_cvt_pk_f32_fp8_e32 v[1:2], v32
	s_delay_alu instid0(VALU_DEP_1) | instskip(SKIP_1) | instid1(VALU_DEP_1)
	v_dual_mul_f32 v32, s25, v2 :: v_dual_mul_f32 v177, s14, v1
	v_cvt_pk_f32_fp8_e32 v[1:2], v34
	v_mul_f32_e32 v34, s25, v2
	s_delay_alu instid0(VALU_DEP_2) | instskip(SKIP_1) | instid1(VALU_DEP_1)
	v_mul_f32_e32 v178, s14, v1
	v_cvt_pk_f32_fp8_e32 v[1:2], v35
	v_mul_f32_e32 v35, s25, v2
	s_delay_alu instid0(VALU_DEP_2) | instskip(SKIP_1) | instid1(VALU_DEP_1)
	v_mul_f32_e32 v179, s14, v1
	v_cvt_pk_f32_fp8_e32 v[1:2], v37
	v_dual_mul_f32 v37, s25, v2 :: v_dual_mul_f32 v180, s14, v1
	v_cvt_pk_f32_fp8_e32 v[1:2], v38
	s_delay_alu instid0(VALU_DEP_1) | instskip(SKIP_1) | instid1(VALU_DEP_1)
	v_dual_mul_f32 v38, s25, v2 :: v_dual_mul_f32 v181, s14, v1
	v_cvt_pk_f32_fp8_e32 v[1:2], v40
	v_mul_f32_e32 v40, s25, v2
	s_delay_alu instid0(VALU_DEP_2) | instskip(SKIP_1) | instid1(VALU_DEP_1)
	v_mul_f32_e32 v188, s14, v1
	v_cvt_pk_f32_fp8_e32 v[1:2], v39
	v_mul_f32_e32 v39, s25, v2
	s_delay_alu instid0(VALU_DEP_2) | instskip(SKIP_1) | instid1(VALU_DEP_1)
	v_mul_f32_e32 v189, s14, v1
	;; [unrolled: 4-line block ×3, first 2 shown]
	v_cvt_pk_f32_fp8_e32 v[1:2], v33
	v_mul_f32_e32 v33, s25, v2
	s_delay_alu instid0(VALU_DEP_2) | instskip(SKIP_2) | instid1(VALU_DEP_2)
	v_mul_f32_e32 v191, s14, v1
	v_cvt_pk_f32_fp8_e32 v[1:2], v30
	v_mul_f32_e32 v64, v78, v185
	v_dual_mul_f32 v30, s25, v2 :: v_dual_mul_f32 v133, s14, v1
	v_cvt_pk_f32_fp8_e32 v[1:2], v27
	v_mul_f32_e32 v6, v79, v6
	s_delay_alu instid0(VALU_DEP_2) | instskip(SKIP_1) | instid1(VALU_DEP_1)
	v_dual_mul_f32 v27, s25, v2 :: v_dual_mul_f32 v134, s14, v1
	v_cvt_pk_f32_fp8_e32 v[1:2], v26
	v_dual_mul_f32 v26, s25, v2 :: v_dual_mul_f32 v135, s14, v1
	v_cvt_pk_f32_fp8_e32 v[1:2], v25
	s_delay_alu instid0(VALU_DEP_1) | instskip(NEXT) | instid1(VALU_DEP_2)
	v_dual_fmac_f32 v6, v75, v8 :: v_dual_mul_f32 v25, s25, v2
	v_mul_f32_e32 v136, s14, v1
	v_cvt_pk_f32_fp8_e32 v[1:2], v41
	s_delay_alu instid0(VALU_DEP_1) | instskip(NEXT) | instid1(VALU_DEP_2)
	v_dual_fmac_f32 v64, v74, v183 :: v_dual_mul_f32 v41, s25, v2
	v_mul_f32_e32 v142, s14, v1
	v_cvt_pk_f32_fp8_e32 v[1:2], v42
	s_delay_alu instid0(VALU_DEP_1) | instskip(SKIP_1) | instid1(VALU_DEP_1)
	v_dual_mul_f32 v42, s25, v2 :: v_dual_mul_f32 v143, s14, v1
	v_cvt_pk_f32_fp8_e32 v[1:2], v43
	v_dual_mul_f32 v43, s25, v2 :: v_dual_mul_f32 v144, s14, v1
	v_cvt_pk_f32_fp8_e32 v[1:2], v44
	s_delay_alu instid0(VALU_DEP_1) | instskip(SKIP_1) | instid1(VALU_DEP_1)
	v_dual_mul_f32 v44, s25, v2 :: v_dual_mul_f32 v145, s14, v1
	v_cvt_pk_f32_fp8_e32 v[1:2], v45
	v_dual_mul_f32 v45, s25, v2 :: v_dual_mul_f32 v146, s14, v1
	v_cvt_pk_f32_fp8_e32 v[1:2], v46
	s_delay_alu instid0(VALU_DEP_1) | instskip(SKIP_1) | instid1(VALU_DEP_1)
	v_dual_mul_f32 v46, s25, v2 :: v_dual_mul_f32 v147, s14, v1
	v_cvt_pk_f32_fp8_e32 v[1:2], v48
	v_mul_f32_e32 v48, s25, v2
	s_delay_alu instid0(VALU_DEP_2) | instskip(SKIP_1) | instid1(VALU_DEP_1)
	v_mul_f32_e32 v148, s14, v1
	v_cvt_pk_f32_fp8_e32 v[1:2], v47
	v_mul_f32_e32 v47, s25, v2
	s_delay_alu instid0(VALU_DEP_2) | instskip(SKIP_1) | instid1(VALU_DEP_1)
	v_mul_f32_e32 v149, s14, v1
	;; [unrolled: 4-line block ×10, first 2 shown]
	v_cvt_pk_f32_fp8_e32 v[1:2], v56
	v_dual_mul_f32 v56, s25, v2 :: v_dual_mul_f32 v65, s14, v1
	v_cvt_pk_f32_fp8_e32 v[1:2], v57
	s_delay_alu instid0(VALU_DEP_1) | instskip(SKIP_1) | instid1(VALU_DEP_1)
	v_dual_mul_f32 v57, s25, v2 :: v_dual_mul_f32 v66, s14, v1
	v_cvt_pk_f32_fp8_e32 v[1:2], v58
	v_dual_mul_f32 v58, s25, v2 :: v_dual_mul_f32 v67, s14, v1
	v_cvt_pk_f32_fp8_e32 v[1:2], v59
	s_delay_alu instid0(VALU_DEP_1) | instskip(SKIP_1) | instid1(VALU_DEP_1)
	v_dual_mul_f32 v59, s25, v2 :: v_dual_mul_f32 v68, s14, v1
	;; [unrolled: 5-line block ×3, first 2 shown]
	v_cvt_pk_f32_fp8_e32 v[1:2], v62
	v_dual_mul_f32 v62, s25, v2 :: v_dual_mul_f32 v71, s14, v1
	v_cvt_pk_f32_fp8_e32 v[1:2], v63
	v_mul_f32_e32 v63, v76, v184
	s_delay_alu instid0(VALU_DEP_2) | instskip(NEXT) | instid1(VALU_DEP_2)
	v_mul_f32_e32 v1, s14, v1
	v_fmac_f32_e32 v63, v72, v182
	scratch_load_b128 v[72:75], off, off offset:32 ; 16-byte Folded Reload
	s_wait_loadcnt 0x0
	v_fmac_f32_e32 v63, v72, v186
	v_dual_fmac_f32 v7, v73, v5 :: v_dual_fmac_f32 v64, v74, v187
	v_fmac_f32_e32 v6, v75, v4
	scratch_load_b128 v[72:75], off, off offset:48 ; 16-byte Folded Reload
	s_wait_loadcnt 0x0
	v_fmac_f32_e32 v63, v72, v137
	v_dual_fmac_f32 v7, v73, v3 :: v_dual_fmac_f32 v64, v74, v130
	;; [unrolled: 5-line block ×5, first 2 shown]
	v_fmac_f32_e32 v6, v75, v19
	scratch_load_b128 v[72:75], off, off offset:112 ; 16-byte Folded Reload
	s_wait_loadcnt 0x0
	v_fmac_f32_e32 v63, v72, v164
	v_fmac_f32_e32 v7, v73, v21
	;; [unrolled: 1-line block ×4, first 2 shown]
	scratch_load_b128 v[72:75], off, off offset:128 ; 16-byte Folded Reload
	s_wait_loadcnt 0x0
	v_dual_fmac_f32 v7, v73, v24 :: v_dual_fmac_f32 v6, v75, v23
	scratch_load_b128 v[21:24], off, off offset:144 ; 16-byte Folded Reload
	v_fmac_f32_e32 v63, v72, v166
	v_mul_f32_e32 v2, s25, v2
	v_fmac_f32_e32 v64, v74, v167
	s_wait_loadcnt 0x0
	v_fmac_f32_e32 v6, v24, v17
	scratch_load_b128 v[15:18], off, off offset:160 ; 16-byte Folded Reload
	v_fmac_f32_e32 v7, v22, v20
	v_dual_fmac_f32 v63, v21, v168 :: v_dual_fmac_f32 v64, v23, v169
	s_wait_loadcnt 0x0
	s_delay_alu instid0(VALU_DEP_2) | instskip(SKIP_3) | instid1(VALU_DEP_1)
	v_dual_fmac_f32 v7, v16, v14 :: v_dual_fmac_f32 v6, v18, v11
	scratch_load_b128 v[11:14], off, off offset:176 ; 16-byte Folded Reload
	v_dual_fmac_f32 v63, v15, v170 :: v_dual_fmac_f32 v64, v17, v171
	s_wait_loadcnt 0x0
	v_fmac_f32_e32 v63, v11, v172
	v_dual_fmac_f32 v7, v12, v10 :: v_dual_fmac_f32 v6, v14, v9
	scratch_load_b128 v[8:11], off, off offset:192 ; 16-byte Folded Reload
	s_wait_loadcnt 0x0
	v_dual_fmac_f32 v64, v13, v173 :: v_dual_fmac_f32 v63, v8, v174
	s_delay_alu instid0(VALU_DEP_1)
	v_dual_fmac_f32 v7, v9, v28 :: v_dual_fmac_f32 v64, v10, v175
	v_fmac_f32_e32 v6, v11, v29
	scratch_load_b128 v[8:11], off, off offset:208 ; 16-byte Folded Reload
	s_wait_loadcnt 0x0
	v_fmac_f32_e32 v63, v8, v176
	v_dual_fmac_f32 v7, v9, v31 :: v_dual_fmac_f32 v64, v10, v177
	v_fmac_f32_e32 v6, v11, v32
	scratch_load_b128 v[8:11], off, off offset:224 ; 16-byte Folded Reload
	s_wait_loadcnt 0x0
	v_fmac_f32_e32 v63, v8, v178
	;; [unrolled: 5-line block ×3, first 2 shown]
	v_fmac_f32_e32 v7, v9, v37
	v_fmac_f32_e32 v64, v10, v181
	;; [unrolled: 1-line block ×3, first 2 shown]
	scratch_load_b128 v[8:11], off, off offset:256 ; 16-byte Folded Reload
	s_wait_loadcnt 0x0
	v_fmac_f32_e32 v63, v8, v188
	v_dual_fmac_f32 v7, v9, v40 :: v_dual_fmac_f32 v64, v10, v189
	v_fmac_f32_e32 v6, v11, v39
	scratch_load_b128 v[8:11], off, off offset:272 ; 16-byte Folded Reload
	s_wait_loadcnt 0x0
	v_fmac_f32_e32 v63, v8, v190
	v_dual_fmac_f32 v7, v9, v36 :: v_dual_fmac_f32 v64, v10, v191
	v_fmac_f32_e32 v6, v11, v33
	scratch_load_b128 v[8:11], off, off offset:288 ; 16-byte Folded Reload
	s_wait_loadcnt 0x0
	v_fmac_f32_e32 v63, v8, v133
	v_fmac_f32_e32 v7, v9, v30
	;; [unrolled: 1-line block ×4, first 2 shown]
	scratch_load_b128 v[8:11], off, off offset:304 ; 16-byte Folded Reload
	s_wait_loadcnt 0x0
	v_fmac_f32_e32 v63, v8, v135
	v_fmac_f32_e32 v7, v9, v26
	s_wait_dscnt 0xb
	s_delay_alu instid0(VALU_DEP_2) | instskip(NEXT) | instid1(VALU_DEP_2)
	v_fmac_f32_e32 v63, v81, v142
	v_fmac_f32_e32 v7, v82, v41
	s_wait_dscnt 0xa
	s_delay_alu instid0(VALU_DEP_2) | instskip(NEXT) | instid1(VALU_DEP_2)
	;; [unrolled: 4-line block ×7, first 2 shown]
	v_fmac_f32_e32 v63, v105, v154
	v_dual_fmac_f32 v7, v106, v52 :: v_dual_fmac_f32 v6, v11, v25
	s_wait_dscnt 0x4
	s_delay_alu instid0(VALU_DEP_2) | instskip(NEXT) | instid1(VALU_DEP_2)
	v_fmac_f32_e32 v63, v109, v156
	v_fmac_f32_e32 v7, v110, v54
	s_wait_dscnt 0x3
	s_delay_alu instid0(VALU_DEP_2) | instskip(NEXT) | instid1(VALU_DEP_2)
	v_dual_fmac_f32 v63, v113, v65 :: v_dual_fmac_f32 v64, v10, v136
	v_fmac_f32_e32 v7, v114, v56
	s_wait_dscnt 0x2
	s_delay_alu instid0(VALU_DEP_2) | instskip(NEXT) | instid1(VALU_DEP_2)
	v_fmac_f32_e32 v63, v117, v67
	v_dual_fmac_f32 v64, v83, v143 :: v_dual_fmac_f32 v7, v118, v58
	s_wait_dscnt 0x1
	s_delay_alu instid0(VALU_DEP_2) | instskip(NEXT) | instid1(VALU_DEP_2)
	v_dual_fmac_f32 v6, v84, v42 :: v_dual_fmac_f32 v63, v121, v69
	v_dual_fmac_f32 v64, v87, v145 :: v_dual_fmac_f32 v7, v122, v60
	s_wait_dscnt 0x0
	s_delay_alu instid0(VALU_DEP_2) | instskip(NEXT) | instid1(VALU_DEP_2)
	v_dual_fmac_f32 v6, v88, v44 :: v_dual_fmac_f32 v63, v125, v71
	v_dual_fmac_f32 v64, v91, v147 :: v_dual_fmac_f32 v7, v126, v62
	s_delay_alu instid0(VALU_DEP_2) | instskip(NEXT) | instid1(VALU_DEP_2)
	v_fmac_f32_e32 v6, v92, v46
	v_fmac_f32_e32 v64, v95, v149
	s_delay_alu instid0(VALU_DEP_3) | instskip(NEXT) | instid1(VALU_DEP_2)
	v_add_f32_e32 v0, v63, v7
	v_fmac_f32_e32 v64, v99, v151
	s_delay_alu instid0(VALU_DEP_1) | instskip(NEXT) | instid1(VALU_DEP_1)
	v_fmac_f32_e32 v64, v103, v153
	v_fmac_f32_e32 v64, v107, v155
	s_delay_alu instid0(VALU_DEP_1) | instskip(NEXT) | instid1(VALU_DEP_1)
	v_fmac_f32_e32 v64, v111, v157
	v_fmac_f32_e32 v64, v115, v66
	s_delay_alu instid0(VALU_DEP_1) | instskip(NEXT) | instid1(VALU_DEP_1)
	v_fmac_f32_e32 v64, v119, v68
	v_fmac_f32_e32 v64, v123, v70
	s_delay_alu instid0(VALU_DEP_1) | instskip(NEXT) | instid1(VALU_DEP_1)
	v_dual_fmac_f32 v64, v127, v1 :: v_dual_add_nc_u32 v1, s26, v139
	v_dual_add_f32 v0, v64, v0 :: v_dual_add_nc_u32 v139, 0x80, v139
	s_delay_alu instid0(VALU_DEP_2) | instskip(NEXT) | instid1(VALU_DEP_1)
	v_cvt_f32_i32_e32 v1, v1
	v_dual_fmac_f32 v6, v96, v47 :: v_dual_mul_f32 v1, s8, v1
	s_delay_alu instid0(VALU_DEP_1) | instskip(NEXT) | instid1(VALU_DEP_2)
	v_cndmask_b32_e32 v1, 0, v1, vcc_lo
	v_fmac_f32_e32 v6, v100, v49
	s_delay_alu instid0(VALU_DEP_1) | instskip(NEXT) | instid1(VALU_DEP_1)
	v_fmac_f32_e32 v6, v104, v51
	v_fmac_f32_e32 v6, v108, v53
	s_delay_alu instid0(VALU_DEP_1) | instskip(NEXT) | instid1(VALU_DEP_1)
	v_fmac_f32_e32 v6, v112, v55
	;; [unrolled: 3-line block ×4, first 2 shown]
	v_add_f32_e32 v0, v6, v0
	s_delay_alu instid0(VALU_DEP_1) | instskip(NEXT) | instid1(VALU_DEP_1)
	v_dual_fmac_f32 v1, s9, v0 :: v_dual_max_num_f32 v0, v138, v138
	v_max_num_f32_e32 v0, v0, v1
	v_cndmask_b32_e64 v1, 0, v1, s4
	s_delay_alu instid0(VALU_DEP_2)
	v_cndmask_b32_e64 v138, v138, v0, s4
	v_add_co_u32 v131, s4, v131, 16
	ds_store_b32 v140, v1
	s_wait_alu 0xf1ff
	v_add_co_ci_u32_e64 v132, null, 0, v132, s4
	v_add_nc_u32_e32 v140, 0x200, v140
	s_wait_alu 0xfffe
	s_and_not1_b32 exec_lo, exec_lo, s15
	s_cbranch_execnz .LBB240_7
; %bb.8:
	s_or_b32 exec_lo, exec_lo, s15
	s_clause 0x4
	scratch_load_b32 v183, off, off offset:328
	scratch_load_b32 v184, off, off offset:332
	;; [unrolled: 1-line block ×5, first 2 shown]
	v_mov_b32_e32 v186, v80
.LBB240_9:
	s_or_b32 exec_lo, exec_lo, s10
	v_mbcnt_lo_u32_b32 v1, -1, 0
	s_clause 0x2
	s_load_b128 s[8:11], s[0:1], 0x0
	s_load_b64 s[14:15], s[0:1], 0x10
	s_load_b64 s[26:27], s[0:1], 0x28
	v_xor_b32_e32 v2, 16, v1
	v_xor_b32_e32 v4, 8, v1
	s_delay_alu instid0(VALU_DEP_2) | instskip(SKIP_2) | instid1(VALU_DEP_3)
	v_cmp_gt_i32_e32 vcc_lo, 32, v2
	s_wait_alu 0xfffd
	v_cndmask_b32_e32 v2, v1, v2, vcc_lo
	v_cmp_gt_i32_e32 vcc_lo, 32, v4
	v_max_num_f32_e32 v5, v138, v138
	s_delay_alu instid0(VALU_DEP_3)
	v_lshlrev_b32_e32 v2, 2, v2
	s_wait_alu 0xfffd
	v_cndmask_b32_e32 v4, v1, v4, vcc_lo
	ds_bpermute_b32 v3, v2, v138
	s_wait_dscnt 0x0
	v_dual_max_num_f32 v6, v3, v3 :: v_dual_lshlrev_b32 v3, 2, v4
	s_delay_alu instid0(VALU_DEP_1)
	v_max_num_f32_e32 v4, v5, v6
	v_xor_b32_e32 v6, 4, v1
	ds_bpermute_b32 v5, v3, v4
	v_cmp_gt_i32_e32 vcc_lo, 32, v6
	s_wait_alu 0xfffd
	v_cndmask_b32_e32 v6, v1, v6, vcc_lo
	s_wait_dscnt 0x0
	v_max_num_f32_e32 v5, v5, v5
	s_delay_alu instid0(VALU_DEP_2) | instskip(SKIP_1) | instid1(VALU_DEP_3)
	v_lshlrev_b32_e32 v13, 2, v6
	v_xor_b32_e32 v6, 2, v1
	v_max_num_f32_e32 v4, v4, v5
	s_delay_alu instid0(VALU_DEP_2) | instskip(SKIP_3) | instid1(VALU_DEP_1)
	v_cmp_gt_i32_e32 vcc_lo, 32, v6
	ds_bpermute_b32 v5, v13, v4
	s_wait_alu 0xfffd
	v_cndmask_b32_e32 v6, v1, v6, vcc_lo
	v_lshlrev_b32_e32 v12, 2, v6
	v_xor_b32_e32 v6, 1, v1
	s_delay_alu instid0(VALU_DEP_1)
	v_cmp_gt_i32_e32 vcc_lo, 32, v6
	s_wait_alu 0xfffd
	v_cndmask_b32_e32 v6, v1, v6, vcc_lo
	s_wait_loadcnt 0x2
	v_cmp_eq_u32_e32 vcc_lo, 0, v185
	s_wait_dscnt 0x0
	v_max_num_f32_e32 v5, v5, v5
	s_delay_alu instid0(VALU_DEP_1) | instskip(SKIP_3) | instid1(VALU_DEP_1)
	v_dual_max_num_f32 v4, v4, v5 :: v_dual_lshlrev_b32 v11, 2, v6
	ds_bpermute_b32 v5, v12, v4
	s_wait_dscnt 0x0
	v_max_num_f32_e32 v5, v5, v5
	v_max_num_f32_e32 v1, v4, v5
	v_lshlrev_b32_e32 v5, 2, v184
	ds_bpermute_b32 v4, v11, v1
	s_and_saveexec_b32 s0, vcc_lo
	s_cbranch_execz .LBB240_11
; %bb.10:
	s_wait_dscnt 0x0
	v_dual_max_num_f32 v0, v4, v4 :: v_dual_max_num_f32 v1, v1, v1
	s_delay_alu instid0(VALU_DEP_1)
	v_max_num_f32_e32 v0, v1, v0
	ds_store_b32 v5, v0 offset:512
.LBB240_11:
	s_or_b32 exec_lo, exec_lo, s0
	v_cmp_gt_u32_e64 s0, 4, v185
	v_mov_b32_e32 v1, 0xff7fffff
	s_wait_storecnt 0x0
	s_wait_loadcnt_dscnt 0x0
	s_barrier_signal -1
	s_barrier_wait -1
	global_inv scope:SCOPE_SE
	s_and_saveexec_b32 s1, s0
; %bb.12:
	ds_load_b32 v1, v10 offset:512
; %bb.13:
	s_or_b32 exec_lo, exec_lo, s1
	s_wait_dscnt 0x0
	ds_bpermute_b32 v0, v12, v1
	v_max_num_f32_e32 v1, v1, v1
	s_sub_co_i32 s1, s19, s33
	v_lshl_add_u32 v4, v183, 2, 0x220
	s_lshl_b32 s1, s1, 5
	v_mov_b32_e32 v6, 0
	s_add_co_i32 s1, s1, s16
	s_delay_alu instid0(SALU_CYCLE_1)
	s_min_i32 s1, s1, s17
	s_wait_kmcnt 0x0
	s_sub_co_i32 s5, s1, s16
	s_wait_alu 0xfffe
	v_cmp_gt_i32_e64 s1, s5, v183
	s_wait_dscnt 0x0
	v_max_num_f32_e32 v0, v0, v0
	s_delay_alu instid0(VALU_DEP_1) | instskip(SKIP_3) | instid1(VALU_DEP_1)
	v_max_num_f32_e32 v0, v1, v0
	ds_bpermute_b32 v1, v11, v0
	s_wait_dscnt 0x0
	v_max_num_f32_e32 v1, v1, v1
	v_max_num_f32_e32 v0, v0, v1
	ds_bpermute_b32 v1, v6, v0
	s_and_saveexec_b32 s25, s1
	s_cbranch_execz .LBB240_17
; %bb.14:
	v_lshl_add_u32 v7, v183, 2, 0x220
	v_mov_b32_e32 v6, 0
	v_mov_b32_e32 v8, v183
	s_mov_b32 s33, 0
.LBB240_15:                             ; =>This Inner Loop Header: Depth=1
	ds_load_b32 v0, v7
	v_add_nc_u32_e32 v8, 0x80, v8
	s_delay_alu instid0(VALU_DEP_1) | instskip(SKIP_4) | instid1(VALU_DEP_1)
	v_cmp_le_i32_e64 s4, s5, v8
	s_wait_alu 0xfffe
	s_or_b32 s33, s4, s33
	s_wait_dscnt 0x0
	v_sub_f32_e32 v0, v0, v1
	v_mul_f32_e32 v0, 0x3fb8aa3b, v0
	s_delay_alu instid0(VALU_DEP_1)
	v_exp_f32_e32 v0, v0
	ds_store_b32 v7, v0
	v_dual_add_f32 v6, v6, v0 :: v_dual_add_nc_u32 v7, 0x200, v7
	s_wait_alu 0xfffe
	s_and_not1_b32 exec_lo, exec_lo, s33
	s_cbranch_execnz .LBB240_15
; %bb.16:
	s_or_b32 exec_lo, exec_lo, s33
.LBB240_17:
	s_wait_alu 0xfffe
	s_or_b32 exec_lo, exec_lo, s25
	ds_bpermute_b32 v0, v2, v6
	s_wait_dscnt 0x0
	v_add_f32_e32 v0, v6, v0
	ds_bpermute_b32 v2, v3, v0
	s_wait_dscnt 0x0
	v_add_f32_e32 v0, v0, v2
	;; [unrolled: 3-line block ×5, first 2 shown]
	s_and_saveexec_b32 s4, vcc_lo
; %bb.18:
	ds_store_b32 v5, v2 offset:528
; %bb.19:
	s_wait_alu 0xfffe
	s_or_b32 exec_lo, exec_lo, s4
	s_wait_loadcnt_dscnt 0x0
	s_barrier_signal -1
	s_barrier_wait -1
	global_inv scope:SCOPE_SE
	s_and_saveexec_b32 s4, s0
; %bb.20:
	ds_load_b32 v2, v10 offset:528
; %bb.21:
	s_wait_alu 0xfffe
	s_or_b32 exec_lo, exec_lo, s4
	s_wait_dscnt 0x0
	ds_bpermute_b32 v0, v12, v2
	s_wait_dscnt 0x0
	v_add_f32_e32 v0, v2, v0
	ds_bpermute_b32 v2, v11, v0
	s_wait_dscnt 0x0
	v_add_f32_e32 v0, v0, v2
	v_mov_b32_e32 v2, 0
	ds_bpermute_b32 v2, v2, v0
	s_and_saveexec_b32 s0, s1
	s_cbranch_execz .LBB240_24
; %bb.22:
	s_wait_dscnt 0x0
	v_add_f32_e32 v0, 0x358637bd, v2
	s_mov_b32 s1, 0
	s_delay_alu instid0(VALU_DEP_1) | instskip(NEXT) | instid1(VALU_DEP_1)
	v_div_scale_f32 v3, null, v0, v0, 1.0
	v_rcp_f32_e32 v5, v3
	s_delay_alu instid0(TRANS32_DEP_1) | instskip(NEXT) | instid1(VALU_DEP_1)
	v_fma_f32 v6, -v3, v5, 1.0
	v_fmac_f32_e32 v5, v6, v5
	v_div_scale_f32 v7, vcc_lo, 1.0, v0, 1.0
	s_delay_alu instid0(VALU_DEP_1) | instskip(NEXT) | instid1(VALU_DEP_1)
	v_mul_f32_e32 v6, v7, v5
	v_fma_f32 v8, -v3, v6, v7
	s_delay_alu instid0(VALU_DEP_1) | instskip(NEXT) | instid1(VALU_DEP_1)
	v_fmac_f32_e32 v6, v8, v5
	v_fma_f32 v3, -v3, v6, v7
	s_wait_alu 0xfffd
	s_delay_alu instid0(VALU_DEP_1) | instskip(SKIP_1) | instid1(VALU_DEP_2)
	v_div_fmas_f32 v3, v3, v5, v6
	v_mov_b32_e32 v5, v183
	v_div_fixup_f32 v3, v3, v0, 1.0
.LBB240_23:                             ; =>This Inner Loop Header: Depth=1
	ds_load_b32 v0, v4
	s_wait_dscnt 0x0
	v_dual_mul_f32 v0, v3, v0 :: v_dual_add_nc_u32 v5, 0x80, v5
	s_delay_alu instid0(VALU_DEP_1) | instskip(SKIP_3) | instid1(SALU_CYCLE_1)
	v_cmp_le_i32_e32 vcc_lo, s5, v5
	ds_store_b32 v4, v0
	v_add_nc_u32_e32 v4, 0x200, v4
	s_or_b32 s1, vcc_lo, s1
	s_and_not1_b32 exec_lo, exec_lo, s1
	s_cbranch_execnz .LBB240_23
.LBB240_24:
	s_or_b32 exec_lo, exec_lo, s0
	s_mul_i32 s0, s12, s30
	s_wait_loadcnt_dscnt 0x0
	s_mul_i32 s4, s0, s31
	s_mov_b32 s0, exec_lo
	s_barrier_signal -1
	s_barrier_wait -1
	global_inv scope:SCOPE_SE
	v_cmpx_eq_u32_e32 0, v183
	s_cbranch_execz .LBB240_26
; %bb.25:
	s_wait_alu 0xfffe
	s_ashr_i32 s5, s4, 31
	s_mul_i32 s30, s12, ttmp9
	s_lshl_b32 s1, s29, 2
	s_wait_alu 0xfffe
	s_lshl_b64 s[34:35], s[4:5], 2
	s_ashr_i32 s31, s30, 31
	v_mov_b32_e32 v0, s1
	s_add_nc_u64 s[10:11], s[10:11], s[34:35]
	s_lshl_b64 s[30:31], s[30:31], 2
	s_add_nc_u64 s[8:9], s[8:9], s[34:35]
	s_wait_alu 0xfffe
	s_add_nc_u64 s[10:11], s[10:11], s[30:31]
	s_add_nc_u64 s[8:9], s[8:9], s[30:31]
	s_clause 0x1
	global_store_b32 v0, v1, s[10:11]
	global_store_b32 v0, v2, s[8:9]
.LBB240_26:
	s_or_b32 exec_lo, exec_lo, s0
	v_dual_mov_b32 v44, 0 :: v_dual_mov_b32 v45, 0
	v_dual_mov_b32 v43, 0 :: v_dual_and_b32 v14, 7, v183
	v_dual_mov_b32 v46, 0 :: v_dual_mov_b32 v41, 0
	v_dual_mov_b32 v42, 0 :: v_dual_mov_b32 v39, 0
	;; [unrolled: 1-line block ×14, first 2 shown]
	v_mov_b32_e32 v16, 0
	s_and_saveexec_b32 s1, s3
	s_cbranch_execz .LBB240_94
; %bb.27:
	s_load_b32 s5, s[6:7], 0x0
	v_dual_mov_b32 v15, 0 :: v_dual_lshlrev_b32 v0, 2, v183
	v_dual_mov_b32 v16, 0 :: v_dual_lshlrev_b32 v1, 4, v14
	s_lshl_b64 s[6:7], s[22:23], 2
	s_delay_alu instid0(VALU_DEP_2) | instskip(SKIP_1) | instid1(VALU_DEP_3)
	v_dual_mov_b32 v17, 0 :: v_dual_and_b32 v2, 28, v0
	v_lshl_add_u32 v3, v184, 5, s16
	v_lshl_or_b32 v1, v184, 7, v1
	s_add_nc_u64 s[6:7], s[20:21], s[6:7]
	v_dual_mov_b32 v18, 0 :: v_dual_and_b32 v133, 0x7c, v0
	v_add_co_u32 v5, s0, s6, v9
	v_or_b32_e32 v48, 0xf80, v0
	v_add3_u32 v49, v3, v2, 3
	v_dual_mov_b32 v19, 0 :: v_dual_add_nc_u32 v50, 0x220, v1
	s_wait_alu 0xf1ff
	v_add_co_ci_u32_e64 v6, null, s7, 0, s0
	v_dual_mov_b32 v20, 0 :: v_dual_mov_b32 v21, 0
	v_dual_mov_b32 v22, 0 :: v_dual_mov_b32 v23, 0
	;; [unrolled: 1-line block ×13, first 2 shown]
	v_mov_b32_e32 v44, 0
	s_ashr_i32 s25, s24, 31
	s_mov_b32 s3, s13
	s_wait_alu 0xfffe
	s_add_nc_u64 s[8:9], s[26:27], s[24:25]
	s_wait_kmcnt 0x0
	s_mov_b32 s6, s5
	s_add_co_i32 s10, s28, -1
	s_mov_b32 s7, 0
	s_branch .LBB240_29
.LBB240_28:                             ;   in Loop: Header=BB240_29 Depth=1
	s_wait_alu 0xfffe
	s_or_b32 exec_lo, exec_lo, s0
	s_wait_dscnt 0x0
	v_mul_f32_e32 v47, v1, v178
	v_mul_f32_e32 v0, v1, v180
	;; [unrolled: 1-line block ×4, first 2 shown]
	s_delay_alu instid0(VALU_DEP_4) | instskip(NEXT) | instid1(VALU_DEP_4)
	v_dual_mul_f32 v70, v1, v70 :: v_dual_fmac_f32 v47, v2, v175
	v_dual_fmac_f32 v0, v2, v179 :: v_dual_mul_f32 v83, v1, v168
	v_mul_f32_e32 v82, v1, v172
	s_delay_alu instid0(VALU_DEP_3) | instskip(NEXT) | instid1(VALU_DEP_3)
	v_dual_fmac_f32 v74, v2, v73 :: v_dual_fmac_f32 v47, v3, v174
	v_fmac_f32_e32 v0, v3, v177
	s_delay_alu instid0(VALU_DEP_4) | instskip(NEXT) | instid1(VALU_DEP_3)
	v_dual_mul_f32 v84, v1, v164 :: v_dual_fmac_f32 v83, v2, v167
	v_dual_mul_f32 v134, v1, v160 :: v_dual_fmac_f32 v47, v4, v173
	;; [unrolled: 1-line block ×3, first 2 shown]
	s_delay_alu instid0(VALU_DEP_3) | instskip(NEXT) | instid1(VALU_DEP_2)
	v_dual_fmac_f32 v84, v2, v163 :: v_dual_fmac_f32 v83, v3, v166
	v_dual_fmac_f32 v0, v4, v176 :: v_dual_fmac_f32 v135, v2, v155
	s_delay_alu instid0(VALU_DEP_4) | instskip(NEXT) | instid1(VALU_DEP_3)
	v_fmac_f32_e32 v134, v2, v159
	v_dual_fmac_f32 v84, v3, v162 :: v_dual_fmac_f32 v83, v4, v165
	v_dual_fmac_f32 v82, v3, v170 :: v_dual_add_f32 v17, v17, v47
	s_delay_alu instid0(VALU_DEP_4) | instskip(NEXT) | instid1(VALU_DEP_4)
	v_fmac_f32_e32 v135, v3, v154
	v_fmac_f32_e32 v134, v3, v158
	s_delay_alu instid0(VALU_DEP_4) | instskip(SKIP_1) | instid1(VALU_DEP_4)
	v_dual_fmac_f32 v84, v4, v161 :: v_dual_mul_f32 v47, v1, v148
	v_dual_add_f32 v16, v16, v0 :: v_dual_add_f32 v19, v19, v83
	v_fmac_f32_e32 v135, v4, v153
	s_delay_alu instid0(VALU_DEP_3) | instskip(SKIP_1) | instid1(VALU_DEP_2)
	v_dual_fmac_f32 v134, v4, v157 :: v_dual_fmac_f32 v47, v2, v147
	v_dual_fmac_f32 v82, v4, v169 :: v_dual_mul_f32 v83, v1, v140
	v_dual_add_f32 v20, v20, v84 :: v_dual_add_f32 v21, v21, v134
	s_delay_alu instid0(VALU_DEP_3) | instskip(NEXT) | instid1(VALU_DEP_3)
	v_dual_mul_f32 v0, v1, v152 :: v_dual_fmac_f32 v47, v3, v146
	v_add_f32_e32 v18, v18, v82
	s_delay_alu instid0(VALU_DEP_4) | instskip(SKIP_1) | instid1(VALU_DEP_4)
	v_fmac_f32_e32 v83, v2, v139
	v_add_f32_e32 v22, v22, v135
	v_dual_mul_f32 v82, v1, v144 :: v_dual_fmac_f32 v47, v4, v145
	v_fmac_f32_e32 v74, v3, v72
	s_delay_alu instid0(VALU_DEP_4) | instskip(SKIP_1) | instid1(VALU_DEP_4)
	v_dual_fmac_f32 v83, v3, v138 :: v_dual_fmac_f32 v0, v2, v151
	v_mul_f32_e32 v58, v1, v58
	v_dual_add_f32 v24, v24, v47 :: v_dual_mul_f32 v47, v1, v125
	s_delay_alu instid0(VALU_DEP_3) | instskip(SKIP_3) | instid1(VALU_DEP_4)
	v_dual_fmac_f32 v83, v4, v137 :: v_dual_fmac_f32 v0, v3, v150
	v_fmac_f32_e32 v74, v4, v71
	v_mul_f32_e32 v54, v1, v54
	v_fmac_f32_e32 v70, v2, v69
	v_add_f32_e32 v26, v26, v83
	v_fmac_f32_e32 v0, v4, v149
	v_dual_fmac_f32 v82, v2, v143 :: v_dual_mul_f32 v83, v1, v117
	v_fmac_f32_e32 v58, v2, v57
	s_delay_alu instid0(VALU_DEP_3) | instskip(NEXT) | instid1(VALU_DEP_3)
	v_dual_fmac_f32 v54, v2, v53 :: v_dual_add_f32 v23, v23, v0
	v_dual_fmac_f32 v82, v3, v142 :: v_dual_fmac_f32 v47, v2, v124
	v_mul_f32_e32 v84, v1, v136
	v_fmac_f32_e32 v70, v3, v68
	v_fmac_f32_e32 v58, v3, v56
	s_delay_alu instid0(VALU_DEP_4) | instskip(NEXT) | instid1(VALU_DEP_4)
	v_dual_fmac_f32 v82, v4, v141 :: v_dual_fmac_f32 v47, v3, v123
	v_fmac_f32_e32 v84, v2, v132
	v_mul_f32_e32 v0, v1, v129
	s_delay_alu instid0(VALU_DEP_3) | instskip(NEXT) | instid1(VALU_DEP_3)
	v_dual_fmac_f32 v54, v3, v52 :: v_dual_add_f32 v25, v25, v82
	v_dual_fmac_f32 v83, v2, v116 :: v_dual_fmac_f32 v84, v3, v131
	s_delay_alu instid0(VALU_DEP_3) | instskip(NEXT) | instid1(VALU_DEP_2)
	v_dual_fmac_f32 v47, v4, v122 :: v_dual_fmac_f32 v0, v2, v128
	v_dual_fmac_f32 v83, v3, v115 :: v_dual_add_nc_u32 v186, 4, v186
	s_delay_alu instid0(VALU_DEP_2) | instskip(SKIP_1) | instid1(VALU_DEP_3)
	v_dual_fmac_f32 v84, v4, v130 :: v_dual_add_f32 v29, v29, v47
	v_dual_mul_f32 v47, v1, v105 :: v_dual_fmac_f32 v70, v4, v67
	v_dual_fmac_f32 v83, v4, v114 :: v_dual_mul_f32 v82, v1, v121
	s_delay_alu instid0(VALU_DEP_3) | instskip(NEXT) | instid1(VALU_DEP_3)
	v_dual_add_f32 v27, v27, v84 :: v_dual_mul_f32 v84, v1, v113
	v_fmac_f32_e32 v47, v2, v104
	s_delay_alu instid0(VALU_DEP_3) | instskip(SKIP_1) | instid1(VALU_DEP_3)
	v_dual_add_f32 v31, v31, v83 :: v_dual_fmac_f32 v82, v2, v120
	v_dual_mul_f32 v83, v1, v97 :: v_dual_fmac_f32 v0, v3, v127
	v_dual_fmac_f32 v84, v2, v112 :: v_dual_fmac_f32 v47, v3, v103
	s_delay_alu instid0(VALU_DEP_2) | instskip(NEXT) | instid1(VALU_DEP_3)
	v_dual_fmac_f32 v82, v3, v119 :: v_dual_fmac_f32 v83, v2, v96
	v_fmac_f32_e32 v0, v4, v126
	v_fmac_f32_e32 v58, v4, v55
	s_delay_alu instid0(VALU_DEP_4) | instskip(SKIP_1) | instid1(VALU_DEP_4)
	v_fmac_f32_e32 v47, v4, v102
	v_fmac_f32_e32 v54, v4, v51
	v_dual_fmac_f32 v83, v3, v95 :: v_dual_add_f32 v28, v28, v0
	v_mul_f32_e32 v0, v1, v109
	s_delay_alu instid0(VALU_DEP_4) | instskip(SKIP_1) | instid1(VALU_DEP_4)
	v_add_f32_e32 v34, v34, v47
	v_cmp_le_i32_e32 vcc_lo, s19, v186
	v_fmac_f32_e32 v83, v4, v94
	v_add_co_u32 v5, s0, v5, 16
	v_fmac_f32_e32 v0, v2, v108
	v_add_f32_e32 v42, v42, v70
	s_delay_alu instid0(VALU_DEP_4)
	v_add_f32_e32 v36, v36, v83
	v_add_f32_e32 v46, v46, v58
	;; [unrolled: 1-line block ×3, first 2 shown]
	v_fmac_f32_e32 v0, v3, v107
	v_add_nc_u32_e32 v50, 0x200, v50
	s_wait_alu 0xf1ff
	v_add_co_ci_u32_e64 v6, null, 0, v6, s0
	s_delay_alu instid0(VALU_DEP_3) | instskip(SKIP_3) | instid1(VALU_DEP_3)
	v_dual_mul_f32 v47, v1, v85 :: v_dual_fmac_f32 v0, v4, v106
	v_fmac_f32_e32 v84, v3, v111
	s_or_b32 s7, vcc_lo, s7
	v_add_nc_u32_e32 v49, 0x80, v49
	v_fmac_f32_e32 v47, v2, v81
	v_add_f32_e32 v33, v33, v0
	v_mul_f32_e32 v0, v1, v89
	v_fmac_f32_e32 v84, v4, v110
	v_add_f32_e32 v41, v41, v74
	v_fmac_f32_e32 v47, v3, v80
	s_delay_alu instid0(VALU_DEP_4) | instskip(NEXT) | instid1(VALU_DEP_4)
	v_fmac_f32_e32 v0, v2, v88
	v_add_f32_e32 v32, v32, v84
	s_delay_alu instid0(VALU_DEP_3) | instskip(NEXT) | instid1(VALU_DEP_3)
	v_dual_mul_f32 v84, v1, v93 :: v_dual_fmac_f32 v47, v4, v79
	v_fmac_f32_e32 v0, v3, v87
	s_delay_alu instid0(VALU_DEP_2) | instskip(SKIP_1) | instid1(VALU_DEP_3)
	v_dual_fmac_f32 v84, v2, v92 :: v_dual_add_f32 v39, v39, v47
	v_mul_f32_e32 v47, v1, v62
	v_fmac_f32_e32 v0, v4, v86
	s_delay_alu instid0(VALU_DEP_2) | instskip(NEXT) | instid1(VALU_DEP_2)
	v_dual_fmac_f32 v84, v3, v91 :: v_dual_fmac_f32 v47, v2, v61
	v_add_f32_e32 v38, v38, v0
	s_delay_alu instid0(VALU_DEP_2) | instskip(NEXT) | instid1(VALU_DEP_1)
	v_dual_mul_f32 v0, v1, v66 :: v_dual_fmac_f32 v47, v3, v60
	v_dual_fmac_f32 v0, v2, v65 :: v_dual_fmac_f32 v47, v4, v59
	s_delay_alu instid0(VALU_DEP_1) | instskip(NEXT) | instid1(VALU_DEP_1)
	v_dual_fmac_f32 v0, v3, v64 :: v_dual_add_f32 v45, v45, v47
	v_fmac_f32_e32 v0, v4, v63
	s_delay_alu instid0(VALU_DEP_1) | instskip(NEXT) | instid1(VALU_DEP_1)
	v_dual_fmac_f32 v84, v4, v90 :: v_dual_add_f32 v43, v43, v0
	v_dual_fmac_f32 v82, v4, v118 :: v_dual_add_f32 v37, v37, v84
	s_delay_alu instid0(VALU_DEP_1) | instskip(SKIP_1) | instid1(VALU_DEP_1)
	v_add_f32_e32 v30, v30, v82
	v_mul_f32_e32 v82, v1, v101
	v_dual_mul_f32 v1, v1, v10 :: v_dual_fmac_f32 v82, v2, v100
	s_delay_alu instid0(VALU_DEP_1) | instskip(NEXT) | instid1(VALU_DEP_1)
	v_dual_fmac_f32 v1, v2, v9 :: v_dual_fmac_f32 v82, v3, v99
	v_dual_fmac_f32 v1, v3, v8 :: v_dual_fmac_f32 v82, v4, v98
	s_delay_alu instid0(VALU_DEP_1) | instskip(NEXT) | instid1(VALU_DEP_2)
	v_dual_fmac_f32 v1, v4, v7 :: v_dual_fmac_f32 v78, v2, v77
	v_add_f32_e32 v35, v35, v82
	s_delay_alu instid0(VALU_DEP_2) | instskip(NEXT) | instid1(VALU_DEP_3)
	v_add_f32_e32 v15, v15, v1
	v_fmac_f32_e32 v78, v3, v76
	s_delay_alu instid0(VALU_DEP_1) | instskip(NEXT) | instid1(VALU_DEP_1)
	v_fmac_f32_e32 v78, v4, v75
	v_add_f32_e32 v40, v40, v78
	s_wait_alu 0xfffe
	s_and_not1_b32 exec_lo, exec_lo, s7
	s_cbranch_execz .LBB240_93
.LBB240_29:                             ; =>This Inner Loop Header: Depth=1
	global_load_b32 v0, v[5:6], off
	ds_load_b128 v[1:4], v50
	v_add_nc_u32_e32 v84, -1, v49
	s_wait_loadcnt 0x0
	s_wait_alu 0xfffe
	v_mad_co_i64_i32 v[7:8], null, v0, s3, s[8:9]
	s_delay_alu instid0(VALU_DEP_1) | instskip(SKIP_1) | instid1(VALU_DEP_2)
	v_add_co_u32 v9, vcc_lo, v7, v133
	s_wait_alu 0xfffd
	v_add_co_ci_u32_e64 v10, null, 0, v8, vcc_lo
	v_cmp_eq_u32_e32 vcc_lo, s10, v186
	global_load_b32 v0, v[9:10], off
	s_wait_loadcnt 0x0
	v_and_b32_e32 v47, 0xffff, v0
	v_lshrrev_b32_e32 v0, 16, v0
	s_delay_alu instid0(VALU_DEP_2) | instskip(NEXT) | instid1(VALU_DEP_2)
	v_cvt_pk_f32_fp8_e32 v[51:52], v47
	v_cvt_pk_f32_fp8_e32 v[55:56], v0
	v_add_nc_u32_e32 v82, -3, v49
	s_delay_alu instid0(VALU_DEP_3) | instskip(NEXT) | instid1(VALU_DEP_3)
	v_dual_mul_f32 v54, s5, v51 :: v_dual_add_nc_u32 v83, -2, v49
	v_dual_mul_f32 v53, s6, v52 :: v_dual_mul_f32 v52, s5, v55
	s_delay_alu instid0(VALU_DEP_4)
	v_mul_f32_e32 v51, s6, v56
	s_and_saveexec_b32 s11, vcc_lo
	s_cbranch_execz .LBB240_31
; %bb.30:                               ;   in Loop: Header=BB240_29 Depth=1
	v_cmp_gt_i32_e64 s0, s17, v82
	s_wait_alu 0xf1ff
	s_delay_alu instid0(VALU_DEP_1) | instskip(SKIP_2) | instid1(VALU_DEP_1)
	v_cndmask_b32_e64 v54, 0, v54, s0
	v_cmp_gt_i32_e64 s0, s17, v83
	s_wait_alu 0xf1ff
	v_cndmask_b32_e64 v53, 0, v53, s0
	v_cmp_gt_i32_e64 s0, s17, v84
	s_wait_alu 0xf1ff
	s_delay_alu instid0(VALU_DEP_1) | instskip(SKIP_2) | instid1(VALU_DEP_1)
	v_cndmask_b32_e64 v52, 0, v52, s0
	v_cmp_gt_i32_e64 s0, s17, v49
	s_wait_alu 0xf1ff
	v_cndmask_b32_e64 v51, 0, v51, s0
.LBB240_31:                             ;   in Loop: Header=BB240_29 Depth=1
	s_wait_alu 0xfffe
	s_or_b32 exec_lo, exec_lo, s11
	global_load_b32 v0, v[9:10], off offset:128
	s_wait_loadcnt 0x0
	v_and_b32_e32 v47, 0xffff, v0
	v_lshrrev_b32_e32 v0, 16, v0
	s_delay_alu instid0(VALU_DEP_2) | instskip(NEXT) | instid1(VALU_DEP_2)
	v_cvt_pk_f32_fp8_e32 v[55:56], v47
	v_cvt_pk_f32_fp8_e32 v[59:60], v0
	s_delay_alu instid0(VALU_DEP_2) | instskip(NEXT) | instid1(VALU_DEP_2)
	v_dual_mul_f32 v58, s5, v55 :: v_dual_mul_f32 v57, s6, v56
	v_dual_mul_f32 v56, s5, v59 :: v_dual_mul_f32 v55, s6, v60
	s_and_saveexec_b32 s11, vcc_lo
	s_cbranch_execz .LBB240_33
; %bb.32:                               ;   in Loop: Header=BB240_29 Depth=1
	v_cmp_gt_i32_e64 s0, s17, v82
	s_wait_alu 0xf1ff
	s_delay_alu instid0(VALU_DEP_1) | instskip(SKIP_2) | instid1(VALU_DEP_1)
	v_cndmask_b32_e64 v58, 0, v58, s0
	v_cmp_gt_i32_e64 s0, s17, v83
	s_wait_alu 0xf1ff
	v_cndmask_b32_e64 v57, 0, v57, s0
	v_cmp_gt_i32_e64 s0, s17, v84
	s_wait_alu 0xf1ff
	s_delay_alu instid0(VALU_DEP_1) | instskip(SKIP_2) | instid1(VALU_DEP_1)
	v_cndmask_b32_e64 v56, 0, v56, s0
	v_cmp_gt_i32_e64 s0, s17, v49
	s_wait_alu 0xf1ff
	v_cndmask_b32_e64 v55, 0, v55, s0
.LBB240_33:                             ;   in Loop: Header=BB240_29 Depth=1
	s_wait_alu 0xfffe
	s_or_b32 exec_lo, exec_lo, s11
	global_load_b32 v0, v[9:10], off offset:256
	s_wait_loadcnt 0x0
	v_and_b32_e32 v47, 0xffff, v0
	v_lshrrev_b32_e32 v0, 16, v0
	s_delay_alu instid0(VALU_DEP_2) | instskip(NEXT) | instid1(VALU_DEP_2)
	v_cvt_pk_f32_fp8_e32 v[59:60], v47
	v_cvt_pk_f32_fp8_e32 v[63:64], v0
	s_delay_alu instid0(VALU_DEP_2) | instskip(NEXT) | instid1(VALU_DEP_2)
	v_dual_mul_f32 v62, s5, v59 :: v_dual_mul_f32 v61, s6, v60
	v_dual_mul_f32 v60, s5, v63 :: v_dual_mul_f32 v59, s6, v64
	;; [unrolled: 30-line block ×6, first 2 shown]
	s_and_saveexec_b32 s11, vcc_lo
	s_cbranch_execz .LBB240_43
; %bb.42:                               ;   in Loop: Header=BB240_29 Depth=1
	v_cmp_gt_i32_e64 s0, s17, v82
	s_wait_alu 0xf1ff
	s_delay_alu instid0(VALU_DEP_1) | instskip(SKIP_2) | instid1(VALU_DEP_1)
	v_cndmask_b32_e64 v78, 0, v78, s0
	v_cmp_gt_i32_e64 s0, s17, v83
	s_wait_alu 0xf1ff
	v_cndmask_b32_e64 v77, 0, v77, s0
	v_cmp_gt_i32_e64 s0, s17, v84
	s_wait_alu 0xf1ff
	s_delay_alu instid0(VALU_DEP_1) | instskip(SKIP_2) | instid1(VALU_DEP_1)
	v_cndmask_b32_e64 v76, 0, v76, s0
	v_cmp_gt_i32_e64 s0, s17, v49
	s_wait_alu 0xf1ff
	v_cndmask_b32_e64 v75, 0, v75, s0
.LBB240_43:                             ;   in Loop: Header=BB240_29 Depth=1
	s_wait_alu 0xfffe
	s_or_b32 exec_lo, exec_lo, s11
	global_load_b32 v0, v[9:10], off offset:896
	s_wait_loadcnt 0x0
	v_and_b32_e32 v47, 0xffff, v0
	v_lshrrev_b32_e32 v0, 16, v0
	s_delay_alu instid0(VALU_DEP_2) | instskip(NEXT) | instid1(VALU_DEP_2)
	v_cvt_pk_f32_fp8_e32 v[79:80], v47
	v_cvt_pk_f32_fp8_e32 v[86:87], v0
	s_delay_alu instid0(VALU_DEP_2) | instskip(NEXT) | instid1(VALU_DEP_2)
	v_mul_f32_e32 v85, s5, v79
	v_dual_mul_f32 v81, s6, v80 :: v_dual_mul_f32 v80, s5, v86
	s_delay_alu instid0(VALU_DEP_3)
	v_mul_f32_e32 v79, s6, v87
	s_and_saveexec_b32 s11, vcc_lo
	s_cbranch_execz .LBB240_45
; %bb.44:                               ;   in Loop: Header=BB240_29 Depth=1
	v_cmp_gt_i32_e64 s0, s17, v82
	s_wait_alu 0xf1ff
	s_delay_alu instid0(VALU_DEP_1) | instskip(SKIP_2) | instid1(VALU_DEP_1)
	v_cndmask_b32_e64 v85, 0, v85, s0
	v_cmp_gt_i32_e64 s0, s17, v83
	s_wait_alu 0xf1ff
	v_cndmask_b32_e64 v81, 0, v81, s0
	v_cmp_gt_i32_e64 s0, s17, v84
	s_wait_alu 0xf1ff
	s_delay_alu instid0(VALU_DEP_1) | instskip(SKIP_2) | instid1(VALU_DEP_1)
	v_cndmask_b32_e64 v80, 0, v80, s0
	v_cmp_gt_i32_e64 s0, s17, v49
	s_wait_alu 0xf1ff
	v_cndmask_b32_e64 v79, 0, v79, s0
.LBB240_45:                             ;   in Loop: Header=BB240_29 Depth=1
	s_wait_alu 0xfffe
	s_or_b32 exec_lo, exec_lo, s11
	global_load_b32 v0, v[9:10], off offset:1024
	s_wait_loadcnt 0x0
	v_and_b32_e32 v47, 0xffff, v0
	v_lshrrev_b32_e32 v0, 16, v0
	s_delay_alu instid0(VALU_DEP_2) | instskip(NEXT) | instid1(VALU_DEP_2)
	v_cvt_pk_f32_fp8_e32 v[86:87], v47
	v_cvt_pk_f32_fp8_e32 v[90:91], v0
	s_delay_alu instid0(VALU_DEP_1) | instskip(NEXT) | instid1(VALU_DEP_2)
	v_dual_mul_f32 v89, s5, v86 :: v_dual_mul_f32 v86, s6, v91
	v_dual_mul_f32 v88, s6, v87 :: v_dual_mul_f32 v87, s5, v90
	s_and_saveexec_b32 s11, vcc_lo
	s_cbranch_execz .LBB240_47
; %bb.46:                               ;   in Loop: Header=BB240_29 Depth=1
	v_cmp_gt_i32_e64 s0, s17, v82
	s_wait_alu 0xf1ff
	s_delay_alu instid0(VALU_DEP_1) | instskip(SKIP_2) | instid1(VALU_DEP_1)
	v_cndmask_b32_e64 v89, 0, v89, s0
	v_cmp_gt_i32_e64 s0, s17, v83
	s_wait_alu 0xf1ff
	v_cndmask_b32_e64 v88, 0, v88, s0
	v_cmp_gt_i32_e64 s0, s17, v84
	s_wait_alu 0xf1ff
	s_delay_alu instid0(VALU_DEP_1) | instskip(SKIP_2) | instid1(VALU_DEP_1)
	v_cndmask_b32_e64 v87, 0, v87, s0
	v_cmp_gt_i32_e64 s0, s17, v49
	s_wait_alu 0xf1ff
	v_cndmask_b32_e64 v86, 0, v86, s0
.LBB240_47:                             ;   in Loop: Header=BB240_29 Depth=1
	s_wait_alu 0xfffe
	s_or_b32 exec_lo, exec_lo, s11
	global_load_b32 v0, v[9:10], off offset:1152
	s_wait_loadcnt 0x0
	v_and_b32_e32 v47, 0xffff, v0
	v_lshrrev_b32_e32 v0, 16, v0
	s_delay_alu instid0(VALU_DEP_2) | instskip(NEXT) | instid1(VALU_DEP_2)
	v_cvt_pk_f32_fp8_e32 v[90:91], v47
	v_cvt_pk_f32_fp8_e32 v[94:95], v0
	s_delay_alu instid0(VALU_DEP_1) | instskip(NEXT) | instid1(VALU_DEP_2)
	v_dual_mul_f32 v93, s5, v90 :: v_dual_mul_f32 v90, s6, v95
	v_dual_mul_f32 v92, s6, v91 :: v_dual_mul_f32 v91, s5, v94
	;; [unrolled: 30-line block ×11, first 2 shown]
	s_and_saveexec_b32 s11, vcc_lo
	s_cbranch_execz .LBB240_67
; %bb.66:                               ;   in Loop: Header=BB240_29 Depth=1
	v_cmp_gt_i32_e64 s0, s17, v82
	s_wait_alu 0xf1ff
	s_delay_alu instid0(VALU_DEP_1) | instskip(SKIP_2) | instid1(VALU_DEP_1)
	v_cndmask_b32_e64 v129, 0, v129, s0
	v_cmp_gt_i32_e64 s0, s17, v83
	s_wait_alu 0xf1ff
	v_cndmask_b32_e64 v128, 0, v128, s0
	v_cmp_gt_i32_e64 s0, s17, v84
	s_wait_alu 0xf1ff
	s_delay_alu instid0(VALU_DEP_1) | instskip(SKIP_2) | instid1(VALU_DEP_1)
	v_cndmask_b32_e64 v127, 0, v127, s0
	v_cmp_gt_i32_e64 s0, s17, v49
	s_wait_alu 0xf1ff
	v_cndmask_b32_e64 v126, 0, v126, s0
.LBB240_67:                             ;   in Loop: Header=BB240_29 Depth=1
	s_wait_alu 0xfffe
	s_or_b32 exec_lo, exec_lo, s11
	global_load_b32 v0, v[9:10], off offset:2432
	s_wait_loadcnt 0x0
	v_and_b32_e32 v47, 0xffff, v0
	v_lshrrev_b32_e32 v0, 16, v0
	s_delay_alu instid0(VALU_DEP_2) | instskip(NEXT) | instid1(VALU_DEP_2)
	v_cvt_pk_f32_fp8_e32 v[130:131], v47
	v_cvt_pk_f32_fp8_e32 v[137:138], v0
	s_delay_alu instid0(VALU_DEP_2) | instskip(NEXT) | instid1(VALU_DEP_2)
	v_mul_f32_e32 v136, s5, v130
	v_dual_mul_f32 v132, s6, v131 :: v_dual_mul_f32 v131, s5, v137
	s_delay_alu instid0(VALU_DEP_3)
	v_mul_f32_e32 v130, s6, v138
	s_and_saveexec_b32 s11, vcc_lo
	s_cbranch_execz .LBB240_69
; %bb.68:                               ;   in Loop: Header=BB240_29 Depth=1
	v_cmp_gt_i32_e64 s0, s17, v82
	s_wait_alu 0xf1ff
	s_delay_alu instid0(VALU_DEP_1) | instskip(SKIP_2) | instid1(VALU_DEP_1)
	v_cndmask_b32_e64 v136, 0, v136, s0
	v_cmp_gt_i32_e64 s0, s17, v83
	s_wait_alu 0xf1ff
	v_cndmask_b32_e64 v132, 0, v132, s0
	v_cmp_gt_i32_e64 s0, s17, v84
	s_wait_alu 0xf1ff
	s_delay_alu instid0(VALU_DEP_1) | instskip(SKIP_2) | instid1(VALU_DEP_1)
	v_cndmask_b32_e64 v131, 0, v131, s0
	v_cmp_gt_i32_e64 s0, s17, v49
	s_wait_alu 0xf1ff
	v_cndmask_b32_e64 v130, 0, v130, s0
.LBB240_69:                             ;   in Loop: Header=BB240_29 Depth=1
	s_wait_alu 0xfffe
	s_or_b32 exec_lo, exec_lo, s11
	global_load_b32 v0, v[9:10], off offset:2560
	s_wait_loadcnt 0x0
	v_and_b32_e32 v47, 0xffff, v0
	v_lshrrev_b32_e32 v0, 16, v0
	s_delay_alu instid0(VALU_DEP_2) | instskip(NEXT) | instid1(VALU_DEP_2)
	v_cvt_pk_f32_fp8_e32 v[137:138], v47
	v_cvt_pk_f32_fp8_e32 v[141:142], v0
	s_delay_alu instid0(VALU_DEP_2) | instskip(NEXT) | instid1(VALU_DEP_2)
	v_dual_mul_f32 v140, s5, v137 :: v_dual_mul_f32 v139, s6, v138
	v_dual_mul_f32 v138, s5, v141 :: v_dual_mul_f32 v137, s6, v142
	s_and_saveexec_b32 s11, vcc_lo
	s_cbranch_execz .LBB240_71
; %bb.70:                               ;   in Loop: Header=BB240_29 Depth=1
	v_cmp_gt_i32_e64 s0, s17, v82
	s_wait_alu 0xf1ff
	s_delay_alu instid0(VALU_DEP_1) | instskip(SKIP_2) | instid1(VALU_DEP_1)
	v_cndmask_b32_e64 v140, 0, v140, s0
	v_cmp_gt_i32_e64 s0, s17, v83
	s_wait_alu 0xf1ff
	v_cndmask_b32_e64 v139, 0, v139, s0
	v_cmp_gt_i32_e64 s0, s17, v84
	s_wait_alu 0xf1ff
	s_delay_alu instid0(VALU_DEP_1) | instskip(SKIP_2) | instid1(VALU_DEP_1)
	v_cndmask_b32_e64 v138, 0, v138, s0
	v_cmp_gt_i32_e64 s0, s17, v49
	s_wait_alu 0xf1ff
	v_cndmask_b32_e64 v137, 0, v137, s0
.LBB240_71:                             ;   in Loop: Header=BB240_29 Depth=1
	s_wait_alu 0xfffe
	s_or_b32 exec_lo, exec_lo, s11
	global_load_b32 v0, v[9:10], off offset:2688
	s_wait_loadcnt 0x0
	v_and_b32_e32 v47, 0xffff, v0
	v_lshrrev_b32_e32 v0, 16, v0
	s_delay_alu instid0(VALU_DEP_2) | instskip(NEXT) | instid1(VALU_DEP_2)
	v_cvt_pk_f32_fp8_e32 v[141:142], v47
	v_cvt_pk_f32_fp8_e32 v[145:146], v0
	s_delay_alu instid0(VALU_DEP_2) | instskip(NEXT) | instid1(VALU_DEP_2)
	v_dual_mul_f32 v144, s5, v141 :: v_dual_mul_f32 v143, s6, v142
	v_dual_mul_f32 v142, s5, v145 :: v_dual_mul_f32 v141, s6, v146
	;; [unrolled: 30-line block ×10, first 2 shown]
	s_and_saveexec_b32 s11, vcc_lo
	s_cbranch_execz .LBB240_89
; %bb.88:                               ;   in Loop: Header=BB240_29 Depth=1
	v_cmp_gt_i32_e64 s0, s17, v82
	s_wait_alu 0xf1ff
	s_delay_alu instid0(VALU_DEP_1) | instskip(SKIP_2) | instid1(VALU_DEP_1)
	v_cndmask_b32_e64 v178, 0, v178, s0
	v_cmp_gt_i32_e64 s0, s17, v83
	s_wait_alu 0xf1ff
	v_cndmask_b32_e64 v175, 0, v175, s0
	v_cmp_gt_i32_e64 s0, s17, v84
	s_wait_alu 0xf1ff
	s_delay_alu instid0(VALU_DEP_1) | instskip(SKIP_2) | instid1(VALU_DEP_1)
	v_cndmask_b32_e64 v174, 0, v174, s0
	v_cmp_gt_i32_e64 s0, s17, v49
	s_wait_alu 0xf1ff
	v_cndmask_b32_e64 v173, 0, v173, s0
.LBB240_89:                             ;   in Loop: Header=BB240_29 Depth=1
	s_wait_alu 0xfffe
	s_or_b32 exec_lo, exec_lo, s11
	global_load_b32 v0, v[9:10], off offset:3840
	s_wait_loadcnt 0x0
	v_and_b32_e32 v9, 0xffff, v0
	v_lshrrev_b32_e32 v0, 16, v0
	s_delay_alu instid0(VALU_DEP_1) | instskip(NEXT) | instid1(VALU_DEP_1)
	v_cvt_pk_f32_fp8_e32 v[181:182], v0
	v_mul_f32_e32 v176, s6, v182
	s_delay_alu instid0(VALU_DEP_4) | instskip(NEXT) | instid1(VALU_DEP_3)
	v_cvt_pk_f32_fp8_e32 v[9:10], v9
	v_mul_f32_e32 v177, s5, v181
	s_delay_alu instid0(VALU_DEP_2)
	v_dual_mul_f32 v180, s5, v9 :: v_dual_mul_f32 v179, s6, v10
	s_and_saveexec_b32 s11, vcc_lo
	s_cbranch_execz .LBB240_91
; %bb.90:                               ;   in Loop: Header=BB240_29 Depth=1
	v_cmp_gt_i32_e64 s0, s17, v82
	s_wait_alu 0xf1ff
	s_delay_alu instid0(VALU_DEP_1) | instskip(SKIP_2) | instid1(VALU_DEP_1)
	v_cndmask_b32_e64 v180, 0, v180, s0
	v_cmp_gt_i32_e64 s0, s17, v83
	s_wait_alu 0xf1ff
	v_cndmask_b32_e64 v179, 0, v179, s0
	v_cmp_gt_i32_e64 s0, s17, v84
	s_wait_alu 0xf1ff
	s_delay_alu instid0(VALU_DEP_1) | instskip(SKIP_2) | instid1(VALU_DEP_1)
	v_cndmask_b32_e64 v177, 0, v177, s0
	v_cmp_gt_i32_e64 s0, s17, v49
	s_wait_alu 0xf1ff
	v_cndmask_b32_e64 v176, 0, v176, s0
.LBB240_91:                             ;   in Loop: Header=BB240_29 Depth=1
	s_wait_alu 0xfffe
	s_or_b32 exec_lo, exec_lo, s11
	v_add_co_u32 v7, s0, v7, v48
	s_wait_alu 0xf1ff
	v_add_co_ci_u32_e64 v8, null, 0, v8, s0
	global_load_b32 v0, v[7:8], off
	s_wait_loadcnt 0x0
	v_and_b32_e32 v7, 0xffff, v0
	v_lshrrev_b32_e32 v0, 16, v0
	s_delay_alu instid0(VALU_DEP_2) | instskip(NEXT) | instid1(VALU_DEP_2)
	v_cvt_pk_f32_fp8_e32 v[7:8], v7
	v_cvt_pk_f32_fp8_e32 v[181:182], v0
	s_delay_alu instid0(VALU_DEP_2) | instskip(NEXT) | instid1(VALU_DEP_2)
	v_dual_mul_f32 v10, s5, v7 :: v_dual_mul_f32 v9, s6, v8
	v_dual_mul_f32 v8, s5, v181 :: v_dual_mul_f32 v7, s6, v182
	s_and_saveexec_b32 s0, vcc_lo
	s_cbranch_execz .LBB240_28
; %bb.92:                               ;   in Loop: Header=BB240_29 Depth=1
	v_cmp_gt_i32_e32 vcc_lo, s17, v82
	s_wait_alu 0xfffd
	v_cndmask_b32_e32 v10, 0, v10, vcc_lo
	v_cmp_gt_i32_e32 vcc_lo, s17, v83
	s_wait_alu 0xfffd
	v_cndmask_b32_e32 v9, 0, v9, vcc_lo
	;; [unrolled: 3-line block ×4, first 2 shown]
	s_branch .LBB240_28
.LBB240_93:
	s_or_b32 exec_lo, exec_lo, s7
.LBB240_94:
	s_wait_alu 0xfffe
	s_or_b32 exec_lo, exec_lo, s1
	ds_bpermute_b32 v0, v13, v44
	ds_bpermute_b32 v1, v13, v46
	;; [unrolled: 1-line block ×17, first 2 shown]
	s_mov_b32 s0, exec_lo
	s_wait_storecnt 0x0
	s_wait_loadcnt_dscnt 0x0
	s_barrier_signal -1
	v_dual_add_f32 v0, v44, v0 :: v_dual_add_f32 v1, v46, v1
	v_dual_add_f32 v2, v45, v2 :: v_dual_add_f32 v3, v43, v3
	;; [unrolled: 1-line block ×3, first 2 shown]
	ds_bpermute_b32 v41, v12, v0
	ds_bpermute_b32 v42, v12, v1
	;; [unrolled: 1-line block ×4, first 2 shown]
	v_dual_add_f32 v6, v40, v6 :: v_dual_add_f32 v7, v39, v7
	v_dual_add_f32 v8, v38, v8 :: v_dual_add_f32 v9, v37, v9
	;; [unrolled: 1-line block ×3, first 2 shown]
	ds_bpermute_b32 v36, v12, v4
	ds_bpermute_b32 v37, v12, v5
	ds_bpermute_b32 v38, v12, v6
	ds_bpermute_b32 v39, v12, v7
	ds_bpermute_b32 v40, v12, v8
	v_add_f32_e32 v34, v34, v48
	ds_bpermute_b32 v46, v12, v9
	ds_bpermute_b32 v47, v12, v10
	ds_bpermute_b32 v48, v12, v35
	v_add_f32_e32 v33, v33, v49
	s_wait_dscnt 0xa
	v_dual_add_f32 v0, v0, v41 :: v_dual_add_f32 v41, v1, v42
	s_wait_dscnt 0x8
	v_dual_add_f32 v42, v2, v43 :: v_dual_add_f32 v43, v3, v44
	ds_bpermute_b32 v45, v13, v29
	ds_bpermute_b32 v1, v11, v0
	;; [unrolled: 1-line block ×5, first 2 shown]
	v_dual_add_f32 v32, v32, v50 :: v_dual_add_f32 v31, v31, v51
	s_wait_dscnt 0xb
	v_dual_add_f32 v36, v4, v36 :: v_dual_add_f32 v37, v5, v37
	s_wait_dscnt 0x9
	;; [unrolled: 2-line block ×3, first 2 shown]
	v_add_f32_e32 v40, v8, v40
	s_wait_dscnt 0x7
	v_add_f32_e32 v46, v9, v46
	ds_bpermute_b32 v6, v11, v37
	s_wait_dscnt 0x7
	v_add_f32_e32 v47, v10, v47
	ds_bpermute_b32 v7, v11, v38
	ds_bpermute_b32 v5, v11, v36
	s_wait_dscnt 0x8
	v_add_f32_e32 v35, v35, v48
	ds_bpermute_b32 v8, v11, v39
	ds_bpermute_b32 v10, v11, v46
	;; [unrolled: 1-line block ×3, first 2 shown]
	s_wait_dscnt 0x8
	v_dual_add_f32 v1, v0, v1 :: v_dual_add_f32 v2, v41, v2
	ds_bpermute_b32 v0, v12, v33
	ds_bpermute_b32 v41, v13, v28
	s_wait_dscnt 0x8
	v_dual_add_f32 v3, v42, v3 :: v_dual_add_f32 v4, v43, v44
	ds_bpermute_b32 v42, v11, v35
	ds_bpermute_b32 v9, v11, v40
	v_add_f32_e32 v30, v30, v52
	ds_bpermute_b32 v49, v12, v34
	ds_bpermute_b32 v44, v13, v27
	;; [unrolled: 1-line block ×3, first 2 shown]
	s_wait_dscnt 0xc
	v_add_f32_e32 v6, v37, v6
	ds_bpermute_b32 v37, v12, v31
	s_wait_dscnt 0xc
	v_dual_add_f32 v7, v38, v7 :: v_dual_add_f32 v38, v29, v45
	s_wait_dscnt 0xb
	v_add_f32_e32 v5, v36, v5
	ds_bpermute_b32 v36, v12, v32
	s_wait_dscnt 0xb
	v_add_f32_e32 v8, v39, v8
	s_wait_dscnt 0x9
	v_dual_add_f32 v10, v46, v10 :: v_dual_add_f32 v29, v47, v48
	ds_bpermute_b32 v39, v12, v38
	s_wait_dscnt 0x8
	v_dual_add_f32 v0, v33, v0 :: v_dual_add_f32 v33, v28, v41
	ds_bpermute_b32 v45, v13, v25
	ds_bpermute_b32 v43, v12, v30
	s_wait_dscnt 0x9
	v_add_f32_e32 v28, v35, v42
	ds_bpermute_b32 v35, v13, v26
	ds_bpermute_b32 v42, v12, v33
	;; [unrolled: 1-line block ×3, first 2 shown]
	s_wait_dscnt 0x9
	v_dual_add_f32 v34, v34, v49 :: v_dual_add_f32 v27, v27, v44
	ds_bpermute_b32 v49, v13, v20
	ds_bpermute_b32 v52, v13, v16
	s_wait_dscnt 0xa
	v_add_f32_e32 v19, v19, v50
	v_add_f32_e32 v9, v40, v9
	ds_bpermute_b32 v46, v12, v27
	s_wait_dscnt 0x9
	v_add_f32_e32 v32, v32, v36
	ds_bpermute_b32 v36, v13, v24
	ds_bpermute_b32 v50, v12, v19
	;; [unrolled: 1-line block ×3, first 2 shown]
	s_wait_dscnt 0xb
	v_add_f32_e32 v38, v38, v39
	ds_bpermute_b32 v39, v13, v21
	v_add_f32_e32 v31, v31, v37
	s_wait_dscnt 0xa
	v_dual_add_f32 v25, v25, v45 :: v_dual_add_f32 v30, v30, v43
	ds_bpermute_b32 v43, v13, v23
	ds_bpermute_b32 v41, v11, v0
	s_wait_dscnt 0xa
	v_add_f32_e32 v33, v33, v42
	ds_bpermute_b32 v42, v13, v17
	v_add_f32_e32 v26, v26, v35
	ds_bpermute_b32 v35, v13, v18
	ds_bpermute_b32 v13, v13, v15
	s_wait_dscnt 0xc
	v_add_f32_e32 v22, v22, v48
	ds_bpermute_b32 v51, v11, v38
	ds_bpermute_b32 v37, v11, v32
	s_wait_dscnt 0xb
	v_add_f32_e32 v27, v27, v46
	ds_bpermute_b32 v44, v11, v31
	s_wait_dscnt 0xb
	v_add_f32_e32 v24, v24, v36
	ds_bpermute_b32 v36, v12, v25
	v_add_f32_e32 v20, v20, v49
	ds_bpermute_b32 v47, v11, v30
	s_wait_dscnt 0xa
	v_add_f32_e32 v21, v21, v39
	ds_bpermute_b32 v39, v12, v22
	v_add_f32_e32 v16, v16, v52
	s_barrier_wait -1
	s_wait_dscnt 0xa
	v_add_f32_e32 v23, v23, v43
	ds_bpermute_b32 v46, v12, v24
	ds_bpermute_b32 v43, v11, v33
	s_wait_dscnt 0xa
	v_add_f32_e32 v17, v17, v42
	ds_bpermute_b32 v45, v12, v26
	s_wait_dscnt 0x9
	v_dual_add_f32 v18, v18, v35 :: v_dual_add_f32 v13, v15, v13
	ds_bpermute_b32 v35, v12, v21
	ds_bpermute_b32 v48, v12, v23
	;; [unrolled: 1-line block ×4, first 2 shown]
	s_wait_dscnt 0x0
	global_inv scope:SCOPE_SE
	v_dual_add_f32 v50, v19, v50 :: v_dual_add_f32 v25, v25, v36
	ds_bpermute_b32 v49, v12, v20
	v_add_f32_e32 v39, v22, v39
	ds_bpermute_b32 v36, v12, v16
	ds_bpermute_b32 v12, v12, v13
	;; [unrolled: 1-line block ×3, first 2 shown]
	v_add_f32_e32 v24, v24, v46
	ds_bpermute_b32 v54, v11, v39
	v_add_f32_e32 v26, v26, v45
	ds_bpermute_b32 v45, v11, v27
	v_add_f32_e32 v35, v21, v35
	v_add_f32_e32 v23, v23, v48
	ds_bpermute_b32 v46, v11, v26
	ds_bpermute_b32 v48, v11, v25
	;; [unrolled: 1-line block ×3, first 2 shown]
	v_add_f32_e32 v42, v18, v42
	ds_bpermute_b32 v55, v11, v35
	s_wait_dscnt 0x9
	v_dual_add_f32 v49, v20, v49 :: v_dual_add_f32 v58, v17, v15
	ds_bpermute_b32 v53, v11, v23
	s_wait_dscnt 0x9
	v_dual_add_f32 v17, v38, v51 :: v_dual_add_f32 v36, v16, v36
	s_wait_dscnt 0x8
	v_add_f32_e32 v60, v13, v12
	ds_bpermute_b32 v56, v11, v49
	v_add_f32_e32 v12, v34, v40
	ds_bpermute_b32 v34, v11, v58
	;; [unrolled: 2-line block ×3, first 2 shown]
	ds_bpermute_b32 v0, v11, v36
	s_wait_dscnt 0x9
	v_add_f32_e32 v19, v27, v45
	ds_bpermute_b32 v40, v11, v60
	s_wait_dscnt 0x9
	v_dual_add_f32 v11, v32, v37 :: v_dual_add_f32 v20, v26, v46
	s_wait_dscnt 0x8
	v_add_f32_e32 v21, v25, v48
	s_wait_dscnt 0x7
	v_add_f32_e32 v22, v24, v52
	v_dual_add_f32 v15, v31, v44 :: v_dual_add_f32 v16, v30, v47
	s_wait_dscnt 0x6
	v_add_f32_e32 v25, v35, v55
	v_lshrrev_b32_e32 v35, 3, v185
	v_dual_add_f32 v18, v33, v43 :: v_dual_add_f32 v27, v50, v57
	s_wait_dscnt 0x5
	v_add_f32_e32 v23, v23, v53
	v_dual_add_f32 v24, v39, v54 :: v_dual_and_b32 v37, 0x3c7, v183
	s_wait_dscnt 0x3
	v_dual_add_f32 v26, v49, v56 :: v_dual_add_f32 v31, v58, v34
	v_lshl_add_u32 v34, v35, 2, 0x220
	s_wait_dscnt 0x2
	v_add_f32_e32 v30, v42, v59
	s_wait_dscnt 0x1
	v_add_f32_e32 v32, v36, v0
	v_lshlrev_b32_e32 v36, 9, v184
	s_wait_dscnt 0x0
	v_add_f32_e32 v33, v60, v40
	v_cmpx_eq_u32_e32 64, v37
	s_cbranch_execz .LBB240_96
; %bb.95:
	v_add_nc_u32_e32 v0, v34, v36
	s_delay_alu instid0(VALU_DEP_1)
	v_add_nc_u32_e32 v37, 0xfffffc00, v0
	v_add_nc_u32_e32 v38, 0xfffffc10, v0
	v_add_nc_u32_e32 v39, 0xfffffc20, v0
	v_add_nc_u32_e32 v40, 0xfffffc30, v0
	v_add_nc_u32_e32 v41, 0xfffffc40, v0
	v_add_nc_u32_e32 v42, 0xfffffc50, v0
	v_add_nc_u32_e32 v43, 0xfffffc60, v0
	v_add_nc_u32_e32 v44, 0xfffffc70, v0
	ds_store_b32 v37, v1
	ds_store_b32 v38, v2
	ds_store_b32 v39, v3
	ds_store_b32 v40, v4
	ds_store_b32 v41, v5
	ds_store_b32 v42, v6
	ds_store_b32 v43, v7
	ds_store_b32 v44, v8
	v_add_nc_u32_e32 v37, 0xfffffc80, v0
	v_add_nc_u32_e32 v38, 0xfffffc90, v0
	v_add_nc_u32_e32 v39, 0xfffffca0, v0
	v_add_nc_u32_e32 v40, 0xfffffcb0, v0
	v_add_nc_u32_e32 v41, 0xfffffcc0, v0
	v_add_nc_u32_e32 v42, 0xfffffcd0, v0
	v_add_nc_u32_e32 v43, 0xfffffce0, v0
	v_add_nc_u32_e32 v44, 0xfffffcf0, v0
	ds_store_b32 v37, v9
	ds_store_b32 v38, v10
	ds_store_b32 v39, v29
	ds_store_b32 v40, v28
	ds_store_b32 v41, v12
	ds_store_b32 v42, v13
	ds_store_b32 v43, v11
	ds_store_b32 v44, v15
	;; [unrolled: 16-line block ×4, first 2 shown]
.LBB240_96:
	s_wait_alu 0xfffe
	s_or_b32 exec_lo, exec_lo, s0
	v_lshlrev_b32_e32 v0, 2, v35
	v_cmp_eq_u32_e32 vcc_lo, 0, v14
	s_mov_b32 s1, exec_lo
	s_wait_loadcnt_dscnt 0x0
	s_barrier_signal -1
	v_add3_u32 v14, 0x220, v36, v0
	s_barrier_wait -1
	global_inv scope:SCOPE_SE
	v_cmpx_gt_u32_e32 64, v183
	s_cbranch_execz .LBB240_131
; %bb.97:
	s_and_saveexec_b32 s0, vcc_lo
	s_cbranch_execnz .LBB240_171
; %bb.98:
	s_wait_alu 0xfffe
	s_or_b32 exec_lo, exec_lo, s0
	s_and_saveexec_b32 s0, vcc_lo
	s_cbranch_execnz .LBB240_172
.LBB240_99:
	s_wait_alu 0xfffe
	s_or_b32 exec_lo, exec_lo, s0
	s_and_saveexec_b32 s0, vcc_lo
	s_cbranch_execnz .LBB240_173
.LBB240_100:
	s_wait_alu 0xfffe
	s_or_b32 exec_lo, exec_lo, s0
	s_and_saveexec_b32 s0, vcc_lo
	s_cbranch_execnz .LBB240_174
.LBB240_101:
	s_wait_alu 0xfffe
	s_or_b32 exec_lo, exec_lo, s0
	s_and_saveexec_b32 s0, vcc_lo
	s_cbranch_execnz .LBB240_175
.LBB240_102:
	s_wait_alu 0xfffe
	s_or_b32 exec_lo, exec_lo, s0
	s_and_saveexec_b32 s0, vcc_lo
	s_cbranch_execnz .LBB240_176
.LBB240_103:
	s_wait_alu 0xfffe
	s_or_b32 exec_lo, exec_lo, s0
	s_and_saveexec_b32 s0, vcc_lo
	s_cbranch_execnz .LBB240_177
.LBB240_104:
	s_wait_alu 0xfffe
	s_or_b32 exec_lo, exec_lo, s0
	s_and_saveexec_b32 s0, vcc_lo
	s_cbranch_execnz .LBB240_178
.LBB240_105:
	s_wait_alu 0xfffe
	s_or_b32 exec_lo, exec_lo, s0
	s_and_saveexec_b32 s0, vcc_lo
	s_cbranch_execnz .LBB240_179
.LBB240_106:
	s_wait_alu 0xfffe
	s_or_b32 exec_lo, exec_lo, s0
	s_and_saveexec_b32 s0, vcc_lo
	s_cbranch_execnz .LBB240_180
.LBB240_107:
	s_wait_alu 0xfffe
	s_or_b32 exec_lo, exec_lo, s0
	s_and_saveexec_b32 s0, vcc_lo
	s_cbranch_execnz .LBB240_181
.LBB240_108:
	s_wait_alu 0xfffe
	s_or_b32 exec_lo, exec_lo, s0
	s_and_saveexec_b32 s0, vcc_lo
	s_cbranch_execnz .LBB240_182
.LBB240_109:
	s_wait_alu 0xfffe
	s_or_b32 exec_lo, exec_lo, s0
	s_and_saveexec_b32 s0, vcc_lo
	s_cbranch_execnz .LBB240_183
.LBB240_110:
	s_wait_alu 0xfffe
	s_or_b32 exec_lo, exec_lo, s0
	s_and_saveexec_b32 s0, vcc_lo
	s_cbranch_execnz .LBB240_184
.LBB240_111:
	s_wait_alu 0xfffe
	s_or_b32 exec_lo, exec_lo, s0
	s_and_saveexec_b32 s0, vcc_lo
	s_cbranch_execnz .LBB240_185
.LBB240_112:
	s_wait_alu 0xfffe
	s_or_b32 exec_lo, exec_lo, s0
	s_and_saveexec_b32 s0, vcc_lo
	s_cbranch_execnz .LBB240_186
.LBB240_113:
	s_wait_alu 0xfffe
	s_or_b32 exec_lo, exec_lo, s0
	s_and_saveexec_b32 s0, vcc_lo
	s_cbranch_execnz .LBB240_187
.LBB240_114:
	s_wait_alu 0xfffe
	s_or_b32 exec_lo, exec_lo, s0
	s_and_saveexec_b32 s0, vcc_lo
	s_cbranch_execnz .LBB240_188
.LBB240_115:
	s_wait_alu 0xfffe
	s_or_b32 exec_lo, exec_lo, s0
	s_and_saveexec_b32 s0, vcc_lo
	s_cbranch_execnz .LBB240_189
.LBB240_116:
	s_wait_alu 0xfffe
	s_or_b32 exec_lo, exec_lo, s0
	s_and_saveexec_b32 s0, vcc_lo
	s_cbranch_execnz .LBB240_190
.LBB240_117:
	s_wait_alu 0xfffe
	s_or_b32 exec_lo, exec_lo, s0
	s_and_saveexec_b32 s0, vcc_lo
	s_cbranch_execnz .LBB240_191
.LBB240_118:
	s_wait_alu 0xfffe
	s_or_b32 exec_lo, exec_lo, s0
	s_and_saveexec_b32 s0, vcc_lo
	s_cbranch_execnz .LBB240_192
.LBB240_119:
	s_wait_alu 0xfffe
	s_or_b32 exec_lo, exec_lo, s0
	s_and_saveexec_b32 s0, vcc_lo
	s_cbranch_execnz .LBB240_193
.LBB240_120:
	s_wait_alu 0xfffe
	s_or_b32 exec_lo, exec_lo, s0
	s_and_saveexec_b32 s0, vcc_lo
	s_cbranch_execnz .LBB240_194
.LBB240_121:
	s_wait_alu 0xfffe
	s_or_b32 exec_lo, exec_lo, s0
	s_and_saveexec_b32 s0, vcc_lo
	s_cbranch_execnz .LBB240_195
.LBB240_122:
	s_wait_alu 0xfffe
	s_or_b32 exec_lo, exec_lo, s0
	s_and_saveexec_b32 s0, vcc_lo
	s_cbranch_execnz .LBB240_196
.LBB240_123:
	s_wait_alu 0xfffe
	s_or_b32 exec_lo, exec_lo, s0
	s_and_saveexec_b32 s0, vcc_lo
	s_cbranch_execnz .LBB240_197
.LBB240_124:
	s_wait_alu 0xfffe
	s_or_b32 exec_lo, exec_lo, s0
	s_and_saveexec_b32 s0, vcc_lo
	s_cbranch_execnz .LBB240_198
.LBB240_125:
	s_wait_alu 0xfffe
	s_or_b32 exec_lo, exec_lo, s0
	s_and_saveexec_b32 s0, vcc_lo
	s_cbranch_execnz .LBB240_199
.LBB240_126:
	s_wait_alu 0xfffe
	s_or_b32 exec_lo, exec_lo, s0
	s_and_saveexec_b32 s0, vcc_lo
	s_cbranch_execnz .LBB240_200
.LBB240_127:
	s_wait_alu 0xfffe
	s_or_b32 exec_lo, exec_lo, s0
	s_and_saveexec_b32 s0, vcc_lo
	s_cbranch_execnz .LBB240_201
.LBB240_128:
	s_wait_alu 0xfffe
	s_or_b32 exec_lo, exec_lo, s0
	s_and_saveexec_b32 s0, vcc_lo
	s_cbranch_execz .LBB240_130
.LBB240_129:
	ds_load_b32 v0, v14 offset:496
	s_wait_dscnt 0x0
	v_add_f32_e32 v33, v33, v0
.LBB240_130:
	s_wait_alu 0xfffe
	s_or_b32 exec_lo, exec_lo, s0
.LBB240_131:
	s_wait_alu 0xfffe
	s_or_b32 exec_lo, exec_lo, s1
	v_and_b32_e32 v35, 0x3e7, v183
	s_mov_b32 s1, exec_lo
	s_wait_loadcnt 0x0
	s_barrier_signal -1
	s_barrier_wait -1
	global_inv scope:SCOPE_SE
	v_cmpx_eq_u32_e32 32, v35
	s_cbranch_execz .LBB240_133
; %bb.132:
	ds_store_2addr_b32 v34, v1, v2 offset1:4
	ds_store_2addr_b32 v34, v3, v4 offset0:8 offset1:12
	ds_store_2addr_b32 v34, v5, v6 offset0:16 offset1:20
	ds_store_2addr_b32 v34, v7, v8 offset0:24 offset1:28
	ds_store_2addr_b32 v34, v9, v10 offset0:32 offset1:36
	ds_store_2addr_b32 v34, v29, v28 offset0:40 offset1:44
	ds_store_2addr_b32 v34, v12, v13 offset0:48 offset1:52
	ds_store_2addr_b32 v34, v11, v15 offset0:56 offset1:60
	ds_store_2addr_b32 v34, v16, v17 offset0:64 offset1:68
	ds_store_2addr_b32 v34, v18, v19 offset0:72 offset1:76
	ds_store_2addr_b32 v34, v20, v21 offset0:80 offset1:84
	ds_store_2addr_b32 v34, v22, v23 offset0:88 offset1:92
	ds_store_2addr_b32 v34, v24, v25 offset0:96 offset1:100
	ds_store_2addr_b32 v34, v26, v27 offset0:104 offset1:108
	ds_store_2addr_b32 v34, v30, v31 offset0:112 offset1:116
	ds_store_2addr_b32 v34, v32, v33 offset0:120 offset1:124
.LBB240_133:
	s_wait_alu 0xfffe
	s_or_b32 exec_lo, exec_lo, s1
	s_wait_loadcnt_dscnt 0x0
	s_barrier_signal -1
	s_barrier_wait -1
	global_inv scope:SCOPE_SE
	s_and_saveexec_b32 s0, s2
	s_cbranch_execz .LBB240_168
; %bb.134:
	s_and_saveexec_b32 s1, vcc_lo
	s_cbranch_execnz .LBB240_202
; %bb.135:
	s_wait_alu 0xfffe
	s_or_b32 exec_lo, exec_lo, s1
	s_and_saveexec_b32 s1, vcc_lo
	s_cbranch_execnz .LBB240_203
.LBB240_136:
	s_wait_alu 0xfffe
	s_or_b32 exec_lo, exec_lo, s1
	s_and_saveexec_b32 s1, vcc_lo
	s_cbranch_execnz .LBB240_204
.LBB240_137:
	s_wait_alu 0xfffe
	s_or_b32 exec_lo, exec_lo, s1
	s_and_saveexec_b32 s1, vcc_lo
	s_cbranch_execnz .LBB240_205
.LBB240_138:
	s_wait_alu 0xfffe
	s_or_b32 exec_lo, exec_lo, s1
	s_and_saveexec_b32 s1, vcc_lo
	s_cbranch_execnz .LBB240_206
.LBB240_139:
	s_wait_alu 0xfffe
	s_or_b32 exec_lo, exec_lo, s1
	s_and_saveexec_b32 s1, vcc_lo
	s_cbranch_execnz .LBB240_207
.LBB240_140:
	s_wait_alu 0xfffe
	s_or_b32 exec_lo, exec_lo, s1
	s_and_saveexec_b32 s1, vcc_lo
	s_cbranch_execnz .LBB240_208
.LBB240_141:
	s_wait_alu 0xfffe
	s_or_b32 exec_lo, exec_lo, s1
	s_and_saveexec_b32 s1, vcc_lo
	s_cbranch_execnz .LBB240_209
.LBB240_142:
	s_wait_alu 0xfffe
	s_or_b32 exec_lo, exec_lo, s1
	s_and_saveexec_b32 s1, vcc_lo
	s_cbranch_execnz .LBB240_210
.LBB240_143:
	s_wait_alu 0xfffe
	s_or_b32 exec_lo, exec_lo, s1
	s_and_saveexec_b32 s1, vcc_lo
	s_cbranch_execnz .LBB240_211
.LBB240_144:
	s_wait_alu 0xfffe
	s_or_b32 exec_lo, exec_lo, s1
	s_and_saveexec_b32 s1, vcc_lo
	s_cbranch_execnz .LBB240_212
.LBB240_145:
	s_wait_alu 0xfffe
	s_or_b32 exec_lo, exec_lo, s1
	s_and_saveexec_b32 s1, vcc_lo
	s_cbranch_execnz .LBB240_213
.LBB240_146:
	s_wait_alu 0xfffe
	s_or_b32 exec_lo, exec_lo, s1
	s_and_saveexec_b32 s1, vcc_lo
	s_cbranch_execnz .LBB240_214
.LBB240_147:
	s_wait_alu 0xfffe
	s_or_b32 exec_lo, exec_lo, s1
	s_and_saveexec_b32 s1, vcc_lo
	s_cbranch_execnz .LBB240_215
.LBB240_148:
	s_wait_alu 0xfffe
	s_or_b32 exec_lo, exec_lo, s1
	s_and_saveexec_b32 s1, vcc_lo
	s_cbranch_execnz .LBB240_216
.LBB240_149:
	s_wait_alu 0xfffe
	s_or_b32 exec_lo, exec_lo, s1
	s_and_saveexec_b32 s1, vcc_lo
	s_cbranch_execnz .LBB240_217
.LBB240_150:
	s_wait_alu 0xfffe
	s_or_b32 exec_lo, exec_lo, s1
	s_and_saveexec_b32 s1, vcc_lo
	s_cbranch_execnz .LBB240_218
.LBB240_151:
	s_wait_alu 0xfffe
	s_or_b32 exec_lo, exec_lo, s1
	s_and_saveexec_b32 s1, vcc_lo
	s_cbranch_execnz .LBB240_219
.LBB240_152:
	s_wait_alu 0xfffe
	s_or_b32 exec_lo, exec_lo, s1
	s_and_saveexec_b32 s1, vcc_lo
	s_cbranch_execnz .LBB240_220
.LBB240_153:
	s_wait_alu 0xfffe
	s_or_b32 exec_lo, exec_lo, s1
	s_and_saveexec_b32 s1, vcc_lo
	s_cbranch_execnz .LBB240_221
.LBB240_154:
	s_wait_alu 0xfffe
	s_or_b32 exec_lo, exec_lo, s1
	s_and_saveexec_b32 s1, vcc_lo
	s_cbranch_execnz .LBB240_222
.LBB240_155:
	s_wait_alu 0xfffe
	s_or_b32 exec_lo, exec_lo, s1
	s_and_saveexec_b32 s1, vcc_lo
	s_cbranch_execnz .LBB240_223
.LBB240_156:
	s_wait_alu 0xfffe
	s_or_b32 exec_lo, exec_lo, s1
	s_and_saveexec_b32 s1, vcc_lo
	s_cbranch_execnz .LBB240_224
.LBB240_157:
	s_wait_alu 0xfffe
	s_or_b32 exec_lo, exec_lo, s1
	s_and_saveexec_b32 s1, vcc_lo
	s_cbranch_execnz .LBB240_225
.LBB240_158:
	s_wait_alu 0xfffe
	s_or_b32 exec_lo, exec_lo, s1
	s_and_saveexec_b32 s1, vcc_lo
	s_cbranch_execnz .LBB240_226
.LBB240_159:
	s_wait_alu 0xfffe
	s_or_b32 exec_lo, exec_lo, s1
	s_and_saveexec_b32 s1, vcc_lo
	s_cbranch_execnz .LBB240_227
.LBB240_160:
	s_wait_alu 0xfffe
	s_or_b32 exec_lo, exec_lo, s1
	s_and_saveexec_b32 s1, vcc_lo
	s_cbranch_execnz .LBB240_228
.LBB240_161:
	s_wait_alu 0xfffe
	s_or_b32 exec_lo, exec_lo, s1
	s_and_saveexec_b32 s1, vcc_lo
	s_cbranch_execnz .LBB240_229
.LBB240_162:
	s_wait_alu 0xfffe
	s_or_b32 exec_lo, exec_lo, s1
	s_and_saveexec_b32 s1, vcc_lo
	s_cbranch_execnz .LBB240_230
.LBB240_163:
	s_wait_alu 0xfffe
	s_or_b32 exec_lo, exec_lo, s1
	s_and_saveexec_b32 s1, vcc_lo
	s_cbranch_execnz .LBB240_231
.LBB240_164:
	s_wait_alu 0xfffe
	s_or_b32 exec_lo, exec_lo, s1
	s_and_saveexec_b32 s1, vcc_lo
	s_cbranch_execnz .LBB240_232
.LBB240_165:
	s_wait_alu 0xfffe
	s_or_b32 exec_lo, exec_lo, s1
	s_and_saveexec_b32 s1, vcc_lo
	s_cbranch_execz .LBB240_167
.LBB240_166:
	ds_load_b32 v0, v14 offset:496
	s_wait_dscnt 0x0
	v_add_f32_e32 v33, v33, v0
.LBB240_167:
	s_wait_alu 0xfffe
	s_or_b32 exec_lo, exec_lo, s1
.LBB240_168:
	s_wait_alu 0xfffe
	s_or_b32 exec_lo, exec_lo, s0
	s_mov_b32 s17, 0
	s_wait_loadcnt 0x0
	s_barrier_signal -1
	s_barrier_wait -1
	global_inv scope:SCOPE_SE
	s_mov_b32 s0, exec_lo
	v_cmpx_eq_u32_e32 0, v35
	s_cbranch_execz .LBB240_170
; %bb.169:
	s_lshl_b32 s0, s4, 7
	s_mul_i32 s2, s12, s18
	s_wait_alu 0xfffe
	s_ashr_i32 s1, s0, 31
	s_ashr_i32 s3, s2, 31
	s_wait_alu 0xfffe
	s_lshl_b64 s[0:1], s[0:1], 2
	s_lshl_b64 s[2:3], s[2:3], 2
	s_wait_alu 0xfffe
	s_add_nc_u64 s[0:1], s[14:15], s[0:1]
	v_lshrrev_b32_e32 v0, 1, v183
	s_wait_alu 0xfffe
	s_add_nc_u64 s[0:1], s[0:1], s[2:3]
	s_wait_alu 0xfffe
	s_add_nc_u64 s[0:1], s[0:1], s[16:17]
	s_clause 0x1f
	global_store_b32 v0, v1, s[0:1]
	global_store_b32 v0, v2, s[0:1] offset:16
	global_store_b32 v0, v3, s[0:1] offset:32
	;; [unrolled: 1-line block ×31, first 2 shown]
.LBB240_170:
	s_nop 0
	s_sendmsg sendmsg(MSG_DEALLOC_VGPRS)
	s_endpgm
.LBB240_171:
	ds_load_b32 v0, v14
	s_wait_dscnt 0x0
	v_add_f32_e32 v1, v1, v0
	s_wait_alu 0xfffe
	s_or_b32 exec_lo, exec_lo, s0
	s_and_saveexec_b32 s0, vcc_lo
	s_cbranch_execz .LBB240_99
.LBB240_172:
	ds_load_b32 v0, v14 offset:16
	s_wait_dscnt 0x0
	v_add_f32_e32 v2, v2, v0
	s_wait_alu 0xfffe
	s_or_b32 exec_lo, exec_lo, s0
	s_and_saveexec_b32 s0, vcc_lo
	s_cbranch_execz .LBB240_100
.LBB240_173:
	ds_load_b32 v0, v14 offset:32
	s_wait_dscnt 0x0
	v_add_f32_e32 v3, v3, v0
	s_wait_alu 0xfffe
	s_or_b32 exec_lo, exec_lo, s0
	s_and_saveexec_b32 s0, vcc_lo
	s_cbranch_execz .LBB240_101
.LBB240_174:
	ds_load_b32 v0, v14 offset:48
	s_wait_dscnt 0x0
	v_add_f32_e32 v4, v4, v0
	s_wait_alu 0xfffe
	s_or_b32 exec_lo, exec_lo, s0
	s_and_saveexec_b32 s0, vcc_lo
	s_cbranch_execz .LBB240_102
.LBB240_175:
	ds_load_b32 v0, v14 offset:64
	s_wait_dscnt 0x0
	v_add_f32_e32 v5, v5, v0
	s_wait_alu 0xfffe
	s_or_b32 exec_lo, exec_lo, s0
	s_and_saveexec_b32 s0, vcc_lo
	s_cbranch_execz .LBB240_103
.LBB240_176:
	ds_load_b32 v0, v14 offset:80
	s_wait_dscnt 0x0
	v_add_f32_e32 v6, v6, v0
	s_wait_alu 0xfffe
	s_or_b32 exec_lo, exec_lo, s0
	s_and_saveexec_b32 s0, vcc_lo
	s_cbranch_execz .LBB240_104
.LBB240_177:
	ds_load_b32 v0, v14 offset:96
	s_wait_dscnt 0x0
	v_add_f32_e32 v7, v7, v0
	s_wait_alu 0xfffe
	s_or_b32 exec_lo, exec_lo, s0
	s_and_saveexec_b32 s0, vcc_lo
	s_cbranch_execz .LBB240_105
.LBB240_178:
	ds_load_b32 v0, v14 offset:112
	s_wait_dscnt 0x0
	v_add_f32_e32 v8, v8, v0
	s_wait_alu 0xfffe
	s_or_b32 exec_lo, exec_lo, s0
	s_and_saveexec_b32 s0, vcc_lo
	s_cbranch_execz .LBB240_106
.LBB240_179:
	ds_load_b32 v0, v14 offset:128
	s_wait_dscnt 0x0
	v_add_f32_e32 v9, v9, v0
	s_wait_alu 0xfffe
	s_or_b32 exec_lo, exec_lo, s0
	s_and_saveexec_b32 s0, vcc_lo
	s_cbranch_execz .LBB240_107
.LBB240_180:
	ds_load_b32 v0, v14 offset:144
	s_wait_dscnt 0x0
	v_add_f32_e32 v10, v10, v0
	s_wait_alu 0xfffe
	s_or_b32 exec_lo, exec_lo, s0
	s_and_saveexec_b32 s0, vcc_lo
	s_cbranch_execz .LBB240_108
.LBB240_181:
	ds_load_b32 v0, v14 offset:160
	s_wait_dscnt 0x0
	v_add_f32_e32 v29, v29, v0
	s_wait_alu 0xfffe
	s_or_b32 exec_lo, exec_lo, s0
	s_and_saveexec_b32 s0, vcc_lo
	s_cbranch_execz .LBB240_109
.LBB240_182:
	ds_load_b32 v0, v14 offset:176
	s_wait_dscnt 0x0
	v_add_f32_e32 v28, v28, v0
	s_wait_alu 0xfffe
	s_or_b32 exec_lo, exec_lo, s0
	s_and_saveexec_b32 s0, vcc_lo
	s_cbranch_execz .LBB240_110
.LBB240_183:
	ds_load_b32 v0, v14 offset:192
	s_wait_dscnt 0x0
	v_add_f32_e32 v12, v12, v0
	s_wait_alu 0xfffe
	s_or_b32 exec_lo, exec_lo, s0
	s_and_saveexec_b32 s0, vcc_lo
	s_cbranch_execz .LBB240_111
.LBB240_184:
	ds_load_b32 v0, v14 offset:208
	s_wait_dscnt 0x0
	v_add_f32_e32 v13, v13, v0
	s_wait_alu 0xfffe
	s_or_b32 exec_lo, exec_lo, s0
	s_and_saveexec_b32 s0, vcc_lo
	s_cbranch_execz .LBB240_112
.LBB240_185:
	ds_load_b32 v0, v14 offset:224
	s_wait_dscnt 0x0
	v_add_f32_e32 v11, v11, v0
	s_wait_alu 0xfffe
	s_or_b32 exec_lo, exec_lo, s0
	s_and_saveexec_b32 s0, vcc_lo
	s_cbranch_execz .LBB240_113
.LBB240_186:
	ds_load_b32 v0, v14 offset:240
	s_wait_dscnt 0x0
	v_add_f32_e32 v15, v15, v0
	s_wait_alu 0xfffe
	s_or_b32 exec_lo, exec_lo, s0
	s_and_saveexec_b32 s0, vcc_lo
	s_cbranch_execz .LBB240_114
.LBB240_187:
	ds_load_b32 v0, v14 offset:256
	s_wait_dscnt 0x0
	v_add_f32_e32 v16, v16, v0
	s_wait_alu 0xfffe
	s_or_b32 exec_lo, exec_lo, s0
	s_and_saveexec_b32 s0, vcc_lo
	s_cbranch_execz .LBB240_115
.LBB240_188:
	ds_load_b32 v0, v14 offset:272
	s_wait_dscnt 0x0
	v_add_f32_e32 v17, v17, v0
	s_wait_alu 0xfffe
	s_or_b32 exec_lo, exec_lo, s0
	s_and_saveexec_b32 s0, vcc_lo
	s_cbranch_execz .LBB240_116
.LBB240_189:
	ds_load_b32 v0, v14 offset:288
	s_wait_dscnt 0x0
	v_add_f32_e32 v18, v18, v0
	s_wait_alu 0xfffe
	s_or_b32 exec_lo, exec_lo, s0
	s_and_saveexec_b32 s0, vcc_lo
	s_cbranch_execz .LBB240_117
.LBB240_190:
	ds_load_b32 v0, v14 offset:304
	s_wait_dscnt 0x0
	v_add_f32_e32 v19, v19, v0
	s_wait_alu 0xfffe
	s_or_b32 exec_lo, exec_lo, s0
	s_and_saveexec_b32 s0, vcc_lo
	s_cbranch_execz .LBB240_118
.LBB240_191:
	ds_load_b32 v0, v14 offset:320
	s_wait_dscnt 0x0
	v_add_f32_e32 v20, v20, v0
	s_wait_alu 0xfffe
	s_or_b32 exec_lo, exec_lo, s0
	s_and_saveexec_b32 s0, vcc_lo
	s_cbranch_execz .LBB240_119
.LBB240_192:
	ds_load_b32 v0, v14 offset:336
	s_wait_dscnt 0x0
	v_add_f32_e32 v21, v21, v0
	s_wait_alu 0xfffe
	s_or_b32 exec_lo, exec_lo, s0
	s_and_saveexec_b32 s0, vcc_lo
	s_cbranch_execz .LBB240_120
.LBB240_193:
	ds_load_b32 v0, v14 offset:352
	s_wait_dscnt 0x0
	v_add_f32_e32 v22, v22, v0
	s_wait_alu 0xfffe
	s_or_b32 exec_lo, exec_lo, s0
	s_and_saveexec_b32 s0, vcc_lo
	s_cbranch_execz .LBB240_121
.LBB240_194:
	ds_load_b32 v0, v14 offset:368
	s_wait_dscnt 0x0
	v_add_f32_e32 v23, v23, v0
	s_wait_alu 0xfffe
	s_or_b32 exec_lo, exec_lo, s0
	s_and_saveexec_b32 s0, vcc_lo
	s_cbranch_execz .LBB240_122
.LBB240_195:
	ds_load_b32 v0, v14 offset:384
	s_wait_dscnt 0x0
	v_add_f32_e32 v24, v24, v0
	s_wait_alu 0xfffe
	s_or_b32 exec_lo, exec_lo, s0
	s_and_saveexec_b32 s0, vcc_lo
	s_cbranch_execz .LBB240_123
.LBB240_196:
	ds_load_b32 v0, v14 offset:400
	s_wait_dscnt 0x0
	v_add_f32_e32 v25, v25, v0
	s_wait_alu 0xfffe
	s_or_b32 exec_lo, exec_lo, s0
	s_and_saveexec_b32 s0, vcc_lo
	s_cbranch_execz .LBB240_124
.LBB240_197:
	ds_load_b32 v0, v14 offset:416
	s_wait_dscnt 0x0
	v_add_f32_e32 v26, v26, v0
	s_wait_alu 0xfffe
	s_or_b32 exec_lo, exec_lo, s0
	s_and_saveexec_b32 s0, vcc_lo
	s_cbranch_execz .LBB240_125
.LBB240_198:
	ds_load_b32 v0, v14 offset:432
	s_wait_dscnt 0x0
	v_add_f32_e32 v27, v27, v0
	s_wait_alu 0xfffe
	s_or_b32 exec_lo, exec_lo, s0
	s_and_saveexec_b32 s0, vcc_lo
	s_cbranch_execz .LBB240_126
.LBB240_199:
	ds_load_b32 v0, v14 offset:448
	s_wait_dscnt 0x0
	v_add_f32_e32 v30, v30, v0
	s_wait_alu 0xfffe
	s_or_b32 exec_lo, exec_lo, s0
	s_and_saveexec_b32 s0, vcc_lo
	s_cbranch_execz .LBB240_127
.LBB240_200:
	ds_load_b32 v0, v14 offset:464
	s_wait_dscnt 0x0
	v_add_f32_e32 v31, v31, v0
	s_wait_alu 0xfffe
	s_or_b32 exec_lo, exec_lo, s0
	s_and_saveexec_b32 s0, vcc_lo
	s_cbranch_execz .LBB240_128
.LBB240_201:
	ds_load_b32 v0, v14 offset:480
	s_wait_dscnt 0x0
	v_add_f32_e32 v32, v32, v0
	s_wait_alu 0xfffe
	s_or_b32 exec_lo, exec_lo, s0
	s_and_saveexec_b32 s0, vcc_lo
	s_cbranch_execnz .LBB240_129
	s_branch .LBB240_130
.LBB240_202:
	ds_load_b32 v0, v14
	s_wait_dscnt 0x0
	v_add_f32_e32 v1, v1, v0
	s_wait_alu 0xfffe
	s_or_b32 exec_lo, exec_lo, s1
	s_and_saveexec_b32 s1, vcc_lo
	s_cbranch_execz .LBB240_136
.LBB240_203:
	ds_load_b32 v0, v14 offset:16
	s_wait_dscnt 0x0
	v_add_f32_e32 v2, v2, v0
	s_wait_alu 0xfffe
	s_or_b32 exec_lo, exec_lo, s1
	s_and_saveexec_b32 s1, vcc_lo
	s_cbranch_execz .LBB240_137
.LBB240_204:
	ds_load_b32 v0, v14 offset:32
	s_wait_dscnt 0x0
	v_add_f32_e32 v3, v3, v0
	s_wait_alu 0xfffe
	s_or_b32 exec_lo, exec_lo, s1
	s_and_saveexec_b32 s1, vcc_lo
	s_cbranch_execz .LBB240_138
.LBB240_205:
	ds_load_b32 v0, v14 offset:48
	s_wait_dscnt 0x0
	v_add_f32_e32 v4, v4, v0
	s_wait_alu 0xfffe
	s_or_b32 exec_lo, exec_lo, s1
	s_and_saveexec_b32 s1, vcc_lo
	s_cbranch_execz .LBB240_139
.LBB240_206:
	ds_load_b32 v0, v14 offset:64
	s_wait_dscnt 0x0
	v_add_f32_e32 v5, v5, v0
	s_wait_alu 0xfffe
	s_or_b32 exec_lo, exec_lo, s1
	s_and_saveexec_b32 s1, vcc_lo
	s_cbranch_execz .LBB240_140
.LBB240_207:
	ds_load_b32 v0, v14 offset:80
	s_wait_dscnt 0x0
	v_add_f32_e32 v6, v6, v0
	s_wait_alu 0xfffe
	s_or_b32 exec_lo, exec_lo, s1
	s_and_saveexec_b32 s1, vcc_lo
	s_cbranch_execz .LBB240_141
.LBB240_208:
	ds_load_b32 v0, v14 offset:96
	s_wait_dscnt 0x0
	v_add_f32_e32 v7, v7, v0
	s_wait_alu 0xfffe
	s_or_b32 exec_lo, exec_lo, s1
	s_and_saveexec_b32 s1, vcc_lo
	s_cbranch_execz .LBB240_142
.LBB240_209:
	ds_load_b32 v0, v14 offset:112
	s_wait_dscnt 0x0
	v_add_f32_e32 v8, v8, v0
	s_wait_alu 0xfffe
	s_or_b32 exec_lo, exec_lo, s1
	s_and_saveexec_b32 s1, vcc_lo
	s_cbranch_execz .LBB240_143
.LBB240_210:
	ds_load_b32 v0, v14 offset:128
	s_wait_dscnt 0x0
	v_add_f32_e32 v9, v9, v0
	s_wait_alu 0xfffe
	s_or_b32 exec_lo, exec_lo, s1
	s_and_saveexec_b32 s1, vcc_lo
	s_cbranch_execz .LBB240_144
.LBB240_211:
	ds_load_b32 v0, v14 offset:144
	s_wait_dscnt 0x0
	v_add_f32_e32 v10, v10, v0
	s_wait_alu 0xfffe
	s_or_b32 exec_lo, exec_lo, s1
	s_and_saveexec_b32 s1, vcc_lo
	s_cbranch_execz .LBB240_145
.LBB240_212:
	ds_load_b32 v0, v14 offset:160
	s_wait_dscnt 0x0
	v_add_f32_e32 v29, v29, v0
	s_wait_alu 0xfffe
	s_or_b32 exec_lo, exec_lo, s1
	s_and_saveexec_b32 s1, vcc_lo
	s_cbranch_execz .LBB240_146
.LBB240_213:
	ds_load_b32 v0, v14 offset:176
	s_wait_dscnt 0x0
	v_add_f32_e32 v28, v28, v0
	s_wait_alu 0xfffe
	s_or_b32 exec_lo, exec_lo, s1
	s_and_saveexec_b32 s1, vcc_lo
	s_cbranch_execz .LBB240_147
.LBB240_214:
	ds_load_b32 v0, v14 offset:192
	s_wait_dscnt 0x0
	v_add_f32_e32 v12, v12, v0
	s_wait_alu 0xfffe
	s_or_b32 exec_lo, exec_lo, s1
	s_and_saveexec_b32 s1, vcc_lo
	s_cbranch_execz .LBB240_148
.LBB240_215:
	ds_load_b32 v0, v14 offset:208
	s_wait_dscnt 0x0
	v_add_f32_e32 v13, v13, v0
	s_wait_alu 0xfffe
	s_or_b32 exec_lo, exec_lo, s1
	s_and_saveexec_b32 s1, vcc_lo
	s_cbranch_execz .LBB240_149
.LBB240_216:
	ds_load_b32 v0, v14 offset:224
	s_wait_dscnt 0x0
	v_add_f32_e32 v11, v11, v0
	s_wait_alu 0xfffe
	s_or_b32 exec_lo, exec_lo, s1
	s_and_saveexec_b32 s1, vcc_lo
	s_cbranch_execz .LBB240_150
.LBB240_217:
	ds_load_b32 v0, v14 offset:240
	s_wait_dscnt 0x0
	v_add_f32_e32 v15, v15, v0
	s_wait_alu 0xfffe
	s_or_b32 exec_lo, exec_lo, s1
	s_and_saveexec_b32 s1, vcc_lo
	s_cbranch_execz .LBB240_151
.LBB240_218:
	ds_load_b32 v0, v14 offset:256
	s_wait_dscnt 0x0
	v_add_f32_e32 v16, v16, v0
	s_wait_alu 0xfffe
	s_or_b32 exec_lo, exec_lo, s1
	s_and_saveexec_b32 s1, vcc_lo
	s_cbranch_execz .LBB240_152
.LBB240_219:
	ds_load_b32 v0, v14 offset:272
	s_wait_dscnt 0x0
	v_add_f32_e32 v17, v17, v0
	s_wait_alu 0xfffe
	s_or_b32 exec_lo, exec_lo, s1
	s_and_saveexec_b32 s1, vcc_lo
	s_cbranch_execz .LBB240_153
.LBB240_220:
	ds_load_b32 v0, v14 offset:288
	s_wait_dscnt 0x0
	v_add_f32_e32 v18, v18, v0
	s_wait_alu 0xfffe
	s_or_b32 exec_lo, exec_lo, s1
	s_and_saveexec_b32 s1, vcc_lo
	s_cbranch_execz .LBB240_154
.LBB240_221:
	ds_load_b32 v0, v14 offset:304
	s_wait_dscnt 0x0
	v_add_f32_e32 v19, v19, v0
	s_wait_alu 0xfffe
	s_or_b32 exec_lo, exec_lo, s1
	s_and_saveexec_b32 s1, vcc_lo
	s_cbranch_execz .LBB240_155
.LBB240_222:
	ds_load_b32 v0, v14 offset:320
	s_wait_dscnt 0x0
	v_add_f32_e32 v20, v20, v0
	s_wait_alu 0xfffe
	s_or_b32 exec_lo, exec_lo, s1
	s_and_saveexec_b32 s1, vcc_lo
	s_cbranch_execz .LBB240_156
.LBB240_223:
	ds_load_b32 v0, v14 offset:336
	s_wait_dscnt 0x0
	v_add_f32_e32 v21, v21, v0
	s_wait_alu 0xfffe
	s_or_b32 exec_lo, exec_lo, s1
	s_and_saveexec_b32 s1, vcc_lo
	s_cbranch_execz .LBB240_157
.LBB240_224:
	ds_load_b32 v0, v14 offset:352
	s_wait_dscnt 0x0
	v_add_f32_e32 v22, v22, v0
	s_wait_alu 0xfffe
	s_or_b32 exec_lo, exec_lo, s1
	s_and_saveexec_b32 s1, vcc_lo
	s_cbranch_execz .LBB240_158
.LBB240_225:
	ds_load_b32 v0, v14 offset:368
	s_wait_dscnt 0x0
	v_add_f32_e32 v23, v23, v0
	s_wait_alu 0xfffe
	s_or_b32 exec_lo, exec_lo, s1
	s_and_saveexec_b32 s1, vcc_lo
	s_cbranch_execz .LBB240_159
.LBB240_226:
	ds_load_b32 v0, v14 offset:384
	s_wait_dscnt 0x0
	v_add_f32_e32 v24, v24, v0
	s_wait_alu 0xfffe
	s_or_b32 exec_lo, exec_lo, s1
	s_and_saveexec_b32 s1, vcc_lo
	s_cbranch_execz .LBB240_160
.LBB240_227:
	ds_load_b32 v0, v14 offset:400
	s_wait_dscnt 0x0
	v_add_f32_e32 v25, v25, v0
	s_wait_alu 0xfffe
	s_or_b32 exec_lo, exec_lo, s1
	s_and_saveexec_b32 s1, vcc_lo
	s_cbranch_execz .LBB240_161
.LBB240_228:
	ds_load_b32 v0, v14 offset:416
	s_wait_dscnt 0x0
	v_add_f32_e32 v26, v26, v0
	s_wait_alu 0xfffe
	s_or_b32 exec_lo, exec_lo, s1
	s_and_saveexec_b32 s1, vcc_lo
	s_cbranch_execz .LBB240_162
.LBB240_229:
	ds_load_b32 v0, v14 offset:432
	s_wait_dscnt 0x0
	v_add_f32_e32 v27, v27, v0
	s_wait_alu 0xfffe
	s_or_b32 exec_lo, exec_lo, s1
	s_and_saveexec_b32 s1, vcc_lo
	s_cbranch_execz .LBB240_163
.LBB240_230:
	ds_load_b32 v0, v14 offset:448
	s_wait_dscnt 0x0
	v_add_f32_e32 v30, v30, v0
	s_wait_alu 0xfffe
	s_or_b32 exec_lo, exec_lo, s1
	s_and_saveexec_b32 s1, vcc_lo
	s_cbranch_execz .LBB240_164
.LBB240_231:
	ds_load_b32 v0, v14 offset:464
	s_wait_dscnt 0x0
	v_add_f32_e32 v31, v31, v0
	s_wait_alu 0xfffe
	s_or_b32 exec_lo, exec_lo, s1
	s_and_saveexec_b32 s1, vcc_lo
	s_cbranch_execz .LBB240_165
.LBB240_232:
	ds_load_b32 v0, v14 offset:480
	s_wait_dscnt 0x0
	v_add_f32_e32 v32, v32, v0
	s_wait_alu 0xfffe
	s_or_b32 exec_lo, exec_lo, s1
	s_and_saveexec_b32 s1, vcc_lo
	s_cbranch_execnz .LBB240_166
	s_branch .LBB240_167
	.section	.rodata,"a",@progbits
	.p2align	6, 0x0
	.amdhsa_kernel _ZN4vllm25paged_attention_v2_kernelIfhLi128ELi32ELi128ELNS_18Fp8KVCacheDataTypeE1ELb0ELi512EEEvPfS2_PT_PKS3_PKT0_S9_ifPKiSB_iPKfiiiSD_SD_iiiii
		.amdhsa_group_segment_fixed_size 544
		.amdhsa_private_segment_fixed_size 352
		.amdhsa_kernarg_size 400
		.amdhsa_user_sgpr_count 2
		.amdhsa_user_sgpr_dispatch_ptr 0
		.amdhsa_user_sgpr_queue_ptr 0
		.amdhsa_user_sgpr_kernarg_segment_ptr 1
		.amdhsa_user_sgpr_dispatch_id 0
		.amdhsa_user_sgpr_private_segment_size 0
		.amdhsa_wavefront_size32 1
		.amdhsa_uses_dynamic_stack 0
		.amdhsa_enable_private_segment 1
		.amdhsa_system_sgpr_workgroup_id_x 1
		.amdhsa_system_sgpr_workgroup_id_y 1
		.amdhsa_system_sgpr_workgroup_id_z 1
		.amdhsa_system_sgpr_workgroup_info 0
		.amdhsa_system_vgpr_workitem_id 0
		.amdhsa_next_free_vgpr 192
		.amdhsa_next_free_sgpr 36
		.amdhsa_reserve_vcc 1
		.amdhsa_float_round_mode_32 0
		.amdhsa_float_round_mode_16_64 0
		.amdhsa_float_denorm_mode_32 3
		.amdhsa_float_denorm_mode_16_64 3
		.amdhsa_fp16_overflow 0
		.amdhsa_workgroup_processor_mode 1
		.amdhsa_memory_ordered 1
		.amdhsa_forward_progress 1
		.amdhsa_inst_pref_size 139
		.amdhsa_round_robin_scheduling 0
		.amdhsa_exception_fp_ieee_invalid_op 0
		.amdhsa_exception_fp_denorm_src 0
		.amdhsa_exception_fp_ieee_div_zero 0
		.amdhsa_exception_fp_ieee_overflow 0
		.amdhsa_exception_fp_ieee_underflow 0
		.amdhsa_exception_fp_ieee_inexact 0
		.amdhsa_exception_int_div_zero 0
	.end_amdhsa_kernel
	.section	.text._ZN4vllm25paged_attention_v2_kernelIfhLi128ELi32ELi128ELNS_18Fp8KVCacheDataTypeE1ELb0ELi512EEEvPfS2_PT_PKS3_PKT0_S9_ifPKiSB_iPKfiiiSD_SD_iiiii,"axG",@progbits,_ZN4vllm25paged_attention_v2_kernelIfhLi128ELi32ELi128ELNS_18Fp8KVCacheDataTypeE1ELb0ELi512EEEvPfS2_PT_PKS3_PKT0_S9_ifPKiSB_iPKfiiiSD_SD_iiiii,comdat
.Lfunc_end240:
	.size	_ZN4vllm25paged_attention_v2_kernelIfhLi128ELi32ELi128ELNS_18Fp8KVCacheDataTypeE1ELb0ELi512EEEvPfS2_PT_PKS3_PKT0_S9_ifPKiSB_iPKfiiiSD_SD_iiiii, .Lfunc_end240-_ZN4vllm25paged_attention_v2_kernelIfhLi128ELi32ELi128ELNS_18Fp8KVCacheDataTypeE1ELb0ELi512EEEvPfS2_PT_PKS3_PKT0_S9_ifPKiSB_iPKfiiiSD_SD_iiiii
                                        ; -- End function
	.set _ZN4vllm25paged_attention_v2_kernelIfhLi128ELi32ELi128ELNS_18Fp8KVCacheDataTypeE1ELb0ELi512EEEvPfS2_PT_PKS3_PKT0_S9_ifPKiSB_iPKfiiiSD_SD_iiiii.num_vgpr, 192
	.set _ZN4vllm25paged_attention_v2_kernelIfhLi128ELi32ELi128ELNS_18Fp8KVCacheDataTypeE1ELb0ELi512EEEvPfS2_PT_PKS3_PKT0_S9_ifPKiSB_iPKfiiiSD_SD_iiiii.num_agpr, 0
	.set _ZN4vllm25paged_attention_v2_kernelIfhLi128ELi32ELi128ELNS_18Fp8KVCacheDataTypeE1ELb0ELi512EEEvPfS2_PT_PKS3_PKT0_S9_ifPKiSB_iPKfiiiSD_SD_iiiii.numbered_sgpr, 36
	.set _ZN4vllm25paged_attention_v2_kernelIfhLi128ELi32ELi128ELNS_18Fp8KVCacheDataTypeE1ELb0ELi512EEEvPfS2_PT_PKS3_PKT0_S9_ifPKiSB_iPKfiiiSD_SD_iiiii.num_named_barrier, 0
	.set _ZN4vllm25paged_attention_v2_kernelIfhLi128ELi32ELi128ELNS_18Fp8KVCacheDataTypeE1ELb0ELi512EEEvPfS2_PT_PKS3_PKT0_S9_ifPKiSB_iPKfiiiSD_SD_iiiii.private_seg_size, 352
	.set _ZN4vllm25paged_attention_v2_kernelIfhLi128ELi32ELi128ELNS_18Fp8KVCacheDataTypeE1ELb0ELi512EEEvPfS2_PT_PKS3_PKT0_S9_ifPKiSB_iPKfiiiSD_SD_iiiii.uses_vcc, 1
	.set _ZN4vllm25paged_attention_v2_kernelIfhLi128ELi32ELi128ELNS_18Fp8KVCacheDataTypeE1ELb0ELi512EEEvPfS2_PT_PKS3_PKT0_S9_ifPKiSB_iPKfiiiSD_SD_iiiii.uses_flat_scratch, 1
	.set _ZN4vllm25paged_attention_v2_kernelIfhLi128ELi32ELi128ELNS_18Fp8KVCacheDataTypeE1ELb0ELi512EEEvPfS2_PT_PKS3_PKT0_S9_ifPKiSB_iPKfiiiSD_SD_iiiii.has_dyn_sized_stack, 0
	.set _ZN4vllm25paged_attention_v2_kernelIfhLi128ELi32ELi128ELNS_18Fp8KVCacheDataTypeE1ELb0ELi512EEEvPfS2_PT_PKS3_PKT0_S9_ifPKiSB_iPKfiiiSD_SD_iiiii.has_recursion, 0
	.set _ZN4vllm25paged_attention_v2_kernelIfhLi128ELi32ELi128ELNS_18Fp8KVCacheDataTypeE1ELb0ELi512EEEvPfS2_PT_PKS3_PKT0_S9_ifPKiSB_iPKfiiiSD_SD_iiiii.has_indirect_call, 0
	.section	.AMDGPU.csdata,"",@progbits
; Kernel info:
; codeLenInByte = 17728
; TotalNumSgprs: 38
; NumVgprs: 192
; ScratchSize: 352
; MemoryBound: 0
; FloatMode: 240
; IeeeMode: 1
; LDSByteSize: 544 bytes/workgroup (compile time only)
; SGPRBlocks: 0
; VGPRBlocks: 23
; NumSGPRsForWavesPerEU: 38
; NumVGPRsForWavesPerEU: 192
; Occupancy: 8
; WaveLimiterHint : 1
; COMPUTE_PGM_RSRC2:SCRATCH_EN: 1
; COMPUTE_PGM_RSRC2:USER_SGPR: 2
; COMPUTE_PGM_RSRC2:TRAP_HANDLER: 0
; COMPUTE_PGM_RSRC2:TGID_X_EN: 1
; COMPUTE_PGM_RSRC2:TGID_Y_EN: 1
; COMPUTE_PGM_RSRC2:TGID_Z_EN: 1
; COMPUTE_PGM_RSRC2:TIDIG_COMP_CNT: 0
	.section	.text._ZN4vllm25paged_attention_v2_kernelIfhLi192ELi32ELi128ELNS_18Fp8KVCacheDataTypeE1ELb0ELi512EEEvPfS2_PT_PKS3_PKT0_S9_ifPKiSB_iPKfiiiSD_SD_iiiii,"axG",@progbits,_ZN4vllm25paged_attention_v2_kernelIfhLi192ELi32ELi128ELNS_18Fp8KVCacheDataTypeE1ELb0ELi512EEEvPfS2_PT_PKS3_PKT0_S9_ifPKiSB_iPKfiiiSD_SD_iiiii,comdat
	.protected	_ZN4vllm25paged_attention_v2_kernelIfhLi192ELi32ELi128ELNS_18Fp8KVCacheDataTypeE1ELb0ELi512EEEvPfS2_PT_PKS3_PKT0_S9_ifPKiSB_iPKfiiiSD_SD_iiiii ; -- Begin function _ZN4vllm25paged_attention_v2_kernelIfhLi192ELi32ELi128ELNS_18Fp8KVCacheDataTypeE1ELb0ELi512EEEvPfS2_PT_PKS3_PKT0_S9_ifPKiSB_iPKfiiiSD_SD_iiiii
	.globl	_ZN4vllm25paged_attention_v2_kernelIfhLi192ELi32ELi128ELNS_18Fp8KVCacheDataTypeE1ELb0ELi512EEEvPfS2_PT_PKS3_PKT0_S9_ifPKiSB_iPKfiiiSD_SD_iiiii
	.p2align	8
	.type	_ZN4vllm25paged_attention_v2_kernelIfhLi192ELi32ELi128ELNS_18Fp8KVCacheDataTypeE1ELb0ELi512EEEvPfS2_PT_PKS3_PKT0_S9_ifPKiSB_iPKfiiiSD_SD_iiiii,@function
_ZN4vllm25paged_attention_v2_kernelIfhLi192ELi32ELi128ELNS_18Fp8KVCacheDataTypeE1ELb0ELi512EEEvPfS2_PT_PKS3_PKT0_S9_ifPKiSB_iPKfiiiSD_SD_iiiii: ; @_ZN4vllm25paged_attention_v2_kernelIfhLi192ELi32ELi128ELNS_18Fp8KVCacheDataTypeE1ELb0ELi512EEEvPfS2_PT_PKS3_PKT0_S9_ifPKiSB_iPKfiiiSD_SD_iiiii
; %bb.0:
	s_load_b64 s[2:3], s[0:1], 0x40
	s_and_b32 s15, ttmp7, 0xffff
	s_lshr_b32 s26, ttmp7, 16
	s_lshl_b32 s4, s15, 2
	s_lshl_b32 s28, s26, 9
	s_wait_kmcnt 0x0
	s_load_b32 s27, s[2:3], s4 offset:0x0
	s_wait_kmcnt 0x0
	s_cmp_ge_i32 s28, s27
	s_cbranch_scc1 .LBB241_235
; %bb.1:
	s_clause 0x1
	s_load_b32 s30, s[0:1], 0x90
	s_load_b64 s[8:9], s[0:1], 0x30
	v_mov_b32_e32 v9, v0
	s_wait_kmcnt 0x0
	s_abs_i32 s5, s30
	s_abs_i32 s2, s8
	s_delay_alu instid0(SALU_CYCLE_1) | instskip(SKIP_1) | instid1(SALU_CYCLE_2)
	s_cvt_f32_u32 s3, s2
	s_sub_co_i32 s4, 0, s2
	v_rcp_iflag_f32_e32 v0, s3
	s_delay_alu instid0(TRANS32_DEP_1) | instskip(SKIP_2) | instid1(SALU_CYCLE_2)
	v_readfirstlane_b32 s3, v0
	s_mul_f32 s3, s3, 0x4f7ffffe
	s_wait_alu 0xfffe
	s_cvt_u32_f32 s3, s3
	s_wait_alu 0xfffe
	s_delay_alu instid0(SALU_CYCLE_2) | instskip(NEXT) | instid1(SALU_CYCLE_1)
	s_mul_i32 s4, s4, s3
	s_mul_hi_u32 s4, s3, s4
	s_delay_alu instid0(SALU_CYCLE_1)
	s_add_co_i32 s3, s3, s4
	s_xor_b32 s4, s30, s8
	s_wait_alu 0xfffe
	s_mul_hi_u32 s3, s5, s3
	s_ashr_i32 s4, s4, 31
	s_wait_alu 0xfffe
	s_mul_i32 s6, s3, s2
	s_delay_alu instid0(SALU_CYCLE_1)
	s_sub_co_i32 s5, s5, s6
	s_add_co_i32 s6, s3, 1
	s_sub_co_i32 s7, s5, s2
	s_cmp_ge_u32 s5, s2
	s_cselect_b32 s3, s6, s3
	s_cselect_b32 s5, s7, s5
	s_wait_alu 0xfffe
	s_add_co_i32 s6, s3, 1
	s_cmp_ge_u32 s5, s2
	s_cselect_b32 s2, s6, s3
	s_load_b64 s[6:7], s[0:1], 0x50
	s_xor_b32 s2, s2, s4
	s_mov_b32 s3, 0
	s_wait_alu 0xfffe
	s_sub_co_i32 s11, s2, s4
	s_mov_b32 s8, s3
	s_abs_i32 s10, s11
	s_delay_alu instid0(SALU_CYCLE_1) | instskip(SKIP_1) | instid1(SALU_CYCLE_2)
	s_cvt_f32_u32 s2, s10
	s_wait_alu 0xfffe
	v_rcp_iflag_f32_e32 v0, s2
	s_delay_alu instid0(TRANS32_DEP_1) | instskip(SKIP_2) | instid1(SALU_CYCLE_2)
	v_readfirstlane_b32 s2, v0
	s_mul_f32 s2, s2, 0x4f7ffffe
	s_wait_alu 0xfffe
	s_cvt_u32_f32 s4, s2
	s_sub_co_i32 s2, 0, s10
	s_wait_alu 0xfffe
	s_delay_alu instid0(SALU_CYCLE_1)
	s_mul_i32 s2, s2, s4
	s_wait_alu 0xfffe
	s_mul_hi_u32 s5, s4, s2
	s_abs_i32 s2, ttmp9
	s_add_co_i32 s4, s4, s5
	s_mov_b32 s5, s3
	s_wait_kmcnt 0x0
	s_cmp_eq_u64 s[6:7], 0
	s_cbranch_scc1 .LBB241_3
; %bb.2:
	s_mov_b32 s12, ttmp9
	s_ashr_i32 s13, ttmp9, 31
	s_delay_alu instid0(SALU_CYCLE_1) | instskip(NEXT) | instid1(SALU_CYCLE_1)
	s_lshl_b64 s[12:13], s[12:13], 2
	s_add_nc_u64 s[6:7], s[6:7], s[12:13]
	s_load_b32 s8, s[6:7], 0x0
.LBB241_3:
	s_load_b96 s[12:14], s[0:1], 0x58
	s_mul_u64 s[4:5], s[2:3], s[4:5]
	s_ashr_i32 s3, ttmp9, 31
	s_ashr_i32 s4, s11, 31
	s_mul_i32 s16, ttmp9, 0xc0
	s_mov_b32 s6, exec_lo
	v_cmpx_gt_u32_e32 48, v9
	s_cbranch_execz .LBB241_5
; %bb.4:
	s_load_b64 s[18:19], s[0:1], 0x18
	s_wait_kmcnt 0x0
	s_mul_i32 s20, s12, s15
	s_ashr_i32 s17, s16, 31
	s_ashr_i32 s21, s20, 31
	v_lshlrev_b32_e32 v4, 4, v9
	s_lshl_b64 s[20:21], s[20:21], 2
	s_delay_alu instid0(SALU_CYCLE_1) | instskip(SKIP_1) | instid1(SALU_CYCLE_1)
	s_add_nc_u64 s[18:19], s[18:19], s[20:21]
	s_lshl_b64 s[20:21], s[16:17], 2
	s_add_nc_u64 s[18:19], s[18:19], s[20:21]
	global_load_b128 v[0:3], v4, s[18:19]
	s_wait_loadcnt 0x0
	ds_store_b128 v4, v[0:3]
.LBB241_5:
	s_or_b32 exec_lo, exec_lo, s6
	s_add_co_i32 s6, s27, 31
	s_lshl_b32 s31, s26, 4
	s_ashr_i32 s7, s6, 31
	s_wait_alu 0xfffe
	s_xor_b32 s3, s3, s4
	s_lshr_b32 s7, s7, 27
	s_add_co_i32 s4, s31, 16
	s_add_co_i32 s6, s6, s7
	s_clause 0x1
	s_load_b64 s[18:19], s[0:1], 0x38
	s_load_b32 s11, s[0:1], 0x48
	s_ashr_i32 s29, s6, 5
	s_mul_i32 s6, s5, s10
	s_min_i32 s17, s4, s29
	s_sub_co_i32 s2, s2, s6
	s_add_co_i32 s4, s5, 1
	s_wait_alu 0xfffe
	s_sub_co_i32 s6, s2, s10
	s_cmp_ge_u32 s2, s10
	v_lshrrev_b32_e32 v0, 5, v9
	s_cselect_b32 s20, s4, s5
	s_cselect_b32 s2, s6, s2
	s_wait_kmcnt 0x0
	s_clause 0x1
	s_load_b32 s12, s[0:1], 0x98
	s_load_b128 s[4:7], s[0:1], 0x68
	s_add_co_i32 s21, s20, 1
	s_cmp_ge_u32 s2, s10
	v_and_b32_e32 v6, 31, v9
	v_dual_mov_b32 v4, 0xff7fffff :: v_dual_add_nc_u32 v191, s31, v0
	s_cselect_b32 s2, s21, s20
	scratch_store_b32 off, v0, off offset:836 ; 4-byte Folded Spill
	s_wait_alu 0xfffe
	s_xor_b32 s2, s2, s3
	v_lshlrev_b32_e32 v13, 2, v6
	s_wait_alu 0xfffe
	s_sub_co_i32 s3, s2, s3
	v_cmp_gt_i32_e64 s2, s17, v191
	v_lshlrev_b32_e32 v12, 2, v191
	s_mul_i32 s20, s11, s15
	s_wait_alu 0xfffe
	s_mul_i32 s22, s3, s14
	s_ashr_i32 s21, s20, 31
	s_wait_storecnt_dscnt 0x0
	s_barrier_signal -1
	s_barrier_wait -1
	global_inv scope:SCOPE_SE
	s_mov_b32 s10, exec_lo
	s_delay_alu instid0(SALU_CYCLE_1)
	s_and_b32 s3, s10, s2
	s_clause 0x1
	scratch_store_b32 off, v6, off offset:844
	scratch_store_b32 off, v9, off offset:840
	s_wait_alu 0xfffe
	s_mov_b32 exec_lo, s3
	s_cbranch_execz .LBB241_9
; %bb.6:
	s_load_b64 s[24:25], s[0:1], 0x20
	v_dual_mov_b32 v1, 0 :: v_dual_lshlrev_b32 v0, 4, v6
	s_ashr_i32 s23, s22, 31
	s_wait_kmcnt 0x0
	s_load_b32 s5, s[4:5], 0x0
	s_cmp_neq_f32 s8, 0
	s_mov_b32 s11, s13
	s_mov_b32 s14, 0
	scratch_store_b32 off, v191, off offset:800 ; 4-byte Folded Spill
	s_cselect_b32 vcc_lo, -1, 0
	s_lshl_b64 s[34:35], s[20:21], 2
	scratch_store_b32 off, v12, off offset:848 ; 4-byte Folded Spill
	s_add_nc_u64 s[34:35], s[18:19], s[34:35]
	scratch_store_b32 off, v13, off offset:852 ; 4-byte Folded Spill
	s_add_nc_u64 s[24:25], s[24:25], s[22:23]
	s_delay_alu instid0(SALU_CYCLE_1)
	v_add_co_u32 v2, s3, s24, v0
	s_wait_alu 0xf1ff
	v_add_co_ci_u32_e64 v3, null, s25, 0, s3
	v_add_co_u32 v189, s3, s34, v12
	s_wait_alu 0xf1ff
	v_add_co_ci_u32_e64 v190, null, s35, 0, s3
	scratch_store_b64 off, v[2:3], off offset:56 ; 8-byte Folded Spill
	ds_load_b128 v[2:5], v1
	s_wait_kmcnt 0x0
	s_mov_b32 s23, s5
	s_sub_co_i32 s24, 1, s27
	s_wait_dscnt 0x0
	scratch_store_b128 off, v[2:5], off offset:64 ; 16-byte Folded Spill
	ds_load_b128 v[2:5], v1 offset:16
	s_wait_dscnt 0x0
	scratch_store_b128 off, v[2:5], off offset:80 ; 16-byte Folded Spill
	ds_load_b128 v[2:5], v1 offset:32
	;; [unrolled: 3-line block ×47, first 2 shown]
	v_mov_b32_e32 v4, 0xff7fffff
	s_wait_dscnt 0x0
	scratch_store_b128 off, v[0:3], off offset:820 ; 16-byte Folded Spill
	scratch_load_b32 v1, off, off offset:836 ; 4-byte Folded Reload
	s_wait_loadcnt 0x0
	v_lshlrev_b32_e32 v0, 5, v1
	s_delay_alu instid0(VALU_DEP_1) | instskip(SKIP_1) | instid1(VALU_DEP_1)
	v_add3_u32 v8, s28, v0, v6
	v_lshl_or_b32 v0, v1, 7, v13
	v_add_nc_u32_e32 v0, 0x320, v0
.LBB241_7:                              ; =>This Inner Loop Header: Depth=1
	global_load_b32 v5, v[189:190], off
	scratch_load_b64 v[1:2], off, off offset:56 ; 8-byte Folded Reload
	v_cmp_gt_i32_e64 s3, s27, v8
	v_add_nc_u32_e32 v191, 4, v191
	s_delay_alu instid0(VALU_DEP_1)
	v_cmp_le_i32_e64 s4, s17, v191
	s_or_b32 s14, s4, s14
	s_wait_loadcnt 0x0
	v_mad_co_i64_i32 v[5:6], null, v5, s11, v[1:2]
	s_clause 0xa
	global_load_b128 v[17:20], v[5:6], off
	global_load_b128 v[25:28], v[5:6], off offset:512
	global_load_b128 v[49:52], v[5:6], off offset:2048
	;; [unrolled: 1-line block ×10, first 2 shown]
	s_wait_loadcnt 0xa
	v_and_b32_e32 v16, 0xffff, v17
	v_lshrrev_b32_e32 v15, 16, v17
	v_lshrrev_b32_e32 v13, 16, v18
	;; [unrolled: 1-line block ×4, first 2 shown]
	v_cvt_pk_f32_fp8_e32 v[103:104], v16
	v_cvt_pk_f32_fp8_e32 v[15:16], v15
	v_and_b32_e32 v14, 0xffff, v18
	s_wait_loadcnt 0x9
	v_lshrrev_b32_e32 v21, 16, v25
	v_dual_mul_f32 v104, s23, v104 :: v_dual_and_b32 v23, 0xffff, v26
	v_mul_f32_e32 v105, s5, v15
	v_cvt_pk_f32_fp8_e32 v[14:15], v14
	v_and_b32_e32 v29, 0xffff, v28
	v_and_b32_e32 v10, 0xffff, v20
	v_lshrrev_b32_e32 v30, 16, v28
	v_lshrrev_b32_e32 v24, 16, v26
	v_mul_f32_e32 v106, s5, v14
	v_cvt_pk_f32_fp8_e32 v[13:14], v13
	v_and_b32_e32 v12, 0xffff, v19
	v_mul_f32_e32 v15, s23, v15
	s_wait_loadcnt 0x6
	v_lshrrev_b32_e32 v17, 16, v36
	s_wait_loadcnt 0x5
	v_dual_mul_f32 v16, s23, v16 :: v_dual_and_b32 v39, 0xffff, v42
	v_mul_f32_e32 v107, s5, v13
	v_cvt_pk_f32_fp8_e32 v[12:13], v12
	v_and_b32_e32 v55, 0xffff, v58
	v_and_b32_e32 v26, 0xffff, v27
	v_lshrrev_b32_e32 v40, 16, v42
	v_lshrrev_b32_e32 v27, 16, v27
	v_mul_f32_e32 v108, s5, v12
	v_cvt_pk_f32_fp8_e32 v[11:12], v11
	v_and_b32_e32 v20, 0xffff, v25
	v_mul_f32_e32 v13, s23, v13
	v_dual_mul_f32 v14, s23, v14 :: v_dual_and_b32 v45, 0xffff, v44
	s_delay_alu instid0(VALU_DEP_4)
	v_mul_f32_e32 v109, s5, v11
	v_cvt_pk_f32_fp8_e32 v[10:11], v10
	v_and_b32_e32 v61, 0xffff, v60
	v_lshrrev_b32_e32 v46, 16, v44
	v_and_b32_e32 v32, 0xffff, v33
	v_lshrrev_b32_e32 v25, 16, v34
	v_mul_f32_e32 v110, s5, v10
	v_cvt_pk_f32_fp8_e32 v[9:10], v9
	v_and_b32_e32 v22, 0xffff, v35
	s_wait_loadcnt 0x3
	v_and_b32_e32 v77, 0xffff, v76
	v_lshrrev_b32_e32 v31, 16, v33
	v_mul_f32_e32 v11, s23, v11
	v_dual_mul_f32 v111, s23, v10 :: v_dual_mul_f32 v112, s5, v9
	v_cvt_pk_f32_fp8_e32 v[9:10], v20
	v_and_b32_e32 v28, 0xffff, v34
	s_wait_loadcnt 0x1
	v_and_b32_e32 v93, 0xffff, v92
	v_lshrrev_b32_e32 v56, 16, v58
	v_lshrrev_b32_e32 v33, 16, v52
	v_dual_mul_f32 v20, s23, v10 :: v_dual_mul_f32 v113, s5, v9
	v_cvt_pk_f32_fp8_e32 v[9:10], v21
	v_and_b32_e32 v18, 0xffff, v36
	v_and_b32_e32 v87, 0xffff, v90
	v_lshrrev_b32_e32 v62, 16, v60
	v_lshrrev_b32_e32 v19, 16, v35
	v_dual_mul_f32 v21, s23, v10 :: v_dual_mul_f32 v114, s5, v9
	v_cvt_pk_f32_fp8_e32 v[9:10], v23
	v_and_b32_e32 v36, 0xffff, v41
	v_and_b32_e32 v42, 0xffff, v43
	v_lshrrev_b32_e32 v37, 16, v41
	v_lshrrev_b32_e32 v41, 16, v50
	v_mul_f32_e32 v23, s23, v10
	v_mul_f32_e32 v115, s5, v9
	v_cvt_pk_f32_fp8_e32 v[9:10], v24
	v_dual_mul_f32 v12, s23, v12 :: v_dual_and_b32 v71, 0xffff, v74
	v_lshrrev_b32_e32 v72, 16, v74
	v_lshrrev_b32_e32 v47, 16, v49
	s_delay_alu instid0(VALU_DEP_4)
	v_mul_f32_e32 v24, s23, v10
	v_mul_f32_e32 v116, s5, v9
	v_cvt_pk_f32_fp8_e32 v[9:10], v26
	v_and_b32_e32 v44, 0xffff, v50
	v_lshrrev_b32_e32 v78, 16, v76
	v_lshrrev_b32_e32 v53, 16, v57
	;; [unrolled: 1-line block ×3, first 2 shown]
	v_dual_mul_f32 v26, s23, v10 :: v_dual_mul_f32 v117, s5, v9
	v_cvt_pk_f32_fp8_e32 v[9:10], v27
	v_and_b32_e32 v48, 0xffff, v49
	v_lshrrev_b32_e32 v49, 16, v68
	v_lshrrev_b32_e32 v88, 16, v90
	v_lshrrev_b32_e32 v63, 16, v65
	v_dual_mul_f32 v27, s23, v10 :: v_dual_mul_f32 v118, s5, v9
	v_cvt_pk_f32_fp8_e32 v[9:10], v29
	v_and_b32_e32 v38, 0xffff, v51
	v_and_b32_e32 v34, 0xffff, v52
	v_lshrrev_b32_e32 v94, 16, v92
	v_lshrrev_b32_e32 v35, 16, v51
	v_mul_f32_e32 v29, s23, v10
	v_mul_f32_e32 v119, s5, v9
	v_cvt_pk_f32_fp8_e32 v[9:10], v30
	v_lshrrev_b32_e32 v51, 16, v67
	v_lshrrev_b32_e32 v69, 16, v73
	;; [unrolled: 1-line block ×3, first 2 shown]
	s_wait_loadcnt 0x0
	v_lshrrev_b32_e32 v95, 16, v97
	v_mul_f32_e32 v30, s23, v10
	v_mul_f32_e32 v120, s5, v9
	v_cvt_pk_f32_fp8_e32 v[9:10], v32
	v_and_b32_e32 v58, 0xffff, v59
	v_lshrrev_b32_e32 v85, 16, v89
	v_lshrrev_b32_e32 v59, 16, v59
	s_delay_alu instid0(VALU_DEP_4) | instskip(SKIP_4) | instid1(VALU_DEP_3)
	v_dual_mul_f32 v103, s5, v103 :: v_dual_mul_f32 v32, s23, v10
	v_mul_f32_e32 v121, s5, v9
	v_cvt_pk_f32_fp8_e32 v[9:10], v31
	v_and_b32_e32 v52, 0xffff, v57
	v_lshrrev_b32_e32 v57, 16, v66
	v_dual_mul_f32 v31, s23, v10 :: v_dual_mul_f32 v122, s5, v9
	v_cvt_pk_f32_fp8_e32 v[9:10], v28
	s_delay_alu instid0(VALU_DEP_1) | instskip(NEXT) | instid1(VALU_DEP_2)
	v_dual_mul_f32 v123, s5, v9 :: v_dual_and_b32 v60, 0xffff, v66
	v_mul_f32_e32 v28, s23, v10
	v_cvt_pk_f32_fp8_e32 v[9:10], v25
	v_and_b32_e32 v64, 0xffff, v65
	v_lshrrev_b32_e32 v65, 16, v84
	s_delay_alu instid0(VALU_DEP_3) | instskip(SKIP_3) | instid1(VALU_DEP_3)
	v_dual_mul_f32 v25, s23, v10 :: v_dual_mul_f32 v124, s5, v9
	v_cvt_pk_f32_fp8_e32 v[9:10], v22
	v_and_b32_e32 v54, 0xffff, v67
	v_lshrrev_b32_e32 v67, 16, v83
	v_dual_mul_f32 v22, s23, v10 :: v_dual_mul_f32 v125, s5, v9
	v_cvt_pk_f32_fp8_e32 v[9:10], v19
	s_delay_alu instid0(VALU_DEP_1) | instskip(NEXT) | instid1(VALU_DEP_2)
	v_dual_mul_f32 v19, s23, v10 :: v_dual_and_b32 v50, 0xffff, v68
	v_mul_f32_e32 v126, s5, v9
	v_cvt_pk_f32_fp8_e32 v[9:10], v18
	v_and_b32_e32 v74, 0xffff, v75
	v_lshrrev_b32_e32 v75, 16, v75
	s_delay_alu instid0(VALU_DEP_3) | instskip(SKIP_3) | instid1(VALU_DEP_3)
	v_dual_mul_f32 v18, s23, v10 :: v_dual_mul_f32 v127, s5, v9
	v_cvt_pk_f32_fp8_e32 v[9:10], v17
	v_and_b32_e32 v68, 0xffff, v73
	v_lshrrev_b32_e32 v73, 16, v82
	v_dual_mul_f32 v17, s23, v10 :: v_dual_mul_f32 v128, s5, v9
	v_cvt_pk_f32_fp8_e32 v[9:10], v36
	s_delay_alu instid0(VALU_DEP_1) | instskip(NEXT) | instid1(VALU_DEP_2)
	v_dual_mul_f32 v129, s5, v9 :: v_dual_and_b32 v76, 0xffff, v82
	v_mul_f32_e32 v36, s23, v10
	v_cvt_pk_f32_fp8_e32 v[9:10], v37
	v_and_b32_e32 v80, 0xffff, v81
	v_lshrrev_b32_e32 v81, 16, v100
	s_delay_alu instid0(VALU_DEP_3) | instskip(SKIP_4) | instid1(VALU_DEP_4)
	v_dual_mul_f32 v37, s23, v10 :: v_dual_mul_f32 v130, s5, v9
	v_cvt_pk_f32_fp8_e32 v[9:10], v39
	v_and_b32_e32 v70, 0xffff, v83
	v_and_b32_e32 v66, 0xffff, v84
	v_lshrrev_b32_e32 v83, 16, v99
	v_mul_f32_e32 v39, s23, v10
	v_mul_f32_e32 v131, s5, v9
	v_cvt_pk_f32_fp8_e32 v[9:10], v40
	s_delay_alu instid0(VALU_DEP_1) | instskip(NEXT) | instid1(VALU_DEP_2)
	v_mul_f32_e32 v40, s23, v10
	v_mul_f32_e32 v132, s5, v9
	v_cvt_pk_f32_fp8_e32 v[9:10], v42
	v_and_b32_e32 v90, 0xffff, v91
	v_lshrrev_b32_e32 v91, 16, v91
	s_delay_alu instid0(VALU_DEP_3) | instskip(SKIP_3) | instid1(VALU_DEP_3)
	v_dual_mul_f32 v42, s23, v10 :: v_dual_mul_f32 v133, s5, v9
	v_cvt_pk_f32_fp8_e32 v[9:10], v43
	v_and_b32_e32 v84, 0xffff, v89
	v_lshrrev_b32_e32 v89, 16, v98
	v_dual_mul_f32 v43, s23, v10 :: v_dual_mul_f32 v134, s5, v9
	v_cvt_pk_f32_fp8_e32 v[9:10], v45
	v_and_b32_e32 v96, 0xffff, v97
	s_delay_alu instid0(VALU_DEP_2) | instskip(NEXT) | instid1(VALU_DEP_3)
	v_dual_mul_f32 v135, s5, v9 :: v_dual_and_b32 v92, 0xffff, v98
	v_mul_f32_e32 v45, s23, v10
	v_cvt_pk_f32_fp8_e32 v[9:10], v46
	s_delay_alu instid0(VALU_DEP_1) | instskip(NEXT) | instid1(VALU_DEP_2)
	v_mul_f32_e32 v46, s23, v10
	v_mul_f32_e32 v136, s5, v9
	v_cvt_pk_f32_fp8_e32 v[9:10], v48
	s_delay_alu instid0(VALU_DEP_1) | instskip(NEXT) | instid1(VALU_DEP_2)
	v_dual_mul_f32 v137, s5, v9 :: v_dual_and_b32 v86, 0xffff, v99
	v_mul_f32_e32 v48, s23, v10
	v_cvt_pk_f32_fp8_e32 v[9:10], v47
	v_and_b32_e32 v82, 0xffff, v100
	global_load_b128 v[99:102], v[5:6], off offset:5632
	v_dual_mul_f32 v47, s23, v10 :: v_dual_mul_f32 v138, s5, v9
	v_cvt_pk_f32_fp8_e32 v[9:10], v44
	s_delay_alu instid0(VALU_DEP_1) | instskip(SKIP_1) | instid1(VALU_DEP_1)
	v_dual_mul_f32 v44, s23, v10 :: v_dual_mul_f32 v139, s5, v9
	v_cvt_pk_f32_fp8_e32 v[9:10], v41
	v_dual_mul_f32 v41, s23, v10 :: v_dual_mul_f32 v140, s5, v9
	v_cvt_pk_f32_fp8_e32 v[9:10], v38
	s_delay_alu instid0(VALU_DEP_1) | instskip(SKIP_1) | instid1(VALU_DEP_1)
	v_dual_mul_f32 v38, s23, v10 :: v_dual_mul_f32 v141, s5, v9
	v_cvt_pk_f32_fp8_e32 v[9:10], v35
	;; [unrolled: 5-line block ×4, first 2 shown]
	v_dual_mul_f32 v53, s23, v10 :: v_dual_mul_f32 v146, s5, v9
	v_cvt_pk_f32_fp8_e32 v[9:10], v55
	s_delay_alu instid0(VALU_DEP_1) | instskip(NEXT) | instid1(VALU_DEP_2)
	v_mul_f32_e32 v55, s23, v10
	v_mul_f32_e32 v147, s5, v9
	v_cvt_pk_f32_fp8_e32 v[9:10], v56
	s_delay_alu instid0(VALU_DEP_1) | instskip(NEXT) | instid1(VALU_DEP_2)
	v_mul_f32_e32 v56, s23, v10
	v_mul_f32_e32 v148, s5, v9
	v_cvt_pk_f32_fp8_e32 v[9:10], v58
	s_delay_alu instid0(VALU_DEP_1) | instskip(SKIP_1) | instid1(VALU_DEP_1)
	v_dual_mul_f32 v58, s23, v10 :: v_dual_mul_f32 v149, s5, v9
	v_cvt_pk_f32_fp8_e32 v[9:10], v59
	v_dual_mul_f32 v59, s23, v10 :: v_dual_mul_f32 v150, s5, v9
	v_cvt_pk_f32_fp8_e32 v[9:10], v61
	s_delay_alu instid0(VALU_DEP_1) | instskip(NEXT) | instid1(VALU_DEP_2)
	v_mul_f32_e32 v61, s23, v10
	v_mul_f32_e32 v151, s5, v9
	v_cvt_pk_f32_fp8_e32 v[9:10], v62
	s_delay_alu instid0(VALU_DEP_1) | instskip(NEXT) | instid1(VALU_DEP_2)
	v_mul_f32_e32 v62, s23, v10
	v_mul_f32_e32 v152, s5, v9
	v_cvt_pk_f32_fp8_e32 v[9:10], v64
	s_delay_alu instid0(VALU_DEP_1) | instskip(SKIP_1) | instid1(VALU_DEP_1)
	v_dual_mul_f32 v64, s23, v10 :: v_dual_mul_f32 v153, s5, v9
	v_cvt_pk_f32_fp8_e32 v[9:10], v63
	v_dual_mul_f32 v63, s23, v10 :: v_dual_mul_f32 v154, s5, v9
	v_cvt_pk_f32_fp8_e32 v[9:10], v60
	s_delay_alu instid0(VALU_DEP_1) | instskip(SKIP_1) | instid1(VALU_DEP_1)
	v_dual_mul_f32 v60, s23, v10 :: v_dual_mul_f32 v155, s5, v9
	v_cvt_pk_f32_fp8_e32 v[9:10], v57
	v_dual_mul_f32 v57, s23, v10 :: v_dual_mul_f32 v156, s5, v9
	;; [unrolled: 5-line block ×5, first 2 shown]
	v_cvt_pk_f32_fp8_e32 v[9:10], v71
	s_delay_alu instid0(VALU_DEP_1) | instskip(NEXT) | instid1(VALU_DEP_2)
	v_mul_f32_e32 v71, s23, v10
	v_mul_f32_e32 v163, s5, v9
	v_cvt_pk_f32_fp8_e32 v[9:10], v72
	s_delay_alu instid0(VALU_DEP_1) | instskip(NEXT) | instid1(VALU_DEP_2)
	v_mul_f32_e32 v72, s23, v10
	v_mul_f32_e32 v164, s5, v9
	v_cvt_pk_f32_fp8_e32 v[9:10], v74
	s_delay_alu instid0(VALU_DEP_1) | instskip(SKIP_1) | instid1(VALU_DEP_1)
	v_dual_mul_f32 v74, s23, v10 :: v_dual_mul_f32 v165, s5, v9
	v_cvt_pk_f32_fp8_e32 v[9:10], v75
	v_dual_mul_f32 v75, s23, v10 :: v_dual_mul_f32 v166, s5, v9
	v_cvt_pk_f32_fp8_e32 v[9:10], v77
	s_delay_alu instid0(VALU_DEP_1) | instskip(NEXT) | instid1(VALU_DEP_2)
	v_mul_f32_e32 v77, s23, v10
	v_mul_f32_e32 v167, s5, v9
	v_cvt_pk_f32_fp8_e32 v[9:10], v78
	s_delay_alu instid0(VALU_DEP_1) | instskip(NEXT) | instid1(VALU_DEP_2)
	v_mul_f32_e32 v78, s23, v10
	v_mul_f32_e32 v168, s5, v9
	v_cvt_pk_f32_fp8_e32 v[9:10], v80
	s_delay_alu instid0(VALU_DEP_1) | instskip(SKIP_1) | instid1(VALU_DEP_1)
	v_dual_mul_f32 v80, s23, v10 :: v_dual_mul_f32 v169, s5, v9
	v_cvt_pk_f32_fp8_e32 v[9:10], v79
	v_dual_mul_f32 v79, s23, v10 :: v_dual_mul_f32 v170, s5, v9
	v_cvt_pk_f32_fp8_e32 v[9:10], v76
	s_delay_alu instid0(VALU_DEP_1) | instskip(SKIP_1) | instid1(VALU_DEP_1)
	v_dual_mul_f32 v76, s23, v10 :: v_dual_mul_f32 v171, s5, v9
	v_cvt_pk_f32_fp8_e32 v[9:10], v73
	v_dual_mul_f32 v73, s23, v10 :: v_dual_mul_f32 v172, s5, v9
	;; [unrolled: 5-line block ×5, first 2 shown]
	v_cvt_pk_f32_fp8_e32 v[9:10], v87
	s_delay_alu instid0(VALU_DEP_1) | instskip(NEXT) | instid1(VALU_DEP_2)
	v_mul_f32_e32 v87, s23, v10
	v_mul_f32_e32 v179, s5, v9
	v_cvt_pk_f32_fp8_e32 v[9:10], v88
	s_delay_alu instid0(VALU_DEP_1) | instskip(NEXT) | instid1(VALU_DEP_2)
	v_mul_f32_e32 v88, s23, v10
	v_mul_f32_e32 v180, s5, v9
	v_cvt_pk_f32_fp8_e32 v[9:10], v90
	s_delay_alu instid0(VALU_DEP_1) | instskip(SKIP_1) | instid1(VALU_DEP_1)
	v_dual_mul_f32 v90, s23, v10 :: v_dual_mul_f32 v181, s5, v9
	v_cvt_pk_f32_fp8_e32 v[9:10], v91
	v_dual_mul_f32 v91, s23, v10 :: v_dual_mul_f32 v182, s5, v9
	v_cvt_pk_f32_fp8_e32 v[9:10], v93
	s_delay_alu instid0(VALU_DEP_1) | instskip(NEXT) | instid1(VALU_DEP_2)
	v_mul_f32_e32 v93, s23, v10
	v_mul_f32_e32 v183, s5, v9
	s_wait_loadcnt 0x0
	v_and_b32_e32 v5, 0xffff, v99
	v_and_b32_e32 v97, 0xffff, v100
	v_lshrrev_b32_e32 v6, 16, v99
	v_and_b32_e32 v99, 0xffff, v101
	v_lshrrev_b32_e32 v98, 16, v100
	v_lshrrev_b32_e32 v100, 16, v101
	v_and_b32_e32 v101, 0xffff, v102
	v_cvt_pk_f32_fp8_e32 v[9:10], v94
	v_lshrrev_b32_e32 v102, 16, v102
	s_delay_alu instid0(VALU_DEP_2) | instskip(NEXT) | instid1(VALU_DEP_3)
	v_mul_f32_e32 v94, s23, v10
	v_mul_f32_e32 v184, s5, v9
	v_cvt_pk_f32_fp8_e32 v[9:10], v96
	s_delay_alu instid0(VALU_DEP_1) | instskip(SKIP_1) | instid1(VALU_DEP_1)
	v_dual_mul_f32 v96, s23, v10 :: v_dual_mul_f32 v185, s5, v9
	v_cvt_pk_f32_fp8_e32 v[9:10], v95
	v_dual_mul_f32 v95, s23, v10 :: v_dual_mul_f32 v186, s5, v9
	v_cvt_pk_f32_fp8_e32 v[9:10], v92
	s_delay_alu instid0(VALU_DEP_1) | instskip(SKIP_1) | instid1(VALU_DEP_1)
	v_dual_mul_f32 v92, s23, v10 :: v_dual_mul_f32 v187, s5, v9
	v_cvt_pk_f32_fp8_e32 v[9:10], v89
	v_dual_mul_f32 v89, s23, v10 :: v_dual_mul_f32 v188, s5, v9
	v_cvt_pk_f32_fp8_e32 v[9:10], v86
	s_delay_alu instid0(VALU_DEP_1)
	v_dual_mul_f32 v1, s23, v10 :: v_dual_mul_f32 v86, s5, v9
	v_cvt_pk_f32_fp8_e32 v[9:10], v83
	scratch_store_b32 off, v1, off offset:52 ; 4-byte Folded Spill
	v_mul_f32_e32 v1, s23, v10
	v_mul_f32_e32 v83, s5, v9
	v_cvt_pk_f32_fp8_e32 v[9:10], v82
	scratch_store_b32 off, v1, off offset:48 ; 4-byte Folded Spill
	v_dual_mul_f32 v1, s23, v10 :: v_dual_mul_f32 v82, s5, v9
	v_cvt_pk_f32_fp8_e32 v[9:10], v81
	scratch_store_b32 off, v1, off offset:40 ; 4-byte Folded Spill
	v_mul_f32_e32 v1, s23, v10
	v_mul_f32_e32 v81, s5, v9
	v_cvt_pk_f32_fp8_e32 v[9:10], v5
	v_cvt_pk_f32_fp8_e32 v[5:6], v6
	scratch_store_b32 off, v1, off offset:36 ; 4-byte Folded Spill
	v_dual_mul_f32 v1, s23, v10 :: v_dual_mov_b32 v10, v0
	v_dual_mov_b32 v0, v4 :: v_dual_mul_f32 v9, s5, v9
	scratch_store_b32 off, v1, off offset:32 ; 4-byte Folded Spill
	v_mul_f32_e32 v1, s23, v6
	scratch_store_b32 off, v1, off offset:28 ; 4-byte Folded Spill
	v_mul_f32_e32 v1, s5, v5
	v_cvt_pk_f32_fp8_e32 v[5:6], v97
	scratch_store_b32 off, v1, off offset:44 ; 4-byte Folded Spill
	v_mul_f32_e32 v1, s23, v6
	v_mul_f32_e32 v97, s5, v5
	v_cvt_pk_f32_fp8_e32 v[5:6], v98
	scratch_store_b32 off, v1, off offset:24 ; 4-byte Folded Spill
	v_dual_mul_f32 v1, s23, v6 :: v_dual_mul_f32 v98, s5, v5
	v_cvt_pk_f32_fp8_e32 v[5:6], v99
	scratch_store_b32 off, v1, off offset:20 ; 4-byte Folded Spill
	v_mul_f32_e32 v1, s23, v6
	v_mul_f32_e32 v99, s5, v5
	v_cvt_pk_f32_fp8_e32 v[5:6], v100
	scratch_store_b32 off, v1, off offset:12 ; 4-byte Folded Spill
	v_dual_mul_f32 v1, s23, v6 :: v_dual_mul_f32 v100, s5, v5
	v_cvt_pk_f32_fp8_e32 v[5:6], v101
	scratch_store_b32 off, v1, off offset:8 ; 4-byte Folded Spill
	v_mul_f32_e32 v1, s23, v6
	v_mul_f32_e32 v101, s5, v5
	v_cvt_pk_f32_fp8_e32 v[5:6], v102
	scratch_store_b32 off, v1, off offset:4 ; 4-byte Folded Spill
	v_mul_f32_e32 v1, s23, v6
	scratch_store_b32 off, v1, off          ; 4-byte Folded Spill
	v_mul_f32_e32 v1, s5, v5
	scratch_load_b128 v[4:7], off, off offset:80 ; 16-byte Folded Reload
	scratch_store_b32 off, v1, off offset:16 ; 4-byte Folded Spill
	s_wait_loadcnt 0x0
	v_mul_f32_e32 v102, v4, v106
	v_mov_b32_e32 v4, v0
	scratch_load_b128 v[0:3], off, off offset:64 ; 16-byte Folded Reload
	v_dual_mul_f32 v15, v5, v15 :: v_dual_mul_f32 v14, v7, v14
	scratch_load_b32 v5, off, off offset:4 th:TH_LOAD_LU ; 4-byte Folded Reload
	s_wait_loadcnt 0x1
	v_fmac_f32_e32 v102, v0, v103
	v_mul_f32_e32 v103, v6, v107
	v_fmac_f32_e32 v15, v1, v104
	s_delay_alu instid0(VALU_DEP_2)
	v_dual_fmac_f32 v14, v3, v16 :: v_dual_fmac_f32 v103, v2, v105
	scratch_load_b128 v[0:3], off, off offset:96 ; 16-byte Folded Reload
	s_wait_loadcnt 0x0
	v_dual_fmac_f32 v102, v0, v108 :: v_dual_fmac_f32 v15, v1, v13
	v_dual_fmac_f32 v103, v2, v109 :: v_dual_fmac_f32 v14, v3, v12
	scratch_load_b128 v[0:3], off, off offset:112 ; 16-byte Folded Reload
	s_wait_loadcnt 0x0
	v_dual_fmac_f32 v102, v0, v110 :: v_dual_fmac_f32 v15, v1, v11
	v_dual_fmac_f32 v103, v2, v112 :: v_dual_fmac_f32 v14, v3, v111
	scratch_load_b128 v[0:3], off, off offset:128 ; 16-byte Folded Reload
	s_wait_loadcnt 0x0
	v_dual_fmac_f32 v102, v0, v113 :: v_dual_fmac_f32 v15, v1, v20
	v_dual_fmac_f32 v103, v2, v114 :: v_dual_fmac_f32 v14, v3, v21
	scratch_load_b128 v[0:3], off, off offset:144 ; 16-byte Folded Reload
	s_wait_loadcnt 0x0
	v_fmac_f32_e32 v102, v0, v115
	v_fmac_f32_e32 v15, v1, v23
	v_fmac_f32_e32 v103, v2, v116
	v_fmac_f32_e32 v14, v3, v24
	scratch_load_b128 v[0:3], off, off offset:160 ; 16-byte Folded Reload
	s_wait_loadcnt 0x0
	v_dual_fmac_f32 v102, v0, v117 :: v_dual_fmac_f32 v15, v1, v26
	v_dual_fmac_f32 v103, v2, v118 :: v_dual_fmac_f32 v14, v3, v27
	scratch_load_b128 v[0:3], off, off offset:176 ; 16-byte Folded Reload
	s_wait_loadcnt 0x0
	v_dual_fmac_f32 v102, v0, v119 :: v_dual_fmac_f32 v15, v1, v29
	v_dual_fmac_f32 v103, v2, v120 :: v_dual_fmac_f32 v14, v3, v30
	scratch_load_b128 v[0:3], off, off offset:192 ; 16-byte Folded Reload
	s_wait_loadcnt 0x0
	v_dual_fmac_f32 v102, v0, v121 :: v_dual_fmac_f32 v15, v1, v32
	v_dual_fmac_f32 v103, v2, v122 :: v_dual_fmac_f32 v14, v3, v31
	scratch_load_b128 v[0:3], off, off offset:208 ; 16-byte Folded Reload
	s_wait_loadcnt 0x0
	v_dual_fmac_f32 v102, v0, v123 :: v_dual_fmac_f32 v15, v1, v28
	v_dual_fmac_f32 v103, v2, v124 :: v_dual_fmac_f32 v14, v3, v25
	scratch_load_b128 v[0:3], off, off offset:224 ; 16-byte Folded Reload
	s_wait_loadcnt 0x0
	v_dual_fmac_f32 v102, v0, v125 :: v_dual_fmac_f32 v15, v1, v22
	v_dual_fmac_f32 v103, v2, v126 :: v_dual_fmac_f32 v14, v3, v19
	scratch_load_b128 v[0:3], off, off offset:240 ; 16-byte Folded Reload
	s_wait_loadcnt 0x0
	v_dual_fmac_f32 v102, v0, v127 :: v_dual_fmac_f32 v15, v1, v18
	v_dual_fmac_f32 v103, v2, v128 :: v_dual_fmac_f32 v14, v3, v17
	scratch_load_b128 v[0:3], off, off offset:256 ; 16-byte Folded Reload
	s_wait_loadcnt 0x0
	v_dual_fmac_f32 v102, v0, v129 :: v_dual_fmac_f32 v15, v1, v36
	v_dual_fmac_f32 v103, v2, v130 :: v_dual_fmac_f32 v14, v3, v37
	scratch_load_b128 v[0:3], off, off offset:272 ; 16-byte Folded Reload
	s_wait_loadcnt 0x0
	v_fmac_f32_e32 v102, v0, v131
	v_fmac_f32_e32 v15, v1, v39
	v_fmac_f32_e32 v103, v2, v132
	v_fmac_f32_e32 v14, v3, v40
	scratch_load_b128 v[0:3], off, off offset:288 ; 16-byte Folded Reload
	s_wait_loadcnt 0x0
	v_dual_fmac_f32 v102, v0, v133 :: v_dual_fmac_f32 v15, v1, v42
	v_dual_fmac_f32 v103, v2, v134 :: v_dual_fmac_f32 v14, v3, v43
	scratch_load_b128 v[0:3], off, off offset:304 ; 16-byte Folded Reload
	s_wait_loadcnt 0x0
	v_dual_fmac_f32 v102, v0, v135 :: v_dual_fmac_f32 v15, v1, v45
	v_dual_fmac_f32 v103, v2, v136 :: v_dual_fmac_f32 v14, v3, v46
	scratch_load_b128 v[0:3], off, off offset:320 ; 16-byte Folded Reload
	s_wait_loadcnt 0x0
	v_dual_fmac_f32 v102, v0, v137 :: v_dual_fmac_f32 v15, v1, v48
	v_dual_fmac_f32 v103, v2, v138 :: v_dual_fmac_f32 v14, v3, v47
	scratch_load_b128 v[0:3], off, off offset:336 ; 16-byte Folded Reload
	s_wait_loadcnt 0x0
	v_dual_fmac_f32 v102, v0, v139 :: v_dual_fmac_f32 v15, v1, v44
	;; [unrolled: 34-line block ×5, first 2 shown]
	v_dual_fmac_f32 v103, v2, v188 :: v_dual_fmac_f32 v14, v3, v89
	scratch_load_b128 v[0:3], off, off offset:736 ; 16-byte Folded Reload
	s_wait_loadcnt 0x0
	v_fmac_f32_e32 v102, v0, v86
	scratch_load_b32 v0, off, off offset:52 th:TH_LOAD_LU ; 4-byte Folded Reload
	v_fmac_f32_e32 v103, v2, v83
	s_wait_loadcnt 0x0
	v_fmac_f32_e32 v15, v1, v0
	scratch_load_b32 v0, off, off offset:48 th:TH_LOAD_LU ; 4-byte Folded Reload
	s_wait_loadcnt 0x0
	v_fmac_f32_e32 v14, v3, v0
	scratch_load_b128 v[0:3], off, off offset:752 ; 16-byte Folded Reload
	s_wait_loadcnt 0x0
	v_fmac_f32_e32 v102, v0, v82
	scratch_load_b32 v0, off, off offset:40 th:TH_LOAD_LU ; 4-byte Folded Reload
	v_fmac_f32_e32 v103, v2, v81
	s_wait_loadcnt 0x0
	v_fmac_f32_e32 v15, v1, v0
	scratch_load_b32 v0, off, off offset:36 th:TH_LOAD_LU ; 4-byte Folded Reload
	s_wait_loadcnt 0x0
	v_fmac_f32_e32 v14, v3, v0
	scratch_load_b128 v[0:3], off, off offset:768 ; 16-byte Folded Reload
	s_wait_loadcnt 0x0
	v_fmac_f32_e32 v102, v0, v9
	scratch_load_b32 v0, off, off offset:32 th:TH_LOAD_LU ; 4-byte Folded Reload
	s_wait_loadcnt 0x0
	v_fmac_f32_e32 v15, v1, v0
	scratch_load_b32 v0, off, off offset:44 th:TH_LOAD_LU ; 4-byte Folded Reload
	;; [unrolled: 3-line block ×3, first 2 shown]
	s_wait_loadcnt 0x0
	v_fmac_f32_e32 v14, v3, v0
	scratch_load_b128 v[0:3], off, off offset:784 ; 16-byte Folded Reload
	s_wait_loadcnt 0x0
	v_fmac_f32_e32 v102, v0, v97
	scratch_load_b32 v0, off, off offset:24 th:TH_LOAD_LU ; 4-byte Folded Reload
	v_fmac_f32_e32 v103, v2, v98
	s_wait_loadcnt 0x0
	v_fmac_f32_e32 v15, v1, v0
	scratch_load_b32 v0, off, off offset:20 th:TH_LOAD_LU ; 4-byte Folded Reload
	s_wait_loadcnt 0x0
	v_fmac_f32_e32 v14, v3, v0
	scratch_load_b128 v[0:3], off, off offset:804 ; 16-byte Folded Reload
	s_wait_loadcnt 0x0
	v_fmac_f32_e32 v102, v0, v99
	scratch_load_b32 v0, off, off offset:12 th:TH_LOAD_LU ; 4-byte Folded Reload
	v_fmac_f32_e32 v103, v2, v100
	s_wait_loadcnt 0x0
	v_fmac_f32_e32 v15, v1, v0
	scratch_load_b32 v0, off, off offset:8 th:TH_LOAD_LU ; 4-byte Folded Reload
	s_wait_loadcnt 0x0
	v_fmac_f32_e32 v14, v3, v0
	scratch_load_b128 v[0:3], off, off offset:820 ; 16-byte Folded Reload
	s_wait_loadcnt 0x0
	v_fmac_f32_e32 v15, v1, v5
	scratch_load_b32 v1, off, off offset:16 th:TH_LOAD_LU ; 4-byte Folded Reload
	v_fmac_f32_e32 v102, v0, v101
	v_mov_b32_e32 v0, v10
	s_wait_loadcnt 0x0
	v_fmac_f32_e32 v103, v2, v1
	scratch_load_b32 v1, off, off th:TH_LOAD_LU ; 4-byte Folded Reload
	s_wait_alu 0xfffe
	v_add_nc_u32_e32 v2, s24, v8
	v_add_nc_u32_e32 v8, 0x80, v8
	s_delay_alu instid0(VALU_DEP_2) | instskip(NEXT) | instid1(VALU_DEP_1)
	v_cvt_f32_i32_e32 v2, v2
	v_mul_f32_e32 v2, s8, v2
	s_delay_alu instid0(VALU_DEP_1) | instskip(SKIP_2) | instid1(VALU_DEP_1)
	v_cndmask_b32_e32 v2, 0, v2, vcc_lo
	s_wait_loadcnt 0x0
	v_dual_fmac_f32 v14, v3, v1 :: v_dual_add_f32 v1, v102, v15
	v_add_f32_e32 v1, v103, v1
	s_delay_alu instid0(VALU_DEP_1) | instskip(NEXT) | instid1(VALU_DEP_1)
	v_add_f32_e32 v1, v14, v1
	v_dual_fmac_f32 v2, s9, v1 :: v_dual_max_num_f32 v1, v4, v4
	s_delay_alu instid0(VALU_DEP_1) | instskip(SKIP_1) | instid1(VALU_DEP_2)
	v_dual_max_num_f32 v1, v1, v2 :: v_dual_add_nc_u32 v0, 0x200, v0
	v_cndmask_b32_e64 v2, 0, v2, s3
	v_cndmask_b32_e64 v4, v4, v1, s3
	v_add_co_u32 v189, s3, v189, 16
	s_wait_alu 0xf1ff
	v_add_co_ci_u32_e64 v190, null, 0, v190, s3
	ds_store_b32 v10, v2
	s_and_not1_b32 exec_lo, exec_lo, s14
	s_cbranch_execnz .LBB241_7
; %bb.8:
	s_or_b32 exec_lo, exec_lo, s14
	s_clause 0x4
	scratch_load_b32 v9, off, off offset:840
	scratch_load_b32 v6, off, off offset:844
	;; [unrolled: 1-line block ×5, first 2 shown]
.LBB241_9:
	s_or_b32 exec_lo, exec_lo, s10
	v_mbcnt_lo_u32_b32 v0, -1, 0
	s_load_b128 s[8:11], s[0:1], 0x0
	s_wait_kmcnt 0x0
	s_clause 0x1
	s_load_b64 s[4:5], s[0:1], 0x10
	s_load_b64 s[24:25], s[0:1], 0x28
	v_xor_b32_e32 v1, 16, v0
	v_xor_b32_e32 v3, 8, v0
	s_delay_alu instid0(VALU_DEP_2) | instskip(SKIP_2) | instid1(VALU_DEP_3)
	v_cmp_gt_i32_e32 vcc_lo, 32, v1
	s_wait_alu 0xfffd
	v_cndmask_b32_e32 v1, v0, v1, vcc_lo
	v_cmp_gt_i32_e32 vcc_lo, 32, v3
	s_delay_alu instid0(VALU_DEP_2)
	v_lshlrev_b32_e32 v1, 2, v1
	s_wait_alu 0xfffd
	v_cndmask_b32_e32 v3, v0, v3, vcc_lo
	ds_bpermute_b32 v2, v1, v4
	s_wait_dscnt 0x0
	v_dual_max_num_f32 v4, v4, v4 :: v_dual_max_num_f32 v5, v2, v2
	s_delay_alu instid0(VALU_DEP_1)
	v_dual_max_num_f32 v3, v4, v5 :: v_dual_lshlrev_b32 v2, 2, v3
	v_xor_b32_e32 v5, 4, v0
	ds_bpermute_b32 v4, v2, v3
	v_cmp_gt_i32_e32 vcc_lo, 32, v5
	s_wait_alu 0xfffd
	v_cndmask_b32_e32 v5, v0, v5, vcc_lo
	s_delay_alu instid0(VALU_DEP_1) | instskip(SKIP_1) | instid1(VALU_DEP_1)
	v_lshlrev_b32_e32 v66, 2, v5
	v_xor_b32_e32 v5, 2, v0
	v_cmp_gt_i32_e32 vcc_lo, 32, v5
	s_wait_dscnt 0x0
	v_max_num_f32_e32 v4, v4, v4
	s_wait_alu 0xfffd
	v_cndmask_b32_e32 v5, v0, v5, vcc_lo
	s_delay_alu instid0(VALU_DEP_2) | instskip(NEXT) | instid1(VALU_DEP_2)
	v_max_num_f32_e32 v3, v3, v4
	v_lshlrev_b32_e32 v65, 2, v5
	v_xor_b32_e32 v5, 1, v0
	ds_bpermute_b32 v4, v66, v3
	v_cmp_gt_i32_e32 vcc_lo, 32, v5
	s_wait_alu 0xfffd
	v_cndmask_b32_e32 v5, v0, v5, vcc_lo
	s_wait_loadcnt 0x3
	v_cmp_eq_u32_e32 vcc_lo, 0, v6
	s_wait_dscnt 0x0
	s_delay_alu instid0(VALU_DEP_2) | instskip(NEXT) | instid1(VALU_DEP_1)
	v_dual_max_num_f32 v4, v4, v4 :: v_dual_lshlrev_b32 v11, 2, v5
	v_max_num_f32_e32 v3, v3, v4
	ds_bpermute_b32 v4, v65, v3
	s_wait_dscnt 0x0
	v_max_num_f32_e32 v4, v4, v4
	s_delay_alu instid0(VALU_DEP_1)
	v_max_num_f32_e32 v0, v3, v4
	scratch_load_b32 v4, off, off offset:836 ; 4-byte Folded Reload
	ds_bpermute_b32 v3, v11, v0
	s_wait_loadcnt 0x0
	v_lshlrev_b32_e32 v4, 2, v4
	s_and_saveexec_b32 s0, vcc_lo
	s_cbranch_execz .LBB241_11
; %bb.10:
	s_wait_dscnt 0x0
	v_dual_max_num_f32 v3, v3, v3 :: v_dual_max_num_f32 v0, v0, v0
	s_delay_alu instid0(VALU_DEP_1)
	v_max_num_f32_e32 v0, v0, v3
	ds_store_b32 v4, v0 offset:768
.LBB241_11:
	s_or_b32 exec_lo, exec_lo, s0
	v_cmp_gt_u32_e64 s0, 4, v6
	v_mov_b32_e32 v0, 0xff7fffff
	s_wait_storecnt_dscnt 0x0
	s_barrier_signal -1
	s_barrier_wait -1
	global_inv scope:SCOPE_SE
	s_and_saveexec_b32 s1, s0
; %bb.12:
	ds_load_b32 v0, v13 offset:768
; %bb.13:
	s_or_b32 exec_lo, exec_lo, s1
	s_wait_dscnt 0x0
	ds_bpermute_b32 v3, v65, v0
	v_max_num_f32_e32 v0, v0, v0
	s_sub_co_i32 s1, s17, s31
	v_mov_b32_e32 v5, 0
	s_lshl_b32 s1, s1, 5
	s_delay_alu instid0(SALU_CYCLE_1) | instskip(NEXT) | instid1(SALU_CYCLE_1)
	s_add_co_i32 s1, s1, s28
	s_min_i32 s1, s1, s27
	s_delay_alu instid0(SALU_CYCLE_1) | instskip(NEXT) | instid1(SALU_CYCLE_1)
	s_sub_co_i32 s14, s1, s28
	v_cmp_gt_i32_e64 s1, s14, v9
	s_wait_dscnt 0x0
	v_max_num_f32_e32 v3, v3, v3
	s_delay_alu instid0(VALU_DEP_1) | instskip(SKIP_3) | instid1(VALU_DEP_1)
	v_max_num_f32_e32 v0, v0, v3
	ds_bpermute_b32 v3, v11, v0
	s_wait_dscnt 0x0
	v_max_num_f32_e32 v3, v3, v3
	v_max_num_f32_e32 v0, v0, v3
	v_lshl_add_u32 v3, v9, 2, 0x320
	ds_bpermute_b32 v0, v5, v0
	s_and_saveexec_b32 s23, s1
	s_cbranch_execz .LBB241_17
; %bb.14:
	v_lshl_add_u32 v6, v9, 2, 0x320
	v_mov_b32_e32 v5, 0
	v_mov_b32_e32 v7, v9
	s_mov_b32 s31, 0
.LBB241_15:                             ; =>This Inner Loop Header: Depth=1
	ds_load_b32 v8, v6
	v_add_nc_u32_e32 v7, 0x80, v7
	s_delay_alu instid0(VALU_DEP_1) | instskip(SKIP_4) | instid1(VALU_DEP_1)
	v_cmp_le_i32_e64 s3, s14, v7
	s_wait_alu 0xfffe
	s_or_b32 s31, s3, s31
	s_wait_dscnt 0x0
	v_sub_f32_e32 v8, v8, v0
	v_mul_f32_e32 v8, 0x3fb8aa3b, v8
	s_delay_alu instid0(VALU_DEP_1)
	v_exp_f32_e32 v8, v8
	ds_store_b32 v6, v8
	v_dual_add_f32 v5, v5, v8 :: v_dual_add_nc_u32 v6, 0x200, v6
	s_wait_alu 0xfffe
	s_and_not1_b32 exec_lo, exec_lo, s31
	s_cbranch_execnz .LBB241_15
; %bb.16:
	s_or_b32 exec_lo, exec_lo, s31
.LBB241_17:
	s_wait_alu 0xfffe
	s_or_b32 exec_lo, exec_lo, s23
	ds_bpermute_b32 v1, v1, v5
	s_wait_dscnt 0x0
	v_add_f32_e32 v1, v5, v1
	ds_bpermute_b32 v2, v2, v1
	s_wait_dscnt 0x0
	v_add_f32_e32 v1, v1, v2
	;; [unrolled: 3-line block ×5, first 2 shown]
	s_and_saveexec_b32 s3, vcc_lo
; %bb.18:
	ds_store_b32 v4, v1 offset:784
; %bb.19:
	s_wait_alu 0xfffe
	s_or_b32 exec_lo, exec_lo, s3
	s_wait_loadcnt_dscnt 0x0
	s_barrier_signal -1
	s_barrier_wait -1
	global_inv scope:SCOPE_SE
	s_and_saveexec_b32 s3, s0
; %bb.20:
	ds_load_b32 v1, v13 offset:784
; %bb.21:
	s_wait_alu 0xfffe
	s_or_b32 exec_lo, exec_lo, s3
	s_wait_dscnt 0x0
	ds_bpermute_b32 v2, v65, v1
	s_wait_dscnt 0x0
	v_add_f32_e32 v1, v1, v2
	ds_bpermute_b32 v2, v11, v1
	s_wait_dscnt 0x0
	v_dual_add_f32 v1, v1, v2 :: v_dual_mov_b32 v2, 0
	ds_bpermute_b32 v1, v2, v1
	s_and_saveexec_b32 s0, s1
	s_cbranch_execz .LBB241_24
; %bb.22:
	s_wait_dscnt 0x0
	v_add_f32_e32 v2, 0x358637bd, v1
	s_mov_b32 s1, 0
	s_delay_alu instid0(VALU_DEP_1) | instskip(SKIP_1) | instid1(VALU_DEP_2)
	v_div_scale_f32 v4, null, v2, v2, 1.0
	v_div_scale_f32 v7, vcc_lo, 1.0, v2, 1.0
	v_rcp_f32_e32 v5, v4
	s_delay_alu instid0(TRANS32_DEP_1) | instskip(NEXT) | instid1(VALU_DEP_1)
	v_fma_f32 v6, -v4, v5, 1.0
	v_fmac_f32_e32 v5, v6, v5
	s_delay_alu instid0(VALU_DEP_1) | instskip(NEXT) | instid1(VALU_DEP_1)
	v_mul_f32_e32 v6, v7, v5
	v_fma_f32 v8, -v4, v6, v7
	s_delay_alu instid0(VALU_DEP_1) | instskip(NEXT) | instid1(VALU_DEP_1)
	v_fmac_f32_e32 v6, v8, v5
	v_fma_f32 v4, -v4, v6, v7
	s_wait_alu 0xfffd
	s_delay_alu instid0(VALU_DEP_1) | instskip(NEXT) | instid1(VALU_DEP_1)
	v_div_fmas_f32 v4, v4, v5, v6
	v_div_fixup_f32 v2, v4, v2, 1.0
	v_mov_b32_e32 v4, v9
.LBB241_23:                             ; =>This Inner Loop Header: Depth=1
	ds_load_b32 v5, v3
	s_wait_dscnt 0x0
	v_dual_mul_f32 v5, v2, v5 :: v_dual_add_nc_u32 v4, 0x80, v4
	s_delay_alu instid0(VALU_DEP_1) | instskip(SKIP_3) | instid1(SALU_CYCLE_1)
	v_cmp_le_i32_e32 vcc_lo, s14, v4
	ds_store_b32 v3, v5
	v_add_nc_u32_e32 v3, 0x200, v3
	s_or_b32 s1, vcc_lo, s1
	s_and_not1_b32 exec_lo, exec_lo, s1
	s_cbranch_execnz .LBB241_23
.LBB241_24:
	s_or_b32 exec_lo, exec_lo, s0
	s_mul_i32 s0, s12, s15
	s_wait_loadcnt_dscnt 0x0
	s_mul_i32 s14, s0, s30
	s_mov_b32 s0, exec_lo
	s_barrier_signal -1
	s_barrier_wait -1
	global_inv scope:SCOPE_SE
	v_cmpx_eq_u32_e32 0, v9
	s_cbranch_execz .LBB241_26
; %bb.25:
	s_wait_alu 0xfffe
	s_ashr_i32 s15, s14, 31
	s_mul_i32 s30, s12, ttmp9
	s_lshl_b32 s1, s26, 2
	s_wait_alu 0xfffe
	s_lshl_b64 s[34:35], s[14:15], 2
	s_ashr_i32 s31, s30, 31
	v_mov_b32_e32 v2, s1
	s_wait_alu 0xfffe
	s_add_nc_u64 s[10:11], s[10:11], s[34:35]
	s_lshl_b64 s[30:31], s[30:31], 2
	s_add_nc_u64 s[8:9], s[8:9], s[34:35]
	s_wait_alu 0xfffe
	s_add_nc_u64 s[10:11], s[10:11], s[30:31]
	s_add_nc_u64 s[8:9], s[8:9], s[30:31]
	s_clause 0x1
	global_store_b32 v2, v0, s[10:11]
	global_store_b32 v2, v1, s[8:9]
.LBB241_26:
	s_or_b32 exec_lo, exec_lo, s0
	v_dual_mov_b32 v60, 0 :: v_dual_mov_b32 v61, 0
	v_dual_mov_b32 v59, 0 :: v_dual_and_b32 v0, 7, v9
	v_dual_mov_b32 v62, 0 :: v_dual_mov_b32 v57, 0
	v_dual_mov_b32 v58, 0 :: v_dual_mov_b32 v55, 0
	;; [unrolled: 1-line block ×22, first 2 shown]
	v_mov_b32_e32 v16, 0
	s_clause 0x1
	scratch_store_b32 off, v11, off offset:852
	scratch_store_b32 off, v0, off offset:848
	s_and_saveexec_b32 s1, s2
	s_cbranch_execz .LBB241_126
; %bb.27:
	s_clause 0x1
	scratch_store_b32 off, v66, off offset:860
	scratch_store_b32 off, v65, off offset:856
	s_clause 0x2
	scratch_load_b32 v0, off, off offset:840
	scratch_load_b32 v1, off, off offset:848
	;; [unrolled: 1-line block ×3, first 2 shown]
	s_load_b32 s6, s[6:7], 0x0
	s_lshl_b64 s[10:11], s[20:21], 2
	v_dual_mov_b32 v20, 0 :: v_dual_mov_b32 v21, 0
	s_wait_alu 0xfffe
	s_add_nc_u64 s[10:11], s[18:19], s[10:11]
	v_dual_mov_b32 v22, 0 :: v_dual_mov_b32 v23, 0
	s_wait_alu 0xfffe
	v_add_co_u32 v5, s0, s10, v12
	s_wait_alu 0xf1ff
	v_add_co_ci_u32_e64 v6, null, s11, 0, s0
	v_dual_mov_b32 v24, 0 :: v_dual_mov_b32 v25, 0
	v_dual_mov_b32 v26, 0 :: v_dual_mov_b32 v27, 0
	;; [unrolled: 1-line block ×19, first 2 shown]
	v_mov_b32_e32 v60, 0
	s_ashr_i32 s23, s22, 31
	s_mov_b32 s8, s13
	s_wait_kmcnt 0x0
	s_wait_alu 0xfffe
	s_add_nc_u64 s[2:3], s[24:25], s[22:23]
	s_mov_b32 s7, s6
	s_add_co_i32 s10, s29, -1
	s_mov_b32 s9, 0
	v_dual_mov_b32 v15, 0 :: v_dual_mov_b32 v16, 0
	v_dual_mov_b32 v18, 0 :: v_dual_mov_b32 v17, 0
	s_wait_loadcnt 0x2
	v_dual_mov_b32 v19, 0 :: v_dual_lshlrev_b32 v0, 2, v0
	s_wait_loadcnt 0x1
	v_lshlrev_b32_e32 v1, 4, v1
	s_delay_alu instid0(VALU_DEP_2) | instskip(SKIP_2) | instid1(VALU_DEP_3)
	v_and_b32_e32 v3, 0x7c, v0
	v_and_b32_e32 v2, 28, v0
	s_wait_loadcnt 0x0
	v_lshl_or_b32 v1, v4, 7, v1
	v_or_b32_e32 v0, 0xf80, v0
	scratch_store_b32 off, v3, off offset:804 ; 4-byte Folded Spill
	v_lshl_add_u32 v3, v4, 5, s28
	v_add_nc_u32_e32 v66, 0x320, v1
	scratch_store_b32 off, v0, off offset:820 ; 4-byte Folded Spill
	v_add3_u32 v65, v3, v2, 3
	s_branch .LBB241_29
.LBB241_28:                             ;   in Loop: Header=BB241_29 Depth=1
	s_wait_alu 0xfffe
	s_or_b32 exec_lo, exec_lo, s0
	s_wait_dscnt 0x0
	v_mul_f32_e32 v11, v1, v11
	v_mul_f32_e32 v99, v1, v99
	;; [unrolled: 1-line block ×5, first 2 shown]
	v_fmac_f32_e32 v11, v2, v13
	v_fmac_f32_e32 v99, v2, v98
	v_dual_fmac_f32 v115, v2, v114 :: v_dual_mul_f32 v96, v1, v96
	v_fmac_f32_e32 v91, v2, v90
	s_delay_alu instid0(VALU_DEP_4) | instskip(SKIP_1) | instid1(VALU_DEP_4)
	v_fmac_f32_e32 v11, v3, v67
	v_fmac_f32_e32 v83, v2, v82
	v_dual_fmac_f32 v115, v3, v117 :: v_dual_fmac_f32 v96, v2, v95
	v_mul_f32_e32 v123, v1, v123
	s_delay_alu instid0(VALU_DEP_4) | instskip(SKIP_3) | instid1(VALU_DEP_4)
	v_fmac_f32_e32 v11, v4, v12
	v_fmac_f32_e32 v99, v3, v101
	;; [unrolled: 1-line block ×3, first 2 shown]
	v_dual_fmac_f32 v96, v3, v97 :: v_dual_mul_f32 v119, v1, v119
	v_dual_add_f32 v30, v30, v11 :: v_dual_mul_f32 v11, v1, v64
	s_delay_alu instid0(VALU_DEP_4) | instskip(NEXT) | instid1(VALU_DEP_3)
	v_fmac_f32_e32 v99, v4, v100
	v_fmac_f32_e32 v96, v4, v94
	;; [unrolled: 1-line block ×5, first 2 shown]
	v_add_co_u32 v5, vcc_lo, v5, 16
	v_add_f32_e32 v23, v23, v96
	s_delay_alu instid0(VALU_DEP_4) | instskip(NEXT) | instid1(VALU_DEP_4)
	v_fmac_f32_e32 v83, v4, v84
	v_fmac_f32_e32 v11, v3, v9
	scratch_load_b32 v9, off, off offset:784 th:TH_LOAD_LU ; 4-byte Folded Reload
	s_wait_alu 0xfffd
	v_add_co_ci_u32_e64 v6, null, 0, v6, vcc_lo
	v_mul_f32_e32 v76, v1, v76
	v_dual_fmac_f32 v11, v4, v0 :: v_dual_mul_f32 v0, v1, v14
	v_mul_f32_e32 v107, v1, v107
	s_delay_alu instid0(VALU_DEP_3) | instskip(SKIP_1) | instid1(VALU_DEP_4)
	v_dual_fmac_f32 v115, v4, v116 :: v_dual_fmac_f32 v76, v2, v75
	v_add_f32_e32 v22, v22, v99
	v_fmac_f32_e32 v0, v2, v190
	s_delay_alu instid0(VALU_DEP_4) | instskip(NEXT) | instid1(VALU_DEP_4)
	v_fmac_f32_e32 v107, v2, v106
	v_add_f32_e32 v18, v18, v115
	v_dual_fmac_f32 v119, v2, v118 :: v_dual_add_f32 v24, v24, v91
	s_delay_alu instid0(VALU_DEP_3) | instskip(SKIP_1) | instid1(VALU_DEP_3)
	v_dual_add_f32 v26, v26, v83 :: v_dual_fmac_f32 v107, v3, v109
	v_fmac_f32_e32 v76, v3, v77
	v_fmac_f32_e32 v119, v3, v121
	v_dual_fmac_f32 v0, v3, v63 :: v_dual_add_nc_u32 v65, 0x80, v65
	s_delay_alu instid0(VALU_DEP_4) | instskip(SKIP_1) | instid1(VALU_DEP_4)
	v_fmac_f32_e32 v107, v4, v108
	v_fmac_f32_e32 v123, v2, v122
	;; [unrolled: 1-line block ×3, first 2 shown]
	v_dual_fmac_f32 v76, v4, v74 :: v_dual_mul_f32 v111, v1, v111
	s_delay_alu instid0(VALU_DEP_3) | instskip(NEXT) | instid1(VALU_DEP_2)
	v_dual_add_f32 v20, v20, v107 :: v_dual_fmac_f32 v123, v3, v125
	v_dual_add_f32 v17, v17, v119 :: v_dual_add_f32 v28, v28, v76
	s_delay_alu instid0(VALU_DEP_3) | instskip(NEXT) | instid1(VALU_DEP_3)
	v_dual_fmac_f32 v111, v2, v110 :: v_dual_fmac_f32 v0, v4, v191
	v_fmac_f32_e32 v123, v4, v124
	scratch_load_b32 v191, off, off offset:800 th:TH_LOAD_LU ; 4-byte Folded Reload
	v_dual_fmac_f32 v111, v3, v113 :: v_dual_add_nc_u32 v66, 0x200, v66
	v_add_f32_e32 v32, v32, v0
	v_add_f32_e32 v16, v16, v123
	v_mul_f32_e32 v0, v1, v188
	s_delay_alu instid0(VALU_DEP_1) | instskip(NEXT) | instid1(VALU_DEP_1)
	v_dual_fmac_f32 v111, v4, v112 :: v_dual_fmac_f32 v0, v2, v187
	v_fmac_f32_e32 v0, v3, v189
	s_delay_alu instid0(VALU_DEP_1) | instskip(NEXT) | instid1(VALU_DEP_1)
	v_dual_add_f32 v19, v19, v111 :: v_dual_fmac_f32 v0, v4, v186
	v_add_f32_e32 v33, v33, v0
	v_mul_f32_e32 v0, v1, v185
	s_delay_alu instid0(VALU_DEP_1) | instskip(NEXT) | instid1(VALU_DEP_1)
	v_dual_mul_f32 v103, v1, v103 :: v_dual_fmac_f32 v0, v2, v184
	v_dual_fmac_f32 v103, v2, v102 :: v_dual_fmac_f32 v0, v3, v183
	s_delay_alu instid0(VALU_DEP_1) | instskip(NEXT) | instid1(VALU_DEP_1)
	v_dual_fmac_f32 v103, v3, v105 :: v_dual_fmac_f32 v0, v4, v182
	v_fmac_f32_e32 v103, v4, v104
	s_delay_alu instid0(VALU_DEP_2) | instskip(SKIP_1) | instid1(VALU_DEP_1)
	v_add_f32_e32 v34, v34, v0
	v_mul_f32_e32 v0, v1, v181
	v_dual_add_f32 v21, v21, v103 :: v_dual_fmac_f32 v0, v2, v180
	s_delay_alu instid0(VALU_DEP_1) | instskip(NEXT) | instid1(VALU_DEP_1)
	v_fmac_f32_e32 v0, v3, v179
	v_fmac_f32_e32 v0, v4, v178
	s_delay_alu instid0(VALU_DEP_1) | instskip(NEXT) | instid1(VALU_DEP_1)
	v_dual_add_f32 v35, v35, v0 :: v_dual_mul_f32 v0, v1, v177
	v_fmac_f32_e32 v0, v2, v176
	s_delay_alu instid0(VALU_DEP_1) | instskip(NEXT) | instid1(VALU_DEP_1)
	v_fmac_f32_e32 v0, v3, v175
	v_dual_mul_f32 v87, v1, v87 :: v_dual_fmac_f32 v0, v4, v174
	s_delay_alu instid0(VALU_DEP_1) | instskip(SKIP_1) | instid1(VALU_DEP_1)
	v_dual_fmac_f32 v87, v2, v86 :: v_dual_add_f32 v36, v36, v0
	v_mul_f32_e32 v0, v1, v173
	v_dual_fmac_f32 v87, v3, v89 :: v_dual_fmac_f32 v0, v2, v172
	s_delay_alu instid0(VALU_DEP_1) | instskip(NEXT) | instid1(VALU_DEP_1)
	v_dual_fmac_f32 v87, v4, v88 :: v_dual_fmac_f32 v0, v3, v171
	v_dual_add_f32 v25, v25, v87 :: v_dual_fmac_f32 v0, v4, v170
	s_delay_alu instid0(VALU_DEP_1) | instskip(SKIP_1) | instid1(VALU_DEP_1)
	v_add_f32_e32 v37, v37, v0
	v_mul_f32_e32 v0, v1, v169
	v_dual_fmac_f32 v0, v2, v168 :: v_dual_mul_f32 v69, v1, v69
	s_delay_alu instid0(VALU_DEP_1) | instskip(NEXT) | instid1(VALU_DEP_1)
	v_dual_fmac_f32 v0, v3, v167 :: v_dual_fmac_f32 v69, v2, v68
	v_dual_fmac_f32 v0, v4, v166 :: v_dual_mul_f32 v79, v1, v79
	s_delay_alu instid0(VALU_DEP_1) | instskip(NEXT) | instid1(VALU_DEP_2)
	v_add_f32_e32 v38, v38, v0
	v_dual_fmac_f32 v79, v2, v78 :: v_dual_mul_f32 v0, v1, v165
	s_delay_alu instid0(VALU_DEP_1) | instskip(NEXT) | instid1(VALU_DEP_1)
	v_dual_fmac_f32 v79, v3, v81 :: v_dual_fmac_f32 v0, v2, v164
	v_dual_fmac_f32 v79, v4, v80 :: v_dual_fmac_f32 v0, v3, v163
	s_delay_alu instid0(VALU_DEP_1) | instskip(NEXT) | instid1(VALU_DEP_1)
	v_dual_add_f32 v27, v27, v79 :: v_dual_fmac_f32 v0, v4, v162
	v_dual_add_f32 v39, v39, v0 :: v_dual_mul_f32 v0, v1, v161
	s_delay_alu instid0(VALU_DEP_1) | instskip(NEXT) | instid1(VALU_DEP_1)
	v_dual_fmac_f32 v69, v3, v71 :: v_dual_fmac_f32 v0, v2, v160
	v_dual_fmac_f32 v69, v4, v70 :: v_dual_fmac_f32 v0, v3, v159
	s_delay_alu instid0(VALU_DEP_1) | instskip(NEXT) | instid1(VALU_DEP_1)
	v_dual_add_f32 v29, v29, v69 :: v_dual_fmac_f32 v0, v4, v158
	v_add_f32_e32 v40, v40, v0
	v_mul_f32_e32 v0, v1, v157
	s_delay_alu instid0(VALU_DEP_1) | instskip(NEXT) | instid1(VALU_DEP_1)
	v_fmac_f32_e32 v0, v2, v156
	v_fmac_f32_e32 v0, v3, v155
	s_delay_alu instid0(VALU_DEP_1) | instskip(NEXT) | instid1(VALU_DEP_1)
	v_fmac_f32_e32 v0, v4, v154
	v_add_f32_e32 v41, v41, v0
	v_mul_f32_e32 v0, v1, v153
	s_delay_alu instid0(VALU_DEP_1) | instskip(NEXT) | instid1(VALU_DEP_1)
	v_fmac_f32_e32 v0, v2, v152
	v_fmac_f32_e32 v0, v3, v151
	s_delay_alu instid0(VALU_DEP_1) | instskip(NEXT) | instid1(VALU_DEP_1)
	v_dual_add_f32 v31, v31, v11 :: v_dual_fmac_f32 v0, v4, v150
	v_add_f32_e32 v42, v42, v0
	v_mul_f32_e32 v0, v1, v149
	s_delay_alu instid0(VALU_DEP_1) | instskip(NEXT) | instid1(VALU_DEP_1)
	v_fmac_f32_e32 v0, v2, v148
	v_fmac_f32_e32 v0, v3, v147
	s_delay_alu instid0(VALU_DEP_1) | instskip(NEXT) | instid1(VALU_DEP_1)
	v_fmac_f32_e32 v0, v4, v146
	v_dual_add_f32 v43, v43, v0 :: v_dual_mul_f32 v0, v1, v145
	s_delay_alu instid0(VALU_DEP_1) | instskip(NEXT) | instid1(VALU_DEP_1)
	v_fmac_f32_e32 v0, v2, v144
	v_fmac_f32_e32 v0, v3, v143
	s_delay_alu instid0(VALU_DEP_1) | instskip(NEXT) | instid1(VALU_DEP_1)
	v_fmac_f32_e32 v0, v4, v142
	v_add_f32_e32 v44, v44, v0
	v_mul_f32_e32 v0, v1, v141
	s_delay_alu instid0(VALU_DEP_1) | instskip(NEXT) | instid1(VALU_DEP_1)
	v_fmac_f32_e32 v0, v2, v140
	v_fmac_f32_e32 v0, v3, v139
	s_delay_alu instid0(VALU_DEP_1) | instskip(NEXT) | instid1(VALU_DEP_1)
	v_fmac_f32_e32 v0, v4, v138
	v_add_f32_e32 v45, v45, v0
	v_mul_f32_e32 v0, v1, v134
	;; [unrolled: 7-line block ×3, first 2 shown]
	s_delay_alu instid0(VALU_DEP_1) | instskip(NEXT) | instid1(VALU_DEP_1)
	v_fmac_f32_e32 v0, v2, v129
	v_fmac_f32_e32 v0, v3, v128
	s_wait_loadcnt 0x1
	s_delay_alu instid0(VALU_DEP_1)
	v_fmac_f32_e32 v0, v4, v9
	scratch_load_b32 v9, off, off offset:752 th:TH_LOAD_LU ; 4-byte Folded Reload
	v_add_f32_e32 v47, v47, v0
	scratch_load_b32 v0, off, off offset:768 th:TH_LOAD_LU ; 4-byte Folded Reload
	s_wait_loadcnt 0x2
	v_add_nc_u32_e32 v191, 4, v191
	s_delay_alu instid0(VALU_DEP_1) | instskip(SKIP_3) | instid1(VALU_DEP_1)
	v_cmp_le_i32_e32 vcc_lo, s17, v191
	s_or_b32 s9, vcc_lo, s9
	s_wait_loadcnt 0x0
	v_mul_f32_e32 v0, v1, v0
	v_fmac_f32_e32 v0, v2, v9
	scratch_load_b32 v9, off, off offset:736 th:TH_LOAD_LU ; 4-byte Folded Reload
	s_wait_loadcnt 0x0
	v_fmac_f32_e32 v0, v3, v9
	scratch_load_b32 v9, off, off offset:720 th:TH_LOAD_LU ; 4-byte Folded Reload
	s_wait_loadcnt 0x0
	v_fmac_f32_e32 v0, v4, v9
	scratch_load_b32 v9, off, off offset:688 th:TH_LOAD_LU ; 4-byte Folded Reload
	v_add_f32_e32 v48, v48, v0
	scratch_load_b32 v0, off, off offset:704 th:TH_LOAD_LU ; 4-byte Folded Reload
	s_wait_loadcnt 0x0
	v_mul_f32_e32 v0, v1, v0
	s_delay_alu instid0(VALU_DEP_1)
	v_fmac_f32_e32 v0, v2, v9
	scratch_load_b32 v9, off, off offset:672 th:TH_LOAD_LU ; 4-byte Folded Reload
	s_wait_loadcnt 0x0
	v_fmac_f32_e32 v0, v3, v9
	scratch_load_b32 v9, off, off offset:656 th:TH_LOAD_LU ; 4-byte Folded Reload
	s_wait_loadcnt 0x0
	v_fmac_f32_e32 v0, v4, v9
	scratch_load_b32 v9, off, off offset:624 th:TH_LOAD_LU ; 4-byte Folded Reload
	v_add_f32_e32 v49, v49, v0
	scratch_load_b32 v0, off, off offset:640 th:TH_LOAD_LU ; 4-byte Folded Reload
	s_wait_loadcnt 0x0
	v_mul_f32_e32 v0, v1, v0
	s_delay_alu instid0(VALU_DEP_1)
	;; [unrolled: 13-line block ×14, first 2 shown]
	v_fmac_f32_e32 v0, v2, v9
	scratch_load_b32 v9, off, off offset:4 th:TH_LOAD_LU ; 4-byte Folded Reload
	s_wait_loadcnt 0x0
	v_fmac_f32_e32 v0, v3, v9
	scratch_load_b32 v9, off, off th:TH_LOAD_LU ; 4-byte Folded Reload
	s_wait_loadcnt 0x0
	v_fmac_f32_e32 v0, v4, v9
	s_delay_alu instid0(VALU_DEP_1) | instskip(SKIP_1) | instid1(VALU_DEP_1)
	v_add_f32_e32 v60, v60, v0
	v_mul_f32_e32 v0, v1, v72
	v_fmac_f32_e32 v0, v2, v8
	s_delay_alu instid0(VALU_DEP_1) | instskip(NEXT) | instid1(VALU_DEP_1)
	v_fmac_f32_e32 v0, v3, v73
	v_fmac_f32_e32 v0, v4, v7
	s_delay_alu instid0(VALU_DEP_1)
	v_add_f32_e32 v15, v15, v0
	s_wait_alu 0xfffe
	s_and_not1_b32 exec_lo, exec_lo, s9
	s_cbranch_execz .LBB241_125
.LBB241_29:                             ; =>This Inner Loop Header: Depth=1
	global_load_b32 v0, v[5:6], off
	ds_load_b128 v[1:4], v66
	v_add_nc_u32_e32 v136, -2, v65
	v_add_nc_u32_e32 v137, -1, v65
	s_wait_loadcnt 0x0
	s_wait_alu 0xfffe
	v_mad_co_i64_i32 v[9:10], null, v0, s8, s[2:3]
	scratch_load_b32 v0, off, off offset:804 ; 4-byte Folded Reload
	s_wait_loadcnt 0x0
	v_add_co_u32 v7, vcc_lo, v9, v0
	s_wait_alu 0xfffd
	v_add_co_ci_u32_e64 v8, null, 0, v10, vcc_lo
	v_cmp_eq_u32_e32 vcc_lo, s10, v191
	global_load_b32 v0, v[7:8], off
	s_wait_loadcnt 0x0
	v_and_b32_e32 v11, 0xffff, v0
	v_lshrrev_b32_e32 v0, 16, v0
	s_delay_alu instid0(VALU_DEP_2) | instskip(SKIP_1) | instid1(VALU_DEP_3)
	v_cvt_pk_f32_fp8_e32 v[11:12], v11
	v_add_nc_u32_e32 v135, -3, v65
	v_cvt_pk_f32_fp8_e32 v[13:14], v0
	s_delay_alu instid0(VALU_DEP_3)
	v_mul_f32_e32 v0, s6, v11
	scratch_store_b32 off, v0, off offset:12 ; 4-byte Folded Spill
	v_mul_f32_e32 v0, s7, v12
	scratch_store_b32 off, v0, off offset:8 ; 4-byte Folded Spill
	;; [unrolled: 2-line block ×3, first 2 shown]
	v_mul_f32_e32 v0, s7, v14
	s_clause 0x1
	scratch_store_b32 off, v191, off offset:800
	scratch_store_b32 off, v0, off
	s_and_saveexec_b32 s11, vcc_lo
	s_cbranch_execz .LBB241_31
; %bb.30:                               ;   in Loop: Header=BB241_29 Depth=1
	scratch_load_b32 v0, off, off offset:12 ; 4-byte Folded Reload
	v_cmp_gt_i32_e64 s0, s27, v135
	s_wait_loadcnt 0x0
	s_wait_alu 0xf1ff
	s_delay_alu instid0(VALU_DEP_1)
	v_cndmask_b32_e64 v0, 0, v0, s0
	v_cmp_gt_i32_e64 s0, s27, v136
	scratch_store_b32 off, v0, off offset:12 ; 4-byte Folded Spill
	scratch_load_b32 v0, off, off offset:8  ; 4-byte Folded Reload
	s_wait_loadcnt 0x0
	s_wait_alu 0xf1ff
	v_cndmask_b32_e64 v0, 0, v0, s0
	v_cmp_gt_i32_e64 s0, s27, v137
	scratch_store_b32 off, v0, off offset:8 ; 4-byte Folded Spill
	scratch_load_b32 v0, off, off offset:4  ; 4-byte Folded Reload
	s_wait_loadcnt 0x0
	s_wait_alu 0xf1ff
	v_cndmask_b32_e64 v0, 0, v0, s0
	v_cmp_gt_i32_e64 s0, s27, v65
	scratch_store_b32 off, v0, off offset:4 ; 4-byte Folded Spill
	scratch_load_b32 v0, off, off           ; 4-byte Folded Reload
	s_wait_loadcnt 0x0
	s_wait_alu 0xf1ff
	v_cndmask_b32_e64 v0, 0, v0, s0
	scratch_store_b32 off, v0, off          ; 4-byte Folded Spill
.LBB241_31:                             ;   in Loop: Header=BB241_29 Depth=1
	s_wait_alu 0xfffe
	s_or_b32 exec_lo, exec_lo, s11
	global_load_b32 v0, v[7:8], off offset:128
	s_wait_loadcnt 0x0
	v_and_b32_e32 v11, 0xffff, v0
	v_lshrrev_b32_e32 v0, 16, v0
	s_delay_alu instid0(VALU_DEP_2) | instskip(NEXT) | instid1(VALU_DEP_2)
	v_cvt_pk_f32_fp8_e32 v[11:12], v11
	v_cvt_pk_f32_fp8_e32 v[13:14], v0
	s_delay_alu instid0(VALU_DEP_2)
	v_mul_f32_e32 v0, s6, v11
	scratch_store_b32 off, v0, off offset:28 ; 4-byte Folded Spill
	v_mul_f32_e32 v0, s7, v12
	scratch_store_b32 off, v0, off offset:24 ; 4-byte Folded Spill
	v_mul_f32_e32 v0, s6, v13
	scratch_store_b32 off, v0, off offset:20 ; 4-byte Folded Spill
	v_mul_f32_e32 v0, s7, v14
	scratch_store_b32 off, v0, off offset:16 ; 4-byte Folded Spill
	s_and_saveexec_b32 s11, vcc_lo
	s_cbranch_execz .LBB241_33
; %bb.32:                               ;   in Loop: Header=BB241_29 Depth=1
	scratch_load_b32 v0, off, off offset:28 ; 4-byte Folded Reload
	v_cmp_gt_i32_e64 s0, s27, v135
	s_wait_loadcnt 0x0
	s_wait_alu 0xf1ff
	s_delay_alu instid0(VALU_DEP_1)
	v_cndmask_b32_e64 v0, 0, v0, s0
	v_cmp_gt_i32_e64 s0, s27, v136
	scratch_store_b32 off, v0, off offset:28 ; 4-byte Folded Spill
	scratch_load_b32 v0, off, off offset:24 ; 4-byte Folded Reload
	s_wait_loadcnt 0x0
	s_wait_alu 0xf1ff
	v_cndmask_b32_e64 v0, 0, v0, s0
	v_cmp_gt_i32_e64 s0, s27, v137
	scratch_store_b32 off, v0, off offset:24 ; 4-byte Folded Spill
	scratch_load_b32 v0, off, off offset:20 ; 4-byte Folded Reload
	s_wait_loadcnt 0x0
	s_wait_alu 0xf1ff
	v_cndmask_b32_e64 v0, 0, v0, s0
	v_cmp_gt_i32_e64 s0, s27, v65
	scratch_store_b32 off, v0, off offset:20 ; 4-byte Folded Spill
	scratch_load_b32 v0, off, off offset:16 ; 4-byte Folded Reload
	s_wait_loadcnt 0x0
	s_wait_alu 0xf1ff
	v_cndmask_b32_e64 v0, 0, v0, s0
	scratch_store_b32 off, v0, off offset:16 ; 4-byte Folded Spill
.LBB241_33:                             ;   in Loop: Header=BB241_29 Depth=1
	s_wait_alu 0xfffe
	s_or_b32 exec_lo, exec_lo, s11
	global_load_b32 v0, v[7:8], off offset:256
	s_wait_loadcnt 0x0
	v_and_b32_e32 v11, 0xffff, v0
	v_lshrrev_b32_e32 v0, 16, v0
	s_delay_alu instid0(VALU_DEP_2) | instskip(NEXT) | instid1(VALU_DEP_2)
	v_cvt_pk_f32_fp8_e32 v[11:12], v11
	v_cvt_pk_f32_fp8_e32 v[13:14], v0
	s_delay_alu instid0(VALU_DEP_2)
	v_mul_f32_e32 v0, s6, v11
	scratch_store_b32 off, v0, off offset:44 ; 4-byte Folded Spill
	v_mul_f32_e32 v0, s7, v12
	scratch_store_b32 off, v0, off offset:40 ; 4-byte Folded Spill
	v_mul_f32_e32 v0, s6, v13
	scratch_store_b32 off, v0, off offset:36 ; 4-byte Folded Spill
	v_mul_f32_e32 v0, s7, v14
	scratch_store_b32 off, v0, off offset:32 ; 4-byte Folded Spill
	s_and_saveexec_b32 s11, vcc_lo
	s_cbranch_execz .LBB241_35
; %bb.34:                               ;   in Loop: Header=BB241_29 Depth=1
	scratch_load_b32 v0, off, off offset:44 ; 4-byte Folded Reload
	v_cmp_gt_i32_e64 s0, s27, v135
	s_wait_loadcnt 0x0
	s_wait_alu 0xf1ff
	s_delay_alu instid0(VALU_DEP_1)
	v_cndmask_b32_e64 v0, 0, v0, s0
	v_cmp_gt_i32_e64 s0, s27, v136
	scratch_store_b32 off, v0, off offset:44 ; 4-byte Folded Spill
	scratch_load_b32 v0, off, off offset:40 ; 4-byte Folded Reload
	s_wait_loadcnt 0x0
	s_wait_alu 0xf1ff
	v_cndmask_b32_e64 v0, 0, v0, s0
	v_cmp_gt_i32_e64 s0, s27, v137
	scratch_store_b32 off, v0, off offset:40 ; 4-byte Folded Spill
	scratch_load_b32 v0, off, off offset:36 ; 4-byte Folded Reload
	s_wait_loadcnt 0x0
	s_wait_alu 0xf1ff
	v_cndmask_b32_e64 v0, 0, v0, s0
	v_cmp_gt_i32_e64 s0, s27, v65
	scratch_store_b32 off, v0, off offset:36 ; 4-byte Folded Spill
	scratch_load_b32 v0, off, off offset:32 ; 4-byte Folded Reload
	s_wait_loadcnt 0x0
	s_wait_alu 0xf1ff
	v_cndmask_b32_e64 v0, 0, v0, s0
	scratch_store_b32 off, v0, off offset:32 ; 4-byte Folded Spill
.LBB241_35:                             ;   in Loop: Header=BB241_29 Depth=1
	;; [unrolled: 47-line block ×14, first 2 shown]
	s_wait_alu 0xfffe
	s_or_b32 exec_lo, exec_lo, s11
	global_load_b32 v0, v[7:8], off offset:1920
	s_wait_loadcnt 0x0
	v_and_b32_e32 v11, 0xffff, v0
	v_lshrrev_b32_e32 v0, 16, v0
	s_delay_alu instid0(VALU_DEP_1) | instskip(NEXT) | instid1(VALU_DEP_1)
	v_cvt_pk_f32_fp8_e32 v[13:14], v0
	v_mul_f32_e32 v128, s6, v13
	s_delay_alu instid0(VALU_DEP_4) | instskip(NEXT) | instid1(VALU_DEP_3)
	v_cvt_pk_f32_fp8_e32 v[11:12], v11
	v_mul_f32_e32 v0, s7, v14
	s_delay_alu instid0(VALU_DEP_2)
	v_dual_mul_f32 v130, s6, v11 :: v_dual_mul_f32 v129, s7, v12
	scratch_store_b32 off, v0, off offset:784 ; 4-byte Folded Spill
	s_and_saveexec_b32 s11, vcc_lo
	s_cbranch_execz .LBB241_61
; %bb.60:                               ;   in Loop: Header=BB241_29 Depth=1
	scratch_load_b32 v0, off, off offset:784 ; 4-byte Folded Reload
	v_cmp_gt_i32_e64 s0, s27, v135
	s_wait_alu 0xf1ff
	s_delay_alu instid0(VALU_DEP_1) | instskip(SKIP_2) | instid1(VALU_DEP_1)
	v_cndmask_b32_e64 v130, 0, v130, s0
	v_cmp_gt_i32_e64 s0, s27, v136
	s_wait_alu 0xf1ff
	v_cndmask_b32_e64 v129, 0, v129, s0
	v_cmp_gt_i32_e64 s0, s27, v137
	s_wait_alu 0xf1ff
	s_delay_alu instid0(VALU_DEP_1) | instskip(SKIP_3) | instid1(VALU_DEP_1)
	v_cndmask_b32_e64 v128, 0, v128, s0
	v_cmp_gt_i32_e64 s0, s27, v65
	s_wait_loadcnt 0x0
	s_wait_alu 0xf1ff
	v_cndmask_b32_e64 v0, 0, v0, s0
	scratch_store_b32 off, v0, off offset:784 ; 4-byte Folded Spill
.LBB241_61:                             ;   in Loop: Header=BB241_29 Depth=1
	s_wait_alu 0xfffe
	s_or_b32 exec_lo, exec_lo, s11
	global_load_b32 v0, v[7:8], off offset:2048
	s_wait_loadcnt 0x0
	v_and_b32_e32 v11, 0xffff, v0
	v_lshrrev_b32_e32 v0, 16, v0
	s_delay_alu instid0(VALU_DEP_1) | instskip(NEXT) | instid1(VALU_DEP_1)
	v_cvt_pk_f32_fp8_e32 v[13:14], v0
	v_mul_f32_e32 v132, s6, v13
	s_delay_alu instid0(VALU_DEP_4) | instskip(NEXT) | instid1(VALU_DEP_1)
	v_cvt_pk_f32_fp8_e32 v[11:12], v11
	v_dual_mul_f32 v131, s7, v14 :: v_dual_mul_f32 v134, s6, v11
	s_delay_alu instid0(VALU_DEP_2)
	v_mul_f32_e32 v133, s7, v12
	s_and_saveexec_b32 s11, vcc_lo
	s_cbranch_execz .LBB241_63
; %bb.62:                               ;   in Loop: Header=BB241_29 Depth=1
	v_cmp_gt_i32_e64 s0, s27, v135
	s_wait_alu 0xf1ff
	s_delay_alu instid0(VALU_DEP_1) | instskip(SKIP_2) | instid1(VALU_DEP_1)
	v_cndmask_b32_e64 v134, 0, v134, s0
	v_cmp_gt_i32_e64 s0, s27, v136
	s_wait_alu 0xf1ff
	v_cndmask_b32_e64 v133, 0, v133, s0
	v_cmp_gt_i32_e64 s0, s27, v137
	s_wait_alu 0xf1ff
	s_delay_alu instid0(VALU_DEP_1) | instskip(SKIP_2) | instid1(VALU_DEP_1)
	v_cndmask_b32_e64 v132, 0, v132, s0
	v_cmp_gt_i32_e64 s0, s27, v65
	s_wait_alu 0xf1ff
	v_cndmask_b32_e64 v131, 0, v131, s0
.LBB241_63:                             ;   in Loop: Header=BB241_29 Depth=1
	s_wait_alu 0xfffe
	s_or_b32 exec_lo, exec_lo, s11
	global_load_b32 v0, v[7:8], off offset:2176
	s_wait_loadcnt 0x0
	v_and_b32_e32 v11, 0xffff, v0
	v_lshrrev_b32_e32 v0, 16, v0
	s_delay_alu instid0(VALU_DEP_1) | instskip(NEXT) | instid1(VALU_DEP_1)
	v_cvt_pk_f32_fp8_e32 v[13:14], v0
	v_mul_f32_e32 v138, s7, v14
	s_delay_alu instid0(VALU_DEP_4) | instskip(NEXT) | instid1(VALU_DEP_3)
	v_cvt_pk_f32_fp8_e32 v[11:12], v11
	v_mul_f32_e32 v139, s6, v13
	s_delay_alu instid0(VALU_DEP_2)
	v_dual_mul_f32 v141, s6, v11 :: v_dual_mul_f32 v140, s7, v12
	s_and_saveexec_b32 s11, vcc_lo
	s_cbranch_execz .LBB241_65
; %bb.64:                               ;   in Loop: Header=BB241_29 Depth=1
	v_cmp_gt_i32_e64 s0, s27, v135
	s_wait_alu 0xf1ff
	s_delay_alu instid0(VALU_DEP_1) | instskip(SKIP_2) | instid1(VALU_DEP_1)
	v_cndmask_b32_e64 v141, 0, v141, s0
	v_cmp_gt_i32_e64 s0, s27, v136
	s_wait_alu 0xf1ff
	v_cndmask_b32_e64 v140, 0, v140, s0
	v_cmp_gt_i32_e64 s0, s27, v137
	s_wait_alu 0xf1ff
	s_delay_alu instid0(VALU_DEP_1) | instskip(SKIP_2) | instid1(VALU_DEP_1)
	v_cndmask_b32_e64 v139, 0, v139, s0
	v_cmp_gt_i32_e64 s0, s27, v65
	s_wait_alu 0xf1ff
	v_cndmask_b32_e64 v138, 0, v138, s0
.LBB241_65:                             ;   in Loop: Header=BB241_29 Depth=1
	s_wait_alu 0xfffe
	s_or_b32 exec_lo, exec_lo, s11
	global_load_b32 v0, v[7:8], off offset:2304
	s_wait_loadcnt 0x0
	v_and_b32_e32 v11, 0xffff, v0
	v_lshrrev_b32_e32 v0, 16, v0
	s_delay_alu instid0(VALU_DEP_1) | instskip(NEXT) | instid1(VALU_DEP_1)
	v_cvt_pk_f32_fp8_e32 v[13:14], v0
	v_mul_f32_e32 v142, s7, v14
	s_delay_alu instid0(VALU_DEP_4) | instskip(NEXT) | instid1(VALU_DEP_3)
	v_cvt_pk_f32_fp8_e32 v[11:12], v11
	v_mul_f32_e32 v143, s6, v13
	s_delay_alu instid0(VALU_DEP_2)
	v_dual_mul_f32 v145, s6, v11 :: v_dual_mul_f32 v144, s7, v12
	;; [unrolled: 32-line block ×12, first 2 shown]
	s_and_saveexec_b32 s11, vcc_lo
	s_cbranch_execz .LBB241_87
; %bb.86:                               ;   in Loop: Header=BB241_29 Depth=1
	v_cmp_gt_i32_e64 s0, s27, v135
	s_wait_alu 0xf1ff
	s_delay_alu instid0(VALU_DEP_1) | instskip(SKIP_2) | instid1(VALU_DEP_1)
	v_cndmask_b32_e64 v185, 0, v185, s0
	v_cmp_gt_i32_e64 s0, s27, v136
	s_wait_alu 0xf1ff
	v_cndmask_b32_e64 v184, 0, v184, s0
	v_cmp_gt_i32_e64 s0, s27, v137
	s_wait_alu 0xf1ff
	s_delay_alu instid0(VALU_DEP_1) | instskip(SKIP_2) | instid1(VALU_DEP_1)
	v_cndmask_b32_e64 v183, 0, v183, s0
	v_cmp_gt_i32_e64 s0, s27, v65
	s_wait_alu 0xf1ff
	v_cndmask_b32_e64 v182, 0, v182, s0
.LBB241_87:                             ;   in Loop: Header=BB241_29 Depth=1
	s_wait_alu 0xfffe
	s_or_b32 exec_lo, exec_lo, s11
	global_load_b32 v0, v[7:8], off offset:3712
	s_wait_loadcnt 0x0
	v_and_b32_e32 v11, 0xffff, v0
	v_lshrrev_b32_e32 v0, 16, v0
	s_delay_alu instid0(VALU_DEP_2) | instskip(NEXT) | instid1(VALU_DEP_1)
	v_cvt_pk_f32_fp8_e32 v[11:12], v11
	v_dual_mul_f32 v188, s6, v11 :: v_dual_mul_f32 v187, s7, v12
	s_delay_alu instid0(VALU_DEP_3) | instskip(NEXT) | instid1(VALU_DEP_1)
	v_cvt_pk_f32_fp8_e32 v[11:12], v0
	v_dual_mul_f32 v189, s6, v11 :: v_dual_mul_f32 v186, s7, v12
	s_and_saveexec_b32 s11, vcc_lo
	s_cbranch_execz .LBB241_89
; %bb.88:                               ;   in Loop: Header=BB241_29 Depth=1
	v_cmp_gt_i32_e64 s0, s27, v135
	s_wait_alu 0xf1ff
	s_delay_alu instid0(VALU_DEP_1) | instskip(SKIP_2) | instid1(VALU_DEP_1)
	v_cndmask_b32_e64 v188, 0, v188, s0
	v_cmp_gt_i32_e64 s0, s27, v136
	s_wait_alu 0xf1ff
	v_cndmask_b32_e64 v187, 0, v187, s0
	v_cmp_gt_i32_e64 s0, s27, v137
	s_wait_alu 0xf1ff
	s_delay_alu instid0(VALU_DEP_1) | instskip(SKIP_2) | instid1(VALU_DEP_1)
	v_cndmask_b32_e64 v189, 0, v189, s0
	v_cmp_gt_i32_e64 s0, s27, v65
	s_wait_alu 0xf1ff
	v_cndmask_b32_e64 v186, 0, v186, s0
.LBB241_89:                             ;   in Loop: Header=BB241_29 Depth=1
	s_wait_alu 0xfffe
	s_or_b32 exec_lo, exec_lo, s11
	global_load_b32 v0, v[7:8], off offset:3840
	s_wait_loadcnt 0x0
	v_and_b32_e32 v11, 0xffff, v0
	v_lshrrev_b32_e32 v0, 16, v0
	s_delay_alu instid0(VALU_DEP_2) | instskip(NEXT) | instid1(VALU_DEP_1)
	v_cvt_pk_f32_fp8_e32 v[11:12], v11
	v_mul_f32_e32 v14, s6, v11
	s_delay_alu instid0(VALU_DEP_2) | instskip(NEXT) | instid1(VALU_DEP_4)
	v_mul_f32_e32 v190, s7, v12
	v_cvt_pk_f32_fp8_e32 v[11:12], v0
	s_delay_alu instid0(VALU_DEP_1) | instskip(NEXT) | instid1(VALU_DEP_2)
	v_mul_f32_e32 v63, s6, v11
	v_mul_f32_e32 v191, s7, v12
	s_and_saveexec_b32 s11, vcc_lo
	s_cbranch_execz .LBB241_91
; %bb.90:                               ;   in Loop: Header=BB241_29 Depth=1
	v_cmp_gt_i32_e64 s0, s27, v135
	s_wait_alu 0xf1ff
	s_delay_alu instid0(VALU_DEP_1) | instskip(SKIP_2) | instid1(VALU_DEP_1)
	v_cndmask_b32_e64 v14, 0, v14, s0
	v_cmp_gt_i32_e64 s0, s27, v136
	s_wait_alu 0xf1ff
	v_cndmask_b32_e64 v190, 0, v190, s0
	v_cmp_gt_i32_e64 s0, s27, v137
	s_wait_alu 0xf1ff
	s_delay_alu instid0(VALU_DEP_1) | instskip(SKIP_2) | instid1(VALU_DEP_1)
	v_cndmask_b32_e64 v63, 0, v63, s0
	v_cmp_gt_i32_e64 s0, s27, v65
	s_wait_alu 0xf1ff
	v_cndmask_b32_e64 v191, 0, v191, s0
.LBB241_91:                             ;   in Loop: Header=BB241_29 Depth=1
	s_wait_alu 0xfffe
	s_or_b32 exec_lo, exec_lo, s11
	scratch_load_b32 v0, off, off offset:820 ; 4-byte Folded Reload
	s_wait_loadcnt 0x0
	v_add_co_u32 v9, s0, v9, v0
	s_wait_alu 0xf1ff
	v_add_co_ci_u32_e64 v10, null, 0, v10, s0
	global_load_b32 v0, v[9:10], off
	s_wait_loadcnt 0x0
	v_and_b32_e32 v9, 0xffff, v0
	v_lshrrev_b32_e32 v0, 16, v0
	s_delay_alu instid0(VALU_DEP_2) | instskip(NEXT) | instid1(VALU_DEP_2)
	v_cvt_pk_f32_fp8_e32 v[9:10], v9
	v_cvt_pk_f32_fp8_e32 v[11:12], v0
	s_delay_alu instid0(VALU_DEP_1) | instskip(NEXT) | instid1(VALU_DEP_3)
	v_dual_mul_f32 v64, s6, v9 :: v_dual_mul_f32 v9, s6, v11
	v_mul_f32_e32 v10, s7, v10
	s_delay_alu instid0(VALU_DEP_3)
	v_mul_f32_e32 v0, s7, v12
	s_and_saveexec_b32 s11, vcc_lo
	s_cbranch_execz .LBB241_93
; %bb.92:                               ;   in Loop: Header=BB241_29 Depth=1
	v_cmp_gt_i32_e64 s0, s27, v135
	s_wait_alu 0xf1ff
	s_delay_alu instid0(VALU_DEP_1) | instskip(SKIP_2) | instid1(VALU_DEP_1)
	v_cndmask_b32_e64 v64, 0, v64, s0
	v_cmp_gt_i32_e64 s0, s27, v136
	s_wait_alu 0xf1ff
	v_cndmask_b32_e64 v10, 0, v10, s0
	v_cmp_gt_i32_e64 s0, s27, v137
	s_wait_alu 0xf1ff
	s_delay_alu instid0(VALU_DEP_1) | instskip(SKIP_2) | instid1(VALU_DEP_1)
	v_cndmask_b32_e64 v9, 0, v9, s0
	v_cmp_gt_i32_e64 s0, s27, v65
	s_wait_alu 0xf1ff
	v_cndmask_b32_e64 v0, 0, v0, s0
.LBB241_93:                             ;   in Loop: Header=BB241_29 Depth=1
	s_wait_alu 0xfffe
	s_or_b32 exec_lo, exec_lo, s11
	global_load_b32 v67, v[7:8], off offset:4096
	s_wait_loadcnt 0x0
	v_and_b32_e32 v11, 0xffff, v67
	s_delay_alu instid0(VALU_DEP_1) | instskip(NEXT) | instid1(VALU_DEP_1)
	v_cvt_pk_f32_fp8_e32 v[11:12], v11
	v_mul_f32_e32 v13, s7, v12
	v_lshrrev_b32_e32 v12, 16, v67
	s_delay_alu instid0(VALU_DEP_3) | instskip(NEXT) | instid1(VALU_DEP_2)
	v_mul_f32_e32 v11, s6, v11
	v_cvt_pk_f32_fp8_e32 v[67:68], v12
	s_delay_alu instid0(VALU_DEP_1)
	v_dual_mul_f32 v67, s6, v67 :: v_dual_mul_f32 v12, s7, v68
	s_and_saveexec_b32 s11, vcc_lo
	s_cbranch_execz .LBB241_95
; %bb.94:                               ;   in Loop: Header=BB241_29 Depth=1
	v_cmp_gt_i32_e64 s0, s27, v135
	s_wait_alu 0xf1ff
	s_delay_alu instid0(VALU_DEP_1) | instskip(SKIP_2) | instid1(VALU_DEP_1)
	v_cndmask_b32_e64 v11, 0, v11, s0
	v_cmp_gt_i32_e64 s0, s27, v136
	s_wait_alu 0xf1ff
	v_cndmask_b32_e64 v13, 0, v13, s0
	v_cmp_gt_i32_e64 s0, s27, v137
	s_wait_alu 0xf1ff
	s_delay_alu instid0(VALU_DEP_1) | instskip(SKIP_2) | instid1(VALU_DEP_1)
	v_cndmask_b32_e64 v67, 0, v67, s0
	v_cmp_gt_i32_e64 s0, s27, v65
	s_wait_alu 0xf1ff
	v_cndmask_b32_e64 v12, 0, v12, s0
.LBB241_95:                             ;   in Loop: Header=BB241_29 Depth=1
	s_wait_alu 0xfffe
	s_or_b32 exec_lo, exec_lo, s11
	global_load_b32 v71, v[7:8], off offset:4224
	s_wait_loadcnt 0x0
	v_and_b32_e32 v68, 0xffff, v71
	s_delay_alu instid0(VALU_DEP_1) | instskip(NEXT) | instid1(VALU_DEP_1)
	v_cvt_pk_f32_fp8_e32 v[69:70], v68
	v_mul_f32_e32 v68, s7, v70
	v_lshrrev_b32_e32 v70, 16, v71
	s_delay_alu instid0(VALU_DEP_3) | instskip(NEXT) | instid1(VALU_DEP_2)
	v_mul_f32_e32 v69, s6, v69
	v_cvt_pk_f32_fp8_e32 v[71:72], v70
	s_delay_alu instid0(VALU_DEP_1)
	v_dual_mul_f32 v71, s6, v71 :: v_dual_mul_f32 v70, s7, v72
	;; [unrolled: 32-line block ×3, first 2 shown]
	s_and_saveexec_b32 s11, vcc_lo
	s_cbranch_execz .LBB241_99
; %bb.98:                               ;   in Loop: Header=BB241_29 Depth=1
	v_cmp_gt_i32_e64 s0, s27, v135
	s_wait_alu 0xf1ff
	s_delay_alu instid0(VALU_DEP_1) | instskip(SKIP_2) | instid1(VALU_DEP_1)
	v_cndmask_b32_e64 v76, 0, v76, s0
	v_cmp_gt_i32_e64 s0, s27, v136
	s_wait_alu 0xf1ff
	v_cndmask_b32_e64 v75, 0, v75, s0
	v_cmp_gt_i32_e64 s0, s27, v137
	s_wait_alu 0xf1ff
	s_delay_alu instid0(VALU_DEP_1) | instskip(SKIP_2) | instid1(VALU_DEP_1)
	v_cndmask_b32_e64 v77, 0, v77, s0
	v_cmp_gt_i32_e64 s0, s27, v65
	s_wait_alu 0xf1ff
	v_cndmask_b32_e64 v74, 0, v74, s0
.LBB241_99:                             ;   in Loop: Header=BB241_29 Depth=1
	s_wait_alu 0xfffe
	s_or_b32 exec_lo, exec_lo, s11
	global_load_b32 v80, v[7:8], off offset:4480
	s_wait_loadcnt 0x0
	v_and_b32_e32 v72, 0xffff, v80
	s_delay_alu instid0(VALU_DEP_1) | instskip(NEXT) | instid1(VALU_DEP_1)
	v_cvt_pk_f32_fp8_e32 v[72:73], v72
	v_dual_mul_f32 v79, s6, v72 :: v_dual_mul_f32 v78, s7, v73
	v_lshrrev_b32_e32 v72, 16, v80
	s_delay_alu instid0(VALU_DEP_1) | instskip(NEXT) | instid1(VALU_DEP_1)
	v_cvt_pk_f32_fp8_e32 v[72:73], v72
	v_dual_mul_f32 v81, s6, v72 :: v_dual_mul_f32 v80, s7, v73
	s_and_saveexec_b32 s11, vcc_lo
	s_cbranch_execz .LBB241_101
; %bb.100:                              ;   in Loop: Header=BB241_29 Depth=1
	v_cmp_gt_i32_e64 s0, s27, v135
	s_wait_alu 0xf1ff
	s_delay_alu instid0(VALU_DEP_1) | instskip(SKIP_2) | instid1(VALU_DEP_1)
	v_cndmask_b32_e64 v79, 0, v79, s0
	v_cmp_gt_i32_e64 s0, s27, v136
	s_wait_alu 0xf1ff
	v_cndmask_b32_e64 v78, 0, v78, s0
	v_cmp_gt_i32_e64 s0, s27, v137
	s_wait_alu 0xf1ff
	s_delay_alu instid0(VALU_DEP_1) | instskip(SKIP_2) | instid1(VALU_DEP_1)
	v_cndmask_b32_e64 v81, 0, v81, s0
	v_cmp_gt_i32_e64 s0, s27, v65
	s_wait_alu 0xf1ff
	v_cndmask_b32_e64 v80, 0, v80, s0
.LBB241_101:                            ;   in Loop: Header=BB241_29 Depth=1
	s_wait_alu 0xfffe
	s_or_b32 exec_lo, exec_lo, s11
	global_load_b32 v84, v[7:8], off offset:4608
	s_wait_loadcnt 0x0
	v_and_b32_e32 v72, 0xffff, v84
	s_delay_alu instid0(VALU_DEP_1) | instskip(NEXT) | instid1(VALU_DEP_1)
	v_cvt_pk_f32_fp8_e32 v[72:73], v72
	v_dual_mul_f32 v83, s6, v72 :: v_dual_mul_f32 v82, s7, v73
	v_lshrrev_b32_e32 v72, 16, v84
	s_delay_alu instid0(VALU_DEP_1) | instskip(NEXT) | instid1(VALU_DEP_1)
	v_cvt_pk_f32_fp8_e32 v[72:73], v72
	v_dual_mul_f32 v85, s6, v72 :: v_dual_mul_f32 v84, s7, v73
	s_and_saveexec_b32 s11, vcc_lo
	s_cbranch_execz .LBB241_103
; %bb.102:                              ;   in Loop: Header=BB241_29 Depth=1
	v_cmp_gt_i32_e64 s0, s27, v135
	s_wait_alu 0xf1ff
	s_delay_alu instid0(VALU_DEP_1) | instskip(SKIP_2) | instid1(VALU_DEP_1)
	v_cndmask_b32_e64 v83, 0, v83, s0
	v_cmp_gt_i32_e64 s0, s27, v136
	s_wait_alu 0xf1ff
	v_cndmask_b32_e64 v82, 0, v82, s0
	v_cmp_gt_i32_e64 s0, s27, v137
	s_wait_alu 0xf1ff
	s_delay_alu instid0(VALU_DEP_1) | instskip(SKIP_2) | instid1(VALU_DEP_1)
	v_cndmask_b32_e64 v85, 0, v85, s0
	v_cmp_gt_i32_e64 s0, s27, v65
	s_wait_alu 0xf1ff
	v_cndmask_b32_e64 v84, 0, v84, s0
.LBB241_103:                            ;   in Loop: Header=BB241_29 Depth=1
	;; [unrolled: 30-line block ×4, first 2 shown]
	s_wait_alu 0xfffe
	s_or_b32 exec_lo, exec_lo, s11
	global_load_b32 v94, v[7:8], off offset:4992
	s_wait_loadcnt 0x0
	v_and_b32_e32 v72, 0xffff, v94
	s_delay_alu instid0(VALU_DEP_1) | instskip(NEXT) | instid1(VALU_DEP_1)
	v_cvt_pk_f32_fp8_e32 v[72:73], v72
	v_mul_f32_e32 v96, s6, v72
	v_lshrrev_b32_e32 v72, 16, v94
	s_delay_alu instid0(VALU_DEP_3) | instskip(NEXT) | instid1(VALU_DEP_2)
	v_mul_f32_e32 v95, s7, v73
	v_cvt_pk_f32_fp8_e32 v[72:73], v72
	s_delay_alu instid0(VALU_DEP_1)
	v_dual_mul_f32 v97, s6, v72 :: v_dual_mul_f32 v94, s7, v73
	s_and_saveexec_b32 s11, vcc_lo
	s_cbranch_execz .LBB241_109
; %bb.108:                              ;   in Loop: Header=BB241_29 Depth=1
	v_cmp_gt_i32_e64 s0, s27, v135
	s_wait_alu 0xf1ff
	s_delay_alu instid0(VALU_DEP_1) | instskip(SKIP_2) | instid1(VALU_DEP_1)
	v_cndmask_b32_e64 v96, 0, v96, s0
	v_cmp_gt_i32_e64 s0, s27, v136
	s_wait_alu 0xf1ff
	v_cndmask_b32_e64 v95, 0, v95, s0
	v_cmp_gt_i32_e64 s0, s27, v137
	s_wait_alu 0xf1ff
	s_delay_alu instid0(VALU_DEP_1) | instskip(SKIP_2) | instid1(VALU_DEP_1)
	v_cndmask_b32_e64 v97, 0, v97, s0
	v_cmp_gt_i32_e64 s0, s27, v65
	s_wait_alu 0xf1ff
	v_cndmask_b32_e64 v94, 0, v94, s0
.LBB241_109:                            ;   in Loop: Header=BB241_29 Depth=1
	s_wait_alu 0xfffe
	s_or_b32 exec_lo, exec_lo, s11
	global_load_b32 v100, v[7:8], off offset:5120
	s_wait_loadcnt 0x0
	v_and_b32_e32 v72, 0xffff, v100
	s_delay_alu instid0(VALU_DEP_1) | instskip(NEXT) | instid1(VALU_DEP_1)
	v_cvt_pk_f32_fp8_e32 v[72:73], v72
	v_dual_mul_f32 v99, s6, v72 :: v_dual_mul_f32 v98, s7, v73
	v_lshrrev_b32_e32 v72, 16, v100
	s_delay_alu instid0(VALU_DEP_1) | instskip(NEXT) | instid1(VALU_DEP_1)
	v_cvt_pk_f32_fp8_e32 v[72:73], v72
	v_dual_mul_f32 v101, s6, v72 :: v_dual_mul_f32 v100, s7, v73
	s_and_saveexec_b32 s11, vcc_lo
	s_cbranch_execz .LBB241_111
; %bb.110:                              ;   in Loop: Header=BB241_29 Depth=1
	v_cmp_gt_i32_e64 s0, s27, v135
	s_wait_alu 0xf1ff
	s_delay_alu instid0(VALU_DEP_1) | instskip(SKIP_2) | instid1(VALU_DEP_1)
	v_cndmask_b32_e64 v99, 0, v99, s0
	v_cmp_gt_i32_e64 s0, s27, v136
	s_wait_alu 0xf1ff
	v_cndmask_b32_e64 v98, 0, v98, s0
	v_cmp_gt_i32_e64 s0, s27, v137
	s_wait_alu 0xf1ff
	s_delay_alu instid0(VALU_DEP_1) | instskip(SKIP_2) | instid1(VALU_DEP_1)
	v_cndmask_b32_e64 v101, 0, v101, s0
	v_cmp_gt_i32_e64 s0, s27, v65
	s_wait_alu 0xf1ff
	v_cndmask_b32_e64 v100, 0, v100, s0
.LBB241_111:                            ;   in Loop: Header=BB241_29 Depth=1
	s_wait_alu 0xfffe
	s_or_b32 exec_lo, exec_lo, s11
	global_load_b32 v104, v[7:8], off offset:5248
	s_wait_loadcnt 0x0
	v_and_b32_e32 v72, 0xffff, v104
	s_delay_alu instid0(VALU_DEP_1) | instskip(NEXT) | instid1(VALU_DEP_1)
	v_cvt_pk_f32_fp8_e32 v[72:73], v72
	v_dual_mul_f32 v103, s6, v72 :: v_dual_mul_f32 v102, s7, v73
	v_lshrrev_b32_e32 v72, 16, v104
	s_delay_alu instid0(VALU_DEP_1) | instskip(NEXT) | instid1(VALU_DEP_1)
	v_cvt_pk_f32_fp8_e32 v[72:73], v72
	;; [unrolled: 30-line block ×7, first 2 shown]
	v_dual_mul_f32 v125, s6, v72 :: v_dual_mul_f32 v124, s7, v73
	s_and_saveexec_b32 s11, vcc_lo
	s_cbranch_execz .LBB241_123
; %bb.122:                              ;   in Loop: Header=BB241_29 Depth=1
	v_cmp_gt_i32_e64 s0, s27, v135
	s_wait_alu 0xf1ff
	s_delay_alu instid0(VALU_DEP_1) | instskip(SKIP_2) | instid1(VALU_DEP_1)
	v_cndmask_b32_e64 v123, 0, v123, s0
	v_cmp_gt_i32_e64 s0, s27, v136
	s_wait_alu 0xf1ff
	v_cndmask_b32_e64 v122, 0, v122, s0
	v_cmp_gt_i32_e64 s0, s27, v137
	s_wait_alu 0xf1ff
	s_delay_alu instid0(VALU_DEP_1) | instskip(SKIP_2) | instid1(VALU_DEP_1)
	v_cndmask_b32_e64 v125, 0, v125, s0
	v_cmp_gt_i32_e64 s0, s27, v65
	s_wait_alu 0xf1ff
	v_cndmask_b32_e64 v124, 0, v124, s0
.LBB241_123:                            ;   in Loop: Header=BB241_29 Depth=1
	s_wait_alu 0xfffe
	s_or_b32 exec_lo, exec_lo, s11
	global_load_b32 v73, v[7:8], off offset:6016
	s_wait_loadcnt 0x0
	v_and_b32_e32 v7, 0xffff, v73
	s_delay_alu instid0(VALU_DEP_1) | instskip(NEXT) | instid1(VALU_DEP_1)
	v_cvt_pk_f32_fp8_e32 v[7:8], v7
	v_mul_f32_e32 v72, s6, v7
	v_lshrrev_b32_e32 v7, 16, v73
	s_delay_alu instid0(VALU_DEP_3) | instskip(NEXT) | instid1(VALU_DEP_2)
	v_mul_f32_e32 v8, s7, v8
	v_cvt_pk_f32_fp8_e32 v[126:127], v7
	s_delay_alu instid0(VALU_DEP_1) | instskip(NEXT) | instid1(VALU_DEP_2)
	v_mul_f32_e32 v73, s6, v126
	v_mul_f32_e32 v7, s7, v127
	s_and_saveexec_b32 s0, vcc_lo
	s_cbranch_execz .LBB241_28
; %bb.124:                              ;   in Loop: Header=BB241_29 Depth=1
	v_cmp_gt_i32_e32 vcc_lo, s27, v135
	s_wait_alu 0xfffd
	v_cndmask_b32_e32 v72, 0, v72, vcc_lo
	v_cmp_gt_i32_e32 vcc_lo, s27, v136
	s_wait_alu 0xfffd
	v_cndmask_b32_e32 v8, 0, v8, vcc_lo
	;; [unrolled: 3-line block ×4, first 2 shown]
	s_branch .LBB241_28
.LBB241_125:
	s_or_b32 exec_lo, exec_lo, s9
	s_clause 0x1
	scratch_load_b32 v65, off, off offset:856
	scratch_load_b32 v66, off, off offset:860
.LBB241_126:
	s_wait_alu 0xfffe
	s_or_b32 exec_lo, exec_lo, s1
	scratch_load_b32 v76, off, off offset:852 th:TH_LOAD_LU ; 4-byte Folded Reload
	s_wait_loadcnt 0x1
	ds_bpermute_b32 v0, v66, v60
	ds_bpermute_b32 v2, v66, v61
	;; [unrolled: 1-line block ×14, first 2 shown]
	v_mov_b32_e32 v68, v65
	ds_bpermute_b32 v14, v66, v48
	ds_bpermute_b32 v63, v66, v47
	;; [unrolled: 1-line block ×3, first 2 shown]
	s_mov_b32 s1, exec_lo
	s_wait_dscnt 0x10
	v_dual_mov_b32 v69, v66 :: v_dual_add_f32 v0, v60, v0
	s_wait_dscnt 0xe
	v_dual_add_f32 v2, v61, v2 :: v_dual_add_f32 v1, v62, v1
	s_wait_dscnt 0xc
	v_dual_add_f32 v3, v59, v3 :: v_dual_add_f32 v6, v56, v6
	s_wait_dscnt 0xb
	v_add_f32_e32 v9, v53, v9
	ds_bpermute_b32 v60, v65, v0
	ds_bpermute_b32 v62, v65, v2
	ds_bpermute_b32 v61, v65, v1
	ds_bpermute_b32 v65, v65, v3
	s_wait_dscnt 0xd
	v_dual_add_f32 v4, v58, v4 :: v_dual_add_f32 v5, v57, v5
	s_wait_dscnt 0xb
	v_dual_add_f32 v7, v55, v7 :: v_dual_add_f32 v8, v54, v8
	s_wait_dscnt 0xa
	v_add_f32_e32 v11, v51, v11
	ds_bpermute_b32 v54, v68, v9
	ds_bpermute_b32 v55, v68, v4
	s_wait_dscnt 0x9
	v_dual_add_f32 v10, v52, v10 :: v_dual_add_f32 v13, v49, v13
	v_add_f32_e32 v12, v50, v12
	ds_bpermute_b32 v50, v68, v5
	ds_bpermute_b32 v53, v68, v8
	;; [unrolled: 1-line block ×6, first 2 shown]
	s_wait_dscnt 0xa
	v_dual_add_f32 v0, v0, v60 :: v_dual_add_f32 v57, v2, v62
	s_wait_dscnt 0x9
	v_add_f32_e32 v56, v1, v61
	s_wait_dscnt 0x8
	v_add_f32_e32 v60, v3, v65
	ds_bpermute_b32 v61, v68, v10
	ds_bpermute_b32 v58, v66, v44
	v_add_f32_e32 v47, v47, v63
	ds_bpermute_b32 v63, v69, v28
	s_wait_dscnt 0x9
	v_dual_add_f32 v54, v9, v54 :: v_dual_add_f32 v55, v4, v55
	s_wait_dscnt 0x7
	v_dual_add_f32 v50, v5, v50 :: v_dual_add_f32 v53, v8, v53
	s_wait_dscnt 0x6
	v_add_f32_e32 v11, v11, v49
	s_wait_dscnt 0x5
	v_add_f32_e32 v59, v45, v59
	;; [unrolled: 2-line block ×3, first 2 shown]
	s_wait_loadcnt 0x0
	ds_bpermute_b32 v3, v76, v57
	ds_bpermute_b32 v1, v76, v0
	v_add_f32_e32 v14, v48, v14
	ds_bpermute_b32 v48, v68, v12
	ds_bpermute_b32 v66, v76, v54
	;; [unrolled: 1-line block ×5, first 2 shown]
	s_wait_dscnt 0xa
	v_add_f32_e32 v52, v7, v52
	ds_bpermute_b32 v65, v76, v55
	ds_bpermute_b32 v6, v76, v50
	;; [unrolled: 1-line block ×3, first 2 shown]
	s_wait_dscnt 0x9
	v_add_f32_e32 v3, v57, v3
	ds_bpermute_b32 v49, v68, v14
	s_wait_dscnt 0x9
	v_add_f32_e32 v1, v0, v1
	v_add_f32_e32 v0, v10, v61
	s_wait_dscnt 0x8
	v_add_f32_e32 v12, v12, v48
	ds_bpermute_b32 v61, v68, v59
	s_wait_dscnt 0x8
	v_add_f32_e32 v10, v54, v66
	ds_bpermute_b32 v54, v69, v41
	ds_bpermute_b32 v48, v76, v0
	s_wait_dscnt 0x9
	v_add_f32_e32 v4, v60, v62
	s_wait_dscnt 0x8
	v_dual_add_f32 v60, v46, v64 :: v_dual_add_f32 v9, v53, v9
	ds_bpermute_b32 v53, v69, v42
	s_wait_dscnt 0x7
	v_dual_add_f32 v2, v56, v2 :: v_dual_add_f32 v5, v55, v65
	ds_bpermute_b32 v56, v68, v13
	ds_bpermute_b32 v8, v76, v52
	;; [unrolled: 1-line block ×3, first 2 shown]
	s_wait_dscnt 0x9
	v_add_f32_e32 v6, v50, v6
	ds_bpermute_b32 v50, v68, v47
	s_wait_dscnt 0x8
	v_dual_add_f32 v7, v51, v7 :: v_dual_add_f32 v14, v14, v49
	ds_bpermute_b32 v49, v69, v43
	ds_bpermute_b32 v57, v76, v12
	;; [unrolled: 1-line block ×3, first 2 shown]
	v_add_f32_e32 v58, v44, v58
	s_wait_dscnt 0x8
	v_add_f32_e32 v44, v0, v48
	ds_bpermute_b32 v48, v69, v39
	s_wait_dscnt 0x7
	v_add_f32_e32 v13, v13, v56
	s_wait_dscnt 0x5
	v_dual_add_f32 v8, v52, v8 :: v_dual_add_f32 v45, v11, v55
	ds_bpermute_b32 v52, v68, v58
	s_wait_dscnt 0x5
	v_add_f32_e32 v47, v47, v50
	ds_bpermute_b32 v0, v76, v13
	v_add_f32_e32 v55, v59, v61
	s_wait_dscnt 0x5
	v_add_f32_e32 v43, v43, v49
	v_add_f32_e32 v49, v41, v54
	ds_bpermute_b32 v11, v76, v14
	s_wait_dscnt 0x5
	v_add_f32_e32 v46, v12, v57
	ds_bpermute_b32 v12, v69, v40
	ds_bpermute_b32 v54, v68, v43
	v_add_f32_e32 v42, v42, v53
	ds_bpermute_b32 v53, v69, v35
	s_wait_dscnt 0x7
	v_add_f32_e32 v50, v60, v51
	ds_bpermute_b32 v51, v69, v38
	ds_bpermute_b32 v56, v69, v37
	ds_bpermute_b32 v59, v69, v36
	ds_bpermute_b32 v57, v76, v47
	ds_bpermute_b32 v62, v68, v49
	s_wait_dscnt 0xa
	v_add_f32_e32 v52, v58, v52
	ds_bpermute_b32 v58, v76, v55
	s_wait_dscnt 0x8
	v_add_f32_e32 v12, v40, v12
	v_add_f32_e32 v40, v13, v0
	;; [unrolled: 1-line block ×3, first 2 shown]
	s_wait_dscnt 0x6
	v_add_f32_e32 v35, v35, v53
	ds_bpermute_b32 v60, v76, v50
	v_add_f32_e32 v39, v14, v11
	s_wait_dscnt 0x6
	v_add_f32_e32 v11, v38, v51
	v_add_f32_e32 v43, v43, v54
	ds_bpermute_b32 v53, v68, v35
	ds_bpermute_b32 v61, v68, v42
	;; [unrolled: 1-line block ×3, first 2 shown]
	s_wait_dscnt 0x7
	v_dual_add_f32 v14, v37, v56 :: v_dual_add_f32 v51, v36, v59
	ds_bpermute_b32 v56, v68, v11
	ds_bpermute_b32 v41, v76, v52
	s_wait_dscnt 0x7
	v_dual_add_f32 v36, v47, v57 :: v_dual_add_f32 v49, v49, v62
	ds_bpermute_b32 v48, v68, v0
	s_wait_dscnt 0x7
	v_add_f32_e32 v38, v55, v58
	ds_bpermute_b32 v55, v69, v32
	ds_bpermute_b32 v57, v76, v43
	;; [unrolled: 1-line block ×4, first 2 shown]
	s_wait_dscnt 0xa
	v_add_f32_e32 v37, v50, v60
	ds_bpermute_b32 v50, v68, v51
	s_wait_dscnt 0xa
	v_add_f32_e32 v53, v35, v53
	ds_bpermute_b32 v47, v68, v14
	s_wait_dscnt 0x8
	v_dual_add_f32 v42, v42, v61 :: v_dual_add_f32 v11, v11, v56
	s_wait_dscnt 0x7
	v_add_f32_e32 v41, v52, v41
	ds_bpermute_b32 v58, v76, v42
	v_add_f32_e32 v12, v12, v13
	ds_bpermute_b32 v13, v69, v31
	ds_bpermute_b32 v52, v69, v34
	s_wait_dscnt 0x9
	v_add_f32_e32 v0, v0, v48
	ds_bpermute_b32 v60, v76, v11
	s_wait_dscnt 0x9
	v_add_f32_e32 v55, v32, v55
	;; [unrolled: 3-line block ×3, first 2 shown]
	ds_bpermute_b32 v50, v69, v29
	ds_bpermute_b32 v67, v68, v55
	s_wait_dscnt 0x7
	v_add_f32_e32 v14, v14, v47
	ds_bpermute_b32 v47, v69, v30
	s_wait_dscnt 0x6
	v_add_f32_e32 v13, v31, v13
	ds_bpermute_b32 v56, v76, v0
	v_add_f32_e32 v31, v42, v58
	ds_bpermute_b32 v51, v76, v12
	s_wait_dscnt 0x7
	v_add_f32_e32 v52, v34, v52
	v_add_f32_e32 v32, v43, v57
	s_wait_dscnt 0x2
	v_dual_add_f32 v54, v33, v54 :: v_dual_add_f32 v43, v30, v47
	v_add_f32_e32 v47, v29, v50
	ds_bpermute_b32 v61, v76, v14
	v_add_f32_e32 v30, v49, v59
	ds_bpermute_b32 v49, v68, v13
	ds_bpermute_b32 v50, v69, v27
	;; [unrolled: 1-line block ×4, first 2 shown]
	s_wait_dscnt 0x6
	v_add_f32_e32 v33, v0, v56
	v_add_f32_e32 v34, v11, v60
	;; [unrolled: 1-line block ×3, first 2 shown]
	ds_bpermute_b32 v66, v68, v54
	s_wait_dscnt 0x6
	v_add_f32_e32 v29, v12, v51
	ds_bpermute_b32 v12, v68, v47
	v_add_f32_e32 v28, v53, v65
	ds_bpermute_b32 v53, v69, v26
	ds_bpermute_b32 v64, v68, v52
	;; [unrolled: 1-line block ×5, first 2 shown]
	s_wait_dscnt 0xb
	v_add_f32_e32 v35, v14, v61
	ds_bpermute_b32 v61, v69, v20
	s_wait_dscnt 0xb
	v_add_f32_e32 v49, v13, v49
	s_wait_dscnt 0xa
	v_add_f32_e32 v13, v27, v50
	s_wait_dscnt 0x8
	v_dual_add_f32 v42, v48, v62 :: v_dual_add_f32 v27, v43, v57
	ds_bpermute_b32 v51, v68, v0
	ds_bpermute_b32 v43, v69, v24
	;; [unrolled: 1-line block ×3, first 2 shown]
	v_add_f32_e32 v48, v55, v67
	ds_bpermute_b32 v55, v69, v25
	s_wait_dscnt 0xa
	v_dual_add_f32 v14, v54, v66 :: v_dual_add_f32 v47, v47, v12
	ds_bpermute_b32 v12, v69, v23
	ds_bpermute_b32 v57, v69, v22
	s_wait_dscnt 0x9
	v_dual_add_f32 v26, v26, v53 :: v_dual_add_f32 v21, v21, v59
	ds_bpermute_b32 v53, v69, v17
	v_add_f32_e32 v11, v52, v64
	s_wait_dscnt 0x8
	v_add_f32_e32 v19, v19, v63
	ds_bpermute_b32 v60, v76, v27
	s_wait_dscnt 0x8
	v_add_f32_e32 v20, v20, v61
	ds_bpermute_b32 v66, v68, v26
	ds_bpermute_b32 v59, v68, v21
	ds_bpermute_b32 v52, v76, v11
	ds_bpermute_b32 v58, v76, v49
	s_wait_dscnt 0xb
	v_add_f32_e32 v0, v0, v51
	ds_bpermute_b32 v51, v69, v18
	s_wait_dscnt 0xb
	v_add_f32_e32 v24, v24, v43
	ds_bpermute_b32 v62, v76, v47
	;; [unrolled: 3-line block ×3, first 2 shown]
	ds_bpermute_b32 v54, v76, v14
	v_add_f32_e32 v15, v15, v65
	ds_bpermute_b32 v43, v68, v25
	s_wait_dscnt 0xc
	v_dual_add_f32 v12, v23, v12 :: v_dual_add_f32 v23, v13, v50
	s_wait_dscnt 0xb
	v_add_f32_e32 v13, v22, v57
	ds_bpermute_b32 v64, v76, v0
	s_wait_dscnt 0xb
	v_add_f32_e32 v17, v17, v53
	ds_bpermute_b32 v22, v68, v24
	ds_bpermute_b32 v53, v68, v19
	;; [unrolled: 1-line block ×5, first 2 shown]
	s_wait_dscnt 0xd
	v_dual_add_f32 v26, v26, v66 :: v_dual_add_f32 v59, v21, v59
	s_wait_dscnt 0xa
	v_add_f32_e32 v18, v18, v51
	ds_bpermute_b32 v51, v68, v20
	ds_bpermute_b32 v56, v76, v48
	s_wait_dscnt 0xa
	v_add_f32_e32 v16, v16, v55
	ds_bpermute_b32 v70, v76, v59
	ds_bpermute_b32 v55, v68, v18
	;; [unrolled: 4-line block ×3, first 2 shown]
	ds_bpermute_b32 v66, v76, v25
	s_wait_dscnt 0xa
	v_dual_add_f32 v22, v24, v22 :: v_dual_add_f32 v53, v19, v53
	s_wait_dscnt 0x9
	v_add_f32_e32 v57, v13, v57
	v_add_f32_e32 v13, v14, v54
	ds_bpermute_b32 v63, v68, v16
	s_wait_dscnt 0x9
	v_add_f32_e32 v19, v23, v65
	s_wait_dscnt 0x8
	v_add_f32_e32 v61, v17, v61
	ds_bpermute_b32 v24, v76, v26
	s_wait_dscnt 0x8
	v_add_f32_e32 v51, v20, v51
	ds_bpermute_b32 v67, v76, v22
	ds_bpermute_b32 v69, v76, v57
	;; [unrolled: 1-line block ×3, first 2 shown]
	s_wait_dscnt 0x8
	v_dual_add_f32 v55, v18, v55 :: v_dual_add_f32 v18, v0, v64
	scratch_load_b32 v0, off, off offset:844 th:TH_LOAD_LU ; 4-byte Folded Reload
	s_wait_dscnt 0x7
	v_add_f32_e32 v50, v12, v50
	s_wait_dscnt 0x6
	v_add_f32_e32 v74, v15, v43
	ds_bpermute_b32 v73, v76, v55
	ds_bpermute_b32 v75, v76, v61
	v_add_f32_e32 v12, v11, v52
	ds_bpermute_b32 v68, v76, v50
	ds_bpermute_b32 v71, v76, v51
	;; [unrolled: 1-line block ×3, first 2 shown]
	v_add_f32_e32 v11, v48, v56
	s_wait_dscnt 0x9
	v_dual_add_f32 v63, v16, v63 :: v_dual_add_f32 v16, v27, v60
	scratch_load_b32 v60, off, off offset:840 ; 4-byte Folded Reload
	s_wait_dscnt 0x8
	v_dual_add_f32 v15, v49, v58 :: v_dual_add_f32 v20, v26, v24
	ds_bpermute_b32 v52, v76, v63
	s_wait_dscnt 0x7
	v_dual_add_f32 v17, v47, v62 :: v_dual_add_f32 v24, v57, v69
	v_dual_add_f32 v21, v25, v66 :: v_dual_add_f32 v22, v22, v67
	v_add_f32_e32 v25, v59, v70
	s_wait_dscnt 0x6
	v_add_f32_e32 v27, v53, v72
	s_wait_dscnt 0x5
	;; [unrolled: 2-line block ×4, first 2 shown]
	v_add_f32_e32 v23, v50, v68
	scratch_load_b32 v50, off, off offset:836 th:TH_LOAD_LU ; 4-byte Folded Reload
	s_wait_dscnt 0x1
	v_dual_add_f32 v26, v51, v71 :: v_dual_add_f32 v49, v74, v54
	s_wait_dscnt 0x0
	v_add_f32_e32 v48, v63, v52
	s_wait_loadcnt 0x2
	v_lshrrev_b32_e32 v14, 3, v0
	scratch_load_b32 v0, off, off offset:848 th:TH_LOAD_LU ; 4-byte Folded Reload
	s_wait_loadcnt 0x0
	s_wait_storecnt 0x0
	s_barrier_signal -1
	s_barrier_wait -1
	global_inv scope:SCOPE_SE
	v_and_b32_e32 v51, 0x3c0, v60
	v_mul_u32_u24_e32 v50, 0x300, v50
	v_cmp_eq_u32_e32 vcc_lo, 0, v0
	v_lshl_add_u32 v0, v14, 2, 0x320
	s_delay_alu instid0(VALU_DEP_4)
	v_cmpx_eq_u32_e32 64, v51
	s_cbranch_execz .LBB241_129
; %bb.127:
	s_and_b32 exec_lo, exec_lo, vcc_lo
	s_cbranch_execz .LBB241_129
; %bb.128:
	v_add_nc_u32_e32 v51, v0, v50
	s_delay_alu instid0(VALU_DEP_1)
	v_add_nc_u32_e32 v52, 0xfffffa00, v51
	v_add_nc_u32_e32 v53, 0xfffffa10, v51
	v_add_nc_u32_e32 v54, 0xfffffa20, v51
	v_add_nc_u32_e32 v55, 0xfffffa30, v51
	v_add_nc_u32_e32 v56, 0xfffffa40, v51
	v_add_nc_u32_e32 v57, 0xfffffa50, v51
	v_add_nc_u32_e32 v58, 0xfffffa60, v51
	v_add_nc_u32_e32 v59, 0xfffffa70, v51
	ds_store_b32 v52, v1
	ds_store_b32 v53, v2
	ds_store_b32 v54, v3
	ds_store_b32 v55, v4
	ds_store_b32 v56, v5
	ds_store_b32 v57, v6
	ds_store_b32 v58, v7
	ds_store_b32 v59, v8
	v_add_nc_u32_e32 v52, 0xfffffa80, v51
	v_add_nc_u32_e32 v53, 0xfffffa90, v51
	v_add_nc_u32_e32 v54, 0xfffffaa0, v51
	v_add_nc_u32_e32 v55, 0xfffffab0, v51
	v_add_nc_u32_e32 v56, 0xfffffac0, v51
	v_add_nc_u32_e32 v57, 0xfffffad0, v51
	v_add_nc_u32_e32 v58, 0xfffffae0, v51
	v_add_nc_u32_e32 v59, 0xfffffaf0, v51
	ds_store_b32 v52, v9
	ds_store_b32 v53, v10
	ds_store_b32 v54, v44
	ds_store_b32 v55, v45
	ds_store_b32 v56, v46
	ds_store_b32 v57, v40
	ds_store_b32 v58, v39
	ds_store_b32 v59, v36
	;; [unrolled: 16-line block ×6, first 2 shown]
.LBB241_129:
	s_wait_alu 0xfffe
	s_or_b32 exec_lo, exec_lo, s1
	v_lshlrev_b32_e32 v14, 2, v14
	s_mov_b32 s1, exec_lo
	s_wait_loadcnt_dscnt 0x0
	s_barrier_signal -1
	s_barrier_wait -1
	v_add3_u32 v14, 0x320, v50, v14
	global_inv scope:SCOPE_SE
	v_cmpx_gt_u32_e32 64, v60
	s_cbranch_execz .LBB241_180
; %bb.130:
	s_and_saveexec_b32 s0, vcc_lo
	s_cbranch_execnz .LBB241_236
; %bb.131:
	s_wait_alu 0xfffe
	s_or_b32 exec_lo, exec_lo, s0
	s_and_saveexec_b32 s0, vcc_lo
	s_cbranch_execnz .LBB241_237
.LBB241_132:
	s_wait_alu 0xfffe
	s_or_b32 exec_lo, exec_lo, s0
	s_and_saveexec_b32 s0, vcc_lo
	s_cbranch_execnz .LBB241_238
.LBB241_133:
	s_wait_alu 0xfffe
	s_or_b32 exec_lo, exec_lo, s0
	s_and_saveexec_b32 s0, vcc_lo
	s_cbranch_execnz .LBB241_239
.LBB241_134:
	s_wait_alu 0xfffe
	s_or_b32 exec_lo, exec_lo, s0
	s_and_saveexec_b32 s0, vcc_lo
	s_cbranch_execnz .LBB241_240
.LBB241_135:
	s_wait_alu 0xfffe
	s_or_b32 exec_lo, exec_lo, s0
	s_and_saveexec_b32 s0, vcc_lo
	s_cbranch_execnz .LBB241_241
.LBB241_136:
	s_wait_alu 0xfffe
	s_or_b32 exec_lo, exec_lo, s0
	s_and_saveexec_b32 s0, vcc_lo
	s_cbranch_execnz .LBB241_242
.LBB241_137:
	s_wait_alu 0xfffe
	s_or_b32 exec_lo, exec_lo, s0
	s_and_saveexec_b32 s0, vcc_lo
	s_cbranch_execnz .LBB241_243
.LBB241_138:
	s_wait_alu 0xfffe
	s_or_b32 exec_lo, exec_lo, s0
	s_and_saveexec_b32 s0, vcc_lo
	s_cbranch_execnz .LBB241_244
.LBB241_139:
	s_wait_alu 0xfffe
	s_or_b32 exec_lo, exec_lo, s0
	s_and_saveexec_b32 s0, vcc_lo
	s_cbranch_execnz .LBB241_245
.LBB241_140:
	s_wait_alu 0xfffe
	s_or_b32 exec_lo, exec_lo, s0
	s_and_saveexec_b32 s0, vcc_lo
	s_cbranch_execnz .LBB241_246
.LBB241_141:
	s_wait_alu 0xfffe
	s_or_b32 exec_lo, exec_lo, s0
	s_and_saveexec_b32 s0, vcc_lo
	s_cbranch_execnz .LBB241_247
.LBB241_142:
	s_wait_alu 0xfffe
	s_or_b32 exec_lo, exec_lo, s0
	s_and_saveexec_b32 s0, vcc_lo
	s_cbranch_execnz .LBB241_248
.LBB241_143:
	s_wait_alu 0xfffe
	s_or_b32 exec_lo, exec_lo, s0
	s_and_saveexec_b32 s0, vcc_lo
	s_cbranch_execnz .LBB241_249
.LBB241_144:
	s_wait_alu 0xfffe
	s_or_b32 exec_lo, exec_lo, s0
	s_and_saveexec_b32 s0, vcc_lo
	s_cbranch_execnz .LBB241_250
.LBB241_145:
	s_wait_alu 0xfffe
	s_or_b32 exec_lo, exec_lo, s0
	s_and_saveexec_b32 s0, vcc_lo
	s_cbranch_execnz .LBB241_251
.LBB241_146:
	s_wait_alu 0xfffe
	s_or_b32 exec_lo, exec_lo, s0
	s_and_saveexec_b32 s0, vcc_lo
	s_cbranch_execnz .LBB241_252
.LBB241_147:
	s_wait_alu 0xfffe
	s_or_b32 exec_lo, exec_lo, s0
	s_and_saveexec_b32 s0, vcc_lo
	s_cbranch_execnz .LBB241_253
.LBB241_148:
	s_wait_alu 0xfffe
	s_or_b32 exec_lo, exec_lo, s0
	s_and_saveexec_b32 s0, vcc_lo
	s_cbranch_execnz .LBB241_254
.LBB241_149:
	s_wait_alu 0xfffe
	s_or_b32 exec_lo, exec_lo, s0
	s_and_saveexec_b32 s0, vcc_lo
	s_cbranch_execnz .LBB241_255
.LBB241_150:
	s_wait_alu 0xfffe
	s_or_b32 exec_lo, exec_lo, s0
	s_and_saveexec_b32 s0, vcc_lo
	s_cbranch_execnz .LBB241_256
.LBB241_151:
	s_wait_alu 0xfffe
	s_or_b32 exec_lo, exec_lo, s0
	s_and_saveexec_b32 s0, vcc_lo
	s_cbranch_execnz .LBB241_257
.LBB241_152:
	s_wait_alu 0xfffe
	s_or_b32 exec_lo, exec_lo, s0
	s_and_saveexec_b32 s0, vcc_lo
	s_cbranch_execnz .LBB241_258
.LBB241_153:
	s_wait_alu 0xfffe
	s_or_b32 exec_lo, exec_lo, s0
	s_and_saveexec_b32 s0, vcc_lo
	s_cbranch_execnz .LBB241_259
.LBB241_154:
	s_wait_alu 0xfffe
	s_or_b32 exec_lo, exec_lo, s0
	s_and_saveexec_b32 s0, vcc_lo
	s_cbranch_execnz .LBB241_260
.LBB241_155:
	s_wait_alu 0xfffe
	s_or_b32 exec_lo, exec_lo, s0
	s_and_saveexec_b32 s0, vcc_lo
	s_cbranch_execnz .LBB241_261
.LBB241_156:
	s_wait_alu 0xfffe
	s_or_b32 exec_lo, exec_lo, s0
	s_and_saveexec_b32 s0, vcc_lo
	s_cbranch_execnz .LBB241_262
.LBB241_157:
	s_wait_alu 0xfffe
	s_or_b32 exec_lo, exec_lo, s0
	s_and_saveexec_b32 s0, vcc_lo
	s_cbranch_execnz .LBB241_263
.LBB241_158:
	s_wait_alu 0xfffe
	s_or_b32 exec_lo, exec_lo, s0
	s_and_saveexec_b32 s0, vcc_lo
	s_cbranch_execnz .LBB241_264
.LBB241_159:
	s_wait_alu 0xfffe
	s_or_b32 exec_lo, exec_lo, s0
	s_and_saveexec_b32 s0, vcc_lo
	s_cbranch_execnz .LBB241_265
.LBB241_160:
	s_wait_alu 0xfffe
	s_or_b32 exec_lo, exec_lo, s0
	s_and_saveexec_b32 s0, vcc_lo
	s_cbranch_execnz .LBB241_266
.LBB241_161:
	s_wait_alu 0xfffe
	s_or_b32 exec_lo, exec_lo, s0
	s_and_saveexec_b32 s0, vcc_lo
	s_cbranch_execnz .LBB241_267
.LBB241_162:
	s_wait_alu 0xfffe
	s_or_b32 exec_lo, exec_lo, s0
	s_and_saveexec_b32 s0, vcc_lo
	s_cbranch_execnz .LBB241_268
.LBB241_163:
	s_wait_alu 0xfffe
	s_or_b32 exec_lo, exec_lo, s0
	s_and_saveexec_b32 s0, vcc_lo
	s_cbranch_execnz .LBB241_269
.LBB241_164:
	s_wait_alu 0xfffe
	s_or_b32 exec_lo, exec_lo, s0
	s_and_saveexec_b32 s0, vcc_lo
	s_cbranch_execnz .LBB241_270
.LBB241_165:
	s_wait_alu 0xfffe
	s_or_b32 exec_lo, exec_lo, s0
	s_and_saveexec_b32 s0, vcc_lo
	s_cbranch_execnz .LBB241_271
.LBB241_166:
	s_wait_alu 0xfffe
	s_or_b32 exec_lo, exec_lo, s0
	s_and_saveexec_b32 s0, vcc_lo
	s_cbranch_execnz .LBB241_272
.LBB241_167:
	s_wait_alu 0xfffe
	s_or_b32 exec_lo, exec_lo, s0
	s_and_saveexec_b32 s0, vcc_lo
	s_cbranch_execnz .LBB241_273
.LBB241_168:
	s_wait_alu 0xfffe
	s_or_b32 exec_lo, exec_lo, s0
	s_and_saveexec_b32 s0, vcc_lo
	s_cbranch_execnz .LBB241_274
.LBB241_169:
	s_wait_alu 0xfffe
	s_or_b32 exec_lo, exec_lo, s0
	s_and_saveexec_b32 s0, vcc_lo
	s_cbranch_execnz .LBB241_275
.LBB241_170:
	s_wait_alu 0xfffe
	s_or_b32 exec_lo, exec_lo, s0
	s_and_saveexec_b32 s0, vcc_lo
	s_cbranch_execnz .LBB241_276
.LBB241_171:
	s_wait_alu 0xfffe
	s_or_b32 exec_lo, exec_lo, s0
	s_and_saveexec_b32 s0, vcc_lo
	s_cbranch_execnz .LBB241_277
.LBB241_172:
	s_wait_alu 0xfffe
	s_or_b32 exec_lo, exec_lo, s0
	s_and_saveexec_b32 s0, vcc_lo
	s_cbranch_execnz .LBB241_278
.LBB241_173:
	s_wait_alu 0xfffe
	s_or_b32 exec_lo, exec_lo, s0
	s_and_saveexec_b32 s0, vcc_lo
	s_cbranch_execnz .LBB241_279
.LBB241_174:
	s_wait_alu 0xfffe
	s_or_b32 exec_lo, exec_lo, s0
	s_and_saveexec_b32 s0, vcc_lo
	s_cbranch_execnz .LBB241_280
.LBB241_175:
	s_wait_alu 0xfffe
	s_or_b32 exec_lo, exec_lo, s0
	s_and_saveexec_b32 s0, vcc_lo
	s_cbranch_execnz .LBB241_281
.LBB241_176:
	s_wait_alu 0xfffe
	s_or_b32 exec_lo, exec_lo, s0
	s_and_saveexec_b32 s0, vcc_lo
	s_cbranch_execnz .LBB241_282
.LBB241_177:
	s_wait_alu 0xfffe
	s_or_b32 exec_lo, exec_lo, s0
	s_and_saveexec_b32 s0, vcc_lo
	s_cbranch_execz .LBB241_179
.LBB241_178:
	ds_load_b32 v50, v14 offset:752
	s_wait_dscnt 0x0
	v_add_f32_e32 v49, v49, v50
.LBB241_179:
	s_wait_alu 0xfffe
	s_or_b32 exec_lo, exec_lo, s0
.LBB241_180:
	s_wait_alu 0xfffe
	s_or_b32 exec_lo, exec_lo, s1
	v_and_b32_e32 v50, 0x3e7, v60
	s_mov_b32 s1, exec_lo
	s_wait_loadcnt 0x0
	s_barrier_signal -1
	s_barrier_wait -1
	global_inv scope:SCOPE_SE
	v_cmpx_eq_u32_e32 32, v50
	s_cbranch_execz .LBB241_182
; %bb.181:
	ds_store_2addr_b32 v0, v1, v2 offset1:4
	ds_store_2addr_b32 v0, v3, v4 offset0:8 offset1:12
	ds_store_2addr_b32 v0, v5, v6 offset0:16 offset1:20
	;; [unrolled: 1-line block ×23, first 2 shown]
.LBB241_182:
	s_wait_alu 0xfffe
	s_or_b32 exec_lo, exec_lo, s1
	s_delay_alu instid0(SALU_CYCLE_1)
	s_mov_b32 s1, exec_lo
	s_wait_loadcnt_dscnt 0x0
	s_barrier_signal -1
	s_barrier_wait -1
	global_inv scope:SCOPE_SE
	v_cmpx_gt_u32_e32 32, v60
	s_cbranch_execz .LBB241_233
; %bb.183:
	s_and_saveexec_b32 s0, vcc_lo
	s_cbranch_execnz .LBB241_283
; %bb.184:
	s_wait_alu 0xfffe
	s_or_b32 exec_lo, exec_lo, s0
	s_and_saveexec_b32 s0, vcc_lo
	s_cbranch_execnz .LBB241_284
.LBB241_185:
	s_wait_alu 0xfffe
	s_or_b32 exec_lo, exec_lo, s0
	s_and_saveexec_b32 s0, vcc_lo
	s_cbranch_execnz .LBB241_285
.LBB241_186:
	s_wait_alu 0xfffe
	s_or_b32 exec_lo, exec_lo, s0
	s_and_saveexec_b32 s0, vcc_lo
	s_cbranch_execnz .LBB241_286
.LBB241_187:
	s_wait_alu 0xfffe
	s_or_b32 exec_lo, exec_lo, s0
	s_and_saveexec_b32 s0, vcc_lo
	s_cbranch_execnz .LBB241_287
.LBB241_188:
	s_wait_alu 0xfffe
	s_or_b32 exec_lo, exec_lo, s0
	s_and_saveexec_b32 s0, vcc_lo
	s_cbranch_execnz .LBB241_288
.LBB241_189:
	s_wait_alu 0xfffe
	s_or_b32 exec_lo, exec_lo, s0
	s_and_saveexec_b32 s0, vcc_lo
	s_cbranch_execnz .LBB241_289
.LBB241_190:
	s_wait_alu 0xfffe
	s_or_b32 exec_lo, exec_lo, s0
	s_and_saveexec_b32 s0, vcc_lo
	s_cbranch_execnz .LBB241_290
.LBB241_191:
	s_wait_alu 0xfffe
	s_or_b32 exec_lo, exec_lo, s0
	s_and_saveexec_b32 s0, vcc_lo
	s_cbranch_execnz .LBB241_291
.LBB241_192:
	s_wait_alu 0xfffe
	s_or_b32 exec_lo, exec_lo, s0
	s_and_saveexec_b32 s0, vcc_lo
	s_cbranch_execnz .LBB241_292
.LBB241_193:
	s_wait_alu 0xfffe
	s_or_b32 exec_lo, exec_lo, s0
	s_and_saveexec_b32 s0, vcc_lo
	s_cbranch_execnz .LBB241_293
.LBB241_194:
	s_wait_alu 0xfffe
	s_or_b32 exec_lo, exec_lo, s0
	s_and_saveexec_b32 s0, vcc_lo
	s_cbranch_execnz .LBB241_294
.LBB241_195:
	s_wait_alu 0xfffe
	s_or_b32 exec_lo, exec_lo, s0
	s_and_saveexec_b32 s0, vcc_lo
	s_cbranch_execnz .LBB241_295
.LBB241_196:
	s_wait_alu 0xfffe
	s_or_b32 exec_lo, exec_lo, s0
	s_and_saveexec_b32 s0, vcc_lo
	s_cbranch_execnz .LBB241_296
.LBB241_197:
	s_wait_alu 0xfffe
	s_or_b32 exec_lo, exec_lo, s0
	s_and_saveexec_b32 s0, vcc_lo
	s_cbranch_execnz .LBB241_297
.LBB241_198:
	s_wait_alu 0xfffe
	s_or_b32 exec_lo, exec_lo, s0
	s_and_saveexec_b32 s0, vcc_lo
	s_cbranch_execnz .LBB241_298
.LBB241_199:
	s_wait_alu 0xfffe
	s_or_b32 exec_lo, exec_lo, s0
	s_and_saveexec_b32 s0, vcc_lo
	s_cbranch_execnz .LBB241_299
.LBB241_200:
	s_wait_alu 0xfffe
	s_or_b32 exec_lo, exec_lo, s0
	s_and_saveexec_b32 s0, vcc_lo
	s_cbranch_execnz .LBB241_300
.LBB241_201:
	s_wait_alu 0xfffe
	s_or_b32 exec_lo, exec_lo, s0
	s_and_saveexec_b32 s0, vcc_lo
	s_cbranch_execnz .LBB241_301
.LBB241_202:
	s_wait_alu 0xfffe
	s_or_b32 exec_lo, exec_lo, s0
	s_and_saveexec_b32 s0, vcc_lo
	s_cbranch_execnz .LBB241_302
.LBB241_203:
	s_wait_alu 0xfffe
	s_or_b32 exec_lo, exec_lo, s0
	s_and_saveexec_b32 s0, vcc_lo
	s_cbranch_execnz .LBB241_303
.LBB241_204:
	s_wait_alu 0xfffe
	s_or_b32 exec_lo, exec_lo, s0
	s_and_saveexec_b32 s0, vcc_lo
	s_cbranch_execnz .LBB241_304
.LBB241_205:
	s_wait_alu 0xfffe
	s_or_b32 exec_lo, exec_lo, s0
	s_and_saveexec_b32 s0, vcc_lo
	s_cbranch_execnz .LBB241_305
.LBB241_206:
	s_wait_alu 0xfffe
	s_or_b32 exec_lo, exec_lo, s0
	s_and_saveexec_b32 s0, vcc_lo
	s_cbranch_execnz .LBB241_306
.LBB241_207:
	s_wait_alu 0xfffe
	s_or_b32 exec_lo, exec_lo, s0
	s_and_saveexec_b32 s0, vcc_lo
	s_cbranch_execnz .LBB241_307
.LBB241_208:
	s_wait_alu 0xfffe
	s_or_b32 exec_lo, exec_lo, s0
	s_and_saveexec_b32 s0, vcc_lo
	s_cbranch_execnz .LBB241_308
.LBB241_209:
	s_wait_alu 0xfffe
	s_or_b32 exec_lo, exec_lo, s0
	s_and_saveexec_b32 s0, vcc_lo
	s_cbranch_execnz .LBB241_309
.LBB241_210:
	s_wait_alu 0xfffe
	s_or_b32 exec_lo, exec_lo, s0
	s_and_saveexec_b32 s0, vcc_lo
	s_cbranch_execnz .LBB241_310
.LBB241_211:
	s_wait_alu 0xfffe
	s_or_b32 exec_lo, exec_lo, s0
	s_and_saveexec_b32 s0, vcc_lo
	s_cbranch_execnz .LBB241_311
.LBB241_212:
	s_wait_alu 0xfffe
	s_or_b32 exec_lo, exec_lo, s0
	s_and_saveexec_b32 s0, vcc_lo
	s_cbranch_execnz .LBB241_312
.LBB241_213:
	s_wait_alu 0xfffe
	s_or_b32 exec_lo, exec_lo, s0
	s_and_saveexec_b32 s0, vcc_lo
	s_cbranch_execnz .LBB241_313
.LBB241_214:
	s_wait_alu 0xfffe
	s_or_b32 exec_lo, exec_lo, s0
	s_and_saveexec_b32 s0, vcc_lo
	s_cbranch_execnz .LBB241_314
.LBB241_215:
	s_wait_alu 0xfffe
	s_or_b32 exec_lo, exec_lo, s0
	s_and_saveexec_b32 s0, vcc_lo
	s_cbranch_execnz .LBB241_315
.LBB241_216:
	s_wait_alu 0xfffe
	s_or_b32 exec_lo, exec_lo, s0
	s_and_saveexec_b32 s0, vcc_lo
	s_cbranch_execnz .LBB241_316
.LBB241_217:
	s_wait_alu 0xfffe
	s_or_b32 exec_lo, exec_lo, s0
	s_and_saveexec_b32 s0, vcc_lo
	s_cbranch_execnz .LBB241_317
.LBB241_218:
	s_wait_alu 0xfffe
	s_or_b32 exec_lo, exec_lo, s0
	s_and_saveexec_b32 s0, vcc_lo
	s_cbranch_execnz .LBB241_318
.LBB241_219:
	s_wait_alu 0xfffe
	s_or_b32 exec_lo, exec_lo, s0
	s_and_saveexec_b32 s0, vcc_lo
	s_cbranch_execnz .LBB241_319
.LBB241_220:
	s_wait_alu 0xfffe
	s_or_b32 exec_lo, exec_lo, s0
	s_and_saveexec_b32 s0, vcc_lo
	s_cbranch_execnz .LBB241_320
.LBB241_221:
	s_wait_alu 0xfffe
	s_or_b32 exec_lo, exec_lo, s0
	s_and_saveexec_b32 s0, vcc_lo
	s_cbranch_execnz .LBB241_321
.LBB241_222:
	s_wait_alu 0xfffe
	s_or_b32 exec_lo, exec_lo, s0
	s_and_saveexec_b32 s0, vcc_lo
	s_cbranch_execnz .LBB241_322
.LBB241_223:
	s_wait_alu 0xfffe
	s_or_b32 exec_lo, exec_lo, s0
	s_and_saveexec_b32 s0, vcc_lo
	s_cbranch_execnz .LBB241_323
.LBB241_224:
	s_wait_alu 0xfffe
	s_or_b32 exec_lo, exec_lo, s0
	s_and_saveexec_b32 s0, vcc_lo
	s_cbranch_execnz .LBB241_324
.LBB241_225:
	s_wait_alu 0xfffe
	s_or_b32 exec_lo, exec_lo, s0
	s_and_saveexec_b32 s0, vcc_lo
	s_cbranch_execnz .LBB241_325
.LBB241_226:
	s_wait_alu 0xfffe
	s_or_b32 exec_lo, exec_lo, s0
	s_and_saveexec_b32 s0, vcc_lo
	s_cbranch_execnz .LBB241_326
.LBB241_227:
	s_wait_alu 0xfffe
	s_or_b32 exec_lo, exec_lo, s0
	s_and_saveexec_b32 s0, vcc_lo
	s_cbranch_execnz .LBB241_327
.LBB241_228:
	s_wait_alu 0xfffe
	s_or_b32 exec_lo, exec_lo, s0
	s_and_saveexec_b32 s0, vcc_lo
	s_cbranch_execnz .LBB241_328
.LBB241_229:
	s_wait_alu 0xfffe
	s_or_b32 exec_lo, exec_lo, s0
	s_and_saveexec_b32 s0, vcc_lo
	s_cbranch_execnz .LBB241_329
.LBB241_230:
	s_wait_alu 0xfffe
	s_or_b32 exec_lo, exec_lo, s0
	s_and_saveexec_b32 s0, vcc_lo
	s_cbranch_execz .LBB241_232
.LBB241_231:
	ds_load_b32 v0, v14 offset:752
	s_wait_dscnt 0x0
	v_add_f32_e32 v49, v49, v0
.LBB241_232:
	s_wait_alu 0xfffe
	s_or_b32 exec_lo, exec_lo, s0
.LBB241_233:
	s_wait_alu 0xfffe
	s_or_b32 exec_lo, exec_lo, s1
	s_mov_b32 s1, 0
	s_wait_loadcnt 0x0
	s_barrier_signal -1
	s_barrier_wait -1
	global_inv scope:SCOPE_SE
	s_mov_b32 s0, exec_lo
	v_cmpx_eq_u32_e32 0, v50
	s_cbranch_execz .LBB241_235
; %bb.234:
	s_mul_i32 s2, s14, 0xc0
	s_mul_i32 s6, s12, s16
	s_wait_alu 0xfffe
	s_ashr_i32 s3, s2, 31
	s_ashr_i32 s7, s6, 31
	s_wait_alu 0xfffe
	s_lshl_b64 s[2:3], s[2:3], 2
	s_lshl_b64 s[6:7], s[6:7], 2
	s_wait_kmcnt 0x0
	s_wait_alu 0xfffe
	s_add_nc_u64 s[2:3], s[4:5], s[2:3]
	v_lshrrev_b32_e32 v0, 1, v60
	s_mul_i32 s0, s26, 0x300
	s_wait_alu 0xfffe
	s_add_nc_u64 s[2:3], s[2:3], s[6:7]
	s_wait_alu 0xfffe
	s_add_nc_u64 s[0:1], s[2:3], s[0:1]
	s_clause 0x1f
	global_store_b32 v0, v1, s[0:1]
	global_store_b32 v0, v2, s[0:1] offset:16
	global_store_b32 v0, v3, s[0:1] offset:32
	;; [unrolled: 1-line block ×31, first 2 shown]
	s_clause 0xf
	global_store_b32 v0, v16, s[0:1] offset:512
	global_store_b32 v0, v17, s[0:1] offset:528
	;; [unrolled: 1-line block ×16, first 2 shown]
.LBB241_235:
	s_nop 0
	s_sendmsg sendmsg(MSG_DEALLOC_VGPRS)
	s_endpgm
.LBB241_236:
	ds_load_b32 v50, v14
	s_wait_dscnt 0x0
	v_add_f32_e32 v1, v1, v50
	s_wait_alu 0xfffe
	s_or_b32 exec_lo, exec_lo, s0
	s_and_saveexec_b32 s0, vcc_lo
	s_cbranch_execz .LBB241_132
.LBB241_237:
	ds_load_b32 v50, v14 offset:16
	s_wait_dscnt 0x0
	v_add_f32_e32 v2, v2, v50
	s_wait_alu 0xfffe
	s_or_b32 exec_lo, exec_lo, s0
	s_and_saveexec_b32 s0, vcc_lo
	s_cbranch_execz .LBB241_133
.LBB241_238:
	ds_load_b32 v50, v14 offset:32
	s_wait_dscnt 0x0
	v_add_f32_e32 v3, v3, v50
	s_wait_alu 0xfffe
	s_or_b32 exec_lo, exec_lo, s0
	s_and_saveexec_b32 s0, vcc_lo
	s_cbranch_execz .LBB241_134
.LBB241_239:
	ds_load_b32 v50, v14 offset:48
	s_wait_dscnt 0x0
	v_add_f32_e32 v4, v4, v50
	s_wait_alu 0xfffe
	s_or_b32 exec_lo, exec_lo, s0
	s_and_saveexec_b32 s0, vcc_lo
	s_cbranch_execz .LBB241_135
.LBB241_240:
	ds_load_b32 v50, v14 offset:64
	s_wait_dscnt 0x0
	v_add_f32_e32 v5, v5, v50
	s_wait_alu 0xfffe
	s_or_b32 exec_lo, exec_lo, s0
	s_and_saveexec_b32 s0, vcc_lo
	s_cbranch_execz .LBB241_136
.LBB241_241:
	ds_load_b32 v50, v14 offset:80
	s_wait_dscnt 0x0
	v_add_f32_e32 v6, v6, v50
	s_wait_alu 0xfffe
	s_or_b32 exec_lo, exec_lo, s0
	s_and_saveexec_b32 s0, vcc_lo
	s_cbranch_execz .LBB241_137
.LBB241_242:
	ds_load_b32 v50, v14 offset:96
	s_wait_dscnt 0x0
	v_add_f32_e32 v7, v7, v50
	s_wait_alu 0xfffe
	s_or_b32 exec_lo, exec_lo, s0
	s_and_saveexec_b32 s0, vcc_lo
	s_cbranch_execz .LBB241_138
.LBB241_243:
	ds_load_b32 v50, v14 offset:112
	s_wait_dscnt 0x0
	v_add_f32_e32 v8, v8, v50
	s_wait_alu 0xfffe
	s_or_b32 exec_lo, exec_lo, s0
	s_and_saveexec_b32 s0, vcc_lo
	s_cbranch_execz .LBB241_139
.LBB241_244:
	ds_load_b32 v50, v14 offset:128
	s_wait_dscnt 0x0
	v_add_f32_e32 v9, v9, v50
	s_wait_alu 0xfffe
	s_or_b32 exec_lo, exec_lo, s0
	s_and_saveexec_b32 s0, vcc_lo
	s_cbranch_execz .LBB241_140
.LBB241_245:
	ds_load_b32 v50, v14 offset:144
	s_wait_dscnt 0x0
	v_add_f32_e32 v10, v10, v50
	s_wait_alu 0xfffe
	s_or_b32 exec_lo, exec_lo, s0
	s_and_saveexec_b32 s0, vcc_lo
	s_cbranch_execz .LBB241_141
.LBB241_246:
	ds_load_b32 v50, v14 offset:160
	s_wait_dscnt 0x0
	v_add_f32_e32 v44, v44, v50
	s_wait_alu 0xfffe
	s_or_b32 exec_lo, exec_lo, s0
	s_and_saveexec_b32 s0, vcc_lo
	s_cbranch_execz .LBB241_142
.LBB241_247:
	ds_load_b32 v50, v14 offset:176
	s_wait_dscnt 0x0
	v_add_f32_e32 v45, v45, v50
	s_wait_alu 0xfffe
	s_or_b32 exec_lo, exec_lo, s0
	s_and_saveexec_b32 s0, vcc_lo
	s_cbranch_execz .LBB241_143
.LBB241_248:
	ds_load_b32 v50, v14 offset:192
	s_wait_dscnt 0x0
	v_add_f32_e32 v46, v46, v50
	s_wait_alu 0xfffe
	s_or_b32 exec_lo, exec_lo, s0
	s_and_saveexec_b32 s0, vcc_lo
	s_cbranch_execz .LBB241_144
.LBB241_249:
	ds_load_b32 v50, v14 offset:208
	s_wait_dscnt 0x0
	v_add_f32_e32 v40, v40, v50
	s_wait_alu 0xfffe
	s_or_b32 exec_lo, exec_lo, s0
	s_and_saveexec_b32 s0, vcc_lo
	s_cbranch_execz .LBB241_145
.LBB241_250:
	ds_load_b32 v50, v14 offset:224
	s_wait_dscnt 0x0
	v_add_f32_e32 v39, v39, v50
	s_wait_alu 0xfffe
	s_or_b32 exec_lo, exec_lo, s0
	s_and_saveexec_b32 s0, vcc_lo
	s_cbranch_execz .LBB241_146
.LBB241_251:
	ds_load_b32 v50, v14 offset:240
	s_wait_dscnt 0x0
	v_add_f32_e32 v36, v36, v50
	s_wait_alu 0xfffe
	s_or_b32 exec_lo, exec_lo, s0
	s_and_saveexec_b32 s0, vcc_lo
	s_cbranch_execz .LBB241_147
.LBB241_252:
	ds_load_b32 v50, v14 offset:256
	s_wait_dscnt 0x0
	v_add_f32_e32 v37, v37, v50
	s_wait_alu 0xfffe
	s_or_b32 exec_lo, exec_lo, s0
	s_and_saveexec_b32 s0, vcc_lo
	s_cbranch_execz .LBB241_148
.LBB241_253:
	ds_load_b32 v50, v14 offset:272
	s_wait_dscnt 0x0
	v_add_f32_e32 v38, v38, v50
	s_wait_alu 0xfffe
	s_or_b32 exec_lo, exec_lo, s0
	s_and_saveexec_b32 s0, vcc_lo
	s_cbranch_execz .LBB241_149
.LBB241_254:
	ds_load_b32 v50, v14 offset:288
	s_wait_dscnt 0x0
	v_add_f32_e32 v41, v41, v50
	s_wait_alu 0xfffe
	s_or_b32 exec_lo, exec_lo, s0
	s_and_saveexec_b32 s0, vcc_lo
	s_cbranch_execz .LBB241_150
.LBB241_255:
	ds_load_b32 v50, v14 offset:304
	s_wait_dscnt 0x0
	v_add_f32_e32 v32, v32, v50
	s_wait_alu 0xfffe
	s_or_b32 exec_lo, exec_lo, s0
	s_and_saveexec_b32 s0, vcc_lo
	s_cbranch_execz .LBB241_151
.LBB241_256:
	ds_load_b32 v50, v14 offset:320
	s_wait_dscnt 0x0
	v_add_f32_e32 v31, v31, v50
	s_wait_alu 0xfffe
	s_or_b32 exec_lo, exec_lo, s0
	s_and_saveexec_b32 s0, vcc_lo
	s_cbranch_execz .LBB241_152
.LBB241_257:
	ds_load_b32 v50, v14 offset:336
	s_wait_dscnt 0x0
	v_add_f32_e32 v30, v30, v50
	s_wait_alu 0xfffe
	s_or_b32 exec_lo, exec_lo, s0
	s_and_saveexec_b32 s0, vcc_lo
	s_cbranch_execz .LBB241_153
.LBB241_258:
	ds_load_b32 v50, v14 offset:352
	s_wait_dscnt 0x0
	v_add_f32_e32 v29, v29, v50
	s_wait_alu 0xfffe
	s_or_b32 exec_lo, exec_lo, s0
	s_and_saveexec_b32 s0, vcc_lo
	s_cbranch_execz .LBB241_154
.LBB241_259:
	ds_load_b32 v50, v14 offset:368
	s_wait_dscnt 0x0
	v_add_f32_e32 v33, v33, v50
	s_wait_alu 0xfffe
	s_or_b32 exec_lo, exec_lo, s0
	s_and_saveexec_b32 s0, vcc_lo
	s_cbranch_execz .LBB241_155
.LBB241_260:
	ds_load_b32 v50, v14 offset:384
	s_wait_dscnt 0x0
	v_add_f32_e32 v34, v34, v50
	s_wait_alu 0xfffe
	s_or_b32 exec_lo, exec_lo, s0
	s_and_saveexec_b32 s0, vcc_lo
	s_cbranch_execz .LBB241_156
.LBB241_261:
	ds_load_b32 v50, v14 offset:400
	s_wait_dscnt 0x0
	v_add_f32_e32 v35, v35, v50
	s_wait_alu 0xfffe
	s_or_b32 exec_lo, exec_lo, s0
	s_and_saveexec_b32 s0, vcc_lo
	s_cbranch_execz .LBB241_157
.LBB241_262:
	ds_load_b32 v50, v14 offset:416
	s_wait_dscnt 0x0
	v_add_f32_e32 v42, v42, v50
	s_wait_alu 0xfffe
	s_or_b32 exec_lo, exec_lo, s0
	s_and_saveexec_b32 s0, vcc_lo
	s_cbranch_execz .LBB241_158
.LBB241_263:
	ds_load_b32 v50, v14 offset:432
	s_wait_dscnt 0x0
	v_add_f32_e32 v28, v28, v50
	s_wait_alu 0xfffe
	s_or_b32 exec_lo, exec_lo, s0
	s_and_saveexec_b32 s0, vcc_lo
	s_cbranch_execz .LBB241_159
.LBB241_264:
	ds_load_b32 v50, v14 offset:448
	s_wait_dscnt 0x0
	v_add_f32_e32 v12, v12, v50
	s_wait_alu 0xfffe
	s_or_b32 exec_lo, exec_lo, s0
	s_and_saveexec_b32 s0, vcc_lo
	s_cbranch_execz .LBB241_160
.LBB241_265:
	ds_load_b32 v50, v14 offset:464
	s_wait_dscnt 0x0
	v_add_f32_e32 v13, v13, v50
	s_wait_alu 0xfffe
	s_or_b32 exec_lo, exec_lo, s0
	s_and_saveexec_b32 s0, vcc_lo
	s_cbranch_execz .LBB241_161
.LBB241_266:
	ds_load_b32 v50, v14 offset:480
	s_wait_dscnt 0x0
	v_add_f32_e32 v11, v11, v50
	s_wait_alu 0xfffe
	s_or_b32 exec_lo, exec_lo, s0
	s_and_saveexec_b32 s0, vcc_lo
	s_cbranch_execz .LBB241_162
.LBB241_267:
	ds_load_b32 v50, v14 offset:496
	s_wait_dscnt 0x0
	v_add_f32_e32 v15, v15, v50
	s_wait_alu 0xfffe
	s_or_b32 exec_lo, exec_lo, s0
	s_and_saveexec_b32 s0, vcc_lo
	s_cbranch_execz .LBB241_163
.LBB241_268:
	ds_load_b32 v50, v14 offset:512
	s_wait_dscnt 0x0
	v_add_f32_e32 v16, v16, v50
	s_wait_alu 0xfffe
	s_or_b32 exec_lo, exec_lo, s0
	s_and_saveexec_b32 s0, vcc_lo
	s_cbranch_execz .LBB241_164
.LBB241_269:
	ds_load_b32 v50, v14 offset:528
	s_wait_dscnt 0x0
	v_add_f32_e32 v17, v17, v50
	s_wait_alu 0xfffe
	s_or_b32 exec_lo, exec_lo, s0
	s_and_saveexec_b32 s0, vcc_lo
	s_cbranch_execz .LBB241_165
.LBB241_270:
	ds_load_b32 v50, v14 offset:544
	s_wait_dscnt 0x0
	v_add_f32_e32 v18, v18, v50
	s_wait_alu 0xfffe
	s_or_b32 exec_lo, exec_lo, s0
	s_and_saveexec_b32 s0, vcc_lo
	s_cbranch_execz .LBB241_166
.LBB241_271:
	ds_load_b32 v50, v14 offset:560
	s_wait_dscnt 0x0
	v_add_f32_e32 v19, v19, v50
	s_wait_alu 0xfffe
	s_or_b32 exec_lo, exec_lo, s0
	s_and_saveexec_b32 s0, vcc_lo
	s_cbranch_execz .LBB241_167
.LBB241_272:
	ds_load_b32 v50, v14 offset:576
	s_wait_dscnt 0x0
	v_add_f32_e32 v20, v20, v50
	s_wait_alu 0xfffe
	s_or_b32 exec_lo, exec_lo, s0
	s_and_saveexec_b32 s0, vcc_lo
	s_cbranch_execz .LBB241_168
.LBB241_273:
	ds_load_b32 v50, v14 offset:592
	s_wait_dscnt 0x0
	v_add_f32_e32 v21, v21, v50
	s_wait_alu 0xfffe
	s_or_b32 exec_lo, exec_lo, s0
	s_and_saveexec_b32 s0, vcc_lo
	s_cbranch_execz .LBB241_169
.LBB241_274:
	ds_load_b32 v50, v14 offset:608
	s_wait_dscnt 0x0
	v_add_f32_e32 v22, v22, v50
	s_wait_alu 0xfffe
	s_or_b32 exec_lo, exec_lo, s0
	s_and_saveexec_b32 s0, vcc_lo
	s_cbranch_execz .LBB241_170
.LBB241_275:
	ds_load_b32 v50, v14 offset:624
	s_wait_dscnt 0x0
	v_add_f32_e32 v23, v23, v50
	s_wait_alu 0xfffe
	s_or_b32 exec_lo, exec_lo, s0
	s_and_saveexec_b32 s0, vcc_lo
	s_cbranch_execz .LBB241_171
.LBB241_276:
	ds_load_b32 v50, v14 offset:640
	s_wait_dscnt 0x0
	v_add_f32_e32 v24, v24, v50
	s_wait_alu 0xfffe
	s_or_b32 exec_lo, exec_lo, s0
	s_and_saveexec_b32 s0, vcc_lo
	s_cbranch_execz .LBB241_172
.LBB241_277:
	ds_load_b32 v50, v14 offset:656
	s_wait_dscnt 0x0
	v_add_f32_e32 v25, v25, v50
	s_wait_alu 0xfffe
	s_or_b32 exec_lo, exec_lo, s0
	s_and_saveexec_b32 s0, vcc_lo
	s_cbranch_execz .LBB241_173
.LBB241_278:
	ds_load_b32 v50, v14 offset:672
	s_wait_dscnt 0x0
	v_add_f32_e32 v26, v26, v50
	s_wait_alu 0xfffe
	s_or_b32 exec_lo, exec_lo, s0
	s_and_saveexec_b32 s0, vcc_lo
	s_cbranch_execz .LBB241_174
.LBB241_279:
	ds_load_b32 v50, v14 offset:688
	s_wait_dscnt 0x0
	v_add_f32_e32 v27, v27, v50
	s_wait_alu 0xfffe
	s_or_b32 exec_lo, exec_lo, s0
	s_and_saveexec_b32 s0, vcc_lo
	s_cbranch_execz .LBB241_175
.LBB241_280:
	ds_load_b32 v50, v14 offset:704
	s_wait_dscnt 0x0
	v_add_f32_e32 v43, v43, v50
	s_wait_alu 0xfffe
	s_or_b32 exec_lo, exec_lo, s0
	s_and_saveexec_b32 s0, vcc_lo
	s_cbranch_execz .LBB241_176
.LBB241_281:
	ds_load_b32 v50, v14 offset:720
	s_wait_dscnt 0x0
	v_add_f32_e32 v47, v47, v50
	s_wait_alu 0xfffe
	s_or_b32 exec_lo, exec_lo, s0
	s_and_saveexec_b32 s0, vcc_lo
	s_cbranch_execz .LBB241_177
.LBB241_282:
	ds_load_b32 v50, v14 offset:736
	s_wait_dscnt 0x0
	v_add_f32_e32 v48, v48, v50
	s_wait_alu 0xfffe
	s_or_b32 exec_lo, exec_lo, s0
	s_and_saveexec_b32 s0, vcc_lo
	s_cbranch_execnz .LBB241_178
	s_branch .LBB241_179
.LBB241_283:
	ds_load_b32 v0, v14
	s_wait_dscnt 0x0
	v_add_f32_e32 v1, v1, v0
	s_wait_alu 0xfffe
	s_or_b32 exec_lo, exec_lo, s0
	s_and_saveexec_b32 s0, vcc_lo
	s_cbranch_execz .LBB241_185
.LBB241_284:
	ds_load_b32 v0, v14 offset:16
	s_wait_dscnt 0x0
	v_add_f32_e32 v2, v2, v0
	s_wait_alu 0xfffe
	s_or_b32 exec_lo, exec_lo, s0
	s_and_saveexec_b32 s0, vcc_lo
	s_cbranch_execz .LBB241_186
.LBB241_285:
	ds_load_b32 v0, v14 offset:32
	s_wait_dscnt 0x0
	v_add_f32_e32 v3, v3, v0
	s_wait_alu 0xfffe
	s_or_b32 exec_lo, exec_lo, s0
	s_and_saveexec_b32 s0, vcc_lo
	s_cbranch_execz .LBB241_187
.LBB241_286:
	ds_load_b32 v0, v14 offset:48
	s_wait_dscnt 0x0
	v_add_f32_e32 v4, v4, v0
	s_wait_alu 0xfffe
	s_or_b32 exec_lo, exec_lo, s0
	s_and_saveexec_b32 s0, vcc_lo
	s_cbranch_execz .LBB241_188
.LBB241_287:
	ds_load_b32 v0, v14 offset:64
	s_wait_dscnt 0x0
	v_add_f32_e32 v5, v5, v0
	s_wait_alu 0xfffe
	s_or_b32 exec_lo, exec_lo, s0
	s_and_saveexec_b32 s0, vcc_lo
	s_cbranch_execz .LBB241_189
.LBB241_288:
	ds_load_b32 v0, v14 offset:80
	s_wait_dscnt 0x0
	v_add_f32_e32 v6, v6, v0
	s_wait_alu 0xfffe
	s_or_b32 exec_lo, exec_lo, s0
	s_and_saveexec_b32 s0, vcc_lo
	s_cbranch_execz .LBB241_190
.LBB241_289:
	ds_load_b32 v0, v14 offset:96
	s_wait_dscnt 0x0
	v_add_f32_e32 v7, v7, v0
	s_wait_alu 0xfffe
	s_or_b32 exec_lo, exec_lo, s0
	s_and_saveexec_b32 s0, vcc_lo
	s_cbranch_execz .LBB241_191
.LBB241_290:
	ds_load_b32 v0, v14 offset:112
	s_wait_dscnt 0x0
	v_add_f32_e32 v8, v8, v0
	s_wait_alu 0xfffe
	s_or_b32 exec_lo, exec_lo, s0
	s_and_saveexec_b32 s0, vcc_lo
	s_cbranch_execz .LBB241_192
.LBB241_291:
	ds_load_b32 v0, v14 offset:128
	s_wait_dscnt 0x0
	v_add_f32_e32 v9, v9, v0
	s_wait_alu 0xfffe
	s_or_b32 exec_lo, exec_lo, s0
	s_and_saveexec_b32 s0, vcc_lo
	s_cbranch_execz .LBB241_193
.LBB241_292:
	ds_load_b32 v0, v14 offset:144
	s_wait_dscnt 0x0
	v_add_f32_e32 v10, v10, v0
	s_wait_alu 0xfffe
	s_or_b32 exec_lo, exec_lo, s0
	s_and_saveexec_b32 s0, vcc_lo
	s_cbranch_execz .LBB241_194
.LBB241_293:
	ds_load_b32 v0, v14 offset:160
	s_wait_dscnt 0x0
	v_add_f32_e32 v44, v44, v0
	s_wait_alu 0xfffe
	s_or_b32 exec_lo, exec_lo, s0
	s_and_saveexec_b32 s0, vcc_lo
	s_cbranch_execz .LBB241_195
.LBB241_294:
	ds_load_b32 v0, v14 offset:176
	s_wait_dscnt 0x0
	v_add_f32_e32 v45, v45, v0
	s_wait_alu 0xfffe
	s_or_b32 exec_lo, exec_lo, s0
	s_and_saveexec_b32 s0, vcc_lo
	s_cbranch_execz .LBB241_196
.LBB241_295:
	ds_load_b32 v0, v14 offset:192
	s_wait_dscnt 0x0
	v_add_f32_e32 v46, v46, v0
	s_wait_alu 0xfffe
	s_or_b32 exec_lo, exec_lo, s0
	s_and_saveexec_b32 s0, vcc_lo
	s_cbranch_execz .LBB241_197
.LBB241_296:
	ds_load_b32 v0, v14 offset:208
	s_wait_dscnt 0x0
	v_add_f32_e32 v40, v40, v0
	s_wait_alu 0xfffe
	s_or_b32 exec_lo, exec_lo, s0
	s_and_saveexec_b32 s0, vcc_lo
	s_cbranch_execz .LBB241_198
.LBB241_297:
	ds_load_b32 v0, v14 offset:224
	s_wait_dscnt 0x0
	v_add_f32_e32 v39, v39, v0
	s_wait_alu 0xfffe
	s_or_b32 exec_lo, exec_lo, s0
	s_and_saveexec_b32 s0, vcc_lo
	s_cbranch_execz .LBB241_199
.LBB241_298:
	ds_load_b32 v0, v14 offset:240
	s_wait_dscnt 0x0
	v_add_f32_e32 v36, v36, v0
	s_wait_alu 0xfffe
	s_or_b32 exec_lo, exec_lo, s0
	s_and_saveexec_b32 s0, vcc_lo
	s_cbranch_execz .LBB241_200
.LBB241_299:
	ds_load_b32 v0, v14 offset:256
	s_wait_dscnt 0x0
	v_add_f32_e32 v37, v37, v0
	s_wait_alu 0xfffe
	s_or_b32 exec_lo, exec_lo, s0
	s_and_saveexec_b32 s0, vcc_lo
	s_cbranch_execz .LBB241_201
.LBB241_300:
	ds_load_b32 v0, v14 offset:272
	s_wait_dscnt 0x0
	v_add_f32_e32 v38, v38, v0
	s_wait_alu 0xfffe
	s_or_b32 exec_lo, exec_lo, s0
	s_and_saveexec_b32 s0, vcc_lo
	s_cbranch_execz .LBB241_202
.LBB241_301:
	ds_load_b32 v0, v14 offset:288
	s_wait_dscnt 0x0
	v_add_f32_e32 v41, v41, v0
	s_wait_alu 0xfffe
	s_or_b32 exec_lo, exec_lo, s0
	s_and_saveexec_b32 s0, vcc_lo
	s_cbranch_execz .LBB241_203
.LBB241_302:
	ds_load_b32 v0, v14 offset:304
	s_wait_dscnt 0x0
	v_add_f32_e32 v32, v32, v0
	s_wait_alu 0xfffe
	s_or_b32 exec_lo, exec_lo, s0
	s_and_saveexec_b32 s0, vcc_lo
	s_cbranch_execz .LBB241_204
.LBB241_303:
	ds_load_b32 v0, v14 offset:320
	s_wait_dscnt 0x0
	v_add_f32_e32 v31, v31, v0
	s_wait_alu 0xfffe
	s_or_b32 exec_lo, exec_lo, s0
	s_and_saveexec_b32 s0, vcc_lo
	s_cbranch_execz .LBB241_205
.LBB241_304:
	ds_load_b32 v0, v14 offset:336
	s_wait_dscnt 0x0
	v_add_f32_e32 v30, v30, v0
	s_wait_alu 0xfffe
	s_or_b32 exec_lo, exec_lo, s0
	s_and_saveexec_b32 s0, vcc_lo
	s_cbranch_execz .LBB241_206
.LBB241_305:
	ds_load_b32 v0, v14 offset:352
	s_wait_dscnt 0x0
	v_add_f32_e32 v29, v29, v0
	s_wait_alu 0xfffe
	s_or_b32 exec_lo, exec_lo, s0
	s_and_saveexec_b32 s0, vcc_lo
	s_cbranch_execz .LBB241_207
.LBB241_306:
	ds_load_b32 v0, v14 offset:368
	s_wait_dscnt 0x0
	v_add_f32_e32 v33, v33, v0
	s_wait_alu 0xfffe
	s_or_b32 exec_lo, exec_lo, s0
	s_and_saveexec_b32 s0, vcc_lo
	s_cbranch_execz .LBB241_208
.LBB241_307:
	ds_load_b32 v0, v14 offset:384
	s_wait_dscnt 0x0
	v_add_f32_e32 v34, v34, v0
	s_wait_alu 0xfffe
	s_or_b32 exec_lo, exec_lo, s0
	s_and_saveexec_b32 s0, vcc_lo
	s_cbranch_execz .LBB241_209
.LBB241_308:
	ds_load_b32 v0, v14 offset:400
	s_wait_dscnt 0x0
	v_add_f32_e32 v35, v35, v0
	s_wait_alu 0xfffe
	s_or_b32 exec_lo, exec_lo, s0
	s_and_saveexec_b32 s0, vcc_lo
	s_cbranch_execz .LBB241_210
.LBB241_309:
	ds_load_b32 v0, v14 offset:416
	s_wait_dscnt 0x0
	v_add_f32_e32 v42, v42, v0
	s_wait_alu 0xfffe
	s_or_b32 exec_lo, exec_lo, s0
	s_and_saveexec_b32 s0, vcc_lo
	s_cbranch_execz .LBB241_211
.LBB241_310:
	ds_load_b32 v0, v14 offset:432
	s_wait_dscnt 0x0
	v_add_f32_e32 v28, v28, v0
	s_wait_alu 0xfffe
	s_or_b32 exec_lo, exec_lo, s0
	s_and_saveexec_b32 s0, vcc_lo
	s_cbranch_execz .LBB241_212
.LBB241_311:
	ds_load_b32 v0, v14 offset:448
	s_wait_dscnt 0x0
	v_add_f32_e32 v12, v12, v0
	s_wait_alu 0xfffe
	s_or_b32 exec_lo, exec_lo, s0
	s_and_saveexec_b32 s0, vcc_lo
	s_cbranch_execz .LBB241_213
.LBB241_312:
	ds_load_b32 v0, v14 offset:464
	s_wait_dscnt 0x0
	v_add_f32_e32 v13, v13, v0
	s_wait_alu 0xfffe
	s_or_b32 exec_lo, exec_lo, s0
	s_and_saveexec_b32 s0, vcc_lo
	s_cbranch_execz .LBB241_214
.LBB241_313:
	ds_load_b32 v0, v14 offset:480
	s_wait_dscnt 0x0
	v_add_f32_e32 v11, v11, v0
	s_wait_alu 0xfffe
	s_or_b32 exec_lo, exec_lo, s0
	s_and_saveexec_b32 s0, vcc_lo
	s_cbranch_execz .LBB241_215
.LBB241_314:
	ds_load_b32 v0, v14 offset:496
	s_wait_dscnt 0x0
	v_add_f32_e32 v15, v15, v0
	s_wait_alu 0xfffe
	s_or_b32 exec_lo, exec_lo, s0
	s_and_saveexec_b32 s0, vcc_lo
	s_cbranch_execz .LBB241_216
.LBB241_315:
	ds_load_b32 v0, v14 offset:512
	s_wait_dscnt 0x0
	v_add_f32_e32 v16, v16, v0
	s_wait_alu 0xfffe
	s_or_b32 exec_lo, exec_lo, s0
	s_and_saveexec_b32 s0, vcc_lo
	s_cbranch_execz .LBB241_217
.LBB241_316:
	ds_load_b32 v0, v14 offset:528
	s_wait_dscnt 0x0
	v_add_f32_e32 v17, v17, v0
	s_wait_alu 0xfffe
	s_or_b32 exec_lo, exec_lo, s0
	s_and_saveexec_b32 s0, vcc_lo
	s_cbranch_execz .LBB241_218
.LBB241_317:
	ds_load_b32 v0, v14 offset:544
	s_wait_dscnt 0x0
	v_add_f32_e32 v18, v18, v0
	s_wait_alu 0xfffe
	s_or_b32 exec_lo, exec_lo, s0
	s_and_saveexec_b32 s0, vcc_lo
	s_cbranch_execz .LBB241_219
.LBB241_318:
	ds_load_b32 v0, v14 offset:560
	s_wait_dscnt 0x0
	v_add_f32_e32 v19, v19, v0
	s_wait_alu 0xfffe
	s_or_b32 exec_lo, exec_lo, s0
	s_and_saveexec_b32 s0, vcc_lo
	s_cbranch_execz .LBB241_220
.LBB241_319:
	ds_load_b32 v0, v14 offset:576
	s_wait_dscnt 0x0
	v_add_f32_e32 v20, v20, v0
	s_wait_alu 0xfffe
	s_or_b32 exec_lo, exec_lo, s0
	s_and_saveexec_b32 s0, vcc_lo
	s_cbranch_execz .LBB241_221
.LBB241_320:
	ds_load_b32 v0, v14 offset:592
	s_wait_dscnt 0x0
	v_add_f32_e32 v21, v21, v0
	s_wait_alu 0xfffe
	s_or_b32 exec_lo, exec_lo, s0
	s_and_saveexec_b32 s0, vcc_lo
	s_cbranch_execz .LBB241_222
.LBB241_321:
	ds_load_b32 v0, v14 offset:608
	s_wait_dscnt 0x0
	v_add_f32_e32 v22, v22, v0
	s_wait_alu 0xfffe
	s_or_b32 exec_lo, exec_lo, s0
	s_and_saveexec_b32 s0, vcc_lo
	s_cbranch_execz .LBB241_223
.LBB241_322:
	ds_load_b32 v0, v14 offset:624
	s_wait_dscnt 0x0
	v_add_f32_e32 v23, v23, v0
	s_wait_alu 0xfffe
	s_or_b32 exec_lo, exec_lo, s0
	s_and_saveexec_b32 s0, vcc_lo
	s_cbranch_execz .LBB241_224
.LBB241_323:
	ds_load_b32 v0, v14 offset:640
	s_wait_dscnt 0x0
	v_add_f32_e32 v24, v24, v0
	s_wait_alu 0xfffe
	s_or_b32 exec_lo, exec_lo, s0
	s_and_saveexec_b32 s0, vcc_lo
	s_cbranch_execz .LBB241_225
.LBB241_324:
	ds_load_b32 v0, v14 offset:656
	s_wait_dscnt 0x0
	v_add_f32_e32 v25, v25, v0
	s_wait_alu 0xfffe
	s_or_b32 exec_lo, exec_lo, s0
	s_and_saveexec_b32 s0, vcc_lo
	s_cbranch_execz .LBB241_226
.LBB241_325:
	ds_load_b32 v0, v14 offset:672
	s_wait_dscnt 0x0
	v_add_f32_e32 v26, v26, v0
	s_wait_alu 0xfffe
	s_or_b32 exec_lo, exec_lo, s0
	s_and_saveexec_b32 s0, vcc_lo
	s_cbranch_execz .LBB241_227
.LBB241_326:
	ds_load_b32 v0, v14 offset:688
	s_wait_dscnt 0x0
	v_add_f32_e32 v27, v27, v0
	s_wait_alu 0xfffe
	s_or_b32 exec_lo, exec_lo, s0
	s_and_saveexec_b32 s0, vcc_lo
	s_cbranch_execz .LBB241_228
.LBB241_327:
	ds_load_b32 v0, v14 offset:704
	s_wait_dscnt 0x0
	v_add_f32_e32 v43, v43, v0
	s_wait_alu 0xfffe
	s_or_b32 exec_lo, exec_lo, s0
	s_and_saveexec_b32 s0, vcc_lo
	s_cbranch_execz .LBB241_229
.LBB241_328:
	ds_load_b32 v0, v14 offset:720
	s_wait_dscnt 0x0
	v_add_f32_e32 v47, v47, v0
	s_wait_alu 0xfffe
	s_or_b32 exec_lo, exec_lo, s0
	s_and_saveexec_b32 s0, vcc_lo
	s_cbranch_execz .LBB241_230
.LBB241_329:
	ds_load_b32 v0, v14 offset:736
	s_wait_dscnt 0x0
	v_add_f32_e32 v48, v48, v0
	s_wait_alu 0xfffe
	s_or_b32 exec_lo, exec_lo, s0
	s_and_saveexec_b32 s0, vcc_lo
	s_cbranch_execnz .LBB241_231
	s_branch .LBB241_232
	.section	.rodata,"a",@progbits
	.p2align	6, 0x0
	.amdhsa_kernel _ZN4vllm25paged_attention_v2_kernelIfhLi192ELi32ELi128ELNS_18Fp8KVCacheDataTypeE1ELb0ELi512EEEvPfS2_PT_PKS3_PKT0_S9_ifPKiSB_iPKfiiiSD_SD_iiiii
		.amdhsa_group_segment_fixed_size 800
		.amdhsa_private_segment_fixed_size 868
		.amdhsa_kernarg_size 400
		.amdhsa_user_sgpr_count 2
		.amdhsa_user_sgpr_dispatch_ptr 0
		.amdhsa_user_sgpr_queue_ptr 0
		.amdhsa_user_sgpr_kernarg_segment_ptr 1
		.amdhsa_user_sgpr_dispatch_id 0
		.amdhsa_user_sgpr_private_segment_size 0
		.amdhsa_wavefront_size32 1
		.amdhsa_uses_dynamic_stack 0
		.amdhsa_enable_private_segment 1
		.amdhsa_system_sgpr_workgroup_id_x 1
		.amdhsa_system_sgpr_workgroup_id_y 1
		.amdhsa_system_sgpr_workgroup_id_z 1
		.amdhsa_system_sgpr_workgroup_info 0
		.amdhsa_system_vgpr_workitem_id 0
		.amdhsa_next_free_vgpr 192
		.amdhsa_next_free_sgpr 36
		.amdhsa_reserve_vcc 1
		.amdhsa_float_round_mode_32 0
		.amdhsa_float_round_mode_16_64 0
		.amdhsa_float_denorm_mode_32 3
		.amdhsa_float_denorm_mode_16_64 3
		.amdhsa_fp16_overflow 0
		.amdhsa_workgroup_processor_mode 1
		.amdhsa_memory_ordered 1
		.amdhsa_forward_progress 1
		.amdhsa_inst_pref_size 232
		.amdhsa_round_robin_scheduling 0
		.amdhsa_exception_fp_ieee_invalid_op 0
		.amdhsa_exception_fp_denorm_src 0
		.amdhsa_exception_fp_ieee_div_zero 0
		.amdhsa_exception_fp_ieee_overflow 0
		.amdhsa_exception_fp_ieee_underflow 0
		.amdhsa_exception_fp_ieee_inexact 0
		.amdhsa_exception_int_div_zero 0
	.end_amdhsa_kernel
	.section	.text._ZN4vllm25paged_attention_v2_kernelIfhLi192ELi32ELi128ELNS_18Fp8KVCacheDataTypeE1ELb0ELi512EEEvPfS2_PT_PKS3_PKT0_S9_ifPKiSB_iPKfiiiSD_SD_iiiii,"axG",@progbits,_ZN4vllm25paged_attention_v2_kernelIfhLi192ELi32ELi128ELNS_18Fp8KVCacheDataTypeE1ELb0ELi512EEEvPfS2_PT_PKS3_PKT0_S9_ifPKiSB_iPKfiiiSD_SD_iiiii,comdat
.Lfunc_end241:
	.size	_ZN4vllm25paged_attention_v2_kernelIfhLi192ELi32ELi128ELNS_18Fp8KVCacheDataTypeE1ELb0ELi512EEEvPfS2_PT_PKS3_PKT0_S9_ifPKiSB_iPKfiiiSD_SD_iiiii, .Lfunc_end241-_ZN4vllm25paged_attention_v2_kernelIfhLi192ELi32ELi128ELNS_18Fp8KVCacheDataTypeE1ELb0ELi512EEEvPfS2_PT_PKS3_PKT0_S9_ifPKiSB_iPKfiiiSD_SD_iiiii
                                        ; -- End function
	.set _ZN4vllm25paged_attention_v2_kernelIfhLi192ELi32ELi128ELNS_18Fp8KVCacheDataTypeE1ELb0ELi512EEEvPfS2_PT_PKS3_PKT0_S9_ifPKiSB_iPKfiiiSD_SD_iiiii.num_vgpr, 192
	.set _ZN4vllm25paged_attention_v2_kernelIfhLi192ELi32ELi128ELNS_18Fp8KVCacheDataTypeE1ELb0ELi512EEEvPfS2_PT_PKS3_PKT0_S9_ifPKiSB_iPKfiiiSD_SD_iiiii.num_agpr, 0
	.set _ZN4vllm25paged_attention_v2_kernelIfhLi192ELi32ELi128ELNS_18Fp8KVCacheDataTypeE1ELb0ELi512EEEvPfS2_PT_PKS3_PKT0_S9_ifPKiSB_iPKfiiiSD_SD_iiiii.numbered_sgpr, 36
	.set _ZN4vllm25paged_attention_v2_kernelIfhLi192ELi32ELi128ELNS_18Fp8KVCacheDataTypeE1ELb0ELi512EEEvPfS2_PT_PKS3_PKT0_S9_ifPKiSB_iPKfiiiSD_SD_iiiii.num_named_barrier, 0
	.set _ZN4vllm25paged_attention_v2_kernelIfhLi192ELi32ELi128ELNS_18Fp8KVCacheDataTypeE1ELb0ELi512EEEvPfS2_PT_PKS3_PKT0_S9_ifPKiSB_iPKfiiiSD_SD_iiiii.private_seg_size, 868
	.set _ZN4vllm25paged_attention_v2_kernelIfhLi192ELi32ELi128ELNS_18Fp8KVCacheDataTypeE1ELb0ELi512EEEvPfS2_PT_PKS3_PKT0_S9_ifPKiSB_iPKfiiiSD_SD_iiiii.uses_vcc, 1
	.set _ZN4vllm25paged_attention_v2_kernelIfhLi192ELi32ELi128ELNS_18Fp8KVCacheDataTypeE1ELb0ELi512EEEvPfS2_PT_PKS3_PKT0_S9_ifPKiSB_iPKfiiiSD_SD_iiiii.uses_flat_scratch, 1
	.set _ZN4vllm25paged_attention_v2_kernelIfhLi192ELi32ELi128ELNS_18Fp8KVCacheDataTypeE1ELb0ELi512EEEvPfS2_PT_PKS3_PKT0_S9_ifPKiSB_iPKfiiiSD_SD_iiiii.has_dyn_sized_stack, 0
	.set _ZN4vllm25paged_attention_v2_kernelIfhLi192ELi32ELi128ELNS_18Fp8KVCacheDataTypeE1ELb0ELi512EEEvPfS2_PT_PKS3_PKT0_S9_ifPKiSB_iPKfiiiSD_SD_iiiii.has_recursion, 0
	.set _ZN4vllm25paged_attention_v2_kernelIfhLi192ELi32ELi128ELNS_18Fp8KVCacheDataTypeE1ELb0ELi512EEEvPfS2_PT_PKS3_PKT0_S9_ifPKiSB_iPKfiiiSD_SD_iiiii.has_indirect_call, 0
	.section	.AMDGPU.csdata,"",@progbits
; Kernel info:
; codeLenInByte = 29612
; TotalNumSgprs: 38
; NumVgprs: 192
; ScratchSize: 868
; MemoryBound: 0
; FloatMode: 240
; IeeeMode: 1
; LDSByteSize: 800 bytes/workgroup (compile time only)
; SGPRBlocks: 0
; VGPRBlocks: 23
; NumSGPRsForWavesPerEU: 38
; NumVGPRsForWavesPerEU: 192
; Occupancy: 8
; WaveLimiterHint : 1
; COMPUTE_PGM_RSRC2:SCRATCH_EN: 1
; COMPUTE_PGM_RSRC2:USER_SGPR: 2
; COMPUTE_PGM_RSRC2:TRAP_HANDLER: 0
; COMPUTE_PGM_RSRC2:TGID_X_EN: 1
; COMPUTE_PGM_RSRC2:TGID_Y_EN: 1
; COMPUTE_PGM_RSRC2:TGID_Z_EN: 1
; COMPUTE_PGM_RSRC2:TIDIG_COMP_CNT: 0
	.section	.text._ZN4vllm25paged_attention_v2_kernelIfhLi256ELi32ELi128ELNS_18Fp8KVCacheDataTypeE1ELb0ELi512EEEvPfS2_PT_PKS3_PKT0_S9_ifPKiSB_iPKfiiiSD_SD_iiiii,"axG",@progbits,_ZN4vllm25paged_attention_v2_kernelIfhLi256ELi32ELi128ELNS_18Fp8KVCacheDataTypeE1ELb0ELi512EEEvPfS2_PT_PKS3_PKT0_S9_ifPKiSB_iPKfiiiSD_SD_iiiii,comdat
	.protected	_ZN4vllm25paged_attention_v2_kernelIfhLi256ELi32ELi128ELNS_18Fp8KVCacheDataTypeE1ELb0ELi512EEEvPfS2_PT_PKS3_PKT0_S9_ifPKiSB_iPKfiiiSD_SD_iiiii ; -- Begin function _ZN4vllm25paged_attention_v2_kernelIfhLi256ELi32ELi128ELNS_18Fp8KVCacheDataTypeE1ELb0ELi512EEEvPfS2_PT_PKS3_PKT0_S9_ifPKiSB_iPKfiiiSD_SD_iiiii
	.globl	_ZN4vllm25paged_attention_v2_kernelIfhLi256ELi32ELi128ELNS_18Fp8KVCacheDataTypeE1ELb0ELi512EEEvPfS2_PT_PKS3_PKT0_S9_ifPKiSB_iPKfiiiSD_SD_iiiii
	.p2align	8
	.type	_ZN4vllm25paged_attention_v2_kernelIfhLi256ELi32ELi128ELNS_18Fp8KVCacheDataTypeE1ELb0ELi512EEEvPfS2_PT_PKS3_PKT0_S9_ifPKiSB_iPKfiiiSD_SD_iiiii,@function
_ZN4vllm25paged_attention_v2_kernelIfhLi256ELi32ELi128ELNS_18Fp8KVCacheDataTypeE1ELb0ELi512EEEvPfS2_PT_PKS3_PKT0_S9_ifPKiSB_iPKfiiiSD_SD_iiiii: ; @_ZN4vllm25paged_attention_v2_kernelIfhLi256ELi32ELi128ELNS_18Fp8KVCacheDataTypeE1ELb0ELi512EEEvPfS2_PT_PKS3_PKT0_S9_ifPKiSB_iPKfiiiSD_SD_iiiii
; %bb.0:
	s_load_b64 s[2:3], s[0:1], 0x40
	s_and_b32 s30, ttmp7, 0xffff
	s_lshr_b32 s26, ttmp7, 16
	s_lshl_b32 s4, s30, 2
	s_lshl_b32 s28, s26, 9
	s_wait_kmcnt 0x0
	s_load_b32 s27, s[2:3], s4 offset:0x0
	s_wait_kmcnt 0x0
	s_cmp_ge_i32 s28, s27
	s_cbranch_scc1 .LBB242_299
; %bb.1:
	scratch_store_b32 off, v0, off offset:1372 ; 4-byte Folded Spill
	s_clause 0x1
	s_load_b32 s31, s[0:1], 0x90
	s_load_b64 s[8:9], s[0:1], 0x30
	s_wait_kmcnt 0x0
	s_abs_i32 s5, s31
	s_abs_i32 s2, s8
	s_delay_alu instid0(SALU_CYCLE_1) | instskip(SKIP_1) | instid1(SALU_CYCLE_2)
	s_cvt_f32_u32 s3, s2
	s_sub_co_i32 s4, 0, s2
	v_rcp_iflag_f32_e32 v0, s3
	s_delay_alu instid0(TRANS32_DEP_1) | instskip(SKIP_2) | instid1(SALU_CYCLE_2)
	v_readfirstlane_b32 s3, v0
	s_mul_f32 s3, s3, 0x4f7ffffe
	s_wait_alu 0xfffe
	s_cvt_u32_f32 s3, s3
	s_wait_alu 0xfffe
	s_delay_alu instid0(SALU_CYCLE_2) | instskip(NEXT) | instid1(SALU_CYCLE_1)
	s_mul_i32 s4, s4, s3
	s_mul_hi_u32 s4, s3, s4
	s_delay_alu instid0(SALU_CYCLE_1)
	s_add_co_i32 s3, s3, s4
	s_xor_b32 s4, s31, s8
	s_wait_alu 0xfffe
	s_mul_hi_u32 s3, s5, s3
	s_ashr_i32 s4, s4, 31
	s_wait_alu 0xfffe
	s_mul_i32 s6, s3, s2
	s_delay_alu instid0(SALU_CYCLE_1)
	s_sub_co_i32 s5, s5, s6
	s_add_co_i32 s6, s3, 1
	s_sub_co_i32 s7, s5, s2
	s_cmp_ge_u32 s5, s2
	s_cselect_b32 s3, s6, s3
	s_cselect_b32 s5, s7, s5
	s_wait_alu 0xfffe
	s_add_co_i32 s6, s3, 1
	s_cmp_ge_u32 s5, s2
	s_mov_b32 s5, 0
	s_cselect_b32 s2, s6, s3
	s_load_b64 s[6:7], s[0:1], 0x50
	s_xor_b32 s2, s2, s4
	s_mov_b32 s8, s5
	s_wait_alu 0xfffe
	s_sub_co_i32 s11, s2, s4
	s_abs_i32 s4, ttmp9
	s_abs_i32 s10, s11
	s_delay_alu instid0(SALU_CYCLE_1) | instskip(SKIP_2) | instid1(SALU_CYCLE_1)
	s_cvt_f32_u32 s2, s10
	s_sub_co_i32 s3, 0, s10
	s_wait_alu 0xfffe
	v_rcp_iflag_f32_e32 v0, s2
	s_delay_alu instid0(TRANS32_DEP_1) | instskip(SKIP_2) | instid1(SALU_CYCLE_2)
	v_readfirstlane_b32 s2, v0
	s_mul_f32 s2, s2, 0x4f7ffffe
	s_wait_alu 0xfffe
	s_cvt_u32_f32 s2, s2
	s_wait_alu 0xfffe
	s_delay_alu instid0(SALU_CYCLE_2)
	s_mul_i32 s3, s3, s2
	s_wait_alu 0xfffe
	s_mul_hi_u32 s3, s2, s3
	s_wait_alu 0xfffe
	s_add_co_i32 s2, s2, s3
	s_mov_b32 s3, s5
	s_wait_kmcnt 0x0
	s_cmp_eq_u64 s[6:7], 0
	s_cbranch_scc1 .LBB242_3
; %bb.2:
	s_mov_b32 s12, ttmp9
	s_ashr_i32 s13, ttmp9, 31
	s_delay_alu instid0(SALU_CYCLE_1) | instskip(NEXT) | instid1(SALU_CYCLE_1)
	s_lshl_b64 s[12:13], s[12:13], 2
	s_add_nc_u64 s[6:7], s[6:7], s[12:13]
	s_load_b32 s8, s[6:7], 0x0
.LBB242_3:
	scratch_load_b32 v0, off, off offset:1372 ; 4-byte Folded Reload
	s_load_b96 s[12:14], s[0:1], 0x58
	s_mul_u64 s[2:3], s[4:5], s[2:3]
	s_ashr_i32 s5, ttmp9, 31
	s_ashr_i32 s6, s11, 31
	s_lshl_b32 s16, ttmp9, 8
	s_wait_loadcnt 0x0
	v_cmp_gt_u32_e64 s2, 64, v0
	s_wait_alu 0xfffe
	s_and_saveexec_b32 s7, s2
	s_cbranch_execz .LBB242_5
; %bb.4:
	s_load_b64 s[18:19], s[0:1], 0x18
	s_wait_kmcnt 0x0
	s_mul_i32 s20, s12, s30
	s_ashr_i32 s17, s16, 31
	s_ashr_i32 s21, s20, 31
	v_lshlrev_b32_e32 v4, 4, v0
	s_lshl_b64 s[20:21], s[20:21], 2
	s_delay_alu instid0(SALU_CYCLE_1) | instskip(SKIP_1) | instid1(SALU_CYCLE_1)
	s_add_nc_u64 s[18:19], s[18:19], s[20:21]
	s_lshl_b64 s[20:21], s[16:17], 2
	s_add_nc_u64 s[18:19], s[18:19], s[20:21]
	global_load_b128 v[0:3], v4, s[18:19]
	s_wait_loadcnt 0x0
	ds_store_b128 v4, v[0:3]
	scratch_load_b32 v0, off, off offset:1372 ; 4-byte Folded Reload
.LBB242_5:
	s_or_b32 exec_lo, exec_lo, s7
	s_add_co_i32 s7, s27, 31
	s_lshl_b32 s33, s26, 4
	s_ashr_i32 s11, s7, 31
	s_xor_b32 s15, s5, s6
	s_lshr_b32 s11, s11, 27
	s_mul_i32 s6, s3, s10
	s_add_co_i32 s7, s7, s11
	s_add_co_i32 s5, s33, 16
	s_ashr_i32 s29, s7, 5
	s_sub_co_i32 s20, s4, s6
	s_clause 0x1
	s_load_b64 s[18:19], s[0:1], 0x38
	s_load_b32 s11, s[0:1], 0x48
	s_min_i32 s17, s5, s29
	s_add_co_i32 s4, s3, 1
	s_sub_co_i32 s21, s20, s10
	s_cmp_ge_u32 s20, s10
	s_wait_loadcnt 0x0
	v_lshrrev_b32_e32 v1, 5, v0
	s_cselect_b32 s3, s4, s3
	s_wait_kmcnt 0x0
	s_clause 0x1
	s_load_b32 s12, s[0:1], 0x98
	s_load_b128 s[4:7], s[0:1], 0x68
	s_cselect_b32 s20, s21, s20
	s_add_co_i32 s21, s3, 1
	s_cmp_ge_u32 s20, s10
	v_and_b32_e32 v0, 31, v0
	v_add_nc_u32_e32 v12, s33, v1
	s_cselect_b32 s3, s21, s3
	v_mov_b32_e32 v4, 0xff7fffff
	s_wait_alu 0xfffe
	s_xor_b32 s3, s3, s15
	v_lshlrev_b32_e32 v9, 2, v0
	s_wait_alu 0xfffe
	s_sub_co_i32 s10, s3, s15
	v_cmp_gt_i32_e64 s3, s17, v12
	s_mul_i32 s20, s10, s14
	s_mul_i32 s22, s11, s30
	scratch_store_b32 off, v1, off offset:1380 ; 4-byte Folded Spill
	s_ashr_i32 s23, s22, 31
	s_wait_storecnt_dscnt 0x0
	s_barrier_signal -1
	scratch_store_b32 off, v0, off offset:1376 ; 4-byte Folded Spill
	s_barrier_wait -1
	s_wait_storecnt 0x0
	global_inv scope:SCOPE_SE
	s_and_saveexec_b32 s10, s3
	s_cbranch_execz .LBB242_9
; %bb.6:
	scratch_load_b32 v2, off, off offset:1376 ; 4-byte Folded Reload
	s_load_b64 s[14:15], s[0:1], 0x20
	s_ashr_i32 s21, s20, 31
	s_cmp_neq_f32 s8, 0
	s_mov_b32 s11, s13
	v_mov_b32_e32 v1, 0
	scratch_store_b32 off, v9, off offset:1384 ; 4-byte Folded Spill
	s_cselect_b32 vcc_lo, -1, 0
	s_sub_co_i32 s24, 1, s27
	s_wait_kmcnt 0x0
	s_add_nc_u64 s[14:15], s[14:15], s[20:21]
	s_wait_loadcnt 0x0
	v_lshlrev_b32_e32 v0, 4, v2
	s_delay_alu instid0(VALU_DEP_1)
	v_add_co_u32 v3, s14, s14, v0
	s_wait_alu 0xf1ff
	v_add_co_ci_u32_e64 v4, null, s15, 0, s14
	s_load_b32 s15, s[4:5], 0x0
	s_lshl_b64 s[4:5], s[22:23], 2
	s_mov_b32 s14, 0
	scratch_store_b64 off, v[3:4], off offset:332 ; 8-byte Folded Spill
	ds_load_b128 v[3:6], v1
	s_add_nc_u64 s[4:5], s[18:19], s[4:5]
	s_wait_kmcnt 0x0
	s_mov_b32 s21, s15
	s_wait_dscnt 0x0
	scratch_store_b128 off, v[3:6], off offset:340 ; 16-byte Folded Spill
	ds_load_b128 v[3:6], v1 offset:16
	s_wait_dscnt 0x0
	scratch_store_b128 off, v[3:6], off offset:356 ; 16-byte Folded Spill
	ds_load_b128 v[3:6], v1 offset:32
	s_wait_dscnt 0x0
	scratch_store_b128 off, v[3:6], off offset:372 ; 16-byte Folded Spill
	ds_load_b128 v[3:6], v1 offset:48
	s_wait_dscnt 0x0
	scratch_store_b128 off, v[3:6], off offset:388 ; 16-byte Folded Spill
	ds_load_b128 v[3:6], v1 offset:64
	s_wait_dscnt 0x0
	scratch_store_b128 off, v[3:6], off offset:404 ; 16-byte Folded Spill
	ds_load_b128 v[3:6], v1 offset:80
	s_wait_dscnt 0x0
	scratch_store_b128 off, v[3:6], off offset:420 ; 16-byte Folded Spill
	ds_load_b128 v[3:6], v1 offset:96
	s_wait_dscnt 0x0
	scratch_store_b128 off, v[3:6], off offset:436 ; 16-byte Folded Spill
	ds_load_b128 v[3:6], v1 offset:112
	s_wait_dscnt 0x0
	scratch_store_b128 off, v[3:6], off offset:452 ; 16-byte Folded Spill
	ds_load_b128 v[3:6], v1 offset:128
	s_wait_dscnt 0x0
	scratch_store_b128 off, v[3:6], off offset:468 ; 16-byte Folded Spill
	ds_load_b128 v[3:6], v1 offset:144
	s_wait_dscnt 0x0
	scratch_store_b128 off, v[3:6], off offset:484 ; 16-byte Folded Spill
	ds_load_b128 v[3:6], v1 offset:160
	s_wait_dscnt 0x0
	scratch_store_b128 off, v[3:6], off offset:500 ; 16-byte Folded Spill
	ds_load_b128 v[3:6], v1 offset:176
	s_wait_dscnt 0x0
	scratch_store_b128 off, v[3:6], off offset:516 ; 16-byte Folded Spill
	ds_load_b128 v[3:6], v1 offset:192
	s_wait_dscnt 0x0
	scratch_store_b128 off, v[3:6], off offset:532 ; 16-byte Folded Spill
	ds_load_b128 v[3:6], v1 offset:208
	s_wait_dscnt 0x0
	scratch_store_b128 off, v[3:6], off offset:548 ; 16-byte Folded Spill
	ds_load_b128 v[3:6], v1 offset:224
	s_wait_dscnt 0x0
	scratch_store_b128 off, v[3:6], off offset:564 ; 16-byte Folded Spill
	ds_load_b128 v[3:6], v1 offset:240
	s_wait_dscnt 0x0
	scratch_store_b128 off, v[3:6], off offset:580 ; 16-byte Folded Spill
	ds_load_b128 v[3:6], v1 offset:256
	s_wait_dscnt 0x0
	scratch_store_b128 off, v[3:6], off offset:596 ; 16-byte Folded Spill
	ds_load_b128 v[3:6], v1 offset:272
	s_wait_dscnt 0x0
	scratch_store_b128 off, v[3:6], off offset:612 ; 16-byte Folded Spill
	ds_load_b128 v[3:6], v1 offset:288
	s_wait_dscnt 0x0
	scratch_store_b128 off, v[3:6], off offset:628 ; 16-byte Folded Spill
	ds_load_b128 v[3:6], v1 offset:304
	s_wait_dscnt 0x0
	scratch_store_b128 off, v[3:6], off offset:644 ; 16-byte Folded Spill
	ds_load_b128 v[3:6], v1 offset:320
	s_wait_dscnt 0x0
	scratch_store_b128 off, v[3:6], off offset:660 ; 16-byte Folded Spill
	ds_load_b128 v[3:6], v1 offset:336
	s_wait_dscnt 0x0
	scratch_store_b128 off, v[3:6], off offset:676 ; 16-byte Folded Spill
	ds_load_b128 v[3:6], v1 offset:352
	s_wait_dscnt 0x0
	scratch_store_b128 off, v[3:6], off offset:692 ; 16-byte Folded Spill
	ds_load_b128 v[3:6], v1 offset:368
	s_wait_dscnt 0x0
	scratch_store_b128 off, v[3:6], off offset:708 ; 16-byte Folded Spill
	ds_load_b128 v[3:6], v1 offset:384
	s_wait_dscnt 0x0
	scratch_store_b128 off, v[3:6], off offset:724 ; 16-byte Folded Spill
	ds_load_b128 v[3:6], v1 offset:400
	s_wait_dscnt 0x0
	scratch_store_b128 off, v[3:6], off offset:740 ; 16-byte Folded Spill
	ds_load_b128 v[3:6], v1 offset:416
	s_wait_dscnt 0x0
	scratch_store_b128 off, v[3:6], off offset:756 ; 16-byte Folded Spill
	ds_load_b128 v[3:6], v1 offset:432
	s_wait_dscnt 0x0
	scratch_store_b128 off, v[3:6], off offset:772 ; 16-byte Folded Spill
	ds_load_b128 v[3:6], v1 offset:448
	s_wait_dscnt 0x0
	scratch_store_b128 off, v[3:6], off offset:788 ; 16-byte Folded Spill
	ds_load_b128 v[3:6], v1 offset:464
	s_wait_dscnt 0x0
	scratch_store_b128 off, v[3:6], off offset:804 ; 16-byte Folded Spill
	ds_load_b128 v[3:6], v1 offset:480
	s_wait_dscnt 0x0
	scratch_store_b128 off, v[3:6], off offset:820 ; 16-byte Folded Spill
	ds_load_b128 v[3:6], v1 offset:496
	s_wait_dscnt 0x0
	scratch_store_b128 off, v[3:6], off offset:836 ; 16-byte Folded Spill
	ds_load_b128 v[3:6], v1 offset:512
	s_wait_dscnt 0x0
	scratch_store_b128 off, v[3:6], off offset:852 ; 16-byte Folded Spill
	ds_load_b128 v[3:6], v1 offset:528
	s_wait_dscnt 0x0
	scratch_store_b128 off, v[3:6], off offset:868 ; 16-byte Folded Spill
	ds_load_b128 v[3:6], v1 offset:544
	s_wait_dscnt 0x0
	scratch_store_b128 off, v[3:6], off offset:884 ; 16-byte Folded Spill
	ds_load_b128 v[3:6], v1 offset:560
	s_wait_dscnt 0x0
	scratch_store_b128 off, v[3:6], off offset:900 ; 16-byte Folded Spill
	ds_load_b128 v[3:6], v1 offset:576
	s_wait_dscnt 0x0
	scratch_store_b128 off, v[3:6], off offset:916 ; 16-byte Folded Spill
	ds_load_b128 v[3:6], v1 offset:592
	s_wait_dscnt 0x0
	scratch_store_b128 off, v[3:6], off offset:932 ; 16-byte Folded Spill
	ds_load_b128 v[3:6], v1 offset:608
	s_wait_dscnt 0x0
	scratch_store_b128 off, v[3:6], off offset:948 ; 16-byte Folded Spill
	ds_load_b128 v[3:6], v1 offset:624
	s_wait_dscnt 0x0
	scratch_store_b128 off, v[3:6], off offset:964 ; 16-byte Folded Spill
	ds_load_b128 v[3:6], v1 offset:640
	s_wait_dscnt 0x0
	scratch_store_b128 off, v[3:6], off offset:980 ; 16-byte Folded Spill
	ds_load_b128 v[3:6], v1 offset:656
	s_wait_dscnt 0x0
	scratch_store_b128 off, v[3:6], off offset:996 ; 16-byte Folded Spill
	ds_load_b128 v[3:6], v1 offset:672
	s_wait_dscnt 0x0
	scratch_store_b128 off, v[3:6], off offset:1012 ; 16-byte Folded Spill
	ds_load_b128 v[3:6], v1 offset:688
	s_wait_dscnt 0x0
	scratch_store_b128 off, v[3:6], off offset:1028 ; 16-byte Folded Spill
	ds_load_b128 v[3:6], v1 offset:704
	s_wait_dscnt 0x0
	scratch_store_b128 off, v[3:6], off offset:1044 ; 16-byte Folded Spill
	ds_load_b128 v[3:6], v1 offset:720
	s_wait_dscnt 0x0
	scratch_store_b128 off, v[3:6], off offset:1060 ; 16-byte Folded Spill
	ds_load_b128 v[3:6], v1 offset:736
	s_wait_dscnt 0x0
	scratch_store_b128 off, v[3:6], off offset:1076 ; 16-byte Folded Spill
	ds_load_b128 v[3:6], v1 offset:752
	s_wait_dscnt 0x0
	scratch_store_b128 off, v[3:6], off offset:1092 ; 16-byte Folded Spill
	ds_load_b128 v[3:6], v1 offset:768
	s_wait_dscnt 0x0
	scratch_store_b128 off, v[3:6], off offset:1108 ; 16-byte Folded Spill
	ds_load_b128 v[3:6], v1 offset:784
	s_wait_dscnt 0x0
	scratch_store_b128 off, v[3:6], off offset:1124 ; 16-byte Folded Spill
	ds_load_b128 v[3:6], v1 offset:800
	s_wait_dscnt 0x0
	scratch_store_b128 off, v[3:6], off offset:1140 ; 16-byte Folded Spill
	ds_load_b128 v[3:6], v1 offset:816
	s_wait_dscnt 0x0
	scratch_store_b128 off, v[3:6], off offset:1156 ; 16-byte Folded Spill
	ds_load_b128 v[3:6], v1 offset:832
	s_wait_dscnt 0x0
	scratch_store_b128 off, v[3:6], off offset:1172 ; 16-byte Folded Spill
	ds_load_b128 v[3:6], v1 offset:848
	s_wait_dscnt 0x0
	scratch_store_b128 off, v[3:6], off offset:1196 ; 16-byte Folded Spill
	ds_load_b128 v[3:6], v1 offset:864
	s_wait_dscnt 0x0
	scratch_store_b128 off, v[3:6], off offset:1212 ; 16-byte Folded Spill
	ds_load_b128 v[3:6], v1 offset:880
	s_wait_dscnt 0x0
	scratch_store_b128 off, v[3:6], off offset:1228 ; 16-byte Folded Spill
	ds_load_b128 v[3:6], v1 offset:896
	s_wait_dscnt 0x0
	scratch_store_b128 off, v[3:6], off offset:1244 ; 16-byte Folded Spill
	ds_load_b128 v[3:6], v1 offset:912
	s_wait_dscnt 0x0
	scratch_store_b128 off, v[3:6], off offset:1260 ; 16-byte Folded Spill
	ds_load_b128 v[3:6], v1 offset:928
	s_wait_dscnt 0x0
	scratch_store_b128 off, v[3:6], off offset:1276 ; 16-byte Folded Spill
	ds_load_b128 v[3:6], v1 offset:944
	s_wait_dscnt 0x0
	scratch_store_b128 off, v[3:6], off offset:1292 ; 16-byte Folded Spill
	ds_load_b128 v[3:6], v1 offset:960
	s_wait_dscnt 0x0
	scratch_store_b128 off, v[3:6], off offset:1308 ; 16-byte Folded Spill
	ds_load_b128 v[3:6], v1 offset:976
	s_wait_dscnt 0x0
	scratch_store_b128 off, v[3:6], off offset:1324 ; 16-byte Folded Spill
	ds_load_b128 v[3:6], v1 offset:992
	s_wait_dscnt 0x0
	scratch_store_b128 off, v[3:6], off offset:1340 ; 16-byte Folded Spill
	ds_load_b128 v[3:6], v1 offset:1008
	scratch_load_b32 v1, off, off offset:1380 ; 4-byte Folded Reload
	s_wait_loadcnt 0x0
	v_lshlrev_b32_e32 v0, 5, v1
	s_delay_alu instid0(VALU_DEP_1) | instskip(SKIP_1) | instid1(VALU_DEP_1)
	v_add3_u32 v115, s28, v0, v2
	v_lshl_or_b32 v0, v1, 7, v9
	v_add_nc_u32_e32 v1, 0x420, v0
	v_lshlrev_b32_e32 v0, 2, v12
	s_delay_alu instid0(VALU_DEP_1)
	v_add_co_u32 v190, s4, s4, v0
	s_wait_alu 0xf1ff
	v_add_co_ci_u32_e64 v191, null, s5, 0, s4
	v_mov_b32_e32 v0, v12
	s_wait_dscnt 0x0
	scratch_store_b128 off, v[3:6], off offset:1356 ; 16-byte Folded Spill
	v_mov_b32_e32 v4, 0xff7fffff
	scratch_store_b64 off, v[0:1], off offset:1188 ; 8-byte Folded Spill
.LBB242_7:                              ; =>This Inner Loop Header: Depth=1
	s_clause 0x2
	scratch_store_b32 off, v0, off offset:8
	scratch_store_b32 off, v1, off
	scratch_store_b32 off, v4, off offset:4
	global_load_b32 v0, v[190:191], off
	scratch_load_b64 v[1:2], off, off offset:332 ; 8-byte Folded Reload
	v_cmp_gt_i32_e64 s4, s27, v115
	s_wait_loadcnt 0x0
	v_mad_co_i64_i32 v[69:70], null, v0, s11, v[1:2]
	s_clause 0x1
	global_load_b128 v[0:3], v[69:70], off
	global_load_b128 v[36:39], v[69:70], off offset:7168
	s_wait_loadcnt 0x1
	v_and_b32_e32 v34, 0xffff, v0
	v_lshrrev_b32_e32 v90, 16, v0
	v_and_b32_e32 v89, 0xffff, v1
	v_lshrrev_b32_e32 v88, 16, v1
	;; [unrolled: 2-line block ×4, first 2 shown]
	global_load_b128 v[0:3], v[69:70], off offset:512
	s_wait_loadcnt 0x1
	v_and_b32_e32 v9, 0xffff, v36
	v_lshrrev_b32_e32 v8, 16, v36
	v_and_b32_e32 v11, 0xffff, v39
	v_lshrrev_b32_e32 v65, 16, v39
	s_wait_loadcnt 0x0
	v_and_b32_e32 v35, 0xffff, v0
	v_lshrrev_b32_e32 v24, 16, v0
	v_and_b32_e32 v26, 0xffff, v1
	v_lshrrev_b32_e32 v27, 16, v1
	v_and_b32_e32 v29, 0xffff, v2
	v_lshrrev_b32_e32 v30, 16, v2
	v_and_b32_e32 v32, 0xffff, v3
	v_lshrrev_b32_e32 v33, 16, v3
	global_load_b128 v[0:3], v[69:70], off offset:1024
	s_wait_loadcnt 0x0
	v_and_b32_e32 v86, 0xffff, v0
	v_lshrrev_b32_e32 v80, 16, v0
	v_and_b32_e32 v31, 0xffff, v1
	v_lshrrev_b32_e32 v28, 16, v1
	v_and_b32_e32 v25, 0xffff, v2
	v_lshrrev_b32_e32 v95, 16, v2
	v_and_b32_e32 v93, 0xffff, v3
	v_lshrrev_b32_e32 v91, 16, v3
	global_load_b128 v[0:3], v[69:70], off offset:1536
	;; [unrolled: 10-line block ×4, first 2 shown]
	scratch_store_b32 off, v0, off offset:12 ; 4-byte Folded Spill
	s_wait_loadcnt 0x0
	v_and_b32_e32 v0, 0xffff, v2
	v_and_b32_e32 v14, 0xffff, v1
	v_lshrrev_b32_e32 v12, 16, v1
	v_lshrrev_b32_e32 v68, 16, v4
	scratch_store_b32 off, v0, off offset:32 ; 4-byte Folded Spill
	v_lshrrev_b32_e32 v0, 16, v2
	scratch_store_b32 off, v0, off offset:36 ; 4-byte Folded Spill
	v_and_b32_e32 v0, 0xffff, v3
	scratch_store_b32 off, v0, off offset:44 ; 4-byte Folded Spill
	v_lshrrev_b32_e32 v0, 16, v3
	scratch_store_b32 off, v0, off offset:48 ; 4-byte Folded Spill
	v_and_b32_e32 v0, 0xffff, v4
	global_load_b128 v[1:4], v[69:70], off offset:3072
	scratch_store_b32 off, v0, off offset:56 ; 4-byte Folded Spill
	s_wait_loadcnt 0x0
	v_lshrrev_b32_e32 v0, 16, v1
	v_and_b32_e32 v66, 0xffff, v1
	scratch_store_b32 off, v0, off offset:60 ; 4-byte Folded Spill
	v_and_b32_e32 v0, 0xffff, v2
	scratch_store_b32 off, v0, off offset:52 ; 4-byte Folded Spill
	v_lshrrev_b32_e32 v0, 16, v2
	scratch_store_b32 off, v0, off offset:40 ; 4-byte Folded Spill
	v_and_b32_e32 v0, 0xffff, v3
	scratch_store_b32 off, v0, off offset:28 ; 4-byte Folded Spill
	v_lshrrev_b32_e32 v0, 16, v3
	;; [unrolled: 4-line block ×3, first 2 shown]
	global_load_b128 v[1:4], v[69:70], off offset:3584
	scratch_store_b32 off, v0, off offset:16 ; 4-byte Folded Spill
	s_wait_loadcnt 0x0
	v_lshrrev_b32_e32 v0, 16, v1
	v_and_b32_e32 v67, 0xffff, v1
	v_and_b32_e32 v127, 0xffff, v4
	v_lshrrev_b32_e32 v125, 16, v4
	scratch_store_b32 off, v0, off offset:76 ; 4-byte Folded Spill
	v_and_b32_e32 v0, 0xffff, v2
	scratch_store_b32 off, v0, off offset:84 ; 4-byte Folded Spill
	v_lshrrev_b32_e32 v0, 16, v2
	scratch_store_b32 off, v0, off offset:88 ; 4-byte Folded Spill
	v_and_b32_e32 v0, 0xffff, v3
	scratch_store_b32 off, v0, off offset:96 ; 4-byte Folded Spill
	v_lshrrev_b32_e32 v0, 16, v3
	global_load_b128 v[1:4], v[69:70], off offset:4096
	scratch_store_b32 off, v0, off offset:100 ; 4-byte Folded Spill
	s_wait_loadcnt 0x0
	v_and_b32_e32 v0, 0xffff, v2
	v_and_b32_e32 v124, 0xffff, v1
	v_lshrrev_b32_e32 v126, 16, v1
	scratch_store_b32 off, v0, off offset:104 ; 4-byte Folded Spill
	v_lshrrev_b32_e32 v0, 16, v2
	scratch_store_b32 off, v0, off offset:92 ; 4-byte Folded Spill
	v_and_b32_e32 v0, 0xffff, v3
	scratch_store_b32 off, v0, off offset:80 ; 4-byte Folded Spill
	v_lshrrev_b32_e32 v0, 16, v3
	scratch_store_b32 off, v0, off offset:72 ; 4-byte Folded Spill
	v_and_b32_e32 v0, 0xffff, v4
	scratch_store_b32 off, v0, off offset:68 ; 4-byte Folded Spill
	v_lshrrev_b32_e32 v0, 16, v4
	global_load_b128 v[1:4], v[69:70], off offset:4608
	scratch_store_b32 off, v0, off offset:64 ; 4-byte Folded Spill
	s_wait_loadcnt 0x0
	v_and_b32_e32 v123, 0xffff, v1
	v_lshrrev_b32_e32 v122, 16, v1
	v_and_b32_e32 v121, 0xffff, v2
	v_lshrrev_b32_e32 v120, 16, v2
	;; [unrolled: 2-line block ×4, first 2 shown]
	global_load_b128 v[1:4], v[69:70], off offset:5120
	s_wait_loadcnt 0x0
	v_and_b32_e32 v0, 0xffff, v1
	v_lshrrev_b32_e32 v1, 16, v1
	scratch_store_b32 off, v1, off offset:132 ; 4-byte Folded Spill
	v_and_b32_e32 v1, 0xffff, v2
	scratch_store_b32 off, v1, off offset:128 ; 4-byte Folded Spill
	v_lshrrev_b32_e32 v1, 16, v2
	scratch_store_b32 off, v1, off offset:124 ; 4-byte Folded Spill
	v_and_b32_e32 v1, 0xffff, v3
	scratch_store_b32 off, v1, off offset:120 ; 4-byte Folded Spill
	;; [unrolled: 4-line block ×3, first 2 shown]
	v_lshrrev_b32_e32 v1, 16, v4
	scratch_store_b32 off, v1, off offset:108 ; 4-byte Folded Spill
	global_load_b128 v[1:4], v[69:70], off offset:5632
	s_wait_loadcnt 0x0
	v_and_b32_e32 v5, 0xffff, v1
	v_lshrrev_b32_e32 v1, 16, v1
	v_lshrrev_b32_e32 v21, 16, v4
	scratch_store_b32 off, v1, off offset:152 ; 4-byte Folded Spill
	v_and_b32_e32 v1, 0xffff, v2
	scratch_store_b32 off, v1, off offset:160 ; 4-byte Folded Spill
	v_lshrrev_b32_e32 v1, 16, v2
	scratch_store_b32 off, v1, off offset:164 ; 4-byte Folded Spill
	v_and_b32_e32 v1, 0xffff, v3
	scratch_store_b32 off, v1, off offset:172 ; 4-byte Folded Spill
	v_lshrrev_b32_e32 v1, 16, v3
	scratch_store_b32 off, v1, off offset:176 ; 4-byte Folded Spill
	v_and_b32_e32 v1, 0xffff, v4
	scratch_store_b32 off, v1, off offset:180 ; 4-byte Folded Spill
	global_load_b128 v[1:4], v[69:70], off offset:6144
	s_wait_loadcnt 0x0
	v_and_b32_e32 v16, 0xffff, v1
	v_lshrrev_b32_e32 v1, 16, v1
	scratch_store_b32 off, v1, off offset:192 ; 4-byte Folded Spill
	v_and_b32_e32 v1, 0xffff, v2
	scratch_store_b32 off, v1, off offset:184 ; 4-byte Folded Spill
	v_lshrrev_b32_e32 v1, 16, v2
	scratch_store_b32 off, v1, off offset:168 ; 4-byte Folded Spill
	v_and_b32_e32 v1, 0xffff, v3
	scratch_store_b32 off, v1, off offset:156 ; 4-byte Folded Spill
	v_lshrrev_b32_e32 v1, 16, v3
	scratch_store_b32 off, v1, off offset:144 ; 4-byte Folded Spill
	v_and_b32_e32 v1, 0xffff, v4
	scratch_store_b32 off, v1, off offset:140 ; 4-byte Folded Spill
	v_lshrrev_b32_e32 v1, 16, v4
	scratch_store_b32 off, v5, off offset:148 ; 4-byte Folded Spill
	v_and_b32_e32 v5, 0xffff, v37
	scratch_store_b32 off, v1, off offset:136 ; 4-byte Folded Spill
	global_load_b128 v[1:4], v[69:70], off offset:6656
	s_wait_loadcnt 0x0
	v_and_b32_e32 v75, 0xffff, v2
	v_lshrrev_b32_e32 v76, 16, v2
	v_and_b32_e32 v77, 0xffff, v3
	v_lshrrev_b32_e32 v79, 16, v3
	;; [unrolled: 2-line block ×3, first 2 shown]
	v_lshrrev_b32_e32 v4, 16, v37
	v_and_b32_e32 v3, 0xffff, v38
	v_lshrrev_b32_e32 v2, 16, v38
	global_load_b128 v[36:39], v[69:70], off offset:7680
	v_lshrrev_b32_e32 v74, 16, v1
	s_wait_loadcnt 0x0
	v_and_b32_e32 v107, 0xffff, v36
	v_lshrrev_b32_e32 v54, 16, v36
	v_and_b32_e32 v57, 0xffff, v37
	v_lshrrev_b32_e32 v59, 16, v37
	v_cvt_pk_f32_fp8_e32 v[36:37], v34
	v_and_b32_e32 v108, 0xffff, v38
	v_lshrrev_b32_e32 v62, 16, v38
	v_lshrrev_b32_e32 v64, 16, v39
	s_delay_alu instid0(VALU_DEP_4) | instskip(SKIP_2) | instid1(VALU_DEP_1)
	v_mul_f32_e32 v48, s21, v37
	v_mul_f32_e32 v60, s15, v36
	v_cvt_pk_f32_fp8_e32 v[36:37], v90
	v_dual_mul_f32 v40, s21, v37 :: v_dual_mul_f32 v51, s15, v36
	v_cvt_pk_f32_fp8_e32 v[36:37], v89
	v_cvt_pk_f32_fp8_e32 v[34:35], v35
	s_delay_alu instid0(VALU_DEP_2) | instskip(SKIP_1) | instid1(VALU_DEP_3)
	v_dual_mul_f32 v110, s21, v37 :: v_dual_mul_f32 v111, s15, v36
	v_cvt_pk_f32_fp8_e32 v[36:37], v88
	v_dual_mul_f32 v106, s21, v35 :: v_dual_mul_f32 v53, s15, v34
	v_cvt_pk_f32_fp8_e32 v[34:35], v24
	s_delay_alu instid0(VALU_DEP_3) | instskip(SKIP_1) | instid1(VALU_DEP_3)
	v_dual_mul_f32 v112, s21, v37 :: v_dual_mul_f32 v113, s15, v36
	v_cvt_pk_f32_fp8_e32 v[36:37], v87
	v_mul_f32_e32 v44, s21, v35
	s_delay_alu instid0(VALU_DEP_4)
	v_mul_f32_e32 v50, s15, v34
	v_cvt_pk_f32_fp8_e32 v[34:35], v26
	v_cvt_pk_f32_fp8_e32 v[26:27], v27
	v_dual_mul_f32 v55, s21, v37 :: v_dual_mul_f32 v114, s15, v36
	v_cvt_pk_f32_fp8_e32 v[36:37], v85
	v_cvt_pk_f32_fp8_e32 v[24:25], v25
	s_delay_alu instid0(VALU_DEP_4) | instskip(SKIP_1) | instid1(VALU_DEP_4)
	v_dual_mul_f32 v38, s21, v27 :: v_dual_mul_f32 v43, s15, v26
	v_cvt_pk_f32_fp8_e32 v[26:27], v29
	v_dual_mul_f32 v52, s21, v37 :: v_dual_mul_f32 v61, s15, v36
	v_cvt_pk_f32_fp8_e32 v[36:37], v84
	s_delay_alu instid0(VALU_DEP_3) | instskip(NEXT) | instid1(VALU_DEP_4)
	v_dual_mul_f32 v92, s21, v25 :: v_dual_mul_f32 v105, s21, v27
	v_mul_f32_e32 v45, s15, v26
	v_cvt_pk_f32_fp8_e32 v[26:27], v30
	s_delay_alu instid0(VALU_DEP_4) | instskip(SKIP_4) | instid1(VALU_DEP_4)
	v_dual_mul_f32 v49, s21, v37 :: v_dual_mul_f32 v58, s15, v36
	v_cvt_pk_f32_fp8_e32 v[36:37], v82
	v_mul_f32_e32 v98, s15, v24
	v_cvt_pk_f32_fp8_e32 v[24:25], v95
	v_mul_f32_e32 v42, s15, v26
	v_dual_mul_f32 v47, s15, v34 :: v_dual_mul_f32 v56, s15, v36
	v_mul_f32_e32 v36, s21, v27
	v_cvt_pk_f32_fp8_e32 v[26:27], v32
	v_mul_f32_e32 v90, s21, v25
	v_mul_f32_e32 v96, s15, v24
	v_cvt_pk_f32_fp8_e32 v[24:25], v93
	v_mul_f32_e32 v46, s21, v37
	v_dual_mul_f32 v102, s21, v27 :: v_dual_mul_f32 v41, s15, v26
	v_cvt_pk_f32_fp8_e32 v[26:27], v33
	s_delay_alu instid0(VALU_DEP_4) | instskip(SKIP_1) | instid1(VALU_DEP_3)
	v_dual_mul_f32 v88, s21, v25 :: v_dual_mul_f32 v95, s15, v24
	v_cvt_pk_f32_fp8_e32 v[24:25], v91
	v_dual_mul_f32 v100, s21, v27 :: v_dual_mul_f32 v37, s15, v26
	v_cvt_pk_f32_fp8_e32 v[26:27], v86
	s_delay_alu instid0(VALU_DEP_3) | instskip(SKIP_1) | instid1(VALU_DEP_3)
	v_dual_mul_f32 v86, s21, v25 :: v_dual_mul_f32 v93, s15, v24
	v_cvt_pk_f32_fp8_e32 v[24:25], v71
	v_dual_mul_f32 v99, s21, v27 :: v_dual_mul_f32 v104, s15, v26
	v_cvt_pk_f32_fp8_e32 v[26:27], v80
	s_delay_alu instid0(VALU_DEP_3) | instskip(SKIP_1) | instid1(VALU_DEP_3)
	v_dual_mul_f32 v84, s21, v25 :: v_dual_mul_f32 v91, s15, v24
	v_cvt_pk_f32_fp8_e32 v[24:25], v72
	v_mul_f32_e32 v97, s21, v27
	s_delay_alu instid0(VALU_DEP_4) | instskip(SKIP_1) | instid1(VALU_DEP_4)
	v_mul_f32_e32 v103, s15, v26
	v_cvt_pk_f32_fp8_e32 v[26:27], v31
	v_dual_mul_f32 v82, s21, v25 :: v_dual_mul_f32 v89, s15, v24
	v_cvt_pk_f32_fp8_e32 v[24:25], v78
	s_delay_alu instid0(VALU_DEP_3) | instskip(SKIP_1) | instid1(VALU_DEP_3)
	v_dual_mul_f32 v34, s21, v27 :: v_dual_mul_f32 v101, s15, v26
	v_cvt_pk_f32_fp8_e32 v[26:27], v28
	v_dual_mul_f32 v80, s21, v25 :: v_dual_mul_f32 v87, s15, v24
	v_cvt_pk_f32_fp8_e32 v[24:25], v81
	s_delay_alu instid0(VALU_DEP_1) | instskip(NEXT) | instid1(VALU_DEP_2)
	v_dual_mul_f32 v94, s21, v27 :: v_dual_mul_f32 v33, s21, v25
	v_mul_f32_e32 v85, s15, v24
	v_cvt_pk_f32_fp8_e32 v[24:25], v83
	s_delay_alu instid0(VALU_DEP_1)
	v_mul_f32_e32 v83, s15, v24
	v_cvt_pk_f32_fp8_e32 v[23:24], v23
	v_and_b32_e32 v73, 0xffff, v1
	scratch_load_b32 v1, off, off offset:12 th:TH_LOAD_LU ; 4-byte Folded Reload
	v_dual_mul_f32 v71, s21, v25 :: v_dual_mul_f32 v30, s21, v24
	v_mul_f32_e32 v81, s15, v23
	v_cvt_pk_f32_fp8_e32 v[23:24], v20
	v_cvt_pk_f32_fp8_e32 v[19:20], v19
	s_delay_alu instid0(VALU_DEP_2) | instskip(NEXT) | instid1(VALU_DEP_3)
	v_mul_f32_e32 v28, s21, v24
	v_mul_f32_e32 v78, s15, v23
	v_cvt_pk_f32_fp8_e32 v[23:24], v17
	v_cvt_pk_f32_fp8_e32 v[17:18], v18
	v_mul_f32_e32 v25, s21, v20
	v_mul_f32_e32 v31, s15, v19
	s_delay_alu instid0(VALU_DEP_3) | instskip(NEXT) | instid1(VALU_DEP_4)
	v_dual_mul_f32 v32, s15, v23 :: v_dual_mul_f32 v23, s21, v18
	v_mul_f32_e32 v29, s15, v17
	v_cvt_pk_f32_fp8_e32 v[17:18], v15
	v_and_b32_e32 v63, 0xffff, v39
	v_mul_f32_e32 v39, s21, v35
	v_cvt_pk_f32_fp8_e32 v[69:70], v22
	s_delay_alu instid0(VALU_DEP_4) | instskip(SKIP_2) | instid1(VALU_DEP_4)
	v_dual_mul_f32 v27, s21, v24 :: v_dual_mul_f32 v20, s21, v18
	v_mul_f32_e32 v72, s15, v17
	v_cvt_pk_f32_fp8_e32 v[17:18], v13
	v_dual_mul_f32 v15, s21, v70 :: v_dual_mul_f32 v24, s15, v69
	v_cvt_pk_f32_fp8_e32 v[69:70], v10
	s_delay_alu instid0(VALU_DEP_3) | instskip(NEXT) | instid1(VALU_DEP_4)
	v_dual_mul_f32 v35, s15, v26 :: v_dual_mul_f32 v26, s15, v17
	v_mul_f32_e32 v18, s21, v18
	s_delay_alu instid0(VALU_DEP_3) | instskip(SKIP_1) | instid1(VALU_DEP_1)
	v_dual_mul_f32 v13, s21, v70 :: v_dual_mul_f32 v22, s15, v69
	v_cvt_pk_f32_fp8_e32 v[69:70], v109
	v_dual_mul_f32 v10, s21, v70 :: v_dual_mul_f32 v19, s15, v69
	s_wait_loadcnt 0x0
	v_cvt_pk_f32_fp8_e32 v[69:70], v1
	scratch_load_b32 v1, off, off offset:32 th:TH_LOAD_LU ; 4-byte Folded Reload
	v_mul_f32_e32 v109, s21, v70
	v_mul_f32_e32 v17, s15, v69
	v_cvt_pk_f32_fp8_e32 v[69:70], v14
	s_delay_alu instid0(VALU_DEP_1) | instskip(SKIP_1) | instid1(VALU_DEP_1)
	v_dual_mul_f32 v169, s21, v70 :: v_dual_mul_f32 v14, s15, v69
	v_cvt_pk_f32_fp8_e32 v[69:70], v12
	v_dual_mul_f32 v167, s21, v70 :: v_dual_mul_f32 v12, s15, v69
	s_wait_loadcnt 0x0
	v_cvt_pk_f32_fp8_e32 v[69:70], v1
	scratch_load_b32 v1, off, off offset:36 th:TH_LOAD_LU ; 4-byte Folded Reload
	v_dual_mul_f32 v130, s21, v70 :: v_dual_mul_f32 v189, s15, v69
	s_wait_loadcnt 0x0
	v_cvt_pk_f32_fp8_e32 v[69:70], v1
	scratch_load_b32 v1, off, off offset:44 th:TH_LOAD_LU ; 4-byte Folded Reload
	v_mul_f32_e32 v128, s21, v70
	v_mul_f32_e32 v170, s15, v69
	s_wait_loadcnt 0x0
	v_cvt_pk_f32_fp8_e32 v[69:70], v1
	scratch_load_b32 v1, off, off offset:48 th:TH_LOAD_LU ; 4-byte Folded Reload
	v_mul_f32_e32 v186, s21, v70
	v_mul_f32_e32 v168, s15, v69
	s_wait_loadcnt 0x0
	v_cvt_pk_f32_fp8_e32 v[69:70], v1
	scratch_load_b32 v1, off, off offset:56 th:TH_LOAD_LU ; 4-byte Folded Reload
	v_dual_mul_f32 v184, s21, v70 :: v_dual_mul_f32 v131, s15, v69
	s_wait_loadcnt 0x0
	v_cvt_pk_f32_fp8_e32 v[69:70], v1
	scratch_load_b32 v1, off, off offset:60 th:TH_LOAD_LU ; 4-byte Folded Reload
	v_mul_f32_e32 v129, s15, v69
	v_cvt_pk_f32_fp8_e32 v[68:69], v68
	v_mul_f32_e32 v182, s21, v70
	s_delay_alu instid0(VALU_DEP_2) | instskip(SKIP_1) | instid1(VALU_DEP_1)
	v_dual_mul_f32 v180, s21, v69 :: v_dual_mul_f32 v187, s15, v68
	v_cvt_pk_f32_fp8_e32 v[68:69], v66
	v_dual_mul_f32 v178, s21, v69 :: v_dual_mul_f32 v185, s15, v68
	s_wait_loadcnt 0x0
	v_cvt_pk_f32_fp8_e32 v[68:69], v1
	scratch_load_b32 v1, off, off offset:52 th:TH_LOAD_LU ; 4-byte Folded Reload
	v_dual_mul_f32 v176, s21, v69 :: v_dual_mul_f32 v183, s15, v68
	s_wait_loadcnt 0x0
	v_cvt_pk_f32_fp8_e32 v[68:69], v1
	scratch_load_b32 v1, off, off offset:40 th:TH_LOAD_LU ; 4-byte Folded Reload
	;; [unrolled: 4-line block ×6, first 2 shown]
	v_mul_f32_e32 v165, s21, v70
	v_mul_f32_e32 v173, s15, v69
	s_wait_loadcnt 0x0
	v_cvt_pk_f32_fp8_e32 v[69:70], v1
	scratch_load_b32 v1, off, off offset:76 th:TH_LOAD_LU ; 4-byte Folded Reload
	v_mul_f32_e32 v163, s21, v70
	v_mul_f32_e32 v171, s15, v69
	v_cvt_pk_f32_fp8_e32 v[69:70], v67
	s_delay_alu instid0(VALU_DEP_1) | instskip(NEXT) | instid1(VALU_DEP_2)
	v_mul_f32_e32 v161, s21, v70
	v_mul_f32_e32 v67, s15, v69
	s_wait_loadcnt 0x0
	v_cvt_pk_f32_fp8_e32 v[69:70], v1
	scratch_load_b32 v1, off, off offset:84 th:TH_LOAD_LU ; 4-byte Folded Reload
	v_dual_mul_f32 v159, s21, v70 :: v_dual_mul_f32 v166, s15, v69
	s_wait_loadcnt 0x0
	v_cvt_pk_f32_fp8_e32 v[69:70], v1
	scratch_load_b32 v1, off, off offset:88 th:TH_LOAD_LU ; 4-byte Folded Reload
	v_dual_mul_f32 v157, s21, v70 :: v_dual_mul_f32 v164, s15, v69
	;; [unrolled: 4-line block ×5, first 2 shown]
	v_cvt_pk_f32_fp8_e32 v[69:70], v127
	s_delay_alu instid0(VALU_DEP_1) | instskip(SKIP_1) | instid1(VALU_DEP_1)
	v_dual_mul_f32 v149, s21, v70 :: v_dual_mul_f32 v156, s15, v69
	v_cvt_pk_f32_fp8_e32 v[69:70], v125
	v_dual_mul_f32 v147, s21, v70 :: v_dual_mul_f32 v154, s15, v69
	v_cvt_pk_f32_fp8_e32 v[69:70], v124
	s_delay_alu instid0(VALU_DEP_1) | instskip(SKIP_1) | instid1(VALU_DEP_1)
	v_dual_mul_f32 v145, s21, v70 :: v_dual_mul_f32 v152, s15, v69
	v_cvt_pk_f32_fp8_e32 v[69:70], v126
	v_dual_mul_f32 v143, s21, v70 :: v_dual_mul_f32 v150, s15, v69
	s_wait_loadcnt 0x0
	v_cvt_pk_f32_fp8_e32 v[69:70], v1
	scratch_load_b32 v1, off, off offset:92 th:TH_LOAD_LU ; 4-byte Folded Reload
	v_dual_mul_f32 v141, s21, v70 :: v_dual_mul_f32 v148, s15, v69
	s_wait_loadcnt 0x0
	v_cvt_pk_f32_fp8_e32 v[69:70], v1
	scratch_load_b32 v1, off, off offset:80 th:TH_LOAD_LU ; 4-byte Folded Reload
	;; [unrolled: 4-line block ×5, first 2 shown]
	v_dual_mul_f32 v133, s21, v70 :: v_dual_mul_f32 v140, s15, v69
	s_wait_loadcnt 0x0
	v_cvt_pk_f32_fp8_e32 v[69:70], v1
	s_delay_alu instid0(VALU_DEP_1) | instskip(NEXT) | instid1(VALU_DEP_2)
	v_mul_f32_e32 v188, s21, v70
	v_mul_f32_e32 v138, s15, v69
	v_cvt_pk_f32_fp8_e32 v[69:70], v123
	s_delay_alu instid0(VALU_DEP_1) | instskip(NEXT) | instid1(VALU_DEP_2)
	v_mul_f32_e32 v126, s21, v70
	v_mul_f32_e32 v136, s15, v69
	v_cvt_pk_f32_fp8_e32 v[69:70], v122
	s_delay_alu instid0(VALU_DEP_1) | instskip(NEXT) | instid1(VALU_DEP_2)
	v_mul_f32_e32 v124, s21, v70
	v_mul_f32_e32 v134, s15, v69
	v_cvt_pk_f32_fp8_e32 v[69:70], v121
	s_delay_alu instid0(VALU_DEP_1) | instskip(NEXT) | instid1(VALU_DEP_2)
	v_mul_f32_e32 v122, s21, v70
	v_mul_f32_e32 v132, s15, v69
	v_cvt_pk_f32_fp8_e32 v[69:70], v120
	s_delay_alu instid0(VALU_DEP_1) | instskip(SKIP_1) | instid1(VALU_DEP_1)
	v_dual_mul_f32 v120, s21, v70 :: v_dual_mul_f32 v127, s15, v69
	v_cvt_pk_f32_fp8_e32 v[69:70], v118
	v_dual_mul_f32 v118, s21, v70 :: v_dual_mul_f32 v125, s15, v69
	v_cvt_pk_f32_fp8_e32 v[69:70], v116
	s_delay_alu instid0(VALU_DEP_1) | instskip(SKIP_1) | instid1(VALU_DEP_1)
	v_dual_mul_f32 v116, s21, v70 :: v_dual_mul_f32 v123, s15, v69
	v_cvt_pk_f32_fp8_e32 v[69:70], v119
	v_mul_f32_e32 v1, s21, v70
	s_delay_alu instid0(VALU_DEP_2)
	v_mul_f32_e32 v121, s15, v69
	v_cvt_pk_f32_fp8_e32 v[69:70], v117
	scratch_store_b32 off, v1, off offset:328 ; 4-byte Folded Spill
	v_mul_f32_e32 v1, s21, v70
	v_mul_f32_e32 v119, s15, v69
	v_cvt_pk_f32_fp8_e32 v[69:70], v0
	s_delay_alu instid0(VALU_DEP_1)
	v_mul_f32_e32 v0, s21, v70
	scratch_store_b32 off, v1, off offset:324 ; 4-byte Folded Spill
	v_mul_f32_e32 v117, s15, v69
	scratch_store_b32 off, v0, off offset:316 ; 4-byte Folded Spill
	scratch_load_b32 v0, off, off offset:132 th:TH_LOAD_LU ; 4-byte Folded Reload
	s_wait_loadcnt 0x0
	v_cvt_pk_f32_fp8_e32 v[0:1], v0
	s_delay_alu instid0(VALU_DEP_1)
	v_mul_f32_e32 v69, s15, v0
	scratch_load_b32 v0, off, off offset:128 th:TH_LOAD_LU ; 4-byte Folded Reload
	v_mul_f32_e32 v1, s21, v1
	scratch_store_b32 off, v1, off offset:308 ; 4-byte Folded Spill
	s_wait_loadcnt 0x0
	v_cvt_pk_f32_fp8_e32 v[0:1], v0
	s_delay_alu instid0(VALU_DEP_1)
	v_mul_f32_e32 v70, s15, v0
	scratch_load_b32 v0, off, off offset:124 th:TH_LOAD_LU ; 4-byte Folded Reload
	v_mul_f32_e32 v1, s21, v1
	scratch_store_b32 off, v1, off offset:300 ; 4-byte Folded Spill
	s_wait_loadcnt 0x0
	v_cvt_pk_f32_fp8_e32 v[0:1], v0
	s_delay_alu instid0(VALU_DEP_1)
	v_dual_mul_f32 v1, s21, v1 :: v_dual_mul_f32 v0, s15, v0
	s_clause 0x1
	scratch_store_b32 off, v1, off offset:292
	scratch_store_b32 off, v0, off offset:320
	scratch_load_b32 v0, off, off offset:120 th:TH_LOAD_LU ; 4-byte Folded Reload
	s_wait_loadcnt 0x0
	v_cvt_pk_f32_fp8_e32 v[0:1], v0
	s_delay_alu instid0(VALU_DEP_1)
	v_dual_mul_f32 v1, s21, v1 :: v_dual_mul_f32 v0, s15, v0
	s_clause 0x1
	scratch_store_b32 off, v1, off offset:284
	scratch_store_b32 off, v0, off offset:312
	scratch_load_b32 v0, off, off offset:116 th:TH_LOAD_LU ; 4-byte Folded Reload
	;; [unrolled: 8-line block ×11, first 2 shown]
	s_wait_loadcnt 0x0
	v_cvt_pk_f32_fp8_e32 v[0:1], v0
	s_delay_alu instid0(VALU_DEP_1) | instskip(SKIP_4) | instid1(VALU_DEP_1)
	v_dual_mul_f32 v1, s21, v1 :: v_dual_mul_f32 v0, s15, v0
	s_clause 0x1
	scratch_store_b32 off, v1, off offset:204
	scratch_store_b32 off, v0, off offset:232
	v_cvt_pk_f32_fp8_e32 v[0:1], v21
	v_dual_mul_f32 v1, s21, v1 :: v_dual_mul_f32 v0, s15, v0
	s_clause 0x1
	scratch_store_b32 off, v1, off offset:196
	scratch_store_b32 off, v0, off offset:224
	v_cvt_pk_f32_fp8_e32 v[0:1], v16
	s_delay_alu instid0(VALU_DEP_1)
	v_dual_mul_f32 v1, s21, v1 :: v_dual_mul_f32 v0, s15, v0
	s_clause 0x1
	scratch_store_b32 off, v1, off offset:188
	scratch_store_b32 off, v0, off offset:216
	scratch_load_b32 v0, off, off offset:192 th:TH_LOAD_LU ; 4-byte Folded Reload
	s_wait_loadcnt 0x0
	v_cvt_pk_f32_fp8_e32 v[0:1], v0
	s_delay_alu instid0(VALU_DEP_1)
	v_dual_mul_f32 v1, s21, v1 :: v_dual_mul_f32 v0, s15, v0
	s_clause 0x1
	scratch_store_b32 off, v1, off offset:180
	scratch_store_b32 off, v0, off offset:208
	scratch_load_b32 v0, off, off offset:184 th:TH_LOAD_LU ; 4-byte Folded Reload
	s_wait_loadcnt 0x0
	;; [unrolled: 8-line block ×7, first 2 shown]
	v_cvt_pk_f32_fp8_e32 v[0:1], v0
	s_delay_alu instid0(VALU_DEP_1) | instskip(SKIP_4) | instid1(VALU_DEP_1)
	v_dual_mul_f32 v1, s21, v1 :: v_dual_mul_f32 v0, s15, v0
	s_clause 0x1
	scratch_store_b32 off, v1, off offset:144
	scratch_store_b32 off, v0, off offset:160
	v_cvt_pk_f32_fp8_e32 v[0:1], v73
	v_mul_f32_e32 v1, s21, v1
	s_delay_alu instid0(VALU_DEP_2) | instskip(SKIP_2) | instid1(VALU_DEP_1)
	v_mul_f32_e32 v73, s15, v0
	scratch_store_b32 off, v1, off offset:140 ; 4-byte Folded Spill
	v_cvt_pk_f32_fp8_e32 v[0:1], v74
	v_dual_mul_f32 v1, s21, v1 :: v_dual_mul_f32 v74, s15, v0
	scratch_store_b32 off, v1, off offset:136 ; 4-byte Folded Spill
	v_cvt_pk_f32_fp8_e32 v[0:1], v75
	s_delay_alu instid0(VALU_DEP_1) | instskip(NEXT) | instid1(VALU_DEP_2)
	v_mul_f32_e32 v1, s21, v1
	v_mul_f32_e32 v75, s15, v0
	scratch_store_b32 off, v1, off offset:132 ; 4-byte Folded Spill
	v_cvt_pk_f32_fp8_e32 v[0:1], v76
	s_delay_alu instid0(VALU_DEP_1) | instskip(SKIP_2) | instid1(VALU_DEP_1)
	v_dual_mul_f32 v1, s21, v1 :: v_dual_mul_f32 v76, s15, v0
	scratch_store_b32 off, v1, off offset:124 ; 4-byte Folded Spill
	v_cvt_pk_f32_fp8_e32 v[0:1], v77
	v_mul_f32_e32 v1, s21, v1
	s_delay_alu instid0(VALU_DEP_2) | instskip(SKIP_2) | instid1(VALU_DEP_1)
	v_mul_f32_e32 v77, s15, v0
	scratch_store_b32 off, v1, off offset:116 ; 4-byte Folded Spill
	v_cvt_pk_f32_fp8_e32 v[0:1], v79
	v_mul_f32_e32 v1, s21, v1
	s_delay_alu instid0(VALU_DEP_2) | instskip(SKIP_2) | instid1(VALU_DEP_1)
	v_mul_f32_e32 v79, s15, v0
	scratch_store_b32 off, v1, off offset:112 ; 4-byte Folded Spill
	v_cvt_pk_f32_fp8_e32 v[0:1], v6
	v_dual_mul_f32 v1, s21, v1 :: v_dual_mul_f32 v0, s15, v0
	s_clause 0x1
	scratch_store_b32 off, v1, off offset:104
	scratch_store_b32 off, v0, off offset:128
	v_cvt_pk_f32_fp8_e32 v[0:1], v7
	s_delay_alu instid0(VALU_DEP_1) | instskip(SKIP_4) | instid1(VALU_DEP_1)
	v_dual_mul_f32 v1, s21, v1 :: v_dual_mul_f32 v0, s15, v0
	s_clause 0x1
	scratch_store_b32 off, v1, off offset:96
	scratch_store_b32 off, v0, off offset:120
	v_cvt_pk_f32_fp8_e32 v[0:1], v9
	v_mul_f32_e32 v1, s21, v1
	s_delay_alu instid0(VALU_DEP_2) | instskip(SKIP_2) | instid1(VALU_DEP_1)
	v_mul_f32_e32 v9, s15, v0
	scratch_store_b32 off, v1, off offset:88 ; 4-byte Folded Spill
	v_cvt_pk_f32_fp8_e32 v[0:1], v8
	v_dual_mul_f32 v1, s21, v1 :: v_dual_mul_f32 v0, s15, v0
	s_clause 0x1
	scratch_store_b32 off, v1, off offset:80
	scratch_store_b32 off, v0, off offset:108
	v_cvt_pk_f32_fp8_e32 v[0:1], v5
	scratch_load_b128 v[5:8], off, off offset:356 ; 16-byte Folded Reload
	v_dual_mul_f32 v1, s21, v1 :: v_dual_mul_f32 v0, s15, v0
	s_clause 0x1
	scratch_store_b32 off, v1, off offset:72
	scratch_store_b32 off, v0, off offset:100
	v_cvt_pk_f32_fp8_e32 v[0:1], v4
	s_delay_alu instid0(VALU_DEP_1) | instskip(SKIP_4) | instid1(VALU_DEP_1)
	v_dual_mul_f32 v1, s21, v1 :: v_dual_mul_f32 v0, s15, v0
	s_clause 0x1
	scratch_store_b32 off, v1, off offset:64
	scratch_store_b32 off, v0, off offset:92
	v_cvt_pk_f32_fp8_e32 v[0:1], v3
	v_dual_mul_f32 v1, s21, v1 :: v_dual_mul_f32 v0, s15, v0
	s_clause 0x1
	scratch_store_b32 off, v1, off offset:60
	scratch_store_b32 off, v0, off offset:84
	v_cvt_pk_f32_fp8_e32 v[0:1], v2
	s_delay_alu instid0(VALU_DEP_1) | instskip(SKIP_4) | instid1(VALU_DEP_1)
	v_dual_mul_f32 v1, s21, v1 :: v_dual_mul_f32 v0, s15, v0
	s_clause 0x1
	scratch_store_b32 off, v1, off offset:52
	scratch_store_b32 off, v0, off offset:76
	v_cvt_pk_f32_fp8_e32 v[0:1], v11
	v_dual_mul_f32 v1, s21, v1 :: v_dual_mul_f32 v0, s15, v0
	s_clause 0x1
	scratch_store_b32 off, v1, off offset:44
	scratch_store_b32 off, v0, off offset:68
	v_cvt_pk_f32_fp8_e32 v[0:1], v65
	s_delay_alu instid0(VALU_DEP_1) | instskip(NEXT) | instid1(VALU_DEP_2)
	v_mul_f32_e32 v1, s21, v1
	v_mul_f32_e32 v65, s15, v0
	scratch_store_b32 off, v1, off offset:36 ; 4-byte Folded Spill
	v_cvt_pk_f32_fp8_e32 v[0:1], v107
	s_delay_alu instid0(VALU_DEP_1) | instskip(SKIP_4) | instid1(VALU_DEP_1)
	v_dual_mul_f32 v1, s21, v1 :: v_dual_mul_f32 v0, s15, v0
	s_clause 0x1
	scratch_store_b32 off, v1, off offset:28
	scratch_store_b32 off, v0, off offset:56
	v_cvt_pk_f32_fp8_e32 v[0:1], v54
	v_dual_mul_f32 v1, s21, v1 :: v_dual_mul_f32 v0, s15, v0
	s_clause 0x1
	scratch_store_b32 off, v1, off offset:20
	scratch_store_b32 off, v0, off offset:48
	v_cvt_pk_f32_fp8_e32 v[0:1], v57
	s_delay_alu instid0(VALU_DEP_1) | instskip(SKIP_4) | instid1(VALU_DEP_1)
	v_dual_mul_f32 v1, s21, v1 :: v_dual_mul_f32 v0, s15, v0
	s_clause 0x1
	scratch_store_b32 off, v1, off offset:16
	scratch_store_b32 off, v0, off offset:40
	v_cvt_pk_f32_fp8_e32 v[0:1], v59
	v_dual_mul_f32 v1, s21, v1 :: v_dual_mul_f32 v0, s15, v0
	s_clause 0x1
	scratch_store_b32 off, v1, off offset:12
	scratch_store_b32 off, v0, off offset:32
	v_cvt_pk_f32_fp8_e32 v[0:1], v108
	s_delay_alu instid0(VALU_DEP_1) | instskip(SKIP_2) | instid1(VALU_DEP_1)
	v_dual_mul_f32 v0, s15, v0 :: v_dual_mul_f32 v107, s21, v1
	scratch_store_b32 off, v0, off offset:24 ; 4-byte Folded Spill
	v_cvt_pk_f32_fp8_e32 v[0:1], v62
	v_dual_mul_f32 v59, s21, v1 :: v_dual_mul_f32 v108, s15, v0
	v_cvt_pk_f32_fp8_e32 v[0:1], v63
	s_delay_alu instid0(VALU_DEP_1) | instskip(NEXT) | instid1(VALU_DEP_2)
	v_mul_f32_e32 v57, s21, v1
	v_mul_f32_e32 v63, s15, v0
	v_cvt_pk_f32_fp8_e32 v[0:1], v64
	s_delay_alu instid0(VALU_DEP_1) | instskip(NEXT) | instid1(VALU_DEP_2)
	v_mul_f32_e32 v54, s21, v1
	v_mul_f32_e32 v62, s15, v0
	scratch_load_b128 v[0:3], off, off offset:340 ; 16-byte Folded Reload
	s_wait_loadcnt 0x1
	v_dual_mul_f32 v4, v5, v111 :: v_dual_mul_f32 v11, v6, v110
	v_dual_mul_f32 v16, v7, v113 :: v_dual_mul_f32 v21, v8, v112
	s_wait_loadcnt 0x0
	s_delay_alu instid0(VALU_DEP_2) | instskip(NEXT) | instid1(VALU_DEP_2)
	v_fmac_f32_e32 v4, v0, v60
	v_dual_fmac_f32 v11, v1, v48 :: v_dual_fmac_f32 v16, v2, v51
	s_delay_alu instid0(VALU_DEP_3)
	v_fmac_f32_e32 v21, v3, v40
	scratch_load_b128 v[0:3], off, off offset:372 ; 16-byte Folded Reload
	s_wait_loadcnt 0x0
	v_dual_fmac_f32 v4, v0, v114 :: v_dual_fmac_f32 v11, v1, v55
	v_dual_fmac_f32 v16, v2, v61 :: v_dual_fmac_f32 v21, v3, v52
	scratch_load_b128 v[0:3], off, off offset:388 ; 16-byte Folded Reload
	s_wait_loadcnt 0x0
	v_dual_fmac_f32 v4, v0, v58 :: v_dual_fmac_f32 v11, v1, v49
	v_dual_fmac_f32 v16, v2, v56 :: v_dual_fmac_f32 v21, v3, v46
	;; [unrolled: 4-line block ×3, first 2 shown]
	scratch_load_b128 v[0:3], off, off offset:420 ; 16-byte Folded Reload
	s_wait_loadcnt 0x0
	v_fmac_f32_e32 v4, v0, v47
	v_fmac_f32_e32 v11, v1, v39
	v_dual_fmac_f32 v16, v2, v43 :: v_dual_fmac_f32 v21, v3, v38
	scratch_load_b128 v[0:3], off, off offset:436 ; 16-byte Folded Reload
	s_wait_loadcnt 0x0
	v_fmac_f32_e32 v4, v0, v45
	v_dual_fmac_f32 v11, v1, v105 :: v_dual_fmac_f32 v16, v2, v42
	v_fmac_f32_e32 v21, v3, v36
	scratch_load_b128 v[0:3], off, off offset:452 ; 16-byte Folded Reload
	s_wait_loadcnt 0x0
	v_dual_fmac_f32 v4, v0, v41 :: v_dual_fmac_f32 v11, v1, v102
	v_dual_fmac_f32 v16, v2, v37 :: v_dual_fmac_f32 v21, v3, v100
	scratch_load_b128 v[0:3], off, off offset:468 ; 16-byte Folded Reload
	s_wait_loadcnt 0x0
	v_dual_fmac_f32 v4, v0, v104 :: v_dual_fmac_f32 v11, v1, v99
	v_dual_fmac_f32 v16, v2, v103 :: v_dual_fmac_f32 v21, v3, v97
	;; [unrolled: 4-line block ×6, first 2 shown]
	scratch_load_b128 v[0:3], off, off offset:548 ; 16-byte Folded Reload
	s_wait_loadcnt 0x0
	v_dual_fmac_f32 v4, v0, v87 :: v_dual_fmac_f32 v11, v1, v80
	v_fmac_f32_e32 v16, v2, v85
	v_fmac_f32_e32 v21, v3, v33
	scratch_load_b128 v[0:3], off, off offset:564 ; 16-byte Folded Reload
	s_wait_loadcnt 0x0
	v_fmac_f32_e32 v4, v0, v83
	v_dual_fmac_f32 v11, v1, v71 :: v_dual_fmac_f32 v16, v2, v81
	v_fmac_f32_e32 v21, v3, v30
	scratch_load_b128 v[0:3], off, off offset:580 ; 16-byte Folded Reload
	s_wait_loadcnt 0x0
	v_dual_fmac_f32 v4, v0, v78 :: v_dual_fmac_f32 v11, v1, v28
	v_dual_fmac_f32 v16, v2, v32 :: v_dual_fmac_f32 v21, v3, v27
	scratch_load_b128 v[0:3], off, off offset:596 ; 16-byte Folded Reload
	s_wait_loadcnt 0x0
	v_dual_fmac_f32 v4, v0, v31 :: v_dual_fmac_f32 v11, v1, v25
	v_dual_fmac_f32 v16, v2, v29 :: v_dual_fmac_f32 v21, v3, v23
	scratch_load_b128 v[0:3], off, off offset:612 ; 16-byte Folded Reload
	s_wait_loadcnt 0x0
	v_fmac_f32_e32 v4, v0, v72
	v_dual_fmac_f32 v11, v1, v20 :: v_dual_fmac_f32 v16, v2, v26
	v_fmac_f32_e32 v21, v3, v18
	scratch_load_b128 v[0:3], off, off offset:628 ; 16-byte Folded Reload
	s_wait_loadcnt 0x0
	v_dual_fmac_f32 v4, v0, v24 :: v_dual_fmac_f32 v11, v1, v15
	v_dual_fmac_f32 v16, v2, v22 :: v_dual_fmac_f32 v21, v3, v13
	scratch_load_b128 v[0:3], off, off offset:644 ; 16-byte Folded Reload
	s_wait_loadcnt 0x0
	v_dual_fmac_f32 v4, v0, v19 :: v_dual_fmac_f32 v11, v1, v10
	v_fmac_f32_e32 v16, v2, v17
	v_fmac_f32_e32 v21, v3, v109
	scratch_load_b128 v[0:3], off, off offset:660 ; 16-byte Folded Reload
	s_wait_loadcnt 0x0
	v_dual_fmac_f32 v4, v0, v14 :: v_dual_fmac_f32 v11, v1, v169
	v_dual_fmac_f32 v16, v2, v12 :: v_dual_fmac_f32 v21, v3, v167
	scratch_load_b128 v[0:3], off, off offset:676 ; 16-byte Folded Reload
	s_wait_loadcnt 0x0
	v_dual_fmac_f32 v4, v0, v189 :: v_dual_fmac_f32 v11, v1, v130
	v_dual_fmac_f32 v16, v2, v170 :: v_dual_fmac_f32 v21, v3, v128
	;; [unrolled: 4-line block ×7, first 2 shown]
	scratch_load_b128 v[0:3], off, off offset:772 ; 16-byte Folded Reload
	s_wait_loadcnt 0x0
	v_fmac_f32_e32 v4, v0, v173
	v_dual_fmac_f32 v11, v1, v165 :: v_dual_fmac_f32 v16, v2, v171
	v_fmac_f32_e32 v21, v3, v163
	scratch_load_b128 v[0:3], off, off offset:788 ; 16-byte Folded Reload
	s_wait_loadcnt 0x0
	v_dual_fmac_f32 v4, v0, v67 :: v_dual_fmac_f32 v11, v1, v161
	v_dual_fmac_f32 v16, v2, v166 :: v_dual_fmac_f32 v21, v3, v159
	scratch_load_b128 v[0:3], off, off offset:804 ; 16-byte Folded Reload
	s_wait_loadcnt 0x0
	v_dual_fmac_f32 v4, v0, v164 :: v_dual_fmac_f32 v11, v1, v157
	v_dual_fmac_f32 v16, v2, v162 :: v_dual_fmac_f32 v21, v3, v155
	;; [unrolled: 4-line block ×11, first 2 shown]
	scratch_load_b128 v[0:3], off, off offset:964 ; 16-byte Folded Reload
	s_wait_loadcnt 0x0
	v_fmac_f32_e32 v4, v0, v121
	scratch_load_b32 v0, off, off offset:328 th:TH_LOAD_LU ; 4-byte Folded Reload
	s_wait_loadcnt 0x0
	v_dual_fmac_f32 v16, v2, v119 :: v_dual_fmac_f32 v11, v1, v0
	scratch_load_b32 v0, off, off offset:324 th:TH_LOAD_LU ; 4-byte Folded Reload
	s_wait_loadcnt 0x0
	v_fmac_f32_e32 v21, v3, v0
	scratch_load_b128 v[0:3], off, off offset:980 ; 16-byte Folded Reload
	s_wait_loadcnt 0x0
	v_fmac_f32_e32 v4, v0, v117
	scratch_load_b32 v0, off, off offset:316 th:TH_LOAD_LU ; 4-byte Folded Reload
	s_wait_loadcnt 0x0
	v_dual_fmac_f32 v16, v2, v69 :: v_dual_fmac_f32 v11, v1, v0
	scratch_load_b32 v0, off, off offset:308 th:TH_LOAD_LU ; 4-byte Folded Reload
	s_wait_loadcnt 0x0
	v_fmac_f32_e32 v21, v3, v0
	scratch_load_b128 v[0:3], off, off offset:996 ; 16-byte Folded Reload
	s_wait_loadcnt 0x0
	v_fmac_f32_e32 v4, v0, v70
	scratch_load_b32 v0, off, off offset:300 th:TH_LOAD_LU ; 4-byte Folded Reload
	s_wait_loadcnt 0x0
	v_fmac_f32_e32 v11, v1, v0
	scratch_load_b32 v0, off, off offset:320 th:TH_LOAD_LU ; 4-byte Folded Reload
	s_wait_loadcnt 0x0
	v_fmac_f32_e32 v16, v2, v0
	scratch_load_b32 v0, off, off offset:292 th:TH_LOAD_LU ; 4-byte Folded Reload
	s_wait_loadcnt 0x0
	v_fmac_f32_e32 v21, v3, v0
	s_clause 0x1
	scratch_load_b128 v[0:3], off, off offset:1012
	scratch_load_b32 v5, off, off offset:312 th:TH_LOAD_LU
	s_wait_loadcnt 0x0
	v_fmac_f32_e32 v4, v0, v5
	scratch_load_b32 v0, off, off offset:284 th:TH_LOAD_LU ; 4-byte Folded Reload
	s_wait_loadcnt 0x0
	v_fmac_f32_e32 v11, v1, v0
	scratch_load_b32 v0, off, off offset:304 th:TH_LOAD_LU ; 4-byte Folded Reload
	s_wait_loadcnt 0x0
	v_fmac_f32_e32 v16, v2, v0
	scratch_load_b32 v0, off, off offset:276 th:TH_LOAD_LU ; 4-byte Folded Reload
	s_wait_loadcnt 0x0
	v_fmac_f32_e32 v21, v3, v0
	s_clause 0x1
	scratch_load_b128 v[0:3], off, off offset:1028
	scratch_load_b32 v5, off, off offset:296 th:TH_LOAD_LU
	;; [unrolled: 14-line block ×10, first 2 shown]
	s_wait_loadcnt 0x0
	v_fmac_f32_e32 v4, v5, v0
	scratch_load_b32 v0, off, off offset:148 th:TH_LOAD_LU ; 4-byte Folded Reload
	s_wait_loadcnt 0x0
	v_fmac_f32_e32 v11, v0, v1
	scratch_load_b32 v0, off, off offset:160 th:TH_LOAD_LU ; 4-byte Folded Reload
	;; [unrolled: 3-line block ×3, first 2 shown]
	s_wait_loadcnt 0x0
	v_fmac_f32_e32 v21, v0, v3
	scratch_load_b128 v[0:3], off, off offset:1172 ; 16-byte Folded Reload
	s_wait_loadcnt 0x0
	v_fmac_f32_e32 v4, v73, v0
	scratch_load_b32 v0, off, off offset:140 th:TH_LOAD_LU ; 4-byte Folded Reload
	s_wait_loadcnt 0x0
	v_dual_fmac_f32 v16, v74, v2 :: v_dual_fmac_f32 v11, v0, v1
	scratch_load_b32 v0, off, off offset:136 th:TH_LOAD_LU ; 4-byte Folded Reload
	s_wait_loadcnt 0x0
	v_fmac_f32_e32 v21, v0, v3
	scratch_load_b128 v[0:3], off, off offset:1196 ; 16-byte Folded Reload
	s_wait_loadcnt 0x0
	v_fmac_f32_e32 v4, v75, v0
	scratch_load_b32 v0, off, off offset:132 th:TH_LOAD_LU ; 4-byte Folded Reload
	v_fmac_f32_e32 v16, v76, v2
	s_wait_loadcnt 0x0
	v_fmac_f32_e32 v11, v0, v1
	scratch_load_b32 v0, off, off offset:124 th:TH_LOAD_LU ; 4-byte Folded Reload
	s_wait_loadcnt 0x0
	v_fmac_f32_e32 v21, v0, v3
	scratch_load_b128 v[0:3], off, off offset:1212 ; 16-byte Folded Reload
	s_wait_loadcnt 0x0
	v_fmac_f32_e32 v4, v77, v0
	scratch_load_b32 v0, off, off offset:116 th:TH_LOAD_LU ; 4-byte Folded Reload
	s_wait_loadcnt 0x0
	v_dual_fmac_f32 v16, v79, v2 :: v_dual_fmac_f32 v11, v0, v1
	scratch_load_b32 v0, off, off offset:112 th:TH_LOAD_LU ; 4-byte Folded Reload
	s_wait_loadcnt 0x0
	v_fmac_f32_e32 v21, v0, v3
	s_clause 0x1
	scratch_load_b128 v[0:3], off, off offset:1228
	scratch_load_b32 v5, off, off offset:128 th:TH_LOAD_LU
	s_wait_loadcnt 0x0
	v_fmac_f32_e32 v4, v5, v0
	scratch_load_b32 v0, off, off offset:104 th:TH_LOAD_LU ; 4-byte Folded Reload
	s_wait_loadcnt 0x0
	v_fmac_f32_e32 v11, v0, v1
	scratch_load_b32 v0, off, off offset:120 th:TH_LOAD_LU ; 4-byte Folded Reload
	;; [unrolled: 3-line block ×3, first 2 shown]
	s_wait_loadcnt 0x0
	v_fmac_f32_e32 v21, v0, v3
	scratch_load_b128 v[0:3], off, off offset:1244 ; 16-byte Folded Reload
	s_wait_loadcnt 0x0
	v_fmac_f32_e32 v4, v9, v0
	scratch_load_b32 v0, off, off offset:88 th:TH_LOAD_LU ; 4-byte Folded Reload
	s_wait_loadcnt 0x0
	v_fmac_f32_e32 v11, v0, v1
	scratch_load_b32 v0, off, off offset:108 th:TH_LOAD_LU ; 4-byte Folded Reload
	s_wait_loadcnt 0x0
	v_fmac_f32_e32 v16, v0, v2
	scratch_load_b32 v0, off, off offset:80 th:TH_LOAD_LU ; 4-byte Folded Reload
	s_wait_loadcnt 0x0
	v_fmac_f32_e32 v21, v0, v3
	s_clause 0x1
	scratch_load_b128 v[0:3], off, off offset:1260
	scratch_load_b32 v5, off, off offset:100 th:TH_LOAD_LU
	s_wait_loadcnt 0x0
	v_fmac_f32_e32 v4, v5, v0
	scratch_load_b32 v0, off, off offset:72 th:TH_LOAD_LU ; 4-byte Folded Reload
	s_wait_loadcnt 0x0
	v_fmac_f32_e32 v11, v0, v1
	scratch_load_b32 v0, off, off offset:92 th:TH_LOAD_LU ; 4-byte Folded Reload
	s_wait_loadcnt 0x0
	v_fmac_f32_e32 v16, v0, v2
	scratch_load_b32 v0, off, off offset:64 th:TH_LOAD_LU ; 4-byte Folded Reload
	s_wait_loadcnt 0x0
	v_fmac_f32_e32 v21, v0, v3
	s_clause 0x1
	scratch_load_b128 v[0:3], off, off offset:1276
	scratch_load_b32 v5, off, off offset:84 th:TH_LOAD_LU
	s_wait_loadcnt 0x0
	v_fmac_f32_e32 v4, v5, v0
	scratch_load_b32 v0, off, off offset:60 th:TH_LOAD_LU ; 4-byte Folded Reload
	s_wait_loadcnt 0x0
	v_fmac_f32_e32 v11, v0, v1
	scratch_load_b32 v0, off, off offset:76 th:TH_LOAD_LU ; 4-byte Folded Reload
	s_wait_loadcnt 0x0
	v_fmac_f32_e32 v16, v0, v2
	scratch_load_b32 v0, off, off offset:52 th:TH_LOAD_LU ; 4-byte Folded Reload
	s_wait_loadcnt 0x0
	v_fmac_f32_e32 v21, v0, v3
	s_clause 0x1
	scratch_load_b128 v[0:3], off, off offset:1292
	scratch_load_b32 v5, off, off offset:68 th:TH_LOAD_LU
	s_wait_loadcnt 0x1
	v_fmac_f32_e32 v16, v65, v2
	s_wait_loadcnt 0x0
	v_fmac_f32_e32 v4, v5, v0
	scratch_load_b32 v0, off, off offset:44 th:TH_LOAD_LU ; 4-byte Folded Reload
	s_wait_loadcnt 0x0
	v_fmac_f32_e32 v11, v0, v1
	scratch_load_b32 v0, off, off offset:36 th:TH_LOAD_LU ; 4-byte Folded Reload
	s_wait_loadcnt 0x0
	v_fmac_f32_e32 v21, v0, v3
	s_clause 0x1
	scratch_load_b128 v[0:3], off, off offset:1308
	scratch_load_b32 v5, off, off offset:56 th:TH_LOAD_LU
	s_wait_loadcnt 0x0
	v_fmac_f32_e32 v4, v5, v0
	scratch_load_b32 v0, off, off offset:28 th:TH_LOAD_LU ; 4-byte Folded Reload
	s_wait_loadcnt 0x0
	v_fmac_f32_e32 v11, v0, v1
	scratch_load_b32 v0, off, off offset:48 th:TH_LOAD_LU ; 4-byte Folded Reload
	;; [unrolled: 3-line block ×3, first 2 shown]
	s_wait_loadcnt 0x0
	v_fmac_f32_e32 v21, v0, v3
	s_clause 0x1
	scratch_load_b128 v[0:3], off, off offset:1324
	scratch_load_b32 v5, off, off offset:40 th:TH_LOAD_LU
	s_wait_loadcnt 0x0
	v_fmac_f32_e32 v4, v5, v0
	scratch_load_b32 v0, off, off offset:16 th:TH_LOAD_LU ; 4-byte Folded Reload
	s_wait_loadcnt 0x0
	v_fmac_f32_e32 v11, v0, v1
	scratch_load_b32 v0, off, off offset:32 th:TH_LOAD_LU ; 4-byte Folded Reload
	;; [unrolled: 3-line block ×3, first 2 shown]
	s_wait_loadcnt 0x0
	v_fmac_f32_e32 v21, v0, v3
	s_clause 0x1
	scratch_load_b128 v[0:3], off, off offset:1340
	scratch_load_b32 v5, off, off offset:24 th:TH_LOAD_LU
	s_wait_loadcnt 0x0
	v_dual_fmac_f32 v11, v107, v1 :: v_dual_fmac_f32 v4, v5, v0
	v_dual_fmac_f32 v16, v108, v2 :: v_dual_fmac_f32 v21, v59, v3
	scratch_load_b128 v[0:3], off, off offset:1356 ; 16-byte Folded Reload
	s_wait_loadcnt 0x0
	v_dual_fmac_f32 v4, v63, v0 :: v_dual_fmac_f32 v11, v57, v1
	v_fmac_f32_e32 v16, v62, v2
	scratch_load_b32 v2, off, off           ; 4-byte Folded Reload
	v_add_nc_u32_e32 v1, s24, v115
	v_fmac_f32_e32 v21, v54, v3
	v_add_f32_e32 v0, v4, v11
	scratch_load_b32 v4, off, off offset:4 th:TH_LOAD_LU ; 4-byte Folded Reload
	v_add_nc_u32_e32 v115, 0x80, v115
	v_cvt_f32_i32_e32 v1, v1
	s_delay_alu instid0(VALU_DEP_1) | instskip(NEXT) | instid1(VALU_DEP_1)
	v_dual_add_f32 v0, v16, v0 :: v_dual_mul_f32 v1, s8, v1
	v_dual_add_f32 v0, v21, v0 :: v_dual_cndmask_b32 v1, 0, v1
	s_delay_alu instid0(VALU_DEP_1) | instskip(SKIP_2) | instid1(VALU_DEP_1)
	v_fmac_f32_e32 v1, s9, v0
	s_wait_loadcnt 0x0
	v_max_num_f32_e32 v0, v4, v4
	v_max_num_f32_e32 v0, v0, v1
	s_wait_alu 0xf1ff
	v_cndmask_b32_e64 v1, 0, v1, s4
	s_delay_alu instid0(VALU_DEP_2)
	v_cndmask_b32_e64 v4, v4, v0, s4
	ds_store_b32 v2, v1
	s_clause 0x1
	scratch_load_b32 v1, off, off th:TH_LOAD_LU
	scratch_load_b32 v0, off, off offset:8 th:TH_LOAD_LU
	v_add_co_u32 v190, s4, v190, 16
	s_wait_alu 0xf1ff
	v_add_co_ci_u32_e64 v191, null, 0, v191, s4
	s_wait_loadcnt 0x1
	v_add_nc_u32_e32 v1, 0x200, v1
	s_wait_loadcnt 0x0
	v_add_nc_u32_e32 v0, 4, v0
	s_delay_alu instid0(VALU_DEP_1)
	v_cmp_le_i32_e64 s5, s17, v0
	s_wait_alu 0xfffe
	s_or_b32 s14, s5, s14
	s_wait_alu 0xfffe
	s_and_not1_b32 exec_lo, exec_lo, s14
	s_cbranch_execnz .LBB242_7
; %bb.8:
	s_or_b32 exec_lo, exec_lo, s14
	s_clause 0x1
	scratch_load_b64 v[12:13], off, off offset:1188
	scratch_load_b32 v9, off, off offset:1384
.LBB242_9:
	s_or_b32 exec_lo, exec_lo, s10
	v_mbcnt_lo_u32_b32 v0, -1, 0
	s_clause 0x2
	s_load_b128 s[8:11], s[0:1], 0x0
	s_load_b64 s[14:15], s[0:1], 0x10
	s_load_b64 s[24:25], s[0:1], 0x28
	v_xor_b32_e32 v1, 16, v0
	v_xor_b32_e32 v3, 8, v0
	s_delay_alu instid0(VALU_DEP_2) | instskip(SKIP_2) | instid1(VALU_DEP_3)
	v_cmp_gt_i32_e32 vcc_lo, 32, v1
	s_wait_alu 0xfffd
	v_cndmask_b32_e32 v1, v0, v1, vcc_lo
	v_cmp_gt_i32_e32 vcc_lo, 32, v3
	s_delay_alu instid0(VALU_DEP_2)
	v_lshlrev_b32_e32 v1, 2, v1
	s_wait_alu 0xfffd
	v_cndmask_b32_e32 v3, v0, v3, vcc_lo
	ds_bpermute_b32 v2, v1, v4
	s_wait_dscnt 0x0
	v_dual_max_num_f32 v4, v4, v4 :: v_dual_max_num_f32 v5, v2, v2
	s_delay_alu instid0(VALU_DEP_1)
	v_dual_max_num_f32 v3, v4, v5 :: v_dual_lshlrev_b32 v2, 2, v3
	v_xor_b32_e32 v5, 4, v0
	ds_bpermute_b32 v4, v2, v3
	v_cmp_gt_i32_e32 vcc_lo, 32, v5
	s_wait_alu 0xfffd
	v_cndmask_b32_e32 v5, v0, v5, vcc_lo
	s_wait_dscnt 0x0
	s_delay_alu instid0(VALU_DEP_1) | instskip(NEXT) | instid1(VALU_DEP_1)
	v_dual_max_num_f32 v4, v4, v4 :: v_dual_lshlrev_b32 v5, 2, v5
	v_max_num_f32_e32 v3, v3, v4
	ds_bpermute_b32 v4, v5, v3
	s_wait_dscnt 0x0
	v_max_num_f32_e32 v4, v4, v4
	scratch_store_b32 off, v5, off offset:1308 ; 4-byte Folded Spill
	v_xor_b32_e32 v5, 2, v0
	v_max_num_f32_e32 v3, v3, v4
	s_delay_alu instid0(VALU_DEP_2) | instskip(SKIP_2) | instid1(VALU_DEP_1)
	v_cmp_gt_i32_e32 vcc_lo, 32, v5
	s_wait_alu 0xfffd
	v_cndmask_b32_e32 v5, v0, v5, vcc_lo
	v_lshlrev_b32_e32 v5, 2, v5
	ds_bpermute_b32 v4, v5, v3
	s_wait_dscnt 0x0
	v_max_num_f32_e32 v4, v4, v4
	scratch_store_b32 off, v5, off offset:1276 ; 4-byte Folded Spill
	v_xor_b32_e32 v5, 1, v0
	s_delay_alu instid0(VALU_DEP_1)
	v_cmp_gt_i32_e32 vcc_lo, 32, v5
	s_wait_alu 0xfffd
	v_dual_cndmask_b32 v5, v0, v5 :: v_dual_max_num_f32 v0, v3, v4
	scratch_load_b32 v4, off, off offset:1376 ; 4-byte Folded Reload
	v_lshlrev_b32_e32 v5, 2, v5
	ds_bpermute_b32 v3, v5, v0
	s_wait_loadcnt 0x0
	v_cmp_eq_u32_e32 vcc_lo, 0, v4
	scratch_load_b32 v4, off, off offset:1380 ; 4-byte Folded Reload
	s_wait_loadcnt 0x0
	v_lshlrev_b32_e32 v4, 2, v4
	s_and_saveexec_b32 s0, vcc_lo
	s_cbranch_execz .LBB242_11
; %bb.10:
	s_wait_dscnt 0x0
	v_dual_max_num_f32 v3, v3, v3 :: v_dual_max_num_f32 v0, v0, v0
	s_delay_alu instid0(VALU_DEP_1)
	v_max_num_f32_e32 v0, v0, v3
	ds_store_b32 v4, v0 offset:1024
.LBB242_11:
	s_or_b32 exec_lo, exec_lo, s0
	scratch_load_b32 v0, off, off offset:1376 ; 4-byte Folded Reload
	s_wait_storecnt 0x0
	s_wait_loadcnt_dscnt 0x0
	s_barrier_signal -1
	s_barrier_wait -1
	global_inv scope:SCOPE_SE
	v_cmp_gt_u32_e64 s0, 4, v0
	v_mov_b32_e32 v0, 0xff7fffff
	s_and_saveexec_b32 s1, s0
; %bb.12:
	ds_load_b32 v0, v9 offset:1024
; %bb.13:
	s_or_b32 exec_lo, exec_lo, s1
	scratch_load_b32 v3, off, off offset:1276 ; 4-byte Folded Reload
	scratch_store_b32 off, v5, off offset:1292 ; 4-byte Folded Spill
	s_sub_co_i32 s1, s17, s33
	s_delay_alu instid0(SALU_CYCLE_1) | instskip(NEXT) | instid1(SALU_CYCLE_1)
	s_lshl_b32 s1, s1, 5
	s_add_co_i32 s1, s1, s28
	s_delay_alu instid0(SALU_CYCLE_1)
	s_min_i32 s1, s1, s27
	s_wait_kmcnt 0x0
	s_sub_co_i32 s5, s1, s28
	s_wait_loadcnt_dscnt 0x0
	ds_bpermute_b32 v3, v3, v0
	s_wait_dscnt 0x0
	v_dual_max_num_f32 v0, v0, v0 :: v_dual_max_num_f32 v3, v3, v3
	s_delay_alu instid0(VALU_DEP_1) | instskip(SKIP_4) | instid1(VALU_DEP_1)
	v_max_num_f32_e32 v0, v0, v3
	ds_bpermute_b32 v3, v5, v0
	v_mov_b32_e32 v5, 0
	s_wait_dscnt 0x0
	v_max_num_f32_e32 v3, v3, v3
	v_max_num_f32_e32 v0, v0, v3
	scratch_load_b32 v3, off, off offset:1372 ; 4-byte Folded Reload
	ds_bpermute_b32 v0, v5, v0
	s_wait_loadcnt 0x0
	s_wait_alu 0xfffe
	v_cmp_gt_i32_e64 s1, s5, v3
	v_lshl_add_u32 v3, v3, 2, 0x420
	s_and_saveexec_b32 s21, s1
	s_cbranch_execz .LBB242_17
; %bb.14:
	scratch_load_b32 v7, off, off offset:1372 ; 4-byte Folded Reload
	v_mov_b32_e32 v5, 0
	s_mov_b32 s33, 0
	s_wait_loadcnt 0x0
	v_lshl_add_u32 v6, v7, 2, 0x420
.LBB242_15:                             ; =>This Inner Loop Header: Depth=1
	ds_load_b32 v8, v6
	v_add_nc_u32_e32 v7, 0x80, v7
	s_delay_alu instid0(VALU_DEP_1) | instskip(SKIP_4) | instid1(VALU_DEP_1)
	v_cmp_le_i32_e64 s4, s5, v7
	s_wait_alu 0xfffe
	s_or_b32 s33, s4, s33
	s_wait_dscnt 0x0
	v_sub_f32_e32 v8, v8, v0
	v_mul_f32_e32 v8, 0x3fb8aa3b, v8
	s_delay_alu instid0(VALU_DEP_1)
	v_exp_f32_e32 v8, v8
	ds_store_b32 v6, v8
	v_dual_add_f32 v5, v5, v8 :: v_dual_add_nc_u32 v6, 0x200, v6
	s_wait_alu 0xfffe
	s_and_not1_b32 exec_lo, exec_lo, s33
	s_cbranch_execnz .LBB242_15
; %bb.16:
	s_or_b32 exec_lo, exec_lo, s33
.LBB242_17:
	s_wait_alu 0xfffe
	s_or_b32 exec_lo, exec_lo, s21
	ds_bpermute_b32 v1, v1, v5
	s_wait_dscnt 0x0
	v_add_f32_e32 v1, v5, v1
	scratch_load_b32 v5, off, off offset:1292 ; 4-byte Folded Reload
	ds_bpermute_b32 v2, v2, v1
	s_wait_dscnt 0x0
	v_add_f32_e32 v1, v1, v2
	scratch_load_b32 v2, off, off offset:1308 ; 4-byte Folded Reload
	s_wait_loadcnt 0x0
	ds_bpermute_b32 v2, v2, v1
	s_wait_dscnt 0x0
	v_add_f32_e32 v1, v1, v2
	scratch_load_b32 v2, off, off offset:1276 ; 4-byte Folded Reload
	s_wait_loadcnt 0x0
	ds_bpermute_b32 v2, v2, v1
	s_wait_dscnt 0x0
	v_add_f32_e32 v1, v1, v2
	ds_bpermute_b32 v2, v5, v1
	s_wait_dscnt 0x0
	v_add_f32_e32 v1, v1, v2
	s_and_saveexec_b32 s4, vcc_lo
; %bb.18:
	ds_store_b32 v4, v1 offset:1040
; %bb.19:
	s_wait_alu 0xfffe
	s_or_b32 exec_lo, exec_lo, s4
	s_wait_storecnt_dscnt 0x0
	s_barrier_signal -1
	s_barrier_wait -1
	global_inv scope:SCOPE_SE
	s_and_saveexec_b32 s4, s0
; %bb.20:
	ds_load_b32 v1, v9 offset:1040
; %bb.21:
	s_wait_alu 0xfffe
	s_or_b32 exec_lo, exec_lo, s4
	scratch_load_b32 v2, off, off offset:1276 ; 4-byte Folded Reload
	s_wait_loadcnt_dscnt 0x0
	ds_bpermute_b32 v2, v2, v1
	s_wait_dscnt 0x0
	v_add_f32_e32 v1, v1, v2
	ds_bpermute_b32 v2, v5, v1
	s_wait_dscnt 0x0
	v_dual_add_f32 v1, v1, v2 :: v_dual_mov_b32 v2, 0
	ds_bpermute_b32 v1, v2, v1
	s_and_saveexec_b32 s0, s1
	s_cbranch_execz .LBB242_24
; %bb.22:
	s_wait_dscnt 0x0
	v_add_f32_e32 v2, 0x358637bd, v1
	s_mov_b32 s1, 0
	s_delay_alu instid0(VALU_DEP_1) | instskip(SKIP_1) | instid1(VALU_DEP_2)
	v_div_scale_f32 v4, null, v2, v2, 1.0
	v_div_scale_f32 v7, vcc_lo, 1.0, v2, 1.0
	v_rcp_f32_e32 v5, v4
	s_delay_alu instid0(TRANS32_DEP_1) | instskip(NEXT) | instid1(VALU_DEP_1)
	v_fma_f32 v6, -v4, v5, 1.0
	v_fmac_f32_e32 v5, v6, v5
	s_delay_alu instid0(VALU_DEP_1) | instskip(NEXT) | instid1(VALU_DEP_1)
	v_mul_f32_e32 v6, v7, v5
	v_fma_f32 v8, -v4, v6, v7
	s_delay_alu instid0(VALU_DEP_1) | instskip(NEXT) | instid1(VALU_DEP_1)
	v_fmac_f32_e32 v6, v8, v5
	v_fma_f32 v4, -v4, v6, v7
	s_wait_alu 0xfffd
	s_delay_alu instid0(VALU_DEP_1) | instskip(NEXT) | instid1(VALU_DEP_1)
	v_div_fmas_f32 v4, v4, v5, v6
	v_div_fixup_f32 v2, v4, v2, 1.0
	scratch_load_b32 v4, off, off offset:1372 ; 4-byte Folded Reload
.LBB242_23:                             ; =>This Inner Loop Header: Depth=1
	ds_load_b32 v5, v3
	s_wait_loadcnt_dscnt 0x0
	v_dual_mul_f32 v5, v2, v5 :: v_dual_add_nc_u32 v4, 0x80, v4
	s_delay_alu instid0(VALU_DEP_1) | instskip(SKIP_3) | instid1(SALU_CYCLE_1)
	v_cmp_le_i32_e32 vcc_lo, s5, v4
	ds_store_b32 v3, v5
	v_add_nc_u32_e32 v3, 0x200, v3
	s_or_b32 s1, vcc_lo, s1
	s_and_not1_b32 exec_lo, exec_lo, s1
	s_cbranch_execnz .LBB242_23
.LBB242_24:
	s_or_b32 exec_lo, exec_lo, s0
	s_wait_dscnt 0x0
	s_barrier_signal -1
	scratch_load_b32 v2, off, off offset:1372 ; 4-byte Folded Reload
	s_mul_i32 s0, s12, s30
	s_barrier_wait -1
	s_mul_i32 s4, s0, s31
	s_mov_b32 s0, exec_lo
	s_wait_loadcnt 0x0
	global_inv scope:SCOPE_SE
	v_cmpx_eq_u32_e32 0, v2
	s_cbranch_execz .LBB242_26
; %bb.25:
	s_wait_alu 0xfffe
	s_ashr_i32 s5, s4, 31
	s_mul_i32 s30, s12, ttmp9
	s_lshl_b32 s1, s26, 2
	s_wait_alu 0xfffe
	s_lshl_b64 s[34:35], s[4:5], 2
	s_ashr_i32 s31, s30, 31
	v_mov_b32_e32 v2, s1
	s_add_nc_u64 s[10:11], s[10:11], s[34:35]
	s_lshl_b64 s[30:31], s[30:31], 2
	s_add_nc_u64 s[8:9], s[8:9], s[34:35]
	s_wait_alu 0xfffe
	s_add_nc_u64 s[10:11], s[10:11], s[30:31]
	s_add_nc_u64 s[8:9], s[8:9], s[30:31]
	s_clause 0x1
	global_store_b32 v2, v0, s[10:11]
	global_store_b32 v2, v1, s[8:9]
.LBB242_26:
	s_or_b32 exec_lo, exec_lo, s0
	v_dual_mov_b32 v55, 0 :: v_dual_mov_b32 v0, 0
	v_dual_mov_b32 v76, 0 :: v_dual_mov_b32 v77, 0
	;; [unrolled: 1-line block ×3, first 2 shown]
	scratch_store_b32 off, v0, off offset:1172 ; 4-byte Folded Spill
	v_dual_mov_b32 v0, 0 :: v_dual_mov_b32 v37, 0
	v_dual_mov_b32 v73, 0 :: v_dual_mov_b32 v70, 0
	v_mov_b32_e32 v35, 0
	scratch_store_b32 off, v0, off offset:1156 ; 4-byte Folded Spill
	v_dual_mov_b32 v0, 0 :: v_dual_mov_b32 v69, 0
	v_dual_mov_b32 v68, 0 :: v_dual_mov_b32 v97, 0
	v_dual_mov_b32 v67, 0 :: v_dual_mov_b32 v66, 0
	scratch_store_b32 off, v0, off offset:1140 ; 4-byte Folded Spill
	v_dual_mov_b32 v0, 0 :: v_dual_mov_b32 v95, 0
	v_dual_mov_b32 v65, 0 :: v_dual_mov_b32 v64, 0
	;; [unrolled: 1-line block ×3, first 2 shown]
	scratch_store_b32 off, v0, off offset:1124 ; 4-byte Folded Spill
	v_dual_mov_b32 v0, 0 :: v_dual_mov_b32 v33, 0
	v_dual_mov_b32 v61, 0 :: v_dual_mov_b32 v60, 0
	v_mov_b32_e32 v99, 0
	scratch_store_b32 off, v0, off offset:1108 ; 4-byte Folded Spill
	v_dual_mov_b32 v0, 0 :: v_dual_mov_b32 v59, 0
	v_dual_mov_b32 v58, 0 :: v_dual_mov_b32 v57, 0
	v_mov_b32_e32 v56, 0
	;; [unrolled: 4-line block ×3, first 2 shown]
	scratch_store_b32 off, v0, off offset:1076 ; 4-byte Folded Spill
	v_dual_mov_b32 v0, 0 :: v_dual_mov_b32 v31, 0
	v_dual_mov_b32 v36, 0 :: v_dual_mov_b32 v81, 0
	;; [unrolled: 1-line block ×3, first 2 shown]
	scratch_store_b32 off, v0, off offset:1060 ; 4-byte Folded Spill
	v_dual_mov_b32 v0, 0 :: v_dual_mov_b32 v89, 0
	v_dual_mov_b32 v96, 0 :: v_dual_mov_b32 v85, 0
	;; [unrolled: 1-line block ×6, first 2 shown]
	v_mov_b32_e32 v30, 0
	v_mov_b32_e32 v88, 0
	;; [unrolled: 1-line block ×8, first 2 shown]
	scratch_store_b32 off, v0, off offset:1044 ; 4-byte Folded Spill
	s_and_saveexec_b32 s1, s3
	s_cbranch_execz .LBB242_158
; %bb.27:
	scratch_load_b32 v0, off, off offset:1372 ; 4-byte Folded Reload
	s_load_b32 s6, s[6:7], 0x0
	v_dual_mov_b32 v90, 0 :: v_dual_mov_b32 v91, 0
	v_dual_mov_b32 v92, 0 :: v_dual_mov_b32 v93, 0
	;; [unrolled: 1-line block ×17, first 2 shown]
	v_mov_b32_e32 v58, 0
	v_mov_b32_e32 v60, 0
	;; [unrolled: 1-line block ×9, first 2 shown]
	s_lshl_b64 s[8:9], s[22:23], 2
	s_lshl_b32 s0, s28, 2
	s_ashr_i32 s21, s20, 31
	s_wait_alu 0xfffe
	s_add_nc_u64 s[8:9], s[18:19], s[8:9]
	s_sub_co_i32 s3, 0x420, s0
	s_mov_b32 s5, s13
	s_add_nc_u64 s[10:11], s[24:25], s[20:21]
	s_wait_kmcnt 0x0
	s_mov_b32 s7, s6
	s_add_co_i32 s18, s29, -1
	s_mov_b32 s13, 0
	v_dual_mov_b32 v31, 0 :: v_dual_mov_b32 v78, 0
	v_dual_mov_b32 v30, 0 :: v_dual_mov_b32 v51, 0
	v_mov_b32_e32 v53, 0
	v_mov_b32_e32 v57, 0
	;; [unrolled: 1-line block ×7, first 2 shown]
	s_wait_loadcnt 0x0
	v_dual_mov_b32 v69, 0 :: v_dual_lshlrev_b32 v0, 2, v0
	s_delay_alu instid0(VALU_DEP_1)
	v_and_b32_e32 v1, 28, v0
	scratch_store_b32 off, v1, off offset:1212 ; 4-byte Folded Spill
	v_and_b32_e32 v1, 0x7c, v0
	scratch_store_b32 off, v1, off offset:1228 ; 4-byte Folded Spill
	v_or_b32_e32 v1, 0xf80, v0
	v_or_b32_e32 v0, 0x1f80, v0
	scratch_store_b32 off, v0, off offset:1260 ; 4-byte Folded Spill
	v_mov_b32_e32 v0, 0
	s_clause 0x1
	scratch_store_b32 off, v1, off offset:1244
	scratch_store_b32 off, v0, off offset:1044
	v_mov_b32_e32 v0, 0
	scratch_store_b32 off, v0, off offset:1060 ; 4-byte Folded Spill
	v_mov_b32_e32 v0, 0
	scratch_store_b32 off, v0, off offset:1076 ; 4-byte Folded Spill
	;; [unrolled: 2-line block ×8, first 2 shown]
	s_branch .LBB242_29
.LBB242_28:                             ;   in Loop: Header=BB242_29 Depth=1
	s_wait_alu 0xfffe
	s_or_b32 exec_lo, exec_lo, s0
	s_wait_dscnt 0x0
	v_mul_f32_e32 v27, v1, v27
	v_mul_f32_e32 v21, v1, v21
	;; [unrolled: 1-line block ×4, first 2 shown]
	s_delay_alu instid0(VALU_DEP_4) | instskip(NEXT) | instid1(VALU_DEP_3)
	v_dual_fmac_f32 v27, v2, v26 :: v_dual_mul_f32 v26, v1, v88
	v_fmac_f32_e32 v14, v2, v13
	s_delay_alu instid0(VALU_DEP_3) | instskip(NEXT) | instid1(VALU_DEP_3)
	v_fmac_f32_e32 v9, v2, v105
	v_dual_fmac_f32 v27, v3, v25 :: v_dual_fmac_f32 v26, v2, v23
	s_delay_alu instid0(VALU_DEP_3) | instskip(NEXT) | instid1(VALU_DEP_3)
	v_dual_fmac_f32 v14, v3, v15 :: v_dual_mul_f32 v15, v1, v80
	v_fmac_f32_e32 v9, v3, v106
	s_delay_alu instid0(VALU_DEP_3) | instskip(SKIP_3) | instid1(VALU_DEP_4)
	v_fmac_f32_e32 v27, v4, v24
	v_mul_f32_e32 v17, v1, v17
	v_dual_fmac_f32 v26, v3, v89 :: v_dual_fmac_f32 v21, v2, v20
	v_fmac_f32_e32 v14, v4, v12
	v_add_f32_e32 v30, v30, v27
	s_delay_alu instid0(VALU_DEP_3) | instskip(NEXT) | instid1(VALU_DEP_4)
	v_dual_fmac_f32 v17, v2, v16 :: v_dual_fmac_f32 v26, v4, v22
	v_fmac_f32_e32 v21, v3, v87
	v_mul_f32_e32 v16, v1, v71
	v_add_f32_e32 v92, v92, v14
	s_delay_alu instid0(VALU_DEP_4) | instskip(NEXT) | instid1(VALU_DEP_3)
	v_dual_mul_f32 v12, v1, v181 :: v_dual_add_f32 v31, v31, v26
	v_dual_fmac_f32 v21, v4, v86 :: v_dual_fmac_f32 v16, v2, v191
	v_mul_f32_e32 v13, v1, v85
	v_fmac_f32_e32 v17, v3, v19
	v_mul_f32_e32 v14, v1, v171
	s_delay_alu instid0(VALU_DEP_4) | instskip(SKIP_1) | instid1(VALU_DEP_4)
	v_add_f32_e32 v90, v90, v21
	v_dual_fmac_f32 v16, v3, v78 :: v_dual_fmac_f32 v15, v2, v79
	v_fmac_f32_e32 v17, v4, v18
	s_delay_alu instid0(VALU_DEP_4) | instskip(SKIP_1) | instid1(VALU_DEP_4)
	v_fmac_f32_e32 v14, v2, v170
	v_fmac_f32_e32 v12, v2, v180
	v_dual_fmac_f32 v16, v4, v72 :: v_dual_fmac_f32 v15, v3, v81
	s_delay_alu instid0(VALU_DEP_3) | instskip(NEXT) | instid1(VALU_DEP_2)
	v_dual_fmac_f32 v9, v4, v10 :: v_dual_fmac_f32 v14, v3, v173
	v_dual_fmac_f32 v12, v3, v179 :: v_dual_add_f32 v33, v33, v16
	s_delay_alu instid0(VALU_DEP_3) | instskip(SKIP_1) | instid1(VALU_DEP_3)
	v_fmac_f32_e32 v15, v4, v0
	v_dual_mul_f32 v0, v1, v184 :: v_dual_add_f32 v91, v91, v17
	v_dual_fmac_f32 v13, v2, v84 :: v_dual_fmac_f32 v12, v4, v178
	s_delay_alu instid0(VALU_DEP_3) | instskip(NEXT) | instid1(VALU_DEP_3)
	v_add_f32_e32 v32, v32, v15
	v_fmac_f32_e32 v0, v2, v183
	v_mul_f32_e32 v17, v1, v187
	s_delay_alu instid0(VALU_DEP_4) | instskip(SKIP_1) | instid1(VALU_DEP_3)
	v_dual_mul_f32 v15, v1, v167 :: v_dual_add_f32 v36, v36, v12
	v_fmac_f32_e32 v14, v4, v172
	v_dual_fmac_f32 v0, v3, v185 :: v_dual_fmac_f32 v17, v2, v186
	s_delay_alu instid0(VALU_DEP_3) | instskip(NEXT) | instid1(VALU_DEP_3)
	v_dual_fmac_f32 v15, v2, v166 :: v_dual_mul_f32 v12, v1, v161
	v_add_f32_e32 v38, v38, v14
	s_delay_alu instid0(VALU_DEP_3) | instskip(NEXT) | instid1(VALU_DEP_4)
	v_fmac_f32_e32 v0, v4, v182
	v_dual_fmac_f32 v17, v3, v190 :: v_dual_mul_f32 v14, v1, v151
	s_delay_alu instid0(VALU_DEP_4)
	v_fmac_f32_e32 v12, v2, v160
	scratch_load_b32 v10, off, off offset:1012 th:TH_LOAD_LU ; 4-byte Folded Reload
	v_add_f32_e32 v35, v35, v0
	v_fmac_f32_e32 v17, v4, v188
	v_dual_fmac_f32 v13, v3, v83 :: v_dual_mul_f32 v0, v1, v164
	v_dual_fmac_f32 v15, v3, v169 :: v_dual_fmac_f32 v14, v2, v150
	s_delay_alu instid0(VALU_DEP_2) | instskip(NEXT) | instid1(VALU_DEP_2)
	v_dual_add_f32 v34, v34, v17 :: v_dual_fmac_f32 v13, v4, v82
	v_dual_fmac_f32 v0, v2, v163 :: v_dual_fmac_f32 v15, v4, v168
	v_fmac_f32_e32 v12, v3, v159
	s_delay_alu instid0(VALU_DEP_4) | instskip(NEXT) | instid1(VALU_DEP_4)
	v_fmac_f32_e32 v14, v3, v153
	v_add_f32_e32 v93, v93, v13
	s_delay_alu instid0(VALU_DEP_4) | instskip(NEXT) | instid1(VALU_DEP_4)
	v_dual_mul_f32 v13, v1, v176 :: v_dual_fmac_f32 v0, v3, v165
	v_dual_add_f32 v39, v39, v15 :: v_dual_fmac_f32 v12, v4, v158
	s_delay_alu instid0(VALU_DEP_2) | instskip(NEXT) | instid1(VALU_DEP_3)
	v_dual_fmac_f32 v14, v4, v152 :: v_dual_fmac_f32 v13, v2, v175
	v_dual_fmac_f32 v0, v4, v162 :: v_dual_mul_f32 v15, v1, v147
	s_delay_alu instid0(VALU_DEP_2) | instskip(NEXT) | instid1(VALU_DEP_2)
	v_dual_add_f32 v50, v50, v9 :: v_dual_add_f32 v43, v43, v14
	v_dual_fmac_f32 v13, v3, v177 :: v_dual_add_f32 v40, v40, v0
	s_delay_alu instid0(VALU_DEP_3) | instskip(SKIP_1) | instid1(VALU_DEP_3)
	v_dual_fmac_f32 v15, v2, v146 :: v_dual_mul_f32 v0, v1, v140
	v_mul_f32_e32 v9, v1, v100
	v_fmac_f32_e32 v13, v4, v174
	scratch_load_b32 v78, off, off offset:1196 th:TH_LOAD_LU ; 4-byte Folded Reload
	v_dual_fmac_f32 v15, v3, v149 :: v_dual_fmac_f32 v0, v2, v139
	v_fmac_f32_e32 v9, v2, v99
	v_add_f32_e32 v37, v37, v13
	s_delay_alu instid0(VALU_DEP_3) | instskip(NEXT) | instid1(VALU_DEP_3)
	v_dual_mul_f32 v13, v1, v156 :: v_dual_fmac_f32 v0, v3, v141
	v_fmac_f32_e32 v9, v3, v98
	s_delay_alu instid0(VALU_DEP_2) | instskip(NEXT) | instid1(VALU_DEP_2)
	v_fmac_f32_e32 v13, v2, v155
	v_fmac_f32_e32 v9, v4, v11
	scratch_load_b32 v11, off, off offset:804 th:TH_LOAD_LU ; 4-byte Folded Reload
	v_fmac_f32_e32 v13, v3, v157
	s_delay_alu instid0(VALU_DEP_1) | instskip(NEXT) | instid1(VALU_DEP_1)
	v_fmac_f32_e32 v13, v4, v154
	v_dual_fmac_f32 v15, v4, v148 :: v_dual_add_f32 v42, v42, v13
	s_delay_alu instid0(VALU_DEP_1)
	v_dual_add_f32 v41, v41, v12 :: v_dual_add_f32 v44, v44, v15
	v_mul_f32_e32 v12, v1, v137
	v_mul_f32_e32 v13, v1, v132
	;; [unrolled: 1-line block ×4, first 2 shown]
	v_fmac_f32_e32 v0, v4, v138
	v_fmac_f32_e32 v12, v2, v136
	;; [unrolled: 1-line block ×4, first 2 shown]
	s_delay_alu instid0(VALU_DEP_4) | instskip(NEXT) | instid1(VALU_DEP_4)
	v_dual_fmac_f32 v14, v2, v126 :: v_dual_add_f32 v45, v45, v0
	v_fmac_f32_e32 v12, v3, v135
	s_delay_alu instid0(VALU_DEP_4) | instskip(NEXT) | instid1(VALU_DEP_4)
	v_fmac_f32_e32 v13, v3, v133
	v_fmac_f32_e32 v15, v3, v125
	s_delay_alu instid0(VALU_DEP_4)
	v_fmac_f32_e32 v14, v3, v129
	v_mul_f32_e32 v0, v1, v121
	v_fmac_f32_e32 v12, v4, v134
	v_fmac_f32_e32 v13, v4, v130
	;; [unrolled: 1-line block ×4, first 2 shown]
	s_delay_alu instid0(VALU_DEP_4) | instskip(SKIP_3) | instid1(VALU_DEP_3)
	v_add_f32_e32 v46, v46, v12
	v_mul_f32_e32 v12, v1, v118
	v_add_f32_e32 v94, v94, v13
	v_dual_mul_f32 v13, v1, v113 :: v_dual_fmac_f32 v0, v2, v120
	v_dual_add_f32 v95, v95, v14 :: v_dual_fmac_f32 v12, v2, v117
	s_delay_alu instid0(VALU_DEP_2) | instskip(SKIP_1) | instid1(VALU_DEP_3)
	v_dual_add_f32 v96, v96, v15 :: v_dual_fmac_f32 v13, v2, v112
	v_mul_f32_e32 v14, v1, v108
	v_fmac_f32_e32 v12, v3, v116
	s_delay_alu instid0(VALU_DEP_3) | instskip(SKIP_1) | instid1(VALU_DEP_3)
	v_fmac_f32_e32 v13, v3, v114
	v_fmac_f32_e32 v0, v3, v189
	;; [unrolled: 1-line block ×3, first 2 shown]
	s_delay_alu instid0(VALU_DEP_3) | instskip(NEXT) | instid1(VALU_DEP_2)
	v_fmac_f32_e32 v13, v4, v111
	v_dual_fmac_f32 v0, v4, v119 :: v_dual_add_f32 v47, v47, v12
	scratch_load_b32 v12, off, off offset:996 th:TH_LOAD_LU ; 4-byte Folded Reload
	v_dual_fmac_f32 v14, v2, v107 :: v_dual_add_f32 v97, v97, v0
	v_add_f32_e32 v48, v48, v13
	scratch_load_b32 v13, off, off offset:916 th:TH_LOAD_LU ; 4-byte Folded Reload
	v_fmac_f32_e32 v14, v3, v110
	s_delay_alu instid0(VALU_DEP_1) | instskip(NEXT) | instid1(VALU_DEP_1)
	v_fmac_f32_e32 v14, v4, v109
	v_add_f32_e32 v49, v49, v14
	scratch_load_b32 v14, off, off offset:852 th:TH_LOAD_LU ; 4-byte Folded Reload
	s_wait_loadcnt 0x5
	v_mul_f32_e32 v10, v1, v10
	s_wait_loadcnt 0x2
	s_delay_alu instid0(VALU_DEP_1) | instskip(SKIP_3) | instid1(VALU_DEP_1)
	v_fmac_f32_e32 v10, v2, v12
	scratch_load_b32 v12, off, off offset:932 th:TH_LOAD_LU ; 4-byte Folded Reload
	s_wait_loadcnt 0x0
	v_mul_f32_e32 v12, v1, v12
	v_fmac_f32_e32 v12, v2, v13
	scratch_load_b32 v13, off, off offset:868 th:TH_LOAD_LU ; 4-byte Folded Reload
	s_wait_loadcnt 0x0
	v_mul_f32_e32 v13, v1, v13
	s_delay_alu instid0(VALU_DEP_1) | instskip(SKIP_2) | instid1(VALU_DEP_1)
	v_dual_mul_f32 v0, v1, v103 :: v_dual_fmac_f32 v13, v2, v14
	scratch_load_b32 v14, off, off offset:1028 th:TH_LOAD_LU ; 4-byte Folded Reload
	v_fmac_f32_e32 v0, v2, v102
	v_fmac_f32_e32 v0, v3, v104
	s_delay_alu instid0(VALU_DEP_1)
	v_fmac_f32_e32 v0, v4, v101
	s_wait_loadcnt 0x0
	v_fmac_f32_e32 v10, v3, v14
	scratch_load_b32 v14, off, off offset:964 th:TH_LOAD_LU ; 4-byte Folded Reload
	s_wait_loadcnt 0x0
	v_fmac_f32_e32 v12, v3, v14
	scratch_load_b32 v14, off, off offset:900 th:TH_LOAD_LU ; 4-byte Folded Reload
	s_wait_loadcnt 0x0
	v_fmac_f32_e32 v13, v3, v14
	scratch_load_b32 v14, off, off offset:1044 ; 4-byte Folded Reload
	s_wait_loadcnt 0x0
	v_add_f32_e32 v14, v14, v0
	scratch_load_b32 v0, off, off offset:980 th:TH_LOAD_LU ; 4-byte Folded Reload
	s_wait_loadcnt 0x0
	v_fmac_f32_e32 v10, v4, v0
	scratch_load_b32 v0, off, off offset:948 th:TH_LOAD_LU ; 4-byte Folded Reload
	s_wait_loadcnt 0x0
	v_fmac_f32_e32 v12, v4, v0
	;; [unrolled: 3-line block ×3, first 2 shown]
	scratch_load_b32 v0, off, off offset:820 th:TH_LOAD_LU ; 4-byte Folded Reload
	s_wait_loadcnt 0x0
	v_mul_f32_e32 v0, v1, v0
	s_delay_alu instid0(VALU_DEP_1)
	v_fmac_f32_e32 v0, v2, v11
	scratch_load_b32 v11, off, off offset:1060 ; 4-byte Folded Reload
	s_wait_loadcnt 0x0
	v_add_f32_e32 v11, v11, v9
	scratch_load_b32 v9, off, off offset:1076 ; 4-byte Folded Reload
	scratch_store_b32 off, v14, off offset:1044 ; 4-byte Folded Spill
	s_wait_loadcnt 0x0
	v_add_f32_e32 v9, v9, v10
	scratch_store_b32 off, v11, off offset:1060 ; 4-byte Folded Spill
	s_clause 0x1
	scratch_load_b32 v10, off, off offset:740 th:TH_LOAD_LU
	scratch_load_b32 v11, off, off offset:676 th:TH_LOAD_LU
	scratch_store_b32 off, v9, off offset:1076 ; 4-byte Folded Spill
	scratch_load_b32 v9, off, off offset:1092 ; 4-byte Folded Reload
	s_wait_loadcnt 0x0
	v_add_f32_e32 v9, v9, v12
	scratch_load_b32 v12, off, off offset:628 th:TH_LOAD_LU ; 4-byte Folded Reload
	scratch_store_b32 off, v9, off offset:1092 ; 4-byte Folded Spill
	scratch_load_b32 v9, off, off offset:1108 ; 4-byte Folded Reload
	s_wait_loadcnt 0x0
	v_add_f32_e32 v9, v9, v13
	scratch_load_b32 v13, off, off offset:564 th:TH_LOAD_LU ; 4-byte Folded Reload
	scratch_store_b32 off, v9, off offset:1108 ; 4-byte Folded Spill
	scratch_load_b32 v9, off, off offset:836 th:TH_LOAD_LU ; 4-byte Folded Reload
	s_wait_loadcnt 0x0
	v_fmac_f32_e32 v0, v3, v9
	scratch_load_b32 v9, off, off offset:772 th:TH_LOAD_LU ; 4-byte Folded Reload
	s_wait_loadcnt 0x0
	v_mul_f32_e32 v9, v1, v9
	s_delay_alu instid0(VALU_DEP_1) | instskip(SKIP_3) | instid1(VALU_DEP_1)
	v_fmac_f32_e32 v9, v2, v10
	scratch_load_b32 v10, off, off offset:692 th:TH_LOAD_LU ; 4-byte Folded Reload
	s_wait_loadcnt 0x0
	v_mul_f32_e32 v10, v1, v10
	v_fmac_f32_e32 v10, v2, v11
	scratch_load_b32 v11, off, off offset:644 th:TH_LOAD_LU ; 4-byte Folded Reload
	s_wait_loadcnt 0x0
	v_mul_f32_e32 v11, v1, v11
	s_delay_alu instid0(VALU_DEP_1) | instskip(SKIP_3) | instid1(VALU_DEP_1)
	v_fmac_f32_e32 v11, v2, v12
	scratch_load_b32 v12, off, off offset:580 th:TH_LOAD_LU ; 4-byte Folded Reload
	s_wait_loadcnt 0x0
	v_mul_f32_e32 v12, v1, v12
	v_fmac_f32_e32 v12, v2, v13
	scratch_load_b32 v13, off, off offset:788 th:TH_LOAD_LU ; 4-byte Folded Reload
	s_wait_loadcnt 0x0
	v_fmac_f32_e32 v0, v4, v13
	scratch_load_b32 v13, off, off offset:756 th:TH_LOAD_LU ; 4-byte Folded Reload
	s_wait_loadcnt 0x0
	v_fmac_f32_e32 v9, v3, v13
	scratch_load_b32 v13, off, off offset:708 th:TH_LOAD_LU ; 4-byte Folded Reload
	s_wait_loadcnt 0x0
	v_fmac_f32_e32 v10, v3, v13
	scratch_load_b32 v13, off, off offset:612 th:TH_LOAD_LU ; 4-byte Folded Reload
	s_wait_loadcnt 0x0
	v_fmac_f32_e32 v11, v3, v13
	scratch_load_b32 v13, off, off offset:548 th:TH_LOAD_LU ; 4-byte Folded Reload
	s_wait_loadcnt 0x0
	v_fmac_f32_e32 v12, v3, v13
	scratch_load_b32 v13, off, off offset:1124 ; 4-byte Folded Reload
	s_wait_loadcnt 0x0
	v_add_f32_e32 v13, v13, v0
	scratch_load_b32 v0, off, off offset:724 th:TH_LOAD_LU ; 4-byte Folded Reload
	scratch_store_b32 off, v13, off offset:1124 ; 4-byte Folded Spill
	scratch_load_b32 v13, off, off offset:500 th:TH_LOAD_LU ; 4-byte Folded Reload
	s_wait_loadcnt 0x1
	v_fmac_f32_e32 v9, v4, v0
	scratch_load_b32 v0, off, off offset:660 th:TH_LOAD_LU ; 4-byte Folded Reload
	s_wait_loadcnt 0x0
	v_fmac_f32_e32 v10, v4, v0
	;; [unrolled: 3-line block ×4, first 2 shown]
	scratch_load_b32 v0, off, off offset:516 th:TH_LOAD_LU ; 4-byte Folded Reload
	v_add_f32_e32 v52, v52, v12
	scratch_load_b32 v12, off, off offset:328 th:TH_LOAD_LU ; 4-byte Folded Reload
	s_wait_loadcnt 0x1
	v_mul_f32_e32 v0, v1, v0
	s_delay_alu instid0(VALU_DEP_1)
	v_fmac_f32_e32 v0, v2, v13
	scratch_load_b32 v13, off, off offset:1140 ; 4-byte Folded Reload
	s_wait_loadcnt 0x0
	v_add_f32_e32 v13, v13, v9
	scratch_load_b32 v9, off, off offset:1156 ; 4-byte Folded Reload
	s_wait_loadcnt 0x0
	v_add_f32_e32 v9, v9, v10
	scratch_store_b32 off, v13, off offset:1140 ; 4-byte Folded Spill
	s_clause 0x1
	scratch_load_b32 v10, off, off offset:436 th:TH_LOAD_LU
	scratch_load_b32 v13, off, off offset:312 th:TH_LOAD_LU
	scratch_store_b32 off, v9, off offset:1156 ; 4-byte Folded Spill
	scratch_load_b32 v9, off, off offset:1172 ; 4-byte Folded Reload
	s_wait_loadcnt 0x0
	v_add_f32_e32 v9, v9, v11
	scratch_load_b32 v11, off, off offset:372 th:TH_LOAD_LU ; 4-byte Folded Reload
	scratch_store_b32 off, v9, off offset:1172 ; 4-byte Folded Spill
	scratch_load_b32 v9, off, off offset:484 th:TH_LOAD_LU ; 4-byte Folded Reload
	s_wait_loadcnt 0x0
	v_fmac_f32_e32 v0, v3, v9
	scratch_load_b32 v9, off, off offset:452 th:TH_LOAD_LU ; 4-byte Folded Reload
	s_wait_loadcnt 0x0
	v_mul_f32_e32 v9, v1, v9
	s_delay_alu instid0(VALU_DEP_1) | instskip(SKIP_3) | instid1(VALU_DEP_1)
	v_fmac_f32_e32 v9, v2, v10
	scratch_load_b32 v10, off, off offset:388 th:TH_LOAD_LU ; 4-byte Folded Reload
	s_wait_loadcnt 0x0
	v_mul_f32_e32 v10, v1, v10
	v_fmac_f32_e32 v10, v2, v11
	scratch_load_b32 v11, off, off offset:332 th:TH_LOAD_LU ; 4-byte Folded Reload
	s_wait_loadcnt 0x0
	v_mul_f32_e32 v11, v1, v11
	s_delay_alu instid0(VALU_DEP_1) | instskip(SKIP_3) | instid1(VALU_DEP_1)
	v_fmac_f32_e32 v11, v2, v12
	scratch_load_b32 v12, off, off offset:316 th:TH_LOAD_LU ; 4-byte Folded Reload
	s_wait_loadcnt 0x0
	v_mul_f32_e32 v12, v1, v12
	v_fmac_f32_e32 v12, v2, v13
	scratch_load_b32 v13, off, off offset:468 th:TH_LOAD_LU ; 4-byte Folded Reload
	s_wait_loadcnt 0x0
	v_fmac_f32_e32 v0, v4, v13
	scratch_load_b32 v13, off, off offset:420 th:TH_LOAD_LU ; 4-byte Folded Reload
	v_add_f32_e32 v54, v54, v0
	scratch_load_b32 v0, off, off offset:404 th:TH_LOAD_LU ; 4-byte Folded Reload
	s_wait_loadcnt 0x1
	v_fmac_f32_e32 v9, v3, v13
	scratch_load_b32 v13, off, off offset:356 th:TH_LOAD_LU ; 4-byte Folded Reload
	s_wait_loadcnt 0x1
	v_fmac_f32_e32 v9, v4, v0
	scratch_load_b32 v0, off, off offset:340 th:TH_LOAD_LU ; 4-byte Folded Reload
	v_add_f32_e32 v55, v55, v9
	scratch_load_b32 v9, off, off offset:292 th:TH_LOAD_LU ; 4-byte Folded Reload
	s_wait_loadcnt 0x2
	;; [unrolled: 8-line block ×5, first 2 shown]
	v_mul_f32_e32 v0, v1, v0
	s_delay_alu instid0(VALU_DEP_1)
	v_fmac_f32_e32 v0, v2, v13
	scratch_load_b32 v13, off, off offset:232 th:TH_LOAD_LU ; 4-byte Folded Reload
	v_fmac_f32_e32 v0, v3, v9
	scratch_load_b32 v9, off, off offset:284 th:TH_LOAD_LU ; 4-byte Folded Reload
	s_wait_loadcnt 0x0
	v_mul_f32_e32 v9, v1, v9
	s_delay_alu instid0(VALU_DEP_1) | instskip(SKIP_3) | instid1(VALU_DEP_1)
	v_fmac_f32_e32 v9, v2, v10
	scratch_load_b32 v10, off, off offset:268 th:TH_LOAD_LU ; 4-byte Folded Reload
	s_wait_loadcnt 0x0
	v_mul_f32_e32 v10, v1, v10
	v_fmac_f32_e32 v10, v2, v11
	scratch_load_b32 v11, off, off offset:252 th:TH_LOAD_LU ; 4-byte Folded Reload
	s_wait_loadcnt 0x0
	v_mul_f32_e32 v11, v1, v11
	s_delay_alu instid0(VALU_DEP_1) | instskip(SKIP_3) | instid1(VALU_DEP_1)
	v_fmac_f32_e32 v11, v2, v12
	scratch_load_b32 v12, off, off offset:236 th:TH_LOAD_LU ; 4-byte Folded Reload
	s_wait_loadcnt 0x0
	v_mul_f32_e32 v12, v1, v12
	v_fmac_f32_e32 v12, v2, v13
	scratch_load_b32 v13, off, off offset:288 th:TH_LOAD_LU ; 4-byte Folded Reload
	s_wait_loadcnt 0x0
	v_fmac_f32_e32 v0, v4, v13
	scratch_load_b32 v13, off, off offset:276 th:TH_LOAD_LU ; 4-byte Folded Reload
	v_add_f32_e32 v57, v57, v0
	scratch_load_b32 v0, off, off offset:272 th:TH_LOAD_LU ; 4-byte Folded Reload
	s_wait_loadcnt 0x1
	v_fmac_f32_e32 v9, v3, v13
	scratch_load_b32 v13, off, off offset:260 th:TH_LOAD_LU ; 4-byte Folded Reload
	s_wait_loadcnt 0x1
	v_fmac_f32_e32 v9, v4, v0
	scratch_load_b32 v0, off, off offset:256 th:TH_LOAD_LU ; 4-byte Folded Reload
	v_add_f32_e32 v58, v58, v9
	scratch_load_b32 v9, off, off offset:212 th:TH_LOAD_LU ; 4-byte Folded Reload
	s_wait_loadcnt 0x2
	;; [unrolled: 8-line block ×5, first 2 shown]
	v_mul_f32_e32 v0, v1, v0
	s_delay_alu instid0(VALU_DEP_1) | instskip(NEXT) | instid1(VALU_DEP_1)
	v_fmac_f32_e32 v0, v2, v13
	v_fmac_f32_e32 v0, v3, v9
	scratch_load_b32 v9, off, off offset:204 th:TH_LOAD_LU ; 4-byte Folded Reload
	s_wait_loadcnt 0x0
	v_mul_f32_e32 v9, v1, v9
	s_delay_alu instid0(VALU_DEP_1)
	v_fmac_f32_e32 v9, v2, v10
	scratch_load_b32 v10, off, off offset:208 th:TH_LOAD_LU ; 4-byte Folded Reload
	s_wait_loadcnt 0x0
	v_fmac_f32_e32 v0, v4, v10
	scratch_load_b32 v10, off, off offset:188 th:TH_LOAD_LU ; 4-byte Folded Reload
	v_add_f32_e32 v62, v62, v0
	s_clause 0x1
	scratch_load_b32 v0, off, off offset:164 th:TH_LOAD_LU
	scratch_load_b32 v13, off, off offset:152 th:TH_LOAD_LU
	s_wait_loadcnt 0x2
	v_mul_f32_e32 v10, v1, v10
	s_delay_alu instid0(VALU_DEP_1) | instskip(SKIP_3) | instid1(VALU_DEP_1)
	v_fmac_f32_e32 v10, v2, v11
	scratch_load_b32 v11, off, off offset:172 th:TH_LOAD_LU ; 4-byte Folded Reload
	s_wait_loadcnt 0x0
	v_mul_f32_e32 v11, v1, v11
	v_fmac_f32_e32 v11, v2, v12
	scratch_load_b32 v12, off, off offset:156 th:TH_LOAD_LU ; 4-byte Folded Reload
	v_fmac_f32_e32 v11, v3, v0
	scratch_load_b32 v0, off, off offset:148 th:TH_LOAD_LU ; 4-byte Folded Reload
	s_wait_loadcnt 0x1
	v_mul_f32_e32 v12, v1, v12
	s_delay_alu instid0(VALU_DEP_1)
	v_fmac_f32_e32 v12, v2, v13
	scratch_load_b32 v13, off, off offset:196 th:TH_LOAD_LU ; 4-byte Folded Reload
	s_wait_loadcnt 0x1
	v_fmac_f32_e32 v12, v3, v0
	scratch_load_b32 v0, off, off offset:192 th:TH_LOAD_LU ; 4-byte Folded Reload
	s_wait_loadcnt 0x1
	;; [unrolled: 3-line block ×3, first 2 shown]
	v_fmac_f32_e32 v9, v4, v0
	scratch_load_b32 v0, off, off offset:176 th:TH_LOAD_LU ; 4-byte Folded Reload
	v_add_f32_e32 v63, v63, v9
	s_wait_loadcnt 0x1
	v_fmac_f32_e32 v10, v3, v13
	s_clause 0x1
	scratch_load_b32 v13, off, off offset:160 th:TH_LOAD_LU
	scratch_load_b32 v9, off, off offset:136 th:TH_LOAD_LU
	s_wait_loadcnt 0x2
	v_fmac_f32_e32 v10, v4, v0
	scratch_load_b32 v0, off, off offset:140 th:TH_LOAD_LU ; 4-byte Folded Reload
	v_add_f32_e32 v64, v64, v10
	scratch_load_b32 v10, off, off offset:132 th:TH_LOAD_LU ; 4-byte Folded Reload
	s_wait_loadcnt 0x3
	v_fmac_f32_e32 v11, v4, v13
	scratch_load_b32 v13, off, off offset:144 th:TH_LOAD_LU ; 4-byte Folded Reload
	s_wait_loadcnt 0x2
	v_mul_f32_e32 v0, v1, v0
	v_add_f32_e32 v65, v65, v11
	scratch_load_b32 v11, off, off offset:92 th:TH_LOAD_LU ; 4-byte Folded Reload
	v_fmac_f32_e32 v0, v2, v9
	scratch_load_b32 v9, off, off offset:124 th:TH_LOAD_LU ; 4-byte Folded Reload
	s_wait_loadcnt 0x3
	v_fmac_f32_e32 v0, v3, v10
	scratch_load_b32 v10, off, off offset:108 th:TH_LOAD_LU ; 4-byte Folded Reload
	s_wait_loadcnt 0x3
	v_fmac_f32_e32 v12, v4, v13
	scratch_load_b32 v13, off, off offset:120 th:TH_LOAD_LU ; 4-byte Folded Reload
	v_add_f32_e32 v66, v66, v12
	scratch_load_b32 v12, off, off offset:76 th:TH_LOAD_LU ; 4-byte Folded Reload
	s_wait_loadcnt 0x3
	v_mul_f32_e32 v9, v1, v9
	s_wait_loadcnt 0x1
	s_delay_alu instid0(VALU_DEP_1)
	v_dual_mul_f32 v10, v1, v10 :: v_dual_fmac_f32 v9, v2, v13
	scratch_load_b32 v13, off, off offset:128 th:TH_LOAD_LU ; 4-byte Folded Reload
	s_wait_loadcnt 0x0
	v_fmac_f32_e32 v0, v4, v13
	scratch_load_b32 v13, off, off offset:104 th:TH_LOAD_LU ; 4-byte Folded Reload
	v_add_f32_e32 v67, v67, v0
	scratch_load_b32 v0, off, off offset:100 th:TH_LOAD_LU ; 4-byte Folded Reload
	s_wait_loadcnt 0x1
	v_fmac_f32_e32 v10, v2, v13
	scratch_load_b32 v13, off, off offset:88 th:TH_LOAD_LU ; 4-byte Folded Reload
	s_wait_loadcnt 0x1
	v_dual_mul_f32 v11, v1, v11 :: v_dual_fmac_f32 v10, v3, v0
	scratch_load_b32 v0, off, off offset:84 th:TH_LOAD_LU ; 4-byte Folded Reload
	s_wait_loadcnt 0x1
	v_fmac_f32_e32 v11, v2, v13
	scratch_load_b32 v13, off, off offset:72 th:TH_LOAD_LU ; 4-byte Folded Reload
	v_mul_f32_e32 v12, v1, v12
	s_wait_loadcnt 0x1
	v_fmac_f32_e32 v11, v3, v0
	scratch_load_b32 v0, off, off offset:68 th:TH_LOAD_LU ; 4-byte Folded Reload
	s_wait_loadcnt 0x1
	v_fmac_f32_e32 v12, v2, v13
	scratch_load_b32 v13, off, off offset:116 th:TH_LOAD_LU ; 4-byte Folded Reload
	;; [unrolled: 3-line block ×5, first 2 shown]
	v_add_f32_e32 v68, v68, v9
	scratch_load_b32 v9, off, off offset:56 th:TH_LOAD_LU ; 4-byte Folded Reload
	s_wait_loadcnt 0x2
	v_fmac_f32_e32 v10, v4, v13
	scratch_load_b32 v13, off, off offset:80 th:TH_LOAD_LU ; 4-byte Folded Reload
	s_wait_loadcnt 0x2
	v_mul_f32_e32 v0, v1, v0
	v_add_f32_e32 v69, v69, v10
	scratch_load_b32 v10, off, off offset:52 th:TH_LOAD_LU ; 4-byte Folded Reload
	s_wait_loadcnt 0x2
	v_fmac_f32_e32 v0, v2, v9
	scratch_load_b32 v9, off, off offset:44 th:TH_LOAD_LU ; 4-byte Folded Reload
	s_wait_loadcnt 0x2
	v_fmac_f32_e32 v11, v4, v13
	scratch_load_b32 v13, off, off offset:64 th:TH_LOAD_LU ; 4-byte Folded Reload
	v_add_f32_e32 v70, v70, v11
	s_wait_loadcnt 0x2
	v_fmac_f32_e32 v0, v3, v10
	s_clause 0x1
	scratch_load_b32 v10, off, off offset:28 th:TH_LOAD_LU
	scratch_load_b32 v11, off, off offset:12 th:TH_LOAD_LU
	s_wait_loadcnt 0x3
	v_mul_f32_e32 v9, v1, v9
	s_wait_loadcnt 0x1
	v_mul_f32_e32 v10, v1, v10
	;; [unrolled: 2-line block ×3, first 2 shown]
	v_mul_f32_e32 v1, v1, v8
	scratch_load_b32 v8, off, off offset:40 th:TH_LOAD_LU ; 4-byte Folded Reload
	v_fmac_f32_e32 v1, v2, v7
	s_delay_alu instid0(VALU_DEP_1) | instskip(NEXT) | instid1(VALU_DEP_1)
	v_fmac_f32_e32 v1, v3, v6
	v_fmac_f32_e32 v1, v4, v5
	s_delay_alu instid0(VALU_DEP_1)
	v_add_f32_e32 v78, v78, v1
	s_wait_loadcnt 0x0
	v_fmac_f32_e32 v9, v2, v8
	scratch_load_b32 v8, off, off offset:48 th:TH_LOAD_LU ; 4-byte Folded Reload
	s_wait_loadcnt 0x0
	v_fmac_f32_e32 v0, v4, v8
	scratch_load_b32 v8, off, off offset:24 th:TH_LOAD_LU ; 4-byte Folded Reload
	v_add_f32_e32 v74, v74, v0
	scratch_load_b32 v0, off, off offset:20 th:TH_LOAD_LU ; 4-byte Folded Reload
	s_wait_loadcnt 0x1
	v_fmac_f32_e32 v10, v2, v8
	scratch_load_b32 v8, off, off offset:8 th:TH_LOAD_LU ; 4-byte Folded Reload
	s_wait_loadcnt 0x1
	v_fmac_f32_e32 v10, v3, v0
	;; [unrolled: 3-line block ×5, first 2 shown]
	s_wait_loadcnt 0x0
	s_delay_alu instid0(VALU_DEP_1)
	v_fmac_f32_e32 v9, v4, v0
	scratch_load_b32 v0, off, off offset:16 th:TH_LOAD_LU ; 4-byte Folded Reload
	s_wait_loadcnt 0x0
	v_dual_add_f32 v75, v75, v9 :: v_dual_fmac_f32 v10, v4, v0
	scratch_load_b32 v0, off, off th:TH_LOAD_LU ; 4-byte Folded Reload
	v_dual_fmac_f32 v12, v4, v13 :: v_dual_add_f32 v77, v77, v10
	s_delay_alu instid0(VALU_DEP_1) | instskip(SKIP_3) | instid1(VALU_DEP_1)
	v_add_f32_e32 v73, v73, v12
	scratch_load_b64 v[12:13], off, off offset:1188 th:TH_LOAD_LU ; 8-byte Folded Reload
	s_wait_loadcnt 0x1
	v_fmac_f32_e32 v11, v4, v0
	v_add_f32_e32 v76, v76, v11
	s_wait_loadcnt 0x0
	v_add_nc_u32_e32 v12, 4, v12
	s_delay_alu instid0(VALU_DEP_1) | instskip(SKIP_1) | instid1(SALU_CYCLE_1)
	v_cmp_le_i32_e32 vcc_lo, s17, v12
	s_or_b32 s13, vcc_lo, s13
	s_and_not1_b32 exec_lo, exec_lo, s13
	s_cbranch_execz .LBB242_157
.LBB242_29:                             ; =>This Inner Loop Header: Depth=1
	v_ashrrev_i32_e32 v13, 31, v12
	scratch_store_b32 off, v78, off offset:1196 ; 4-byte Folded Spill
	v_lshlrev_b64_e32 v[0:1], 2, v[12:13]
	s_wait_alu 0xfffe
	s_delay_alu instid0(VALU_DEP_1) | instskip(SKIP_1) | instid1(VALU_DEP_2)
	v_add_co_u32 v0, vcc_lo, s8, v0
	s_wait_alu 0xfffd
	v_add_co_ci_u32_e64 v1, null, s9, v1, vcc_lo
	global_load_b32 v0, v[0:1], off
	s_wait_loadcnt 0x0
	v_mad_co_i64_i32 v[5:6], null, v0, s5, s[10:11]
	scratch_load_b32 v0, off, off offset:1228 ; 4-byte Folded Reload
	s_wait_loadcnt 0x0
	v_add_co_u32 v7, vcc_lo, v5, v0
	s_wait_alu 0xfffd
	v_add_co_ci_u32_e64 v8, null, 0, v6, vcc_lo
	v_cmp_eq_u32_e32 vcc_lo, s18, v12
	global_load_b32 v0, v[7:8], off
	scratch_load_b32 v1, off, off offset:1212 ; 4-byte Folded Reload
	s_wait_loadcnt 0x1
	v_and_b32_e32 v9, 0xffff, v0
	s_wait_loadcnt 0x0
	v_lshl_or_b32 v142, v12, 5, v1
	v_lshrrev_b32_e32 v0, 16, v0
	s_delay_alu instid0(VALU_DEP_3) | instskip(NEXT) | instid1(VALU_DEP_3)
	v_cvt_pk_f32_fp8_e32 v[9:10], v9
	v_lshl_add_u32 v1, v142, 2, s3
	v_mov_b32_e32 v11, v12
	v_or_b32_e32 v144, 1, v142
	v_or_b32_e32 v143, 2, v142
	;; [unrolled: 1-line block ×3, first 2 shown]
	ds_load_b128 v[1:4], v1
	scratch_store_b64 off, v[11:12], off offset:1188 ; 8-byte Folded Spill
	v_cvt_pk_f32_fp8_e32 v[11:12], v0
	v_mul_f32_e32 v0, s6, v9
	scratch_store_b32 off, v0, off offset:12 ; 4-byte Folded Spill
	v_mul_f32_e32 v0, s7, v10
	scratch_store_b32 off, v0, off offset:8 ; 4-byte Folded Spill
	;; [unrolled: 2-line block ×3, first 2 shown]
	v_mul_f32_e32 v0, s7, v12
	scratch_store_b32 off, v0, off          ; 4-byte Folded Spill
	s_and_saveexec_b32 s19, vcc_lo
	s_cbranch_execz .LBB242_31
; %bb.30:                               ;   in Loop: Header=BB242_29 Depth=1
	scratch_load_b32 v0, off, off offset:12 ; 4-byte Folded Reload
	v_cmp_gt_i32_e64 s0, s27, v142
	s_wait_loadcnt 0x0
	s_wait_alu 0xf1ff
	s_delay_alu instid0(VALU_DEP_1)
	v_cndmask_b32_e64 v0, 0, v0, s0
	v_cmp_gt_i32_e64 s0, s27, v144
	scratch_store_b32 off, v0, off offset:12 ; 4-byte Folded Spill
	scratch_load_b32 v0, off, off offset:8  ; 4-byte Folded Reload
	s_wait_loadcnt 0x0
	s_wait_alu 0xf1ff
	v_cndmask_b32_e64 v0, 0, v0, s0
	v_cmp_gt_i32_e64 s0, s27, v143
	scratch_store_b32 off, v0, off offset:8 ; 4-byte Folded Spill
	scratch_load_b32 v0, off, off offset:4  ; 4-byte Folded Reload
	s_wait_loadcnt 0x0
	s_wait_alu 0xf1ff
	v_cndmask_b32_e64 v0, 0, v0, s0
	v_cmp_gt_i32_e64 s0, s27, v145
	scratch_store_b32 off, v0, off offset:4 ; 4-byte Folded Spill
	scratch_load_b32 v0, off, off           ; 4-byte Folded Reload
	s_wait_loadcnt 0x0
	s_wait_alu 0xf1ff
	v_cndmask_b32_e64 v0, 0, v0, s0
	scratch_store_b32 off, v0, off          ; 4-byte Folded Spill
.LBB242_31:                             ;   in Loop: Header=BB242_29 Depth=1
	s_wait_alu 0xfffe
	s_or_b32 exec_lo, exec_lo, s19
	global_load_b32 v0, v[7:8], off offset:128
	s_wait_loadcnt 0x0
	v_and_b32_e32 v9, 0xffff, v0
	v_lshrrev_b32_e32 v0, 16, v0
	s_delay_alu instid0(VALU_DEP_2) | instskip(NEXT) | instid1(VALU_DEP_2)
	v_cvt_pk_f32_fp8_e32 v[9:10], v9
	v_cvt_pk_f32_fp8_e32 v[11:12], v0
	s_delay_alu instid0(VALU_DEP_2)
	v_mul_f32_e32 v0, s6, v9
	scratch_store_b32 off, v0, off offset:28 ; 4-byte Folded Spill
	v_mul_f32_e32 v0, s7, v10
	scratch_store_b32 off, v0, off offset:24 ; 4-byte Folded Spill
	v_mul_f32_e32 v0, s6, v11
	scratch_store_b32 off, v0, off offset:20 ; 4-byte Folded Spill
	v_mul_f32_e32 v0, s7, v12
	scratch_store_b32 off, v0, off offset:16 ; 4-byte Folded Spill
	s_and_saveexec_b32 s19, vcc_lo
	s_cbranch_execz .LBB242_33
; %bb.32:                               ;   in Loop: Header=BB242_29 Depth=1
	scratch_load_b32 v0, off, off offset:28 ; 4-byte Folded Reload
	v_cmp_gt_i32_e64 s0, s27, v142
	s_wait_loadcnt 0x0
	s_wait_alu 0xf1ff
	s_delay_alu instid0(VALU_DEP_1)
	v_cndmask_b32_e64 v0, 0, v0, s0
	v_cmp_gt_i32_e64 s0, s27, v144
	scratch_store_b32 off, v0, off offset:28 ; 4-byte Folded Spill
	scratch_load_b32 v0, off, off offset:24 ; 4-byte Folded Reload
	s_wait_loadcnt 0x0
	s_wait_alu 0xf1ff
	v_cndmask_b32_e64 v0, 0, v0, s0
	v_cmp_gt_i32_e64 s0, s27, v143
	scratch_store_b32 off, v0, off offset:24 ; 4-byte Folded Spill
	scratch_load_b32 v0, off, off offset:20 ; 4-byte Folded Reload
	s_wait_loadcnt 0x0
	s_wait_alu 0xf1ff
	v_cndmask_b32_e64 v0, 0, v0, s0
	v_cmp_gt_i32_e64 s0, s27, v145
	scratch_store_b32 off, v0, off offset:20 ; 4-byte Folded Spill
	scratch_load_b32 v0, off, off offset:16 ; 4-byte Folded Reload
	s_wait_loadcnt 0x0
	s_wait_alu 0xf1ff
	v_cndmask_b32_e64 v0, 0, v0, s0
	scratch_store_b32 off, v0, off offset:16 ; 4-byte Folded Spill
.LBB242_33:                             ;   in Loop: Header=BB242_29 Depth=1
	s_wait_alu 0xfffe
	s_or_b32 exec_lo, exec_lo, s19
	global_load_b32 v0, v[7:8], off offset:256
	s_wait_loadcnt 0x0
	v_and_b32_e32 v9, 0xffff, v0
	v_lshrrev_b32_e32 v0, 16, v0
	s_delay_alu instid0(VALU_DEP_2) | instskip(NEXT) | instid1(VALU_DEP_2)
	v_cvt_pk_f32_fp8_e32 v[9:10], v9
	v_cvt_pk_f32_fp8_e32 v[11:12], v0
	s_delay_alu instid0(VALU_DEP_2)
	v_mul_f32_e32 v0, s6, v9
	scratch_store_b32 off, v0, off offset:44 ; 4-byte Folded Spill
	v_mul_f32_e32 v0, s7, v10
	scratch_store_b32 off, v0, off offset:40 ; 4-byte Folded Spill
	v_mul_f32_e32 v0, s6, v11
	scratch_store_b32 off, v0, off offset:36 ; 4-byte Folded Spill
	v_mul_f32_e32 v0, s7, v12
	scratch_store_b32 off, v0, off offset:32 ; 4-byte Folded Spill
	s_and_saveexec_b32 s19, vcc_lo
	s_cbranch_execz .LBB242_35
; %bb.34:                               ;   in Loop: Header=BB242_29 Depth=1
	scratch_load_b32 v0, off, off offset:44 ; 4-byte Folded Reload
	v_cmp_gt_i32_e64 s0, s27, v142
	s_wait_loadcnt 0x0
	s_wait_alu 0xf1ff
	s_delay_alu instid0(VALU_DEP_1)
	v_cndmask_b32_e64 v0, 0, v0, s0
	v_cmp_gt_i32_e64 s0, s27, v144
	scratch_store_b32 off, v0, off offset:44 ; 4-byte Folded Spill
	scratch_load_b32 v0, off, off offset:40 ; 4-byte Folded Reload
	s_wait_loadcnt 0x0
	s_wait_alu 0xf1ff
	v_cndmask_b32_e64 v0, 0, v0, s0
	v_cmp_gt_i32_e64 s0, s27, v143
	scratch_store_b32 off, v0, off offset:40 ; 4-byte Folded Spill
	scratch_load_b32 v0, off, off offset:36 ; 4-byte Folded Reload
	s_wait_loadcnt 0x0
	s_wait_alu 0xf1ff
	v_cndmask_b32_e64 v0, 0, v0, s0
	v_cmp_gt_i32_e64 s0, s27, v145
	scratch_store_b32 off, v0, off offset:36 ; 4-byte Folded Spill
	scratch_load_b32 v0, off, off offset:32 ; 4-byte Folded Reload
	s_wait_loadcnt 0x0
	s_wait_alu 0xf1ff
	v_cndmask_b32_e64 v0, 0, v0, s0
	scratch_store_b32 off, v0, off offset:32 ; 4-byte Folded Spill
.LBB242_35:                             ;   in Loop: Header=BB242_29 Depth=1
	;; [unrolled: 47-line block ×25, first 2 shown]
	s_wait_alu 0xfffe
	s_or_b32 exec_lo, exec_lo, s19
	global_load_b32 v0, v[7:8], off offset:3328
	s_wait_loadcnt 0x0
	v_and_b32_e32 v9, 0xffff, v0
	v_lshrrev_b32_e32 v0, 16, v0
	s_delay_alu instid0(VALU_DEP_2) | instskip(NEXT) | instid1(VALU_DEP_1)
	v_cvt_pk_f32_fp8_e32 v[9:10], v9
	v_mul_f32_e32 v9, s6, v9
	scratch_store_b32 off, v9, off offset:692 ; 4-byte Folded Spill
	v_mul_f32_e32 v9, s7, v10
	scratch_store_b32 off, v9, off offset:676 ; 4-byte Folded Spill
	v_cvt_pk_f32_fp8_e32 v[9:10], v0
	s_delay_alu instid0(VALU_DEP_1)
	v_mul_f32_e32 v0, s6, v9
	scratch_store_b32 off, v0, off offset:708 ; 4-byte Folded Spill
	v_mul_f32_e32 v0, s7, v10
	scratch_store_b32 off, v0, off offset:660 ; 4-byte Folded Spill
	s_and_saveexec_b32 s19, vcc_lo
	s_cbranch_execz .LBB242_83
; %bb.82:                               ;   in Loop: Header=BB242_29 Depth=1
	scratch_load_b32 v0, off, off offset:692 ; 4-byte Folded Reload
	v_cmp_gt_i32_e64 s0, s27, v142
	s_wait_loadcnt 0x0
	s_wait_alu 0xf1ff
	s_delay_alu instid0(VALU_DEP_1)
	v_cndmask_b32_e64 v0, 0, v0, s0
	v_cmp_gt_i32_e64 s0, s27, v144
	scratch_store_b32 off, v0, off offset:692 ; 4-byte Folded Spill
	scratch_load_b32 v0, off, off offset:676 ; 4-byte Folded Reload
	s_wait_loadcnt 0x0
	s_wait_alu 0xf1ff
	v_cndmask_b32_e64 v0, 0, v0, s0
	v_cmp_gt_i32_e64 s0, s27, v143
	scratch_store_b32 off, v0, off offset:676 ; 4-byte Folded Spill
	scratch_load_b32 v0, off, off offset:708 ; 4-byte Folded Reload
	s_wait_loadcnt 0x0
	s_wait_alu 0xf1ff
	v_cndmask_b32_e64 v0, 0, v0, s0
	v_cmp_gt_i32_e64 s0, s27, v145
	scratch_store_b32 off, v0, off offset:708 ; 4-byte Folded Spill
	scratch_load_b32 v0, off, off offset:660 ; 4-byte Folded Reload
	s_wait_loadcnt 0x0
	s_wait_alu 0xf1ff
	v_cndmask_b32_e64 v0, 0, v0, s0
	scratch_store_b32 off, v0, off offset:660 ; 4-byte Folded Spill
.LBB242_83:                             ;   in Loop: Header=BB242_29 Depth=1
	s_wait_alu 0xfffe
	s_or_b32 exec_lo, exec_lo, s19
	global_load_b32 v0, v[7:8], off offset:3456
	s_wait_loadcnt 0x0
	v_and_b32_e32 v9, 0xffff, v0
	v_lshrrev_b32_e32 v0, 16, v0
	s_delay_alu instid0(VALU_DEP_2) | instskip(NEXT) | instid1(VALU_DEP_1)
	v_cvt_pk_f32_fp8_e32 v[9:10], v9
	v_mul_f32_e32 v9, s6, v9
	scratch_store_b32 off, v9, off offset:772 ; 4-byte Folded Spill
	v_mul_f32_e32 v9, s7, v10
	scratch_store_b32 off, v9, off offset:740 ; 4-byte Folded Spill
	v_cvt_pk_f32_fp8_e32 v[9:10], v0
	s_delay_alu instid0(VALU_DEP_1)
	v_mul_f32_e32 v0, s6, v9
	scratch_store_b32 off, v0, off offset:756 ; 4-byte Folded Spill
	v_mul_f32_e32 v0, s7, v10
	scratch_store_b32 off, v0, off offset:724 ; 4-byte Folded Spill
	s_and_saveexec_b32 s19, vcc_lo
	s_cbranch_execz .LBB242_85
; %bb.84:                               ;   in Loop: Header=BB242_29 Depth=1
	scratch_load_b32 v0, off, off offset:772 ; 4-byte Folded Reload
	v_cmp_gt_i32_e64 s0, s27, v142
	s_wait_loadcnt 0x0
	s_wait_alu 0xf1ff
	s_delay_alu instid0(VALU_DEP_1)
	v_cndmask_b32_e64 v0, 0, v0, s0
	v_cmp_gt_i32_e64 s0, s27, v144
	scratch_store_b32 off, v0, off offset:772 ; 4-byte Folded Spill
	scratch_load_b32 v0, off, off offset:740 ; 4-byte Folded Reload
	s_wait_loadcnt 0x0
	s_wait_alu 0xf1ff
	v_cndmask_b32_e64 v0, 0, v0, s0
	v_cmp_gt_i32_e64 s0, s27, v143
	scratch_store_b32 off, v0, off offset:740 ; 4-byte Folded Spill
	scratch_load_b32 v0, off, off offset:756 ; 4-byte Folded Reload
	s_wait_loadcnt 0x0
	s_wait_alu 0xf1ff
	v_cndmask_b32_e64 v0, 0, v0, s0
	v_cmp_gt_i32_e64 s0, s27, v145
	scratch_store_b32 off, v0, off offset:756 ; 4-byte Folded Spill
	scratch_load_b32 v0, off, off offset:724 ; 4-byte Folded Reload
	s_wait_loadcnt 0x0
	s_wait_alu 0xf1ff
	v_cndmask_b32_e64 v0, 0, v0, s0
	scratch_store_b32 off, v0, off offset:724 ; 4-byte Folded Spill
.LBB242_85:                             ;   in Loop: Header=BB242_29 Depth=1
	;; [unrolled: 47-line block ×5, first 2 shown]
	s_wait_alu 0xfffe
	s_or_b32 exec_lo, exec_lo, s19
	scratch_load_b32 v0, off, off offset:1244 ; 4-byte Folded Reload
	s_wait_loadcnt 0x0
	v_add_co_u32 v9, s0, v5, v0
	s_wait_alu 0xf1ff
	v_add_co_ci_u32_e64 v10, null, 0, v6, s0
	global_load_b32 v0, v[9:10], off
	s_wait_loadcnt 0x0
	v_and_b32_e32 v9, 0xffff, v0
	v_lshrrev_b32_e32 v0, 16, v0
	s_delay_alu instid0(VALU_DEP_2) | instskip(NEXT) | instid1(VALU_DEP_1)
	v_cvt_pk_f32_fp8_e32 v[9:10], v9
	v_mul_f32_e32 v9, s6, v9
	scratch_store_b32 off, v9, off offset:1012 ; 4-byte Folded Spill
	v_mul_f32_e32 v9, s7, v10
	scratch_store_b32 off, v9, off offset:996 ; 4-byte Folded Spill
	v_cvt_pk_f32_fp8_e32 v[9:10], v0
	s_delay_alu instid0(VALU_DEP_1)
	v_mul_f32_e32 v0, s6, v9
	scratch_store_b32 off, v0, off offset:1028 ; 4-byte Folded Spill
	v_mul_f32_e32 v0, s7, v10
	scratch_store_b32 off, v0, off offset:980 ; 4-byte Folded Spill
	s_and_saveexec_b32 s19, vcc_lo
	s_cbranch_execz .LBB242_93
; %bb.92:                               ;   in Loop: Header=BB242_29 Depth=1
	scratch_load_b32 v0, off, off offset:1012 ; 4-byte Folded Reload
	v_cmp_gt_i32_e64 s0, s27, v142
	s_wait_loadcnt 0x0
	s_wait_alu 0xf1ff
	s_delay_alu instid0(VALU_DEP_1)
	v_cndmask_b32_e64 v0, 0, v0, s0
	v_cmp_gt_i32_e64 s0, s27, v144
	scratch_store_b32 off, v0, off offset:1012 ; 4-byte Folded Spill
	scratch_load_b32 v0, off, off offset:996 ; 4-byte Folded Reload
	s_wait_loadcnt 0x0
	s_wait_alu 0xf1ff
	v_cndmask_b32_e64 v0, 0, v0, s0
	v_cmp_gt_i32_e64 s0, s27, v143
	scratch_store_b32 off, v0, off offset:996 ; 4-byte Folded Spill
	scratch_load_b32 v0, off, off offset:1028 ; 4-byte Folded Reload
	s_wait_loadcnt 0x0
	s_wait_alu 0xf1ff
	;; [unrolled: 6-line block ×3, first 2 shown]
	v_cndmask_b32_e64 v0, 0, v0, s0
	scratch_store_b32 off, v0, off offset:980 ; 4-byte Folded Spill
.LBB242_93:                             ;   in Loop: Header=BB242_29 Depth=1
	s_wait_alu 0xfffe
	s_or_b32 exec_lo, exec_lo, s19
	global_load_b32 v0, v[7:8], off offset:4096
	s_wait_loadcnt 0x0
	v_and_b32_e32 v9, 0xffff, v0
	v_lshrrev_b32_e32 v0, 16, v0
	s_delay_alu instid0(VALU_DEP_2) | instskip(NEXT) | instid1(VALU_DEP_1)
	v_cvt_pk_f32_fp8_e32 v[9:10], v9
	v_dual_mul_f32 v100, s6, v9 :: v_dual_mul_f32 v99, s7, v10
	s_delay_alu instid0(VALU_DEP_3) | instskip(NEXT) | instid1(VALU_DEP_1)
	v_cvt_pk_f32_fp8_e32 v[9:10], v0
	v_dual_mul_f32 v98, s6, v9 :: v_dual_mul_f32 v11, s7, v10
	s_and_saveexec_b32 s19, vcc_lo
	s_cbranch_execz .LBB242_95
; %bb.94:                               ;   in Loop: Header=BB242_29 Depth=1
	v_cmp_gt_i32_e64 s0, s27, v142
	s_wait_alu 0xf1ff
	s_delay_alu instid0(VALU_DEP_1) | instskip(SKIP_2) | instid1(VALU_DEP_1)
	v_cndmask_b32_e64 v100, 0, v100, s0
	v_cmp_gt_i32_e64 s0, s27, v144
	s_wait_alu 0xf1ff
	v_cndmask_b32_e64 v99, 0, v99, s0
	v_cmp_gt_i32_e64 s0, s27, v143
	s_wait_alu 0xf1ff
	s_delay_alu instid0(VALU_DEP_1) | instskip(SKIP_2) | instid1(VALU_DEP_1)
	v_cndmask_b32_e64 v98, 0, v98, s0
	v_cmp_gt_i32_e64 s0, s27, v145
	s_wait_alu 0xf1ff
	v_cndmask_b32_e64 v11, 0, v11, s0
.LBB242_95:                             ;   in Loop: Header=BB242_29 Depth=1
	s_wait_alu 0xfffe
	s_or_b32 exec_lo, exec_lo, s19
	global_load_b32 v0, v[7:8], off offset:4224
	s_wait_loadcnt 0x0
	v_and_b32_e32 v9, 0xffff, v0
	v_lshrrev_b32_e32 v0, 16, v0
	s_delay_alu instid0(VALU_DEP_2) | instskip(NEXT) | instid1(VALU_DEP_1)
	v_cvt_pk_f32_fp8_e32 v[9:10], v9
	v_dual_mul_f32 v103, s6, v9 :: v_dual_mul_f32 v102, s7, v10
	s_delay_alu instid0(VALU_DEP_3) | instskip(NEXT) | instid1(VALU_DEP_1)
	v_cvt_pk_f32_fp8_e32 v[9:10], v0
	v_dual_mul_f32 v104, s6, v9 :: v_dual_mul_f32 v101, s7, v10
	s_and_saveexec_b32 s19, vcc_lo
	s_cbranch_execz .LBB242_97
; %bb.96:                               ;   in Loop: Header=BB242_29 Depth=1
	v_cmp_gt_i32_e64 s0, s27, v142
	s_wait_alu 0xf1ff
	s_delay_alu instid0(VALU_DEP_1) | instskip(SKIP_2) | instid1(VALU_DEP_1)
	v_cndmask_b32_e64 v103, 0, v103, s0
	v_cmp_gt_i32_e64 s0, s27, v144
	s_wait_alu 0xf1ff
	v_cndmask_b32_e64 v102, 0, v102, s0
	v_cmp_gt_i32_e64 s0, s27, v143
	s_wait_alu 0xf1ff
	s_delay_alu instid0(VALU_DEP_1) | instskip(SKIP_2) | instid1(VALU_DEP_1)
	v_cndmask_b32_e64 v104, 0, v104, s0
	v_cmp_gt_i32_e64 s0, s27, v145
	s_wait_alu 0xf1ff
	v_cndmask_b32_e64 v101, 0, v101, s0
.LBB242_97:                             ;   in Loop: Header=BB242_29 Depth=1
	s_wait_alu 0xfffe
	s_or_b32 exec_lo, exec_lo, s19
	global_load_b32 v0, v[7:8], off offset:4352
	s_wait_loadcnt 0x0
	v_and_b32_e32 v9, 0xffff, v0
	v_lshrrev_b32_e32 v0, 16, v0
	s_delay_alu instid0(VALU_DEP_2) | instskip(NEXT) | instid1(VALU_DEP_2)
	v_cvt_pk_f32_fp8_e32 v[9:10], v9
	v_cvt_pk_f32_fp8_e32 v[12:13], v0
	s_delay_alu instid0(VALU_DEP_1) | instskip(NEXT) | instid1(VALU_DEP_2)
	v_dual_mul_f32 v9, s6, v9 :: v_dual_mul_f32 v106, s6, v12
	v_dual_mul_f32 v105, s7, v10 :: v_dual_mul_f32 v10, s7, v13
	s_and_saveexec_b32 s19, vcc_lo
	s_cbranch_execz .LBB242_99
; %bb.98:                               ;   in Loop: Header=BB242_29 Depth=1
	v_cmp_gt_i32_e64 s0, s27, v142
	s_wait_alu 0xf1ff
	s_delay_alu instid0(VALU_DEP_1) | instskip(SKIP_2) | instid1(VALU_DEP_1)
	v_cndmask_b32_e64 v9, 0, v9, s0
	v_cmp_gt_i32_e64 s0, s27, v144
	s_wait_alu 0xf1ff
	v_cndmask_b32_e64 v105, 0, v105, s0
	v_cmp_gt_i32_e64 s0, s27, v143
	s_wait_alu 0xf1ff
	s_delay_alu instid0(VALU_DEP_1) | instskip(SKIP_2) | instid1(VALU_DEP_1)
	v_cndmask_b32_e64 v106, 0, v106, s0
	v_cmp_gt_i32_e64 s0, s27, v145
	s_wait_alu 0xf1ff
	v_cndmask_b32_e64 v10, 0, v10, s0
.LBB242_99:                             ;   in Loop: Header=BB242_29 Depth=1
	s_wait_alu 0xfffe
	s_or_b32 exec_lo, exec_lo, s19
	global_load_b32 v0, v[7:8], off offset:4480
	s_wait_loadcnt 0x0
	v_and_b32_e32 v12, 0xffff, v0
	v_lshrrev_b32_e32 v0, 16, v0
	s_delay_alu instid0(VALU_DEP_2) | instskip(NEXT) | instid1(VALU_DEP_1)
	v_cvt_pk_f32_fp8_e32 v[12:13], v12
	v_dual_mul_f32 v108, s6, v12 :: v_dual_mul_f32 v107, s7, v13
	s_delay_alu instid0(VALU_DEP_3) | instskip(NEXT) | instid1(VALU_DEP_1)
	v_cvt_pk_f32_fp8_e32 v[12:13], v0
	v_dual_mul_f32 v110, s6, v12 :: v_dual_mul_f32 v109, s7, v13
	s_and_saveexec_b32 s19, vcc_lo
	s_cbranch_execz .LBB242_101
; %bb.100:                              ;   in Loop: Header=BB242_29 Depth=1
	v_cmp_gt_i32_e64 s0, s27, v142
	s_wait_alu 0xf1ff
	s_delay_alu instid0(VALU_DEP_1) | instskip(SKIP_2) | instid1(VALU_DEP_1)
	v_cndmask_b32_e64 v108, 0, v108, s0
	v_cmp_gt_i32_e64 s0, s27, v144
	s_wait_alu 0xf1ff
	v_cndmask_b32_e64 v107, 0, v107, s0
	v_cmp_gt_i32_e64 s0, s27, v143
	s_wait_alu 0xf1ff
	s_delay_alu instid0(VALU_DEP_1) | instskip(SKIP_2) | instid1(VALU_DEP_1)
	v_cndmask_b32_e64 v110, 0, v110, s0
	v_cmp_gt_i32_e64 s0, s27, v145
	s_wait_alu 0xf1ff
	v_cndmask_b32_e64 v109, 0, v109, s0
.LBB242_101:                            ;   in Loop: Header=BB242_29 Depth=1
	s_wait_alu 0xfffe
	s_or_b32 exec_lo, exec_lo, s19
	global_load_b32 v0, v[7:8], off offset:4608
	s_wait_loadcnt 0x0
	v_and_b32_e32 v12, 0xffff, v0
	v_lshrrev_b32_e32 v0, 16, v0
	s_delay_alu instid0(VALU_DEP_2) | instskip(NEXT) | instid1(VALU_DEP_1)
	v_cvt_pk_f32_fp8_e32 v[12:13], v12
	v_dual_mul_f32 v113, s6, v12 :: v_dual_mul_f32 v112, s7, v13
	s_delay_alu instid0(VALU_DEP_3) | instskip(NEXT) | instid1(VALU_DEP_1)
	v_cvt_pk_f32_fp8_e32 v[12:13], v0
	v_dual_mul_f32 v114, s6, v12 :: v_dual_mul_f32 v111, s7, v13
	s_and_saveexec_b32 s19, vcc_lo
	s_cbranch_execz .LBB242_103
; %bb.102:                              ;   in Loop: Header=BB242_29 Depth=1
	v_cmp_gt_i32_e64 s0, s27, v142
	s_wait_alu 0xf1ff
	s_delay_alu instid0(VALU_DEP_1) | instskip(SKIP_2) | instid1(VALU_DEP_1)
	v_cndmask_b32_e64 v113, 0, v113, s0
	v_cmp_gt_i32_e64 s0, s27, v144
	s_wait_alu 0xf1ff
	v_cndmask_b32_e64 v112, 0, v112, s0
	v_cmp_gt_i32_e64 s0, s27, v143
	s_wait_alu 0xf1ff
	s_delay_alu instid0(VALU_DEP_1) | instskip(SKIP_2) | instid1(VALU_DEP_1)
	v_cndmask_b32_e64 v114, 0, v114, s0
	v_cmp_gt_i32_e64 s0, s27, v145
	s_wait_alu 0xf1ff
	v_cndmask_b32_e64 v111, 0, v111, s0
.LBB242_103:                            ;   in Loop: Header=BB242_29 Depth=1
	;; [unrolled: 30-line block ×3, first 2 shown]
	s_wait_alu 0xfffe
	s_or_b32 exec_lo, exec_lo, s19
	global_load_b32 v0, v[7:8], off offset:4864
	s_wait_loadcnt 0x0
	v_and_b32_e32 v12, 0xffff, v0
	v_lshrrev_b32_e32 v0, 16, v0
	s_delay_alu instid0(VALU_DEP_2) | instskip(NEXT) | instid1(VALU_DEP_1)
	v_cvt_pk_f32_fp8_e32 v[12:13], v12
	v_dual_mul_f32 v121, s6, v12 :: v_dual_mul_f32 v120, s7, v13
	s_delay_alu instid0(VALU_DEP_3) | instskip(NEXT) | instid1(VALU_DEP_1)
	v_cvt_pk_f32_fp8_e32 v[12:13], v0
	v_mul_f32_e32 v189, s6, v12
	s_delay_alu instid0(VALU_DEP_2)
	v_mul_f32_e32 v119, s7, v13
	s_and_saveexec_b32 s19, vcc_lo
	s_cbranch_execz .LBB242_107
; %bb.106:                              ;   in Loop: Header=BB242_29 Depth=1
	v_cmp_gt_i32_e64 s0, s27, v142
	s_wait_alu 0xf1ff
	s_delay_alu instid0(VALU_DEP_1) | instskip(SKIP_2) | instid1(VALU_DEP_1)
	v_cndmask_b32_e64 v121, 0, v121, s0
	v_cmp_gt_i32_e64 s0, s27, v144
	s_wait_alu 0xf1ff
	v_cndmask_b32_e64 v120, 0, v120, s0
	v_cmp_gt_i32_e64 s0, s27, v143
	s_wait_alu 0xf1ff
	s_delay_alu instid0(VALU_DEP_1) | instskip(SKIP_2) | instid1(VALU_DEP_1)
	v_cndmask_b32_e64 v189, 0, v189, s0
	v_cmp_gt_i32_e64 s0, s27, v145
	s_wait_alu 0xf1ff
	v_cndmask_b32_e64 v119, 0, v119, s0
.LBB242_107:                            ;   in Loop: Header=BB242_29 Depth=1
	s_wait_alu 0xfffe
	s_or_b32 exec_lo, exec_lo, s19
	global_load_b32 v0, v[7:8], off offset:4992
	s_wait_loadcnt 0x0
	v_and_b32_e32 v12, 0xffff, v0
	v_lshrrev_b32_e32 v0, 16, v0
	s_delay_alu instid0(VALU_DEP_2) | instskip(NEXT) | instid1(VALU_DEP_1)
	v_cvt_pk_f32_fp8_e32 v[12:13], v12
	v_dual_mul_f32 v123, s6, v12 :: v_dual_mul_f32 v122, s7, v13
	s_delay_alu instid0(VALU_DEP_3) | instskip(NEXT) | instid1(VALU_DEP_1)
	v_cvt_pk_f32_fp8_e32 v[12:13], v0
	v_dual_mul_f32 v125, s6, v12 :: v_dual_mul_f32 v124, s7, v13
	s_and_saveexec_b32 s19, vcc_lo
	s_cbranch_execz .LBB242_109
; %bb.108:                              ;   in Loop: Header=BB242_29 Depth=1
	v_cmp_gt_i32_e64 s0, s27, v142
	s_wait_alu 0xf1ff
	s_delay_alu instid0(VALU_DEP_1) | instskip(SKIP_2) | instid1(VALU_DEP_1)
	v_cndmask_b32_e64 v123, 0, v123, s0
	v_cmp_gt_i32_e64 s0, s27, v144
	s_wait_alu 0xf1ff
	v_cndmask_b32_e64 v122, 0, v122, s0
	v_cmp_gt_i32_e64 s0, s27, v143
	s_wait_alu 0xf1ff
	s_delay_alu instid0(VALU_DEP_1) | instskip(SKIP_2) | instid1(VALU_DEP_1)
	v_cndmask_b32_e64 v125, 0, v125, s0
	v_cmp_gt_i32_e64 s0, s27, v145
	s_wait_alu 0xf1ff
	v_cndmask_b32_e64 v124, 0, v124, s0
.LBB242_109:                            ;   in Loop: Header=BB242_29 Depth=1
	s_wait_alu 0xfffe
	s_or_b32 exec_lo, exec_lo, s19
	global_load_b32 v0, v[7:8], off offset:5120
	s_wait_loadcnt 0x0
	v_and_b32_e32 v12, 0xffff, v0
	v_lshrrev_b32_e32 v0, 16, v0
	s_delay_alu instid0(VALU_DEP_2) | instskip(NEXT) | instid1(VALU_DEP_1)
	v_cvt_pk_f32_fp8_e32 v[12:13], v12
	v_dual_mul_f32 v127, s6, v12 :: v_dual_mul_f32 v126, s7, v13
	s_delay_alu instid0(VALU_DEP_3) | instskip(NEXT) | instid1(VALU_DEP_1)
	v_cvt_pk_f32_fp8_e32 v[12:13], v0
	v_dual_mul_f32 v129, s6, v12 :: v_dual_mul_f32 v128, s7, v13
	;; [unrolled: 30-line block ×15, first 2 shown]
	s_and_saveexec_b32 s19, vcc_lo
	s_cbranch_execz .LBB242_137
; %bb.136:                              ;   in Loop: Header=BB242_29 Depth=1
	v_cmp_gt_i32_e64 s0, s27, v142
	s_wait_alu 0xf1ff
	s_delay_alu instid0(VALU_DEP_1) | instskip(SKIP_2) | instid1(VALU_DEP_1)
	v_cndmask_b32_e64 v184, 0, v184, s0
	v_cmp_gt_i32_e64 s0, s27, v144
	s_wait_alu 0xf1ff
	v_cndmask_b32_e64 v183, 0, v183, s0
	v_cmp_gt_i32_e64 s0, s27, v143
	s_wait_alu 0xf1ff
	s_delay_alu instid0(VALU_DEP_1) | instskip(SKIP_2) | instid1(VALU_DEP_1)
	v_cndmask_b32_e64 v185, 0, v185, s0
	v_cmp_gt_i32_e64 s0, s27, v145
	s_wait_alu 0xf1ff
	v_cndmask_b32_e64 v182, 0, v182, s0
.LBB242_137:                            ;   in Loop: Header=BB242_29 Depth=1
	s_wait_alu 0xfffe
	s_or_b32 exec_lo, exec_lo, s19
	global_load_b32 v0, v[7:8], off offset:6912
	s_wait_loadcnt 0x0
	v_and_b32_e32 v12, 0xffff, v0
	v_lshrrev_b32_e32 v0, 16, v0
	s_delay_alu instid0(VALU_DEP_2) | instskip(NEXT) | instid1(VALU_DEP_1)
	v_cvt_pk_f32_fp8_e32 v[12:13], v12
	v_dual_mul_f32 v187, s6, v12 :: v_dual_mul_f32 v186, s7, v13
	s_delay_alu instid0(VALU_DEP_3) | instskip(NEXT) | instid1(VALU_DEP_1)
	v_cvt_pk_f32_fp8_e32 v[12:13], v0
	v_mul_f32_e32 v190, s6, v12
	s_delay_alu instid0(VALU_DEP_2)
	v_mul_f32_e32 v188, s7, v13
	s_and_saveexec_b32 s19, vcc_lo
	s_cbranch_execz .LBB242_139
; %bb.138:                              ;   in Loop: Header=BB242_29 Depth=1
	v_cmp_gt_i32_e64 s0, s27, v142
	s_wait_alu 0xf1ff
	s_delay_alu instid0(VALU_DEP_1) | instskip(SKIP_2) | instid1(VALU_DEP_1)
	v_cndmask_b32_e64 v187, 0, v187, s0
	v_cmp_gt_i32_e64 s0, s27, v144
	s_wait_alu 0xf1ff
	v_cndmask_b32_e64 v186, 0, v186, s0
	v_cmp_gt_i32_e64 s0, s27, v143
	s_wait_alu 0xf1ff
	s_delay_alu instid0(VALU_DEP_1) | instskip(SKIP_2) | instid1(VALU_DEP_1)
	v_cndmask_b32_e64 v190, 0, v190, s0
	v_cmp_gt_i32_e64 s0, s27, v145
	s_wait_alu 0xf1ff
	v_cndmask_b32_e64 v188, 0, v188, s0
.LBB242_139:                            ;   in Loop: Header=BB242_29 Depth=1
	s_wait_alu 0xfffe
	s_or_b32 exec_lo, exec_lo, s19
	global_load_b32 v0, v[7:8], off offset:7040
	s_wait_loadcnt 0x0
	v_and_b32_e32 v12, 0xffff, v0
	v_lshrrev_b32_e32 v0, 16, v0
	s_delay_alu instid0(VALU_DEP_2) | instskip(NEXT) | instid1(VALU_DEP_1)
	v_cvt_pk_f32_fp8_e32 v[12:13], v12
	v_mul_f32_e32 v71, s6, v12
	s_delay_alu instid0(VALU_DEP_2) | instskip(NEXT) | instid1(VALU_DEP_4)
	v_mul_f32_e32 v191, s7, v13
	v_cvt_pk_f32_fp8_e32 v[12:13], v0
	s_delay_alu instid0(VALU_DEP_1) | instskip(NEXT) | instid1(VALU_DEP_2)
	v_mul_f32_e32 v78, s6, v12
	v_mul_f32_e32 v72, s7, v13
	s_and_saveexec_b32 s19, vcc_lo
	s_cbranch_execz .LBB242_141
; %bb.140:                              ;   in Loop: Header=BB242_29 Depth=1
	v_cmp_gt_i32_e64 s0, s27, v142
	s_wait_alu 0xf1ff
	s_delay_alu instid0(VALU_DEP_1) | instskip(SKIP_2) | instid1(VALU_DEP_1)
	v_cndmask_b32_e64 v71, 0, v71, s0
	v_cmp_gt_i32_e64 s0, s27, v144
	s_wait_alu 0xf1ff
	v_cndmask_b32_e64 v191, 0, v191, s0
	v_cmp_gt_i32_e64 s0, s27, v143
	s_wait_alu 0xf1ff
	s_delay_alu instid0(VALU_DEP_1) | instskip(SKIP_2) | instid1(VALU_DEP_1)
	v_cndmask_b32_e64 v78, 0, v78, s0
	v_cmp_gt_i32_e64 s0, s27, v145
	s_wait_alu 0xf1ff
	v_cndmask_b32_e64 v72, 0, v72, s0
.LBB242_141:                            ;   in Loop: Header=BB242_29 Depth=1
	s_wait_alu 0xfffe
	s_or_b32 exec_lo, exec_lo, s19
	global_load_b32 v0, v[7:8], off offset:7168
	s_wait_loadcnt 0x0
	v_and_b32_e32 v12, 0xffff, v0
	v_lshrrev_b32_e32 v0, 16, v0
	s_delay_alu instid0(VALU_DEP_2) | instskip(NEXT) | instid1(VALU_DEP_1)
	v_cvt_pk_f32_fp8_e32 v[12:13], v12
	v_dual_mul_f32 v80, s6, v12 :: v_dual_mul_f32 v79, s7, v13
	s_delay_alu instid0(VALU_DEP_3) | instskip(NEXT) | instid1(VALU_DEP_1)
	v_cvt_pk_f32_fp8_e32 v[12:13], v0
	v_dual_mul_f32 v81, s6, v12 :: v_dual_mul_f32 v0, s7, v13
	s_and_saveexec_b32 s19, vcc_lo
	s_cbranch_execz .LBB242_143
; %bb.142:                              ;   in Loop: Header=BB242_29 Depth=1
	v_cmp_gt_i32_e64 s0, s27, v142
	s_wait_alu 0xf1ff
	s_delay_alu instid0(VALU_DEP_1) | instskip(SKIP_2) | instid1(VALU_DEP_1)
	v_cndmask_b32_e64 v80, 0, v80, s0
	v_cmp_gt_i32_e64 s0, s27, v144
	s_wait_alu 0xf1ff
	v_cndmask_b32_e64 v79, 0, v79, s0
	v_cmp_gt_i32_e64 s0, s27, v143
	s_wait_alu 0xf1ff
	s_delay_alu instid0(VALU_DEP_1) | instskip(SKIP_2) | instid1(VALU_DEP_1)
	v_cndmask_b32_e64 v81, 0, v81, s0
	v_cmp_gt_i32_e64 s0, s27, v145
	s_wait_alu 0xf1ff
	v_cndmask_b32_e64 v0, 0, v0, s0
.LBB242_143:                            ;   in Loop: Header=BB242_29 Depth=1
	s_wait_alu 0xfffe
	s_or_b32 exec_lo, exec_lo, s19
	global_load_b32 v14, v[7:8], off offset:7296
	s_wait_loadcnt 0x0
	v_and_b32_e32 v12, 0xffff, v14
	s_delay_alu instid0(VALU_DEP_1) | instskip(NEXT) | instid1(VALU_DEP_1)
	v_cvt_pk_f32_fp8_e32 v[12:13], v12
	v_dual_mul_f32 v85, s6, v12 :: v_dual_mul_f32 v84, s7, v13
	v_lshrrev_b32_e32 v12, 16, v14
	s_delay_alu instid0(VALU_DEP_1) | instskip(NEXT) | instid1(VALU_DEP_1)
	v_cvt_pk_f32_fp8_e32 v[12:13], v12
	v_dual_mul_f32 v83, s6, v12 :: v_dual_mul_f32 v82, s7, v13
	s_and_saveexec_b32 s19, vcc_lo
	s_cbranch_execz .LBB242_145
; %bb.144:                              ;   in Loop: Header=BB242_29 Depth=1
	v_cmp_gt_i32_e64 s0, s27, v142
	s_wait_alu 0xf1ff
	s_delay_alu instid0(VALU_DEP_1) | instskip(SKIP_2) | instid1(VALU_DEP_1)
	v_cndmask_b32_e64 v85, 0, v85, s0
	v_cmp_gt_i32_e64 s0, s27, v144
	s_wait_alu 0xf1ff
	v_cndmask_b32_e64 v84, 0, v84, s0
	v_cmp_gt_i32_e64 s0, s27, v143
	s_wait_alu 0xf1ff
	s_delay_alu instid0(VALU_DEP_1) | instskip(SKIP_2) | instid1(VALU_DEP_1)
	v_cndmask_b32_e64 v83, 0, v83, s0
	v_cmp_gt_i32_e64 s0, s27, v145
	s_wait_alu 0xf1ff
	v_cndmask_b32_e64 v82, 0, v82, s0
.LBB242_145:                            ;   in Loop: Header=BB242_29 Depth=1
	s_wait_alu 0xfffe
	s_or_b32 exec_lo, exec_lo, s19
	global_load_b32 v15, v[7:8], off offset:7424
	s_wait_loadcnt 0x0
	v_and_b32_e32 v12, 0xffff, v15
	s_delay_alu instid0(VALU_DEP_1) | instskip(NEXT) | instid1(VALU_DEP_1)
	v_cvt_pk_f32_fp8_e32 v[12:13], v12
	v_mul_f32_e32 v14, s6, v12
	v_lshrrev_b32_e32 v12, 16, v15
	s_delay_alu instid0(VALU_DEP_3) | instskip(NEXT) | instid1(VALU_DEP_2)
	v_mul_f32_e32 v13, s7, v13
	v_cvt_pk_f32_fp8_e32 v[15:16], v12
	s_delay_alu instid0(VALU_DEP_1)
	v_dual_mul_f32 v15, s6, v15 :: v_dual_mul_f32 v12, s7, v16
	s_and_saveexec_b32 s19, vcc_lo
	s_cbranch_execz .LBB242_147
; %bb.146:                              ;   in Loop: Header=BB242_29 Depth=1
	v_cmp_gt_i32_e64 s0, s27, v142
	s_wait_alu 0xf1ff
	s_delay_alu instid0(VALU_DEP_1) | instskip(SKIP_2) | instid1(VALU_DEP_1)
	v_cndmask_b32_e64 v14, 0, v14, s0
	v_cmp_gt_i32_e64 s0, s27, v144
	s_wait_alu 0xf1ff
	v_cndmask_b32_e64 v13, 0, v13, s0
	v_cmp_gt_i32_e64 s0, s27, v143
	s_wait_alu 0xf1ff
	s_delay_alu instid0(VALU_DEP_1) | instskip(SKIP_2) | instid1(VALU_DEP_1)
	v_cndmask_b32_e64 v15, 0, v15, s0
	v_cmp_gt_i32_e64 s0, s27, v145
	s_wait_alu 0xf1ff
	v_cndmask_b32_e64 v12, 0, v12, s0
.LBB242_147:                            ;   in Loop: Header=BB242_29 Depth=1
	s_wait_alu 0xfffe
	s_or_b32 exec_lo, exec_lo, s19
	global_load_b32 v19, v[7:8], off offset:7552
	s_wait_loadcnt 0x0
	v_and_b32_e32 v16, 0xffff, v19
	s_delay_alu instid0(VALU_DEP_1) | instskip(NEXT) | instid1(VALU_DEP_1)
	v_cvt_pk_f32_fp8_e32 v[17:18], v16
	v_mul_f32_e32 v16, s7, v18
	v_lshrrev_b32_e32 v18, 16, v19
	s_delay_alu instid0(VALU_DEP_3) | instskip(NEXT) | instid1(VALU_DEP_2)
	v_mul_f32_e32 v17, s6, v17
	v_cvt_pk_f32_fp8_e32 v[19:20], v18
	s_delay_alu instid0(VALU_DEP_1)
	v_dual_mul_f32 v19, s6, v19 :: v_dual_mul_f32 v18, s7, v20
	s_and_saveexec_b32 s19, vcc_lo
	s_cbranch_execz .LBB242_149
; %bb.148:                              ;   in Loop: Header=BB242_29 Depth=1
	v_cmp_gt_i32_e64 s0, s27, v142
	s_wait_alu 0xf1ff
	s_delay_alu instid0(VALU_DEP_1) | instskip(SKIP_2) | instid1(VALU_DEP_1)
	v_cndmask_b32_e64 v17, 0, v17, s0
	v_cmp_gt_i32_e64 s0, s27, v144
	s_wait_alu 0xf1ff
	v_cndmask_b32_e64 v16, 0, v16, s0
	v_cmp_gt_i32_e64 s0, s27, v143
	s_wait_alu 0xf1ff
	s_delay_alu instid0(VALU_DEP_1) | instskip(SKIP_2) | instid1(VALU_DEP_1)
	v_cndmask_b32_e64 v19, 0, v19, s0
	v_cmp_gt_i32_e64 s0, s27, v145
	s_wait_alu 0xf1ff
	v_cndmask_b32_e64 v18, 0, v18, s0
.LBB242_149:                            ;   in Loop: Header=BB242_29 Depth=1
	s_wait_alu 0xfffe
	s_or_b32 exec_lo, exec_lo, s19
	global_load_b32 v23, v[7:8], off offset:7680
	s_wait_loadcnt 0x0
	v_and_b32_e32 v20, 0xffff, v23
	s_delay_alu instid0(VALU_DEP_1) | instskip(NEXT) | instid1(VALU_DEP_1)
	v_cvt_pk_f32_fp8_e32 v[21:22], v20
	v_mul_f32_e32 v20, s7, v22
	v_lshrrev_b32_e32 v22, 16, v23
	s_delay_alu instid0(VALU_DEP_3) | instskip(NEXT) | instid1(VALU_DEP_2)
	v_mul_f32_e32 v21, s6, v21
	v_cvt_pk_f32_fp8_e32 v[22:23], v22
	s_delay_alu instid0(VALU_DEP_1)
	v_dual_mul_f32 v87, s6, v22 :: v_dual_mul_f32 v86, s7, v23
	s_and_saveexec_b32 s19, vcc_lo
	s_cbranch_execz .LBB242_151
; %bb.150:                              ;   in Loop: Header=BB242_29 Depth=1
	v_cmp_gt_i32_e64 s0, s27, v142
	s_wait_alu 0xf1ff
	s_delay_alu instid0(VALU_DEP_1) | instskip(SKIP_2) | instid1(VALU_DEP_1)
	v_cndmask_b32_e64 v21, 0, v21, s0
	v_cmp_gt_i32_e64 s0, s27, v144
	s_wait_alu 0xf1ff
	v_cndmask_b32_e64 v20, 0, v20, s0
	v_cmp_gt_i32_e64 s0, s27, v143
	s_wait_alu 0xf1ff
	s_delay_alu instid0(VALU_DEP_1) | instskip(SKIP_2) | instid1(VALU_DEP_1)
	v_cndmask_b32_e64 v87, 0, v87, s0
	v_cmp_gt_i32_e64 s0, s27, v145
	s_wait_alu 0xf1ff
	v_cndmask_b32_e64 v86, 0, v86, s0
.LBB242_151:                            ;   in Loop: Header=BB242_29 Depth=1
	s_wait_alu 0xfffe
	s_or_b32 exec_lo, exec_lo, s19
	global_load_b32 v24, v[7:8], off offset:7808
	s_wait_loadcnt 0x0
	v_and_b32_e32 v22, 0xffff, v24
	s_delay_alu instid0(VALU_DEP_1) | instskip(NEXT) | instid1(VALU_DEP_1)
	v_cvt_pk_f32_fp8_e32 v[22:23], v22
	v_mul_f32_e32 v88, s6, v22
	v_lshrrev_b32_e32 v22, 16, v24
	s_delay_alu instid0(VALU_DEP_3) | instskip(NEXT) | instid1(VALU_DEP_2)
	v_mul_f32_e32 v23, s7, v23
	v_cvt_pk_f32_fp8_e32 v[24:25], v22
	s_delay_alu instid0(VALU_DEP_1)
	v_dual_mul_f32 v89, s6, v24 :: v_dual_mul_f32 v22, s7, v25
	s_and_saveexec_b32 s19, vcc_lo
	s_cbranch_execz .LBB242_153
; %bb.152:                              ;   in Loop: Header=BB242_29 Depth=1
	v_cmp_gt_i32_e64 s0, s27, v142
	s_wait_alu 0xf1ff
	s_delay_alu instid0(VALU_DEP_1) | instskip(SKIP_2) | instid1(VALU_DEP_1)
	v_cndmask_b32_e64 v88, 0, v88, s0
	v_cmp_gt_i32_e64 s0, s27, v144
	s_wait_alu 0xf1ff
	v_cndmask_b32_e64 v23, 0, v23, s0
	v_cmp_gt_i32_e64 s0, s27, v143
	s_wait_alu 0xf1ff
	s_delay_alu instid0(VALU_DEP_1) | instskip(SKIP_2) | instid1(VALU_DEP_1)
	v_cndmask_b32_e64 v89, 0, v89, s0
	v_cmp_gt_i32_e64 s0, s27, v145
	s_wait_alu 0xf1ff
	v_cndmask_b32_e64 v22, 0, v22, s0
.LBB242_153:                            ;   in Loop: Header=BB242_29 Depth=1
	s_wait_alu 0xfffe
	s_or_b32 exec_lo, exec_lo, s19
	global_load_b32 v24, v[7:8], off offset:7936
	s_wait_loadcnt 0x0
	v_and_b32_e32 v7, 0xffff, v24
	s_delay_alu instid0(VALU_DEP_1) | instskip(NEXT) | instid1(VALU_DEP_1)
	v_cvt_pk_f32_fp8_e32 v[7:8], v7
	v_dual_mul_f32 v27, s6, v7 :: v_dual_mul_f32 v26, s7, v8
	v_lshrrev_b32_e32 v7, 16, v24
	s_delay_alu instid0(VALU_DEP_1) | instskip(NEXT) | instid1(VALU_DEP_1)
	v_cvt_pk_f32_fp8_e32 v[7:8], v7
	v_dual_mul_f32 v25, s6, v7 :: v_dual_mul_f32 v24, s7, v8
	s_and_saveexec_b32 s19, vcc_lo
	s_cbranch_execz .LBB242_155
; %bb.154:                              ;   in Loop: Header=BB242_29 Depth=1
	v_cmp_gt_i32_e64 s0, s27, v142
	s_wait_alu 0xf1ff
	s_delay_alu instid0(VALU_DEP_1) | instskip(SKIP_2) | instid1(VALU_DEP_1)
	v_cndmask_b32_e64 v27, 0, v27, s0
	v_cmp_gt_i32_e64 s0, s27, v144
	s_wait_alu 0xf1ff
	v_cndmask_b32_e64 v26, 0, v26, s0
	v_cmp_gt_i32_e64 s0, s27, v143
	s_wait_alu 0xf1ff
	s_delay_alu instid0(VALU_DEP_1) | instskip(SKIP_2) | instid1(VALU_DEP_1)
	v_cndmask_b32_e64 v25, 0, v25, s0
	v_cmp_gt_i32_e64 s0, s27, v145
	s_wait_alu 0xf1ff
	v_cndmask_b32_e64 v24, 0, v24, s0
.LBB242_155:                            ;   in Loop: Header=BB242_29 Depth=1
	s_wait_alu 0xfffe
	s_or_b32 exec_lo, exec_lo, s19
	scratch_load_b32 v7, off, off offset:1260 ; 4-byte Folded Reload
	s_wait_loadcnt 0x0
	v_add_co_u32 v5, s0, v5, v7
	s_wait_alu 0xf1ff
	v_add_co_ci_u32_e64 v6, null, 0, v6, s0
	global_load_b32 v5, v[5:6], off
	s_wait_loadcnt 0x0
	v_and_b32_e32 v6, 0xffff, v5
	v_lshrrev_b32_e32 v7, 16, v5
	s_delay_alu instid0(VALU_DEP_2) | instskip(NEXT) | instid1(VALU_DEP_2)
	v_cvt_pk_f32_fp8_e32 v[5:6], v6
	v_cvt_pk_f32_fp8_e32 v[28:29], v7
	s_delay_alu instid0(VALU_DEP_2) | instskip(NEXT) | instid1(VALU_DEP_2)
	v_dual_mul_f32 v8, s6, v5 :: v_dual_mul_f32 v7, s7, v6
	v_dual_mul_f32 v6, s6, v28 :: v_dual_mul_f32 v5, s7, v29
	s_and_saveexec_b32 s0, vcc_lo
	s_cbranch_execz .LBB242_28
; %bb.156:                              ;   in Loop: Header=BB242_29 Depth=1
	v_cmp_gt_i32_e32 vcc_lo, s27, v142
	s_wait_alu 0xfffd
	v_cndmask_b32_e32 v8, 0, v8, vcc_lo
	v_cmp_gt_i32_e32 vcc_lo, s27, v144
	s_wait_alu 0xfffd
	v_cndmask_b32_e32 v7, 0, v7, vcc_lo
	;; [unrolled: 3-line block ×4, first 2 shown]
	s_branch .LBB242_28
.LBB242_157:
	s_or_b32 exec_lo, exec_lo, s13
	v_dual_mov_b32 v80, v30 :: v_dual_mov_b32 v79, v31
	v_dual_mov_b32 v83, v32 :: v_dual_mov_b32 v84, v33
	;; [unrolled: 1-line block ×10, first 2 shown]
	v_mov_b32_e32 v37, v50
.LBB242_158:
	s_wait_alu 0xfffe
	s_or_b32 exec_lo, exec_lo, s1
	s_clause 0x3
	scratch_load_b32 v72, off, off offset:1308 th:TH_LOAD_LU
	scratch_load_b32 v82, off, off offset:1276 th:TH_LOAD_LU
	;; [unrolled: 1-line block ×4, first 2 shown]
	s_mov_b32 s1, exec_lo
	v_mov_b32_e32 v41, v54
	s_clause 0x1
	scratch_load_b32 v39, off, off offset:1140 th:TH_LOAD_LU
	scratch_load_b32 v42, off, off offset:1108 th:TH_LOAD_LU
	s_wait_loadcnt 0x5
	ds_bpermute_b32 v0, v72, v76
	ds_bpermute_b32 v1, v72, v77
	;; [unrolled: 1-line block ×18, first 2 shown]
	s_wait_dscnt 0x10
	v_dual_add_f32 v0, v76, v0 :: v_dual_add_f32 v1, v77, v1
	s_wait_dscnt 0xe
	v_dual_add_f32 v2, v75, v2 :: v_dual_add_f32 v3, v74, v3
	;; [unrolled: 2-line block ×3, first 2 shown]
	s_wait_loadcnt 0x4
	ds_bpermute_b32 v16, v82, v0
	ds_bpermute_b32 v17, v82, v1
	;; [unrolled: 1-line block ×6, first 2 shown]
	s_wait_dscnt 0x10
	v_dual_add_f32 v10, v65, v10 :: v_dual_add_f32 v11, v64, v11
	s_wait_dscnt 0xe
	v_dual_add_f32 v12, v63, v12 :: v_dual_add_f32 v13, v62, v13
	;; [unrolled: 2-line block ×3, first 2 shown]
	ds_bpermute_b32 v26, v82, v10
	ds_bpermute_b32 v27, v82, v11
	;; [unrolled: 1-line block ×3, first 2 shown]
	s_wait_dscnt 0xd
	v_dual_add_f32 v8, v67, v8 :: v_dual_add_f32 v9, v66, v9
	ds_bpermute_b32 v22, v82, v6
	ds_bpermute_b32 v23, v82, v7
	;; [unrolled: 1-line block ×3, first 2 shown]
	s_wait_dscnt 0xb
	v_add_f32_e32 v0, v0, v16
	s_wait_dscnt 0x9
	v_dual_add_f32 v16, v1, v17 :: v_dual_add_f32 v17, v2, v18
	s_wait_dscnt 0x7
	v_dual_add_f32 v18, v3, v19 :: v_dual_add_f32 v19, v4, v20
	s_wait_loadcnt 0x3
	ds_bpermute_b32 v1, v87, v0
	s_wait_dscnt 0x7
	v_add_f32_e32 v21, v5, v21
	ds_bpermute_b32 v24, v82, v8
	ds_bpermute_b32 v4, v87, v18
	;; [unrolled: 1-line block ×5, first 2 shown]
	s_wait_dscnt 0xb
	v_add_f32_e32 v10, v10, v26
	ds_bpermute_b32 v62, v72, v57
	s_wait_dscnt 0xa
	v_add_f32_e32 v13, v13, v64
	v_dual_add_f32 v14, v61, v14 :: v_dual_add_f32 v29, v58, v29
	s_wait_dscnt 0x8
	v_dual_add_f32 v22, v6, v22 :: v_dual_add_f32 v23, v7, v23
	ds_bpermute_b32 v6, v87, v21
	s_wait_dscnt 0x8
	v_add_f32_e32 v12, v12, v63
	v_add_f32_e32 v15, v60, v15
	ds_bpermute_b32 v3, v87, v17
	ds_bpermute_b32 v7, v87, v22
	;; [unrolled: 1-line block ×3, first 2 shown]
	s_wait_dscnt 0xa
	v_dual_add_f32 v1, v0, v1 :: v_dual_add_f32 v0, v11, v27
	s_wait_dscnt 0x9
	v_add_f32_e32 v24, v8, v24
	s_wait_dscnt 0x8
	v_add_f32_e32 v4, v18, v4
	;; [unrolled: 2-line block ×3, first 2 shown]
	ds_bpermute_b32 v18, v87, v10
	ds_bpermute_b32 v19, v87, v0
	s_wait_dscnt 0x8
	v_add_f32_e32 v9, v9, v25
	ds_bpermute_b32 v8, v87, v23
	s_wait_dscnt 0x8
	v_add_f32_e32 v2, v16, v2
	ds_bpermute_b32 v11, v87, v24
	ds_bpermute_b32 v16, v72, v56
	v_add_f32_e32 v20, v59, v28
	ds_bpermute_b32 v25, v87, v12
	ds_bpermute_b32 v27, v82, v14
	;; [unrolled: 1-line block ×3, first 2 shown]
	s_wait_dscnt 0xb
	v_add_f32_e32 v6, v21, v6
	v_add_f32_e32 v21, v57, v62
	v_mov_b32_e32 v38, v53
	s_wait_dscnt 0xa
	v_add_f32_e32 v3, v17, v3
	ds_bpermute_b32 v17, v87, v9
	ds_bpermute_b32 v63, v82, v20
	s_wait_dscnt 0xb
	v_add_f32_e32 v7, v22, v7
	ds_bpermute_b32 v22, v82, v29
	s_wait_dscnt 0xb
	v_add_f32_e32 v61, v13, v26
	s_wait_dscnt 0x9
	v_dual_add_f32 v58, v10, v18 :: v_dual_add_f32 v59, v0, v19
	ds_bpermute_b32 v0, v72, v53
	s_wait_dscnt 0x9
	v_add_f32_e32 v8, v23, v8
	ds_bpermute_b32 v23, v82, v21
	scratch_load_b32 v53, off, off offset:1156 th:TH_LOAD_LU ; 4-byte Folded Reload
	s_wait_dscnt 0x8
	v_add_f32_e32 v16, v56, v16
	v_add_f32_e32 v56, v24, v11
	s_wait_dscnt 0x6
	v_dual_add_f32 v60, v12, v25 :: v_dual_add_f32 v11, v14, v27
	s_wait_dscnt 0x5
	v_add_f32_e32 v12, v15, v28
	ds_bpermute_b32 v15, v72, v54
	ds_bpermute_b32 v10, v72, v51
	;; [unrolled: 1-line block ×4, first 2 shown]
	s_wait_dscnt 0x8
	v_add_f32_e32 v57, v9, v17
	ds_bpermute_b32 v9, v82, v16
	s_wait_dscnt 0x8
	v_add_f32_e32 v13, v20, v63
	ds_bpermute_b32 v17, v72, v52
	ds_bpermute_b32 v19, v87, v12
	s_wait_dscnt 0x9
	v_add_f32_e32 v20, v29, v22
	ds_bpermute_b32 v66, v72, v90
	s_wait_dscnt 0x9
	v_add_f32_e32 v0, v38, v0
	scratch_load_b32 v38, off, off offset:1124 th:TH_LOAD_LU ; 4-byte Folded Reload
	s_wait_dscnt 0x8
	v_add_f32_e32 v21, v21, v23
	s_wait_loadcnt 0x4
	ds_bpermute_b32 v23, v72, v40
	ds_bpermute_b32 v22, v87, v13
	;; [unrolled: 1-line block ×5, first 2 shown]
	s_wait_loadcnt 0x3
	ds_bpermute_b32 v26, v72, v39
	s_wait_dscnt 0xd
	v_add_f32_e32 v15, v41, v15
	scratch_load_b32 v41, off, off offset:1092 th:TH_LOAD_LU ; 4-byte Folded Reload
	s_wait_dscnt 0xc
	v_add_f32_e32 v10, v51, v10
	s_wait_dscnt 0xb
	v_add_f32_e32 v14, v55, v14
	;; [unrolled: 2-line block ×4, first 2 shown]
	ds_bpermute_b32 v25, v87, v20
	ds_bpermute_b32 v16, v87, v21
	s_wait_dscnt 0xa
	v_add_f32_e32 v17, v52, v17
	s_wait_dscnt 0x9
	v_add_f32_e32 v52, v12, v19
	ds_bpermute_b32 v27, v87, v9
	ds_bpermute_b32 v29, v82, v0
	;; [unrolled: 1-line block ×4, first 2 shown]
	s_wait_dscnt 0xb
	v_add_f32_e32 v19, v40, v23
	scratch_load_b32 v40, off, off offset:1076 th:TH_LOAD_LU ; 4-byte Folded Reload
	ds_bpermute_b32 v11, v82, v14
	ds_bpermute_b32 v18, v82, v17
	s_wait_dscnt 0xc
	v_add_f32_e32 v49, v13, v22
	ds_bpermute_b32 v13, v82, v19
	s_wait_loadcnt 0x4
	ds_bpermute_b32 v22, v72, v42
	v_add_f32_e32 v66, v90, v66
	s_wait_dscnt 0xb
	v_add_f32_e32 v70, v80, v70
	s_wait_dscnt 0x9
	v_add_f32_e32 v50, v20, v25
	v_add_f32_e32 v20, v39, v26
	scratch_load_b32 v39, off, off offset:1060 th:TH_LOAD_LU ; 4-byte Folded Reload
	s_wait_dscnt 0x6
	v_add_f32_e32 v0, v0, v29
	s_wait_dscnt 0x5
	v_add_f32_e32 v10, v10, v54
	;; [unrolled: 2-line block ×3, first 2 shown]
	ds_bpermute_b32 v29, v72, v37
	s_wait_dscnt 0x4
	v_add_f32_e32 v11, v14, v11
	s_wait_dscnt 0x2
	v_add_f32_e32 v13, v19, v13
	ds_bpermute_b32 v14, v87, v10
	ds_bpermute_b32 v47, v87, v13
	s_wait_dscnt 0x1
	v_add_f32_e32 v44, v10, v14
	s_wait_loadcnt 0x4
	ds_bpermute_b32 v24, v72, v53
	s_wait_loadcnt 0x3
	ds_bpermute_b32 v28, v72, v38
	v_add_f32_e32 v48, v9, v27
	s_wait_dscnt 0x1
	v_add_f32_e32 v23, v53, v24
	v_add_f32_e32 v53, v21, v16
	ds_bpermute_b32 v21, v82, v20
	ds_bpermute_b32 v27, v87, v0
	;; [unrolled: 1-line block ×3, first 2 shown]
	v_add_f32_e32 v15, v17, v18
	s_wait_loadcnt 0x2
	ds_bpermute_b32 v25, v72, v41
	ds_bpermute_b32 v18, v87, v11
	s_wait_dscnt 0x5
	v_add_f32_e32 v9, v38, v28
	scratch_load_b32 v38, off, off offset:1044 th:TH_LOAD_LU ; 4-byte Folded Reload
	ds_bpermute_b32 v28, v87, v12
	s_wait_loadcnt 0x2
	ds_bpermute_b32 v26, v72, v40
	s_wait_dscnt 0x6
	v_dual_add_f32 v20, v20, v21 :: v_dual_add_f32 v21, v42, v22
	ds_bpermute_b32 v24, v82, v9
	s_wait_dscnt 0x5
	v_add_f32_e32 v16, v23, v16
	ds_bpermute_b32 v19, v87, v15
	s_wait_dscnt 0x5
	v_dual_add_f32 v22, v41, v25 :: v_dual_add_f32 v43, v0, v27
	ds_bpermute_b32 v25, v87, v20
	ds_bpermute_b32 v54, v87, v16
	s_wait_dscnt 0x6
	v_add_f32_e32 v45, v11, v18
	ds_bpermute_b32 v62, v82, v22
	v_add_f32_e32 v11, v37, v29
	s_wait_loadcnt 0x1
	ds_bpermute_b32 v17, v72, v39
	v_add_f32_e32 v42, v13, v47
	ds_bpermute_b32 v27, v72, v33
	ds_bpermute_b32 v14, v82, v11
	s_wait_dscnt 0x9
	v_add_f32_e32 v46, v12, v28
	ds_bpermute_b32 v12, v72, v36
	s_wait_dscnt 0x8
	v_dual_add_f32 v9, v9, v24 :: v_dual_add_f32 v24, v40, v26
	ds_bpermute_b32 v26, v82, v21
	s_wait_dscnt 0x8
	v_add_f32_e32 v41, v15, v19
	ds_bpermute_b32 v15, v72, v35
	ds_bpermute_b32 v55, v87, v9
	ds_bpermute_b32 v63, v82, v24
	s_wait_dscnt 0x9
	v_add_f32_e32 v47, v16, v54
	ds_bpermute_b32 v16, v72, v34
	v_add_f32_e32 v54, v20, v25
	s_wait_dscnt 0x8
	v_add_f32_e32 v17, v39, v17
	ds_bpermute_b32 v25, v72, v95
	ds_bpermute_b32 v40, v72, v32
	;; [unrolled: 1-line block ×3, first 2 shown]
	s_wait_dscnt 0x8
	v_add_f32_e32 v12, v36, v12
	s_wait_dscnt 0x7
	v_add_f32_e32 v18, v21, v26
	ds_bpermute_b32 v21, v72, v97
	ds_bpermute_b32 v26, v72, v94
	s_wait_dscnt 0x7
	v_add_f32_e32 v55, v9, v55
	v_add_f32_e32 v9, v22, v62
	ds_bpermute_b32 v22, v72, v96
	ds_bpermute_b32 v20, v87, v18
	v_add_f32_e32 v11, v11, v14
	s_wait_dscnt 0x7
	v_dual_add_f32 v14, v35, v15 :: v_dual_add_f32 v15, v34, v16
	ds_bpermute_b32 v62, v72, v88
	s_wait_dscnt 0x5
	v_add_f32_e32 v17, v17, v0
	ds_bpermute_b32 v16, v87, v17
	s_wait_dscnt 0x3
	v_dual_add_f32 v21, v97, v21 :: v_dual_add_f32 v22, v96, v22
	s_wait_dscnt 0x2
	v_add_f32_e32 v0, v18, v20
	ds_bpermute_b32 v29, v87, v11
	ds_bpermute_b32 v39, v82, v15
	;; [unrolled: 1-line block ×3, first 2 shown]
	s_wait_dscnt 0x3
	v_add_f32_e32 v34, v17, v16
	ds_bpermute_b32 v16, v72, v99
	ds_bpermute_b32 v17, v72, v98
	s_wait_dscnt 0x2
	v_dual_add_f32 v37, v11, v29 :: v_dual_add_f32 v20, v22, v20
	ds_bpermute_b32 v22, v72, v30
	s_wait_dscnt 0x2
	v_add_f32_e32 v16, v99, v16
	s_wait_dscnt 0x0
	v_add_f32_e32 v22, v30, v22
	s_wait_loadcnt 0x0
	ds_bpermute_b32 v23, v72, v38
	s_wait_dscnt 0x0
	v_add_f32_e32 v10, v38, v23
	ds_bpermute_b32 v23, v87, v9
	ds_bpermute_b32 v38, v82, v14
	;; [unrolled: 1-line block ×3, first 2 shown]
	v_add_f32_e32 v19, v24, v63
	ds_bpermute_b32 v63, v82, v16
	s_wait_dscnt 0x3
	v_dual_add_f32 v36, v9, v23 :: v_dual_add_f32 v9, v95, v25
	v_add_f32_e32 v25, v33, v27
	s_wait_dscnt 0x2
	v_add_f32_e32 v11, v14, v38
	s_wait_dscnt 0x1
	v_add_f32_e32 v10, v10, v13
	ds_bpermute_b32 v24, v87, v19
	ds_bpermute_b32 v13, v82, v12
	v_add_f32_e32 v23, v94, v26
	ds_bpermute_b32 v26, v82, v9
	v_add_f32_e32 v14, v32, v40
	ds_bpermute_b32 v18, v82, v21
	ds_bpermute_b32 v28, v87, v10
	;; [unrolled: 1-line block ×3, first 2 shown]
	v_add_f32_e32 v17, v98, v17
	ds_bpermute_b32 v27, v82, v14
	s_wait_dscnt 0x6
	v_dual_add_f32 v16, v16, v63 :: v_dual_add_f32 v33, v19, v24
	s_wait_dscnt 0x5
	v_add_f32_e32 v12, v12, v13
	ds_bpermute_b32 v13, v82, v23
	ds_bpermute_b32 v19, v82, v25
	;; [unrolled: 1-line block ×3, first 2 shown]
	s_wait_dscnt 0x6
	v_dual_add_f32 v15, v15, v39 :: v_dual_add_f32 v18, v21, v18
	v_add_f32_e32 v9, v9, v26
	ds_bpermute_b32 v21, v72, v31
	s_wait_dscnt 0x4
	v_add_f32_e32 v14, v14, v27
	ds_bpermute_b32 v26, v87, v9
	v_add_f32_e32 v35, v10, v28
	ds_bpermute_b32 v10, v87, v12
	ds_bpermute_b32 v28, v87, v11
	;; [unrolled: 1-line block ×3, first 2 shown]
	s_wait_dscnt 0x7
	v_add_f32_e32 v13, v23, v13
	ds_bpermute_b32 v23, v87, v18
	s_wait_dscnt 0x6
	v_add_f32_e32 v24, v100, v24
	ds_bpermute_b32 v32, v87, v15
	v_add_f32_e32 v19, v25, v19
	ds_bpermute_b32 v25, v87, v20
	ds_bpermute_b32 v38, v87, v13
	s_wait_dscnt 0x7
	v_dual_add_f32 v21, v31, v21 :: v_dual_add_f32 v26, v9, v26
	v_add_f32_e32 v9, v88, v62
	s_wait_dscnt 0x6
	v_add_f32_e32 v29, v12, v10
	ds_bpermute_b32 v12, v82, v24
	ds_bpermute_b32 v62, v72, v83
	s_wait_dscnt 0x5
	v_add_f32_e32 v30, v18, v23
	ds_bpermute_b32 v18, v72, v86
	s_wait_dscnt 0x4
	v_dual_add_f32 v31, v20, v25 :: v_dual_add_f32 v20, v89, v40
	s_wait_dscnt 0x3
	v_add_f32_e32 v25, v13, v38
	ds_bpermute_b32 v10, v82, v17
	v_add_f32_e32 v38, v14, v64
	ds_bpermute_b32 v14, v87, v16
	ds_bpermute_b32 v13, v82, v20
	v_add_f32_e32 v27, v11, v28
	v_add_f32_e32 v28, v15, v32
	ds_bpermute_b32 v39, v87, v19
	ds_bpermute_b32 v11, v82, v21
	;; [unrolled: 1-line block ×3, first 2 shown]
	s_wait_dscnt 0x7
	v_add_f32_e32 v62, v83, v62
	v_add_f32_e32 v12, v24, v12
	ds_bpermute_b32 v75, v82, v62
	ds_bpermute_b32 v24, v87, v12
	s_wait_dscnt 0x5
	v_add_f32_e32 v20, v20, v13
	ds_bpermute_b32 v13, v72, v93
	s_wait_dscnt 0x5
	v_add_f32_e32 v32, v19, v39
	;; [unrolled: 3-line block ×3, first 2 shown]
	ds_bpermute_b32 v22, v72, v84
	v_add_f32_e32 v21, v21, v11
	v_add_f32_e32 v11, v86, v18
	ds_bpermute_b32 v18, v72, v85
	ds_bpermute_b32 v19, v82, v9
	s_wait_dscnt 0x6
	v_add_f32_e32 v62, v62, v75
	ds_bpermute_b32 v68, v87, v20
	ds_bpermute_b32 v63, v82, v11
	s_wait_dscnt 0x5
	v_dual_add_f32 v12, v12, v24 :: v_dual_add_f32 v39, v71, v39
	s_wait_dscnt 0x4
	v_add_f32_e32 v22, v84, v22
	ds_bpermute_b32 v40, v87, v21
	ds_bpermute_b32 v84, v87, v62
	s_wait_dscnt 0x5
	v_add_f32_e32 v18, v85, v18
	s_wait_dscnt 0x4
	v_add_f32_e32 v19, v9, v19
	ds_bpermute_b32 v9, v72, v92
	ds_bpermute_b32 v73, v82, v39
	s_wait_dscnt 0x4
	v_add_f32_e32 v63, v11, v63
	ds_bpermute_b32 v11, v82, v18
	v_add_f32_e32 v17, v17, v10
	ds_bpermute_b32 v10, v72, v81
	ds_bpermute_b32 v72, v72, v78
	;; [unrolled: 1-line block ×3, first 2 shown]
	v_add_f32_e32 v13, v93, v13
	ds_bpermute_b32 v69, v87, v19
	s_wait_dscnt 0x6
	v_add_f32_e32 v9, v92, v9
	s_wait_dscnt 0x3
	v_dual_add_f32 v39, v39, v73 :: v_dual_add_f32 v10, v81, v10
	v_mov_b32_e32 v81, v78
	s_wait_dscnt 0x1
	v_add_f32_e32 v22, v22, v74
	ds_bpermute_b32 v76, v82, v13
	v_add_f32_e32 v65, v91, v65
	ds_bpermute_b32 v71, v82, v10
	;; [unrolled: 2-line block ×3, first 2 shown]
	ds_bpermute_b32 v81, v87, v63
	ds_bpermute_b32 v83, v87, v22
	;; [unrolled: 1-line block ×4, first 2 shown]
	s_wait_dscnt 0x6
	v_add_f32_e32 v76, v13, v76
	ds_bpermute_b32 v78, v82, v65
	s_wait_dscnt 0x6
	v_add_f32_e32 v71, v10, v71
	ds_bpermute_b32 v10, v82, v70
	v_add_f32_e32 v67, v79, v67
	ds_bpermute_b32 v79, v82, v66
	s_wait_dscnt 0x7
	v_add_f32_e32 v77, v9, v77
	s_wait_dscnt 0x3
	v_dual_add_f32 v9, v21, v40 :: v_dual_add_f32 v72, v72, v73
	s_wait_dscnt 0x2
	v_add_f32_e32 v65, v65, v78
	ds_bpermute_b32 v78, v87, v76
	s_wait_dscnt 0x2
	v_add_f32_e32 v70, v70, v10
	ds_bpermute_b32 v80, v82, v67
	v_add_f32_e32 v82, v18, v11
	ds_bpermute_b32 v23, v87, v17
	s_wait_dscnt 0x3
	v_add_f32_e32 v66, v66, v79
	ds_bpermute_b32 v18, v87, v71
	ds_bpermute_b32 v74, v87, v39
	v_add_f32_e32 v10, v16, v14
	v_add_f32_e32 v14, v20, v68
	ds_bpermute_b32 v85, v87, v66
	v_add_f32_e32 v16, v63, v81
	v_add_f32_e32 v20, v22, v83
	scratch_load_b32 v63, off, off offset:1372 ; 4-byte Folded Reload
	ds_bpermute_b32 v75, v87, v82
	ds_bpermute_b32 v73, v87, v70
	;; [unrolled: 1-line block ×3, first 2 shown]
	s_wait_dscnt 0x8
	v_dual_add_f32 v13, v15, v64 :: v_dual_add_f32 v22, v76, v78
	s_wait_dscnt 0x7
	v_add_f32_e32 v67, v67, v80
	ds_bpermute_b32 v80, v87, v65
	s_wait_dscnt 0x7
	v_add_f32_e32 v11, v17, v23
	v_add_f32_e32 v15, v19, v69
	s_wait_dscnt 0x6
	v_add_f32_e32 v17, v71, v18
	ds_bpermute_b32 v86, v87, v67
	v_add_f32_e32 v21, v62, v84
	scratch_load_b32 v62, off, off offset:1376 th:TH_LOAD_LU ; 4-byte Folded Reload
	s_wait_dscnt 0x5
	v_dual_add_f32 v18, v39, v74 :: v_dual_add_f32 v39, v66, v85
	scratch_load_b32 v66, off, off offset:1380 th:TH_LOAD_LU ; 4-byte Folded Reload
	ds_bpermute_b32 v87, v87, v72
	s_wait_dscnt 0x5
	v_add_f32_e32 v19, v82, v75
	s_wait_storecnt 0x0
	s_wait_loadcnt_dscnt 0x0
	v_add_f32_e32 v23, v77, v79
	s_barrier_signal -1
	s_barrier_wait -1
	global_inv scope:SCOPE_SE
	v_add_f32_e32 v24, v65, v80
	v_dual_add_f32 v40, v67, v86 :: v_dual_and_b32 v65, 7, v63
	v_and_b32_e32 v67, 0x3c0, v63
	v_add_f32_e32 v63, v72, v87
	s_delay_alu instid0(VALU_DEP_3) | instskip(SKIP_3) | instid1(VALU_DEP_3)
	v_cmp_eq_u32_e32 vcc_lo, 0, v65
	v_lshrrev_b32_e32 v64, 3, v62
	v_add_f32_e32 v62, v70, v73
	v_lshlrev_b32_e32 v66, 10, v66
	v_lshl_add_u32 v65, v64, 2, 0x420
	v_cmpx_eq_u32_e32 64, v67
	s_cbranch_execz .LBB242_161
; %bb.159:
	s_and_b32 exec_lo, exec_lo, vcc_lo
	s_cbranch_execz .LBB242_161
; %bb.160:
	v_add_nc_u32_e32 v67, v65, v66
	s_delay_alu instid0(VALU_DEP_1)
	v_add_nc_u32_e32 v68, 0xfffff800, v67
	v_add_nc_u32_e32 v69, 0xfffff810, v67
	v_add_nc_u32_e32 v70, 0xfffff820, v67
	v_add_nc_u32_e32 v71, 0xfffff830, v67
	v_add_nc_u32_e32 v72, 0xfffff840, v67
	v_add_nc_u32_e32 v73, 0xfffff850, v67
	v_add_nc_u32_e32 v74, 0xfffff860, v67
	v_add_nc_u32_e32 v75, 0xfffff870, v67
	ds_store_b32 v68, v1
	ds_store_b32 v69, v2
	ds_store_b32 v70, v3
	ds_store_b32 v71, v4
	ds_store_b32 v72, v5
	ds_store_b32 v73, v6
	ds_store_b32 v74, v7
	ds_store_b32 v75, v8
	v_add_nc_u32_e32 v68, 0xfffff880, v67
	v_add_nc_u32_e32 v69, 0xfffff890, v67
	v_add_nc_u32_e32 v70, 0xfffff8a0, v67
	v_add_nc_u32_e32 v71, 0xfffff8b0, v67
	v_add_nc_u32_e32 v72, 0xfffff8c0, v67
	v_add_nc_u32_e32 v73, 0xfffff8d0, v67
	v_add_nc_u32_e32 v74, 0xfffff8e0, v67
	v_add_nc_u32_e32 v75, 0xfffff8f0, v67
	ds_store_b32 v68, v56
	ds_store_b32 v69, v57
	ds_store_b32 v70, v58
	ds_store_b32 v71, v59
	ds_store_b32 v72, v60
	ds_store_b32 v73, v61
	ds_store_b32 v74, v51
	ds_store_b32 v75, v52
	;; [unrolled: 16-line block ×8, first 2 shown]
.LBB242_161:
	s_wait_alu 0xfffe
	s_or_b32 exec_lo, exec_lo, s1
	v_lshlrev_b32_e32 v64, 2, v64
	s_wait_loadcnt_dscnt 0x0
	s_barrier_signal -1
	s_barrier_wait -1
	global_inv scope:SCOPE_SE
	v_add3_u32 v64, 0x420, v66, v64
	s_and_saveexec_b32 s0, s2
	s_cbranch_execz .LBB242_228
; %bb.162:
	s_and_saveexec_b32 s1, vcc_lo
	s_cbranch_execnz .LBB242_300
; %bb.163:
	s_wait_alu 0xfffe
	s_or_b32 exec_lo, exec_lo, s1
	s_and_saveexec_b32 s1, vcc_lo
	s_cbranch_execnz .LBB242_301
.LBB242_164:
	s_wait_alu 0xfffe
	s_or_b32 exec_lo, exec_lo, s1
	s_and_saveexec_b32 s1, vcc_lo
	s_cbranch_execnz .LBB242_302
.LBB242_165:
	s_wait_alu 0xfffe
	s_or_b32 exec_lo, exec_lo, s1
	s_and_saveexec_b32 s1, vcc_lo
	s_cbranch_execnz .LBB242_303
.LBB242_166:
	s_wait_alu 0xfffe
	s_or_b32 exec_lo, exec_lo, s1
	s_and_saveexec_b32 s1, vcc_lo
	s_cbranch_execnz .LBB242_304
.LBB242_167:
	s_wait_alu 0xfffe
	s_or_b32 exec_lo, exec_lo, s1
	s_and_saveexec_b32 s1, vcc_lo
	s_cbranch_execnz .LBB242_305
.LBB242_168:
	s_wait_alu 0xfffe
	s_or_b32 exec_lo, exec_lo, s1
	s_and_saveexec_b32 s1, vcc_lo
	s_cbranch_execnz .LBB242_306
.LBB242_169:
	s_wait_alu 0xfffe
	s_or_b32 exec_lo, exec_lo, s1
	s_and_saveexec_b32 s1, vcc_lo
	s_cbranch_execnz .LBB242_307
.LBB242_170:
	s_wait_alu 0xfffe
	s_or_b32 exec_lo, exec_lo, s1
	s_and_saveexec_b32 s1, vcc_lo
	s_cbranch_execnz .LBB242_308
.LBB242_171:
	s_wait_alu 0xfffe
	s_or_b32 exec_lo, exec_lo, s1
	s_and_saveexec_b32 s1, vcc_lo
	s_cbranch_execnz .LBB242_309
.LBB242_172:
	s_wait_alu 0xfffe
	s_or_b32 exec_lo, exec_lo, s1
	s_and_saveexec_b32 s1, vcc_lo
	s_cbranch_execnz .LBB242_310
.LBB242_173:
	s_wait_alu 0xfffe
	s_or_b32 exec_lo, exec_lo, s1
	s_and_saveexec_b32 s1, vcc_lo
	s_cbranch_execnz .LBB242_311
.LBB242_174:
	s_wait_alu 0xfffe
	s_or_b32 exec_lo, exec_lo, s1
	s_and_saveexec_b32 s1, vcc_lo
	s_cbranch_execnz .LBB242_312
.LBB242_175:
	s_wait_alu 0xfffe
	s_or_b32 exec_lo, exec_lo, s1
	s_and_saveexec_b32 s1, vcc_lo
	s_cbranch_execnz .LBB242_313
.LBB242_176:
	s_wait_alu 0xfffe
	s_or_b32 exec_lo, exec_lo, s1
	s_and_saveexec_b32 s1, vcc_lo
	s_cbranch_execnz .LBB242_314
.LBB242_177:
	s_wait_alu 0xfffe
	s_or_b32 exec_lo, exec_lo, s1
	s_and_saveexec_b32 s1, vcc_lo
	s_cbranch_execnz .LBB242_315
.LBB242_178:
	s_wait_alu 0xfffe
	s_or_b32 exec_lo, exec_lo, s1
	s_and_saveexec_b32 s1, vcc_lo
	s_cbranch_execnz .LBB242_316
.LBB242_179:
	s_wait_alu 0xfffe
	s_or_b32 exec_lo, exec_lo, s1
	s_and_saveexec_b32 s1, vcc_lo
	s_cbranch_execnz .LBB242_317
.LBB242_180:
	s_wait_alu 0xfffe
	s_or_b32 exec_lo, exec_lo, s1
	s_and_saveexec_b32 s1, vcc_lo
	s_cbranch_execnz .LBB242_318
.LBB242_181:
	s_wait_alu 0xfffe
	s_or_b32 exec_lo, exec_lo, s1
	s_and_saveexec_b32 s1, vcc_lo
	s_cbranch_execnz .LBB242_319
.LBB242_182:
	s_wait_alu 0xfffe
	s_or_b32 exec_lo, exec_lo, s1
	s_and_saveexec_b32 s1, vcc_lo
	s_cbranch_execnz .LBB242_320
.LBB242_183:
	s_wait_alu 0xfffe
	s_or_b32 exec_lo, exec_lo, s1
	s_and_saveexec_b32 s1, vcc_lo
	s_cbranch_execnz .LBB242_321
.LBB242_184:
	s_wait_alu 0xfffe
	s_or_b32 exec_lo, exec_lo, s1
	s_and_saveexec_b32 s1, vcc_lo
	s_cbranch_execnz .LBB242_322
.LBB242_185:
	s_wait_alu 0xfffe
	s_or_b32 exec_lo, exec_lo, s1
	s_and_saveexec_b32 s1, vcc_lo
	s_cbranch_execnz .LBB242_323
.LBB242_186:
	s_wait_alu 0xfffe
	s_or_b32 exec_lo, exec_lo, s1
	s_and_saveexec_b32 s1, vcc_lo
	s_cbranch_execnz .LBB242_324
.LBB242_187:
	s_wait_alu 0xfffe
	s_or_b32 exec_lo, exec_lo, s1
	s_and_saveexec_b32 s1, vcc_lo
	s_cbranch_execnz .LBB242_325
.LBB242_188:
	s_wait_alu 0xfffe
	s_or_b32 exec_lo, exec_lo, s1
	s_and_saveexec_b32 s1, vcc_lo
	s_cbranch_execnz .LBB242_326
.LBB242_189:
	s_wait_alu 0xfffe
	s_or_b32 exec_lo, exec_lo, s1
	s_and_saveexec_b32 s1, vcc_lo
	s_cbranch_execnz .LBB242_327
.LBB242_190:
	s_wait_alu 0xfffe
	s_or_b32 exec_lo, exec_lo, s1
	s_and_saveexec_b32 s1, vcc_lo
	s_cbranch_execnz .LBB242_328
.LBB242_191:
	s_wait_alu 0xfffe
	s_or_b32 exec_lo, exec_lo, s1
	s_and_saveexec_b32 s1, vcc_lo
	s_cbranch_execnz .LBB242_329
.LBB242_192:
	s_wait_alu 0xfffe
	s_or_b32 exec_lo, exec_lo, s1
	s_and_saveexec_b32 s1, vcc_lo
	s_cbranch_execnz .LBB242_330
.LBB242_193:
	s_wait_alu 0xfffe
	s_or_b32 exec_lo, exec_lo, s1
	s_and_saveexec_b32 s1, vcc_lo
	s_cbranch_execnz .LBB242_331
.LBB242_194:
	s_wait_alu 0xfffe
	s_or_b32 exec_lo, exec_lo, s1
	s_and_saveexec_b32 s1, vcc_lo
	s_cbranch_execnz .LBB242_332
.LBB242_195:
	s_wait_alu 0xfffe
	s_or_b32 exec_lo, exec_lo, s1
	s_and_saveexec_b32 s1, vcc_lo
	s_cbranch_execnz .LBB242_333
.LBB242_196:
	s_wait_alu 0xfffe
	s_or_b32 exec_lo, exec_lo, s1
	s_and_saveexec_b32 s1, vcc_lo
	s_cbranch_execnz .LBB242_334
.LBB242_197:
	s_wait_alu 0xfffe
	s_or_b32 exec_lo, exec_lo, s1
	s_and_saveexec_b32 s1, vcc_lo
	s_cbranch_execnz .LBB242_335
.LBB242_198:
	s_wait_alu 0xfffe
	s_or_b32 exec_lo, exec_lo, s1
	s_and_saveexec_b32 s1, vcc_lo
	s_cbranch_execnz .LBB242_336
.LBB242_199:
	s_wait_alu 0xfffe
	s_or_b32 exec_lo, exec_lo, s1
	s_and_saveexec_b32 s1, vcc_lo
	s_cbranch_execnz .LBB242_337
.LBB242_200:
	s_wait_alu 0xfffe
	s_or_b32 exec_lo, exec_lo, s1
	s_and_saveexec_b32 s1, vcc_lo
	s_cbranch_execnz .LBB242_338
.LBB242_201:
	s_wait_alu 0xfffe
	s_or_b32 exec_lo, exec_lo, s1
	s_and_saveexec_b32 s1, vcc_lo
	s_cbranch_execnz .LBB242_339
.LBB242_202:
	s_wait_alu 0xfffe
	s_or_b32 exec_lo, exec_lo, s1
	s_and_saveexec_b32 s1, vcc_lo
	s_cbranch_execnz .LBB242_340
.LBB242_203:
	s_wait_alu 0xfffe
	s_or_b32 exec_lo, exec_lo, s1
	s_and_saveexec_b32 s1, vcc_lo
	s_cbranch_execnz .LBB242_341
.LBB242_204:
	s_wait_alu 0xfffe
	s_or_b32 exec_lo, exec_lo, s1
	s_and_saveexec_b32 s1, vcc_lo
	s_cbranch_execnz .LBB242_342
.LBB242_205:
	s_wait_alu 0xfffe
	s_or_b32 exec_lo, exec_lo, s1
	s_and_saveexec_b32 s1, vcc_lo
	s_cbranch_execnz .LBB242_343
.LBB242_206:
	s_wait_alu 0xfffe
	s_or_b32 exec_lo, exec_lo, s1
	s_and_saveexec_b32 s1, vcc_lo
	s_cbranch_execnz .LBB242_344
.LBB242_207:
	s_wait_alu 0xfffe
	s_or_b32 exec_lo, exec_lo, s1
	s_and_saveexec_b32 s1, vcc_lo
	s_cbranch_execnz .LBB242_345
.LBB242_208:
	s_wait_alu 0xfffe
	s_or_b32 exec_lo, exec_lo, s1
	s_and_saveexec_b32 s1, vcc_lo
	s_cbranch_execnz .LBB242_346
.LBB242_209:
	s_wait_alu 0xfffe
	s_or_b32 exec_lo, exec_lo, s1
	s_and_saveexec_b32 s1, vcc_lo
	s_cbranch_execnz .LBB242_347
.LBB242_210:
	s_wait_alu 0xfffe
	s_or_b32 exec_lo, exec_lo, s1
	s_and_saveexec_b32 s1, vcc_lo
	s_cbranch_execnz .LBB242_348
.LBB242_211:
	s_wait_alu 0xfffe
	s_or_b32 exec_lo, exec_lo, s1
	s_and_saveexec_b32 s1, vcc_lo
	s_cbranch_execnz .LBB242_349
.LBB242_212:
	s_wait_alu 0xfffe
	s_or_b32 exec_lo, exec_lo, s1
	s_and_saveexec_b32 s1, vcc_lo
	s_cbranch_execnz .LBB242_350
.LBB242_213:
	s_wait_alu 0xfffe
	s_or_b32 exec_lo, exec_lo, s1
	s_and_saveexec_b32 s1, vcc_lo
	s_cbranch_execnz .LBB242_351
.LBB242_214:
	s_wait_alu 0xfffe
	s_or_b32 exec_lo, exec_lo, s1
	s_and_saveexec_b32 s1, vcc_lo
	s_cbranch_execnz .LBB242_352
.LBB242_215:
	s_wait_alu 0xfffe
	s_or_b32 exec_lo, exec_lo, s1
	s_and_saveexec_b32 s1, vcc_lo
	s_cbranch_execnz .LBB242_353
.LBB242_216:
	s_wait_alu 0xfffe
	s_or_b32 exec_lo, exec_lo, s1
	s_and_saveexec_b32 s1, vcc_lo
	s_cbranch_execnz .LBB242_354
.LBB242_217:
	s_wait_alu 0xfffe
	s_or_b32 exec_lo, exec_lo, s1
	s_and_saveexec_b32 s1, vcc_lo
	s_cbranch_execnz .LBB242_355
.LBB242_218:
	s_wait_alu 0xfffe
	s_or_b32 exec_lo, exec_lo, s1
	s_and_saveexec_b32 s1, vcc_lo
	s_cbranch_execnz .LBB242_356
.LBB242_219:
	s_wait_alu 0xfffe
	s_or_b32 exec_lo, exec_lo, s1
	s_and_saveexec_b32 s1, vcc_lo
	s_cbranch_execnz .LBB242_357
.LBB242_220:
	s_wait_alu 0xfffe
	s_or_b32 exec_lo, exec_lo, s1
	s_and_saveexec_b32 s1, vcc_lo
	s_cbranch_execnz .LBB242_358
.LBB242_221:
	s_wait_alu 0xfffe
	s_or_b32 exec_lo, exec_lo, s1
	s_and_saveexec_b32 s1, vcc_lo
	s_cbranch_execnz .LBB242_359
.LBB242_222:
	s_wait_alu 0xfffe
	s_or_b32 exec_lo, exec_lo, s1
	s_and_saveexec_b32 s1, vcc_lo
	s_cbranch_execnz .LBB242_360
.LBB242_223:
	s_wait_alu 0xfffe
	s_or_b32 exec_lo, exec_lo, s1
	s_and_saveexec_b32 s1, vcc_lo
	s_cbranch_execnz .LBB242_361
.LBB242_224:
	s_wait_alu 0xfffe
	s_or_b32 exec_lo, exec_lo, s1
	s_and_saveexec_b32 s1, vcc_lo
	s_cbranch_execnz .LBB242_362
.LBB242_225:
	s_wait_alu 0xfffe
	s_or_b32 exec_lo, exec_lo, s1
	s_and_saveexec_b32 s1, vcc_lo
	s_cbranch_execz .LBB242_227
.LBB242_226:
	ds_load_b32 v66, v64 offset:1008
	s_wait_dscnt 0x0
	v_add_f32_e32 v63, v63, v66
.LBB242_227:
	s_wait_alu 0xfffe
	s_or_b32 exec_lo, exec_lo, s1
.LBB242_228:
	s_wait_alu 0xfffe
	s_or_b32 exec_lo, exec_lo, s0
	scratch_load_b32 v66, off, off offset:1372 ; 4-byte Folded Reload
	s_mov_b32 s1, exec_lo
	s_wait_loadcnt 0x0
	s_barrier_signal -1
	s_barrier_wait -1
	global_inv scope:SCOPE_SE
	v_and_b32_e32 v66, 0x3e7, v66
	s_delay_alu instid0(VALU_DEP_1)
	v_cmpx_eq_u32_e32 32, v66
	s_cbranch_execz .LBB242_230
; %bb.229:
	ds_store_2addr_b32 v65, v1, v2 offset1:4
	ds_store_2addr_b32 v65, v3, v4 offset0:8 offset1:12
	ds_store_2addr_b32 v65, v5, v6 offset0:16 offset1:20
	;; [unrolled: 1-line block ×31, first 2 shown]
.LBB242_230:
	s_wait_alu 0xfffe
	s_or_b32 exec_lo, exec_lo, s1
	scratch_load_b32 v65, off, off offset:1372 ; 4-byte Folded Reload
	s_mov_b32 s1, exec_lo
	s_wait_loadcnt_dscnt 0x0
	s_barrier_signal -1
	s_barrier_wait -1
	global_inv scope:SCOPE_SE
	v_cmpx_gt_u32_e32 32, v65
	s_cbranch_execz .LBB242_297
; %bb.231:
	s_and_saveexec_b32 s0, vcc_lo
	s_cbranch_execnz .LBB242_363
; %bb.232:
	s_wait_alu 0xfffe
	s_or_b32 exec_lo, exec_lo, s0
	s_and_saveexec_b32 s0, vcc_lo
	s_cbranch_execnz .LBB242_364
.LBB242_233:
	s_wait_alu 0xfffe
	s_or_b32 exec_lo, exec_lo, s0
	s_and_saveexec_b32 s0, vcc_lo
	s_cbranch_execnz .LBB242_365
.LBB242_234:
	s_wait_alu 0xfffe
	s_or_b32 exec_lo, exec_lo, s0
	s_and_saveexec_b32 s0, vcc_lo
	s_cbranch_execnz .LBB242_366
.LBB242_235:
	s_wait_alu 0xfffe
	s_or_b32 exec_lo, exec_lo, s0
	s_and_saveexec_b32 s0, vcc_lo
	s_cbranch_execnz .LBB242_367
.LBB242_236:
	s_wait_alu 0xfffe
	s_or_b32 exec_lo, exec_lo, s0
	s_and_saveexec_b32 s0, vcc_lo
	s_cbranch_execnz .LBB242_368
.LBB242_237:
	s_wait_alu 0xfffe
	s_or_b32 exec_lo, exec_lo, s0
	s_and_saveexec_b32 s0, vcc_lo
	s_cbranch_execnz .LBB242_369
.LBB242_238:
	s_wait_alu 0xfffe
	s_or_b32 exec_lo, exec_lo, s0
	s_and_saveexec_b32 s0, vcc_lo
	s_cbranch_execnz .LBB242_370
.LBB242_239:
	s_wait_alu 0xfffe
	s_or_b32 exec_lo, exec_lo, s0
	s_and_saveexec_b32 s0, vcc_lo
	s_cbranch_execnz .LBB242_371
.LBB242_240:
	s_wait_alu 0xfffe
	s_or_b32 exec_lo, exec_lo, s0
	s_and_saveexec_b32 s0, vcc_lo
	s_cbranch_execnz .LBB242_372
.LBB242_241:
	s_wait_alu 0xfffe
	s_or_b32 exec_lo, exec_lo, s0
	s_and_saveexec_b32 s0, vcc_lo
	s_cbranch_execnz .LBB242_373
.LBB242_242:
	s_wait_alu 0xfffe
	s_or_b32 exec_lo, exec_lo, s0
	s_and_saveexec_b32 s0, vcc_lo
	s_cbranch_execnz .LBB242_374
.LBB242_243:
	s_wait_alu 0xfffe
	s_or_b32 exec_lo, exec_lo, s0
	s_and_saveexec_b32 s0, vcc_lo
	s_cbranch_execnz .LBB242_375
.LBB242_244:
	s_wait_alu 0xfffe
	s_or_b32 exec_lo, exec_lo, s0
	s_and_saveexec_b32 s0, vcc_lo
	s_cbranch_execnz .LBB242_376
.LBB242_245:
	s_wait_alu 0xfffe
	s_or_b32 exec_lo, exec_lo, s0
	s_and_saveexec_b32 s0, vcc_lo
	s_cbranch_execnz .LBB242_377
.LBB242_246:
	s_wait_alu 0xfffe
	s_or_b32 exec_lo, exec_lo, s0
	s_and_saveexec_b32 s0, vcc_lo
	s_cbranch_execnz .LBB242_378
.LBB242_247:
	s_wait_alu 0xfffe
	s_or_b32 exec_lo, exec_lo, s0
	s_and_saveexec_b32 s0, vcc_lo
	s_cbranch_execnz .LBB242_379
.LBB242_248:
	s_wait_alu 0xfffe
	s_or_b32 exec_lo, exec_lo, s0
	s_and_saveexec_b32 s0, vcc_lo
	s_cbranch_execnz .LBB242_380
.LBB242_249:
	s_wait_alu 0xfffe
	s_or_b32 exec_lo, exec_lo, s0
	s_and_saveexec_b32 s0, vcc_lo
	s_cbranch_execnz .LBB242_381
.LBB242_250:
	s_wait_alu 0xfffe
	s_or_b32 exec_lo, exec_lo, s0
	s_and_saveexec_b32 s0, vcc_lo
	s_cbranch_execnz .LBB242_382
.LBB242_251:
	s_wait_alu 0xfffe
	s_or_b32 exec_lo, exec_lo, s0
	s_and_saveexec_b32 s0, vcc_lo
	s_cbranch_execnz .LBB242_383
.LBB242_252:
	s_wait_alu 0xfffe
	s_or_b32 exec_lo, exec_lo, s0
	s_and_saveexec_b32 s0, vcc_lo
	s_cbranch_execnz .LBB242_384
.LBB242_253:
	s_wait_alu 0xfffe
	s_or_b32 exec_lo, exec_lo, s0
	s_and_saveexec_b32 s0, vcc_lo
	s_cbranch_execnz .LBB242_385
.LBB242_254:
	s_wait_alu 0xfffe
	s_or_b32 exec_lo, exec_lo, s0
	s_and_saveexec_b32 s0, vcc_lo
	s_cbranch_execnz .LBB242_386
.LBB242_255:
	s_wait_alu 0xfffe
	s_or_b32 exec_lo, exec_lo, s0
	s_and_saveexec_b32 s0, vcc_lo
	s_cbranch_execnz .LBB242_387
.LBB242_256:
	s_wait_alu 0xfffe
	s_or_b32 exec_lo, exec_lo, s0
	s_and_saveexec_b32 s0, vcc_lo
	s_cbranch_execnz .LBB242_388
.LBB242_257:
	s_wait_alu 0xfffe
	s_or_b32 exec_lo, exec_lo, s0
	s_and_saveexec_b32 s0, vcc_lo
	s_cbranch_execnz .LBB242_389
.LBB242_258:
	s_wait_alu 0xfffe
	s_or_b32 exec_lo, exec_lo, s0
	s_and_saveexec_b32 s0, vcc_lo
	s_cbranch_execnz .LBB242_390
.LBB242_259:
	s_wait_alu 0xfffe
	s_or_b32 exec_lo, exec_lo, s0
	s_and_saveexec_b32 s0, vcc_lo
	s_cbranch_execnz .LBB242_391
.LBB242_260:
	s_wait_alu 0xfffe
	s_or_b32 exec_lo, exec_lo, s0
	s_and_saveexec_b32 s0, vcc_lo
	s_cbranch_execnz .LBB242_392
.LBB242_261:
	s_wait_alu 0xfffe
	s_or_b32 exec_lo, exec_lo, s0
	s_and_saveexec_b32 s0, vcc_lo
	s_cbranch_execnz .LBB242_393
.LBB242_262:
	s_wait_alu 0xfffe
	s_or_b32 exec_lo, exec_lo, s0
	s_and_saveexec_b32 s0, vcc_lo
	s_cbranch_execnz .LBB242_394
.LBB242_263:
	s_wait_alu 0xfffe
	s_or_b32 exec_lo, exec_lo, s0
	s_and_saveexec_b32 s0, vcc_lo
	s_cbranch_execnz .LBB242_395
.LBB242_264:
	s_wait_alu 0xfffe
	s_or_b32 exec_lo, exec_lo, s0
	s_and_saveexec_b32 s0, vcc_lo
	s_cbranch_execnz .LBB242_396
.LBB242_265:
	s_wait_alu 0xfffe
	s_or_b32 exec_lo, exec_lo, s0
	s_and_saveexec_b32 s0, vcc_lo
	s_cbranch_execnz .LBB242_397
.LBB242_266:
	s_wait_alu 0xfffe
	s_or_b32 exec_lo, exec_lo, s0
	s_and_saveexec_b32 s0, vcc_lo
	s_cbranch_execnz .LBB242_398
.LBB242_267:
	s_wait_alu 0xfffe
	s_or_b32 exec_lo, exec_lo, s0
	s_and_saveexec_b32 s0, vcc_lo
	s_cbranch_execnz .LBB242_399
.LBB242_268:
	s_wait_alu 0xfffe
	s_or_b32 exec_lo, exec_lo, s0
	s_and_saveexec_b32 s0, vcc_lo
	s_cbranch_execnz .LBB242_400
.LBB242_269:
	s_wait_alu 0xfffe
	s_or_b32 exec_lo, exec_lo, s0
	s_and_saveexec_b32 s0, vcc_lo
	s_cbranch_execnz .LBB242_401
.LBB242_270:
	s_wait_alu 0xfffe
	s_or_b32 exec_lo, exec_lo, s0
	s_and_saveexec_b32 s0, vcc_lo
	s_cbranch_execnz .LBB242_402
.LBB242_271:
	s_wait_alu 0xfffe
	s_or_b32 exec_lo, exec_lo, s0
	s_and_saveexec_b32 s0, vcc_lo
	s_cbranch_execnz .LBB242_403
.LBB242_272:
	s_wait_alu 0xfffe
	s_or_b32 exec_lo, exec_lo, s0
	s_and_saveexec_b32 s0, vcc_lo
	s_cbranch_execnz .LBB242_404
.LBB242_273:
	s_wait_alu 0xfffe
	s_or_b32 exec_lo, exec_lo, s0
	s_and_saveexec_b32 s0, vcc_lo
	s_cbranch_execnz .LBB242_405
.LBB242_274:
	s_wait_alu 0xfffe
	s_or_b32 exec_lo, exec_lo, s0
	s_and_saveexec_b32 s0, vcc_lo
	s_cbranch_execnz .LBB242_406
.LBB242_275:
	s_wait_alu 0xfffe
	s_or_b32 exec_lo, exec_lo, s0
	s_and_saveexec_b32 s0, vcc_lo
	s_cbranch_execnz .LBB242_407
.LBB242_276:
	s_wait_alu 0xfffe
	s_or_b32 exec_lo, exec_lo, s0
	s_and_saveexec_b32 s0, vcc_lo
	s_cbranch_execnz .LBB242_408
.LBB242_277:
	s_wait_alu 0xfffe
	s_or_b32 exec_lo, exec_lo, s0
	s_and_saveexec_b32 s0, vcc_lo
	s_cbranch_execnz .LBB242_409
.LBB242_278:
	s_wait_alu 0xfffe
	s_or_b32 exec_lo, exec_lo, s0
	s_and_saveexec_b32 s0, vcc_lo
	s_cbranch_execnz .LBB242_410
.LBB242_279:
	s_wait_alu 0xfffe
	s_or_b32 exec_lo, exec_lo, s0
	s_and_saveexec_b32 s0, vcc_lo
	s_cbranch_execnz .LBB242_411
.LBB242_280:
	s_wait_alu 0xfffe
	s_or_b32 exec_lo, exec_lo, s0
	s_and_saveexec_b32 s0, vcc_lo
	s_cbranch_execnz .LBB242_412
.LBB242_281:
	s_wait_alu 0xfffe
	s_or_b32 exec_lo, exec_lo, s0
	s_and_saveexec_b32 s0, vcc_lo
	s_cbranch_execnz .LBB242_413
.LBB242_282:
	s_wait_alu 0xfffe
	s_or_b32 exec_lo, exec_lo, s0
	s_and_saveexec_b32 s0, vcc_lo
	s_cbranch_execnz .LBB242_414
.LBB242_283:
	s_wait_alu 0xfffe
	s_or_b32 exec_lo, exec_lo, s0
	s_and_saveexec_b32 s0, vcc_lo
	s_cbranch_execnz .LBB242_415
.LBB242_284:
	s_wait_alu 0xfffe
	s_or_b32 exec_lo, exec_lo, s0
	s_and_saveexec_b32 s0, vcc_lo
	s_cbranch_execnz .LBB242_416
.LBB242_285:
	s_wait_alu 0xfffe
	s_or_b32 exec_lo, exec_lo, s0
	s_and_saveexec_b32 s0, vcc_lo
	s_cbranch_execnz .LBB242_417
.LBB242_286:
	s_wait_alu 0xfffe
	s_or_b32 exec_lo, exec_lo, s0
	s_and_saveexec_b32 s0, vcc_lo
	s_cbranch_execnz .LBB242_418
.LBB242_287:
	s_wait_alu 0xfffe
	s_or_b32 exec_lo, exec_lo, s0
	s_and_saveexec_b32 s0, vcc_lo
	s_cbranch_execnz .LBB242_419
.LBB242_288:
	s_wait_alu 0xfffe
	s_or_b32 exec_lo, exec_lo, s0
	s_and_saveexec_b32 s0, vcc_lo
	s_cbranch_execnz .LBB242_420
.LBB242_289:
	s_wait_alu 0xfffe
	s_or_b32 exec_lo, exec_lo, s0
	s_and_saveexec_b32 s0, vcc_lo
	s_cbranch_execnz .LBB242_421
.LBB242_290:
	s_wait_alu 0xfffe
	s_or_b32 exec_lo, exec_lo, s0
	s_and_saveexec_b32 s0, vcc_lo
	s_cbranch_execnz .LBB242_422
.LBB242_291:
	s_wait_alu 0xfffe
	s_or_b32 exec_lo, exec_lo, s0
	s_and_saveexec_b32 s0, vcc_lo
	s_cbranch_execnz .LBB242_423
.LBB242_292:
	s_wait_alu 0xfffe
	s_or_b32 exec_lo, exec_lo, s0
	s_and_saveexec_b32 s0, vcc_lo
	s_cbranch_execnz .LBB242_424
.LBB242_293:
	s_wait_alu 0xfffe
	s_or_b32 exec_lo, exec_lo, s0
	s_and_saveexec_b32 s0, vcc_lo
	s_cbranch_execnz .LBB242_425
.LBB242_294:
	s_wait_alu 0xfffe
	s_or_b32 exec_lo, exec_lo, s0
	s_and_saveexec_b32 s0, vcc_lo
	s_cbranch_execz .LBB242_296
.LBB242_295:
	ds_load_b32 v64, v64 offset:1008
	s_wait_dscnt 0x0
	v_add_f32_e32 v63, v63, v64
.LBB242_296:
	s_wait_alu 0xfffe
	s_or_b32 exec_lo, exec_lo, s0
.LBB242_297:
	s_wait_alu 0xfffe
	s_or_b32 exec_lo, exec_lo, s1
	s_mov_b32 s1, 0
	s_wait_loadcnt 0x0
	s_barrier_signal -1
	s_barrier_wait -1
	global_inv scope:SCOPE_SE
	s_mov_b32 s0, exec_lo
	v_cmpx_eq_u32_e32 0, v66
	s_cbranch_execz .LBB242_299
; %bb.298:
	scratch_load_b32 v64, off, off offset:1372 th:TH_LOAD_LU ; 4-byte Folded Reload
	s_lshl_b32 s2, s4, 8
	s_mul_i32 s4, s12, s16
	s_wait_alu 0xfffe
	s_ashr_i32 s3, s2, 31
	s_ashr_i32 s5, s4, 31
	s_wait_alu 0xfffe
	s_lshl_b64 s[2:3], s[2:3], 2
	s_lshl_b64 s[4:5], s[4:5], 2
	s_wait_alu 0xfffe
	s_add_nc_u64 s[2:3], s[14:15], s[2:3]
	s_lshl_b32 s0, s26, 10
	s_wait_alu 0xfffe
	s_add_nc_u64 s[2:3], s[2:3], s[4:5]
	s_wait_alu 0xfffe
	s_add_nc_u64 s[0:1], s[2:3], s[0:1]
	s_wait_loadcnt 0x0
	v_lshrrev_b32_e32 v64, 1, v64
	s_clause 0x1f
	global_store_b32 v64, v1, s[0:1]
	global_store_b32 v64, v2, s[0:1] offset:16
	global_store_b32 v64, v3, s[0:1] offset:32
	;; [unrolled: 1-line block ×31, first 2 shown]
	s_clause 0x1f
	global_store_b32 v64, v34, s[0:1] offset:512
	global_store_b32 v64, v35, s[0:1] offset:528
	;; [unrolled: 1-line block ×32, first 2 shown]
.LBB242_299:
	s_nop 0
	s_sendmsg sendmsg(MSG_DEALLOC_VGPRS)
	s_endpgm
.LBB242_300:
	ds_load_b32 v66, v64
	s_wait_dscnt 0x0
	v_add_f32_e32 v1, v1, v66
	s_wait_alu 0xfffe
	s_or_b32 exec_lo, exec_lo, s1
	s_and_saveexec_b32 s1, vcc_lo
	s_cbranch_execz .LBB242_164
.LBB242_301:
	ds_load_b32 v66, v64 offset:16
	s_wait_dscnt 0x0
	v_add_f32_e32 v2, v2, v66
	s_wait_alu 0xfffe
	s_or_b32 exec_lo, exec_lo, s1
	s_and_saveexec_b32 s1, vcc_lo
	s_cbranch_execz .LBB242_165
.LBB242_302:
	ds_load_b32 v66, v64 offset:32
	s_wait_dscnt 0x0
	v_add_f32_e32 v3, v3, v66
	s_wait_alu 0xfffe
	s_or_b32 exec_lo, exec_lo, s1
	s_and_saveexec_b32 s1, vcc_lo
	s_cbranch_execz .LBB242_166
.LBB242_303:
	ds_load_b32 v66, v64 offset:48
	s_wait_dscnt 0x0
	v_add_f32_e32 v4, v4, v66
	s_wait_alu 0xfffe
	s_or_b32 exec_lo, exec_lo, s1
	s_and_saveexec_b32 s1, vcc_lo
	s_cbranch_execz .LBB242_167
.LBB242_304:
	ds_load_b32 v66, v64 offset:64
	s_wait_dscnt 0x0
	v_add_f32_e32 v5, v5, v66
	s_wait_alu 0xfffe
	s_or_b32 exec_lo, exec_lo, s1
	s_and_saveexec_b32 s1, vcc_lo
	s_cbranch_execz .LBB242_168
.LBB242_305:
	ds_load_b32 v66, v64 offset:80
	s_wait_dscnt 0x0
	v_add_f32_e32 v6, v6, v66
	s_wait_alu 0xfffe
	s_or_b32 exec_lo, exec_lo, s1
	s_and_saveexec_b32 s1, vcc_lo
	s_cbranch_execz .LBB242_169
.LBB242_306:
	ds_load_b32 v66, v64 offset:96
	s_wait_dscnt 0x0
	v_add_f32_e32 v7, v7, v66
	s_wait_alu 0xfffe
	s_or_b32 exec_lo, exec_lo, s1
	s_and_saveexec_b32 s1, vcc_lo
	s_cbranch_execz .LBB242_170
.LBB242_307:
	ds_load_b32 v66, v64 offset:112
	s_wait_dscnt 0x0
	v_add_f32_e32 v8, v8, v66
	s_wait_alu 0xfffe
	s_or_b32 exec_lo, exec_lo, s1
	s_and_saveexec_b32 s1, vcc_lo
	s_cbranch_execz .LBB242_171
.LBB242_308:
	ds_load_b32 v66, v64 offset:128
	s_wait_dscnt 0x0
	v_add_f32_e32 v56, v56, v66
	s_wait_alu 0xfffe
	s_or_b32 exec_lo, exec_lo, s1
	s_and_saveexec_b32 s1, vcc_lo
	s_cbranch_execz .LBB242_172
.LBB242_309:
	ds_load_b32 v66, v64 offset:144
	s_wait_dscnt 0x0
	v_add_f32_e32 v57, v57, v66
	s_wait_alu 0xfffe
	s_or_b32 exec_lo, exec_lo, s1
	s_and_saveexec_b32 s1, vcc_lo
	s_cbranch_execz .LBB242_173
.LBB242_310:
	ds_load_b32 v66, v64 offset:160
	s_wait_dscnt 0x0
	v_add_f32_e32 v58, v58, v66
	s_wait_alu 0xfffe
	s_or_b32 exec_lo, exec_lo, s1
	s_and_saveexec_b32 s1, vcc_lo
	s_cbranch_execz .LBB242_174
.LBB242_311:
	ds_load_b32 v66, v64 offset:176
	s_wait_dscnt 0x0
	v_add_f32_e32 v59, v59, v66
	s_wait_alu 0xfffe
	s_or_b32 exec_lo, exec_lo, s1
	s_and_saveexec_b32 s1, vcc_lo
	s_cbranch_execz .LBB242_175
.LBB242_312:
	ds_load_b32 v66, v64 offset:192
	s_wait_dscnt 0x0
	v_add_f32_e32 v60, v60, v66
	s_wait_alu 0xfffe
	s_or_b32 exec_lo, exec_lo, s1
	s_and_saveexec_b32 s1, vcc_lo
	s_cbranch_execz .LBB242_176
.LBB242_313:
	ds_load_b32 v66, v64 offset:208
	s_wait_dscnt 0x0
	v_add_f32_e32 v61, v61, v66
	s_wait_alu 0xfffe
	s_or_b32 exec_lo, exec_lo, s1
	s_and_saveexec_b32 s1, vcc_lo
	s_cbranch_execz .LBB242_177
.LBB242_314:
	ds_load_b32 v66, v64 offset:224
	s_wait_dscnt 0x0
	v_add_f32_e32 v51, v51, v66
	s_wait_alu 0xfffe
	s_or_b32 exec_lo, exec_lo, s1
	s_and_saveexec_b32 s1, vcc_lo
	s_cbranch_execz .LBB242_178
.LBB242_315:
	ds_load_b32 v66, v64 offset:240
	s_wait_dscnt 0x0
	v_add_f32_e32 v52, v52, v66
	s_wait_alu 0xfffe
	s_or_b32 exec_lo, exec_lo, s1
	s_and_saveexec_b32 s1, vcc_lo
	s_cbranch_execz .LBB242_179
.LBB242_316:
	ds_load_b32 v66, v64 offset:256
	s_wait_dscnt 0x0
	v_add_f32_e32 v49, v49, v66
	s_wait_alu 0xfffe
	s_or_b32 exec_lo, exec_lo, s1
	s_and_saveexec_b32 s1, vcc_lo
	s_cbranch_execz .LBB242_180
.LBB242_317:
	ds_load_b32 v66, v64 offset:272
	s_wait_dscnt 0x0
	v_add_f32_e32 v50, v50, v66
	s_wait_alu 0xfffe
	s_or_b32 exec_lo, exec_lo, s1
	s_and_saveexec_b32 s1, vcc_lo
	s_cbranch_execz .LBB242_181
.LBB242_318:
	ds_load_b32 v66, v64 offset:288
	s_wait_dscnt 0x0
	v_add_f32_e32 v53, v53, v66
	s_wait_alu 0xfffe
	s_or_b32 exec_lo, exec_lo, s1
	s_and_saveexec_b32 s1, vcc_lo
	s_cbranch_execz .LBB242_182
.LBB242_319:
	ds_load_b32 v66, v64 offset:304
	s_wait_dscnt 0x0
	v_add_f32_e32 v48, v48, v66
	s_wait_alu 0xfffe
	s_or_b32 exec_lo, exec_lo, s1
	s_and_saveexec_b32 s1, vcc_lo
	s_cbranch_execz .LBB242_183
.LBB242_320:
	ds_load_b32 v66, v64 offset:320
	s_wait_dscnt 0x0
	v_add_f32_e32 v43, v43, v66
	s_wait_alu 0xfffe
	s_or_b32 exec_lo, exec_lo, s1
	s_and_saveexec_b32 s1, vcc_lo
	s_cbranch_execz .LBB242_184
.LBB242_321:
	ds_load_b32 v66, v64 offset:336
	s_wait_dscnt 0x0
	v_add_f32_e32 v44, v44, v66
	s_wait_alu 0xfffe
	s_or_b32 exec_lo, exec_lo, s1
	s_and_saveexec_b32 s1, vcc_lo
	s_cbranch_execz .LBB242_185
.LBB242_322:
	ds_load_b32 v66, v64 offset:352
	s_wait_dscnt 0x0
	v_add_f32_e32 v45, v45, v66
	s_wait_alu 0xfffe
	s_or_b32 exec_lo, exec_lo, s1
	s_and_saveexec_b32 s1, vcc_lo
	s_cbranch_execz .LBB242_186
.LBB242_323:
	ds_load_b32 v66, v64 offset:368
	s_wait_dscnt 0x0
	v_add_f32_e32 v46, v46, v66
	s_wait_alu 0xfffe
	s_or_b32 exec_lo, exec_lo, s1
	s_and_saveexec_b32 s1, vcc_lo
	s_cbranch_execz .LBB242_187
.LBB242_324:
	ds_load_b32 v66, v64 offset:384
	s_wait_dscnt 0x0
	v_add_f32_e32 v41, v41, v66
	s_wait_alu 0xfffe
	s_or_b32 exec_lo, exec_lo, s1
	s_and_saveexec_b32 s1, vcc_lo
	s_cbranch_execz .LBB242_188
.LBB242_325:
	ds_load_b32 v66, v64 offset:400
	s_wait_dscnt 0x0
	v_add_f32_e32 v42, v42, v66
	s_wait_alu 0xfffe
	s_or_b32 exec_lo, exec_lo, s1
	s_and_saveexec_b32 s1, vcc_lo
	s_cbranch_execz .LBB242_189
.LBB242_326:
	ds_load_b32 v66, v64 offset:416
	s_wait_dscnt 0x0
	v_add_f32_e32 v47, v47, v66
	s_wait_alu 0xfffe
	s_or_b32 exec_lo, exec_lo, s1
	s_and_saveexec_b32 s1, vcc_lo
	s_cbranch_execz .LBB242_190
.LBB242_327:
	ds_load_b32 v66, v64 offset:432
	s_wait_dscnt 0x0
	v_add_f32_e32 v54, v54, v66
	s_wait_alu 0xfffe
	s_or_b32 exec_lo, exec_lo, s1
	s_and_saveexec_b32 s1, vcc_lo
	s_cbranch_execz .LBB242_191
.LBB242_328:
	ds_load_b32 v66, v64 offset:448
	s_wait_dscnt 0x0
	v_add_f32_e32 v55, v55, v66
	s_wait_alu 0xfffe
	s_or_b32 exec_lo, exec_lo, s1
	s_and_saveexec_b32 s1, vcc_lo
	s_cbranch_execz .LBB242_192
.LBB242_329:
	ds_load_b32 v66, v64 offset:464
	s_wait_dscnt 0x0
	v_add_f32_e32 v0, v0, v66
	s_wait_alu 0xfffe
	s_or_b32 exec_lo, exec_lo, s1
	s_and_saveexec_b32 s1, vcc_lo
	s_cbranch_execz .LBB242_193
.LBB242_330:
	ds_load_b32 v66, v64 offset:480
	s_wait_dscnt 0x0
	v_add_f32_e32 v36, v36, v66
	s_wait_alu 0xfffe
	s_or_b32 exec_lo, exec_lo, s1
	s_and_saveexec_b32 s1, vcc_lo
	s_cbranch_execz .LBB242_194
.LBB242_331:
	ds_load_b32 v66, v64 offset:496
	s_wait_dscnt 0x0
	v_add_f32_e32 v33, v33, v66
	s_wait_alu 0xfffe
	s_or_b32 exec_lo, exec_lo, s1
	s_and_saveexec_b32 s1, vcc_lo
	s_cbranch_execz .LBB242_195
.LBB242_332:
	ds_load_b32 v66, v64 offset:512
	s_wait_dscnt 0x0
	v_add_f32_e32 v34, v34, v66
	s_wait_alu 0xfffe
	s_or_b32 exec_lo, exec_lo, s1
	s_and_saveexec_b32 s1, vcc_lo
	s_cbranch_execz .LBB242_196
.LBB242_333:
	ds_load_b32 v66, v64 offset:528
	s_wait_dscnt 0x0
	v_add_f32_e32 v35, v35, v66
	s_wait_alu 0xfffe
	s_or_b32 exec_lo, exec_lo, s1
	s_and_saveexec_b32 s1, vcc_lo
	s_cbranch_execz .LBB242_197
.LBB242_334:
	ds_load_b32 v66, v64 offset:544
	s_wait_dscnt 0x0
	v_add_f32_e32 v37, v37, v66
	s_wait_alu 0xfffe
	s_or_b32 exec_lo, exec_lo, s1
	s_and_saveexec_b32 s1, vcc_lo
	s_cbranch_execz .LBB242_198
.LBB242_335:
	ds_load_b32 v66, v64 offset:560
	s_wait_dscnt 0x0
	v_add_f32_e32 v29, v29, v66
	s_wait_alu 0xfffe
	s_or_b32 exec_lo, exec_lo, s1
	s_and_saveexec_b32 s1, vcc_lo
	s_cbranch_execz .LBB242_199
.LBB242_336:
	ds_load_b32 v66, v64 offset:576
	s_wait_dscnt 0x0
	v_add_f32_e32 v27, v27, v66
	s_wait_alu 0xfffe
	s_or_b32 exec_lo, exec_lo, s1
	s_and_saveexec_b32 s1, vcc_lo
	s_cbranch_execz .LBB242_200
.LBB242_337:
	ds_load_b32 v66, v64 offset:592
	s_wait_dscnt 0x0
	v_add_f32_e32 v28, v28, v66
	s_wait_alu 0xfffe
	s_or_b32 exec_lo, exec_lo, s1
	s_and_saveexec_b32 s1, vcc_lo
	s_cbranch_execz .LBB242_201
.LBB242_338:
	ds_load_b32 v66, v64 offset:608
	s_wait_dscnt 0x0
	v_add_f32_e32 v30, v30, v66
	s_wait_alu 0xfffe
	s_or_b32 exec_lo, exec_lo, s1
	s_and_saveexec_b32 s1, vcc_lo
	s_cbranch_execz .LBB242_202
.LBB242_339:
	ds_load_b32 v66, v64 offset:624
	s_wait_dscnt 0x0
	v_add_f32_e32 v31, v31, v66
	s_wait_alu 0xfffe
	s_or_b32 exec_lo, exec_lo, s1
	s_and_saveexec_b32 s1, vcc_lo
	s_cbranch_execz .LBB242_203
.LBB242_340:
	ds_load_b32 v66, v64 offset:640
	s_wait_dscnt 0x0
	v_add_f32_e32 v26, v26, v66
	s_wait_alu 0xfffe
	s_or_b32 exec_lo, exec_lo, s1
	s_and_saveexec_b32 s1, vcc_lo
	s_cbranch_execz .LBB242_204
.LBB242_341:
	ds_load_b32 v66, v64 offset:656
	s_wait_dscnt 0x0
	v_add_f32_e32 v25, v25, v66
	s_wait_alu 0xfffe
	s_or_b32 exec_lo, exec_lo, s1
	s_and_saveexec_b32 s1, vcc_lo
	s_cbranch_execz .LBB242_205
.LBB242_342:
	ds_load_b32 v66, v64 offset:672
	s_wait_dscnt 0x0
	v_add_f32_e32 v32, v32, v66
	s_wait_alu 0xfffe
	s_or_b32 exec_lo, exec_lo, s1
	s_and_saveexec_b32 s1, vcc_lo
	s_cbranch_execz .LBB242_206
.LBB242_343:
	ds_load_b32 v66, v64 offset:688
	s_wait_dscnt 0x0
	v_add_f32_e32 v38, v38, v66
	s_wait_alu 0xfffe
	s_or_b32 exec_lo, exec_lo, s1
	s_and_saveexec_b32 s1, vcc_lo
	s_cbranch_execz .LBB242_207
.LBB242_344:
	ds_load_b32 v66, v64 offset:704
	s_wait_dscnt 0x0
	v_add_f32_e32 v10, v10, v66
	s_wait_alu 0xfffe
	s_or_b32 exec_lo, exec_lo, s1
	s_and_saveexec_b32 s1, vcc_lo
	s_cbranch_execz .LBB242_208
.LBB242_345:
	ds_load_b32 v66, v64 offset:720
	s_wait_dscnt 0x0
	v_add_f32_e32 v11, v11, v66
	s_wait_alu 0xfffe
	s_or_b32 exec_lo, exec_lo, s1
	s_and_saveexec_b32 s1, vcc_lo
	s_cbranch_execz .LBB242_209
.LBB242_346:
	ds_load_b32 v66, v64 offset:736
	s_wait_dscnt 0x0
	v_add_f32_e32 v12, v12, v66
	s_wait_alu 0xfffe
	s_or_b32 exec_lo, exec_lo, s1
	s_and_saveexec_b32 s1, vcc_lo
	s_cbranch_execz .LBB242_210
.LBB242_347:
	ds_load_b32 v66, v64 offset:752
	s_wait_dscnt 0x0
	v_add_f32_e32 v9, v9, v66
	s_wait_alu 0xfffe
	s_or_b32 exec_lo, exec_lo, s1
	s_and_saveexec_b32 s1, vcc_lo
	s_cbranch_execz .LBB242_211
.LBB242_348:
	ds_load_b32 v66, v64 offset:768
	s_wait_dscnt 0x0
	v_add_f32_e32 v13, v13, v66
	s_wait_alu 0xfffe
	s_or_b32 exec_lo, exec_lo, s1
	s_and_saveexec_b32 s1, vcc_lo
	s_cbranch_execz .LBB242_212
.LBB242_349:
	ds_load_b32 v66, v64 offset:784
	s_wait_dscnt 0x0
	v_add_f32_e32 v14, v14, v66
	s_wait_alu 0xfffe
	s_or_b32 exec_lo, exec_lo, s1
	s_and_saveexec_b32 s1, vcc_lo
	s_cbranch_execz .LBB242_213
.LBB242_350:
	ds_load_b32 v66, v64 offset:800
	s_wait_dscnt 0x0
	v_add_f32_e32 v15, v15, v66
	s_wait_alu 0xfffe
	s_or_b32 exec_lo, exec_lo, s1
	s_and_saveexec_b32 s1, vcc_lo
	s_cbranch_execz .LBB242_214
.LBB242_351:
	ds_load_b32 v66, v64 offset:816
	s_wait_dscnt 0x0
	v_add_f32_e32 v16, v16, v66
	s_wait_alu 0xfffe
	s_or_b32 exec_lo, exec_lo, s1
	s_and_saveexec_b32 s1, vcc_lo
	s_cbranch_execz .LBB242_215
.LBB242_352:
	ds_load_b32 v66, v64 offset:832
	s_wait_dscnt 0x0
	v_add_f32_e32 v17, v17, v66
	s_wait_alu 0xfffe
	s_or_b32 exec_lo, exec_lo, s1
	s_and_saveexec_b32 s1, vcc_lo
	s_cbranch_execz .LBB242_216
.LBB242_353:
	ds_load_b32 v66, v64 offset:848
	s_wait_dscnt 0x0
	v_add_f32_e32 v18, v18, v66
	s_wait_alu 0xfffe
	s_or_b32 exec_lo, exec_lo, s1
	s_and_saveexec_b32 s1, vcc_lo
	s_cbranch_execz .LBB242_217
.LBB242_354:
	ds_load_b32 v66, v64 offset:864
	s_wait_dscnt 0x0
	v_add_f32_e32 v19, v19, v66
	s_wait_alu 0xfffe
	s_or_b32 exec_lo, exec_lo, s1
	s_and_saveexec_b32 s1, vcc_lo
	s_cbranch_execz .LBB242_218
.LBB242_355:
	ds_load_b32 v66, v64 offset:880
	s_wait_dscnt 0x0
	v_add_f32_e32 v20, v20, v66
	s_wait_alu 0xfffe
	s_or_b32 exec_lo, exec_lo, s1
	s_and_saveexec_b32 s1, vcc_lo
	s_cbranch_execz .LBB242_219
.LBB242_356:
	ds_load_b32 v66, v64 offset:896
	s_wait_dscnt 0x0
	v_add_f32_e32 v21, v21, v66
	s_wait_alu 0xfffe
	s_or_b32 exec_lo, exec_lo, s1
	s_and_saveexec_b32 s1, vcc_lo
	s_cbranch_execz .LBB242_220
.LBB242_357:
	ds_load_b32 v66, v64 offset:912
	s_wait_dscnt 0x0
	v_add_f32_e32 v22, v22, v66
	s_wait_alu 0xfffe
	s_or_b32 exec_lo, exec_lo, s1
	s_and_saveexec_b32 s1, vcc_lo
	s_cbranch_execz .LBB242_221
.LBB242_358:
	ds_load_b32 v66, v64 offset:928
	s_wait_dscnt 0x0
	v_add_f32_e32 v23, v23, v66
	s_wait_alu 0xfffe
	s_or_b32 exec_lo, exec_lo, s1
	s_and_saveexec_b32 s1, vcc_lo
	s_cbranch_execz .LBB242_222
.LBB242_359:
	ds_load_b32 v66, v64 offset:944
	s_wait_dscnt 0x0
	v_add_f32_e32 v24, v24, v66
	s_wait_alu 0xfffe
	s_or_b32 exec_lo, exec_lo, s1
	s_and_saveexec_b32 s1, vcc_lo
	s_cbranch_execz .LBB242_223
.LBB242_360:
	ds_load_b32 v66, v64 offset:960
	s_wait_dscnt 0x0
	v_add_f32_e32 v39, v39, v66
	s_wait_alu 0xfffe
	s_or_b32 exec_lo, exec_lo, s1
	s_and_saveexec_b32 s1, vcc_lo
	s_cbranch_execz .LBB242_224
.LBB242_361:
	ds_load_b32 v66, v64 offset:976
	s_wait_dscnt 0x0
	v_add_f32_e32 v40, v40, v66
	s_wait_alu 0xfffe
	s_or_b32 exec_lo, exec_lo, s1
	s_and_saveexec_b32 s1, vcc_lo
	s_cbranch_execz .LBB242_225
.LBB242_362:
	ds_load_b32 v66, v64 offset:992
	s_wait_dscnt 0x0
	v_add_f32_e32 v62, v62, v66
	s_wait_alu 0xfffe
	s_or_b32 exec_lo, exec_lo, s1
	s_and_saveexec_b32 s1, vcc_lo
	s_cbranch_execnz .LBB242_226
	s_branch .LBB242_227
.LBB242_363:
	ds_load_b32 v65, v64
	s_wait_dscnt 0x0
	v_add_f32_e32 v1, v1, v65
	s_wait_alu 0xfffe
	s_or_b32 exec_lo, exec_lo, s0
	s_and_saveexec_b32 s0, vcc_lo
	s_cbranch_execz .LBB242_233
.LBB242_364:
	ds_load_b32 v65, v64 offset:16
	s_wait_dscnt 0x0
	v_add_f32_e32 v2, v2, v65
	s_wait_alu 0xfffe
	s_or_b32 exec_lo, exec_lo, s0
	s_and_saveexec_b32 s0, vcc_lo
	s_cbranch_execz .LBB242_234
.LBB242_365:
	ds_load_b32 v65, v64 offset:32
	s_wait_dscnt 0x0
	v_add_f32_e32 v3, v3, v65
	s_wait_alu 0xfffe
	s_or_b32 exec_lo, exec_lo, s0
	s_and_saveexec_b32 s0, vcc_lo
	s_cbranch_execz .LBB242_235
.LBB242_366:
	ds_load_b32 v65, v64 offset:48
	s_wait_dscnt 0x0
	v_add_f32_e32 v4, v4, v65
	s_wait_alu 0xfffe
	s_or_b32 exec_lo, exec_lo, s0
	s_and_saveexec_b32 s0, vcc_lo
	s_cbranch_execz .LBB242_236
.LBB242_367:
	ds_load_b32 v65, v64 offset:64
	s_wait_dscnt 0x0
	v_add_f32_e32 v5, v5, v65
	s_wait_alu 0xfffe
	s_or_b32 exec_lo, exec_lo, s0
	s_and_saveexec_b32 s0, vcc_lo
	s_cbranch_execz .LBB242_237
.LBB242_368:
	ds_load_b32 v65, v64 offset:80
	s_wait_dscnt 0x0
	v_add_f32_e32 v6, v6, v65
	s_wait_alu 0xfffe
	s_or_b32 exec_lo, exec_lo, s0
	s_and_saveexec_b32 s0, vcc_lo
	s_cbranch_execz .LBB242_238
.LBB242_369:
	ds_load_b32 v65, v64 offset:96
	s_wait_dscnt 0x0
	v_add_f32_e32 v7, v7, v65
	s_wait_alu 0xfffe
	s_or_b32 exec_lo, exec_lo, s0
	s_and_saveexec_b32 s0, vcc_lo
	s_cbranch_execz .LBB242_239
.LBB242_370:
	ds_load_b32 v65, v64 offset:112
	s_wait_dscnt 0x0
	v_add_f32_e32 v8, v8, v65
	s_wait_alu 0xfffe
	s_or_b32 exec_lo, exec_lo, s0
	s_and_saveexec_b32 s0, vcc_lo
	s_cbranch_execz .LBB242_240
.LBB242_371:
	ds_load_b32 v65, v64 offset:128
	s_wait_dscnt 0x0
	v_add_f32_e32 v56, v56, v65
	s_wait_alu 0xfffe
	s_or_b32 exec_lo, exec_lo, s0
	s_and_saveexec_b32 s0, vcc_lo
	s_cbranch_execz .LBB242_241
.LBB242_372:
	ds_load_b32 v65, v64 offset:144
	s_wait_dscnt 0x0
	v_add_f32_e32 v57, v57, v65
	s_wait_alu 0xfffe
	s_or_b32 exec_lo, exec_lo, s0
	s_and_saveexec_b32 s0, vcc_lo
	s_cbranch_execz .LBB242_242
.LBB242_373:
	ds_load_b32 v65, v64 offset:160
	s_wait_dscnt 0x0
	v_add_f32_e32 v58, v58, v65
	s_wait_alu 0xfffe
	s_or_b32 exec_lo, exec_lo, s0
	s_and_saveexec_b32 s0, vcc_lo
	s_cbranch_execz .LBB242_243
.LBB242_374:
	ds_load_b32 v65, v64 offset:176
	s_wait_dscnt 0x0
	v_add_f32_e32 v59, v59, v65
	s_wait_alu 0xfffe
	s_or_b32 exec_lo, exec_lo, s0
	s_and_saveexec_b32 s0, vcc_lo
	s_cbranch_execz .LBB242_244
.LBB242_375:
	ds_load_b32 v65, v64 offset:192
	s_wait_dscnt 0x0
	v_add_f32_e32 v60, v60, v65
	s_wait_alu 0xfffe
	s_or_b32 exec_lo, exec_lo, s0
	s_and_saveexec_b32 s0, vcc_lo
	s_cbranch_execz .LBB242_245
.LBB242_376:
	ds_load_b32 v65, v64 offset:208
	s_wait_dscnt 0x0
	v_add_f32_e32 v61, v61, v65
	s_wait_alu 0xfffe
	s_or_b32 exec_lo, exec_lo, s0
	s_and_saveexec_b32 s0, vcc_lo
	s_cbranch_execz .LBB242_246
.LBB242_377:
	ds_load_b32 v65, v64 offset:224
	s_wait_dscnt 0x0
	v_add_f32_e32 v51, v51, v65
	s_wait_alu 0xfffe
	s_or_b32 exec_lo, exec_lo, s0
	s_and_saveexec_b32 s0, vcc_lo
	s_cbranch_execz .LBB242_247
.LBB242_378:
	ds_load_b32 v65, v64 offset:240
	s_wait_dscnt 0x0
	v_add_f32_e32 v52, v52, v65
	s_wait_alu 0xfffe
	s_or_b32 exec_lo, exec_lo, s0
	s_and_saveexec_b32 s0, vcc_lo
	s_cbranch_execz .LBB242_248
.LBB242_379:
	ds_load_b32 v65, v64 offset:256
	s_wait_dscnt 0x0
	v_add_f32_e32 v49, v49, v65
	s_wait_alu 0xfffe
	s_or_b32 exec_lo, exec_lo, s0
	s_and_saveexec_b32 s0, vcc_lo
	s_cbranch_execz .LBB242_249
.LBB242_380:
	ds_load_b32 v65, v64 offset:272
	s_wait_dscnt 0x0
	v_add_f32_e32 v50, v50, v65
	s_wait_alu 0xfffe
	s_or_b32 exec_lo, exec_lo, s0
	s_and_saveexec_b32 s0, vcc_lo
	s_cbranch_execz .LBB242_250
.LBB242_381:
	ds_load_b32 v65, v64 offset:288
	s_wait_dscnt 0x0
	v_add_f32_e32 v53, v53, v65
	s_wait_alu 0xfffe
	s_or_b32 exec_lo, exec_lo, s0
	s_and_saveexec_b32 s0, vcc_lo
	s_cbranch_execz .LBB242_251
.LBB242_382:
	ds_load_b32 v65, v64 offset:304
	s_wait_dscnt 0x0
	v_add_f32_e32 v48, v48, v65
	s_wait_alu 0xfffe
	s_or_b32 exec_lo, exec_lo, s0
	s_and_saveexec_b32 s0, vcc_lo
	s_cbranch_execz .LBB242_252
.LBB242_383:
	ds_load_b32 v65, v64 offset:320
	s_wait_dscnt 0x0
	v_add_f32_e32 v43, v43, v65
	s_wait_alu 0xfffe
	s_or_b32 exec_lo, exec_lo, s0
	s_and_saveexec_b32 s0, vcc_lo
	s_cbranch_execz .LBB242_253
.LBB242_384:
	ds_load_b32 v65, v64 offset:336
	s_wait_dscnt 0x0
	v_add_f32_e32 v44, v44, v65
	s_wait_alu 0xfffe
	s_or_b32 exec_lo, exec_lo, s0
	s_and_saveexec_b32 s0, vcc_lo
	s_cbranch_execz .LBB242_254
.LBB242_385:
	ds_load_b32 v65, v64 offset:352
	s_wait_dscnt 0x0
	v_add_f32_e32 v45, v45, v65
	s_wait_alu 0xfffe
	s_or_b32 exec_lo, exec_lo, s0
	s_and_saveexec_b32 s0, vcc_lo
	s_cbranch_execz .LBB242_255
.LBB242_386:
	ds_load_b32 v65, v64 offset:368
	s_wait_dscnt 0x0
	v_add_f32_e32 v46, v46, v65
	s_wait_alu 0xfffe
	s_or_b32 exec_lo, exec_lo, s0
	s_and_saveexec_b32 s0, vcc_lo
	s_cbranch_execz .LBB242_256
.LBB242_387:
	ds_load_b32 v65, v64 offset:384
	s_wait_dscnt 0x0
	v_add_f32_e32 v41, v41, v65
	s_wait_alu 0xfffe
	s_or_b32 exec_lo, exec_lo, s0
	s_and_saveexec_b32 s0, vcc_lo
	s_cbranch_execz .LBB242_257
.LBB242_388:
	ds_load_b32 v65, v64 offset:400
	s_wait_dscnt 0x0
	v_add_f32_e32 v42, v42, v65
	s_wait_alu 0xfffe
	s_or_b32 exec_lo, exec_lo, s0
	s_and_saveexec_b32 s0, vcc_lo
	s_cbranch_execz .LBB242_258
.LBB242_389:
	ds_load_b32 v65, v64 offset:416
	s_wait_dscnt 0x0
	v_add_f32_e32 v47, v47, v65
	s_wait_alu 0xfffe
	s_or_b32 exec_lo, exec_lo, s0
	s_and_saveexec_b32 s0, vcc_lo
	s_cbranch_execz .LBB242_259
.LBB242_390:
	ds_load_b32 v65, v64 offset:432
	s_wait_dscnt 0x0
	v_add_f32_e32 v54, v54, v65
	s_wait_alu 0xfffe
	s_or_b32 exec_lo, exec_lo, s0
	s_and_saveexec_b32 s0, vcc_lo
	s_cbranch_execz .LBB242_260
.LBB242_391:
	ds_load_b32 v65, v64 offset:448
	s_wait_dscnt 0x0
	v_add_f32_e32 v55, v55, v65
	s_wait_alu 0xfffe
	s_or_b32 exec_lo, exec_lo, s0
	s_and_saveexec_b32 s0, vcc_lo
	s_cbranch_execz .LBB242_261
.LBB242_392:
	ds_load_b32 v65, v64 offset:464
	s_wait_dscnt 0x0
	v_add_f32_e32 v0, v0, v65
	s_wait_alu 0xfffe
	s_or_b32 exec_lo, exec_lo, s0
	s_and_saveexec_b32 s0, vcc_lo
	s_cbranch_execz .LBB242_262
.LBB242_393:
	ds_load_b32 v65, v64 offset:480
	s_wait_dscnt 0x0
	v_add_f32_e32 v36, v36, v65
	s_wait_alu 0xfffe
	s_or_b32 exec_lo, exec_lo, s0
	s_and_saveexec_b32 s0, vcc_lo
	s_cbranch_execz .LBB242_263
.LBB242_394:
	ds_load_b32 v65, v64 offset:496
	s_wait_dscnt 0x0
	v_add_f32_e32 v33, v33, v65
	s_wait_alu 0xfffe
	s_or_b32 exec_lo, exec_lo, s0
	s_and_saveexec_b32 s0, vcc_lo
	s_cbranch_execz .LBB242_264
.LBB242_395:
	ds_load_b32 v65, v64 offset:512
	s_wait_dscnt 0x0
	v_add_f32_e32 v34, v34, v65
	s_wait_alu 0xfffe
	s_or_b32 exec_lo, exec_lo, s0
	s_and_saveexec_b32 s0, vcc_lo
	s_cbranch_execz .LBB242_265
.LBB242_396:
	ds_load_b32 v65, v64 offset:528
	s_wait_dscnt 0x0
	v_add_f32_e32 v35, v35, v65
	s_wait_alu 0xfffe
	s_or_b32 exec_lo, exec_lo, s0
	s_and_saveexec_b32 s0, vcc_lo
	s_cbranch_execz .LBB242_266
.LBB242_397:
	ds_load_b32 v65, v64 offset:544
	s_wait_dscnt 0x0
	v_add_f32_e32 v37, v37, v65
	s_wait_alu 0xfffe
	s_or_b32 exec_lo, exec_lo, s0
	s_and_saveexec_b32 s0, vcc_lo
	s_cbranch_execz .LBB242_267
.LBB242_398:
	ds_load_b32 v65, v64 offset:560
	s_wait_dscnt 0x0
	v_add_f32_e32 v29, v29, v65
	s_wait_alu 0xfffe
	s_or_b32 exec_lo, exec_lo, s0
	s_and_saveexec_b32 s0, vcc_lo
	s_cbranch_execz .LBB242_268
.LBB242_399:
	ds_load_b32 v65, v64 offset:576
	s_wait_dscnt 0x0
	v_add_f32_e32 v27, v27, v65
	s_wait_alu 0xfffe
	s_or_b32 exec_lo, exec_lo, s0
	s_and_saveexec_b32 s0, vcc_lo
	s_cbranch_execz .LBB242_269
.LBB242_400:
	ds_load_b32 v65, v64 offset:592
	s_wait_dscnt 0x0
	v_add_f32_e32 v28, v28, v65
	s_wait_alu 0xfffe
	s_or_b32 exec_lo, exec_lo, s0
	s_and_saveexec_b32 s0, vcc_lo
	s_cbranch_execz .LBB242_270
.LBB242_401:
	ds_load_b32 v65, v64 offset:608
	s_wait_dscnt 0x0
	v_add_f32_e32 v30, v30, v65
	s_wait_alu 0xfffe
	s_or_b32 exec_lo, exec_lo, s0
	s_and_saveexec_b32 s0, vcc_lo
	s_cbranch_execz .LBB242_271
.LBB242_402:
	ds_load_b32 v65, v64 offset:624
	s_wait_dscnt 0x0
	v_add_f32_e32 v31, v31, v65
	s_wait_alu 0xfffe
	s_or_b32 exec_lo, exec_lo, s0
	s_and_saveexec_b32 s0, vcc_lo
	s_cbranch_execz .LBB242_272
.LBB242_403:
	ds_load_b32 v65, v64 offset:640
	s_wait_dscnt 0x0
	v_add_f32_e32 v26, v26, v65
	s_wait_alu 0xfffe
	s_or_b32 exec_lo, exec_lo, s0
	s_and_saveexec_b32 s0, vcc_lo
	s_cbranch_execz .LBB242_273
.LBB242_404:
	ds_load_b32 v65, v64 offset:656
	s_wait_dscnt 0x0
	v_add_f32_e32 v25, v25, v65
	s_wait_alu 0xfffe
	s_or_b32 exec_lo, exec_lo, s0
	s_and_saveexec_b32 s0, vcc_lo
	s_cbranch_execz .LBB242_274
.LBB242_405:
	ds_load_b32 v65, v64 offset:672
	s_wait_dscnt 0x0
	v_add_f32_e32 v32, v32, v65
	s_wait_alu 0xfffe
	s_or_b32 exec_lo, exec_lo, s0
	s_and_saveexec_b32 s0, vcc_lo
	s_cbranch_execz .LBB242_275
.LBB242_406:
	ds_load_b32 v65, v64 offset:688
	s_wait_dscnt 0x0
	v_add_f32_e32 v38, v38, v65
	s_wait_alu 0xfffe
	s_or_b32 exec_lo, exec_lo, s0
	s_and_saveexec_b32 s0, vcc_lo
	s_cbranch_execz .LBB242_276
.LBB242_407:
	ds_load_b32 v65, v64 offset:704
	s_wait_dscnt 0x0
	v_add_f32_e32 v10, v10, v65
	s_wait_alu 0xfffe
	s_or_b32 exec_lo, exec_lo, s0
	s_and_saveexec_b32 s0, vcc_lo
	s_cbranch_execz .LBB242_277
.LBB242_408:
	ds_load_b32 v65, v64 offset:720
	s_wait_dscnt 0x0
	v_add_f32_e32 v11, v11, v65
	s_wait_alu 0xfffe
	s_or_b32 exec_lo, exec_lo, s0
	s_and_saveexec_b32 s0, vcc_lo
	s_cbranch_execz .LBB242_278
.LBB242_409:
	ds_load_b32 v65, v64 offset:736
	s_wait_dscnt 0x0
	v_add_f32_e32 v12, v12, v65
	s_wait_alu 0xfffe
	s_or_b32 exec_lo, exec_lo, s0
	s_and_saveexec_b32 s0, vcc_lo
	s_cbranch_execz .LBB242_279
.LBB242_410:
	ds_load_b32 v65, v64 offset:752
	s_wait_dscnt 0x0
	v_add_f32_e32 v9, v9, v65
	s_wait_alu 0xfffe
	s_or_b32 exec_lo, exec_lo, s0
	s_and_saveexec_b32 s0, vcc_lo
	s_cbranch_execz .LBB242_280
.LBB242_411:
	ds_load_b32 v65, v64 offset:768
	s_wait_dscnt 0x0
	v_add_f32_e32 v13, v13, v65
	s_wait_alu 0xfffe
	s_or_b32 exec_lo, exec_lo, s0
	s_and_saveexec_b32 s0, vcc_lo
	s_cbranch_execz .LBB242_281
.LBB242_412:
	ds_load_b32 v65, v64 offset:784
	s_wait_dscnt 0x0
	v_add_f32_e32 v14, v14, v65
	s_wait_alu 0xfffe
	s_or_b32 exec_lo, exec_lo, s0
	s_and_saveexec_b32 s0, vcc_lo
	s_cbranch_execz .LBB242_282
.LBB242_413:
	ds_load_b32 v65, v64 offset:800
	s_wait_dscnt 0x0
	v_add_f32_e32 v15, v15, v65
	s_wait_alu 0xfffe
	s_or_b32 exec_lo, exec_lo, s0
	s_and_saveexec_b32 s0, vcc_lo
	s_cbranch_execz .LBB242_283
.LBB242_414:
	ds_load_b32 v65, v64 offset:816
	s_wait_dscnt 0x0
	v_add_f32_e32 v16, v16, v65
	s_wait_alu 0xfffe
	s_or_b32 exec_lo, exec_lo, s0
	s_and_saveexec_b32 s0, vcc_lo
	s_cbranch_execz .LBB242_284
.LBB242_415:
	ds_load_b32 v65, v64 offset:832
	s_wait_dscnt 0x0
	v_add_f32_e32 v17, v17, v65
	s_wait_alu 0xfffe
	s_or_b32 exec_lo, exec_lo, s0
	s_and_saveexec_b32 s0, vcc_lo
	s_cbranch_execz .LBB242_285
.LBB242_416:
	ds_load_b32 v65, v64 offset:848
	s_wait_dscnt 0x0
	v_add_f32_e32 v18, v18, v65
	s_wait_alu 0xfffe
	s_or_b32 exec_lo, exec_lo, s0
	s_and_saveexec_b32 s0, vcc_lo
	s_cbranch_execz .LBB242_286
.LBB242_417:
	ds_load_b32 v65, v64 offset:864
	s_wait_dscnt 0x0
	v_add_f32_e32 v19, v19, v65
	s_wait_alu 0xfffe
	s_or_b32 exec_lo, exec_lo, s0
	s_and_saveexec_b32 s0, vcc_lo
	s_cbranch_execz .LBB242_287
.LBB242_418:
	ds_load_b32 v65, v64 offset:880
	s_wait_dscnt 0x0
	v_add_f32_e32 v20, v20, v65
	s_wait_alu 0xfffe
	s_or_b32 exec_lo, exec_lo, s0
	s_and_saveexec_b32 s0, vcc_lo
	s_cbranch_execz .LBB242_288
.LBB242_419:
	ds_load_b32 v65, v64 offset:896
	s_wait_dscnt 0x0
	v_add_f32_e32 v21, v21, v65
	s_wait_alu 0xfffe
	s_or_b32 exec_lo, exec_lo, s0
	s_and_saveexec_b32 s0, vcc_lo
	s_cbranch_execz .LBB242_289
.LBB242_420:
	ds_load_b32 v65, v64 offset:912
	s_wait_dscnt 0x0
	v_add_f32_e32 v22, v22, v65
	s_wait_alu 0xfffe
	s_or_b32 exec_lo, exec_lo, s0
	s_and_saveexec_b32 s0, vcc_lo
	s_cbranch_execz .LBB242_290
.LBB242_421:
	ds_load_b32 v65, v64 offset:928
	s_wait_dscnt 0x0
	v_add_f32_e32 v23, v23, v65
	s_wait_alu 0xfffe
	s_or_b32 exec_lo, exec_lo, s0
	s_and_saveexec_b32 s0, vcc_lo
	s_cbranch_execz .LBB242_291
.LBB242_422:
	ds_load_b32 v65, v64 offset:944
	s_wait_dscnt 0x0
	v_add_f32_e32 v24, v24, v65
	s_wait_alu 0xfffe
	s_or_b32 exec_lo, exec_lo, s0
	s_and_saveexec_b32 s0, vcc_lo
	s_cbranch_execz .LBB242_292
.LBB242_423:
	ds_load_b32 v65, v64 offset:960
	s_wait_dscnt 0x0
	v_add_f32_e32 v39, v39, v65
	s_wait_alu 0xfffe
	s_or_b32 exec_lo, exec_lo, s0
	s_and_saveexec_b32 s0, vcc_lo
	s_cbranch_execz .LBB242_293
.LBB242_424:
	ds_load_b32 v65, v64 offset:976
	s_wait_dscnt 0x0
	v_add_f32_e32 v40, v40, v65
	s_wait_alu 0xfffe
	s_or_b32 exec_lo, exec_lo, s0
	s_and_saveexec_b32 s0, vcc_lo
	s_cbranch_execz .LBB242_294
.LBB242_425:
	ds_load_b32 v65, v64 offset:992
	s_wait_dscnt 0x0
	v_add_f32_e32 v62, v62, v65
	s_wait_alu 0xfffe
	s_or_b32 exec_lo, exec_lo, s0
	s_and_saveexec_b32 s0, vcc_lo
	s_cbranch_execnz .LBB242_295
	s_branch .LBB242_296
	.section	.rodata,"a",@progbits
	.p2align	6, 0x0
	.amdhsa_kernel _ZN4vllm25paged_attention_v2_kernelIfhLi256ELi32ELi128ELNS_18Fp8KVCacheDataTypeE1ELb0ELi512EEEvPfS2_PT_PKS3_PKT0_S9_ifPKiSB_iPKfiiiSD_SD_iiiii
		.amdhsa_group_segment_fixed_size 1056
		.amdhsa_private_segment_fixed_size 1392
		.amdhsa_kernarg_size 400
		.amdhsa_user_sgpr_count 2
		.amdhsa_user_sgpr_dispatch_ptr 0
		.amdhsa_user_sgpr_queue_ptr 0
		.amdhsa_user_sgpr_kernarg_segment_ptr 1
		.amdhsa_user_sgpr_dispatch_id 0
		.amdhsa_user_sgpr_private_segment_size 0
		.amdhsa_wavefront_size32 1
		.amdhsa_uses_dynamic_stack 0
		.amdhsa_enable_private_segment 1
		.amdhsa_system_sgpr_workgroup_id_x 1
		.amdhsa_system_sgpr_workgroup_id_y 1
		.amdhsa_system_sgpr_workgroup_id_z 1
		.amdhsa_system_sgpr_workgroup_info 0
		.amdhsa_system_vgpr_workitem_id 0
		.amdhsa_next_free_vgpr 192
		.amdhsa_next_free_sgpr 36
		.amdhsa_reserve_vcc 1
		.amdhsa_float_round_mode_32 0
		.amdhsa_float_round_mode_16_64 0
		.amdhsa_float_denorm_mode_32 3
		.amdhsa_float_denorm_mode_16_64 3
		.amdhsa_fp16_overflow 0
		.amdhsa_workgroup_processor_mode 1
		.amdhsa_memory_ordered 1
		.amdhsa_forward_progress 1
		.amdhsa_inst_pref_size 255
		.amdhsa_round_robin_scheduling 0
		.amdhsa_exception_fp_ieee_invalid_op 0
		.amdhsa_exception_fp_denorm_src 0
		.amdhsa_exception_fp_ieee_div_zero 0
		.amdhsa_exception_fp_ieee_overflow 0
		.amdhsa_exception_fp_ieee_underflow 0
		.amdhsa_exception_fp_ieee_inexact 0
		.amdhsa_exception_int_div_zero 0
	.end_amdhsa_kernel
	.section	.text._ZN4vllm25paged_attention_v2_kernelIfhLi256ELi32ELi128ELNS_18Fp8KVCacheDataTypeE1ELb0ELi512EEEvPfS2_PT_PKS3_PKT0_S9_ifPKiSB_iPKfiiiSD_SD_iiiii,"axG",@progbits,_ZN4vllm25paged_attention_v2_kernelIfhLi256ELi32ELi128ELNS_18Fp8KVCacheDataTypeE1ELb0ELi512EEEvPfS2_PT_PKS3_PKT0_S9_ifPKiSB_iPKfiiiSD_SD_iiiii,comdat
.Lfunc_end242:
	.size	_ZN4vllm25paged_attention_v2_kernelIfhLi256ELi32ELi128ELNS_18Fp8KVCacheDataTypeE1ELb0ELi512EEEvPfS2_PT_PKS3_PKT0_S9_ifPKiSB_iPKfiiiSD_SD_iiiii, .Lfunc_end242-_ZN4vllm25paged_attention_v2_kernelIfhLi256ELi32ELi128ELNS_18Fp8KVCacheDataTypeE1ELb0ELi512EEEvPfS2_PT_PKS3_PKT0_S9_ifPKiSB_iPKfiiiSD_SD_iiiii
                                        ; -- End function
	.set _ZN4vllm25paged_attention_v2_kernelIfhLi256ELi32ELi128ELNS_18Fp8KVCacheDataTypeE1ELb0ELi512EEEvPfS2_PT_PKS3_PKT0_S9_ifPKiSB_iPKfiiiSD_SD_iiiii.num_vgpr, 192
	.set _ZN4vllm25paged_attention_v2_kernelIfhLi256ELi32ELi128ELNS_18Fp8KVCacheDataTypeE1ELb0ELi512EEEvPfS2_PT_PKS3_PKT0_S9_ifPKiSB_iPKfiiiSD_SD_iiiii.num_agpr, 0
	.set _ZN4vllm25paged_attention_v2_kernelIfhLi256ELi32ELi128ELNS_18Fp8KVCacheDataTypeE1ELb0ELi512EEEvPfS2_PT_PKS3_PKT0_S9_ifPKiSB_iPKfiiiSD_SD_iiiii.numbered_sgpr, 36
	.set _ZN4vllm25paged_attention_v2_kernelIfhLi256ELi32ELi128ELNS_18Fp8KVCacheDataTypeE1ELb0ELi512EEEvPfS2_PT_PKS3_PKT0_S9_ifPKiSB_iPKfiiiSD_SD_iiiii.num_named_barrier, 0
	.set _ZN4vllm25paged_attention_v2_kernelIfhLi256ELi32ELi128ELNS_18Fp8KVCacheDataTypeE1ELb0ELi512EEEvPfS2_PT_PKS3_PKT0_S9_ifPKiSB_iPKfiiiSD_SD_iiiii.private_seg_size, 1392
	.set _ZN4vllm25paged_attention_v2_kernelIfhLi256ELi32ELi128ELNS_18Fp8KVCacheDataTypeE1ELb0ELi512EEEvPfS2_PT_PKS3_PKT0_S9_ifPKiSB_iPKfiiiSD_SD_iiiii.uses_vcc, 1
	.set _ZN4vllm25paged_attention_v2_kernelIfhLi256ELi32ELi128ELNS_18Fp8KVCacheDataTypeE1ELb0ELi512EEEvPfS2_PT_PKS3_PKT0_S9_ifPKiSB_iPKfiiiSD_SD_iiiii.uses_flat_scratch, 1
	.set _ZN4vllm25paged_attention_v2_kernelIfhLi256ELi32ELi128ELNS_18Fp8KVCacheDataTypeE1ELb0ELi512EEEvPfS2_PT_PKS3_PKT0_S9_ifPKiSB_iPKfiiiSD_SD_iiiii.has_dyn_sized_stack, 0
	.set _ZN4vllm25paged_attention_v2_kernelIfhLi256ELi32ELi128ELNS_18Fp8KVCacheDataTypeE1ELb0ELi512EEEvPfS2_PT_PKS3_PKT0_S9_ifPKiSB_iPKfiiiSD_SD_iiiii.has_recursion, 0
	.set _ZN4vllm25paged_attention_v2_kernelIfhLi256ELi32ELi128ELNS_18Fp8KVCacheDataTypeE1ELb0ELi512EEEvPfS2_PT_PKS3_PKT0_S9_ifPKiSB_iPKfiiiSD_SD_iiiii.has_indirect_call, 0
	.section	.AMDGPU.csdata,"",@progbits
; Kernel info:
; codeLenInByte = 44824
; TotalNumSgprs: 38
; NumVgprs: 192
; ScratchSize: 1392
; MemoryBound: 0
; FloatMode: 240
; IeeeMode: 1
; LDSByteSize: 1056 bytes/workgroup (compile time only)
; SGPRBlocks: 0
; VGPRBlocks: 23
; NumSGPRsForWavesPerEU: 38
; NumVGPRsForWavesPerEU: 192
; Occupancy: 8
; WaveLimiterHint : 1
; COMPUTE_PGM_RSRC2:SCRATCH_EN: 1
; COMPUTE_PGM_RSRC2:USER_SGPR: 2
; COMPUTE_PGM_RSRC2:TRAP_HANDLER: 0
; COMPUTE_PGM_RSRC2:TGID_X_EN: 1
; COMPUTE_PGM_RSRC2:TGID_Y_EN: 1
; COMPUTE_PGM_RSRC2:TGID_Z_EN: 1
; COMPUTE_PGM_RSRC2:TIDIG_COMP_CNT: 0
	.section	.text._ZN4vllm25paged_attention_v2_kernelIthLi32ELi8ELi128ELNS_18Fp8KVCacheDataTypeE1ELb1ELi512EEEvPfS2_PT_PKS3_PKT0_S9_ifPKiSB_iPKfiiiSD_SD_iiiii,"axG",@progbits,_ZN4vllm25paged_attention_v2_kernelIthLi32ELi8ELi128ELNS_18Fp8KVCacheDataTypeE1ELb1ELi512EEEvPfS2_PT_PKS3_PKT0_S9_ifPKiSB_iPKfiiiSD_SD_iiiii,comdat
	.protected	_ZN4vllm25paged_attention_v2_kernelIthLi32ELi8ELi128ELNS_18Fp8KVCacheDataTypeE1ELb1ELi512EEEvPfS2_PT_PKS3_PKT0_S9_ifPKiSB_iPKfiiiSD_SD_iiiii ; -- Begin function _ZN4vllm25paged_attention_v2_kernelIthLi32ELi8ELi128ELNS_18Fp8KVCacheDataTypeE1ELb1ELi512EEEvPfS2_PT_PKS3_PKT0_S9_ifPKiSB_iPKfiiiSD_SD_iiiii
	.globl	_ZN4vllm25paged_attention_v2_kernelIthLi32ELi8ELi128ELNS_18Fp8KVCacheDataTypeE1ELb1ELi512EEEvPfS2_PT_PKS3_PKT0_S9_ifPKiSB_iPKfiiiSD_SD_iiiii
	.p2align	8
	.type	_ZN4vllm25paged_attention_v2_kernelIthLi32ELi8ELi128ELNS_18Fp8KVCacheDataTypeE1ELb1ELi512EEEvPfS2_PT_PKS3_PKT0_S9_ifPKiSB_iPKfiiiSD_SD_iiiii,@function
_ZN4vllm25paged_attention_v2_kernelIthLi32ELi8ELi128ELNS_18Fp8KVCacheDataTypeE1ELb1ELi512EEEvPfS2_PT_PKS3_PKT0_S9_ifPKiSB_iPKfiiiSD_SD_iiiii: ; @_ZN4vllm25paged_attention_v2_kernelIthLi32ELi8ELi128ELNS_18Fp8KVCacheDataTypeE1ELb1ELi512EEEvPfS2_PT_PKS3_PKT0_S9_ifPKiSB_iPKfiiiSD_SD_iiiii
; %bb.0:
	s_load_b64 s[2:3], s[0:1], 0x40
	s_and_b32 s28, ttmp7, 0xffff
	s_lshr_b32 s35, ttmp7, 16
	s_lshl_b32 s4, s28, 2
	s_lshl_b32 s36, s35, 9
	s_wait_kmcnt 0x0
	s_load_b32 s33, s[2:3], s4 offset:0x0
	s_wait_kmcnt 0x0
	s_cmp_ge_i32 s36, s33
	s_cbranch_scc1 .LBB243_184
; %bb.1:
	s_clause 0x1
	s_load_b32 s29, s[0:1], 0x90
	s_load_b64 s[6:7], s[0:1], 0x30
	s_wait_kmcnt 0x0
	s_abs_i32 s5, s29
	s_abs_i32 s2, s6
	s_delay_alu instid0(SALU_CYCLE_1) | instskip(SKIP_1) | instid1(SALU_CYCLE_2)
	s_cvt_f32_u32 s3, s2
	s_sub_co_i32 s4, 0, s2
	v_rcp_iflag_f32_e32 v1, s3
	s_delay_alu instid0(TRANS32_DEP_1) | instskip(SKIP_2) | instid1(SALU_CYCLE_2)
	v_readfirstlane_b32 s3, v1
	s_mul_f32 s3, s3, 0x4f7ffffe
	s_wait_alu 0xfffe
	s_cvt_u32_f32 s3, s3
	s_wait_alu 0xfffe
	s_delay_alu instid0(SALU_CYCLE_2) | instskip(NEXT) | instid1(SALU_CYCLE_1)
	s_mul_i32 s4, s4, s3
	s_mul_hi_u32 s4, s3, s4
	s_delay_alu instid0(SALU_CYCLE_1)
	s_add_co_i32 s3, s3, s4
	s_xor_b32 s4, s29, s6
	s_wait_alu 0xfffe
	s_mul_hi_u32 s3, s5, s3
	s_ashr_i32 s4, s4, 31
	s_wait_alu 0xfffe
	s_mul_i32 s8, s3, s2
	s_delay_alu instid0(SALU_CYCLE_1)
	s_sub_co_i32 s5, s5, s8
	s_add_co_i32 s8, s3, 1
	s_sub_co_i32 s9, s5, s2
	s_cmp_ge_u32 s5, s2
	s_cselect_b32 s3, s8, s3
	s_cselect_b32 s5, s9, s5
	s_wait_alu 0xfffe
	s_add_co_i32 s8, s3, 1
	s_cmp_ge_u32 s5, s2
	s_cselect_b32 s2, s8, s3
	s_load_b64 s[8:9], s[0:1], 0x50
	s_xor_b32 s2, s2, s4
	s_mov_b32 s3, 0
	s_wait_alu 0xfffe
	s_sub_co_i32 s11, s2, s4
	s_mov_b32 s30, s3
	s_abs_i32 s10, s11
	s_delay_alu instid0(SALU_CYCLE_1) | instskip(SKIP_1) | instid1(SALU_CYCLE_2)
	s_cvt_f32_u32 s2, s10
	s_wait_alu 0xfffe
	v_rcp_iflag_f32_e32 v1, s2
	s_delay_alu instid0(TRANS32_DEP_1) | instskip(SKIP_2) | instid1(SALU_CYCLE_2)
	v_readfirstlane_b32 s2, v1
	s_mul_f32 s2, s2, 0x4f7ffffe
	s_wait_alu 0xfffe
	s_cvt_u32_f32 s4, s2
	s_sub_co_i32 s2, 0, s10
	s_wait_alu 0xfffe
	s_delay_alu instid0(SALU_CYCLE_1)
	s_mul_i32 s2, s2, s4
	s_wait_alu 0xfffe
	s_mul_hi_u32 s5, s4, s2
	s_abs_i32 s2, ttmp9
	s_add_co_i32 s4, s4, s5
	s_mov_b32 s5, s3
	s_wait_kmcnt 0x0
	s_cmp_eq_u64 s[8:9], 0
	s_cbranch_scc1 .LBB243_3
; %bb.2:
	s_mov_b32 s12, ttmp9
	s_ashr_i32 s13, ttmp9, 31
	s_delay_alu instid0(SALU_CYCLE_1) | instskip(NEXT) | instid1(SALU_CYCLE_1)
	s_lshl_b64 s[12:13], s[12:13], 2
	s_add_nc_u64 s[8:9], s[8:9], s[12:13]
	s_load_b32 s30, s[8:9], 0x0
.LBB243_3:
	s_load_b96 s[16:18], s[0:1], 0x58
	v_and_b32_e32 v1, 3, v0
	s_mul_u64 s[4:5], s[2:3], s[4:5]
	s_ashr_i32 s3, ttmp9, 31
	s_ashr_i32 s4, s11, 31
	s_lshl_b32 s20, ttmp9, 5
	s_mov_b32 s8, exec_lo
	v_cmpx_gt_u32_e32 16, v0
	s_cbranch_execz .LBB243_5
; %bb.4:
	s_load_b64 s[12:13], s[0:1], 0x18
	s_wait_kmcnt 0x0
	s_mul_i32 s14, s16, s28
	s_ashr_i32 s21, s20, 31
	s_ashr_i32 s15, s14, 31
	v_lshlrev_b32_e32 v2, 2, v0
	s_lshl_b64 s[14:15], s[14:15], 1
	v_and_b32_e32 v3, 0x3fc, v0
	s_delay_alu instid0(VALU_DEP_1) | instskip(SKIP_2) | instid1(SALU_CYCLE_1)
	v_lshl_add_u32 v3, v1, 4, v3
	s_add_nc_u64 s[12:13], s[12:13], s[14:15]
	s_lshl_b64 s[14:15], s[20:21], 1
	s_add_nc_u64 s[12:13], s[12:13], s[14:15]
	global_load_b32 v2, v2, s[12:13]
	s_wait_loadcnt 0x0
	ds_store_b32 v3, v2
.LBB243_5:
	s_or_b32 exec_lo, exec_lo, s8
	s_load_b128 s[12:15], s[0:1], 0x78
	s_mul_i32 s8, s5, s10
	s_xor_b32 s3, s3, s4
	s_sub_co_i32 s2, s2, s8
	s_add_co_i32 s4, s5, 1
	s_wait_alu 0xfffe
	s_sub_co_i32 s8, s2, s10
	s_cmp_ge_u32 s2, s10
                                        ; implicit-def: $sgpr21
	s_cselect_b32 s4, s4, s5
	s_cselect_b32 s2, s8, s2
	s_add_co_i32 s5, s4, 1
	s_wait_alu 0xfffe
	s_cmp_ge_u32 s2, s10
	s_load_b32 s8, s[0:1], 0x88
	s_cselect_b32 s2, s5, s4
	s_add_co_i32 s9, s33, -1
	s_wait_alu 0xfffe
	s_xor_b32 s2, s2, s3
	s_mov_b32 s10, -1
	s_wait_alu 0xfffe
	s_sub_co_i32 s19, s2, s3
	s_wait_dscnt 0x0
	s_barrier_signal -1
	s_wait_kmcnt 0x0
	s_abs_i32 s16, s15
	s_barrier_wait -1
	s_cvt_f32_u32 s4, s16
	global_inv scope:SCOPE_SE
	v_rcp_iflag_f32_e32 v2, s4
	s_delay_alu instid0(TRANS32_DEP_1) | instskip(SKIP_2) | instid1(SALU_CYCLE_2)
	v_readfirstlane_b32 s4, v2
	s_mul_f32 s2, s4, 0x4f7ffffe
	s_wait_alu 0xfffe
	s_cvt_u32_f32 s4, s2
	s_sub_co_i32 s2, 0, s16
	s_wait_alu 0xfffe
	s_delay_alu instid0(SALU_CYCLE_1)
	s_mul_i32 s3, s2, s4
	s_abs_i32 s2, s9
	s_wait_alu 0xfffe
	s_mul_hi_u32 s5, s4, s3
	s_mov_b32 s3, 0
	s_wait_alu 0xfffe
	s_add_co_i32 s22, s4, s5
	s_cmp_lt_i32 s8, 0
	s_mov_b32 s23, s3
	s_cbranch_scc0 .LBB243_7
; %bb.6:
	s_mul_i32 s4, s12, s6
	s_mov_b32 s10, s3
	s_wait_alu 0xfffe
	s_add_co_i32 s4, s19, s4
	s_wait_alu 0xfffe
	s_mul_i32 s4, s4, s8
	s_wait_alu 0xfffe
	s_sub_co_i32 s21, 1, s4
.LBB243_7:
	s_mul_u64 s[4:5], s[2:3], s[22:23]
	s_ashr_i32 s3, s9, 31
	s_and_not1_b32 vcc_lo, exec_lo, s10
	s_ashr_i32 s23, s15, 31
	s_cbranch_vccnz .LBB243_9
; %bb.8:
	s_mul_i32 s4, s29, s12
	s_wait_alu 0xfffe
	s_add_co_i32 s4, s4, ttmp9
	s_wait_alu 0xfffe
	s_mul_i32 s4, s4, s8
	s_wait_alu 0xfffe
	s_add_co_i32 s21, s4, 1
.LBB243_9:
	s_clause 0x3
	s_load_b32 s4, s[0:1], 0x48
	s_load_b64 s[24:25], s[0:1], 0x38
	s_load_b32 s15, s[0:1], 0x98
	s_load_b128 s[8:11], s[0:1], 0x68
	s_mul_i32 s6, s5, s16
	s_xor_b32 s3, s3, s23
	s_sub_co_i32 s2, s2, s6
	s_add_co_i32 s12, s5, 1
	v_lshrrev_b32_e32 v9, 5, v0
	v_mov_b32_e32 v15, 0xff7fffff
	v_mbcnt_lo_u32_b32 v14, -1, 0
	s_mul_i32 s18, s19, s18
	s_delay_alu instid0(VALU_DEP_3)
	v_lshl_add_u32 v10, v9, 3, s36
	s_wait_kmcnt 0x0
	s_mul_i32 s26, s4, s28
	s_wait_alu 0xfffe
	s_sub_co_i32 s4, s2, s16
	s_ashr_i32 s27, s26, 31
	s_cmp_ge_u32 s2, s16
	s_cselect_b32 s5, s12, s5
	s_wait_alu 0xfffe
	s_cselect_b32 s2, s4, s2
	s_add_co_i32 s4, s5, 1
	s_wait_alu 0xfffe
	s_cmp_ge_u32 s2, s16
	s_cselect_b32 s2, s4, s5
	s_add_co_i32 s4, s33, 7
	s_lshl_b32 s12, s35, 6
	s_wait_alu 0xfffe
	s_ashr_i32 s5, s4, 31
	v_or_b32_e32 v11, s12, v9
	s_wait_alu 0xfffe
	s_lshr_b32 s5, s5, 29
	s_wait_alu 0xfffe
	s_add_co_i32 s4, s4, s5
	s_add_co_i32 s5, s12, 64
	s_wait_alu 0xfffe
	s_ashr_i32 s37, s4, 3
	s_xor_b32 s4, s2, s3
	s_wait_alu 0xfffe
	s_min_i32 s34, s5, s37
	v_lshlrev_b32_e32 v13, 2, v11
	v_cmp_gt_i32_e64 s2, s34, v11
	s_sub_co_i32 s38, s4, s3
	s_and_saveexec_b32 s6, s2
	s_cbranch_execz .LBB243_85
; %bb.10:
	s_sub_co_i32 s31, s38, s13
	s_ashr_i32 s19, s18, 31
	s_cmp_neq_f32 s30, 0
	s_load_b64 s[4:5], s[0:1], 0x20
	v_bfe_u32 v12, v0, 2, 3
	v_mov_b32_e32 v2, 0
	s_cselect_b32 vcc_lo, -1, 0
	s_abs_i32 s39, s14
	v_dual_mov_b32 v15, 0xff7fffff :: v_dual_lshlrev_b32 v4, 1, v1
	s_cvt_f32_u32 s3, s39
	v_dual_mov_b32 v21, v11 :: v_dual_lshlrev_b32 v16, 4, v1
	v_dual_mov_b32 v20, 0xff7fffff :: v_dual_lshlrev_b32 v5, 2, v12
	s_wait_alu 0xfffe
	v_rcp_iflag_f32_e32 v3, s3
	v_cmp_eq_u32_e64 s3, 0, v1
	v_lshlrev_b32_e32 v1, 4, v12
	v_lshl_or_b32 v8, v9, 5, v5
	s_lshl_b64 s[42:43], s[26:27], 2
	v_subrev_nc_u32_e32 v7, s33, v12
	s_add_nc_u64 s[42:43], s[24:25], s[42:43]
	s_sub_co_i32 s44, 0, s39
	s_wait_kmcnt 0x0
	s_add_nc_u64 s[4:5], s[4:5], s[18:19]
	v_lshl_add_u32 v17, v9, 3, s36
	v_readfirstlane_b32 s41, v3
	s_wait_alu 0xfffe
	v_add_co_u32 v1, s4, s4, v1
	s_wait_alu 0xf1ff
	v_add_co_ci_u32_e64 v5, null, s5, 0, s4
	s_mul_f32 s19, s41, 0x4f7ffffe
	v_add_co_u32 v3, s4, v1, v4
	s_wait_alu 0xf1ff
	v_add_co_ci_u32_e64 v4, null, 0, v5, s4
	s_cvt_u32_f32 s5, s19
	v_add_co_u32 v5, s4, s42, v13
	s_wait_alu 0xf1ff
	v_add_co_ci_u32_e64 v6, null, s43, 0, s4
	s_wait_alu 0xfffe
	s_mul_i32 s44, s44, s5
	v_add_nc_u32_e32 v18, 1, v7
	v_add_nc_u32_e32 v19, 0x60, v8
	s_mul_hi_u32 s4, s5, s44
	s_mov_b32 s40, 0
	s_mov_b32 s19, s17
	s_wait_alu 0xfffe
	s_add_co_i32 s41, s5, s4
	s_branch .LBB243_13
.LBB243_11:                             ;   in Loop: Header=BB243_13 Depth=1
	s_wait_alu 0xfffe
	s_or_b32 exec_lo, exec_lo, s42
.LBB243_12:                             ;   in Loop: Header=BB243_13 Depth=1
	s_wait_alu 0xfffe
	s_or_b32 exec_lo, exec_lo, s5
	v_add_nc_u32_e32 v21, 4, v21
	v_add_co_u32 v5, s5, v5, 16
	s_wait_alu 0xf1ff
	v_add_co_ci_u32_e64 v6, null, 0, v6, s5
	s_delay_alu instid0(VALU_DEP_3)
	v_cmp_le_i32_e64 s4, s34, v21
	v_add_nc_u32_e32 v17, 32, v17
	v_add_nc_u32_e32 v19, 0x80, v19
	s_or_b32 s40, s4, s40
	s_wait_alu 0xfffe
	s_and_not1_b32 exec_lo, exec_lo, s40
	s_cbranch_execz .LBB243_84
.LBB243_13:                             ; =>This Inner Loop Header: Depth=1
	v_sub_nc_u32_e32 v1, 0, v17
	s_delay_alu instid0(VALU_DEP_1) | instskip(SKIP_1) | instid1(VALU_DEP_1)
	v_max_i32_e32 v1, v17, v1
	s_wait_dscnt 0x0
	v_mul_hi_u32 v7, v1, s22
	s_delay_alu instid0(VALU_DEP_1) | instskip(NEXT) | instid1(VALU_DEP_1)
	v_mul_lo_u32 v8, v7, s16
	v_sub_nc_u32_e32 v1, v1, v8
	v_add_nc_u32_e32 v8, 1, v7
	s_delay_alu instid0(VALU_DEP_2) | instskip(SKIP_2) | instid1(VALU_DEP_1)
	v_subrev_nc_u32_e32 v22, s16, v1
	v_cmp_le_u32_e64 s4, s16, v1
	s_wait_alu 0xf1ff
	v_cndmask_b32_e64 v7, v7, v8, s4
	s_delay_alu instid0(VALU_DEP_3) | instskip(SKIP_1) | instid1(VALU_DEP_3)
	v_cndmask_b32_e64 v1, v1, v22, s4
	v_ashrrev_i32_e32 v8, 31, v17
	v_add_nc_u32_e32 v22, 1, v7
	s_delay_alu instid0(VALU_DEP_3) | instskip(NEXT) | instid1(VALU_DEP_3)
	v_cmp_le_u32_e64 s4, s16, v1
	v_xor_b32_e32 v8, s23, v8
	s_wait_alu 0xf1ff
	s_delay_alu instid0(VALU_DEP_2) | instskip(NEXT) | instid1(VALU_DEP_1)
	v_cndmask_b32_e64 v1, v7, v22, s4
	v_xor_b32_e32 v1, v1, v8
	s_delay_alu instid0(VALU_DEP_1) | instskip(NEXT) | instid1(VALU_DEP_1)
	v_sub_nc_u32_e32 v1, v1, v8
	v_add_nc_u32_e32 v7, s21, v1
	v_cmp_ge_i32_e64 s5, s31, v1
	s_delay_alu instid0(VALU_DEP_2) | instskip(NEXT) | instid1(VALU_DEP_1)
	v_sub_nc_u32_e32 v8, 0, v7
	v_max_i32_e32 v8, v7, v8
	v_ashrrev_i32_e32 v7, 31, v7
	s_delay_alu instid0(VALU_DEP_2) | instskip(NEXT) | instid1(VALU_DEP_1)
	v_mul_hi_u32 v22, v8, s41
	v_mul_lo_u32 v22, v22, s39
	s_delay_alu instid0(VALU_DEP_1) | instskip(NEXT) | instid1(VALU_DEP_1)
	v_sub_nc_u32_e32 v8, v8, v22
	v_subrev_nc_u32_e32 v22, s39, v8
	v_cmp_le_u32_e64 s4, s39, v8
	s_wait_alu 0xf1ff
	s_delay_alu instid0(VALU_DEP_1) | instskip(NEXT) | instid1(VALU_DEP_1)
	v_cndmask_b32_e64 v8, v8, v22, s4
	v_subrev_nc_u32_e32 v22, s39, v8
	v_cmp_le_u32_e64 s4, s39, v8
	s_wait_alu 0xf1ff
	s_delay_alu instid0(VALU_DEP_1) | instskip(NEXT) | instid1(VALU_DEP_1)
	v_cndmask_b32_e64 v8, v8, v22, s4
	v_xor_b32_e32 v8, v8, v7
	s_delay_alu instid0(VALU_DEP_1) | instskip(NEXT) | instid1(VALU_DEP_1)
	v_sub_nc_u32_e32 v7, v8, v7
	v_cmp_ne_u32_e64 s4, 0, v7
	s_and_b32 s4, s4, s5
	s_wait_alu 0xfffe
	s_and_saveexec_b32 s5, s4
	s_wait_alu 0xfffe
	s_xor_b32 s4, exec_lo, s5
	s_cbranch_execz .LBB243_17
; %bb.14:                               ;   in Loop: Header=BB243_13 Depth=1
	s_and_saveexec_b32 s5, s3
; %bb.15:                               ;   in Loop: Header=BB243_13 Depth=1
	ds_store_b32 v19, v20
; %bb.16:                               ;   in Loop: Header=BB243_13 Depth=1
	s_wait_alu 0xfffe
	s_or_b32 exec_lo, exec_lo, s5
.LBB243_17:                             ;   in Loop: Header=BB243_13 Depth=1
	s_wait_alu 0xfffe
	s_and_not1_saveexec_b32 s5, s4
	s_cbranch_execz .LBB243_12
; %bb.18:                               ;   in Loop: Header=BB243_13 Depth=1
	global_load_b32 v1, v[5:6], off
	s_wait_loadcnt 0x0
	v_mad_co_i64_i32 v[7:8], null, v1, s19, v[3:4]
	global_load_u16 v1, v[7:8], off
	s_wait_loadcnt 0x0
	v_dual_mov_b32 v23, 0 :: v_dual_and_b32 v24, 0xff, v1
	global_load_b32 v22, v23, s[8:9]
	v_and_b32_e32 v1, 0xffff, v1
	v_cmp_ne_u16_e64 s4, 0, v24
	v_mov_b32_e32 v24, 0
	s_and_saveexec_b32 s42, s4
	s_cbranch_execz .LBB243_26
; %bb.19:                               ;   in Loop: Header=BB243_13 Depth=1
	v_and_b32_e32 v24, 0xff, v1
	s_delay_alu instid0(VALU_DEP_1)
	v_cmp_ne_u16_e64 s4, 0x80, v24
	v_mov_b32_e32 v24, 0x8000
	s_and_saveexec_b32 s43, s4
	s_cbranch_execz .LBB243_25
; %bb.20:                               ;   in Loop: Header=BB243_13 Depth=1
	v_and_b32_e32 v26, 0x7f, v1
	v_mov_b32_e32 v24, 0x7c01
	s_mov_b32 s44, exec_lo
	s_delay_alu instid0(VALU_DEP_2)
	v_cmpx_ne_u32_e32 0x7f, v26
	s_cbranch_execz .LBB243_24
; %bb.21:                               ;   in Loop: Header=BB243_13 Depth=1
	v_and_b32_e32 v24, 7, v1
	v_lshrrev_b32_e32 v25, 3, v26
	s_mov_b32 s45, exec_lo
	v_cmpx_gt_u32_e32 8, v26
; %bb.22:                               ;   in Loop: Header=BB243_13 Depth=1
	s_delay_alu instid0(VALU_DEP_3) | instskip(NEXT) | instid1(VALU_DEP_1)
	v_clz_i32_u32_e32 v24, v24
	v_min_u32_e32 v26, 32, v24
	s_delay_alu instid0(VALU_DEP_1) | instskip(NEXT) | instid1(VALU_DEP_1)
	v_subrev_nc_u32_e32 v24, 28, v26
	v_lshlrev_b64_e32 v[24:25], v24, v[1:2]
	v_sub_nc_u32_e32 v25, 29, v26
	s_delay_alu instid0(VALU_DEP_2)
	v_and_b32_e32 v24, 7, v24
; %bb.23:                               ;   in Loop: Header=BB243_13 Depth=1
	s_or_b32 exec_lo, exec_lo, s45
	v_lshlrev_b32_e32 v26, 8, v1
	s_delay_alu instid0(VALU_DEP_3) | instskip(NEXT) | instid1(VALU_DEP_3)
	v_lshl_add_u32 v25, v25, 10, 0x2000
	v_lshlrev_b32_e32 v24, 7, v24
	s_delay_alu instid0(VALU_DEP_3) | instskip(NEXT) | instid1(VALU_DEP_3)
	v_and_b32_e32 v26, 0x8000, v26
	v_and_b32_e32 v25, 0xfc00, v25
	s_delay_alu instid0(VALU_DEP_1)
	v_or3_b32 v24, v26, v25, v24
.LBB243_24:                             ;   in Loop: Header=BB243_13 Depth=1
	s_or_b32 exec_lo, exec_lo, s44
.LBB243_25:                             ;   in Loop: Header=BB243_13 Depth=1
	s_wait_alu 0xfffe
	s_or_b32 exec_lo, exec_lo, s43
.LBB243_26:                             ;   in Loop: Header=BB243_13 Depth=1
	s_wait_alu 0xfffe
	s_or_b32 exec_lo, exec_lo, s42
	v_lshrrev_b16 v1, 8, v1
	s_mov_b32 s42, exec_lo
	s_delay_alu instid0(VALU_DEP_1)
	v_cmpx_ne_u16_e32 0, v1
	s_cbranch_execz .LBB243_34
; %bb.27:                               ;   in Loop: Header=BB243_13 Depth=1
	v_bfrev_b32_e32 v23, 1
	s_mov_b32 s43, exec_lo
	v_cmpx_ne_u16_e32 0x80, v1
	s_cbranch_execz .LBB243_33
; %bb.28:                               ;   in Loop: Header=BB243_13 Depth=1
	v_and_b32_e32 v25, 0xffff, v1
	v_mov_b32_e32 v23, 0x7c010000
	s_mov_b32 s44, exec_lo
	s_delay_alu instid0(VALU_DEP_2) | instskip(NEXT) | instid1(VALU_DEP_1)
	v_and_b32_e32 v27, 0x7f, v25
	v_cmpx_ne_u32_e32 0x7f, v27
	s_cbranch_execz .LBB243_32
; %bb.29:                               ;   in Loop: Header=BB243_13 Depth=1
	v_and_b32_e32 v23, 7, v25
	v_lshrrev_b32_e32 v26, 3, v27
	s_mov_b32 s45, exec_lo
	v_cmpx_gt_u32_e32 8, v27
; %bb.30:                               ;   in Loop: Header=BB243_13 Depth=1
	s_delay_alu instid0(VALU_DEP_3) | instskip(NEXT) | instid1(VALU_DEP_1)
	v_clz_i32_u32_e32 v23, v23
	v_min_u32_e32 v23, 32, v23
	s_delay_alu instid0(VALU_DEP_1) | instskip(NEXT) | instid1(VALU_DEP_1)
	v_subrev_nc_u32_e32 v26, 28, v23
	v_lshlrev_b64_e32 v[27:28], v26, v[1:2]
	v_sub_nc_u32_e32 v26, 29, v23
	s_delay_alu instid0(VALU_DEP_2)
	v_and_b32_e32 v23, 7, v27
; %bb.31:                               ;   in Loop: Header=BB243_13 Depth=1
	s_or_b32 exec_lo, exec_lo, s45
	v_lshlrev_b32_e32 v1, 8, v25
	s_delay_alu instid0(VALU_DEP_3) | instskip(NEXT) | instid1(VALU_DEP_3)
	v_lshl_add_u32 v25, v26, 10, 0x2000
	v_lshlrev_b32_e32 v23, 23, v23
	s_delay_alu instid0(VALU_DEP_2) | instskip(NEXT) | instid1(VALU_DEP_1)
	v_and_or_b32 v1, 0x8000, v1, v25
	v_lshl_or_b32 v23, v1, 16, v23
.LBB243_32:                             ;   in Loop: Header=BB243_13 Depth=1
	s_or_b32 exec_lo, exec_lo, s44
.LBB243_33:                             ;   in Loop: Header=BB243_13 Depth=1
	s_wait_alu 0xfffe
	s_or_b32 exec_lo, exec_lo, s43
.LBB243_34:                             ;   in Loop: Header=BB243_13 Depth=1
	s_wait_alu 0xfffe
	s_or_b32 exec_lo, exec_lo, s42
	global_load_u16 v1, v[7:8], off offset:8
	s_wait_loadcnt 0x0
	v_dual_mov_b32 v25, 0 :: v_dual_and_b32 v26, 0xff, v1
	v_and_b32_e32 v1, 0xffff, v1
	s_delay_alu instid0(VALU_DEP_2)
	v_cmp_ne_u16_e64 s4, 0, v26
	v_mov_b32_e32 v26, 0
	s_and_saveexec_b32 s42, s4
	s_cbranch_execz .LBB243_42
; %bb.35:                               ;   in Loop: Header=BB243_13 Depth=1
	v_and_b32_e32 v26, 0xff, v1
	s_delay_alu instid0(VALU_DEP_1)
	v_cmp_ne_u16_e64 s4, 0x80, v26
	v_mov_b32_e32 v26, 0x8000
	s_and_saveexec_b32 s43, s4
	s_cbranch_execz .LBB243_41
; %bb.36:                               ;   in Loop: Header=BB243_13 Depth=1
	v_and_b32_e32 v28, 0x7f, v1
	v_mov_b32_e32 v26, 0x7c01
	s_mov_b32 s44, exec_lo
	s_delay_alu instid0(VALU_DEP_2)
	v_cmpx_ne_u32_e32 0x7f, v28
	s_cbranch_execz .LBB243_40
; %bb.37:                               ;   in Loop: Header=BB243_13 Depth=1
	v_and_b32_e32 v26, 7, v1
	v_lshrrev_b32_e32 v27, 3, v28
	s_mov_b32 s45, exec_lo
	v_cmpx_gt_u32_e32 8, v28
; %bb.38:                               ;   in Loop: Header=BB243_13 Depth=1
	s_delay_alu instid0(VALU_DEP_3) | instskip(NEXT) | instid1(VALU_DEP_1)
	v_clz_i32_u32_e32 v26, v26
	v_min_u32_e32 v28, 32, v26
	s_delay_alu instid0(VALU_DEP_1) | instskip(NEXT) | instid1(VALU_DEP_1)
	v_subrev_nc_u32_e32 v26, 28, v28
	v_lshlrev_b64_e32 v[26:27], v26, v[1:2]
	v_sub_nc_u32_e32 v27, 29, v28
	s_delay_alu instid0(VALU_DEP_2)
	v_and_b32_e32 v26, 7, v26
; %bb.39:                               ;   in Loop: Header=BB243_13 Depth=1
	s_or_b32 exec_lo, exec_lo, s45
	v_lshlrev_b32_e32 v28, 8, v1
	s_delay_alu instid0(VALU_DEP_3) | instskip(NEXT) | instid1(VALU_DEP_3)
	v_lshl_add_u32 v27, v27, 10, 0x2000
	v_lshlrev_b32_e32 v26, 7, v26
	s_delay_alu instid0(VALU_DEP_3) | instskip(NEXT) | instid1(VALU_DEP_3)
	v_and_b32_e32 v28, 0x8000, v28
	v_and_b32_e32 v27, 0xfc00, v27
	s_delay_alu instid0(VALU_DEP_1)
	v_or3_b32 v26, v28, v27, v26
.LBB243_40:                             ;   in Loop: Header=BB243_13 Depth=1
	s_or_b32 exec_lo, exec_lo, s44
.LBB243_41:                             ;   in Loop: Header=BB243_13 Depth=1
	s_wait_alu 0xfffe
	s_or_b32 exec_lo, exec_lo, s43
.LBB243_42:                             ;   in Loop: Header=BB243_13 Depth=1
	s_wait_alu 0xfffe
	s_or_b32 exec_lo, exec_lo, s42
	v_lshrrev_b16 v1, 8, v1
	s_mov_b32 s42, exec_lo
	s_delay_alu instid0(VALU_DEP_1)
	v_cmpx_ne_u16_e32 0, v1
	s_cbranch_execz .LBB243_50
; %bb.43:                               ;   in Loop: Header=BB243_13 Depth=1
	v_bfrev_b32_e32 v25, 1
	s_mov_b32 s43, exec_lo
	v_cmpx_ne_u16_e32 0x80, v1
	s_cbranch_execz .LBB243_49
; %bb.44:                               ;   in Loop: Header=BB243_13 Depth=1
	v_and_b32_e32 v27, 0xffff, v1
	v_mov_b32_e32 v25, 0x7c010000
	s_mov_b32 s44, exec_lo
	s_delay_alu instid0(VALU_DEP_2) | instskip(NEXT) | instid1(VALU_DEP_1)
	v_and_b32_e32 v29, 0x7f, v27
	v_cmpx_ne_u32_e32 0x7f, v29
	s_cbranch_execz .LBB243_48
; %bb.45:                               ;   in Loop: Header=BB243_13 Depth=1
	v_and_b32_e32 v25, 7, v27
	v_lshrrev_b32_e32 v28, 3, v29
	s_mov_b32 s45, exec_lo
	v_cmpx_gt_u32_e32 8, v29
; %bb.46:                               ;   in Loop: Header=BB243_13 Depth=1
	s_delay_alu instid0(VALU_DEP_3) | instskip(NEXT) | instid1(VALU_DEP_1)
	v_clz_i32_u32_e32 v25, v25
	v_min_u32_e32 v25, 32, v25
	s_delay_alu instid0(VALU_DEP_1) | instskip(NEXT) | instid1(VALU_DEP_1)
	v_subrev_nc_u32_e32 v28, 28, v25
	v_lshlrev_b64_e32 v[29:30], v28, v[1:2]
	v_sub_nc_u32_e32 v28, 29, v25
	s_delay_alu instid0(VALU_DEP_2)
	v_and_b32_e32 v25, 7, v29
; %bb.47:                               ;   in Loop: Header=BB243_13 Depth=1
	s_or_b32 exec_lo, exec_lo, s45
	v_lshlrev_b32_e32 v1, 8, v27
	s_delay_alu instid0(VALU_DEP_3) | instskip(NEXT) | instid1(VALU_DEP_3)
	v_lshl_add_u32 v27, v28, 10, 0x2000
	v_lshlrev_b32_e32 v25, 23, v25
	s_delay_alu instid0(VALU_DEP_2) | instskip(NEXT) | instid1(VALU_DEP_1)
	v_and_or_b32 v1, 0x8000, v1, v27
	v_lshl_or_b32 v25, v1, 16, v25
.LBB243_48:                             ;   in Loop: Header=BB243_13 Depth=1
	s_or_b32 exec_lo, exec_lo, s44
.LBB243_49:                             ;   in Loop: Header=BB243_13 Depth=1
	s_wait_alu 0xfffe
	s_or_b32 exec_lo, exec_lo, s43
.LBB243_50:                             ;   in Loop: Header=BB243_13 Depth=1
	s_wait_alu 0xfffe
	s_or_b32 exec_lo, exec_lo, s42
	global_load_u16 v1, v[7:8], off offset:128
	s_wait_loadcnt 0x0
	v_dual_mov_b32 v27, 0 :: v_dual_and_b32 v28, 0xff, v1
	v_and_b32_e32 v1, 0xffff, v1
	s_delay_alu instid0(VALU_DEP_2)
	v_cmp_ne_u16_e64 s4, 0, v28
	v_mov_b32_e32 v28, 0
	s_and_saveexec_b32 s42, s4
	s_cbranch_execz .LBB243_58
; %bb.51:                               ;   in Loop: Header=BB243_13 Depth=1
	v_and_b32_e32 v28, 0xff, v1
	s_delay_alu instid0(VALU_DEP_1)
	v_cmp_ne_u16_e64 s4, 0x80, v28
	v_mov_b32_e32 v28, 0x8000
	s_and_saveexec_b32 s43, s4
	s_cbranch_execz .LBB243_57
; %bb.52:                               ;   in Loop: Header=BB243_13 Depth=1
	v_and_b32_e32 v30, 0x7f, v1
	v_mov_b32_e32 v28, 0x7c01
	s_mov_b32 s44, exec_lo
	s_delay_alu instid0(VALU_DEP_2)
	v_cmpx_ne_u32_e32 0x7f, v30
	s_cbranch_execz .LBB243_56
; %bb.53:                               ;   in Loop: Header=BB243_13 Depth=1
	v_and_b32_e32 v28, 7, v1
	v_lshrrev_b32_e32 v29, 3, v30
	s_mov_b32 s45, exec_lo
	v_cmpx_gt_u32_e32 8, v30
; %bb.54:                               ;   in Loop: Header=BB243_13 Depth=1
	s_delay_alu instid0(VALU_DEP_3) | instskip(NEXT) | instid1(VALU_DEP_1)
	v_clz_i32_u32_e32 v28, v28
	v_min_u32_e32 v30, 32, v28
	s_delay_alu instid0(VALU_DEP_1) | instskip(NEXT) | instid1(VALU_DEP_1)
	v_subrev_nc_u32_e32 v28, 28, v30
	v_lshlrev_b64_e32 v[28:29], v28, v[1:2]
	v_sub_nc_u32_e32 v29, 29, v30
	s_delay_alu instid0(VALU_DEP_2)
	v_and_b32_e32 v28, 7, v28
; %bb.55:                               ;   in Loop: Header=BB243_13 Depth=1
	s_or_b32 exec_lo, exec_lo, s45
	v_lshlrev_b32_e32 v30, 8, v1
	s_delay_alu instid0(VALU_DEP_3) | instskip(NEXT) | instid1(VALU_DEP_3)
	v_lshl_add_u32 v29, v29, 10, 0x2000
	v_lshlrev_b32_e32 v28, 7, v28
	s_delay_alu instid0(VALU_DEP_3) | instskip(NEXT) | instid1(VALU_DEP_3)
	v_and_b32_e32 v30, 0x8000, v30
	v_and_b32_e32 v29, 0xfc00, v29
	s_delay_alu instid0(VALU_DEP_1)
	v_or3_b32 v28, v30, v29, v28
.LBB243_56:                             ;   in Loop: Header=BB243_13 Depth=1
	s_or_b32 exec_lo, exec_lo, s44
.LBB243_57:                             ;   in Loop: Header=BB243_13 Depth=1
	s_wait_alu 0xfffe
	s_or_b32 exec_lo, exec_lo, s43
.LBB243_58:                             ;   in Loop: Header=BB243_13 Depth=1
	s_wait_alu 0xfffe
	s_or_b32 exec_lo, exec_lo, s42
	v_lshrrev_b16 v1, 8, v1
	s_mov_b32 s42, exec_lo
	s_delay_alu instid0(VALU_DEP_1)
	v_cmpx_ne_u16_e32 0, v1
	s_cbranch_execz .LBB243_66
; %bb.59:                               ;   in Loop: Header=BB243_13 Depth=1
	v_bfrev_b32_e32 v27, 1
	s_mov_b32 s43, exec_lo
	v_cmpx_ne_u16_e32 0x80, v1
	s_cbranch_execz .LBB243_65
; %bb.60:                               ;   in Loop: Header=BB243_13 Depth=1
	v_and_b32_e32 v29, 0xffff, v1
	v_mov_b32_e32 v27, 0x7c010000
	s_mov_b32 s44, exec_lo
	s_delay_alu instid0(VALU_DEP_2) | instskip(NEXT) | instid1(VALU_DEP_1)
	v_and_b32_e32 v31, 0x7f, v29
	v_cmpx_ne_u32_e32 0x7f, v31
	s_cbranch_execz .LBB243_64
; %bb.61:                               ;   in Loop: Header=BB243_13 Depth=1
	v_and_b32_e32 v27, 7, v29
	v_lshrrev_b32_e32 v30, 3, v31
	s_mov_b32 s45, exec_lo
	v_cmpx_gt_u32_e32 8, v31
; %bb.62:                               ;   in Loop: Header=BB243_13 Depth=1
	s_delay_alu instid0(VALU_DEP_3) | instskip(NEXT) | instid1(VALU_DEP_1)
	v_clz_i32_u32_e32 v27, v27
	v_min_u32_e32 v27, 32, v27
	s_delay_alu instid0(VALU_DEP_1) | instskip(NEXT) | instid1(VALU_DEP_1)
	v_subrev_nc_u32_e32 v30, 28, v27
	v_lshlrev_b64_e32 v[31:32], v30, v[1:2]
	v_sub_nc_u32_e32 v30, 29, v27
	s_delay_alu instid0(VALU_DEP_2)
	v_and_b32_e32 v27, 7, v31
; %bb.63:                               ;   in Loop: Header=BB243_13 Depth=1
	s_or_b32 exec_lo, exec_lo, s45
	v_lshlrev_b32_e32 v1, 8, v29
	s_delay_alu instid0(VALU_DEP_3) | instskip(NEXT) | instid1(VALU_DEP_3)
	v_lshl_add_u32 v29, v30, 10, 0x2000
	v_lshlrev_b32_e32 v27, 23, v27
	s_delay_alu instid0(VALU_DEP_2) | instskip(NEXT) | instid1(VALU_DEP_1)
	v_and_or_b32 v1, 0x8000, v1, v29
	v_lshl_or_b32 v27, v1, 16, v27
.LBB243_64:                             ;   in Loop: Header=BB243_13 Depth=1
	s_or_b32 exec_lo, exec_lo, s44
.LBB243_65:                             ;   in Loop: Header=BB243_13 Depth=1
	s_wait_alu 0xfffe
	s_or_b32 exec_lo, exec_lo, s43
.LBB243_66:                             ;   in Loop: Header=BB243_13 Depth=1
	s_wait_alu 0xfffe
	s_or_b32 exec_lo, exec_lo, s42
	global_load_u16 v1, v[7:8], off offset:136
	s_wait_loadcnt 0x0
	v_dual_mov_b32 v7, 0 :: v_dual_and_b32 v8, 0xff, v1
	v_and_b32_e32 v1, 0xffff, v1
	s_delay_alu instid0(VALU_DEP_2)
	v_cmp_ne_u16_e64 s4, 0, v8
	v_mov_b32_e32 v8, 0
	s_and_saveexec_b32 s42, s4
	s_cbranch_execz .LBB243_74
; %bb.67:                               ;   in Loop: Header=BB243_13 Depth=1
	v_and_b32_e32 v8, 0xff, v1
	s_delay_alu instid0(VALU_DEP_1)
	v_cmp_ne_u16_e64 s4, 0x80, v8
	v_mov_b32_e32 v8, 0x8000
	s_and_saveexec_b32 s43, s4
	s_cbranch_execz .LBB243_73
; %bb.68:                               ;   in Loop: Header=BB243_13 Depth=1
	v_and_b32_e32 v30, 0x7f, v1
	v_mov_b32_e32 v8, 0x7c01
	s_mov_b32 s44, exec_lo
	s_delay_alu instid0(VALU_DEP_2)
	v_cmpx_ne_u32_e32 0x7f, v30
	s_cbranch_execz .LBB243_72
; %bb.69:                               ;   in Loop: Header=BB243_13 Depth=1
	v_and_b32_e32 v8, 7, v1
	v_lshrrev_b32_e32 v29, 3, v30
	s_mov_b32 s45, exec_lo
	v_cmpx_gt_u32_e32 8, v30
; %bb.70:                               ;   in Loop: Header=BB243_13 Depth=1
	s_delay_alu instid0(VALU_DEP_3) | instskip(NEXT) | instid1(VALU_DEP_1)
	v_clz_i32_u32_e32 v8, v8
	v_min_u32_e32 v8, 32, v8
	s_delay_alu instid0(VALU_DEP_1) | instskip(NEXT) | instid1(VALU_DEP_1)
	v_subrev_nc_u32_e32 v29, 28, v8
	v_lshlrev_b64_e32 v[30:31], v29, v[1:2]
	v_sub_nc_u32_e32 v29, 29, v8
	s_delay_alu instid0(VALU_DEP_2)
	v_and_b32_e32 v8, 7, v30
; %bb.71:                               ;   in Loop: Header=BB243_13 Depth=1
	s_or_b32 exec_lo, exec_lo, s45
	v_lshlrev_b32_e32 v30, 8, v1
	s_delay_alu instid0(VALU_DEP_3) | instskip(NEXT) | instid1(VALU_DEP_3)
	v_lshl_add_u32 v29, v29, 10, 0x2000
	v_lshlrev_b32_e32 v8, 7, v8
	s_delay_alu instid0(VALU_DEP_3) | instskip(NEXT) | instid1(VALU_DEP_3)
	v_and_b32_e32 v30, 0x8000, v30
	v_and_b32_e32 v29, 0xfc00, v29
	s_delay_alu instid0(VALU_DEP_1)
	v_or3_b32 v8, v30, v29, v8
.LBB243_72:                             ;   in Loop: Header=BB243_13 Depth=1
	s_or_b32 exec_lo, exec_lo, s44
.LBB243_73:                             ;   in Loop: Header=BB243_13 Depth=1
	s_wait_alu 0xfffe
	s_or_b32 exec_lo, exec_lo, s43
.LBB243_74:                             ;   in Loop: Header=BB243_13 Depth=1
	s_wait_alu 0xfffe
	s_or_b32 exec_lo, exec_lo, s42
	v_lshrrev_b16 v1, 8, v1
	s_mov_b32 s42, exec_lo
	s_delay_alu instid0(VALU_DEP_1)
	v_cmpx_ne_u16_e32 0, v1
	s_cbranch_execz .LBB243_82
; %bb.75:                               ;   in Loop: Header=BB243_13 Depth=1
	v_bfrev_b32_e32 v7, 1
	s_mov_b32 s43, exec_lo
	v_cmpx_ne_u16_e32 0x80, v1
	s_cbranch_execz .LBB243_81
; %bb.76:                               ;   in Loop: Header=BB243_13 Depth=1
	v_and_b32_e32 v29, 0xffff, v1
	v_mov_b32_e32 v7, 0x7c010000
	s_mov_b32 s44, exec_lo
	s_delay_alu instid0(VALU_DEP_2) | instskip(NEXT) | instid1(VALU_DEP_1)
	v_and_b32_e32 v31, 0x7f, v29
	v_cmpx_ne_u32_e32 0x7f, v31
	s_cbranch_execz .LBB243_80
; %bb.77:                               ;   in Loop: Header=BB243_13 Depth=1
	v_and_b32_e32 v7, 7, v29
	v_lshrrev_b32_e32 v30, 3, v31
	s_mov_b32 s45, exec_lo
	v_cmpx_gt_u32_e32 8, v31
; %bb.78:                               ;   in Loop: Header=BB243_13 Depth=1
	s_delay_alu instid0(VALU_DEP_3) | instskip(NEXT) | instid1(VALU_DEP_1)
	v_clz_i32_u32_e32 v7, v7
	v_min_u32_e32 v7, 32, v7
	s_delay_alu instid0(VALU_DEP_1) | instskip(NEXT) | instid1(VALU_DEP_1)
	v_subrev_nc_u32_e32 v30, 28, v7
	v_lshlrev_b64_e32 v[31:32], v30, v[1:2]
	v_sub_nc_u32_e32 v30, 29, v7
	s_delay_alu instid0(VALU_DEP_2)
	v_and_b32_e32 v7, 7, v31
; %bb.79:                               ;   in Loop: Header=BB243_13 Depth=1
	s_or_b32 exec_lo, exec_lo, s45
	v_lshlrev_b32_e32 v1, 8, v29
	s_delay_alu instid0(VALU_DEP_3) | instskip(NEXT) | instid1(VALU_DEP_3)
	v_lshl_add_u32 v29, v30, 10, 0x2000
	v_lshlrev_b32_e32 v7, 23, v7
	s_delay_alu instid0(VALU_DEP_2) | instskip(NEXT) | instid1(VALU_DEP_1)
	v_and_or_b32 v1, 0x8000, v1, v29
	v_lshl_or_b32 v7, v1, 16, v7
.LBB243_80:                             ;   in Loop: Header=BB243_13 Depth=1
	s_or_b32 exec_lo, exec_lo, s44
.LBB243_81:                             ;   in Loop: Header=BB243_13 Depth=1
	s_wait_alu 0xfffe
	s_or_b32 exec_lo, exec_lo, s43
.LBB243_82:                             ;   in Loop: Header=BB243_13 Depth=1
	s_wait_alu 0xfffe
	s_or_b32 exec_lo, exec_lo, s42
	ds_load_b32 v1, v16
	v_or_b32_e32 v24, v23, v24
	v_fma_mixlo_f16 v23, v22, v23, 0 op_sel:[0,1,0] op_sel_hi:[0,1,0]
	v_or_b32_e32 v26, v25, v26
	v_fma_mixlo_f16 v25, v22, v25, 0 op_sel:[0,1,0] op_sel_hi:[0,1,0]
	v_or_b32_e32 v28, v27, v28
	v_fma_mixlo_f16 v24, v22, v24, 0 op_sel_hi:[0,1,0]
	v_or_b32_e32 v8, v7, v8
	v_fma_mixlo_f16 v26, v22, v26, 0 op_sel_hi:[0,1,0]
	v_and_b32_e32 v33, 0xffff, v25
	v_fma_mixlo_f16 v28, v22, v28, 0 op_sel_hi:[0,1,0]
	v_and_b32_e32 v24, 0xffff, v24
	v_fma_mixlo_f16 v27, v22, v27, 0 op_sel:[0,1,0] op_sel_hi:[0,1,0]
	v_fma_mixlo_f16 v7, v22, v7, 0 op_sel:[0,1,0] op_sel_hi:[0,1,0]
	v_fma_mixlo_f16 v8, v22, v8, 0 op_sel_hi:[0,1,0]
	s_delay_alu instid0(VALU_DEP_3)
	v_and_b32_e32 v35, 0xffff, v27
	s_wait_dscnt 0x0
	v_and_b32_e32 v29, 0xffff, v1
	v_lshrrev_b32_e32 v30, 16, v1
	;;#ASMSTART
	v_cvt_f32_f16 v1, v29;
	;;#ASMEND
	v_and_b32_e32 v31, 0xffff, v23
	;;#ASMSTART
	v_cvt_f32_f16 v23, v30;
	;;#ASMEND
	;;#ASMSTART
	v_cvt_f32_f16 v24, v24;
	;;#ASMEND
	;; [unrolled: 3-line block ×3, first 2 shown]
	ds_load_b32 v30, v16 offset:4
	v_and_b32_e32 v32, 0xffff, v26
	s_wait_dscnt 0x0
	v_and_b32_e32 v31, 0xffff, v30
	v_lshrrev_b32_e32 v30, 16, v30
	;;#ASMSTART
	v_cvt_f32_f16 v25, v31;
	;;#ASMEND
	;;#ASMSTART
	v_cvt_f32_f16 v26, v30;
	;;#ASMEND
	;; [unrolled: 3-line block ×4, first 2 shown]
	ds_load_b32 v32, v16 offset:8
	v_dual_mul_f32 v22, v25, v30 :: v_dual_mul_f32 v25, v26, v31
	s_delay_alu instid0(VALU_DEP_1)
	v_dual_fmac_f32 v22, v1, v24 :: v_dual_fmac_f32 v25, v23, v29
	v_and_b32_e32 v34, 0xffff, v28
	v_and_b32_e32 v24, 0xffff, v8
	s_wait_dscnt 0x0
	v_and_b32_e32 v33, 0xffff, v32
	v_lshrrev_b32_e32 v32, 16, v32
	;;#ASMSTART
	v_cvt_f32_f16 v27, v33;
	;;#ASMEND
	;;#ASMSTART
	v_cvt_f32_f16 v28, v32;
	;;#ASMEND
	;; [unrolled: 3-line block ×4, first 2 shown]
	ds_load_b32 v34, v16 offset:12
	v_xor_b32_e32 v35, 2, v14
	v_dual_fmac_f32 v22, v27, v32 :: v_dual_fmac_f32 v25, v28, v33
	s_delay_alu instid0(VALU_DEP_2)
	v_cmp_gt_i32_e64 s4, 32, v35
	s_wait_dscnt 0x0
	v_and_b32_e32 v1, 0xffff, v34
	v_lshrrev_b32_e32 v23, 16, v34
	;;#ASMSTART
	v_cvt_f32_f16 v1, v1;
	;;#ASMEND
	;;#ASMSTART
	v_cvt_f32_f16 v8, v23;
	;;#ASMEND
	v_and_b32_e32 v26, 0xffff, v7
	s_wait_alu 0xf1ff
	v_cndmask_b32_e64 v7, v14, v35, s4
	;;#ASMSTART
	v_cvt_f32_f16 v23, v24;
	;;#ASMEND
	;;#ASMSTART
	v_cvt_f32_f16 v24, v26;
	;;#ASMEND
	v_dual_fmac_f32 v22, v1, v23 :: v_dual_fmac_f32 v25, v8, v24
	s_delay_alu instid0(VALU_DEP_2) | instskip(SKIP_1) | instid1(VALU_DEP_3)
	v_lshlrev_b32_e32 v1, 2, v7
	v_xor_b32_e32 v8, 1, v14
	v_add_f32_e32 v7, v22, v25
	s_delay_alu instid0(VALU_DEP_2)
	v_cmp_gt_i32_e64 s4, 32, v8
	ds_bpermute_b32 v1, v1, v7
	s_wait_alu 0xf1ff
	v_cndmask_b32_e64 v8, v14, v8, s4
	s_wait_dscnt 0x0
	v_add_f32_e32 v1, v7, v1
	s_delay_alu instid0(VALU_DEP_2)
	v_lshlrev_b32_e32 v7, 2, v8
	ds_bpermute_b32 v7, v7, v1
	s_and_saveexec_b32 s42, s3
	s_cbranch_execz .LBB243_11
; %bb.83:                               ;   in Loop: Header=BB243_13 Depth=1
	s_wait_dscnt 0x0
	v_dual_add_f32 v1, v1, v7 :: v_dual_add_nc_u32 v8, v18, v17
	s_delay_alu instid0(VALU_DEP_1) | instskip(NEXT) | instid1(VALU_DEP_1)
	v_cvt_f32_i32_e32 v8, v8
	v_mul_f32_e32 v8, s30, v8
	s_delay_alu instid0(VALU_DEP_1) | instskip(NEXT) | instid1(VALU_DEP_1)
	v_dual_cndmask_b32 v7, 0, v8 :: v_dual_max_num_f32 v8, v15, v15
	v_fmac_f32_e32 v7, s7, v1
	v_add_nc_u32_e32 v1, v12, v17
	s_delay_alu instid0(VALU_DEP_2) | instskip(NEXT) | instid1(VALU_DEP_2)
	v_max_num_f32_e32 v8, v8, v7
	v_cmp_gt_i32_e64 s4, s33, v1
	s_wait_alu 0xf1ff
	s_delay_alu instid0(VALU_DEP_1) | instskip(NEXT) | instid1(VALU_DEP_3)
	v_cndmask_b32_e64 v1, 0, v7, s4
	v_cndmask_b32_e64 v15, v15, v8, s4
	ds_store_b32 v19, v1
	s_branch .LBB243_11
.LBB243_84:
	s_or_b32 exec_lo, exec_lo, s40
.LBB243_85:
	s_delay_alu instid0(SALU_CYCLE_1)
	s_or_b32 exec_lo, exec_lo, s6
	v_xor_b32_e32 v1, 16, v14
	v_xor_b32_e32 v3, 8, v14
	s_clause 0x2
	s_load_b128 s[4:7], s[0:1], 0x0
	s_load_b64 s[8:9], s[0:1], 0x10
	s_load_b64 s[30:31], s[0:1], 0x28
	v_dual_max_num_f32 v5, v15, v15 :: v_dual_and_b32 v12, 31, v0
	v_cmp_gt_i32_e32 vcc_lo, 32, v1
	s_wait_alu 0xfffd
	v_cndmask_b32_e32 v1, v14, v1, vcc_lo
	v_cmp_gt_i32_e32 vcc_lo, 32, v3
	s_wait_alu 0xfffd
	v_cndmask_b32_e32 v3, v14, v3, vcc_lo
	s_delay_alu instid0(VALU_DEP_1) | instskip(SKIP_4) | instid1(VALU_DEP_1)
	v_lshlrev_b32_e32 v4, 2, v3
	v_lshlrev_b32_e32 v2, 2, v1
	ds_bpermute_b32 v1, v2, v15
	s_wait_dscnt 0x0
	v_max_num_f32_e32 v1, v1, v1
	v_max_num_f32_e32 v1, v5, v1
	v_xor_b32_e32 v5, 4, v14
	ds_bpermute_b32 v3, v4, v1
	v_cmp_gt_i32_e32 vcc_lo, 32, v5
	s_wait_alu 0xfffd
	v_cndmask_b32_e32 v5, v14, v5, vcc_lo
	v_cmp_eq_u32_e32 vcc_lo, 0, v12
	s_delay_alu instid0(VALU_DEP_2) | instskip(SKIP_3) | instid1(VALU_DEP_1)
	v_lshlrev_b32_e32 v7, 2, v5
	v_lshlrev_b32_e32 v5, 2, v9
	s_wait_dscnt 0x0
	v_max_num_f32_e32 v3, v3, v3
	v_max_num_f32_e32 v1, v1, v3
	ds_bpermute_b32 v3, v7, v1
	s_and_saveexec_b32 s0, vcc_lo
	s_cbranch_execz .LBB243_87
; %bb.86:
	s_wait_dscnt 0x0
	v_max_num_f32_e32 v3, v3, v3
	v_max_num_f32_e32 v1, v1, v1
	s_delay_alu instid0(VALU_DEP_1)
	v_max_num_f32_e32 v1, v1, v3
	ds_store_b32 v5, v1 offset:64
.LBB243_87:
	s_or_b32 exec_lo, exec_lo, s0
	v_cmp_gt_u32_e64 s0, 4, v12
	v_dual_mov_b32 v1, 0xff7fffff :: v_dual_lshlrev_b32 v6, 2, v12
	s_wait_loadcnt_dscnt 0x0
	s_barrier_signal -1
	s_barrier_wait -1
	global_inv scope:SCOPE_SE
	s_and_saveexec_b32 s1, s0
; %bb.88:
	ds_load_b32 v1, v6 offset:64
; %bb.89:
	s_or_b32 exec_lo, exec_lo, s1
	v_xor_b32_e32 v3, 2, v14
	v_xor_b32_e32 v15, 1, v14
	s_delay_alu instid0(VALU_DEP_2) | instskip(NEXT) | instid1(VALU_DEP_1)
	v_cmp_gt_i32_e64 s1, 32, v3
	v_cndmask_b32_e64 v3, v14, v3, s1
	s_delay_alu instid0(VALU_DEP_3) | instskip(NEXT) | instid1(VALU_DEP_2)
	v_cmp_gt_i32_e64 s1, 32, v15
	v_lshlrev_b32_e32 v8, 2, v3
	s_wait_alu 0xf1ff
	s_delay_alu instid0(VALU_DEP_2)
	v_cndmask_b32_e64 v14, v14, v15, s1
	v_mov_b32_e32 v15, 0
	s_sub_co_i32 s1, s34, s12
	s_wait_alu 0xfffe
	s_lshl_b32 s1, s1, 3
	s_wait_dscnt 0x0
	ds_bpermute_b32 v3, v8, v1
	v_max_num_f32_e32 v1, v1, v1
	s_wait_alu 0xfffe
	s_add_co_i32 s1, s1, s36
	v_lshlrev_b32_e32 v14, 2, v14
	s_wait_alu 0xfffe
	s_min_i32 s1, s1, s33
	s_wait_alu 0xfffe
	s_sub_co_i32 s19, s1, s36
	s_wait_alu 0xfffe
	v_cmp_gt_i32_e64 s1, s19, v0
	s_wait_dscnt 0x0
	v_max_num_f32_e32 v3, v3, v3
	s_delay_alu instid0(VALU_DEP_1) | instskip(SKIP_3) | instid1(VALU_DEP_1)
	v_max_num_f32_e32 v1, v1, v3
	ds_bpermute_b32 v3, v14, v1
	s_wait_dscnt 0x0
	v_max_num_f32_e32 v3, v3, v3
	v_max_num_f32_e32 v1, v1, v3
	v_lshl_add_u32 v3, v0, 2, 0x60
	ds_bpermute_b32 v1, v15, v1
	s_and_saveexec_b32 s36, s1
	s_cbranch_execz .LBB243_93
; %bb.90:
	v_lshl_add_u32 v16, v0, 2, 0x60
	v_mov_b32_e32 v15, 0
	v_mov_b32_e32 v17, v0
	s_mov_b32 s39, 0
.LBB243_91:                             ; =>This Inner Loop Header: Depth=1
	ds_load_b32 v18, v16
	v_add_nc_u32_e32 v17, 0x80, v17
	s_delay_alu instid0(VALU_DEP_1) | instskip(SKIP_4) | instid1(VALU_DEP_1)
	v_cmp_le_i32_e64 s3, s19, v17
	s_wait_alu 0xfffe
	s_or_b32 s39, s3, s39
	s_wait_dscnt 0x0
	v_sub_f32_e32 v18, v18, v1
	v_mul_f32_e32 v18, 0x3fb8aa3b, v18
	s_delay_alu instid0(VALU_DEP_1)
	v_exp_f32_e32 v18, v18
	ds_store_b32 v16, v18
	v_dual_add_f32 v15, v15, v18 :: v_dual_add_nc_u32 v16, 0x200, v16
	s_wait_alu 0xfffe
	s_and_not1_b32 exec_lo, exec_lo, s39
	s_cbranch_execnz .LBB243_91
; %bb.92:
	s_or_b32 exec_lo, exec_lo, s39
.LBB243_93:
	s_wait_alu 0xfffe
	s_or_b32 exec_lo, exec_lo, s36
	ds_bpermute_b32 v2, v2, v15
	s_wait_dscnt 0x0
	v_add_f32_e32 v2, v15, v2
	ds_bpermute_b32 v4, v4, v2
	s_wait_dscnt 0x0
	v_add_f32_e32 v2, v2, v4
	;; [unrolled: 3-line block ×5, first 2 shown]
	s_and_saveexec_b32 s3, vcc_lo
; %bb.94:
	ds_store_b32 v5, v2 offset:80
; %bb.95:
	s_wait_alu 0xfffe
	s_or_b32 exec_lo, exec_lo, s3
	s_wait_loadcnt_dscnt 0x0
	s_barrier_signal -1
	s_barrier_wait -1
	global_inv scope:SCOPE_SE
	s_and_saveexec_b32 s3, s0
; %bb.96:
	ds_load_b32 v2, v6 offset:80
; %bb.97:
	s_wait_alu 0xfffe
	s_or_b32 exec_lo, exec_lo, s3
	s_wait_dscnt 0x0
	ds_bpermute_b32 v4, v8, v2
	s_wait_dscnt 0x0
	v_add_f32_e32 v2, v2, v4
	ds_bpermute_b32 v4, v14, v2
	s_wait_dscnt 0x0
	v_add_f32_e32 v2, v2, v4
	v_mov_b32_e32 v4, 0
	ds_bpermute_b32 v2, v4, v2
	s_and_saveexec_b32 s0, s1
	s_cbranch_execz .LBB243_100
; %bb.98:
	s_wait_dscnt 0x0
	v_add_f32_e32 v4, 0x358637bd, v2
	s_mov_b32 s1, 0
	s_delay_alu instid0(VALU_DEP_1) | instskip(SKIP_1) | instid1(VALU_DEP_2)
	v_div_scale_f32 v5, null, v4, v4, 1.0
	v_div_scale_f32 v8, vcc_lo, 1.0, v4, 1.0
	v_rcp_f32_e32 v6, v5
	s_delay_alu instid0(TRANS32_DEP_1) | instskip(NEXT) | instid1(VALU_DEP_1)
	v_fma_f32 v7, -v5, v6, 1.0
	v_fmac_f32_e32 v6, v7, v6
	s_delay_alu instid0(VALU_DEP_1) | instskip(NEXT) | instid1(VALU_DEP_1)
	v_mul_f32_e32 v7, v8, v6
	v_fma_f32 v14, -v5, v7, v8
	s_delay_alu instid0(VALU_DEP_1) | instskip(NEXT) | instid1(VALU_DEP_1)
	v_fmac_f32_e32 v7, v14, v6
	v_fma_f32 v5, -v5, v7, v8
	s_wait_alu 0xfffd
	s_delay_alu instid0(VALU_DEP_1) | instskip(NEXT) | instid1(VALU_DEP_1)
	v_div_fmas_f32 v5, v5, v6, v7
	v_div_fixup_f32 v4, v5, v4, 1.0
	v_mov_b32_e32 v5, v0
.LBB243_99:                             ; =>This Inner Loop Header: Depth=1
	ds_load_b32 v6, v3
	s_wait_dscnt 0x0
	v_dual_mul_f32 v6, v4, v6 :: v_dual_add_nc_u32 v5, 0x80, v5
	s_delay_alu instid0(VALU_DEP_1)
	v_cmp_le_i32_e32 vcc_lo, s19, v5
	ds_store_b32 v3, v6
	v_add_nc_u32_e32 v3, 0x200, v3
	s_wait_alu 0xfffe
	s_or_b32 s1, vcc_lo, s1
	s_wait_alu 0xfffe
	s_and_not1_b32 exec_lo, exec_lo, s1
	s_cbranch_execnz .LBB243_99
.LBB243_100:
	s_wait_alu 0xfffe
	s_or_b32 exec_lo, exec_lo, s0
	s_mul_i32 s0, s15, s28
	s_wait_loadcnt_dscnt 0x0
	s_wait_alu 0xfffe
	s_mul_i32 s28, s0, s29
	s_mov_b32 s0, exec_lo
	s_barrier_signal -1
	s_barrier_wait -1
	global_inv scope:SCOPE_SE
	v_cmpx_eq_u32_e32 0, v0
	s_cbranch_execz .LBB243_102
; %bb.101:
	s_ashr_i32 s29, s28, 31
	s_wait_alu 0xfffe
	s_mul_i32 s40, s15, ttmp9
	s_lshl_b32 s1, s35, 2
	s_lshl_b64 s[42:43], s[28:29], 2
	s_wait_alu 0xfffe
	s_ashr_i32 s41, s40, 31
	v_mov_b32_e32 v3, s1
	s_wait_kmcnt 0x0
	s_add_nc_u64 s[6:7], s[6:7], s[42:43]
	s_wait_alu 0xfffe
	s_lshl_b64 s[40:41], s[40:41], 2
	s_add_nc_u64 s[4:5], s[4:5], s[42:43]
	s_wait_alu 0xfffe
	s_add_nc_u64 s[6:7], s[6:7], s[40:41]
	s_add_nc_u64 s[4:5], s[4:5], s[40:41]
	s_clause 0x1
	global_store_b32 v3, v1, s[6:7]
	global_store_b32 v3, v2, s[4:5]
.LBB243_102:
	s_wait_alu 0xfffe
	s_or_b32 exec_lo, exec_lo, s0
	v_mov_b32_e32 v14, 0
	s_wait_kmcnt 0x0
	s_and_saveexec_b32 s4, s2
	s_cbranch_execz .LBB243_174
; %bb.103:
	s_abs_i32 s5, s14
	s_sub_co_i32 s6, s38, s13
	s_wait_alu 0xfffe
	s_cvt_f32_u32 s0, s5
	v_dual_mov_b32 v2, 0 :: v_dual_lshlrev_b32 v5, 3, v12
	s_ashr_i32 s19, s18, 31
	s_wait_alu 0xfffe
	v_rcp_iflag_f32_e32 v1, s0
	s_lshl_b64 s[0:1], s[26:27], 2
	s_add_nc_u64 s[18:19], s[30:31], s[18:19]
	s_wait_alu 0xfffe
	s_add_nc_u64 s[0:1], s[24:25], s[0:1]
	s_sub_co_i32 s14, 0, s5
	s_wait_alu 0xfffe
	v_add_co_u32 v3, s0, s0, v13
	s_wait_alu 0xf1ff
	v_add_co_ci_u32_e64 v4, null, s1, 0, s0
	v_add_co_u32 v5, s0, s18, v5
	v_readfirstlane_b32 s13, v1
	v_lshl_add_u32 v15, v9, 5, 0x60
	v_bfrev_b32_e32 v16, 1
	v_mov_b32_e32 v14, 0
	s_wait_alu 0xf1ff
	v_add_co_ci_u32_e64 v6, null, s19, 0, s0
	s_mul_f32 s13, s13, 0x4f7ffffe
	s_mov_b32 s2, 0
	s_mov_b32 s7, s17
	;; [unrolled: 1-line block ×3, first 2 shown]
	s_wait_alu 0xfffe
	s_cvt_u32_f32 s13, s13
	s_add_co_i32 s37, s37, -1
	s_wait_alu 0xfffe
	s_delay_alu instid0(SALU_CYCLE_1) | instskip(NEXT) | instid1(SALU_CYCLE_1)
	s_mul_i32 s14, s14, s13
	s_mul_hi_u32 s0, s13, s14
	s_wait_alu 0xfffe
	s_add_co_i32 s14, s13, s0
	s_mov_b32 s13, s2
	s_branch .LBB243_106
.LBB243_104:                            ;   in Loop: Header=BB243_106 Depth=1
	s_wait_alu 0xfffe
	s_or_b32 exec_lo, exec_lo, s0
	v_and_b32_e32 v1, 0xffff, v20
	v_and_b32_e32 v7, 0xffff, v21
	;; [unrolled: 1-line block ×4, first 2 shown]
	s_delay_alu instid0(VALU_DEP_4) | instskip(NEXT) | instid1(VALU_DEP_4)
	v_lshl_or_b32 v1, v13, 16, v1
	v_lshl_or_b32 v7, v17, 16, v7
	s_delay_alu instid0(VALU_DEP_4) | instskip(NEXT) | instid1(VALU_DEP_4)
	v_lshl_or_b32 v8, v18, 16, v8
	v_lshl_or_b32 v13, v19, 16, v20
	;;#ASMSTART
	v_pk_mul_f16 v1, v1, v31;

	;;#ASMEND
	;;#ASMSTART
	v_pk_mul_f16 v7, v7, v28;

	;;#ASMEND
	;; [unrolled: 4-line block ×4, first 2 shown]
	;;#ASMSTART
	v_pk_add_f16 v1, v1, v7;

	;;#ASMEND
	;;#ASMSTART
	v_pk_add_f16 v1, v1, v8;

	;;#ASMEND
	;; [unrolled: 4-line block ×3, first 2 shown]
	v_and_b32_e32 v7, 0xffff, v1
	v_lshrrev_b32_e32 v8, 16, v1
	;;#ASMSTART
	v_cvt_f32_f16 v1, v7;
	;;#ASMEND
	;;#ASMSTART
	v_cvt_f32_f16 v7, v8;
	;;#ASMEND
	s_delay_alu instid0(VALU_DEP_2) | instskip(NEXT) | instid1(VALU_DEP_1)
	v_add_f32_e32 v1, v1, v7
	v_add_f32_e32 v14, v14, v1
.LBB243_105:                            ;   in Loop: Header=BB243_106 Depth=1
	s_wait_alu 0xfffe
	s_or_b32 exec_lo, exec_lo, s17
	v_add_nc_u32_e32 v11, 4, v11
	v_add_co_u32 v3, s0, v3, 16
	s_wait_alu 0xf1ff
	v_add_co_ci_u32_e64 v4, null, 0, v4, s0
	s_delay_alu instid0(VALU_DEP_3)
	v_cmp_le_i32_e32 vcc_lo, s34, v11
	v_add_nc_u32_e32 v10, 32, v10
	v_add_nc_u32_e32 v15, 0x80, v15
	s_or_b32 s13, vcc_lo, s13
	s_wait_alu 0xfffe
	s_and_not1_b32 exec_lo, exec_lo, s13
	s_cbranch_execz .LBB243_173
.LBB243_106:                            ; =>This Inner Loop Header: Depth=1
	v_sub_nc_u32_e32 v1, 0, v10
	s_delay_alu instid0(VALU_DEP_1) | instskip(NEXT) | instid1(VALU_DEP_1)
	v_max_i32_e32 v1, v10, v1
	v_mul_hi_u32 v7, v1, s22
	s_delay_alu instid0(VALU_DEP_1) | instskip(NEXT) | instid1(VALU_DEP_1)
	v_mul_lo_u32 v8, v7, s16
	v_sub_nc_u32_e32 v1, v1, v8
	s_delay_alu instid0(VALU_DEP_1) | instskip(SKIP_2) | instid1(VALU_DEP_2)
	v_subrev_nc_u32_e32 v13, s16, v1
	v_cmp_le_u32_e32 vcc_lo, s16, v1
	s_wait_alu 0xfffd
	v_dual_cndmask_b32 v1, v1, v13 :: v_dual_add_nc_u32 v8, 1, v7
	s_delay_alu instid0(VALU_DEP_1) | instskip(SKIP_1) | instid1(VALU_DEP_3)
	v_cndmask_b32_e32 v7, v7, v8, vcc_lo
	v_ashrrev_i32_e32 v8, 31, v10
	v_cmp_le_u32_e32 vcc_lo, s16, v1
	s_delay_alu instid0(VALU_DEP_3) | instskip(NEXT) | instid1(VALU_DEP_3)
	v_add_nc_u32_e32 v13, 1, v7
	v_xor_b32_e32 v8, s23, v8
	s_wait_alu 0xfffd
	s_delay_alu instid0(VALU_DEP_2) | instskip(NEXT) | instid1(VALU_DEP_1)
	v_cndmask_b32_e32 v1, v7, v13, vcc_lo
	v_xor_b32_e32 v1, v1, v8
	s_delay_alu instid0(VALU_DEP_1) | instskip(NEXT) | instid1(VALU_DEP_1)
	v_sub_nc_u32_e32 v1, v1, v8
	v_add_nc_u32_e32 v7, s21, v1
	v_cmp_lt_i32_e64 s0, s6, v1
	s_delay_alu instid0(VALU_DEP_2) | instskip(NEXT) | instid1(VALU_DEP_1)
	v_sub_nc_u32_e32 v8, 0, v7
	v_max_i32_e32 v8, v7, v8
	v_ashrrev_i32_e32 v7, 31, v7
	s_delay_alu instid0(VALU_DEP_2) | instskip(NEXT) | instid1(VALU_DEP_1)
	v_mul_hi_u32 v13, v8, s14
	v_mul_lo_u32 v13, v13, s5
	s_delay_alu instid0(VALU_DEP_1) | instskip(NEXT) | instid1(VALU_DEP_1)
	v_sub_nc_u32_e32 v8, v8, v13
	v_subrev_nc_u32_e32 v13, s5, v8
	v_cmp_le_u32_e32 vcc_lo, s5, v8
	s_wait_alu 0xfffd
	s_delay_alu instid0(VALU_DEP_2) | instskip(NEXT) | instid1(VALU_DEP_1)
	v_cndmask_b32_e32 v8, v8, v13, vcc_lo
	v_subrev_nc_u32_e32 v13, s5, v8
	v_cmp_le_u32_e32 vcc_lo, s5, v8
	s_wait_alu 0xfffd
	s_delay_alu instid0(VALU_DEP_2) | instskip(NEXT) | instid1(VALU_DEP_1)
	v_cndmask_b32_e32 v8, v8, v13, vcc_lo
	v_xor_b32_e32 v8, v8, v7
	s_delay_alu instid0(VALU_DEP_1) | instskip(NEXT) | instid1(VALU_DEP_1)
	v_sub_nc_u32_e32 v7, v8, v7
	v_cmp_eq_u32_e32 vcc_lo, 0, v7
	s_or_b32 s0, vcc_lo, s0
	s_wait_alu 0xfffe
	s_and_saveexec_b32 s17, s0
	s_cbranch_execz .LBB243_105
; %bb.107:                              ;   in Loop: Header=BB243_106 Depth=1
	ds_load_2addr_b64 v[20:23], v15 offset1:1
	ds_load_2addr_b64 v[24:27], v15 offset0:2 offset1:3
	s_mov_b32 s1, 0
	s_mov_b32 s0, exec_lo
	s_wait_dscnt 0x1
	;;#ASMSTART
	v_cvt_f16_f32 v20, v20;

	;;#ASMEND
	;;#ASMSTART
	v_cvt_f16_f32 v13, v21;

	;;#ASMEND
	;; [unrolled: 4-line block ×4, first 2 shown]
	s_wait_dscnt 0x0
	;;#ASMSTART
	v_cvt_f16_f32 v22, v24;

	;;#ASMEND
	;;#ASMSTART
	v_cvt_f16_f32 v18, v25;

	;;#ASMEND
	;; [unrolled: 4-line block ×4, first 2 shown]
	global_load_b32 v1, v[3:4], off
	s_wait_loadcnt 0x0
	v_mad_co_i64_i32 v[7:8], null, v1, s7, v[5:6]
	global_load_b64 v[7:8], v[7:8], off
	global_load_b32 v24, v2, s[10:11]
	s_wait_loadcnt 0x1
	v_and_b32_e32 v1, 0xff, v7
	s_delay_alu instid0(VALU_DEP_1)
	v_cmpx_lt_i16_e32 0x7f, v1
	s_wait_alu 0xfffe
	s_xor_b32 s0, exec_lo, s0
	s_cbranch_execnz .LBB243_110
; %bb.108:                              ;   in Loop: Header=BB243_106 Depth=1
	s_wait_alu 0xfffe
	s_or_saveexec_b32 s0, s0
	v_mov_b32_e32 v25, 0x8000
	s_wait_alu 0xfffe
	s_xor_b32 exec_lo, exec_lo, s0
	s_cbranch_execnz .LBB243_113
.LBB243_109:                            ;   in Loop: Header=BB243_106 Depth=1
	s_or_b32 exec_lo, exec_lo, s0
	s_and_saveexec_b32 s0, s1
	s_cbranch_execnz .LBB243_114
	s_branch .LBB243_117
.LBB243_110:                            ;   in Loop: Header=BB243_106 Depth=1
	s_mov_b32 s1, -1
	s_mov_b32 s18, exec_lo
	v_cmpx_eq_u16_e32 0x80, v1
; %bb.111:                              ;   in Loop: Header=BB243_106 Depth=1
	s_xor_b32 s1, exec_lo, -1
; %bb.112:                              ;   in Loop: Header=BB243_106 Depth=1
	s_wait_alu 0xfffe
	s_or_b32 exec_lo, exec_lo, s18
	s_delay_alu instid0(SALU_CYCLE_1)
	s_and_b32 s1, s1, exec_lo
                                        ; implicit-def: $vgpr1
	s_or_saveexec_b32 s0, s0
	v_mov_b32_e32 v25, 0x8000
	s_wait_alu 0xfffe
	s_xor_b32 exec_lo, exec_lo, s0
	s_cbranch_execz .LBB243_109
.LBB243_113:                            ;   in Loop: Header=BB243_106 Depth=1
	v_cmp_ne_u16_e32 vcc_lo, 0, v1
	v_and_b32_e32 v25, 0xffff, v1
	s_and_not1_b32 s1, s1, exec_lo
	s_and_b32 s18, vcc_lo, exec_lo
	s_wait_alu 0xfffe
	s_or_b32 s1, s1, s18
	s_or_b32 exec_lo, exec_lo, s0
	s_wait_alu 0xfffe
	s_and_saveexec_b32 s0, s1
	s_cbranch_execz .LBB243_117
.LBB243_114:                            ;   in Loop: Header=BB243_106 Depth=1
	v_and_b32_e32 v1, 0x7f, v7
	v_mov_b32_e32 v25, 0x7c01
	s_mov_b32 s1, exec_lo
	s_delay_alu instid0(VALU_DEP_2)
	v_cmpx_ne_u32_e32 0x7f, v1
	s_cbranch_execz .LBB243_116
; %bb.115:                              ;   in Loop: Header=BB243_106 Depth=1
	v_and_b32_e32 v27, 7, v7
	v_cmp_gt_u32_e32 vcc_lo, 8, v1
	s_delay_alu instid0(VALU_DEP_2) | instskip(NEXT) | instid1(VALU_DEP_1)
	v_clz_i32_u32_e32 v25, v27
	v_min_u32_e32 v28, 32, v25
	s_delay_alu instid0(VALU_DEP_1) | instskip(SKIP_1) | instid1(VALU_DEP_2)
	v_subrev_nc_u32_e32 v25, 28, v28
	v_sub_nc_u32_e32 v28, 29, v28
	v_lshlrev_b64_e32 v[25:26], v25, v[7:8]
	v_lshrrev_b32_e32 v26, 3, v1
	s_delay_alu instid0(VALU_DEP_2) | instskip(SKIP_1) | instid1(VALU_DEP_1)
	v_and_b32_e32 v25, 7, v25
	s_wait_alu 0xfffd
	v_cndmask_b32_e32 v1, v27, v25, vcc_lo
	s_delay_alu instid0(VALU_DEP_3) | instskip(NEXT) | instid1(VALU_DEP_1)
	v_dual_cndmask_b32 v25, v26, v28 :: v_dual_lshlrev_b32 v26, 8, v7
	v_lshl_add_u32 v25, v25, 10, 0x2000
	s_delay_alu instid0(VALU_DEP_1) | instskip(NEXT) | instid1(VALU_DEP_1)
	v_and_b32_e32 v25, 0xfc00, v25
	v_and_or_b32 v25, 0x8000, v26, v25
	s_delay_alu instid0(VALU_DEP_1)
	v_lshl_or_b32 v25, v1, 7, v25
.LBB243_116:                            ;   in Loop: Header=BB243_106 Depth=1
	s_wait_alu 0xfffe
	s_or_b32 exec_lo, exec_lo, s1
.LBB243_117:                            ;   in Loop: Header=BB243_106 Depth=1
	s_wait_alu 0xfffe
	s_or_b32 exec_lo, exec_lo, s0
	v_lshrrev_b16 v1, 8, v7
	s_mov_b32 s1, 0
	s_mov_b32 s0, exec_lo
	s_delay_alu instid0(VALU_DEP_1)
	v_cmpx_lt_i16_e32 0x7f, v1
	s_wait_alu 0xfffe
	s_xor_b32 s0, exec_lo, s0
	s_cbranch_execz .LBB243_121
; %bb.118:                              ;   in Loop: Header=BB243_106 Depth=1
	s_mov_b32 s1, -1
	s_mov_b32 s18, exec_lo
	v_cmpx_eq_u16_e32 0x80, v1
; %bb.119:                              ;   in Loop: Header=BB243_106 Depth=1
	s_xor_b32 s1, exec_lo, -1
; %bb.120:                              ;   in Loop: Header=BB243_106 Depth=1
	s_wait_alu 0xfffe
	s_or_b32 exec_lo, exec_lo, s18
	s_delay_alu instid0(SALU_CYCLE_1)
	s_and_b32 s1, s1, exec_lo
.LBB243_121:                            ;   in Loop: Header=BB243_106 Depth=1
	s_wait_alu 0xfffe
	s_or_saveexec_b32 s0, s0
	v_bfrev_b32_e32 v26, 1
	v_and_b32_e32 v27, 0xffff, v1
	s_wait_alu 0xfffe
	s_xor_b32 exec_lo, exec_lo, s0
; %bb.122:                              ;   in Loop: Header=BB243_106 Depth=1
	v_cmp_ne_u16_e32 vcc_lo, 0, v1
	s_delay_alu instid0(VALU_DEP_2)
	v_mov_b32_e32 v26, v27
	s_and_not1_b32 s1, s1, exec_lo
	s_and_b32 s18, vcc_lo, exec_lo
	s_wait_alu 0xfffe
	s_or_b32 s1, s1, s18
; %bb.123:                              ;   in Loop: Header=BB243_106 Depth=1
	s_or_b32 exec_lo, exec_lo, s0
	s_wait_alu 0xfffe
	s_and_saveexec_b32 s0, s1
	s_cbranch_execz .LBB243_127
; %bb.124:                              ;   in Loop: Header=BB243_106 Depth=1
	v_and_b32_e32 v28, 0x7f, v27
	v_mov_b32_e32 v26, 0x7c010000
	s_mov_b32 s1, exec_lo
	s_delay_alu instid0(VALU_DEP_2)
	v_cmpx_ne_u32_e32 0x7f, v28
	s_cbranch_execz .LBB243_126
; %bb.125:                              ;   in Loop: Header=BB243_106 Depth=1
	v_cmp_gt_u32_e32 vcc_lo, 8, v28
	v_and_b32_e32 v26, 7, v27
	v_lshlrev_b32_e32 v27, 8, v27
	s_delay_alu instid0(VALU_DEP_2) | instskip(NEXT) | instid1(VALU_DEP_1)
	v_clz_i32_u32_e32 v29, v26
	v_min_u32_e32 v31, 32, v29
	s_delay_alu instid0(VALU_DEP_1) | instskip(NEXT) | instid1(VALU_DEP_1)
	v_subrev_nc_u32_e32 v29, 28, v31
	v_lshlrev_b64_e32 v[29:30], v29, v[1:2]
	v_lshrrev_b32_e32 v1, 3, v28
	v_sub_nc_u32_e32 v30, 29, v31
	s_delay_alu instid0(VALU_DEP_3) | instskip(SKIP_1) | instid1(VALU_DEP_1)
	v_and_b32_e32 v29, 7, v29
	s_wait_alu 0xfffd
	v_dual_cndmask_b32 v1, v1, v30 :: v_dual_cndmask_b32 v26, v26, v29
	s_delay_alu instid0(VALU_DEP_1) | instskip(NEXT) | instid1(VALU_DEP_1)
	v_lshl_add_u32 v1, v1, 10, 0x2000
	v_and_or_b32 v1, 0x8000, v27, v1
	s_delay_alu instid0(VALU_DEP_1) | instskip(NEXT) | instid1(VALU_DEP_1)
	v_lshlrev_b32_e32 v1, 16, v1
	v_lshl_or_b32 v26, v26, 23, v1
.LBB243_126:                            ;   in Loop: Header=BB243_106 Depth=1
	s_wait_alu 0xfffe
	s_or_b32 exec_lo, exec_lo, s1
.LBB243_127:                            ;   in Loop: Header=BB243_106 Depth=1
	s_wait_alu 0xfffe
	s_or_b32 exec_lo, exec_lo, s0
	v_lshrrev_b32_e32 v1, 16, v7
	s_mov_b32 s1, 0
	s_mov_b32 s0, exec_lo
	s_delay_alu instid0(VALU_DEP_1) | instskip(NEXT) | instid1(VALU_DEP_1)
	v_and_b32_e32 v28, 0xff, v1
	v_cmpx_lt_i16_e32 0x7f, v28
	s_wait_alu 0xfffe
	s_xor_b32 s0, exec_lo, s0
	s_cbranch_execnz .LBB243_130
; %bb.128:                              ;   in Loop: Header=BB243_106 Depth=1
	s_wait_alu 0xfffe
	s_or_saveexec_b32 s0, s0
	v_mov_b32_e32 v27, 0x8000
	s_wait_alu 0xfffe
	s_xor_b32 exec_lo, exec_lo, s0
	s_cbranch_execnz .LBB243_133
.LBB243_129:                            ;   in Loop: Header=BB243_106 Depth=1
	s_or_b32 exec_lo, exec_lo, s0
	s_and_saveexec_b32 s0, s1
	s_cbranch_execnz .LBB243_134
	s_branch .LBB243_137
.LBB243_130:                            ;   in Loop: Header=BB243_106 Depth=1
	s_mov_b32 s1, -1
	s_mov_b32 s18, exec_lo
	v_cmpx_eq_u16_e32 0x80, v28
; %bb.131:                              ;   in Loop: Header=BB243_106 Depth=1
	s_xor_b32 s1, exec_lo, -1
; %bb.132:                              ;   in Loop: Header=BB243_106 Depth=1
	s_wait_alu 0xfffe
	s_or_b32 exec_lo, exec_lo, s18
	s_delay_alu instid0(SALU_CYCLE_1)
	s_and_b32 s1, s1, exec_lo
                                        ; implicit-def: $vgpr28
	s_or_saveexec_b32 s0, s0
	v_mov_b32_e32 v27, 0x8000
	s_wait_alu 0xfffe
	s_xor_b32 exec_lo, exec_lo, s0
	s_cbranch_execz .LBB243_129
.LBB243_133:                            ;   in Loop: Header=BB243_106 Depth=1
	v_cmp_ne_u16_e32 vcc_lo, 0, v28
	v_and_b32_e32 v27, 0xffff, v28
	s_and_not1_b32 s1, s1, exec_lo
	s_and_b32 s18, vcc_lo, exec_lo
	s_wait_alu 0xfffe
	s_or_b32 s1, s1, s18
	s_or_b32 exec_lo, exec_lo, s0
	s_wait_alu 0xfffe
	s_and_saveexec_b32 s0, s1
	s_cbranch_execz .LBB243_137
.LBB243_134:                            ;   in Loop: Header=BB243_106 Depth=1
	v_and_b32_e32 v28, 0x7f, v1
	v_mov_b32_e32 v27, 0x7c01
	s_mov_b32 s1, exec_lo
	s_delay_alu instid0(VALU_DEP_2)
	v_cmpx_ne_u32_e32 0x7f, v28
	s_cbranch_execz .LBB243_136
; %bb.135:                              ;   in Loop: Header=BB243_106 Depth=1
	v_cmp_gt_u32_e32 vcc_lo, 8, v28
	v_and_b32_e32 v27, 7, v1
	s_delay_alu instid0(VALU_DEP_1) | instskip(NEXT) | instid1(VALU_DEP_1)
	v_clz_i32_u32_e32 v29, v27
	v_min_u32_e32 v31, 32, v29
	s_delay_alu instid0(VALU_DEP_1) | instskip(SKIP_1) | instid1(VALU_DEP_2)
	v_subrev_nc_u32_e32 v29, 28, v31
	v_sub_nc_u32_e32 v31, 29, v31
	v_lshlrev_b64_e32 v[29:30], v29, v[1:2]
	v_lshrrev_b32_e32 v30, 3, v28
	s_wait_alu 0xfffd
	s_delay_alu instid0(VALU_DEP_1) | instskip(NEXT) | instid1(VALU_DEP_3)
	v_dual_cndmask_b32 v28, v30, v31 :: v_dual_lshlrev_b32 v1, 8, v1
	v_and_b32_e32 v29, 7, v29
	s_delay_alu instid0(VALU_DEP_2) | instskip(NEXT) | instid1(VALU_DEP_1)
	v_lshl_add_u32 v28, v28, 10, 0x2000
	v_dual_cndmask_b32 v27, v27, v29 :: v_dual_and_b32 v28, 0xfc00, v28
	s_delay_alu instid0(VALU_DEP_1) | instskip(NEXT) | instid1(VALU_DEP_1)
	v_and_or_b32 v1, 0x8000, v1, v28
	v_lshl_or_b32 v27, v27, 7, v1
.LBB243_136:                            ;   in Loop: Header=BB243_106 Depth=1
	s_wait_alu 0xfffe
	s_or_b32 exec_lo, exec_lo, s1
.LBB243_137:                            ;   in Loop: Header=BB243_106 Depth=1
	s_wait_alu 0xfffe
	s_or_b32 exec_lo, exec_lo, s0
	v_lshrrev_b32_e32 v1, 24, v7
	v_bfe_u32 v29, v7, 24, 7
	v_cmp_gt_u32_e64 s1, 0x1000000, v7
	s_delay_alu instid0(VALU_DEP_3) | instskip(NEXT) | instid1(VALU_DEP_3)
	v_cmp_eq_u32_e32 vcc_lo, 0x80, v1
	v_cmp_eq_u32_e64 s0, 0x7f, v29
	s_wait_alu 0xfffd
	v_cndmask_b32_e32 v28, 0x7c010000, v16, vcc_lo
	s_or_b32 s0, vcc_lo, s0
	s_delay_alu instid0(VALU_DEP_1)
	v_cndmask_b32_e64 v28, v28, 0, s1
	s_wait_alu 0xfffe
	s_nor_b32 s1, s1, s0
	s_wait_alu 0xfffe
	s_and_saveexec_b32 s0, s1
	s_cbranch_execz .LBB243_139
; %bb.138:                              ;   in Loop: Header=BB243_106 Depth=1
	v_cmp_gt_u32_e32 vcc_lo, 8, v29
	v_and_b32_e32 v28, 7, v1
	s_delay_alu instid0(VALU_DEP_1) | instskip(NEXT) | instid1(VALU_DEP_1)
	v_clz_i32_u32_e32 v30, v28
	v_min_u32_e32 v32, 32, v30
	s_delay_alu instid0(VALU_DEP_1) | instskip(SKIP_1) | instid1(VALU_DEP_2)
	v_subrev_nc_u32_e32 v30, 28, v32
	v_sub_nc_u32_e32 v32, 29, v32
	v_lshlrev_b64_e32 v[30:31], v30, v[1:2]
	v_lshrrev_b32_e32 v31, 3, v29
	v_lshlrev_b32_e32 v1, 8, v1
	s_wait_alu 0xfffd
	s_delay_alu instid0(VALU_DEP_2) | instskip(NEXT) | instid1(VALU_DEP_1)
	v_dual_cndmask_b32 v29, v31, v32 :: v_dual_and_b32 v30, 7, v30
	v_cndmask_b32_e32 v28, v28, v30, vcc_lo
	s_delay_alu instid0(VALU_DEP_2) | instskip(NEXT) | instid1(VALU_DEP_1)
	v_lshl_add_u32 v29, v29, 10, 0x2000
	v_and_or_b32 v1, 0x8000, v1, v29
	s_delay_alu instid0(VALU_DEP_1) | instskip(NEXT) | instid1(VALU_DEP_1)
	v_lshlrev_b32_e32 v1, 16, v1
	v_lshl_or_b32 v28, v28, 23, v1
.LBB243_139:                            ;   in Loop: Header=BB243_106 Depth=1
	s_wait_alu 0xfffe
	s_or_b32 exec_lo, exec_lo, s0
	v_and_b32_e32 v1, 0xff, v8
	s_mov_b32 s1, 0
	s_mov_b32 s0, exec_lo
	s_delay_alu instid0(VALU_DEP_1)
	v_cmpx_lt_i16_e32 0x7f, v1
	s_wait_alu 0xfffe
	s_xor_b32 s0, exec_lo, s0
	s_cbranch_execnz .LBB243_142
; %bb.140:                              ;   in Loop: Header=BB243_106 Depth=1
	s_wait_alu 0xfffe
	s_or_saveexec_b32 s0, s0
	v_mov_b32_e32 v29, 0x8000
	s_wait_alu 0xfffe
	s_xor_b32 exec_lo, exec_lo, s0
	s_cbranch_execnz .LBB243_145
.LBB243_141:                            ;   in Loop: Header=BB243_106 Depth=1
	s_or_b32 exec_lo, exec_lo, s0
	v_mov_b32_e32 v1, v8
	s_and_saveexec_b32 s0, s1
	s_cbranch_execnz .LBB243_146
	s_branch .LBB243_149
.LBB243_142:                            ;   in Loop: Header=BB243_106 Depth=1
	s_mov_b32 s1, -1
	s_mov_b32 s18, exec_lo
	v_cmpx_eq_u16_e32 0x80, v1
; %bb.143:                              ;   in Loop: Header=BB243_106 Depth=1
	s_xor_b32 s1, exec_lo, -1
; %bb.144:                              ;   in Loop: Header=BB243_106 Depth=1
	s_wait_alu 0xfffe
	s_or_b32 exec_lo, exec_lo, s18
	s_delay_alu instid0(SALU_CYCLE_1)
	s_and_b32 s1, s1, exec_lo
                                        ; implicit-def: $vgpr1
	s_or_saveexec_b32 s0, s0
	v_mov_b32_e32 v29, 0x8000
	s_wait_alu 0xfffe
	s_xor_b32 exec_lo, exec_lo, s0
	s_cbranch_execz .LBB243_141
.LBB243_145:                            ;   in Loop: Header=BB243_106 Depth=1
	v_cmp_ne_u16_e32 vcc_lo, 0, v1
	v_and_b32_e32 v29, 0xffff, v1
	s_and_not1_b32 s1, s1, exec_lo
	s_and_b32 s18, vcc_lo, exec_lo
	s_wait_alu 0xfffe
	s_or_b32 s1, s1, s18
	s_or_b32 exec_lo, exec_lo, s0
	v_mov_b32_e32 v1, v8
	s_wait_alu 0xfffe
	s_and_saveexec_b32 s0, s1
	s_cbranch_execz .LBB243_149
.LBB243_146:                            ;   in Loop: Header=BB243_106 Depth=1
	v_and_b32_e32 v30, 0x7f, v8
	v_mov_b32_e32 v29, 0x7c01
	s_mov_b32 s1, exec_lo
	s_delay_alu instid0(VALU_DEP_2)
	v_cmpx_ne_u32_e32 0x7f, v30
	s_cbranch_execz .LBB243_148
; %bb.147:                              ;   in Loop: Header=BB243_106 Depth=1
	v_cmp_gt_u32_e32 vcc_lo, 8, v30
	v_and_b32_e32 v29, 7, v8
	s_delay_alu instid0(VALU_DEP_1) | instskip(NEXT) | instid1(VALU_DEP_1)
	v_clz_i32_u32_e32 v31, v29
	v_min_u32_e32 v33, 32, v31
	s_delay_alu instid0(VALU_DEP_1) | instskip(SKIP_1) | instid1(VALU_DEP_2)
	v_subrev_nc_u32_e32 v31, 28, v33
	v_sub_nc_u32_e32 v33, 29, v33
	v_lshlrev_b64_e32 v[31:32], v31, v[1:2]
	v_lshrrev_b32_e32 v32, 3, v30
	s_wait_alu 0xfffd
	s_delay_alu instid0(VALU_DEP_1) | instskip(NEXT) | instid1(VALU_DEP_1)
	v_dual_cndmask_b32 v30, v32, v33 :: v_dual_and_b32 v31, 7, v31
	v_lshl_add_u32 v30, v30, 10, 0x2000
	s_delay_alu instid0(VALU_DEP_2) | instskip(SKIP_1) | instid1(VALU_DEP_3)
	v_cndmask_b32_e32 v29, v29, v31, vcc_lo
	v_lshlrev_b32_e32 v31, 8, v8
	v_and_b32_e32 v30, 0xfc00, v30
	s_delay_alu instid0(VALU_DEP_1) | instskip(NEXT) | instid1(VALU_DEP_1)
	v_and_or_b32 v30, 0x8000, v31, v30
	v_lshl_or_b32 v29, v29, 7, v30
.LBB243_148:                            ;   in Loop: Header=BB243_106 Depth=1
	s_wait_alu 0xfffe
	s_or_b32 exec_lo, exec_lo, s1
.LBB243_149:                            ;   in Loop: Header=BB243_106 Depth=1
	s_wait_alu 0xfffe
	s_or_b32 exec_lo, exec_lo, s0
	v_lshrrev_b16 v1, 8, v1
	s_mov_b32 s1, 0
	s_mov_b32 s0, exec_lo
	s_delay_alu instid0(VALU_DEP_1)
	v_cmpx_lt_i16_e32 0x7f, v1
	s_wait_alu 0xfffe
	s_xor_b32 s0, exec_lo, s0
	s_cbranch_execz .LBB243_153
; %bb.150:                              ;   in Loop: Header=BB243_106 Depth=1
	s_mov_b32 s1, -1
	s_mov_b32 s18, exec_lo
	v_cmpx_eq_u16_e32 0x80, v1
; %bb.151:                              ;   in Loop: Header=BB243_106 Depth=1
	s_xor_b32 s1, exec_lo, -1
; %bb.152:                              ;   in Loop: Header=BB243_106 Depth=1
	s_wait_alu 0xfffe
	s_or_b32 exec_lo, exec_lo, s18
	s_delay_alu instid0(SALU_CYCLE_1)
	s_and_b32 s1, s1, exec_lo
.LBB243_153:                            ;   in Loop: Header=BB243_106 Depth=1
	s_wait_alu 0xfffe
	s_or_saveexec_b32 s0, s0
	v_bfrev_b32_e32 v30, 1
	v_and_b32_e32 v31, 0xffff, v1
	s_wait_alu 0xfffe
	s_xor_b32 exec_lo, exec_lo, s0
; %bb.154:                              ;   in Loop: Header=BB243_106 Depth=1
	v_cmp_ne_u16_e32 vcc_lo, 0, v1
	s_delay_alu instid0(VALU_DEP_2)
	v_mov_b32_e32 v30, v31
	s_and_not1_b32 s1, s1, exec_lo
	s_and_b32 s18, vcc_lo, exec_lo
	s_wait_alu 0xfffe
	s_or_b32 s1, s1, s18
; %bb.155:                              ;   in Loop: Header=BB243_106 Depth=1
	s_or_b32 exec_lo, exec_lo, s0
	s_wait_alu 0xfffe
	s_and_saveexec_b32 s0, s1
	s_cbranch_execz .LBB243_159
; %bb.156:                              ;   in Loop: Header=BB243_106 Depth=1
	v_and_b32_e32 v32, 0x7f, v31
	v_mov_b32_e32 v30, 0x7c010000
	s_mov_b32 s1, exec_lo
	s_delay_alu instid0(VALU_DEP_2)
	v_cmpx_ne_u32_e32 0x7f, v32
	s_cbranch_execz .LBB243_158
; %bb.157:                              ;   in Loop: Header=BB243_106 Depth=1
	v_cmp_gt_u32_e32 vcc_lo, 8, v32
	v_and_b32_e32 v30, 7, v31
	v_lshlrev_b32_e32 v31, 8, v31
	s_delay_alu instid0(VALU_DEP_2) | instskip(NEXT) | instid1(VALU_DEP_1)
	v_clz_i32_u32_e32 v33, v30
	v_min_u32_e32 v35, 32, v33
	s_delay_alu instid0(VALU_DEP_1) | instskip(NEXT) | instid1(VALU_DEP_1)
	v_subrev_nc_u32_e32 v33, 28, v35
	v_lshlrev_b64_e32 v[33:34], v33, v[1:2]
	v_lshrrev_b32_e32 v1, 3, v32
	v_sub_nc_u32_e32 v34, 29, v35
	s_delay_alu instid0(VALU_DEP_3) | instskip(SKIP_1) | instid1(VALU_DEP_1)
	v_and_b32_e32 v33, 7, v33
	s_wait_alu 0xfffd
	v_dual_cndmask_b32 v1, v1, v34 :: v_dual_cndmask_b32 v30, v30, v33
	s_delay_alu instid0(VALU_DEP_1) | instskip(NEXT) | instid1(VALU_DEP_1)
	v_lshl_add_u32 v1, v1, 10, 0x2000
	v_and_or_b32 v1, 0x8000, v31, v1
	s_delay_alu instid0(VALU_DEP_1) | instskip(NEXT) | instid1(VALU_DEP_1)
	v_lshlrev_b32_e32 v1, 16, v1
	v_lshl_or_b32 v30, v30, 23, v1
.LBB243_158:                            ;   in Loop: Header=BB243_106 Depth=1
	s_wait_alu 0xfffe
	s_or_b32 exec_lo, exec_lo, s1
.LBB243_159:                            ;   in Loop: Header=BB243_106 Depth=1
	s_wait_alu 0xfffe
	s_or_b32 exec_lo, exec_lo, s0
	v_lshrrev_b32_e32 v1, 16, v8
	s_mov_b32 s1, 0
	s_mov_b32 s0, exec_lo
	s_delay_alu instid0(VALU_DEP_1) | instskip(NEXT) | instid1(VALU_DEP_1)
	v_and_b32_e32 v32, 0xff, v1
	v_cmpx_lt_i16_e32 0x7f, v32
	s_wait_alu 0xfffe
	s_xor_b32 s0, exec_lo, s0
	s_cbranch_execnz .LBB243_162
; %bb.160:                              ;   in Loop: Header=BB243_106 Depth=1
	s_wait_alu 0xfffe
	s_or_saveexec_b32 s0, s0
	v_mov_b32_e32 v31, 0x8000
	s_wait_alu 0xfffe
	s_xor_b32 exec_lo, exec_lo, s0
	s_cbranch_execnz .LBB243_165
.LBB243_161:                            ;   in Loop: Header=BB243_106 Depth=1
	s_or_b32 exec_lo, exec_lo, s0
	s_and_saveexec_b32 s0, s1
	s_cbranch_execnz .LBB243_166
	s_branch .LBB243_169
.LBB243_162:                            ;   in Loop: Header=BB243_106 Depth=1
	s_mov_b32 s1, -1
	s_mov_b32 s18, exec_lo
	v_cmpx_eq_u16_e32 0x80, v32
; %bb.163:                              ;   in Loop: Header=BB243_106 Depth=1
	s_xor_b32 s1, exec_lo, -1
; %bb.164:                              ;   in Loop: Header=BB243_106 Depth=1
	s_wait_alu 0xfffe
	s_or_b32 exec_lo, exec_lo, s18
	s_delay_alu instid0(SALU_CYCLE_1)
	s_and_b32 s1, s1, exec_lo
                                        ; implicit-def: $vgpr32
	s_or_saveexec_b32 s0, s0
	v_mov_b32_e32 v31, 0x8000
	s_wait_alu 0xfffe
	s_xor_b32 exec_lo, exec_lo, s0
	s_cbranch_execz .LBB243_161
.LBB243_165:                            ;   in Loop: Header=BB243_106 Depth=1
	v_cmp_ne_u16_e32 vcc_lo, 0, v32
	v_and_b32_e32 v31, 0xffff, v32
	s_and_not1_b32 s1, s1, exec_lo
	s_and_b32 s18, vcc_lo, exec_lo
	s_wait_alu 0xfffe
	s_or_b32 s1, s1, s18
	s_or_b32 exec_lo, exec_lo, s0
	s_wait_alu 0xfffe
	s_and_saveexec_b32 s0, s1
	s_cbranch_execz .LBB243_169
.LBB243_166:                            ;   in Loop: Header=BB243_106 Depth=1
	v_and_b32_e32 v32, 0x7f, v1
	v_mov_b32_e32 v31, 0x7c01
	s_mov_b32 s1, exec_lo
	s_delay_alu instid0(VALU_DEP_2)
	v_cmpx_ne_u32_e32 0x7f, v32
	s_cbranch_execz .LBB243_168
; %bb.167:                              ;   in Loop: Header=BB243_106 Depth=1
	v_cmp_gt_u32_e32 vcc_lo, 8, v32
	v_and_b32_e32 v31, 7, v1
	s_delay_alu instid0(VALU_DEP_1) | instskip(NEXT) | instid1(VALU_DEP_1)
	v_clz_i32_u32_e32 v33, v31
	v_min_u32_e32 v35, 32, v33
	s_delay_alu instid0(VALU_DEP_1) | instskip(SKIP_1) | instid1(VALU_DEP_2)
	v_subrev_nc_u32_e32 v33, 28, v35
	v_sub_nc_u32_e32 v35, 29, v35
	v_lshlrev_b64_e32 v[33:34], v33, v[1:2]
	v_lshrrev_b32_e32 v34, 3, v32
	s_wait_alu 0xfffd
	s_delay_alu instid0(VALU_DEP_1) | instskip(NEXT) | instid1(VALU_DEP_3)
	v_dual_cndmask_b32 v32, v34, v35 :: v_dual_lshlrev_b32 v1, 8, v1
	v_and_b32_e32 v33, 7, v33
	s_delay_alu instid0(VALU_DEP_2) | instskip(NEXT) | instid1(VALU_DEP_1)
	v_lshl_add_u32 v32, v32, 10, 0x2000
	v_dual_cndmask_b32 v31, v31, v33 :: v_dual_and_b32 v32, 0xfc00, v32
	s_delay_alu instid0(VALU_DEP_1) | instskip(NEXT) | instid1(VALU_DEP_1)
	v_and_or_b32 v1, 0x8000, v1, v32
	v_lshl_or_b32 v31, v31, 7, v1
.LBB243_168:                            ;   in Loop: Header=BB243_106 Depth=1
	s_wait_alu 0xfffe
	s_or_b32 exec_lo, exec_lo, s1
.LBB243_169:                            ;   in Loop: Header=BB243_106 Depth=1
	s_wait_alu 0xfffe
	s_or_b32 exec_lo, exec_lo, s0
	v_lshrrev_b32_e32 v1, 24, v8
	v_bfe_u32 v32, v8, 24, 7
	v_cmp_gt_u64_e64 s1, s[2:3], v[7:8]
	s_delay_alu instid0(VALU_DEP_3) | instskip(NEXT) | instid1(VALU_DEP_3)
	v_cmp_eq_u32_e32 vcc_lo, 0x80, v1
	v_cmp_eq_u32_e64 s0, 0x7f, v32
	s_wait_alu 0xfffd
	v_cndmask_b32_e32 v33, 0x7c010000, v16, vcc_lo
	s_or_b32 s0, vcc_lo, s0
	s_delay_alu instid0(VALU_DEP_1)
	v_cndmask_b32_e64 v7, v33, 0, s1
	s_wait_alu 0xfffe
	s_nor_b32 s1, s1, s0
	s_wait_alu 0xfffe
	s_and_saveexec_b32 s0, s1
	s_cbranch_execz .LBB243_171
; %bb.170:                              ;   in Loop: Header=BB243_106 Depth=1
	v_cmp_gt_u32_e32 vcc_lo, 8, v32
	v_and_b32_e32 v33, 7, v1
	s_delay_alu instid0(VALU_DEP_1) | instskip(NEXT) | instid1(VALU_DEP_1)
	v_clz_i32_u32_e32 v7, v33
	v_min_u32_e32 v34, 32, v7
	s_delay_alu instid0(VALU_DEP_1) | instskip(SKIP_1) | instid1(VALU_DEP_2)
	v_subrev_nc_u32_e32 v7, 28, v34
	v_sub_nc_u32_e32 v34, 29, v34
	v_lshlrev_b64_e32 v[7:8], v7, v[1:2]
	v_lshrrev_b32_e32 v8, 3, v32
	s_wait_alu 0xfffd
	s_delay_alu instid0(VALU_DEP_1) | instskip(NEXT) | instid1(VALU_DEP_3)
	v_dual_cndmask_b32 v8, v8, v34 :: v_dual_lshlrev_b32 v1, 8, v1
	v_and_b32_e32 v7, 7, v7
	s_delay_alu instid0(VALU_DEP_2) | instskip(NEXT) | instid1(VALU_DEP_2)
	v_lshl_add_u32 v8, v8, 10, 0x2000
	v_cndmask_b32_e32 v7, v33, v7, vcc_lo
	s_delay_alu instid0(VALU_DEP_2) | instskip(NEXT) | instid1(VALU_DEP_1)
	v_and_or_b32 v1, 0x8000, v1, v8
	v_lshlrev_b32_e32 v1, 16, v1
	s_delay_alu instid0(VALU_DEP_1)
	v_lshl_or_b32 v7, v7, 23, v1
.LBB243_171:                            ;   in Loop: Header=BB243_106 Depth=1
	s_wait_alu 0xfffe
	s_or_b32 exec_lo, exec_lo, s0
	v_or_b32_e32 v1, v28, v27
	s_wait_loadcnt 0x0
	v_fma_mixlo_f16 v8, v24, v28, 0 op_sel:[0,1,0] op_sel_hi:[0,1,0]
	v_or_b32_e32 v28, v26, v25
	v_fma_mixlo_f16 v26, v24, v26, 0 op_sel:[0,1,0] op_sel_hi:[0,1,0]
	v_or_b32_e32 v29, v30, v29
	v_fma_mixlo_f16 v1, v24, v1, 0 op_sel_hi:[0,1,0]
	v_or_b32_e32 v31, v7, v31
	v_lshlrev_b32_e32 v25, 16, v8
	v_lshlrev_b32_e32 v27, 16, v26
	v_fma_mixlo_f16 v8, v24, v28, 0 op_sel_hi:[0,1,0]
	v_and_b32_e32 v26, 0xffff, v1
	v_fma_mixlo_f16 v1, v24, v30, 0 op_sel:[0,1,0] op_sel_hi:[0,1,0]
	v_fma_mixlo_f16 v28, v24, v29, 0 op_sel_hi:[0,1,0]
	v_fma_mixlo_f16 v29, v24, v7, 0 op_sel:[0,1,0] op_sel_hi:[0,1,0]
	v_fma_mixlo_f16 v30, v24, v31, 0 op_sel_hi:[0,1,0]
	v_and_b32_e32 v32, 0xffff, v8
	v_lshlrev_b32_e32 v7, 16, v1
	v_and_b32_e32 v24, 0xffff, v28
	v_lshlrev_b32_e32 v1, 16, v29
	v_and_b32_e32 v8, 0xffff, v30
	v_or_b32_e32 v28, v25, v26
	v_or_b32_e32 v31, v27, v32
	;; [unrolled: 1-line block ×3, first 2 shown]
	s_mov_b32 s0, exec_lo
	v_or_b32_e32 v29, v1, v8
	v_cmpx_eq_u32_e64 s37, v11
	s_cbranch_execz .LBB243_104
; %bb.172:                              ;   in Loop: Header=BB243_106 Depth=1
	v_add_nc_u32_e32 v28, 1, v10
	v_cmp_gt_i32_e32 vcc_lo, s33, v10
	v_add_nc_u32_e32 v29, 2, v10
	s_wait_alu 0xfffd
	v_dual_cndmask_b32 v30, 0, v32 :: v_dual_add_nc_u32 v31, 3, v10
	v_cmp_gt_i32_e32 vcc_lo, s33, v28
	s_wait_alu 0xfffd
	v_dual_cndmask_b32 v27, 0, v27 :: v_dual_add_nc_u32 v28, 4, v10
	v_cmp_gt_i32_e32 vcc_lo, s33, v29
	v_add_nc_u32_e32 v29, 5, v10
	s_wait_alu 0xfffd
	v_cndmask_b32_e32 v26, 0, v26, vcc_lo
	v_cmp_gt_i32_e32 vcc_lo, s33, v31
	v_add_nc_u32_e32 v31, 6, v10
	s_wait_alu 0xfffd
	v_cndmask_b32_e32 v25, 0, v25, vcc_lo
	;; [unrolled: 4-line block ×3, first 2 shown]
	v_cmp_gt_i32_e32 vcc_lo, s33, v29
	s_wait_alu 0xfffd
	v_cndmask_b32_e32 v7, 0, v7, vcc_lo
	v_cmp_gt_i32_e32 vcc_lo, s33, v31
	v_or_b32_e32 v31, v27, v30
	s_delay_alu instid0(VALU_DEP_3)
	v_or_b32_e32 v30, v7, v24
	s_wait_alu 0xfffd
	v_cndmask_b32_e32 v8, 0, v8, vcc_lo
	v_cmp_gt_i32_e32 vcc_lo, s33, v28
	v_or_b32_e32 v28, v25, v26
	s_wait_alu 0xfffd
	v_cndmask_b32_e32 v1, 0, v1, vcc_lo
	s_delay_alu instid0(VALU_DEP_1)
	v_or_b32_e32 v29, v1, v8
	s_branch .LBB243_104
.LBB243_173:
	s_or_b32 exec_lo, exec_lo, s13
.LBB243_174:
	s_wait_alu 0xfffe
	s_or_b32 exec_lo, exec_lo, s4
	v_and_b32_e32 v1, 0x3c0, v0
	v_lshl_add_u32 v2, v12, 2, 0x60
	s_mov_b32 s0, exec_lo
	s_wait_loadcnt 0x0
	s_wait_storecnt 0x0
	s_barrier_signal -1
	s_barrier_wait -1
	global_inv scope:SCOPE_SE
	v_cmpx_eq_u32_e32 64, v1
; %bb.175:
	v_lshlrev_b32_e32 v1, 7, v9
	s_delay_alu instid0(VALU_DEP_1)
	v_add3_u32 v1, v2, v1, 0xffffff00
	ds_store_b32 v1, v14
; %bb.176:
	s_wait_alu 0xfffe
	s_or_b32 exec_lo, exec_lo, s0
	v_and_b32_e32 v3, 0x3e0, v0
	s_mov_b32 s0, exec_lo
	s_wait_loadcnt_dscnt 0x0
	s_barrier_signal -1
	s_barrier_wait -1
	v_lshl_add_u32 v1, v3, 2, v2
	global_inv scope:SCOPE_SE
	v_cmpx_gt_u32_e32 64, v0
	s_cbranch_execz .LBB243_178
; %bb.177:
	ds_load_b32 v4, v1
	s_wait_dscnt 0x0
	v_add_f32_e32 v14, v14, v4
.LBB243_178:
	s_wait_alu 0xfffe
	s_or_b32 exec_lo, exec_lo, s0
	s_delay_alu instid0(SALU_CYCLE_1)
	s_mov_b32 s0, exec_lo
	s_wait_loadcnt 0x0
	s_barrier_signal -1
	s_barrier_wait -1
	global_inv scope:SCOPE_SE
	v_cmpx_eq_u32_e32 32, v3
; %bb.179:
	ds_store_b32 v2, v14
; %bb.180:
	s_wait_alu 0xfffe
	s_or_b32 exec_lo, exec_lo, s0
	v_cmp_gt_u32_e32 vcc_lo, 32, v0
	s_wait_loadcnt_dscnt 0x0
	s_barrier_signal -1
	s_barrier_wait -1
	global_inv scope:SCOPE_SE
	s_and_saveexec_b32 s0, vcc_lo
	s_cbranch_execz .LBB243_182
; %bb.181:
	ds_load_b32 v0, v1
	s_wait_dscnt 0x0
	v_add_f32_e32 v14, v14, v0
.LBB243_182:
	s_wait_alu 0xfffe
	s_or_b32 exec_lo, exec_lo, s0
	s_wait_loadcnt 0x0
	s_barrier_signal -1
	s_barrier_wait -1
	global_inv scope:SCOPE_SE
	s_and_saveexec_b32 s0, vcc_lo
	s_cbranch_execz .LBB243_184
; %bb.183:
	s_lshl_b32 s0, s28, 5
	s_mul_i32 s2, s15, s20
	s_wait_alu 0xfffe
	s_ashr_i32 s1, s0, 31
	s_ashr_i32 s3, s2, 31
	s_wait_alu 0xfffe
	s_lshl_b64 s[0:1], s[0:1], 1
	s_lshl_b64 s[2:3], s[2:3], 1
	s_wait_alu 0xfffe
	s_add_nc_u64 s[0:1], s[8:9], s[0:1]
	v_lshlrev_b32_e32 v0, 1, v12
	s_wait_alu 0xfffe
	s_add_nc_u64 s[0:1], s[0:1], s[2:3]
	s_mov_b32 s13, 0
	;;#ASMSTART
	v_cvt_f16_f32 v1, v14;

	;;#ASMEND
	s_wait_alu 0xfffe
	s_add_nc_u64 s[0:1], s[0:1], s[12:13]
	global_store_b16 v0, v1, s[0:1]
.LBB243_184:
	s_endpgm
	.section	.rodata,"a",@progbits
	.p2align	6, 0x0
	.amdhsa_kernel _ZN4vllm25paged_attention_v2_kernelIthLi32ELi8ELi128ELNS_18Fp8KVCacheDataTypeE1ELb1ELi512EEEvPfS2_PT_PKS3_PKT0_S9_ifPKiSB_iPKfiiiSD_SD_iiiii
		.amdhsa_group_segment_fixed_size 96
		.amdhsa_private_segment_fixed_size 0
		.amdhsa_kernarg_size 400
		.amdhsa_user_sgpr_count 2
		.amdhsa_user_sgpr_dispatch_ptr 0
		.amdhsa_user_sgpr_queue_ptr 0
		.amdhsa_user_sgpr_kernarg_segment_ptr 1
		.amdhsa_user_sgpr_dispatch_id 0
		.amdhsa_user_sgpr_private_segment_size 0
		.amdhsa_wavefront_size32 1
		.amdhsa_uses_dynamic_stack 0
		.amdhsa_enable_private_segment 0
		.amdhsa_system_sgpr_workgroup_id_x 1
		.amdhsa_system_sgpr_workgroup_id_y 1
		.amdhsa_system_sgpr_workgroup_id_z 1
		.amdhsa_system_sgpr_workgroup_info 0
		.amdhsa_system_vgpr_workitem_id 0
		.amdhsa_next_free_vgpr 36
		.amdhsa_next_free_sgpr 46
		.amdhsa_reserve_vcc 1
		.amdhsa_float_round_mode_32 0
		.amdhsa_float_round_mode_16_64 0
		.amdhsa_float_denorm_mode_32 3
		.amdhsa_float_denorm_mode_16_64 3
		.amdhsa_fp16_overflow 0
		.amdhsa_workgroup_processor_mode 1
		.amdhsa_memory_ordered 1
		.amdhsa_forward_progress 1
		.amdhsa_inst_pref_size 72
		.amdhsa_round_robin_scheduling 0
		.amdhsa_exception_fp_ieee_invalid_op 0
		.amdhsa_exception_fp_denorm_src 0
		.amdhsa_exception_fp_ieee_div_zero 0
		.amdhsa_exception_fp_ieee_overflow 0
		.amdhsa_exception_fp_ieee_underflow 0
		.amdhsa_exception_fp_ieee_inexact 0
		.amdhsa_exception_int_div_zero 0
	.end_amdhsa_kernel
	.section	.text._ZN4vllm25paged_attention_v2_kernelIthLi32ELi8ELi128ELNS_18Fp8KVCacheDataTypeE1ELb1ELi512EEEvPfS2_PT_PKS3_PKT0_S9_ifPKiSB_iPKfiiiSD_SD_iiiii,"axG",@progbits,_ZN4vllm25paged_attention_v2_kernelIthLi32ELi8ELi128ELNS_18Fp8KVCacheDataTypeE1ELb1ELi512EEEvPfS2_PT_PKS3_PKT0_S9_ifPKiSB_iPKfiiiSD_SD_iiiii,comdat
.Lfunc_end243:
	.size	_ZN4vllm25paged_attention_v2_kernelIthLi32ELi8ELi128ELNS_18Fp8KVCacheDataTypeE1ELb1ELi512EEEvPfS2_PT_PKS3_PKT0_S9_ifPKiSB_iPKfiiiSD_SD_iiiii, .Lfunc_end243-_ZN4vllm25paged_attention_v2_kernelIthLi32ELi8ELi128ELNS_18Fp8KVCacheDataTypeE1ELb1ELi512EEEvPfS2_PT_PKS3_PKT0_S9_ifPKiSB_iPKfiiiSD_SD_iiiii
                                        ; -- End function
	.set _ZN4vllm25paged_attention_v2_kernelIthLi32ELi8ELi128ELNS_18Fp8KVCacheDataTypeE1ELb1ELi512EEEvPfS2_PT_PKS3_PKT0_S9_ifPKiSB_iPKfiiiSD_SD_iiiii.num_vgpr, 36
	.set _ZN4vllm25paged_attention_v2_kernelIthLi32ELi8ELi128ELNS_18Fp8KVCacheDataTypeE1ELb1ELi512EEEvPfS2_PT_PKS3_PKT0_S9_ifPKiSB_iPKfiiiSD_SD_iiiii.num_agpr, 0
	.set _ZN4vllm25paged_attention_v2_kernelIthLi32ELi8ELi128ELNS_18Fp8KVCacheDataTypeE1ELb1ELi512EEEvPfS2_PT_PKS3_PKT0_S9_ifPKiSB_iPKfiiiSD_SD_iiiii.numbered_sgpr, 46
	.set _ZN4vllm25paged_attention_v2_kernelIthLi32ELi8ELi128ELNS_18Fp8KVCacheDataTypeE1ELb1ELi512EEEvPfS2_PT_PKS3_PKT0_S9_ifPKiSB_iPKfiiiSD_SD_iiiii.num_named_barrier, 0
	.set _ZN4vllm25paged_attention_v2_kernelIthLi32ELi8ELi128ELNS_18Fp8KVCacheDataTypeE1ELb1ELi512EEEvPfS2_PT_PKS3_PKT0_S9_ifPKiSB_iPKfiiiSD_SD_iiiii.private_seg_size, 0
	.set _ZN4vllm25paged_attention_v2_kernelIthLi32ELi8ELi128ELNS_18Fp8KVCacheDataTypeE1ELb1ELi512EEEvPfS2_PT_PKS3_PKT0_S9_ifPKiSB_iPKfiiiSD_SD_iiiii.uses_vcc, 1
	.set _ZN4vllm25paged_attention_v2_kernelIthLi32ELi8ELi128ELNS_18Fp8KVCacheDataTypeE1ELb1ELi512EEEvPfS2_PT_PKS3_PKT0_S9_ifPKiSB_iPKfiiiSD_SD_iiiii.uses_flat_scratch, 0
	.set _ZN4vllm25paged_attention_v2_kernelIthLi32ELi8ELi128ELNS_18Fp8KVCacheDataTypeE1ELb1ELi512EEEvPfS2_PT_PKS3_PKT0_S9_ifPKiSB_iPKfiiiSD_SD_iiiii.has_dyn_sized_stack, 0
	.set _ZN4vllm25paged_attention_v2_kernelIthLi32ELi8ELi128ELNS_18Fp8KVCacheDataTypeE1ELb1ELi512EEEvPfS2_PT_PKS3_PKT0_S9_ifPKiSB_iPKfiiiSD_SD_iiiii.has_recursion, 0
	.set _ZN4vllm25paged_attention_v2_kernelIthLi32ELi8ELi128ELNS_18Fp8KVCacheDataTypeE1ELb1ELi512EEEvPfS2_PT_PKS3_PKT0_S9_ifPKiSB_iPKfiiiSD_SD_iiiii.has_indirect_call, 0
	.section	.AMDGPU.csdata,"",@progbits
; Kernel info:
; codeLenInByte = 9128
; TotalNumSgprs: 48
; NumVgprs: 36
; ScratchSize: 0
; MemoryBound: 0
; FloatMode: 240
; IeeeMode: 1
; LDSByteSize: 96 bytes/workgroup (compile time only)
; SGPRBlocks: 0
; VGPRBlocks: 4
; NumSGPRsForWavesPerEU: 48
; NumVGPRsForWavesPerEU: 36
; Occupancy: 16
; WaveLimiterHint : 1
; COMPUTE_PGM_RSRC2:SCRATCH_EN: 0
; COMPUTE_PGM_RSRC2:USER_SGPR: 2
; COMPUTE_PGM_RSRC2:TRAP_HANDLER: 0
; COMPUTE_PGM_RSRC2:TGID_X_EN: 1
; COMPUTE_PGM_RSRC2:TGID_Y_EN: 1
; COMPUTE_PGM_RSRC2:TGID_Z_EN: 1
; COMPUTE_PGM_RSRC2:TIDIG_COMP_CNT: 0
	.section	.text._ZN4vllm25paged_attention_v2_kernelIthLi64ELi8ELi128ELNS_18Fp8KVCacheDataTypeE1ELb1ELi512EEEvPfS2_PT_PKS3_PKT0_S9_ifPKiSB_iPKfiiiSD_SD_iiiii,"axG",@progbits,_ZN4vllm25paged_attention_v2_kernelIthLi64ELi8ELi128ELNS_18Fp8KVCacheDataTypeE1ELb1ELi512EEEvPfS2_PT_PKS3_PKT0_S9_ifPKiSB_iPKfiiiSD_SD_iiiii,comdat
	.protected	_ZN4vllm25paged_attention_v2_kernelIthLi64ELi8ELi128ELNS_18Fp8KVCacheDataTypeE1ELb1ELi512EEEvPfS2_PT_PKS3_PKT0_S9_ifPKiSB_iPKfiiiSD_SD_iiiii ; -- Begin function _ZN4vllm25paged_attention_v2_kernelIthLi64ELi8ELi128ELNS_18Fp8KVCacheDataTypeE1ELb1ELi512EEEvPfS2_PT_PKS3_PKT0_S9_ifPKiSB_iPKfiiiSD_SD_iiiii
	.globl	_ZN4vllm25paged_attention_v2_kernelIthLi64ELi8ELi128ELNS_18Fp8KVCacheDataTypeE1ELb1ELi512EEEvPfS2_PT_PKS3_PKT0_S9_ifPKiSB_iPKfiiiSD_SD_iiiii
	.p2align	8
	.type	_ZN4vllm25paged_attention_v2_kernelIthLi64ELi8ELi128ELNS_18Fp8KVCacheDataTypeE1ELb1ELi512EEEvPfS2_PT_PKS3_PKT0_S9_ifPKiSB_iPKfiiiSD_SD_iiiii,@function
_ZN4vllm25paged_attention_v2_kernelIthLi64ELi8ELi128ELNS_18Fp8KVCacheDataTypeE1ELb1ELi512EEEvPfS2_PT_PKS3_PKT0_S9_ifPKiSB_iPKfiiiSD_SD_iiiii: ; @_ZN4vllm25paged_attention_v2_kernelIthLi64ELi8ELi128ELNS_18Fp8KVCacheDataTypeE1ELb1ELi512EEEvPfS2_PT_PKS3_PKT0_S9_ifPKiSB_iPKfiiiSD_SD_iiiii
; %bb.0:
	s_load_b64 s[2:3], s[0:1], 0x40
	s_and_b32 s38, ttmp7, 0xffff
	s_lshr_b32 s37, ttmp7, 16
	s_lshl_b32 s4, s38, 2
	s_lshl_b32 s40, s37, 9
	s_wait_kmcnt 0x0
	s_load_b32 s33, s[2:3], s4 offset:0x0
	s_wait_kmcnt 0x0
	s_cmp_ge_i32 s40, s33
	s_cbranch_scc1 .LBB244_314
; %bb.1:
	s_clause 0x1
	s_load_b32 s39, s[0:1], 0x90
	s_load_b64 s[6:7], s[0:1], 0x30
	s_wait_kmcnt 0x0
	s_abs_i32 s5, s39
	s_abs_i32 s2, s6
	s_delay_alu instid0(SALU_CYCLE_1) | instskip(SKIP_1) | instid1(SALU_CYCLE_2)
	s_cvt_f32_u32 s3, s2
	s_sub_co_i32 s4, 0, s2
	v_rcp_iflag_f32_e32 v1, s3
	s_delay_alu instid0(TRANS32_DEP_1) | instskip(SKIP_2) | instid1(SALU_CYCLE_2)
	v_readfirstlane_b32 s3, v1
	s_mul_f32 s3, s3, 0x4f7ffffe
	s_wait_alu 0xfffe
	s_cvt_u32_f32 s3, s3
	s_wait_alu 0xfffe
	s_delay_alu instid0(SALU_CYCLE_2) | instskip(NEXT) | instid1(SALU_CYCLE_1)
	s_mul_i32 s4, s4, s3
	s_mul_hi_u32 s4, s3, s4
	s_delay_alu instid0(SALU_CYCLE_1)
	s_add_co_i32 s3, s3, s4
	s_xor_b32 s4, s39, s6
	s_wait_alu 0xfffe
	s_mul_hi_u32 s3, s5, s3
	s_ashr_i32 s4, s4, 31
	s_wait_alu 0xfffe
	s_mul_i32 s8, s3, s2
	s_delay_alu instid0(SALU_CYCLE_1)
	s_sub_co_i32 s5, s5, s8
	s_add_co_i32 s8, s3, 1
	s_sub_co_i32 s9, s5, s2
	s_cmp_ge_u32 s5, s2
	s_cselect_b32 s3, s8, s3
	s_cselect_b32 s5, s9, s5
	s_wait_alu 0xfffe
	s_add_co_i32 s8, s3, 1
	s_cmp_ge_u32 s5, s2
	s_mov_b32 s5, 0
	s_cselect_b32 s2, s8, s3
	s_load_b64 s[8:9], s[0:1], 0x50
	s_xor_b32 s2, s2, s4
	s_mov_b32 s18, s5
	s_wait_alu 0xfffe
	s_sub_co_i32 s11, s2, s4
	s_abs_i32 s4, ttmp9
	s_abs_i32 s10, s11
	s_delay_alu instid0(SALU_CYCLE_1) | instskip(SKIP_2) | instid1(SALU_CYCLE_1)
	s_cvt_f32_u32 s2, s10
	s_sub_co_i32 s3, 0, s10
	s_wait_alu 0xfffe
	v_rcp_iflag_f32_e32 v1, s2
	s_delay_alu instid0(TRANS32_DEP_1) | instskip(SKIP_2) | instid1(SALU_CYCLE_2)
	v_readfirstlane_b32 s2, v1
	s_mul_f32 s2, s2, 0x4f7ffffe
	s_wait_alu 0xfffe
	s_cvt_u32_f32 s2, s2
	s_wait_alu 0xfffe
	s_delay_alu instid0(SALU_CYCLE_2)
	s_mul_i32 s3, s3, s2
	s_wait_alu 0xfffe
	s_mul_hi_u32 s3, s2, s3
	s_wait_alu 0xfffe
	s_add_co_i32 s2, s2, s3
	s_mov_b32 s3, s5
	s_wait_kmcnt 0x0
	s_cmp_eq_u64 s[8:9], 0
	s_cbranch_scc1 .LBB244_3
; %bb.2:
	s_mov_b32 s12, ttmp9
	s_ashr_i32 s13, ttmp9, 31
	s_delay_alu instid0(SALU_CYCLE_1) | instskip(NEXT) | instid1(SALU_CYCLE_1)
	s_lshl_b64 s[12:13], s[12:13], 2
	s_add_nc_u64 s[8:9], s[8:9], s[12:13]
	s_load_b32 s18, s[8:9], 0x0
.LBB244_3:
	s_load_b96 s[20:22], s[0:1], 0x58
	s_mul_u64 s[2:3], s[4:5], s[2:3]
	v_and_b32_e32 v1, 3, v0
	v_cmp_gt_u32_e64 s2, 32, v0
	s_ashr_i32 s5, ttmp9, 31
	s_ashr_i32 s8, s11, 31
	s_lshl_b32 s24, ttmp9, 6
	s_wait_alu 0xfffe
	s_and_saveexec_b32 s9, s2
	s_cbranch_execz .LBB244_5
; %bb.4:
	s_load_b64 s[12:13], s[0:1], 0x18
	s_wait_kmcnt 0x0
	s_mul_i32 s14, s20, s38
	s_ashr_i32 s25, s24, 31
	s_ashr_i32 s15, s14, 31
	v_lshlrev_b32_e32 v2, 2, v0
	s_lshl_b64 s[14:15], s[14:15], 1
	v_and_b32_e32 v3, 0x3fc, v0
	s_delay_alu instid0(VALU_DEP_1) | instskip(SKIP_2) | instid1(SALU_CYCLE_1)
	v_lshl_add_u32 v3, v1, 5, v3
	s_add_nc_u64 s[12:13], s[12:13], s[14:15]
	s_lshl_b64 s[14:15], s[24:25], 1
	s_add_nc_u64 s[12:13], s[12:13], s[14:15]
	global_load_b32 v2, v2, s[12:13]
	s_wait_loadcnt 0x0
	ds_store_b32 v3, v2
.LBB244_5:
	s_or_b32 exec_lo, exec_lo, s9
	s_load_b128 s[12:15], s[0:1], 0x78
	s_mul_i32 s9, s3, s10
	s_xor_b32 s5, s5, s8
	s_sub_co_i32 s4, s4, s9
	s_add_co_i32 s8, s3, 1
	s_sub_co_i32 s9, s4, s10
	s_cmp_ge_u32 s4, s10
                                        ; implicit-def: $sgpr25
	s_cselect_b32 s3, s8, s3
	s_cselect_b32 s4, s9, s4
	s_wait_alu 0xfffe
	s_add_co_i32 s8, s3, 1
	s_cmp_ge_u32 s4, s10
	s_mov_b32 s9, -1
	s_cselect_b32 s4, s8, s3
	s_load_b32 s3, s[0:1], 0x88
	s_xor_b32 s4, s4, s5
	s_wait_dscnt 0x0
	s_sub_co_i32 s19, s4, s5
	s_barrier_signal -1
	s_barrier_wait -1
	s_wait_kmcnt 0x0
	s_abs_i32 s20, s15
	global_inv scope:SCOPE_SE
	s_cvt_f32_u32 s8, s20
	s_delay_alu instid0(SALU_CYCLE_3) | instskip(NEXT) | instid1(TRANS32_DEP_1)
	v_rcp_iflag_f32_e32 v2, s8
	v_readfirstlane_b32 s8, v2
	s_mul_f32 s4, s8, 0x4f7ffffe
	s_add_co_i32 s8, s33, -1
	s_delay_alu instid0(SALU_CYCLE_2) | instskip(SKIP_1) | instid1(SALU_CYCLE_2)
	s_cvt_u32_f32 s10, s4
	s_sub_co_i32 s4, 0, s20
	s_mul_i32 s5, s4, s10
	s_wait_alu 0xfffe
	s_abs_i32 s4, s8
	s_mul_hi_u32 s11, s10, s5
	s_mov_b32 s5, 0
	s_add_co_i32 s26, s10, s11
	s_cmp_lt_i32 s3, 0
	s_mov_b32 s27, s5
	s_cbranch_scc0 .LBB244_7
; %bb.6:
	s_mul_i32 s6, s12, s6
	s_mov_b32 s9, s5
	s_add_co_i32 s6, s19, s6
	s_delay_alu instid0(SALU_CYCLE_1) | instskip(NEXT) | instid1(SALU_CYCLE_1)
	s_mul_i32 s6, s6, s3
	s_sub_co_i32 s25, 1, s6
.LBB244_7:
	s_mul_u64 s[16:17], s[4:5], s[26:27]
	s_ashr_i32 s5, s8, 31
	s_wait_alu 0xfffe
	s_and_not1_b32 vcc_lo, exec_lo, s9
	s_ashr_i32 s27, s15, 31
	s_cbranch_vccnz .LBB244_9
; %bb.8:
	s_mul_i32 s6, s39, s12
	s_delay_alu instid0(SALU_CYCLE_1) | instskip(NEXT) | instid1(SALU_CYCLE_1)
	s_add_co_i32 s6, s6, ttmp9
	s_mul_i32 s3, s6, s3
	s_wait_alu 0xfffe
	s_add_co_i32 s25, s3, 1
.LBB244_9:
	s_clause 0x3
	s_load_b32 s3, s[0:1], 0x48
	s_load_b64 s[28:29], s[0:1], 0x38
	s_load_b32 s12, s[0:1], 0x98
	s_load_b128 s[8:11], s[0:1], 0x68
	s_mul_i32 s6, s17, s20
	s_xor_b32 s5, s5, s27
	s_sub_co_i32 s4, s4, s6
	s_add_co_i32 s15, s17, 1
	v_lshrrev_b32_e32 v11, 5, v0
	v_mov_b32_e32 v15, 0xff7fffff
	v_mbcnt_lo_u32_b32 v10, -1, 0
	s_mul_i32 s22, s19, s22
	s_delay_alu instid0(VALU_DEP_3)
	v_lshl_add_u32 v12, v11, 3, s40
	s_wait_kmcnt 0x0
	s_mul_i32 s30, s3, s38
	s_sub_co_i32 s3, s4, s20
	s_ashr_i32 s31, s30, 31
	s_cmp_ge_u32 s4, s20
	s_cselect_b32 s6, s15, s17
	s_wait_alu 0xfffe
	s_cselect_b32 s3, s3, s4
	s_add_co_i32 s4, s6, 1
	s_wait_alu 0xfffe
	s_cmp_ge_u32 s3, s20
	s_cselect_b32 s3, s4, s6
	s_add_co_i32 s4, s33, 7
	s_lshl_b32 s15, s37, 6
	s_ashr_i32 s6, s4, 31
	v_or_b32_e32 v13, s15, v11
	s_lshr_b32 s6, s6, 29
	s_delay_alu instid0(SALU_CYCLE_1)
	s_add_co_i32 s4, s4, s6
	s_add_co_i32 s6, s15, 64
	s_ashr_i32 s41, s4, 3
	s_wait_alu 0xfffe
	s_xor_b32 s4, s3, s5
	s_min_i32 s36, s6, s41
	v_lshlrev_b32_e32 v9, 2, v13
	v_cmp_gt_i32_e64 s3, s36, v13
	s_sub_co_i32 s42, s4, s5
	s_and_saveexec_b32 s16, s3
	s_cbranch_execz .LBB244_149
; %bb.10:
	s_sub_co_i32 s17, s42, s13
	s_ashr_i32 s23, s22, 31
	s_cmp_neq_f32 s18, 0
	s_load_b64 s[44:45], s[0:1], 0x20
	v_bfe_u32 v14, v0, 2, 3
	v_mov_b32_e32 v2, 0
	s_cselect_b32 vcc_lo, -1, 0
	s_abs_i32 s19, s14
	v_dual_mov_b32 v15, 0xff7fffff :: v_dual_lshlrev_b32 v4, 1, v1
	s_cvt_f32_u32 s4, s19
	v_dual_mov_b32 v21, v13 :: v_dual_lshlrev_b32 v16, 5, v1
	v_dual_mov_b32 v20, 0xff7fffff :: v_dual_lshlrev_b32 v5, 2, v14
	s_delay_alu instid0(SALU_CYCLE_1) | instskip(SKIP_2) | instid1(VALU_DEP_3)
	v_rcp_iflag_f32_e32 v3, s4
	v_cmp_eq_u32_e64 s4, 0, v1
	v_lshlrev_b32_e32 v1, 4, v14
	v_lshl_or_b32 v8, v11, 5, v5
	s_lshl_b64 s[46:47], s[30:31], 2
	v_subrev_nc_u32_e32 v7, s33, v14
	s_add_nc_u64 s[46:47], s[28:29], s[46:47]
	s_sub_co_i32 s6, 0, s19
	s_wait_kmcnt 0x0
	s_add_nc_u64 s[44:45], s[44:45], s[22:23]
	v_lshl_add_u32 v17, v11, 3, s40
	v_readfirstlane_b32 s5, v3
	v_add_co_u32 v1, s23, s44, v1
	s_delay_alu instid0(VALU_DEP_1)
	v_add_co_ci_u32_e64 v5, null, s45, 0, s23
	s_mul_f32 s5, s5, 0x4f7ffffe
	v_add_nc_u32_e32 v18, 1, v7
	v_add_nc_u32_e32 v19, 0xa0, v8
	s_mov_b32 s34, 0
	s_wait_alu 0xfffe
	s_cvt_u32_f32 s35, s5
	v_add_co_u32 v3, s5, v1, v4
	s_wait_alu 0xf1ff
	v_add_co_ci_u32_e64 v4, null, 0, v5, s5
	v_add_co_u32 v5, s5, s46, v9
	s_mul_i32 s6, s6, s35
	s_wait_alu 0xf1ff
	v_add_co_ci_u32_e64 v6, null, s47, 0, s5
	s_mul_hi_u32 s5, s35, s6
	s_mov_b32 s23, s21
	s_wait_alu 0xfffe
	s_add_co_i32 s35, s35, s5
	s_branch .LBB244_13
.LBB244_11:                             ;   in Loop: Header=BB244_13 Depth=1
	s_or_b32 exec_lo, exec_lo, s43
.LBB244_12:                             ;   in Loop: Header=BB244_13 Depth=1
	s_wait_alu 0xfffe
	s_or_b32 exec_lo, exec_lo, s6
	v_add_nc_u32_e32 v21, 4, v21
	v_add_co_u32 v5, s6, v5, 16
	s_wait_alu 0xf1ff
	v_add_co_ci_u32_e64 v6, null, 0, v6, s6
	s_delay_alu instid0(VALU_DEP_3)
	v_cmp_le_i32_e64 s5, s36, v21
	v_add_nc_u32_e32 v17, 32, v17
	v_add_nc_u32_e32 v19, 0x80, v19
	s_or_b32 s34, s5, s34
	s_wait_alu 0xfffe
	s_and_not1_b32 exec_lo, exec_lo, s34
	s_cbranch_execz .LBB244_148
.LBB244_13:                             ; =>This Inner Loop Header: Depth=1
	v_sub_nc_u32_e32 v1, 0, v17
	s_delay_alu instid0(VALU_DEP_1) | instskip(SKIP_1) | instid1(VALU_DEP_1)
	v_max_i32_e32 v1, v17, v1
	s_wait_dscnt 0x0
	v_mul_hi_u32 v7, v1, s26
	s_delay_alu instid0(VALU_DEP_1) | instskip(NEXT) | instid1(VALU_DEP_1)
	v_mul_lo_u32 v8, v7, s20
	v_sub_nc_u32_e32 v1, v1, v8
	v_add_nc_u32_e32 v8, 1, v7
	s_delay_alu instid0(VALU_DEP_2) | instskip(SKIP_2) | instid1(VALU_DEP_1)
	v_subrev_nc_u32_e32 v22, s20, v1
	v_cmp_le_u32_e64 s5, s20, v1
	s_wait_alu 0xf1ff
	v_cndmask_b32_e64 v7, v7, v8, s5
	s_delay_alu instid0(VALU_DEP_3) | instskip(SKIP_1) | instid1(VALU_DEP_3)
	v_cndmask_b32_e64 v1, v1, v22, s5
	v_ashrrev_i32_e32 v8, 31, v17
	v_add_nc_u32_e32 v22, 1, v7
	s_delay_alu instid0(VALU_DEP_3) | instskip(NEXT) | instid1(VALU_DEP_3)
	v_cmp_le_u32_e64 s5, s20, v1
	v_xor_b32_e32 v8, s27, v8
	s_wait_alu 0xf1ff
	s_delay_alu instid0(VALU_DEP_2) | instskip(NEXT) | instid1(VALU_DEP_1)
	v_cndmask_b32_e64 v1, v7, v22, s5
	v_xor_b32_e32 v1, v1, v8
	s_delay_alu instid0(VALU_DEP_1) | instskip(NEXT) | instid1(VALU_DEP_1)
	v_sub_nc_u32_e32 v1, v1, v8
	v_add_nc_u32_e32 v7, s25, v1
	v_cmp_ge_i32_e64 s6, s17, v1
	s_delay_alu instid0(VALU_DEP_2) | instskip(NEXT) | instid1(VALU_DEP_1)
	v_sub_nc_u32_e32 v8, 0, v7
	v_max_i32_e32 v8, v7, v8
	v_ashrrev_i32_e32 v7, 31, v7
	s_delay_alu instid0(VALU_DEP_2) | instskip(NEXT) | instid1(VALU_DEP_1)
	v_mul_hi_u32 v22, v8, s35
	v_mul_lo_u32 v22, v22, s19
	s_delay_alu instid0(VALU_DEP_1) | instskip(NEXT) | instid1(VALU_DEP_1)
	v_sub_nc_u32_e32 v8, v8, v22
	v_subrev_nc_u32_e32 v22, s19, v8
	v_cmp_le_u32_e64 s5, s19, v8
	s_wait_alu 0xf1ff
	s_delay_alu instid0(VALU_DEP_1) | instskip(NEXT) | instid1(VALU_DEP_1)
	v_cndmask_b32_e64 v8, v8, v22, s5
	v_subrev_nc_u32_e32 v22, s19, v8
	v_cmp_le_u32_e64 s5, s19, v8
	s_wait_alu 0xf1ff
	s_delay_alu instid0(VALU_DEP_1) | instskip(NEXT) | instid1(VALU_DEP_1)
	v_cndmask_b32_e64 v8, v8, v22, s5
	v_xor_b32_e32 v8, v8, v7
	s_delay_alu instid0(VALU_DEP_1) | instskip(NEXT) | instid1(VALU_DEP_1)
	v_sub_nc_u32_e32 v7, v8, v7
	v_cmp_ne_u32_e64 s5, 0, v7
	s_and_b32 s5, s5, s6
	s_wait_alu 0xfffe
	s_and_saveexec_b32 s6, s5
	s_wait_alu 0xfffe
	s_xor_b32 s5, exec_lo, s6
	s_cbranch_execz .LBB244_17
; %bb.14:                               ;   in Loop: Header=BB244_13 Depth=1
	s_and_saveexec_b32 s6, s4
; %bb.15:                               ;   in Loop: Header=BB244_13 Depth=1
	ds_store_b32 v19, v20
; %bb.16:                               ;   in Loop: Header=BB244_13 Depth=1
	s_wait_alu 0xfffe
	s_or_b32 exec_lo, exec_lo, s6
.LBB244_17:                             ;   in Loop: Header=BB244_13 Depth=1
	s_wait_alu 0xfffe
	s_and_not1_saveexec_b32 s6, s5
	s_cbranch_execz .LBB244_12
; %bb.18:                               ;   in Loop: Header=BB244_13 Depth=1
	global_load_b32 v1, v[5:6], off
	s_wait_loadcnt 0x0
	v_mad_co_i64_i32 v[7:8], null, v1, s23, v[3:4]
	global_load_u16 v1, v[7:8], off
	s_wait_loadcnt 0x0
	v_dual_mov_b32 v23, 0 :: v_dual_and_b32 v24, 0xff, v1
	global_load_b32 v22, v23, s[8:9]
	v_and_b32_e32 v1, 0xffff, v1
	v_cmp_ne_u16_e64 s5, 0, v24
	v_mov_b32_e32 v24, 0
	s_and_saveexec_b32 s43, s5
	s_cbranch_execz .LBB244_26
; %bb.19:                               ;   in Loop: Header=BB244_13 Depth=1
	v_and_b32_e32 v24, 0xff, v1
	s_delay_alu instid0(VALU_DEP_1)
	v_cmp_ne_u16_e64 s5, 0x80, v24
	v_mov_b32_e32 v24, 0x8000
	s_and_saveexec_b32 s44, s5
	s_cbranch_execz .LBB244_25
; %bb.20:                               ;   in Loop: Header=BB244_13 Depth=1
	v_and_b32_e32 v26, 0x7f, v1
	v_mov_b32_e32 v24, 0x7c01
	s_mov_b32 s45, exec_lo
	s_delay_alu instid0(VALU_DEP_2)
	v_cmpx_ne_u32_e32 0x7f, v26
	s_cbranch_execz .LBB244_24
; %bb.21:                               ;   in Loop: Header=BB244_13 Depth=1
	v_and_b32_e32 v24, 7, v1
	v_lshrrev_b32_e32 v25, 3, v26
	s_mov_b32 s46, exec_lo
	v_cmpx_gt_u32_e32 8, v26
; %bb.22:                               ;   in Loop: Header=BB244_13 Depth=1
	s_delay_alu instid0(VALU_DEP_3) | instskip(NEXT) | instid1(VALU_DEP_1)
	v_clz_i32_u32_e32 v24, v24
	v_min_u32_e32 v26, 32, v24
	s_delay_alu instid0(VALU_DEP_1) | instskip(NEXT) | instid1(VALU_DEP_1)
	v_subrev_nc_u32_e32 v24, 28, v26
	v_lshlrev_b64_e32 v[24:25], v24, v[1:2]
	v_sub_nc_u32_e32 v25, 29, v26
	s_delay_alu instid0(VALU_DEP_2)
	v_and_b32_e32 v24, 7, v24
; %bb.23:                               ;   in Loop: Header=BB244_13 Depth=1
	s_wait_alu 0xfffe
	s_or_b32 exec_lo, exec_lo, s46
	v_lshlrev_b32_e32 v26, 8, v1
	v_lshl_add_u32 v25, v25, 10, 0x2000
	v_lshlrev_b32_e32 v24, 7, v24
	s_delay_alu instid0(VALU_DEP_3) | instskip(NEXT) | instid1(VALU_DEP_3)
	v_and_b32_e32 v26, 0x8000, v26
	v_and_b32_e32 v25, 0xfc00, v25
	s_delay_alu instid0(VALU_DEP_1)
	v_or3_b32 v24, v26, v25, v24
.LBB244_24:                             ;   in Loop: Header=BB244_13 Depth=1
	s_wait_alu 0xfffe
	s_or_b32 exec_lo, exec_lo, s45
.LBB244_25:                             ;   in Loop: Header=BB244_13 Depth=1
	s_wait_alu 0xfffe
	s_or_b32 exec_lo, exec_lo, s44
.LBB244_26:                             ;   in Loop: Header=BB244_13 Depth=1
	s_delay_alu instid0(SALU_CYCLE_1) | instskip(SKIP_2) | instid1(VALU_DEP_1)
	s_or_b32 exec_lo, exec_lo, s43
	v_lshrrev_b16 v1, 8, v1
	s_mov_b32 s43, exec_lo
	v_cmpx_ne_u16_e32 0, v1
	s_cbranch_execz .LBB244_34
; %bb.27:                               ;   in Loop: Header=BB244_13 Depth=1
	v_bfrev_b32_e32 v23, 1
	s_mov_b32 s44, exec_lo
	v_cmpx_ne_u16_e32 0x80, v1
	s_cbranch_execz .LBB244_33
; %bb.28:                               ;   in Loop: Header=BB244_13 Depth=1
	v_and_b32_e32 v25, 0xffff, v1
	v_mov_b32_e32 v23, 0x7c010000
	s_mov_b32 s45, exec_lo
	s_delay_alu instid0(VALU_DEP_2) | instskip(NEXT) | instid1(VALU_DEP_1)
	v_and_b32_e32 v27, 0x7f, v25
	v_cmpx_ne_u32_e32 0x7f, v27
	s_cbranch_execz .LBB244_32
; %bb.29:                               ;   in Loop: Header=BB244_13 Depth=1
	v_and_b32_e32 v23, 7, v25
	v_lshrrev_b32_e32 v26, 3, v27
	s_mov_b32 s46, exec_lo
	v_cmpx_gt_u32_e32 8, v27
; %bb.30:                               ;   in Loop: Header=BB244_13 Depth=1
	s_delay_alu instid0(VALU_DEP_3) | instskip(NEXT) | instid1(VALU_DEP_1)
	v_clz_i32_u32_e32 v23, v23
	v_min_u32_e32 v23, 32, v23
	s_delay_alu instid0(VALU_DEP_1) | instskip(NEXT) | instid1(VALU_DEP_1)
	v_subrev_nc_u32_e32 v26, 28, v23
	v_lshlrev_b64_e32 v[27:28], v26, v[1:2]
	v_sub_nc_u32_e32 v26, 29, v23
	s_delay_alu instid0(VALU_DEP_2)
	v_and_b32_e32 v23, 7, v27
; %bb.31:                               ;   in Loop: Header=BB244_13 Depth=1
	s_wait_alu 0xfffe
	s_or_b32 exec_lo, exec_lo, s46
	v_lshlrev_b32_e32 v1, 8, v25
	v_lshl_add_u32 v25, v26, 10, 0x2000
	v_lshlrev_b32_e32 v23, 23, v23
	s_delay_alu instid0(VALU_DEP_2) | instskip(NEXT) | instid1(VALU_DEP_1)
	v_and_or_b32 v1, 0x8000, v1, v25
	v_lshl_or_b32 v23, v1, 16, v23
.LBB244_32:                             ;   in Loop: Header=BB244_13 Depth=1
	s_wait_alu 0xfffe
	s_or_b32 exec_lo, exec_lo, s45
.LBB244_33:                             ;   in Loop: Header=BB244_13 Depth=1
	s_wait_alu 0xfffe
	s_or_b32 exec_lo, exec_lo, s44
.LBB244_34:                             ;   in Loop: Header=BB244_13 Depth=1
	s_delay_alu instid0(SALU_CYCLE_1) | instskip(SKIP_4) | instid1(VALU_DEP_2)
	s_or_b32 exec_lo, exec_lo, s43
	global_load_u16 v1, v[7:8], off offset:8
	s_wait_loadcnt 0x0
	v_dual_mov_b32 v25, 0 :: v_dual_and_b32 v26, 0xff, v1
	v_and_b32_e32 v1, 0xffff, v1
	v_cmp_ne_u16_e64 s5, 0, v26
	v_mov_b32_e32 v26, 0
	s_and_saveexec_b32 s43, s5
	s_cbranch_execz .LBB244_42
; %bb.35:                               ;   in Loop: Header=BB244_13 Depth=1
	v_and_b32_e32 v26, 0xff, v1
	s_delay_alu instid0(VALU_DEP_1)
	v_cmp_ne_u16_e64 s5, 0x80, v26
	v_mov_b32_e32 v26, 0x8000
	s_and_saveexec_b32 s44, s5
	s_cbranch_execz .LBB244_41
; %bb.36:                               ;   in Loop: Header=BB244_13 Depth=1
	v_and_b32_e32 v28, 0x7f, v1
	v_mov_b32_e32 v26, 0x7c01
	s_mov_b32 s45, exec_lo
	s_delay_alu instid0(VALU_DEP_2)
	v_cmpx_ne_u32_e32 0x7f, v28
	s_cbranch_execz .LBB244_40
; %bb.37:                               ;   in Loop: Header=BB244_13 Depth=1
	v_and_b32_e32 v26, 7, v1
	v_lshrrev_b32_e32 v27, 3, v28
	s_mov_b32 s46, exec_lo
	v_cmpx_gt_u32_e32 8, v28
; %bb.38:                               ;   in Loop: Header=BB244_13 Depth=1
	s_delay_alu instid0(VALU_DEP_3) | instskip(NEXT) | instid1(VALU_DEP_1)
	v_clz_i32_u32_e32 v26, v26
	v_min_u32_e32 v28, 32, v26
	s_delay_alu instid0(VALU_DEP_1) | instskip(NEXT) | instid1(VALU_DEP_1)
	v_subrev_nc_u32_e32 v26, 28, v28
	v_lshlrev_b64_e32 v[26:27], v26, v[1:2]
	v_sub_nc_u32_e32 v27, 29, v28
	s_delay_alu instid0(VALU_DEP_2)
	v_and_b32_e32 v26, 7, v26
; %bb.39:                               ;   in Loop: Header=BB244_13 Depth=1
	s_wait_alu 0xfffe
	s_or_b32 exec_lo, exec_lo, s46
	v_lshlrev_b32_e32 v28, 8, v1
	v_lshl_add_u32 v27, v27, 10, 0x2000
	v_lshlrev_b32_e32 v26, 7, v26
	s_delay_alu instid0(VALU_DEP_3) | instskip(NEXT) | instid1(VALU_DEP_3)
	v_and_b32_e32 v28, 0x8000, v28
	v_and_b32_e32 v27, 0xfc00, v27
	s_delay_alu instid0(VALU_DEP_1)
	v_or3_b32 v26, v28, v27, v26
.LBB244_40:                             ;   in Loop: Header=BB244_13 Depth=1
	s_wait_alu 0xfffe
	s_or_b32 exec_lo, exec_lo, s45
.LBB244_41:                             ;   in Loop: Header=BB244_13 Depth=1
	s_wait_alu 0xfffe
	s_or_b32 exec_lo, exec_lo, s44
.LBB244_42:                             ;   in Loop: Header=BB244_13 Depth=1
	s_delay_alu instid0(SALU_CYCLE_1) | instskip(SKIP_2) | instid1(VALU_DEP_1)
	s_or_b32 exec_lo, exec_lo, s43
	v_lshrrev_b16 v1, 8, v1
	s_mov_b32 s43, exec_lo
	v_cmpx_ne_u16_e32 0, v1
	s_cbranch_execz .LBB244_50
; %bb.43:                               ;   in Loop: Header=BB244_13 Depth=1
	v_bfrev_b32_e32 v25, 1
	s_mov_b32 s44, exec_lo
	v_cmpx_ne_u16_e32 0x80, v1
	s_cbranch_execz .LBB244_49
; %bb.44:                               ;   in Loop: Header=BB244_13 Depth=1
	v_and_b32_e32 v27, 0xffff, v1
	v_mov_b32_e32 v25, 0x7c010000
	s_mov_b32 s45, exec_lo
	s_delay_alu instid0(VALU_DEP_2) | instskip(NEXT) | instid1(VALU_DEP_1)
	v_and_b32_e32 v29, 0x7f, v27
	v_cmpx_ne_u32_e32 0x7f, v29
	s_cbranch_execz .LBB244_48
; %bb.45:                               ;   in Loop: Header=BB244_13 Depth=1
	v_and_b32_e32 v25, 7, v27
	v_lshrrev_b32_e32 v28, 3, v29
	s_mov_b32 s46, exec_lo
	v_cmpx_gt_u32_e32 8, v29
; %bb.46:                               ;   in Loop: Header=BB244_13 Depth=1
	s_delay_alu instid0(VALU_DEP_3) | instskip(NEXT) | instid1(VALU_DEP_1)
	v_clz_i32_u32_e32 v25, v25
	v_min_u32_e32 v25, 32, v25
	s_delay_alu instid0(VALU_DEP_1) | instskip(NEXT) | instid1(VALU_DEP_1)
	v_subrev_nc_u32_e32 v28, 28, v25
	v_lshlrev_b64_e32 v[29:30], v28, v[1:2]
	v_sub_nc_u32_e32 v28, 29, v25
	s_delay_alu instid0(VALU_DEP_2)
	v_and_b32_e32 v25, 7, v29
; %bb.47:                               ;   in Loop: Header=BB244_13 Depth=1
	s_wait_alu 0xfffe
	s_or_b32 exec_lo, exec_lo, s46
	v_lshlrev_b32_e32 v1, 8, v27
	v_lshl_add_u32 v27, v28, 10, 0x2000
	v_lshlrev_b32_e32 v25, 23, v25
	s_delay_alu instid0(VALU_DEP_2) | instskip(NEXT) | instid1(VALU_DEP_1)
	v_and_or_b32 v1, 0x8000, v1, v27
	v_lshl_or_b32 v25, v1, 16, v25
.LBB244_48:                             ;   in Loop: Header=BB244_13 Depth=1
	s_wait_alu 0xfffe
	s_or_b32 exec_lo, exec_lo, s45
.LBB244_49:                             ;   in Loop: Header=BB244_13 Depth=1
	s_wait_alu 0xfffe
	s_or_b32 exec_lo, exec_lo, s44
.LBB244_50:                             ;   in Loop: Header=BB244_13 Depth=1
	s_delay_alu instid0(SALU_CYCLE_1) | instskip(SKIP_4) | instid1(VALU_DEP_2)
	s_or_b32 exec_lo, exec_lo, s43
	global_load_u16 v1, v[7:8], off offset:128
	s_wait_loadcnt 0x0
	v_dual_mov_b32 v27, 0 :: v_dual_and_b32 v28, 0xff, v1
	v_and_b32_e32 v1, 0xffff, v1
	v_cmp_ne_u16_e64 s5, 0, v28
	v_mov_b32_e32 v28, 0
	s_and_saveexec_b32 s43, s5
	s_cbranch_execz .LBB244_58
; %bb.51:                               ;   in Loop: Header=BB244_13 Depth=1
	v_and_b32_e32 v28, 0xff, v1
	s_delay_alu instid0(VALU_DEP_1)
	v_cmp_ne_u16_e64 s5, 0x80, v28
	v_mov_b32_e32 v28, 0x8000
	s_and_saveexec_b32 s44, s5
	s_cbranch_execz .LBB244_57
; %bb.52:                               ;   in Loop: Header=BB244_13 Depth=1
	v_and_b32_e32 v30, 0x7f, v1
	v_mov_b32_e32 v28, 0x7c01
	s_mov_b32 s45, exec_lo
	s_delay_alu instid0(VALU_DEP_2)
	v_cmpx_ne_u32_e32 0x7f, v30
	s_cbranch_execz .LBB244_56
; %bb.53:                               ;   in Loop: Header=BB244_13 Depth=1
	v_and_b32_e32 v28, 7, v1
	v_lshrrev_b32_e32 v29, 3, v30
	s_mov_b32 s46, exec_lo
	v_cmpx_gt_u32_e32 8, v30
; %bb.54:                               ;   in Loop: Header=BB244_13 Depth=1
	s_delay_alu instid0(VALU_DEP_3) | instskip(NEXT) | instid1(VALU_DEP_1)
	v_clz_i32_u32_e32 v28, v28
	v_min_u32_e32 v30, 32, v28
	s_delay_alu instid0(VALU_DEP_1) | instskip(NEXT) | instid1(VALU_DEP_1)
	v_subrev_nc_u32_e32 v28, 28, v30
	v_lshlrev_b64_e32 v[28:29], v28, v[1:2]
	v_sub_nc_u32_e32 v29, 29, v30
	s_delay_alu instid0(VALU_DEP_2)
	v_and_b32_e32 v28, 7, v28
; %bb.55:                               ;   in Loop: Header=BB244_13 Depth=1
	s_wait_alu 0xfffe
	s_or_b32 exec_lo, exec_lo, s46
	v_lshlrev_b32_e32 v30, 8, v1
	v_lshl_add_u32 v29, v29, 10, 0x2000
	v_lshlrev_b32_e32 v28, 7, v28
	s_delay_alu instid0(VALU_DEP_3) | instskip(NEXT) | instid1(VALU_DEP_3)
	v_and_b32_e32 v30, 0x8000, v30
	v_and_b32_e32 v29, 0xfc00, v29
	s_delay_alu instid0(VALU_DEP_1)
	v_or3_b32 v28, v30, v29, v28
.LBB244_56:                             ;   in Loop: Header=BB244_13 Depth=1
	s_wait_alu 0xfffe
	s_or_b32 exec_lo, exec_lo, s45
.LBB244_57:                             ;   in Loop: Header=BB244_13 Depth=1
	s_wait_alu 0xfffe
	s_or_b32 exec_lo, exec_lo, s44
.LBB244_58:                             ;   in Loop: Header=BB244_13 Depth=1
	s_delay_alu instid0(SALU_CYCLE_1) | instskip(SKIP_2) | instid1(VALU_DEP_1)
	s_or_b32 exec_lo, exec_lo, s43
	v_lshrrev_b16 v1, 8, v1
	s_mov_b32 s43, exec_lo
	v_cmpx_ne_u16_e32 0, v1
	s_cbranch_execz .LBB244_66
; %bb.59:                               ;   in Loop: Header=BB244_13 Depth=1
	v_bfrev_b32_e32 v27, 1
	s_mov_b32 s44, exec_lo
	v_cmpx_ne_u16_e32 0x80, v1
	s_cbranch_execz .LBB244_65
; %bb.60:                               ;   in Loop: Header=BB244_13 Depth=1
	v_and_b32_e32 v29, 0xffff, v1
	v_mov_b32_e32 v27, 0x7c010000
	s_mov_b32 s45, exec_lo
	s_delay_alu instid0(VALU_DEP_2) | instskip(NEXT) | instid1(VALU_DEP_1)
	v_and_b32_e32 v31, 0x7f, v29
	v_cmpx_ne_u32_e32 0x7f, v31
	s_cbranch_execz .LBB244_64
; %bb.61:                               ;   in Loop: Header=BB244_13 Depth=1
	v_and_b32_e32 v27, 7, v29
	v_lshrrev_b32_e32 v30, 3, v31
	s_mov_b32 s46, exec_lo
	v_cmpx_gt_u32_e32 8, v31
; %bb.62:                               ;   in Loop: Header=BB244_13 Depth=1
	s_delay_alu instid0(VALU_DEP_3) | instskip(NEXT) | instid1(VALU_DEP_1)
	v_clz_i32_u32_e32 v27, v27
	v_min_u32_e32 v27, 32, v27
	s_delay_alu instid0(VALU_DEP_1) | instskip(NEXT) | instid1(VALU_DEP_1)
	v_subrev_nc_u32_e32 v30, 28, v27
	v_lshlrev_b64_e32 v[31:32], v30, v[1:2]
	v_sub_nc_u32_e32 v30, 29, v27
	s_delay_alu instid0(VALU_DEP_2)
	v_and_b32_e32 v27, 7, v31
; %bb.63:                               ;   in Loop: Header=BB244_13 Depth=1
	s_wait_alu 0xfffe
	s_or_b32 exec_lo, exec_lo, s46
	v_lshlrev_b32_e32 v1, 8, v29
	v_lshl_add_u32 v29, v30, 10, 0x2000
	v_lshlrev_b32_e32 v27, 23, v27
	s_delay_alu instid0(VALU_DEP_2) | instskip(NEXT) | instid1(VALU_DEP_1)
	v_and_or_b32 v1, 0x8000, v1, v29
	v_lshl_or_b32 v27, v1, 16, v27
.LBB244_64:                             ;   in Loop: Header=BB244_13 Depth=1
	s_wait_alu 0xfffe
	s_or_b32 exec_lo, exec_lo, s45
.LBB244_65:                             ;   in Loop: Header=BB244_13 Depth=1
	s_wait_alu 0xfffe
	s_or_b32 exec_lo, exec_lo, s44
.LBB244_66:                             ;   in Loop: Header=BB244_13 Depth=1
	s_delay_alu instid0(SALU_CYCLE_1) | instskip(SKIP_4) | instid1(VALU_DEP_2)
	s_or_b32 exec_lo, exec_lo, s43
	global_load_u16 v1, v[7:8], off offset:136
	s_wait_loadcnt 0x0
	v_dual_mov_b32 v29, 0 :: v_dual_and_b32 v30, 0xff, v1
	v_and_b32_e32 v1, 0xffff, v1
	v_cmp_ne_u16_e64 s5, 0, v30
	v_mov_b32_e32 v30, 0
	s_and_saveexec_b32 s43, s5
	s_cbranch_execz .LBB244_74
; %bb.67:                               ;   in Loop: Header=BB244_13 Depth=1
	v_and_b32_e32 v30, 0xff, v1
	s_delay_alu instid0(VALU_DEP_1)
	v_cmp_ne_u16_e64 s5, 0x80, v30
	v_mov_b32_e32 v30, 0x8000
	s_and_saveexec_b32 s44, s5
	s_cbranch_execz .LBB244_73
; %bb.68:                               ;   in Loop: Header=BB244_13 Depth=1
	v_and_b32_e32 v32, 0x7f, v1
	v_mov_b32_e32 v30, 0x7c01
	s_mov_b32 s45, exec_lo
	s_delay_alu instid0(VALU_DEP_2)
	v_cmpx_ne_u32_e32 0x7f, v32
	s_cbranch_execz .LBB244_72
; %bb.69:                               ;   in Loop: Header=BB244_13 Depth=1
	v_and_b32_e32 v30, 7, v1
	v_lshrrev_b32_e32 v31, 3, v32
	s_mov_b32 s46, exec_lo
	v_cmpx_gt_u32_e32 8, v32
; %bb.70:                               ;   in Loop: Header=BB244_13 Depth=1
	s_delay_alu instid0(VALU_DEP_3) | instskip(NEXT) | instid1(VALU_DEP_1)
	v_clz_i32_u32_e32 v30, v30
	v_min_u32_e32 v32, 32, v30
	s_delay_alu instid0(VALU_DEP_1) | instskip(NEXT) | instid1(VALU_DEP_1)
	v_subrev_nc_u32_e32 v30, 28, v32
	v_lshlrev_b64_e32 v[30:31], v30, v[1:2]
	v_sub_nc_u32_e32 v31, 29, v32
	s_delay_alu instid0(VALU_DEP_2)
	v_and_b32_e32 v30, 7, v30
; %bb.71:                               ;   in Loop: Header=BB244_13 Depth=1
	s_wait_alu 0xfffe
	s_or_b32 exec_lo, exec_lo, s46
	v_lshlrev_b32_e32 v32, 8, v1
	v_lshl_add_u32 v31, v31, 10, 0x2000
	v_lshlrev_b32_e32 v30, 7, v30
	s_delay_alu instid0(VALU_DEP_3) | instskip(NEXT) | instid1(VALU_DEP_3)
	v_and_b32_e32 v32, 0x8000, v32
	v_and_b32_e32 v31, 0xfc00, v31
	s_delay_alu instid0(VALU_DEP_1)
	v_or3_b32 v30, v32, v31, v30
.LBB244_72:                             ;   in Loop: Header=BB244_13 Depth=1
	s_wait_alu 0xfffe
	s_or_b32 exec_lo, exec_lo, s45
.LBB244_73:                             ;   in Loop: Header=BB244_13 Depth=1
	s_wait_alu 0xfffe
	s_or_b32 exec_lo, exec_lo, s44
.LBB244_74:                             ;   in Loop: Header=BB244_13 Depth=1
	s_delay_alu instid0(SALU_CYCLE_1) | instskip(SKIP_2) | instid1(VALU_DEP_1)
	s_or_b32 exec_lo, exec_lo, s43
	v_lshrrev_b16 v1, 8, v1
	s_mov_b32 s43, exec_lo
	v_cmpx_ne_u16_e32 0, v1
	s_cbranch_execz .LBB244_82
; %bb.75:                               ;   in Loop: Header=BB244_13 Depth=1
	v_bfrev_b32_e32 v29, 1
	s_mov_b32 s44, exec_lo
	v_cmpx_ne_u16_e32 0x80, v1
	s_cbranch_execz .LBB244_81
; %bb.76:                               ;   in Loop: Header=BB244_13 Depth=1
	v_and_b32_e32 v31, 0xffff, v1
	v_mov_b32_e32 v29, 0x7c010000
	s_mov_b32 s45, exec_lo
	s_delay_alu instid0(VALU_DEP_2) | instskip(NEXT) | instid1(VALU_DEP_1)
	v_and_b32_e32 v33, 0x7f, v31
	v_cmpx_ne_u32_e32 0x7f, v33
	s_cbranch_execz .LBB244_80
; %bb.77:                               ;   in Loop: Header=BB244_13 Depth=1
	v_and_b32_e32 v29, 7, v31
	v_lshrrev_b32_e32 v32, 3, v33
	s_mov_b32 s46, exec_lo
	v_cmpx_gt_u32_e32 8, v33
; %bb.78:                               ;   in Loop: Header=BB244_13 Depth=1
	s_delay_alu instid0(VALU_DEP_3) | instskip(NEXT) | instid1(VALU_DEP_1)
	v_clz_i32_u32_e32 v29, v29
	v_min_u32_e32 v29, 32, v29
	s_delay_alu instid0(VALU_DEP_1) | instskip(NEXT) | instid1(VALU_DEP_1)
	v_subrev_nc_u32_e32 v32, 28, v29
	v_lshlrev_b64_e32 v[33:34], v32, v[1:2]
	v_sub_nc_u32_e32 v32, 29, v29
	s_delay_alu instid0(VALU_DEP_2)
	v_and_b32_e32 v29, 7, v33
; %bb.79:                               ;   in Loop: Header=BB244_13 Depth=1
	s_wait_alu 0xfffe
	s_or_b32 exec_lo, exec_lo, s46
	v_lshlrev_b32_e32 v1, 8, v31
	v_lshl_add_u32 v31, v32, 10, 0x2000
	v_lshlrev_b32_e32 v29, 23, v29
	s_delay_alu instid0(VALU_DEP_2) | instskip(NEXT) | instid1(VALU_DEP_1)
	v_and_or_b32 v1, 0x8000, v1, v31
	v_lshl_or_b32 v29, v1, 16, v29
.LBB244_80:                             ;   in Loop: Header=BB244_13 Depth=1
	s_wait_alu 0xfffe
	s_or_b32 exec_lo, exec_lo, s45
.LBB244_81:                             ;   in Loop: Header=BB244_13 Depth=1
	s_wait_alu 0xfffe
	s_or_b32 exec_lo, exec_lo, s44
.LBB244_82:                             ;   in Loop: Header=BB244_13 Depth=1
	s_delay_alu instid0(SALU_CYCLE_1) | instskip(SKIP_4) | instid1(VALU_DEP_2)
	s_or_b32 exec_lo, exec_lo, s43
	global_load_u16 v1, v[7:8], off offset:256
	s_wait_loadcnt 0x0
	v_dual_mov_b32 v31, 0 :: v_dual_and_b32 v32, 0xff, v1
	v_and_b32_e32 v1, 0xffff, v1
	v_cmp_ne_u16_e64 s5, 0, v32
	v_mov_b32_e32 v32, 0
	s_and_saveexec_b32 s43, s5
	s_cbranch_execz .LBB244_90
; %bb.83:                               ;   in Loop: Header=BB244_13 Depth=1
	v_and_b32_e32 v32, 0xff, v1
	s_delay_alu instid0(VALU_DEP_1)
	v_cmp_ne_u16_e64 s5, 0x80, v32
	v_mov_b32_e32 v32, 0x8000
	s_and_saveexec_b32 s44, s5
	s_cbranch_execz .LBB244_89
; %bb.84:                               ;   in Loop: Header=BB244_13 Depth=1
	v_and_b32_e32 v34, 0x7f, v1
	v_mov_b32_e32 v32, 0x7c01
	s_mov_b32 s45, exec_lo
	s_delay_alu instid0(VALU_DEP_2)
	v_cmpx_ne_u32_e32 0x7f, v34
	s_cbranch_execz .LBB244_88
; %bb.85:                               ;   in Loop: Header=BB244_13 Depth=1
	v_and_b32_e32 v32, 7, v1
	v_lshrrev_b32_e32 v33, 3, v34
	s_mov_b32 s46, exec_lo
	v_cmpx_gt_u32_e32 8, v34
; %bb.86:                               ;   in Loop: Header=BB244_13 Depth=1
	s_delay_alu instid0(VALU_DEP_3) | instskip(NEXT) | instid1(VALU_DEP_1)
	v_clz_i32_u32_e32 v32, v32
	v_min_u32_e32 v34, 32, v32
	s_delay_alu instid0(VALU_DEP_1) | instskip(NEXT) | instid1(VALU_DEP_1)
	v_subrev_nc_u32_e32 v32, 28, v34
	v_lshlrev_b64_e32 v[32:33], v32, v[1:2]
	v_sub_nc_u32_e32 v33, 29, v34
	s_delay_alu instid0(VALU_DEP_2)
	v_and_b32_e32 v32, 7, v32
; %bb.87:                               ;   in Loop: Header=BB244_13 Depth=1
	s_wait_alu 0xfffe
	s_or_b32 exec_lo, exec_lo, s46
	v_lshlrev_b32_e32 v34, 8, v1
	v_lshl_add_u32 v33, v33, 10, 0x2000
	v_lshlrev_b32_e32 v32, 7, v32
	s_delay_alu instid0(VALU_DEP_3) | instskip(NEXT) | instid1(VALU_DEP_3)
	v_and_b32_e32 v34, 0x8000, v34
	v_and_b32_e32 v33, 0xfc00, v33
	s_delay_alu instid0(VALU_DEP_1)
	v_or3_b32 v32, v34, v33, v32
.LBB244_88:                             ;   in Loop: Header=BB244_13 Depth=1
	s_wait_alu 0xfffe
	s_or_b32 exec_lo, exec_lo, s45
.LBB244_89:                             ;   in Loop: Header=BB244_13 Depth=1
	s_wait_alu 0xfffe
	s_or_b32 exec_lo, exec_lo, s44
.LBB244_90:                             ;   in Loop: Header=BB244_13 Depth=1
	s_delay_alu instid0(SALU_CYCLE_1) | instskip(SKIP_2) | instid1(VALU_DEP_1)
	s_or_b32 exec_lo, exec_lo, s43
	v_lshrrev_b16 v1, 8, v1
	s_mov_b32 s43, exec_lo
	v_cmpx_ne_u16_e32 0, v1
	s_cbranch_execz .LBB244_98
; %bb.91:                               ;   in Loop: Header=BB244_13 Depth=1
	v_bfrev_b32_e32 v31, 1
	s_mov_b32 s44, exec_lo
	v_cmpx_ne_u16_e32 0x80, v1
	s_cbranch_execz .LBB244_97
; %bb.92:                               ;   in Loop: Header=BB244_13 Depth=1
	v_and_b32_e32 v33, 0xffff, v1
	v_mov_b32_e32 v31, 0x7c010000
	s_mov_b32 s45, exec_lo
	s_delay_alu instid0(VALU_DEP_2) | instskip(NEXT) | instid1(VALU_DEP_1)
	v_and_b32_e32 v35, 0x7f, v33
	v_cmpx_ne_u32_e32 0x7f, v35
	s_cbranch_execz .LBB244_96
; %bb.93:                               ;   in Loop: Header=BB244_13 Depth=1
	v_and_b32_e32 v31, 7, v33
	v_lshrrev_b32_e32 v34, 3, v35
	s_mov_b32 s46, exec_lo
	v_cmpx_gt_u32_e32 8, v35
; %bb.94:                               ;   in Loop: Header=BB244_13 Depth=1
	s_delay_alu instid0(VALU_DEP_3) | instskip(NEXT) | instid1(VALU_DEP_1)
	v_clz_i32_u32_e32 v31, v31
	v_min_u32_e32 v31, 32, v31
	s_delay_alu instid0(VALU_DEP_1) | instskip(NEXT) | instid1(VALU_DEP_1)
	v_subrev_nc_u32_e32 v34, 28, v31
	v_lshlrev_b64_e32 v[35:36], v34, v[1:2]
	v_sub_nc_u32_e32 v34, 29, v31
	s_delay_alu instid0(VALU_DEP_2)
	v_and_b32_e32 v31, 7, v35
; %bb.95:                               ;   in Loop: Header=BB244_13 Depth=1
	s_wait_alu 0xfffe
	s_or_b32 exec_lo, exec_lo, s46
	v_lshlrev_b32_e32 v1, 8, v33
	v_lshl_add_u32 v33, v34, 10, 0x2000
	v_lshlrev_b32_e32 v31, 23, v31
	s_delay_alu instid0(VALU_DEP_2) | instskip(NEXT) | instid1(VALU_DEP_1)
	v_and_or_b32 v1, 0x8000, v1, v33
	v_lshl_or_b32 v31, v1, 16, v31
.LBB244_96:                             ;   in Loop: Header=BB244_13 Depth=1
	s_wait_alu 0xfffe
	s_or_b32 exec_lo, exec_lo, s45
.LBB244_97:                             ;   in Loop: Header=BB244_13 Depth=1
	s_wait_alu 0xfffe
	s_or_b32 exec_lo, exec_lo, s44
.LBB244_98:                             ;   in Loop: Header=BB244_13 Depth=1
	s_delay_alu instid0(SALU_CYCLE_1) | instskip(SKIP_4) | instid1(VALU_DEP_2)
	s_or_b32 exec_lo, exec_lo, s43
	global_load_u16 v1, v[7:8], off offset:264
	s_wait_loadcnt 0x0
	v_dual_mov_b32 v33, 0 :: v_dual_and_b32 v34, 0xff, v1
	v_and_b32_e32 v1, 0xffff, v1
	v_cmp_ne_u16_e64 s5, 0, v34
	v_mov_b32_e32 v34, 0
	s_and_saveexec_b32 s43, s5
	s_cbranch_execz .LBB244_106
; %bb.99:                               ;   in Loop: Header=BB244_13 Depth=1
	v_and_b32_e32 v34, 0xff, v1
	s_delay_alu instid0(VALU_DEP_1)
	v_cmp_ne_u16_e64 s5, 0x80, v34
	v_mov_b32_e32 v34, 0x8000
	s_and_saveexec_b32 s44, s5
	s_cbranch_execz .LBB244_105
; %bb.100:                              ;   in Loop: Header=BB244_13 Depth=1
	v_and_b32_e32 v36, 0x7f, v1
	v_mov_b32_e32 v34, 0x7c01
	s_mov_b32 s45, exec_lo
	s_delay_alu instid0(VALU_DEP_2)
	v_cmpx_ne_u32_e32 0x7f, v36
	s_cbranch_execz .LBB244_104
; %bb.101:                              ;   in Loop: Header=BB244_13 Depth=1
	v_and_b32_e32 v34, 7, v1
	v_lshrrev_b32_e32 v35, 3, v36
	s_mov_b32 s46, exec_lo
	v_cmpx_gt_u32_e32 8, v36
; %bb.102:                              ;   in Loop: Header=BB244_13 Depth=1
	s_delay_alu instid0(VALU_DEP_3) | instskip(NEXT) | instid1(VALU_DEP_1)
	v_clz_i32_u32_e32 v34, v34
	v_min_u32_e32 v36, 32, v34
	s_delay_alu instid0(VALU_DEP_1) | instskip(NEXT) | instid1(VALU_DEP_1)
	v_subrev_nc_u32_e32 v34, 28, v36
	v_lshlrev_b64_e32 v[34:35], v34, v[1:2]
	v_sub_nc_u32_e32 v35, 29, v36
	s_delay_alu instid0(VALU_DEP_2)
	v_and_b32_e32 v34, 7, v34
; %bb.103:                              ;   in Loop: Header=BB244_13 Depth=1
	s_wait_alu 0xfffe
	s_or_b32 exec_lo, exec_lo, s46
	v_lshlrev_b32_e32 v36, 8, v1
	v_lshl_add_u32 v35, v35, 10, 0x2000
	v_lshlrev_b32_e32 v34, 7, v34
	s_delay_alu instid0(VALU_DEP_3) | instskip(NEXT) | instid1(VALU_DEP_3)
	v_and_b32_e32 v36, 0x8000, v36
	v_and_b32_e32 v35, 0xfc00, v35
	s_delay_alu instid0(VALU_DEP_1)
	v_or3_b32 v34, v36, v35, v34
.LBB244_104:                            ;   in Loop: Header=BB244_13 Depth=1
	s_wait_alu 0xfffe
	s_or_b32 exec_lo, exec_lo, s45
.LBB244_105:                            ;   in Loop: Header=BB244_13 Depth=1
	s_wait_alu 0xfffe
	s_or_b32 exec_lo, exec_lo, s44
.LBB244_106:                            ;   in Loop: Header=BB244_13 Depth=1
	s_delay_alu instid0(SALU_CYCLE_1) | instskip(SKIP_2) | instid1(VALU_DEP_1)
	s_or_b32 exec_lo, exec_lo, s43
	v_lshrrev_b16 v1, 8, v1
	s_mov_b32 s43, exec_lo
	v_cmpx_ne_u16_e32 0, v1
	s_cbranch_execz .LBB244_114
; %bb.107:                              ;   in Loop: Header=BB244_13 Depth=1
	v_bfrev_b32_e32 v33, 1
	s_mov_b32 s44, exec_lo
	v_cmpx_ne_u16_e32 0x80, v1
	s_cbranch_execz .LBB244_113
; %bb.108:                              ;   in Loop: Header=BB244_13 Depth=1
	v_and_b32_e32 v35, 0xffff, v1
	v_mov_b32_e32 v33, 0x7c010000
	s_mov_b32 s45, exec_lo
	s_delay_alu instid0(VALU_DEP_2) | instskip(NEXT) | instid1(VALU_DEP_1)
	v_and_b32_e32 v37, 0x7f, v35
	v_cmpx_ne_u32_e32 0x7f, v37
	s_cbranch_execz .LBB244_112
; %bb.109:                              ;   in Loop: Header=BB244_13 Depth=1
	v_and_b32_e32 v33, 7, v35
	v_lshrrev_b32_e32 v36, 3, v37
	s_mov_b32 s46, exec_lo
	v_cmpx_gt_u32_e32 8, v37
; %bb.110:                              ;   in Loop: Header=BB244_13 Depth=1
	s_delay_alu instid0(VALU_DEP_3) | instskip(NEXT) | instid1(VALU_DEP_1)
	v_clz_i32_u32_e32 v33, v33
	v_min_u32_e32 v33, 32, v33
	s_delay_alu instid0(VALU_DEP_1) | instskip(NEXT) | instid1(VALU_DEP_1)
	v_subrev_nc_u32_e32 v36, 28, v33
	v_lshlrev_b64_e32 v[37:38], v36, v[1:2]
	v_sub_nc_u32_e32 v36, 29, v33
	s_delay_alu instid0(VALU_DEP_2)
	v_and_b32_e32 v33, 7, v37
; %bb.111:                              ;   in Loop: Header=BB244_13 Depth=1
	s_wait_alu 0xfffe
	s_or_b32 exec_lo, exec_lo, s46
	v_lshlrev_b32_e32 v1, 8, v35
	v_lshl_add_u32 v35, v36, 10, 0x2000
	v_lshlrev_b32_e32 v33, 23, v33
	s_delay_alu instid0(VALU_DEP_2) | instskip(NEXT) | instid1(VALU_DEP_1)
	v_and_or_b32 v1, 0x8000, v1, v35
	v_lshl_or_b32 v33, v1, 16, v33
.LBB244_112:                            ;   in Loop: Header=BB244_13 Depth=1
	s_wait_alu 0xfffe
	s_or_b32 exec_lo, exec_lo, s45
.LBB244_113:                            ;   in Loop: Header=BB244_13 Depth=1
	s_wait_alu 0xfffe
	s_or_b32 exec_lo, exec_lo, s44
.LBB244_114:                            ;   in Loop: Header=BB244_13 Depth=1
	s_delay_alu instid0(SALU_CYCLE_1) | instskip(SKIP_4) | instid1(VALU_DEP_2)
	s_or_b32 exec_lo, exec_lo, s43
	global_load_u16 v1, v[7:8], off offset:384
	s_wait_loadcnt 0x0
	v_dual_mov_b32 v35, 0 :: v_dual_and_b32 v36, 0xff, v1
	v_and_b32_e32 v1, 0xffff, v1
	v_cmp_ne_u16_e64 s5, 0, v36
	v_mov_b32_e32 v36, 0
	s_and_saveexec_b32 s43, s5
	s_cbranch_execz .LBB244_122
; %bb.115:                              ;   in Loop: Header=BB244_13 Depth=1
	v_and_b32_e32 v36, 0xff, v1
	s_delay_alu instid0(VALU_DEP_1)
	v_cmp_ne_u16_e64 s5, 0x80, v36
	v_mov_b32_e32 v36, 0x8000
	s_and_saveexec_b32 s44, s5
	s_cbranch_execz .LBB244_121
; %bb.116:                              ;   in Loop: Header=BB244_13 Depth=1
	v_and_b32_e32 v38, 0x7f, v1
	v_mov_b32_e32 v36, 0x7c01
	s_mov_b32 s45, exec_lo
	s_delay_alu instid0(VALU_DEP_2)
	v_cmpx_ne_u32_e32 0x7f, v38
	s_cbranch_execz .LBB244_120
; %bb.117:                              ;   in Loop: Header=BB244_13 Depth=1
	v_and_b32_e32 v36, 7, v1
	v_lshrrev_b32_e32 v37, 3, v38
	s_mov_b32 s46, exec_lo
	v_cmpx_gt_u32_e32 8, v38
; %bb.118:                              ;   in Loop: Header=BB244_13 Depth=1
	s_delay_alu instid0(VALU_DEP_3) | instskip(NEXT) | instid1(VALU_DEP_1)
	v_clz_i32_u32_e32 v36, v36
	v_min_u32_e32 v38, 32, v36
	s_delay_alu instid0(VALU_DEP_1) | instskip(NEXT) | instid1(VALU_DEP_1)
	v_subrev_nc_u32_e32 v36, 28, v38
	v_lshlrev_b64_e32 v[36:37], v36, v[1:2]
	v_sub_nc_u32_e32 v37, 29, v38
	s_delay_alu instid0(VALU_DEP_2)
	v_and_b32_e32 v36, 7, v36
; %bb.119:                              ;   in Loop: Header=BB244_13 Depth=1
	s_wait_alu 0xfffe
	s_or_b32 exec_lo, exec_lo, s46
	v_lshlrev_b32_e32 v38, 8, v1
	v_lshl_add_u32 v37, v37, 10, 0x2000
	v_lshlrev_b32_e32 v36, 7, v36
	s_delay_alu instid0(VALU_DEP_3) | instskip(NEXT) | instid1(VALU_DEP_3)
	v_and_b32_e32 v38, 0x8000, v38
	v_and_b32_e32 v37, 0xfc00, v37
	s_delay_alu instid0(VALU_DEP_1)
	v_or3_b32 v36, v38, v37, v36
.LBB244_120:                            ;   in Loop: Header=BB244_13 Depth=1
	s_wait_alu 0xfffe
	s_or_b32 exec_lo, exec_lo, s45
.LBB244_121:                            ;   in Loop: Header=BB244_13 Depth=1
	s_wait_alu 0xfffe
	s_or_b32 exec_lo, exec_lo, s44
.LBB244_122:                            ;   in Loop: Header=BB244_13 Depth=1
	s_delay_alu instid0(SALU_CYCLE_1) | instskip(SKIP_2) | instid1(VALU_DEP_1)
	s_or_b32 exec_lo, exec_lo, s43
	v_lshrrev_b16 v1, 8, v1
	s_mov_b32 s43, exec_lo
	v_cmpx_ne_u16_e32 0, v1
	s_cbranch_execz .LBB244_130
; %bb.123:                              ;   in Loop: Header=BB244_13 Depth=1
	v_bfrev_b32_e32 v35, 1
	s_mov_b32 s44, exec_lo
	v_cmpx_ne_u16_e32 0x80, v1
	s_cbranch_execz .LBB244_129
; %bb.124:                              ;   in Loop: Header=BB244_13 Depth=1
	v_and_b32_e32 v37, 0xffff, v1
	v_mov_b32_e32 v35, 0x7c010000
	s_mov_b32 s45, exec_lo
	s_delay_alu instid0(VALU_DEP_2) | instskip(NEXT) | instid1(VALU_DEP_1)
	v_and_b32_e32 v39, 0x7f, v37
	v_cmpx_ne_u32_e32 0x7f, v39
	s_cbranch_execz .LBB244_128
; %bb.125:                              ;   in Loop: Header=BB244_13 Depth=1
	v_and_b32_e32 v35, 7, v37
	v_lshrrev_b32_e32 v38, 3, v39
	s_mov_b32 s46, exec_lo
	v_cmpx_gt_u32_e32 8, v39
; %bb.126:                              ;   in Loop: Header=BB244_13 Depth=1
	s_delay_alu instid0(VALU_DEP_3) | instskip(NEXT) | instid1(VALU_DEP_1)
	v_clz_i32_u32_e32 v35, v35
	v_min_u32_e32 v35, 32, v35
	s_delay_alu instid0(VALU_DEP_1) | instskip(NEXT) | instid1(VALU_DEP_1)
	v_subrev_nc_u32_e32 v38, 28, v35
	v_lshlrev_b64_e32 v[39:40], v38, v[1:2]
	v_sub_nc_u32_e32 v38, 29, v35
	s_delay_alu instid0(VALU_DEP_2)
	v_and_b32_e32 v35, 7, v39
; %bb.127:                              ;   in Loop: Header=BB244_13 Depth=1
	s_wait_alu 0xfffe
	s_or_b32 exec_lo, exec_lo, s46
	v_lshlrev_b32_e32 v1, 8, v37
	v_lshl_add_u32 v37, v38, 10, 0x2000
	v_lshlrev_b32_e32 v35, 23, v35
	s_delay_alu instid0(VALU_DEP_2) | instskip(NEXT) | instid1(VALU_DEP_1)
	v_and_or_b32 v1, 0x8000, v1, v37
	v_lshl_or_b32 v35, v1, 16, v35
.LBB244_128:                            ;   in Loop: Header=BB244_13 Depth=1
	s_wait_alu 0xfffe
	s_or_b32 exec_lo, exec_lo, s45
.LBB244_129:                            ;   in Loop: Header=BB244_13 Depth=1
	s_wait_alu 0xfffe
	s_or_b32 exec_lo, exec_lo, s44
.LBB244_130:                            ;   in Loop: Header=BB244_13 Depth=1
	s_delay_alu instid0(SALU_CYCLE_1) | instskip(SKIP_4) | instid1(VALU_DEP_2)
	s_or_b32 exec_lo, exec_lo, s43
	global_load_u16 v1, v[7:8], off offset:392
	s_wait_loadcnt 0x0
	v_dual_mov_b32 v7, 0 :: v_dual_and_b32 v8, 0xff, v1
	v_and_b32_e32 v1, 0xffff, v1
	v_cmp_ne_u16_e64 s5, 0, v8
	v_mov_b32_e32 v8, 0
	s_and_saveexec_b32 s43, s5
	s_cbranch_execz .LBB244_138
; %bb.131:                              ;   in Loop: Header=BB244_13 Depth=1
	v_and_b32_e32 v8, 0xff, v1
	s_delay_alu instid0(VALU_DEP_1)
	v_cmp_ne_u16_e64 s5, 0x80, v8
	v_mov_b32_e32 v8, 0x8000
	s_and_saveexec_b32 s44, s5
	s_cbranch_execz .LBB244_137
; %bb.132:                              ;   in Loop: Header=BB244_13 Depth=1
	v_and_b32_e32 v38, 0x7f, v1
	v_mov_b32_e32 v8, 0x7c01
	s_mov_b32 s45, exec_lo
	s_delay_alu instid0(VALU_DEP_2)
	v_cmpx_ne_u32_e32 0x7f, v38
	s_cbranch_execz .LBB244_136
; %bb.133:                              ;   in Loop: Header=BB244_13 Depth=1
	v_and_b32_e32 v8, 7, v1
	v_lshrrev_b32_e32 v37, 3, v38
	s_mov_b32 s46, exec_lo
	v_cmpx_gt_u32_e32 8, v38
; %bb.134:                              ;   in Loop: Header=BB244_13 Depth=1
	s_delay_alu instid0(VALU_DEP_3) | instskip(NEXT) | instid1(VALU_DEP_1)
	v_clz_i32_u32_e32 v8, v8
	v_min_u32_e32 v8, 32, v8
	s_delay_alu instid0(VALU_DEP_1) | instskip(NEXT) | instid1(VALU_DEP_1)
	v_subrev_nc_u32_e32 v37, 28, v8
	v_lshlrev_b64_e32 v[38:39], v37, v[1:2]
	v_sub_nc_u32_e32 v37, 29, v8
	s_delay_alu instid0(VALU_DEP_2)
	v_and_b32_e32 v8, 7, v38
; %bb.135:                              ;   in Loop: Header=BB244_13 Depth=1
	s_wait_alu 0xfffe
	s_or_b32 exec_lo, exec_lo, s46
	v_lshlrev_b32_e32 v38, 8, v1
	v_lshl_add_u32 v37, v37, 10, 0x2000
	v_lshlrev_b32_e32 v8, 7, v8
	s_delay_alu instid0(VALU_DEP_3) | instskip(NEXT) | instid1(VALU_DEP_3)
	v_and_b32_e32 v38, 0x8000, v38
	v_and_b32_e32 v37, 0xfc00, v37
	s_delay_alu instid0(VALU_DEP_1)
	v_or3_b32 v8, v38, v37, v8
.LBB244_136:                            ;   in Loop: Header=BB244_13 Depth=1
	s_wait_alu 0xfffe
	s_or_b32 exec_lo, exec_lo, s45
.LBB244_137:                            ;   in Loop: Header=BB244_13 Depth=1
	s_wait_alu 0xfffe
	s_or_b32 exec_lo, exec_lo, s44
.LBB244_138:                            ;   in Loop: Header=BB244_13 Depth=1
	s_delay_alu instid0(SALU_CYCLE_1) | instskip(SKIP_2) | instid1(VALU_DEP_1)
	s_or_b32 exec_lo, exec_lo, s43
	v_lshrrev_b16 v1, 8, v1
	s_mov_b32 s43, exec_lo
	v_cmpx_ne_u16_e32 0, v1
	s_cbranch_execz .LBB244_146
; %bb.139:                              ;   in Loop: Header=BB244_13 Depth=1
	v_bfrev_b32_e32 v7, 1
	s_mov_b32 s44, exec_lo
	v_cmpx_ne_u16_e32 0x80, v1
	s_cbranch_execz .LBB244_145
; %bb.140:                              ;   in Loop: Header=BB244_13 Depth=1
	v_and_b32_e32 v37, 0xffff, v1
	v_mov_b32_e32 v7, 0x7c010000
	s_mov_b32 s45, exec_lo
	s_delay_alu instid0(VALU_DEP_2) | instskip(NEXT) | instid1(VALU_DEP_1)
	v_and_b32_e32 v39, 0x7f, v37
	v_cmpx_ne_u32_e32 0x7f, v39
	s_cbranch_execz .LBB244_144
; %bb.141:                              ;   in Loop: Header=BB244_13 Depth=1
	v_and_b32_e32 v7, 7, v37
	v_lshrrev_b32_e32 v38, 3, v39
	s_mov_b32 s46, exec_lo
	v_cmpx_gt_u32_e32 8, v39
; %bb.142:                              ;   in Loop: Header=BB244_13 Depth=1
	s_delay_alu instid0(VALU_DEP_3) | instskip(NEXT) | instid1(VALU_DEP_1)
	v_clz_i32_u32_e32 v7, v7
	v_min_u32_e32 v7, 32, v7
	s_delay_alu instid0(VALU_DEP_1) | instskip(NEXT) | instid1(VALU_DEP_1)
	v_subrev_nc_u32_e32 v38, 28, v7
	v_lshlrev_b64_e32 v[39:40], v38, v[1:2]
	v_sub_nc_u32_e32 v38, 29, v7
	s_delay_alu instid0(VALU_DEP_2)
	v_and_b32_e32 v7, 7, v39
; %bb.143:                              ;   in Loop: Header=BB244_13 Depth=1
	s_wait_alu 0xfffe
	s_or_b32 exec_lo, exec_lo, s46
	v_lshlrev_b32_e32 v1, 8, v37
	v_lshl_add_u32 v37, v38, 10, 0x2000
	v_lshlrev_b32_e32 v7, 23, v7
	s_delay_alu instid0(VALU_DEP_2) | instskip(NEXT) | instid1(VALU_DEP_1)
	v_and_or_b32 v1, 0x8000, v1, v37
	v_lshl_or_b32 v7, v1, 16, v7
.LBB244_144:                            ;   in Loop: Header=BB244_13 Depth=1
	s_wait_alu 0xfffe
	s_or_b32 exec_lo, exec_lo, s45
.LBB244_145:                            ;   in Loop: Header=BB244_13 Depth=1
	s_wait_alu 0xfffe
	s_or_b32 exec_lo, exec_lo, s44
.LBB244_146:                            ;   in Loop: Header=BB244_13 Depth=1
	s_delay_alu instid0(SALU_CYCLE_1)
	s_or_b32 exec_lo, exec_lo, s43
	ds_load_b32 v1, v16
	v_or_b32_e32 v24, v23, v24
	v_fma_mixlo_f16 v23, v22, v23, 0 op_sel:[0,1,0] op_sel_hi:[0,1,0]
	v_or_b32_e32 v26, v25, v26
	v_fma_mixlo_f16 v25, v22, v25, 0 op_sel:[0,1,0] op_sel_hi:[0,1,0]
	v_or_b32_e32 v28, v27, v28
	v_fma_mixlo_f16 v24, v22, v24, 0 op_sel_hi:[0,1,0]
	v_and_b32_e32 v39, 0xffff, v23
	v_fma_mixlo_f16 v26, v22, v26, 0 op_sel_hi:[0,1,0]
	v_and_b32_e32 v41, 0xffff, v25
	;; [unrolled: 2-line block ×3, first 2 shown]
	v_fma_mixlo_f16 v27, v22, v27, 0 op_sel:[0,1,0] op_sel_hi:[0,1,0]
	v_or_b32_e32 v30, v29, v30
	v_fma_mixlo_f16 v29, v22, v29, 0 op_sel:[0,1,0] op_sel_hi:[0,1,0]
	v_and_b32_e32 v42, 0xffff, v28
	v_or_b32_e32 v32, v31, v32
	v_and_b32_e32 v43, 0xffff, v27
	v_fma_mixlo_f16 v30, v22, v30, 0 op_sel_hi:[0,1,0]
	v_and_b32_e32 v45, 0xffff, v29
	s_wait_dscnt 0x0
	v_and_b32_e32 v37, 0xffff, v1
	v_lshrrev_b32_e32 v38, 16, v1
	;;#ASMSTART
	v_cvt_f32_f16 v1, v37;
	;;#ASMEND
	;;#ASMSTART
	v_cvt_f32_f16 v23, v38;
	;;#ASMEND
	;; [unrolled: 3-line block ×4, first 2 shown]
	ds_load_b32 v38, v16 offset:4
	v_and_b32_e32 v40, 0xffff, v26
	v_fma_mixlo_f16 v32, v22, v32, 0 op_sel_hi:[0,1,0]
	v_fma_mixlo_f16 v31, v22, v31, 0 op_sel:[0,1,0] op_sel_hi:[0,1,0]
	v_or_b32_e32 v34, v33, v34
	v_fma_mixlo_f16 v33, v22, v33, 0 op_sel:[0,1,0] op_sel_hi:[0,1,0]
	v_or_b32_e32 v36, v35, v36
	v_fma_mixlo_f16 v35, v22, v35, 0 op_sel:[0,1,0] op_sel_hi:[0,1,0]
	v_and_b32_e32 v47, 0xffff, v31
	v_fma_mixlo_f16 v34, v22, v34, 0 op_sel_hi:[0,1,0]
	v_and_b32_e32 v49, 0xffff, v33
	v_fma_mixlo_f16 v36, v22, v36, 0 op_sel_hi:[0,1,0]
	v_and_b32_e32 v35, 0xffff, v35
	v_or_b32_e32 v8, v7, v8
	v_fma_mixlo_f16 v7, v22, v7, 0 op_sel:[0,1,0] op_sel_hi:[0,1,0]
	s_delay_alu instid0(VALU_DEP_4) | instskip(NEXT) | instid1(VALU_DEP_3)
	v_and_b32_e32 v36, 0xffff, v36
	v_fma_mixlo_f16 v8, v22, v8, 0 op_sel_hi:[0,1,0]
	s_wait_dscnt 0x0
	v_and_b32_e32 v39, 0xffff, v38
	v_lshrrev_b32_e32 v38, 16, v38
	;;#ASMSTART
	v_cvt_f32_f16 v25, v39;
	;;#ASMEND
	;;#ASMSTART
	v_cvt_f32_f16 v26, v38;
	;;#ASMEND
	;; [unrolled: 3-line block ×4, first 2 shown]
	ds_load_b32 v40, v16 offset:8
	v_dual_mul_f32 v25, v25, v38 :: v_dual_mul_f32 v26, v26, v39
	s_delay_alu instid0(VALU_DEP_1)
	v_dual_fmac_f32 v25, v1, v24 :: v_dual_fmac_f32 v26, v23, v37
	s_wait_dscnt 0x0
	v_and_b32_e32 v41, 0xffff, v40
	v_lshrrev_b32_e32 v40, 16, v40
	;;#ASMSTART
	v_cvt_f32_f16 v27, v41;
	;;#ASMEND
	;;#ASMSTART
	v_cvt_f32_f16 v28, v40;
	;;#ASMEND
	;; [unrolled: 3-line block ×4, first 2 shown]
	ds_load_b32 v42, v16 offset:12
	v_dual_fmac_f32 v25, v27, v40 :: v_dual_and_b32 v44, 0xffff, v30
	v_fmac_f32_e32 v26, v28, v41
	v_xor_b32_e32 v27, 2, v10
	s_delay_alu instid0(VALU_DEP_1)
	v_cmp_gt_i32_e64 s5, 32, v27
	s_wait_dscnt 0x0
	v_and_b32_e32 v43, 0xffff, v42
	v_lshrrev_b32_e32 v42, 16, v42
	;;#ASMSTART
	v_cvt_f32_f16 v29, v43;
	;;#ASMEND
	;;#ASMSTART
	v_cvt_f32_f16 v30, v42;
	;;#ASMEND
	;; [unrolled: 3-line block ×4, first 2 shown]
	ds_load_b32 v44, v16 offset:16
	v_dual_fmac_f32 v25, v29, v42 :: v_dual_and_b32 v46, 0xffff, v32
	v_dual_fmac_f32 v26, v30, v43 :: v_dual_and_b32 v29, 0xffff, v8
	s_wait_dscnt 0x0
	v_and_b32_e32 v45, 0xffff, v44
	v_lshrrev_b32_e32 v44, 16, v44
	;;#ASMSTART
	v_cvt_f32_f16 v31, v45;
	;;#ASMEND
	;;#ASMSTART
	v_cvt_f32_f16 v32, v44;
	;;#ASMEND
	;; [unrolled: 3-line block ×4, first 2 shown]
	ds_load_b32 v46, v16 offset:20
	v_dual_fmac_f32 v25, v31, v44 :: v_dual_and_b32 v48, 0xffff, v34
	s_wait_dscnt 0x0
	v_dual_fmac_f32 v26, v32, v45 :: v_dual_and_b32 v47, 0xffff, v46
	v_lshrrev_b32_e32 v46, 16, v46
	;;#ASMSTART
	v_cvt_f32_f16 v33, v47;
	;;#ASMEND
	;;#ASMSTART
	v_cvt_f32_f16 v34, v46;
	;;#ASMEND
	;; [unrolled: 3-line block ×4, first 2 shown]
	ds_load_b32 v48, v16 offset:24
	v_dual_fmac_f32 v25, v33, v46 :: v_dual_fmac_f32 v26, v34, v47
	s_wait_dscnt 0x0
	v_and_b32_e32 v38, 0xffff, v48
	v_lshrrev_b32_e32 v39, 16, v48
	;;#ASMSTART
	v_cvt_f32_f16 v1, v38;
	;;#ASMEND
	;;#ASMSTART
	v_cvt_f32_f16 v23, v39;
	;;#ASMEND
	;;#ASMSTART
	v_cvt_f32_f16 v24, v36;
	;;#ASMEND
	;;#ASMSTART
	v_cvt_f32_f16 v35, v35;
	;;#ASMEND
	ds_load_b32 v36, v16 offset:28
	v_dual_fmac_f32 v25, v1, v24 :: v_dual_and_b32 v28, 0xffff, v7
	v_fmac_f32_e32 v26, v23, v35
	s_wait_alu 0xf1ff
	v_cndmask_b32_e64 v7, v10, v27, s5
	s_wait_dscnt 0x0
	v_and_b32_e32 v22, 0xffff, v36
	v_lshrrev_b32_e32 v27, 16, v36
	;;#ASMSTART
	v_cvt_f32_f16 v1, v22;
	;;#ASMEND
	;;#ASMSTART
	v_cvt_f32_f16 v8, v27;
	;;#ASMEND
	;;#ASMSTART
	v_cvt_f32_f16 v22, v29;
	;;#ASMEND
	;;#ASMSTART
	v_cvt_f32_f16 v23, v28;
	;;#ASMEND
	v_dual_fmac_f32 v25, v1, v22 :: v_dual_fmac_f32 v26, v8, v23
	v_lshlrev_b32_e32 v1, 2, v7
	v_xor_b32_e32 v8, 1, v10
	s_delay_alu instid0(VALU_DEP_3) | instskip(NEXT) | instid1(VALU_DEP_2)
	v_add_f32_e32 v7, v25, v26
	v_cmp_gt_i32_e64 s5, 32, v8
	ds_bpermute_b32 v1, v1, v7
	s_wait_alu 0xf1ff
	v_cndmask_b32_e64 v8, v10, v8, s5
	s_wait_dscnt 0x0
	v_add_f32_e32 v1, v7, v1
	s_delay_alu instid0(VALU_DEP_2)
	v_lshlrev_b32_e32 v7, 2, v8
	ds_bpermute_b32 v7, v7, v1
	s_and_saveexec_b32 s43, s4
	s_cbranch_execz .LBB244_11
; %bb.147:                              ;   in Loop: Header=BB244_13 Depth=1
	s_wait_dscnt 0x0
	v_dual_add_f32 v1, v1, v7 :: v_dual_add_nc_u32 v8, v18, v17
	s_delay_alu instid0(VALU_DEP_1) | instskip(NEXT) | instid1(VALU_DEP_1)
	v_cvt_f32_i32_e32 v8, v8
	v_mul_f32_e32 v8, s18, v8
	s_delay_alu instid0(VALU_DEP_1) | instskip(NEXT) | instid1(VALU_DEP_1)
	v_dual_cndmask_b32 v7, 0, v8 :: v_dual_max_num_f32 v8, v15, v15
	v_fmac_f32_e32 v7, s7, v1
	s_delay_alu instid0(VALU_DEP_1) | instskip(NEXT) | instid1(VALU_DEP_1)
	v_dual_max_num_f32 v8, v8, v7 :: v_dual_add_nc_u32 v1, v14, v17
	v_cmp_gt_i32_e64 s5, s33, v1
	s_wait_alu 0xf1ff
	s_delay_alu instid0(VALU_DEP_1) | instskip(NEXT) | instid1(VALU_DEP_3)
	v_cndmask_b32_e64 v1, 0, v7, s5
	v_cndmask_b32_e64 v15, v15, v8, s5
	ds_store_b32 v19, v1
	s_branch .LBB244_11
.LBB244_148:
	s_or_b32 exec_lo, exec_lo, s34
.LBB244_149:
	s_delay_alu instid0(SALU_CYCLE_1)
	s_or_b32 exec_lo, exec_lo, s16
	v_xor_b32_e32 v1, 16, v10
	v_xor_b32_e32 v3, 8, v10
	s_clause 0x2
	s_load_b128 s[16:19], s[0:1], 0x0
	s_load_b64 s[6:7], s[0:1], 0x10
	s_load_b64 s[34:35], s[0:1], 0x28
	v_dual_max_num_f32 v5, v15, v15 :: v_dual_and_b32 v14, 31, v0
	v_cmp_gt_i32_e32 vcc_lo, 32, v1
	s_wait_alu 0xfffd
	v_cndmask_b32_e32 v1, v10, v1, vcc_lo
	v_cmp_gt_i32_e32 vcc_lo, 32, v3
	s_wait_alu 0xfffd
	v_cndmask_b32_e32 v3, v10, v3, vcc_lo
	s_delay_alu instid0(VALU_DEP_1) | instskip(SKIP_4) | instid1(VALU_DEP_1)
	v_lshlrev_b32_e32 v4, 2, v3
	v_lshlrev_b32_e32 v2, 2, v1
	ds_bpermute_b32 v1, v2, v15
	s_wait_dscnt 0x0
	v_max_num_f32_e32 v1, v1, v1
	v_max_num_f32_e32 v1, v5, v1
	v_xor_b32_e32 v5, 4, v10
	ds_bpermute_b32 v3, v4, v1
	v_cmp_gt_i32_e32 vcc_lo, 32, v5
	s_wait_alu 0xfffd
	v_cndmask_b32_e32 v5, v10, v5, vcc_lo
	v_cmp_eq_u32_e32 vcc_lo, 0, v14
	s_delay_alu instid0(VALU_DEP_2) | instskip(SKIP_3) | instid1(VALU_DEP_1)
	v_lshlrev_b32_e32 v7, 2, v5
	v_lshlrev_b32_e32 v5, 2, v11
	s_wait_dscnt 0x0
	v_max_num_f32_e32 v3, v3, v3
	v_max_num_f32_e32 v1, v1, v3
	ds_bpermute_b32 v3, v7, v1
	s_and_saveexec_b32 s0, vcc_lo
	s_cbranch_execz .LBB244_151
; %bb.150:
	s_wait_dscnt 0x0
	v_max_num_f32_e32 v3, v3, v3
	v_max_num_f32_e32 v1, v1, v1
	s_delay_alu instid0(VALU_DEP_1)
	v_max_num_f32_e32 v1, v1, v3
	ds_store_b32 v5, v1 offset:128
.LBB244_151:
	s_or_b32 exec_lo, exec_lo, s0
	v_cmp_gt_u32_e64 s0, 4, v14
	v_dual_mov_b32 v1, 0xff7fffff :: v_dual_lshlrev_b32 v6, 2, v14
	s_wait_loadcnt_dscnt 0x0
	s_barrier_signal -1
	s_barrier_wait -1
	global_inv scope:SCOPE_SE
	s_and_saveexec_b32 s1, s0
; %bb.152:
	ds_load_b32 v1, v6 offset:128
; %bb.153:
	s_or_b32 exec_lo, exec_lo, s1
	v_xor_b32_e32 v3, 2, v10
	v_xor_b32_e32 v15, 1, v10
	s_delay_alu instid0(VALU_DEP_2) | instskip(NEXT) | instid1(VALU_DEP_1)
	v_cmp_gt_i32_e64 s1, 32, v3
	v_cndmask_b32_e64 v3, v10, v3, s1
	s_delay_alu instid0(VALU_DEP_3) | instskip(NEXT) | instid1(VALU_DEP_2)
	v_cmp_gt_i32_e64 s1, 32, v15
	v_lshlrev_b32_e32 v8, 2, v3
	s_wait_alu 0xf1ff
	s_delay_alu instid0(VALU_DEP_2)
	v_cndmask_b32_e64 v10, v10, v15, s1
	v_mov_b32_e32 v15, 0
	s_sub_co_i32 s1, s36, s15
	s_wait_alu 0xfffe
	s_lshl_b32 s1, s1, 3
	s_wait_dscnt 0x0
	ds_bpermute_b32 v3, v8, v1
	v_max_num_f32_e32 v1, v1, v1
	s_wait_alu 0xfffe
	s_add_co_i32 s1, s1, s40
	v_lshlrev_b32_e32 v10, 2, v10
	s_wait_alu 0xfffe
	s_min_i32 s1, s1, s33
	s_wait_alu 0xfffe
	s_sub_co_i32 s5, s1, s40
	s_wait_alu 0xfffe
	v_cmp_gt_i32_e64 s1, s5, v0
	s_wait_dscnt 0x0
	v_max_num_f32_e32 v3, v3, v3
	s_delay_alu instid0(VALU_DEP_1) | instskip(SKIP_3) | instid1(VALU_DEP_1)
	v_max_num_f32_e32 v1, v1, v3
	ds_bpermute_b32 v3, v10, v1
	s_wait_dscnt 0x0
	v_max_num_f32_e32 v3, v3, v3
	v_max_num_f32_e32 v1, v1, v3
	v_lshl_add_u32 v3, v0, 2, 0xa0
	ds_bpermute_b32 v1, v15, v1
	s_and_saveexec_b32 s8, s1
	s_cbranch_execz .LBB244_157
; %bb.154:
	v_lshl_add_u32 v16, v0, 2, 0xa0
	v_mov_b32_e32 v15, 0
	v_mov_b32_e32 v17, v0
	s_mov_b32 s9, 0
.LBB244_155:                            ; =>This Inner Loop Header: Depth=1
	ds_load_b32 v18, v16
	v_add_nc_u32_e32 v17, 0x80, v17
	s_delay_alu instid0(VALU_DEP_1) | instskip(SKIP_4) | instid1(VALU_DEP_1)
	v_cmp_le_i32_e64 s4, s5, v17
	s_wait_alu 0xfffe
	s_or_b32 s9, s4, s9
	s_wait_dscnt 0x0
	v_sub_f32_e32 v18, v18, v1
	v_mul_f32_e32 v18, 0x3fb8aa3b, v18
	s_delay_alu instid0(VALU_DEP_1)
	v_exp_f32_e32 v18, v18
	ds_store_b32 v16, v18
	v_dual_add_f32 v15, v15, v18 :: v_dual_add_nc_u32 v16, 0x200, v16
	s_wait_alu 0xfffe
	s_and_not1_b32 exec_lo, exec_lo, s9
	s_cbranch_execnz .LBB244_155
; %bb.156:
	s_or_b32 exec_lo, exec_lo, s9
.LBB244_157:
	s_wait_alu 0xfffe
	s_or_b32 exec_lo, exec_lo, s8
	ds_bpermute_b32 v2, v2, v15
	s_wait_dscnt 0x0
	v_add_f32_e32 v2, v15, v2
	ds_bpermute_b32 v4, v4, v2
	s_wait_dscnt 0x0
	v_add_f32_e32 v2, v2, v4
	ds_bpermute_b32 v4, v7, v2
	s_wait_dscnt 0x0
	v_add_f32_e32 v2, v2, v4
	ds_bpermute_b32 v4, v8, v2
	s_wait_dscnt 0x0
	v_add_f32_e32 v2, v2, v4
	ds_bpermute_b32 v4, v10, v2
	s_wait_dscnt 0x0
	v_add_f32_e32 v2, v2, v4
	s_and_saveexec_b32 s4, vcc_lo
; %bb.158:
	ds_store_b32 v5, v2 offset:144
; %bb.159:
	s_wait_alu 0xfffe
	s_or_b32 exec_lo, exec_lo, s4
	s_wait_loadcnt_dscnt 0x0
	s_barrier_signal -1
	s_barrier_wait -1
	global_inv scope:SCOPE_SE
	s_and_saveexec_b32 s4, s0
; %bb.160:
	ds_load_b32 v2, v6 offset:144
; %bb.161:
	s_wait_alu 0xfffe
	s_or_b32 exec_lo, exec_lo, s4
	s_wait_dscnt 0x0
	ds_bpermute_b32 v4, v8, v2
	s_wait_dscnt 0x0
	v_add_f32_e32 v2, v2, v4
	ds_bpermute_b32 v4, v10, v2
	s_wait_dscnt 0x0
	v_add_f32_e32 v2, v2, v4
	v_mov_b32_e32 v4, 0
	ds_bpermute_b32 v2, v4, v2
	s_and_saveexec_b32 s0, s1
	s_cbranch_execz .LBB244_164
; %bb.162:
	s_wait_dscnt 0x0
	v_add_f32_e32 v4, 0x358637bd, v2
	s_mov_b32 s1, 0
	s_delay_alu instid0(VALU_DEP_1) | instskip(SKIP_1) | instid1(VALU_DEP_2)
	v_div_scale_f32 v5, null, v4, v4, 1.0
	v_div_scale_f32 v8, vcc_lo, 1.0, v4, 1.0
	v_rcp_f32_e32 v6, v5
	s_delay_alu instid0(TRANS32_DEP_1) | instskip(NEXT) | instid1(VALU_DEP_1)
	v_fma_f32 v7, -v5, v6, 1.0
	v_fmac_f32_e32 v6, v7, v6
	s_delay_alu instid0(VALU_DEP_1) | instskip(NEXT) | instid1(VALU_DEP_1)
	v_mul_f32_e32 v7, v8, v6
	v_fma_f32 v10, -v5, v7, v8
	s_delay_alu instid0(VALU_DEP_1) | instskip(NEXT) | instid1(VALU_DEP_1)
	v_fmac_f32_e32 v7, v10, v6
	v_fma_f32 v5, -v5, v7, v8
	s_wait_alu 0xfffd
	s_delay_alu instid0(VALU_DEP_1) | instskip(NEXT) | instid1(VALU_DEP_1)
	v_div_fmas_f32 v5, v5, v6, v7
	v_div_fixup_f32 v4, v5, v4, 1.0
	v_mov_b32_e32 v5, v0
.LBB244_163:                            ; =>This Inner Loop Header: Depth=1
	ds_load_b32 v6, v3
	s_wait_dscnt 0x0
	v_dual_mul_f32 v6, v4, v6 :: v_dual_add_nc_u32 v5, 0x80, v5
	s_delay_alu instid0(VALU_DEP_1)
	v_cmp_le_i32_e32 vcc_lo, s5, v5
	ds_store_b32 v3, v6
	v_add_nc_u32_e32 v3, 0x200, v3
	s_wait_alu 0xfffe
	s_or_b32 s1, vcc_lo, s1
	s_wait_alu 0xfffe
	s_and_not1_b32 exec_lo, exec_lo, s1
	s_cbranch_execnz .LBB244_163
.LBB244_164:
	s_wait_alu 0xfffe
	s_or_b32 exec_lo, exec_lo, s0
	s_mul_i32 s0, s12, s38
	s_wait_loadcnt_dscnt 0x0
	s_wait_alu 0xfffe
	s_mul_i32 s4, s0, s39
	s_mov_b32 s0, exec_lo
	s_barrier_signal -1
	s_barrier_wait -1
	global_inv scope:SCOPE_SE
	v_cmpx_eq_u32_e32 0, v0
	s_cbranch_execz .LBB244_166
; %bb.165:
	s_wait_alu 0xfffe
	s_ashr_i32 s5, s4, 31
	s_mul_i32 s8, s12, ttmp9
	s_lshl_b32 s1, s37, 2
	s_wait_alu 0xfffe
	s_lshl_b64 s[38:39], s[4:5], 2
	s_ashr_i32 s9, s8, 31
	v_mov_b32_e32 v3, s1
	s_wait_kmcnt 0x0
	s_add_nc_u64 s[18:19], s[18:19], s[38:39]
	s_wait_alu 0xfffe
	s_lshl_b64 s[8:9], s[8:9], 2
	s_add_nc_u64 s[16:17], s[16:17], s[38:39]
	s_wait_alu 0xfffe
	s_add_nc_u64 s[18:19], s[18:19], s[8:9]
	s_add_nc_u64 s[8:9], s[16:17], s[8:9]
	s_clause 0x1
	global_store_b32 v3, v1, s[18:19]
	global_store_b32 v3, v2, s[8:9]
.LBB244_166:
	s_wait_alu 0xfffe
	s_or_b32 exec_lo, exec_lo, s0
	v_dual_mov_b32 v16, 0 :: v_dual_mov_b32 v15, 0
	s_and_saveexec_b32 s1, s3
	s_cbranch_execz .LBB244_304
; %bb.167:
	s_abs_i32 s3, s14
	s_wait_kmcnt 0x0
	s_lshl_b64 s[16:17], s[30:31], 2
	s_wait_alu 0xfffe
	s_cvt_f32_u32 s0, s3
	v_dual_mov_b32 v2, 0 :: v_dual_lshlrev_b32 v5, 3, v14
	s_ashr_i32 s23, s22, 31
	s_wait_alu 0xfffe
	v_rcp_iflag_f32_e32 v1, s0
	s_add_nc_u64 s[16:17], s[28:29], s[16:17]
	s_add_nc_u64 s[18:19], s[34:35], s[22:23]
	s_wait_alu 0xfffe
	v_add_co_u32 v3, s16, s16, v9
	s_sub_co_i32 s14, 0, s3
	v_add_co_ci_u32_e64 v4, null, s17, 0, s16
	v_add_co_u32 v5, s16, s18, v5
	s_delay_alu instid0(TRANS32_DEP_1)
	v_readfirstlane_b32 s0, v1
	v_lshl_add_u32 v17, v11, 5, 0xa0
	v_dual_mov_b32 v15, 0 :: v_dual_mov_b32 v16, 0
	s_wait_alu 0xf1ff
	v_add_co_ci_u32_e64 v6, null, s19, 0, s16
	s_mul_f32 s0, s0, 0x4f7ffffe
	s_mov_b32 s8, -1
	s_sub_co_i32 s5, s42, s13
	s_mov_b32 s13, s21
	s_wait_alu 0xfffe
	s_cvt_u32_f32 s0, s0
	s_mov_b32 s9, 0xffffff
	s_add_co_i32 s41, s41, -1
	s_wait_alu 0xfffe
	s_mul_i32 s14, s14, s0
	s_wait_alu 0xfffe
	s_mul_hi_u32 s16, s0, s14
	s_mov_b32 s14, 0
	s_wait_alu 0xfffe
	s_add_co_i32 s16, s0, s16
	s_branch .LBB244_170
.LBB244_168:                            ;   in Loop: Header=BB244_170 Depth=1
	s_wait_alu 0xfffe
	s_or_b32 exec_lo, exec_lo, s0
	;;#ASMSTART
	v_pk_mul_f16 v1, v28, v35;

	;;#ASMEND
	;;#ASMSTART
	v_pk_mul_f16 v7, v27, v30;

	;;#ASMEND
	;; [unrolled: 4-line block ×4, first 2 shown]
	;;#ASMSTART
	v_pk_add_f16 v1, v1, v7;

	;;#ASMEND
	;;#ASMSTART
	v_pk_add_f16 v1, v1, v9;

	;;#ASMEND
	;; [unrolled: 4-line block ×3, first 2 shown]
	v_and_b32_e32 v7, 0xffff, v1
	v_lshrrev_b32_e32 v8, 16, v1
	;;#ASMSTART
	v_cvt_f32_f16 v7, v7;
	;;#ASMEND
	v_add_f32_e32 v1, v23, v25
	;;#ASMSTART
	v_cvt_f32_f16 v8, v8;
	;;#ASMEND
	s_delay_alu instid0(VALU_DEP_1) | instskip(NEXT) | instid1(VALU_DEP_1)
	v_dual_add_f32 v7, v7, v8 :: v_dual_add_f32 v16, v16, v1
	v_add_f32_e32 v15, v15, v7
.LBB244_169:                            ;   in Loop: Header=BB244_170 Depth=1
	s_wait_alu 0xfffe
	s_or_b32 exec_lo, exec_lo, s17
	v_add_nc_u32_e32 v13, 4, v13
	v_add_co_u32 v3, s0, v3, 16
	s_wait_alu 0xf1ff
	v_add_co_ci_u32_e64 v4, null, 0, v4, s0
	s_delay_alu instid0(VALU_DEP_3)
	v_cmp_le_i32_e32 vcc_lo, s36, v13
	v_add_nc_u32_e32 v12, 32, v12
	v_add_nc_u32_e32 v17, 0x80, v17
	s_or_b32 s14, vcc_lo, s14
	s_wait_alu 0xfffe
	s_and_not1_b32 exec_lo, exec_lo, s14
	s_cbranch_execz .LBB244_303
.LBB244_170:                            ; =>This Inner Loop Header: Depth=1
	v_sub_nc_u32_e32 v1, 0, v12
	s_delay_alu instid0(VALU_DEP_1) | instskip(NEXT) | instid1(VALU_DEP_1)
	v_max_i32_e32 v1, v12, v1
	v_mul_hi_u32 v7, v1, s26
	s_delay_alu instid0(VALU_DEP_1) | instskip(NEXT) | instid1(VALU_DEP_1)
	v_mul_lo_u32 v8, v7, s20
	v_sub_nc_u32_e32 v1, v1, v8
	s_delay_alu instid0(VALU_DEP_1) | instskip(SKIP_2) | instid1(VALU_DEP_2)
	v_subrev_nc_u32_e32 v9, s20, v1
	v_cmp_le_u32_e32 vcc_lo, s20, v1
	s_wait_alu 0xfffd
	v_dual_cndmask_b32 v1, v1, v9 :: v_dual_add_nc_u32 v8, 1, v7
	s_delay_alu instid0(VALU_DEP_1) | instskip(SKIP_1) | instid1(VALU_DEP_3)
	v_cndmask_b32_e32 v7, v7, v8, vcc_lo
	v_ashrrev_i32_e32 v8, 31, v12
	v_cmp_le_u32_e32 vcc_lo, s20, v1
	s_delay_alu instid0(VALU_DEP_3) | instskip(NEXT) | instid1(VALU_DEP_3)
	v_add_nc_u32_e32 v9, 1, v7
	v_xor_b32_e32 v8, s27, v8
	s_wait_alu 0xfffd
	s_delay_alu instid0(VALU_DEP_2) | instskip(NEXT) | instid1(VALU_DEP_1)
	v_cndmask_b32_e32 v1, v7, v9, vcc_lo
	v_xor_b32_e32 v1, v1, v8
	s_delay_alu instid0(VALU_DEP_1) | instskip(NEXT) | instid1(VALU_DEP_1)
	v_sub_nc_u32_e32 v1, v1, v8
	v_add_nc_u32_e32 v7, s25, v1
	v_cmp_lt_i32_e64 s0, s5, v1
	s_delay_alu instid0(VALU_DEP_2) | instskip(NEXT) | instid1(VALU_DEP_1)
	v_sub_nc_u32_e32 v8, 0, v7
	v_max_i32_e32 v8, v7, v8
	v_ashrrev_i32_e32 v7, 31, v7
	s_wait_alu 0xfffe
	s_delay_alu instid0(VALU_DEP_2) | instskip(NEXT) | instid1(VALU_DEP_1)
	v_mul_hi_u32 v9, v8, s16
	v_mul_lo_u32 v9, v9, s3
	s_delay_alu instid0(VALU_DEP_1) | instskip(NEXT) | instid1(VALU_DEP_1)
	v_sub_nc_u32_e32 v8, v8, v9
	v_subrev_nc_u32_e32 v9, s3, v8
	v_cmp_le_u32_e32 vcc_lo, s3, v8
	s_wait_alu 0xfffd
	s_delay_alu instid0(VALU_DEP_2) | instskip(NEXT) | instid1(VALU_DEP_1)
	v_cndmask_b32_e32 v8, v8, v9, vcc_lo
	v_subrev_nc_u32_e32 v9, s3, v8
	v_cmp_le_u32_e32 vcc_lo, s3, v8
	s_wait_alu 0xfffd
	s_delay_alu instid0(VALU_DEP_2) | instskip(NEXT) | instid1(VALU_DEP_1)
	v_cndmask_b32_e32 v8, v8, v9, vcc_lo
	v_xor_b32_e32 v8, v8, v7
	s_delay_alu instid0(VALU_DEP_1) | instskip(NEXT) | instid1(VALU_DEP_1)
	v_sub_nc_u32_e32 v7, v8, v7
	v_cmp_eq_u32_e32 vcc_lo, 0, v7
	s_or_b32 s0, vcc_lo, s0
	s_wait_alu 0xfffe
	s_and_saveexec_b32 s17, s0
	s_cbranch_execz .LBB244_169
; %bb.171:                              ;   in Loop: Header=BB244_170 Depth=1
	global_load_b32 v1, v[3:4], off
	ds_load_2addr_b64 v[18:21], v17 offset1:1
	ds_load_2addr_b64 v[28:31], v17 offset0:2 offset1:3
	s_mov_b32 s0, exec_lo
	s_wait_dscnt 0x1
	;;#ASMSTART
	v_cvt_f16_f32 v23, v18;

	;;#ASMEND
	;;#ASMSTART
	v_cvt_f16_f32 v24, v19;

	;;#ASMEND
	;; [unrolled: 4-line block ×4, first 2 shown]
	s_wait_dscnt 0x0
	;;#ASMSTART
	v_cvt_f16_f32 v28, v28;

	;;#ASMEND
	;;#ASMSTART
	v_cvt_f16_f32 v26, v29;

	;;#ASMEND
	;; [unrolled: 4-line block ×4, first 2 shown]
	v_dual_mov_b32 v19, 0 :: v_dual_mov_b32 v20, 0
	global_load_b32 v18, v19, s[10:11]
	s_wait_loadcnt 0x1
	v_mad_co_i64_i32 v[7:8], null, v1, s13, v[5:6]
	global_load_b64 v[9:10], v[7:8], off
	s_wait_loadcnt 0x0
	v_and_b32_e32 v1, 0xff, v9
	s_delay_alu instid0(VALU_DEP_1)
	v_cmpx_ne_u16_e32 0, v1
	s_cbranch_execz .LBB244_179
; %bb.172:                              ;   in Loop: Header=BB244_170 Depth=1
	v_mov_b32_e32 v20, 0x8000
	s_mov_b32 s18, exec_lo
	v_cmpx_ne_u16_e32 0x80, v1
	s_cbranch_execz .LBB244_178
; %bb.173:                              ;   in Loop: Header=BB244_170 Depth=1
	v_and_b32_e32 v21, 0x7f, v9
	v_mov_b32_e32 v20, 0x7c01
	s_mov_b32 s19, exec_lo
	s_delay_alu instid0(VALU_DEP_2)
	v_cmpx_ne_u32_e32 0x7f, v21
	s_cbranch_execz .LBB244_177
; %bb.174:                              ;   in Loop: Header=BB244_170 Depth=1
	v_and_b32_e32 v1, 7, v9
	v_lshrrev_b32_e32 v20, 3, v21
	s_mov_b32 s21, exec_lo
	v_cmpx_gt_u32_e32 8, v21
; %bb.175:                              ;   in Loop: Header=BB244_170 Depth=1
	s_delay_alu instid0(VALU_DEP_3) | instskip(NEXT) | instid1(VALU_DEP_1)
	v_clz_i32_u32_e32 v1, v1
	v_min_u32_e32 v1, 32, v1
	s_delay_alu instid0(VALU_DEP_1) | instskip(NEXT) | instid1(VALU_DEP_1)
	v_subrev_nc_u32_e32 v20, 28, v1
	v_lshlrev_b64_e32 v[21:22], v20, v[9:10]
	v_sub_nc_u32_e32 v20, 29, v1
	s_delay_alu instid0(VALU_DEP_2)
	v_and_b32_e32 v1, 7, v21
; %bb.176:                              ;   in Loop: Header=BB244_170 Depth=1
	s_wait_alu 0xfffe
	s_or_b32 exec_lo, exec_lo, s21
	v_lshlrev_b32_e32 v21, 8, v9
	v_lshl_add_u32 v20, v20, 10, 0x2000
	v_lshlrev_b32_e32 v1, 7, v1
	s_delay_alu instid0(VALU_DEP_3) | instskip(NEXT) | instid1(VALU_DEP_3)
	v_and_b32_e32 v21, 0x8000, v21
	v_and_b32_e32 v20, 0xfc00, v20
	s_delay_alu instid0(VALU_DEP_1)
	v_or3_b32 v20, v21, v20, v1
.LBB244_177:                            ;   in Loop: Header=BB244_170 Depth=1
	s_wait_alu 0xfffe
	s_or_b32 exec_lo, exec_lo, s19
.LBB244_178:                            ;   in Loop: Header=BB244_170 Depth=1
	s_wait_alu 0xfffe
	s_or_b32 exec_lo, exec_lo, s18
.LBB244_179:                            ;   in Loop: Header=BB244_170 Depth=1
	s_wait_alu 0xfffe
	s_or_b32 exec_lo, exec_lo, s0
	v_lshrrev_b16 v1, 8, v9
	s_mov_b32 s0, exec_lo
	s_delay_alu instid0(VALU_DEP_1)
	v_cmpx_ne_u16_e32 0, v1
	s_cbranch_execz .LBB244_187
; %bb.180:                              ;   in Loop: Header=BB244_170 Depth=1
	v_bfrev_b32_e32 v19, 1
	s_mov_b32 s18, exec_lo
	v_cmpx_ne_u16_e32 0x80, v1
	s_cbranch_execz .LBB244_186
; %bb.181:                              ;   in Loop: Header=BB244_170 Depth=1
	v_and_b32_e32 v21, 0xffff, v1
	v_mov_b32_e32 v19, 0x7c010000
	s_mov_b32 s19, exec_lo
	s_delay_alu instid0(VALU_DEP_2) | instskip(NEXT) | instid1(VALU_DEP_1)
	v_and_b32_e32 v31, 0x7f, v21
	v_cmpx_ne_u32_e32 0x7f, v31
	s_cbranch_execz .LBB244_185
; %bb.182:                              ;   in Loop: Header=BB244_170 Depth=1
	v_and_b32_e32 v19, 7, v21
	v_lshrrev_b32_e32 v22, 3, v31
	s_mov_b32 s21, exec_lo
	v_cmpx_gt_u32_e32 8, v31
; %bb.183:                              ;   in Loop: Header=BB244_170 Depth=1
	s_delay_alu instid0(VALU_DEP_3) | instskip(NEXT) | instid1(VALU_DEP_1)
	v_clz_i32_u32_e32 v19, v19
	v_min_u32_e32 v19, 32, v19
	s_delay_alu instid0(VALU_DEP_1) | instskip(NEXT) | instid1(VALU_DEP_1)
	v_subrev_nc_u32_e32 v22, 28, v19
	v_lshlrev_b64_e32 v[31:32], v22, v[1:2]
	v_sub_nc_u32_e32 v22, 29, v19
	s_delay_alu instid0(VALU_DEP_2)
	v_and_b32_e32 v19, 7, v31
; %bb.184:                              ;   in Loop: Header=BB244_170 Depth=1
	s_wait_alu 0xfffe
	s_or_b32 exec_lo, exec_lo, s21
	v_lshlrev_b32_e32 v1, 8, v21
	v_lshl_add_u32 v21, v22, 10, 0x2000
	v_lshlrev_b32_e32 v19, 23, v19
	s_delay_alu instid0(VALU_DEP_2) | instskip(NEXT) | instid1(VALU_DEP_1)
	v_and_or_b32 v1, 0x8000, v1, v21
	v_lshl_or_b32 v19, v1, 16, v19
.LBB244_185:                            ;   in Loop: Header=BB244_170 Depth=1
	s_wait_alu 0xfffe
	s_or_b32 exec_lo, exec_lo, s19
.LBB244_186:                            ;   in Loop: Header=BB244_170 Depth=1
	s_wait_alu 0xfffe
	s_or_b32 exec_lo, exec_lo, s18
.LBB244_187:                            ;   in Loop: Header=BB244_170 Depth=1
	s_wait_alu 0xfffe
	s_or_b32 exec_lo, exec_lo, s0
	v_lshrrev_b32_e32 v1, 16, v9
	v_mov_b32_e32 v21, 0
	s_mov_b32 s0, exec_lo
	s_delay_alu instid0(VALU_DEP_2) | instskip(NEXT) | instid1(VALU_DEP_1)
	v_dual_mov_b32 v22, 0 :: v_dual_and_b32 v31, 0xff, v1
	v_cmpx_ne_u16_e32 0, v31
	s_cbranch_execz .LBB244_195
; %bb.188:                              ;   in Loop: Header=BB244_170 Depth=1
	v_mov_b32_e32 v22, 0x8000
	s_mov_b32 s18, exec_lo
	v_cmpx_ne_u16_e32 0x80, v31
	s_cbranch_execz .LBB244_194
; %bb.189:                              ;   in Loop: Header=BB244_170 Depth=1
	v_bfe_u32 v32, v9, 16, 7
	v_mov_b32_e32 v22, 0x7c01
	s_mov_b32 s19, exec_lo
	s_delay_alu instid0(VALU_DEP_2)
	v_cmpx_ne_u32_e32 0x7f, v32
	s_cbranch_execz .LBB244_193
; %bb.190:                              ;   in Loop: Header=BB244_170 Depth=1
	v_and_b32_e32 v22, 7, v1
	v_lshrrev_b32_e32 v31, 3, v32
	s_mov_b32 s21, exec_lo
	v_cmpx_gt_u32_e32 8, v32
; %bb.191:                              ;   in Loop: Header=BB244_170 Depth=1
	s_delay_alu instid0(VALU_DEP_3) | instskip(NEXT) | instid1(VALU_DEP_1)
	v_clz_i32_u32_e32 v22, v22
	v_min_u32_e32 v22, 32, v22
	s_delay_alu instid0(VALU_DEP_1) | instskip(NEXT) | instid1(VALU_DEP_1)
	v_subrev_nc_u32_e32 v31, 28, v22
	v_lshlrev_b64_e32 v[32:33], v31, v[1:2]
	v_sub_nc_u32_e32 v31, 29, v22
	s_delay_alu instid0(VALU_DEP_2)
	v_and_b32_e32 v22, 7, v32
; %bb.192:                              ;   in Loop: Header=BB244_170 Depth=1
	s_wait_alu 0xfffe
	s_or_b32 exec_lo, exec_lo, s21
	v_lshlrev_b32_e32 v1, 8, v1
	v_lshl_add_u32 v31, v31, 10, 0x2000
	v_lshlrev_b32_e32 v22, 7, v22
	s_delay_alu instid0(VALU_DEP_3) | instskip(NEXT) | instid1(VALU_DEP_3)
	v_and_b32_e32 v1, 0x8000, v1
	v_and_b32_e32 v31, 0xfc00, v31
	s_delay_alu instid0(VALU_DEP_1)
	v_or3_b32 v22, v1, v31, v22
.LBB244_193:                            ;   in Loop: Header=BB244_170 Depth=1
	s_wait_alu 0xfffe
	s_or_b32 exec_lo, exec_lo, s19
.LBB244_194:                            ;   in Loop: Header=BB244_170 Depth=1
	s_wait_alu 0xfffe
	s_or_b32 exec_lo, exec_lo, s18
.LBB244_195:                            ;   in Loop: Header=BB244_170 Depth=1
	s_wait_alu 0xfffe
	s_or_b32 exec_lo, exec_lo, s0
	s_delay_alu instid0(SALU_CYCLE_1)
	s_mov_b32 s0, exec_lo
	v_cmpx_lt_u32_e32 0xffffff, v9
	s_cbranch_execz .LBB244_203
; %bb.196:                              ;   in Loop: Header=BB244_170 Depth=1
	v_lshrrev_b32_e32 v1, 24, v9
	v_bfrev_b32_e32 v21, 1
	s_mov_b32 s18, exec_lo
	s_delay_alu instid0(VALU_DEP_2)
	v_cmpx_ne_u32_e32 0x80, v1
	s_cbranch_execz .LBB244_202
; %bb.197:                              ;   in Loop: Header=BB244_170 Depth=1
	v_and_b32_e32 v32, 0x7f, v1
	v_mov_b32_e32 v21, 0x7c010000
	s_mov_b32 s19, exec_lo
	s_delay_alu instid0(VALU_DEP_2)
	v_cmpx_ne_u32_e32 0x7f, v32
	s_cbranch_execz .LBB244_201
; %bb.198:                              ;   in Loop: Header=BB244_170 Depth=1
	v_and_b32_e32 v21, 7, v1
	v_lshrrev_b32_e32 v31, 3, v32
	s_mov_b32 s21, exec_lo
	v_cmpx_gt_u32_e32 8, v32
; %bb.199:                              ;   in Loop: Header=BB244_170 Depth=1
	s_delay_alu instid0(VALU_DEP_3) | instskip(NEXT) | instid1(VALU_DEP_1)
	v_clz_i32_u32_e32 v21, v21
	v_min_u32_e32 v21, 32, v21
	s_delay_alu instid0(VALU_DEP_1) | instskip(NEXT) | instid1(VALU_DEP_1)
	v_subrev_nc_u32_e32 v31, 28, v21
	v_lshlrev_b64_e32 v[32:33], v31, v[1:2]
	v_sub_nc_u32_e32 v31, 29, v21
	s_delay_alu instid0(VALU_DEP_2)
	v_and_b32_e32 v21, 7, v32
; %bb.200:                              ;   in Loop: Header=BB244_170 Depth=1
	s_wait_alu 0xfffe
	s_or_b32 exec_lo, exec_lo, s21
	v_lshlrev_b32_e32 v1, 8, v1
	v_lshl_add_u32 v31, v31, 10, 0x2000
	v_lshlrev_b32_e32 v21, 23, v21
	s_delay_alu instid0(VALU_DEP_2) | instskip(NEXT) | instid1(VALU_DEP_1)
	v_and_or_b32 v1, 0x8000, v1, v31
	v_lshl_or_b32 v21, v1, 16, v21
.LBB244_201:                            ;   in Loop: Header=BB244_170 Depth=1
	s_wait_alu 0xfffe
	s_or_b32 exec_lo, exec_lo, s19
.LBB244_202:                            ;   in Loop: Header=BB244_170 Depth=1
	s_wait_alu 0xfffe
	s_or_b32 exec_lo, exec_lo, s18
.LBB244_203:                            ;   in Loop: Header=BB244_170 Depth=1
	s_wait_alu 0xfffe
	s_or_b32 exec_lo, exec_lo, s0
	v_dual_mov_b32 v32, 0 :: v_dual_and_b32 v33, 0xff, v10
	v_mov_b32_e32 v1, v10
	v_mov_b32_e32 v31, 0
	s_mov_b32 s0, exec_lo
	s_delay_alu instid0(VALU_DEP_3)
	v_cmpx_ne_u16_e32 0, v33
	s_cbranch_execz .LBB244_211
; %bb.204:                              ;   in Loop: Header=BB244_170 Depth=1
	v_mov_b32_e32 v32, 0x8000
	s_mov_b32 s18, exec_lo
	v_cmpx_ne_u16_e32 0x80, v33
	s_cbranch_execz .LBB244_210
; %bb.205:                              ;   in Loop: Header=BB244_170 Depth=1
	v_and_b32_e32 v34, 0x7f, v10
	v_mov_b32_e32 v32, 0x7c01
	s_mov_b32 s19, exec_lo
	s_delay_alu instid0(VALU_DEP_2)
	v_cmpx_ne_u32_e32 0x7f, v34
	s_cbranch_execz .LBB244_209
; %bb.206:                              ;   in Loop: Header=BB244_170 Depth=1
	v_and_b32_e32 v32, 7, v10
	v_lshrrev_b32_e32 v33, 3, v34
	s_mov_b32 s21, exec_lo
	v_cmpx_gt_u32_e32 8, v34
; %bb.207:                              ;   in Loop: Header=BB244_170 Depth=1
	s_delay_alu instid0(VALU_DEP_3) | instskip(NEXT) | instid1(VALU_DEP_1)
	v_clz_i32_u32_e32 v32, v32
	v_min_u32_e32 v34, 32, v32
	s_delay_alu instid0(VALU_DEP_1) | instskip(NEXT) | instid1(VALU_DEP_1)
	v_subrev_nc_u32_e32 v32, 28, v34
	v_lshlrev_b64_e32 v[32:33], v32, v[1:2]
	v_sub_nc_u32_e32 v33, 29, v34
	s_delay_alu instid0(VALU_DEP_2)
	v_and_b32_e32 v32, 7, v32
; %bb.208:                              ;   in Loop: Header=BB244_170 Depth=1
	s_wait_alu 0xfffe
	s_or_b32 exec_lo, exec_lo, s21
	v_lshlrev_b32_e32 v34, 8, v10
	v_lshl_add_u32 v33, v33, 10, 0x2000
	v_lshlrev_b32_e32 v32, 7, v32
	s_delay_alu instid0(VALU_DEP_3) | instskip(NEXT) | instid1(VALU_DEP_3)
	v_and_b32_e32 v34, 0x8000, v34
	v_and_b32_e32 v33, 0xfc00, v33
	s_delay_alu instid0(VALU_DEP_1)
	v_or3_b32 v32, v34, v33, v32
.LBB244_209:                            ;   in Loop: Header=BB244_170 Depth=1
	s_wait_alu 0xfffe
	s_or_b32 exec_lo, exec_lo, s19
.LBB244_210:                            ;   in Loop: Header=BB244_170 Depth=1
	s_wait_alu 0xfffe
	s_or_b32 exec_lo, exec_lo, s18
.LBB244_211:                            ;   in Loop: Header=BB244_170 Depth=1
	s_wait_alu 0xfffe
	s_or_b32 exec_lo, exec_lo, s0
	v_lshrrev_b16 v1, 8, v1
	v_mov_b32_e32 v33, 0
	s_mov_b32 s0, exec_lo
	s_delay_alu instid0(VALU_DEP_2)
	v_cmpx_ne_u16_e32 0, v1
	s_cbranch_execz .LBB244_219
; %bb.212:                              ;   in Loop: Header=BB244_170 Depth=1
	v_bfrev_b32_e32 v33, 1
	s_mov_b32 s18, exec_lo
	v_cmpx_ne_u16_e32 0x80, v1
	s_cbranch_execz .LBB244_218
; %bb.213:                              ;   in Loop: Header=BB244_170 Depth=1
	v_and_b32_e32 v34, 0xffff, v1
	v_mov_b32_e32 v33, 0x7c010000
	s_mov_b32 s19, exec_lo
	s_delay_alu instid0(VALU_DEP_2) | instskip(NEXT) | instid1(VALU_DEP_1)
	v_and_b32_e32 v36, 0x7f, v34
	v_cmpx_ne_u32_e32 0x7f, v36
	s_cbranch_execz .LBB244_217
; %bb.214:                              ;   in Loop: Header=BB244_170 Depth=1
	v_and_b32_e32 v33, 7, v34
	v_lshrrev_b32_e32 v35, 3, v36
	s_mov_b32 s21, exec_lo
	v_cmpx_gt_u32_e32 8, v36
; %bb.215:                              ;   in Loop: Header=BB244_170 Depth=1
	s_delay_alu instid0(VALU_DEP_3) | instskip(NEXT) | instid1(VALU_DEP_1)
	v_clz_i32_u32_e32 v33, v33
	v_min_u32_e32 v33, 32, v33
	s_delay_alu instid0(VALU_DEP_1) | instskip(NEXT) | instid1(VALU_DEP_1)
	v_subrev_nc_u32_e32 v35, 28, v33
	v_lshlrev_b64_e32 v[36:37], v35, v[1:2]
	v_sub_nc_u32_e32 v35, 29, v33
	s_delay_alu instid0(VALU_DEP_2)
	v_and_b32_e32 v33, 7, v36
; %bb.216:                              ;   in Loop: Header=BB244_170 Depth=1
	s_wait_alu 0xfffe
	s_or_b32 exec_lo, exec_lo, s21
	v_lshlrev_b32_e32 v1, 8, v34
	v_lshl_add_u32 v34, v35, 10, 0x2000
	v_lshlrev_b32_e32 v33, 23, v33
	s_delay_alu instid0(VALU_DEP_2) | instskip(NEXT) | instid1(VALU_DEP_1)
	v_and_or_b32 v1, 0x8000, v1, v34
	v_lshl_or_b32 v33, v1, 16, v33
.LBB244_217:                            ;   in Loop: Header=BB244_170 Depth=1
	s_wait_alu 0xfffe
	s_or_b32 exec_lo, exec_lo, s19
.LBB244_218:                            ;   in Loop: Header=BB244_170 Depth=1
	s_wait_alu 0xfffe
	s_or_b32 exec_lo, exec_lo, s18
.LBB244_219:                            ;   in Loop: Header=BB244_170 Depth=1
	s_wait_alu 0xfffe
	s_or_b32 exec_lo, exec_lo, s0
	v_lshrrev_b32_e32 v1, 16, v10
	s_mov_b32 s0, exec_lo
	s_delay_alu instid0(VALU_DEP_1) | instskip(NEXT) | instid1(VALU_DEP_1)
	v_and_b32_e32 v34, 0xff, v1
	v_cmpx_ne_u16_e32 0, v34
	s_cbranch_execz .LBB244_227
; %bb.220:                              ;   in Loop: Header=BB244_170 Depth=1
	v_mov_b32_e32 v31, 0x8000
	s_mov_b32 s18, exec_lo
	v_cmpx_ne_u16_e32 0x80, v34
	s_cbranch_execz .LBB244_226
; %bb.221:                              ;   in Loop: Header=BB244_170 Depth=1
	v_bfe_u32 v35, v10, 16, 7
	v_mov_b32_e32 v31, 0x7c01
	s_mov_b32 s19, exec_lo
	s_delay_alu instid0(VALU_DEP_2)
	v_cmpx_ne_u32_e32 0x7f, v35
	s_cbranch_execz .LBB244_225
; %bb.222:                              ;   in Loop: Header=BB244_170 Depth=1
	v_and_b32_e32 v31, 7, v1
	v_lshrrev_b32_e32 v34, 3, v35
	s_mov_b32 s21, exec_lo
	v_cmpx_gt_u32_e32 8, v35
; %bb.223:                              ;   in Loop: Header=BB244_170 Depth=1
	s_delay_alu instid0(VALU_DEP_3) | instskip(NEXT) | instid1(VALU_DEP_1)
	v_clz_i32_u32_e32 v31, v31
	v_min_u32_e32 v31, 32, v31
	s_delay_alu instid0(VALU_DEP_1) | instskip(NEXT) | instid1(VALU_DEP_1)
	v_subrev_nc_u32_e32 v34, 28, v31
	v_lshlrev_b64_e32 v[35:36], v34, v[1:2]
	v_sub_nc_u32_e32 v34, 29, v31
	s_delay_alu instid0(VALU_DEP_2)
	v_and_b32_e32 v31, 7, v35
; %bb.224:                              ;   in Loop: Header=BB244_170 Depth=1
	s_wait_alu 0xfffe
	s_or_b32 exec_lo, exec_lo, s21
	v_lshlrev_b32_e32 v1, 8, v1
	v_lshl_add_u32 v34, v34, 10, 0x2000
	v_lshlrev_b32_e32 v31, 7, v31
	s_delay_alu instid0(VALU_DEP_3) | instskip(NEXT) | instid1(VALU_DEP_3)
	v_and_b32_e32 v1, 0x8000, v1
	v_and_b32_e32 v34, 0xfc00, v34
	s_delay_alu instid0(VALU_DEP_1)
	v_or3_b32 v31, v1, v34, v31
.LBB244_225:                            ;   in Loop: Header=BB244_170 Depth=1
	s_wait_alu 0xfffe
	s_or_b32 exec_lo, exec_lo, s19
.LBB244_226:                            ;   in Loop: Header=BB244_170 Depth=1
	s_wait_alu 0xfffe
	s_or_b32 exec_lo, exec_lo, s18
.LBB244_227:                            ;   in Loop: Header=BB244_170 Depth=1
	s_wait_alu 0xfffe
	s_or_b32 exec_lo, exec_lo, s0
	v_cmp_lt_u64_e32 vcc_lo, s[8:9], v[9:10]
	v_mov_b32_e32 v9, 0
	s_and_saveexec_b32 s0, vcc_lo
	s_cbranch_execz .LBB244_235
; %bb.228:                              ;   in Loop: Header=BB244_170 Depth=1
	v_lshrrev_b32_e32 v1, 24, v10
	v_bfrev_b32_e32 v9, 1
	s_mov_b32 s18, exec_lo
	s_delay_alu instid0(VALU_DEP_2)
	v_cmpx_ne_u32_e32 0x80, v1
	s_cbranch_execz .LBB244_234
; %bb.229:                              ;   in Loop: Header=BB244_170 Depth=1
	v_and_b32_e32 v34, 0x7f, v1
	v_mov_b32_e32 v9, 0x7c010000
	s_mov_b32 s19, exec_lo
	s_delay_alu instid0(VALU_DEP_2)
	v_cmpx_ne_u32_e32 0x7f, v34
	s_cbranch_execz .LBB244_233
; %bb.230:                              ;   in Loop: Header=BB244_170 Depth=1
	v_and_b32_e32 v9, 7, v1
	v_lshrrev_b32_e32 v10, 3, v34
	s_mov_b32 s21, exec_lo
	v_cmpx_gt_u32_e32 8, v34
; %bb.231:                              ;   in Loop: Header=BB244_170 Depth=1
	s_delay_alu instid0(VALU_DEP_3) | instskip(NEXT) | instid1(VALU_DEP_1)
	v_clz_i32_u32_e32 v9, v9
	v_min_u32_e32 v34, 32, v9
	s_delay_alu instid0(VALU_DEP_1) | instskip(NEXT) | instid1(VALU_DEP_1)
	v_subrev_nc_u32_e32 v9, 28, v34
	v_lshlrev_b64_e32 v[9:10], v9, v[1:2]
	v_sub_nc_u32_e32 v10, 29, v34
	s_delay_alu instid0(VALU_DEP_2)
	v_and_b32_e32 v9, 7, v9
; %bb.232:                              ;   in Loop: Header=BB244_170 Depth=1
	s_wait_alu 0xfffe
	s_or_b32 exec_lo, exec_lo, s21
	v_lshlrev_b32_e32 v1, 8, v1
	v_lshl_add_u32 v10, v10, 10, 0x2000
	v_lshlrev_b32_e32 v9, 23, v9
	s_delay_alu instid0(VALU_DEP_2) | instskip(NEXT) | instid1(VALU_DEP_1)
	v_and_or_b32 v1, 0x8000, v1, v10
	v_lshl_or_b32 v9, v1, 16, v9
.LBB244_233:                            ;   in Loop: Header=BB244_170 Depth=1
	s_wait_alu 0xfffe
	s_or_b32 exec_lo, exec_lo, s19
.LBB244_234:                            ;   in Loop: Header=BB244_170 Depth=1
	s_wait_alu 0xfffe
	s_or_b32 exec_lo, exec_lo, s18
.LBB244_235:                            ;   in Loop: Header=BB244_170 Depth=1
	s_wait_alu 0xfffe
	s_or_b32 exec_lo, exec_lo, s0
	v_or_b32_e32 v1, v21, v22
	v_fma_mixlo_f16 v10, v18, v21, 0 op_sel:[0,1,0] op_sel_hi:[0,1,0]
	v_or_b32_e32 v20, v19, v20
	v_fma_mixlo_f16 v19, v18, v19, 0 op_sel:[0,1,0] op_sel_hi:[0,1,0]
	v_or_b32_e32 v21, v33, v32
	v_fma_mixlo_f16 v1, v18, v1, 0 op_sel_hi:[0,1,0]
	v_or_b32_e32 v22, v9, v31
	v_lshlrev_b32_e32 v31, 16, v10
	v_lshlrev_b32_e32 v39, 16, v19
	v_fma_mixlo_f16 v10, v18, v20, 0 op_sel_hi:[0,1,0]
	v_and_b32_e32 v36, 0xffff, v1
	v_fma_mixlo_f16 v1, v18, v33, 0 op_sel:[0,1,0] op_sel_hi:[0,1,0]
	v_fma_mixlo_f16 v19, v18, v21, 0 op_sel_hi:[0,1,0]
	v_fma_mixlo_f16 v9, v18, v9, 0 op_sel:[0,1,0] op_sel_hi:[0,1,0]
	v_fma_mixlo_f16 v18, v18, v22, 0 op_sel_hi:[0,1,0]
	v_and_b32_e32 v41, 0xffff, v10
	v_lshlrev_b32_e32 v37, 16, v1
	v_and_b32_e32 v40, 0xffff, v19
	v_lshlrev_b32_e32 v34, 16, v9
	v_and_b32_e32 v38, 0xffff, v18
	v_cmp_eq_u32_e32 vcc_lo, s41, v13
	v_or_b32_e32 v1, v31, v36
	v_or_b32_e32 v32, v39, v41
	;; [unrolled: 1-line block ×4, first 2 shown]
	v_add_nc_u32_e32 v22, 1, v12
	v_add_nc_u32_e32 v21, 2, v12
	;; [unrolled: 1-line block ×7, first 2 shown]
	s_and_saveexec_b32 s18, vcc_lo
	s_cbranch_execz .LBB244_237
; %bb.236:                              ;   in Loop: Header=BB244_170 Depth=1
	v_cmp_gt_i32_e64 s0, s33, v12
	s_wait_alu 0xf1ff
	s_delay_alu instid0(VALU_DEP_1) | instskip(SKIP_2) | instid1(VALU_DEP_1)
	v_cndmask_b32_e64 v1, 0, v41, s0
	v_cmp_gt_i32_e64 s0, s33, v22
	s_wait_alu 0xf1ff
	v_cndmask_b32_e64 v32, 0, v39, s0
	v_cmp_gt_i32_e64 s0, s33, v21
	s_delay_alu instid0(VALU_DEP_2) | instskip(SKIP_1) | instid1(VALU_DEP_2)
	v_or_b32_e32 v32, v32, v1
	s_wait_alu 0xf1ff
	v_cndmask_b32_e64 v33, 0, v36, s0
	v_cmp_gt_i32_e64 s0, s33, v20
	s_wait_alu 0xf1ff
	s_delay_alu instid0(VALU_DEP_1) | instskip(SKIP_1) | instid1(VALU_DEP_2)
	v_cndmask_b32_e64 v31, 0, v31, s0
	v_cmp_gt_i32_e64 s0, s33, v19
	v_or_b32_e32 v1, v31, v33
	s_wait_alu 0xf1ff
	s_delay_alu instid0(VALU_DEP_2) | instskip(SKIP_2) | instid1(VALU_DEP_1)
	v_cndmask_b32_e64 v35, 0, v40, s0
	v_cmp_gt_i32_e64 s0, s33, v18
	s_wait_alu 0xf1ff
	v_cndmask_b32_e64 v36, 0, v37, s0
	v_cmp_gt_i32_e64 s0, s33, v10
	s_delay_alu instid0(VALU_DEP_2) | instskip(SKIP_1) | instid1(VALU_DEP_2)
	v_or_b32_e32 v33, v36, v35
	s_wait_alu 0xf1ff
	v_cndmask_b32_e64 v37, 0, v38, s0
	v_cmp_gt_i32_e64 s0, s33, v9
	s_wait_alu 0xf1ff
	s_delay_alu instid0(VALU_DEP_1) | instskip(NEXT) | instid1(VALU_DEP_1)
	v_cndmask_b32_e64 v34, 0, v34, s0
	v_or_b32_e32 v35, v34, v37
.LBB244_237:                            ;   in Loop: Header=BB244_170 Depth=1
	s_wait_alu 0xfffe
	s_or_b32 exec_lo, exec_lo, s18
	v_and_b32_e32 v23, 0xffff, v23
	v_and_b32_e32 v27, 0xffff, v27
	;; [unrolled: 1-line block ×4, first 2 shown]
	s_mov_b32 s18, exec_lo
	v_lshl_or_b32 v28, v24, 16, v23
	v_lshl_or_b32 v27, v25, 16, v27
	;;#ASMSTART
	v_pk_mul_f16 v23, v28, v32;

	;;#ASMEND
	;;#ASMSTART
	v_pk_mul_f16 v1, v27, v1;

	;;#ASMEND
	v_lshl_or_b32 v26, v26, 16, v31
	;;#ASMSTART
	v_pk_mul_f16 v25, v26, v33;

	;;#ASMEND
	v_mov_b32_e32 v31, 0
	v_lshl_or_b32 v24, v29, 16, v30
	;;#ASMSTART
	v_pk_mul_f16 v29, v24, v35;

	;;#ASMEND
	;;#ASMSTART
	v_pk_add_f16 v1, v23, v1;

	;;#ASMEND
	;;#ASMSTART
	v_pk_add_f16 v1, v1, v25;

	;;#ASMEND
	;;#ASMSTART
	v_pk_add_f16 v1, v1, v29;

	;;#ASMEND
	v_and_b32_e32 v23, 0xffff, v1
	v_lshrrev_b32_e32 v1, 16, v1
	;;#ASMSTART
	v_cvt_f32_f16 v23, v23;
	;;#ASMEND
	;;#ASMSTART
	v_cvt_f32_f16 v25, v1;
	;;#ASMEND
	global_load_b64 v[7:8], v[7:8], off offset:256
	v_mov_b32_e32 v30, 0
	global_load_b32 v29, v30, s[10:11]
	s_wait_loadcnt 0x1
	v_and_b32_e32 v1, 0xff, v7
	s_delay_alu instid0(VALU_DEP_1)
	v_cmpx_ne_u16_e32 0, v1
	s_cbranch_execz .LBB244_245
; %bb.238:                              ;   in Loop: Header=BB244_170 Depth=1
	v_mov_b32_e32 v31, 0x8000
	s_mov_b32 s19, exec_lo
	v_cmpx_ne_u16_e32 0x80, v1
	s_cbranch_execz .LBB244_244
; %bb.239:                              ;   in Loop: Header=BB244_170 Depth=1
	v_and_b32_e32 v32, 0x7f, v7
	v_mov_b32_e32 v31, 0x7c01
	s_mov_b32 s21, exec_lo
	s_delay_alu instid0(VALU_DEP_2)
	v_cmpx_ne_u32_e32 0x7f, v32
	s_cbranch_execz .LBB244_243
; %bb.240:                              ;   in Loop: Header=BB244_170 Depth=1
	v_and_b32_e32 v1, 7, v7
	v_lshrrev_b32_e32 v31, 3, v32
	s_mov_b32 s22, exec_lo
	v_cmpx_gt_u32_e32 8, v32
; %bb.241:                              ;   in Loop: Header=BB244_170 Depth=1
	s_delay_alu instid0(VALU_DEP_3) | instskip(NEXT) | instid1(VALU_DEP_1)
	v_clz_i32_u32_e32 v1, v1
	v_min_u32_e32 v1, 32, v1
	s_delay_alu instid0(VALU_DEP_1) | instskip(NEXT) | instid1(VALU_DEP_1)
	v_subrev_nc_u32_e32 v31, 28, v1
	v_lshlrev_b64_e32 v[32:33], v31, v[7:8]
	v_sub_nc_u32_e32 v31, 29, v1
	s_delay_alu instid0(VALU_DEP_2)
	v_and_b32_e32 v1, 7, v32
; %bb.242:                              ;   in Loop: Header=BB244_170 Depth=1
	s_wait_alu 0xfffe
	s_or_b32 exec_lo, exec_lo, s22
	v_lshlrev_b32_e32 v32, 8, v7
	v_lshl_add_u32 v31, v31, 10, 0x2000
	v_lshlrev_b32_e32 v1, 7, v1
	s_delay_alu instid0(VALU_DEP_3) | instskip(NEXT) | instid1(VALU_DEP_3)
	v_and_b32_e32 v32, 0x8000, v32
	v_and_b32_e32 v31, 0xfc00, v31
	s_delay_alu instid0(VALU_DEP_1)
	v_or3_b32 v31, v32, v31, v1
.LBB244_243:                            ;   in Loop: Header=BB244_170 Depth=1
	s_wait_alu 0xfffe
	s_or_b32 exec_lo, exec_lo, s21
.LBB244_244:                            ;   in Loop: Header=BB244_170 Depth=1
	s_wait_alu 0xfffe
	s_or_b32 exec_lo, exec_lo, s19
.LBB244_245:                            ;   in Loop: Header=BB244_170 Depth=1
	s_wait_alu 0xfffe
	s_or_b32 exec_lo, exec_lo, s18
	v_lshrrev_b16 v1, 8, v7
	s_mov_b32 s18, exec_lo
	s_delay_alu instid0(VALU_DEP_1)
	v_cmpx_ne_u16_e32 0, v1
	s_cbranch_execz .LBB244_253
; %bb.246:                              ;   in Loop: Header=BB244_170 Depth=1
	v_bfrev_b32_e32 v30, 1
	s_mov_b32 s19, exec_lo
	v_cmpx_ne_u16_e32 0x80, v1
	s_cbranch_execz .LBB244_252
; %bb.247:                              ;   in Loop: Header=BB244_170 Depth=1
	v_and_b32_e32 v32, 0xffff, v1
	v_mov_b32_e32 v30, 0x7c010000
	s_mov_b32 s21, exec_lo
	s_delay_alu instid0(VALU_DEP_2) | instskip(NEXT) | instid1(VALU_DEP_1)
	v_and_b32_e32 v34, 0x7f, v32
	v_cmpx_ne_u32_e32 0x7f, v34
	s_cbranch_execz .LBB244_251
; %bb.248:                              ;   in Loop: Header=BB244_170 Depth=1
	v_and_b32_e32 v30, 7, v32
	v_lshrrev_b32_e32 v33, 3, v34
	s_mov_b32 s22, exec_lo
	v_cmpx_gt_u32_e32 8, v34
; %bb.249:                              ;   in Loop: Header=BB244_170 Depth=1
	s_delay_alu instid0(VALU_DEP_3) | instskip(NEXT) | instid1(VALU_DEP_1)
	v_clz_i32_u32_e32 v30, v30
	v_min_u32_e32 v30, 32, v30
	s_delay_alu instid0(VALU_DEP_1) | instskip(NEXT) | instid1(VALU_DEP_1)
	v_subrev_nc_u32_e32 v33, 28, v30
	v_lshlrev_b64_e32 v[34:35], v33, v[1:2]
	v_sub_nc_u32_e32 v33, 29, v30
	s_delay_alu instid0(VALU_DEP_2)
	v_and_b32_e32 v30, 7, v34
; %bb.250:                              ;   in Loop: Header=BB244_170 Depth=1
	s_wait_alu 0xfffe
	s_or_b32 exec_lo, exec_lo, s22
	v_lshlrev_b32_e32 v1, 8, v32
	v_lshl_add_u32 v32, v33, 10, 0x2000
	v_lshlrev_b32_e32 v30, 23, v30
	s_delay_alu instid0(VALU_DEP_2) | instskip(NEXT) | instid1(VALU_DEP_1)
	v_and_or_b32 v1, 0x8000, v1, v32
	v_lshl_or_b32 v30, v1, 16, v30
.LBB244_251:                            ;   in Loop: Header=BB244_170 Depth=1
	s_wait_alu 0xfffe
	s_or_b32 exec_lo, exec_lo, s21
.LBB244_252:                            ;   in Loop: Header=BB244_170 Depth=1
	s_wait_alu 0xfffe
	s_or_b32 exec_lo, exec_lo, s19
.LBB244_253:                            ;   in Loop: Header=BB244_170 Depth=1
	s_wait_alu 0xfffe
	s_or_b32 exec_lo, exec_lo, s18
	v_lshrrev_b32_e32 v1, 16, v7
	v_mov_b32_e32 v32, 0
	s_mov_b32 s18, exec_lo
	s_delay_alu instid0(VALU_DEP_2) | instskip(NEXT) | instid1(VALU_DEP_1)
	v_dual_mov_b32 v33, 0 :: v_dual_and_b32 v34, 0xff, v1
	v_cmpx_ne_u16_e32 0, v34
	s_cbranch_execz .LBB244_261
; %bb.254:                              ;   in Loop: Header=BB244_170 Depth=1
	v_mov_b32_e32 v33, 0x8000
	s_mov_b32 s19, exec_lo
	v_cmpx_ne_u16_e32 0x80, v34
	s_cbranch_execz .LBB244_260
; %bb.255:                              ;   in Loop: Header=BB244_170 Depth=1
	v_bfe_u32 v35, v7, 16, 7
	v_mov_b32_e32 v33, 0x7c01
	s_mov_b32 s21, exec_lo
	s_delay_alu instid0(VALU_DEP_2)
	v_cmpx_ne_u32_e32 0x7f, v35
	s_cbranch_execz .LBB244_259
; %bb.256:                              ;   in Loop: Header=BB244_170 Depth=1
	v_and_b32_e32 v33, 7, v1
	v_lshrrev_b32_e32 v34, 3, v35
	s_mov_b32 s22, exec_lo
	v_cmpx_gt_u32_e32 8, v35
; %bb.257:                              ;   in Loop: Header=BB244_170 Depth=1
	s_delay_alu instid0(VALU_DEP_3) | instskip(NEXT) | instid1(VALU_DEP_1)
	v_clz_i32_u32_e32 v33, v33
	v_min_u32_e32 v35, 32, v33
	s_delay_alu instid0(VALU_DEP_1) | instskip(NEXT) | instid1(VALU_DEP_1)
	v_subrev_nc_u32_e32 v33, 28, v35
	v_lshlrev_b64_e32 v[33:34], v33, v[1:2]
	v_sub_nc_u32_e32 v34, 29, v35
	s_delay_alu instid0(VALU_DEP_2)
	v_and_b32_e32 v33, 7, v33
; %bb.258:                              ;   in Loop: Header=BB244_170 Depth=1
	s_wait_alu 0xfffe
	s_or_b32 exec_lo, exec_lo, s22
	v_lshlrev_b32_e32 v1, 8, v1
	v_lshl_add_u32 v34, v34, 10, 0x2000
	v_lshlrev_b32_e32 v33, 7, v33
	s_delay_alu instid0(VALU_DEP_3) | instskip(NEXT) | instid1(VALU_DEP_3)
	v_and_b32_e32 v1, 0x8000, v1
	v_and_b32_e32 v34, 0xfc00, v34
	s_delay_alu instid0(VALU_DEP_1)
	v_or3_b32 v33, v1, v34, v33
.LBB244_259:                            ;   in Loop: Header=BB244_170 Depth=1
	s_wait_alu 0xfffe
	s_or_b32 exec_lo, exec_lo, s21
.LBB244_260:                            ;   in Loop: Header=BB244_170 Depth=1
	s_wait_alu 0xfffe
	s_or_b32 exec_lo, exec_lo, s19
.LBB244_261:                            ;   in Loop: Header=BB244_170 Depth=1
	s_wait_alu 0xfffe
	s_or_b32 exec_lo, exec_lo, s18
	s_delay_alu instid0(SALU_CYCLE_1)
	s_mov_b32 s18, exec_lo
	v_cmpx_lt_u32_e32 0xffffff, v7
	s_cbranch_execz .LBB244_269
; %bb.262:                              ;   in Loop: Header=BB244_170 Depth=1
	v_lshrrev_b32_e32 v1, 24, v7
	v_bfrev_b32_e32 v32, 1
	s_mov_b32 s19, exec_lo
	s_delay_alu instid0(VALU_DEP_2)
	v_cmpx_ne_u32_e32 0x80, v1
	s_cbranch_execz .LBB244_268
; %bb.263:                              ;   in Loop: Header=BB244_170 Depth=1
	v_and_b32_e32 v35, 0x7f, v1
	v_mov_b32_e32 v32, 0x7c010000
	s_mov_b32 s21, exec_lo
	s_delay_alu instid0(VALU_DEP_2)
	v_cmpx_ne_u32_e32 0x7f, v35
	s_cbranch_execz .LBB244_267
; %bb.264:                              ;   in Loop: Header=BB244_170 Depth=1
	v_and_b32_e32 v32, 7, v1
	v_lshrrev_b32_e32 v34, 3, v35
	s_mov_b32 s22, exec_lo
	v_cmpx_gt_u32_e32 8, v35
; %bb.265:                              ;   in Loop: Header=BB244_170 Depth=1
	s_delay_alu instid0(VALU_DEP_3) | instskip(NEXT) | instid1(VALU_DEP_1)
	v_clz_i32_u32_e32 v32, v32
	v_min_u32_e32 v32, 32, v32
	s_delay_alu instid0(VALU_DEP_1) | instskip(NEXT) | instid1(VALU_DEP_1)
	v_subrev_nc_u32_e32 v34, 28, v32
	v_lshlrev_b64_e32 v[35:36], v34, v[1:2]
	v_sub_nc_u32_e32 v34, 29, v32
	s_delay_alu instid0(VALU_DEP_2)
	v_and_b32_e32 v32, 7, v35
; %bb.266:                              ;   in Loop: Header=BB244_170 Depth=1
	s_wait_alu 0xfffe
	s_or_b32 exec_lo, exec_lo, s22
	v_lshlrev_b32_e32 v1, 8, v1
	v_lshl_add_u32 v34, v34, 10, 0x2000
	v_lshlrev_b32_e32 v32, 23, v32
	s_delay_alu instid0(VALU_DEP_2) | instskip(NEXT) | instid1(VALU_DEP_1)
	v_and_or_b32 v1, 0x8000, v1, v34
	v_lshl_or_b32 v32, v1, 16, v32
.LBB244_267:                            ;   in Loop: Header=BB244_170 Depth=1
	s_wait_alu 0xfffe
	s_or_b32 exec_lo, exec_lo, s21
.LBB244_268:                            ;   in Loop: Header=BB244_170 Depth=1
	s_wait_alu 0xfffe
	s_or_b32 exec_lo, exec_lo, s19
.LBB244_269:                            ;   in Loop: Header=BB244_170 Depth=1
	s_wait_alu 0xfffe
	s_or_b32 exec_lo, exec_lo, s18
	v_dual_mov_b32 v1, v8 :: v_dual_and_b32 v36, 0xff, v8
	v_dual_mov_b32 v34, 0 :: v_dual_mov_b32 v35, 0
	s_mov_b32 s18, exec_lo
	s_delay_alu instid0(VALU_DEP_2)
	v_cmpx_ne_u16_e32 0, v36
	s_cbranch_execz .LBB244_277
; %bb.270:                              ;   in Loop: Header=BB244_170 Depth=1
	v_mov_b32_e32 v35, 0x8000
	s_mov_b32 s19, exec_lo
	v_cmpx_ne_u16_e32 0x80, v36
	s_cbranch_execz .LBB244_276
; %bb.271:                              ;   in Loop: Header=BB244_170 Depth=1
	v_and_b32_e32 v37, 0x7f, v8
	v_mov_b32_e32 v35, 0x7c01
	s_mov_b32 s21, exec_lo
	s_delay_alu instid0(VALU_DEP_2)
	v_cmpx_ne_u32_e32 0x7f, v37
	s_cbranch_execz .LBB244_275
; %bb.272:                              ;   in Loop: Header=BB244_170 Depth=1
	v_and_b32_e32 v35, 7, v8
	v_lshrrev_b32_e32 v36, 3, v37
	s_mov_b32 s22, exec_lo
	v_cmpx_gt_u32_e32 8, v37
; %bb.273:                              ;   in Loop: Header=BB244_170 Depth=1
	s_delay_alu instid0(VALU_DEP_3) | instskip(NEXT) | instid1(VALU_DEP_1)
	v_clz_i32_u32_e32 v35, v35
	v_min_u32_e32 v37, 32, v35
	s_delay_alu instid0(VALU_DEP_1) | instskip(NEXT) | instid1(VALU_DEP_1)
	v_subrev_nc_u32_e32 v35, 28, v37
	v_lshlrev_b64_e32 v[35:36], v35, v[1:2]
	v_sub_nc_u32_e32 v36, 29, v37
	s_delay_alu instid0(VALU_DEP_2)
	v_and_b32_e32 v35, 7, v35
; %bb.274:                              ;   in Loop: Header=BB244_170 Depth=1
	s_wait_alu 0xfffe
	s_or_b32 exec_lo, exec_lo, s22
	v_lshlrev_b32_e32 v37, 8, v8
	v_lshl_add_u32 v36, v36, 10, 0x2000
	v_lshlrev_b32_e32 v35, 7, v35
	s_delay_alu instid0(VALU_DEP_3) | instskip(NEXT) | instid1(VALU_DEP_3)
	v_and_b32_e32 v37, 0x8000, v37
	v_and_b32_e32 v36, 0xfc00, v36
	s_delay_alu instid0(VALU_DEP_1)
	v_or3_b32 v35, v37, v36, v35
.LBB244_275:                            ;   in Loop: Header=BB244_170 Depth=1
	s_wait_alu 0xfffe
	s_or_b32 exec_lo, exec_lo, s21
.LBB244_276:                            ;   in Loop: Header=BB244_170 Depth=1
	s_wait_alu 0xfffe
	s_or_b32 exec_lo, exec_lo, s19
.LBB244_277:                            ;   in Loop: Header=BB244_170 Depth=1
	s_wait_alu 0xfffe
	s_or_b32 exec_lo, exec_lo, s18
	v_lshrrev_b16 v1, 8, v1
	v_mov_b32_e32 v36, 0
	s_mov_b32 s18, exec_lo
	s_delay_alu instid0(VALU_DEP_2)
	v_cmpx_ne_u16_e32 0, v1
	s_cbranch_execz .LBB244_285
; %bb.278:                              ;   in Loop: Header=BB244_170 Depth=1
	v_bfrev_b32_e32 v36, 1
	s_mov_b32 s19, exec_lo
	v_cmpx_ne_u16_e32 0x80, v1
	s_cbranch_execz .LBB244_284
; %bb.279:                              ;   in Loop: Header=BB244_170 Depth=1
	v_and_b32_e32 v37, 0xffff, v1
	v_mov_b32_e32 v36, 0x7c010000
	s_mov_b32 s21, exec_lo
	s_delay_alu instid0(VALU_DEP_2) | instskip(NEXT) | instid1(VALU_DEP_1)
	v_and_b32_e32 v39, 0x7f, v37
	v_cmpx_ne_u32_e32 0x7f, v39
	s_cbranch_execz .LBB244_283
; %bb.280:                              ;   in Loop: Header=BB244_170 Depth=1
	v_and_b32_e32 v36, 7, v37
	v_lshrrev_b32_e32 v38, 3, v39
	s_mov_b32 s22, exec_lo
	v_cmpx_gt_u32_e32 8, v39
; %bb.281:                              ;   in Loop: Header=BB244_170 Depth=1
	s_delay_alu instid0(VALU_DEP_3) | instskip(NEXT) | instid1(VALU_DEP_1)
	v_clz_i32_u32_e32 v36, v36
	v_min_u32_e32 v36, 32, v36
	s_delay_alu instid0(VALU_DEP_1) | instskip(NEXT) | instid1(VALU_DEP_1)
	v_subrev_nc_u32_e32 v38, 28, v36
	v_lshlrev_b64_e32 v[39:40], v38, v[1:2]
	v_sub_nc_u32_e32 v38, 29, v36
	s_delay_alu instid0(VALU_DEP_2)
	v_and_b32_e32 v36, 7, v39
; %bb.282:                              ;   in Loop: Header=BB244_170 Depth=1
	s_wait_alu 0xfffe
	s_or_b32 exec_lo, exec_lo, s22
	v_lshlrev_b32_e32 v1, 8, v37
	v_lshl_add_u32 v37, v38, 10, 0x2000
	v_lshlrev_b32_e32 v36, 23, v36
	s_delay_alu instid0(VALU_DEP_2) | instskip(NEXT) | instid1(VALU_DEP_1)
	v_and_or_b32 v1, 0x8000, v1, v37
	v_lshl_or_b32 v36, v1, 16, v36
.LBB244_283:                            ;   in Loop: Header=BB244_170 Depth=1
	s_wait_alu 0xfffe
	s_or_b32 exec_lo, exec_lo, s21
.LBB244_284:                            ;   in Loop: Header=BB244_170 Depth=1
	s_wait_alu 0xfffe
	s_or_b32 exec_lo, exec_lo, s19
.LBB244_285:                            ;   in Loop: Header=BB244_170 Depth=1
	s_wait_alu 0xfffe
	s_or_b32 exec_lo, exec_lo, s18
	v_lshrrev_b32_e32 v1, 16, v8
	s_mov_b32 s18, exec_lo
	s_delay_alu instid0(VALU_DEP_1) | instskip(NEXT) | instid1(VALU_DEP_1)
	v_and_b32_e32 v37, 0xff, v1
	v_cmpx_ne_u16_e32 0, v37
	s_cbranch_execz .LBB244_293
; %bb.286:                              ;   in Loop: Header=BB244_170 Depth=1
	v_mov_b32_e32 v34, 0x8000
	s_mov_b32 s19, exec_lo
	v_cmpx_ne_u16_e32 0x80, v37
	s_cbranch_execz .LBB244_292
; %bb.287:                              ;   in Loop: Header=BB244_170 Depth=1
	v_bfe_u32 v38, v8, 16, 7
	v_mov_b32_e32 v34, 0x7c01
	s_mov_b32 s21, exec_lo
	s_delay_alu instid0(VALU_DEP_2)
	v_cmpx_ne_u32_e32 0x7f, v38
	s_cbranch_execz .LBB244_291
; %bb.288:                              ;   in Loop: Header=BB244_170 Depth=1
	v_and_b32_e32 v34, 7, v1
	v_lshrrev_b32_e32 v37, 3, v38
	s_mov_b32 s22, exec_lo
	v_cmpx_gt_u32_e32 8, v38
; %bb.289:                              ;   in Loop: Header=BB244_170 Depth=1
	s_delay_alu instid0(VALU_DEP_3) | instskip(NEXT) | instid1(VALU_DEP_1)
	v_clz_i32_u32_e32 v34, v34
	v_min_u32_e32 v34, 32, v34
	s_delay_alu instid0(VALU_DEP_1) | instskip(NEXT) | instid1(VALU_DEP_1)
	v_subrev_nc_u32_e32 v37, 28, v34
	v_lshlrev_b64_e32 v[38:39], v37, v[1:2]
	v_sub_nc_u32_e32 v37, 29, v34
	s_delay_alu instid0(VALU_DEP_2)
	v_and_b32_e32 v34, 7, v38
; %bb.290:                              ;   in Loop: Header=BB244_170 Depth=1
	s_wait_alu 0xfffe
	s_or_b32 exec_lo, exec_lo, s22
	v_lshlrev_b32_e32 v1, 8, v1
	v_lshl_add_u32 v37, v37, 10, 0x2000
	v_lshlrev_b32_e32 v34, 7, v34
	s_delay_alu instid0(VALU_DEP_3) | instskip(NEXT) | instid1(VALU_DEP_3)
	v_and_b32_e32 v1, 0x8000, v1
	v_and_b32_e32 v37, 0xfc00, v37
	s_delay_alu instid0(VALU_DEP_1)
	v_or3_b32 v34, v1, v37, v34
.LBB244_291:                            ;   in Loop: Header=BB244_170 Depth=1
	s_wait_alu 0xfffe
	s_or_b32 exec_lo, exec_lo, s21
.LBB244_292:                            ;   in Loop: Header=BB244_170 Depth=1
	s_wait_alu 0xfffe
	s_or_b32 exec_lo, exec_lo, s19
.LBB244_293:                            ;   in Loop: Header=BB244_170 Depth=1
	s_wait_alu 0xfffe
	s_or_b32 exec_lo, exec_lo, s18
	v_cmp_lt_u64_e64 s0, s[8:9], v[7:8]
	v_mov_b32_e32 v7, 0
	s_and_saveexec_b32 s18, s0
	s_cbranch_execz .LBB244_301
; %bb.294:                              ;   in Loop: Header=BB244_170 Depth=1
	v_lshrrev_b32_e32 v1, 24, v8
	v_bfrev_b32_e32 v7, 1
	s_mov_b32 s19, exec_lo
	s_delay_alu instid0(VALU_DEP_2)
	v_cmpx_ne_u32_e32 0x80, v1
	s_cbranch_execz .LBB244_300
; %bb.295:                              ;   in Loop: Header=BB244_170 Depth=1
	v_and_b32_e32 v37, 0x7f, v1
	v_mov_b32_e32 v7, 0x7c010000
	s_mov_b32 s21, exec_lo
	s_delay_alu instid0(VALU_DEP_2)
	v_cmpx_ne_u32_e32 0x7f, v37
	s_cbranch_execz .LBB244_299
; %bb.296:                              ;   in Loop: Header=BB244_170 Depth=1
	v_and_b32_e32 v7, 7, v1
	v_lshrrev_b32_e32 v8, 3, v37
	s_mov_b32 s22, exec_lo
	v_cmpx_gt_u32_e32 8, v37
; %bb.297:                              ;   in Loop: Header=BB244_170 Depth=1
	s_delay_alu instid0(VALU_DEP_3) | instskip(NEXT) | instid1(VALU_DEP_1)
	v_clz_i32_u32_e32 v7, v7
	v_min_u32_e32 v37, 32, v7
	s_delay_alu instid0(VALU_DEP_1) | instskip(NEXT) | instid1(VALU_DEP_1)
	v_subrev_nc_u32_e32 v7, 28, v37
	v_lshlrev_b64_e32 v[7:8], v7, v[1:2]
	v_sub_nc_u32_e32 v8, 29, v37
	s_delay_alu instid0(VALU_DEP_2)
	v_and_b32_e32 v7, 7, v7
; %bb.298:                              ;   in Loop: Header=BB244_170 Depth=1
	s_wait_alu 0xfffe
	s_or_b32 exec_lo, exec_lo, s22
	v_lshlrev_b32_e32 v1, 8, v1
	v_lshl_add_u32 v8, v8, 10, 0x2000
	v_lshlrev_b32_e32 v7, 23, v7
	s_delay_alu instid0(VALU_DEP_2) | instskip(NEXT) | instid1(VALU_DEP_1)
	v_and_or_b32 v1, 0x8000, v1, v8
	v_lshl_or_b32 v7, v1, 16, v7
.LBB244_299:                            ;   in Loop: Header=BB244_170 Depth=1
	s_wait_alu 0xfffe
	s_or_b32 exec_lo, exec_lo, s21
.LBB244_300:                            ;   in Loop: Header=BB244_170 Depth=1
	s_wait_alu 0xfffe
	s_or_b32 exec_lo, exec_lo, s19
.LBB244_301:                            ;   in Loop: Header=BB244_170 Depth=1
	s_wait_alu 0xfffe
	s_or_b32 exec_lo, exec_lo, s18
	v_or_b32_e32 v1, v32, v33
	s_wait_loadcnt 0x0
	v_fma_mixlo_f16 v8, v29, v32, 0 op_sel:[0,1,0] op_sel_hi:[0,1,0]
	v_or_b32_e32 v31, v30, v31
	v_fma_mixlo_f16 v30, v29, v30, 0 op_sel:[0,1,0] op_sel_hi:[0,1,0]
	v_or_b32_e32 v32, v36, v35
	v_fma_mixlo_f16 v33, v29, v1, 0 op_sel_hi:[0,1,0]
	v_or_b32_e32 v35, v7, v34
	v_lshlrev_b32_e32 v1, 16, v8
	v_lshlrev_b32_e32 v34, 16, v30
	v_fma_mixlo_f16 v8, v29, v31, 0 op_sel_hi:[0,1,0]
	v_and_b32_e32 v31, 0xffff, v33
	v_fma_mixlo_f16 v30, v29, v36, 0 op_sel:[0,1,0] op_sel_hi:[0,1,0]
	v_fma_mixlo_f16 v33, v29, v32, 0 op_sel_hi:[0,1,0]
	v_fma_mixlo_f16 v7, v29, v7, 0 op_sel:[0,1,0] op_sel_hi:[0,1,0]
	v_fma_mixlo_f16 v29, v29, v35, 0 op_sel_hi:[0,1,0]
	v_and_b32_e32 v37, 0xffff, v8
	v_lshlrev_b32_e32 v32, 16, v30
	v_and_b32_e32 v36, 0xffff, v33
	v_lshlrev_b32_e32 v7, 16, v7
	v_and_b32_e32 v33, 0xffff, v29
	v_or_b32_e32 v30, v1, v31
	v_or_b32_e32 v35, v34, v37
	;; [unrolled: 1-line block ×3, first 2 shown]
	s_delay_alu instid0(VALU_DEP_4)
	v_or_b32_e32 v8, v7, v33
	s_and_saveexec_b32 s0, vcc_lo
	s_cbranch_execz .LBB244_168
; %bb.302:                              ;   in Loop: Header=BB244_170 Depth=1
	v_cmp_gt_i32_e32 vcc_lo, s33, v12
	s_wait_alu 0xfffd
	v_cndmask_b32_e32 v8, 0, v37, vcc_lo
	v_cmp_gt_i32_e32 vcc_lo, s33, v22
	s_wait_alu 0xfffd
	v_cndmask_b32_e32 v22, 0, v34, vcc_lo
	;; [unrolled: 3-line block ×4, first 2 shown]
	v_cmp_gt_i32_e32 vcc_lo, s33, v19
	v_or_b32_e32 v35, v22, v8
	s_delay_alu instid0(VALU_DEP_3)
	v_or_b32_e32 v30, v1, v21
	s_wait_alu 0xfffd
	v_cndmask_b32_e32 v19, 0, v36, vcc_lo
	v_cmp_gt_i32_e32 vcc_lo, s33, v18
	s_wait_alu 0xfffd
	v_cndmask_b32_e32 v18, 0, v32, vcc_lo
	v_cmp_gt_i32_e32 vcc_lo, s33, v10
	;; [unrolled: 3-line block ×3, first 2 shown]
	s_wait_alu 0xfffd
	v_cndmask_b32_e32 v7, 0, v7, vcc_lo
	v_or_b32_e32 v29, v18, v19
	s_delay_alu instid0(VALU_DEP_2)
	v_or_b32_e32 v8, v7, v10
	s_branch .LBB244_168
.LBB244_303:
	s_or_b32 exec_lo, exec_lo, s14
.LBB244_304:
	s_wait_alu 0xfffe
	s_or_b32 exec_lo, exec_lo, s1
	v_lshl_add_u32 v2, v14, 2, 0xa0
	v_and_b32_e32 v3, 0x3c0, v0
	s_mov_b32 s0, exec_lo
	s_wait_loadcnt 0x0
	s_wait_storecnt 0x0
	s_barrier_signal -1
	v_lshl_add_u32 v1, v11, 8, v2
	s_barrier_wait -1
	global_inv scope:SCOPE_SE
	v_cmpx_eq_u32_e32 64, v3
	s_cbranch_execz .LBB244_306
; %bb.305:
	v_add_nc_u32_e32 v3, 0xfffffe00, v1
	v_add_nc_u32_e32 v4, 0xfffffe80, v1
	ds_store_b32 v3, v16
	ds_store_b32 v4, v15
.LBB244_306:
	s_wait_alu 0xfffe
	s_or_b32 exec_lo, exec_lo, s0
	s_delay_alu instid0(SALU_CYCLE_1)
	s_mov_b32 s0, exec_lo
	s_wait_loadcnt_dscnt 0x0
	s_barrier_signal -1
	s_barrier_wait -1
	global_inv scope:SCOPE_SE
	v_cmpx_gt_u32_e32 64, v0
	s_cbranch_execz .LBB244_308
; %bb.307:
	ds_load_2addr_b32 v[3:4], v1 offset1:32
	s_wait_dscnt 0x0
	v_dual_add_f32 v16, v16, v3 :: v_dual_add_f32 v15, v15, v4
.LBB244_308:
	s_wait_alu 0xfffe
	s_or_b32 exec_lo, exec_lo, s0
	v_and_b32_e32 v3, 0x3e0, v0
	s_mov_b32 s0, exec_lo
	s_wait_loadcnt 0x0
	s_barrier_signal -1
	s_barrier_wait -1
	global_inv scope:SCOPE_SE
	v_cmpx_eq_u32_e32 32, v3
; %bb.309:
	ds_store_2addr_b32 v2, v16, v15 offset1:32
; %bb.310:
	s_wait_alu 0xfffe
	s_or_b32 exec_lo, exec_lo, s0
	s_wait_loadcnt_dscnt 0x0
	s_barrier_signal -1
	s_barrier_wait -1
	global_inv scope:SCOPE_SE
	s_and_saveexec_b32 s0, s2
	s_cbranch_execz .LBB244_312
; %bb.311:
	ds_load_2addr_b32 v[1:2], v1 offset1:32
	s_wait_dscnt 0x0
	v_dual_add_f32 v16, v16, v1 :: v_dual_add_f32 v15, v15, v2
.LBB244_312:
	s_wait_alu 0xfffe
	s_or_b32 exec_lo, exec_lo, s0
	s_wait_loadcnt 0x0
	s_barrier_signal -1
	s_barrier_wait -1
	global_inv scope:SCOPE_SE
	s_and_saveexec_b32 s0, s2
	s_cbranch_execz .LBB244_314
; %bb.313:
	s_lshl_b32 s0, s4, 6
	s_mul_i32 s2, s12, s24
	s_wait_alu 0xfffe
	s_ashr_i32 s1, s0, 31
	s_ashr_i32 s3, s2, 31
	s_wait_alu 0xfffe
	s_lshl_b64 s[0:1], s[0:1], 1
	s_lshl_b64 s[2:3], s[2:3], 1
	s_wait_kmcnt 0x0
	s_wait_alu 0xfffe
	s_add_nc_u64 s[0:1], s[6:7], s[0:1]
	v_lshlrev_b32_e32 v0, 1, v0
	s_lshl_b32 s4, s15, 1
	s_wait_alu 0xfffe
	s_add_nc_u64 s[0:1], s[0:1], s[2:3]
	s_mov_b32 s5, 0
	;;#ASMSTART
	v_cvt_f16_f32 v1, v16;

	;;#ASMEND
	s_wait_alu 0xfffe
	s_add_nc_u64 s[0:1], s[0:1], s[4:5]
	global_store_b16 v0, v1, s[0:1]
	;;#ASMSTART
	v_cvt_f16_f32 v1, v15;

	;;#ASMEND
	global_store_b16 v0, v1, s[0:1] offset:64
.LBB244_314:
	s_endpgm
	.section	.rodata,"a",@progbits
	.p2align	6, 0x0
	.amdhsa_kernel _ZN4vllm25paged_attention_v2_kernelIthLi64ELi8ELi128ELNS_18Fp8KVCacheDataTypeE1ELb1ELi512EEEvPfS2_PT_PKS3_PKT0_S9_ifPKiSB_iPKfiiiSD_SD_iiiii
		.amdhsa_group_segment_fixed_size 160
		.amdhsa_private_segment_fixed_size 0
		.amdhsa_kernarg_size 400
		.amdhsa_user_sgpr_count 2
		.amdhsa_user_sgpr_dispatch_ptr 0
		.amdhsa_user_sgpr_queue_ptr 0
		.amdhsa_user_sgpr_kernarg_segment_ptr 1
		.amdhsa_user_sgpr_dispatch_id 0
		.amdhsa_user_sgpr_private_segment_size 0
		.amdhsa_wavefront_size32 1
		.amdhsa_uses_dynamic_stack 0
		.amdhsa_enable_private_segment 0
		.amdhsa_system_sgpr_workgroup_id_x 1
		.amdhsa_system_sgpr_workgroup_id_y 1
		.amdhsa_system_sgpr_workgroup_id_z 1
		.amdhsa_system_sgpr_workgroup_info 0
		.amdhsa_system_vgpr_workitem_id 0
		.amdhsa_next_free_vgpr 50
		.amdhsa_next_free_sgpr 48
		.amdhsa_reserve_vcc 1
		.amdhsa_float_round_mode_32 0
		.amdhsa_float_round_mode_16_64 0
		.amdhsa_float_denorm_mode_32 3
		.amdhsa_float_denorm_mode_16_64 3
		.amdhsa_fp16_overflow 0
		.amdhsa_workgroup_processor_mode 1
		.amdhsa_memory_ordered 1
		.amdhsa_forward_progress 1
		.amdhsa_inst_pref_size 100
		.amdhsa_round_robin_scheduling 0
		.amdhsa_exception_fp_ieee_invalid_op 0
		.amdhsa_exception_fp_denorm_src 0
		.amdhsa_exception_fp_ieee_div_zero 0
		.amdhsa_exception_fp_ieee_overflow 0
		.amdhsa_exception_fp_ieee_underflow 0
		.amdhsa_exception_fp_ieee_inexact 0
		.amdhsa_exception_int_div_zero 0
	.end_amdhsa_kernel
	.section	.text._ZN4vllm25paged_attention_v2_kernelIthLi64ELi8ELi128ELNS_18Fp8KVCacheDataTypeE1ELb1ELi512EEEvPfS2_PT_PKS3_PKT0_S9_ifPKiSB_iPKfiiiSD_SD_iiiii,"axG",@progbits,_ZN4vllm25paged_attention_v2_kernelIthLi64ELi8ELi128ELNS_18Fp8KVCacheDataTypeE1ELb1ELi512EEEvPfS2_PT_PKS3_PKT0_S9_ifPKiSB_iPKfiiiSD_SD_iiiii,comdat
.Lfunc_end244:
	.size	_ZN4vllm25paged_attention_v2_kernelIthLi64ELi8ELi128ELNS_18Fp8KVCacheDataTypeE1ELb1ELi512EEEvPfS2_PT_PKS3_PKT0_S9_ifPKiSB_iPKfiiiSD_SD_iiiii, .Lfunc_end244-_ZN4vllm25paged_attention_v2_kernelIthLi64ELi8ELi128ELNS_18Fp8KVCacheDataTypeE1ELb1ELi512EEEvPfS2_PT_PKS3_PKT0_S9_ifPKiSB_iPKfiiiSD_SD_iiiii
                                        ; -- End function
	.set _ZN4vllm25paged_attention_v2_kernelIthLi64ELi8ELi128ELNS_18Fp8KVCacheDataTypeE1ELb1ELi512EEEvPfS2_PT_PKS3_PKT0_S9_ifPKiSB_iPKfiiiSD_SD_iiiii.num_vgpr, 50
	.set _ZN4vllm25paged_attention_v2_kernelIthLi64ELi8ELi128ELNS_18Fp8KVCacheDataTypeE1ELb1ELi512EEEvPfS2_PT_PKS3_PKT0_S9_ifPKiSB_iPKfiiiSD_SD_iiiii.num_agpr, 0
	.set _ZN4vllm25paged_attention_v2_kernelIthLi64ELi8ELi128ELNS_18Fp8KVCacheDataTypeE1ELb1ELi512EEEvPfS2_PT_PKS3_PKT0_S9_ifPKiSB_iPKfiiiSD_SD_iiiii.numbered_sgpr, 48
	.set _ZN4vllm25paged_attention_v2_kernelIthLi64ELi8ELi128ELNS_18Fp8KVCacheDataTypeE1ELb1ELi512EEEvPfS2_PT_PKS3_PKT0_S9_ifPKiSB_iPKfiiiSD_SD_iiiii.num_named_barrier, 0
	.set _ZN4vllm25paged_attention_v2_kernelIthLi64ELi8ELi128ELNS_18Fp8KVCacheDataTypeE1ELb1ELi512EEEvPfS2_PT_PKS3_PKT0_S9_ifPKiSB_iPKfiiiSD_SD_iiiii.private_seg_size, 0
	.set _ZN4vllm25paged_attention_v2_kernelIthLi64ELi8ELi128ELNS_18Fp8KVCacheDataTypeE1ELb1ELi512EEEvPfS2_PT_PKS3_PKT0_S9_ifPKiSB_iPKfiiiSD_SD_iiiii.uses_vcc, 1
	.set _ZN4vllm25paged_attention_v2_kernelIthLi64ELi8ELi128ELNS_18Fp8KVCacheDataTypeE1ELb1ELi512EEEvPfS2_PT_PKS3_PKT0_S9_ifPKiSB_iPKfiiiSD_SD_iiiii.uses_flat_scratch, 0
	.set _ZN4vllm25paged_attention_v2_kernelIthLi64ELi8ELi128ELNS_18Fp8KVCacheDataTypeE1ELb1ELi512EEEvPfS2_PT_PKS3_PKT0_S9_ifPKiSB_iPKfiiiSD_SD_iiiii.has_dyn_sized_stack, 0
	.set _ZN4vllm25paged_attention_v2_kernelIthLi64ELi8ELi128ELNS_18Fp8KVCacheDataTypeE1ELb1ELi512EEEvPfS2_PT_PKS3_PKT0_S9_ifPKiSB_iPKfiiiSD_SD_iiiii.has_recursion, 0
	.set _ZN4vllm25paged_attention_v2_kernelIthLi64ELi8ELi128ELNS_18Fp8KVCacheDataTypeE1ELb1ELi512EEEvPfS2_PT_PKS3_PKT0_S9_ifPKiSB_iPKfiiiSD_SD_iiiii.has_indirect_call, 0
	.section	.AMDGPU.csdata,"",@progbits
; Kernel info:
; codeLenInByte = 12792
; TotalNumSgprs: 50
; NumVgprs: 50
; ScratchSize: 0
; MemoryBound: 0
; FloatMode: 240
; IeeeMode: 1
; LDSByteSize: 160 bytes/workgroup (compile time only)
; SGPRBlocks: 0
; VGPRBlocks: 6
; NumSGPRsForWavesPerEU: 50
; NumVGPRsForWavesPerEU: 50
; Occupancy: 16
; WaveLimiterHint : 1
; COMPUTE_PGM_RSRC2:SCRATCH_EN: 0
; COMPUTE_PGM_RSRC2:USER_SGPR: 2
; COMPUTE_PGM_RSRC2:TRAP_HANDLER: 0
; COMPUTE_PGM_RSRC2:TGID_X_EN: 1
; COMPUTE_PGM_RSRC2:TGID_Y_EN: 1
; COMPUTE_PGM_RSRC2:TGID_Z_EN: 1
; COMPUTE_PGM_RSRC2:TIDIG_COMP_CNT: 0
	.section	.text._ZN4vllm25paged_attention_v2_kernelIthLi80ELi8ELi128ELNS_18Fp8KVCacheDataTypeE1ELb1ELi512EEEvPfS2_PT_PKS3_PKT0_S9_ifPKiSB_iPKfiiiSD_SD_iiiii,"axG",@progbits,_ZN4vllm25paged_attention_v2_kernelIthLi80ELi8ELi128ELNS_18Fp8KVCacheDataTypeE1ELb1ELi512EEEvPfS2_PT_PKS3_PKT0_S9_ifPKiSB_iPKfiiiSD_SD_iiiii,comdat
	.protected	_ZN4vllm25paged_attention_v2_kernelIthLi80ELi8ELi128ELNS_18Fp8KVCacheDataTypeE1ELb1ELi512EEEvPfS2_PT_PKS3_PKT0_S9_ifPKiSB_iPKfiiiSD_SD_iiiii ; -- Begin function _ZN4vllm25paged_attention_v2_kernelIthLi80ELi8ELi128ELNS_18Fp8KVCacheDataTypeE1ELb1ELi512EEEvPfS2_PT_PKS3_PKT0_S9_ifPKiSB_iPKfiiiSD_SD_iiiii
	.globl	_ZN4vllm25paged_attention_v2_kernelIthLi80ELi8ELi128ELNS_18Fp8KVCacheDataTypeE1ELb1ELi512EEEvPfS2_PT_PKS3_PKT0_S9_ifPKiSB_iPKfiiiSD_SD_iiiii
	.p2align	8
	.type	_ZN4vllm25paged_attention_v2_kernelIthLi80ELi8ELi128ELNS_18Fp8KVCacheDataTypeE1ELb1ELi512EEEvPfS2_PT_PKS3_PKT0_S9_ifPKiSB_iPKfiiiSD_SD_iiiii,@function
_ZN4vllm25paged_attention_v2_kernelIthLi80ELi8ELi128ELNS_18Fp8KVCacheDataTypeE1ELb1ELi512EEEvPfS2_PT_PKS3_PKT0_S9_ifPKiSB_iPKfiiiSD_SD_iiiii: ; @_ZN4vllm25paged_attention_v2_kernelIthLi80ELi8ELi128ELNS_18Fp8KVCacheDataTypeE1ELb1ELi512EEEvPfS2_PT_PKS3_PKT0_S9_ifPKiSB_iPKfiiiSD_SD_iiiii
; %bb.0:
	s_load_b64 s[2:3], s[0:1], 0x40
	s_and_b32 s19, ttmp7, 0xffff
	s_lshr_b32 s33, ttmp7, 16
	s_lshl_b32 s4, s19, 2
	s_lshl_b32 s36, s33, 9
	s_wait_kmcnt 0x0
	s_load_b32 s34, s[2:3], s4 offset:0x0
	s_wait_kmcnt 0x0
	s_cmp_ge_i32 s36, s34
	s_cbranch_scc1 .LBB245_421
; %bb.1:
	s_clause 0x1
	s_load_b32 s35, s[0:1], 0x90
	s_load_b64 s[6:7], s[0:1], 0x30
	s_wait_kmcnt 0x0
	s_abs_i32 s5, s35
	s_abs_i32 s2, s6
	s_delay_alu instid0(SALU_CYCLE_1) | instskip(SKIP_1) | instid1(SALU_CYCLE_2)
	s_cvt_f32_u32 s3, s2
	s_sub_co_i32 s4, 0, s2
	v_rcp_iflag_f32_e32 v1, s3
	s_delay_alu instid0(TRANS32_DEP_1) | instskip(SKIP_2) | instid1(SALU_CYCLE_2)
	v_readfirstlane_b32 s3, v1
	s_mul_f32 s3, s3, 0x4f7ffffe
	s_wait_alu 0xfffe
	s_cvt_u32_f32 s3, s3
	s_wait_alu 0xfffe
	s_delay_alu instid0(SALU_CYCLE_2) | instskip(NEXT) | instid1(SALU_CYCLE_1)
	s_mul_i32 s4, s4, s3
	s_mul_hi_u32 s4, s3, s4
	s_delay_alu instid0(SALU_CYCLE_1)
	s_add_co_i32 s3, s3, s4
	s_xor_b32 s4, s35, s6
	s_wait_alu 0xfffe
	s_mul_hi_u32 s3, s5, s3
	s_ashr_i32 s4, s4, 31
	s_wait_alu 0xfffe
	s_mul_i32 s8, s3, s2
	s_delay_alu instid0(SALU_CYCLE_1)
	s_sub_co_i32 s5, s5, s8
	s_add_co_i32 s8, s3, 1
	s_sub_co_i32 s9, s5, s2
	s_cmp_ge_u32 s5, s2
	s_cselect_b32 s3, s8, s3
	s_cselect_b32 s5, s9, s5
	s_wait_alu 0xfffe
	s_add_co_i32 s8, s3, 1
	s_cmp_ge_u32 s5, s2
	s_cselect_b32 s2, s8, s3
	s_load_b64 s[8:9], s[0:1], 0x50
	s_xor_b32 s2, s2, s4
	s_mov_b32 s3, 0
	s_wait_alu 0xfffe
	s_sub_co_i32 s11, s2, s4
	s_mov_b32 s30, s3
	s_abs_i32 s10, s11
	s_delay_alu instid0(SALU_CYCLE_1) | instskip(SKIP_1) | instid1(SALU_CYCLE_2)
	s_cvt_f32_u32 s2, s10
	s_wait_alu 0xfffe
	v_rcp_iflag_f32_e32 v1, s2
	s_delay_alu instid0(TRANS32_DEP_1) | instskip(SKIP_2) | instid1(SALU_CYCLE_2)
	v_readfirstlane_b32 s2, v1
	s_mul_f32 s2, s2, 0x4f7ffffe
	s_wait_alu 0xfffe
	s_cvt_u32_f32 s4, s2
	s_sub_co_i32 s2, 0, s10
	s_wait_alu 0xfffe
	s_delay_alu instid0(SALU_CYCLE_1)
	s_mul_i32 s2, s2, s4
	s_wait_alu 0xfffe
	s_mul_hi_u32 s5, s4, s2
	s_abs_i32 s2, ttmp9
	s_add_co_i32 s4, s4, s5
	s_mov_b32 s5, s3
	s_wait_kmcnt 0x0
	s_cmp_eq_u64 s[8:9], 0
	s_cbranch_scc1 .LBB245_3
; %bb.2:
	s_mov_b32 s12, ttmp9
	s_ashr_i32 s13, ttmp9, 31
	s_delay_alu instid0(SALU_CYCLE_1) | instskip(NEXT) | instid1(SALU_CYCLE_1)
	s_lshl_b64 s[12:13], s[12:13], 2
	s_add_nc_u64 s[8:9], s[8:9], s[12:13]
	s_load_b32 s30, s[8:9], 0x0
.LBB245_3:
	s_load_b96 s[16:18], s[0:1], 0x58
	v_and_b32_e32 v1, 3, v0
	s_mul_u64 s[4:5], s[2:3], s[4:5]
	s_ashr_i32 s3, ttmp9, 31
	s_ashr_i32 s4, s11, 31
	s_mul_i32 s20, ttmp9, 0x50
	s_mov_b32 s8, exec_lo
	v_cmpx_gt_u32_e32 40, v0
	s_cbranch_execz .LBB245_5
; %bb.4:
	s_load_b64 s[12:13], s[0:1], 0x18
	s_wait_kmcnt 0x0
	s_mul_i32 s14, s16, s19
	s_ashr_i32 s21, s20, 31
	s_ashr_i32 s15, s14, 31
	v_lshlrev_b32_e32 v2, 2, v0
	s_lshl_b64 s[14:15], s[14:15], 1
	v_and_b32_e32 v3, 0x3fc, v0
	s_delay_alu instid0(VALU_DEP_1) | instskip(SKIP_2) | instid1(SALU_CYCLE_1)
	v_mad_u32_u24 v3, v1, 40, v3
	s_add_nc_u64 s[12:13], s[12:13], s[14:15]
	s_lshl_b64 s[14:15], s[20:21], 1
	s_add_nc_u64 s[12:13], s[12:13], s[14:15]
	global_load_b32 v2, v2, s[12:13]
	s_wait_loadcnt 0x0
	ds_store_b32 v3, v2
.LBB245_5:
	s_or_b32 exec_lo, exec_lo, s8
	s_load_b128 s[12:15], s[0:1], 0x78
	s_mul_i32 s8, s5, s10
	s_xor_b32 s3, s3, s4
	s_sub_co_i32 s2, s2, s8
	s_add_co_i32 s4, s5, 1
	s_wait_alu 0xfffe
	s_sub_co_i32 s8, s2, s10
	s_cmp_ge_u32 s2, s10
                                        ; implicit-def: $sgpr21
	s_cselect_b32 s4, s4, s5
	s_cselect_b32 s2, s8, s2
	s_add_co_i32 s5, s4, 1
	s_wait_alu 0xfffe
	s_cmp_ge_u32 s2, s10
	s_load_b32 s8, s[0:1], 0x88
	s_cselect_b32 s2, s5, s4
	s_add_co_i32 s9, s34, -1
	s_wait_alu 0xfffe
	s_xor_b32 s2, s2, s3
	s_mov_b32 s10, -1
	s_wait_alu 0xfffe
	s_sub_co_i32 s28, s2, s3
	s_wait_dscnt 0x0
	s_barrier_signal -1
	s_wait_kmcnt 0x0
	s_abs_i32 s16, s15
	s_barrier_wait -1
	s_cvt_f32_u32 s4, s16
	global_inv scope:SCOPE_SE
	v_rcp_iflag_f32_e32 v2, s4
	s_delay_alu instid0(TRANS32_DEP_1) | instskip(SKIP_2) | instid1(SALU_CYCLE_2)
	v_readfirstlane_b32 s4, v2
	s_mul_f32 s2, s4, 0x4f7ffffe
	s_wait_alu 0xfffe
	s_cvt_u32_f32 s4, s2
	s_sub_co_i32 s2, 0, s16
	s_wait_alu 0xfffe
	s_delay_alu instid0(SALU_CYCLE_1)
	s_mul_i32 s3, s2, s4
	s_abs_i32 s2, s9
	s_wait_alu 0xfffe
	s_mul_hi_u32 s5, s4, s3
	s_mov_b32 s3, 0
	s_wait_alu 0xfffe
	s_add_co_i32 s22, s4, s5
	s_cmp_lt_i32 s8, 0
	s_mov_b32 s23, s3
	s_cbranch_scc0 .LBB245_7
; %bb.6:
	s_mul_i32 s4, s12, s6
	s_mov_b32 s10, s3
	s_wait_alu 0xfffe
	s_add_co_i32 s4, s28, s4
	s_wait_alu 0xfffe
	s_mul_i32 s4, s4, s8
	s_wait_alu 0xfffe
	s_sub_co_i32 s21, 1, s4
.LBB245_7:
	s_mul_u64 s[4:5], s[2:3], s[22:23]
	s_ashr_i32 s3, s9, 31
	s_and_not1_b32 vcc_lo, exec_lo, s10
	s_ashr_i32 s15, s15, 31
	s_cbranch_vccnz .LBB245_9
; %bb.8:
	s_mul_i32 s4, s35, s12
	s_wait_alu 0xfffe
	s_add_co_i32 s4, s4, ttmp9
	s_wait_alu 0xfffe
	s_mul_i32 s4, s4, s8
	s_wait_alu 0xfffe
	s_add_co_i32 s21, s4, 1
.LBB245_9:
	s_clause 0x3
	s_load_b32 s4, s[0:1], 0x48
	s_load_b64 s[24:25], s[0:1], 0x38
	s_load_b32 s12, s[0:1], 0x98
	s_load_b128 s[8:11], s[0:1], 0x68
	s_mul_i32 s6, s5, s16
	s_xor_b32 s3, s3, s15
	s_sub_co_i32 s2, s2, s6
	s_add_co_i32 s23, s5, 1
	v_lshrrev_b32_e32 v11, 5, v0
	v_mov_b32_e32 v15, 0xff7fffff
	v_mbcnt_lo_u32_b32 v10, -1, 0
	s_mul_i32 s28, s28, s18
	s_delay_alu instid0(VALU_DEP_3)
	v_lshl_add_u32 v12, v11, 3, s36
	s_wait_kmcnt 0x0
	s_mul_i32 s26, s4, s19
	s_wait_alu 0xfffe
	s_sub_co_i32 s4, s2, s16
	s_ashr_i32 s27, s26, 31
	s_cmp_ge_u32 s2, s16
	s_cselect_b32 s5, s23, s5
	s_wait_alu 0xfffe
	s_cselect_b32 s2, s4, s2
	s_add_co_i32 s4, s5, 1
	s_wait_alu 0xfffe
	s_cmp_ge_u32 s2, s16
	s_cselect_b32 s2, s4, s5
	s_add_co_i32 s4, s34, 7
	s_lshl_b32 s39, s33, 6
	s_wait_alu 0xfffe
	s_ashr_i32 s5, s4, 31
	v_or_b32_e32 v13, s39, v11
	s_wait_alu 0xfffe
	s_lshr_b32 s5, s5, 29
	s_wait_alu 0xfffe
	s_add_co_i32 s4, s4, s5
	s_add_co_i32 s5, s39, 64
	s_wait_alu 0xfffe
	s_ashr_i32 s37, s4, 3
	s_xor_b32 s4, s2, s3
	s_wait_alu 0xfffe
	s_min_i32 s23, s5, s37
	v_lshlrev_b32_e32 v9, 2, v13
	v_cmp_gt_i32_e64 s2, s23, v13
	s_sub_co_i32 s38, s4, s3
	s_and_saveexec_b32 s6, s2
	s_cbranch_execz .LBB245_181
; %bb.10:
	s_wait_alu 0xfffe
	s_sub_co_i32 s18, s38, s13
	s_ashr_i32 s29, s28, 31
	s_cmp_neq_f32 s30, 0
	s_load_b64 s[4:5], s[0:1], 0x20
	v_bfe_u32 v14, v0, 2, 3
	v_mov_b32_e32 v2, 0
	s_cselect_b32 vcc_lo, -1, 0
	s_abs_i32 s31, s14
	v_dual_mov_b32 v15, 0xff7fffff :: v_dual_lshlrev_b32 v4, 1, v1
	s_cvt_f32_u32 s3, s31
	v_mul_u32_u24_e32 v16, 40, v1
	v_dual_mov_b32 v20, 0xff7fffff :: v_dual_lshlrev_b32 v5, 2, v14
	s_wait_alu 0xfffe
	v_rcp_iflag_f32_e32 v3, s3
	v_cmp_eq_u32_e64 s3, 0, v1
	v_lshlrev_b32_e32 v1, 4, v14
	v_lshl_or_b32 v8, v11, 5, v5
	s_lshl_b64 s[42:43], s[26:27], 2
	v_subrev_nc_u32_e32 v7, s34, v14
	s_add_nc_u64 s[42:43], s[24:25], s[42:43]
	s_sub_co_i32 s44, 0, s31
	v_lshl_add_u32 v17, v11, 3, s36
	s_wait_kmcnt 0x0
	s_add_nc_u64 s[4:5], s[4:5], s[28:29]
	v_readfirstlane_b32 s41, v3
	s_wait_alu 0xfffe
	v_add_co_u32 v1, s4, s4, v1
	s_wait_alu 0xf1ff
	v_add_co_ci_u32_e64 v5, null, s5, 0, s4
	s_mul_f32 s29, s41, 0x4f7ffffe
	v_add_co_u32 v3, s4, v1, v4
	s_wait_alu 0xf1ff
	v_add_co_ci_u32_e64 v4, null, 0, v5, s4
	s_cvt_u32_f32 s5, s29
	v_add_co_u32 v5, s4, s42, v9
	s_wait_alu 0xf1ff
	v_add_co_ci_u32_e64 v6, null, s43, 0, s4
	s_wait_alu 0xfffe
	s_mul_i32 s44, s44, s5
	v_dual_mov_b32 v21, v13 :: v_dual_add_nc_u32 v18, 1, v7
	v_add_nc_u32_e32 v19, 0xc0, v8
	s_mul_hi_u32 s4, s5, s44
	s_mov_b32 s40, 0
	s_mov_b32 s29, s17
	s_wait_alu 0xfffe
	s_add_co_i32 s41, s5, s4
	s_branch .LBB245_13
.LBB245_11:                             ;   in Loop: Header=BB245_13 Depth=1
	s_wait_alu 0xfffe
	s_or_b32 exec_lo, exec_lo, s42
.LBB245_12:                             ;   in Loop: Header=BB245_13 Depth=1
	s_wait_alu 0xfffe
	s_or_b32 exec_lo, exec_lo, s5
	v_add_nc_u32_e32 v21, 4, v21
	v_add_co_u32 v5, s5, v5, 16
	s_wait_alu 0xf1ff
	v_add_co_ci_u32_e64 v6, null, 0, v6, s5
	s_delay_alu instid0(VALU_DEP_3)
	v_cmp_le_i32_e64 s4, s23, v21
	v_add_nc_u32_e32 v17, 32, v17
	v_add_nc_u32_e32 v19, 0x80, v19
	s_or_b32 s40, s4, s40
	s_wait_alu 0xfffe
	s_and_not1_b32 exec_lo, exec_lo, s40
	s_cbranch_execz .LBB245_180
.LBB245_13:                             ; =>This Inner Loop Header: Depth=1
	v_sub_nc_u32_e32 v1, 0, v17
	s_delay_alu instid0(VALU_DEP_1) | instskip(SKIP_1) | instid1(VALU_DEP_1)
	v_max_i32_e32 v1, v17, v1
	s_wait_dscnt 0x0
	v_mul_hi_u32 v7, v1, s22
	s_delay_alu instid0(VALU_DEP_1) | instskip(NEXT) | instid1(VALU_DEP_1)
	v_mul_lo_u32 v8, v7, s16
	v_sub_nc_u32_e32 v1, v1, v8
	v_add_nc_u32_e32 v8, 1, v7
	s_delay_alu instid0(VALU_DEP_2) | instskip(SKIP_2) | instid1(VALU_DEP_1)
	v_subrev_nc_u32_e32 v22, s16, v1
	v_cmp_le_u32_e64 s4, s16, v1
	s_wait_alu 0xf1ff
	v_cndmask_b32_e64 v7, v7, v8, s4
	s_delay_alu instid0(VALU_DEP_3) | instskip(SKIP_1) | instid1(VALU_DEP_3)
	v_cndmask_b32_e64 v1, v1, v22, s4
	v_ashrrev_i32_e32 v8, 31, v17
	v_add_nc_u32_e32 v22, 1, v7
	s_delay_alu instid0(VALU_DEP_3) | instskip(NEXT) | instid1(VALU_DEP_3)
	v_cmp_le_u32_e64 s4, s16, v1
	v_xor_b32_e32 v8, s15, v8
	s_wait_alu 0xf1ff
	s_delay_alu instid0(VALU_DEP_2) | instskip(NEXT) | instid1(VALU_DEP_1)
	v_cndmask_b32_e64 v1, v7, v22, s4
	v_xor_b32_e32 v1, v1, v8
	s_delay_alu instid0(VALU_DEP_1) | instskip(NEXT) | instid1(VALU_DEP_1)
	v_sub_nc_u32_e32 v1, v1, v8
	v_add_nc_u32_e32 v7, s21, v1
	v_cmp_ge_i32_e64 s5, s18, v1
	s_delay_alu instid0(VALU_DEP_2) | instskip(NEXT) | instid1(VALU_DEP_1)
	v_sub_nc_u32_e32 v8, 0, v7
	v_max_i32_e32 v8, v7, v8
	v_ashrrev_i32_e32 v7, 31, v7
	s_delay_alu instid0(VALU_DEP_2) | instskip(NEXT) | instid1(VALU_DEP_1)
	v_mul_hi_u32 v22, v8, s41
	v_mul_lo_u32 v22, v22, s31
	s_delay_alu instid0(VALU_DEP_1) | instskip(NEXT) | instid1(VALU_DEP_1)
	v_sub_nc_u32_e32 v8, v8, v22
	v_subrev_nc_u32_e32 v22, s31, v8
	v_cmp_le_u32_e64 s4, s31, v8
	s_wait_alu 0xf1ff
	s_delay_alu instid0(VALU_DEP_1) | instskip(NEXT) | instid1(VALU_DEP_1)
	v_cndmask_b32_e64 v8, v8, v22, s4
	v_subrev_nc_u32_e32 v22, s31, v8
	v_cmp_le_u32_e64 s4, s31, v8
	s_wait_alu 0xf1ff
	s_delay_alu instid0(VALU_DEP_1) | instskip(NEXT) | instid1(VALU_DEP_1)
	v_cndmask_b32_e64 v8, v8, v22, s4
	v_xor_b32_e32 v8, v8, v7
	s_delay_alu instid0(VALU_DEP_1) | instskip(NEXT) | instid1(VALU_DEP_1)
	v_sub_nc_u32_e32 v7, v8, v7
	v_cmp_ne_u32_e64 s4, 0, v7
	s_and_b32 s4, s4, s5
	s_wait_alu 0xfffe
	s_and_saveexec_b32 s5, s4
	s_wait_alu 0xfffe
	s_xor_b32 s4, exec_lo, s5
	s_cbranch_execz .LBB245_17
; %bb.14:                               ;   in Loop: Header=BB245_13 Depth=1
	s_and_saveexec_b32 s5, s3
; %bb.15:                               ;   in Loop: Header=BB245_13 Depth=1
	ds_store_b32 v19, v20
; %bb.16:                               ;   in Loop: Header=BB245_13 Depth=1
	s_wait_alu 0xfffe
	s_or_b32 exec_lo, exec_lo, s5
.LBB245_17:                             ;   in Loop: Header=BB245_13 Depth=1
	s_wait_alu 0xfffe
	s_and_not1_saveexec_b32 s5, s4
	s_cbranch_execz .LBB245_12
; %bb.18:                               ;   in Loop: Header=BB245_13 Depth=1
	global_load_b32 v1, v[5:6], off
	s_wait_loadcnt 0x0
	v_mad_co_i64_i32 v[7:8], null, v1, s29, v[3:4]
	global_load_u16 v1, v[7:8], off
	s_wait_loadcnt 0x0
	v_dual_mov_b32 v23, 0 :: v_dual_and_b32 v24, 0xff, v1
	global_load_b32 v22, v23, s[8:9]
	v_and_b32_e32 v1, 0xffff, v1
	v_cmp_ne_u16_e64 s4, 0, v24
	v_mov_b32_e32 v24, 0
	s_and_saveexec_b32 s42, s4
	s_cbranch_execz .LBB245_26
; %bb.19:                               ;   in Loop: Header=BB245_13 Depth=1
	v_and_b32_e32 v24, 0xff, v1
	s_delay_alu instid0(VALU_DEP_1)
	v_cmp_ne_u16_e64 s4, 0x80, v24
	v_mov_b32_e32 v24, 0x8000
	s_and_saveexec_b32 s43, s4
	s_cbranch_execz .LBB245_25
; %bb.20:                               ;   in Loop: Header=BB245_13 Depth=1
	v_and_b32_e32 v26, 0x7f, v1
	v_mov_b32_e32 v24, 0x7c01
	s_mov_b32 s44, exec_lo
	s_delay_alu instid0(VALU_DEP_2)
	v_cmpx_ne_u32_e32 0x7f, v26
	s_cbranch_execz .LBB245_24
; %bb.21:                               ;   in Loop: Header=BB245_13 Depth=1
	v_and_b32_e32 v24, 7, v1
	v_lshrrev_b32_e32 v25, 3, v26
	s_mov_b32 s45, exec_lo
	v_cmpx_gt_u32_e32 8, v26
; %bb.22:                               ;   in Loop: Header=BB245_13 Depth=1
	s_delay_alu instid0(VALU_DEP_3) | instskip(NEXT) | instid1(VALU_DEP_1)
	v_clz_i32_u32_e32 v24, v24
	v_min_u32_e32 v26, 32, v24
	s_delay_alu instid0(VALU_DEP_1) | instskip(NEXT) | instid1(VALU_DEP_1)
	v_subrev_nc_u32_e32 v24, 28, v26
	v_lshlrev_b64_e32 v[24:25], v24, v[1:2]
	v_sub_nc_u32_e32 v25, 29, v26
	s_delay_alu instid0(VALU_DEP_2)
	v_and_b32_e32 v24, 7, v24
; %bb.23:                               ;   in Loop: Header=BB245_13 Depth=1
	s_or_b32 exec_lo, exec_lo, s45
	v_lshlrev_b32_e32 v26, 8, v1
	s_delay_alu instid0(VALU_DEP_3) | instskip(NEXT) | instid1(VALU_DEP_3)
	v_lshl_add_u32 v25, v25, 10, 0x2000
	v_lshlrev_b32_e32 v24, 7, v24
	s_delay_alu instid0(VALU_DEP_3) | instskip(NEXT) | instid1(VALU_DEP_3)
	v_and_b32_e32 v26, 0x8000, v26
	v_and_b32_e32 v25, 0xfc00, v25
	s_delay_alu instid0(VALU_DEP_1)
	v_or3_b32 v24, v26, v25, v24
.LBB245_24:                             ;   in Loop: Header=BB245_13 Depth=1
	s_or_b32 exec_lo, exec_lo, s44
.LBB245_25:                             ;   in Loop: Header=BB245_13 Depth=1
	s_wait_alu 0xfffe
	s_or_b32 exec_lo, exec_lo, s43
.LBB245_26:                             ;   in Loop: Header=BB245_13 Depth=1
	s_wait_alu 0xfffe
	s_or_b32 exec_lo, exec_lo, s42
	v_lshrrev_b16 v1, 8, v1
	s_mov_b32 s42, exec_lo
	s_delay_alu instid0(VALU_DEP_1)
	v_cmpx_ne_u16_e32 0, v1
	s_cbranch_execz .LBB245_34
; %bb.27:                               ;   in Loop: Header=BB245_13 Depth=1
	v_bfrev_b32_e32 v23, 1
	s_mov_b32 s43, exec_lo
	v_cmpx_ne_u16_e32 0x80, v1
	s_cbranch_execz .LBB245_33
; %bb.28:                               ;   in Loop: Header=BB245_13 Depth=1
	v_and_b32_e32 v25, 0xffff, v1
	v_mov_b32_e32 v23, 0x7c010000
	s_mov_b32 s44, exec_lo
	s_delay_alu instid0(VALU_DEP_2) | instskip(NEXT) | instid1(VALU_DEP_1)
	v_and_b32_e32 v27, 0x7f, v25
	v_cmpx_ne_u32_e32 0x7f, v27
	s_cbranch_execz .LBB245_32
; %bb.29:                               ;   in Loop: Header=BB245_13 Depth=1
	v_and_b32_e32 v23, 7, v25
	v_lshrrev_b32_e32 v26, 3, v27
	s_mov_b32 s45, exec_lo
	v_cmpx_gt_u32_e32 8, v27
; %bb.30:                               ;   in Loop: Header=BB245_13 Depth=1
	s_delay_alu instid0(VALU_DEP_3) | instskip(NEXT) | instid1(VALU_DEP_1)
	v_clz_i32_u32_e32 v23, v23
	v_min_u32_e32 v23, 32, v23
	s_delay_alu instid0(VALU_DEP_1) | instskip(NEXT) | instid1(VALU_DEP_1)
	v_subrev_nc_u32_e32 v26, 28, v23
	v_lshlrev_b64_e32 v[27:28], v26, v[1:2]
	v_sub_nc_u32_e32 v26, 29, v23
	s_delay_alu instid0(VALU_DEP_2)
	v_and_b32_e32 v23, 7, v27
; %bb.31:                               ;   in Loop: Header=BB245_13 Depth=1
	s_or_b32 exec_lo, exec_lo, s45
	v_lshlrev_b32_e32 v1, 8, v25
	s_delay_alu instid0(VALU_DEP_3) | instskip(NEXT) | instid1(VALU_DEP_3)
	v_lshl_add_u32 v25, v26, 10, 0x2000
	v_lshlrev_b32_e32 v23, 23, v23
	s_delay_alu instid0(VALU_DEP_2) | instskip(NEXT) | instid1(VALU_DEP_1)
	v_and_or_b32 v1, 0x8000, v1, v25
	v_lshl_or_b32 v23, v1, 16, v23
.LBB245_32:                             ;   in Loop: Header=BB245_13 Depth=1
	s_or_b32 exec_lo, exec_lo, s44
.LBB245_33:                             ;   in Loop: Header=BB245_13 Depth=1
	s_wait_alu 0xfffe
	s_or_b32 exec_lo, exec_lo, s43
.LBB245_34:                             ;   in Loop: Header=BB245_13 Depth=1
	s_wait_alu 0xfffe
	s_or_b32 exec_lo, exec_lo, s42
	global_load_u16 v1, v[7:8], off offset:8
	s_wait_loadcnt 0x0
	v_dual_mov_b32 v25, 0 :: v_dual_and_b32 v26, 0xff, v1
	v_and_b32_e32 v1, 0xffff, v1
	s_delay_alu instid0(VALU_DEP_2)
	v_cmp_ne_u16_e64 s4, 0, v26
	v_mov_b32_e32 v26, 0
	s_and_saveexec_b32 s42, s4
	s_cbranch_execz .LBB245_42
; %bb.35:                               ;   in Loop: Header=BB245_13 Depth=1
	v_and_b32_e32 v26, 0xff, v1
	s_delay_alu instid0(VALU_DEP_1)
	v_cmp_ne_u16_e64 s4, 0x80, v26
	v_mov_b32_e32 v26, 0x8000
	s_and_saveexec_b32 s43, s4
	s_cbranch_execz .LBB245_41
; %bb.36:                               ;   in Loop: Header=BB245_13 Depth=1
	v_and_b32_e32 v28, 0x7f, v1
	v_mov_b32_e32 v26, 0x7c01
	s_mov_b32 s44, exec_lo
	s_delay_alu instid0(VALU_DEP_2)
	v_cmpx_ne_u32_e32 0x7f, v28
	s_cbranch_execz .LBB245_40
; %bb.37:                               ;   in Loop: Header=BB245_13 Depth=1
	v_and_b32_e32 v26, 7, v1
	v_lshrrev_b32_e32 v27, 3, v28
	s_mov_b32 s45, exec_lo
	v_cmpx_gt_u32_e32 8, v28
; %bb.38:                               ;   in Loop: Header=BB245_13 Depth=1
	s_delay_alu instid0(VALU_DEP_3) | instskip(NEXT) | instid1(VALU_DEP_1)
	v_clz_i32_u32_e32 v26, v26
	v_min_u32_e32 v28, 32, v26
	s_delay_alu instid0(VALU_DEP_1) | instskip(NEXT) | instid1(VALU_DEP_1)
	v_subrev_nc_u32_e32 v26, 28, v28
	v_lshlrev_b64_e32 v[26:27], v26, v[1:2]
	v_sub_nc_u32_e32 v27, 29, v28
	s_delay_alu instid0(VALU_DEP_2)
	v_and_b32_e32 v26, 7, v26
; %bb.39:                               ;   in Loop: Header=BB245_13 Depth=1
	s_or_b32 exec_lo, exec_lo, s45
	v_lshlrev_b32_e32 v28, 8, v1
	s_delay_alu instid0(VALU_DEP_3) | instskip(NEXT) | instid1(VALU_DEP_3)
	v_lshl_add_u32 v27, v27, 10, 0x2000
	v_lshlrev_b32_e32 v26, 7, v26
	s_delay_alu instid0(VALU_DEP_3) | instskip(NEXT) | instid1(VALU_DEP_3)
	v_and_b32_e32 v28, 0x8000, v28
	v_and_b32_e32 v27, 0xfc00, v27
	s_delay_alu instid0(VALU_DEP_1)
	v_or3_b32 v26, v28, v27, v26
.LBB245_40:                             ;   in Loop: Header=BB245_13 Depth=1
	s_or_b32 exec_lo, exec_lo, s44
.LBB245_41:                             ;   in Loop: Header=BB245_13 Depth=1
	s_wait_alu 0xfffe
	s_or_b32 exec_lo, exec_lo, s43
.LBB245_42:                             ;   in Loop: Header=BB245_13 Depth=1
	s_wait_alu 0xfffe
	s_or_b32 exec_lo, exec_lo, s42
	v_lshrrev_b16 v1, 8, v1
	s_mov_b32 s42, exec_lo
	s_delay_alu instid0(VALU_DEP_1)
	v_cmpx_ne_u16_e32 0, v1
	s_cbranch_execz .LBB245_50
; %bb.43:                               ;   in Loop: Header=BB245_13 Depth=1
	v_bfrev_b32_e32 v25, 1
	s_mov_b32 s43, exec_lo
	v_cmpx_ne_u16_e32 0x80, v1
	s_cbranch_execz .LBB245_49
; %bb.44:                               ;   in Loop: Header=BB245_13 Depth=1
	v_and_b32_e32 v27, 0xffff, v1
	v_mov_b32_e32 v25, 0x7c010000
	s_mov_b32 s44, exec_lo
	s_delay_alu instid0(VALU_DEP_2) | instskip(NEXT) | instid1(VALU_DEP_1)
	v_and_b32_e32 v29, 0x7f, v27
	v_cmpx_ne_u32_e32 0x7f, v29
	s_cbranch_execz .LBB245_48
; %bb.45:                               ;   in Loop: Header=BB245_13 Depth=1
	v_and_b32_e32 v25, 7, v27
	v_lshrrev_b32_e32 v28, 3, v29
	s_mov_b32 s45, exec_lo
	v_cmpx_gt_u32_e32 8, v29
; %bb.46:                               ;   in Loop: Header=BB245_13 Depth=1
	s_delay_alu instid0(VALU_DEP_3) | instskip(NEXT) | instid1(VALU_DEP_1)
	v_clz_i32_u32_e32 v25, v25
	v_min_u32_e32 v25, 32, v25
	s_delay_alu instid0(VALU_DEP_1) | instskip(NEXT) | instid1(VALU_DEP_1)
	v_subrev_nc_u32_e32 v28, 28, v25
	v_lshlrev_b64_e32 v[29:30], v28, v[1:2]
	v_sub_nc_u32_e32 v28, 29, v25
	s_delay_alu instid0(VALU_DEP_2)
	v_and_b32_e32 v25, 7, v29
; %bb.47:                               ;   in Loop: Header=BB245_13 Depth=1
	s_or_b32 exec_lo, exec_lo, s45
	v_lshlrev_b32_e32 v1, 8, v27
	s_delay_alu instid0(VALU_DEP_3) | instskip(NEXT) | instid1(VALU_DEP_3)
	v_lshl_add_u32 v27, v28, 10, 0x2000
	v_lshlrev_b32_e32 v25, 23, v25
	s_delay_alu instid0(VALU_DEP_2) | instskip(NEXT) | instid1(VALU_DEP_1)
	v_and_or_b32 v1, 0x8000, v1, v27
	v_lshl_or_b32 v25, v1, 16, v25
.LBB245_48:                             ;   in Loop: Header=BB245_13 Depth=1
	s_or_b32 exec_lo, exec_lo, s44
.LBB245_49:                             ;   in Loop: Header=BB245_13 Depth=1
	s_wait_alu 0xfffe
	s_or_b32 exec_lo, exec_lo, s43
.LBB245_50:                             ;   in Loop: Header=BB245_13 Depth=1
	s_wait_alu 0xfffe
	s_or_b32 exec_lo, exec_lo, s42
	global_load_u16 v1, v[7:8], off offset:128
	s_wait_loadcnt 0x0
	v_dual_mov_b32 v27, 0 :: v_dual_and_b32 v28, 0xff, v1
	v_and_b32_e32 v1, 0xffff, v1
	s_delay_alu instid0(VALU_DEP_2)
	v_cmp_ne_u16_e64 s4, 0, v28
	v_mov_b32_e32 v28, 0
	s_and_saveexec_b32 s42, s4
	s_cbranch_execz .LBB245_58
; %bb.51:                               ;   in Loop: Header=BB245_13 Depth=1
	v_and_b32_e32 v28, 0xff, v1
	s_delay_alu instid0(VALU_DEP_1)
	v_cmp_ne_u16_e64 s4, 0x80, v28
	v_mov_b32_e32 v28, 0x8000
	s_and_saveexec_b32 s43, s4
	s_cbranch_execz .LBB245_57
; %bb.52:                               ;   in Loop: Header=BB245_13 Depth=1
	v_and_b32_e32 v30, 0x7f, v1
	v_mov_b32_e32 v28, 0x7c01
	s_mov_b32 s44, exec_lo
	s_delay_alu instid0(VALU_DEP_2)
	v_cmpx_ne_u32_e32 0x7f, v30
	s_cbranch_execz .LBB245_56
; %bb.53:                               ;   in Loop: Header=BB245_13 Depth=1
	v_and_b32_e32 v28, 7, v1
	v_lshrrev_b32_e32 v29, 3, v30
	s_mov_b32 s45, exec_lo
	v_cmpx_gt_u32_e32 8, v30
; %bb.54:                               ;   in Loop: Header=BB245_13 Depth=1
	s_delay_alu instid0(VALU_DEP_3) | instskip(NEXT) | instid1(VALU_DEP_1)
	v_clz_i32_u32_e32 v28, v28
	v_min_u32_e32 v30, 32, v28
	s_delay_alu instid0(VALU_DEP_1) | instskip(NEXT) | instid1(VALU_DEP_1)
	v_subrev_nc_u32_e32 v28, 28, v30
	v_lshlrev_b64_e32 v[28:29], v28, v[1:2]
	v_sub_nc_u32_e32 v29, 29, v30
	s_delay_alu instid0(VALU_DEP_2)
	v_and_b32_e32 v28, 7, v28
; %bb.55:                               ;   in Loop: Header=BB245_13 Depth=1
	s_or_b32 exec_lo, exec_lo, s45
	v_lshlrev_b32_e32 v30, 8, v1
	s_delay_alu instid0(VALU_DEP_3) | instskip(NEXT) | instid1(VALU_DEP_3)
	v_lshl_add_u32 v29, v29, 10, 0x2000
	v_lshlrev_b32_e32 v28, 7, v28
	s_delay_alu instid0(VALU_DEP_3) | instskip(NEXT) | instid1(VALU_DEP_3)
	v_and_b32_e32 v30, 0x8000, v30
	v_and_b32_e32 v29, 0xfc00, v29
	s_delay_alu instid0(VALU_DEP_1)
	v_or3_b32 v28, v30, v29, v28
.LBB245_56:                             ;   in Loop: Header=BB245_13 Depth=1
	s_or_b32 exec_lo, exec_lo, s44
.LBB245_57:                             ;   in Loop: Header=BB245_13 Depth=1
	s_wait_alu 0xfffe
	s_or_b32 exec_lo, exec_lo, s43
.LBB245_58:                             ;   in Loop: Header=BB245_13 Depth=1
	s_wait_alu 0xfffe
	s_or_b32 exec_lo, exec_lo, s42
	v_lshrrev_b16 v1, 8, v1
	s_mov_b32 s42, exec_lo
	s_delay_alu instid0(VALU_DEP_1)
	v_cmpx_ne_u16_e32 0, v1
	s_cbranch_execz .LBB245_66
; %bb.59:                               ;   in Loop: Header=BB245_13 Depth=1
	v_bfrev_b32_e32 v27, 1
	s_mov_b32 s43, exec_lo
	v_cmpx_ne_u16_e32 0x80, v1
	s_cbranch_execz .LBB245_65
; %bb.60:                               ;   in Loop: Header=BB245_13 Depth=1
	v_and_b32_e32 v29, 0xffff, v1
	v_mov_b32_e32 v27, 0x7c010000
	s_mov_b32 s44, exec_lo
	s_delay_alu instid0(VALU_DEP_2) | instskip(NEXT) | instid1(VALU_DEP_1)
	v_and_b32_e32 v31, 0x7f, v29
	v_cmpx_ne_u32_e32 0x7f, v31
	s_cbranch_execz .LBB245_64
; %bb.61:                               ;   in Loop: Header=BB245_13 Depth=1
	v_and_b32_e32 v27, 7, v29
	v_lshrrev_b32_e32 v30, 3, v31
	s_mov_b32 s45, exec_lo
	v_cmpx_gt_u32_e32 8, v31
; %bb.62:                               ;   in Loop: Header=BB245_13 Depth=1
	s_delay_alu instid0(VALU_DEP_3) | instskip(NEXT) | instid1(VALU_DEP_1)
	v_clz_i32_u32_e32 v27, v27
	v_min_u32_e32 v27, 32, v27
	s_delay_alu instid0(VALU_DEP_1) | instskip(NEXT) | instid1(VALU_DEP_1)
	v_subrev_nc_u32_e32 v30, 28, v27
	v_lshlrev_b64_e32 v[31:32], v30, v[1:2]
	v_sub_nc_u32_e32 v30, 29, v27
	s_delay_alu instid0(VALU_DEP_2)
	v_and_b32_e32 v27, 7, v31
; %bb.63:                               ;   in Loop: Header=BB245_13 Depth=1
	s_or_b32 exec_lo, exec_lo, s45
	v_lshlrev_b32_e32 v1, 8, v29
	s_delay_alu instid0(VALU_DEP_3) | instskip(NEXT) | instid1(VALU_DEP_3)
	v_lshl_add_u32 v29, v30, 10, 0x2000
	v_lshlrev_b32_e32 v27, 23, v27
	s_delay_alu instid0(VALU_DEP_2) | instskip(NEXT) | instid1(VALU_DEP_1)
	v_and_or_b32 v1, 0x8000, v1, v29
	v_lshl_or_b32 v27, v1, 16, v27
.LBB245_64:                             ;   in Loop: Header=BB245_13 Depth=1
	s_or_b32 exec_lo, exec_lo, s44
.LBB245_65:                             ;   in Loop: Header=BB245_13 Depth=1
	s_wait_alu 0xfffe
	s_or_b32 exec_lo, exec_lo, s43
.LBB245_66:                             ;   in Loop: Header=BB245_13 Depth=1
	s_wait_alu 0xfffe
	s_or_b32 exec_lo, exec_lo, s42
	global_load_u16 v1, v[7:8], off offset:136
	s_wait_loadcnt 0x0
	v_dual_mov_b32 v29, 0 :: v_dual_and_b32 v30, 0xff, v1
	v_and_b32_e32 v1, 0xffff, v1
	s_delay_alu instid0(VALU_DEP_2)
	v_cmp_ne_u16_e64 s4, 0, v30
	v_mov_b32_e32 v30, 0
	s_and_saveexec_b32 s42, s4
	s_cbranch_execz .LBB245_74
; %bb.67:                               ;   in Loop: Header=BB245_13 Depth=1
	v_and_b32_e32 v30, 0xff, v1
	s_delay_alu instid0(VALU_DEP_1)
	v_cmp_ne_u16_e64 s4, 0x80, v30
	v_mov_b32_e32 v30, 0x8000
	s_and_saveexec_b32 s43, s4
	s_cbranch_execz .LBB245_73
; %bb.68:                               ;   in Loop: Header=BB245_13 Depth=1
	v_and_b32_e32 v32, 0x7f, v1
	v_mov_b32_e32 v30, 0x7c01
	s_mov_b32 s44, exec_lo
	s_delay_alu instid0(VALU_DEP_2)
	v_cmpx_ne_u32_e32 0x7f, v32
	s_cbranch_execz .LBB245_72
; %bb.69:                               ;   in Loop: Header=BB245_13 Depth=1
	v_and_b32_e32 v30, 7, v1
	v_lshrrev_b32_e32 v31, 3, v32
	s_mov_b32 s45, exec_lo
	v_cmpx_gt_u32_e32 8, v32
; %bb.70:                               ;   in Loop: Header=BB245_13 Depth=1
	s_delay_alu instid0(VALU_DEP_3) | instskip(NEXT) | instid1(VALU_DEP_1)
	v_clz_i32_u32_e32 v30, v30
	v_min_u32_e32 v32, 32, v30
	s_delay_alu instid0(VALU_DEP_1) | instskip(NEXT) | instid1(VALU_DEP_1)
	v_subrev_nc_u32_e32 v30, 28, v32
	v_lshlrev_b64_e32 v[30:31], v30, v[1:2]
	v_sub_nc_u32_e32 v31, 29, v32
	s_delay_alu instid0(VALU_DEP_2)
	v_and_b32_e32 v30, 7, v30
; %bb.71:                               ;   in Loop: Header=BB245_13 Depth=1
	s_or_b32 exec_lo, exec_lo, s45
	v_lshlrev_b32_e32 v32, 8, v1
	s_delay_alu instid0(VALU_DEP_3) | instskip(NEXT) | instid1(VALU_DEP_3)
	v_lshl_add_u32 v31, v31, 10, 0x2000
	v_lshlrev_b32_e32 v30, 7, v30
	s_delay_alu instid0(VALU_DEP_3) | instskip(NEXT) | instid1(VALU_DEP_3)
	v_and_b32_e32 v32, 0x8000, v32
	v_and_b32_e32 v31, 0xfc00, v31
	s_delay_alu instid0(VALU_DEP_1)
	v_or3_b32 v30, v32, v31, v30
.LBB245_72:                             ;   in Loop: Header=BB245_13 Depth=1
	s_or_b32 exec_lo, exec_lo, s44
.LBB245_73:                             ;   in Loop: Header=BB245_13 Depth=1
	s_wait_alu 0xfffe
	s_or_b32 exec_lo, exec_lo, s43
.LBB245_74:                             ;   in Loop: Header=BB245_13 Depth=1
	s_wait_alu 0xfffe
	s_or_b32 exec_lo, exec_lo, s42
	v_lshrrev_b16 v1, 8, v1
	s_mov_b32 s42, exec_lo
	s_delay_alu instid0(VALU_DEP_1)
	v_cmpx_ne_u16_e32 0, v1
	s_cbranch_execz .LBB245_82
; %bb.75:                               ;   in Loop: Header=BB245_13 Depth=1
	v_bfrev_b32_e32 v29, 1
	s_mov_b32 s43, exec_lo
	v_cmpx_ne_u16_e32 0x80, v1
	s_cbranch_execz .LBB245_81
; %bb.76:                               ;   in Loop: Header=BB245_13 Depth=1
	v_and_b32_e32 v31, 0xffff, v1
	v_mov_b32_e32 v29, 0x7c010000
	s_mov_b32 s44, exec_lo
	s_delay_alu instid0(VALU_DEP_2) | instskip(NEXT) | instid1(VALU_DEP_1)
	v_and_b32_e32 v33, 0x7f, v31
	v_cmpx_ne_u32_e32 0x7f, v33
	s_cbranch_execz .LBB245_80
; %bb.77:                               ;   in Loop: Header=BB245_13 Depth=1
	v_and_b32_e32 v29, 7, v31
	v_lshrrev_b32_e32 v32, 3, v33
	s_mov_b32 s45, exec_lo
	v_cmpx_gt_u32_e32 8, v33
; %bb.78:                               ;   in Loop: Header=BB245_13 Depth=1
	s_delay_alu instid0(VALU_DEP_3) | instskip(NEXT) | instid1(VALU_DEP_1)
	v_clz_i32_u32_e32 v29, v29
	v_min_u32_e32 v29, 32, v29
	s_delay_alu instid0(VALU_DEP_1) | instskip(NEXT) | instid1(VALU_DEP_1)
	v_subrev_nc_u32_e32 v32, 28, v29
	v_lshlrev_b64_e32 v[33:34], v32, v[1:2]
	v_sub_nc_u32_e32 v32, 29, v29
	s_delay_alu instid0(VALU_DEP_2)
	v_and_b32_e32 v29, 7, v33
; %bb.79:                               ;   in Loop: Header=BB245_13 Depth=1
	s_or_b32 exec_lo, exec_lo, s45
	v_lshlrev_b32_e32 v1, 8, v31
	s_delay_alu instid0(VALU_DEP_3) | instskip(NEXT) | instid1(VALU_DEP_3)
	v_lshl_add_u32 v31, v32, 10, 0x2000
	v_lshlrev_b32_e32 v29, 23, v29
	s_delay_alu instid0(VALU_DEP_2) | instskip(NEXT) | instid1(VALU_DEP_1)
	v_and_or_b32 v1, 0x8000, v1, v31
	v_lshl_or_b32 v29, v1, 16, v29
.LBB245_80:                             ;   in Loop: Header=BB245_13 Depth=1
	s_or_b32 exec_lo, exec_lo, s44
.LBB245_81:                             ;   in Loop: Header=BB245_13 Depth=1
	s_wait_alu 0xfffe
	s_or_b32 exec_lo, exec_lo, s43
.LBB245_82:                             ;   in Loop: Header=BB245_13 Depth=1
	s_wait_alu 0xfffe
	s_or_b32 exec_lo, exec_lo, s42
	global_load_u16 v1, v[7:8], off offset:256
	s_wait_loadcnt 0x0
	v_dual_mov_b32 v31, 0 :: v_dual_and_b32 v32, 0xff, v1
	v_and_b32_e32 v1, 0xffff, v1
	s_delay_alu instid0(VALU_DEP_2)
	v_cmp_ne_u16_e64 s4, 0, v32
	v_mov_b32_e32 v32, 0
	s_and_saveexec_b32 s42, s4
	s_cbranch_execz .LBB245_90
; %bb.83:                               ;   in Loop: Header=BB245_13 Depth=1
	v_and_b32_e32 v32, 0xff, v1
	s_delay_alu instid0(VALU_DEP_1)
	v_cmp_ne_u16_e64 s4, 0x80, v32
	v_mov_b32_e32 v32, 0x8000
	s_and_saveexec_b32 s43, s4
	s_cbranch_execz .LBB245_89
; %bb.84:                               ;   in Loop: Header=BB245_13 Depth=1
	v_and_b32_e32 v34, 0x7f, v1
	v_mov_b32_e32 v32, 0x7c01
	s_mov_b32 s44, exec_lo
	s_delay_alu instid0(VALU_DEP_2)
	v_cmpx_ne_u32_e32 0x7f, v34
	s_cbranch_execz .LBB245_88
; %bb.85:                               ;   in Loop: Header=BB245_13 Depth=1
	v_and_b32_e32 v32, 7, v1
	v_lshrrev_b32_e32 v33, 3, v34
	s_mov_b32 s45, exec_lo
	v_cmpx_gt_u32_e32 8, v34
; %bb.86:                               ;   in Loop: Header=BB245_13 Depth=1
	s_delay_alu instid0(VALU_DEP_3) | instskip(NEXT) | instid1(VALU_DEP_1)
	v_clz_i32_u32_e32 v32, v32
	v_min_u32_e32 v34, 32, v32
	s_delay_alu instid0(VALU_DEP_1) | instskip(NEXT) | instid1(VALU_DEP_1)
	v_subrev_nc_u32_e32 v32, 28, v34
	v_lshlrev_b64_e32 v[32:33], v32, v[1:2]
	v_sub_nc_u32_e32 v33, 29, v34
	s_delay_alu instid0(VALU_DEP_2)
	v_and_b32_e32 v32, 7, v32
; %bb.87:                               ;   in Loop: Header=BB245_13 Depth=1
	s_or_b32 exec_lo, exec_lo, s45
	v_lshlrev_b32_e32 v34, 8, v1
	s_delay_alu instid0(VALU_DEP_3) | instskip(NEXT) | instid1(VALU_DEP_3)
	v_lshl_add_u32 v33, v33, 10, 0x2000
	v_lshlrev_b32_e32 v32, 7, v32
	s_delay_alu instid0(VALU_DEP_3) | instskip(NEXT) | instid1(VALU_DEP_3)
	v_and_b32_e32 v34, 0x8000, v34
	v_and_b32_e32 v33, 0xfc00, v33
	s_delay_alu instid0(VALU_DEP_1)
	v_or3_b32 v32, v34, v33, v32
.LBB245_88:                             ;   in Loop: Header=BB245_13 Depth=1
	s_or_b32 exec_lo, exec_lo, s44
.LBB245_89:                             ;   in Loop: Header=BB245_13 Depth=1
	s_wait_alu 0xfffe
	s_or_b32 exec_lo, exec_lo, s43
.LBB245_90:                             ;   in Loop: Header=BB245_13 Depth=1
	s_wait_alu 0xfffe
	s_or_b32 exec_lo, exec_lo, s42
	v_lshrrev_b16 v1, 8, v1
	s_mov_b32 s42, exec_lo
	s_delay_alu instid0(VALU_DEP_1)
	v_cmpx_ne_u16_e32 0, v1
	s_cbranch_execz .LBB245_98
; %bb.91:                               ;   in Loop: Header=BB245_13 Depth=1
	v_bfrev_b32_e32 v31, 1
	s_mov_b32 s43, exec_lo
	v_cmpx_ne_u16_e32 0x80, v1
	s_cbranch_execz .LBB245_97
; %bb.92:                               ;   in Loop: Header=BB245_13 Depth=1
	v_and_b32_e32 v33, 0xffff, v1
	v_mov_b32_e32 v31, 0x7c010000
	s_mov_b32 s44, exec_lo
	s_delay_alu instid0(VALU_DEP_2) | instskip(NEXT) | instid1(VALU_DEP_1)
	v_and_b32_e32 v35, 0x7f, v33
	v_cmpx_ne_u32_e32 0x7f, v35
	s_cbranch_execz .LBB245_96
; %bb.93:                               ;   in Loop: Header=BB245_13 Depth=1
	v_and_b32_e32 v31, 7, v33
	v_lshrrev_b32_e32 v34, 3, v35
	s_mov_b32 s45, exec_lo
	v_cmpx_gt_u32_e32 8, v35
; %bb.94:                               ;   in Loop: Header=BB245_13 Depth=1
	s_delay_alu instid0(VALU_DEP_3) | instskip(NEXT) | instid1(VALU_DEP_1)
	v_clz_i32_u32_e32 v31, v31
	v_min_u32_e32 v31, 32, v31
	s_delay_alu instid0(VALU_DEP_1) | instskip(NEXT) | instid1(VALU_DEP_1)
	v_subrev_nc_u32_e32 v34, 28, v31
	v_lshlrev_b64_e32 v[35:36], v34, v[1:2]
	v_sub_nc_u32_e32 v34, 29, v31
	s_delay_alu instid0(VALU_DEP_2)
	v_and_b32_e32 v31, 7, v35
; %bb.95:                               ;   in Loop: Header=BB245_13 Depth=1
	s_or_b32 exec_lo, exec_lo, s45
	v_lshlrev_b32_e32 v1, 8, v33
	s_delay_alu instid0(VALU_DEP_3) | instskip(NEXT) | instid1(VALU_DEP_3)
	v_lshl_add_u32 v33, v34, 10, 0x2000
	v_lshlrev_b32_e32 v31, 23, v31
	s_delay_alu instid0(VALU_DEP_2) | instskip(NEXT) | instid1(VALU_DEP_1)
	v_and_or_b32 v1, 0x8000, v1, v33
	v_lshl_or_b32 v31, v1, 16, v31
.LBB245_96:                             ;   in Loop: Header=BB245_13 Depth=1
	s_or_b32 exec_lo, exec_lo, s44
.LBB245_97:                             ;   in Loop: Header=BB245_13 Depth=1
	s_wait_alu 0xfffe
	s_or_b32 exec_lo, exec_lo, s43
.LBB245_98:                             ;   in Loop: Header=BB245_13 Depth=1
	s_wait_alu 0xfffe
	s_or_b32 exec_lo, exec_lo, s42
	global_load_u16 v1, v[7:8], off offset:264
	s_wait_loadcnt 0x0
	v_dual_mov_b32 v33, 0 :: v_dual_and_b32 v34, 0xff, v1
	v_and_b32_e32 v1, 0xffff, v1
	s_delay_alu instid0(VALU_DEP_2)
	v_cmp_ne_u16_e64 s4, 0, v34
	v_mov_b32_e32 v34, 0
	s_and_saveexec_b32 s42, s4
	s_cbranch_execz .LBB245_106
; %bb.99:                               ;   in Loop: Header=BB245_13 Depth=1
	v_and_b32_e32 v34, 0xff, v1
	s_delay_alu instid0(VALU_DEP_1)
	v_cmp_ne_u16_e64 s4, 0x80, v34
	v_mov_b32_e32 v34, 0x8000
	s_and_saveexec_b32 s43, s4
	s_cbranch_execz .LBB245_105
; %bb.100:                              ;   in Loop: Header=BB245_13 Depth=1
	v_and_b32_e32 v36, 0x7f, v1
	v_mov_b32_e32 v34, 0x7c01
	s_mov_b32 s44, exec_lo
	s_delay_alu instid0(VALU_DEP_2)
	v_cmpx_ne_u32_e32 0x7f, v36
	s_cbranch_execz .LBB245_104
; %bb.101:                              ;   in Loop: Header=BB245_13 Depth=1
	v_and_b32_e32 v34, 7, v1
	v_lshrrev_b32_e32 v35, 3, v36
	s_mov_b32 s45, exec_lo
	v_cmpx_gt_u32_e32 8, v36
; %bb.102:                              ;   in Loop: Header=BB245_13 Depth=1
	s_delay_alu instid0(VALU_DEP_3) | instskip(NEXT) | instid1(VALU_DEP_1)
	v_clz_i32_u32_e32 v34, v34
	v_min_u32_e32 v36, 32, v34
	s_delay_alu instid0(VALU_DEP_1) | instskip(NEXT) | instid1(VALU_DEP_1)
	v_subrev_nc_u32_e32 v34, 28, v36
	v_lshlrev_b64_e32 v[34:35], v34, v[1:2]
	v_sub_nc_u32_e32 v35, 29, v36
	s_delay_alu instid0(VALU_DEP_2)
	v_and_b32_e32 v34, 7, v34
; %bb.103:                              ;   in Loop: Header=BB245_13 Depth=1
	s_or_b32 exec_lo, exec_lo, s45
	v_lshlrev_b32_e32 v36, 8, v1
	s_delay_alu instid0(VALU_DEP_3) | instskip(NEXT) | instid1(VALU_DEP_3)
	v_lshl_add_u32 v35, v35, 10, 0x2000
	v_lshlrev_b32_e32 v34, 7, v34
	s_delay_alu instid0(VALU_DEP_3) | instskip(NEXT) | instid1(VALU_DEP_3)
	v_and_b32_e32 v36, 0x8000, v36
	v_and_b32_e32 v35, 0xfc00, v35
	s_delay_alu instid0(VALU_DEP_1)
	v_or3_b32 v34, v36, v35, v34
.LBB245_104:                            ;   in Loop: Header=BB245_13 Depth=1
	s_or_b32 exec_lo, exec_lo, s44
.LBB245_105:                            ;   in Loop: Header=BB245_13 Depth=1
	s_wait_alu 0xfffe
	s_or_b32 exec_lo, exec_lo, s43
.LBB245_106:                            ;   in Loop: Header=BB245_13 Depth=1
	s_wait_alu 0xfffe
	s_or_b32 exec_lo, exec_lo, s42
	v_lshrrev_b16 v1, 8, v1
	s_mov_b32 s42, exec_lo
	s_delay_alu instid0(VALU_DEP_1)
	v_cmpx_ne_u16_e32 0, v1
	s_cbranch_execz .LBB245_114
; %bb.107:                              ;   in Loop: Header=BB245_13 Depth=1
	v_bfrev_b32_e32 v33, 1
	s_mov_b32 s43, exec_lo
	v_cmpx_ne_u16_e32 0x80, v1
	s_cbranch_execz .LBB245_113
; %bb.108:                              ;   in Loop: Header=BB245_13 Depth=1
	v_and_b32_e32 v35, 0xffff, v1
	v_mov_b32_e32 v33, 0x7c010000
	s_mov_b32 s44, exec_lo
	s_delay_alu instid0(VALU_DEP_2) | instskip(NEXT) | instid1(VALU_DEP_1)
	v_and_b32_e32 v37, 0x7f, v35
	v_cmpx_ne_u32_e32 0x7f, v37
	s_cbranch_execz .LBB245_112
; %bb.109:                              ;   in Loop: Header=BB245_13 Depth=1
	v_and_b32_e32 v33, 7, v35
	v_lshrrev_b32_e32 v36, 3, v37
	s_mov_b32 s45, exec_lo
	v_cmpx_gt_u32_e32 8, v37
; %bb.110:                              ;   in Loop: Header=BB245_13 Depth=1
	s_delay_alu instid0(VALU_DEP_3) | instskip(NEXT) | instid1(VALU_DEP_1)
	v_clz_i32_u32_e32 v33, v33
	v_min_u32_e32 v33, 32, v33
	s_delay_alu instid0(VALU_DEP_1) | instskip(NEXT) | instid1(VALU_DEP_1)
	v_subrev_nc_u32_e32 v36, 28, v33
	v_lshlrev_b64_e32 v[37:38], v36, v[1:2]
	v_sub_nc_u32_e32 v36, 29, v33
	s_delay_alu instid0(VALU_DEP_2)
	v_and_b32_e32 v33, 7, v37
; %bb.111:                              ;   in Loop: Header=BB245_13 Depth=1
	s_or_b32 exec_lo, exec_lo, s45
	v_lshlrev_b32_e32 v1, 8, v35
	s_delay_alu instid0(VALU_DEP_3) | instskip(NEXT) | instid1(VALU_DEP_3)
	v_lshl_add_u32 v35, v36, 10, 0x2000
	v_lshlrev_b32_e32 v33, 23, v33
	s_delay_alu instid0(VALU_DEP_2) | instskip(NEXT) | instid1(VALU_DEP_1)
	v_and_or_b32 v1, 0x8000, v1, v35
	v_lshl_or_b32 v33, v1, 16, v33
.LBB245_112:                            ;   in Loop: Header=BB245_13 Depth=1
	s_or_b32 exec_lo, exec_lo, s44
.LBB245_113:                            ;   in Loop: Header=BB245_13 Depth=1
	s_wait_alu 0xfffe
	s_or_b32 exec_lo, exec_lo, s43
.LBB245_114:                            ;   in Loop: Header=BB245_13 Depth=1
	s_wait_alu 0xfffe
	s_or_b32 exec_lo, exec_lo, s42
	global_load_u16 v1, v[7:8], off offset:384
	s_wait_loadcnt 0x0
	v_dual_mov_b32 v35, 0 :: v_dual_and_b32 v36, 0xff, v1
	v_and_b32_e32 v1, 0xffff, v1
	s_delay_alu instid0(VALU_DEP_2)
	v_cmp_ne_u16_e64 s4, 0, v36
	v_mov_b32_e32 v36, 0
	s_and_saveexec_b32 s42, s4
	s_cbranch_execz .LBB245_122
; %bb.115:                              ;   in Loop: Header=BB245_13 Depth=1
	v_and_b32_e32 v36, 0xff, v1
	s_delay_alu instid0(VALU_DEP_1)
	v_cmp_ne_u16_e64 s4, 0x80, v36
	v_mov_b32_e32 v36, 0x8000
	s_and_saveexec_b32 s43, s4
	s_cbranch_execz .LBB245_121
; %bb.116:                              ;   in Loop: Header=BB245_13 Depth=1
	v_and_b32_e32 v38, 0x7f, v1
	v_mov_b32_e32 v36, 0x7c01
	s_mov_b32 s44, exec_lo
	s_delay_alu instid0(VALU_DEP_2)
	v_cmpx_ne_u32_e32 0x7f, v38
	s_cbranch_execz .LBB245_120
; %bb.117:                              ;   in Loop: Header=BB245_13 Depth=1
	v_and_b32_e32 v36, 7, v1
	v_lshrrev_b32_e32 v37, 3, v38
	s_mov_b32 s45, exec_lo
	v_cmpx_gt_u32_e32 8, v38
; %bb.118:                              ;   in Loop: Header=BB245_13 Depth=1
	s_delay_alu instid0(VALU_DEP_3) | instskip(NEXT) | instid1(VALU_DEP_1)
	v_clz_i32_u32_e32 v36, v36
	v_min_u32_e32 v38, 32, v36
	s_delay_alu instid0(VALU_DEP_1) | instskip(NEXT) | instid1(VALU_DEP_1)
	v_subrev_nc_u32_e32 v36, 28, v38
	v_lshlrev_b64_e32 v[36:37], v36, v[1:2]
	v_sub_nc_u32_e32 v37, 29, v38
	s_delay_alu instid0(VALU_DEP_2)
	v_and_b32_e32 v36, 7, v36
; %bb.119:                              ;   in Loop: Header=BB245_13 Depth=1
	s_or_b32 exec_lo, exec_lo, s45
	v_lshlrev_b32_e32 v38, 8, v1
	s_delay_alu instid0(VALU_DEP_3) | instskip(NEXT) | instid1(VALU_DEP_3)
	v_lshl_add_u32 v37, v37, 10, 0x2000
	v_lshlrev_b32_e32 v36, 7, v36
	s_delay_alu instid0(VALU_DEP_3) | instskip(NEXT) | instid1(VALU_DEP_3)
	v_and_b32_e32 v38, 0x8000, v38
	v_and_b32_e32 v37, 0xfc00, v37
	s_delay_alu instid0(VALU_DEP_1)
	v_or3_b32 v36, v38, v37, v36
.LBB245_120:                            ;   in Loop: Header=BB245_13 Depth=1
	s_or_b32 exec_lo, exec_lo, s44
.LBB245_121:                            ;   in Loop: Header=BB245_13 Depth=1
	s_wait_alu 0xfffe
	s_or_b32 exec_lo, exec_lo, s43
.LBB245_122:                            ;   in Loop: Header=BB245_13 Depth=1
	s_wait_alu 0xfffe
	s_or_b32 exec_lo, exec_lo, s42
	v_lshrrev_b16 v1, 8, v1
	s_mov_b32 s42, exec_lo
	s_delay_alu instid0(VALU_DEP_1)
	v_cmpx_ne_u16_e32 0, v1
	s_cbranch_execz .LBB245_130
; %bb.123:                              ;   in Loop: Header=BB245_13 Depth=1
	v_bfrev_b32_e32 v35, 1
	s_mov_b32 s43, exec_lo
	v_cmpx_ne_u16_e32 0x80, v1
	s_cbranch_execz .LBB245_129
; %bb.124:                              ;   in Loop: Header=BB245_13 Depth=1
	v_and_b32_e32 v37, 0xffff, v1
	v_mov_b32_e32 v35, 0x7c010000
	s_mov_b32 s44, exec_lo
	s_delay_alu instid0(VALU_DEP_2) | instskip(NEXT) | instid1(VALU_DEP_1)
	v_and_b32_e32 v39, 0x7f, v37
	v_cmpx_ne_u32_e32 0x7f, v39
	s_cbranch_execz .LBB245_128
; %bb.125:                              ;   in Loop: Header=BB245_13 Depth=1
	v_and_b32_e32 v35, 7, v37
	v_lshrrev_b32_e32 v38, 3, v39
	s_mov_b32 s45, exec_lo
	v_cmpx_gt_u32_e32 8, v39
; %bb.126:                              ;   in Loop: Header=BB245_13 Depth=1
	s_delay_alu instid0(VALU_DEP_3) | instskip(NEXT) | instid1(VALU_DEP_1)
	v_clz_i32_u32_e32 v35, v35
	v_min_u32_e32 v35, 32, v35
	s_delay_alu instid0(VALU_DEP_1) | instskip(NEXT) | instid1(VALU_DEP_1)
	v_subrev_nc_u32_e32 v38, 28, v35
	v_lshlrev_b64_e32 v[39:40], v38, v[1:2]
	v_sub_nc_u32_e32 v38, 29, v35
	s_delay_alu instid0(VALU_DEP_2)
	v_and_b32_e32 v35, 7, v39
; %bb.127:                              ;   in Loop: Header=BB245_13 Depth=1
	s_or_b32 exec_lo, exec_lo, s45
	v_lshlrev_b32_e32 v1, 8, v37
	s_delay_alu instid0(VALU_DEP_3) | instskip(NEXT) | instid1(VALU_DEP_3)
	v_lshl_add_u32 v37, v38, 10, 0x2000
	v_lshlrev_b32_e32 v35, 23, v35
	s_delay_alu instid0(VALU_DEP_2) | instskip(NEXT) | instid1(VALU_DEP_1)
	v_and_or_b32 v1, 0x8000, v1, v37
	v_lshl_or_b32 v35, v1, 16, v35
.LBB245_128:                            ;   in Loop: Header=BB245_13 Depth=1
	s_or_b32 exec_lo, exec_lo, s44
.LBB245_129:                            ;   in Loop: Header=BB245_13 Depth=1
	s_wait_alu 0xfffe
	s_or_b32 exec_lo, exec_lo, s43
.LBB245_130:                            ;   in Loop: Header=BB245_13 Depth=1
	s_wait_alu 0xfffe
	s_or_b32 exec_lo, exec_lo, s42
	global_load_u16 v1, v[7:8], off offset:392
	s_wait_loadcnt 0x0
	v_dual_mov_b32 v37, 0 :: v_dual_and_b32 v38, 0xff, v1
	v_and_b32_e32 v1, 0xffff, v1
	s_delay_alu instid0(VALU_DEP_2)
	v_cmp_ne_u16_e64 s4, 0, v38
	v_mov_b32_e32 v38, 0
	s_and_saveexec_b32 s42, s4
	s_cbranch_execz .LBB245_138
; %bb.131:                              ;   in Loop: Header=BB245_13 Depth=1
	v_and_b32_e32 v38, 0xff, v1
	s_delay_alu instid0(VALU_DEP_1)
	v_cmp_ne_u16_e64 s4, 0x80, v38
	v_mov_b32_e32 v38, 0x8000
	s_and_saveexec_b32 s43, s4
	s_cbranch_execz .LBB245_137
; %bb.132:                              ;   in Loop: Header=BB245_13 Depth=1
	v_and_b32_e32 v40, 0x7f, v1
	v_mov_b32_e32 v38, 0x7c01
	s_mov_b32 s44, exec_lo
	s_delay_alu instid0(VALU_DEP_2)
	v_cmpx_ne_u32_e32 0x7f, v40
	s_cbranch_execz .LBB245_136
; %bb.133:                              ;   in Loop: Header=BB245_13 Depth=1
	v_and_b32_e32 v38, 7, v1
	v_lshrrev_b32_e32 v39, 3, v40
	s_mov_b32 s45, exec_lo
	v_cmpx_gt_u32_e32 8, v40
; %bb.134:                              ;   in Loop: Header=BB245_13 Depth=1
	s_delay_alu instid0(VALU_DEP_3) | instskip(NEXT) | instid1(VALU_DEP_1)
	v_clz_i32_u32_e32 v38, v38
	v_min_u32_e32 v40, 32, v38
	s_delay_alu instid0(VALU_DEP_1) | instskip(NEXT) | instid1(VALU_DEP_1)
	v_subrev_nc_u32_e32 v38, 28, v40
	v_lshlrev_b64_e32 v[38:39], v38, v[1:2]
	v_sub_nc_u32_e32 v39, 29, v40
	s_delay_alu instid0(VALU_DEP_2)
	v_and_b32_e32 v38, 7, v38
; %bb.135:                              ;   in Loop: Header=BB245_13 Depth=1
	s_or_b32 exec_lo, exec_lo, s45
	v_lshlrev_b32_e32 v40, 8, v1
	s_delay_alu instid0(VALU_DEP_3) | instskip(NEXT) | instid1(VALU_DEP_3)
	v_lshl_add_u32 v39, v39, 10, 0x2000
	v_lshlrev_b32_e32 v38, 7, v38
	s_delay_alu instid0(VALU_DEP_3) | instskip(NEXT) | instid1(VALU_DEP_3)
	v_and_b32_e32 v40, 0x8000, v40
	v_and_b32_e32 v39, 0xfc00, v39
	s_delay_alu instid0(VALU_DEP_1)
	v_or3_b32 v38, v40, v39, v38
.LBB245_136:                            ;   in Loop: Header=BB245_13 Depth=1
	s_or_b32 exec_lo, exec_lo, s44
.LBB245_137:                            ;   in Loop: Header=BB245_13 Depth=1
	s_wait_alu 0xfffe
	s_or_b32 exec_lo, exec_lo, s43
.LBB245_138:                            ;   in Loop: Header=BB245_13 Depth=1
	s_wait_alu 0xfffe
	s_or_b32 exec_lo, exec_lo, s42
	v_lshrrev_b16 v1, 8, v1
	s_mov_b32 s42, exec_lo
	s_delay_alu instid0(VALU_DEP_1)
	v_cmpx_ne_u16_e32 0, v1
	s_cbranch_execz .LBB245_146
; %bb.139:                              ;   in Loop: Header=BB245_13 Depth=1
	v_bfrev_b32_e32 v37, 1
	s_mov_b32 s43, exec_lo
	v_cmpx_ne_u16_e32 0x80, v1
	s_cbranch_execz .LBB245_145
; %bb.140:                              ;   in Loop: Header=BB245_13 Depth=1
	v_and_b32_e32 v39, 0xffff, v1
	v_mov_b32_e32 v37, 0x7c010000
	s_mov_b32 s44, exec_lo
	s_delay_alu instid0(VALU_DEP_2) | instskip(NEXT) | instid1(VALU_DEP_1)
	v_and_b32_e32 v41, 0x7f, v39
	v_cmpx_ne_u32_e32 0x7f, v41
	s_cbranch_execz .LBB245_144
; %bb.141:                              ;   in Loop: Header=BB245_13 Depth=1
	v_and_b32_e32 v37, 7, v39
	v_lshrrev_b32_e32 v40, 3, v41
	s_mov_b32 s45, exec_lo
	v_cmpx_gt_u32_e32 8, v41
; %bb.142:                              ;   in Loop: Header=BB245_13 Depth=1
	s_delay_alu instid0(VALU_DEP_3) | instskip(NEXT) | instid1(VALU_DEP_1)
	v_clz_i32_u32_e32 v37, v37
	v_min_u32_e32 v37, 32, v37
	s_delay_alu instid0(VALU_DEP_1) | instskip(NEXT) | instid1(VALU_DEP_1)
	v_subrev_nc_u32_e32 v40, 28, v37
	v_lshlrev_b64_e32 v[41:42], v40, v[1:2]
	v_sub_nc_u32_e32 v40, 29, v37
	s_delay_alu instid0(VALU_DEP_2)
	v_and_b32_e32 v37, 7, v41
; %bb.143:                              ;   in Loop: Header=BB245_13 Depth=1
	s_or_b32 exec_lo, exec_lo, s45
	v_lshlrev_b32_e32 v1, 8, v39
	s_delay_alu instid0(VALU_DEP_3) | instskip(NEXT) | instid1(VALU_DEP_3)
	v_lshl_add_u32 v39, v40, 10, 0x2000
	v_lshlrev_b32_e32 v37, 23, v37
	s_delay_alu instid0(VALU_DEP_2) | instskip(NEXT) | instid1(VALU_DEP_1)
	v_and_or_b32 v1, 0x8000, v1, v39
	v_lshl_or_b32 v37, v1, 16, v37
.LBB245_144:                            ;   in Loop: Header=BB245_13 Depth=1
	s_or_b32 exec_lo, exec_lo, s44
.LBB245_145:                            ;   in Loop: Header=BB245_13 Depth=1
	s_wait_alu 0xfffe
	s_or_b32 exec_lo, exec_lo, s43
.LBB245_146:                            ;   in Loop: Header=BB245_13 Depth=1
	s_wait_alu 0xfffe
	s_or_b32 exec_lo, exec_lo, s42
	global_load_u16 v1, v[7:8], off offset:512
	s_wait_loadcnt 0x0
	v_dual_mov_b32 v39, 0 :: v_dual_and_b32 v40, 0xff, v1
	v_and_b32_e32 v1, 0xffff, v1
	s_delay_alu instid0(VALU_DEP_2)
	v_cmp_ne_u16_e64 s4, 0, v40
	v_mov_b32_e32 v40, 0
	s_and_saveexec_b32 s42, s4
	s_cbranch_execz .LBB245_154
; %bb.147:                              ;   in Loop: Header=BB245_13 Depth=1
	v_and_b32_e32 v40, 0xff, v1
	s_delay_alu instid0(VALU_DEP_1)
	v_cmp_ne_u16_e64 s4, 0x80, v40
	v_mov_b32_e32 v40, 0x8000
	s_and_saveexec_b32 s43, s4
	s_cbranch_execz .LBB245_153
; %bb.148:                              ;   in Loop: Header=BB245_13 Depth=1
	v_and_b32_e32 v42, 0x7f, v1
	v_mov_b32_e32 v40, 0x7c01
	s_mov_b32 s44, exec_lo
	s_delay_alu instid0(VALU_DEP_2)
	v_cmpx_ne_u32_e32 0x7f, v42
	s_cbranch_execz .LBB245_152
; %bb.149:                              ;   in Loop: Header=BB245_13 Depth=1
	v_and_b32_e32 v40, 7, v1
	v_lshrrev_b32_e32 v41, 3, v42
	s_mov_b32 s45, exec_lo
	v_cmpx_gt_u32_e32 8, v42
; %bb.150:                              ;   in Loop: Header=BB245_13 Depth=1
	s_delay_alu instid0(VALU_DEP_3) | instskip(NEXT) | instid1(VALU_DEP_1)
	v_clz_i32_u32_e32 v40, v40
	v_min_u32_e32 v42, 32, v40
	s_delay_alu instid0(VALU_DEP_1) | instskip(NEXT) | instid1(VALU_DEP_1)
	v_subrev_nc_u32_e32 v40, 28, v42
	v_lshlrev_b64_e32 v[40:41], v40, v[1:2]
	v_sub_nc_u32_e32 v41, 29, v42
	s_delay_alu instid0(VALU_DEP_2)
	v_and_b32_e32 v40, 7, v40
; %bb.151:                              ;   in Loop: Header=BB245_13 Depth=1
	s_or_b32 exec_lo, exec_lo, s45
	v_lshlrev_b32_e32 v42, 8, v1
	s_delay_alu instid0(VALU_DEP_3) | instskip(NEXT) | instid1(VALU_DEP_3)
	v_lshl_add_u32 v41, v41, 10, 0x2000
	v_lshlrev_b32_e32 v40, 7, v40
	s_delay_alu instid0(VALU_DEP_3) | instskip(NEXT) | instid1(VALU_DEP_3)
	v_and_b32_e32 v42, 0x8000, v42
	v_and_b32_e32 v41, 0xfc00, v41
	s_delay_alu instid0(VALU_DEP_1)
	v_or3_b32 v40, v42, v41, v40
.LBB245_152:                            ;   in Loop: Header=BB245_13 Depth=1
	s_or_b32 exec_lo, exec_lo, s44
.LBB245_153:                            ;   in Loop: Header=BB245_13 Depth=1
	s_wait_alu 0xfffe
	s_or_b32 exec_lo, exec_lo, s43
.LBB245_154:                            ;   in Loop: Header=BB245_13 Depth=1
	s_wait_alu 0xfffe
	s_or_b32 exec_lo, exec_lo, s42
	v_lshrrev_b16 v1, 8, v1
	s_mov_b32 s42, exec_lo
	s_delay_alu instid0(VALU_DEP_1)
	v_cmpx_ne_u16_e32 0, v1
	s_cbranch_execz .LBB245_162
; %bb.155:                              ;   in Loop: Header=BB245_13 Depth=1
	v_bfrev_b32_e32 v39, 1
	s_mov_b32 s43, exec_lo
	v_cmpx_ne_u16_e32 0x80, v1
	s_cbranch_execz .LBB245_161
; %bb.156:                              ;   in Loop: Header=BB245_13 Depth=1
	v_and_b32_e32 v41, 0xffff, v1
	v_mov_b32_e32 v39, 0x7c010000
	s_mov_b32 s44, exec_lo
	s_delay_alu instid0(VALU_DEP_2) | instskip(NEXT) | instid1(VALU_DEP_1)
	v_and_b32_e32 v43, 0x7f, v41
	v_cmpx_ne_u32_e32 0x7f, v43
	s_cbranch_execz .LBB245_160
; %bb.157:                              ;   in Loop: Header=BB245_13 Depth=1
	v_and_b32_e32 v39, 7, v41
	v_lshrrev_b32_e32 v42, 3, v43
	s_mov_b32 s45, exec_lo
	v_cmpx_gt_u32_e32 8, v43
; %bb.158:                              ;   in Loop: Header=BB245_13 Depth=1
	s_delay_alu instid0(VALU_DEP_3) | instskip(NEXT) | instid1(VALU_DEP_1)
	v_clz_i32_u32_e32 v39, v39
	v_min_u32_e32 v39, 32, v39
	s_delay_alu instid0(VALU_DEP_1) | instskip(NEXT) | instid1(VALU_DEP_1)
	v_subrev_nc_u32_e32 v42, 28, v39
	v_lshlrev_b64_e32 v[43:44], v42, v[1:2]
	v_sub_nc_u32_e32 v42, 29, v39
	s_delay_alu instid0(VALU_DEP_2)
	v_and_b32_e32 v39, 7, v43
; %bb.159:                              ;   in Loop: Header=BB245_13 Depth=1
	s_or_b32 exec_lo, exec_lo, s45
	v_lshlrev_b32_e32 v1, 8, v41
	s_delay_alu instid0(VALU_DEP_3) | instskip(NEXT) | instid1(VALU_DEP_3)
	v_lshl_add_u32 v41, v42, 10, 0x2000
	v_lshlrev_b32_e32 v39, 23, v39
	s_delay_alu instid0(VALU_DEP_2) | instskip(NEXT) | instid1(VALU_DEP_1)
	v_and_or_b32 v1, 0x8000, v1, v41
	v_lshl_or_b32 v39, v1, 16, v39
.LBB245_160:                            ;   in Loop: Header=BB245_13 Depth=1
	s_or_b32 exec_lo, exec_lo, s44
.LBB245_161:                            ;   in Loop: Header=BB245_13 Depth=1
	s_wait_alu 0xfffe
	s_or_b32 exec_lo, exec_lo, s43
.LBB245_162:                            ;   in Loop: Header=BB245_13 Depth=1
	s_wait_alu 0xfffe
	s_or_b32 exec_lo, exec_lo, s42
	global_load_u16 v1, v[7:8], off offset:520
	s_wait_loadcnt 0x0
	v_dual_mov_b32 v7, 0 :: v_dual_and_b32 v8, 0xff, v1
	v_and_b32_e32 v1, 0xffff, v1
	s_delay_alu instid0(VALU_DEP_2)
	v_cmp_ne_u16_e64 s4, 0, v8
	v_mov_b32_e32 v8, 0
	s_and_saveexec_b32 s42, s4
	s_cbranch_execz .LBB245_170
; %bb.163:                              ;   in Loop: Header=BB245_13 Depth=1
	v_and_b32_e32 v8, 0xff, v1
	s_delay_alu instid0(VALU_DEP_1)
	v_cmp_ne_u16_e64 s4, 0x80, v8
	v_mov_b32_e32 v8, 0x8000
	s_and_saveexec_b32 s43, s4
	s_cbranch_execz .LBB245_169
; %bb.164:                              ;   in Loop: Header=BB245_13 Depth=1
	v_and_b32_e32 v42, 0x7f, v1
	v_mov_b32_e32 v8, 0x7c01
	s_mov_b32 s44, exec_lo
	s_delay_alu instid0(VALU_DEP_2)
	v_cmpx_ne_u32_e32 0x7f, v42
	s_cbranch_execz .LBB245_168
; %bb.165:                              ;   in Loop: Header=BB245_13 Depth=1
	v_and_b32_e32 v8, 7, v1
	v_lshrrev_b32_e32 v41, 3, v42
	s_mov_b32 s45, exec_lo
	v_cmpx_gt_u32_e32 8, v42
; %bb.166:                              ;   in Loop: Header=BB245_13 Depth=1
	s_delay_alu instid0(VALU_DEP_3) | instskip(NEXT) | instid1(VALU_DEP_1)
	v_clz_i32_u32_e32 v8, v8
	v_min_u32_e32 v8, 32, v8
	s_delay_alu instid0(VALU_DEP_1) | instskip(NEXT) | instid1(VALU_DEP_1)
	v_subrev_nc_u32_e32 v41, 28, v8
	v_lshlrev_b64_e32 v[42:43], v41, v[1:2]
	v_sub_nc_u32_e32 v41, 29, v8
	s_delay_alu instid0(VALU_DEP_2)
	v_and_b32_e32 v8, 7, v42
; %bb.167:                              ;   in Loop: Header=BB245_13 Depth=1
	s_or_b32 exec_lo, exec_lo, s45
	v_lshlrev_b32_e32 v42, 8, v1
	s_delay_alu instid0(VALU_DEP_3) | instskip(NEXT) | instid1(VALU_DEP_3)
	v_lshl_add_u32 v41, v41, 10, 0x2000
	v_lshlrev_b32_e32 v8, 7, v8
	s_delay_alu instid0(VALU_DEP_3) | instskip(NEXT) | instid1(VALU_DEP_3)
	v_and_b32_e32 v42, 0x8000, v42
	v_and_b32_e32 v41, 0xfc00, v41
	s_delay_alu instid0(VALU_DEP_1)
	v_or3_b32 v8, v42, v41, v8
.LBB245_168:                            ;   in Loop: Header=BB245_13 Depth=1
	s_or_b32 exec_lo, exec_lo, s44
.LBB245_169:                            ;   in Loop: Header=BB245_13 Depth=1
	s_wait_alu 0xfffe
	s_or_b32 exec_lo, exec_lo, s43
.LBB245_170:                            ;   in Loop: Header=BB245_13 Depth=1
	s_wait_alu 0xfffe
	s_or_b32 exec_lo, exec_lo, s42
	v_lshrrev_b16 v1, 8, v1
	s_mov_b32 s42, exec_lo
	s_delay_alu instid0(VALU_DEP_1)
	v_cmpx_ne_u16_e32 0, v1
	s_cbranch_execz .LBB245_178
; %bb.171:                              ;   in Loop: Header=BB245_13 Depth=1
	v_bfrev_b32_e32 v7, 1
	s_mov_b32 s43, exec_lo
	v_cmpx_ne_u16_e32 0x80, v1
	s_cbranch_execz .LBB245_177
; %bb.172:                              ;   in Loop: Header=BB245_13 Depth=1
	v_and_b32_e32 v41, 0xffff, v1
	v_mov_b32_e32 v7, 0x7c010000
	s_mov_b32 s44, exec_lo
	s_delay_alu instid0(VALU_DEP_2) | instskip(NEXT) | instid1(VALU_DEP_1)
	v_and_b32_e32 v43, 0x7f, v41
	v_cmpx_ne_u32_e32 0x7f, v43
	s_cbranch_execz .LBB245_176
; %bb.173:                              ;   in Loop: Header=BB245_13 Depth=1
	v_and_b32_e32 v7, 7, v41
	v_lshrrev_b32_e32 v42, 3, v43
	s_mov_b32 s45, exec_lo
	v_cmpx_gt_u32_e32 8, v43
; %bb.174:                              ;   in Loop: Header=BB245_13 Depth=1
	s_delay_alu instid0(VALU_DEP_3) | instskip(NEXT) | instid1(VALU_DEP_1)
	v_clz_i32_u32_e32 v7, v7
	v_min_u32_e32 v7, 32, v7
	s_delay_alu instid0(VALU_DEP_1) | instskip(NEXT) | instid1(VALU_DEP_1)
	v_subrev_nc_u32_e32 v42, 28, v7
	v_lshlrev_b64_e32 v[43:44], v42, v[1:2]
	v_sub_nc_u32_e32 v42, 29, v7
	s_delay_alu instid0(VALU_DEP_2)
	v_and_b32_e32 v7, 7, v43
; %bb.175:                              ;   in Loop: Header=BB245_13 Depth=1
	s_or_b32 exec_lo, exec_lo, s45
	v_lshlrev_b32_e32 v1, 8, v41
	s_delay_alu instid0(VALU_DEP_3) | instskip(NEXT) | instid1(VALU_DEP_3)
	v_lshl_add_u32 v41, v42, 10, 0x2000
	v_lshlrev_b32_e32 v7, 23, v7
	s_delay_alu instid0(VALU_DEP_2) | instskip(NEXT) | instid1(VALU_DEP_1)
	v_and_or_b32 v1, 0x8000, v1, v41
	v_lshl_or_b32 v7, v1, 16, v7
.LBB245_176:                            ;   in Loop: Header=BB245_13 Depth=1
	s_or_b32 exec_lo, exec_lo, s44
.LBB245_177:                            ;   in Loop: Header=BB245_13 Depth=1
	s_wait_alu 0xfffe
	s_or_b32 exec_lo, exec_lo, s43
.LBB245_178:                            ;   in Loop: Header=BB245_13 Depth=1
	s_wait_alu 0xfffe
	s_or_b32 exec_lo, exec_lo, s42
	ds_load_b32 v1, v16
	v_or_b32_e32 v24, v23, v24
	v_fma_mixlo_f16 v23, v22, v23, 0 op_sel:[0,1,0] op_sel_hi:[0,1,0]
	v_or_b32_e32 v26, v25, v26
	v_fma_mixlo_f16 v25, v22, v25, 0 op_sel:[0,1,0] op_sel_hi:[0,1,0]
	v_or_b32_e32 v28, v27, v28
	v_fma_mixlo_f16 v24, v22, v24, 0 op_sel_hi:[0,1,0]
	v_and_b32_e32 v43, 0xffff, v23
	v_fma_mixlo_f16 v26, v22, v26, 0 op_sel_hi:[0,1,0]
	v_and_b32_e32 v45, 0xffff, v25
	;; [unrolled: 2-line block ×3, first 2 shown]
	v_fma_mixlo_f16 v27, v22, v27, 0 op_sel:[0,1,0] op_sel_hi:[0,1,0]
	v_or_b32_e32 v30, v29, v30
	v_fma_mixlo_f16 v29, v22, v29, 0 op_sel:[0,1,0] op_sel_hi:[0,1,0]
	v_and_b32_e32 v46, 0xffff, v28
	v_or_b32_e32 v32, v31, v32
	v_and_b32_e32 v47, 0xffff, v27
	v_fma_mixlo_f16 v30, v22, v30, 0 op_sel_hi:[0,1,0]
	v_and_b32_e32 v49, 0xffff, v29
	s_wait_dscnt 0x0
	v_and_b32_e32 v41, 0xffff, v1
	v_lshrrev_b32_e32 v42, 16, v1
	;;#ASMSTART
	v_cvt_f32_f16 v1, v41;
	;;#ASMEND
	;;#ASMSTART
	v_cvt_f32_f16 v23, v42;
	;;#ASMEND
	;; [unrolled: 3-line block ×4, first 2 shown]
	ds_load_b32 v42, v16 offset:4
	v_and_b32_e32 v44, 0xffff, v26
	v_fma_mixlo_f16 v32, v22, v32, 0 op_sel_hi:[0,1,0]
	v_fma_mixlo_f16 v31, v22, v31, 0 op_sel:[0,1,0] op_sel_hi:[0,1,0]
	v_or_b32_e32 v34, v33, v34
	v_fma_mixlo_f16 v33, v22, v33, 0 op_sel:[0,1,0] op_sel_hi:[0,1,0]
	v_or_b32_e32 v36, v35, v36
	v_fma_mixlo_f16 v35, v22, v35, 0 op_sel:[0,1,0] op_sel_hi:[0,1,0]
	v_and_b32_e32 v51, 0xffff, v31
	v_fma_mixlo_f16 v34, v22, v34, 0 op_sel_hi:[0,1,0]
	v_and_b32_e32 v53, 0xffff, v33
	v_fma_mixlo_f16 v36, v22, v36, 0 op_sel_hi:[0,1,0]
	v_and_b32_e32 v55, 0xffff, v35
	v_or_b32_e32 v38, v37, v38
	v_fma_mixlo_f16 v37, v22, v37, 0 op_sel:[0,1,0] op_sel_hi:[0,1,0]
	v_or_b32_e32 v40, v39, v40
	v_and_b32_e32 v54, 0xffff, v36
	v_fma_mixlo_f16 v39, v22, v39, 0 op_sel:[0,1,0] op_sel_hi:[0,1,0]
	v_fma_mixlo_f16 v38, v22, v38, 0 op_sel_hi:[0,1,0]
	v_and_b32_e32 v57, 0xffff, v37
	s_wait_dscnt 0x0
	v_and_b32_e32 v43, 0xffff, v42
	v_lshrrev_b32_e32 v42, 16, v42
	;;#ASMSTART
	v_cvt_f32_f16 v25, v43;
	;;#ASMEND
	;;#ASMSTART
	v_cvt_f32_f16 v26, v42;
	;;#ASMEND
	;; [unrolled: 3-line block ×4, first 2 shown]
	ds_load_b32 v44, v16 offset:8
	v_dual_mul_f32 v25, v25, v42 :: v_dual_mul_f32 v26, v26, v43
	v_and_b32_e32 v39, 0xffff, v39
	v_or_b32_e32 v8, v7, v8
	v_fma_mixlo_f16 v7, v22, v7, 0 op_sel:[0,1,0] op_sel_hi:[0,1,0]
	s_delay_alu instid0(VALU_DEP_4) | instskip(SKIP_1) | instid1(VALU_DEP_4)
	v_dual_fmac_f32 v25, v1, v24 :: v_dual_fmac_f32 v26, v23, v41
	v_fma_mixlo_f16 v1, v22, v40, 0 op_sel_hi:[0,1,0]
	v_fma_mixlo_f16 v8, v22, v8, 0 op_sel_hi:[0,1,0]
	s_wait_dscnt 0x0
	v_and_b32_e32 v45, 0xffff, v44
	v_lshrrev_b32_e32 v44, 16, v44
	;;#ASMSTART
	v_cvt_f32_f16 v27, v45;
	;;#ASMEND
	;;#ASMSTART
	v_cvt_f32_f16 v28, v44;
	;;#ASMEND
	;;#ASMSTART
	v_cvt_f32_f16 v44, v46;
	;;#ASMEND
	;;#ASMSTART
	v_cvt_f32_f16 v45, v47;
	;;#ASMEND
	ds_load_b32 v46, v16 offset:12
	v_dual_fmac_f32 v25, v27, v44 :: v_dual_and_b32 v48, 0xffff, v30
	v_fmac_f32_e32 v26, v28, v45
	v_and_b32_e32 v27, 0xffff, v1
	s_wait_dscnt 0x0
	v_and_b32_e32 v47, 0xffff, v46
	v_lshrrev_b32_e32 v46, 16, v46
	;;#ASMSTART
	v_cvt_f32_f16 v29, v47;
	;;#ASMEND
	;;#ASMSTART
	v_cvt_f32_f16 v30, v46;
	;;#ASMEND
	;; [unrolled: 3-line block ×4, first 2 shown]
	ds_load_b32 v48, v16 offset:16
	v_dual_fmac_f32 v25, v29, v46 :: v_dual_and_b32 v50, 0xffff, v32
	v_fmac_f32_e32 v26, v30, v47
	v_xor_b32_e32 v29, 2, v10
	s_delay_alu instid0(VALU_DEP_1)
	v_cmp_gt_i32_e64 s4, 32, v29
	s_wait_dscnt 0x0
	v_and_b32_e32 v49, 0xffff, v48
	v_lshrrev_b32_e32 v48, 16, v48
	;;#ASMSTART
	v_cvt_f32_f16 v31, v49;
	;;#ASMEND
	;;#ASMSTART
	v_cvt_f32_f16 v32, v48;
	;;#ASMEND
	;; [unrolled: 3-line block ×4, first 2 shown]
	ds_load_b32 v50, v16 offset:20
	v_dual_fmac_f32 v25, v31, v48 :: v_dual_and_b32 v52, 0xffff, v34
	s_wait_dscnt 0x0
	v_dual_fmac_f32 v26, v32, v49 :: v_dual_and_b32 v51, 0xffff, v50
	v_lshrrev_b32_e32 v50, 16, v50
	;;#ASMSTART
	v_cvt_f32_f16 v33, v51;
	;;#ASMEND
	;;#ASMSTART
	v_cvt_f32_f16 v34, v50;
	;;#ASMEND
	;;#ASMSTART
	v_cvt_f32_f16 v50, v52;
	;;#ASMEND
	;;#ASMSTART
	v_cvt_f32_f16 v51, v53;
	;;#ASMEND
	ds_load_b32 v52, v16 offset:24
	v_dual_fmac_f32 v25, v33, v50 :: v_dual_fmac_f32 v26, v34, v51
	s_wait_dscnt 0x0
	v_and_b32_e32 v53, 0xffff, v52
	v_lshrrev_b32_e32 v52, 16, v52
	;;#ASMSTART
	v_cvt_f32_f16 v35, v53;
	;;#ASMEND
	;;#ASMSTART
	v_cvt_f32_f16 v36, v52;
	;;#ASMEND
	;; [unrolled: 3-line block ×4, first 2 shown]
	ds_load_b32 v54, v16 offset:28
	v_dual_fmac_f32 v25, v35, v52 :: v_dual_and_b32 v56, 0xffff, v38
	s_wait_dscnt 0x0
	v_dual_fmac_f32 v26, v36, v53 :: v_dual_and_b32 v55, 0xffff, v54
	v_lshrrev_b32_e32 v54, 16, v54
	;;#ASMSTART
	v_cvt_f32_f16 v37, v55;
	;;#ASMEND
	;;#ASMSTART
	v_cvt_f32_f16 v38, v54;
	;;#ASMEND
	;; [unrolled: 3-line block ×4, first 2 shown]
	ds_load_b32 v56, v16 offset:32
	v_dual_fmac_f32 v25, v37, v54 :: v_dual_and_b32 v30, 0xffff, v7
	v_fmac_f32_e32 v26, v38, v55
	s_wait_alu 0xf1ff
	v_cndmask_b32_e64 v7, v10, v29, s4
	v_and_b32_e32 v29, 0xffff, v8
	s_wait_dscnt 0x0
	v_and_b32_e32 v23, 0xffff, v56
	v_lshrrev_b32_e32 v24, 16, v56
	;;#ASMSTART
	v_cvt_f32_f16 v1, v23;
	;;#ASMEND
	;;#ASMSTART
	v_cvt_f32_f16 v23, v24;
	;;#ASMEND
	;; [unrolled: 3-line block ×4, first 2 shown]
	ds_load_b32 v28, v16 offset:36
	v_dual_fmac_f32 v25, v1, v24 :: v_dual_fmac_f32 v26, v23, v27
	s_wait_dscnt 0x0
	v_and_b32_e32 v22, 0xffff, v28
	v_lshrrev_b32_e32 v28, 16, v28
	;;#ASMSTART
	v_cvt_f32_f16 v1, v22;
	;;#ASMEND
	;;#ASMSTART
	v_cvt_f32_f16 v8, v28;
	;;#ASMEND
	;; [unrolled: 3-line block ×4, first 2 shown]
	v_dual_fmac_f32 v25, v1, v22 :: v_dual_fmac_f32 v26, v8, v23
	v_lshlrev_b32_e32 v1, 2, v7
	v_xor_b32_e32 v8, 1, v10
	s_delay_alu instid0(VALU_DEP_3) | instskip(NEXT) | instid1(VALU_DEP_2)
	v_add_f32_e32 v7, v25, v26
	v_cmp_gt_i32_e64 s4, 32, v8
	ds_bpermute_b32 v1, v1, v7
	s_wait_alu 0xf1ff
	v_cndmask_b32_e64 v8, v10, v8, s4
	s_wait_dscnt 0x0
	v_add_f32_e32 v1, v7, v1
	s_delay_alu instid0(VALU_DEP_2)
	v_lshlrev_b32_e32 v7, 2, v8
	ds_bpermute_b32 v7, v7, v1
	s_and_saveexec_b32 s42, s3
	s_cbranch_execz .LBB245_11
; %bb.179:                              ;   in Loop: Header=BB245_13 Depth=1
	s_wait_dscnt 0x0
	v_dual_add_f32 v1, v1, v7 :: v_dual_add_nc_u32 v8, v18, v17
	s_delay_alu instid0(VALU_DEP_1) | instskip(NEXT) | instid1(VALU_DEP_1)
	v_cvt_f32_i32_e32 v8, v8
	v_mul_f32_e32 v8, s30, v8
	s_delay_alu instid0(VALU_DEP_1) | instskip(NEXT) | instid1(VALU_DEP_1)
	v_dual_cndmask_b32 v7, 0, v8 :: v_dual_max_num_f32 v8, v15, v15
	v_fmac_f32_e32 v7, s7, v1
	s_delay_alu instid0(VALU_DEP_1) | instskip(NEXT) | instid1(VALU_DEP_1)
	v_dual_max_num_f32 v8, v8, v7 :: v_dual_add_nc_u32 v1, v14, v17
	v_cmp_gt_i32_e64 s4, s34, v1
	s_wait_alu 0xf1ff
	s_delay_alu instid0(VALU_DEP_1) | instskip(NEXT) | instid1(VALU_DEP_3)
	v_cndmask_b32_e64 v1, 0, v7, s4
	v_cndmask_b32_e64 v15, v15, v8, s4
	ds_store_b32 v19, v1
	s_branch .LBB245_11
.LBB245_180:
	s_or_b32 exec_lo, exec_lo, s40
.LBB245_181:
	s_delay_alu instid0(SALU_CYCLE_1)
	s_or_b32 exec_lo, exec_lo, s6
	v_xor_b32_e32 v1, 16, v10
	v_xor_b32_e32 v3, 8, v10
	;; [unrolled: 1-line block ×3, first 2 shown]
	s_clause 0x2
	s_load_b128 s[4:7], s[0:1], 0x0
	s_load_b64 s[8:9], s[0:1], 0x10
	s_load_b64 s[30:31], s[0:1], 0x28
	v_max_num_f32_e32 v4, v15, v15
	v_cmp_gt_i32_e32 vcc_lo, 32, v1
	s_wait_alu 0xfffd
	v_dual_cndmask_b32 v1, v10, v1 :: v_dual_and_b32 v14, 31, v0
	v_cmp_gt_i32_e32 vcc_lo, 32, v3
	s_wait_alu 0xfffd
	s_delay_alu instid0(VALU_DEP_2)
	v_dual_cndmask_b32 v3, v10, v3 :: v_dual_lshlrev_b32 v2, 2, v1
	v_cmp_gt_i32_e32 vcc_lo, 32, v5
	ds_bpermute_b32 v1, v2, v15
	v_lshlrev_b32_e32 v3, 2, v3
	s_wait_alu 0xfffd
	v_cndmask_b32_e32 v5, v10, v5, vcc_lo
	v_cmp_eq_u32_e32 vcc_lo, 0, v14
	s_wait_dscnt 0x0
	v_max_num_f32_e32 v1, v1, v1
	s_delay_alu instid0(VALU_DEP_1) | instskip(SKIP_3) | instid1(VALU_DEP_1)
	v_max_num_f32_e32 v1, v4, v1
	ds_bpermute_b32 v4, v3, v1
	s_wait_dscnt 0x0
	v_max_num_f32_e32 v4, v4, v4
	v_dual_max_num_f32 v1, v1, v4 :: v_dual_lshlrev_b32 v4, 2, v11
	v_lshlrev_b32_e32 v6, 2, v5
	ds_bpermute_b32 v5, v6, v1
	s_and_saveexec_b32 s0, vcc_lo
	s_cbranch_execz .LBB245_183
; %bb.182:
	s_wait_dscnt 0x0
	v_max_num_f32_e32 v5, v5, v5
	v_max_num_f32_e32 v1, v1, v1
	s_delay_alu instid0(VALU_DEP_1)
	v_max_num_f32_e32 v1, v1, v5
	ds_store_b32 v4, v1 offset:160
.LBB245_183:
	s_or_b32 exec_lo, exec_lo, s0
	v_cmp_gt_u32_e64 s0, 4, v14
	v_mov_b32_e32 v1, 0xff7fffff
	s_wait_dscnt 0x0
	v_lshlrev_b32_e32 v5, 2, v14
	s_wait_loadcnt 0x0
	s_barrier_signal -1
	s_barrier_wait -1
	global_inv scope:SCOPE_SE
	s_and_saveexec_b32 s1, s0
; %bb.184:
	ds_load_b32 v1, v5 offset:160
; %bb.185:
	s_or_b32 exec_lo, exec_lo, s1
	v_xor_b32_e32 v7, 2, v10
	v_xor_b32_e32 v15, 1, v10
	s_delay_alu instid0(VALU_DEP_2) | instskip(NEXT) | instid1(VALU_DEP_1)
	v_cmp_gt_i32_e64 s1, 32, v7
	v_cndmask_b32_e64 v7, v10, v7, s1
	s_delay_alu instid0(VALU_DEP_3) | instskip(NEXT) | instid1(VALU_DEP_2)
	v_cmp_gt_i32_e64 s1, 32, v15
	v_lshlrev_b32_e32 v7, 2, v7
	s_wait_alu 0xf1ff
	s_delay_alu instid0(VALU_DEP_2)
	v_cndmask_b32_e64 v10, v10, v15, s1
	s_sub_co_i32 s1, s23, s39
	s_wait_alu 0xfffe
	s_lshl_b32 s1, s1, 3
	s_wait_dscnt 0x0
	ds_bpermute_b32 v8, v7, v1
	v_max_num_f32_e32 v1, v1, v1
	s_wait_alu 0xfffe
	s_add_co_i32 s1, s1, s36
	s_wait_alu 0xfffe
	s_min_i32 s1, s1, s34
	s_wait_alu 0xfffe
	s_sub_co_i32 s18, s1, s36
	s_wait_alu 0xfffe
	v_cmp_gt_i32_e64 s1, s18, v0
	s_wait_dscnt 0x0
	v_dual_max_num_f32 v15, v8, v8 :: v_dual_lshlrev_b32 v8, 2, v10
	s_delay_alu instid0(VALU_DEP_1) | instskip(SKIP_4) | instid1(VALU_DEP_1)
	v_max_num_f32_e32 v1, v1, v15
	v_lshl_add_u32 v15, v0, 2, 0xc0
	ds_bpermute_b32 v10, v8, v1
	s_wait_dscnt 0x0
	v_max_num_f32_e32 v10, v10, v10
	v_dual_max_num_f32 v1, v1, v10 :: v_dual_mov_b32 v10, 0
	ds_bpermute_b32 v1, v10, v1
	s_and_saveexec_b32 s29, s1
	s_cbranch_execz .LBB245_189
; %bb.186:
	v_lshl_add_u32 v16, v0, 2, 0xc0
	v_dual_mov_b32 v10, 0 :: v_dual_mov_b32 v17, v0
	s_mov_b32 s36, 0
.LBB245_187:                            ; =>This Inner Loop Header: Depth=1
	ds_load_b32 v18, v16
	s_wait_dscnt 0x0
	v_sub_f32_e32 v18, v18, v1
	s_delay_alu instid0(VALU_DEP_1) | instskip(NEXT) | instid1(VALU_DEP_1)
	v_mul_f32_e32 v18, 0x3fb8aa3b, v18
	v_exp_f32_e32 v18, v18
	s_delay_alu instid0(TRANS32_DEP_1) | instskip(NEXT) | instid1(VALU_DEP_1)
	v_dual_add_f32 v10, v10, v18 :: v_dual_add_nc_u32 v17, 0x80, v17
	v_cmp_le_i32_e64 s3, s18, v17
	ds_store_b32 v16, v18
	v_add_nc_u32_e32 v16, 0x200, v16
	s_wait_alu 0xfffe
	s_or_b32 s36, s3, s36
	s_wait_alu 0xfffe
	s_and_not1_b32 exec_lo, exec_lo, s36
	s_cbranch_execnz .LBB245_187
; %bb.188:
	s_or_b32 exec_lo, exec_lo, s36
.LBB245_189:
	s_wait_alu 0xfffe
	s_or_b32 exec_lo, exec_lo, s29
	ds_bpermute_b32 v2, v2, v10
	s_wait_dscnt 0x0
	v_add_f32_e32 v2, v10, v2
	ds_bpermute_b32 v3, v3, v2
	s_wait_dscnt 0x0
	v_add_f32_e32 v2, v2, v3
	;; [unrolled: 3-line block ×5, first 2 shown]
	s_and_saveexec_b32 s3, vcc_lo
; %bb.190:
	ds_store_b32 v4, v2 offset:176
; %bb.191:
	s_wait_alu 0xfffe
	s_or_b32 exec_lo, exec_lo, s3
	s_wait_loadcnt_dscnt 0x0
	s_barrier_signal -1
	s_barrier_wait -1
	global_inv scope:SCOPE_SE
	s_and_saveexec_b32 s3, s0
; %bb.192:
	ds_load_b32 v2, v5 offset:176
; %bb.193:
	s_wait_alu 0xfffe
	s_or_b32 exec_lo, exec_lo, s3
	s_wait_dscnt 0x0
	ds_bpermute_b32 v3, v7, v2
	s_wait_dscnt 0x0
	v_add_f32_e32 v2, v2, v3
	ds_bpermute_b32 v3, v8, v2
	s_wait_dscnt 0x0
	v_dual_add_f32 v2, v2, v3 :: v_dual_mov_b32 v3, 0
	ds_bpermute_b32 v2, v3, v2
	s_and_saveexec_b32 s0, s1
	s_cbranch_execz .LBB245_196
; %bb.194:
	s_wait_dscnt 0x0
	v_add_f32_e32 v4, 0x358637bd, v2
	s_mov_b32 s1, 0
	s_delay_alu instid0(VALU_DEP_1) | instskip(NEXT) | instid1(VALU_DEP_1)
	v_div_scale_f32 v3, null, v4, v4, 1.0
	v_rcp_f32_e32 v5, v3
	s_delay_alu instid0(TRANS32_DEP_1) | instskip(NEXT) | instid1(VALU_DEP_1)
	v_fma_f32 v6, -v3, v5, 1.0
	v_fmac_f32_e32 v5, v6, v5
	v_div_scale_f32 v7, vcc_lo, 1.0, v4, 1.0
	s_delay_alu instid0(VALU_DEP_1) | instskip(NEXT) | instid1(VALU_DEP_1)
	v_mul_f32_e32 v6, v7, v5
	v_fma_f32 v8, -v3, v6, v7
	s_delay_alu instid0(VALU_DEP_1) | instskip(NEXT) | instid1(VALU_DEP_1)
	v_fmac_f32_e32 v6, v8, v5
	v_fma_f32 v3, -v3, v6, v7
	s_wait_alu 0xfffd
	s_delay_alu instid0(VALU_DEP_1) | instskip(SKIP_1) | instid1(VALU_DEP_2)
	v_div_fmas_f32 v5, v3, v5, v6
	v_mov_b32_e32 v3, v15
	v_div_fixup_f32 v4, v5, v4, 1.0
	v_mov_b32_e32 v5, v0
.LBB245_195:                            ; =>This Inner Loop Header: Depth=1
	ds_load_b32 v6, v3
	s_wait_dscnt 0x0
	v_dual_mul_f32 v6, v4, v6 :: v_dual_add_nc_u32 v5, 0x80, v5
	s_delay_alu instid0(VALU_DEP_1)
	v_cmp_le_i32_e32 vcc_lo, s18, v5
	ds_store_b32 v3, v6
	v_add_nc_u32_e32 v3, 0x200, v3
	s_wait_alu 0xfffe
	s_or_b32 s1, vcc_lo, s1
	s_wait_alu 0xfffe
	s_and_not1_b32 exec_lo, exec_lo, s1
	s_cbranch_execnz .LBB245_195
.LBB245_196:
	s_wait_alu 0xfffe
	s_or_b32 exec_lo, exec_lo, s0
	s_mul_i32 s0, s12, s19
	s_wait_loadcnt_dscnt 0x0
	s_wait_alu 0xfffe
	s_mul_i32 s18, s0, s35
	s_mov_b32 s0, exec_lo
	s_barrier_signal -1
	s_barrier_wait -1
	global_inv scope:SCOPE_SE
	v_cmpx_eq_u32_e32 0, v0
	s_cbranch_execz .LBB245_198
; %bb.197:
	s_wait_alu 0xfffe
	s_ashr_i32 s19, s18, 31
	s_mul_i32 s40, s12, ttmp9
	s_lshl_b32 s1, s33, 2
	s_wait_alu 0xfffe
	s_lshl_b64 s[42:43], s[18:19], 2
	s_ashr_i32 s41, s40, 31
	v_mov_b32_e32 v3, s1
	s_wait_kmcnt 0x0
	s_wait_alu 0xfffe
	s_add_nc_u64 s[6:7], s[6:7], s[42:43]
	s_lshl_b64 s[40:41], s[40:41], 2
	s_add_nc_u64 s[4:5], s[4:5], s[42:43]
	s_wait_alu 0xfffe
	s_add_nc_u64 s[6:7], s[6:7], s[40:41]
	s_add_nc_u64 s[4:5], s[4:5], s[40:41]
	s_clause 0x1
	global_store_b32 v3, v1, s[6:7]
	global_store_b32 v3, v2, s[4:5]
.LBB245_198:
	s_wait_alu 0xfffe
	s_or_b32 exec_lo, exec_lo, s0
	v_dual_mov_b32 v18, 0 :: v_dual_mov_b32 v17, 0
	v_or_b32_e32 v19, 64, v14
	v_mov_b32_e32 v16, 0
	s_wait_kmcnt 0x0
	s_and_saveexec_b32 s6, s2
	s_cbranch_execz .LBB245_404
; %bb.199:
	s_abs_i32 s7, s14
	v_dual_mov_b32 v17, 0 :: v_dual_lshlrev_b32 v20, 3, v14
	s_wait_alu 0xfffe
	s_cvt_f32_u32 s0, s7
	v_dual_mov_b32 v2, 0 :: v_dual_lshlrev_b32 v21, 3, v19
	v_lshl_add_u32 v22, v11, 5, 0xc0
	s_wait_alu 0xfffe
	v_rcp_iflag_f32_e32 v1, s0
	s_lshl_b64 s[0:1], s[26:27], 2
	v_mov_b32_e32 v16, 0
	s_wait_alu 0xfffe
	s_add_nc_u64 s[0:1], s[24:25], s[0:1]
	v_mov_b32_e32 v18, 0
	s_wait_alu 0xfffe
	v_add_co_u32 v3, s0, s0, v9
	s_wait_alu 0xf1ff
	v_add_co_ci_u32_e64 v4, null, s1, 0, s0
	s_ashr_i32 s29, s28, 31
	v_readfirstlane_b32 s4, v1
	s_mov_b32 s2, -1
	s_sub_co_i32 s13, s38, s13
	s_mov_b32 s14, s17
	s_mov_b32 s3, 0xffffff
	s_mul_f32 s4, s4, 0x4f7ffffe
	s_add_co_i32 s37, s37, -1
	s_mov_b32 s17, 0
	v_cmp_gt_u32_e32 vcc_lo, 0x50, v19
	s_wait_alu 0xfffe
	s_cvt_u32_f32 s19, s4
	s_sub_co_i32 s4, 0, s7
	s_wait_alu 0xfffe
	s_delay_alu instid0(SALU_CYCLE_1)
	s_mul_i32 s4, s4, s19
	s_wait_alu 0xfffe
	s_mul_hi_u32 s0, s19, s4
	s_add_nc_u64 s[4:5], s[30:31], s[28:29]
	s_wait_alu 0xfffe
	s_add_co_i32 s19, s19, s0
	s_branch .LBB245_203
.LBB245_200:                            ;   in Loop: Header=BB245_203 Depth=1
	s_wait_alu 0xfffe
	s_or_b32 exec_lo, exec_lo, s1
	;;#ASMSTART
	v_pk_mul_f16 v1, v26, v34;

	;;#ASMEND
	;;#ASMSTART
	v_pk_mul_f16 v5, v25, v33;

	;;#ASMEND
	;; [unrolled: 4-line block ×4, first 2 shown]
	;;#ASMSTART
	v_pk_add_f16 v1, v1, v5;

	;;#ASMEND
	;;#ASMSTART
	v_pk_add_f16 v1, v1, v6;

	;;#ASMEND
	;; [unrolled: 4-line block ×3, first 2 shown]
	v_and_b32_e32 v5, 0xffff, v1
	v_lshrrev_b32_e32 v6, 16, v1
	;;#ASMSTART
	v_cvt_f32_f16 v1, v5;
	;;#ASMEND
	;;#ASMSTART
	v_cvt_f32_f16 v5, v6;
	;;#ASMEND
	s_delay_alu instid0(VALU_DEP_2) | instskip(NEXT) | instid1(VALU_DEP_1)
	v_add_f32_e32 v1, v1, v5
	v_add_f32_e32 v16, v16, v1
.LBB245_201:                            ;   in Loop: Header=BB245_203 Depth=1
	s_or_b32 exec_lo, exec_lo, s25
	v_add_f32_e32 v1, v9, v10
	s_delay_alu instid0(VALU_DEP_1) | instskip(NEXT) | instid1(VALU_DEP_1)
	v_dual_add_f32 v5, v7, v8 :: v_dual_add_f32 v18, v18, v1
	v_add_f32_e32 v17, v17, v5
.LBB245_202:                            ;   in Loop: Header=BB245_203 Depth=1
	s_or_b32 exec_lo, exec_lo, s24
	v_add_nc_u32_e32 v13, 4, v13
	v_add_co_u32 v3, s1, v3, 16
	s_wait_alu 0xf1ff
	v_add_co_ci_u32_e64 v4, null, 0, v4, s1
	s_delay_alu instid0(VALU_DEP_3)
	v_cmp_le_i32_e64 s0, s23, v13
	v_add_nc_u32_e32 v12, 32, v12
	v_add_nc_u32_e32 v22, 0x80, v22
	s_or_b32 s17, s0, s17
	s_wait_alu 0xfffe
	s_and_not1_b32 exec_lo, exec_lo, s17
	s_cbranch_execz .LBB245_403
.LBB245_203:                            ; =>This Inner Loop Header: Depth=1
	v_sub_nc_u32_e32 v1, 0, v12
	s_delay_alu instid0(VALU_DEP_1) | instskip(NEXT) | instid1(VALU_DEP_1)
	v_max_i32_e32 v1, v12, v1
	v_mul_hi_u32 v5, v1, s22
	s_delay_alu instid0(VALU_DEP_1) | instskip(NEXT) | instid1(VALU_DEP_1)
	v_mul_lo_u32 v6, v5, s16
	v_sub_nc_u32_e32 v1, v1, v6
	v_add_nc_u32_e32 v6, 1, v5
	s_delay_alu instid0(VALU_DEP_2) | instskip(SKIP_2) | instid1(VALU_DEP_1)
	v_subrev_nc_u32_e32 v7, s16, v1
	v_cmp_le_u32_e64 s0, s16, v1
	s_wait_alu 0xf1ff
	v_cndmask_b32_e64 v5, v5, v6, s0
	s_delay_alu instid0(VALU_DEP_3) | instskip(SKIP_1) | instid1(VALU_DEP_3)
	v_cndmask_b32_e64 v1, v1, v7, s0
	v_ashrrev_i32_e32 v6, 31, v12
	v_add_nc_u32_e32 v7, 1, v5
	s_delay_alu instid0(VALU_DEP_3) | instskip(NEXT) | instid1(VALU_DEP_3)
	v_cmp_le_u32_e64 s0, s16, v1
	v_xor_b32_e32 v6, s15, v6
	s_wait_alu 0xf1ff
	s_delay_alu instid0(VALU_DEP_2) | instskip(NEXT) | instid1(VALU_DEP_1)
	v_cndmask_b32_e64 v1, v5, v7, s0
	v_xor_b32_e32 v1, v1, v6
	s_delay_alu instid0(VALU_DEP_1) | instskip(NEXT) | instid1(VALU_DEP_1)
	v_sub_nc_u32_e32 v1, v1, v6
	v_add_nc_u32_e32 v5, s21, v1
	v_cmp_lt_i32_e64 s1, s13, v1
	s_delay_alu instid0(VALU_DEP_2) | instskip(NEXT) | instid1(VALU_DEP_1)
	v_sub_nc_u32_e32 v6, 0, v5
	v_max_i32_e32 v6, v5, v6
	v_ashrrev_i32_e32 v5, 31, v5
	s_wait_alu 0xfffe
	s_delay_alu instid0(VALU_DEP_2) | instskip(NEXT) | instid1(VALU_DEP_1)
	v_mul_hi_u32 v7, v6, s19
	v_mul_lo_u32 v7, v7, s7
	s_delay_alu instid0(VALU_DEP_1) | instskip(NEXT) | instid1(VALU_DEP_1)
	v_sub_nc_u32_e32 v6, v6, v7
	v_subrev_nc_u32_e32 v7, s7, v6
	v_cmp_le_u32_e64 s0, s7, v6
	s_wait_alu 0xf1ff
	s_delay_alu instid0(VALU_DEP_1) | instskip(NEXT) | instid1(VALU_DEP_1)
	v_cndmask_b32_e64 v6, v6, v7, s0
	v_subrev_nc_u32_e32 v7, s7, v6
	v_cmp_le_u32_e64 s0, s7, v6
	s_wait_alu 0xf1ff
	s_delay_alu instid0(VALU_DEP_1) | instskip(NEXT) | instid1(VALU_DEP_1)
	v_cndmask_b32_e64 v6, v6, v7, s0
	v_xor_b32_e32 v6, v6, v5
	s_delay_alu instid0(VALU_DEP_1) | instskip(NEXT) | instid1(VALU_DEP_1)
	v_sub_nc_u32_e32 v5, v6, v5
	v_cmp_eq_u32_e64 s0, 0, v5
	s_or_b32 s0, s0, s1
	s_wait_alu 0xfffe
	s_and_saveexec_b32 s24, s0
	s_cbranch_execz .LBB245_202
; %bb.204:                              ;   in Loop: Header=BB245_203 Depth=1
	global_load_b32 v1, v[3:4], off
	ds_load_2addr_b64 v[7:10], v22 offset1:1
	ds_load_2addr_b64 v[29:32], v22 offset0:2 offset1:3
	v_mov_b32_e32 v33, 0
	s_mov_b32 s1, exec_lo
	s_wait_dscnt 0x1
	;;#ASMSTART
	v_cvt_f16_f32 v25, v7;

	;;#ASMEND
	;;#ASMSTART
	v_cvt_f16_f32 v23, v8;

	;;#ASMEND
	;; [unrolled: 4-line block ×4, first 2 shown]
	s_wait_dscnt 0x0
	;;#ASMSTART
	v_cvt_f16_f32 v29, v29;

	;;#ASMEND
	;;#ASMSTART
	v_cvt_f16_f32 v27, v30;

	;;#ASMEND
	;; [unrolled: 4-line block ×4, first 2 shown]
	s_wait_loadcnt 0x0
	v_mad_co_i64_i32 v[5:6], null, v1, s14, s[4:5]
	s_delay_alu instid0(VALU_DEP_1) | instskip(SKIP_1) | instid1(VALU_DEP_2)
	v_add_co_u32 v7, s0, v5, v20
	s_wait_alu 0xf1ff
	v_add_co_ci_u32_e64 v8, null, 0, v6, s0
	global_load_b64 v[9:10], v[7:8], off
	s_wait_loadcnt 0x0
	v_dual_mov_b32 v32, 0 :: v_dual_and_b32 v1, 0xff, v9
	global_load_b32 v31, v32, s[10:11]
	v_cmpx_ne_u16_e32 0, v1
	s_cbranch_execz .LBB245_212
; %bb.205:                              ;   in Loop: Header=BB245_203 Depth=1
	v_mov_b32_e32 v33, 0x8000
	s_mov_b32 s25, exec_lo
	v_cmpx_ne_u16_e32 0x80, v1
	s_cbranch_execz .LBB245_211
; %bb.206:                              ;   in Loop: Header=BB245_203 Depth=1
	v_and_b32_e32 v34, 0x7f, v9
	v_mov_b32_e32 v33, 0x7c01
	s_mov_b32 s26, exec_lo
	s_delay_alu instid0(VALU_DEP_2)
	v_cmpx_ne_u32_e32 0x7f, v34
	s_cbranch_execz .LBB245_210
; %bb.207:                              ;   in Loop: Header=BB245_203 Depth=1
	v_and_b32_e32 v1, 7, v9
	v_lshrrev_b32_e32 v33, 3, v34
	s_mov_b32 s27, exec_lo
	v_cmpx_gt_u32_e32 8, v34
; %bb.208:                              ;   in Loop: Header=BB245_203 Depth=1
	s_delay_alu instid0(VALU_DEP_3) | instskip(NEXT) | instid1(VALU_DEP_1)
	v_clz_i32_u32_e32 v1, v1
	v_min_u32_e32 v1, 32, v1
	s_delay_alu instid0(VALU_DEP_1) | instskip(NEXT) | instid1(VALU_DEP_1)
	v_subrev_nc_u32_e32 v33, 28, v1
	v_lshlrev_b64_e32 v[34:35], v33, v[9:10]
	v_sub_nc_u32_e32 v33, 29, v1
	s_delay_alu instid0(VALU_DEP_2)
	v_and_b32_e32 v1, 7, v34
; %bb.209:                              ;   in Loop: Header=BB245_203 Depth=1
	s_or_b32 exec_lo, exec_lo, s27
	v_lshlrev_b32_e32 v34, 8, v9
	s_delay_alu instid0(VALU_DEP_3) | instskip(NEXT) | instid1(VALU_DEP_3)
	v_lshl_add_u32 v33, v33, 10, 0x2000
	v_lshlrev_b32_e32 v1, 7, v1
	s_delay_alu instid0(VALU_DEP_3) | instskip(NEXT) | instid1(VALU_DEP_3)
	v_and_b32_e32 v34, 0x8000, v34
	v_and_b32_e32 v33, 0xfc00, v33
	s_delay_alu instid0(VALU_DEP_1)
	v_or3_b32 v33, v34, v33, v1
.LBB245_210:                            ;   in Loop: Header=BB245_203 Depth=1
	s_or_b32 exec_lo, exec_lo, s26
.LBB245_211:                            ;   in Loop: Header=BB245_203 Depth=1
	s_delay_alu instid0(SALU_CYCLE_1)
	s_or_b32 exec_lo, exec_lo, s25
.LBB245_212:                            ;   in Loop: Header=BB245_203 Depth=1
	s_wait_alu 0xfffe
	s_or_b32 exec_lo, exec_lo, s1
	v_lshrrev_b16 v1, 8, v9
	s_mov_b32 s1, exec_lo
	s_delay_alu instid0(VALU_DEP_1)
	v_cmpx_ne_u16_e32 0, v1
	s_cbranch_execz .LBB245_220
; %bb.213:                              ;   in Loop: Header=BB245_203 Depth=1
	v_bfrev_b32_e32 v32, 1
	s_mov_b32 s25, exec_lo
	v_cmpx_ne_u16_e32 0x80, v1
	s_cbranch_execz .LBB245_219
; %bb.214:                              ;   in Loop: Header=BB245_203 Depth=1
	v_and_b32_e32 v34, 0xffff, v1
	v_mov_b32_e32 v32, 0x7c010000
	s_mov_b32 s26, exec_lo
	s_delay_alu instid0(VALU_DEP_2) | instskip(NEXT) | instid1(VALU_DEP_1)
	v_and_b32_e32 v36, 0x7f, v34
	v_cmpx_ne_u32_e32 0x7f, v36
	s_cbranch_execz .LBB245_218
; %bb.215:                              ;   in Loop: Header=BB245_203 Depth=1
	v_and_b32_e32 v32, 7, v34
	v_lshrrev_b32_e32 v35, 3, v36
	s_mov_b32 s27, exec_lo
	v_cmpx_gt_u32_e32 8, v36
; %bb.216:                              ;   in Loop: Header=BB245_203 Depth=1
	s_delay_alu instid0(VALU_DEP_3) | instskip(NEXT) | instid1(VALU_DEP_1)
	v_clz_i32_u32_e32 v32, v32
	v_min_u32_e32 v32, 32, v32
	s_delay_alu instid0(VALU_DEP_1) | instskip(NEXT) | instid1(VALU_DEP_1)
	v_subrev_nc_u32_e32 v35, 28, v32
	v_lshlrev_b64_e32 v[36:37], v35, v[1:2]
	v_sub_nc_u32_e32 v35, 29, v32
	s_delay_alu instid0(VALU_DEP_2)
	v_and_b32_e32 v32, 7, v36
; %bb.217:                              ;   in Loop: Header=BB245_203 Depth=1
	s_or_b32 exec_lo, exec_lo, s27
	v_lshlrev_b32_e32 v1, 8, v34
	s_delay_alu instid0(VALU_DEP_3) | instskip(NEXT) | instid1(VALU_DEP_3)
	v_lshl_add_u32 v34, v35, 10, 0x2000
	v_lshlrev_b32_e32 v32, 23, v32
	s_delay_alu instid0(VALU_DEP_2) | instskip(NEXT) | instid1(VALU_DEP_1)
	v_and_or_b32 v1, 0x8000, v1, v34
	v_lshl_or_b32 v32, v1, 16, v32
.LBB245_218:                            ;   in Loop: Header=BB245_203 Depth=1
	s_or_b32 exec_lo, exec_lo, s26
.LBB245_219:                            ;   in Loop: Header=BB245_203 Depth=1
	s_delay_alu instid0(SALU_CYCLE_1)
	s_or_b32 exec_lo, exec_lo, s25
.LBB245_220:                            ;   in Loop: Header=BB245_203 Depth=1
	s_wait_alu 0xfffe
	s_or_b32 exec_lo, exec_lo, s1
	v_lshrrev_b32_e32 v1, 16, v9
	v_mov_b32_e32 v34, 0
	s_mov_b32 s1, exec_lo
	s_delay_alu instid0(VALU_DEP_2) | instskip(NEXT) | instid1(VALU_DEP_1)
	v_dual_mov_b32 v35, 0 :: v_dual_and_b32 v36, 0xff, v1
	v_cmpx_ne_u16_e32 0, v36
	s_cbranch_execz .LBB245_228
; %bb.221:                              ;   in Loop: Header=BB245_203 Depth=1
	v_mov_b32_e32 v35, 0x8000
	s_mov_b32 s25, exec_lo
	v_cmpx_ne_u16_e32 0x80, v36
	s_cbranch_execz .LBB245_227
; %bb.222:                              ;   in Loop: Header=BB245_203 Depth=1
	v_bfe_u32 v37, v9, 16, 7
	v_mov_b32_e32 v35, 0x7c01
	s_mov_b32 s26, exec_lo
	s_delay_alu instid0(VALU_DEP_2)
	v_cmpx_ne_u32_e32 0x7f, v37
	s_cbranch_execz .LBB245_226
; %bb.223:                              ;   in Loop: Header=BB245_203 Depth=1
	v_and_b32_e32 v35, 7, v1
	v_lshrrev_b32_e32 v36, 3, v37
	s_mov_b32 s27, exec_lo
	v_cmpx_gt_u32_e32 8, v37
; %bb.224:                              ;   in Loop: Header=BB245_203 Depth=1
	s_delay_alu instid0(VALU_DEP_3) | instskip(NEXT) | instid1(VALU_DEP_1)
	v_clz_i32_u32_e32 v35, v35
	v_min_u32_e32 v37, 32, v35
	s_delay_alu instid0(VALU_DEP_1) | instskip(NEXT) | instid1(VALU_DEP_1)
	v_subrev_nc_u32_e32 v35, 28, v37
	v_lshlrev_b64_e32 v[35:36], v35, v[1:2]
	v_sub_nc_u32_e32 v36, 29, v37
	s_delay_alu instid0(VALU_DEP_2)
	v_and_b32_e32 v35, 7, v35
; %bb.225:                              ;   in Loop: Header=BB245_203 Depth=1
	s_or_b32 exec_lo, exec_lo, s27
	v_lshlrev_b32_e32 v1, 8, v1
	s_delay_alu instid0(VALU_DEP_3) | instskip(NEXT) | instid1(VALU_DEP_3)
	v_lshl_add_u32 v36, v36, 10, 0x2000
	v_lshlrev_b32_e32 v35, 7, v35
	s_delay_alu instid0(VALU_DEP_3) | instskip(NEXT) | instid1(VALU_DEP_3)
	v_and_b32_e32 v1, 0x8000, v1
	v_and_b32_e32 v36, 0xfc00, v36
	s_delay_alu instid0(VALU_DEP_1)
	v_or3_b32 v35, v1, v36, v35
.LBB245_226:                            ;   in Loop: Header=BB245_203 Depth=1
	s_or_b32 exec_lo, exec_lo, s26
.LBB245_227:                            ;   in Loop: Header=BB245_203 Depth=1
	s_delay_alu instid0(SALU_CYCLE_1)
	s_or_b32 exec_lo, exec_lo, s25
.LBB245_228:                            ;   in Loop: Header=BB245_203 Depth=1
	s_wait_alu 0xfffe
	s_or_b32 exec_lo, exec_lo, s1
	s_delay_alu instid0(SALU_CYCLE_1)
	s_mov_b32 s1, exec_lo
	v_cmpx_lt_u32_e32 0xffffff, v9
	s_cbranch_execz .LBB245_236
; %bb.229:                              ;   in Loop: Header=BB245_203 Depth=1
	v_lshrrev_b32_e32 v1, 24, v9
	v_bfrev_b32_e32 v34, 1
	s_mov_b32 s25, exec_lo
	s_delay_alu instid0(VALU_DEP_2)
	v_cmpx_ne_u32_e32 0x80, v1
	s_cbranch_execz .LBB245_235
; %bb.230:                              ;   in Loop: Header=BB245_203 Depth=1
	v_and_b32_e32 v37, 0x7f, v1
	v_mov_b32_e32 v34, 0x7c010000
	s_mov_b32 s26, exec_lo
	s_delay_alu instid0(VALU_DEP_2)
	v_cmpx_ne_u32_e32 0x7f, v37
	s_cbranch_execz .LBB245_234
; %bb.231:                              ;   in Loop: Header=BB245_203 Depth=1
	v_and_b32_e32 v34, 7, v1
	v_lshrrev_b32_e32 v36, 3, v37
	s_mov_b32 s27, exec_lo
	v_cmpx_gt_u32_e32 8, v37
; %bb.232:                              ;   in Loop: Header=BB245_203 Depth=1
	s_delay_alu instid0(VALU_DEP_3) | instskip(NEXT) | instid1(VALU_DEP_1)
	v_clz_i32_u32_e32 v34, v34
	v_min_u32_e32 v34, 32, v34
	s_delay_alu instid0(VALU_DEP_1) | instskip(NEXT) | instid1(VALU_DEP_1)
	v_subrev_nc_u32_e32 v36, 28, v34
	v_lshlrev_b64_e32 v[37:38], v36, v[1:2]
	v_sub_nc_u32_e32 v36, 29, v34
	s_delay_alu instid0(VALU_DEP_2)
	v_and_b32_e32 v34, 7, v37
; %bb.233:                              ;   in Loop: Header=BB245_203 Depth=1
	s_or_b32 exec_lo, exec_lo, s27
	v_lshlrev_b32_e32 v1, 8, v1
	s_delay_alu instid0(VALU_DEP_3) | instskip(NEXT) | instid1(VALU_DEP_3)
	v_lshl_add_u32 v36, v36, 10, 0x2000
	v_lshlrev_b32_e32 v34, 23, v34
	s_delay_alu instid0(VALU_DEP_2) | instskip(NEXT) | instid1(VALU_DEP_1)
	v_and_or_b32 v1, 0x8000, v1, v36
	v_lshl_or_b32 v34, v1, 16, v34
.LBB245_234:                            ;   in Loop: Header=BB245_203 Depth=1
	s_or_b32 exec_lo, exec_lo, s26
.LBB245_235:                            ;   in Loop: Header=BB245_203 Depth=1
	s_delay_alu instid0(SALU_CYCLE_1)
	s_or_b32 exec_lo, exec_lo, s25
.LBB245_236:                            ;   in Loop: Header=BB245_203 Depth=1
	s_wait_alu 0xfffe
	s_or_b32 exec_lo, exec_lo, s1
	v_dual_mov_b32 v1, v10 :: v_dual_and_b32 v38, 0xff, v10
	v_dual_mov_b32 v36, 0 :: v_dual_mov_b32 v37, 0
	s_mov_b32 s1, exec_lo
	s_delay_alu instid0(VALU_DEP_2)
	v_cmpx_ne_u16_e32 0, v38
	s_cbranch_execz .LBB245_244
; %bb.237:                              ;   in Loop: Header=BB245_203 Depth=1
	v_mov_b32_e32 v37, 0x8000
	s_mov_b32 s25, exec_lo
	v_cmpx_ne_u16_e32 0x80, v38
	s_cbranch_execz .LBB245_243
; %bb.238:                              ;   in Loop: Header=BB245_203 Depth=1
	v_and_b32_e32 v39, 0x7f, v10
	v_mov_b32_e32 v37, 0x7c01
	s_mov_b32 s26, exec_lo
	s_delay_alu instid0(VALU_DEP_2)
	v_cmpx_ne_u32_e32 0x7f, v39
	s_cbranch_execz .LBB245_242
; %bb.239:                              ;   in Loop: Header=BB245_203 Depth=1
	v_and_b32_e32 v37, 7, v10
	v_lshrrev_b32_e32 v38, 3, v39
	s_mov_b32 s27, exec_lo
	v_cmpx_gt_u32_e32 8, v39
; %bb.240:                              ;   in Loop: Header=BB245_203 Depth=1
	s_delay_alu instid0(VALU_DEP_3) | instskip(NEXT) | instid1(VALU_DEP_1)
	v_clz_i32_u32_e32 v37, v37
	v_min_u32_e32 v39, 32, v37
	s_delay_alu instid0(VALU_DEP_1) | instskip(NEXT) | instid1(VALU_DEP_1)
	v_subrev_nc_u32_e32 v37, 28, v39
	v_lshlrev_b64_e32 v[37:38], v37, v[1:2]
	v_sub_nc_u32_e32 v38, 29, v39
	s_delay_alu instid0(VALU_DEP_2)
	v_and_b32_e32 v37, 7, v37
; %bb.241:                              ;   in Loop: Header=BB245_203 Depth=1
	s_or_b32 exec_lo, exec_lo, s27
	v_lshlrev_b32_e32 v39, 8, v10
	s_delay_alu instid0(VALU_DEP_3) | instskip(NEXT) | instid1(VALU_DEP_3)
	v_lshl_add_u32 v38, v38, 10, 0x2000
	v_lshlrev_b32_e32 v37, 7, v37
	s_delay_alu instid0(VALU_DEP_3) | instskip(NEXT) | instid1(VALU_DEP_3)
	v_and_b32_e32 v39, 0x8000, v39
	v_and_b32_e32 v38, 0xfc00, v38
	s_delay_alu instid0(VALU_DEP_1)
	v_or3_b32 v37, v39, v38, v37
.LBB245_242:                            ;   in Loop: Header=BB245_203 Depth=1
	s_or_b32 exec_lo, exec_lo, s26
.LBB245_243:                            ;   in Loop: Header=BB245_203 Depth=1
	s_delay_alu instid0(SALU_CYCLE_1)
	s_or_b32 exec_lo, exec_lo, s25
.LBB245_244:                            ;   in Loop: Header=BB245_203 Depth=1
	s_wait_alu 0xfffe
	s_or_b32 exec_lo, exec_lo, s1
	v_lshrrev_b16 v1, 8, v1
	v_mov_b32_e32 v38, 0
	s_mov_b32 s1, exec_lo
	s_delay_alu instid0(VALU_DEP_2)
	v_cmpx_ne_u16_e32 0, v1
	s_cbranch_execz .LBB245_252
; %bb.245:                              ;   in Loop: Header=BB245_203 Depth=1
	v_bfrev_b32_e32 v38, 1
	s_mov_b32 s25, exec_lo
	v_cmpx_ne_u16_e32 0x80, v1
	s_cbranch_execz .LBB245_251
; %bb.246:                              ;   in Loop: Header=BB245_203 Depth=1
	v_and_b32_e32 v39, 0xffff, v1
	v_mov_b32_e32 v38, 0x7c010000
	s_mov_b32 s26, exec_lo
	s_delay_alu instid0(VALU_DEP_2) | instskip(NEXT) | instid1(VALU_DEP_1)
	v_and_b32_e32 v41, 0x7f, v39
	v_cmpx_ne_u32_e32 0x7f, v41
	s_cbranch_execz .LBB245_250
; %bb.247:                              ;   in Loop: Header=BB245_203 Depth=1
	v_and_b32_e32 v38, 7, v39
	v_lshrrev_b32_e32 v40, 3, v41
	s_mov_b32 s27, exec_lo
	v_cmpx_gt_u32_e32 8, v41
; %bb.248:                              ;   in Loop: Header=BB245_203 Depth=1
	s_delay_alu instid0(VALU_DEP_3) | instskip(NEXT) | instid1(VALU_DEP_1)
	v_clz_i32_u32_e32 v38, v38
	v_min_u32_e32 v38, 32, v38
	s_delay_alu instid0(VALU_DEP_1) | instskip(NEXT) | instid1(VALU_DEP_1)
	v_subrev_nc_u32_e32 v40, 28, v38
	v_lshlrev_b64_e32 v[41:42], v40, v[1:2]
	v_sub_nc_u32_e32 v40, 29, v38
	s_delay_alu instid0(VALU_DEP_2)
	v_and_b32_e32 v38, 7, v41
; %bb.249:                              ;   in Loop: Header=BB245_203 Depth=1
	s_or_b32 exec_lo, exec_lo, s27
	v_lshlrev_b32_e32 v1, 8, v39
	s_delay_alu instid0(VALU_DEP_3) | instskip(NEXT) | instid1(VALU_DEP_3)
	v_lshl_add_u32 v39, v40, 10, 0x2000
	v_lshlrev_b32_e32 v38, 23, v38
	s_delay_alu instid0(VALU_DEP_2) | instskip(NEXT) | instid1(VALU_DEP_1)
	v_and_or_b32 v1, 0x8000, v1, v39
	v_lshl_or_b32 v38, v1, 16, v38
.LBB245_250:                            ;   in Loop: Header=BB245_203 Depth=1
	s_or_b32 exec_lo, exec_lo, s26
.LBB245_251:                            ;   in Loop: Header=BB245_203 Depth=1
	s_delay_alu instid0(SALU_CYCLE_1)
	s_or_b32 exec_lo, exec_lo, s25
.LBB245_252:                            ;   in Loop: Header=BB245_203 Depth=1
	s_wait_alu 0xfffe
	s_or_b32 exec_lo, exec_lo, s1
	v_lshrrev_b32_e32 v1, 16, v10
	s_mov_b32 s1, exec_lo
	s_delay_alu instid0(VALU_DEP_1) | instskip(NEXT) | instid1(VALU_DEP_1)
	v_and_b32_e32 v39, 0xff, v1
	v_cmpx_ne_u16_e32 0, v39
	s_cbranch_execz .LBB245_260
; %bb.253:                              ;   in Loop: Header=BB245_203 Depth=1
	v_mov_b32_e32 v36, 0x8000
	s_mov_b32 s25, exec_lo
	v_cmpx_ne_u16_e32 0x80, v39
	s_cbranch_execz .LBB245_259
; %bb.254:                              ;   in Loop: Header=BB245_203 Depth=1
	v_bfe_u32 v40, v10, 16, 7
	v_mov_b32_e32 v36, 0x7c01
	s_mov_b32 s26, exec_lo
	s_delay_alu instid0(VALU_DEP_2)
	v_cmpx_ne_u32_e32 0x7f, v40
	s_cbranch_execz .LBB245_258
; %bb.255:                              ;   in Loop: Header=BB245_203 Depth=1
	v_and_b32_e32 v36, 7, v1
	v_lshrrev_b32_e32 v39, 3, v40
	s_mov_b32 s27, exec_lo
	v_cmpx_gt_u32_e32 8, v40
; %bb.256:                              ;   in Loop: Header=BB245_203 Depth=1
	s_delay_alu instid0(VALU_DEP_3) | instskip(NEXT) | instid1(VALU_DEP_1)
	v_clz_i32_u32_e32 v36, v36
	v_min_u32_e32 v36, 32, v36
	s_delay_alu instid0(VALU_DEP_1) | instskip(NEXT) | instid1(VALU_DEP_1)
	v_subrev_nc_u32_e32 v39, 28, v36
	v_lshlrev_b64_e32 v[40:41], v39, v[1:2]
	v_sub_nc_u32_e32 v39, 29, v36
	s_delay_alu instid0(VALU_DEP_2)
	v_and_b32_e32 v36, 7, v40
; %bb.257:                              ;   in Loop: Header=BB245_203 Depth=1
	s_or_b32 exec_lo, exec_lo, s27
	v_lshlrev_b32_e32 v1, 8, v1
	s_delay_alu instid0(VALU_DEP_3) | instskip(NEXT) | instid1(VALU_DEP_3)
	v_lshl_add_u32 v39, v39, 10, 0x2000
	v_lshlrev_b32_e32 v36, 7, v36
	s_delay_alu instid0(VALU_DEP_3) | instskip(NEXT) | instid1(VALU_DEP_3)
	v_and_b32_e32 v1, 0x8000, v1
	v_and_b32_e32 v39, 0xfc00, v39
	s_delay_alu instid0(VALU_DEP_1)
	v_or3_b32 v36, v1, v39, v36
.LBB245_258:                            ;   in Loop: Header=BB245_203 Depth=1
	s_or_b32 exec_lo, exec_lo, s26
.LBB245_259:                            ;   in Loop: Header=BB245_203 Depth=1
	s_delay_alu instid0(SALU_CYCLE_1)
	s_or_b32 exec_lo, exec_lo, s25
.LBB245_260:                            ;   in Loop: Header=BB245_203 Depth=1
	s_wait_alu 0xfffe
	s_or_b32 exec_lo, exec_lo, s1
	v_cmp_lt_u64_e64 s0, s[2:3], v[9:10]
	v_mov_b32_e32 v9, 0
	s_and_saveexec_b32 s1, s0
	s_cbranch_execz .LBB245_268
; %bb.261:                              ;   in Loop: Header=BB245_203 Depth=1
	v_lshrrev_b32_e32 v1, 24, v10
	v_bfrev_b32_e32 v9, 1
	s_mov_b32 s25, exec_lo
	s_delay_alu instid0(VALU_DEP_2)
	v_cmpx_ne_u32_e32 0x80, v1
	s_cbranch_execz .LBB245_267
; %bb.262:                              ;   in Loop: Header=BB245_203 Depth=1
	v_and_b32_e32 v39, 0x7f, v1
	v_mov_b32_e32 v9, 0x7c010000
	s_mov_b32 s26, exec_lo
	s_delay_alu instid0(VALU_DEP_2)
	v_cmpx_ne_u32_e32 0x7f, v39
	s_cbranch_execz .LBB245_266
; %bb.263:                              ;   in Loop: Header=BB245_203 Depth=1
	v_and_b32_e32 v9, 7, v1
	v_lshrrev_b32_e32 v10, 3, v39
	s_mov_b32 s27, exec_lo
	v_cmpx_gt_u32_e32 8, v39
; %bb.264:                              ;   in Loop: Header=BB245_203 Depth=1
	s_delay_alu instid0(VALU_DEP_3) | instskip(NEXT) | instid1(VALU_DEP_1)
	v_clz_i32_u32_e32 v9, v9
	v_min_u32_e32 v39, 32, v9
	s_delay_alu instid0(VALU_DEP_1) | instskip(NEXT) | instid1(VALU_DEP_1)
	v_subrev_nc_u32_e32 v9, 28, v39
	v_lshlrev_b64_e32 v[9:10], v9, v[1:2]
	v_sub_nc_u32_e32 v10, 29, v39
	s_delay_alu instid0(VALU_DEP_2)
	v_and_b32_e32 v9, 7, v9
; %bb.265:                              ;   in Loop: Header=BB245_203 Depth=1
	s_or_b32 exec_lo, exec_lo, s27
	v_lshlrev_b32_e32 v1, 8, v1
	s_delay_alu instid0(VALU_DEP_3) | instskip(NEXT) | instid1(VALU_DEP_3)
	v_lshl_add_u32 v10, v10, 10, 0x2000
	v_lshlrev_b32_e32 v9, 23, v9
	s_delay_alu instid0(VALU_DEP_2) | instskip(NEXT) | instid1(VALU_DEP_1)
	v_and_or_b32 v1, 0x8000, v1, v10
	v_lshl_or_b32 v9, v1, 16, v9
.LBB245_266:                            ;   in Loop: Header=BB245_203 Depth=1
	s_or_b32 exec_lo, exec_lo, s26
.LBB245_267:                            ;   in Loop: Header=BB245_203 Depth=1
	s_delay_alu instid0(SALU_CYCLE_1)
	s_or_b32 exec_lo, exec_lo, s25
.LBB245_268:                            ;   in Loop: Header=BB245_203 Depth=1
	s_wait_alu 0xfffe
	s_or_b32 exec_lo, exec_lo, s1
	v_or_b32_e32 v1, v34, v35
	s_wait_loadcnt 0x0
	v_fma_mixlo_f16 v10, v31, v34, 0 op_sel:[0,1,0] op_sel_hi:[0,1,0]
	v_or_b32_e32 v33, v32, v33
	v_or_b32_e32 v35, v38, v37
	;; [unrolled: 1-line block ×3, first 2 shown]
	v_fma_mixlo_f16 v1, v31, v1, 0 op_sel_hi:[0,1,0]
	v_fma_mixlo_f16 v34, v31, v32, 0 op_sel:[0,1,0] op_sel_hi:[0,1,0]
	v_lshlrev_b32_e32 v32, 16, v10
	v_fma_mixlo_f16 v10, v31, v33, 0 op_sel_hi:[0,1,0]
	v_fma_mixlo_f16 v35, v31, v35, 0 op_sel_hi:[0,1,0]
	v_and_b32_e32 v33, 0xffff, v1
	v_fma_mixlo_f16 v1, v31, v38, 0 op_sel:[0,1,0] op_sel_hi:[0,1,0]
	v_fma_mixlo_f16 v37, v31, v9, 0 op_sel:[0,1,0] op_sel_hi:[0,1,0]
	v_fma_mixlo_f16 v36, v31, v36, 0 op_sel_hi:[0,1,0]
	v_lshlrev_b32_e32 v34, 16, v34
	v_and_b32_e32 v39, 0xffff, v10
	v_lshlrev_b32_e32 v9, 16, v1
	v_and_b32_e32 v31, 0xffff, v35
	;; [unrolled: 2-line block ×3, first 2 shown]
	v_cmp_eq_u32_e64 s0, s37, v13
	v_or_b32_e32 v35, v32, v33
	v_or_b32_e32 v36, v34, v39
	;; [unrolled: 1-line block ×4, first 2 shown]
	s_and_saveexec_b32 s25, s0
	s_cbranch_execz .LBB245_270
; %bb.269:                              ;   in Loop: Header=BB245_203 Depth=1
	v_add_nc_u32_e32 v35, 1, v12
	v_cmp_gt_i32_e64 s1, s34, v12
	v_add_nc_u32_e32 v36, 2, v12
	v_add_nc_u32_e32 v38, 3, v12
	s_wait_alu 0xf1ff
	s_delay_alu instid0(VALU_DEP_3) | instskip(SKIP_3) | instid1(VALU_DEP_2)
	v_cndmask_b32_e64 v37, 0, v39, s1
	v_cmp_gt_i32_e64 s1, s34, v35
	v_add_nc_u32_e32 v35, 4, v12
	s_wait_alu 0xf1ff
	v_cndmask_b32_e64 v34, 0, v34, s1
	v_cmp_gt_i32_e64 s1, s34, v36
	v_add_nc_u32_e32 v36, 5, v12
	s_wait_alu 0xf1ff
	s_delay_alu instid0(VALU_DEP_2) | instskip(SKIP_3) | instid1(VALU_DEP_2)
	v_cndmask_b32_e64 v33, 0, v33, s1
	v_cmp_gt_i32_e64 s1, s34, v38
	v_add_nc_u32_e32 v38, 6, v12
	s_wait_alu 0xf1ff
	v_cndmask_b32_e64 v32, 0, v32, s1
	v_cmp_gt_i32_e64 s1, s34, v35
	v_add_nc_u32_e32 v35, 7, v12
	s_wait_alu 0xf1ff
	s_delay_alu instid0(VALU_DEP_2) | instskip(SKIP_3) | instid1(VALU_DEP_2)
	v_cndmask_b32_e64 v31, 0, v31, s1
	v_cmp_gt_i32_e64 s1, s34, v36
	v_or_b32_e32 v36, v34, v37
	s_wait_alu 0xf1ff
	v_cndmask_b32_e64 v9, 0, v9, s1
	v_cmp_gt_i32_e64 s1, s34, v38
	s_delay_alu instid0(VALU_DEP_2) | instskip(SKIP_1) | instid1(VALU_DEP_2)
	v_or_b32_e32 v37, v9, v31
	s_wait_alu 0xf1ff
	v_cndmask_b32_e64 v10, 0, v10, s1
	v_cmp_gt_i32_e64 s1, s34, v35
	v_or_b32_e32 v35, v32, v33
	s_wait_alu 0xf1ff
	s_delay_alu instid0(VALU_DEP_2) | instskip(NEXT) | instid1(VALU_DEP_1)
	v_cndmask_b32_e64 v1, 0, v1, s1
	v_or_b32_e32 v38, v1, v10
.LBB245_270:                            ;   in Loop: Header=BB245_203 Depth=1
	s_or_b32 exec_lo, exec_lo, s25
	v_and_b32_e32 v1, 0xffff, v25
	v_and_b32_e32 v9, 0xffff, v26
	;; [unrolled: 1-line block ×4, first 2 shown]
	s_mov_b32 s25, exec_lo
	v_lshl_or_b32 v26, v23, 16, v1
	;;#ASMSTART
	v_pk_mul_f16 v1, v26, v36;

	;;#ASMEND
	v_lshl_or_b32 v25, v24, 16, v9
	v_lshl_or_b32 v23, v28, 16, v29
	;;#ASMSTART
	v_pk_mul_f16 v9, v25, v35;

	;;#ASMEND
	v_mov_b32_e32 v29, 0
	v_lshl_or_b32 v24, v27, 16, v10
	;;#ASMSTART
	v_pk_mul_f16 v10, v24, v37;

	;;#ASMEND
	;;#ASMSTART
	v_pk_mul_f16 v27, v23, v38;

	;;#ASMEND
	;;#ASMSTART
	v_pk_add_f16 v1, v1, v9;

	;;#ASMEND
	;;#ASMSTART
	v_pk_add_f16 v1, v1, v10;
	;; [unrolled: 4-line block ×3, first 2 shown]

	;;#ASMEND
	v_and_b32_e32 v9, 0xffff, v1
	v_lshrrev_b32_e32 v1, 16, v1
	;;#ASMSTART
	v_cvt_f32_f16 v9, v9;
	;;#ASMEND
	;;#ASMSTART
	v_cvt_f32_f16 v10, v1;
	;;#ASMEND
	global_load_b64 v[7:8], v[7:8], off offset:256
	v_mov_b32_e32 v28, 0
	global_load_b32 v27, v28, s[10:11]
	s_wait_loadcnt 0x1
	v_and_b32_e32 v1, 0xff, v7
	s_delay_alu instid0(VALU_DEP_1)
	v_cmpx_ne_u16_e32 0, v1
	s_cbranch_execz .LBB245_278
; %bb.271:                              ;   in Loop: Header=BB245_203 Depth=1
	v_mov_b32_e32 v29, 0x8000
	s_mov_b32 s26, exec_lo
	v_cmpx_ne_u16_e32 0x80, v1
	s_cbranch_execz .LBB245_277
; %bb.272:                              ;   in Loop: Header=BB245_203 Depth=1
	v_and_b32_e32 v30, 0x7f, v7
	v_mov_b32_e32 v29, 0x7c01
	s_mov_b32 s27, exec_lo
	s_delay_alu instid0(VALU_DEP_2)
	v_cmpx_ne_u32_e32 0x7f, v30
	s_cbranch_execz .LBB245_276
; %bb.273:                              ;   in Loop: Header=BB245_203 Depth=1
	v_and_b32_e32 v1, 7, v7
	v_lshrrev_b32_e32 v29, 3, v30
	s_mov_b32 s28, exec_lo
	v_cmpx_gt_u32_e32 8, v30
; %bb.274:                              ;   in Loop: Header=BB245_203 Depth=1
	s_delay_alu instid0(VALU_DEP_3) | instskip(NEXT) | instid1(VALU_DEP_1)
	v_clz_i32_u32_e32 v1, v1
	v_min_u32_e32 v1, 32, v1
	s_delay_alu instid0(VALU_DEP_1) | instskip(NEXT) | instid1(VALU_DEP_1)
	v_subrev_nc_u32_e32 v29, 28, v1
	v_lshlrev_b64_e32 v[30:31], v29, v[7:8]
	v_sub_nc_u32_e32 v29, 29, v1
	s_delay_alu instid0(VALU_DEP_2)
	v_and_b32_e32 v1, 7, v30
; %bb.275:                              ;   in Loop: Header=BB245_203 Depth=1
	s_wait_alu 0xfffe
	s_or_b32 exec_lo, exec_lo, s28
	v_lshlrev_b32_e32 v30, 8, v7
	v_lshl_add_u32 v29, v29, 10, 0x2000
	v_lshlrev_b32_e32 v1, 7, v1
	s_delay_alu instid0(VALU_DEP_3) | instskip(NEXT) | instid1(VALU_DEP_3)
	v_and_b32_e32 v30, 0x8000, v30
	v_and_b32_e32 v29, 0xfc00, v29
	s_delay_alu instid0(VALU_DEP_1)
	v_or3_b32 v29, v30, v29, v1
.LBB245_276:                            ;   in Loop: Header=BB245_203 Depth=1
	s_or_b32 exec_lo, exec_lo, s27
.LBB245_277:                            ;   in Loop: Header=BB245_203 Depth=1
	s_delay_alu instid0(SALU_CYCLE_1)
	s_or_b32 exec_lo, exec_lo, s26
.LBB245_278:                            ;   in Loop: Header=BB245_203 Depth=1
	s_delay_alu instid0(SALU_CYCLE_1) | instskip(SKIP_2) | instid1(VALU_DEP_1)
	s_or_b32 exec_lo, exec_lo, s25
	v_lshrrev_b16 v1, 8, v7
	s_mov_b32 s25, exec_lo
	v_cmpx_ne_u16_e32 0, v1
	s_cbranch_execz .LBB245_286
; %bb.279:                              ;   in Loop: Header=BB245_203 Depth=1
	v_bfrev_b32_e32 v28, 1
	s_mov_b32 s26, exec_lo
	v_cmpx_ne_u16_e32 0x80, v1
	s_cbranch_execz .LBB245_285
; %bb.280:                              ;   in Loop: Header=BB245_203 Depth=1
	v_and_b32_e32 v30, 0xffff, v1
	v_mov_b32_e32 v28, 0x7c010000
	s_mov_b32 s27, exec_lo
	s_delay_alu instid0(VALU_DEP_2) | instskip(NEXT) | instid1(VALU_DEP_1)
	v_and_b32_e32 v32, 0x7f, v30
	v_cmpx_ne_u32_e32 0x7f, v32
	s_cbranch_execz .LBB245_284
; %bb.281:                              ;   in Loop: Header=BB245_203 Depth=1
	v_and_b32_e32 v28, 7, v30
	v_lshrrev_b32_e32 v31, 3, v32
	s_mov_b32 s28, exec_lo
	v_cmpx_gt_u32_e32 8, v32
; %bb.282:                              ;   in Loop: Header=BB245_203 Depth=1
	s_delay_alu instid0(VALU_DEP_3) | instskip(NEXT) | instid1(VALU_DEP_1)
	v_clz_i32_u32_e32 v28, v28
	v_min_u32_e32 v28, 32, v28
	s_delay_alu instid0(VALU_DEP_1) | instskip(NEXT) | instid1(VALU_DEP_1)
	v_subrev_nc_u32_e32 v31, 28, v28
	v_lshlrev_b64_e32 v[32:33], v31, v[1:2]
	v_sub_nc_u32_e32 v31, 29, v28
	s_delay_alu instid0(VALU_DEP_2)
	v_and_b32_e32 v28, 7, v32
; %bb.283:                              ;   in Loop: Header=BB245_203 Depth=1
	s_wait_alu 0xfffe
	s_or_b32 exec_lo, exec_lo, s28
	v_lshlrev_b32_e32 v1, 8, v30
	v_lshl_add_u32 v30, v31, 10, 0x2000
	v_lshlrev_b32_e32 v28, 23, v28
	s_delay_alu instid0(VALU_DEP_2) | instskip(NEXT) | instid1(VALU_DEP_1)
	v_and_or_b32 v1, 0x8000, v1, v30
	v_lshl_or_b32 v28, v1, 16, v28
.LBB245_284:                            ;   in Loop: Header=BB245_203 Depth=1
	s_or_b32 exec_lo, exec_lo, s27
.LBB245_285:                            ;   in Loop: Header=BB245_203 Depth=1
	s_delay_alu instid0(SALU_CYCLE_1)
	s_or_b32 exec_lo, exec_lo, s26
.LBB245_286:                            ;   in Loop: Header=BB245_203 Depth=1
	s_delay_alu instid0(SALU_CYCLE_1) | instskip(SKIP_3) | instid1(VALU_DEP_2)
	s_or_b32 exec_lo, exec_lo, s25
	v_lshrrev_b32_e32 v1, 16, v7
	v_mov_b32_e32 v30, 0
	s_mov_b32 s25, exec_lo
	v_dual_mov_b32 v31, 0 :: v_dual_and_b32 v32, 0xff, v1
	s_delay_alu instid0(VALU_DEP_1)
	v_cmpx_ne_u16_e32 0, v32
	s_cbranch_execz .LBB245_294
; %bb.287:                              ;   in Loop: Header=BB245_203 Depth=1
	v_mov_b32_e32 v31, 0x8000
	s_mov_b32 s26, exec_lo
	v_cmpx_ne_u16_e32 0x80, v32
	s_cbranch_execz .LBB245_293
; %bb.288:                              ;   in Loop: Header=BB245_203 Depth=1
	v_bfe_u32 v33, v7, 16, 7
	v_mov_b32_e32 v31, 0x7c01
	s_mov_b32 s27, exec_lo
	s_delay_alu instid0(VALU_DEP_2)
	v_cmpx_ne_u32_e32 0x7f, v33
	s_cbranch_execz .LBB245_292
; %bb.289:                              ;   in Loop: Header=BB245_203 Depth=1
	v_and_b32_e32 v31, 7, v1
	v_lshrrev_b32_e32 v32, 3, v33
	s_mov_b32 s28, exec_lo
	v_cmpx_gt_u32_e32 8, v33
; %bb.290:                              ;   in Loop: Header=BB245_203 Depth=1
	s_delay_alu instid0(VALU_DEP_3) | instskip(NEXT) | instid1(VALU_DEP_1)
	v_clz_i32_u32_e32 v31, v31
	v_min_u32_e32 v33, 32, v31
	s_delay_alu instid0(VALU_DEP_1) | instskip(NEXT) | instid1(VALU_DEP_1)
	v_subrev_nc_u32_e32 v31, 28, v33
	v_lshlrev_b64_e32 v[31:32], v31, v[1:2]
	v_sub_nc_u32_e32 v32, 29, v33
	s_delay_alu instid0(VALU_DEP_2)
	v_and_b32_e32 v31, 7, v31
; %bb.291:                              ;   in Loop: Header=BB245_203 Depth=1
	s_wait_alu 0xfffe
	s_or_b32 exec_lo, exec_lo, s28
	v_lshlrev_b32_e32 v1, 8, v1
	v_lshl_add_u32 v32, v32, 10, 0x2000
	v_lshlrev_b32_e32 v31, 7, v31
	s_delay_alu instid0(VALU_DEP_3) | instskip(NEXT) | instid1(VALU_DEP_3)
	v_and_b32_e32 v1, 0x8000, v1
	v_and_b32_e32 v32, 0xfc00, v32
	s_delay_alu instid0(VALU_DEP_1)
	v_or3_b32 v31, v1, v32, v31
.LBB245_292:                            ;   in Loop: Header=BB245_203 Depth=1
	s_or_b32 exec_lo, exec_lo, s27
.LBB245_293:                            ;   in Loop: Header=BB245_203 Depth=1
	s_delay_alu instid0(SALU_CYCLE_1)
	s_or_b32 exec_lo, exec_lo, s26
.LBB245_294:                            ;   in Loop: Header=BB245_203 Depth=1
	s_delay_alu instid0(SALU_CYCLE_1) | instskip(NEXT) | instid1(SALU_CYCLE_1)
	s_or_b32 exec_lo, exec_lo, s25
	s_mov_b32 s25, exec_lo
	v_cmpx_lt_u32_e32 0xffffff, v7
	s_cbranch_execz .LBB245_302
; %bb.295:                              ;   in Loop: Header=BB245_203 Depth=1
	v_lshrrev_b32_e32 v1, 24, v7
	v_bfrev_b32_e32 v30, 1
	s_mov_b32 s26, exec_lo
	s_delay_alu instid0(VALU_DEP_2)
	v_cmpx_ne_u32_e32 0x80, v1
	s_cbranch_execz .LBB245_301
; %bb.296:                              ;   in Loop: Header=BB245_203 Depth=1
	v_and_b32_e32 v33, 0x7f, v1
	v_mov_b32_e32 v30, 0x7c010000
	s_mov_b32 s27, exec_lo
	s_delay_alu instid0(VALU_DEP_2)
	v_cmpx_ne_u32_e32 0x7f, v33
	s_cbranch_execz .LBB245_300
; %bb.297:                              ;   in Loop: Header=BB245_203 Depth=1
	v_and_b32_e32 v30, 7, v1
	v_lshrrev_b32_e32 v32, 3, v33
	s_mov_b32 s28, exec_lo
	v_cmpx_gt_u32_e32 8, v33
; %bb.298:                              ;   in Loop: Header=BB245_203 Depth=1
	s_delay_alu instid0(VALU_DEP_3) | instskip(NEXT) | instid1(VALU_DEP_1)
	v_clz_i32_u32_e32 v30, v30
	v_min_u32_e32 v30, 32, v30
	s_delay_alu instid0(VALU_DEP_1) | instskip(NEXT) | instid1(VALU_DEP_1)
	v_subrev_nc_u32_e32 v32, 28, v30
	v_lshlrev_b64_e32 v[33:34], v32, v[1:2]
	v_sub_nc_u32_e32 v32, 29, v30
	s_delay_alu instid0(VALU_DEP_2)
	v_and_b32_e32 v30, 7, v33
; %bb.299:                              ;   in Loop: Header=BB245_203 Depth=1
	s_wait_alu 0xfffe
	s_or_b32 exec_lo, exec_lo, s28
	v_lshlrev_b32_e32 v1, 8, v1
	v_lshl_add_u32 v32, v32, 10, 0x2000
	v_lshlrev_b32_e32 v30, 23, v30
	s_delay_alu instid0(VALU_DEP_2) | instskip(NEXT) | instid1(VALU_DEP_1)
	v_and_or_b32 v1, 0x8000, v1, v32
	v_lshl_or_b32 v30, v1, 16, v30
.LBB245_300:                            ;   in Loop: Header=BB245_203 Depth=1
	s_or_b32 exec_lo, exec_lo, s27
.LBB245_301:                            ;   in Loop: Header=BB245_203 Depth=1
	s_delay_alu instid0(SALU_CYCLE_1)
	s_or_b32 exec_lo, exec_lo, s26
.LBB245_302:                            ;   in Loop: Header=BB245_203 Depth=1
	s_delay_alu instid0(SALU_CYCLE_1) | instskip(SKIP_3) | instid1(VALU_DEP_2)
	s_or_b32 exec_lo, exec_lo, s25
	v_dual_mov_b32 v1, v8 :: v_dual_and_b32 v34, 0xff, v8
	v_dual_mov_b32 v32, 0 :: v_dual_mov_b32 v33, 0
	s_mov_b32 s25, exec_lo
	v_cmpx_ne_u16_e32 0, v34
	s_cbranch_execz .LBB245_310
; %bb.303:                              ;   in Loop: Header=BB245_203 Depth=1
	v_mov_b32_e32 v33, 0x8000
	s_mov_b32 s26, exec_lo
	v_cmpx_ne_u16_e32 0x80, v34
	s_cbranch_execz .LBB245_309
; %bb.304:                              ;   in Loop: Header=BB245_203 Depth=1
	v_and_b32_e32 v35, 0x7f, v8
	v_mov_b32_e32 v33, 0x7c01
	s_mov_b32 s27, exec_lo
	s_delay_alu instid0(VALU_DEP_2)
	v_cmpx_ne_u32_e32 0x7f, v35
	s_cbranch_execz .LBB245_308
; %bb.305:                              ;   in Loop: Header=BB245_203 Depth=1
	v_and_b32_e32 v33, 7, v8
	v_lshrrev_b32_e32 v34, 3, v35
	s_mov_b32 s28, exec_lo
	v_cmpx_gt_u32_e32 8, v35
; %bb.306:                              ;   in Loop: Header=BB245_203 Depth=1
	s_delay_alu instid0(VALU_DEP_3) | instskip(NEXT) | instid1(VALU_DEP_1)
	v_clz_i32_u32_e32 v33, v33
	v_min_u32_e32 v35, 32, v33
	s_delay_alu instid0(VALU_DEP_1) | instskip(NEXT) | instid1(VALU_DEP_1)
	v_subrev_nc_u32_e32 v33, 28, v35
	v_lshlrev_b64_e32 v[33:34], v33, v[1:2]
	v_sub_nc_u32_e32 v34, 29, v35
	s_delay_alu instid0(VALU_DEP_2)
	v_and_b32_e32 v33, 7, v33
; %bb.307:                              ;   in Loop: Header=BB245_203 Depth=1
	s_wait_alu 0xfffe
	s_or_b32 exec_lo, exec_lo, s28
	v_lshlrev_b32_e32 v35, 8, v8
	v_lshl_add_u32 v34, v34, 10, 0x2000
	v_lshlrev_b32_e32 v33, 7, v33
	s_delay_alu instid0(VALU_DEP_3) | instskip(NEXT) | instid1(VALU_DEP_3)
	v_and_b32_e32 v35, 0x8000, v35
	v_and_b32_e32 v34, 0xfc00, v34
	s_delay_alu instid0(VALU_DEP_1)
	v_or3_b32 v33, v35, v34, v33
.LBB245_308:                            ;   in Loop: Header=BB245_203 Depth=1
	s_or_b32 exec_lo, exec_lo, s27
.LBB245_309:                            ;   in Loop: Header=BB245_203 Depth=1
	s_delay_alu instid0(SALU_CYCLE_1)
	s_or_b32 exec_lo, exec_lo, s26
.LBB245_310:                            ;   in Loop: Header=BB245_203 Depth=1
	s_delay_alu instid0(SALU_CYCLE_1) | instskip(SKIP_3) | instid1(VALU_DEP_2)
	s_or_b32 exec_lo, exec_lo, s25
	v_lshrrev_b16 v1, 8, v1
	v_mov_b32_e32 v34, 0
	s_mov_b32 s25, exec_lo
	v_cmpx_ne_u16_e32 0, v1
	s_cbranch_execz .LBB245_318
; %bb.311:                              ;   in Loop: Header=BB245_203 Depth=1
	v_bfrev_b32_e32 v34, 1
	s_mov_b32 s26, exec_lo
	v_cmpx_ne_u16_e32 0x80, v1
	s_cbranch_execz .LBB245_317
; %bb.312:                              ;   in Loop: Header=BB245_203 Depth=1
	v_and_b32_e32 v35, 0xffff, v1
	v_mov_b32_e32 v34, 0x7c010000
	s_mov_b32 s27, exec_lo
	s_delay_alu instid0(VALU_DEP_2) | instskip(NEXT) | instid1(VALU_DEP_1)
	v_and_b32_e32 v37, 0x7f, v35
	v_cmpx_ne_u32_e32 0x7f, v37
	s_cbranch_execz .LBB245_316
; %bb.313:                              ;   in Loop: Header=BB245_203 Depth=1
	v_and_b32_e32 v34, 7, v35
	v_lshrrev_b32_e32 v36, 3, v37
	s_mov_b32 s28, exec_lo
	v_cmpx_gt_u32_e32 8, v37
; %bb.314:                              ;   in Loop: Header=BB245_203 Depth=1
	s_delay_alu instid0(VALU_DEP_3) | instskip(NEXT) | instid1(VALU_DEP_1)
	v_clz_i32_u32_e32 v34, v34
	v_min_u32_e32 v34, 32, v34
	s_delay_alu instid0(VALU_DEP_1) | instskip(NEXT) | instid1(VALU_DEP_1)
	v_subrev_nc_u32_e32 v36, 28, v34
	v_lshlrev_b64_e32 v[37:38], v36, v[1:2]
	v_sub_nc_u32_e32 v36, 29, v34
	s_delay_alu instid0(VALU_DEP_2)
	v_and_b32_e32 v34, 7, v37
; %bb.315:                              ;   in Loop: Header=BB245_203 Depth=1
	s_wait_alu 0xfffe
	s_or_b32 exec_lo, exec_lo, s28
	v_lshlrev_b32_e32 v1, 8, v35
	v_lshl_add_u32 v35, v36, 10, 0x2000
	v_lshlrev_b32_e32 v34, 23, v34
	s_delay_alu instid0(VALU_DEP_2) | instskip(NEXT) | instid1(VALU_DEP_1)
	v_and_or_b32 v1, 0x8000, v1, v35
	v_lshl_or_b32 v34, v1, 16, v34
.LBB245_316:                            ;   in Loop: Header=BB245_203 Depth=1
	s_or_b32 exec_lo, exec_lo, s27
.LBB245_317:                            ;   in Loop: Header=BB245_203 Depth=1
	s_delay_alu instid0(SALU_CYCLE_1)
	s_or_b32 exec_lo, exec_lo, s26
.LBB245_318:                            ;   in Loop: Header=BB245_203 Depth=1
	s_delay_alu instid0(SALU_CYCLE_1) | instskip(SKIP_2) | instid1(VALU_DEP_1)
	s_or_b32 exec_lo, exec_lo, s25
	v_lshrrev_b32_e32 v1, 16, v8
	s_mov_b32 s25, exec_lo
	v_and_b32_e32 v35, 0xff, v1
	s_delay_alu instid0(VALU_DEP_1)
	v_cmpx_ne_u16_e32 0, v35
	s_cbranch_execz .LBB245_326
; %bb.319:                              ;   in Loop: Header=BB245_203 Depth=1
	v_mov_b32_e32 v32, 0x8000
	s_mov_b32 s26, exec_lo
	v_cmpx_ne_u16_e32 0x80, v35
	s_cbranch_execz .LBB245_325
; %bb.320:                              ;   in Loop: Header=BB245_203 Depth=1
	v_bfe_u32 v36, v8, 16, 7
	v_mov_b32_e32 v32, 0x7c01
	s_mov_b32 s27, exec_lo
	s_delay_alu instid0(VALU_DEP_2)
	v_cmpx_ne_u32_e32 0x7f, v36
	s_cbranch_execz .LBB245_324
; %bb.321:                              ;   in Loop: Header=BB245_203 Depth=1
	v_and_b32_e32 v32, 7, v1
	v_lshrrev_b32_e32 v35, 3, v36
	s_mov_b32 s28, exec_lo
	v_cmpx_gt_u32_e32 8, v36
; %bb.322:                              ;   in Loop: Header=BB245_203 Depth=1
	s_delay_alu instid0(VALU_DEP_3) | instskip(NEXT) | instid1(VALU_DEP_1)
	v_clz_i32_u32_e32 v32, v32
	v_min_u32_e32 v32, 32, v32
	s_delay_alu instid0(VALU_DEP_1) | instskip(NEXT) | instid1(VALU_DEP_1)
	v_subrev_nc_u32_e32 v35, 28, v32
	v_lshlrev_b64_e32 v[36:37], v35, v[1:2]
	v_sub_nc_u32_e32 v35, 29, v32
	s_delay_alu instid0(VALU_DEP_2)
	v_and_b32_e32 v32, 7, v36
; %bb.323:                              ;   in Loop: Header=BB245_203 Depth=1
	s_wait_alu 0xfffe
	s_or_b32 exec_lo, exec_lo, s28
	v_lshlrev_b32_e32 v1, 8, v1
	v_lshl_add_u32 v35, v35, 10, 0x2000
	v_lshlrev_b32_e32 v32, 7, v32
	s_delay_alu instid0(VALU_DEP_3) | instskip(NEXT) | instid1(VALU_DEP_3)
	v_and_b32_e32 v1, 0x8000, v1
	v_and_b32_e32 v35, 0xfc00, v35
	s_delay_alu instid0(VALU_DEP_1)
	v_or3_b32 v32, v1, v35, v32
.LBB245_324:                            ;   in Loop: Header=BB245_203 Depth=1
	s_or_b32 exec_lo, exec_lo, s27
.LBB245_325:                            ;   in Loop: Header=BB245_203 Depth=1
	s_delay_alu instid0(SALU_CYCLE_1)
	s_or_b32 exec_lo, exec_lo, s26
.LBB245_326:                            ;   in Loop: Header=BB245_203 Depth=1
	s_delay_alu instid0(SALU_CYCLE_1)
	s_or_b32 exec_lo, exec_lo, s25
	v_cmp_lt_u64_e64 s1, s[2:3], v[7:8]
	v_mov_b32_e32 v7, 0
	s_and_saveexec_b32 s25, s1
	s_cbranch_execz .LBB245_334
; %bb.327:                              ;   in Loop: Header=BB245_203 Depth=1
	v_lshrrev_b32_e32 v1, 24, v8
	v_bfrev_b32_e32 v7, 1
	s_mov_b32 s26, exec_lo
	s_delay_alu instid0(VALU_DEP_2)
	v_cmpx_ne_u32_e32 0x80, v1
	s_cbranch_execz .LBB245_333
; %bb.328:                              ;   in Loop: Header=BB245_203 Depth=1
	v_and_b32_e32 v35, 0x7f, v1
	v_mov_b32_e32 v7, 0x7c010000
	s_mov_b32 s27, exec_lo
	s_delay_alu instid0(VALU_DEP_2)
	v_cmpx_ne_u32_e32 0x7f, v35
	s_cbranch_execz .LBB245_332
; %bb.329:                              ;   in Loop: Header=BB245_203 Depth=1
	v_and_b32_e32 v7, 7, v1
	v_lshrrev_b32_e32 v8, 3, v35
	s_mov_b32 s28, exec_lo
	v_cmpx_gt_u32_e32 8, v35
; %bb.330:                              ;   in Loop: Header=BB245_203 Depth=1
	s_delay_alu instid0(VALU_DEP_3) | instskip(NEXT) | instid1(VALU_DEP_1)
	v_clz_i32_u32_e32 v7, v7
	v_min_u32_e32 v35, 32, v7
	s_delay_alu instid0(VALU_DEP_1) | instskip(NEXT) | instid1(VALU_DEP_1)
	v_subrev_nc_u32_e32 v7, 28, v35
	v_lshlrev_b64_e32 v[7:8], v7, v[1:2]
	v_sub_nc_u32_e32 v8, 29, v35
	s_delay_alu instid0(VALU_DEP_2)
	v_and_b32_e32 v7, 7, v7
; %bb.331:                              ;   in Loop: Header=BB245_203 Depth=1
	s_wait_alu 0xfffe
	s_or_b32 exec_lo, exec_lo, s28
	v_lshlrev_b32_e32 v1, 8, v1
	v_lshl_add_u32 v8, v8, 10, 0x2000
	v_lshlrev_b32_e32 v7, 23, v7
	s_delay_alu instid0(VALU_DEP_2) | instskip(NEXT) | instid1(VALU_DEP_1)
	v_and_or_b32 v1, 0x8000, v1, v8
	v_lshl_or_b32 v7, v1, 16, v7
.LBB245_332:                            ;   in Loop: Header=BB245_203 Depth=1
	s_or_b32 exec_lo, exec_lo, s27
.LBB245_333:                            ;   in Loop: Header=BB245_203 Depth=1
	s_delay_alu instid0(SALU_CYCLE_1)
	s_or_b32 exec_lo, exec_lo, s26
.LBB245_334:                            ;   in Loop: Header=BB245_203 Depth=1
	s_delay_alu instid0(SALU_CYCLE_1)
	s_or_b32 exec_lo, exec_lo, s25
	v_or_b32_e32 v1, v30, v31
	s_wait_loadcnt 0x0
	v_fma_mixlo_f16 v8, v27, v30, 0 op_sel:[0,1,0] op_sel_hi:[0,1,0]
	v_or_b32_e32 v29, v28, v29
	v_or_b32_e32 v31, v34, v33
	v_or_b32_e32 v32, v7, v32
	v_fma_mixlo_f16 v1, v27, v1, 0 op_sel_hi:[0,1,0]
	v_fma_mixlo_f16 v30, v27, v28, 0 op_sel:[0,1,0] op_sel_hi:[0,1,0]
	v_lshlrev_b32_e32 v28, 16, v8
	v_fma_mixlo_f16 v8, v27, v29, 0 op_sel_hi:[0,1,0]
	v_fma_mixlo_f16 v31, v27, v31, 0 op_sel_hi:[0,1,0]
	v_and_b32_e32 v29, 0xffff, v1
	v_fma_mixlo_f16 v1, v27, v34, 0 op_sel:[0,1,0] op_sel_hi:[0,1,0]
	v_fma_mixlo_f16 v33, v27, v7, 0 op_sel:[0,1,0] op_sel_hi:[0,1,0]
	v_fma_mixlo_f16 v32, v27, v32, 0 op_sel_hi:[0,1,0]
	v_lshlrev_b32_e32 v30, 16, v30
	v_and_b32_e32 v34, 0xffff, v8
	v_lshlrev_b32_e32 v7, 16, v1
	v_and_b32_e32 v27, 0xffff, v31
	;; [unrolled: 2-line block ×3, first 2 shown]
	v_or_b32_e32 v31, v28, v29
	v_or_b32_e32 v35, v30, v34
	;; [unrolled: 1-line block ×3, first 2 shown]
	s_delay_alu instid0(VALU_DEP_4)
	v_or_b32_e32 v32, v1, v8
	s_and_saveexec_b32 s25, s0
	s_cbranch_execz .LBB245_336
; %bb.335:                              ;   in Loop: Header=BB245_203 Depth=1
	v_add_nc_u32_e32 v31, 1, v12
	v_cmp_gt_i32_e64 s1, s34, v12
	v_add_nc_u32_e32 v32, 2, v12
	s_wait_alu 0xf1ff
	s_delay_alu instid0(VALU_DEP_2) | instskip(SKIP_4) | instid1(VALU_DEP_3)
	v_cndmask_b32_e64 v33, 0, v34, s1
	v_cmp_gt_i32_e64 s1, s34, v31
	v_add_nc_u32_e32 v34, 3, v12
	v_add_nc_u32_e32 v31, 4, v12
	s_wait_alu 0xf1ff
	v_cndmask_b32_e64 v30, 0, v30, s1
	v_cmp_gt_i32_e64 s1, s34, v32
	v_add_nc_u32_e32 v32, 5, v12
	s_delay_alu instid0(VALU_DEP_3) | instskip(SKIP_1) | instid1(VALU_DEP_3)
	v_or_b32_e32 v35, v30, v33
	s_wait_alu 0xf1ff
	v_cndmask_b32_e64 v29, 0, v29, s1
	v_cmp_gt_i32_e64 s1, s34, v34
	v_add_nc_u32_e32 v34, 6, v12
	s_wait_alu 0xf1ff
	s_delay_alu instid0(VALU_DEP_2) | instskip(SKIP_3) | instid1(VALU_DEP_2)
	v_cndmask_b32_e64 v28, 0, v28, s1
	v_cmp_gt_i32_e64 s1, s34, v31
	v_add_nc_u32_e32 v31, 7, v12
	s_wait_alu 0xf1ff
	v_cndmask_b32_e64 v27, 0, v27, s1
	v_cmp_gt_i32_e64 s1, s34, v32
	s_wait_alu 0xf1ff
	s_delay_alu instid0(VALU_DEP_1) | instskip(SKIP_1) | instid1(VALU_DEP_2)
	v_cndmask_b32_e64 v7, 0, v7, s1
	v_cmp_gt_i32_e64 s1, s34, v34
	v_or_b32_e32 v33, v7, v27
	s_wait_alu 0xf1ff
	s_delay_alu instid0(VALU_DEP_2) | instskip(SKIP_3) | instid1(VALU_DEP_2)
	v_cndmask_b32_e64 v8, 0, v8, s1
	v_cmp_gt_i32_e64 s1, s34, v31
	v_or_b32_e32 v31, v28, v29
	s_wait_alu 0xf1ff
	v_cndmask_b32_e64 v1, 0, v1, s1
	s_delay_alu instid0(VALU_DEP_1)
	v_or_b32_e32 v32, v1, v8
.LBB245_336:                            ;   in Loop: Header=BB245_203 Depth=1
	s_or_b32 exec_lo, exec_lo, s25
	;;#ASMSTART
	v_pk_mul_f16 v1, v26, v35;

	;;#ASMEND
	;;#ASMSTART
	v_pk_mul_f16 v7, v25, v31;

	;;#ASMEND
	;; [unrolled: 4-line block ×4, first 2 shown]
	;;#ASMSTART
	v_pk_add_f16 v1, v1, v7;

	;;#ASMEND
	;;#ASMSTART
	v_pk_add_f16 v1, v1, v8;

	;;#ASMEND
	;; [unrolled: 4-line block ×3, first 2 shown]
	v_and_b32_e32 v7, 0xffff, v1
	v_lshrrev_b32_e32 v1, 16, v1
	;;#ASMSTART
	v_cvt_f32_f16 v7, v7;
	;;#ASMEND
	;;#ASMSTART
	v_cvt_f32_f16 v8, v1;
	;;#ASMEND
	s_and_saveexec_b32 s25, vcc_lo
	s_cbranch_execz .LBB245_201
; %bb.337:                              ;   in Loop: Header=BB245_203 Depth=1
	v_add_co_u32 v5, s1, v5, v21
	s_wait_alu 0xf1ff
	v_add_co_ci_u32_e64 v6, null, 0, v6, s1
	v_mov_b32_e32 v29, 0
	s_mov_b32 s26, exec_lo
	global_load_b64 v[5:6], v[5:6], off
	s_wait_loadcnt 0x0
	v_dual_mov_b32 v28, 0 :: v_dual_and_b32 v1, 0xff, v5
	global_load_b32 v27, v28, s[10:11]
	v_cmpx_ne_u16_e32 0, v1
	s_cbranch_execz .LBB245_345
; %bb.338:                              ;   in Loop: Header=BB245_203 Depth=1
	v_mov_b32_e32 v29, 0x8000
	s_mov_b32 s27, exec_lo
	v_cmpx_ne_u16_e32 0x80, v1
	s_cbranch_execz .LBB245_344
; %bb.339:                              ;   in Loop: Header=BB245_203 Depth=1
	v_and_b32_e32 v30, 0x7f, v5
	v_mov_b32_e32 v29, 0x7c01
	s_mov_b32 s28, exec_lo
	s_delay_alu instid0(VALU_DEP_2)
	v_cmpx_ne_u32_e32 0x7f, v30
	s_cbranch_execz .LBB245_343
; %bb.340:                              ;   in Loop: Header=BB245_203 Depth=1
	v_and_b32_e32 v1, 7, v5
	v_lshrrev_b32_e32 v29, 3, v30
	s_mov_b32 s29, exec_lo
	v_cmpx_gt_u32_e32 8, v30
; %bb.341:                              ;   in Loop: Header=BB245_203 Depth=1
	s_delay_alu instid0(VALU_DEP_3) | instskip(NEXT) | instid1(VALU_DEP_1)
	v_clz_i32_u32_e32 v1, v1
	v_min_u32_e32 v1, 32, v1
	s_delay_alu instid0(VALU_DEP_1) | instskip(NEXT) | instid1(VALU_DEP_1)
	v_subrev_nc_u32_e32 v29, 28, v1
	v_lshlrev_b64_e32 v[30:31], v29, v[5:6]
	v_sub_nc_u32_e32 v29, 29, v1
	s_delay_alu instid0(VALU_DEP_2)
	v_and_b32_e32 v1, 7, v30
; %bb.342:                              ;   in Loop: Header=BB245_203 Depth=1
	s_wait_alu 0xfffe
	s_or_b32 exec_lo, exec_lo, s29
	v_lshlrev_b32_e32 v30, 8, v5
	v_lshl_add_u32 v29, v29, 10, 0x2000
	v_lshlrev_b32_e32 v1, 7, v1
	s_delay_alu instid0(VALU_DEP_3) | instskip(NEXT) | instid1(VALU_DEP_3)
	v_and_b32_e32 v30, 0x8000, v30
	v_and_b32_e32 v29, 0xfc00, v29
	s_delay_alu instid0(VALU_DEP_1)
	v_or3_b32 v29, v30, v29, v1
.LBB245_343:                            ;   in Loop: Header=BB245_203 Depth=1
	s_wait_alu 0xfffe
	s_or_b32 exec_lo, exec_lo, s28
.LBB245_344:                            ;   in Loop: Header=BB245_203 Depth=1
	s_delay_alu instid0(SALU_CYCLE_1)
	s_or_b32 exec_lo, exec_lo, s27
.LBB245_345:                            ;   in Loop: Header=BB245_203 Depth=1
	s_delay_alu instid0(SALU_CYCLE_1) | instskip(SKIP_2) | instid1(VALU_DEP_1)
	s_or_b32 exec_lo, exec_lo, s26
	v_lshrrev_b16 v1, 8, v5
	s_mov_b32 s26, exec_lo
	v_cmpx_ne_u16_e32 0, v1
	s_cbranch_execz .LBB245_353
; %bb.346:                              ;   in Loop: Header=BB245_203 Depth=1
	v_bfrev_b32_e32 v28, 1
	s_mov_b32 s27, exec_lo
	v_cmpx_ne_u16_e32 0x80, v1
	s_cbranch_execz .LBB245_352
; %bb.347:                              ;   in Loop: Header=BB245_203 Depth=1
	v_and_b32_e32 v30, 0xffff, v1
	v_mov_b32_e32 v28, 0x7c010000
	s_mov_b32 s28, exec_lo
	s_delay_alu instid0(VALU_DEP_2) | instskip(NEXT) | instid1(VALU_DEP_1)
	v_and_b32_e32 v32, 0x7f, v30
	v_cmpx_ne_u32_e32 0x7f, v32
	s_cbranch_execz .LBB245_351
; %bb.348:                              ;   in Loop: Header=BB245_203 Depth=1
	v_and_b32_e32 v28, 7, v30
	v_lshrrev_b32_e32 v31, 3, v32
	s_mov_b32 s29, exec_lo
	v_cmpx_gt_u32_e32 8, v32
; %bb.349:                              ;   in Loop: Header=BB245_203 Depth=1
	s_delay_alu instid0(VALU_DEP_3) | instskip(NEXT) | instid1(VALU_DEP_1)
	v_clz_i32_u32_e32 v28, v28
	v_min_u32_e32 v28, 32, v28
	s_delay_alu instid0(VALU_DEP_1) | instskip(NEXT) | instid1(VALU_DEP_1)
	v_subrev_nc_u32_e32 v31, 28, v28
	v_lshlrev_b64_e32 v[32:33], v31, v[1:2]
	v_sub_nc_u32_e32 v31, 29, v28
	s_delay_alu instid0(VALU_DEP_2)
	v_and_b32_e32 v28, 7, v32
; %bb.350:                              ;   in Loop: Header=BB245_203 Depth=1
	s_wait_alu 0xfffe
	s_or_b32 exec_lo, exec_lo, s29
	v_lshlrev_b32_e32 v1, 8, v30
	v_lshl_add_u32 v30, v31, 10, 0x2000
	v_lshlrev_b32_e32 v28, 23, v28
	s_delay_alu instid0(VALU_DEP_2) | instskip(NEXT) | instid1(VALU_DEP_1)
	v_and_or_b32 v1, 0x8000, v1, v30
	v_lshl_or_b32 v28, v1, 16, v28
.LBB245_351:                            ;   in Loop: Header=BB245_203 Depth=1
	s_wait_alu 0xfffe
	s_or_b32 exec_lo, exec_lo, s28
.LBB245_352:                            ;   in Loop: Header=BB245_203 Depth=1
	s_delay_alu instid0(SALU_CYCLE_1)
	s_or_b32 exec_lo, exec_lo, s27
.LBB245_353:                            ;   in Loop: Header=BB245_203 Depth=1
	s_delay_alu instid0(SALU_CYCLE_1) | instskip(SKIP_3) | instid1(VALU_DEP_2)
	s_or_b32 exec_lo, exec_lo, s26
	v_lshrrev_b32_e32 v1, 16, v5
	v_mov_b32_e32 v30, 0
	s_mov_b32 s26, exec_lo
	v_dual_mov_b32 v31, 0 :: v_dual_and_b32 v32, 0xff, v1
	s_delay_alu instid0(VALU_DEP_1)
	v_cmpx_ne_u16_e32 0, v32
	s_cbranch_execz .LBB245_361
; %bb.354:                              ;   in Loop: Header=BB245_203 Depth=1
	v_mov_b32_e32 v31, 0x8000
	s_mov_b32 s27, exec_lo
	v_cmpx_ne_u16_e32 0x80, v32
	s_cbranch_execz .LBB245_360
; %bb.355:                              ;   in Loop: Header=BB245_203 Depth=1
	v_bfe_u32 v33, v5, 16, 7
	v_mov_b32_e32 v31, 0x7c01
	s_mov_b32 s28, exec_lo
	s_delay_alu instid0(VALU_DEP_2)
	v_cmpx_ne_u32_e32 0x7f, v33
	s_cbranch_execz .LBB245_359
; %bb.356:                              ;   in Loop: Header=BB245_203 Depth=1
	v_and_b32_e32 v31, 7, v1
	v_lshrrev_b32_e32 v32, 3, v33
	s_mov_b32 s29, exec_lo
	v_cmpx_gt_u32_e32 8, v33
; %bb.357:                              ;   in Loop: Header=BB245_203 Depth=1
	s_delay_alu instid0(VALU_DEP_3) | instskip(NEXT) | instid1(VALU_DEP_1)
	v_clz_i32_u32_e32 v31, v31
	v_min_u32_e32 v33, 32, v31
	s_delay_alu instid0(VALU_DEP_1) | instskip(NEXT) | instid1(VALU_DEP_1)
	v_subrev_nc_u32_e32 v31, 28, v33
	v_lshlrev_b64_e32 v[31:32], v31, v[1:2]
	v_sub_nc_u32_e32 v32, 29, v33
	s_delay_alu instid0(VALU_DEP_2)
	v_and_b32_e32 v31, 7, v31
; %bb.358:                              ;   in Loop: Header=BB245_203 Depth=1
	s_wait_alu 0xfffe
	s_or_b32 exec_lo, exec_lo, s29
	v_lshlrev_b32_e32 v1, 8, v1
	v_lshl_add_u32 v32, v32, 10, 0x2000
	v_lshlrev_b32_e32 v31, 7, v31
	s_delay_alu instid0(VALU_DEP_3) | instskip(NEXT) | instid1(VALU_DEP_3)
	v_and_b32_e32 v1, 0x8000, v1
	v_and_b32_e32 v32, 0xfc00, v32
	s_delay_alu instid0(VALU_DEP_1)
	v_or3_b32 v31, v1, v32, v31
.LBB245_359:                            ;   in Loop: Header=BB245_203 Depth=1
	s_wait_alu 0xfffe
	s_or_b32 exec_lo, exec_lo, s28
.LBB245_360:                            ;   in Loop: Header=BB245_203 Depth=1
	s_delay_alu instid0(SALU_CYCLE_1)
	s_or_b32 exec_lo, exec_lo, s27
.LBB245_361:                            ;   in Loop: Header=BB245_203 Depth=1
	s_delay_alu instid0(SALU_CYCLE_1) | instskip(NEXT) | instid1(SALU_CYCLE_1)
	s_or_b32 exec_lo, exec_lo, s26
	s_mov_b32 s26, exec_lo
	v_cmpx_lt_u32_e32 0xffffff, v5
	s_cbranch_execz .LBB245_369
; %bb.362:                              ;   in Loop: Header=BB245_203 Depth=1
	v_lshrrev_b32_e32 v1, 24, v5
	v_bfrev_b32_e32 v30, 1
	s_mov_b32 s27, exec_lo
	s_delay_alu instid0(VALU_DEP_2)
	v_cmpx_ne_u32_e32 0x80, v1
	s_cbranch_execz .LBB245_368
; %bb.363:                              ;   in Loop: Header=BB245_203 Depth=1
	v_and_b32_e32 v33, 0x7f, v1
	v_mov_b32_e32 v30, 0x7c010000
	s_mov_b32 s28, exec_lo
	s_delay_alu instid0(VALU_DEP_2)
	v_cmpx_ne_u32_e32 0x7f, v33
	s_cbranch_execz .LBB245_367
; %bb.364:                              ;   in Loop: Header=BB245_203 Depth=1
	v_and_b32_e32 v30, 7, v1
	v_lshrrev_b32_e32 v32, 3, v33
	s_mov_b32 s29, exec_lo
	v_cmpx_gt_u32_e32 8, v33
; %bb.365:                              ;   in Loop: Header=BB245_203 Depth=1
	s_delay_alu instid0(VALU_DEP_3) | instskip(NEXT) | instid1(VALU_DEP_1)
	v_clz_i32_u32_e32 v30, v30
	v_min_u32_e32 v30, 32, v30
	s_delay_alu instid0(VALU_DEP_1) | instskip(NEXT) | instid1(VALU_DEP_1)
	v_subrev_nc_u32_e32 v32, 28, v30
	v_lshlrev_b64_e32 v[33:34], v32, v[1:2]
	v_sub_nc_u32_e32 v32, 29, v30
	s_delay_alu instid0(VALU_DEP_2)
	v_and_b32_e32 v30, 7, v33
; %bb.366:                              ;   in Loop: Header=BB245_203 Depth=1
	s_wait_alu 0xfffe
	s_or_b32 exec_lo, exec_lo, s29
	v_lshlrev_b32_e32 v1, 8, v1
	v_lshl_add_u32 v32, v32, 10, 0x2000
	v_lshlrev_b32_e32 v30, 23, v30
	s_delay_alu instid0(VALU_DEP_2) | instskip(NEXT) | instid1(VALU_DEP_1)
	v_and_or_b32 v1, 0x8000, v1, v32
	v_lshl_or_b32 v30, v1, 16, v30
.LBB245_367:                            ;   in Loop: Header=BB245_203 Depth=1
	s_wait_alu 0xfffe
	s_or_b32 exec_lo, exec_lo, s28
.LBB245_368:                            ;   in Loop: Header=BB245_203 Depth=1
	s_delay_alu instid0(SALU_CYCLE_1)
	s_or_b32 exec_lo, exec_lo, s27
.LBB245_369:                            ;   in Loop: Header=BB245_203 Depth=1
	s_delay_alu instid0(SALU_CYCLE_1) | instskip(SKIP_3) | instid1(VALU_DEP_2)
	s_or_b32 exec_lo, exec_lo, s26
	v_dual_mov_b32 v1, v6 :: v_dual_and_b32 v34, 0xff, v6
	v_dual_mov_b32 v32, 0 :: v_dual_mov_b32 v33, 0
	s_mov_b32 s26, exec_lo
	v_cmpx_ne_u16_e32 0, v34
	s_cbranch_execz .LBB245_377
; %bb.370:                              ;   in Loop: Header=BB245_203 Depth=1
	v_mov_b32_e32 v33, 0x8000
	s_mov_b32 s27, exec_lo
	v_cmpx_ne_u16_e32 0x80, v34
	s_cbranch_execz .LBB245_376
; %bb.371:                              ;   in Loop: Header=BB245_203 Depth=1
	v_and_b32_e32 v35, 0x7f, v6
	v_mov_b32_e32 v33, 0x7c01
	s_mov_b32 s28, exec_lo
	s_delay_alu instid0(VALU_DEP_2)
	v_cmpx_ne_u32_e32 0x7f, v35
	s_cbranch_execz .LBB245_375
; %bb.372:                              ;   in Loop: Header=BB245_203 Depth=1
	v_and_b32_e32 v33, 7, v6
	v_lshrrev_b32_e32 v34, 3, v35
	s_mov_b32 s29, exec_lo
	v_cmpx_gt_u32_e32 8, v35
; %bb.373:                              ;   in Loop: Header=BB245_203 Depth=1
	s_delay_alu instid0(VALU_DEP_3) | instskip(NEXT) | instid1(VALU_DEP_1)
	v_clz_i32_u32_e32 v33, v33
	v_min_u32_e32 v35, 32, v33
	s_delay_alu instid0(VALU_DEP_1) | instskip(NEXT) | instid1(VALU_DEP_1)
	v_subrev_nc_u32_e32 v33, 28, v35
	v_lshlrev_b64_e32 v[33:34], v33, v[1:2]
	v_sub_nc_u32_e32 v34, 29, v35
	s_delay_alu instid0(VALU_DEP_2)
	v_and_b32_e32 v33, 7, v33
; %bb.374:                              ;   in Loop: Header=BB245_203 Depth=1
	s_wait_alu 0xfffe
	s_or_b32 exec_lo, exec_lo, s29
	v_lshlrev_b32_e32 v35, 8, v6
	v_lshl_add_u32 v34, v34, 10, 0x2000
	v_lshlrev_b32_e32 v33, 7, v33
	s_delay_alu instid0(VALU_DEP_3) | instskip(NEXT) | instid1(VALU_DEP_3)
	v_and_b32_e32 v35, 0x8000, v35
	v_and_b32_e32 v34, 0xfc00, v34
	s_delay_alu instid0(VALU_DEP_1)
	v_or3_b32 v33, v35, v34, v33
.LBB245_375:                            ;   in Loop: Header=BB245_203 Depth=1
	s_wait_alu 0xfffe
	s_or_b32 exec_lo, exec_lo, s28
.LBB245_376:                            ;   in Loop: Header=BB245_203 Depth=1
	s_delay_alu instid0(SALU_CYCLE_1)
	s_or_b32 exec_lo, exec_lo, s27
.LBB245_377:                            ;   in Loop: Header=BB245_203 Depth=1
	s_delay_alu instid0(SALU_CYCLE_1) | instskip(SKIP_3) | instid1(VALU_DEP_2)
	s_or_b32 exec_lo, exec_lo, s26
	v_lshrrev_b16 v1, 8, v1
	v_mov_b32_e32 v34, 0
	s_mov_b32 s26, exec_lo
	v_cmpx_ne_u16_e32 0, v1
	s_cbranch_execz .LBB245_385
; %bb.378:                              ;   in Loop: Header=BB245_203 Depth=1
	v_bfrev_b32_e32 v34, 1
	s_mov_b32 s27, exec_lo
	v_cmpx_ne_u16_e32 0x80, v1
	s_cbranch_execz .LBB245_384
; %bb.379:                              ;   in Loop: Header=BB245_203 Depth=1
	v_and_b32_e32 v35, 0xffff, v1
	v_mov_b32_e32 v34, 0x7c010000
	s_mov_b32 s28, exec_lo
	s_delay_alu instid0(VALU_DEP_2) | instskip(NEXT) | instid1(VALU_DEP_1)
	v_and_b32_e32 v37, 0x7f, v35
	v_cmpx_ne_u32_e32 0x7f, v37
	s_cbranch_execz .LBB245_383
; %bb.380:                              ;   in Loop: Header=BB245_203 Depth=1
	v_and_b32_e32 v34, 7, v35
	v_lshrrev_b32_e32 v36, 3, v37
	s_mov_b32 s29, exec_lo
	v_cmpx_gt_u32_e32 8, v37
; %bb.381:                              ;   in Loop: Header=BB245_203 Depth=1
	s_delay_alu instid0(VALU_DEP_3) | instskip(NEXT) | instid1(VALU_DEP_1)
	v_clz_i32_u32_e32 v34, v34
	v_min_u32_e32 v34, 32, v34
	s_delay_alu instid0(VALU_DEP_1) | instskip(NEXT) | instid1(VALU_DEP_1)
	v_subrev_nc_u32_e32 v36, 28, v34
	v_lshlrev_b64_e32 v[37:38], v36, v[1:2]
	v_sub_nc_u32_e32 v36, 29, v34
	s_delay_alu instid0(VALU_DEP_2)
	v_and_b32_e32 v34, 7, v37
; %bb.382:                              ;   in Loop: Header=BB245_203 Depth=1
	s_wait_alu 0xfffe
	s_or_b32 exec_lo, exec_lo, s29
	v_lshlrev_b32_e32 v1, 8, v35
	v_lshl_add_u32 v35, v36, 10, 0x2000
	v_lshlrev_b32_e32 v34, 23, v34
	s_delay_alu instid0(VALU_DEP_2) | instskip(NEXT) | instid1(VALU_DEP_1)
	v_and_or_b32 v1, 0x8000, v1, v35
	v_lshl_or_b32 v34, v1, 16, v34
.LBB245_383:                            ;   in Loop: Header=BB245_203 Depth=1
	s_wait_alu 0xfffe
	s_or_b32 exec_lo, exec_lo, s28
.LBB245_384:                            ;   in Loop: Header=BB245_203 Depth=1
	s_delay_alu instid0(SALU_CYCLE_1)
	s_or_b32 exec_lo, exec_lo, s27
.LBB245_385:                            ;   in Loop: Header=BB245_203 Depth=1
	s_delay_alu instid0(SALU_CYCLE_1) | instskip(SKIP_2) | instid1(VALU_DEP_1)
	s_or_b32 exec_lo, exec_lo, s26
	v_lshrrev_b32_e32 v1, 16, v6
	s_mov_b32 s26, exec_lo
	v_and_b32_e32 v35, 0xff, v1
	s_delay_alu instid0(VALU_DEP_1)
	v_cmpx_ne_u16_e32 0, v35
	s_cbranch_execz .LBB245_393
; %bb.386:                              ;   in Loop: Header=BB245_203 Depth=1
	v_mov_b32_e32 v32, 0x8000
	s_mov_b32 s27, exec_lo
	v_cmpx_ne_u16_e32 0x80, v35
	s_cbranch_execz .LBB245_392
; %bb.387:                              ;   in Loop: Header=BB245_203 Depth=1
	v_bfe_u32 v36, v6, 16, 7
	v_mov_b32_e32 v32, 0x7c01
	s_mov_b32 s28, exec_lo
	s_delay_alu instid0(VALU_DEP_2)
	v_cmpx_ne_u32_e32 0x7f, v36
	s_cbranch_execz .LBB245_391
; %bb.388:                              ;   in Loop: Header=BB245_203 Depth=1
	v_and_b32_e32 v32, 7, v1
	v_lshrrev_b32_e32 v35, 3, v36
	s_mov_b32 s29, exec_lo
	v_cmpx_gt_u32_e32 8, v36
; %bb.389:                              ;   in Loop: Header=BB245_203 Depth=1
	s_delay_alu instid0(VALU_DEP_3) | instskip(NEXT) | instid1(VALU_DEP_1)
	v_clz_i32_u32_e32 v32, v32
	v_min_u32_e32 v32, 32, v32
	s_delay_alu instid0(VALU_DEP_1) | instskip(NEXT) | instid1(VALU_DEP_1)
	v_subrev_nc_u32_e32 v35, 28, v32
	v_lshlrev_b64_e32 v[36:37], v35, v[1:2]
	v_sub_nc_u32_e32 v35, 29, v32
	s_delay_alu instid0(VALU_DEP_2)
	v_and_b32_e32 v32, 7, v36
; %bb.390:                              ;   in Loop: Header=BB245_203 Depth=1
	s_wait_alu 0xfffe
	s_or_b32 exec_lo, exec_lo, s29
	v_lshlrev_b32_e32 v1, 8, v1
	v_lshl_add_u32 v35, v35, 10, 0x2000
	v_lshlrev_b32_e32 v32, 7, v32
	s_delay_alu instid0(VALU_DEP_3) | instskip(NEXT) | instid1(VALU_DEP_3)
	v_and_b32_e32 v1, 0x8000, v1
	v_and_b32_e32 v35, 0xfc00, v35
	s_delay_alu instid0(VALU_DEP_1)
	v_or3_b32 v32, v1, v35, v32
.LBB245_391:                            ;   in Loop: Header=BB245_203 Depth=1
	s_wait_alu 0xfffe
	s_or_b32 exec_lo, exec_lo, s28
.LBB245_392:                            ;   in Loop: Header=BB245_203 Depth=1
	s_delay_alu instid0(SALU_CYCLE_1)
	s_or_b32 exec_lo, exec_lo, s27
.LBB245_393:                            ;   in Loop: Header=BB245_203 Depth=1
	s_delay_alu instid0(SALU_CYCLE_1)
	s_or_b32 exec_lo, exec_lo, s26
	v_cmp_lt_u64_e64 s1, s[2:3], v[5:6]
	v_mov_b32_e32 v5, 0
	s_and_saveexec_b32 s26, s1
	s_cbranch_execz .LBB245_401
; %bb.394:                              ;   in Loop: Header=BB245_203 Depth=1
	v_lshrrev_b32_e32 v1, 24, v6
	v_bfrev_b32_e32 v5, 1
	s_mov_b32 s27, exec_lo
	s_delay_alu instid0(VALU_DEP_2)
	v_cmpx_ne_u32_e32 0x80, v1
	s_cbranch_execz .LBB245_400
; %bb.395:                              ;   in Loop: Header=BB245_203 Depth=1
	v_and_b32_e32 v35, 0x7f, v1
	v_mov_b32_e32 v5, 0x7c010000
	s_mov_b32 s28, exec_lo
	s_delay_alu instid0(VALU_DEP_2)
	v_cmpx_ne_u32_e32 0x7f, v35
	s_cbranch_execz .LBB245_399
; %bb.396:                              ;   in Loop: Header=BB245_203 Depth=1
	v_and_b32_e32 v5, 7, v1
	v_lshrrev_b32_e32 v6, 3, v35
	s_mov_b32 s29, exec_lo
	v_cmpx_gt_u32_e32 8, v35
; %bb.397:                              ;   in Loop: Header=BB245_203 Depth=1
	s_delay_alu instid0(VALU_DEP_3) | instskip(NEXT) | instid1(VALU_DEP_1)
	v_clz_i32_u32_e32 v5, v5
	v_min_u32_e32 v35, 32, v5
	s_delay_alu instid0(VALU_DEP_1) | instskip(NEXT) | instid1(VALU_DEP_1)
	v_subrev_nc_u32_e32 v5, 28, v35
	v_lshlrev_b64_e32 v[5:6], v5, v[1:2]
	v_sub_nc_u32_e32 v6, 29, v35
	s_delay_alu instid0(VALU_DEP_2)
	v_and_b32_e32 v5, 7, v5
; %bb.398:                              ;   in Loop: Header=BB245_203 Depth=1
	s_wait_alu 0xfffe
	s_or_b32 exec_lo, exec_lo, s29
	v_lshlrev_b32_e32 v1, 8, v1
	v_lshl_add_u32 v6, v6, 10, 0x2000
	v_lshlrev_b32_e32 v5, 23, v5
	s_delay_alu instid0(VALU_DEP_2) | instskip(NEXT) | instid1(VALU_DEP_1)
	v_and_or_b32 v1, 0x8000, v1, v6
	v_lshl_or_b32 v5, v1, 16, v5
.LBB245_399:                            ;   in Loop: Header=BB245_203 Depth=1
	s_wait_alu 0xfffe
	s_or_b32 exec_lo, exec_lo, s28
.LBB245_400:                            ;   in Loop: Header=BB245_203 Depth=1
	s_delay_alu instid0(SALU_CYCLE_1)
	s_or_b32 exec_lo, exec_lo, s27
.LBB245_401:                            ;   in Loop: Header=BB245_203 Depth=1
	s_delay_alu instid0(SALU_CYCLE_1)
	s_or_b32 exec_lo, exec_lo, s26
	v_or_b32_e32 v1, v30, v31
	s_wait_loadcnt 0x0
	v_fma_mixlo_f16 v6, v27, v30, 0 op_sel:[0,1,0] op_sel_hi:[0,1,0]
	v_or_b32_e32 v29, v28, v29
	v_or_b32_e32 v31, v34, v33
	;; [unrolled: 1-line block ×3, first 2 shown]
	v_fma_mixlo_f16 v1, v27, v1, 0 op_sel_hi:[0,1,0]
	v_fma_mixlo_f16 v30, v27, v28, 0 op_sel:[0,1,0] op_sel_hi:[0,1,0]
	v_lshlrev_b32_e32 v28, 16, v6
	v_fma_mixlo_f16 v6, v27, v29, 0 op_sel_hi:[0,1,0]
	v_fma_mixlo_f16 v31, v27, v31, 0 op_sel_hi:[0,1,0]
	v_and_b32_e32 v29, 0xffff, v1
	v_fma_mixlo_f16 v1, v27, v34, 0 op_sel:[0,1,0] op_sel_hi:[0,1,0]
	v_fma_mixlo_f16 v33, v27, v5, 0 op_sel:[0,1,0] op_sel_hi:[0,1,0]
	v_fma_mixlo_f16 v32, v27, v32, 0 op_sel_hi:[0,1,0]
	v_lshlrev_b32_e32 v30, 16, v30
	v_and_b32_e32 v35, 0xffff, v6
	v_lshlrev_b32_e32 v5, 16, v1
	v_and_b32_e32 v27, 0xffff, v31
	;; [unrolled: 2-line block ×3, first 2 shown]
	v_or_b32_e32 v33, v28, v29
	v_or_b32_e32 v34, v30, v35
	;; [unrolled: 1-line block ×3, first 2 shown]
	s_delay_alu instid0(VALU_DEP_4)
	v_or_b32_e32 v31, v1, v6
	s_and_saveexec_b32 s1, s0
	s_cbranch_execz .LBB245_200
; %bb.402:                              ;   in Loop: Header=BB245_203 Depth=1
	v_add_nc_u32_e32 v31, 1, v12
	v_cmp_gt_i32_e64 s0, s34, v12
	v_add_nc_u32_e32 v32, 2, v12
	v_add_nc_u32_e32 v34, 3, v12
	s_wait_alu 0xf1ff
	s_delay_alu instid0(VALU_DEP_3) | instskip(SKIP_3) | instid1(VALU_DEP_2)
	v_cndmask_b32_e64 v33, 0, v35, s0
	v_cmp_gt_i32_e64 s0, s34, v31
	v_add_nc_u32_e32 v31, 4, v12
	s_wait_alu 0xf1ff
	v_cndmask_b32_e64 v30, 0, v30, s0
	v_cmp_gt_i32_e64 s0, s34, v32
	v_add_nc_u32_e32 v32, 5, v12
	s_wait_alu 0xf1ff
	s_delay_alu instid0(VALU_DEP_2) | instskip(SKIP_3) | instid1(VALU_DEP_2)
	v_cndmask_b32_e64 v29, 0, v29, s0
	v_cmp_gt_i32_e64 s0, s34, v34
	v_add_nc_u32_e32 v34, 6, v12
	s_wait_alu 0xf1ff
	v_cndmask_b32_e64 v28, 0, v28, s0
	v_cmp_gt_i32_e64 s0, s34, v31
	v_add_nc_u32_e32 v31, 7, v12
	s_wait_alu 0xf1ff
	s_delay_alu instid0(VALU_DEP_2) | instskip(SKIP_2) | instid1(VALU_DEP_1)
	v_cndmask_b32_e64 v27, 0, v27, s0
	v_cmp_gt_i32_e64 s0, s34, v32
	s_wait_alu 0xf1ff
	v_cndmask_b32_e64 v5, 0, v5, s0
	v_cmp_gt_i32_e64 s0, s34, v34
	v_or_b32_e32 v34, v30, v33
	v_or_b32_e32 v33, v28, v29
	s_delay_alu instid0(VALU_DEP_4) | instskip(SKIP_4) | instid1(VALU_DEP_1)
	v_or_b32_e32 v32, v5, v27
	s_wait_alu 0xf1ff
	v_cndmask_b32_e64 v6, 0, v6, s0
	v_cmp_gt_i32_e64 s0, s34, v31
	s_wait_alu 0xf1ff
	v_cndmask_b32_e64 v1, 0, v1, s0
	s_delay_alu instid0(VALU_DEP_1)
	v_or_b32_e32 v31, v1, v6
	s_branch .LBB245_200
.LBB245_403:
	s_or_b32 exec_lo, exec_lo, s17
.LBB245_404:
	s_wait_alu 0xfffe
	s_or_b32 exec_lo, exec_lo, s6
	s_movk_i32 s0, 0x140
	v_and_b32_e32 v2, 0x3c0, v0
	s_wait_alu 0xfffe
	v_mad_u32_u24 v1, v11, s0, 0xc0
	s_mov_b32 s0, exec_lo
	s_wait_loadcnt 0x0
	s_wait_storecnt 0x0
	s_barrier_signal -1
	s_barrier_wait -1
	global_inv scope:SCOPE_SE
	v_cmpx_eq_u32_e32 64, v2
	s_cbranch_execz .LBB245_407
; %bb.405:
	v_add_nc_u32_e32 v2, 0xfffffd80, v1
	v_cmp_gt_u32_e32 vcc_lo, 0x50, v19
	s_delay_alu instid0(VALU_DEP_2)
	v_lshl_add_u32 v3, v14, 2, v2
	ds_store_2addr_b32 v3, v18, v17 offset1:32
	s_and_b32 exec_lo, exec_lo, vcc_lo
; %bb.406:
	v_lshl_add_u32 v2, v19, 2, v2
	ds_store_b32 v2, v16
.LBB245_407:
	s_wait_alu 0xfffe
	s_or_b32 exec_lo, exec_lo, s0
	v_lshl_add_u32 v2, v14, 2, v1
	s_mov_b32 s0, exec_lo
	s_wait_loadcnt_dscnt 0x0
	s_barrier_signal -1
	s_barrier_wait -1
	global_inv scope:SCOPE_SE
	v_cmpx_gt_u32_e32 64, v0
	s_cbranch_execz .LBB245_411
; %bb.408:
	v_lshl_or_b32 v3, v0, 2, 0x80
	s_mov_b32 s1, exec_lo
	s_delay_alu instid0(VALU_DEP_1)
	v_add_nc_u32_e32 v4, v1, v3
	ds_load_b32 v3, v2
	ds_load_b32 v4, v4
	v_cmpx_gt_u32_e32 0x50, v19
	s_cbranch_execz .LBB245_410
; %bb.409:
	ds_load_b32 v5, v2 offset:256
	s_wait_dscnt 0x0
	v_add_f32_e32 v16, v16, v5
.LBB245_410:
	s_wait_alu 0xfffe
	s_or_b32 exec_lo, exec_lo, s1
	s_wait_dscnt 0x0
	v_dual_add_f32 v18, v18, v3 :: v_dual_add_f32 v17, v17, v4
.LBB245_411:
	s_wait_alu 0xfffe
	s_or_b32 exec_lo, exec_lo, s0
	v_and_b32_e32 v3, 0x3e0, v0
	s_mov_b32 s0, exec_lo
	s_wait_loadcnt 0x0
	s_barrier_signal -1
	s_barrier_wait -1
	global_inv scope:SCOPE_SE
	v_cmpx_eq_u32_e32 32, v3
	s_cbranch_execz .LBB245_414
; %bb.412:
	v_lshl_add_u32 v3, v14, 2, 0xc0
	v_cmp_gt_u32_e32 vcc_lo, 0x50, v19
	ds_store_b32 v3, v18
	ds_store_b32 v15, v17
	s_and_b32 exec_lo, exec_lo, vcc_lo
; %bb.413:
	ds_store_b32 v3, v16 offset:256
.LBB245_414:
	s_wait_alu 0xfffe
	s_or_b32 exec_lo, exec_lo, s0
	v_cmp_gt_u32_e32 vcc_lo, 32, v0
	v_or_b32_e32 v3, 64, v0
	s_wait_loadcnt_dscnt 0x0
	s_barrier_signal -1
	s_barrier_wait -1
	global_inv scope:SCOPE_SE
	s_and_saveexec_b32 s1, vcc_lo
	s_cbranch_execz .LBB245_418
; %bb.415:
	v_lshl_add_u32 v4, v0, 2, v1
	s_mov_b32 s2, exec_lo
	ds_load_b32 v1, v2
	ds_load_b32 v2, v4 offset:128
	v_cmpx_gt_u32_e32 0x50, v3
	s_cbranch_execz .LBB245_417
; %bb.416:
	ds_load_b32 v4, v4 offset:256
	s_wait_dscnt 0x0
	v_add_f32_e32 v16, v16, v4
.LBB245_417:
	s_wait_alu 0xfffe
	s_or_b32 exec_lo, exec_lo, s2
	s_wait_dscnt 0x0
	v_dual_add_f32 v18, v18, v1 :: v_dual_add_f32 v17, v17, v2
.LBB245_418:
	s_wait_alu 0xfffe
	s_or_b32 exec_lo, exec_lo, s1
	s_wait_loadcnt 0x0
	s_barrier_signal -1
	s_barrier_wait -1
	global_inv scope:SCOPE_SE
	s_and_saveexec_b32 s0, vcc_lo
	s_cbranch_execz .LBB245_421
; %bb.419:
	s_mul_i32 s0, s18, 0x50
	s_mul_i32 s2, s12, s20
	s_wait_alu 0xfffe
	s_ashr_i32 s1, s0, 31
	s_ashr_i32 s3, s2, 31
	s_wait_alu 0xfffe
	s_lshl_b64 s[0:1], s[0:1], 1
	s_lshl_b64 s[2:3], s[2:3], 1
	s_wait_alu 0xfffe
	s_add_nc_u64 s[0:1], s[8:9], s[0:1]
	v_lshlrev_b32_e32 v0, 1, v0
	v_cmp_gt_u32_e32 vcc_lo, 0x50, v3
	s_mul_i32 s4, s33, 0xa0
	s_wait_alu 0xfffe
	s_add_nc_u64 s[0:1], s[0:1], s[2:3]
	s_mov_b32 s5, 0
	;;#ASMSTART
	v_cvt_f16_f32 v1, v18;

	;;#ASMEND
	s_wait_alu 0xfffe
	s_add_nc_u64 s[0:1], s[0:1], s[4:5]
	global_store_b16 v0, v1, s[0:1]
	;;#ASMSTART
	v_cvt_f16_f32 v1, v17;

	;;#ASMEND
	global_store_b16 v0, v1, s[0:1] offset:64
	s_and_b32 exec_lo, exec_lo, vcc_lo
	s_cbranch_execz .LBB245_421
; %bb.420:
	s_wait_alu 0xfffe
	v_add_co_u32 v0, s0, s0, v0
	s_wait_alu 0xf1ff
	v_add_co_ci_u32_e64 v1, null, s1, 0, s0
	;;#ASMSTART
	v_cvt_f16_f32 v2, v16;

	;;#ASMEND
	global_store_b16 v[0:1], v2, off offset:128
.LBB245_421:
	s_endpgm
	.section	.rodata,"a",@progbits
	.p2align	6, 0x0
	.amdhsa_kernel _ZN4vllm25paged_attention_v2_kernelIthLi80ELi8ELi128ELNS_18Fp8KVCacheDataTypeE1ELb1ELi512EEEvPfS2_PT_PKS3_PKT0_S9_ifPKiSB_iPKfiiiSD_SD_iiiii
		.amdhsa_group_segment_fixed_size 192
		.amdhsa_private_segment_fixed_size 0
		.amdhsa_kernarg_size 400
		.amdhsa_user_sgpr_count 2
		.amdhsa_user_sgpr_dispatch_ptr 0
		.amdhsa_user_sgpr_queue_ptr 0
		.amdhsa_user_sgpr_kernarg_segment_ptr 1
		.amdhsa_user_sgpr_dispatch_id 0
		.amdhsa_user_sgpr_private_segment_size 0
		.amdhsa_wavefront_size32 1
		.amdhsa_uses_dynamic_stack 0
		.amdhsa_enable_private_segment 0
		.amdhsa_system_sgpr_workgroup_id_x 1
		.amdhsa_system_sgpr_workgroup_id_y 1
		.amdhsa_system_sgpr_workgroup_id_z 1
		.amdhsa_system_sgpr_workgroup_info 0
		.amdhsa_system_vgpr_workitem_id 0
		.amdhsa_next_free_vgpr 58
		.amdhsa_next_free_sgpr 46
		.amdhsa_reserve_vcc 1
		.amdhsa_float_round_mode_32 0
		.amdhsa_float_round_mode_16_64 0
		.amdhsa_float_denorm_mode_32 3
		.amdhsa_float_denorm_mode_16_64 3
		.amdhsa_fp16_overflow 0
		.amdhsa_workgroup_processor_mode 1
		.amdhsa_memory_ordered 1
		.amdhsa_forward_progress 1
		.amdhsa_inst_pref_size 130
		.amdhsa_round_robin_scheduling 0
		.amdhsa_exception_fp_ieee_invalid_op 0
		.amdhsa_exception_fp_denorm_src 0
		.amdhsa_exception_fp_ieee_div_zero 0
		.amdhsa_exception_fp_ieee_overflow 0
		.amdhsa_exception_fp_ieee_underflow 0
		.amdhsa_exception_fp_ieee_inexact 0
		.amdhsa_exception_int_div_zero 0
	.end_amdhsa_kernel
	.section	.text._ZN4vllm25paged_attention_v2_kernelIthLi80ELi8ELi128ELNS_18Fp8KVCacheDataTypeE1ELb1ELi512EEEvPfS2_PT_PKS3_PKT0_S9_ifPKiSB_iPKfiiiSD_SD_iiiii,"axG",@progbits,_ZN4vllm25paged_attention_v2_kernelIthLi80ELi8ELi128ELNS_18Fp8KVCacheDataTypeE1ELb1ELi512EEEvPfS2_PT_PKS3_PKT0_S9_ifPKiSB_iPKfiiiSD_SD_iiiii,comdat
.Lfunc_end245:
	.size	_ZN4vllm25paged_attention_v2_kernelIthLi80ELi8ELi128ELNS_18Fp8KVCacheDataTypeE1ELb1ELi512EEEvPfS2_PT_PKS3_PKT0_S9_ifPKiSB_iPKfiiiSD_SD_iiiii, .Lfunc_end245-_ZN4vllm25paged_attention_v2_kernelIthLi80ELi8ELi128ELNS_18Fp8KVCacheDataTypeE1ELb1ELi512EEEvPfS2_PT_PKS3_PKT0_S9_ifPKiSB_iPKfiiiSD_SD_iiiii
                                        ; -- End function
	.set _ZN4vllm25paged_attention_v2_kernelIthLi80ELi8ELi128ELNS_18Fp8KVCacheDataTypeE1ELb1ELi512EEEvPfS2_PT_PKS3_PKT0_S9_ifPKiSB_iPKfiiiSD_SD_iiiii.num_vgpr, 58
	.set _ZN4vllm25paged_attention_v2_kernelIthLi80ELi8ELi128ELNS_18Fp8KVCacheDataTypeE1ELb1ELi512EEEvPfS2_PT_PKS3_PKT0_S9_ifPKiSB_iPKfiiiSD_SD_iiiii.num_agpr, 0
	.set _ZN4vllm25paged_attention_v2_kernelIthLi80ELi8ELi128ELNS_18Fp8KVCacheDataTypeE1ELb1ELi512EEEvPfS2_PT_PKS3_PKT0_S9_ifPKiSB_iPKfiiiSD_SD_iiiii.numbered_sgpr, 46
	.set _ZN4vllm25paged_attention_v2_kernelIthLi80ELi8ELi128ELNS_18Fp8KVCacheDataTypeE1ELb1ELi512EEEvPfS2_PT_PKS3_PKT0_S9_ifPKiSB_iPKfiiiSD_SD_iiiii.num_named_barrier, 0
	.set _ZN4vllm25paged_attention_v2_kernelIthLi80ELi8ELi128ELNS_18Fp8KVCacheDataTypeE1ELb1ELi512EEEvPfS2_PT_PKS3_PKT0_S9_ifPKiSB_iPKfiiiSD_SD_iiiii.private_seg_size, 0
	.set _ZN4vllm25paged_attention_v2_kernelIthLi80ELi8ELi128ELNS_18Fp8KVCacheDataTypeE1ELb1ELi512EEEvPfS2_PT_PKS3_PKT0_S9_ifPKiSB_iPKfiiiSD_SD_iiiii.uses_vcc, 1
	.set _ZN4vllm25paged_attention_v2_kernelIthLi80ELi8ELi128ELNS_18Fp8KVCacheDataTypeE1ELb1ELi512EEEvPfS2_PT_PKS3_PKT0_S9_ifPKiSB_iPKfiiiSD_SD_iiiii.uses_flat_scratch, 0
	.set _ZN4vllm25paged_attention_v2_kernelIthLi80ELi8ELi128ELNS_18Fp8KVCacheDataTypeE1ELb1ELi512EEEvPfS2_PT_PKS3_PKT0_S9_ifPKiSB_iPKfiiiSD_SD_iiiii.has_dyn_sized_stack, 0
	.set _ZN4vllm25paged_attention_v2_kernelIthLi80ELi8ELi128ELNS_18Fp8KVCacheDataTypeE1ELb1ELi512EEEvPfS2_PT_PKS3_PKT0_S9_ifPKiSB_iPKfiiiSD_SD_iiiii.has_recursion, 0
	.set _ZN4vllm25paged_attention_v2_kernelIthLi80ELi8ELi128ELNS_18Fp8KVCacheDataTypeE1ELb1ELi512EEEvPfS2_PT_PKS3_PKT0_S9_ifPKiSB_iPKfiiiSD_SD_iiiii.has_indirect_call, 0
	.section	.AMDGPU.csdata,"",@progbits
; Kernel info:
; codeLenInByte = 16532
; TotalNumSgprs: 48
; NumVgprs: 58
; ScratchSize: 0
; MemoryBound: 0
; FloatMode: 240
; IeeeMode: 1
; LDSByteSize: 192 bytes/workgroup (compile time only)
; SGPRBlocks: 0
; VGPRBlocks: 7
; NumSGPRsForWavesPerEU: 48
; NumVGPRsForWavesPerEU: 58
; Occupancy: 16
; WaveLimiterHint : 1
; COMPUTE_PGM_RSRC2:SCRATCH_EN: 0
; COMPUTE_PGM_RSRC2:USER_SGPR: 2
; COMPUTE_PGM_RSRC2:TRAP_HANDLER: 0
; COMPUTE_PGM_RSRC2:TGID_X_EN: 1
; COMPUTE_PGM_RSRC2:TGID_Y_EN: 1
; COMPUTE_PGM_RSRC2:TGID_Z_EN: 1
; COMPUTE_PGM_RSRC2:TIDIG_COMP_CNT: 0
	.section	.text._ZN4vllm25paged_attention_v2_kernelIthLi96ELi8ELi128ELNS_18Fp8KVCacheDataTypeE1ELb1ELi512EEEvPfS2_PT_PKS3_PKT0_S9_ifPKiSB_iPKfiiiSD_SD_iiiii,"axG",@progbits,_ZN4vllm25paged_attention_v2_kernelIthLi96ELi8ELi128ELNS_18Fp8KVCacheDataTypeE1ELb1ELi512EEEvPfS2_PT_PKS3_PKT0_S9_ifPKiSB_iPKfiiiSD_SD_iiiii,comdat
	.protected	_ZN4vllm25paged_attention_v2_kernelIthLi96ELi8ELi128ELNS_18Fp8KVCacheDataTypeE1ELb1ELi512EEEvPfS2_PT_PKS3_PKT0_S9_ifPKiSB_iPKfiiiSD_SD_iiiii ; -- Begin function _ZN4vllm25paged_attention_v2_kernelIthLi96ELi8ELi128ELNS_18Fp8KVCacheDataTypeE1ELb1ELi512EEEvPfS2_PT_PKS3_PKT0_S9_ifPKiSB_iPKfiiiSD_SD_iiiii
	.globl	_ZN4vllm25paged_attention_v2_kernelIthLi96ELi8ELi128ELNS_18Fp8KVCacheDataTypeE1ELb1ELi512EEEvPfS2_PT_PKS3_PKT0_S9_ifPKiSB_iPKfiiiSD_SD_iiiii
	.p2align	8
	.type	_ZN4vllm25paged_attention_v2_kernelIthLi96ELi8ELi128ELNS_18Fp8KVCacheDataTypeE1ELb1ELi512EEEvPfS2_PT_PKS3_PKT0_S9_ifPKiSB_iPKfiiiSD_SD_iiiii,@function
_ZN4vllm25paged_attention_v2_kernelIthLi96ELi8ELi128ELNS_18Fp8KVCacheDataTypeE1ELb1ELi512EEEvPfS2_PT_PKS3_PKT0_S9_ifPKiSB_iPKfiiiSD_SD_iiiii: ; @_ZN4vllm25paged_attention_v2_kernelIthLi96ELi8ELi128ELNS_18Fp8KVCacheDataTypeE1ELb1ELi512EEEvPfS2_PT_PKS3_PKT0_S9_ifPKiSB_iPKfiiiSD_SD_iiiii
; %bb.0:
	s_load_b64 s[2:3], s[0:1], 0x40
	s_and_b32 s28, ttmp7, 0xffff
	s_lshr_b32 s33, ttmp7, 16
	s_lshl_b32 s4, s28, 2
	s_lshl_b32 s35, s33, 9
	s_wait_kmcnt 0x0
	s_load_b32 s34, s[2:3], s4 offset:0x0
	s_wait_kmcnt 0x0
	s_cmp_ge_i32 s35, s34
	s_cbranch_scc1 .LBB246_444
; %bb.1:
	s_clause 0x1
	s_load_b32 s29, s[0:1], 0x90
	s_load_b64 s[6:7], s[0:1], 0x30
	s_wait_kmcnt 0x0
	s_abs_i32 s5, s29
	s_abs_i32 s2, s6
	s_delay_alu instid0(SALU_CYCLE_1) | instskip(SKIP_1) | instid1(SALU_CYCLE_2)
	s_cvt_f32_u32 s3, s2
	s_sub_co_i32 s4, 0, s2
	v_rcp_iflag_f32_e32 v1, s3
	s_delay_alu instid0(TRANS32_DEP_1) | instskip(SKIP_2) | instid1(SALU_CYCLE_2)
	v_readfirstlane_b32 s3, v1
	s_mul_f32 s3, s3, 0x4f7ffffe
	s_wait_alu 0xfffe
	s_cvt_u32_f32 s3, s3
	s_wait_alu 0xfffe
	s_delay_alu instid0(SALU_CYCLE_2) | instskip(NEXT) | instid1(SALU_CYCLE_1)
	s_mul_i32 s4, s4, s3
	s_mul_hi_u32 s4, s3, s4
	s_delay_alu instid0(SALU_CYCLE_1)
	s_add_co_i32 s3, s3, s4
	s_xor_b32 s4, s29, s6
	s_wait_alu 0xfffe
	s_mul_hi_u32 s3, s5, s3
	s_ashr_i32 s4, s4, 31
	s_wait_alu 0xfffe
	s_mul_i32 s8, s3, s2
	s_delay_alu instid0(SALU_CYCLE_1)
	s_sub_co_i32 s5, s5, s8
	s_add_co_i32 s8, s3, 1
	s_sub_co_i32 s9, s5, s2
	s_cmp_ge_u32 s5, s2
	s_cselect_b32 s3, s8, s3
	s_cselect_b32 s5, s9, s5
	s_wait_alu 0xfffe
	s_add_co_i32 s8, s3, 1
	s_cmp_ge_u32 s5, s2
	s_cselect_b32 s2, s8, s3
	s_load_b64 s[8:9], s[0:1], 0x50
	s_xor_b32 s2, s2, s4
	s_mov_b32 s3, 0
	s_wait_alu 0xfffe
	s_sub_co_i32 s11, s2, s4
	s_mov_b32 s30, s3
	s_abs_i32 s10, s11
	s_delay_alu instid0(SALU_CYCLE_1) | instskip(SKIP_1) | instid1(SALU_CYCLE_2)
	s_cvt_f32_u32 s2, s10
	s_wait_alu 0xfffe
	v_rcp_iflag_f32_e32 v1, s2
	s_delay_alu instid0(TRANS32_DEP_1) | instskip(SKIP_2) | instid1(SALU_CYCLE_2)
	v_readfirstlane_b32 s2, v1
	s_mul_f32 s2, s2, 0x4f7ffffe
	s_wait_alu 0xfffe
	s_cvt_u32_f32 s4, s2
	s_sub_co_i32 s2, 0, s10
	s_wait_alu 0xfffe
	s_delay_alu instid0(SALU_CYCLE_1)
	s_mul_i32 s2, s2, s4
	s_wait_alu 0xfffe
	s_mul_hi_u32 s5, s4, s2
	s_abs_i32 s2, ttmp9
	s_add_co_i32 s4, s4, s5
	s_mov_b32 s5, s3
	s_wait_kmcnt 0x0
	s_cmp_eq_u64 s[8:9], 0
	s_cbranch_scc1 .LBB246_3
; %bb.2:
	s_mov_b32 s12, ttmp9
	s_ashr_i32 s13, ttmp9, 31
	s_delay_alu instid0(SALU_CYCLE_1) | instskip(NEXT) | instid1(SALU_CYCLE_1)
	s_lshl_b64 s[12:13], s[12:13], 2
	s_add_nc_u64 s[8:9], s[8:9], s[12:13]
	s_load_b32 s30, s[8:9], 0x0
.LBB246_3:
	s_load_b96 s[16:18], s[0:1], 0x58
	v_and_b32_e32 v1, 3, v0
	s_mul_u64 s[4:5], s[2:3], s[4:5]
	s_ashr_i32 s3, ttmp9, 31
	s_ashr_i32 s4, s11, 31
	s_mul_i32 s20, ttmp9, 0x60
	s_mov_b32 s8, exec_lo
	v_cmpx_gt_u32_e32 48, v0
	s_cbranch_execz .LBB246_5
; %bb.4:
	s_load_b64 s[12:13], s[0:1], 0x18
	s_wait_kmcnt 0x0
	s_mul_i32 s14, s16, s28
	s_ashr_i32 s21, s20, 31
	s_ashr_i32 s15, s14, 31
	v_lshlrev_b32_e32 v2, 2, v0
	s_lshl_b64 s[14:15], s[14:15], 1
	v_and_b32_e32 v3, 0x3fc, v0
	s_delay_alu instid0(VALU_DEP_1) | instskip(SKIP_2) | instid1(SALU_CYCLE_1)
	v_mad_u32_u24 v3, v1, 48, v3
	s_add_nc_u64 s[12:13], s[12:13], s[14:15]
	s_lshl_b64 s[14:15], s[20:21], 1
	s_add_nc_u64 s[12:13], s[12:13], s[14:15]
	global_load_b32 v2, v2, s[12:13]
	s_wait_loadcnt 0x0
	ds_store_b32 v3, v2
.LBB246_5:
	s_or_b32 exec_lo, exec_lo, s8
	s_load_b128 s[12:15], s[0:1], 0x78
	s_mul_i32 s8, s5, s10
	s_xor_b32 s3, s3, s4
	s_sub_co_i32 s2, s2, s8
	s_add_co_i32 s4, s5, 1
	s_wait_alu 0xfffe
	s_sub_co_i32 s8, s2, s10
	s_cmp_ge_u32 s2, s10
                                        ; implicit-def: $sgpr21
	s_cselect_b32 s4, s4, s5
	s_cselect_b32 s2, s8, s2
	s_add_co_i32 s5, s4, 1
	s_wait_alu 0xfffe
	s_cmp_ge_u32 s2, s10
	s_load_b32 s8, s[0:1], 0x88
	s_cselect_b32 s2, s5, s4
	s_add_co_i32 s9, s34, -1
	s_wait_alu 0xfffe
	s_xor_b32 s2, s2, s3
	s_mov_b32 s10, -1
	s_wait_alu 0xfffe
	s_sub_co_i32 s19, s2, s3
	s_wait_dscnt 0x0
	s_barrier_signal -1
	s_wait_kmcnt 0x0
	s_abs_i32 s16, s15
	s_barrier_wait -1
	s_cvt_f32_u32 s4, s16
	global_inv scope:SCOPE_SE
	v_rcp_iflag_f32_e32 v2, s4
	s_delay_alu instid0(TRANS32_DEP_1) | instskip(SKIP_2) | instid1(SALU_CYCLE_2)
	v_readfirstlane_b32 s4, v2
	s_mul_f32 s2, s4, 0x4f7ffffe
	s_wait_alu 0xfffe
	s_cvt_u32_f32 s4, s2
	s_sub_co_i32 s2, 0, s16
	s_wait_alu 0xfffe
	s_delay_alu instid0(SALU_CYCLE_1)
	s_mul_i32 s3, s2, s4
	s_abs_i32 s2, s9
	s_wait_alu 0xfffe
	s_mul_hi_u32 s5, s4, s3
	s_mov_b32 s3, 0
	s_wait_alu 0xfffe
	s_add_co_i32 s22, s4, s5
	s_cmp_lt_i32 s8, 0
	s_mov_b32 s23, s3
	s_cbranch_scc0 .LBB246_7
; %bb.6:
	s_mul_i32 s4, s12, s6
	s_mov_b32 s10, s3
	s_wait_alu 0xfffe
	s_add_co_i32 s4, s19, s4
	s_wait_alu 0xfffe
	s_mul_i32 s4, s4, s8
	s_wait_alu 0xfffe
	s_sub_co_i32 s21, 1, s4
.LBB246_7:
	s_mul_u64 s[4:5], s[2:3], s[22:23]
	s_ashr_i32 s3, s9, 31
	s_and_not1_b32 vcc_lo, exec_lo, s10
	s_ashr_i32 s15, s15, 31
	s_cbranch_vccnz .LBB246_9
; %bb.8:
	s_mul_i32 s4, s29, s12
	s_wait_alu 0xfffe
	s_add_co_i32 s4, s4, ttmp9
	s_wait_alu 0xfffe
	s_mul_i32 s4, s4, s8
	s_wait_alu 0xfffe
	s_add_co_i32 s21, s4, 1
.LBB246_9:
	s_clause 0x3
	s_load_b32 s4, s[0:1], 0x48
	s_load_b64 s[24:25], s[0:1], 0x38
	s_load_b32 s12, s[0:1], 0x98
	s_load_b128 s[8:11], s[0:1], 0x68
	s_mul_i32 s6, s5, s16
	s_xor_b32 s3, s3, s15
	s_sub_co_i32 s2, s2, s6
	s_add_co_i32 s23, s5, 1
	v_lshrrev_b32_e32 v11, 5, v0
	v_mov_b32_e32 v15, 0xff7fffff
	v_mbcnt_lo_u32_b32 v10, -1, 0
	s_mul_i32 s18, s19, s18
	s_delay_alu instid0(VALU_DEP_3)
	v_lshl_add_u32 v12, v11, 3, s35
	s_wait_kmcnt 0x0
	s_mul_i32 s26, s4, s28
	s_wait_alu 0xfffe
	s_sub_co_i32 s4, s2, s16
	s_ashr_i32 s27, s26, 31
	s_cmp_ge_u32 s2, s16
	s_cselect_b32 s5, s23, s5
	s_wait_alu 0xfffe
	s_cselect_b32 s2, s4, s2
	s_add_co_i32 s4, s5, 1
	s_wait_alu 0xfffe
	s_cmp_ge_u32 s2, s16
	s_cselect_b32 s2, s4, s5
	s_add_co_i32 s4, s34, 7
	s_lshl_b32 s38, s33, 6
	s_wait_alu 0xfffe
	s_ashr_i32 s5, s4, 31
	v_or_b32_e32 v13, s38, v11
	s_wait_alu 0xfffe
	s_lshr_b32 s5, s5, 29
	s_wait_alu 0xfffe
	s_add_co_i32 s4, s4, s5
	s_add_co_i32 s5, s38, 64
	s_wait_alu 0xfffe
	s_ashr_i32 s36, s4, 3
	s_xor_b32 s4, s2, s3
	s_min_i32 s23, s5, s36
	v_lshlrev_b32_e32 v9, 2, v13
	v_cmp_gt_i32_e64 s2, s23, v13
	s_wait_alu 0xfffe
	s_sub_co_i32 s37, s4, s3
	s_and_saveexec_b32 s6, s2
	s_cbranch_execz .LBB246_213
; %bb.10:
	s_sub_co_i32 s31, s37, s13
	s_ashr_i32 s19, s18, 31
	s_cmp_neq_f32 s30, 0
	s_load_b64 s[4:5], s[0:1], 0x20
	v_bfe_u32 v14, v0, 2, 3
	v_mov_b32_e32 v2, 0
	s_cselect_b32 vcc_lo, -1, 0
	s_abs_i32 s39, s14
	v_dual_mov_b32 v15, 0xff7fffff :: v_dual_lshlrev_b32 v4, 1, v1
	s_wait_alu 0xfffe
	s_cvt_f32_u32 s3, s39
	v_mul_u32_u24_e32 v16, 48, v1
	v_dual_mov_b32 v20, 0xff7fffff :: v_dual_lshlrev_b32 v5, 2, v14
	s_wait_alu 0xfffe
	v_rcp_iflag_f32_e32 v3, s3
	v_cmp_eq_u32_e64 s3, 0, v1
	v_lshlrev_b32_e32 v1, 4, v14
	v_lshl_or_b32 v8, v11, 5, v5
	s_lshl_b64 s[42:43], s[26:27], 2
	v_subrev_nc_u32_e32 v7, s34, v14
	s_add_nc_u64 s[42:43], s[24:25], s[42:43]
	s_sub_co_i32 s44, 0, s39
	v_lshl_add_u32 v17, v11, 3, s35
	s_wait_kmcnt 0x0
	s_add_nc_u64 s[4:5], s[4:5], s[18:19]
	v_readfirstlane_b32 s41, v3
	s_wait_alu 0xfffe
	v_add_co_u32 v1, s4, s4, v1
	s_wait_alu 0xf1ff
	v_add_co_ci_u32_e64 v5, null, s5, 0, s4
	s_mul_f32 s19, s41, 0x4f7ffffe
	v_add_co_u32 v3, s4, v1, v4
	s_wait_alu 0xf1ff
	v_add_co_ci_u32_e64 v4, null, 0, v5, s4
	s_cvt_u32_f32 s5, s19
	v_add_co_u32 v5, s4, s42, v9
	s_wait_alu 0xf1ff
	v_add_co_ci_u32_e64 v6, null, s43, 0, s4
	s_wait_alu 0xfffe
	s_mul_i32 s44, s44, s5
	v_dual_mov_b32 v21, v13 :: v_dual_add_nc_u32 v18, 1, v7
	v_add_nc_u32_e32 v19, 0xe0, v8
	s_mul_hi_u32 s4, s5, s44
	s_mov_b32 s40, 0
	s_mov_b32 s19, s17
	s_wait_alu 0xfffe
	s_add_co_i32 s41, s5, s4
	s_branch .LBB246_13
.LBB246_11:                             ;   in Loop: Header=BB246_13 Depth=1
	s_wait_alu 0xfffe
	s_or_b32 exec_lo, exec_lo, s42
.LBB246_12:                             ;   in Loop: Header=BB246_13 Depth=1
	s_wait_alu 0xfffe
	s_or_b32 exec_lo, exec_lo, s5
	v_add_nc_u32_e32 v21, 4, v21
	v_add_co_u32 v5, s5, v5, 16
	s_wait_alu 0xf1ff
	v_add_co_ci_u32_e64 v6, null, 0, v6, s5
	s_delay_alu instid0(VALU_DEP_3)
	v_cmp_le_i32_e64 s4, s23, v21
	v_add_nc_u32_e32 v17, 32, v17
	v_add_nc_u32_e32 v19, 0x80, v19
	s_or_b32 s40, s4, s40
	s_wait_alu 0xfffe
	s_and_not1_b32 exec_lo, exec_lo, s40
	s_cbranch_execz .LBB246_212
.LBB246_13:                             ; =>This Inner Loop Header: Depth=1
	v_sub_nc_u32_e32 v1, 0, v17
	s_delay_alu instid0(VALU_DEP_1) | instskip(SKIP_1) | instid1(VALU_DEP_1)
	v_max_i32_e32 v1, v17, v1
	s_wait_dscnt 0x0
	v_mul_hi_u32 v7, v1, s22
	s_delay_alu instid0(VALU_DEP_1) | instskip(NEXT) | instid1(VALU_DEP_1)
	v_mul_lo_u32 v8, v7, s16
	v_sub_nc_u32_e32 v1, v1, v8
	v_add_nc_u32_e32 v8, 1, v7
	s_delay_alu instid0(VALU_DEP_2) | instskip(SKIP_2) | instid1(VALU_DEP_1)
	v_subrev_nc_u32_e32 v22, s16, v1
	v_cmp_le_u32_e64 s4, s16, v1
	s_wait_alu 0xf1ff
	v_cndmask_b32_e64 v7, v7, v8, s4
	s_delay_alu instid0(VALU_DEP_3) | instskip(SKIP_1) | instid1(VALU_DEP_3)
	v_cndmask_b32_e64 v1, v1, v22, s4
	v_ashrrev_i32_e32 v8, 31, v17
	v_add_nc_u32_e32 v22, 1, v7
	s_delay_alu instid0(VALU_DEP_3) | instskip(NEXT) | instid1(VALU_DEP_3)
	v_cmp_le_u32_e64 s4, s16, v1
	v_xor_b32_e32 v8, s15, v8
	s_wait_alu 0xf1ff
	s_delay_alu instid0(VALU_DEP_2) | instskip(NEXT) | instid1(VALU_DEP_1)
	v_cndmask_b32_e64 v1, v7, v22, s4
	v_xor_b32_e32 v1, v1, v8
	s_delay_alu instid0(VALU_DEP_1) | instskip(NEXT) | instid1(VALU_DEP_1)
	v_sub_nc_u32_e32 v1, v1, v8
	v_add_nc_u32_e32 v7, s21, v1
	v_cmp_ge_i32_e64 s5, s31, v1
	s_delay_alu instid0(VALU_DEP_2) | instskip(NEXT) | instid1(VALU_DEP_1)
	v_sub_nc_u32_e32 v8, 0, v7
	v_max_i32_e32 v8, v7, v8
	v_ashrrev_i32_e32 v7, 31, v7
	s_delay_alu instid0(VALU_DEP_2) | instskip(NEXT) | instid1(VALU_DEP_1)
	v_mul_hi_u32 v22, v8, s41
	v_mul_lo_u32 v22, v22, s39
	s_delay_alu instid0(VALU_DEP_1) | instskip(NEXT) | instid1(VALU_DEP_1)
	v_sub_nc_u32_e32 v8, v8, v22
	v_subrev_nc_u32_e32 v22, s39, v8
	v_cmp_le_u32_e64 s4, s39, v8
	s_wait_alu 0xf1ff
	s_delay_alu instid0(VALU_DEP_1) | instskip(NEXT) | instid1(VALU_DEP_1)
	v_cndmask_b32_e64 v8, v8, v22, s4
	v_subrev_nc_u32_e32 v22, s39, v8
	v_cmp_le_u32_e64 s4, s39, v8
	s_wait_alu 0xf1ff
	s_delay_alu instid0(VALU_DEP_1) | instskip(NEXT) | instid1(VALU_DEP_1)
	v_cndmask_b32_e64 v8, v8, v22, s4
	v_xor_b32_e32 v8, v8, v7
	s_delay_alu instid0(VALU_DEP_1) | instskip(NEXT) | instid1(VALU_DEP_1)
	v_sub_nc_u32_e32 v7, v8, v7
	v_cmp_ne_u32_e64 s4, 0, v7
	s_and_b32 s4, s4, s5
	s_wait_alu 0xfffe
	s_and_saveexec_b32 s5, s4
	s_wait_alu 0xfffe
	s_xor_b32 s4, exec_lo, s5
	s_cbranch_execz .LBB246_17
; %bb.14:                               ;   in Loop: Header=BB246_13 Depth=1
	s_and_saveexec_b32 s5, s3
; %bb.15:                               ;   in Loop: Header=BB246_13 Depth=1
	ds_store_b32 v19, v20
; %bb.16:                               ;   in Loop: Header=BB246_13 Depth=1
	s_wait_alu 0xfffe
	s_or_b32 exec_lo, exec_lo, s5
.LBB246_17:                             ;   in Loop: Header=BB246_13 Depth=1
	s_wait_alu 0xfffe
	s_and_not1_saveexec_b32 s5, s4
	s_cbranch_execz .LBB246_12
; %bb.18:                               ;   in Loop: Header=BB246_13 Depth=1
	global_load_b32 v1, v[5:6], off
	s_wait_loadcnt 0x0
	v_mad_co_i64_i32 v[7:8], null, v1, s19, v[3:4]
	global_load_u16 v1, v[7:8], off
	s_wait_loadcnt 0x0
	v_dual_mov_b32 v23, 0 :: v_dual_and_b32 v24, 0xff, v1
	global_load_b32 v22, v23, s[8:9]
	v_and_b32_e32 v1, 0xffff, v1
	v_cmp_ne_u16_e64 s4, 0, v24
	v_mov_b32_e32 v24, 0
	s_and_saveexec_b32 s42, s4
	s_cbranch_execz .LBB246_26
; %bb.19:                               ;   in Loop: Header=BB246_13 Depth=1
	v_and_b32_e32 v24, 0xff, v1
	s_delay_alu instid0(VALU_DEP_1)
	v_cmp_ne_u16_e64 s4, 0x80, v24
	v_mov_b32_e32 v24, 0x8000
	s_and_saveexec_b32 s43, s4
	s_cbranch_execz .LBB246_25
; %bb.20:                               ;   in Loop: Header=BB246_13 Depth=1
	v_and_b32_e32 v26, 0x7f, v1
	v_mov_b32_e32 v24, 0x7c01
	s_mov_b32 s44, exec_lo
	s_delay_alu instid0(VALU_DEP_2)
	v_cmpx_ne_u32_e32 0x7f, v26
	s_cbranch_execz .LBB246_24
; %bb.21:                               ;   in Loop: Header=BB246_13 Depth=1
	v_and_b32_e32 v24, 7, v1
	v_lshrrev_b32_e32 v25, 3, v26
	s_mov_b32 s45, exec_lo
	v_cmpx_gt_u32_e32 8, v26
; %bb.22:                               ;   in Loop: Header=BB246_13 Depth=1
	s_delay_alu instid0(VALU_DEP_3) | instskip(NEXT) | instid1(VALU_DEP_1)
	v_clz_i32_u32_e32 v24, v24
	v_min_u32_e32 v26, 32, v24
	s_delay_alu instid0(VALU_DEP_1) | instskip(NEXT) | instid1(VALU_DEP_1)
	v_subrev_nc_u32_e32 v24, 28, v26
	v_lshlrev_b64_e32 v[24:25], v24, v[1:2]
	v_sub_nc_u32_e32 v25, 29, v26
	s_delay_alu instid0(VALU_DEP_2)
	v_and_b32_e32 v24, 7, v24
; %bb.23:                               ;   in Loop: Header=BB246_13 Depth=1
	s_or_b32 exec_lo, exec_lo, s45
	v_lshlrev_b32_e32 v26, 8, v1
	s_delay_alu instid0(VALU_DEP_3) | instskip(NEXT) | instid1(VALU_DEP_3)
	v_lshl_add_u32 v25, v25, 10, 0x2000
	v_lshlrev_b32_e32 v24, 7, v24
	s_delay_alu instid0(VALU_DEP_3) | instskip(NEXT) | instid1(VALU_DEP_3)
	v_and_b32_e32 v26, 0x8000, v26
	v_and_b32_e32 v25, 0xfc00, v25
	s_delay_alu instid0(VALU_DEP_1)
	v_or3_b32 v24, v26, v25, v24
.LBB246_24:                             ;   in Loop: Header=BB246_13 Depth=1
	s_or_b32 exec_lo, exec_lo, s44
.LBB246_25:                             ;   in Loop: Header=BB246_13 Depth=1
	s_wait_alu 0xfffe
	s_or_b32 exec_lo, exec_lo, s43
.LBB246_26:                             ;   in Loop: Header=BB246_13 Depth=1
	s_wait_alu 0xfffe
	s_or_b32 exec_lo, exec_lo, s42
	v_lshrrev_b16 v1, 8, v1
	s_mov_b32 s42, exec_lo
	s_delay_alu instid0(VALU_DEP_1)
	v_cmpx_ne_u16_e32 0, v1
	s_cbranch_execz .LBB246_34
; %bb.27:                               ;   in Loop: Header=BB246_13 Depth=1
	v_bfrev_b32_e32 v23, 1
	s_mov_b32 s43, exec_lo
	v_cmpx_ne_u16_e32 0x80, v1
	s_cbranch_execz .LBB246_33
; %bb.28:                               ;   in Loop: Header=BB246_13 Depth=1
	v_and_b32_e32 v25, 0xffff, v1
	v_mov_b32_e32 v23, 0x7c010000
	s_mov_b32 s44, exec_lo
	s_delay_alu instid0(VALU_DEP_2) | instskip(NEXT) | instid1(VALU_DEP_1)
	v_and_b32_e32 v27, 0x7f, v25
	v_cmpx_ne_u32_e32 0x7f, v27
	s_cbranch_execz .LBB246_32
; %bb.29:                               ;   in Loop: Header=BB246_13 Depth=1
	v_and_b32_e32 v23, 7, v25
	v_lshrrev_b32_e32 v26, 3, v27
	s_mov_b32 s45, exec_lo
	v_cmpx_gt_u32_e32 8, v27
; %bb.30:                               ;   in Loop: Header=BB246_13 Depth=1
	s_delay_alu instid0(VALU_DEP_3) | instskip(NEXT) | instid1(VALU_DEP_1)
	v_clz_i32_u32_e32 v23, v23
	v_min_u32_e32 v23, 32, v23
	s_delay_alu instid0(VALU_DEP_1) | instskip(NEXT) | instid1(VALU_DEP_1)
	v_subrev_nc_u32_e32 v26, 28, v23
	v_lshlrev_b64_e32 v[27:28], v26, v[1:2]
	v_sub_nc_u32_e32 v26, 29, v23
	s_delay_alu instid0(VALU_DEP_2)
	v_and_b32_e32 v23, 7, v27
; %bb.31:                               ;   in Loop: Header=BB246_13 Depth=1
	s_or_b32 exec_lo, exec_lo, s45
	v_lshlrev_b32_e32 v1, 8, v25
	s_delay_alu instid0(VALU_DEP_3) | instskip(NEXT) | instid1(VALU_DEP_3)
	v_lshl_add_u32 v25, v26, 10, 0x2000
	v_lshlrev_b32_e32 v23, 23, v23
	s_delay_alu instid0(VALU_DEP_2) | instskip(NEXT) | instid1(VALU_DEP_1)
	v_and_or_b32 v1, 0x8000, v1, v25
	v_lshl_or_b32 v23, v1, 16, v23
.LBB246_32:                             ;   in Loop: Header=BB246_13 Depth=1
	s_or_b32 exec_lo, exec_lo, s44
.LBB246_33:                             ;   in Loop: Header=BB246_13 Depth=1
	s_wait_alu 0xfffe
	s_or_b32 exec_lo, exec_lo, s43
.LBB246_34:                             ;   in Loop: Header=BB246_13 Depth=1
	s_wait_alu 0xfffe
	s_or_b32 exec_lo, exec_lo, s42
	global_load_u16 v1, v[7:8], off offset:8
	s_wait_loadcnt 0x0
	v_dual_mov_b32 v25, 0 :: v_dual_and_b32 v26, 0xff, v1
	v_and_b32_e32 v1, 0xffff, v1
	s_delay_alu instid0(VALU_DEP_2)
	v_cmp_ne_u16_e64 s4, 0, v26
	v_mov_b32_e32 v26, 0
	s_and_saveexec_b32 s42, s4
	s_cbranch_execz .LBB246_42
; %bb.35:                               ;   in Loop: Header=BB246_13 Depth=1
	v_and_b32_e32 v26, 0xff, v1
	s_delay_alu instid0(VALU_DEP_1)
	v_cmp_ne_u16_e64 s4, 0x80, v26
	v_mov_b32_e32 v26, 0x8000
	s_and_saveexec_b32 s43, s4
	s_cbranch_execz .LBB246_41
; %bb.36:                               ;   in Loop: Header=BB246_13 Depth=1
	v_and_b32_e32 v28, 0x7f, v1
	v_mov_b32_e32 v26, 0x7c01
	s_mov_b32 s44, exec_lo
	s_delay_alu instid0(VALU_DEP_2)
	v_cmpx_ne_u32_e32 0x7f, v28
	s_cbranch_execz .LBB246_40
; %bb.37:                               ;   in Loop: Header=BB246_13 Depth=1
	v_and_b32_e32 v26, 7, v1
	v_lshrrev_b32_e32 v27, 3, v28
	s_mov_b32 s45, exec_lo
	v_cmpx_gt_u32_e32 8, v28
; %bb.38:                               ;   in Loop: Header=BB246_13 Depth=1
	s_delay_alu instid0(VALU_DEP_3) | instskip(NEXT) | instid1(VALU_DEP_1)
	v_clz_i32_u32_e32 v26, v26
	v_min_u32_e32 v28, 32, v26
	s_delay_alu instid0(VALU_DEP_1) | instskip(NEXT) | instid1(VALU_DEP_1)
	v_subrev_nc_u32_e32 v26, 28, v28
	v_lshlrev_b64_e32 v[26:27], v26, v[1:2]
	v_sub_nc_u32_e32 v27, 29, v28
	s_delay_alu instid0(VALU_DEP_2)
	v_and_b32_e32 v26, 7, v26
; %bb.39:                               ;   in Loop: Header=BB246_13 Depth=1
	s_or_b32 exec_lo, exec_lo, s45
	v_lshlrev_b32_e32 v28, 8, v1
	s_delay_alu instid0(VALU_DEP_3) | instskip(NEXT) | instid1(VALU_DEP_3)
	v_lshl_add_u32 v27, v27, 10, 0x2000
	v_lshlrev_b32_e32 v26, 7, v26
	s_delay_alu instid0(VALU_DEP_3) | instskip(NEXT) | instid1(VALU_DEP_3)
	v_and_b32_e32 v28, 0x8000, v28
	v_and_b32_e32 v27, 0xfc00, v27
	s_delay_alu instid0(VALU_DEP_1)
	v_or3_b32 v26, v28, v27, v26
.LBB246_40:                             ;   in Loop: Header=BB246_13 Depth=1
	s_or_b32 exec_lo, exec_lo, s44
.LBB246_41:                             ;   in Loop: Header=BB246_13 Depth=1
	s_wait_alu 0xfffe
	s_or_b32 exec_lo, exec_lo, s43
.LBB246_42:                             ;   in Loop: Header=BB246_13 Depth=1
	s_wait_alu 0xfffe
	s_or_b32 exec_lo, exec_lo, s42
	v_lshrrev_b16 v1, 8, v1
	s_mov_b32 s42, exec_lo
	s_delay_alu instid0(VALU_DEP_1)
	v_cmpx_ne_u16_e32 0, v1
	s_cbranch_execz .LBB246_50
; %bb.43:                               ;   in Loop: Header=BB246_13 Depth=1
	v_bfrev_b32_e32 v25, 1
	s_mov_b32 s43, exec_lo
	v_cmpx_ne_u16_e32 0x80, v1
	s_cbranch_execz .LBB246_49
; %bb.44:                               ;   in Loop: Header=BB246_13 Depth=1
	v_and_b32_e32 v27, 0xffff, v1
	v_mov_b32_e32 v25, 0x7c010000
	s_mov_b32 s44, exec_lo
	s_delay_alu instid0(VALU_DEP_2) | instskip(NEXT) | instid1(VALU_DEP_1)
	v_and_b32_e32 v29, 0x7f, v27
	v_cmpx_ne_u32_e32 0x7f, v29
	s_cbranch_execz .LBB246_48
; %bb.45:                               ;   in Loop: Header=BB246_13 Depth=1
	v_and_b32_e32 v25, 7, v27
	v_lshrrev_b32_e32 v28, 3, v29
	s_mov_b32 s45, exec_lo
	v_cmpx_gt_u32_e32 8, v29
; %bb.46:                               ;   in Loop: Header=BB246_13 Depth=1
	s_delay_alu instid0(VALU_DEP_3) | instskip(NEXT) | instid1(VALU_DEP_1)
	v_clz_i32_u32_e32 v25, v25
	v_min_u32_e32 v25, 32, v25
	s_delay_alu instid0(VALU_DEP_1) | instskip(NEXT) | instid1(VALU_DEP_1)
	v_subrev_nc_u32_e32 v28, 28, v25
	v_lshlrev_b64_e32 v[29:30], v28, v[1:2]
	v_sub_nc_u32_e32 v28, 29, v25
	s_delay_alu instid0(VALU_DEP_2)
	v_and_b32_e32 v25, 7, v29
; %bb.47:                               ;   in Loop: Header=BB246_13 Depth=1
	s_or_b32 exec_lo, exec_lo, s45
	v_lshlrev_b32_e32 v1, 8, v27
	s_delay_alu instid0(VALU_DEP_3) | instskip(NEXT) | instid1(VALU_DEP_3)
	v_lshl_add_u32 v27, v28, 10, 0x2000
	v_lshlrev_b32_e32 v25, 23, v25
	s_delay_alu instid0(VALU_DEP_2) | instskip(NEXT) | instid1(VALU_DEP_1)
	v_and_or_b32 v1, 0x8000, v1, v27
	v_lshl_or_b32 v25, v1, 16, v25
.LBB246_48:                             ;   in Loop: Header=BB246_13 Depth=1
	s_or_b32 exec_lo, exec_lo, s44
.LBB246_49:                             ;   in Loop: Header=BB246_13 Depth=1
	s_wait_alu 0xfffe
	s_or_b32 exec_lo, exec_lo, s43
.LBB246_50:                             ;   in Loop: Header=BB246_13 Depth=1
	s_wait_alu 0xfffe
	s_or_b32 exec_lo, exec_lo, s42
	global_load_u16 v1, v[7:8], off offset:128
	s_wait_loadcnt 0x0
	v_dual_mov_b32 v27, 0 :: v_dual_and_b32 v28, 0xff, v1
	v_and_b32_e32 v1, 0xffff, v1
	s_delay_alu instid0(VALU_DEP_2)
	v_cmp_ne_u16_e64 s4, 0, v28
	v_mov_b32_e32 v28, 0
	s_and_saveexec_b32 s42, s4
	s_cbranch_execz .LBB246_58
; %bb.51:                               ;   in Loop: Header=BB246_13 Depth=1
	v_and_b32_e32 v28, 0xff, v1
	s_delay_alu instid0(VALU_DEP_1)
	v_cmp_ne_u16_e64 s4, 0x80, v28
	v_mov_b32_e32 v28, 0x8000
	s_and_saveexec_b32 s43, s4
	s_cbranch_execz .LBB246_57
; %bb.52:                               ;   in Loop: Header=BB246_13 Depth=1
	v_and_b32_e32 v30, 0x7f, v1
	v_mov_b32_e32 v28, 0x7c01
	s_mov_b32 s44, exec_lo
	s_delay_alu instid0(VALU_DEP_2)
	v_cmpx_ne_u32_e32 0x7f, v30
	s_cbranch_execz .LBB246_56
; %bb.53:                               ;   in Loop: Header=BB246_13 Depth=1
	v_and_b32_e32 v28, 7, v1
	v_lshrrev_b32_e32 v29, 3, v30
	s_mov_b32 s45, exec_lo
	v_cmpx_gt_u32_e32 8, v30
; %bb.54:                               ;   in Loop: Header=BB246_13 Depth=1
	s_delay_alu instid0(VALU_DEP_3) | instskip(NEXT) | instid1(VALU_DEP_1)
	v_clz_i32_u32_e32 v28, v28
	v_min_u32_e32 v30, 32, v28
	s_delay_alu instid0(VALU_DEP_1) | instskip(NEXT) | instid1(VALU_DEP_1)
	v_subrev_nc_u32_e32 v28, 28, v30
	v_lshlrev_b64_e32 v[28:29], v28, v[1:2]
	v_sub_nc_u32_e32 v29, 29, v30
	s_delay_alu instid0(VALU_DEP_2)
	v_and_b32_e32 v28, 7, v28
; %bb.55:                               ;   in Loop: Header=BB246_13 Depth=1
	s_or_b32 exec_lo, exec_lo, s45
	v_lshlrev_b32_e32 v30, 8, v1
	s_delay_alu instid0(VALU_DEP_3) | instskip(NEXT) | instid1(VALU_DEP_3)
	v_lshl_add_u32 v29, v29, 10, 0x2000
	v_lshlrev_b32_e32 v28, 7, v28
	s_delay_alu instid0(VALU_DEP_3) | instskip(NEXT) | instid1(VALU_DEP_3)
	v_and_b32_e32 v30, 0x8000, v30
	v_and_b32_e32 v29, 0xfc00, v29
	s_delay_alu instid0(VALU_DEP_1)
	v_or3_b32 v28, v30, v29, v28
.LBB246_56:                             ;   in Loop: Header=BB246_13 Depth=1
	s_or_b32 exec_lo, exec_lo, s44
.LBB246_57:                             ;   in Loop: Header=BB246_13 Depth=1
	s_wait_alu 0xfffe
	s_or_b32 exec_lo, exec_lo, s43
.LBB246_58:                             ;   in Loop: Header=BB246_13 Depth=1
	s_wait_alu 0xfffe
	s_or_b32 exec_lo, exec_lo, s42
	v_lshrrev_b16 v1, 8, v1
	s_mov_b32 s42, exec_lo
	s_delay_alu instid0(VALU_DEP_1)
	v_cmpx_ne_u16_e32 0, v1
	s_cbranch_execz .LBB246_66
; %bb.59:                               ;   in Loop: Header=BB246_13 Depth=1
	v_bfrev_b32_e32 v27, 1
	s_mov_b32 s43, exec_lo
	v_cmpx_ne_u16_e32 0x80, v1
	s_cbranch_execz .LBB246_65
; %bb.60:                               ;   in Loop: Header=BB246_13 Depth=1
	v_and_b32_e32 v29, 0xffff, v1
	v_mov_b32_e32 v27, 0x7c010000
	s_mov_b32 s44, exec_lo
	s_delay_alu instid0(VALU_DEP_2) | instskip(NEXT) | instid1(VALU_DEP_1)
	v_and_b32_e32 v31, 0x7f, v29
	v_cmpx_ne_u32_e32 0x7f, v31
	s_cbranch_execz .LBB246_64
; %bb.61:                               ;   in Loop: Header=BB246_13 Depth=1
	v_and_b32_e32 v27, 7, v29
	v_lshrrev_b32_e32 v30, 3, v31
	s_mov_b32 s45, exec_lo
	v_cmpx_gt_u32_e32 8, v31
; %bb.62:                               ;   in Loop: Header=BB246_13 Depth=1
	s_delay_alu instid0(VALU_DEP_3) | instskip(NEXT) | instid1(VALU_DEP_1)
	v_clz_i32_u32_e32 v27, v27
	v_min_u32_e32 v27, 32, v27
	s_delay_alu instid0(VALU_DEP_1) | instskip(NEXT) | instid1(VALU_DEP_1)
	v_subrev_nc_u32_e32 v30, 28, v27
	v_lshlrev_b64_e32 v[31:32], v30, v[1:2]
	v_sub_nc_u32_e32 v30, 29, v27
	s_delay_alu instid0(VALU_DEP_2)
	v_and_b32_e32 v27, 7, v31
; %bb.63:                               ;   in Loop: Header=BB246_13 Depth=1
	s_or_b32 exec_lo, exec_lo, s45
	v_lshlrev_b32_e32 v1, 8, v29
	s_delay_alu instid0(VALU_DEP_3) | instskip(NEXT) | instid1(VALU_DEP_3)
	v_lshl_add_u32 v29, v30, 10, 0x2000
	v_lshlrev_b32_e32 v27, 23, v27
	s_delay_alu instid0(VALU_DEP_2) | instskip(NEXT) | instid1(VALU_DEP_1)
	v_and_or_b32 v1, 0x8000, v1, v29
	v_lshl_or_b32 v27, v1, 16, v27
.LBB246_64:                             ;   in Loop: Header=BB246_13 Depth=1
	s_or_b32 exec_lo, exec_lo, s44
.LBB246_65:                             ;   in Loop: Header=BB246_13 Depth=1
	s_wait_alu 0xfffe
	s_or_b32 exec_lo, exec_lo, s43
.LBB246_66:                             ;   in Loop: Header=BB246_13 Depth=1
	s_wait_alu 0xfffe
	s_or_b32 exec_lo, exec_lo, s42
	global_load_u16 v1, v[7:8], off offset:136
	s_wait_loadcnt 0x0
	v_dual_mov_b32 v29, 0 :: v_dual_and_b32 v30, 0xff, v1
	v_and_b32_e32 v1, 0xffff, v1
	s_delay_alu instid0(VALU_DEP_2)
	v_cmp_ne_u16_e64 s4, 0, v30
	v_mov_b32_e32 v30, 0
	s_and_saveexec_b32 s42, s4
	s_cbranch_execz .LBB246_74
; %bb.67:                               ;   in Loop: Header=BB246_13 Depth=1
	v_and_b32_e32 v30, 0xff, v1
	s_delay_alu instid0(VALU_DEP_1)
	v_cmp_ne_u16_e64 s4, 0x80, v30
	v_mov_b32_e32 v30, 0x8000
	s_and_saveexec_b32 s43, s4
	s_cbranch_execz .LBB246_73
; %bb.68:                               ;   in Loop: Header=BB246_13 Depth=1
	v_and_b32_e32 v32, 0x7f, v1
	v_mov_b32_e32 v30, 0x7c01
	s_mov_b32 s44, exec_lo
	s_delay_alu instid0(VALU_DEP_2)
	v_cmpx_ne_u32_e32 0x7f, v32
	s_cbranch_execz .LBB246_72
; %bb.69:                               ;   in Loop: Header=BB246_13 Depth=1
	v_and_b32_e32 v30, 7, v1
	v_lshrrev_b32_e32 v31, 3, v32
	s_mov_b32 s45, exec_lo
	v_cmpx_gt_u32_e32 8, v32
; %bb.70:                               ;   in Loop: Header=BB246_13 Depth=1
	s_delay_alu instid0(VALU_DEP_3) | instskip(NEXT) | instid1(VALU_DEP_1)
	v_clz_i32_u32_e32 v30, v30
	v_min_u32_e32 v32, 32, v30
	s_delay_alu instid0(VALU_DEP_1) | instskip(NEXT) | instid1(VALU_DEP_1)
	v_subrev_nc_u32_e32 v30, 28, v32
	v_lshlrev_b64_e32 v[30:31], v30, v[1:2]
	v_sub_nc_u32_e32 v31, 29, v32
	s_delay_alu instid0(VALU_DEP_2)
	v_and_b32_e32 v30, 7, v30
; %bb.71:                               ;   in Loop: Header=BB246_13 Depth=1
	s_or_b32 exec_lo, exec_lo, s45
	v_lshlrev_b32_e32 v32, 8, v1
	s_delay_alu instid0(VALU_DEP_3) | instskip(NEXT) | instid1(VALU_DEP_3)
	v_lshl_add_u32 v31, v31, 10, 0x2000
	v_lshlrev_b32_e32 v30, 7, v30
	s_delay_alu instid0(VALU_DEP_3) | instskip(NEXT) | instid1(VALU_DEP_3)
	v_and_b32_e32 v32, 0x8000, v32
	v_and_b32_e32 v31, 0xfc00, v31
	s_delay_alu instid0(VALU_DEP_1)
	v_or3_b32 v30, v32, v31, v30
.LBB246_72:                             ;   in Loop: Header=BB246_13 Depth=1
	s_or_b32 exec_lo, exec_lo, s44
.LBB246_73:                             ;   in Loop: Header=BB246_13 Depth=1
	s_wait_alu 0xfffe
	s_or_b32 exec_lo, exec_lo, s43
.LBB246_74:                             ;   in Loop: Header=BB246_13 Depth=1
	s_wait_alu 0xfffe
	s_or_b32 exec_lo, exec_lo, s42
	v_lshrrev_b16 v1, 8, v1
	s_mov_b32 s42, exec_lo
	s_delay_alu instid0(VALU_DEP_1)
	v_cmpx_ne_u16_e32 0, v1
	s_cbranch_execz .LBB246_82
; %bb.75:                               ;   in Loop: Header=BB246_13 Depth=1
	v_bfrev_b32_e32 v29, 1
	s_mov_b32 s43, exec_lo
	v_cmpx_ne_u16_e32 0x80, v1
	s_cbranch_execz .LBB246_81
; %bb.76:                               ;   in Loop: Header=BB246_13 Depth=1
	v_and_b32_e32 v31, 0xffff, v1
	v_mov_b32_e32 v29, 0x7c010000
	s_mov_b32 s44, exec_lo
	s_delay_alu instid0(VALU_DEP_2) | instskip(NEXT) | instid1(VALU_DEP_1)
	v_and_b32_e32 v33, 0x7f, v31
	v_cmpx_ne_u32_e32 0x7f, v33
	s_cbranch_execz .LBB246_80
; %bb.77:                               ;   in Loop: Header=BB246_13 Depth=1
	v_and_b32_e32 v29, 7, v31
	v_lshrrev_b32_e32 v32, 3, v33
	s_mov_b32 s45, exec_lo
	v_cmpx_gt_u32_e32 8, v33
; %bb.78:                               ;   in Loop: Header=BB246_13 Depth=1
	s_delay_alu instid0(VALU_DEP_3) | instskip(NEXT) | instid1(VALU_DEP_1)
	v_clz_i32_u32_e32 v29, v29
	v_min_u32_e32 v29, 32, v29
	s_delay_alu instid0(VALU_DEP_1) | instskip(NEXT) | instid1(VALU_DEP_1)
	v_subrev_nc_u32_e32 v32, 28, v29
	v_lshlrev_b64_e32 v[33:34], v32, v[1:2]
	v_sub_nc_u32_e32 v32, 29, v29
	s_delay_alu instid0(VALU_DEP_2)
	v_and_b32_e32 v29, 7, v33
; %bb.79:                               ;   in Loop: Header=BB246_13 Depth=1
	s_or_b32 exec_lo, exec_lo, s45
	v_lshlrev_b32_e32 v1, 8, v31
	s_delay_alu instid0(VALU_DEP_3) | instskip(NEXT) | instid1(VALU_DEP_3)
	v_lshl_add_u32 v31, v32, 10, 0x2000
	v_lshlrev_b32_e32 v29, 23, v29
	s_delay_alu instid0(VALU_DEP_2) | instskip(NEXT) | instid1(VALU_DEP_1)
	v_and_or_b32 v1, 0x8000, v1, v31
	v_lshl_or_b32 v29, v1, 16, v29
.LBB246_80:                             ;   in Loop: Header=BB246_13 Depth=1
	s_or_b32 exec_lo, exec_lo, s44
.LBB246_81:                             ;   in Loop: Header=BB246_13 Depth=1
	s_wait_alu 0xfffe
	s_or_b32 exec_lo, exec_lo, s43
.LBB246_82:                             ;   in Loop: Header=BB246_13 Depth=1
	s_wait_alu 0xfffe
	s_or_b32 exec_lo, exec_lo, s42
	global_load_u16 v1, v[7:8], off offset:256
	s_wait_loadcnt 0x0
	v_dual_mov_b32 v31, 0 :: v_dual_and_b32 v32, 0xff, v1
	v_and_b32_e32 v1, 0xffff, v1
	s_delay_alu instid0(VALU_DEP_2)
	v_cmp_ne_u16_e64 s4, 0, v32
	v_mov_b32_e32 v32, 0
	s_and_saveexec_b32 s42, s4
	s_cbranch_execz .LBB246_90
; %bb.83:                               ;   in Loop: Header=BB246_13 Depth=1
	v_and_b32_e32 v32, 0xff, v1
	s_delay_alu instid0(VALU_DEP_1)
	v_cmp_ne_u16_e64 s4, 0x80, v32
	v_mov_b32_e32 v32, 0x8000
	s_and_saveexec_b32 s43, s4
	s_cbranch_execz .LBB246_89
; %bb.84:                               ;   in Loop: Header=BB246_13 Depth=1
	v_and_b32_e32 v34, 0x7f, v1
	v_mov_b32_e32 v32, 0x7c01
	s_mov_b32 s44, exec_lo
	s_delay_alu instid0(VALU_DEP_2)
	v_cmpx_ne_u32_e32 0x7f, v34
	s_cbranch_execz .LBB246_88
; %bb.85:                               ;   in Loop: Header=BB246_13 Depth=1
	v_and_b32_e32 v32, 7, v1
	v_lshrrev_b32_e32 v33, 3, v34
	s_mov_b32 s45, exec_lo
	v_cmpx_gt_u32_e32 8, v34
; %bb.86:                               ;   in Loop: Header=BB246_13 Depth=1
	s_delay_alu instid0(VALU_DEP_3) | instskip(NEXT) | instid1(VALU_DEP_1)
	v_clz_i32_u32_e32 v32, v32
	v_min_u32_e32 v34, 32, v32
	s_delay_alu instid0(VALU_DEP_1) | instskip(NEXT) | instid1(VALU_DEP_1)
	v_subrev_nc_u32_e32 v32, 28, v34
	v_lshlrev_b64_e32 v[32:33], v32, v[1:2]
	v_sub_nc_u32_e32 v33, 29, v34
	s_delay_alu instid0(VALU_DEP_2)
	v_and_b32_e32 v32, 7, v32
; %bb.87:                               ;   in Loop: Header=BB246_13 Depth=1
	s_or_b32 exec_lo, exec_lo, s45
	v_lshlrev_b32_e32 v34, 8, v1
	s_delay_alu instid0(VALU_DEP_3) | instskip(NEXT) | instid1(VALU_DEP_3)
	v_lshl_add_u32 v33, v33, 10, 0x2000
	v_lshlrev_b32_e32 v32, 7, v32
	s_delay_alu instid0(VALU_DEP_3) | instskip(NEXT) | instid1(VALU_DEP_3)
	v_and_b32_e32 v34, 0x8000, v34
	v_and_b32_e32 v33, 0xfc00, v33
	s_delay_alu instid0(VALU_DEP_1)
	v_or3_b32 v32, v34, v33, v32
.LBB246_88:                             ;   in Loop: Header=BB246_13 Depth=1
	s_or_b32 exec_lo, exec_lo, s44
.LBB246_89:                             ;   in Loop: Header=BB246_13 Depth=1
	s_wait_alu 0xfffe
	s_or_b32 exec_lo, exec_lo, s43
.LBB246_90:                             ;   in Loop: Header=BB246_13 Depth=1
	s_wait_alu 0xfffe
	s_or_b32 exec_lo, exec_lo, s42
	v_lshrrev_b16 v1, 8, v1
	s_mov_b32 s42, exec_lo
	s_delay_alu instid0(VALU_DEP_1)
	v_cmpx_ne_u16_e32 0, v1
	s_cbranch_execz .LBB246_98
; %bb.91:                               ;   in Loop: Header=BB246_13 Depth=1
	v_bfrev_b32_e32 v31, 1
	s_mov_b32 s43, exec_lo
	v_cmpx_ne_u16_e32 0x80, v1
	s_cbranch_execz .LBB246_97
; %bb.92:                               ;   in Loop: Header=BB246_13 Depth=1
	v_and_b32_e32 v33, 0xffff, v1
	v_mov_b32_e32 v31, 0x7c010000
	s_mov_b32 s44, exec_lo
	s_delay_alu instid0(VALU_DEP_2) | instskip(NEXT) | instid1(VALU_DEP_1)
	v_and_b32_e32 v35, 0x7f, v33
	v_cmpx_ne_u32_e32 0x7f, v35
	s_cbranch_execz .LBB246_96
; %bb.93:                               ;   in Loop: Header=BB246_13 Depth=1
	v_and_b32_e32 v31, 7, v33
	v_lshrrev_b32_e32 v34, 3, v35
	s_mov_b32 s45, exec_lo
	v_cmpx_gt_u32_e32 8, v35
; %bb.94:                               ;   in Loop: Header=BB246_13 Depth=1
	s_delay_alu instid0(VALU_DEP_3) | instskip(NEXT) | instid1(VALU_DEP_1)
	v_clz_i32_u32_e32 v31, v31
	v_min_u32_e32 v31, 32, v31
	s_delay_alu instid0(VALU_DEP_1) | instskip(NEXT) | instid1(VALU_DEP_1)
	v_subrev_nc_u32_e32 v34, 28, v31
	v_lshlrev_b64_e32 v[35:36], v34, v[1:2]
	v_sub_nc_u32_e32 v34, 29, v31
	s_delay_alu instid0(VALU_DEP_2)
	v_and_b32_e32 v31, 7, v35
; %bb.95:                               ;   in Loop: Header=BB246_13 Depth=1
	s_or_b32 exec_lo, exec_lo, s45
	v_lshlrev_b32_e32 v1, 8, v33
	s_delay_alu instid0(VALU_DEP_3) | instskip(NEXT) | instid1(VALU_DEP_3)
	v_lshl_add_u32 v33, v34, 10, 0x2000
	v_lshlrev_b32_e32 v31, 23, v31
	s_delay_alu instid0(VALU_DEP_2) | instskip(NEXT) | instid1(VALU_DEP_1)
	v_and_or_b32 v1, 0x8000, v1, v33
	v_lshl_or_b32 v31, v1, 16, v31
.LBB246_96:                             ;   in Loop: Header=BB246_13 Depth=1
	s_or_b32 exec_lo, exec_lo, s44
.LBB246_97:                             ;   in Loop: Header=BB246_13 Depth=1
	s_wait_alu 0xfffe
	s_or_b32 exec_lo, exec_lo, s43
.LBB246_98:                             ;   in Loop: Header=BB246_13 Depth=1
	s_wait_alu 0xfffe
	s_or_b32 exec_lo, exec_lo, s42
	global_load_u16 v1, v[7:8], off offset:264
	s_wait_loadcnt 0x0
	v_dual_mov_b32 v33, 0 :: v_dual_and_b32 v34, 0xff, v1
	v_and_b32_e32 v1, 0xffff, v1
	s_delay_alu instid0(VALU_DEP_2)
	v_cmp_ne_u16_e64 s4, 0, v34
	v_mov_b32_e32 v34, 0
	s_and_saveexec_b32 s42, s4
	s_cbranch_execz .LBB246_106
; %bb.99:                               ;   in Loop: Header=BB246_13 Depth=1
	v_and_b32_e32 v34, 0xff, v1
	s_delay_alu instid0(VALU_DEP_1)
	v_cmp_ne_u16_e64 s4, 0x80, v34
	v_mov_b32_e32 v34, 0x8000
	s_and_saveexec_b32 s43, s4
	s_cbranch_execz .LBB246_105
; %bb.100:                              ;   in Loop: Header=BB246_13 Depth=1
	v_and_b32_e32 v36, 0x7f, v1
	v_mov_b32_e32 v34, 0x7c01
	s_mov_b32 s44, exec_lo
	s_delay_alu instid0(VALU_DEP_2)
	v_cmpx_ne_u32_e32 0x7f, v36
	s_cbranch_execz .LBB246_104
; %bb.101:                              ;   in Loop: Header=BB246_13 Depth=1
	v_and_b32_e32 v34, 7, v1
	v_lshrrev_b32_e32 v35, 3, v36
	s_mov_b32 s45, exec_lo
	v_cmpx_gt_u32_e32 8, v36
; %bb.102:                              ;   in Loop: Header=BB246_13 Depth=1
	s_delay_alu instid0(VALU_DEP_3) | instskip(NEXT) | instid1(VALU_DEP_1)
	v_clz_i32_u32_e32 v34, v34
	v_min_u32_e32 v36, 32, v34
	s_delay_alu instid0(VALU_DEP_1) | instskip(NEXT) | instid1(VALU_DEP_1)
	v_subrev_nc_u32_e32 v34, 28, v36
	v_lshlrev_b64_e32 v[34:35], v34, v[1:2]
	v_sub_nc_u32_e32 v35, 29, v36
	s_delay_alu instid0(VALU_DEP_2)
	v_and_b32_e32 v34, 7, v34
; %bb.103:                              ;   in Loop: Header=BB246_13 Depth=1
	s_or_b32 exec_lo, exec_lo, s45
	v_lshlrev_b32_e32 v36, 8, v1
	s_delay_alu instid0(VALU_DEP_3) | instskip(NEXT) | instid1(VALU_DEP_3)
	v_lshl_add_u32 v35, v35, 10, 0x2000
	v_lshlrev_b32_e32 v34, 7, v34
	s_delay_alu instid0(VALU_DEP_3) | instskip(NEXT) | instid1(VALU_DEP_3)
	v_and_b32_e32 v36, 0x8000, v36
	v_and_b32_e32 v35, 0xfc00, v35
	s_delay_alu instid0(VALU_DEP_1)
	v_or3_b32 v34, v36, v35, v34
.LBB246_104:                            ;   in Loop: Header=BB246_13 Depth=1
	s_or_b32 exec_lo, exec_lo, s44
.LBB246_105:                            ;   in Loop: Header=BB246_13 Depth=1
	s_wait_alu 0xfffe
	s_or_b32 exec_lo, exec_lo, s43
.LBB246_106:                            ;   in Loop: Header=BB246_13 Depth=1
	s_wait_alu 0xfffe
	s_or_b32 exec_lo, exec_lo, s42
	v_lshrrev_b16 v1, 8, v1
	s_mov_b32 s42, exec_lo
	s_delay_alu instid0(VALU_DEP_1)
	v_cmpx_ne_u16_e32 0, v1
	s_cbranch_execz .LBB246_114
; %bb.107:                              ;   in Loop: Header=BB246_13 Depth=1
	v_bfrev_b32_e32 v33, 1
	s_mov_b32 s43, exec_lo
	v_cmpx_ne_u16_e32 0x80, v1
	s_cbranch_execz .LBB246_113
; %bb.108:                              ;   in Loop: Header=BB246_13 Depth=1
	v_and_b32_e32 v35, 0xffff, v1
	v_mov_b32_e32 v33, 0x7c010000
	s_mov_b32 s44, exec_lo
	s_delay_alu instid0(VALU_DEP_2) | instskip(NEXT) | instid1(VALU_DEP_1)
	v_and_b32_e32 v37, 0x7f, v35
	v_cmpx_ne_u32_e32 0x7f, v37
	s_cbranch_execz .LBB246_112
; %bb.109:                              ;   in Loop: Header=BB246_13 Depth=1
	v_and_b32_e32 v33, 7, v35
	v_lshrrev_b32_e32 v36, 3, v37
	s_mov_b32 s45, exec_lo
	v_cmpx_gt_u32_e32 8, v37
; %bb.110:                              ;   in Loop: Header=BB246_13 Depth=1
	s_delay_alu instid0(VALU_DEP_3) | instskip(NEXT) | instid1(VALU_DEP_1)
	v_clz_i32_u32_e32 v33, v33
	v_min_u32_e32 v33, 32, v33
	s_delay_alu instid0(VALU_DEP_1) | instskip(NEXT) | instid1(VALU_DEP_1)
	v_subrev_nc_u32_e32 v36, 28, v33
	v_lshlrev_b64_e32 v[37:38], v36, v[1:2]
	v_sub_nc_u32_e32 v36, 29, v33
	s_delay_alu instid0(VALU_DEP_2)
	v_and_b32_e32 v33, 7, v37
; %bb.111:                              ;   in Loop: Header=BB246_13 Depth=1
	s_or_b32 exec_lo, exec_lo, s45
	v_lshlrev_b32_e32 v1, 8, v35
	s_delay_alu instid0(VALU_DEP_3) | instskip(NEXT) | instid1(VALU_DEP_3)
	v_lshl_add_u32 v35, v36, 10, 0x2000
	v_lshlrev_b32_e32 v33, 23, v33
	s_delay_alu instid0(VALU_DEP_2) | instskip(NEXT) | instid1(VALU_DEP_1)
	v_and_or_b32 v1, 0x8000, v1, v35
	v_lshl_or_b32 v33, v1, 16, v33
.LBB246_112:                            ;   in Loop: Header=BB246_13 Depth=1
	s_or_b32 exec_lo, exec_lo, s44
.LBB246_113:                            ;   in Loop: Header=BB246_13 Depth=1
	s_wait_alu 0xfffe
	s_or_b32 exec_lo, exec_lo, s43
.LBB246_114:                            ;   in Loop: Header=BB246_13 Depth=1
	s_wait_alu 0xfffe
	s_or_b32 exec_lo, exec_lo, s42
	global_load_u16 v1, v[7:8], off offset:384
	s_wait_loadcnt 0x0
	v_dual_mov_b32 v35, 0 :: v_dual_and_b32 v36, 0xff, v1
	v_and_b32_e32 v1, 0xffff, v1
	s_delay_alu instid0(VALU_DEP_2)
	v_cmp_ne_u16_e64 s4, 0, v36
	v_mov_b32_e32 v36, 0
	s_and_saveexec_b32 s42, s4
	s_cbranch_execz .LBB246_122
; %bb.115:                              ;   in Loop: Header=BB246_13 Depth=1
	v_and_b32_e32 v36, 0xff, v1
	s_delay_alu instid0(VALU_DEP_1)
	v_cmp_ne_u16_e64 s4, 0x80, v36
	v_mov_b32_e32 v36, 0x8000
	s_and_saveexec_b32 s43, s4
	s_cbranch_execz .LBB246_121
; %bb.116:                              ;   in Loop: Header=BB246_13 Depth=1
	v_and_b32_e32 v38, 0x7f, v1
	v_mov_b32_e32 v36, 0x7c01
	s_mov_b32 s44, exec_lo
	s_delay_alu instid0(VALU_DEP_2)
	v_cmpx_ne_u32_e32 0x7f, v38
	s_cbranch_execz .LBB246_120
; %bb.117:                              ;   in Loop: Header=BB246_13 Depth=1
	v_and_b32_e32 v36, 7, v1
	v_lshrrev_b32_e32 v37, 3, v38
	s_mov_b32 s45, exec_lo
	v_cmpx_gt_u32_e32 8, v38
; %bb.118:                              ;   in Loop: Header=BB246_13 Depth=1
	s_delay_alu instid0(VALU_DEP_3) | instskip(NEXT) | instid1(VALU_DEP_1)
	v_clz_i32_u32_e32 v36, v36
	v_min_u32_e32 v38, 32, v36
	s_delay_alu instid0(VALU_DEP_1) | instskip(NEXT) | instid1(VALU_DEP_1)
	v_subrev_nc_u32_e32 v36, 28, v38
	v_lshlrev_b64_e32 v[36:37], v36, v[1:2]
	v_sub_nc_u32_e32 v37, 29, v38
	s_delay_alu instid0(VALU_DEP_2)
	v_and_b32_e32 v36, 7, v36
; %bb.119:                              ;   in Loop: Header=BB246_13 Depth=1
	s_or_b32 exec_lo, exec_lo, s45
	v_lshlrev_b32_e32 v38, 8, v1
	s_delay_alu instid0(VALU_DEP_3) | instskip(NEXT) | instid1(VALU_DEP_3)
	v_lshl_add_u32 v37, v37, 10, 0x2000
	v_lshlrev_b32_e32 v36, 7, v36
	s_delay_alu instid0(VALU_DEP_3) | instskip(NEXT) | instid1(VALU_DEP_3)
	v_and_b32_e32 v38, 0x8000, v38
	v_and_b32_e32 v37, 0xfc00, v37
	s_delay_alu instid0(VALU_DEP_1)
	v_or3_b32 v36, v38, v37, v36
.LBB246_120:                            ;   in Loop: Header=BB246_13 Depth=1
	s_or_b32 exec_lo, exec_lo, s44
.LBB246_121:                            ;   in Loop: Header=BB246_13 Depth=1
	s_wait_alu 0xfffe
	s_or_b32 exec_lo, exec_lo, s43
.LBB246_122:                            ;   in Loop: Header=BB246_13 Depth=1
	s_wait_alu 0xfffe
	s_or_b32 exec_lo, exec_lo, s42
	v_lshrrev_b16 v1, 8, v1
	s_mov_b32 s42, exec_lo
	s_delay_alu instid0(VALU_DEP_1)
	v_cmpx_ne_u16_e32 0, v1
	s_cbranch_execz .LBB246_130
; %bb.123:                              ;   in Loop: Header=BB246_13 Depth=1
	v_bfrev_b32_e32 v35, 1
	s_mov_b32 s43, exec_lo
	v_cmpx_ne_u16_e32 0x80, v1
	s_cbranch_execz .LBB246_129
; %bb.124:                              ;   in Loop: Header=BB246_13 Depth=1
	v_and_b32_e32 v37, 0xffff, v1
	v_mov_b32_e32 v35, 0x7c010000
	s_mov_b32 s44, exec_lo
	s_delay_alu instid0(VALU_DEP_2) | instskip(NEXT) | instid1(VALU_DEP_1)
	v_and_b32_e32 v39, 0x7f, v37
	v_cmpx_ne_u32_e32 0x7f, v39
	s_cbranch_execz .LBB246_128
; %bb.125:                              ;   in Loop: Header=BB246_13 Depth=1
	v_and_b32_e32 v35, 7, v37
	v_lshrrev_b32_e32 v38, 3, v39
	s_mov_b32 s45, exec_lo
	v_cmpx_gt_u32_e32 8, v39
; %bb.126:                              ;   in Loop: Header=BB246_13 Depth=1
	s_delay_alu instid0(VALU_DEP_3) | instskip(NEXT) | instid1(VALU_DEP_1)
	v_clz_i32_u32_e32 v35, v35
	v_min_u32_e32 v35, 32, v35
	s_delay_alu instid0(VALU_DEP_1) | instskip(NEXT) | instid1(VALU_DEP_1)
	v_subrev_nc_u32_e32 v38, 28, v35
	v_lshlrev_b64_e32 v[39:40], v38, v[1:2]
	v_sub_nc_u32_e32 v38, 29, v35
	s_delay_alu instid0(VALU_DEP_2)
	v_and_b32_e32 v35, 7, v39
; %bb.127:                              ;   in Loop: Header=BB246_13 Depth=1
	s_or_b32 exec_lo, exec_lo, s45
	v_lshlrev_b32_e32 v1, 8, v37
	s_delay_alu instid0(VALU_DEP_3) | instskip(NEXT) | instid1(VALU_DEP_3)
	v_lshl_add_u32 v37, v38, 10, 0x2000
	v_lshlrev_b32_e32 v35, 23, v35
	s_delay_alu instid0(VALU_DEP_2) | instskip(NEXT) | instid1(VALU_DEP_1)
	v_and_or_b32 v1, 0x8000, v1, v37
	v_lshl_or_b32 v35, v1, 16, v35
.LBB246_128:                            ;   in Loop: Header=BB246_13 Depth=1
	s_or_b32 exec_lo, exec_lo, s44
.LBB246_129:                            ;   in Loop: Header=BB246_13 Depth=1
	s_wait_alu 0xfffe
	s_or_b32 exec_lo, exec_lo, s43
.LBB246_130:                            ;   in Loop: Header=BB246_13 Depth=1
	s_wait_alu 0xfffe
	s_or_b32 exec_lo, exec_lo, s42
	global_load_u16 v1, v[7:8], off offset:392
	s_wait_loadcnt 0x0
	v_dual_mov_b32 v37, 0 :: v_dual_and_b32 v38, 0xff, v1
	v_and_b32_e32 v1, 0xffff, v1
	s_delay_alu instid0(VALU_DEP_2)
	v_cmp_ne_u16_e64 s4, 0, v38
	v_mov_b32_e32 v38, 0
	s_and_saveexec_b32 s42, s4
	s_cbranch_execz .LBB246_138
; %bb.131:                              ;   in Loop: Header=BB246_13 Depth=1
	v_and_b32_e32 v38, 0xff, v1
	s_delay_alu instid0(VALU_DEP_1)
	v_cmp_ne_u16_e64 s4, 0x80, v38
	v_mov_b32_e32 v38, 0x8000
	s_and_saveexec_b32 s43, s4
	s_cbranch_execz .LBB246_137
; %bb.132:                              ;   in Loop: Header=BB246_13 Depth=1
	v_and_b32_e32 v40, 0x7f, v1
	v_mov_b32_e32 v38, 0x7c01
	s_mov_b32 s44, exec_lo
	s_delay_alu instid0(VALU_DEP_2)
	v_cmpx_ne_u32_e32 0x7f, v40
	s_cbranch_execz .LBB246_136
; %bb.133:                              ;   in Loop: Header=BB246_13 Depth=1
	v_and_b32_e32 v38, 7, v1
	v_lshrrev_b32_e32 v39, 3, v40
	s_mov_b32 s45, exec_lo
	v_cmpx_gt_u32_e32 8, v40
; %bb.134:                              ;   in Loop: Header=BB246_13 Depth=1
	s_delay_alu instid0(VALU_DEP_3) | instskip(NEXT) | instid1(VALU_DEP_1)
	v_clz_i32_u32_e32 v38, v38
	v_min_u32_e32 v40, 32, v38
	s_delay_alu instid0(VALU_DEP_1) | instskip(NEXT) | instid1(VALU_DEP_1)
	v_subrev_nc_u32_e32 v38, 28, v40
	v_lshlrev_b64_e32 v[38:39], v38, v[1:2]
	v_sub_nc_u32_e32 v39, 29, v40
	s_delay_alu instid0(VALU_DEP_2)
	v_and_b32_e32 v38, 7, v38
; %bb.135:                              ;   in Loop: Header=BB246_13 Depth=1
	s_or_b32 exec_lo, exec_lo, s45
	v_lshlrev_b32_e32 v40, 8, v1
	s_delay_alu instid0(VALU_DEP_3) | instskip(NEXT) | instid1(VALU_DEP_3)
	v_lshl_add_u32 v39, v39, 10, 0x2000
	v_lshlrev_b32_e32 v38, 7, v38
	s_delay_alu instid0(VALU_DEP_3) | instskip(NEXT) | instid1(VALU_DEP_3)
	v_and_b32_e32 v40, 0x8000, v40
	v_and_b32_e32 v39, 0xfc00, v39
	s_delay_alu instid0(VALU_DEP_1)
	v_or3_b32 v38, v40, v39, v38
.LBB246_136:                            ;   in Loop: Header=BB246_13 Depth=1
	s_or_b32 exec_lo, exec_lo, s44
.LBB246_137:                            ;   in Loop: Header=BB246_13 Depth=1
	s_wait_alu 0xfffe
	s_or_b32 exec_lo, exec_lo, s43
.LBB246_138:                            ;   in Loop: Header=BB246_13 Depth=1
	s_wait_alu 0xfffe
	s_or_b32 exec_lo, exec_lo, s42
	v_lshrrev_b16 v1, 8, v1
	s_mov_b32 s42, exec_lo
	s_delay_alu instid0(VALU_DEP_1)
	v_cmpx_ne_u16_e32 0, v1
	s_cbranch_execz .LBB246_146
; %bb.139:                              ;   in Loop: Header=BB246_13 Depth=1
	v_bfrev_b32_e32 v37, 1
	s_mov_b32 s43, exec_lo
	v_cmpx_ne_u16_e32 0x80, v1
	s_cbranch_execz .LBB246_145
; %bb.140:                              ;   in Loop: Header=BB246_13 Depth=1
	v_and_b32_e32 v39, 0xffff, v1
	v_mov_b32_e32 v37, 0x7c010000
	s_mov_b32 s44, exec_lo
	s_delay_alu instid0(VALU_DEP_2) | instskip(NEXT) | instid1(VALU_DEP_1)
	v_and_b32_e32 v41, 0x7f, v39
	v_cmpx_ne_u32_e32 0x7f, v41
	s_cbranch_execz .LBB246_144
; %bb.141:                              ;   in Loop: Header=BB246_13 Depth=1
	v_and_b32_e32 v37, 7, v39
	v_lshrrev_b32_e32 v40, 3, v41
	s_mov_b32 s45, exec_lo
	v_cmpx_gt_u32_e32 8, v41
; %bb.142:                              ;   in Loop: Header=BB246_13 Depth=1
	s_delay_alu instid0(VALU_DEP_3) | instskip(NEXT) | instid1(VALU_DEP_1)
	v_clz_i32_u32_e32 v37, v37
	v_min_u32_e32 v37, 32, v37
	s_delay_alu instid0(VALU_DEP_1) | instskip(NEXT) | instid1(VALU_DEP_1)
	v_subrev_nc_u32_e32 v40, 28, v37
	v_lshlrev_b64_e32 v[41:42], v40, v[1:2]
	v_sub_nc_u32_e32 v40, 29, v37
	s_delay_alu instid0(VALU_DEP_2)
	v_and_b32_e32 v37, 7, v41
; %bb.143:                              ;   in Loop: Header=BB246_13 Depth=1
	s_or_b32 exec_lo, exec_lo, s45
	v_lshlrev_b32_e32 v1, 8, v39
	s_delay_alu instid0(VALU_DEP_3) | instskip(NEXT) | instid1(VALU_DEP_3)
	v_lshl_add_u32 v39, v40, 10, 0x2000
	v_lshlrev_b32_e32 v37, 23, v37
	s_delay_alu instid0(VALU_DEP_2) | instskip(NEXT) | instid1(VALU_DEP_1)
	v_and_or_b32 v1, 0x8000, v1, v39
	v_lshl_or_b32 v37, v1, 16, v37
.LBB246_144:                            ;   in Loop: Header=BB246_13 Depth=1
	s_or_b32 exec_lo, exec_lo, s44
.LBB246_145:                            ;   in Loop: Header=BB246_13 Depth=1
	s_wait_alu 0xfffe
	s_or_b32 exec_lo, exec_lo, s43
.LBB246_146:                            ;   in Loop: Header=BB246_13 Depth=1
	s_wait_alu 0xfffe
	s_or_b32 exec_lo, exec_lo, s42
	global_load_u16 v1, v[7:8], off offset:512
	s_wait_loadcnt 0x0
	v_dual_mov_b32 v39, 0 :: v_dual_and_b32 v40, 0xff, v1
	v_and_b32_e32 v1, 0xffff, v1
	s_delay_alu instid0(VALU_DEP_2)
	v_cmp_ne_u16_e64 s4, 0, v40
	v_mov_b32_e32 v40, 0
	s_and_saveexec_b32 s42, s4
	s_cbranch_execz .LBB246_154
; %bb.147:                              ;   in Loop: Header=BB246_13 Depth=1
	v_and_b32_e32 v40, 0xff, v1
	s_delay_alu instid0(VALU_DEP_1)
	v_cmp_ne_u16_e64 s4, 0x80, v40
	v_mov_b32_e32 v40, 0x8000
	s_and_saveexec_b32 s43, s4
	s_cbranch_execz .LBB246_153
; %bb.148:                              ;   in Loop: Header=BB246_13 Depth=1
	v_and_b32_e32 v42, 0x7f, v1
	v_mov_b32_e32 v40, 0x7c01
	s_mov_b32 s44, exec_lo
	s_delay_alu instid0(VALU_DEP_2)
	v_cmpx_ne_u32_e32 0x7f, v42
	s_cbranch_execz .LBB246_152
; %bb.149:                              ;   in Loop: Header=BB246_13 Depth=1
	v_and_b32_e32 v40, 7, v1
	v_lshrrev_b32_e32 v41, 3, v42
	s_mov_b32 s45, exec_lo
	v_cmpx_gt_u32_e32 8, v42
; %bb.150:                              ;   in Loop: Header=BB246_13 Depth=1
	s_delay_alu instid0(VALU_DEP_3) | instskip(NEXT) | instid1(VALU_DEP_1)
	v_clz_i32_u32_e32 v40, v40
	v_min_u32_e32 v42, 32, v40
	s_delay_alu instid0(VALU_DEP_1) | instskip(NEXT) | instid1(VALU_DEP_1)
	v_subrev_nc_u32_e32 v40, 28, v42
	v_lshlrev_b64_e32 v[40:41], v40, v[1:2]
	v_sub_nc_u32_e32 v41, 29, v42
	s_delay_alu instid0(VALU_DEP_2)
	v_and_b32_e32 v40, 7, v40
; %bb.151:                              ;   in Loop: Header=BB246_13 Depth=1
	s_or_b32 exec_lo, exec_lo, s45
	v_lshlrev_b32_e32 v42, 8, v1
	s_delay_alu instid0(VALU_DEP_3) | instskip(NEXT) | instid1(VALU_DEP_3)
	v_lshl_add_u32 v41, v41, 10, 0x2000
	v_lshlrev_b32_e32 v40, 7, v40
	s_delay_alu instid0(VALU_DEP_3) | instskip(NEXT) | instid1(VALU_DEP_3)
	v_and_b32_e32 v42, 0x8000, v42
	v_and_b32_e32 v41, 0xfc00, v41
	s_delay_alu instid0(VALU_DEP_1)
	v_or3_b32 v40, v42, v41, v40
.LBB246_152:                            ;   in Loop: Header=BB246_13 Depth=1
	s_or_b32 exec_lo, exec_lo, s44
.LBB246_153:                            ;   in Loop: Header=BB246_13 Depth=1
	s_wait_alu 0xfffe
	s_or_b32 exec_lo, exec_lo, s43
.LBB246_154:                            ;   in Loop: Header=BB246_13 Depth=1
	s_wait_alu 0xfffe
	s_or_b32 exec_lo, exec_lo, s42
	v_lshrrev_b16 v1, 8, v1
	s_mov_b32 s42, exec_lo
	s_delay_alu instid0(VALU_DEP_1)
	v_cmpx_ne_u16_e32 0, v1
	s_cbranch_execz .LBB246_162
; %bb.155:                              ;   in Loop: Header=BB246_13 Depth=1
	v_bfrev_b32_e32 v39, 1
	s_mov_b32 s43, exec_lo
	v_cmpx_ne_u16_e32 0x80, v1
	s_cbranch_execz .LBB246_161
; %bb.156:                              ;   in Loop: Header=BB246_13 Depth=1
	v_and_b32_e32 v41, 0xffff, v1
	v_mov_b32_e32 v39, 0x7c010000
	s_mov_b32 s44, exec_lo
	s_delay_alu instid0(VALU_DEP_2) | instskip(NEXT) | instid1(VALU_DEP_1)
	v_and_b32_e32 v43, 0x7f, v41
	v_cmpx_ne_u32_e32 0x7f, v43
	s_cbranch_execz .LBB246_160
; %bb.157:                              ;   in Loop: Header=BB246_13 Depth=1
	v_and_b32_e32 v39, 7, v41
	v_lshrrev_b32_e32 v42, 3, v43
	s_mov_b32 s45, exec_lo
	v_cmpx_gt_u32_e32 8, v43
; %bb.158:                              ;   in Loop: Header=BB246_13 Depth=1
	s_delay_alu instid0(VALU_DEP_3) | instskip(NEXT) | instid1(VALU_DEP_1)
	v_clz_i32_u32_e32 v39, v39
	v_min_u32_e32 v39, 32, v39
	s_delay_alu instid0(VALU_DEP_1) | instskip(NEXT) | instid1(VALU_DEP_1)
	v_subrev_nc_u32_e32 v42, 28, v39
	v_lshlrev_b64_e32 v[43:44], v42, v[1:2]
	v_sub_nc_u32_e32 v42, 29, v39
	s_delay_alu instid0(VALU_DEP_2)
	v_and_b32_e32 v39, 7, v43
; %bb.159:                              ;   in Loop: Header=BB246_13 Depth=1
	s_or_b32 exec_lo, exec_lo, s45
	v_lshlrev_b32_e32 v1, 8, v41
	s_delay_alu instid0(VALU_DEP_3) | instskip(NEXT) | instid1(VALU_DEP_3)
	v_lshl_add_u32 v41, v42, 10, 0x2000
	v_lshlrev_b32_e32 v39, 23, v39
	s_delay_alu instid0(VALU_DEP_2) | instskip(NEXT) | instid1(VALU_DEP_1)
	v_and_or_b32 v1, 0x8000, v1, v41
	v_lshl_or_b32 v39, v1, 16, v39
.LBB246_160:                            ;   in Loop: Header=BB246_13 Depth=1
	s_or_b32 exec_lo, exec_lo, s44
.LBB246_161:                            ;   in Loop: Header=BB246_13 Depth=1
	s_wait_alu 0xfffe
	s_or_b32 exec_lo, exec_lo, s43
.LBB246_162:                            ;   in Loop: Header=BB246_13 Depth=1
	s_wait_alu 0xfffe
	s_or_b32 exec_lo, exec_lo, s42
	global_load_u16 v1, v[7:8], off offset:520
	s_wait_loadcnt 0x0
	v_dual_mov_b32 v41, 0 :: v_dual_and_b32 v42, 0xff, v1
	v_and_b32_e32 v1, 0xffff, v1
	s_delay_alu instid0(VALU_DEP_2)
	v_cmp_ne_u16_e64 s4, 0, v42
	v_mov_b32_e32 v42, 0
	s_and_saveexec_b32 s42, s4
	s_cbranch_execz .LBB246_170
; %bb.163:                              ;   in Loop: Header=BB246_13 Depth=1
	v_and_b32_e32 v42, 0xff, v1
	s_delay_alu instid0(VALU_DEP_1)
	v_cmp_ne_u16_e64 s4, 0x80, v42
	v_mov_b32_e32 v42, 0x8000
	s_and_saveexec_b32 s43, s4
	s_cbranch_execz .LBB246_169
; %bb.164:                              ;   in Loop: Header=BB246_13 Depth=1
	v_and_b32_e32 v44, 0x7f, v1
	v_mov_b32_e32 v42, 0x7c01
	s_mov_b32 s44, exec_lo
	s_delay_alu instid0(VALU_DEP_2)
	v_cmpx_ne_u32_e32 0x7f, v44
	s_cbranch_execz .LBB246_168
; %bb.165:                              ;   in Loop: Header=BB246_13 Depth=1
	v_and_b32_e32 v42, 7, v1
	v_lshrrev_b32_e32 v43, 3, v44
	s_mov_b32 s45, exec_lo
	v_cmpx_gt_u32_e32 8, v44
; %bb.166:                              ;   in Loop: Header=BB246_13 Depth=1
	s_delay_alu instid0(VALU_DEP_3) | instskip(NEXT) | instid1(VALU_DEP_1)
	v_clz_i32_u32_e32 v42, v42
	v_min_u32_e32 v44, 32, v42
	s_delay_alu instid0(VALU_DEP_1) | instskip(NEXT) | instid1(VALU_DEP_1)
	v_subrev_nc_u32_e32 v42, 28, v44
	v_lshlrev_b64_e32 v[42:43], v42, v[1:2]
	v_sub_nc_u32_e32 v43, 29, v44
	s_delay_alu instid0(VALU_DEP_2)
	v_and_b32_e32 v42, 7, v42
; %bb.167:                              ;   in Loop: Header=BB246_13 Depth=1
	s_or_b32 exec_lo, exec_lo, s45
	v_lshlrev_b32_e32 v44, 8, v1
	s_delay_alu instid0(VALU_DEP_3) | instskip(NEXT) | instid1(VALU_DEP_3)
	v_lshl_add_u32 v43, v43, 10, 0x2000
	v_lshlrev_b32_e32 v42, 7, v42
	s_delay_alu instid0(VALU_DEP_3) | instskip(NEXT) | instid1(VALU_DEP_3)
	v_and_b32_e32 v44, 0x8000, v44
	v_and_b32_e32 v43, 0xfc00, v43
	s_delay_alu instid0(VALU_DEP_1)
	v_or3_b32 v42, v44, v43, v42
.LBB246_168:                            ;   in Loop: Header=BB246_13 Depth=1
	s_or_b32 exec_lo, exec_lo, s44
.LBB246_169:                            ;   in Loop: Header=BB246_13 Depth=1
	s_wait_alu 0xfffe
	s_or_b32 exec_lo, exec_lo, s43
.LBB246_170:                            ;   in Loop: Header=BB246_13 Depth=1
	s_wait_alu 0xfffe
	s_or_b32 exec_lo, exec_lo, s42
	v_lshrrev_b16 v1, 8, v1
	s_mov_b32 s42, exec_lo
	s_delay_alu instid0(VALU_DEP_1)
	v_cmpx_ne_u16_e32 0, v1
	s_cbranch_execz .LBB246_178
; %bb.171:                              ;   in Loop: Header=BB246_13 Depth=1
	v_bfrev_b32_e32 v41, 1
	s_mov_b32 s43, exec_lo
	v_cmpx_ne_u16_e32 0x80, v1
	s_cbranch_execz .LBB246_177
; %bb.172:                              ;   in Loop: Header=BB246_13 Depth=1
	v_and_b32_e32 v43, 0xffff, v1
	v_mov_b32_e32 v41, 0x7c010000
	s_mov_b32 s44, exec_lo
	s_delay_alu instid0(VALU_DEP_2) | instskip(NEXT) | instid1(VALU_DEP_1)
	v_and_b32_e32 v45, 0x7f, v43
	v_cmpx_ne_u32_e32 0x7f, v45
	s_cbranch_execz .LBB246_176
; %bb.173:                              ;   in Loop: Header=BB246_13 Depth=1
	v_and_b32_e32 v41, 7, v43
	v_lshrrev_b32_e32 v44, 3, v45
	s_mov_b32 s45, exec_lo
	v_cmpx_gt_u32_e32 8, v45
; %bb.174:                              ;   in Loop: Header=BB246_13 Depth=1
	s_delay_alu instid0(VALU_DEP_3) | instskip(NEXT) | instid1(VALU_DEP_1)
	v_clz_i32_u32_e32 v41, v41
	v_min_u32_e32 v41, 32, v41
	s_delay_alu instid0(VALU_DEP_1) | instskip(NEXT) | instid1(VALU_DEP_1)
	v_subrev_nc_u32_e32 v44, 28, v41
	v_lshlrev_b64_e32 v[45:46], v44, v[1:2]
	v_sub_nc_u32_e32 v44, 29, v41
	s_delay_alu instid0(VALU_DEP_2)
	v_and_b32_e32 v41, 7, v45
; %bb.175:                              ;   in Loop: Header=BB246_13 Depth=1
	s_or_b32 exec_lo, exec_lo, s45
	v_lshlrev_b32_e32 v1, 8, v43
	s_delay_alu instid0(VALU_DEP_3) | instskip(NEXT) | instid1(VALU_DEP_3)
	v_lshl_add_u32 v43, v44, 10, 0x2000
	v_lshlrev_b32_e32 v41, 23, v41
	s_delay_alu instid0(VALU_DEP_2) | instskip(NEXT) | instid1(VALU_DEP_1)
	v_and_or_b32 v1, 0x8000, v1, v43
	v_lshl_or_b32 v41, v1, 16, v41
.LBB246_176:                            ;   in Loop: Header=BB246_13 Depth=1
	s_or_b32 exec_lo, exec_lo, s44
.LBB246_177:                            ;   in Loop: Header=BB246_13 Depth=1
	s_wait_alu 0xfffe
	s_or_b32 exec_lo, exec_lo, s43
.LBB246_178:                            ;   in Loop: Header=BB246_13 Depth=1
	s_wait_alu 0xfffe
	s_or_b32 exec_lo, exec_lo, s42
	global_load_u16 v1, v[7:8], off offset:640
	s_wait_loadcnt 0x0
	v_dual_mov_b32 v43, 0 :: v_dual_and_b32 v44, 0xff, v1
	v_and_b32_e32 v1, 0xffff, v1
	s_delay_alu instid0(VALU_DEP_2)
	v_cmp_ne_u16_e64 s4, 0, v44
	v_mov_b32_e32 v44, 0
	s_and_saveexec_b32 s42, s4
	s_cbranch_execz .LBB246_186
; %bb.179:                              ;   in Loop: Header=BB246_13 Depth=1
	v_and_b32_e32 v44, 0xff, v1
	s_delay_alu instid0(VALU_DEP_1)
	v_cmp_ne_u16_e64 s4, 0x80, v44
	v_mov_b32_e32 v44, 0x8000
	s_and_saveexec_b32 s43, s4
	s_cbranch_execz .LBB246_185
; %bb.180:                              ;   in Loop: Header=BB246_13 Depth=1
	v_and_b32_e32 v46, 0x7f, v1
	v_mov_b32_e32 v44, 0x7c01
	s_mov_b32 s44, exec_lo
	s_delay_alu instid0(VALU_DEP_2)
	v_cmpx_ne_u32_e32 0x7f, v46
	s_cbranch_execz .LBB246_184
; %bb.181:                              ;   in Loop: Header=BB246_13 Depth=1
	v_and_b32_e32 v44, 7, v1
	v_lshrrev_b32_e32 v45, 3, v46
	s_mov_b32 s45, exec_lo
	v_cmpx_gt_u32_e32 8, v46
; %bb.182:                              ;   in Loop: Header=BB246_13 Depth=1
	s_delay_alu instid0(VALU_DEP_3) | instskip(NEXT) | instid1(VALU_DEP_1)
	v_clz_i32_u32_e32 v44, v44
	v_min_u32_e32 v46, 32, v44
	s_delay_alu instid0(VALU_DEP_1) | instskip(NEXT) | instid1(VALU_DEP_1)
	v_subrev_nc_u32_e32 v44, 28, v46
	v_lshlrev_b64_e32 v[44:45], v44, v[1:2]
	v_sub_nc_u32_e32 v45, 29, v46
	s_delay_alu instid0(VALU_DEP_2)
	v_and_b32_e32 v44, 7, v44
; %bb.183:                              ;   in Loop: Header=BB246_13 Depth=1
	s_or_b32 exec_lo, exec_lo, s45
	v_lshlrev_b32_e32 v46, 8, v1
	s_delay_alu instid0(VALU_DEP_3) | instskip(NEXT) | instid1(VALU_DEP_3)
	v_lshl_add_u32 v45, v45, 10, 0x2000
	v_lshlrev_b32_e32 v44, 7, v44
	s_delay_alu instid0(VALU_DEP_3) | instskip(NEXT) | instid1(VALU_DEP_3)
	v_and_b32_e32 v46, 0x8000, v46
	v_and_b32_e32 v45, 0xfc00, v45
	s_delay_alu instid0(VALU_DEP_1)
	v_or3_b32 v44, v46, v45, v44
.LBB246_184:                            ;   in Loop: Header=BB246_13 Depth=1
	s_or_b32 exec_lo, exec_lo, s44
.LBB246_185:                            ;   in Loop: Header=BB246_13 Depth=1
	s_wait_alu 0xfffe
	s_or_b32 exec_lo, exec_lo, s43
.LBB246_186:                            ;   in Loop: Header=BB246_13 Depth=1
	s_wait_alu 0xfffe
	s_or_b32 exec_lo, exec_lo, s42
	v_lshrrev_b16 v1, 8, v1
	s_mov_b32 s42, exec_lo
	s_delay_alu instid0(VALU_DEP_1)
	v_cmpx_ne_u16_e32 0, v1
	s_cbranch_execz .LBB246_194
; %bb.187:                              ;   in Loop: Header=BB246_13 Depth=1
	v_bfrev_b32_e32 v43, 1
	s_mov_b32 s43, exec_lo
	v_cmpx_ne_u16_e32 0x80, v1
	s_cbranch_execz .LBB246_193
; %bb.188:                              ;   in Loop: Header=BB246_13 Depth=1
	v_and_b32_e32 v45, 0xffff, v1
	v_mov_b32_e32 v43, 0x7c010000
	s_mov_b32 s44, exec_lo
	s_delay_alu instid0(VALU_DEP_2) | instskip(NEXT) | instid1(VALU_DEP_1)
	v_and_b32_e32 v47, 0x7f, v45
	v_cmpx_ne_u32_e32 0x7f, v47
	s_cbranch_execz .LBB246_192
; %bb.189:                              ;   in Loop: Header=BB246_13 Depth=1
	v_and_b32_e32 v43, 7, v45
	v_lshrrev_b32_e32 v46, 3, v47
	s_mov_b32 s45, exec_lo
	v_cmpx_gt_u32_e32 8, v47
; %bb.190:                              ;   in Loop: Header=BB246_13 Depth=1
	s_delay_alu instid0(VALU_DEP_3) | instskip(NEXT) | instid1(VALU_DEP_1)
	v_clz_i32_u32_e32 v43, v43
	v_min_u32_e32 v43, 32, v43
	s_delay_alu instid0(VALU_DEP_1) | instskip(NEXT) | instid1(VALU_DEP_1)
	v_subrev_nc_u32_e32 v46, 28, v43
	v_lshlrev_b64_e32 v[47:48], v46, v[1:2]
	v_sub_nc_u32_e32 v46, 29, v43
	s_delay_alu instid0(VALU_DEP_2)
	v_and_b32_e32 v43, 7, v47
; %bb.191:                              ;   in Loop: Header=BB246_13 Depth=1
	s_or_b32 exec_lo, exec_lo, s45
	v_lshlrev_b32_e32 v1, 8, v45
	s_delay_alu instid0(VALU_DEP_3) | instskip(NEXT) | instid1(VALU_DEP_3)
	v_lshl_add_u32 v45, v46, 10, 0x2000
	v_lshlrev_b32_e32 v43, 23, v43
	s_delay_alu instid0(VALU_DEP_2) | instskip(NEXT) | instid1(VALU_DEP_1)
	v_and_or_b32 v1, 0x8000, v1, v45
	v_lshl_or_b32 v43, v1, 16, v43
.LBB246_192:                            ;   in Loop: Header=BB246_13 Depth=1
	s_or_b32 exec_lo, exec_lo, s44
.LBB246_193:                            ;   in Loop: Header=BB246_13 Depth=1
	s_wait_alu 0xfffe
	s_or_b32 exec_lo, exec_lo, s43
.LBB246_194:                            ;   in Loop: Header=BB246_13 Depth=1
	s_wait_alu 0xfffe
	s_or_b32 exec_lo, exec_lo, s42
	global_load_u16 v1, v[7:8], off offset:648
	s_wait_loadcnt 0x0
	v_dual_mov_b32 v7, 0 :: v_dual_and_b32 v8, 0xff, v1
	v_and_b32_e32 v1, 0xffff, v1
	s_delay_alu instid0(VALU_DEP_2)
	v_cmp_ne_u16_e64 s4, 0, v8
	v_mov_b32_e32 v8, 0
	s_and_saveexec_b32 s42, s4
	s_cbranch_execz .LBB246_202
; %bb.195:                              ;   in Loop: Header=BB246_13 Depth=1
	v_and_b32_e32 v8, 0xff, v1
	s_delay_alu instid0(VALU_DEP_1)
	v_cmp_ne_u16_e64 s4, 0x80, v8
	v_mov_b32_e32 v8, 0x8000
	s_and_saveexec_b32 s43, s4
	s_cbranch_execz .LBB246_201
; %bb.196:                              ;   in Loop: Header=BB246_13 Depth=1
	v_and_b32_e32 v46, 0x7f, v1
	v_mov_b32_e32 v8, 0x7c01
	s_mov_b32 s44, exec_lo
	s_delay_alu instid0(VALU_DEP_2)
	v_cmpx_ne_u32_e32 0x7f, v46
	s_cbranch_execz .LBB246_200
; %bb.197:                              ;   in Loop: Header=BB246_13 Depth=1
	v_and_b32_e32 v8, 7, v1
	v_lshrrev_b32_e32 v45, 3, v46
	s_mov_b32 s45, exec_lo
	v_cmpx_gt_u32_e32 8, v46
; %bb.198:                              ;   in Loop: Header=BB246_13 Depth=1
	s_delay_alu instid0(VALU_DEP_3) | instskip(NEXT) | instid1(VALU_DEP_1)
	v_clz_i32_u32_e32 v8, v8
	v_min_u32_e32 v8, 32, v8
	s_delay_alu instid0(VALU_DEP_1) | instskip(NEXT) | instid1(VALU_DEP_1)
	v_subrev_nc_u32_e32 v45, 28, v8
	v_lshlrev_b64_e32 v[46:47], v45, v[1:2]
	v_sub_nc_u32_e32 v45, 29, v8
	s_delay_alu instid0(VALU_DEP_2)
	v_and_b32_e32 v8, 7, v46
; %bb.199:                              ;   in Loop: Header=BB246_13 Depth=1
	s_or_b32 exec_lo, exec_lo, s45
	v_lshlrev_b32_e32 v46, 8, v1
	s_delay_alu instid0(VALU_DEP_3) | instskip(NEXT) | instid1(VALU_DEP_3)
	v_lshl_add_u32 v45, v45, 10, 0x2000
	v_lshlrev_b32_e32 v8, 7, v8
	s_delay_alu instid0(VALU_DEP_3) | instskip(NEXT) | instid1(VALU_DEP_3)
	v_and_b32_e32 v46, 0x8000, v46
	v_and_b32_e32 v45, 0xfc00, v45
	s_delay_alu instid0(VALU_DEP_1)
	v_or3_b32 v8, v46, v45, v8
.LBB246_200:                            ;   in Loop: Header=BB246_13 Depth=1
	s_or_b32 exec_lo, exec_lo, s44
.LBB246_201:                            ;   in Loop: Header=BB246_13 Depth=1
	s_wait_alu 0xfffe
	s_or_b32 exec_lo, exec_lo, s43
.LBB246_202:                            ;   in Loop: Header=BB246_13 Depth=1
	s_wait_alu 0xfffe
	s_or_b32 exec_lo, exec_lo, s42
	v_lshrrev_b16 v1, 8, v1
	s_mov_b32 s42, exec_lo
	s_delay_alu instid0(VALU_DEP_1)
	v_cmpx_ne_u16_e32 0, v1
	s_cbranch_execz .LBB246_210
; %bb.203:                              ;   in Loop: Header=BB246_13 Depth=1
	v_bfrev_b32_e32 v7, 1
	s_mov_b32 s43, exec_lo
	v_cmpx_ne_u16_e32 0x80, v1
	s_cbranch_execz .LBB246_209
; %bb.204:                              ;   in Loop: Header=BB246_13 Depth=1
	v_and_b32_e32 v45, 0xffff, v1
	v_mov_b32_e32 v7, 0x7c010000
	s_mov_b32 s44, exec_lo
	s_delay_alu instid0(VALU_DEP_2) | instskip(NEXT) | instid1(VALU_DEP_1)
	v_and_b32_e32 v47, 0x7f, v45
	v_cmpx_ne_u32_e32 0x7f, v47
	s_cbranch_execz .LBB246_208
; %bb.205:                              ;   in Loop: Header=BB246_13 Depth=1
	v_and_b32_e32 v7, 7, v45
	v_lshrrev_b32_e32 v46, 3, v47
	s_mov_b32 s45, exec_lo
	v_cmpx_gt_u32_e32 8, v47
; %bb.206:                              ;   in Loop: Header=BB246_13 Depth=1
	s_delay_alu instid0(VALU_DEP_3) | instskip(NEXT) | instid1(VALU_DEP_1)
	v_clz_i32_u32_e32 v7, v7
	v_min_u32_e32 v7, 32, v7
	s_delay_alu instid0(VALU_DEP_1) | instskip(NEXT) | instid1(VALU_DEP_1)
	v_subrev_nc_u32_e32 v46, 28, v7
	v_lshlrev_b64_e32 v[47:48], v46, v[1:2]
	v_sub_nc_u32_e32 v46, 29, v7
	s_delay_alu instid0(VALU_DEP_2)
	v_and_b32_e32 v7, 7, v47
; %bb.207:                              ;   in Loop: Header=BB246_13 Depth=1
	s_or_b32 exec_lo, exec_lo, s45
	v_lshlrev_b32_e32 v1, 8, v45
	s_delay_alu instid0(VALU_DEP_3) | instskip(NEXT) | instid1(VALU_DEP_3)
	v_lshl_add_u32 v45, v46, 10, 0x2000
	v_lshlrev_b32_e32 v7, 23, v7
	s_delay_alu instid0(VALU_DEP_2) | instskip(NEXT) | instid1(VALU_DEP_1)
	v_and_or_b32 v1, 0x8000, v1, v45
	v_lshl_or_b32 v7, v1, 16, v7
.LBB246_208:                            ;   in Loop: Header=BB246_13 Depth=1
	s_or_b32 exec_lo, exec_lo, s44
.LBB246_209:                            ;   in Loop: Header=BB246_13 Depth=1
	s_wait_alu 0xfffe
	s_or_b32 exec_lo, exec_lo, s43
.LBB246_210:                            ;   in Loop: Header=BB246_13 Depth=1
	s_wait_alu 0xfffe
	s_or_b32 exec_lo, exec_lo, s42
	ds_load_b32 v1, v16
	v_or_b32_e32 v24, v23, v24
	v_fma_mixlo_f16 v23, v22, v23, 0 op_sel:[0,1,0] op_sel_hi:[0,1,0]
	v_or_b32_e32 v26, v25, v26
	v_fma_mixlo_f16 v25, v22, v25, 0 op_sel:[0,1,0] op_sel_hi:[0,1,0]
	v_or_b32_e32 v28, v27, v28
	v_fma_mixlo_f16 v24, v22, v24, 0 op_sel_hi:[0,1,0]
	v_and_b32_e32 v47, 0xffff, v23
	v_fma_mixlo_f16 v26, v22, v26, 0 op_sel_hi:[0,1,0]
	v_and_b32_e32 v49, 0xffff, v25
	;; [unrolled: 2-line block ×3, first 2 shown]
	v_fma_mixlo_f16 v27, v22, v27, 0 op_sel:[0,1,0] op_sel_hi:[0,1,0]
	v_or_b32_e32 v30, v29, v30
	v_fma_mixlo_f16 v29, v22, v29, 0 op_sel:[0,1,0] op_sel_hi:[0,1,0]
	v_and_b32_e32 v50, 0xffff, v28
	v_or_b32_e32 v32, v31, v32
	v_and_b32_e32 v51, 0xffff, v27
	v_fma_mixlo_f16 v30, v22, v30, 0 op_sel_hi:[0,1,0]
	v_and_b32_e32 v53, 0xffff, v29
	s_wait_dscnt 0x0
	v_and_b32_e32 v45, 0xffff, v1
	v_lshrrev_b32_e32 v46, 16, v1
	;;#ASMSTART
	v_cvt_f32_f16 v1, v45;
	;;#ASMEND
	;;#ASMSTART
	v_cvt_f32_f16 v23, v46;
	;;#ASMEND
	;;#ASMSTART
	v_cvt_f32_f16 v24, v24;
	;;#ASMEND
	;;#ASMSTART
	v_cvt_f32_f16 v45, v47;
	;;#ASMEND
	ds_load_b32 v46, v16 offset:4
	v_and_b32_e32 v48, 0xffff, v26
	v_fma_mixlo_f16 v32, v22, v32, 0 op_sel_hi:[0,1,0]
	v_fma_mixlo_f16 v31, v22, v31, 0 op_sel:[0,1,0] op_sel_hi:[0,1,0]
	v_or_b32_e32 v34, v33, v34
	v_fma_mixlo_f16 v33, v22, v33, 0 op_sel:[0,1,0] op_sel_hi:[0,1,0]
	v_or_b32_e32 v36, v35, v36
	v_fma_mixlo_f16 v35, v22, v35, 0 op_sel:[0,1,0] op_sel_hi:[0,1,0]
	v_and_b32_e32 v55, 0xffff, v31
	v_fma_mixlo_f16 v34, v22, v34, 0 op_sel_hi:[0,1,0]
	v_and_b32_e32 v57, 0xffff, v33
	v_fma_mixlo_f16 v36, v22, v36, 0 op_sel_hi:[0,1,0]
	v_and_b32_e32 v59, 0xffff, v35
	v_or_b32_e32 v38, v37, v38
	v_fma_mixlo_f16 v37, v22, v37, 0 op_sel:[0,1,0] op_sel_hi:[0,1,0]
	v_or_b32_e32 v40, v39, v40
	v_and_b32_e32 v58, 0xffff, v36
	v_fma_mixlo_f16 v39, v22, v39, 0 op_sel:[0,1,0] op_sel_hi:[0,1,0]
	v_fma_mixlo_f16 v38, v22, v38, 0 op_sel_hi:[0,1,0]
	v_and_b32_e32 v61, 0xffff, v37
	s_wait_dscnt 0x0
	v_and_b32_e32 v47, 0xffff, v46
	v_lshrrev_b32_e32 v46, 16, v46
	;;#ASMSTART
	v_cvt_f32_f16 v25, v47;
	;;#ASMEND
	;;#ASMSTART
	v_cvt_f32_f16 v26, v46;
	;;#ASMEND
	;; [unrolled: 3-line block ×4, first 2 shown]
	ds_load_b32 v48, v16 offset:8
	v_mul_f32_e32 v25, v25, v46
	v_fma_mixlo_f16 v40, v22, v40, 0 op_sel_hi:[0,1,0]
	v_and_b32_e32 v63, 0xffff, v39
	v_mul_f32_e32 v26, v26, v47
	v_or_b32_e32 v42, v41, v42
	v_fmac_f32_e32 v25, v1, v24
	v_fma_mixlo_f16 v41, v22, v41, 0 op_sel:[0,1,0] op_sel_hi:[0,1,0]
	v_or_b32_e32 v1, v43, v44
	v_fmac_f32_e32 v26, v23, v45
	v_fma_mixlo_f16 v42, v22, v42, 0 op_sel_hi:[0,1,0]
	v_fma_mixlo_f16 v23, v22, v43, 0 op_sel:[0,1,0] op_sel_hi:[0,1,0]
	v_or_b32_e32 v8, v7, v8
	v_fma_mixlo_f16 v1, v22, v1, 0 op_sel_hi:[0,1,0]
	v_fma_mixlo_f16 v7, v22, v7, 0 op_sel:[0,1,0] op_sel_hi:[0,1,0]
	s_delay_alu instid0(VALU_DEP_3)
	v_fma_mixlo_f16 v8, v22, v8, 0 op_sel_hi:[0,1,0]
	s_wait_dscnt 0x0
	v_and_b32_e32 v49, 0xffff, v48
	v_lshrrev_b32_e32 v48, 16, v48
	;;#ASMSTART
	v_cvt_f32_f16 v27, v49;
	;;#ASMEND
	;;#ASMSTART
	v_cvt_f32_f16 v28, v48;
	;;#ASMEND
	;; [unrolled: 3-line block ×4, first 2 shown]
	ds_load_b32 v50, v16 offset:12
	v_dual_fmac_f32 v25, v27, v48 :: v_dual_and_b32 v52, 0xffff, v30
	v_dual_fmac_f32 v26, v28, v49 :: v_dual_and_b32 v27, 0xffff, v23
	s_wait_dscnt 0x0
	v_and_b32_e32 v51, 0xffff, v50
	v_lshrrev_b32_e32 v50, 16, v50
	;;#ASMSTART
	v_cvt_f32_f16 v29, v51;
	;;#ASMEND
	;;#ASMSTART
	v_cvt_f32_f16 v30, v50;
	;;#ASMEND
	;; [unrolled: 3-line block ×4, first 2 shown]
	ds_load_b32 v52, v16 offset:16
	v_dual_fmac_f32 v25, v29, v50 :: v_dual_and_b32 v54, 0xffff, v32
	v_fmac_f32_e32 v26, v30, v51
	v_xor_b32_e32 v29, 2, v10
	s_delay_alu instid0(VALU_DEP_1)
	v_cmp_gt_i32_e64 s4, 32, v29
	s_wait_dscnt 0x0
	v_and_b32_e32 v53, 0xffff, v52
	v_lshrrev_b32_e32 v52, 16, v52
	;;#ASMSTART
	v_cvt_f32_f16 v31, v53;
	;;#ASMEND
	;;#ASMSTART
	v_cvt_f32_f16 v32, v52;
	;;#ASMEND
	;;#ASMSTART
	v_cvt_f32_f16 v52, v54;
	;;#ASMEND
	;;#ASMSTART
	v_cvt_f32_f16 v53, v55;
	;;#ASMEND
	ds_load_b32 v54, v16 offset:20
	v_dual_fmac_f32 v25, v31, v52 :: v_dual_and_b32 v56, 0xffff, v34
	s_wait_dscnt 0x0
	v_dual_fmac_f32 v26, v32, v53 :: v_dual_and_b32 v55, 0xffff, v54
	v_lshrrev_b32_e32 v54, 16, v54
	;;#ASMSTART
	v_cvt_f32_f16 v33, v55;
	;;#ASMEND
	;;#ASMSTART
	v_cvt_f32_f16 v34, v54;
	;;#ASMEND
	;; [unrolled: 3-line block ×4, first 2 shown]
	ds_load_b32 v56, v16 offset:24
	v_dual_fmac_f32 v25, v33, v54 :: v_dual_fmac_f32 v26, v34, v55
	s_wait_dscnt 0x0
	v_and_b32_e32 v57, 0xffff, v56
	v_lshrrev_b32_e32 v56, 16, v56
	;;#ASMSTART
	v_cvt_f32_f16 v35, v57;
	;;#ASMEND
	;;#ASMSTART
	v_cvt_f32_f16 v36, v56;
	;;#ASMEND
	;; [unrolled: 3-line block ×4, first 2 shown]
	ds_load_b32 v58, v16 offset:28
	v_dual_fmac_f32 v25, v35, v56 :: v_dual_and_b32 v60, 0xffff, v38
	s_wait_dscnt 0x0
	v_dual_fmac_f32 v26, v36, v57 :: v_dual_and_b32 v59, 0xffff, v58
	v_lshrrev_b32_e32 v58, 16, v58
	;;#ASMSTART
	v_cvt_f32_f16 v37, v59;
	;;#ASMEND
	;;#ASMSTART
	v_cvt_f32_f16 v38, v58;
	;;#ASMEND
	;;#ASMSTART
	v_cvt_f32_f16 v58, v60;
	;;#ASMEND
	;;#ASMSTART
	v_cvt_f32_f16 v59, v61;
	;;#ASMEND
	ds_load_b32 v60, v16 offset:32
	v_dual_fmac_f32 v25, v37, v58 :: v_dual_and_b32 v62, 0xffff, v40
	s_wait_dscnt 0x0
	v_dual_fmac_f32 v26, v38, v59 :: v_dual_and_b32 v61, 0xffff, v60
	v_lshrrev_b32_e32 v60, 16, v60
	;;#ASMSTART
	v_cvt_f32_f16 v39, v61;
	;;#ASMEND
	;;#ASMSTART
	v_cvt_f32_f16 v40, v60;
	;;#ASMEND
	;; [unrolled: 3-line block ×4, first 2 shown]
	ds_load_b32 v62, v16 offset:36
	v_and_b32_e32 v63, 0xffff, v41
	v_dual_fmac_f32 v25, v39, v60 :: v_dual_and_b32 v64, 0xffff, v42
	s_wait_dscnt 0x0
	v_dual_fmac_f32 v26, v40, v61 :: v_dual_and_b32 v41, 0xffff, v62
	v_lshrrev_b32_e32 v62, 16, v62
	;;#ASMSTART
	v_cvt_f32_f16 v41, v41;
	;;#ASMEND
	;;#ASMSTART
	v_cvt_f32_f16 v42, v62;
	;;#ASMEND
	;; [unrolled: 3-line block ×4, first 2 shown]
	ds_load_b32 v62, v16 offset:40
	v_dual_fmac_f32 v25, v41, v46 :: v_dual_and_b32 v28, 0xffff, v1
	s_wait_dscnt 0x0
	v_dual_fmac_f32 v26, v42, v47 :: v_dual_and_b32 v23, 0xffff, v62
	v_lshrrev_b32_e32 v24, 16, v62
	;;#ASMSTART
	v_cvt_f32_f16 v1, v23;
	;;#ASMEND
	;;#ASMSTART
	v_cvt_f32_f16 v23, v24;
	;;#ASMEND
	;; [unrolled: 3-line block ×4, first 2 shown]
	ds_load_b32 v28, v16 offset:44
	v_dual_fmac_f32 v25, v1, v24 :: v_dual_fmac_f32 v26, v23, v27
	s_wait_dscnt 0x0
	v_and_b32_e32 v22, 0xffff, v28
	v_lshrrev_b32_e32 v28, 16, v28
	;;#ASMSTART
	v_cvt_f32_f16 v1, v22;
	;;#ASMEND
	v_and_b32_e32 v30, 0xffff, v7
	s_wait_alu 0xf1ff
	v_cndmask_b32_e64 v7, v10, v29, s4
	v_and_b32_e32 v29, 0xffff, v8
	;;#ASMSTART
	v_cvt_f32_f16 v8, v28;
	;;#ASMEND
	;;#ASMSTART
	v_cvt_f32_f16 v22, v29;
	;;#ASMEND
	v_fmac_f32_e32 v25, v1, v22
	;;#ASMSTART
	v_cvt_f32_f16 v23, v30;
	;;#ASMEND
	v_fmac_f32_e32 v26, v8, v23
	v_lshlrev_b32_e32 v1, 2, v7
	v_xor_b32_e32 v8, 1, v10
	s_delay_alu instid0(VALU_DEP_3) | instskip(NEXT) | instid1(VALU_DEP_2)
	v_add_f32_e32 v7, v25, v26
	v_cmp_gt_i32_e64 s4, 32, v8
	ds_bpermute_b32 v1, v1, v7
	s_wait_alu 0xf1ff
	v_cndmask_b32_e64 v8, v10, v8, s4
	s_wait_dscnt 0x0
	v_add_f32_e32 v1, v7, v1
	s_delay_alu instid0(VALU_DEP_2)
	v_lshlrev_b32_e32 v7, 2, v8
	ds_bpermute_b32 v7, v7, v1
	s_and_saveexec_b32 s42, s3
	s_cbranch_execz .LBB246_11
; %bb.211:                              ;   in Loop: Header=BB246_13 Depth=1
	s_wait_dscnt 0x0
	v_dual_add_f32 v1, v1, v7 :: v_dual_add_nc_u32 v8, v18, v17
	s_delay_alu instid0(VALU_DEP_1) | instskip(NEXT) | instid1(VALU_DEP_1)
	v_cvt_f32_i32_e32 v8, v8
	v_mul_f32_e32 v8, s30, v8
	s_delay_alu instid0(VALU_DEP_1) | instskip(NEXT) | instid1(VALU_DEP_1)
	v_dual_cndmask_b32 v7, 0, v8 :: v_dual_max_num_f32 v8, v15, v15
	v_fmac_f32_e32 v7, s7, v1
	s_delay_alu instid0(VALU_DEP_1) | instskip(NEXT) | instid1(VALU_DEP_1)
	v_dual_max_num_f32 v8, v8, v7 :: v_dual_add_nc_u32 v1, v14, v17
	v_cmp_gt_i32_e64 s4, s34, v1
	s_wait_alu 0xf1ff
	s_delay_alu instid0(VALU_DEP_1) | instskip(NEXT) | instid1(VALU_DEP_3)
	v_cndmask_b32_e64 v1, 0, v7, s4
	v_cndmask_b32_e64 v15, v15, v8, s4
	ds_store_b32 v19, v1
	s_branch .LBB246_11
.LBB246_212:
	s_or_b32 exec_lo, exec_lo, s40
.LBB246_213:
	s_delay_alu instid0(SALU_CYCLE_1)
	s_or_b32 exec_lo, exec_lo, s6
	v_xor_b32_e32 v1, 16, v10
	v_xor_b32_e32 v3, 8, v10
	s_clause 0x2
	s_load_b128 s[4:7], s[0:1], 0x0
	s_load_b64 s[8:9], s[0:1], 0x10
	s_load_b64 s[30:31], s[0:1], 0x28
	v_dual_max_num_f32 v5, v15, v15 :: v_dual_and_b32 v14, 31, v0
	v_cmp_gt_i32_e32 vcc_lo, 32, v1
	s_wait_alu 0xfffd
	v_cndmask_b32_e32 v1, v10, v1, vcc_lo
	v_cmp_gt_i32_e32 vcc_lo, 32, v3
	s_wait_alu 0xfffd
	v_cndmask_b32_e32 v3, v10, v3, vcc_lo
	s_delay_alu instid0(VALU_DEP_1) | instskip(SKIP_4) | instid1(VALU_DEP_1)
	v_lshlrev_b32_e32 v4, 2, v3
	v_lshlrev_b32_e32 v2, 2, v1
	ds_bpermute_b32 v1, v2, v15
	s_wait_dscnt 0x0
	v_max_num_f32_e32 v1, v1, v1
	v_max_num_f32_e32 v1, v5, v1
	v_xor_b32_e32 v5, 4, v10
	ds_bpermute_b32 v3, v4, v1
	v_cmp_gt_i32_e32 vcc_lo, 32, v5
	s_wait_alu 0xfffd
	v_cndmask_b32_e32 v5, v10, v5, vcc_lo
	v_cmp_eq_u32_e32 vcc_lo, 0, v14
	s_delay_alu instid0(VALU_DEP_2) | instskip(SKIP_3) | instid1(VALU_DEP_1)
	v_lshlrev_b32_e32 v7, 2, v5
	v_lshlrev_b32_e32 v5, 2, v11
	s_wait_dscnt 0x0
	v_max_num_f32_e32 v3, v3, v3
	v_max_num_f32_e32 v1, v1, v3
	ds_bpermute_b32 v3, v7, v1
	s_and_saveexec_b32 s0, vcc_lo
	s_cbranch_execz .LBB246_215
; %bb.214:
	s_wait_dscnt 0x0
	v_max_num_f32_e32 v3, v3, v3
	v_max_num_f32_e32 v1, v1, v1
	s_delay_alu instid0(VALU_DEP_1)
	v_max_num_f32_e32 v1, v1, v3
	ds_store_b32 v5, v1 offset:192
.LBB246_215:
	s_or_b32 exec_lo, exec_lo, s0
	v_cmp_gt_u32_e64 s0, 4, v14
	v_dual_mov_b32 v1, 0xff7fffff :: v_dual_lshlrev_b32 v6, 2, v14
	s_wait_loadcnt_dscnt 0x0
	s_barrier_signal -1
	s_barrier_wait -1
	global_inv scope:SCOPE_SE
	s_and_saveexec_b32 s1, s0
; %bb.216:
	ds_load_b32 v1, v6 offset:192
; %bb.217:
	s_or_b32 exec_lo, exec_lo, s1
	v_xor_b32_e32 v3, 2, v10
	v_xor_b32_e32 v15, 1, v10
	s_delay_alu instid0(VALU_DEP_2) | instskip(NEXT) | instid1(VALU_DEP_1)
	v_cmp_gt_i32_e64 s1, 32, v3
	v_cndmask_b32_e64 v3, v10, v3, s1
	s_delay_alu instid0(VALU_DEP_3) | instskip(NEXT) | instid1(VALU_DEP_2)
	v_cmp_gt_i32_e64 s1, 32, v15
	v_lshlrev_b32_e32 v8, 2, v3
	s_wait_alu 0xf1ff
	s_delay_alu instid0(VALU_DEP_2)
	v_cndmask_b32_e64 v10, v10, v15, s1
	v_mov_b32_e32 v15, 0
	s_sub_co_i32 s1, s23, s38
	s_wait_alu 0xfffe
	s_lshl_b32 s1, s1, 3
	s_wait_dscnt 0x0
	ds_bpermute_b32 v3, v8, v1
	v_max_num_f32_e32 v1, v1, v1
	s_wait_alu 0xfffe
	s_add_co_i32 s1, s1, s35
	v_lshlrev_b32_e32 v10, 2, v10
	s_wait_alu 0xfffe
	s_min_i32 s1, s1, s34
	s_wait_alu 0xfffe
	s_sub_co_i32 s19, s1, s35
	s_wait_alu 0xfffe
	v_cmp_gt_i32_e64 s1, s19, v0
	s_wait_dscnt 0x0
	v_max_num_f32_e32 v3, v3, v3
	s_delay_alu instid0(VALU_DEP_1) | instskip(SKIP_3) | instid1(VALU_DEP_1)
	v_max_num_f32_e32 v1, v1, v3
	ds_bpermute_b32 v3, v10, v1
	s_wait_dscnt 0x0
	v_max_num_f32_e32 v3, v3, v3
	v_max_num_f32_e32 v1, v1, v3
	v_lshl_add_u32 v3, v0, 2, 0xe0
	ds_bpermute_b32 v1, v15, v1
	s_and_saveexec_b32 s35, s1
	s_cbranch_execz .LBB246_221
; %bb.218:
	v_lshl_add_u32 v16, v0, 2, 0xe0
	v_mov_b32_e32 v15, 0
	v_mov_b32_e32 v17, v0
	s_mov_b32 s38, 0
.LBB246_219:                            ; =>This Inner Loop Header: Depth=1
	ds_load_b32 v18, v16
	v_add_nc_u32_e32 v17, 0x80, v17
	s_delay_alu instid0(VALU_DEP_1) | instskip(SKIP_4) | instid1(VALU_DEP_1)
	v_cmp_le_i32_e64 s3, s19, v17
	s_wait_alu 0xfffe
	s_or_b32 s38, s3, s38
	s_wait_dscnt 0x0
	v_sub_f32_e32 v18, v18, v1
	v_mul_f32_e32 v18, 0x3fb8aa3b, v18
	s_delay_alu instid0(VALU_DEP_1)
	v_exp_f32_e32 v18, v18
	ds_store_b32 v16, v18
	v_dual_add_f32 v15, v15, v18 :: v_dual_add_nc_u32 v16, 0x200, v16
	s_wait_alu 0xfffe
	s_and_not1_b32 exec_lo, exec_lo, s38
	s_cbranch_execnz .LBB246_219
; %bb.220:
	s_or_b32 exec_lo, exec_lo, s38
.LBB246_221:
	s_wait_alu 0xfffe
	s_or_b32 exec_lo, exec_lo, s35
	ds_bpermute_b32 v2, v2, v15
	s_wait_dscnt 0x0
	v_add_f32_e32 v2, v15, v2
	ds_bpermute_b32 v4, v4, v2
	s_wait_dscnt 0x0
	v_add_f32_e32 v2, v2, v4
	;; [unrolled: 3-line block ×5, first 2 shown]
	s_and_saveexec_b32 s3, vcc_lo
; %bb.222:
	ds_store_b32 v5, v2 offset:208
; %bb.223:
	s_wait_alu 0xfffe
	s_or_b32 exec_lo, exec_lo, s3
	s_wait_loadcnt_dscnt 0x0
	s_barrier_signal -1
	s_barrier_wait -1
	global_inv scope:SCOPE_SE
	s_and_saveexec_b32 s3, s0
; %bb.224:
	ds_load_b32 v2, v6 offset:208
; %bb.225:
	s_wait_alu 0xfffe
	s_or_b32 exec_lo, exec_lo, s3
	s_wait_dscnt 0x0
	ds_bpermute_b32 v4, v8, v2
	s_wait_dscnt 0x0
	v_add_f32_e32 v2, v2, v4
	ds_bpermute_b32 v4, v10, v2
	s_wait_dscnt 0x0
	v_add_f32_e32 v2, v2, v4
	v_mov_b32_e32 v4, 0
	ds_bpermute_b32 v2, v4, v2
	s_and_saveexec_b32 s0, s1
	s_cbranch_execz .LBB246_228
; %bb.226:
	s_wait_dscnt 0x0
	v_add_f32_e32 v4, 0x358637bd, v2
	s_mov_b32 s1, 0
	s_delay_alu instid0(VALU_DEP_1) | instskip(SKIP_1) | instid1(VALU_DEP_2)
	v_div_scale_f32 v5, null, v4, v4, 1.0
	v_div_scale_f32 v8, vcc_lo, 1.0, v4, 1.0
	v_rcp_f32_e32 v6, v5
	s_delay_alu instid0(TRANS32_DEP_1) | instskip(NEXT) | instid1(VALU_DEP_1)
	v_fma_f32 v7, -v5, v6, 1.0
	v_fmac_f32_e32 v6, v7, v6
	s_delay_alu instid0(VALU_DEP_1) | instskip(NEXT) | instid1(VALU_DEP_1)
	v_mul_f32_e32 v7, v8, v6
	v_fma_f32 v10, -v5, v7, v8
	s_delay_alu instid0(VALU_DEP_1) | instskip(NEXT) | instid1(VALU_DEP_1)
	v_fmac_f32_e32 v7, v10, v6
	v_fma_f32 v5, -v5, v7, v8
	s_wait_alu 0xfffd
	s_delay_alu instid0(VALU_DEP_1) | instskip(NEXT) | instid1(VALU_DEP_1)
	v_div_fmas_f32 v5, v5, v6, v7
	v_div_fixup_f32 v4, v5, v4, 1.0
	v_mov_b32_e32 v5, v0
.LBB246_227:                            ; =>This Inner Loop Header: Depth=1
	ds_load_b32 v6, v3
	s_wait_dscnt 0x0
	v_dual_mul_f32 v6, v4, v6 :: v_dual_add_nc_u32 v5, 0x80, v5
	s_delay_alu instid0(VALU_DEP_1)
	v_cmp_le_i32_e32 vcc_lo, s19, v5
	ds_store_b32 v3, v6
	v_add_nc_u32_e32 v3, 0x200, v3
	s_wait_alu 0xfffe
	s_or_b32 s1, vcc_lo, s1
	s_wait_alu 0xfffe
	s_and_not1_b32 exec_lo, exec_lo, s1
	s_cbranch_execnz .LBB246_227
.LBB246_228:
	s_wait_alu 0xfffe
	s_or_b32 exec_lo, exec_lo, s0
	s_mul_i32 s0, s12, s28
	s_wait_loadcnt_dscnt 0x0
	s_wait_alu 0xfffe
	s_mul_i32 s28, s0, s29
	s_mov_b32 s0, exec_lo
	s_barrier_signal -1
	s_barrier_wait -1
	global_inv scope:SCOPE_SE
	v_cmpx_eq_u32_e32 0, v0
	s_cbranch_execz .LBB246_230
; %bb.229:
	s_ashr_i32 s29, s28, 31
	s_wait_alu 0xfffe
	s_mul_i32 s38, s12, ttmp9
	s_lshl_b32 s1, s33, 2
	s_lshl_b64 s[40:41], s[28:29], 2
	s_wait_alu 0xfffe
	s_ashr_i32 s39, s38, 31
	v_mov_b32_e32 v3, s1
	s_wait_kmcnt 0x0
	s_add_nc_u64 s[6:7], s[6:7], s[40:41]
	s_wait_alu 0xfffe
	s_lshl_b64 s[38:39], s[38:39], 2
	s_add_nc_u64 s[4:5], s[4:5], s[40:41]
	s_wait_alu 0xfffe
	s_add_nc_u64 s[6:7], s[6:7], s[38:39]
	s_add_nc_u64 s[4:5], s[4:5], s[38:39]
	s_clause 0x1
	global_store_b32 v3, v1, s[6:7]
	global_store_b32 v3, v2, s[4:5]
.LBB246_230:
	s_wait_alu 0xfffe
	s_or_b32 exec_lo, exec_lo, s0
	v_dual_mov_b32 v17, 0 :: v_dual_mov_b32 v16, 0
	v_mov_b32_e32 v15, 0
	s_and_saveexec_b32 s1, s2
	s_cbranch_execz .LBB246_434
; %bb.231:
	s_wait_kmcnt 0x0
	s_abs_i32 s4, s14
	s_lshl_b64 s[26:27], s[26:27], 2
	s_wait_alu 0xfffe
	s_cvt_f32_u32 s0, s4
	v_dual_mov_b32 v2, 0 :: v_dual_lshlrev_b32 v5, 3, v14
	s_ashr_i32 s19, s18, 31
	s_wait_alu 0xfffe
	v_rcp_iflag_f32_e32 v1, s0
	s_add_nc_u64 s[24:25], s[24:25], s[26:27]
	s_sub_co_i32 s5, s37, s13
	s_add_nc_u64 s[18:19], s[30:31], s[18:19]
	v_add_co_u32 v3, s13, s24, v9
	s_sub_co_i32 s7, 0, s4
	v_add_co_ci_u32_e64 v4, null, s25, 0, s13
	s_wait_alu 0xfffe
	v_add_co_u32 v5, s13, s18, v5
	s_delay_alu instid0(TRANS32_DEP_1)
	v_readfirstlane_b32 s0, v1
	v_lshl_add_u32 v18, v11, 5, 0xe0
	v_dual_mov_b32 v15, 0 :: v_dual_mov_b32 v16, 0
	v_mov_b32_e32 v17, 0
	s_mul_f32 s0, s0, 0x4f7ffffe
	v_add_co_ci_u32_e64 v6, null, s19, 0, s13
	s_mov_b32 s2, -1
	s_wait_alu 0xfffe
	s_cvt_u32_f32 s0, s0
	s_mov_b32 s6, s17
	s_mov_b32 s3, 0xffffff
	s_add_co_i32 s36, s36, -1
	s_wait_alu 0xfffe
	s_mul_i32 s7, s7, s0
	s_wait_alu 0xfffe
	s_mul_hi_u32 s13, s0, s7
	s_mov_b32 s7, 0
	s_wait_alu 0xfffe
	s_add_co_i32 s13, s0, s13
	s_branch .LBB246_234
.LBB246_232:                            ;   in Loop: Header=BB246_234 Depth=1
	s_wait_alu 0xfffe
	s_or_b32 exec_lo, exec_lo, s0
	;;#ASMSTART
	v_pk_mul_f16 v1, v31, v34;

	;;#ASMEND
	;;#ASMSTART
	v_pk_mul_f16 v19, v30, v32;

	;;#ASMEND
	;; [unrolled: 4-line block ×4, first 2 shown]
	;;#ASMSTART
	v_pk_add_f16 v1, v1, v19;

	;;#ASMEND
	;;#ASMSTART
	v_pk_add_f16 v1, v1, v8;

	;;#ASMEND
	;; [unrolled: 4-line block ×3, first 2 shown]
	v_and_b32_e32 v8, 0xffff, v1
	v_lshrrev_b32_e32 v19, 16, v1
	v_add_f32_e32 v1, v9, v10
	;;#ASMSTART
	v_cvt_f32_f16 v8, v8;
	;;#ASMEND
	;;#ASMSTART
	v_cvt_f32_f16 v9, v19;
	;;#ASMEND
	v_dual_add_f32 v7, v26, v27 :: v_dual_add_f32 v8, v8, v9
	s_delay_alu instid0(VALU_DEP_1) | instskip(NEXT) | instid1(VALU_DEP_2)
	v_dual_add_f32 v16, v16, v1 :: v_dual_add_f32 v17, v17, v7
	v_add_f32_e32 v15, v15, v8
.LBB246_233:                            ;   in Loop: Header=BB246_234 Depth=1
	s_wait_alu 0xfffe
	s_or_b32 exec_lo, exec_lo, s14
	v_add_nc_u32_e32 v13, 4, v13
	v_add_co_u32 v3, s0, v3, 16
	s_wait_alu 0xf1ff
	v_add_co_ci_u32_e64 v4, null, 0, v4, s0
	s_delay_alu instid0(VALU_DEP_3)
	v_cmp_le_i32_e32 vcc_lo, s23, v13
	v_add_nc_u32_e32 v12, 32, v12
	v_add_nc_u32_e32 v18, 0x80, v18
	s_or_b32 s7, vcc_lo, s7
	s_wait_alu 0xfffe
	s_and_not1_b32 exec_lo, exec_lo, s7
	s_cbranch_execz .LBB246_433
.LBB246_234:                            ; =>This Inner Loop Header: Depth=1
	v_sub_nc_u32_e32 v1, 0, v12
	s_delay_alu instid0(VALU_DEP_1) | instskip(NEXT) | instid1(VALU_DEP_1)
	v_max_i32_e32 v1, v12, v1
	v_mul_hi_u32 v7, v1, s22
	s_delay_alu instid0(VALU_DEP_1) | instskip(NEXT) | instid1(VALU_DEP_1)
	v_mul_lo_u32 v8, v7, s16
	v_sub_nc_u32_e32 v1, v1, v8
	s_delay_alu instid0(VALU_DEP_1) | instskip(SKIP_2) | instid1(VALU_DEP_2)
	v_subrev_nc_u32_e32 v9, s16, v1
	v_cmp_le_u32_e32 vcc_lo, s16, v1
	s_wait_alu 0xfffd
	v_dual_cndmask_b32 v1, v1, v9 :: v_dual_add_nc_u32 v8, 1, v7
	s_delay_alu instid0(VALU_DEP_1) | instskip(SKIP_1) | instid1(VALU_DEP_3)
	v_cndmask_b32_e32 v7, v7, v8, vcc_lo
	v_ashrrev_i32_e32 v8, 31, v12
	v_cmp_le_u32_e32 vcc_lo, s16, v1
	s_delay_alu instid0(VALU_DEP_3) | instskip(NEXT) | instid1(VALU_DEP_3)
	v_add_nc_u32_e32 v9, 1, v7
	v_xor_b32_e32 v8, s15, v8
	s_wait_alu 0xfffd
	s_delay_alu instid0(VALU_DEP_2) | instskip(NEXT) | instid1(VALU_DEP_1)
	v_cndmask_b32_e32 v1, v7, v9, vcc_lo
	v_xor_b32_e32 v1, v1, v8
	s_delay_alu instid0(VALU_DEP_1) | instskip(NEXT) | instid1(VALU_DEP_1)
	v_sub_nc_u32_e32 v1, v1, v8
	v_add_nc_u32_e32 v7, s21, v1
	v_cmp_lt_i32_e64 s0, s5, v1
	s_delay_alu instid0(VALU_DEP_2) | instskip(NEXT) | instid1(VALU_DEP_1)
	v_sub_nc_u32_e32 v8, 0, v7
	v_max_i32_e32 v8, v7, v8
	v_ashrrev_i32_e32 v7, 31, v7
	s_wait_alu 0xfffe
	s_delay_alu instid0(VALU_DEP_2) | instskip(NEXT) | instid1(VALU_DEP_1)
	v_mul_hi_u32 v9, v8, s13
	v_mul_lo_u32 v9, v9, s4
	s_delay_alu instid0(VALU_DEP_1) | instskip(NEXT) | instid1(VALU_DEP_1)
	v_sub_nc_u32_e32 v8, v8, v9
	v_subrev_nc_u32_e32 v9, s4, v8
	v_cmp_le_u32_e32 vcc_lo, s4, v8
	s_wait_alu 0xfffd
	s_delay_alu instid0(VALU_DEP_2) | instskip(NEXT) | instid1(VALU_DEP_1)
	v_cndmask_b32_e32 v8, v8, v9, vcc_lo
	v_subrev_nc_u32_e32 v9, s4, v8
	v_cmp_le_u32_e32 vcc_lo, s4, v8
	s_wait_alu 0xfffd
	s_delay_alu instid0(VALU_DEP_2) | instskip(NEXT) | instid1(VALU_DEP_1)
	v_cndmask_b32_e32 v8, v8, v9, vcc_lo
	v_xor_b32_e32 v8, v8, v7
	s_delay_alu instid0(VALU_DEP_1) | instskip(NEXT) | instid1(VALU_DEP_1)
	v_sub_nc_u32_e32 v7, v8, v7
	v_cmp_eq_u32_e32 vcc_lo, 0, v7
	s_or_b32 s0, vcc_lo, s0
	s_wait_alu 0xfffe
	s_and_saveexec_b32 s14, s0
	s_cbranch_execz .LBB246_233
; %bb.235:                              ;   in Loop: Header=BB246_234 Depth=1
	global_load_b32 v1, v[3:4], off
	ds_load_2addr_b64 v[19:22], v18 offset1:1
	ds_load_2addr_b64 v[31:34], v18 offset0:2 offset1:3
	s_mov_b32 s0, exec_lo
	s_wait_dscnt 0x1
	;;#ASMSTART
	v_cvt_f16_f32 v26, v19;

	;;#ASMEND
	;;#ASMSTART
	v_cvt_f16_f32 v27, v20;

	;;#ASMEND
	;; [unrolled: 4-line block ×4, first 2 shown]
	s_wait_dscnt 0x0
	;;#ASMSTART
	v_cvt_f16_f32 v31, v31;

	;;#ASMEND
	;;#ASMSTART
	v_cvt_f16_f32 v29, v32;

	;;#ASMEND
	;; [unrolled: 4-line block ×4, first 2 shown]
	v_mov_b32_e32 v21, 0
	s_wait_loadcnt 0x0
	v_mad_co_i64_i32 v[7:8], null, v1, s6, v[5:6]
	global_load_b64 v[9:10], v[7:8], off
	s_wait_loadcnt 0x0
	v_dual_mov_b32 v20, 0 :: v_dual_and_b32 v1, 0xff, v9
	global_load_b32 v19, v20, s[10:11]
	v_cmpx_ne_u16_e32 0, v1
	s_cbranch_execz .LBB246_243
; %bb.236:                              ;   in Loop: Header=BB246_234 Depth=1
	v_mov_b32_e32 v21, 0x8000
	s_mov_b32 s17, exec_lo
	v_cmpx_ne_u16_e32 0x80, v1
	s_cbranch_execz .LBB246_242
; %bb.237:                              ;   in Loop: Header=BB246_234 Depth=1
	v_and_b32_e32 v22, 0x7f, v9
	v_mov_b32_e32 v21, 0x7c01
	s_mov_b32 s18, exec_lo
	s_delay_alu instid0(VALU_DEP_2)
	v_cmpx_ne_u32_e32 0x7f, v22
	s_cbranch_execz .LBB246_241
; %bb.238:                              ;   in Loop: Header=BB246_234 Depth=1
	v_and_b32_e32 v1, 7, v9
	v_lshrrev_b32_e32 v21, 3, v22
	s_mov_b32 s19, exec_lo
	v_cmpx_gt_u32_e32 8, v22
; %bb.239:                              ;   in Loop: Header=BB246_234 Depth=1
	s_delay_alu instid0(VALU_DEP_3) | instskip(NEXT) | instid1(VALU_DEP_1)
	v_clz_i32_u32_e32 v1, v1
	v_min_u32_e32 v1, 32, v1
	s_delay_alu instid0(VALU_DEP_1) | instskip(NEXT) | instid1(VALU_DEP_1)
	v_subrev_nc_u32_e32 v21, 28, v1
	v_lshlrev_b64_e32 v[22:23], v21, v[9:10]
	v_sub_nc_u32_e32 v21, 29, v1
	s_delay_alu instid0(VALU_DEP_2)
	v_and_b32_e32 v1, 7, v22
; %bb.240:                              ;   in Loop: Header=BB246_234 Depth=1
	s_wait_alu 0xfffe
	s_or_b32 exec_lo, exec_lo, s19
	v_lshlrev_b32_e32 v22, 8, v9
	v_lshl_add_u32 v21, v21, 10, 0x2000
	v_lshlrev_b32_e32 v1, 7, v1
	s_delay_alu instid0(VALU_DEP_3) | instskip(NEXT) | instid1(VALU_DEP_3)
	v_and_b32_e32 v22, 0x8000, v22
	v_and_b32_e32 v21, 0xfc00, v21
	s_delay_alu instid0(VALU_DEP_1)
	v_or3_b32 v21, v22, v21, v1
.LBB246_241:                            ;   in Loop: Header=BB246_234 Depth=1
	s_wait_alu 0xfffe
	s_or_b32 exec_lo, exec_lo, s18
.LBB246_242:                            ;   in Loop: Header=BB246_234 Depth=1
	s_wait_alu 0xfffe
	s_or_b32 exec_lo, exec_lo, s17
.LBB246_243:                            ;   in Loop: Header=BB246_234 Depth=1
	s_wait_alu 0xfffe
	s_or_b32 exec_lo, exec_lo, s0
	v_lshrrev_b16 v1, 8, v9
	s_mov_b32 s0, exec_lo
	s_delay_alu instid0(VALU_DEP_1)
	v_cmpx_ne_u16_e32 0, v1
	s_cbranch_execz .LBB246_251
; %bb.244:                              ;   in Loop: Header=BB246_234 Depth=1
	v_bfrev_b32_e32 v20, 1
	s_mov_b32 s17, exec_lo
	v_cmpx_ne_u16_e32 0x80, v1
	s_cbranch_execz .LBB246_250
; %bb.245:                              ;   in Loop: Header=BB246_234 Depth=1
	v_and_b32_e32 v22, 0xffff, v1
	v_mov_b32_e32 v20, 0x7c010000
	s_mov_b32 s18, exec_lo
	s_delay_alu instid0(VALU_DEP_2) | instskip(NEXT) | instid1(VALU_DEP_1)
	v_and_b32_e32 v24, 0x7f, v22
	v_cmpx_ne_u32_e32 0x7f, v24
	s_cbranch_execz .LBB246_249
; %bb.246:                              ;   in Loop: Header=BB246_234 Depth=1
	v_and_b32_e32 v20, 7, v22
	v_lshrrev_b32_e32 v23, 3, v24
	s_mov_b32 s19, exec_lo
	v_cmpx_gt_u32_e32 8, v24
; %bb.247:                              ;   in Loop: Header=BB246_234 Depth=1
	s_delay_alu instid0(VALU_DEP_3) | instskip(NEXT) | instid1(VALU_DEP_1)
	v_clz_i32_u32_e32 v20, v20
	v_min_u32_e32 v20, 32, v20
	s_delay_alu instid0(VALU_DEP_1) | instskip(NEXT) | instid1(VALU_DEP_1)
	v_subrev_nc_u32_e32 v23, 28, v20
	v_lshlrev_b64_e32 v[24:25], v23, v[1:2]
	v_sub_nc_u32_e32 v23, 29, v20
	s_delay_alu instid0(VALU_DEP_2)
	v_and_b32_e32 v20, 7, v24
; %bb.248:                              ;   in Loop: Header=BB246_234 Depth=1
	s_wait_alu 0xfffe
	s_or_b32 exec_lo, exec_lo, s19
	v_lshlrev_b32_e32 v1, 8, v22
	v_lshl_add_u32 v22, v23, 10, 0x2000
	v_lshlrev_b32_e32 v20, 23, v20
	s_delay_alu instid0(VALU_DEP_2) | instskip(NEXT) | instid1(VALU_DEP_1)
	v_and_or_b32 v1, 0x8000, v1, v22
	v_lshl_or_b32 v20, v1, 16, v20
.LBB246_249:                            ;   in Loop: Header=BB246_234 Depth=1
	s_wait_alu 0xfffe
	s_or_b32 exec_lo, exec_lo, s18
.LBB246_250:                            ;   in Loop: Header=BB246_234 Depth=1
	s_wait_alu 0xfffe
	s_or_b32 exec_lo, exec_lo, s17
.LBB246_251:                            ;   in Loop: Header=BB246_234 Depth=1
	s_wait_alu 0xfffe
	s_or_b32 exec_lo, exec_lo, s0
	v_lshrrev_b32_e32 v1, 16, v9
	v_mov_b32_e32 v22, 0
	s_mov_b32 s0, exec_lo
	s_delay_alu instid0(VALU_DEP_2) | instskip(NEXT) | instid1(VALU_DEP_1)
	v_dual_mov_b32 v23, 0 :: v_dual_and_b32 v24, 0xff, v1
	v_cmpx_ne_u16_e32 0, v24
	s_cbranch_execz .LBB246_259
; %bb.252:                              ;   in Loop: Header=BB246_234 Depth=1
	v_mov_b32_e32 v23, 0x8000
	s_mov_b32 s17, exec_lo
	v_cmpx_ne_u16_e32 0x80, v24
	s_cbranch_execz .LBB246_258
; %bb.253:                              ;   in Loop: Header=BB246_234 Depth=1
	v_bfe_u32 v25, v9, 16, 7
	v_mov_b32_e32 v23, 0x7c01
	s_mov_b32 s18, exec_lo
	s_delay_alu instid0(VALU_DEP_2)
	v_cmpx_ne_u32_e32 0x7f, v25
	s_cbranch_execz .LBB246_257
; %bb.254:                              ;   in Loop: Header=BB246_234 Depth=1
	v_and_b32_e32 v23, 7, v1
	v_lshrrev_b32_e32 v24, 3, v25
	s_mov_b32 s19, exec_lo
	v_cmpx_gt_u32_e32 8, v25
; %bb.255:                              ;   in Loop: Header=BB246_234 Depth=1
	s_delay_alu instid0(VALU_DEP_3) | instskip(NEXT) | instid1(VALU_DEP_1)
	v_clz_i32_u32_e32 v23, v23
	v_min_u32_e32 v25, 32, v23
	s_delay_alu instid0(VALU_DEP_1) | instskip(NEXT) | instid1(VALU_DEP_1)
	v_subrev_nc_u32_e32 v23, 28, v25
	v_lshlrev_b64_e32 v[23:24], v23, v[1:2]
	v_sub_nc_u32_e32 v24, 29, v25
	s_delay_alu instid0(VALU_DEP_2)
	v_and_b32_e32 v23, 7, v23
; %bb.256:                              ;   in Loop: Header=BB246_234 Depth=1
	s_wait_alu 0xfffe
	s_or_b32 exec_lo, exec_lo, s19
	v_lshlrev_b32_e32 v1, 8, v1
	v_lshl_add_u32 v24, v24, 10, 0x2000
	v_lshlrev_b32_e32 v23, 7, v23
	s_delay_alu instid0(VALU_DEP_3) | instskip(NEXT) | instid1(VALU_DEP_3)
	v_and_b32_e32 v1, 0x8000, v1
	v_and_b32_e32 v24, 0xfc00, v24
	s_delay_alu instid0(VALU_DEP_1)
	v_or3_b32 v23, v1, v24, v23
.LBB246_257:                            ;   in Loop: Header=BB246_234 Depth=1
	s_wait_alu 0xfffe
	s_or_b32 exec_lo, exec_lo, s18
.LBB246_258:                            ;   in Loop: Header=BB246_234 Depth=1
	s_wait_alu 0xfffe
	s_or_b32 exec_lo, exec_lo, s17
.LBB246_259:                            ;   in Loop: Header=BB246_234 Depth=1
	s_wait_alu 0xfffe
	s_or_b32 exec_lo, exec_lo, s0
	s_delay_alu instid0(SALU_CYCLE_1)
	s_mov_b32 s0, exec_lo
	v_cmpx_lt_u32_e32 0xffffff, v9
	s_cbranch_execz .LBB246_267
; %bb.260:                              ;   in Loop: Header=BB246_234 Depth=1
	v_lshrrev_b32_e32 v1, 24, v9
	v_bfrev_b32_e32 v22, 1
	s_mov_b32 s17, exec_lo
	s_delay_alu instid0(VALU_DEP_2)
	v_cmpx_ne_u32_e32 0x80, v1
	s_cbranch_execz .LBB246_266
; %bb.261:                              ;   in Loop: Header=BB246_234 Depth=1
	v_and_b32_e32 v25, 0x7f, v1
	v_mov_b32_e32 v22, 0x7c010000
	s_mov_b32 s18, exec_lo
	s_delay_alu instid0(VALU_DEP_2)
	v_cmpx_ne_u32_e32 0x7f, v25
	s_cbranch_execz .LBB246_265
; %bb.262:                              ;   in Loop: Header=BB246_234 Depth=1
	v_and_b32_e32 v22, 7, v1
	v_lshrrev_b32_e32 v24, 3, v25
	s_mov_b32 s19, exec_lo
	v_cmpx_gt_u32_e32 8, v25
; %bb.263:                              ;   in Loop: Header=BB246_234 Depth=1
	s_delay_alu instid0(VALU_DEP_3) | instskip(NEXT) | instid1(VALU_DEP_1)
	v_clz_i32_u32_e32 v22, v22
	v_min_u32_e32 v22, 32, v22
	s_delay_alu instid0(VALU_DEP_1) | instskip(NEXT) | instid1(VALU_DEP_1)
	v_subrev_nc_u32_e32 v24, 28, v22
	v_lshlrev_b64_e32 v[34:35], v24, v[1:2]
	v_sub_nc_u32_e32 v24, 29, v22
	s_delay_alu instid0(VALU_DEP_2)
	v_and_b32_e32 v22, 7, v34
; %bb.264:                              ;   in Loop: Header=BB246_234 Depth=1
	s_wait_alu 0xfffe
	s_or_b32 exec_lo, exec_lo, s19
	v_lshlrev_b32_e32 v1, 8, v1
	v_lshl_add_u32 v24, v24, 10, 0x2000
	v_lshlrev_b32_e32 v22, 23, v22
	s_delay_alu instid0(VALU_DEP_2) | instskip(NEXT) | instid1(VALU_DEP_1)
	v_and_or_b32 v1, 0x8000, v1, v24
	v_lshl_or_b32 v22, v1, 16, v22
.LBB246_265:                            ;   in Loop: Header=BB246_234 Depth=1
	s_wait_alu 0xfffe
	s_or_b32 exec_lo, exec_lo, s18
.LBB246_266:                            ;   in Loop: Header=BB246_234 Depth=1
	s_wait_alu 0xfffe
	s_or_b32 exec_lo, exec_lo, s17
.LBB246_267:                            ;   in Loop: Header=BB246_234 Depth=1
	s_wait_alu 0xfffe
	s_or_b32 exec_lo, exec_lo, s0
	v_dual_mov_b32 v1, v10 :: v_dual_and_b32 v34, 0xff, v10
	v_dual_mov_b32 v24, 0 :: v_dual_mov_b32 v25, 0
	s_mov_b32 s0, exec_lo
	s_delay_alu instid0(VALU_DEP_2)
	v_cmpx_ne_u16_e32 0, v34
	s_cbranch_execz .LBB246_275
; %bb.268:                              ;   in Loop: Header=BB246_234 Depth=1
	v_mov_b32_e32 v25, 0x8000
	s_mov_b32 s17, exec_lo
	v_cmpx_ne_u16_e32 0x80, v34
	s_cbranch_execz .LBB246_274
; %bb.269:                              ;   in Loop: Header=BB246_234 Depth=1
	v_and_b32_e32 v35, 0x7f, v10
	v_mov_b32_e32 v25, 0x7c01
	s_mov_b32 s18, exec_lo
	s_delay_alu instid0(VALU_DEP_2)
	v_cmpx_ne_u32_e32 0x7f, v35
	s_cbranch_execz .LBB246_273
; %bb.270:                              ;   in Loop: Header=BB246_234 Depth=1
	v_and_b32_e32 v25, 7, v10
	v_lshrrev_b32_e32 v34, 3, v35
	s_mov_b32 s19, exec_lo
	v_cmpx_gt_u32_e32 8, v35
; %bb.271:                              ;   in Loop: Header=BB246_234 Depth=1
	s_delay_alu instid0(VALU_DEP_3) | instskip(NEXT) | instid1(VALU_DEP_1)
	v_clz_i32_u32_e32 v25, v25
	v_min_u32_e32 v25, 32, v25
	s_delay_alu instid0(VALU_DEP_1) | instskip(NEXT) | instid1(VALU_DEP_1)
	v_subrev_nc_u32_e32 v34, 28, v25
	v_lshlrev_b64_e32 v[35:36], v34, v[1:2]
	v_sub_nc_u32_e32 v34, 29, v25
	s_delay_alu instid0(VALU_DEP_2)
	v_and_b32_e32 v25, 7, v35
; %bb.272:                              ;   in Loop: Header=BB246_234 Depth=1
	s_wait_alu 0xfffe
	s_or_b32 exec_lo, exec_lo, s19
	v_lshlrev_b32_e32 v35, 8, v10
	v_lshl_add_u32 v34, v34, 10, 0x2000
	v_lshlrev_b32_e32 v25, 7, v25
	s_delay_alu instid0(VALU_DEP_3) | instskip(NEXT) | instid1(VALU_DEP_3)
	v_and_b32_e32 v35, 0x8000, v35
	v_and_b32_e32 v34, 0xfc00, v34
	s_delay_alu instid0(VALU_DEP_1)
	v_or3_b32 v25, v35, v34, v25
.LBB246_273:                            ;   in Loop: Header=BB246_234 Depth=1
	s_wait_alu 0xfffe
	s_or_b32 exec_lo, exec_lo, s18
.LBB246_274:                            ;   in Loop: Header=BB246_234 Depth=1
	s_wait_alu 0xfffe
	s_or_b32 exec_lo, exec_lo, s17
.LBB246_275:                            ;   in Loop: Header=BB246_234 Depth=1
	s_wait_alu 0xfffe
	s_or_b32 exec_lo, exec_lo, s0
	v_lshrrev_b16 v1, 8, v1
	v_mov_b32_e32 v34, 0
	s_mov_b32 s0, exec_lo
	s_delay_alu instid0(VALU_DEP_2)
	v_cmpx_ne_u16_e32 0, v1
	s_cbranch_execz .LBB246_283
; %bb.276:                              ;   in Loop: Header=BB246_234 Depth=1
	v_bfrev_b32_e32 v34, 1
	s_mov_b32 s17, exec_lo
	v_cmpx_ne_u16_e32 0x80, v1
	s_cbranch_execz .LBB246_282
; %bb.277:                              ;   in Loop: Header=BB246_234 Depth=1
	v_and_b32_e32 v35, 0xffff, v1
	v_mov_b32_e32 v34, 0x7c010000
	s_mov_b32 s18, exec_lo
	s_delay_alu instid0(VALU_DEP_2) | instskip(NEXT) | instid1(VALU_DEP_1)
	v_and_b32_e32 v37, 0x7f, v35
	v_cmpx_ne_u32_e32 0x7f, v37
	s_cbranch_execz .LBB246_281
; %bb.278:                              ;   in Loop: Header=BB246_234 Depth=1
	v_and_b32_e32 v34, 7, v35
	v_lshrrev_b32_e32 v36, 3, v37
	s_mov_b32 s19, exec_lo
	v_cmpx_gt_u32_e32 8, v37
; %bb.279:                              ;   in Loop: Header=BB246_234 Depth=1
	s_delay_alu instid0(VALU_DEP_3) | instskip(NEXT) | instid1(VALU_DEP_1)
	v_clz_i32_u32_e32 v34, v34
	v_min_u32_e32 v34, 32, v34
	s_delay_alu instid0(VALU_DEP_1) | instskip(NEXT) | instid1(VALU_DEP_1)
	v_subrev_nc_u32_e32 v36, 28, v34
	v_lshlrev_b64_e32 v[37:38], v36, v[1:2]
	v_sub_nc_u32_e32 v36, 29, v34
	s_delay_alu instid0(VALU_DEP_2)
	v_and_b32_e32 v34, 7, v37
; %bb.280:                              ;   in Loop: Header=BB246_234 Depth=1
	s_wait_alu 0xfffe
	s_or_b32 exec_lo, exec_lo, s19
	v_lshlrev_b32_e32 v1, 8, v35
	v_lshl_add_u32 v35, v36, 10, 0x2000
	v_lshlrev_b32_e32 v34, 23, v34
	s_delay_alu instid0(VALU_DEP_2) | instskip(NEXT) | instid1(VALU_DEP_1)
	v_and_or_b32 v1, 0x8000, v1, v35
	v_lshl_or_b32 v34, v1, 16, v34
.LBB246_281:                            ;   in Loop: Header=BB246_234 Depth=1
	s_wait_alu 0xfffe
	s_or_b32 exec_lo, exec_lo, s18
.LBB246_282:                            ;   in Loop: Header=BB246_234 Depth=1
	s_wait_alu 0xfffe
	s_or_b32 exec_lo, exec_lo, s17
.LBB246_283:                            ;   in Loop: Header=BB246_234 Depth=1
	s_wait_alu 0xfffe
	s_or_b32 exec_lo, exec_lo, s0
	v_lshrrev_b32_e32 v1, 16, v10
	s_mov_b32 s0, exec_lo
	s_delay_alu instid0(VALU_DEP_1) | instskip(NEXT) | instid1(VALU_DEP_1)
	v_and_b32_e32 v35, 0xff, v1
	v_cmpx_ne_u16_e32 0, v35
	s_cbranch_execz .LBB246_291
; %bb.284:                              ;   in Loop: Header=BB246_234 Depth=1
	v_mov_b32_e32 v24, 0x8000
	s_mov_b32 s17, exec_lo
	v_cmpx_ne_u16_e32 0x80, v35
	s_cbranch_execz .LBB246_290
; %bb.285:                              ;   in Loop: Header=BB246_234 Depth=1
	v_bfe_u32 v36, v10, 16, 7
	v_mov_b32_e32 v24, 0x7c01
	s_mov_b32 s18, exec_lo
	s_delay_alu instid0(VALU_DEP_2)
	v_cmpx_ne_u32_e32 0x7f, v36
	s_cbranch_execz .LBB246_289
; %bb.286:                              ;   in Loop: Header=BB246_234 Depth=1
	v_and_b32_e32 v24, 7, v1
	v_lshrrev_b32_e32 v35, 3, v36
	s_mov_b32 s19, exec_lo
	v_cmpx_gt_u32_e32 8, v36
; %bb.287:                              ;   in Loop: Header=BB246_234 Depth=1
	s_delay_alu instid0(VALU_DEP_3) | instskip(NEXT) | instid1(VALU_DEP_1)
	v_clz_i32_u32_e32 v24, v24
	v_min_u32_e32 v24, 32, v24
	s_delay_alu instid0(VALU_DEP_1) | instskip(NEXT) | instid1(VALU_DEP_1)
	v_subrev_nc_u32_e32 v35, 28, v24
	v_lshlrev_b64_e32 v[36:37], v35, v[1:2]
	v_sub_nc_u32_e32 v35, 29, v24
	s_delay_alu instid0(VALU_DEP_2)
	v_and_b32_e32 v24, 7, v36
; %bb.288:                              ;   in Loop: Header=BB246_234 Depth=1
	s_wait_alu 0xfffe
	s_or_b32 exec_lo, exec_lo, s19
	v_lshlrev_b32_e32 v1, 8, v1
	v_lshl_add_u32 v35, v35, 10, 0x2000
	v_lshlrev_b32_e32 v24, 7, v24
	s_delay_alu instid0(VALU_DEP_3) | instskip(NEXT) | instid1(VALU_DEP_3)
	v_and_b32_e32 v1, 0x8000, v1
	v_and_b32_e32 v35, 0xfc00, v35
	s_delay_alu instid0(VALU_DEP_1)
	v_or3_b32 v24, v1, v35, v24
.LBB246_289:                            ;   in Loop: Header=BB246_234 Depth=1
	s_wait_alu 0xfffe
	s_or_b32 exec_lo, exec_lo, s18
.LBB246_290:                            ;   in Loop: Header=BB246_234 Depth=1
	s_wait_alu 0xfffe
	s_or_b32 exec_lo, exec_lo, s17
.LBB246_291:                            ;   in Loop: Header=BB246_234 Depth=1
	s_wait_alu 0xfffe
	s_or_b32 exec_lo, exec_lo, s0
	v_cmp_lt_u64_e32 vcc_lo, s[2:3], v[9:10]
	v_mov_b32_e32 v9, 0
	s_and_saveexec_b32 s0, vcc_lo
	s_cbranch_execz .LBB246_299
; %bb.292:                              ;   in Loop: Header=BB246_234 Depth=1
	v_lshrrev_b32_e32 v1, 24, v10
	v_bfrev_b32_e32 v9, 1
	s_mov_b32 s17, exec_lo
	s_delay_alu instid0(VALU_DEP_2)
	v_cmpx_ne_u32_e32 0x80, v1
	s_cbranch_execz .LBB246_298
; %bb.293:                              ;   in Loop: Header=BB246_234 Depth=1
	v_and_b32_e32 v35, 0x7f, v1
	v_mov_b32_e32 v9, 0x7c010000
	s_mov_b32 s18, exec_lo
	s_delay_alu instid0(VALU_DEP_2)
	v_cmpx_ne_u32_e32 0x7f, v35
	s_cbranch_execz .LBB246_297
; %bb.294:                              ;   in Loop: Header=BB246_234 Depth=1
	v_and_b32_e32 v9, 7, v1
	v_lshrrev_b32_e32 v10, 3, v35
	s_mov_b32 s19, exec_lo
	v_cmpx_gt_u32_e32 8, v35
; %bb.295:                              ;   in Loop: Header=BB246_234 Depth=1
	s_delay_alu instid0(VALU_DEP_3) | instskip(NEXT) | instid1(VALU_DEP_1)
	v_clz_i32_u32_e32 v9, v9
	v_min_u32_e32 v35, 32, v9
	s_delay_alu instid0(VALU_DEP_1) | instskip(NEXT) | instid1(VALU_DEP_1)
	v_subrev_nc_u32_e32 v9, 28, v35
	v_lshlrev_b64_e32 v[9:10], v9, v[1:2]
	v_sub_nc_u32_e32 v10, 29, v35
	s_delay_alu instid0(VALU_DEP_2)
	v_and_b32_e32 v9, 7, v9
; %bb.296:                              ;   in Loop: Header=BB246_234 Depth=1
	s_wait_alu 0xfffe
	s_or_b32 exec_lo, exec_lo, s19
	v_lshlrev_b32_e32 v1, 8, v1
	v_lshl_add_u32 v10, v10, 10, 0x2000
	v_lshlrev_b32_e32 v9, 23, v9
	s_delay_alu instid0(VALU_DEP_2) | instskip(NEXT) | instid1(VALU_DEP_1)
	v_and_or_b32 v1, 0x8000, v1, v10
	v_lshl_or_b32 v9, v1, 16, v9
.LBB246_297:                            ;   in Loop: Header=BB246_234 Depth=1
	s_wait_alu 0xfffe
	s_or_b32 exec_lo, exec_lo, s18
.LBB246_298:                            ;   in Loop: Header=BB246_234 Depth=1
	s_wait_alu 0xfffe
	s_or_b32 exec_lo, exec_lo, s17
.LBB246_299:                            ;   in Loop: Header=BB246_234 Depth=1
	s_wait_alu 0xfffe
	s_or_b32 exec_lo, exec_lo, s0
	v_or_b32_e32 v1, v22, v23
	s_wait_loadcnt 0x0
	v_fma_mixlo_f16 v10, v19, v22, 0 op_sel:[0,1,0] op_sel_hi:[0,1,0]
	v_or_b32_e32 v21, v20, v21
	v_fma_mixlo_f16 v20, v19, v20, 0 op_sel:[0,1,0] op_sel_hi:[0,1,0]
	v_or_b32_e32 v22, v34, v25
	v_fma_mixlo_f16 v1, v19, v1, 0 op_sel_hi:[0,1,0]
	v_or_b32_e32 v23, v9, v24
	v_fma_mixlo_f16 v9, v19, v9, 0 op_sel:[0,1,0] op_sel_hi:[0,1,0]
	v_lshlrev_b32_e32 v40, 16, v20
	v_fma_mixlo_f16 v20, v19, v21, 0 op_sel_hi:[0,1,0]
	v_and_b32_e32 v37, 0xffff, v1
	v_fma_mixlo_f16 v1, v19, v34, 0 op_sel:[0,1,0] op_sel_hi:[0,1,0]
	v_fma_mixlo_f16 v21, v19, v22, 0 op_sel_hi:[0,1,0]
	v_fma_mixlo_f16 v19, v19, v23, 0 op_sel_hi:[0,1,0]
	v_lshlrev_b32_e32 v10, 16, v10
	v_and_b32_e32 v42, 0xffff, v20
	v_lshlrev_b32_e32 v38, 16, v1
	v_and_b32_e32 v41, 0xffff, v21
	;; [unrolled: 2-line block ×3, first 2 shown]
	v_cmp_eq_u32_e32 vcc_lo, s36, v13
	v_or_b32_e32 v1, v10, v37
	v_or_b32_e32 v9, v40, v42
	;; [unrolled: 1-line block ×4, first 2 shown]
	v_add_nc_u32_e32 v25, 1, v12
	v_add_nc_u32_e32 v24, 2, v12
	;; [unrolled: 1-line block ×7, first 2 shown]
	s_and_saveexec_b32 s17, vcc_lo
	s_cbranch_execz .LBB246_301
; %bb.300:                              ;   in Loop: Header=BB246_234 Depth=1
	v_cmp_gt_i32_e64 s0, s34, v12
	s_wait_alu 0xf1ff
	s_delay_alu instid0(VALU_DEP_1) | instskip(SKIP_2) | instid1(VALU_DEP_1)
	v_cndmask_b32_e64 v1, 0, v42, s0
	v_cmp_gt_i32_e64 s0, s34, v25
	s_wait_alu 0xf1ff
	v_cndmask_b32_e64 v9, 0, v40, s0
	v_cmp_gt_i32_e64 s0, s34, v24
	s_delay_alu instid0(VALU_DEP_2) | instskip(SKIP_1) | instid1(VALU_DEP_2)
	v_or_b32_e32 v9, v9, v1
	s_wait_alu 0xf1ff
	v_cndmask_b32_e64 v34, 0, v37, s0
	v_cmp_gt_i32_e64 s0, s34, v23
	s_wait_alu 0xf1ff
	s_delay_alu instid0(VALU_DEP_1) | instskip(SKIP_1) | instid1(VALU_DEP_2)
	v_cndmask_b32_e64 v10, 0, v10, s0
	v_cmp_gt_i32_e64 s0, s34, v22
	v_or_b32_e32 v1, v10, v34
	s_wait_alu 0xf1ff
	s_delay_alu instid0(VALU_DEP_2) | instskip(SKIP_2) | instid1(VALU_DEP_1)
	v_cndmask_b32_e64 v36, 0, v41, s0
	v_cmp_gt_i32_e64 s0, s34, v21
	s_wait_alu 0xf1ff
	v_cndmask_b32_e64 v37, 0, v38, s0
	v_cmp_gt_i32_e64 s0, s34, v20
	s_delay_alu instid0(VALU_DEP_2) | instskip(SKIP_1) | instid1(VALU_DEP_2)
	v_or_b32_e32 v34, v37, v36
	s_wait_alu 0xf1ff
	v_cndmask_b32_e64 v38, 0, v39, s0
	v_cmp_gt_i32_e64 s0, s34, v19
	s_wait_alu 0xf1ff
	s_delay_alu instid0(VALU_DEP_1) | instskip(NEXT) | instid1(VALU_DEP_1)
	v_cndmask_b32_e64 v35, 0, v35, s0
	v_or_b32_e32 v36, v35, v38
.LBB246_301:                            ;   in Loop: Header=BB246_234 Depth=1
	s_wait_alu 0xfffe
	s_or_b32 exec_lo, exec_lo, s17
	v_and_b32_e32 v10, 0xffff, v26
	v_and_b32_e32 v26, 0xffff, v30
	;; [unrolled: 1-line block ×4, first 2 shown]
	s_mov_b32 s17, exec_lo
	s_delay_alu instid0(VALU_DEP_3) | instskip(NEXT) | instid1(VALU_DEP_3)
	v_lshl_or_b32 v30, v28, 16, v26
	v_lshl_or_b32 v28, v32, 16, v33
	v_mov_b32_e32 v33, 0
	v_lshl_or_b32 v31, v27, 16, v10
	;;#ASMSTART
	v_pk_mul_f16 v9, v31, v9;

	;;#ASMEND
	;;#ASMSTART
	v_pk_mul_f16 v1, v30, v1;

	;;#ASMEND
	v_lshl_or_b32 v29, v29, 16, v35
	;;#ASMSTART
	v_pk_mul_f16 v10, v29, v34;

	;;#ASMEND
	;;#ASMSTART
	v_pk_mul_f16 v26, v28, v36;

	;;#ASMEND
	;;#ASMSTART
	v_pk_add_f16 v1, v9, v1;

	;;#ASMEND
	;;#ASMSTART
	v_pk_add_f16 v1, v1, v10;
	;; [unrolled: 4-line block ×3, first 2 shown]

	;;#ASMEND
	v_and_b32_e32 v9, 0xffff, v1
	v_lshrrev_b32_e32 v1, 16, v1
	;;#ASMSTART
	v_cvt_f32_f16 v26, v9;
	;;#ASMEND
	;;#ASMSTART
	v_cvt_f32_f16 v27, v1;
	;;#ASMEND
	global_load_b64 v[9:10], v[7:8], off offset:256
	global_load_b32 v32, v33, s[10:11]
	s_wait_loadcnt 0x1
	v_dual_mov_b32 v34, 0 :: v_dual_and_b32 v1, 0xff, v9
	s_delay_alu instid0(VALU_DEP_1)
	v_cmpx_ne_u16_e32 0, v1
	s_cbranch_execz .LBB246_309
; %bb.302:                              ;   in Loop: Header=BB246_234 Depth=1
	v_mov_b32_e32 v34, 0x8000
	s_mov_b32 s18, exec_lo
	v_cmpx_ne_u16_e32 0x80, v1
	s_cbranch_execz .LBB246_308
; %bb.303:                              ;   in Loop: Header=BB246_234 Depth=1
	v_and_b32_e32 v35, 0x7f, v9
	v_mov_b32_e32 v34, 0x7c01
	s_mov_b32 s19, exec_lo
	s_delay_alu instid0(VALU_DEP_2)
	v_cmpx_ne_u32_e32 0x7f, v35
	s_cbranch_execz .LBB246_307
; %bb.304:                              ;   in Loop: Header=BB246_234 Depth=1
	v_and_b32_e32 v1, 7, v9
	v_lshrrev_b32_e32 v34, 3, v35
	s_mov_b32 s24, exec_lo
	v_cmpx_gt_u32_e32 8, v35
; %bb.305:                              ;   in Loop: Header=BB246_234 Depth=1
	s_delay_alu instid0(VALU_DEP_3) | instskip(NEXT) | instid1(VALU_DEP_1)
	v_clz_i32_u32_e32 v1, v1
	v_min_u32_e32 v1, 32, v1
	s_delay_alu instid0(VALU_DEP_1) | instskip(NEXT) | instid1(VALU_DEP_1)
	v_subrev_nc_u32_e32 v34, 28, v1
	v_lshlrev_b64_e32 v[35:36], v34, v[9:10]
	v_sub_nc_u32_e32 v34, 29, v1
	s_delay_alu instid0(VALU_DEP_2)
	v_and_b32_e32 v1, 7, v35
; %bb.306:                              ;   in Loop: Header=BB246_234 Depth=1
	s_wait_alu 0xfffe
	s_or_b32 exec_lo, exec_lo, s24
	v_lshlrev_b32_e32 v35, 8, v9
	v_lshl_add_u32 v34, v34, 10, 0x2000
	v_lshlrev_b32_e32 v1, 7, v1
	s_delay_alu instid0(VALU_DEP_3) | instskip(NEXT) | instid1(VALU_DEP_3)
	v_and_b32_e32 v35, 0x8000, v35
	v_and_b32_e32 v34, 0xfc00, v34
	s_delay_alu instid0(VALU_DEP_1)
	v_or3_b32 v34, v35, v34, v1
.LBB246_307:                            ;   in Loop: Header=BB246_234 Depth=1
	s_wait_alu 0xfffe
	s_or_b32 exec_lo, exec_lo, s19
.LBB246_308:                            ;   in Loop: Header=BB246_234 Depth=1
	s_wait_alu 0xfffe
	s_or_b32 exec_lo, exec_lo, s18
.LBB246_309:                            ;   in Loop: Header=BB246_234 Depth=1
	s_wait_alu 0xfffe
	s_or_b32 exec_lo, exec_lo, s17
	v_lshrrev_b16 v1, 8, v9
	s_mov_b32 s17, exec_lo
	s_delay_alu instid0(VALU_DEP_1)
	v_cmpx_ne_u16_e32 0, v1
	s_cbranch_execz .LBB246_317
; %bb.310:                              ;   in Loop: Header=BB246_234 Depth=1
	v_bfrev_b32_e32 v33, 1
	s_mov_b32 s18, exec_lo
	v_cmpx_ne_u16_e32 0x80, v1
	s_cbranch_execz .LBB246_316
; %bb.311:                              ;   in Loop: Header=BB246_234 Depth=1
	v_and_b32_e32 v35, 0xffff, v1
	v_mov_b32_e32 v33, 0x7c010000
	s_mov_b32 s19, exec_lo
	s_delay_alu instid0(VALU_DEP_2) | instskip(NEXT) | instid1(VALU_DEP_1)
	v_and_b32_e32 v37, 0x7f, v35
	v_cmpx_ne_u32_e32 0x7f, v37
	s_cbranch_execz .LBB246_315
; %bb.312:                              ;   in Loop: Header=BB246_234 Depth=1
	v_and_b32_e32 v33, 7, v35
	v_lshrrev_b32_e32 v36, 3, v37
	s_mov_b32 s24, exec_lo
	v_cmpx_gt_u32_e32 8, v37
; %bb.313:                              ;   in Loop: Header=BB246_234 Depth=1
	s_delay_alu instid0(VALU_DEP_3) | instskip(NEXT) | instid1(VALU_DEP_1)
	v_clz_i32_u32_e32 v33, v33
	v_min_u32_e32 v33, 32, v33
	s_delay_alu instid0(VALU_DEP_1) | instskip(NEXT) | instid1(VALU_DEP_1)
	v_subrev_nc_u32_e32 v36, 28, v33
	v_lshlrev_b64_e32 v[37:38], v36, v[1:2]
	v_sub_nc_u32_e32 v36, 29, v33
	s_delay_alu instid0(VALU_DEP_2)
	v_and_b32_e32 v33, 7, v37
; %bb.314:                              ;   in Loop: Header=BB246_234 Depth=1
	s_wait_alu 0xfffe
	s_or_b32 exec_lo, exec_lo, s24
	v_lshlrev_b32_e32 v1, 8, v35
	v_lshl_add_u32 v35, v36, 10, 0x2000
	v_lshlrev_b32_e32 v33, 23, v33
	s_delay_alu instid0(VALU_DEP_2) | instskip(NEXT) | instid1(VALU_DEP_1)
	v_and_or_b32 v1, 0x8000, v1, v35
	v_lshl_or_b32 v33, v1, 16, v33
.LBB246_315:                            ;   in Loop: Header=BB246_234 Depth=1
	s_wait_alu 0xfffe
	s_or_b32 exec_lo, exec_lo, s19
.LBB246_316:                            ;   in Loop: Header=BB246_234 Depth=1
	s_wait_alu 0xfffe
	s_or_b32 exec_lo, exec_lo, s18
.LBB246_317:                            ;   in Loop: Header=BB246_234 Depth=1
	s_wait_alu 0xfffe
	s_or_b32 exec_lo, exec_lo, s17
	v_lshrrev_b32_e32 v1, 16, v9
	v_mov_b32_e32 v35, 0
	s_mov_b32 s17, exec_lo
	s_delay_alu instid0(VALU_DEP_2) | instskip(NEXT) | instid1(VALU_DEP_1)
	v_dual_mov_b32 v36, 0 :: v_dual_and_b32 v37, 0xff, v1
	v_cmpx_ne_u16_e32 0, v37
	s_cbranch_execz .LBB246_325
; %bb.318:                              ;   in Loop: Header=BB246_234 Depth=1
	v_mov_b32_e32 v36, 0x8000
	s_mov_b32 s18, exec_lo
	v_cmpx_ne_u16_e32 0x80, v37
	s_cbranch_execz .LBB246_324
; %bb.319:                              ;   in Loop: Header=BB246_234 Depth=1
	v_bfe_u32 v38, v9, 16, 7
	v_mov_b32_e32 v36, 0x7c01
	s_mov_b32 s19, exec_lo
	s_delay_alu instid0(VALU_DEP_2)
	v_cmpx_ne_u32_e32 0x7f, v38
	s_cbranch_execz .LBB246_323
; %bb.320:                              ;   in Loop: Header=BB246_234 Depth=1
	v_and_b32_e32 v36, 7, v1
	v_lshrrev_b32_e32 v37, 3, v38
	s_mov_b32 s24, exec_lo
	v_cmpx_gt_u32_e32 8, v38
; %bb.321:                              ;   in Loop: Header=BB246_234 Depth=1
	s_delay_alu instid0(VALU_DEP_3) | instskip(NEXT) | instid1(VALU_DEP_1)
	v_clz_i32_u32_e32 v36, v36
	v_min_u32_e32 v38, 32, v36
	s_delay_alu instid0(VALU_DEP_1) | instskip(NEXT) | instid1(VALU_DEP_1)
	v_subrev_nc_u32_e32 v36, 28, v38
	v_lshlrev_b64_e32 v[36:37], v36, v[1:2]
	v_sub_nc_u32_e32 v37, 29, v38
	s_delay_alu instid0(VALU_DEP_2)
	v_and_b32_e32 v36, 7, v36
; %bb.322:                              ;   in Loop: Header=BB246_234 Depth=1
	s_wait_alu 0xfffe
	s_or_b32 exec_lo, exec_lo, s24
	v_lshlrev_b32_e32 v1, 8, v1
	v_lshl_add_u32 v37, v37, 10, 0x2000
	v_lshlrev_b32_e32 v36, 7, v36
	s_delay_alu instid0(VALU_DEP_3) | instskip(NEXT) | instid1(VALU_DEP_3)
	v_and_b32_e32 v1, 0x8000, v1
	v_and_b32_e32 v37, 0xfc00, v37
	s_delay_alu instid0(VALU_DEP_1)
	v_or3_b32 v36, v1, v37, v36
.LBB246_323:                            ;   in Loop: Header=BB246_234 Depth=1
	s_wait_alu 0xfffe
	s_or_b32 exec_lo, exec_lo, s19
.LBB246_324:                            ;   in Loop: Header=BB246_234 Depth=1
	s_wait_alu 0xfffe
	s_or_b32 exec_lo, exec_lo, s18
.LBB246_325:                            ;   in Loop: Header=BB246_234 Depth=1
	s_wait_alu 0xfffe
	s_or_b32 exec_lo, exec_lo, s17
	s_delay_alu instid0(SALU_CYCLE_1)
	s_mov_b32 s17, exec_lo
	v_cmpx_lt_u32_e32 0xffffff, v9
	s_cbranch_execz .LBB246_333
; %bb.326:                              ;   in Loop: Header=BB246_234 Depth=1
	v_lshrrev_b32_e32 v1, 24, v9
	v_bfrev_b32_e32 v35, 1
	s_mov_b32 s18, exec_lo
	s_delay_alu instid0(VALU_DEP_2)
	v_cmpx_ne_u32_e32 0x80, v1
	s_cbranch_execz .LBB246_332
; %bb.327:                              ;   in Loop: Header=BB246_234 Depth=1
	v_and_b32_e32 v38, 0x7f, v1
	v_mov_b32_e32 v35, 0x7c010000
	s_mov_b32 s19, exec_lo
	s_delay_alu instid0(VALU_DEP_2)
	v_cmpx_ne_u32_e32 0x7f, v38
	s_cbranch_execz .LBB246_331
; %bb.328:                              ;   in Loop: Header=BB246_234 Depth=1
	v_and_b32_e32 v35, 7, v1
	v_lshrrev_b32_e32 v37, 3, v38
	s_mov_b32 s24, exec_lo
	v_cmpx_gt_u32_e32 8, v38
; %bb.329:                              ;   in Loop: Header=BB246_234 Depth=1
	s_delay_alu instid0(VALU_DEP_3) | instskip(NEXT) | instid1(VALU_DEP_1)
	v_clz_i32_u32_e32 v35, v35
	v_min_u32_e32 v35, 32, v35
	s_delay_alu instid0(VALU_DEP_1) | instskip(NEXT) | instid1(VALU_DEP_1)
	v_subrev_nc_u32_e32 v37, 28, v35
	v_lshlrev_b64_e32 v[38:39], v37, v[1:2]
	v_sub_nc_u32_e32 v37, 29, v35
	s_delay_alu instid0(VALU_DEP_2)
	v_and_b32_e32 v35, 7, v38
; %bb.330:                              ;   in Loop: Header=BB246_234 Depth=1
	s_wait_alu 0xfffe
	s_or_b32 exec_lo, exec_lo, s24
	v_lshlrev_b32_e32 v1, 8, v1
	v_lshl_add_u32 v37, v37, 10, 0x2000
	v_lshlrev_b32_e32 v35, 23, v35
	s_delay_alu instid0(VALU_DEP_2) | instskip(NEXT) | instid1(VALU_DEP_1)
	v_and_or_b32 v1, 0x8000, v1, v37
	v_lshl_or_b32 v35, v1, 16, v35
.LBB246_331:                            ;   in Loop: Header=BB246_234 Depth=1
	s_wait_alu 0xfffe
	s_or_b32 exec_lo, exec_lo, s19
.LBB246_332:                            ;   in Loop: Header=BB246_234 Depth=1
	s_wait_alu 0xfffe
	s_or_b32 exec_lo, exec_lo, s18
.LBB246_333:                            ;   in Loop: Header=BB246_234 Depth=1
	s_wait_alu 0xfffe
	s_or_b32 exec_lo, exec_lo, s17
	v_dual_mov_b32 v38, 0 :: v_dual_and_b32 v39, 0xff, v10
	v_mov_b32_e32 v1, v10
	v_mov_b32_e32 v37, 0
	s_mov_b32 s17, exec_lo
	s_delay_alu instid0(VALU_DEP_3)
	v_cmpx_ne_u16_e32 0, v39
	s_cbranch_execz .LBB246_341
; %bb.334:                              ;   in Loop: Header=BB246_234 Depth=1
	v_mov_b32_e32 v38, 0x8000
	s_mov_b32 s18, exec_lo
	v_cmpx_ne_u16_e32 0x80, v39
	s_cbranch_execz .LBB246_340
; %bb.335:                              ;   in Loop: Header=BB246_234 Depth=1
	v_and_b32_e32 v40, 0x7f, v10
	v_mov_b32_e32 v38, 0x7c01
	s_mov_b32 s19, exec_lo
	s_delay_alu instid0(VALU_DEP_2)
	v_cmpx_ne_u32_e32 0x7f, v40
	s_cbranch_execz .LBB246_339
; %bb.336:                              ;   in Loop: Header=BB246_234 Depth=1
	v_and_b32_e32 v38, 7, v10
	v_lshrrev_b32_e32 v39, 3, v40
	s_mov_b32 s24, exec_lo
	v_cmpx_gt_u32_e32 8, v40
; %bb.337:                              ;   in Loop: Header=BB246_234 Depth=1
	s_delay_alu instid0(VALU_DEP_3) | instskip(NEXT) | instid1(VALU_DEP_1)
	v_clz_i32_u32_e32 v38, v38
	v_min_u32_e32 v40, 32, v38
	s_delay_alu instid0(VALU_DEP_1) | instskip(NEXT) | instid1(VALU_DEP_1)
	v_subrev_nc_u32_e32 v38, 28, v40
	v_lshlrev_b64_e32 v[38:39], v38, v[1:2]
	v_sub_nc_u32_e32 v39, 29, v40
	s_delay_alu instid0(VALU_DEP_2)
	v_and_b32_e32 v38, 7, v38
; %bb.338:                              ;   in Loop: Header=BB246_234 Depth=1
	s_wait_alu 0xfffe
	s_or_b32 exec_lo, exec_lo, s24
	v_lshlrev_b32_e32 v40, 8, v10
	v_lshl_add_u32 v39, v39, 10, 0x2000
	v_lshlrev_b32_e32 v38, 7, v38
	s_delay_alu instid0(VALU_DEP_3) | instskip(NEXT) | instid1(VALU_DEP_3)
	v_and_b32_e32 v40, 0x8000, v40
	v_and_b32_e32 v39, 0xfc00, v39
	s_delay_alu instid0(VALU_DEP_1)
	v_or3_b32 v38, v40, v39, v38
.LBB246_339:                            ;   in Loop: Header=BB246_234 Depth=1
	s_wait_alu 0xfffe
	s_or_b32 exec_lo, exec_lo, s19
.LBB246_340:                            ;   in Loop: Header=BB246_234 Depth=1
	s_wait_alu 0xfffe
	s_or_b32 exec_lo, exec_lo, s18
.LBB246_341:                            ;   in Loop: Header=BB246_234 Depth=1
	s_wait_alu 0xfffe
	s_or_b32 exec_lo, exec_lo, s17
	v_lshrrev_b16 v1, 8, v1
	v_mov_b32_e32 v39, 0
	s_mov_b32 s17, exec_lo
	s_delay_alu instid0(VALU_DEP_2)
	v_cmpx_ne_u16_e32 0, v1
	s_cbranch_execz .LBB246_349
; %bb.342:                              ;   in Loop: Header=BB246_234 Depth=1
	v_bfrev_b32_e32 v39, 1
	s_mov_b32 s18, exec_lo
	v_cmpx_ne_u16_e32 0x80, v1
	s_cbranch_execz .LBB246_348
; %bb.343:                              ;   in Loop: Header=BB246_234 Depth=1
	v_and_b32_e32 v40, 0xffff, v1
	v_mov_b32_e32 v39, 0x7c010000
	s_mov_b32 s19, exec_lo
	s_delay_alu instid0(VALU_DEP_2) | instskip(NEXT) | instid1(VALU_DEP_1)
	v_and_b32_e32 v42, 0x7f, v40
	v_cmpx_ne_u32_e32 0x7f, v42
	s_cbranch_execz .LBB246_347
; %bb.344:                              ;   in Loop: Header=BB246_234 Depth=1
	v_and_b32_e32 v39, 7, v40
	v_lshrrev_b32_e32 v41, 3, v42
	s_mov_b32 s24, exec_lo
	v_cmpx_gt_u32_e32 8, v42
; %bb.345:                              ;   in Loop: Header=BB246_234 Depth=1
	s_delay_alu instid0(VALU_DEP_3) | instskip(NEXT) | instid1(VALU_DEP_1)
	v_clz_i32_u32_e32 v39, v39
	v_min_u32_e32 v39, 32, v39
	s_delay_alu instid0(VALU_DEP_1) | instskip(NEXT) | instid1(VALU_DEP_1)
	v_subrev_nc_u32_e32 v41, 28, v39
	v_lshlrev_b64_e32 v[42:43], v41, v[1:2]
	v_sub_nc_u32_e32 v41, 29, v39
	s_delay_alu instid0(VALU_DEP_2)
	v_and_b32_e32 v39, 7, v42
; %bb.346:                              ;   in Loop: Header=BB246_234 Depth=1
	s_wait_alu 0xfffe
	s_or_b32 exec_lo, exec_lo, s24
	v_lshlrev_b32_e32 v1, 8, v40
	v_lshl_add_u32 v40, v41, 10, 0x2000
	v_lshlrev_b32_e32 v39, 23, v39
	s_delay_alu instid0(VALU_DEP_2) | instskip(NEXT) | instid1(VALU_DEP_1)
	v_and_or_b32 v1, 0x8000, v1, v40
	v_lshl_or_b32 v39, v1, 16, v39
.LBB246_347:                            ;   in Loop: Header=BB246_234 Depth=1
	s_wait_alu 0xfffe
	s_or_b32 exec_lo, exec_lo, s19
.LBB246_348:                            ;   in Loop: Header=BB246_234 Depth=1
	s_wait_alu 0xfffe
	s_or_b32 exec_lo, exec_lo, s18
.LBB246_349:                            ;   in Loop: Header=BB246_234 Depth=1
	s_wait_alu 0xfffe
	s_or_b32 exec_lo, exec_lo, s17
	v_lshrrev_b32_e32 v1, 16, v10
	s_mov_b32 s17, exec_lo
	s_delay_alu instid0(VALU_DEP_1) | instskip(NEXT) | instid1(VALU_DEP_1)
	v_and_b32_e32 v40, 0xff, v1
	v_cmpx_ne_u16_e32 0, v40
	s_cbranch_execz .LBB246_357
; %bb.350:                              ;   in Loop: Header=BB246_234 Depth=1
	v_mov_b32_e32 v37, 0x8000
	s_mov_b32 s18, exec_lo
	v_cmpx_ne_u16_e32 0x80, v40
	s_cbranch_execz .LBB246_356
; %bb.351:                              ;   in Loop: Header=BB246_234 Depth=1
	v_bfe_u32 v41, v10, 16, 7
	v_mov_b32_e32 v37, 0x7c01
	s_mov_b32 s19, exec_lo
	s_delay_alu instid0(VALU_DEP_2)
	v_cmpx_ne_u32_e32 0x7f, v41
	s_cbranch_execz .LBB246_355
; %bb.352:                              ;   in Loop: Header=BB246_234 Depth=1
	v_and_b32_e32 v37, 7, v1
	v_lshrrev_b32_e32 v40, 3, v41
	s_mov_b32 s24, exec_lo
	v_cmpx_gt_u32_e32 8, v41
; %bb.353:                              ;   in Loop: Header=BB246_234 Depth=1
	s_delay_alu instid0(VALU_DEP_3) | instskip(NEXT) | instid1(VALU_DEP_1)
	v_clz_i32_u32_e32 v37, v37
	v_min_u32_e32 v37, 32, v37
	s_delay_alu instid0(VALU_DEP_1) | instskip(NEXT) | instid1(VALU_DEP_1)
	v_subrev_nc_u32_e32 v40, 28, v37
	v_lshlrev_b64_e32 v[41:42], v40, v[1:2]
	v_sub_nc_u32_e32 v40, 29, v37
	s_delay_alu instid0(VALU_DEP_2)
	v_and_b32_e32 v37, 7, v41
; %bb.354:                              ;   in Loop: Header=BB246_234 Depth=1
	s_wait_alu 0xfffe
	s_or_b32 exec_lo, exec_lo, s24
	v_lshlrev_b32_e32 v1, 8, v1
	v_lshl_add_u32 v40, v40, 10, 0x2000
	v_lshlrev_b32_e32 v37, 7, v37
	s_delay_alu instid0(VALU_DEP_3) | instskip(NEXT) | instid1(VALU_DEP_3)
	v_and_b32_e32 v1, 0x8000, v1
	v_and_b32_e32 v40, 0xfc00, v40
	s_delay_alu instid0(VALU_DEP_1)
	v_or3_b32 v37, v1, v40, v37
.LBB246_355:                            ;   in Loop: Header=BB246_234 Depth=1
	s_wait_alu 0xfffe
	s_or_b32 exec_lo, exec_lo, s19
.LBB246_356:                            ;   in Loop: Header=BB246_234 Depth=1
	s_wait_alu 0xfffe
	s_or_b32 exec_lo, exec_lo, s18
.LBB246_357:                            ;   in Loop: Header=BB246_234 Depth=1
	s_wait_alu 0xfffe
	s_or_b32 exec_lo, exec_lo, s17
	v_cmp_lt_u64_e64 s0, s[2:3], v[9:10]
	v_mov_b32_e32 v9, 0
	s_and_saveexec_b32 s17, s0
	s_cbranch_execz .LBB246_365
; %bb.358:                              ;   in Loop: Header=BB246_234 Depth=1
	v_lshrrev_b32_e32 v1, 24, v10
	v_bfrev_b32_e32 v9, 1
	s_mov_b32 s18, exec_lo
	s_delay_alu instid0(VALU_DEP_2)
	v_cmpx_ne_u32_e32 0x80, v1
	s_cbranch_execz .LBB246_364
; %bb.359:                              ;   in Loop: Header=BB246_234 Depth=1
	v_and_b32_e32 v40, 0x7f, v1
	v_mov_b32_e32 v9, 0x7c010000
	s_mov_b32 s19, exec_lo
	s_delay_alu instid0(VALU_DEP_2)
	v_cmpx_ne_u32_e32 0x7f, v40
	s_cbranch_execz .LBB246_363
; %bb.360:                              ;   in Loop: Header=BB246_234 Depth=1
	v_and_b32_e32 v9, 7, v1
	v_lshrrev_b32_e32 v10, 3, v40
	s_mov_b32 s24, exec_lo
	v_cmpx_gt_u32_e32 8, v40
; %bb.361:                              ;   in Loop: Header=BB246_234 Depth=1
	s_delay_alu instid0(VALU_DEP_3) | instskip(NEXT) | instid1(VALU_DEP_1)
	v_clz_i32_u32_e32 v9, v9
	v_min_u32_e32 v40, 32, v9
	s_delay_alu instid0(VALU_DEP_1) | instskip(NEXT) | instid1(VALU_DEP_1)
	v_subrev_nc_u32_e32 v9, 28, v40
	v_lshlrev_b64_e32 v[9:10], v9, v[1:2]
	v_sub_nc_u32_e32 v10, 29, v40
	s_delay_alu instid0(VALU_DEP_2)
	v_and_b32_e32 v9, 7, v9
; %bb.362:                              ;   in Loop: Header=BB246_234 Depth=1
	s_wait_alu 0xfffe
	s_or_b32 exec_lo, exec_lo, s24
	v_lshlrev_b32_e32 v1, 8, v1
	v_lshl_add_u32 v10, v10, 10, 0x2000
	v_lshlrev_b32_e32 v9, 23, v9
	s_delay_alu instid0(VALU_DEP_2) | instskip(NEXT) | instid1(VALU_DEP_1)
	v_and_or_b32 v1, 0x8000, v1, v10
	v_lshl_or_b32 v9, v1, 16, v9
.LBB246_363:                            ;   in Loop: Header=BB246_234 Depth=1
	s_wait_alu 0xfffe
	s_or_b32 exec_lo, exec_lo, s19
.LBB246_364:                            ;   in Loop: Header=BB246_234 Depth=1
	s_wait_alu 0xfffe
	s_or_b32 exec_lo, exec_lo, s18
.LBB246_365:                            ;   in Loop: Header=BB246_234 Depth=1
	s_wait_alu 0xfffe
	s_or_b32 exec_lo, exec_lo, s17
	v_or_b32_e32 v1, v35, v36
	s_wait_loadcnt 0x0
	v_fma_mixlo_f16 v10, v32, v35, 0 op_sel:[0,1,0] op_sel_hi:[0,1,0]
	v_or_b32_e32 v35, v33, v34
	v_fma_mixlo_f16 v33, v32, v33, 0 op_sel:[0,1,0] op_sel_hi:[0,1,0]
	v_or_b32_e32 v36, v39, v38
	v_or_b32_e32 v37, v9, v37
	v_fma_mixlo_f16 v38, v32, v1, 0 op_sel_hi:[0,1,0]
	v_fma_mixlo_f16 v9, v32, v9, 0 op_sel:[0,1,0] op_sel_hi:[0,1,0]
	v_lshlrev_b32_e32 v34, 16, v33
	v_fma_mixlo_f16 v33, v32, v35, 0 op_sel_hi:[0,1,0]
	v_fma_mixlo_f16 v35, v32, v39, 0 op_sel:[0,1,0] op_sel_hi:[0,1,0]
	v_fma_mixlo_f16 v36, v32, v36, 0 op_sel_hi:[0,1,0]
	v_fma_mixlo_f16 v37, v32, v37, 0 op_sel_hi:[0,1,0]
	v_lshlrev_b32_e32 v1, 16, v10
	v_and_b32_e32 v10, 0xffff, v38
	v_and_b32_e32 v40, 0xffff, v33
	v_lshlrev_b32_e32 v32, 16, v35
	v_and_b32_e32 v36, 0xffff, v36
	v_lshlrev_b32_e32 v9, 16, v9
	v_and_b32_e32 v33, 0xffff, v37
	v_or_b32_e32 v35, v1, v10
	v_or_b32_e32 v39, v34, v40
	;; [unrolled: 1-line block ×3, first 2 shown]
	s_delay_alu instid0(VALU_DEP_4)
	v_or_b32_e32 v37, v9, v33
	s_and_saveexec_b32 s17, vcc_lo
	s_cbranch_execz .LBB246_367
; %bb.366:                              ;   in Loop: Header=BB246_234 Depth=1
	v_cmp_gt_i32_e64 s0, s34, v12
	s_wait_alu 0xf1ff
	s_delay_alu instid0(VALU_DEP_1) | instskip(SKIP_2) | instid1(VALU_DEP_1)
	v_cndmask_b32_e64 v35, 0, v40, s0
	v_cmp_gt_i32_e64 s0, s34, v25
	s_wait_alu 0xf1ff
	v_cndmask_b32_e64 v34, 0, v34, s0
	v_cmp_gt_i32_e64 s0, s34, v24
	s_delay_alu instid0(VALU_DEP_2) | instskip(SKIP_1) | instid1(VALU_DEP_2)
	v_or_b32_e32 v39, v34, v35
	s_wait_alu 0xf1ff
	v_cndmask_b32_e64 v10, 0, v10, s0
	v_cmp_gt_i32_e64 s0, s34, v23
	s_wait_alu 0xf1ff
	s_delay_alu instid0(VALU_DEP_1) | instskip(SKIP_1) | instid1(VALU_DEP_2)
	v_cndmask_b32_e64 v1, 0, v1, s0
	v_cmp_gt_i32_e64 s0, s34, v22
	v_or_b32_e32 v35, v1, v10
	s_wait_alu 0xf1ff
	s_delay_alu instid0(VALU_DEP_2) | instskip(SKIP_2) | instid1(VALU_DEP_1)
	v_cndmask_b32_e64 v36, 0, v36, s0
	v_cmp_gt_i32_e64 s0, s34, v21
	s_wait_alu 0xf1ff
	v_cndmask_b32_e64 v32, 0, v32, s0
	v_cmp_gt_i32_e64 s0, s34, v20
	s_delay_alu instid0(VALU_DEP_2) | instskip(SKIP_1) | instid1(VALU_DEP_2)
	v_or_b32_e32 v38, v32, v36
	s_wait_alu 0xf1ff
	v_cndmask_b32_e64 v33, 0, v33, s0
	v_cmp_gt_i32_e64 s0, s34, v19
	s_wait_alu 0xf1ff
	s_delay_alu instid0(VALU_DEP_1) | instskip(NEXT) | instid1(VALU_DEP_1)
	v_cndmask_b32_e64 v9, 0, v9, s0
	v_or_b32_e32 v37, v9, v33
.LBB246_367:                            ;   in Loop: Header=BB246_234 Depth=1
	s_wait_alu 0xfffe
	s_or_b32 exec_lo, exec_lo, s17
	;;#ASMSTART
	v_pk_mul_f16 v1, v31, v39;

	;;#ASMEND
	;;#ASMSTART
	v_pk_mul_f16 v9, v30, v35;

	;;#ASMEND
	;; [unrolled: 4-line block ×4, first 2 shown]
	;;#ASMSTART
	v_pk_add_f16 v1, v1, v9;

	;;#ASMEND
	;;#ASMSTART
	v_pk_add_f16 v1, v1, v10;

	;;#ASMEND
	;; [unrolled: 4-line block ×3, first 2 shown]
	v_dual_mov_b32 v34, 0 :: v_dual_and_b32 v9, 0xffff, v1
	v_lshrrev_b32_e32 v1, 16, v1
	;;#ASMSTART
	v_cvt_f32_f16 v9, v9;
	;;#ASMEND
	;;#ASMSTART
	v_cvt_f32_f16 v10, v1;
	;;#ASMEND
	global_load_b64 v[7:8], v[7:8], off offset:512
	v_mov_b32_e32 v33, 0
	s_mov_b32 s17, exec_lo
	global_load_b32 v32, v33, s[10:11]
	s_wait_loadcnt 0x1
	v_and_b32_e32 v1, 0xff, v7
	s_delay_alu instid0(VALU_DEP_1)
	v_cmpx_ne_u16_e32 0, v1
	s_cbranch_execz .LBB246_375
; %bb.368:                              ;   in Loop: Header=BB246_234 Depth=1
	v_mov_b32_e32 v34, 0x8000
	s_mov_b32 s18, exec_lo
	v_cmpx_ne_u16_e32 0x80, v1
	s_cbranch_execz .LBB246_374
; %bb.369:                              ;   in Loop: Header=BB246_234 Depth=1
	v_and_b32_e32 v35, 0x7f, v7
	v_mov_b32_e32 v34, 0x7c01
	s_mov_b32 s19, exec_lo
	s_delay_alu instid0(VALU_DEP_2)
	v_cmpx_ne_u32_e32 0x7f, v35
	s_cbranch_execz .LBB246_373
; %bb.370:                              ;   in Loop: Header=BB246_234 Depth=1
	v_and_b32_e32 v1, 7, v7
	v_lshrrev_b32_e32 v34, 3, v35
	s_mov_b32 s24, exec_lo
	v_cmpx_gt_u32_e32 8, v35
; %bb.371:                              ;   in Loop: Header=BB246_234 Depth=1
	s_delay_alu instid0(VALU_DEP_3) | instskip(NEXT) | instid1(VALU_DEP_1)
	v_clz_i32_u32_e32 v1, v1
	v_min_u32_e32 v1, 32, v1
	s_delay_alu instid0(VALU_DEP_1) | instskip(NEXT) | instid1(VALU_DEP_1)
	v_subrev_nc_u32_e32 v34, 28, v1
	v_lshlrev_b64_e32 v[35:36], v34, v[7:8]
	v_sub_nc_u32_e32 v34, 29, v1
	s_delay_alu instid0(VALU_DEP_2)
	v_and_b32_e32 v1, 7, v35
; %bb.372:                              ;   in Loop: Header=BB246_234 Depth=1
	s_wait_alu 0xfffe
	s_or_b32 exec_lo, exec_lo, s24
	v_lshlrev_b32_e32 v35, 8, v7
	v_lshl_add_u32 v34, v34, 10, 0x2000
	v_lshlrev_b32_e32 v1, 7, v1
	s_delay_alu instid0(VALU_DEP_3) | instskip(NEXT) | instid1(VALU_DEP_3)
	v_and_b32_e32 v35, 0x8000, v35
	v_and_b32_e32 v34, 0xfc00, v34
	s_delay_alu instid0(VALU_DEP_1)
	v_or3_b32 v34, v35, v34, v1
.LBB246_373:                            ;   in Loop: Header=BB246_234 Depth=1
	s_wait_alu 0xfffe
	s_or_b32 exec_lo, exec_lo, s19
.LBB246_374:                            ;   in Loop: Header=BB246_234 Depth=1
	s_wait_alu 0xfffe
	s_or_b32 exec_lo, exec_lo, s18
.LBB246_375:                            ;   in Loop: Header=BB246_234 Depth=1
	s_wait_alu 0xfffe
	s_or_b32 exec_lo, exec_lo, s17
	v_lshrrev_b16 v1, 8, v7
	s_mov_b32 s17, exec_lo
	s_delay_alu instid0(VALU_DEP_1)
	v_cmpx_ne_u16_e32 0, v1
	s_cbranch_execz .LBB246_383
; %bb.376:                              ;   in Loop: Header=BB246_234 Depth=1
	v_bfrev_b32_e32 v33, 1
	s_mov_b32 s18, exec_lo
	v_cmpx_ne_u16_e32 0x80, v1
	s_cbranch_execz .LBB246_382
; %bb.377:                              ;   in Loop: Header=BB246_234 Depth=1
	v_and_b32_e32 v35, 0xffff, v1
	v_mov_b32_e32 v33, 0x7c010000
	s_mov_b32 s19, exec_lo
	s_delay_alu instid0(VALU_DEP_2) | instskip(NEXT) | instid1(VALU_DEP_1)
	v_and_b32_e32 v37, 0x7f, v35
	v_cmpx_ne_u32_e32 0x7f, v37
	s_cbranch_execz .LBB246_381
; %bb.378:                              ;   in Loop: Header=BB246_234 Depth=1
	v_and_b32_e32 v33, 7, v35
	v_lshrrev_b32_e32 v36, 3, v37
	s_mov_b32 s24, exec_lo
	v_cmpx_gt_u32_e32 8, v37
; %bb.379:                              ;   in Loop: Header=BB246_234 Depth=1
	s_delay_alu instid0(VALU_DEP_3) | instskip(NEXT) | instid1(VALU_DEP_1)
	v_clz_i32_u32_e32 v33, v33
	v_min_u32_e32 v33, 32, v33
	s_delay_alu instid0(VALU_DEP_1) | instskip(NEXT) | instid1(VALU_DEP_1)
	v_subrev_nc_u32_e32 v36, 28, v33
	v_lshlrev_b64_e32 v[37:38], v36, v[1:2]
	v_sub_nc_u32_e32 v36, 29, v33
	s_delay_alu instid0(VALU_DEP_2)
	v_and_b32_e32 v33, 7, v37
; %bb.380:                              ;   in Loop: Header=BB246_234 Depth=1
	s_wait_alu 0xfffe
	s_or_b32 exec_lo, exec_lo, s24
	v_lshlrev_b32_e32 v1, 8, v35
	v_lshl_add_u32 v35, v36, 10, 0x2000
	v_lshlrev_b32_e32 v33, 23, v33
	s_delay_alu instid0(VALU_DEP_2) | instskip(NEXT) | instid1(VALU_DEP_1)
	v_and_or_b32 v1, 0x8000, v1, v35
	v_lshl_or_b32 v33, v1, 16, v33
.LBB246_381:                            ;   in Loop: Header=BB246_234 Depth=1
	s_wait_alu 0xfffe
	s_or_b32 exec_lo, exec_lo, s19
.LBB246_382:                            ;   in Loop: Header=BB246_234 Depth=1
	s_wait_alu 0xfffe
	s_or_b32 exec_lo, exec_lo, s18
.LBB246_383:                            ;   in Loop: Header=BB246_234 Depth=1
	s_wait_alu 0xfffe
	s_or_b32 exec_lo, exec_lo, s17
	v_lshrrev_b32_e32 v1, 16, v7
	v_mov_b32_e32 v35, 0
	s_mov_b32 s17, exec_lo
	s_delay_alu instid0(VALU_DEP_2) | instskip(NEXT) | instid1(VALU_DEP_1)
	v_dual_mov_b32 v36, 0 :: v_dual_and_b32 v37, 0xff, v1
	v_cmpx_ne_u16_e32 0, v37
	s_cbranch_execz .LBB246_391
; %bb.384:                              ;   in Loop: Header=BB246_234 Depth=1
	v_mov_b32_e32 v36, 0x8000
	s_mov_b32 s18, exec_lo
	v_cmpx_ne_u16_e32 0x80, v37
	s_cbranch_execz .LBB246_390
; %bb.385:                              ;   in Loop: Header=BB246_234 Depth=1
	v_bfe_u32 v38, v7, 16, 7
	v_mov_b32_e32 v36, 0x7c01
	s_mov_b32 s19, exec_lo
	s_delay_alu instid0(VALU_DEP_2)
	v_cmpx_ne_u32_e32 0x7f, v38
	s_cbranch_execz .LBB246_389
; %bb.386:                              ;   in Loop: Header=BB246_234 Depth=1
	v_and_b32_e32 v36, 7, v1
	v_lshrrev_b32_e32 v37, 3, v38
	s_mov_b32 s24, exec_lo
	v_cmpx_gt_u32_e32 8, v38
; %bb.387:                              ;   in Loop: Header=BB246_234 Depth=1
	s_delay_alu instid0(VALU_DEP_3) | instskip(NEXT) | instid1(VALU_DEP_1)
	v_clz_i32_u32_e32 v36, v36
	v_min_u32_e32 v38, 32, v36
	s_delay_alu instid0(VALU_DEP_1) | instskip(NEXT) | instid1(VALU_DEP_1)
	v_subrev_nc_u32_e32 v36, 28, v38
	v_lshlrev_b64_e32 v[36:37], v36, v[1:2]
	v_sub_nc_u32_e32 v37, 29, v38
	s_delay_alu instid0(VALU_DEP_2)
	v_and_b32_e32 v36, 7, v36
; %bb.388:                              ;   in Loop: Header=BB246_234 Depth=1
	s_wait_alu 0xfffe
	s_or_b32 exec_lo, exec_lo, s24
	v_lshlrev_b32_e32 v1, 8, v1
	v_lshl_add_u32 v37, v37, 10, 0x2000
	v_lshlrev_b32_e32 v36, 7, v36
	s_delay_alu instid0(VALU_DEP_3) | instskip(NEXT) | instid1(VALU_DEP_3)
	v_and_b32_e32 v1, 0x8000, v1
	v_and_b32_e32 v37, 0xfc00, v37
	s_delay_alu instid0(VALU_DEP_1)
	v_or3_b32 v36, v1, v37, v36
.LBB246_389:                            ;   in Loop: Header=BB246_234 Depth=1
	s_wait_alu 0xfffe
	s_or_b32 exec_lo, exec_lo, s19
.LBB246_390:                            ;   in Loop: Header=BB246_234 Depth=1
	s_wait_alu 0xfffe
	s_or_b32 exec_lo, exec_lo, s18
.LBB246_391:                            ;   in Loop: Header=BB246_234 Depth=1
	s_wait_alu 0xfffe
	s_or_b32 exec_lo, exec_lo, s17
	s_delay_alu instid0(SALU_CYCLE_1)
	s_mov_b32 s17, exec_lo
	v_cmpx_lt_u32_e32 0xffffff, v7
	s_cbranch_execz .LBB246_399
; %bb.392:                              ;   in Loop: Header=BB246_234 Depth=1
	v_lshrrev_b32_e32 v1, 24, v7
	v_bfrev_b32_e32 v35, 1
	s_mov_b32 s18, exec_lo
	s_delay_alu instid0(VALU_DEP_2)
	v_cmpx_ne_u32_e32 0x80, v1
	s_cbranch_execz .LBB246_398
; %bb.393:                              ;   in Loop: Header=BB246_234 Depth=1
	v_and_b32_e32 v38, 0x7f, v1
	v_mov_b32_e32 v35, 0x7c010000
	s_mov_b32 s19, exec_lo
	s_delay_alu instid0(VALU_DEP_2)
	v_cmpx_ne_u32_e32 0x7f, v38
	s_cbranch_execz .LBB246_397
; %bb.394:                              ;   in Loop: Header=BB246_234 Depth=1
	v_and_b32_e32 v35, 7, v1
	v_lshrrev_b32_e32 v37, 3, v38
	s_mov_b32 s24, exec_lo
	v_cmpx_gt_u32_e32 8, v38
; %bb.395:                              ;   in Loop: Header=BB246_234 Depth=1
	s_delay_alu instid0(VALU_DEP_3) | instskip(NEXT) | instid1(VALU_DEP_1)
	v_clz_i32_u32_e32 v35, v35
	v_min_u32_e32 v35, 32, v35
	s_delay_alu instid0(VALU_DEP_1) | instskip(NEXT) | instid1(VALU_DEP_1)
	v_subrev_nc_u32_e32 v37, 28, v35
	v_lshlrev_b64_e32 v[38:39], v37, v[1:2]
	v_sub_nc_u32_e32 v37, 29, v35
	s_delay_alu instid0(VALU_DEP_2)
	v_and_b32_e32 v35, 7, v38
; %bb.396:                              ;   in Loop: Header=BB246_234 Depth=1
	s_wait_alu 0xfffe
	s_or_b32 exec_lo, exec_lo, s24
	v_lshlrev_b32_e32 v1, 8, v1
	v_lshl_add_u32 v37, v37, 10, 0x2000
	v_lshlrev_b32_e32 v35, 23, v35
	s_delay_alu instid0(VALU_DEP_2) | instskip(NEXT) | instid1(VALU_DEP_1)
	v_and_or_b32 v1, 0x8000, v1, v37
	v_lshl_or_b32 v35, v1, 16, v35
.LBB246_397:                            ;   in Loop: Header=BB246_234 Depth=1
	s_wait_alu 0xfffe
	s_or_b32 exec_lo, exec_lo, s19
.LBB246_398:                            ;   in Loop: Header=BB246_234 Depth=1
	s_wait_alu 0xfffe
	s_or_b32 exec_lo, exec_lo, s18
.LBB246_399:                            ;   in Loop: Header=BB246_234 Depth=1
	s_wait_alu 0xfffe
	s_or_b32 exec_lo, exec_lo, s17
	v_dual_mov_b32 v38, 0 :: v_dual_and_b32 v39, 0xff, v8
	v_mov_b32_e32 v1, v8
	v_mov_b32_e32 v37, 0
	s_mov_b32 s17, exec_lo
	s_delay_alu instid0(VALU_DEP_3)
	v_cmpx_ne_u16_e32 0, v39
	s_cbranch_execz .LBB246_407
; %bb.400:                              ;   in Loop: Header=BB246_234 Depth=1
	v_mov_b32_e32 v38, 0x8000
	s_mov_b32 s18, exec_lo
	v_cmpx_ne_u16_e32 0x80, v39
	s_cbranch_execz .LBB246_406
; %bb.401:                              ;   in Loop: Header=BB246_234 Depth=1
	v_and_b32_e32 v40, 0x7f, v8
	v_mov_b32_e32 v38, 0x7c01
	s_mov_b32 s19, exec_lo
	s_delay_alu instid0(VALU_DEP_2)
	v_cmpx_ne_u32_e32 0x7f, v40
	s_cbranch_execz .LBB246_405
; %bb.402:                              ;   in Loop: Header=BB246_234 Depth=1
	v_and_b32_e32 v38, 7, v8
	v_lshrrev_b32_e32 v39, 3, v40
	s_mov_b32 s24, exec_lo
	v_cmpx_gt_u32_e32 8, v40
; %bb.403:                              ;   in Loop: Header=BB246_234 Depth=1
	s_delay_alu instid0(VALU_DEP_3) | instskip(NEXT) | instid1(VALU_DEP_1)
	v_clz_i32_u32_e32 v38, v38
	v_min_u32_e32 v40, 32, v38
	s_delay_alu instid0(VALU_DEP_1) | instskip(NEXT) | instid1(VALU_DEP_1)
	v_subrev_nc_u32_e32 v38, 28, v40
	v_lshlrev_b64_e32 v[38:39], v38, v[1:2]
	v_sub_nc_u32_e32 v39, 29, v40
	s_delay_alu instid0(VALU_DEP_2)
	v_and_b32_e32 v38, 7, v38
; %bb.404:                              ;   in Loop: Header=BB246_234 Depth=1
	s_wait_alu 0xfffe
	s_or_b32 exec_lo, exec_lo, s24
	v_lshlrev_b32_e32 v40, 8, v8
	v_lshl_add_u32 v39, v39, 10, 0x2000
	v_lshlrev_b32_e32 v38, 7, v38
	s_delay_alu instid0(VALU_DEP_3) | instskip(NEXT) | instid1(VALU_DEP_3)
	v_and_b32_e32 v40, 0x8000, v40
	v_and_b32_e32 v39, 0xfc00, v39
	s_delay_alu instid0(VALU_DEP_1)
	v_or3_b32 v38, v40, v39, v38
.LBB246_405:                            ;   in Loop: Header=BB246_234 Depth=1
	s_wait_alu 0xfffe
	s_or_b32 exec_lo, exec_lo, s19
.LBB246_406:                            ;   in Loop: Header=BB246_234 Depth=1
	s_wait_alu 0xfffe
	s_or_b32 exec_lo, exec_lo, s18
.LBB246_407:                            ;   in Loop: Header=BB246_234 Depth=1
	s_wait_alu 0xfffe
	s_or_b32 exec_lo, exec_lo, s17
	v_lshrrev_b16 v1, 8, v1
	v_mov_b32_e32 v39, 0
	s_mov_b32 s17, exec_lo
	s_delay_alu instid0(VALU_DEP_2)
	v_cmpx_ne_u16_e32 0, v1
	s_cbranch_execz .LBB246_415
; %bb.408:                              ;   in Loop: Header=BB246_234 Depth=1
	v_bfrev_b32_e32 v39, 1
	s_mov_b32 s18, exec_lo
	v_cmpx_ne_u16_e32 0x80, v1
	s_cbranch_execz .LBB246_414
; %bb.409:                              ;   in Loop: Header=BB246_234 Depth=1
	v_and_b32_e32 v40, 0xffff, v1
	v_mov_b32_e32 v39, 0x7c010000
	s_mov_b32 s19, exec_lo
	s_delay_alu instid0(VALU_DEP_2) | instskip(NEXT) | instid1(VALU_DEP_1)
	v_and_b32_e32 v42, 0x7f, v40
	v_cmpx_ne_u32_e32 0x7f, v42
	s_cbranch_execz .LBB246_413
; %bb.410:                              ;   in Loop: Header=BB246_234 Depth=1
	v_and_b32_e32 v39, 7, v40
	v_lshrrev_b32_e32 v41, 3, v42
	s_mov_b32 s24, exec_lo
	v_cmpx_gt_u32_e32 8, v42
; %bb.411:                              ;   in Loop: Header=BB246_234 Depth=1
	s_delay_alu instid0(VALU_DEP_3) | instskip(NEXT) | instid1(VALU_DEP_1)
	v_clz_i32_u32_e32 v39, v39
	v_min_u32_e32 v39, 32, v39
	s_delay_alu instid0(VALU_DEP_1) | instskip(NEXT) | instid1(VALU_DEP_1)
	v_subrev_nc_u32_e32 v41, 28, v39
	v_lshlrev_b64_e32 v[42:43], v41, v[1:2]
	v_sub_nc_u32_e32 v41, 29, v39
	s_delay_alu instid0(VALU_DEP_2)
	v_and_b32_e32 v39, 7, v42
; %bb.412:                              ;   in Loop: Header=BB246_234 Depth=1
	s_wait_alu 0xfffe
	s_or_b32 exec_lo, exec_lo, s24
	v_lshlrev_b32_e32 v1, 8, v40
	v_lshl_add_u32 v40, v41, 10, 0x2000
	v_lshlrev_b32_e32 v39, 23, v39
	s_delay_alu instid0(VALU_DEP_2) | instskip(NEXT) | instid1(VALU_DEP_1)
	v_and_or_b32 v1, 0x8000, v1, v40
	v_lshl_or_b32 v39, v1, 16, v39
.LBB246_413:                            ;   in Loop: Header=BB246_234 Depth=1
	s_wait_alu 0xfffe
	s_or_b32 exec_lo, exec_lo, s19
.LBB246_414:                            ;   in Loop: Header=BB246_234 Depth=1
	s_wait_alu 0xfffe
	s_or_b32 exec_lo, exec_lo, s18
.LBB246_415:                            ;   in Loop: Header=BB246_234 Depth=1
	s_wait_alu 0xfffe
	s_or_b32 exec_lo, exec_lo, s17
	v_lshrrev_b32_e32 v1, 16, v8
	s_mov_b32 s17, exec_lo
	s_delay_alu instid0(VALU_DEP_1) | instskip(NEXT) | instid1(VALU_DEP_1)
	v_and_b32_e32 v40, 0xff, v1
	v_cmpx_ne_u16_e32 0, v40
	s_cbranch_execz .LBB246_423
; %bb.416:                              ;   in Loop: Header=BB246_234 Depth=1
	v_mov_b32_e32 v37, 0x8000
	s_mov_b32 s18, exec_lo
	v_cmpx_ne_u16_e32 0x80, v40
	s_cbranch_execz .LBB246_422
; %bb.417:                              ;   in Loop: Header=BB246_234 Depth=1
	v_bfe_u32 v41, v8, 16, 7
	v_mov_b32_e32 v37, 0x7c01
	s_mov_b32 s19, exec_lo
	s_delay_alu instid0(VALU_DEP_2)
	v_cmpx_ne_u32_e32 0x7f, v41
	s_cbranch_execz .LBB246_421
; %bb.418:                              ;   in Loop: Header=BB246_234 Depth=1
	v_and_b32_e32 v37, 7, v1
	v_lshrrev_b32_e32 v40, 3, v41
	s_mov_b32 s24, exec_lo
	v_cmpx_gt_u32_e32 8, v41
; %bb.419:                              ;   in Loop: Header=BB246_234 Depth=1
	s_delay_alu instid0(VALU_DEP_3) | instskip(NEXT) | instid1(VALU_DEP_1)
	v_clz_i32_u32_e32 v37, v37
	v_min_u32_e32 v37, 32, v37
	s_delay_alu instid0(VALU_DEP_1) | instskip(NEXT) | instid1(VALU_DEP_1)
	v_subrev_nc_u32_e32 v40, 28, v37
	v_lshlrev_b64_e32 v[41:42], v40, v[1:2]
	v_sub_nc_u32_e32 v40, 29, v37
	s_delay_alu instid0(VALU_DEP_2)
	v_and_b32_e32 v37, 7, v41
; %bb.420:                              ;   in Loop: Header=BB246_234 Depth=1
	s_wait_alu 0xfffe
	s_or_b32 exec_lo, exec_lo, s24
	v_lshlrev_b32_e32 v1, 8, v1
	v_lshl_add_u32 v40, v40, 10, 0x2000
	v_lshlrev_b32_e32 v37, 7, v37
	s_delay_alu instid0(VALU_DEP_3) | instskip(NEXT) | instid1(VALU_DEP_3)
	v_and_b32_e32 v1, 0x8000, v1
	v_and_b32_e32 v40, 0xfc00, v40
	s_delay_alu instid0(VALU_DEP_1)
	v_or3_b32 v37, v1, v40, v37
.LBB246_421:                            ;   in Loop: Header=BB246_234 Depth=1
	s_wait_alu 0xfffe
	s_or_b32 exec_lo, exec_lo, s19
.LBB246_422:                            ;   in Loop: Header=BB246_234 Depth=1
	s_wait_alu 0xfffe
	s_or_b32 exec_lo, exec_lo, s18
.LBB246_423:                            ;   in Loop: Header=BB246_234 Depth=1
	s_wait_alu 0xfffe
	s_or_b32 exec_lo, exec_lo, s17
	v_cmp_lt_u64_e64 s0, s[2:3], v[7:8]
	v_mov_b32_e32 v7, 0
	s_and_saveexec_b32 s17, s0
	s_cbranch_execz .LBB246_431
; %bb.424:                              ;   in Loop: Header=BB246_234 Depth=1
	v_lshrrev_b32_e32 v1, 24, v8
	v_bfrev_b32_e32 v7, 1
	s_mov_b32 s18, exec_lo
	s_delay_alu instid0(VALU_DEP_2)
	v_cmpx_ne_u32_e32 0x80, v1
	s_cbranch_execz .LBB246_430
; %bb.425:                              ;   in Loop: Header=BB246_234 Depth=1
	v_and_b32_e32 v40, 0x7f, v1
	v_mov_b32_e32 v7, 0x7c010000
	s_mov_b32 s19, exec_lo
	s_delay_alu instid0(VALU_DEP_2)
	v_cmpx_ne_u32_e32 0x7f, v40
	s_cbranch_execz .LBB246_429
; %bb.426:                              ;   in Loop: Header=BB246_234 Depth=1
	v_and_b32_e32 v7, 7, v1
	v_lshrrev_b32_e32 v8, 3, v40
	s_mov_b32 s24, exec_lo
	v_cmpx_gt_u32_e32 8, v40
; %bb.427:                              ;   in Loop: Header=BB246_234 Depth=1
	s_delay_alu instid0(VALU_DEP_3) | instskip(NEXT) | instid1(VALU_DEP_1)
	v_clz_i32_u32_e32 v7, v7
	v_min_u32_e32 v40, 32, v7
	s_delay_alu instid0(VALU_DEP_1) | instskip(NEXT) | instid1(VALU_DEP_1)
	v_subrev_nc_u32_e32 v7, 28, v40
	v_lshlrev_b64_e32 v[7:8], v7, v[1:2]
	v_sub_nc_u32_e32 v8, 29, v40
	s_delay_alu instid0(VALU_DEP_2)
	v_and_b32_e32 v7, 7, v7
; %bb.428:                              ;   in Loop: Header=BB246_234 Depth=1
	s_wait_alu 0xfffe
	s_or_b32 exec_lo, exec_lo, s24
	v_lshlrev_b32_e32 v1, 8, v1
	v_lshl_add_u32 v8, v8, 10, 0x2000
	v_lshlrev_b32_e32 v7, 23, v7
	s_delay_alu instid0(VALU_DEP_2) | instskip(NEXT) | instid1(VALU_DEP_1)
	v_and_or_b32 v1, 0x8000, v1, v8
	v_lshl_or_b32 v7, v1, 16, v7
.LBB246_429:                            ;   in Loop: Header=BB246_234 Depth=1
	s_wait_alu 0xfffe
	s_or_b32 exec_lo, exec_lo, s19
.LBB246_430:                            ;   in Loop: Header=BB246_234 Depth=1
	s_wait_alu 0xfffe
	s_or_b32 exec_lo, exec_lo, s18
.LBB246_431:                            ;   in Loop: Header=BB246_234 Depth=1
	s_wait_alu 0xfffe
	s_or_b32 exec_lo, exec_lo, s17
	v_or_b32_e32 v1, v35, v36
	s_wait_loadcnt 0x0
	v_fma_mixlo_f16 v8, v32, v35, 0 op_sel:[0,1,0] op_sel_hi:[0,1,0]
	v_or_b32_e32 v34, v33, v34
	v_fma_mixlo_f16 v33, v32, v33, 0 op_sel:[0,1,0] op_sel_hi:[0,1,0]
	v_or_b32_e32 v36, v39, v38
	v_or_b32_e32 v37, v7, v37
	v_fma_mixlo_f16 v35, v32, v1, 0 op_sel_hi:[0,1,0]
	v_lshlrev_b32_e32 v1, 16, v8
	v_lshlrev_b32_e32 v38, 16, v33
	v_fma_mixlo_f16 v8, v32, v34, 0 op_sel_hi:[0,1,0]
	v_fma_mixlo_f16 v33, v32, v39, 0 op_sel:[0,1,0] op_sel_hi:[0,1,0]
	v_fma_mixlo_f16 v34, v32, v36, 0 op_sel_hi:[0,1,0]
	v_fma_mixlo_f16 v7, v32, v7, 0 op_sel:[0,1,0] op_sel_hi:[0,1,0]
	v_fma_mixlo_f16 v32, v32, v37, 0 op_sel_hi:[0,1,0]
	v_and_b32_e32 v35, 0xffff, v35
	v_and_b32_e32 v40, 0xffff, v8
	v_lshlrev_b32_e32 v36, 16, v33
	v_and_b32_e32 v39, 0xffff, v34
	v_lshlrev_b32_e32 v33, 16, v7
	v_and_b32_e32 v37, 0xffff, v32
	v_or_b32_e32 v32, v1, v35
	v_or_b32_e32 v34, v38, v40
	;; [unrolled: 1-line block ×3, first 2 shown]
	s_delay_alu instid0(VALU_DEP_4)
	v_or_b32_e32 v7, v33, v37
	s_and_saveexec_b32 s0, vcc_lo
	s_cbranch_execz .LBB246_232
; %bb.432:                              ;   in Loop: Header=BB246_234 Depth=1
	v_cmp_gt_i32_e32 vcc_lo, s34, v12
	s_wait_alu 0xfffd
	v_cndmask_b32_e32 v7, 0, v40, vcc_lo
	v_cmp_gt_i32_e32 vcc_lo, s34, v25
	s_wait_alu 0xfffd
	v_cndmask_b32_e32 v8, 0, v38, vcc_lo
	v_cmp_gt_i32_e32 vcc_lo, s34, v24
	s_delay_alu instid0(VALU_DEP_2)
	v_or_b32_e32 v34, v8, v7
	s_wait_alu 0xfffd
	v_cndmask_b32_e32 v24, 0, v35, vcc_lo
	v_cmp_gt_i32_e32 vcc_lo, s34, v23
	s_wait_alu 0xfffd
	v_cndmask_b32_e32 v1, 0, v1, vcc_lo
	v_cmp_gt_i32_e32 vcc_lo, s34, v22
	s_delay_alu instid0(VALU_DEP_2)
	v_or_b32_e32 v32, v1, v24
	s_wait_alu 0xfffd
	v_cndmask_b32_e32 v22, 0, v39, vcc_lo
	v_cmp_gt_i32_e32 vcc_lo, s34, v21
	s_wait_alu 0xfffd
	v_cndmask_b32_e32 v21, 0, v36, vcc_lo
	v_cmp_gt_i32_e32 vcc_lo, s34, v20
	s_delay_alu instid0(VALU_DEP_2)
	v_or_b32_e32 v8, v21, v22
	s_wait_alu 0xfffd
	v_cndmask_b32_e32 v20, 0, v37, vcc_lo
	v_cmp_gt_i32_e32 vcc_lo, s34, v19
	s_wait_alu 0xfffd
	v_cndmask_b32_e32 v19, 0, v33, vcc_lo
	s_delay_alu instid0(VALU_DEP_1)
	v_or_b32_e32 v7, v19, v20
	s_branch .LBB246_232
.LBB246_433:
	s_or_b32 exec_lo, exec_lo, s7
.LBB246_434:
	s_wait_alu 0xfffe
	s_or_b32 exec_lo, exec_lo, s1
	v_lshl_add_u32 v2, v14, 2, 0xe0
	v_and_b32_e32 v3, 0x3c0, v0
	s_mov_b32 s0, exec_lo
	s_wait_loadcnt 0x0
	s_wait_storecnt 0x0
	s_barrier_signal -1
	v_mad_u32_u24 v1, 0x180, v11, v2
	s_barrier_wait -1
	global_inv scope:SCOPE_SE
	v_cmpx_eq_u32_e32 64, v3
	s_cbranch_execz .LBB246_436
; %bb.435:
	v_add_nc_u32_e32 v3, 0xfffffd00, v1
	v_add_nc_u32_e32 v4, 0xfffffd80, v1
	;; [unrolled: 1-line block ×3, first 2 shown]
	ds_store_b32 v3, v17
	ds_store_b32 v4, v16
	;; [unrolled: 1-line block ×3, first 2 shown]
.LBB246_436:
	s_wait_alu 0xfffe
	s_or_b32 exec_lo, exec_lo, s0
	s_delay_alu instid0(SALU_CYCLE_1)
	s_mov_b32 s0, exec_lo
	s_wait_loadcnt_dscnt 0x0
	s_barrier_signal -1
	s_barrier_wait -1
	global_inv scope:SCOPE_SE
	v_cmpx_gt_u32_e32 64, v0
	s_cbranch_execz .LBB246_438
; %bb.437:
	ds_load_2addr_b32 v[3:4], v1 offset1:32
	ds_load_b32 v5, v1 offset:256
	s_wait_dscnt 0x1
	v_dual_add_f32 v17, v17, v3 :: v_dual_add_f32 v16, v16, v4
	s_wait_dscnt 0x0
	v_add_f32_e32 v15, v15, v5
.LBB246_438:
	s_wait_alu 0xfffe
	s_or_b32 exec_lo, exec_lo, s0
	v_and_b32_e32 v3, 0x3e0, v0
	s_mov_b32 s0, exec_lo
	s_wait_loadcnt 0x0
	s_barrier_signal -1
	s_barrier_wait -1
	global_inv scope:SCOPE_SE
	v_cmpx_eq_u32_e32 32, v3
	s_cbranch_execz .LBB246_440
; %bb.439:
	ds_store_2addr_b32 v2, v17, v16 offset1:32
	ds_store_b32 v2, v15 offset:256
.LBB246_440:
	s_wait_alu 0xfffe
	s_or_b32 exec_lo, exec_lo, s0
	v_cmp_gt_u32_e32 vcc_lo, 32, v0
	s_wait_loadcnt_dscnt 0x0
	s_barrier_signal -1
	s_barrier_wait -1
	global_inv scope:SCOPE_SE
	s_and_saveexec_b32 s0, vcc_lo
	s_cbranch_execz .LBB246_442
; %bb.441:
	ds_load_2addr_b32 v[2:3], v1 offset1:32
	ds_load_b32 v1, v1 offset:256
	s_wait_dscnt 0x1
	v_dual_add_f32 v17, v17, v2 :: v_dual_add_f32 v16, v16, v3
	s_wait_dscnt 0x0
	v_add_f32_e32 v15, v15, v1
.LBB246_442:
	s_wait_alu 0xfffe
	s_or_b32 exec_lo, exec_lo, s0
	s_wait_loadcnt 0x0
	s_barrier_signal -1
	s_barrier_wait -1
	global_inv scope:SCOPE_SE
	s_and_saveexec_b32 s0, vcc_lo
	s_cbranch_execz .LBB246_444
; %bb.443:
	s_mul_i32 s0, s28, 0x60
	s_mul_i32 s2, s12, s20
	s_wait_alu 0xfffe
	s_ashr_i32 s1, s0, 31
	s_ashr_i32 s3, s2, 31
	s_wait_alu 0xfffe
	s_lshl_b64 s[0:1], s[0:1], 1
	s_lshl_b64 s[2:3], s[2:3], 1
	s_wait_kmcnt 0x0
	s_wait_alu 0xfffe
	s_add_nc_u64 s[0:1], s[8:9], s[0:1]
	v_lshlrev_b32_e32 v0, 1, v0
	s_mul_i32 s4, s33, 0xc0
	s_wait_alu 0xfffe
	s_add_nc_u64 s[0:1], s[0:1], s[2:3]
	s_mov_b32 s5, 0
	;;#ASMSTART
	v_cvt_f16_f32 v1, v17;

	;;#ASMEND
	s_wait_alu 0xfffe
	s_add_nc_u64 s[0:1], s[0:1], s[4:5]
	global_store_b16 v0, v1, s[0:1]
	;;#ASMSTART
	v_cvt_f16_f32 v1, v16;

	;;#ASMEND
	global_store_b16 v0, v1, s[0:1] offset:64
	;;#ASMSTART
	v_cvt_f16_f32 v1, v15;

	;;#ASMEND
	global_store_b16 v0, v1, s[0:1] offset:128
.LBB246_444:
	s_endpgm
	.section	.rodata,"a",@progbits
	.p2align	6, 0x0
	.amdhsa_kernel _ZN4vllm25paged_attention_v2_kernelIthLi96ELi8ELi128ELNS_18Fp8KVCacheDataTypeE1ELb1ELi512EEEvPfS2_PT_PKS3_PKT0_S9_ifPKiSB_iPKfiiiSD_SD_iiiii
		.amdhsa_group_segment_fixed_size 224
		.amdhsa_private_segment_fixed_size 0
		.amdhsa_kernarg_size 400
		.amdhsa_user_sgpr_count 2
		.amdhsa_user_sgpr_dispatch_ptr 0
		.amdhsa_user_sgpr_queue_ptr 0
		.amdhsa_user_sgpr_kernarg_segment_ptr 1
		.amdhsa_user_sgpr_dispatch_id 0
		.amdhsa_user_sgpr_private_segment_size 0
		.amdhsa_wavefront_size32 1
		.amdhsa_uses_dynamic_stack 0
		.amdhsa_enable_private_segment 0
		.amdhsa_system_sgpr_workgroup_id_x 1
		.amdhsa_system_sgpr_workgroup_id_y 1
		.amdhsa_system_sgpr_workgroup_id_z 1
		.amdhsa_system_sgpr_workgroup_info 0
		.amdhsa_system_vgpr_workitem_id 0
		.amdhsa_next_free_vgpr 65
		.amdhsa_next_free_sgpr 46
		.amdhsa_reserve_vcc 1
		.amdhsa_float_round_mode_32 0
		.amdhsa_float_round_mode_16_64 0
		.amdhsa_float_denorm_mode_32 3
		.amdhsa_float_denorm_mode_16_64 3
		.amdhsa_fp16_overflow 0
		.amdhsa_workgroup_processor_mode 1
		.amdhsa_memory_ordered 1
		.amdhsa_forward_progress 1
		.amdhsa_inst_pref_size 136
		.amdhsa_round_robin_scheduling 0
		.amdhsa_exception_fp_ieee_invalid_op 0
		.amdhsa_exception_fp_denorm_src 0
		.amdhsa_exception_fp_ieee_div_zero 0
		.amdhsa_exception_fp_ieee_overflow 0
		.amdhsa_exception_fp_ieee_underflow 0
		.amdhsa_exception_fp_ieee_inexact 0
		.amdhsa_exception_int_div_zero 0
	.end_amdhsa_kernel
	.section	.text._ZN4vllm25paged_attention_v2_kernelIthLi96ELi8ELi128ELNS_18Fp8KVCacheDataTypeE1ELb1ELi512EEEvPfS2_PT_PKS3_PKT0_S9_ifPKiSB_iPKfiiiSD_SD_iiiii,"axG",@progbits,_ZN4vllm25paged_attention_v2_kernelIthLi96ELi8ELi128ELNS_18Fp8KVCacheDataTypeE1ELb1ELi512EEEvPfS2_PT_PKS3_PKT0_S9_ifPKiSB_iPKfiiiSD_SD_iiiii,comdat
.Lfunc_end246:
	.size	_ZN4vllm25paged_attention_v2_kernelIthLi96ELi8ELi128ELNS_18Fp8KVCacheDataTypeE1ELb1ELi512EEEvPfS2_PT_PKS3_PKT0_S9_ifPKiSB_iPKfiiiSD_SD_iiiii, .Lfunc_end246-_ZN4vllm25paged_attention_v2_kernelIthLi96ELi8ELi128ELNS_18Fp8KVCacheDataTypeE1ELb1ELi512EEEvPfS2_PT_PKS3_PKT0_S9_ifPKiSB_iPKfiiiSD_SD_iiiii
                                        ; -- End function
	.set _ZN4vllm25paged_attention_v2_kernelIthLi96ELi8ELi128ELNS_18Fp8KVCacheDataTypeE1ELb1ELi512EEEvPfS2_PT_PKS3_PKT0_S9_ifPKiSB_iPKfiiiSD_SD_iiiii.num_vgpr, 65
	.set _ZN4vllm25paged_attention_v2_kernelIthLi96ELi8ELi128ELNS_18Fp8KVCacheDataTypeE1ELb1ELi512EEEvPfS2_PT_PKS3_PKT0_S9_ifPKiSB_iPKfiiiSD_SD_iiiii.num_agpr, 0
	.set _ZN4vllm25paged_attention_v2_kernelIthLi96ELi8ELi128ELNS_18Fp8KVCacheDataTypeE1ELb1ELi512EEEvPfS2_PT_PKS3_PKT0_S9_ifPKiSB_iPKfiiiSD_SD_iiiii.numbered_sgpr, 46
	.set _ZN4vllm25paged_attention_v2_kernelIthLi96ELi8ELi128ELNS_18Fp8KVCacheDataTypeE1ELb1ELi512EEEvPfS2_PT_PKS3_PKT0_S9_ifPKiSB_iPKfiiiSD_SD_iiiii.num_named_barrier, 0
	.set _ZN4vllm25paged_attention_v2_kernelIthLi96ELi8ELi128ELNS_18Fp8KVCacheDataTypeE1ELb1ELi512EEEvPfS2_PT_PKS3_PKT0_S9_ifPKiSB_iPKfiiiSD_SD_iiiii.private_seg_size, 0
	.set _ZN4vllm25paged_attention_v2_kernelIthLi96ELi8ELi128ELNS_18Fp8KVCacheDataTypeE1ELb1ELi512EEEvPfS2_PT_PKS3_PKT0_S9_ifPKiSB_iPKfiiiSD_SD_iiiii.uses_vcc, 1
	.set _ZN4vllm25paged_attention_v2_kernelIthLi96ELi8ELi128ELNS_18Fp8KVCacheDataTypeE1ELb1ELi512EEEvPfS2_PT_PKS3_PKT0_S9_ifPKiSB_iPKfiiiSD_SD_iiiii.uses_flat_scratch, 0
	.set _ZN4vllm25paged_attention_v2_kernelIthLi96ELi8ELi128ELNS_18Fp8KVCacheDataTypeE1ELb1ELi512EEEvPfS2_PT_PKS3_PKT0_S9_ifPKiSB_iPKfiiiSD_SD_iiiii.has_dyn_sized_stack, 0
	.set _ZN4vllm25paged_attention_v2_kernelIthLi96ELi8ELi128ELNS_18Fp8KVCacheDataTypeE1ELb1ELi512EEEvPfS2_PT_PKS3_PKT0_S9_ifPKiSB_iPKfiiiSD_SD_iiiii.has_recursion, 0
	.set _ZN4vllm25paged_attention_v2_kernelIthLi96ELi8ELi128ELNS_18Fp8KVCacheDataTypeE1ELb1ELi512EEEvPfS2_PT_PKS3_PKT0_S9_ifPKiSB_iPKfiiiSD_SD_iiiii.has_indirect_call, 0
	.section	.AMDGPU.csdata,"",@progbits
; Kernel info:
; codeLenInByte = 17324
; TotalNumSgprs: 48
; NumVgprs: 65
; ScratchSize: 0
; MemoryBound: 0
; FloatMode: 240
; IeeeMode: 1
; LDSByteSize: 224 bytes/workgroup (compile time only)
; SGPRBlocks: 0
; VGPRBlocks: 8
; NumSGPRsForWavesPerEU: 48
; NumVGPRsForWavesPerEU: 65
; Occupancy: 16
; WaveLimiterHint : 1
; COMPUTE_PGM_RSRC2:SCRATCH_EN: 0
; COMPUTE_PGM_RSRC2:USER_SGPR: 2
; COMPUTE_PGM_RSRC2:TRAP_HANDLER: 0
; COMPUTE_PGM_RSRC2:TGID_X_EN: 1
; COMPUTE_PGM_RSRC2:TGID_Y_EN: 1
; COMPUTE_PGM_RSRC2:TGID_Z_EN: 1
; COMPUTE_PGM_RSRC2:TIDIG_COMP_CNT: 0
	.section	.text._ZN4vllm25paged_attention_v2_kernelIthLi112ELi8ELi128ELNS_18Fp8KVCacheDataTypeE1ELb1ELi512EEEvPfS2_PT_PKS3_PKT0_S9_ifPKiSB_iPKfiiiSD_SD_iiiii,"axG",@progbits,_ZN4vllm25paged_attention_v2_kernelIthLi112ELi8ELi128ELNS_18Fp8KVCacheDataTypeE1ELb1ELi512EEEvPfS2_PT_PKS3_PKT0_S9_ifPKiSB_iPKfiiiSD_SD_iiiii,comdat
	.protected	_ZN4vllm25paged_attention_v2_kernelIthLi112ELi8ELi128ELNS_18Fp8KVCacheDataTypeE1ELb1ELi512EEEvPfS2_PT_PKS3_PKT0_S9_ifPKiSB_iPKfiiiSD_SD_iiiii ; -- Begin function _ZN4vllm25paged_attention_v2_kernelIthLi112ELi8ELi128ELNS_18Fp8KVCacheDataTypeE1ELb1ELi512EEEvPfS2_PT_PKS3_PKT0_S9_ifPKiSB_iPKfiiiSD_SD_iiiii
	.globl	_ZN4vllm25paged_attention_v2_kernelIthLi112ELi8ELi128ELNS_18Fp8KVCacheDataTypeE1ELb1ELi512EEEvPfS2_PT_PKS3_PKT0_S9_ifPKiSB_iPKfiiiSD_SD_iiiii
	.p2align	8
	.type	_ZN4vllm25paged_attention_v2_kernelIthLi112ELi8ELi128ELNS_18Fp8KVCacheDataTypeE1ELb1ELi512EEEvPfS2_PT_PKS3_PKT0_S9_ifPKiSB_iPKfiiiSD_SD_iiiii,@function
_ZN4vllm25paged_attention_v2_kernelIthLi112ELi8ELi128ELNS_18Fp8KVCacheDataTypeE1ELb1ELi512EEEvPfS2_PT_PKS3_PKT0_S9_ifPKiSB_iPKfiiiSD_SD_iiiii: ; @_ZN4vllm25paged_attention_v2_kernelIthLi112ELi8ELi128ELNS_18Fp8KVCacheDataTypeE1ELb1ELi512EEEvPfS2_PT_PKS3_PKT0_S9_ifPKiSB_iPKfiiiSD_SD_iiiii
; %bb.0:
	s_load_b64 s[2:3], s[0:1], 0x40
	s_and_b32 s19, ttmp7, 0xffff
	s_lshr_b32 s33, ttmp7, 16
	s_lshl_b32 s4, s19, 2
	s_lshl_b32 s36, s33, 9
	s_wait_kmcnt 0x0
	s_load_b32 s34, s[2:3], s4 offset:0x0
	s_wait_kmcnt 0x0
	s_cmp_ge_i32 s36, s34
	s_cbranch_scc1 .LBB247_551
; %bb.1:
	s_clause 0x1
	s_load_b32 s35, s[0:1], 0x90
	s_load_b64 s[6:7], s[0:1], 0x30
	s_wait_kmcnt 0x0
	s_abs_i32 s5, s35
	s_abs_i32 s2, s6
	s_delay_alu instid0(SALU_CYCLE_1) | instskip(SKIP_1) | instid1(SALU_CYCLE_2)
	s_cvt_f32_u32 s3, s2
	s_sub_co_i32 s4, 0, s2
	v_rcp_iflag_f32_e32 v1, s3
	s_delay_alu instid0(TRANS32_DEP_1) | instskip(SKIP_2) | instid1(SALU_CYCLE_2)
	v_readfirstlane_b32 s3, v1
	s_mul_f32 s3, s3, 0x4f7ffffe
	s_wait_alu 0xfffe
	s_cvt_u32_f32 s3, s3
	s_wait_alu 0xfffe
	s_delay_alu instid0(SALU_CYCLE_2) | instskip(NEXT) | instid1(SALU_CYCLE_1)
	s_mul_i32 s4, s4, s3
	s_mul_hi_u32 s4, s3, s4
	s_delay_alu instid0(SALU_CYCLE_1)
	s_add_co_i32 s3, s3, s4
	s_xor_b32 s4, s35, s6
	s_wait_alu 0xfffe
	s_mul_hi_u32 s3, s5, s3
	s_ashr_i32 s4, s4, 31
	s_wait_alu 0xfffe
	s_mul_i32 s8, s3, s2
	s_delay_alu instid0(SALU_CYCLE_1)
	s_sub_co_i32 s5, s5, s8
	s_add_co_i32 s8, s3, 1
	s_sub_co_i32 s9, s5, s2
	s_cmp_ge_u32 s5, s2
	s_cselect_b32 s3, s8, s3
	s_cselect_b32 s5, s9, s5
	s_wait_alu 0xfffe
	s_add_co_i32 s8, s3, 1
	s_cmp_ge_u32 s5, s2
	s_cselect_b32 s2, s8, s3
	s_load_b64 s[8:9], s[0:1], 0x50
	s_xor_b32 s2, s2, s4
	s_mov_b32 s3, 0
	s_wait_alu 0xfffe
	s_sub_co_i32 s11, s2, s4
	s_mov_b32 s30, s3
	s_abs_i32 s10, s11
	s_delay_alu instid0(SALU_CYCLE_1) | instskip(SKIP_1) | instid1(SALU_CYCLE_2)
	s_cvt_f32_u32 s2, s10
	s_wait_alu 0xfffe
	v_rcp_iflag_f32_e32 v1, s2
	s_delay_alu instid0(TRANS32_DEP_1) | instskip(SKIP_2) | instid1(SALU_CYCLE_2)
	v_readfirstlane_b32 s2, v1
	s_mul_f32 s2, s2, 0x4f7ffffe
	s_wait_alu 0xfffe
	s_cvt_u32_f32 s4, s2
	s_sub_co_i32 s2, 0, s10
	s_wait_alu 0xfffe
	s_delay_alu instid0(SALU_CYCLE_1)
	s_mul_i32 s2, s2, s4
	s_wait_alu 0xfffe
	s_mul_hi_u32 s5, s4, s2
	s_abs_i32 s2, ttmp9
	s_add_co_i32 s4, s4, s5
	s_mov_b32 s5, s3
	s_wait_kmcnt 0x0
	s_cmp_eq_u64 s[8:9], 0
	s_cbranch_scc1 .LBB247_3
; %bb.2:
	s_mov_b32 s12, ttmp9
	s_ashr_i32 s13, ttmp9, 31
	s_delay_alu instid0(SALU_CYCLE_1) | instskip(NEXT) | instid1(SALU_CYCLE_1)
	s_lshl_b64 s[12:13], s[12:13], 2
	s_add_nc_u64 s[8:9], s[8:9], s[12:13]
	s_load_b32 s30, s[8:9], 0x0
.LBB247_3:
	s_load_b96 s[16:18], s[0:1], 0x58
	v_and_b32_e32 v1, 3, v0
	s_mul_u64 s[4:5], s[2:3], s[4:5]
	s_ashr_i32 s3, ttmp9, 31
	s_ashr_i32 s4, s11, 31
	s_mul_i32 s20, ttmp9, 0x70
	s_mov_b32 s8, exec_lo
	v_cmpx_gt_u32_e32 56, v0
	s_cbranch_execz .LBB247_5
; %bb.4:
	s_load_b64 s[12:13], s[0:1], 0x18
	s_wait_kmcnt 0x0
	s_mul_i32 s14, s16, s19
	s_ashr_i32 s21, s20, 31
	s_ashr_i32 s15, s14, 31
	v_lshlrev_b32_e32 v2, 2, v0
	s_lshl_b64 s[14:15], s[14:15], 1
	v_and_b32_e32 v3, 0x3fc, v0
	s_delay_alu instid0(VALU_DEP_1) | instskip(SKIP_2) | instid1(SALU_CYCLE_1)
	v_mad_u32_u24 v3, v1, 56, v3
	s_add_nc_u64 s[12:13], s[12:13], s[14:15]
	s_lshl_b64 s[14:15], s[20:21], 1
	s_add_nc_u64 s[12:13], s[12:13], s[14:15]
	global_load_b32 v2, v2, s[12:13]
	s_wait_loadcnt 0x0
	ds_store_b32 v3, v2
.LBB247_5:
	s_or_b32 exec_lo, exec_lo, s8
	s_load_b128 s[12:15], s[0:1], 0x78
	s_mul_i32 s8, s5, s10
	s_xor_b32 s3, s3, s4
	s_sub_co_i32 s2, s2, s8
	s_add_co_i32 s4, s5, 1
	s_wait_alu 0xfffe
	s_sub_co_i32 s8, s2, s10
	s_cmp_ge_u32 s2, s10
                                        ; implicit-def: $sgpr21
	s_cselect_b32 s4, s4, s5
	s_cselect_b32 s2, s8, s2
	s_add_co_i32 s5, s4, 1
	s_wait_alu 0xfffe
	s_cmp_ge_u32 s2, s10
	s_load_b32 s8, s[0:1], 0x88
	s_cselect_b32 s2, s5, s4
	s_add_co_i32 s9, s34, -1
	s_wait_alu 0xfffe
	s_xor_b32 s2, s2, s3
	s_mov_b32 s10, -1
	s_wait_alu 0xfffe
	s_sub_co_i32 s28, s2, s3
	s_wait_dscnt 0x0
	s_barrier_signal -1
	s_wait_kmcnt 0x0
	s_abs_i32 s16, s15
	s_barrier_wait -1
	s_cvt_f32_u32 s4, s16
	global_inv scope:SCOPE_SE
	v_rcp_iflag_f32_e32 v2, s4
	s_delay_alu instid0(TRANS32_DEP_1) | instskip(SKIP_2) | instid1(SALU_CYCLE_2)
	v_readfirstlane_b32 s4, v2
	s_mul_f32 s2, s4, 0x4f7ffffe
	s_wait_alu 0xfffe
	s_cvt_u32_f32 s4, s2
	s_sub_co_i32 s2, 0, s16
	s_wait_alu 0xfffe
	s_delay_alu instid0(SALU_CYCLE_1)
	s_mul_i32 s3, s2, s4
	s_abs_i32 s2, s9
	s_wait_alu 0xfffe
	s_mul_hi_u32 s5, s4, s3
	s_mov_b32 s3, 0
	s_wait_alu 0xfffe
	s_add_co_i32 s22, s4, s5
	s_cmp_lt_i32 s8, 0
	s_mov_b32 s23, s3
	s_cbranch_scc0 .LBB247_7
; %bb.6:
	s_mul_i32 s4, s12, s6
	s_mov_b32 s10, s3
	s_wait_alu 0xfffe
	s_add_co_i32 s4, s28, s4
	s_wait_alu 0xfffe
	s_mul_i32 s4, s4, s8
	s_wait_alu 0xfffe
	s_sub_co_i32 s21, 1, s4
.LBB247_7:
	s_mul_u64 s[4:5], s[2:3], s[22:23]
	s_ashr_i32 s3, s9, 31
	s_and_not1_b32 vcc_lo, exec_lo, s10
	s_ashr_i32 s15, s15, 31
	s_cbranch_vccnz .LBB247_9
; %bb.8:
	s_mul_i32 s4, s35, s12
	s_wait_alu 0xfffe
	s_add_co_i32 s4, s4, ttmp9
	s_wait_alu 0xfffe
	s_mul_i32 s4, s4, s8
	s_wait_alu 0xfffe
	s_add_co_i32 s21, s4, 1
.LBB247_9:
	s_clause 0x3
	s_load_b32 s4, s[0:1], 0x48
	s_load_b64 s[24:25], s[0:1], 0x38
	s_load_b32 s12, s[0:1], 0x98
	s_load_b128 s[8:11], s[0:1], 0x68
	s_mul_i32 s6, s5, s16
	s_xor_b32 s3, s3, s15
	s_sub_co_i32 s2, s2, s6
	s_add_co_i32 s23, s5, 1
	v_lshrrev_b32_e32 v11, 5, v0
	v_mov_b32_e32 v15, 0xff7fffff
	v_mbcnt_lo_u32_b32 v10, -1, 0
	s_mul_i32 s28, s28, s18
	s_delay_alu instid0(VALU_DEP_3)
	v_lshl_add_u32 v12, v11, 3, s36
	s_wait_kmcnt 0x0
	s_mul_i32 s26, s4, s19
	s_wait_alu 0xfffe
	s_sub_co_i32 s4, s2, s16
	s_ashr_i32 s27, s26, 31
	s_cmp_ge_u32 s2, s16
	s_cselect_b32 s5, s23, s5
	s_wait_alu 0xfffe
	s_cselect_b32 s2, s4, s2
	s_add_co_i32 s4, s5, 1
	s_wait_alu 0xfffe
	s_cmp_ge_u32 s2, s16
	s_cselect_b32 s2, s4, s5
	s_add_co_i32 s4, s34, 7
	s_lshl_b32 s39, s33, 6
	s_wait_alu 0xfffe
	s_ashr_i32 s5, s4, 31
	v_or_b32_e32 v13, s39, v11
	s_wait_alu 0xfffe
	s_lshr_b32 s5, s5, 29
	s_wait_alu 0xfffe
	s_add_co_i32 s4, s4, s5
	s_add_co_i32 s5, s39, 64
	s_wait_alu 0xfffe
	s_ashr_i32 s37, s4, 3
	s_xor_b32 s4, s2, s3
	s_wait_alu 0xfffe
	s_min_i32 s23, s5, s37
	v_lshlrev_b32_e32 v9, 2, v13
	v_cmp_gt_i32_e64 s2, s23, v13
	s_sub_co_i32 s38, s4, s3
	s_and_saveexec_b32 s6, s2
	s_cbranch_execz .LBB247_245
; %bb.10:
	s_wait_alu 0xfffe
	s_sub_co_i32 s18, s38, s13
	s_ashr_i32 s29, s28, 31
	s_cmp_neq_f32 s30, 0
	s_load_b64 s[4:5], s[0:1], 0x20
	v_bfe_u32 v14, v0, 2, 3
	v_mov_b32_e32 v2, 0
	s_cselect_b32 vcc_lo, -1, 0
	s_abs_i32 s31, s14
	v_dual_mov_b32 v15, 0xff7fffff :: v_dual_lshlrev_b32 v4, 1, v1
	s_cvt_f32_u32 s3, s31
	v_mul_u32_u24_e32 v16, 56, v1
	v_dual_mov_b32 v20, 0xff7fffff :: v_dual_lshlrev_b32 v5, 2, v14
	s_wait_alu 0xfffe
	v_rcp_iflag_f32_e32 v3, s3
	v_cmp_eq_u32_e64 s3, 0, v1
	v_lshlrev_b32_e32 v1, 4, v14
	v_lshl_or_b32 v8, v11, 5, v5
	s_lshl_b64 s[42:43], s[26:27], 2
	v_subrev_nc_u32_e32 v7, s34, v14
	s_add_nc_u64 s[42:43], s[24:25], s[42:43]
	s_sub_co_i32 s44, 0, s31
	v_lshl_add_u32 v17, v11, 3, s36
	s_wait_kmcnt 0x0
	s_add_nc_u64 s[4:5], s[4:5], s[28:29]
	v_readfirstlane_b32 s41, v3
	s_wait_alu 0xfffe
	v_add_co_u32 v1, s4, s4, v1
	s_wait_alu 0xf1ff
	v_add_co_ci_u32_e64 v5, null, s5, 0, s4
	s_mul_f32 s29, s41, 0x4f7ffffe
	v_add_co_u32 v3, s4, v1, v4
	s_wait_alu 0xf1ff
	v_add_co_ci_u32_e64 v4, null, 0, v5, s4
	s_cvt_u32_f32 s5, s29
	v_add_co_u32 v5, s4, s42, v9
	s_wait_alu 0xf1ff
	v_add_co_ci_u32_e64 v6, null, s43, 0, s4
	s_wait_alu 0xfffe
	s_mul_i32 s44, s44, s5
	v_dual_mov_b32 v21, v13 :: v_dual_add_nc_u32 v18, 1, v7
	v_add_nc_u32_e32 v19, 0x100, v8
	s_mul_hi_u32 s4, s5, s44
	s_mov_b32 s40, 0
	s_mov_b32 s29, s17
	s_wait_alu 0xfffe
	s_add_co_i32 s41, s5, s4
	s_branch .LBB247_13
.LBB247_11:                             ;   in Loop: Header=BB247_13 Depth=1
	s_wait_alu 0xfffe
	s_or_b32 exec_lo, exec_lo, s42
.LBB247_12:                             ;   in Loop: Header=BB247_13 Depth=1
	s_wait_alu 0xfffe
	s_or_b32 exec_lo, exec_lo, s5
	v_add_nc_u32_e32 v21, 4, v21
	v_add_co_u32 v5, s5, v5, 16
	s_wait_alu 0xf1ff
	v_add_co_ci_u32_e64 v6, null, 0, v6, s5
	s_delay_alu instid0(VALU_DEP_3)
	v_cmp_le_i32_e64 s4, s23, v21
	v_add_nc_u32_e32 v17, 32, v17
	v_add_nc_u32_e32 v19, 0x80, v19
	s_or_b32 s40, s4, s40
	s_wait_alu 0xfffe
	s_and_not1_b32 exec_lo, exec_lo, s40
	s_cbranch_execz .LBB247_244
.LBB247_13:                             ; =>This Inner Loop Header: Depth=1
	v_sub_nc_u32_e32 v1, 0, v17
	s_delay_alu instid0(VALU_DEP_1) | instskip(SKIP_1) | instid1(VALU_DEP_1)
	v_max_i32_e32 v1, v17, v1
	s_wait_dscnt 0x0
	v_mul_hi_u32 v7, v1, s22
	s_delay_alu instid0(VALU_DEP_1) | instskip(NEXT) | instid1(VALU_DEP_1)
	v_mul_lo_u32 v8, v7, s16
	v_sub_nc_u32_e32 v1, v1, v8
	v_add_nc_u32_e32 v8, 1, v7
	s_delay_alu instid0(VALU_DEP_2) | instskip(SKIP_2) | instid1(VALU_DEP_1)
	v_subrev_nc_u32_e32 v22, s16, v1
	v_cmp_le_u32_e64 s4, s16, v1
	s_wait_alu 0xf1ff
	v_cndmask_b32_e64 v7, v7, v8, s4
	s_delay_alu instid0(VALU_DEP_3) | instskip(SKIP_1) | instid1(VALU_DEP_3)
	v_cndmask_b32_e64 v1, v1, v22, s4
	v_ashrrev_i32_e32 v8, 31, v17
	v_add_nc_u32_e32 v22, 1, v7
	s_delay_alu instid0(VALU_DEP_3) | instskip(NEXT) | instid1(VALU_DEP_3)
	v_cmp_le_u32_e64 s4, s16, v1
	v_xor_b32_e32 v8, s15, v8
	s_wait_alu 0xf1ff
	s_delay_alu instid0(VALU_DEP_2) | instskip(NEXT) | instid1(VALU_DEP_1)
	v_cndmask_b32_e64 v1, v7, v22, s4
	v_xor_b32_e32 v1, v1, v8
	s_delay_alu instid0(VALU_DEP_1) | instskip(NEXT) | instid1(VALU_DEP_1)
	v_sub_nc_u32_e32 v1, v1, v8
	v_add_nc_u32_e32 v7, s21, v1
	v_cmp_ge_i32_e64 s5, s18, v1
	s_delay_alu instid0(VALU_DEP_2) | instskip(NEXT) | instid1(VALU_DEP_1)
	v_sub_nc_u32_e32 v8, 0, v7
	v_max_i32_e32 v8, v7, v8
	v_ashrrev_i32_e32 v7, 31, v7
	s_delay_alu instid0(VALU_DEP_2) | instskip(NEXT) | instid1(VALU_DEP_1)
	v_mul_hi_u32 v22, v8, s41
	v_mul_lo_u32 v22, v22, s31
	s_delay_alu instid0(VALU_DEP_1) | instskip(NEXT) | instid1(VALU_DEP_1)
	v_sub_nc_u32_e32 v8, v8, v22
	v_subrev_nc_u32_e32 v22, s31, v8
	v_cmp_le_u32_e64 s4, s31, v8
	s_wait_alu 0xf1ff
	s_delay_alu instid0(VALU_DEP_1) | instskip(NEXT) | instid1(VALU_DEP_1)
	v_cndmask_b32_e64 v8, v8, v22, s4
	v_subrev_nc_u32_e32 v22, s31, v8
	v_cmp_le_u32_e64 s4, s31, v8
	s_wait_alu 0xf1ff
	s_delay_alu instid0(VALU_DEP_1) | instskip(NEXT) | instid1(VALU_DEP_1)
	v_cndmask_b32_e64 v8, v8, v22, s4
	v_xor_b32_e32 v8, v8, v7
	s_delay_alu instid0(VALU_DEP_1) | instskip(NEXT) | instid1(VALU_DEP_1)
	v_sub_nc_u32_e32 v7, v8, v7
	v_cmp_ne_u32_e64 s4, 0, v7
	s_and_b32 s4, s4, s5
	s_wait_alu 0xfffe
	s_and_saveexec_b32 s5, s4
	s_wait_alu 0xfffe
	s_xor_b32 s4, exec_lo, s5
	s_cbranch_execz .LBB247_17
; %bb.14:                               ;   in Loop: Header=BB247_13 Depth=1
	s_and_saveexec_b32 s5, s3
; %bb.15:                               ;   in Loop: Header=BB247_13 Depth=1
	ds_store_b32 v19, v20
; %bb.16:                               ;   in Loop: Header=BB247_13 Depth=1
	s_wait_alu 0xfffe
	s_or_b32 exec_lo, exec_lo, s5
.LBB247_17:                             ;   in Loop: Header=BB247_13 Depth=1
	s_wait_alu 0xfffe
	s_and_not1_saveexec_b32 s5, s4
	s_cbranch_execz .LBB247_12
; %bb.18:                               ;   in Loop: Header=BB247_13 Depth=1
	global_load_b32 v1, v[5:6], off
	s_wait_loadcnt 0x0
	v_mad_co_i64_i32 v[7:8], null, v1, s29, v[3:4]
	global_load_u16 v1, v[7:8], off
	s_wait_loadcnt 0x0
	v_dual_mov_b32 v23, 0 :: v_dual_and_b32 v24, 0xff, v1
	global_load_b32 v22, v23, s[8:9]
	v_and_b32_e32 v1, 0xffff, v1
	v_cmp_ne_u16_e64 s4, 0, v24
	v_mov_b32_e32 v24, 0
	s_and_saveexec_b32 s42, s4
	s_cbranch_execz .LBB247_26
; %bb.19:                               ;   in Loop: Header=BB247_13 Depth=1
	v_and_b32_e32 v24, 0xff, v1
	s_delay_alu instid0(VALU_DEP_1)
	v_cmp_ne_u16_e64 s4, 0x80, v24
	v_mov_b32_e32 v24, 0x8000
	s_and_saveexec_b32 s43, s4
	s_cbranch_execz .LBB247_25
; %bb.20:                               ;   in Loop: Header=BB247_13 Depth=1
	v_and_b32_e32 v26, 0x7f, v1
	v_mov_b32_e32 v24, 0x7c01
	s_mov_b32 s44, exec_lo
	s_delay_alu instid0(VALU_DEP_2)
	v_cmpx_ne_u32_e32 0x7f, v26
	s_cbranch_execz .LBB247_24
; %bb.21:                               ;   in Loop: Header=BB247_13 Depth=1
	v_and_b32_e32 v24, 7, v1
	v_lshrrev_b32_e32 v25, 3, v26
	s_mov_b32 s45, exec_lo
	v_cmpx_gt_u32_e32 8, v26
; %bb.22:                               ;   in Loop: Header=BB247_13 Depth=1
	s_delay_alu instid0(VALU_DEP_3) | instskip(NEXT) | instid1(VALU_DEP_1)
	v_clz_i32_u32_e32 v24, v24
	v_min_u32_e32 v26, 32, v24
	s_delay_alu instid0(VALU_DEP_1) | instskip(NEXT) | instid1(VALU_DEP_1)
	v_subrev_nc_u32_e32 v24, 28, v26
	v_lshlrev_b64_e32 v[24:25], v24, v[1:2]
	v_sub_nc_u32_e32 v25, 29, v26
	s_delay_alu instid0(VALU_DEP_2)
	v_and_b32_e32 v24, 7, v24
; %bb.23:                               ;   in Loop: Header=BB247_13 Depth=1
	s_or_b32 exec_lo, exec_lo, s45
	v_lshlrev_b32_e32 v26, 8, v1
	s_delay_alu instid0(VALU_DEP_3) | instskip(NEXT) | instid1(VALU_DEP_3)
	v_lshl_add_u32 v25, v25, 10, 0x2000
	v_lshlrev_b32_e32 v24, 7, v24
	s_delay_alu instid0(VALU_DEP_3) | instskip(NEXT) | instid1(VALU_DEP_3)
	v_and_b32_e32 v26, 0x8000, v26
	v_and_b32_e32 v25, 0xfc00, v25
	s_delay_alu instid0(VALU_DEP_1)
	v_or3_b32 v24, v26, v25, v24
.LBB247_24:                             ;   in Loop: Header=BB247_13 Depth=1
	s_or_b32 exec_lo, exec_lo, s44
.LBB247_25:                             ;   in Loop: Header=BB247_13 Depth=1
	s_wait_alu 0xfffe
	s_or_b32 exec_lo, exec_lo, s43
.LBB247_26:                             ;   in Loop: Header=BB247_13 Depth=1
	s_wait_alu 0xfffe
	s_or_b32 exec_lo, exec_lo, s42
	v_lshrrev_b16 v1, 8, v1
	s_mov_b32 s42, exec_lo
	s_delay_alu instid0(VALU_DEP_1)
	v_cmpx_ne_u16_e32 0, v1
	s_cbranch_execz .LBB247_34
; %bb.27:                               ;   in Loop: Header=BB247_13 Depth=1
	v_bfrev_b32_e32 v23, 1
	s_mov_b32 s43, exec_lo
	v_cmpx_ne_u16_e32 0x80, v1
	s_cbranch_execz .LBB247_33
; %bb.28:                               ;   in Loop: Header=BB247_13 Depth=1
	v_and_b32_e32 v25, 0xffff, v1
	v_mov_b32_e32 v23, 0x7c010000
	s_mov_b32 s44, exec_lo
	s_delay_alu instid0(VALU_DEP_2) | instskip(NEXT) | instid1(VALU_DEP_1)
	v_and_b32_e32 v27, 0x7f, v25
	v_cmpx_ne_u32_e32 0x7f, v27
	s_cbranch_execz .LBB247_32
; %bb.29:                               ;   in Loop: Header=BB247_13 Depth=1
	v_and_b32_e32 v23, 7, v25
	v_lshrrev_b32_e32 v26, 3, v27
	s_mov_b32 s45, exec_lo
	v_cmpx_gt_u32_e32 8, v27
; %bb.30:                               ;   in Loop: Header=BB247_13 Depth=1
	s_delay_alu instid0(VALU_DEP_3) | instskip(NEXT) | instid1(VALU_DEP_1)
	v_clz_i32_u32_e32 v23, v23
	v_min_u32_e32 v23, 32, v23
	s_delay_alu instid0(VALU_DEP_1) | instskip(NEXT) | instid1(VALU_DEP_1)
	v_subrev_nc_u32_e32 v26, 28, v23
	v_lshlrev_b64_e32 v[27:28], v26, v[1:2]
	v_sub_nc_u32_e32 v26, 29, v23
	s_delay_alu instid0(VALU_DEP_2)
	v_and_b32_e32 v23, 7, v27
; %bb.31:                               ;   in Loop: Header=BB247_13 Depth=1
	s_or_b32 exec_lo, exec_lo, s45
	v_lshlrev_b32_e32 v1, 8, v25
	s_delay_alu instid0(VALU_DEP_3) | instskip(NEXT) | instid1(VALU_DEP_3)
	v_lshl_add_u32 v25, v26, 10, 0x2000
	v_lshlrev_b32_e32 v23, 23, v23
	s_delay_alu instid0(VALU_DEP_2) | instskip(NEXT) | instid1(VALU_DEP_1)
	v_and_or_b32 v1, 0x8000, v1, v25
	v_lshl_or_b32 v23, v1, 16, v23
.LBB247_32:                             ;   in Loop: Header=BB247_13 Depth=1
	s_or_b32 exec_lo, exec_lo, s44
.LBB247_33:                             ;   in Loop: Header=BB247_13 Depth=1
	s_wait_alu 0xfffe
	s_or_b32 exec_lo, exec_lo, s43
.LBB247_34:                             ;   in Loop: Header=BB247_13 Depth=1
	s_wait_alu 0xfffe
	s_or_b32 exec_lo, exec_lo, s42
	global_load_u16 v1, v[7:8], off offset:8
	s_wait_loadcnt 0x0
	v_dual_mov_b32 v25, 0 :: v_dual_and_b32 v26, 0xff, v1
	v_and_b32_e32 v1, 0xffff, v1
	s_delay_alu instid0(VALU_DEP_2)
	v_cmp_ne_u16_e64 s4, 0, v26
	v_mov_b32_e32 v26, 0
	s_and_saveexec_b32 s42, s4
	s_cbranch_execz .LBB247_42
; %bb.35:                               ;   in Loop: Header=BB247_13 Depth=1
	v_and_b32_e32 v26, 0xff, v1
	s_delay_alu instid0(VALU_DEP_1)
	v_cmp_ne_u16_e64 s4, 0x80, v26
	v_mov_b32_e32 v26, 0x8000
	s_and_saveexec_b32 s43, s4
	s_cbranch_execz .LBB247_41
; %bb.36:                               ;   in Loop: Header=BB247_13 Depth=1
	v_and_b32_e32 v28, 0x7f, v1
	v_mov_b32_e32 v26, 0x7c01
	s_mov_b32 s44, exec_lo
	s_delay_alu instid0(VALU_DEP_2)
	v_cmpx_ne_u32_e32 0x7f, v28
	s_cbranch_execz .LBB247_40
; %bb.37:                               ;   in Loop: Header=BB247_13 Depth=1
	v_and_b32_e32 v26, 7, v1
	v_lshrrev_b32_e32 v27, 3, v28
	s_mov_b32 s45, exec_lo
	v_cmpx_gt_u32_e32 8, v28
; %bb.38:                               ;   in Loop: Header=BB247_13 Depth=1
	s_delay_alu instid0(VALU_DEP_3) | instskip(NEXT) | instid1(VALU_DEP_1)
	v_clz_i32_u32_e32 v26, v26
	v_min_u32_e32 v28, 32, v26
	s_delay_alu instid0(VALU_DEP_1) | instskip(NEXT) | instid1(VALU_DEP_1)
	v_subrev_nc_u32_e32 v26, 28, v28
	v_lshlrev_b64_e32 v[26:27], v26, v[1:2]
	v_sub_nc_u32_e32 v27, 29, v28
	s_delay_alu instid0(VALU_DEP_2)
	v_and_b32_e32 v26, 7, v26
; %bb.39:                               ;   in Loop: Header=BB247_13 Depth=1
	s_or_b32 exec_lo, exec_lo, s45
	v_lshlrev_b32_e32 v28, 8, v1
	s_delay_alu instid0(VALU_DEP_3) | instskip(NEXT) | instid1(VALU_DEP_3)
	v_lshl_add_u32 v27, v27, 10, 0x2000
	v_lshlrev_b32_e32 v26, 7, v26
	s_delay_alu instid0(VALU_DEP_3) | instskip(NEXT) | instid1(VALU_DEP_3)
	v_and_b32_e32 v28, 0x8000, v28
	v_and_b32_e32 v27, 0xfc00, v27
	s_delay_alu instid0(VALU_DEP_1)
	v_or3_b32 v26, v28, v27, v26
.LBB247_40:                             ;   in Loop: Header=BB247_13 Depth=1
	s_or_b32 exec_lo, exec_lo, s44
.LBB247_41:                             ;   in Loop: Header=BB247_13 Depth=1
	s_wait_alu 0xfffe
	s_or_b32 exec_lo, exec_lo, s43
.LBB247_42:                             ;   in Loop: Header=BB247_13 Depth=1
	s_wait_alu 0xfffe
	s_or_b32 exec_lo, exec_lo, s42
	v_lshrrev_b16 v1, 8, v1
	s_mov_b32 s42, exec_lo
	s_delay_alu instid0(VALU_DEP_1)
	v_cmpx_ne_u16_e32 0, v1
	s_cbranch_execz .LBB247_50
; %bb.43:                               ;   in Loop: Header=BB247_13 Depth=1
	v_bfrev_b32_e32 v25, 1
	s_mov_b32 s43, exec_lo
	v_cmpx_ne_u16_e32 0x80, v1
	s_cbranch_execz .LBB247_49
; %bb.44:                               ;   in Loop: Header=BB247_13 Depth=1
	v_and_b32_e32 v27, 0xffff, v1
	v_mov_b32_e32 v25, 0x7c010000
	s_mov_b32 s44, exec_lo
	s_delay_alu instid0(VALU_DEP_2) | instskip(NEXT) | instid1(VALU_DEP_1)
	v_and_b32_e32 v29, 0x7f, v27
	v_cmpx_ne_u32_e32 0x7f, v29
	s_cbranch_execz .LBB247_48
; %bb.45:                               ;   in Loop: Header=BB247_13 Depth=1
	v_and_b32_e32 v25, 7, v27
	v_lshrrev_b32_e32 v28, 3, v29
	s_mov_b32 s45, exec_lo
	v_cmpx_gt_u32_e32 8, v29
; %bb.46:                               ;   in Loop: Header=BB247_13 Depth=1
	s_delay_alu instid0(VALU_DEP_3) | instskip(NEXT) | instid1(VALU_DEP_1)
	v_clz_i32_u32_e32 v25, v25
	v_min_u32_e32 v25, 32, v25
	s_delay_alu instid0(VALU_DEP_1) | instskip(NEXT) | instid1(VALU_DEP_1)
	v_subrev_nc_u32_e32 v28, 28, v25
	v_lshlrev_b64_e32 v[29:30], v28, v[1:2]
	v_sub_nc_u32_e32 v28, 29, v25
	s_delay_alu instid0(VALU_DEP_2)
	v_and_b32_e32 v25, 7, v29
; %bb.47:                               ;   in Loop: Header=BB247_13 Depth=1
	s_or_b32 exec_lo, exec_lo, s45
	v_lshlrev_b32_e32 v1, 8, v27
	s_delay_alu instid0(VALU_DEP_3) | instskip(NEXT) | instid1(VALU_DEP_3)
	v_lshl_add_u32 v27, v28, 10, 0x2000
	v_lshlrev_b32_e32 v25, 23, v25
	s_delay_alu instid0(VALU_DEP_2) | instskip(NEXT) | instid1(VALU_DEP_1)
	v_and_or_b32 v1, 0x8000, v1, v27
	v_lshl_or_b32 v25, v1, 16, v25
.LBB247_48:                             ;   in Loop: Header=BB247_13 Depth=1
	s_or_b32 exec_lo, exec_lo, s44
.LBB247_49:                             ;   in Loop: Header=BB247_13 Depth=1
	s_wait_alu 0xfffe
	s_or_b32 exec_lo, exec_lo, s43
.LBB247_50:                             ;   in Loop: Header=BB247_13 Depth=1
	s_wait_alu 0xfffe
	s_or_b32 exec_lo, exec_lo, s42
	global_load_u16 v1, v[7:8], off offset:128
	s_wait_loadcnt 0x0
	v_dual_mov_b32 v27, 0 :: v_dual_and_b32 v28, 0xff, v1
	v_and_b32_e32 v1, 0xffff, v1
	s_delay_alu instid0(VALU_DEP_2)
	v_cmp_ne_u16_e64 s4, 0, v28
	v_mov_b32_e32 v28, 0
	s_and_saveexec_b32 s42, s4
	s_cbranch_execz .LBB247_58
; %bb.51:                               ;   in Loop: Header=BB247_13 Depth=1
	v_and_b32_e32 v28, 0xff, v1
	s_delay_alu instid0(VALU_DEP_1)
	v_cmp_ne_u16_e64 s4, 0x80, v28
	v_mov_b32_e32 v28, 0x8000
	s_and_saveexec_b32 s43, s4
	s_cbranch_execz .LBB247_57
; %bb.52:                               ;   in Loop: Header=BB247_13 Depth=1
	v_and_b32_e32 v30, 0x7f, v1
	v_mov_b32_e32 v28, 0x7c01
	s_mov_b32 s44, exec_lo
	s_delay_alu instid0(VALU_DEP_2)
	v_cmpx_ne_u32_e32 0x7f, v30
	s_cbranch_execz .LBB247_56
; %bb.53:                               ;   in Loop: Header=BB247_13 Depth=1
	v_and_b32_e32 v28, 7, v1
	v_lshrrev_b32_e32 v29, 3, v30
	s_mov_b32 s45, exec_lo
	v_cmpx_gt_u32_e32 8, v30
; %bb.54:                               ;   in Loop: Header=BB247_13 Depth=1
	s_delay_alu instid0(VALU_DEP_3) | instskip(NEXT) | instid1(VALU_DEP_1)
	v_clz_i32_u32_e32 v28, v28
	v_min_u32_e32 v30, 32, v28
	s_delay_alu instid0(VALU_DEP_1) | instskip(NEXT) | instid1(VALU_DEP_1)
	v_subrev_nc_u32_e32 v28, 28, v30
	v_lshlrev_b64_e32 v[28:29], v28, v[1:2]
	v_sub_nc_u32_e32 v29, 29, v30
	s_delay_alu instid0(VALU_DEP_2)
	v_and_b32_e32 v28, 7, v28
; %bb.55:                               ;   in Loop: Header=BB247_13 Depth=1
	s_or_b32 exec_lo, exec_lo, s45
	v_lshlrev_b32_e32 v30, 8, v1
	s_delay_alu instid0(VALU_DEP_3) | instskip(NEXT) | instid1(VALU_DEP_3)
	v_lshl_add_u32 v29, v29, 10, 0x2000
	v_lshlrev_b32_e32 v28, 7, v28
	s_delay_alu instid0(VALU_DEP_3) | instskip(NEXT) | instid1(VALU_DEP_3)
	v_and_b32_e32 v30, 0x8000, v30
	v_and_b32_e32 v29, 0xfc00, v29
	s_delay_alu instid0(VALU_DEP_1)
	v_or3_b32 v28, v30, v29, v28
.LBB247_56:                             ;   in Loop: Header=BB247_13 Depth=1
	s_or_b32 exec_lo, exec_lo, s44
.LBB247_57:                             ;   in Loop: Header=BB247_13 Depth=1
	s_wait_alu 0xfffe
	s_or_b32 exec_lo, exec_lo, s43
.LBB247_58:                             ;   in Loop: Header=BB247_13 Depth=1
	s_wait_alu 0xfffe
	s_or_b32 exec_lo, exec_lo, s42
	v_lshrrev_b16 v1, 8, v1
	s_mov_b32 s42, exec_lo
	s_delay_alu instid0(VALU_DEP_1)
	v_cmpx_ne_u16_e32 0, v1
	s_cbranch_execz .LBB247_66
; %bb.59:                               ;   in Loop: Header=BB247_13 Depth=1
	v_bfrev_b32_e32 v27, 1
	s_mov_b32 s43, exec_lo
	v_cmpx_ne_u16_e32 0x80, v1
	s_cbranch_execz .LBB247_65
; %bb.60:                               ;   in Loop: Header=BB247_13 Depth=1
	v_and_b32_e32 v29, 0xffff, v1
	v_mov_b32_e32 v27, 0x7c010000
	s_mov_b32 s44, exec_lo
	s_delay_alu instid0(VALU_DEP_2) | instskip(NEXT) | instid1(VALU_DEP_1)
	v_and_b32_e32 v31, 0x7f, v29
	v_cmpx_ne_u32_e32 0x7f, v31
	s_cbranch_execz .LBB247_64
; %bb.61:                               ;   in Loop: Header=BB247_13 Depth=1
	v_and_b32_e32 v27, 7, v29
	v_lshrrev_b32_e32 v30, 3, v31
	s_mov_b32 s45, exec_lo
	v_cmpx_gt_u32_e32 8, v31
; %bb.62:                               ;   in Loop: Header=BB247_13 Depth=1
	s_delay_alu instid0(VALU_DEP_3) | instskip(NEXT) | instid1(VALU_DEP_1)
	v_clz_i32_u32_e32 v27, v27
	v_min_u32_e32 v27, 32, v27
	s_delay_alu instid0(VALU_DEP_1) | instskip(NEXT) | instid1(VALU_DEP_1)
	v_subrev_nc_u32_e32 v30, 28, v27
	v_lshlrev_b64_e32 v[31:32], v30, v[1:2]
	v_sub_nc_u32_e32 v30, 29, v27
	s_delay_alu instid0(VALU_DEP_2)
	v_and_b32_e32 v27, 7, v31
; %bb.63:                               ;   in Loop: Header=BB247_13 Depth=1
	s_or_b32 exec_lo, exec_lo, s45
	v_lshlrev_b32_e32 v1, 8, v29
	s_delay_alu instid0(VALU_DEP_3) | instskip(NEXT) | instid1(VALU_DEP_3)
	v_lshl_add_u32 v29, v30, 10, 0x2000
	v_lshlrev_b32_e32 v27, 23, v27
	s_delay_alu instid0(VALU_DEP_2) | instskip(NEXT) | instid1(VALU_DEP_1)
	v_and_or_b32 v1, 0x8000, v1, v29
	v_lshl_or_b32 v27, v1, 16, v27
.LBB247_64:                             ;   in Loop: Header=BB247_13 Depth=1
	s_or_b32 exec_lo, exec_lo, s44
.LBB247_65:                             ;   in Loop: Header=BB247_13 Depth=1
	s_wait_alu 0xfffe
	s_or_b32 exec_lo, exec_lo, s43
.LBB247_66:                             ;   in Loop: Header=BB247_13 Depth=1
	s_wait_alu 0xfffe
	s_or_b32 exec_lo, exec_lo, s42
	global_load_u16 v1, v[7:8], off offset:136
	s_wait_loadcnt 0x0
	v_dual_mov_b32 v29, 0 :: v_dual_and_b32 v30, 0xff, v1
	v_and_b32_e32 v1, 0xffff, v1
	s_delay_alu instid0(VALU_DEP_2)
	v_cmp_ne_u16_e64 s4, 0, v30
	v_mov_b32_e32 v30, 0
	s_and_saveexec_b32 s42, s4
	s_cbranch_execz .LBB247_74
; %bb.67:                               ;   in Loop: Header=BB247_13 Depth=1
	v_and_b32_e32 v30, 0xff, v1
	s_delay_alu instid0(VALU_DEP_1)
	v_cmp_ne_u16_e64 s4, 0x80, v30
	v_mov_b32_e32 v30, 0x8000
	s_and_saveexec_b32 s43, s4
	s_cbranch_execz .LBB247_73
; %bb.68:                               ;   in Loop: Header=BB247_13 Depth=1
	v_and_b32_e32 v32, 0x7f, v1
	v_mov_b32_e32 v30, 0x7c01
	s_mov_b32 s44, exec_lo
	s_delay_alu instid0(VALU_DEP_2)
	v_cmpx_ne_u32_e32 0x7f, v32
	s_cbranch_execz .LBB247_72
; %bb.69:                               ;   in Loop: Header=BB247_13 Depth=1
	v_and_b32_e32 v30, 7, v1
	v_lshrrev_b32_e32 v31, 3, v32
	s_mov_b32 s45, exec_lo
	v_cmpx_gt_u32_e32 8, v32
; %bb.70:                               ;   in Loop: Header=BB247_13 Depth=1
	s_delay_alu instid0(VALU_DEP_3) | instskip(NEXT) | instid1(VALU_DEP_1)
	v_clz_i32_u32_e32 v30, v30
	v_min_u32_e32 v32, 32, v30
	s_delay_alu instid0(VALU_DEP_1) | instskip(NEXT) | instid1(VALU_DEP_1)
	v_subrev_nc_u32_e32 v30, 28, v32
	v_lshlrev_b64_e32 v[30:31], v30, v[1:2]
	v_sub_nc_u32_e32 v31, 29, v32
	s_delay_alu instid0(VALU_DEP_2)
	v_and_b32_e32 v30, 7, v30
; %bb.71:                               ;   in Loop: Header=BB247_13 Depth=1
	s_or_b32 exec_lo, exec_lo, s45
	v_lshlrev_b32_e32 v32, 8, v1
	s_delay_alu instid0(VALU_DEP_3) | instskip(NEXT) | instid1(VALU_DEP_3)
	v_lshl_add_u32 v31, v31, 10, 0x2000
	v_lshlrev_b32_e32 v30, 7, v30
	s_delay_alu instid0(VALU_DEP_3) | instskip(NEXT) | instid1(VALU_DEP_3)
	v_and_b32_e32 v32, 0x8000, v32
	v_and_b32_e32 v31, 0xfc00, v31
	s_delay_alu instid0(VALU_DEP_1)
	v_or3_b32 v30, v32, v31, v30
.LBB247_72:                             ;   in Loop: Header=BB247_13 Depth=1
	s_or_b32 exec_lo, exec_lo, s44
.LBB247_73:                             ;   in Loop: Header=BB247_13 Depth=1
	s_wait_alu 0xfffe
	s_or_b32 exec_lo, exec_lo, s43
.LBB247_74:                             ;   in Loop: Header=BB247_13 Depth=1
	s_wait_alu 0xfffe
	s_or_b32 exec_lo, exec_lo, s42
	v_lshrrev_b16 v1, 8, v1
	s_mov_b32 s42, exec_lo
	s_delay_alu instid0(VALU_DEP_1)
	v_cmpx_ne_u16_e32 0, v1
	s_cbranch_execz .LBB247_82
; %bb.75:                               ;   in Loop: Header=BB247_13 Depth=1
	v_bfrev_b32_e32 v29, 1
	s_mov_b32 s43, exec_lo
	v_cmpx_ne_u16_e32 0x80, v1
	s_cbranch_execz .LBB247_81
; %bb.76:                               ;   in Loop: Header=BB247_13 Depth=1
	v_and_b32_e32 v31, 0xffff, v1
	v_mov_b32_e32 v29, 0x7c010000
	s_mov_b32 s44, exec_lo
	s_delay_alu instid0(VALU_DEP_2) | instskip(NEXT) | instid1(VALU_DEP_1)
	v_and_b32_e32 v33, 0x7f, v31
	v_cmpx_ne_u32_e32 0x7f, v33
	s_cbranch_execz .LBB247_80
; %bb.77:                               ;   in Loop: Header=BB247_13 Depth=1
	v_and_b32_e32 v29, 7, v31
	v_lshrrev_b32_e32 v32, 3, v33
	s_mov_b32 s45, exec_lo
	v_cmpx_gt_u32_e32 8, v33
; %bb.78:                               ;   in Loop: Header=BB247_13 Depth=1
	s_delay_alu instid0(VALU_DEP_3) | instskip(NEXT) | instid1(VALU_DEP_1)
	v_clz_i32_u32_e32 v29, v29
	v_min_u32_e32 v29, 32, v29
	s_delay_alu instid0(VALU_DEP_1) | instskip(NEXT) | instid1(VALU_DEP_1)
	v_subrev_nc_u32_e32 v32, 28, v29
	v_lshlrev_b64_e32 v[33:34], v32, v[1:2]
	v_sub_nc_u32_e32 v32, 29, v29
	s_delay_alu instid0(VALU_DEP_2)
	v_and_b32_e32 v29, 7, v33
; %bb.79:                               ;   in Loop: Header=BB247_13 Depth=1
	s_or_b32 exec_lo, exec_lo, s45
	v_lshlrev_b32_e32 v1, 8, v31
	s_delay_alu instid0(VALU_DEP_3) | instskip(NEXT) | instid1(VALU_DEP_3)
	v_lshl_add_u32 v31, v32, 10, 0x2000
	v_lshlrev_b32_e32 v29, 23, v29
	s_delay_alu instid0(VALU_DEP_2) | instskip(NEXT) | instid1(VALU_DEP_1)
	v_and_or_b32 v1, 0x8000, v1, v31
	v_lshl_or_b32 v29, v1, 16, v29
.LBB247_80:                             ;   in Loop: Header=BB247_13 Depth=1
	s_or_b32 exec_lo, exec_lo, s44
.LBB247_81:                             ;   in Loop: Header=BB247_13 Depth=1
	s_wait_alu 0xfffe
	s_or_b32 exec_lo, exec_lo, s43
.LBB247_82:                             ;   in Loop: Header=BB247_13 Depth=1
	s_wait_alu 0xfffe
	s_or_b32 exec_lo, exec_lo, s42
	global_load_u16 v1, v[7:8], off offset:256
	s_wait_loadcnt 0x0
	v_dual_mov_b32 v31, 0 :: v_dual_and_b32 v32, 0xff, v1
	v_and_b32_e32 v1, 0xffff, v1
	s_delay_alu instid0(VALU_DEP_2)
	v_cmp_ne_u16_e64 s4, 0, v32
	v_mov_b32_e32 v32, 0
	s_and_saveexec_b32 s42, s4
	s_cbranch_execz .LBB247_90
; %bb.83:                               ;   in Loop: Header=BB247_13 Depth=1
	v_and_b32_e32 v32, 0xff, v1
	s_delay_alu instid0(VALU_DEP_1)
	v_cmp_ne_u16_e64 s4, 0x80, v32
	v_mov_b32_e32 v32, 0x8000
	s_and_saveexec_b32 s43, s4
	s_cbranch_execz .LBB247_89
; %bb.84:                               ;   in Loop: Header=BB247_13 Depth=1
	v_and_b32_e32 v34, 0x7f, v1
	v_mov_b32_e32 v32, 0x7c01
	s_mov_b32 s44, exec_lo
	s_delay_alu instid0(VALU_DEP_2)
	v_cmpx_ne_u32_e32 0x7f, v34
	s_cbranch_execz .LBB247_88
; %bb.85:                               ;   in Loop: Header=BB247_13 Depth=1
	v_and_b32_e32 v32, 7, v1
	v_lshrrev_b32_e32 v33, 3, v34
	s_mov_b32 s45, exec_lo
	v_cmpx_gt_u32_e32 8, v34
; %bb.86:                               ;   in Loop: Header=BB247_13 Depth=1
	s_delay_alu instid0(VALU_DEP_3) | instskip(NEXT) | instid1(VALU_DEP_1)
	v_clz_i32_u32_e32 v32, v32
	v_min_u32_e32 v34, 32, v32
	s_delay_alu instid0(VALU_DEP_1) | instskip(NEXT) | instid1(VALU_DEP_1)
	v_subrev_nc_u32_e32 v32, 28, v34
	v_lshlrev_b64_e32 v[32:33], v32, v[1:2]
	v_sub_nc_u32_e32 v33, 29, v34
	s_delay_alu instid0(VALU_DEP_2)
	v_and_b32_e32 v32, 7, v32
; %bb.87:                               ;   in Loop: Header=BB247_13 Depth=1
	s_or_b32 exec_lo, exec_lo, s45
	v_lshlrev_b32_e32 v34, 8, v1
	s_delay_alu instid0(VALU_DEP_3) | instskip(NEXT) | instid1(VALU_DEP_3)
	v_lshl_add_u32 v33, v33, 10, 0x2000
	v_lshlrev_b32_e32 v32, 7, v32
	s_delay_alu instid0(VALU_DEP_3) | instskip(NEXT) | instid1(VALU_DEP_3)
	v_and_b32_e32 v34, 0x8000, v34
	v_and_b32_e32 v33, 0xfc00, v33
	s_delay_alu instid0(VALU_DEP_1)
	v_or3_b32 v32, v34, v33, v32
.LBB247_88:                             ;   in Loop: Header=BB247_13 Depth=1
	s_or_b32 exec_lo, exec_lo, s44
.LBB247_89:                             ;   in Loop: Header=BB247_13 Depth=1
	s_wait_alu 0xfffe
	s_or_b32 exec_lo, exec_lo, s43
.LBB247_90:                             ;   in Loop: Header=BB247_13 Depth=1
	s_wait_alu 0xfffe
	s_or_b32 exec_lo, exec_lo, s42
	v_lshrrev_b16 v1, 8, v1
	s_mov_b32 s42, exec_lo
	s_delay_alu instid0(VALU_DEP_1)
	v_cmpx_ne_u16_e32 0, v1
	s_cbranch_execz .LBB247_98
; %bb.91:                               ;   in Loop: Header=BB247_13 Depth=1
	v_bfrev_b32_e32 v31, 1
	s_mov_b32 s43, exec_lo
	v_cmpx_ne_u16_e32 0x80, v1
	s_cbranch_execz .LBB247_97
; %bb.92:                               ;   in Loop: Header=BB247_13 Depth=1
	v_and_b32_e32 v33, 0xffff, v1
	v_mov_b32_e32 v31, 0x7c010000
	s_mov_b32 s44, exec_lo
	s_delay_alu instid0(VALU_DEP_2) | instskip(NEXT) | instid1(VALU_DEP_1)
	v_and_b32_e32 v35, 0x7f, v33
	v_cmpx_ne_u32_e32 0x7f, v35
	s_cbranch_execz .LBB247_96
; %bb.93:                               ;   in Loop: Header=BB247_13 Depth=1
	v_and_b32_e32 v31, 7, v33
	v_lshrrev_b32_e32 v34, 3, v35
	s_mov_b32 s45, exec_lo
	v_cmpx_gt_u32_e32 8, v35
; %bb.94:                               ;   in Loop: Header=BB247_13 Depth=1
	s_delay_alu instid0(VALU_DEP_3) | instskip(NEXT) | instid1(VALU_DEP_1)
	v_clz_i32_u32_e32 v31, v31
	v_min_u32_e32 v31, 32, v31
	s_delay_alu instid0(VALU_DEP_1) | instskip(NEXT) | instid1(VALU_DEP_1)
	v_subrev_nc_u32_e32 v34, 28, v31
	v_lshlrev_b64_e32 v[35:36], v34, v[1:2]
	v_sub_nc_u32_e32 v34, 29, v31
	s_delay_alu instid0(VALU_DEP_2)
	v_and_b32_e32 v31, 7, v35
; %bb.95:                               ;   in Loop: Header=BB247_13 Depth=1
	s_or_b32 exec_lo, exec_lo, s45
	v_lshlrev_b32_e32 v1, 8, v33
	s_delay_alu instid0(VALU_DEP_3) | instskip(NEXT) | instid1(VALU_DEP_3)
	v_lshl_add_u32 v33, v34, 10, 0x2000
	v_lshlrev_b32_e32 v31, 23, v31
	s_delay_alu instid0(VALU_DEP_2) | instskip(NEXT) | instid1(VALU_DEP_1)
	v_and_or_b32 v1, 0x8000, v1, v33
	v_lshl_or_b32 v31, v1, 16, v31
.LBB247_96:                             ;   in Loop: Header=BB247_13 Depth=1
	s_or_b32 exec_lo, exec_lo, s44
.LBB247_97:                             ;   in Loop: Header=BB247_13 Depth=1
	s_wait_alu 0xfffe
	s_or_b32 exec_lo, exec_lo, s43
.LBB247_98:                             ;   in Loop: Header=BB247_13 Depth=1
	s_wait_alu 0xfffe
	s_or_b32 exec_lo, exec_lo, s42
	global_load_u16 v1, v[7:8], off offset:264
	s_wait_loadcnt 0x0
	v_dual_mov_b32 v33, 0 :: v_dual_and_b32 v34, 0xff, v1
	v_and_b32_e32 v1, 0xffff, v1
	s_delay_alu instid0(VALU_DEP_2)
	v_cmp_ne_u16_e64 s4, 0, v34
	v_mov_b32_e32 v34, 0
	s_and_saveexec_b32 s42, s4
	s_cbranch_execz .LBB247_106
; %bb.99:                               ;   in Loop: Header=BB247_13 Depth=1
	v_and_b32_e32 v34, 0xff, v1
	s_delay_alu instid0(VALU_DEP_1)
	v_cmp_ne_u16_e64 s4, 0x80, v34
	v_mov_b32_e32 v34, 0x8000
	s_and_saveexec_b32 s43, s4
	s_cbranch_execz .LBB247_105
; %bb.100:                              ;   in Loop: Header=BB247_13 Depth=1
	v_and_b32_e32 v36, 0x7f, v1
	v_mov_b32_e32 v34, 0x7c01
	s_mov_b32 s44, exec_lo
	s_delay_alu instid0(VALU_DEP_2)
	v_cmpx_ne_u32_e32 0x7f, v36
	s_cbranch_execz .LBB247_104
; %bb.101:                              ;   in Loop: Header=BB247_13 Depth=1
	v_and_b32_e32 v34, 7, v1
	v_lshrrev_b32_e32 v35, 3, v36
	s_mov_b32 s45, exec_lo
	v_cmpx_gt_u32_e32 8, v36
; %bb.102:                              ;   in Loop: Header=BB247_13 Depth=1
	s_delay_alu instid0(VALU_DEP_3) | instskip(NEXT) | instid1(VALU_DEP_1)
	v_clz_i32_u32_e32 v34, v34
	v_min_u32_e32 v36, 32, v34
	s_delay_alu instid0(VALU_DEP_1) | instskip(NEXT) | instid1(VALU_DEP_1)
	v_subrev_nc_u32_e32 v34, 28, v36
	v_lshlrev_b64_e32 v[34:35], v34, v[1:2]
	v_sub_nc_u32_e32 v35, 29, v36
	s_delay_alu instid0(VALU_DEP_2)
	v_and_b32_e32 v34, 7, v34
; %bb.103:                              ;   in Loop: Header=BB247_13 Depth=1
	s_or_b32 exec_lo, exec_lo, s45
	v_lshlrev_b32_e32 v36, 8, v1
	s_delay_alu instid0(VALU_DEP_3) | instskip(NEXT) | instid1(VALU_DEP_3)
	v_lshl_add_u32 v35, v35, 10, 0x2000
	v_lshlrev_b32_e32 v34, 7, v34
	s_delay_alu instid0(VALU_DEP_3) | instskip(NEXT) | instid1(VALU_DEP_3)
	v_and_b32_e32 v36, 0x8000, v36
	v_and_b32_e32 v35, 0xfc00, v35
	s_delay_alu instid0(VALU_DEP_1)
	v_or3_b32 v34, v36, v35, v34
.LBB247_104:                            ;   in Loop: Header=BB247_13 Depth=1
	s_or_b32 exec_lo, exec_lo, s44
.LBB247_105:                            ;   in Loop: Header=BB247_13 Depth=1
	s_wait_alu 0xfffe
	s_or_b32 exec_lo, exec_lo, s43
.LBB247_106:                            ;   in Loop: Header=BB247_13 Depth=1
	s_wait_alu 0xfffe
	s_or_b32 exec_lo, exec_lo, s42
	v_lshrrev_b16 v1, 8, v1
	s_mov_b32 s42, exec_lo
	s_delay_alu instid0(VALU_DEP_1)
	v_cmpx_ne_u16_e32 0, v1
	s_cbranch_execz .LBB247_114
; %bb.107:                              ;   in Loop: Header=BB247_13 Depth=1
	v_bfrev_b32_e32 v33, 1
	s_mov_b32 s43, exec_lo
	v_cmpx_ne_u16_e32 0x80, v1
	s_cbranch_execz .LBB247_113
; %bb.108:                              ;   in Loop: Header=BB247_13 Depth=1
	v_and_b32_e32 v35, 0xffff, v1
	v_mov_b32_e32 v33, 0x7c010000
	s_mov_b32 s44, exec_lo
	s_delay_alu instid0(VALU_DEP_2) | instskip(NEXT) | instid1(VALU_DEP_1)
	v_and_b32_e32 v37, 0x7f, v35
	v_cmpx_ne_u32_e32 0x7f, v37
	s_cbranch_execz .LBB247_112
; %bb.109:                              ;   in Loop: Header=BB247_13 Depth=1
	v_and_b32_e32 v33, 7, v35
	v_lshrrev_b32_e32 v36, 3, v37
	s_mov_b32 s45, exec_lo
	v_cmpx_gt_u32_e32 8, v37
; %bb.110:                              ;   in Loop: Header=BB247_13 Depth=1
	s_delay_alu instid0(VALU_DEP_3) | instskip(NEXT) | instid1(VALU_DEP_1)
	v_clz_i32_u32_e32 v33, v33
	v_min_u32_e32 v33, 32, v33
	s_delay_alu instid0(VALU_DEP_1) | instskip(NEXT) | instid1(VALU_DEP_1)
	v_subrev_nc_u32_e32 v36, 28, v33
	v_lshlrev_b64_e32 v[37:38], v36, v[1:2]
	v_sub_nc_u32_e32 v36, 29, v33
	s_delay_alu instid0(VALU_DEP_2)
	v_and_b32_e32 v33, 7, v37
; %bb.111:                              ;   in Loop: Header=BB247_13 Depth=1
	s_or_b32 exec_lo, exec_lo, s45
	v_lshlrev_b32_e32 v1, 8, v35
	s_delay_alu instid0(VALU_DEP_3) | instskip(NEXT) | instid1(VALU_DEP_3)
	v_lshl_add_u32 v35, v36, 10, 0x2000
	v_lshlrev_b32_e32 v33, 23, v33
	s_delay_alu instid0(VALU_DEP_2) | instskip(NEXT) | instid1(VALU_DEP_1)
	v_and_or_b32 v1, 0x8000, v1, v35
	v_lshl_or_b32 v33, v1, 16, v33
.LBB247_112:                            ;   in Loop: Header=BB247_13 Depth=1
	s_or_b32 exec_lo, exec_lo, s44
.LBB247_113:                            ;   in Loop: Header=BB247_13 Depth=1
	s_wait_alu 0xfffe
	s_or_b32 exec_lo, exec_lo, s43
.LBB247_114:                            ;   in Loop: Header=BB247_13 Depth=1
	s_wait_alu 0xfffe
	s_or_b32 exec_lo, exec_lo, s42
	global_load_u16 v1, v[7:8], off offset:384
	s_wait_loadcnt 0x0
	v_dual_mov_b32 v35, 0 :: v_dual_and_b32 v36, 0xff, v1
	v_and_b32_e32 v1, 0xffff, v1
	s_delay_alu instid0(VALU_DEP_2)
	v_cmp_ne_u16_e64 s4, 0, v36
	v_mov_b32_e32 v36, 0
	s_and_saveexec_b32 s42, s4
	s_cbranch_execz .LBB247_122
; %bb.115:                              ;   in Loop: Header=BB247_13 Depth=1
	v_and_b32_e32 v36, 0xff, v1
	s_delay_alu instid0(VALU_DEP_1)
	v_cmp_ne_u16_e64 s4, 0x80, v36
	v_mov_b32_e32 v36, 0x8000
	s_and_saveexec_b32 s43, s4
	s_cbranch_execz .LBB247_121
; %bb.116:                              ;   in Loop: Header=BB247_13 Depth=1
	v_and_b32_e32 v38, 0x7f, v1
	v_mov_b32_e32 v36, 0x7c01
	s_mov_b32 s44, exec_lo
	s_delay_alu instid0(VALU_DEP_2)
	v_cmpx_ne_u32_e32 0x7f, v38
	s_cbranch_execz .LBB247_120
; %bb.117:                              ;   in Loop: Header=BB247_13 Depth=1
	v_and_b32_e32 v36, 7, v1
	v_lshrrev_b32_e32 v37, 3, v38
	s_mov_b32 s45, exec_lo
	v_cmpx_gt_u32_e32 8, v38
; %bb.118:                              ;   in Loop: Header=BB247_13 Depth=1
	s_delay_alu instid0(VALU_DEP_3) | instskip(NEXT) | instid1(VALU_DEP_1)
	v_clz_i32_u32_e32 v36, v36
	v_min_u32_e32 v38, 32, v36
	s_delay_alu instid0(VALU_DEP_1) | instskip(NEXT) | instid1(VALU_DEP_1)
	v_subrev_nc_u32_e32 v36, 28, v38
	v_lshlrev_b64_e32 v[36:37], v36, v[1:2]
	v_sub_nc_u32_e32 v37, 29, v38
	s_delay_alu instid0(VALU_DEP_2)
	v_and_b32_e32 v36, 7, v36
; %bb.119:                              ;   in Loop: Header=BB247_13 Depth=1
	s_or_b32 exec_lo, exec_lo, s45
	v_lshlrev_b32_e32 v38, 8, v1
	s_delay_alu instid0(VALU_DEP_3) | instskip(NEXT) | instid1(VALU_DEP_3)
	v_lshl_add_u32 v37, v37, 10, 0x2000
	v_lshlrev_b32_e32 v36, 7, v36
	s_delay_alu instid0(VALU_DEP_3) | instskip(NEXT) | instid1(VALU_DEP_3)
	v_and_b32_e32 v38, 0x8000, v38
	v_and_b32_e32 v37, 0xfc00, v37
	s_delay_alu instid0(VALU_DEP_1)
	v_or3_b32 v36, v38, v37, v36
.LBB247_120:                            ;   in Loop: Header=BB247_13 Depth=1
	s_or_b32 exec_lo, exec_lo, s44
.LBB247_121:                            ;   in Loop: Header=BB247_13 Depth=1
	s_wait_alu 0xfffe
	s_or_b32 exec_lo, exec_lo, s43
.LBB247_122:                            ;   in Loop: Header=BB247_13 Depth=1
	s_wait_alu 0xfffe
	s_or_b32 exec_lo, exec_lo, s42
	v_lshrrev_b16 v1, 8, v1
	s_mov_b32 s42, exec_lo
	s_delay_alu instid0(VALU_DEP_1)
	v_cmpx_ne_u16_e32 0, v1
	s_cbranch_execz .LBB247_130
; %bb.123:                              ;   in Loop: Header=BB247_13 Depth=1
	v_bfrev_b32_e32 v35, 1
	s_mov_b32 s43, exec_lo
	v_cmpx_ne_u16_e32 0x80, v1
	s_cbranch_execz .LBB247_129
; %bb.124:                              ;   in Loop: Header=BB247_13 Depth=1
	v_and_b32_e32 v37, 0xffff, v1
	v_mov_b32_e32 v35, 0x7c010000
	s_mov_b32 s44, exec_lo
	s_delay_alu instid0(VALU_DEP_2) | instskip(NEXT) | instid1(VALU_DEP_1)
	v_and_b32_e32 v39, 0x7f, v37
	v_cmpx_ne_u32_e32 0x7f, v39
	s_cbranch_execz .LBB247_128
; %bb.125:                              ;   in Loop: Header=BB247_13 Depth=1
	v_and_b32_e32 v35, 7, v37
	v_lshrrev_b32_e32 v38, 3, v39
	s_mov_b32 s45, exec_lo
	v_cmpx_gt_u32_e32 8, v39
; %bb.126:                              ;   in Loop: Header=BB247_13 Depth=1
	s_delay_alu instid0(VALU_DEP_3) | instskip(NEXT) | instid1(VALU_DEP_1)
	v_clz_i32_u32_e32 v35, v35
	v_min_u32_e32 v35, 32, v35
	s_delay_alu instid0(VALU_DEP_1) | instskip(NEXT) | instid1(VALU_DEP_1)
	v_subrev_nc_u32_e32 v38, 28, v35
	v_lshlrev_b64_e32 v[39:40], v38, v[1:2]
	v_sub_nc_u32_e32 v38, 29, v35
	s_delay_alu instid0(VALU_DEP_2)
	v_and_b32_e32 v35, 7, v39
; %bb.127:                              ;   in Loop: Header=BB247_13 Depth=1
	s_or_b32 exec_lo, exec_lo, s45
	v_lshlrev_b32_e32 v1, 8, v37
	s_delay_alu instid0(VALU_DEP_3) | instskip(NEXT) | instid1(VALU_DEP_3)
	v_lshl_add_u32 v37, v38, 10, 0x2000
	v_lshlrev_b32_e32 v35, 23, v35
	s_delay_alu instid0(VALU_DEP_2) | instskip(NEXT) | instid1(VALU_DEP_1)
	v_and_or_b32 v1, 0x8000, v1, v37
	v_lshl_or_b32 v35, v1, 16, v35
.LBB247_128:                            ;   in Loop: Header=BB247_13 Depth=1
	s_or_b32 exec_lo, exec_lo, s44
.LBB247_129:                            ;   in Loop: Header=BB247_13 Depth=1
	s_wait_alu 0xfffe
	s_or_b32 exec_lo, exec_lo, s43
.LBB247_130:                            ;   in Loop: Header=BB247_13 Depth=1
	s_wait_alu 0xfffe
	s_or_b32 exec_lo, exec_lo, s42
	global_load_u16 v1, v[7:8], off offset:392
	s_wait_loadcnt 0x0
	v_dual_mov_b32 v37, 0 :: v_dual_and_b32 v38, 0xff, v1
	v_and_b32_e32 v1, 0xffff, v1
	s_delay_alu instid0(VALU_DEP_2)
	v_cmp_ne_u16_e64 s4, 0, v38
	v_mov_b32_e32 v38, 0
	s_and_saveexec_b32 s42, s4
	s_cbranch_execz .LBB247_138
; %bb.131:                              ;   in Loop: Header=BB247_13 Depth=1
	v_and_b32_e32 v38, 0xff, v1
	s_delay_alu instid0(VALU_DEP_1)
	v_cmp_ne_u16_e64 s4, 0x80, v38
	v_mov_b32_e32 v38, 0x8000
	s_and_saveexec_b32 s43, s4
	s_cbranch_execz .LBB247_137
; %bb.132:                              ;   in Loop: Header=BB247_13 Depth=1
	v_and_b32_e32 v40, 0x7f, v1
	v_mov_b32_e32 v38, 0x7c01
	s_mov_b32 s44, exec_lo
	s_delay_alu instid0(VALU_DEP_2)
	v_cmpx_ne_u32_e32 0x7f, v40
	s_cbranch_execz .LBB247_136
; %bb.133:                              ;   in Loop: Header=BB247_13 Depth=1
	v_and_b32_e32 v38, 7, v1
	v_lshrrev_b32_e32 v39, 3, v40
	s_mov_b32 s45, exec_lo
	v_cmpx_gt_u32_e32 8, v40
; %bb.134:                              ;   in Loop: Header=BB247_13 Depth=1
	s_delay_alu instid0(VALU_DEP_3) | instskip(NEXT) | instid1(VALU_DEP_1)
	v_clz_i32_u32_e32 v38, v38
	v_min_u32_e32 v40, 32, v38
	s_delay_alu instid0(VALU_DEP_1) | instskip(NEXT) | instid1(VALU_DEP_1)
	v_subrev_nc_u32_e32 v38, 28, v40
	v_lshlrev_b64_e32 v[38:39], v38, v[1:2]
	v_sub_nc_u32_e32 v39, 29, v40
	s_delay_alu instid0(VALU_DEP_2)
	v_and_b32_e32 v38, 7, v38
; %bb.135:                              ;   in Loop: Header=BB247_13 Depth=1
	s_or_b32 exec_lo, exec_lo, s45
	v_lshlrev_b32_e32 v40, 8, v1
	s_delay_alu instid0(VALU_DEP_3) | instskip(NEXT) | instid1(VALU_DEP_3)
	v_lshl_add_u32 v39, v39, 10, 0x2000
	v_lshlrev_b32_e32 v38, 7, v38
	s_delay_alu instid0(VALU_DEP_3) | instskip(NEXT) | instid1(VALU_DEP_3)
	v_and_b32_e32 v40, 0x8000, v40
	v_and_b32_e32 v39, 0xfc00, v39
	s_delay_alu instid0(VALU_DEP_1)
	v_or3_b32 v38, v40, v39, v38
.LBB247_136:                            ;   in Loop: Header=BB247_13 Depth=1
	s_or_b32 exec_lo, exec_lo, s44
.LBB247_137:                            ;   in Loop: Header=BB247_13 Depth=1
	s_wait_alu 0xfffe
	s_or_b32 exec_lo, exec_lo, s43
.LBB247_138:                            ;   in Loop: Header=BB247_13 Depth=1
	s_wait_alu 0xfffe
	s_or_b32 exec_lo, exec_lo, s42
	v_lshrrev_b16 v1, 8, v1
	s_mov_b32 s42, exec_lo
	s_delay_alu instid0(VALU_DEP_1)
	v_cmpx_ne_u16_e32 0, v1
	s_cbranch_execz .LBB247_146
; %bb.139:                              ;   in Loop: Header=BB247_13 Depth=1
	v_bfrev_b32_e32 v37, 1
	s_mov_b32 s43, exec_lo
	v_cmpx_ne_u16_e32 0x80, v1
	s_cbranch_execz .LBB247_145
; %bb.140:                              ;   in Loop: Header=BB247_13 Depth=1
	v_and_b32_e32 v39, 0xffff, v1
	v_mov_b32_e32 v37, 0x7c010000
	s_mov_b32 s44, exec_lo
	s_delay_alu instid0(VALU_DEP_2) | instskip(NEXT) | instid1(VALU_DEP_1)
	v_and_b32_e32 v41, 0x7f, v39
	v_cmpx_ne_u32_e32 0x7f, v41
	s_cbranch_execz .LBB247_144
; %bb.141:                              ;   in Loop: Header=BB247_13 Depth=1
	v_and_b32_e32 v37, 7, v39
	v_lshrrev_b32_e32 v40, 3, v41
	s_mov_b32 s45, exec_lo
	v_cmpx_gt_u32_e32 8, v41
; %bb.142:                              ;   in Loop: Header=BB247_13 Depth=1
	s_delay_alu instid0(VALU_DEP_3) | instskip(NEXT) | instid1(VALU_DEP_1)
	v_clz_i32_u32_e32 v37, v37
	v_min_u32_e32 v37, 32, v37
	s_delay_alu instid0(VALU_DEP_1) | instskip(NEXT) | instid1(VALU_DEP_1)
	v_subrev_nc_u32_e32 v40, 28, v37
	v_lshlrev_b64_e32 v[41:42], v40, v[1:2]
	v_sub_nc_u32_e32 v40, 29, v37
	s_delay_alu instid0(VALU_DEP_2)
	v_and_b32_e32 v37, 7, v41
; %bb.143:                              ;   in Loop: Header=BB247_13 Depth=1
	s_or_b32 exec_lo, exec_lo, s45
	v_lshlrev_b32_e32 v1, 8, v39
	s_delay_alu instid0(VALU_DEP_3) | instskip(NEXT) | instid1(VALU_DEP_3)
	v_lshl_add_u32 v39, v40, 10, 0x2000
	v_lshlrev_b32_e32 v37, 23, v37
	s_delay_alu instid0(VALU_DEP_2) | instskip(NEXT) | instid1(VALU_DEP_1)
	v_and_or_b32 v1, 0x8000, v1, v39
	v_lshl_or_b32 v37, v1, 16, v37
.LBB247_144:                            ;   in Loop: Header=BB247_13 Depth=1
	s_or_b32 exec_lo, exec_lo, s44
.LBB247_145:                            ;   in Loop: Header=BB247_13 Depth=1
	s_wait_alu 0xfffe
	s_or_b32 exec_lo, exec_lo, s43
.LBB247_146:                            ;   in Loop: Header=BB247_13 Depth=1
	s_wait_alu 0xfffe
	s_or_b32 exec_lo, exec_lo, s42
	global_load_u16 v1, v[7:8], off offset:512
	s_wait_loadcnt 0x0
	v_dual_mov_b32 v39, 0 :: v_dual_and_b32 v40, 0xff, v1
	v_and_b32_e32 v1, 0xffff, v1
	s_delay_alu instid0(VALU_DEP_2)
	v_cmp_ne_u16_e64 s4, 0, v40
	v_mov_b32_e32 v40, 0
	s_and_saveexec_b32 s42, s4
	s_cbranch_execz .LBB247_154
; %bb.147:                              ;   in Loop: Header=BB247_13 Depth=1
	v_and_b32_e32 v40, 0xff, v1
	s_delay_alu instid0(VALU_DEP_1)
	v_cmp_ne_u16_e64 s4, 0x80, v40
	v_mov_b32_e32 v40, 0x8000
	s_and_saveexec_b32 s43, s4
	s_cbranch_execz .LBB247_153
; %bb.148:                              ;   in Loop: Header=BB247_13 Depth=1
	v_and_b32_e32 v42, 0x7f, v1
	v_mov_b32_e32 v40, 0x7c01
	s_mov_b32 s44, exec_lo
	s_delay_alu instid0(VALU_DEP_2)
	v_cmpx_ne_u32_e32 0x7f, v42
	s_cbranch_execz .LBB247_152
; %bb.149:                              ;   in Loop: Header=BB247_13 Depth=1
	v_and_b32_e32 v40, 7, v1
	v_lshrrev_b32_e32 v41, 3, v42
	s_mov_b32 s45, exec_lo
	v_cmpx_gt_u32_e32 8, v42
; %bb.150:                              ;   in Loop: Header=BB247_13 Depth=1
	s_delay_alu instid0(VALU_DEP_3) | instskip(NEXT) | instid1(VALU_DEP_1)
	v_clz_i32_u32_e32 v40, v40
	v_min_u32_e32 v42, 32, v40
	s_delay_alu instid0(VALU_DEP_1) | instskip(NEXT) | instid1(VALU_DEP_1)
	v_subrev_nc_u32_e32 v40, 28, v42
	v_lshlrev_b64_e32 v[40:41], v40, v[1:2]
	v_sub_nc_u32_e32 v41, 29, v42
	s_delay_alu instid0(VALU_DEP_2)
	v_and_b32_e32 v40, 7, v40
; %bb.151:                              ;   in Loop: Header=BB247_13 Depth=1
	s_or_b32 exec_lo, exec_lo, s45
	v_lshlrev_b32_e32 v42, 8, v1
	s_delay_alu instid0(VALU_DEP_3) | instskip(NEXT) | instid1(VALU_DEP_3)
	v_lshl_add_u32 v41, v41, 10, 0x2000
	v_lshlrev_b32_e32 v40, 7, v40
	s_delay_alu instid0(VALU_DEP_3) | instskip(NEXT) | instid1(VALU_DEP_3)
	v_and_b32_e32 v42, 0x8000, v42
	v_and_b32_e32 v41, 0xfc00, v41
	s_delay_alu instid0(VALU_DEP_1)
	v_or3_b32 v40, v42, v41, v40
.LBB247_152:                            ;   in Loop: Header=BB247_13 Depth=1
	s_or_b32 exec_lo, exec_lo, s44
.LBB247_153:                            ;   in Loop: Header=BB247_13 Depth=1
	s_wait_alu 0xfffe
	s_or_b32 exec_lo, exec_lo, s43
.LBB247_154:                            ;   in Loop: Header=BB247_13 Depth=1
	s_wait_alu 0xfffe
	s_or_b32 exec_lo, exec_lo, s42
	v_lshrrev_b16 v1, 8, v1
	s_mov_b32 s42, exec_lo
	s_delay_alu instid0(VALU_DEP_1)
	v_cmpx_ne_u16_e32 0, v1
	s_cbranch_execz .LBB247_162
; %bb.155:                              ;   in Loop: Header=BB247_13 Depth=1
	v_bfrev_b32_e32 v39, 1
	s_mov_b32 s43, exec_lo
	v_cmpx_ne_u16_e32 0x80, v1
	s_cbranch_execz .LBB247_161
; %bb.156:                              ;   in Loop: Header=BB247_13 Depth=1
	v_and_b32_e32 v41, 0xffff, v1
	v_mov_b32_e32 v39, 0x7c010000
	s_mov_b32 s44, exec_lo
	s_delay_alu instid0(VALU_DEP_2) | instskip(NEXT) | instid1(VALU_DEP_1)
	v_and_b32_e32 v43, 0x7f, v41
	v_cmpx_ne_u32_e32 0x7f, v43
	s_cbranch_execz .LBB247_160
; %bb.157:                              ;   in Loop: Header=BB247_13 Depth=1
	v_and_b32_e32 v39, 7, v41
	v_lshrrev_b32_e32 v42, 3, v43
	s_mov_b32 s45, exec_lo
	v_cmpx_gt_u32_e32 8, v43
; %bb.158:                              ;   in Loop: Header=BB247_13 Depth=1
	s_delay_alu instid0(VALU_DEP_3) | instskip(NEXT) | instid1(VALU_DEP_1)
	v_clz_i32_u32_e32 v39, v39
	v_min_u32_e32 v39, 32, v39
	s_delay_alu instid0(VALU_DEP_1) | instskip(NEXT) | instid1(VALU_DEP_1)
	v_subrev_nc_u32_e32 v42, 28, v39
	v_lshlrev_b64_e32 v[43:44], v42, v[1:2]
	v_sub_nc_u32_e32 v42, 29, v39
	s_delay_alu instid0(VALU_DEP_2)
	v_and_b32_e32 v39, 7, v43
; %bb.159:                              ;   in Loop: Header=BB247_13 Depth=1
	s_or_b32 exec_lo, exec_lo, s45
	v_lshlrev_b32_e32 v1, 8, v41
	s_delay_alu instid0(VALU_DEP_3) | instskip(NEXT) | instid1(VALU_DEP_3)
	v_lshl_add_u32 v41, v42, 10, 0x2000
	v_lshlrev_b32_e32 v39, 23, v39
	s_delay_alu instid0(VALU_DEP_2) | instskip(NEXT) | instid1(VALU_DEP_1)
	v_and_or_b32 v1, 0x8000, v1, v41
	v_lshl_or_b32 v39, v1, 16, v39
.LBB247_160:                            ;   in Loop: Header=BB247_13 Depth=1
	s_or_b32 exec_lo, exec_lo, s44
.LBB247_161:                            ;   in Loop: Header=BB247_13 Depth=1
	s_wait_alu 0xfffe
	s_or_b32 exec_lo, exec_lo, s43
.LBB247_162:                            ;   in Loop: Header=BB247_13 Depth=1
	s_wait_alu 0xfffe
	s_or_b32 exec_lo, exec_lo, s42
	global_load_u16 v1, v[7:8], off offset:520
	s_wait_loadcnt 0x0
	v_dual_mov_b32 v41, 0 :: v_dual_and_b32 v42, 0xff, v1
	v_and_b32_e32 v1, 0xffff, v1
	s_delay_alu instid0(VALU_DEP_2)
	v_cmp_ne_u16_e64 s4, 0, v42
	v_mov_b32_e32 v42, 0
	s_and_saveexec_b32 s42, s4
	s_cbranch_execz .LBB247_170
; %bb.163:                              ;   in Loop: Header=BB247_13 Depth=1
	v_and_b32_e32 v42, 0xff, v1
	s_delay_alu instid0(VALU_DEP_1)
	v_cmp_ne_u16_e64 s4, 0x80, v42
	v_mov_b32_e32 v42, 0x8000
	s_and_saveexec_b32 s43, s4
	s_cbranch_execz .LBB247_169
; %bb.164:                              ;   in Loop: Header=BB247_13 Depth=1
	v_and_b32_e32 v44, 0x7f, v1
	v_mov_b32_e32 v42, 0x7c01
	s_mov_b32 s44, exec_lo
	s_delay_alu instid0(VALU_DEP_2)
	v_cmpx_ne_u32_e32 0x7f, v44
	s_cbranch_execz .LBB247_168
; %bb.165:                              ;   in Loop: Header=BB247_13 Depth=1
	v_and_b32_e32 v42, 7, v1
	v_lshrrev_b32_e32 v43, 3, v44
	s_mov_b32 s45, exec_lo
	v_cmpx_gt_u32_e32 8, v44
; %bb.166:                              ;   in Loop: Header=BB247_13 Depth=1
	s_delay_alu instid0(VALU_DEP_3) | instskip(NEXT) | instid1(VALU_DEP_1)
	v_clz_i32_u32_e32 v42, v42
	v_min_u32_e32 v44, 32, v42
	s_delay_alu instid0(VALU_DEP_1) | instskip(NEXT) | instid1(VALU_DEP_1)
	v_subrev_nc_u32_e32 v42, 28, v44
	v_lshlrev_b64_e32 v[42:43], v42, v[1:2]
	v_sub_nc_u32_e32 v43, 29, v44
	s_delay_alu instid0(VALU_DEP_2)
	v_and_b32_e32 v42, 7, v42
; %bb.167:                              ;   in Loop: Header=BB247_13 Depth=1
	s_or_b32 exec_lo, exec_lo, s45
	v_lshlrev_b32_e32 v44, 8, v1
	s_delay_alu instid0(VALU_DEP_3) | instskip(NEXT) | instid1(VALU_DEP_3)
	v_lshl_add_u32 v43, v43, 10, 0x2000
	v_lshlrev_b32_e32 v42, 7, v42
	s_delay_alu instid0(VALU_DEP_3) | instskip(NEXT) | instid1(VALU_DEP_3)
	v_and_b32_e32 v44, 0x8000, v44
	v_and_b32_e32 v43, 0xfc00, v43
	s_delay_alu instid0(VALU_DEP_1)
	v_or3_b32 v42, v44, v43, v42
.LBB247_168:                            ;   in Loop: Header=BB247_13 Depth=1
	s_or_b32 exec_lo, exec_lo, s44
.LBB247_169:                            ;   in Loop: Header=BB247_13 Depth=1
	s_wait_alu 0xfffe
	s_or_b32 exec_lo, exec_lo, s43
.LBB247_170:                            ;   in Loop: Header=BB247_13 Depth=1
	s_wait_alu 0xfffe
	s_or_b32 exec_lo, exec_lo, s42
	v_lshrrev_b16 v1, 8, v1
	s_mov_b32 s42, exec_lo
	s_delay_alu instid0(VALU_DEP_1)
	v_cmpx_ne_u16_e32 0, v1
	s_cbranch_execz .LBB247_178
; %bb.171:                              ;   in Loop: Header=BB247_13 Depth=1
	v_bfrev_b32_e32 v41, 1
	s_mov_b32 s43, exec_lo
	v_cmpx_ne_u16_e32 0x80, v1
	s_cbranch_execz .LBB247_177
; %bb.172:                              ;   in Loop: Header=BB247_13 Depth=1
	v_and_b32_e32 v43, 0xffff, v1
	v_mov_b32_e32 v41, 0x7c010000
	s_mov_b32 s44, exec_lo
	s_delay_alu instid0(VALU_DEP_2) | instskip(NEXT) | instid1(VALU_DEP_1)
	v_and_b32_e32 v45, 0x7f, v43
	v_cmpx_ne_u32_e32 0x7f, v45
	s_cbranch_execz .LBB247_176
; %bb.173:                              ;   in Loop: Header=BB247_13 Depth=1
	v_and_b32_e32 v41, 7, v43
	v_lshrrev_b32_e32 v44, 3, v45
	s_mov_b32 s45, exec_lo
	v_cmpx_gt_u32_e32 8, v45
; %bb.174:                              ;   in Loop: Header=BB247_13 Depth=1
	s_delay_alu instid0(VALU_DEP_3) | instskip(NEXT) | instid1(VALU_DEP_1)
	v_clz_i32_u32_e32 v41, v41
	v_min_u32_e32 v41, 32, v41
	s_delay_alu instid0(VALU_DEP_1) | instskip(NEXT) | instid1(VALU_DEP_1)
	v_subrev_nc_u32_e32 v44, 28, v41
	v_lshlrev_b64_e32 v[45:46], v44, v[1:2]
	v_sub_nc_u32_e32 v44, 29, v41
	s_delay_alu instid0(VALU_DEP_2)
	v_and_b32_e32 v41, 7, v45
; %bb.175:                              ;   in Loop: Header=BB247_13 Depth=1
	s_or_b32 exec_lo, exec_lo, s45
	v_lshlrev_b32_e32 v1, 8, v43
	s_delay_alu instid0(VALU_DEP_3) | instskip(NEXT) | instid1(VALU_DEP_3)
	v_lshl_add_u32 v43, v44, 10, 0x2000
	v_lshlrev_b32_e32 v41, 23, v41
	s_delay_alu instid0(VALU_DEP_2) | instskip(NEXT) | instid1(VALU_DEP_1)
	v_and_or_b32 v1, 0x8000, v1, v43
	v_lshl_or_b32 v41, v1, 16, v41
.LBB247_176:                            ;   in Loop: Header=BB247_13 Depth=1
	s_or_b32 exec_lo, exec_lo, s44
.LBB247_177:                            ;   in Loop: Header=BB247_13 Depth=1
	s_wait_alu 0xfffe
	s_or_b32 exec_lo, exec_lo, s43
.LBB247_178:                            ;   in Loop: Header=BB247_13 Depth=1
	s_wait_alu 0xfffe
	s_or_b32 exec_lo, exec_lo, s42
	global_load_u16 v1, v[7:8], off offset:640
	s_wait_loadcnt 0x0
	v_dual_mov_b32 v43, 0 :: v_dual_and_b32 v44, 0xff, v1
	v_and_b32_e32 v1, 0xffff, v1
	s_delay_alu instid0(VALU_DEP_2)
	v_cmp_ne_u16_e64 s4, 0, v44
	v_mov_b32_e32 v44, 0
	s_and_saveexec_b32 s42, s4
	s_cbranch_execz .LBB247_186
; %bb.179:                              ;   in Loop: Header=BB247_13 Depth=1
	v_and_b32_e32 v44, 0xff, v1
	s_delay_alu instid0(VALU_DEP_1)
	v_cmp_ne_u16_e64 s4, 0x80, v44
	v_mov_b32_e32 v44, 0x8000
	s_and_saveexec_b32 s43, s4
	s_cbranch_execz .LBB247_185
; %bb.180:                              ;   in Loop: Header=BB247_13 Depth=1
	v_and_b32_e32 v46, 0x7f, v1
	v_mov_b32_e32 v44, 0x7c01
	s_mov_b32 s44, exec_lo
	s_delay_alu instid0(VALU_DEP_2)
	v_cmpx_ne_u32_e32 0x7f, v46
	s_cbranch_execz .LBB247_184
; %bb.181:                              ;   in Loop: Header=BB247_13 Depth=1
	v_and_b32_e32 v44, 7, v1
	v_lshrrev_b32_e32 v45, 3, v46
	s_mov_b32 s45, exec_lo
	v_cmpx_gt_u32_e32 8, v46
; %bb.182:                              ;   in Loop: Header=BB247_13 Depth=1
	s_delay_alu instid0(VALU_DEP_3) | instskip(NEXT) | instid1(VALU_DEP_1)
	v_clz_i32_u32_e32 v44, v44
	v_min_u32_e32 v46, 32, v44
	s_delay_alu instid0(VALU_DEP_1) | instskip(NEXT) | instid1(VALU_DEP_1)
	v_subrev_nc_u32_e32 v44, 28, v46
	v_lshlrev_b64_e32 v[44:45], v44, v[1:2]
	v_sub_nc_u32_e32 v45, 29, v46
	s_delay_alu instid0(VALU_DEP_2)
	v_and_b32_e32 v44, 7, v44
; %bb.183:                              ;   in Loop: Header=BB247_13 Depth=1
	s_or_b32 exec_lo, exec_lo, s45
	v_lshlrev_b32_e32 v46, 8, v1
	s_delay_alu instid0(VALU_DEP_3) | instskip(NEXT) | instid1(VALU_DEP_3)
	v_lshl_add_u32 v45, v45, 10, 0x2000
	v_lshlrev_b32_e32 v44, 7, v44
	s_delay_alu instid0(VALU_DEP_3) | instskip(NEXT) | instid1(VALU_DEP_3)
	v_and_b32_e32 v46, 0x8000, v46
	v_and_b32_e32 v45, 0xfc00, v45
	s_delay_alu instid0(VALU_DEP_1)
	v_or3_b32 v44, v46, v45, v44
.LBB247_184:                            ;   in Loop: Header=BB247_13 Depth=1
	s_or_b32 exec_lo, exec_lo, s44
.LBB247_185:                            ;   in Loop: Header=BB247_13 Depth=1
	s_wait_alu 0xfffe
	s_or_b32 exec_lo, exec_lo, s43
.LBB247_186:                            ;   in Loop: Header=BB247_13 Depth=1
	s_wait_alu 0xfffe
	s_or_b32 exec_lo, exec_lo, s42
	v_lshrrev_b16 v1, 8, v1
	s_mov_b32 s42, exec_lo
	s_delay_alu instid0(VALU_DEP_1)
	v_cmpx_ne_u16_e32 0, v1
	s_cbranch_execz .LBB247_194
; %bb.187:                              ;   in Loop: Header=BB247_13 Depth=1
	v_bfrev_b32_e32 v43, 1
	s_mov_b32 s43, exec_lo
	v_cmpx_ne_u16_e32 0x80, v1
	s_cbranch_execz .LBB247_193
; %bb.188:                              ;   in Loop: Header=BB247_13 Depth=1
	v_and_b32_e32 v45, 0xffff, v1
	v_mov_b32_e32 v43, 0x7c010000
	s_mov_b32 s44, exec_lo
	s_delay_alu instid0(VALU_DEP_2) | instskip(NEXT) | instid1(VALU_DEP_1)
	v_and_b32_e32 v47, 0x7f, v45
	v_cmpx_ne_u32_e32 0x7f, v47
	s_cbranch_execz .LBB247_192
; %bb.189:                              ;   in Loop: Header=BB247_13 Depth=1
	v_and_b32_e32 v43, 7, v45
	v_lshrrev_b32_e32 v46, 3, v47
	s_mov_b32 s45, exec_lo
	v_cmpx_gt_u32_e32 8, v47
; %bb.190:                              ;   in Loop: Header=BB247_13 Depth=1
	s_delay_alu instid0(VALU_DEP_3) | instskip(NEXT) | instid1(VALU_DEP_1)
	v_clz_i32_u32_e32 v43, v43
	v_min_u32_e32 v43, 32, v43
	s_delay_alu instid0(VALU_DEP_1) | instskip(NEXT) | instid1(VALU_DEP_1)
	v_subrev_nc_u32_e32 v46, 28, v43
	v_lshlrev_b64_e32 v[47:48], v46, v[1:2]
	v_sub_nc_u32_e32 v46, 29, v43
	s_delay_alu instid0(VALU_DEP_2)
	v_and_b32_e32 v43, 7, v47
; %bb.191:                              ;   in Loop: Header=BB247_13 Depth=1
	s_or_b32 exec_lo, exec_lo, s45
	v_lshlrev_b32_e32 v1, 8, v45
	s_delay_alu instid0(VALU_DEP_3) | instskip(NEXT) | instid1(VALU_DEP_3)
	v_lshl_add_u32 v45, v46, 10, 0x2000
	v_lshlrev_b32_e32 v43, 23, v43
	s_delay_alu instid0(VALU_DEP_2) | instskip(NEXT) | instid1(VALU_DEP_1)
	v_and_or_b32 v1, 0x8000, v1, v45
	v_lshl_or_b32 v43, v1, 16, v43
.LBB247_192:                            ;   in Loop: Header=BB247_13 Depth=1
	s_or_b32 exec_lo, exec_lo, s44
.LBB247_193:                            ;   in Loop: Header=BB247_13 Depth=1
	s_wait_alu 0xfffe
	s_or_b32 exec_lo, exec_lo, s43
.LBB247_194:                            ;   in Loop: Header=BB247_13 Depth=1
	s_wait_alu 0xfffe
	s_or_b32 exec_lo, exec_lo, s42
	global_load_u16 v1, v[7:8], off offset:648
	s_wait_loadcnt 0x0
	v_dual_mov_b32 v45, 0 :: v_dual_and_b32 v46, 0xff, v1
	v_and_b32_e32 v1, 0xffff, v1
	s_delay_alu instid0(VALU_DEP_2)
	v_cmp_ne_u16_e64 s4, 0, v46
	v_mov_b32_e32 v46, 0
	s_and_saveexec_b32 s42, s4
	s_cbranch_execz .LBB247_202
; %bb.195:                              ;   in Loop: Header=BB247_13 Depth=1
	v_and_b32_e32 v46, 0xff, v1
	s_delay_alu instid0(VALU_DEP_1)
	v_cmp_ne_u16_e64 s4, 0x80, v46
	v_mov_b32_e32 v46, 0x8000
	s_and_saveexec_b32 s43, s4
	s_cbranch_execz .LBB247_201
; %bb.196:                              ;   in Loop: Header=BB247_13 Depth=1
	v_and_b32_e32 v48, 0x7f, v1
	v_mov_b32_e32 v46, 0x7c01
	s_mov_b32 s44, exec_lo
	s_delay_alu instid0(VALU_DEP_2)
	v_cmpx_ne_u32_e32 0x7f, v48
	s_cbranch_execz .LBB247_200
; %bb.197:                              ;   in Loop: Header=BB247_13 Depth=1
	v_and_b32_e32 v46, 7, v1
	v_lshrrev_b32_e32 v47, 3, v48
	s_mov_b32 s45, exec_lo
	v_cmpx_gt_u32_e32 8, v48
; %bb.198:                              ;   in Loop: Header=BB247_13 Depth=1
	s_delay_alu instid0(VALU_DEP_3) | instskip(NEXT) | instid1(VALU_DEP_1)
	v_clz_i32_u32_e32 v46, v46
	v_min_u32_e32 v48, 32, v46
	s_delay_alu instid0(VALU_DEP_1) | instskip(NEXT) | instid1(VALU_DEP_1)
	v_subrev_nc_u32_e32 v46, 28, v48
	v_lshlrev_b64_e32 v[46:47], v46, v[1:2]
	v_sub_nc_u32_e32 v47, 29, v48
	s_delay_alu instid0(VALU_DEP_2)
	v_and_b32_e32 v46, 7, v46
; %bb.199:                              ;   in Loop: Header=BB247_13 Depth=1
	s_or_b32 exec_lo, exec_lo, s45
	v_lshlrev_b32_e32 v48, 8, v1
	s_delay_alu instid0(VALU_DEP_3) | instskip(NEXT) | instid1(VALU_DEP_3)
	v_lshl_add_u32 v47, v47, 10, 0x2000
	v_lshlrev_b32_e32 v46, 7, v46
	s_delay_alu instid0(VALU_DEP_3) | instskip(NEXT) | instid1(VALU_DEP_3)
	v_and_b32_e32 v48, 0x8000, v48
	v_and_b32_e32 v47, 0xfc00, v47
	s_delay_alu instid0(VALU_DEP_1)
	v_or3_b32 v46, v48, v47, v46
.LBB247_200:                            ;   in Loop: Header=BB247_13 Depth=1
	s_or_b32 exec_lo, exec_lo, s44
.LBB247_201:                            ;   in Loop: Header=BB247_13 Depth=1
	s_wait_alu 0xfffe
	s_or_b32 exec_lo, exec_lo, s43
.LBB247_202:                            ;   in Loop: Header=BB247_13 Depth=1
	s_wait_alu 0xfffe
	s_or_b32 exec_lo, exec_lo, s42
	v_lshrrev_b16 v1, 8, v1
	s_mov_b32 s42, exec_lo
	s_delay_alu instid0(VALU_DEP_1)
	v_cmpx_ne_u16_e32 0, v1
	s_cbranch_execz .LBB247_210
; %bb.203:                              ;   in Loop: Header=BB247_13 Depth=1
	v_bfrev_b32_e32 v45, 1
	s_mov_b32 s43, exec_lo
	v_cmpx_ne_u16_e32 0x80, v1
	s_cbranch_execz .LBB247_209
; %bb.204:                              ;   in Loop: Header=BB247_13 Depth=1
	v_and_b32_e32 v47, 0xffff, v1
	v_mov_b32_e32 v45, 0x7c010000
	s_mov_b32 s44, exec_lo
	s_delay_alu instid0(VALU_DEP_2) | instskip(NEXT) | instid1(VALU_DEP_1)
	v_and_b32_e32 v49, 0x7f, v47
	v_cmpx_ne_u32_e32 0x7f, v49
	s_cbranch_execz .LBB247_208
; %bb.205:                              ;   in Loop: Header=BB247_13 Depth=1
	v_and_b32_e32 v45, 7, v47
	v_lshrrev_b32_e32 v48, 3, v49
	s_mov_b32 s45, exec_lo
	v_cmpx_gt_u32_e32 8, v49
; %bb.206:                              ;   in Loop: Header=BB247_13 Depth=1
	s_delay_alu instid0(VALU_DEP_3) | instskip(NEXT) | instid1(VALU_DEP_1)
	v_clz_i32_u32_e32 v45, v45
	v_min_u32_e32 v45, 32, v45
	s_delay_alu instid0(VALU_DEP_1) | instskip(NEXT) | instid1(VALU_DEP_1)
	v_subrev_nc_u32_e32 v48, 28, v45
	v_lshlrev_b64_e32 v[49:50], v48, v[1:2]
	v_sub_nc_u32_e32 v48, 29, v45
	s_delay_alu instid0(VALU_DEP_2)
	v_and_b32_e32 v45, 7, v49
; %bb.207:                              ;   in Loop: Header=BB247_13 Depth=1
	s_or_b32 exec_lo, exec_lo, s45
	v_lshlrev_b32_e32 v1, 8, v47
	s_delay_alu instid0(VALU_DEP_3) | instskip(NEXT) | instid1(VALU_DEP_3)
	v_lshl_add_u32 v47, v48, 10, 0x2000
	v_lshlrev_b32_e32 v45, 23, v45
	s_delay_alu instid0(VALU_DEP_2) | instskip(NEXT) | instid1(VALU_DEP_1)
	v_and_or_b32 v1, 0x8000, v1, v47
	v_lshl_or_b32 v45, v1, 16, v45
.LBB247_208:                            ;   in Loop: Header=BB247_13 Depth=1
	s_or_b32 exec_lo, exec_lo, s44
.LBB247_209:                            ;   in Loop: Header=BB247_13 Depth=1
	s_wait_alu 0xfffe
	s_or_b32 exec_lo, exec_lo, s43
.LBB247_210:                            ;   in Loop: Header=BB247_13 Depth=1
	s_wait_alu 0xfffe
	s_or_b32 exec_lo, exec_lo, s42
	global_load_u16 v1, v[7:8], off offset:768
	s_wait_loadcnt 0x0
	v_dual_mov_b32 v47, 0 :: v_dual_and_b32 v48, 0xff, v1
	v_and_b32_e32 v1, 0xffff, v1
	s_delay_alu instid0(VALU_DEP_2)
	v_cmp_ne_u16_e64 s4, 0, v48
	v_mov_b32_e32 v48, 0
	s_and_saveexec_b32 s42, s4
	s_cbranch_execz .LBB247_218
; %bb.211:                              ;   in Loop: Header=BB247_13 Depth=1
	v_and_b32_e32 v48, 0xff, v1
	s_delay_alu instid0(VALU_DEP_1)
	v_cmp_ne_u16_e64 s4, 0x80, v48
	v_mov_b32_e32 v48, 0x8000
	s_and_saveexec_b32 s43, s4
	s_cbranch_execz .LBB247_217
; %bb.212:                              ;   in Loop: Header=BB247_13 Depth=1
	v_and_b32_e32 v50, 0x7f, v1
	v_mov_b32_e32 v48, 0x7c01
	s_mov_b32 s44, exec_lo
	s_delay_alu instid0(VALU_DEP_2)
	v_cmpx_ne_u32_e32 0x7f, v50
	s_cbranch_execz .LBB247_216
; %bb.213:                              ;   in Loop: Header=BB247_13 Depth=1
	v_and_b32_e32 v48, 7, v1
	v_lshrrev_b32_e32 v49, 3, v50
	s_mov_b32 s45, exec_lo
	v_cmpx_gt_u32_e32 8, v50
; %bb.214:                              ;   in Loop: Header=BB247_13 Depth=1
	s_delay_alu instid0(VALU_DEP_3) | instskip(NEXT) | instid1(VALU_DEP_1)
	v_clz_i32_u32_e32 v48, v48
	v_min_u32_e32 v50, 32, v48
	s_delay_alu instid0(VALU_DEP_1) | instskip(NEXT) | instid1(VALU_DEP_1)
	v_subrev_nc_u32_e32 v48, 28, v50
	v_lshlrev_b64_e32 v[48:49], v48, v[1:2]
	v_sub_nc_u32_e32 v49, 29, v50
	s_delay_alu instid0(VALU_DEP_2)
	v_and_b32_e32 v48, 7, v48
; %bb.215:                              ;   in Loop: Header=BB247_13 Depth=1
	s_or_b32 exec_lo, exec_lo, s45
	v_lshlrev_b32_e32 v50, 8, v1
	s_delay_alu instid0(VALU_DEP_3) | instskip(NEXT) | instid1(VALU_DEP_3)
	v_lshl_add_u32 v49, v49, 10, 0x2000
	v_lshlrev_b32_e32 v48, 7, v48
	s_delay_alu instid0(VALU_DEP_3) | instskip(NEXT) | instid1(VALU_DEP_3)
	v_and_b32_e32 v50, 0x8000, v50
	v_and_b32_e32 v49, 0xfc00, v49
	s_delay_alu instid0(VALU_DEP_1)
	v_or3_b32 v48, v50, v49, v48
.LBB247_216:                            ;   in Loop: Header=BB247_13 Depth=1
	s_or_b32 exec_lo, exec_lo, s44
.LBB247_217:                            ;   in Loop: Header=BB247_13 Depth=1
	s_wait_alu 0xfffe
	s_or_b32 exec_lo, exec_lo, s43
.LBB247_218:                            ;   in Loop: Header=BB247_13 Depth=1
	s_wait_alu 0xfffe
	s_or_b32 exec_lo, exec_lo, s42
	v_lshrrev_b16 v1, 8, v1
	s_mov_b32 s42, exec_lo
	s_delay_alu instid0(VALU_DEP_1)
	v_cmpx_ne_u16_e32 0, v1
	s_cbranch_execz .LBB247_226
; %bb.219:                              ;   in Loop: Header=BB247_13 Depth=1
	v_bfrev_b32_e32 v47, 1
	s_mov_b32 s43, exec_lo
	v_cmpx_ne_u16_e32 0x80, v1
	s_cbranch_execz .LBB247_225
; %bb.220:                              ;   in Loop: Header=BB247_13 Depth=1
	v_and_b32_e32 v49, 0xffff, v1
	v_mov_b32_e32 v47, 0x7c010000
	s_mov_b32 s44, exec_lo
	s_delay_alu instid0(VALU_DEP_2) | instskip(NEXT) | instid1(VALU_DEP_1)
	v_and_b32_e32 v51, 0x7f, v49
	v_cmpx_ne_u32_e32 0x7f, v51
	s_cbranch_execz .LBB247_224
; %bb.221:                              ;   in Loop: Header=BB247_13 Depth=1
	v_and_b32_e32 v47, 7, v49
	v_lshrrev_b32_e32 v50, 3, v51
	s_mov_b32 s45, exec_lo
	v_cmpx_gt_u32_e32 8, v51
; %bb.222:                              ;   in Loop: Header=BB247_13 Depth=1
	s_delay_alu instid0(VALU_DEP_3) | instskip(NEXT) | instid1(VALU_DEP_1)
	v_clz_i32_u32_e32 v47, v47
	v_min_u32_e32 v47, 32, v47
	s_delay_alu instid0(VALU_DEP_1) | instskip(NEXT) | instid1(VALU_DEP_1)
	v_subrev_nc_u32_e32 v50, 28, v47
	v_lshlrev_b64_e32 v[51:52], v50, v[1:2]
	v_sub_nc_u32_e32 v50, 29, v47
	s_delay_alu instid0(VALU_DEP_2)
	v_and_b32_e32 v47, 7, v51
; %bb.223:                              ;   in Loop: Header=BB247_13 Depth=1
	s_or_b32 exec_lo, exec_lo, s45
	v_lshlrev_b32_e32 v1, 8, v49
	s_delay_alu instid0(VALU_DEP_3) | instskip(NEXT) | instid1(VALU_DEP_3)
	v_lshl_add_u32 v49, v50, 10, 0x2000
	v_lshlrev_b32_e32 v47, 23, v47
	s_delay_alu instid0(VALU_DEP_2) | instskip(NEXT) | instid1(VALU_DEP_1)
	v_and_or_b32 v1, 0x8000, v1, v49
	v_lshl_or_b32 v47, v1, 16, v47
.LBB247_224:                            ;   in Loop: Header=BB247_13 Depth=1
	s_or_b32 exec_lo, exec_lo, s44
.LBB247_225:                            ;   in Loop: Header=BB247_13 Depth=1
	s_wait_alu 0xfffe
	s_or_b32 exec_lo, exec_lo, s43
.LBB247_226:                            ;   in Loop: Header=BB247_13 Depth=1
	s_wait_alu 0xfffe
	s_or_b32 exec_lo, exec_lo, s42
	global_load_u16 v1, v[7:8], off offset:776
	s_wait_loadcnt 0x0
	v_dual_mov_b32 v7, 0 :: v_dual_and_b32 v8, 0xff, v1
	v_and_b32_e32 v1, 0xffff, v1
	s_delay_alu instid0(VALU_DEP_2)
	v_cmp_ne_u16_e64 s4, 0, v8
	v_mov_b32_e32 v8, 0
	s_and_saveexec_b32 s42, s4
	s_cbranch_execz .LBB247_234
; %bb.227:                              ;   in Loop: Header=BB247_13 Depth=1
	v_and_b32_e32 v8, 0xff, v1
	s_delay_alu instid0(VALU_DEP_1)
	v_cmp_ne_u16_e64 s4, 0x80, v8
	v_mov_b32_e32 v8, 0x8000
	s_and_saveexec_b32 s43, s4
	s_cbranch_execz .LBB247_233
; %bb.228:                              ;   in Loop: Header=BB247_13 Depth=1
	v_and_b32_e32 v50, 0x7f, v1
	v_mov_b32_e32 v8, 0x7c01
	s_mov_b32 s44, exec_lo
	s_delay_alu instid0(VALU_DEP_2)
	v_cmpx_ne_u32_e32 0x7f, v50
	s_cbranch_execz .LBB247_232
; %bb.229:                              ;   in Loop: Header=BB247_13 Depth=1
	v_and_b32_e32 v8, 7, v1
	v_lshrrev_b32_e32 v49, 3, v50
	s_mov_b32 s45, exec_lo
	v_cmpx_gt_u32_e32 8, v50
; %bb.230:                              ;   in Loop: Header=BB247_13 Depth=1
	s_delay_alu instid0(VALU_DEP_3) | instskip(NEXT) | instid1(VALU_DEP_1)
	v_clz_i32_u32_e32 v8, v8
	v_min_u32_e32 v8, 32, v8
	s_delay_alu instid0(VALU_DEP_1) | instskip(NEXT) | instid1(VALU_DEP_1)
	v_subrev_nc_u32_e32 v49, 28, v8
	v_lshlrev_b64_e32 v[50:51], v49, v[1:2]
	v_sub_nc_u32_e32 v49, 29, v8
	s_delay_alu instid0(VALU_DEP_2)
	v_and_b32_e32 v8, 7, v50
; %bb.231:                              ;   in Loop: Header=BB247_13 Depth=1
	s_or_b32 exec_lo, exec_lo, s45
	v_lshlrev_b32_e32 v50, 8, v1
	s_delay_alu instid0(VALU_DEP_3) | instskip(NEXT) | instid1(VALU_DEP_3)
	v_lshl_add_u32 v49, v49, 10, 0x2000
	v_lshlrev_b32_e32 v8, 7, v8
	s_delay_alu instid0(VALU_DEP_3) | instskip(NEXT) | instid1(VALU_DEP_3)
	v_and_b32_e32 v50, 0x8000, v50
	v_and_b32_e32 v49, 0xfc00, v49
	s_delay_alu instid0(VALU_DEP_1)
	v_or3_b32 v8, v50, v49, v8
.LBB247_232:                            ;   in Loop: Header=BB247_13 Depth=1
	s_or_b32 exec_lo, exec_lo, s44
.LBB247_233:                            ;   in Loop: Header=BB247_13 Depth=1
	s_wait_alu 0xfffe
	s_or_b32 exec_lo, exec_lo, s43
.LBB247_234:                            ;   in Loop: Header=BB247_13 Depth=1
	s_wait_alu 0xfffe
	s_or_b32 exec_lo, exec_lo, s42
	v_lshrrev_b16 v1, 8, v1
	s_mov_b32 s42, exec_lo
	s_delay_alu instid0(VALU_DEP_1)
	v_cmpx_ne_u16_e32 0, v1
	s_cbranch_execz .LBB247_242
; %bb.235:                              ;   in Loop: Header=BB247_13 Depth=1
	v_bfrev_b32_e32 v7, 1
	s_mov_b32 s43, exec_lo
	v_cmpx_ne_u16_e32 0x80, v1
	s_cbranch_execz .LBB247_241
; %bb.236:                              ;   in Loop: Header=BB247_13 Depth=1
	v_and_b32_e32 v49, 0xffff, v1
	v_mov_b32_e32 v7, 0x7c010000
	s_mov_b32 s44, exec_lo
	s_delay_alu instid0(VALU_DEP_2) | instskip(NEXT) | instid1(VALU_DEP_1)
	v_and_b32_e32 v51, 0x7f, v49
	v_cmpx_ne_u32_e32 0x7f, v51
	s_cbranch_execz .LBB247_240
; %bb.237:                              ;   in Loop: Header=BB247_13 Depth=1
	v_and_b32_e32 v7, 7, v49
	v_lshrrev_b32_e32 v50, 3, v51
	s_mov_b32 s45, exec_lo
	v_cmpx_gt_u32_e32 8, v51
; %bb.238:                              ;   in Loop: Header=BB247_13 Depth=1
	s_delay_alu instid0(VALU_DEP_3) | instskip(NEXT) | instid1(VALU_DEP_1)
	v_clz_i32_u32_e32 v7, v7
	v_min_u32_e32 v7, 32, v7
	s_delay_alu instid0(VALU_DEP_1) | instskip(NEXT) | instid1(VALU_DEP_1)
	v_subrev_nc_u32_e32 v50, 28, v7
	v_lshlrev_b64_e32 v[51:52], v50, v[1:2]
	v_sub_nc_u32_e32 v50, 29, v7
	s_delay_alu instid0(VALU_DEP_2)
	v_and_b32_e32 v7, 7, v51
; %bb.239:                              ;   in Loop: Header=BB247_13 Depth=1
	s_or_b32 exec_lo, exec_lo, s45
	v_lshlrev_b32_e32 v1, 8, v49
	s_delay_alu instid0(VALU_DEP_3) | instskip(NEXT) | instid1(VALU_DEP_3)
	v_lshl_add_u32 v49, v50, 10, 0x2000
	v_lshlrev_b32_e32 v7, 23, v7
	s_delay_alu instid0(VALU_DEP_2) | instskip(NEXT) | instid1(VALU_DEP_1)
	v_and_or_b32 v1, 0x8000, v1, v49
	v_lshl_or_b32 v7, v1, 16, v7
.LBB247_240:                            ;   in Loop: Header=BB247_13 Depth=1
	s_or_b32 exec_lo, exec_lo, s44
.LBB247_241:                            ;   in Loop: Header=BB247_13 Depth=1
	s_wait_alu 0xfffe
	s_or_b32 exec_lo, exec_lo, s43
.LBB247_242:                            ;   in Loop: Header=BB247_13 Depth=1
	s_wait_alu 0xfffe
	s_or_b32 exec_lo, exec_lo, s42
	ds_load_b32 v1, v16
	v_or_b32_e32 v24, v23, v24
	v_fma_mixlo_f16 v23, v22, v23, 0 op_sel:[0,1,0] op_sel_hi:[0,1,0]
	v_or_b32_e32 v26, v25, v26
	v_fma_mixlo_f16 v25, v22, v25, 0 op_sel:[0,1,0] op_sel_hi:[0,1,0]
	v_or_b32_e32 v28, v27, v28
	v_fma_mixlo_f16 v24, v22, v24, 0 op_sel_hi:[0,1,0]
	v_and_b32_e32 v51, 0xffff, v23
	v_fma_mixlo_f16 v26, v22, v26, 0 op_sel_hi:[0,1,0]
	v_and_b32_e32 v53, 0xffff, v25
	;; [unrolled: 2-line block ×3, first 2 shown]
	v_fma_mixlo_f16 v27, v22, v27, 0 op_sel:[0,1,0] op_sel_hi:[0,1,0]
	v_or_b32_e32 v30, v29, v30
	v_fma_mixlo_f16 v29, v22, v29, 0 op_sel:[0,1,0] op_sel_hi:[0,1,0]
	v_and_b32_e32 v54, 0xffff, v28
	v_or_b32_e32 v32, v31, v32
	v_and_b32_e32 v55, 0xffff, v27
	v_fma_mixlo_f16 v30, v22, v30, 0 op_sel_hi:[0,1,0]
	v_and_b32_e32 v57, 0xffff, v29
	s_wait_dscnt 0x0
	v_and_b32_e32 v49, 0xffff, v1
	v_lshrrev_b32_e32 v50, 16, v1
	;;#ASMSTART
	v_cvt_f32_f16 v1, v49;
	;;#ASMEND
	;;#ASMSTART
	v_cvt_f32_f16 v23, v50;
	;;#ASMEND
	;; [unrolled: 3-line block ×4, first 2 shown]
	ds_load_b32 v50, v16 offset:4
	v_and_b32_e32 v52, 0xffff, v26
	v_fma_mixlo_f16 v32, v22, v32, 0 op_sel_hi:[0,1,0]
	v_fma_mixlo_f16 v31, v22, v31, 0 op_sel:[0,1,0] op_sel_hi:[0,1,0]
	v_or_b32_e32 v34, v33, v34
	v_fma_mixlo_f16 v33, v22, v33, 0 op_sel:[0,1,0] op_sel_hi:[0,1,0]
	v_or_b32_e32 v36, v35, v36
	v_fma_mixlo_f16 v35, v22, v35, 0 op_sel:[0,1,0] op_sel_hi:[0,1,0]
	v_and_b32_e32 v59, 0xffff, v31
	v_fma_mixlo_f16 v34, v22, v34, 0 op_sel_hi:[0,1,0]
	v_and_b32_e32 v61, 0xffff, v33
	v_fma_mixlo_f16 v36, v22, v36, 0 op_sel_hi:[0,1,0]
	v_and_b32_e32 v63, 0xffff, v35
	v_or_b32_e32 v38, v37, v38
	v_fma_mixlo_f16 v37, v22, v37, 0 op_sel:[0,1,0] op_sel_hi:[0,1,0]
	v_or_b32_e32 v40, v39, v40
	v_and_b32_e32 v62, 0xffff, v36
	v_fma_mixlo_f16 v39, v22, v39, 0 op_sel:[0,1,0] op_sel_hi:[0,1,0]
	v_fma_mixlo_f16 v38, v22, v38, 0 op_sel_hi:[0,1,0]
	v_and_b32_e32 v65, 0xffff, v37
	s_wait_dscnt 0x0
	v_and_b32_e32 v51, 0xffff, v50
	v_lshrrev_b32_e32 v50, 16, v50
	;;#ASMSTART
	v_cvt_f32_f16 v25, v51;
	;;#ASMEND
	;;#ASMSTART
	v_cvt_f32_f16 v26, v50;
	;;#ASMEND
	;; [unrolled: 3-line block ×4, first 2 shown]
	ds_load_b32 v52, v16 offset:8
	v_mul_f32_e32 v25, v25, v50
	v_fma_mixlo_f16 v40, v22, v40, 0 op_sel_hi:[0,1,0]
	v_and_b32_e32 v67, 0xffff, v39
	v_or_b32_e32 v42, v41, v42
	v_fma_mixlo_f16 v41, v22, v41, 0 op_sel:[0,1,0] op_sel_hi:[0,1,0]
	v_fmac_f32_e32 v25, v1, v24
	v_or_b32_e32 v44, v43, v44
	v_fma_mixlo_f16 v43, v22, v43, 0 op_sel:[0,1,0] op_sel_hi:[0,1,0]
	v_fma_mixlo_f16 v42, v22, v42, 0 op_sel_hi:[0,1,0]
	v_dual_mul_f32 v26, v26, v51 :: v_dual_and_b32 v69, 0xffff, v41
	s_delay_alu instid0(VALU_DEP_4) | instskip(NEXT) | instid1(VALU_DEP_4)
	v_fma_mixlo_f16 v44, v22, v44, 0 op_sel_hi:[0,1,0]
	v_and_b32_e32 v71, 0xffff, v43
	v_or_b32_e32 v46, v45, v46
	v_fma_mixlo_f16 v45, v22, v45, 0 op_sel:[0,1,0] op_sel_hi:[0,1,0]
	v_fmac_f32_e32 v26, v23, v49
	v_and_b32_e32 v70, 0xffff, v44
	v_or_b32_e32 v8, v7, v8
	v_fma_mixlo_f16 v46, v22, v46, 0 op_sel_hi:[0,1,0]
	s_wait_dscnt 0x0
	v_and_b32_e32 v53, 0xffff, v52
	v_lshrrev_b32_e32 v52, 16, v52
	;;#ASMSTART
	v_cvt_f32_f16 v27, v53;
	;;#ASMEND
	;;#ASMSTART
	v_cvt_f32_f16 v28, v52;
	;;#ASMEND
	;; [unrolled: 3-line block ×4, first 2 shown]
	ds_load_b32 v54, v16 offset:12
	v_dual_fmac_f32 v25, v27, v52 :: v_dual_and_b32 v56, 0xffff, v30
	v_fmac_f32_e32 v26, v28, v53
	v_and_b32_e32 v45, 0xffff, v45
	v_fma_mixlo_f16 v7, v22, v7, 0 op_sel:[0,1,0] op_sel_hi:[0,1,0]
	v_fma_mixlo_f16 v8, v22, v8, 0 op_sel_hi:[0,1,0]
	s_wait_dscnt 0x0
	v_and_b32_e32 v55, 0xffff, v54
	v_lshrrev_b32_e32 v54, 16, v54
	;;#ASMSTART
	v_cvt_f32_f16 v29, v55;
	;;#ASMEND
	;;#ASMSTART
	v_cvt_f32_f16 v30, v54;
	;;#ASMEND
	;; [unrolled: 3-line block ×4, first 2 shown]
	ds_load_b32 v56, v16 offset:16
	v_dual_fmac_f32 v25, v29, v54 :: v_dual_and_b32 v58, 0xffff, v32
	v_fmac_f32_e32 v26, v30, v55
	v_or_b32_e32 v29, v47, v48
	v_fma_mixlo_f16 v30, v22, v47, 0 op_sel:[0,1,0] op_sel_hi:[0,1,0]
	s_delay_alu instid0(VALU_DEP_2)
	v_fma_mixlo_f16 v29, v22, v29, 0 op_sel_hi:[0,1,0]
	s_wait_dscnt 0x0
	v_and_b32_e32 v57, 0xffff, v56
	v_lshrrev_b32_e32 v56, 16, v56
	;;#ASMSTART
	v_cvt_f32_f16 v31, v57;
	;;#ASMEND
	;;#ASMSTART
	v_cvt_f32_f16 v32, v56;
	;;#ASMEND
	;; [unrolled: 3-line block ×4, first 2 shown]
	ds_load_b32 v58, v16 offset:20
	v_dual_fmac_f32 v25, v31, v56 :: v_dual_and_b32 v60, 0xffff, v34
	v_dual_fmac_f32 v26, v32, v57 :: v_dual_and_b32 v31, 0xffff, v30
	s_wait_dscnt 0x0
	v_and_b32_e32 v59, 0xffff, v58
	v_lshrrev_b32_e32 v58, 16, v58
	;;#ASMSTART
	v_cvt_f32_f16 v33, v59;
	;;#ASMEND
	;;#ASMSTART
	v_cvt_f32_f16 v34, v58;
	;;#ASMEND
	;; [unrolled: 3-line block ×4, first 2 shown]
	ds_load_b32 v60, v16 offset:24
	v_dual_fmac_f32 v25, v33, v58 :: v_dual_fmac_f32 v26, v34, v59
	v_and_b32_e32 v33, 0xffff, v29
	s_wait_dscnt 0x0
	v_and_b32_e32 v61, 0xffff, v60
	v_lshrrev_b32_e32 v60, 16, v60
	;;#ASMSTART
	v_cvt_f32_f16 v35, v61;
	;;#ASMEND
	;;#ASMSTART
	v_cvt_f32_f16 v36, v60;
	;;#ASMEND
	;;#ASMSTART
	v_cvt_f32_f16 v60, v62;
	;;#ASMEND
	;;#ASMSTART
	v_cvt_f32_f16 v61, v63;
	;;#ASMEND
	ds_load_b32 v62, v16 offset:28
	v_dual_fmac_f32 v25, v35, v60 :: v_dual_and_b32 v64, 0xffff, v38
	s_wait_dscnt 0x0
	v_dual_fmac_f32 v26, v36, v61 :: v_dual_and_b32 v63, 0xffff, v62
	v_lshrrev_b32_e32 v62, 16, v62
	;;#ASMSTART
	v_cvt_f32_f16 v37, v63;
	;;#ASMEND
	;;#ASMSTART
	v_cvt_f32_f16 v38, v62;
	;;#ASMEND
	;;#ASMSTART
	v_cvt_f32_f16 v62, v64;
	;;#ASMEND
	;;#ASMSTART
	v_cvt_f32_f16 v63, v65;
	;;#ASMEND
	ds_load_b32 v64, v16 offset:32
	v_dual_fmac_f32 v25, v37, v62 :: v_dual_and_b32 v66, 0xffff, v40
	s_wait_dscnt 0x0
	v_dual_fmac_f32 v26, v38, v63 :: v_dual_and_b32 v65, 0xffff, v64
	;; [unrolled: 17-line block ×3, first 2 shown]
	v_lshrrev_b32_e32 v66, 16, v66
	;;#ASMSTART
	v_cvt_f32_f16 v41, v67;
	;;#ASMEND
	;;#ASMSTART
	v_cvt_f32_f16 v42, v66;
	;;#ASMEND
	;; [unrolled: 3-line block ×4, first 2 shown]
	ds_load_b32 v68, v16 offset:40
	v_dual_fmac_f32 v25, v41, v66 :: v_dual_fmac_f32 v26, v42, v67
	s_wait_dscnt 0x0
	v_and_b32_e32 v69, 0xffff, v68
	v_lshrrev_b32_e32 v68, 16, v68
	;;#ASMSTART
	v_cvt_f32_f16 v43, v69;
	;;#ASMEND
	;;#ASMSTART
	v_cvt_f32_f16 v44, v68;
	;;#ASMEND
	;; [unrolled: 3-line block ×4, first 2 shown]
	ds_load_b32 v70, v16 offset:44
	v_dual_fmac_f32 v25, v43, v68 :: v_dual_and_b32 v24, 0xffff, v46
	s_wait_dscnt 0x0
	v_dual_fmac_f32 v26, v44, v69 :: v_dual_and_b32 v1, 0xffff, v70
	v_lshrrev_b32_e32 v23, 16, v70
	;;#ASMSTART
	v_cvt_f32_f16 v1, v1;
	;;#ASMEND
	;;#ASMSTART
	v_cvt_f32_f16 v23, v23;
	;;#ASMEND
	;; [unrolled: 3-line block ×4, first 2 shown]
	ds_load_b32 v28, v16 offset:48
	v_dual_fmac_f32 v25, v1, v24 :: v_dual_and_b32 v34, 0xffff, v7
	v_dual_fmac_f32 v26, v23, v27 :: v_dual_and_b32 v23, 0xffff, v8
	s_wait_dscnt 0x0
	v_and_b32_e32 v30, 0xffff, v28
	v_lshrrev_b32_e32 v32, 16, v28
	;;#ASMSTART
	v_cvt_f32_f16 v28, v30;
	;;#ASMEND
	;;#ASMSTART
	v_cvt_f32_f16 v29, v32;
	;;#ASMEND
	;; [unrolled: 3-line block ×4, first 2 shown]
	ds_load_b32 v32, v16 offset:52
	v_xor_b32_e32 v33, 2, v10
	v_dual_fmac_f32 v25, v28, v30 :: v_dual_fmac_f32 v26, v29, v31
	s_delay_alu instid0(VALU_DEP_2) | instskip(SKIP_1) | instid1(VALU_DEP_1)
	v_cmp_gt_i32_e64 s4, 32, v33
	s_wait_alu 0xf1ff
	v_cndmask_b32_e64 v7, v10, v33, s4
	s_wait_dscnt 0x0
	v_and_b32_e32 v1, 0xffff, v32
	v_lshrrev_b32_e32 v22, 16, v32
	;;#ASMSTART
	v_cvt_f32_f16 v1, v1;
	;;#ASMEND
	;;#ASMSTART
	v_cvt_f32_f16 v8, v22;
	;;#ASMEND
	;; [unrolled: 3-line block ×4, first 2 shown]
	v_dual_fmac_f32 v25, v1, v22 :: v_dual_fmac_f32 v26, v8, v23
	v_lshlrev_b32_e32 v1, 2, v7
	v_xor_b32_e32 v8, 1, v10
	s_delay_alu instid0(VALU_DEP_3) | instskip(NEXT) | instid1(VALU_DEP_2)
	v_add_f32_e32 v7, v25, v26
	v_cmp_gt_i32_e64 s4, 32, v8
	ds_bpermute_b32 v1, v1, v7
	s_wait_alu 0xf1ff
	v_cndmask_b32_e64 v8, v10, v8, s4
	s_wait_dscnt 0x0
	v_add_f32_e32 v1, v7, v1
	s_delay_alu instid0(VALU_DEP_2)
	v_lshlrev_b32_e32 v7, 2, v8
	ds_bpermute_b32 v7, v7, v1
	s_and_saveexec_b32 s42, s3
	s_cbranch_execz .LBB247_11
; %bb.243:                              ;   in Loop: Header=BB247_13 Depth=1
	s_wait_dscnt 0x0
	v_dual_add_f32 v1, v1, v7 :: v_dual_add_nc_u32 v8, v18, v17
	s_delay_alu instid0(VALU_DEP_1) | instskip(NEXT) | instid1(VALU_DEP_1)
	v_cvt_f32_i32_e32 v8, v8
	v_mul_f32_e32 v8, s30, v8
	s_delay_alu instid0(VALU_DEP_1) | instskip(NEXT) | instid1(VALU_DEP_1)
	v_dual_cndmask_b32 v7, 0, v8 :: v_dual_max_num_f32 v8, v15, v15
	v_fmac_f32_e32 v7, s7, v1
	s_delay_alu instid0(VALU_DEP_1) | instskip(NEXT) | instid1(VALU_DEP_1)
	v_dual_max_num_f32 v8, v8, v7 :: v_dual_add_nc_u32 v1, v14, v17
	v_cmp_gt_i32_e64 s4, s34, v1
	s_wait_alu 0xf1ff
	s_delay_alu instid0(VALU_DEP_1) | instskip(NEXT) | instid1(VALU_DEP_3)
	v_cndmask_b32_e64 v1, 0, v7, s4
	v_cndmask_b32_e64 v15, v15, v8, s4
	ds_store_b32 v19, v1
	s_branch .LBB247_11
.LBB247_244:
	s_or_b32 exec_lo, exec_lo, s40
.LBB247_245:
	s_delay_alu instid0(SALU_CYCLE_1)
	s_or_b32 exec_lo, exec_lo, s6
	v_xor_b32_e32 v1, 16, v10
	v_xor_b32_e32 v3, 8, v10
	;; [unrolled: 1-line block ×3, first 2 shown]
	s_clause 0x2
	s_load_b128 s[4:7], s[0:1], 0x0
	s_load_b64 s[8:9], s[0:1], 0x10
	s_load_b64 s[30:31], s[0:1], 0x28
	v_max_num_f32_e32 v4, v15, v15
	v_cmp_gt_i32_e32 vcc_lo, 32, v1
	s_wait_alu 0xfffd
	v_dual_cndmask_b32 v1, v10, v1 :: v_dual_and_b32 v14, 31, v0
	v_cmp_gt_i32_e32 vcc_lo, 32, v3
	s_wait_alu 0xfffd
	s_delay_alu instid0(VALU_DEP_2)
	v_dual_cndmask_b32 v3, v10, v3 :: v_dual_lshlrev_b32 v2, 2, v1
	v_cmp_gt_i32_e32 vcc_lo, 32, v5
	ds_bpermute_b32 v1, v2, v15
	v_lshlrev_b32_e32 v3, 2, v3
	s_wait_alu 0xfffd
	v_cndmask_b32_e32 v5, v10, v5, vcc_lo
	v_cmp_eq_u32_e32 vcc_lo, 0, v14
	s_wait_dscnt 0x0
	v_max_num_f32_e32 v1, v1, v1
	s_delay_alu instid0(VALU_DEP_1) | instskip(SKIP_3) | instid1(VALU_DEP_1)
	v_max_num_f32_e32 v1, v4, v1
	ds_bpermute_b32 v4, v3, v1
	s_wait_dscnt 0x0
	v_max_num_f32_e32 v4, v4, v4
	v_dual_max_num_f32 v1, v1, v4 :: v_dual_lshlrev_b32 v4, 2, v11
	v_lshlrev_b32_e32 v6, 2, v5
	ds_bpermute_b32 v5, v6, v1
	s_and_saveexec_b32 s0, vcc_lo
	s_cbranch_execz .LBB247_247
; %bb.246:
	s_wait_dscnt 0x0
	v_max_num_f32_e32 v5, v5, v5
	v_max_num_f32_e32 v1, v1, v1
	s_delay_alu instid0(VALU_DEP_1)
	v_max_num_f32_e32 v1, v1, v5
	ds_store_b32 v4, v1 offset:224
.LBB247_247:
	s_or_b32 exec_lo, exec_lo, s0
	v_cmp_gt_u32_e64 s0, 4, v14
	v_mov_b32_e32 v1, 0xff7fffff
	s_wait_dscnt 0x0
	v_lshlrev_b32_e32 v5, 2, v14
	s_wait_loadcnt 0x0
	s_barrier_signal -1
	s_barrier_wait -1
	global_inv scope:SCOPE_SE
	s_and_saveexec_b32 s1, s0
; %bb.248:
	ds_load_b32 v1, v5 offset:224
; %bb.249:
	s_or_b32 exec_lo, exec_lo, s1
	v_xor_b32_e32 v7, 2, v10
	v_xor_b32_e32 v15, 1, v10
	s_delay_alu instid0(VALU_DEP_2) | instskip(NEXT) | instid1(VALU_DEP_1)
	v_cmp_gt_i32_e64 s1, 32, v7
	v_cndmask_b32_e64 v7, v10, v7, s1
	s_delay_alu instid0(VALU_DEP_3) | instskip(NEXT) | instid1(VALU_DEP_2)
	v_cmp_gt_i32_e64 s1, 32, v15
	v_lshlrev_b32_e32 v7, 2, v7
	s_wait_alu 0xf1ff
	s_delay_alu instid0(VALU_DEP_2)
	v_cndmask_b32_e64 v10, v10, v15, s1
	s_sub_co_i32 s1, s23, s39
	s_wait_alu 0xfffe
	s_lshl_b32 s1, s1, 3
	s_wait_dscnt 0x0
	ds_bpermute_b32 v8, v7, v1
	v_max_num_f32_e32 v1, v1, v1
	s_wait_alu 0xfffe
	s_add_co_i32 s1, s1, s36
	s_wait_alu 0xfffe
	s_min_i32 s1, s1, s34
	s_wait_alu 0xfffe
	s_sub_co_i32 s18, s1, s36
	s_wait_alu 0xfffe
	v_cmp_gt_i32_e64 s1, s18, v0
	s_wait_dscnt 0x0
	v_dual_max_num_f32 v15, v8, v8 :: v_dual_lshlrev_b32 v8, 2, v10
	s_delay_alu instid0(VALU_DEP_1) | instskip(SKIP_4) | instid1(VALU_DEP_1)
	v_max_num_f32_e32 v1, v1, v15
	v_lshl_add_u32 v15, v0, 2, 0x100
	ds_bpermute_b32 v10, v8, v1
	s_wait_dscnt 0x0
	v_max_num_f32_e32 v10, v10, v10
	v_dual_max_num_f32 v1, v1, v10 :: v_dual_mov_b32 v10, 0
	ds_bpermute_b32 v1, v10, v1
	s_and_saveexec_b32 s29, s1
	s_cbranch_execz .LBB247_253
; %bb.250:
	v_lshl_add_u32 v16, v0, 2, 0x100
	v_dual_mov_b32 v10, 0 :: v_dual_mov_b32 v17, v0
	s_mov_b32 s36, 0
.LBB247_251:                            ; =>This Inner Loop Header: Depth=1
	ds_load_b32 v18, v16
	s_wait_dscnt 0x0
	v_sub_f32_e32 v18, v18, v1
	s_delay_alu instid0(VALU_DEP_1) | instskip(NEXT) | instid1(VALU_DEP_1)
	v_mul_f32_e32 v18, 0x3fb8aa3b, v18
	v_exp_f32_e32 v18, v18
	s_delay_alu instid0(TRANS32_DEP_1) | instskip(NEXT) | instid1(VALU_DEP_1)
	v_dual_add_f32 v10, v10, v18 :: v_dual_add_nc_u32 v17, 0x80, v17
	v_cmp_le_i32_e64 s3, s18, v17
	ds_store_b32 v16, v18
	v_add_nc_u32_e32 v16, 0x200, v16
	s_wait_alu 0xfffe
	s_or_b32 s36, s3, s36
	s_wait_alu 0xfffe
	s_and_not1_b32 exec_lo, exec_lo, s36
	s_cbranch_execnz .LBB247_251
; %bb.252:
	s_or_b32 exec_lo, exec_lo, s36
.LBB247_253:
	s_wait_alu 0xfffe
	s_or_b32 exec_lo, exec_lo, s29
	ds_bpermute_b32 v2, v2, v10
	s_wait_dscnt 0x0
	v_add_f32_e32 v2, v10, v2
	ds_bpermute_b32 v3, v3, v2
	s_wait_dscnt 0x0
	v_add_f32_e32 v2, v2, v3
	;; [unrolled: 3-line block ×5, first 2 shown]
	s_and_saveexec_b32 s3, vcc_lo
; %bb.254:
	ds_store_b32 v4, v2 offset:240
; %bb.255:
	s_wait_alu 0xfffe
	s_or_b32 exec_lo, exec_lo, s3
	s_wait_loadcnt_dscnt 0x0
	s_barrier_signal -1
	s_barrier_wait -1
	global_inv scope:SCOPE_SE
	s_and_saveexec_b32 s3, s0
; %bb.256:
	ds_load_b32 v2, v5 offset:240
; %bb.257:
	s_wait_alu 0xfffe
	s_or_b32 exec_lo, exec_lo, s3
	s_wait_dscnt 0x0
	ds_bpermute_b32 v3, v7, v2
	s_wait_dscnt 0x0
	v_add_f32_e32 v2, v2, v3
	ds_bpermute_b32 v3, v8, v2
	s_wait_dscnt 0x0
	v_dual_add_f32 v2, v2, v3 :: v_dual_mov_b32 v3, 0
	ds_bpermute_b32 v2, v3, v2
	s_and_saveexec_b32 s0, s1
	s_cbranch_execz .LBB247_260
; %bb.258:
	s_wait_dscnt 0x0
	v_add_f32_e32 v4, 0x358637bd, v2
	s_mov_b32 s1, 0
	s_delay_alu instid0(VALU_DEP_1) | instskip(NEXT) | instid1(VALU_DEP_1)
	v_div_scale_f32 v3, null, v4, v4, 1.0
	v_rcp_f32_e32 v5, v3
	s_delay_alu instid0(TRANS32_DEP_1) | instskip(NEXT) | instid1(VALU_DEP_1)
	v_fma_f32 v6, -v3, v5, 1.0
	v_fmac_f32_e32 v5, v6, v5
	v_div_scale_f32 v7, vcc_lo, 1.0, v4, 1.0
	s_delay_alu instid0(VALU_DEP_1) | instskip(NEXT) | instid1(VALU_DEP_1)
	v_mul_f32_e32 v6, v7, v5
	v_fma_f32 v8, -v3, v6, v7
	s_delay_alu instid0(VALU_DEP_1) | instskip(NEXT) | instid1(VALU_DEP_1)
	v_fmac_f32_e32 v6, v8, v5
	v_fma_f32 v3, -v3, v6, v7
	s_wait_alu 0xfffd
	s_delay_alu instid0(VALU_DEP_1) | instskip(SKIP_1) | instid1(VALU_DEP_2)
	v_div_fmas_f32 v5, v3, v5, v6
	v_mov_b32_e32 v3, v15
	v_div_fixup_f32 v4, v5, v4, 1.0
	v_mov_b32_e32 v5, v0
.LBB247_259:                            ; =>This Inner Loop Header: Depth=1
	ds_load_b32 v6, v3
	s_wait_dscnt 0x0
	v_dual_mul_f32 v6, v4, v6 :: v_dual_add_nc_u32 v5, 0x80, v5
	s_delay_alu instid0(VALU_DEP_1)
	v_cmp_le_i32_e32 vcc_lo, s18, v5
	ds_store_b32 v3, v6
	v_add_nc_u32_e32 v3, 0x200, v3
	s_wait_alu 0xfffe
	s_or_b32 s1, vcc_lo, s1
	s_wait_alu 0xfffe
	s_and_not1_b32 exec_lo, exec_lo, s1
	s_cbranch_execnz .LBB247_259
.LBB247_260:
	s_wait_alu 0xfffe
	s_or_b32 exec_lo, exec_lo, s0
	s_mul_i32 s0, s12, s19
	s_wait_loadcnt_dscnt 0x0
	s_wait_alu 0xfffe
	s_mul_i32 s18, s0, s35
	s_mov_b32 s0, exec_lo
	s_barrier_signal -1
	s_barrier_wait -1
	global_inv scope:SCOPE_SE
	v_cmpx_eq_u32_e32 0, v0
	s_cbranch_execz .LBB247_262
; %bb.261:
	s_wait_alu 0xfffe
	s_ashr_i32 s19, s18, 31
	s_mul_i32 s40, s12, ttmp9
	s_lshl_b32 s1, s33, 2
	s_wait_alu 0xfffe
	s_lshl_b64 s[42:43], s[18:19], 2
	s_ashr_i32 s41, s40, 31
	v_mov_b32_e32 v3, s1
	s_wait_kmcnt 0x0
	s_wait_alu 0xfffe
	s_add_nc_u64 s[6:7], s[6:7], s[42:43]
	s_lshl_b64 s[40:41], s[40:41], 2
	s_add_nc_u64 s[4:5], s[4:5], s[42:43]
	s_wait_alu 0xfffe
	s_add_nc_u64 s[6:7], s[6:7], s[40:41]
	s_add_nc_u64 s[4:5], s[4:5], s[40:41]
	s_clause 0x1
	global_store_b32 v3, v1, s[6:7]
	global_store_b32 v3, v2, s[4:5]
.LBB247_262:
	s_wait_alu 0xfffe
	s_or_b32 exec_lo, exec_lo, s0
	v_dual_mov_b32 v19, 0 :: v_dual_mov_b32 v18, 0
	v_dual_mov_b32 v17, 0 :: v_dual_mov_b32 v16, 0
	s_wait_kmcnt 0x0
	s_and_saveexec_b32 s6, s2
	s_cbranch_execz .LBB247_534
; %bb.263:
	s_abs_i32 s7, s14
	v_or_b32_e32 v5, 0x60, v14
	s_wait_alu 0xfffe
	s_cvt_f32_u32 s0, s7
	s_sub_co_i32 s5, 0, s7
	v_dual_mov_b32 v17, 0 :: v_dual_lshlrev_b32 v20, 3, v14
	s_wait_alu 0xfffe
	v_rcp_iflag_f32_e32 v1, s0
	s_lshl_b64 s[0:1], s[26:27], 2
	v_dual_mov_b32 v2, 0 :: v_dual_mov_b32 v19, 0
	s_wait_alu 0xfffe
	s_add_nc_u64 s[0:1], s[24:25], s[0:1]
	v_lshl_add_u32 v21, v11, 5, 0x100
	s_wait_alu 0xfffe
	v_add_co_u32 v3, s0, s0, v9
	v_mov_b32_e32 v16, 0
	v_mov_b32_e32 v18, 0
	v_readfirstlane_b32 s4, v1
	s_wait_alu 0xf1ff
	v_add_co_ci_u32_e64 v4, null, s1, 0, s0
	v_lshlrev_b32_e32 v22, 3, v5
	s_ashr_i32 s29, s28, 31
	s_mul_f32 s4, s4, 0x4f7ffffe
	s_mov_b32 s2, -1
	s_sub_co_i32 s13, s38, s13
	s_mov_b32 s14, s17
	s_wait_alu 0xfffe
	s_cvt_u32_f32 s19, s4
	s_mov_b32 s3, 0xffffff
	s_add_co_i32 s37, s37, -1
	s_mov_b32 s17, 0
	s_wait_alu 0xfffe
	s_mul_i32 s5, s5, s19
	v_cmp_gt_u32_e32 vcc_lo, 0x70, v5
	s_wait_alu 0xfffe
	s_mul_hi_u32 s0, s19, s5
	s_add_nc_u64 s[4:5], s[30:31], s[28:29]
	s_wait_alu 0xfffe
	s_add_co_i32 s19, s19, s0
	s_branch .LBB247_267
.LBB247_264:                            ;   in Loop: Header=BB247_267 Depth=1
	s_wait_alu 0xfffe
	s_or_b32 exec_lo, exec_lo, s1
	;;#ASMSTART
	v_pk_mul_f16 v1, v28, v36;

	;;#ASMEND
	;;#ASMSTART
	v_pk_mul_f16 v5, v27, v35;

	;;#ASMEND
	;; [unrolled: 4-line block ×4, first 2 shown]
	;;#ASMSTART
	v_pk_add_f16 v1, v1, v5;

	;;#ASMEND
	;;#ASMSTART
	v_pk_add_f16 v1, v1, v6;

	;;#ASMEND
	;; [unrolled: 4-line block ×3, first 2 shown]
	v_and_b32_e32 v5, 0xffff, v1
	v_lshrrev_b32_e32 v6, 16, v1
	;;#ASMSTART
	v_cvt_f32_f16 v1, v5;
	;;#ASMEND
	;;#ASMSTART
	v_cvt_f32_f16 v5, v6;
	;;#ASMEND
	s_delay_alu instid0(VALU_DEP_2) | instskip(NEXT) | instid1(VALU_DEP_1)
	v_add_f32_e32 v1, v1, v5
	v_add_f32_e32 v16, v16, v1
.LBB247_265:                            ;   in Loop: Header=BB247_267 Depth=1
	s_or_b32 exec_lo, exec_lo, s25
	v_dual_add_f32 v1, v9, v10 :: v_dual_add_f32 v6, v7, v8
	s_delay_alu instid0(VALU_DEP_1) | instskip(NEXT) | instid1(VALU_DEP_2)
	v_dual_add_f32 v5, v23, v24 :: v_dual_add_f32 v18, v18, v1
	v_add_f32_e32 v17, v17, v6
	s_delay_alu instid0(VALU_DEP_2)
	v_add_f32_e32 v19, v19, v5
.LBB247_266:                            ;   in Loop: Header=BB247_267 Depth=1
	s_or_b32 exec_lo, exec_lo, s24
	v_add_nc_u32_e32 v13, 4, v13
	v_add_co_u32 v3, s1, v3, 16
	s_wait_alu 0xf1ff
	v_add_co_ci_u32_e64 v4, null, 0, v4, s1
	s_delay_alu instid0(VALU_DEP_3)
	v_cmp_le_i32_e64 s0, s23, v13
	v_add_nc_u32_e32 v12, 32, v12
	v_add_nc_u32_e32 v21, 0x80, v21
	s_or_b32 s17, s0, s17
	s_wait_alu 0xfffe
	s_and_not1_b32 exec_lo, exec_lo, s17
	s_cbranch_execz .LBB247_533
.LBB247_267:                            ; =>This Inner Loop Header: Depth=1
	v_sub_nc_u32_e32 v1, 0, v12
	s_delay_alu instid0(VALU_DEP_1) | instskip(NEXT) | instid1(VALU_DEP_1)
	v_max_i32_e32 v1, v12, v1
	v_mul_hi_u32 v5, v1, s22
	s_delay_alu instid0(VALU_DEP_1) | instskip(NEXT) | instid1(VALU_DEP_1)
	v_mul_lo_u32 v6, v5, s16
	v_sub_nc_u32_e32 v1, v1, v6
	v_add_nc_u32_e32 v6, 1, v5
	s_delay_alu instid0(VALU_DEP_2) | instskip(SKIP_2) | instid1(VALU_DEP_1)
	v_subrev_nc_u32_e32 v7, s16, v1
	v_cmp_le_u32_e64 s0, s16, v1
	s_wait_alu 0xf1ff
	v_cndmask_b32_e64 v5, v5, v6, s0
	s_delay_alu instid0(VALU_DEP_3) | instskip(SKIP_1) | instid1(VALU_DEP_3)
	v_cndmask_b32_e64 v1, v1, v7, s0
	v_ashrrev_i32_e32 v6, 31, v12
	v_add_nc_u32_e32 v7, 1, v5
	s_delay_alu instid0(VALU_DEP_3) | instskip(NEXT) | instid1(VALU_DEP_3)
	v_cmp_le_u32_e64 s0, s16, v1
	v_xor_b32_e32 v6, s15, v6
	s_wait_alu 0xf1ff
	s_delay_alu instid0(VALU_DEP_2) | instskip(NEXT) | instid1(VALU_DEP_1)
	v_cndmask_b32_e64 v1, v5, v7, s0
	v_xor_b32_e32 v1, v1, v6
	s_delay_alu instid0(VALU_DEP_1) | instskip(NEXT) | instid1(VALU_DEP_1)
	v_sub_nc_u32_e32 v1, v1, v6
	v_add_nc_u32_e32 v5, s21, v1
	v_cmp_lt_i32_e64 s1, s13, v1
	s_delay_alu instid0(VALU_DEP_2) | instskip(NEXT) | instid1(VALU_DEP_1)
	v_sub_nc_u32_e32 v6, 0, v5
	v_max_i32_e32 v6, v5, v6
	v_ashrrev_i32_e32 v5, 31, v5
	s_wait_alu 0xfffe
	s_delay_alu instid0(VALU_DEP_2) | instskip(NEXT) | instid1(VALU_DEP_1)
	v_mul_hi_u32 v7, v6, s19
	v_mul_lo_u32 v7, v7, s7
	s_delay_alu instid0(VALU_DEP_1) | instskip(NEXT) | instid1(VALU_DEP_1)
	v_sub_nc_u32_e32 v6, v6, v7
	v_subrev_nc_u32_e32 v7, s7, v6
	v_cmp_le_u32_e64 s0, s7, v6
	s_wait_alu 0xf1ff
	s_delay_alu instid0(VALU_DEP_1) | instskip(NEXT) | instid1(VALU_DEP_1)
	v_cndmask_b32_e64 v6, v6, v7, s0
	v_subrev_nc_u32_e32 v7, s7, v6
	v_cmp_le_u32_e64 s0, s7, v6
	s_wait_alu 0xf1ff
	s_delay_alu instid0(VALU_DEP_1) | instskip(NEXT) | instid1(VALU_DEP_1)
	v_cndmask_b32_e64 v6, v6, v7, s0
	v_xor_b32_e32 v6, v6, v5
	s_delay_alu instid0(VALU_DEP_1) | instskip(NEXT) | instid1(VALU_DEP_1)
	v_sub_nc_u32_e32 v5, v6, v5
	v_cmp_eq_u32_e64 s0, 0, v5
	s_or_b32 s0, s0, s1
	s_wait_alu 0xfffe
	s_and_saveexec_b32 s24, s0
	s_cbranch_execz .LBB247_266
; %bb.268:                              ;   in Loop: Header=BB247_267 Depth=1
	global_load_b32 v1, v[3:4], off
	ds_load_2addr_b64 v[7:10], v21 offset1:1
	ds_load_2addr_b64 v[28:31], v21 offset0:2 offset1:3
	v_mov_b32_e32 v33, 0
	s_mov_b32 s1, exec_lo
	s_wait_dscnt 0x1
	;;#ASMSTART
	v_cvt_f16_f32 v26, v7;

	;;#ASMEND
	;;#ASMSTART
	v_cvt_f16_f32 v23, v8;

	;;#ASMEND
	;; [unrolled: 4-line block ×4, first 2 shown]
	s_wait_dscnt 0x0
	;;#ASMSTART
	v_cvt_f16_f32 v28, v28;

	;;#ASMEND
	;;#ASMSTART
	v_cvt_f16_f32 v25, v29;

	;;#ASMEND
	;; [unrolled: 4-line block ×4, first 2 shown]
	s_wait_loadcnt 0x0
	v_mad_co_i64_i32 v[5:6], null, v1, s14, s[4:5]
	s_delay_alu instid0(VALU_DEP_1) | instskip(SKIP_1) | instid1(VALU_DEP_2)
	v_add_co_u32 v7, s0, v5, v20
	s_wait_alu 0xf1ff
	v_add_co_ci_u32_e64 v8, null, 0, v6, s0
	global_load_b64 v[9:10], v[7:8], off
	s_wait_loadcnt 0x0
	v_dual_mov_b32 v32, 0 :: v_dual_and_b32 v1, 0xff, v9
	global_load_b32 v31, v32, s[10:11]
	v_cmpx_ne_u16_e32 0, v1
	s_cbranch_execz .LBB247_276
; %bb.269:                              ;   in Loop: Header=BB247_267 Depth=1
	v_mov_b32_e32 v33, 0x8000
	s_mov_b32 s25, exec_lo
	v_cmpx_ne_u16_e32 0x80, v1
	s_cbranch_execz .LBB247_275
; %bb.270:                              ;   in Loop: Header=BB247_267 Depth=1
	v_and_b32_e32 v34, 0x7f, v9
	v_mov_b32_e32 v33, 0x7c01
	s_mov_b32 s26, exec_lo
	s_delay_alu instid0(VALU_DEP_2)
	v_cmpx_ne_u32_e32 0x7f, v34
	s_cbranch_execz .LBB247_274
; %bb.271:                              ;   in Loop: Header=BB247_267 Depth=1
	v_and_b32_e32 v1, 7, v9
	v_lshrrev_b32_e32 v33, 3, v34
	s_mov_b32 s27, exec_lo
	v_cmpx_gt_u32_e32 8, v34
; %bb.272:                              ;   in Loop: Header=BB247_267 Depth=1
	s_delay_alu instid0(VALU_DEP_3) | instskip(NEXT) | instid1(VALU_DEP_1)
	v_clz_i32_u32_e32 v1, v1
	v_min_u32_e32 v1, 32, v1
	s_delay_alu instid0(VALU_DEP_1) | instskip(NEXT) | instid1(VALU_DEP_1)
	v_subrev_nc_u32_e32 v33, 28, v1
	v_lshlrev_b64_e32 v[34:35], v33, v[9:10]
	v_sub_nc_u32_e32 v33, 29, v1
	s_delay_alu instid0(VALU_DEP_2)
	v_and_b32_e32 v1, 7, v34
; %bb.273:                              ;   in Loop: Header=BB247_267 Depth=1
	s_or_b32 exec_lo, exec_lo, s27
	v_lshlrev_b32_e32 v34, 8, v9
	s_delay_alu instid0(VALU_DEP_3) | instskip(NEXT) | instid1(VALU_DEP_3)
	v_lshl_add_u32 v33, v33, 10, 0x2000
	v_lshlrev_b32_e32 v1, 7, v1
	s_delay_alu instid0(VALU_DEP_3) | instskip(NEXT) | instid1(VALU_DEP_3)
	v_and_b32_e32 v34, 0x8000, v34
	v_and_b32_e32 v33, 0xfc00, v33
	s_delay_alu instid0(VALU_DEP_1)
	v_or3_b32 v33, v34, v33, v1
.LBB247_274:                            ;   in Loop: Header=BB247_267 Depth=1
	s_or_b32 exec_lo, exec_lo, s26
.LBB247_275:                            ;   in Loop: Header=BB247_267 Depth=1
	s_delay_alu instid0(SALU_CYCLE_1)
	s_or_b32 exec_lo, exec_lo, s25
.LBB247_276:                            ;   in Loop: Header=BB247_267 Depth=1
	s_wait_alu 0xfffe
	s_or_b32 exec_lo, exec_lo, s1
	v_lshrrev_b16 v1, 8, v9
	s_mov_b32 s1, exec_lo
	s_delay_alu instid0(VALU_DEP_1)
	v_cmpx_ne_u16_e32 0, v1
	s_cbranch_execz .LBB247_284
; %bb.277:                              ;   in Loop: Header=BB247_267 Depth=1
	v_bfrev_b32_e32 v32, 1
	s_mov_b32 s25, exec_lo
	v_cmpx_ne_u16_e32 0x80, v1
	s_cbranch_execz .LBB247_283
; %bb.278:                              ;   in Loop: Header=BB247_267 Depth=1
	v_and_b32_e32 v34, 0xffff, v1
	v_mov_b32_e32 v32, 0x7c010000
	s_mov_b32 s26, exec_lo
	s_delay_alu instid0(VALU_DEP_2) | instskip(NEXT) | instid1(VALU_DEP_1)
	v_and_b32_e32 v36, 0x7f, v34
	v_cmpx_ne_u32_e32 0x7f, v36
	s_cbranch_execz .LBB247_282
; %bb.279:                              ;   in Loop: Header=BB247_267 Depth=1
	v_and_b32_e32 v32, 7, v34
	v_lshrrev_b32_e32 v35, 3, v36
	s_mov_b32 s27, exec_lo
	v_cmpx_gt_u32_e32 8, v36
; %bb.280:                              ;   in Loop: Header=BB247_267 Depth=1
	s_delay_alu instid0(VALU_DEP_3) | instskip(NEXT) | instid1(VALU_DEP_1)
	v_clz_i32_u32_e32 v32, v32
	v_min_u32_e32 v32, 32, v32
	s_delay_alu instid0(VALU_DEP_1) | instskip(NEXT) | instid1(VALU_DEP_1)
	v_subrev_nc_u32_e32 v35, 28, v32
	v_lshlrev_b64_e32 v[36:37], v35, v[1:2]
	v_sub_nc_u32_e32 v35, 29, v32
	s_delay_alu instid0(VALU_DEP_2)
	v_and_b32_e32 v32, 7, v36
; %bb.281:                              ;   in Loop: Header=BB247_267 Depth=1
	s_or_b32 exec_lo, exec_lo, s27
	v_lshlrev_b32_e32 v1, 8, v34
	s_delay_alu instid0(VALU_DEP_3) | instskip(NEXT) | instid1(VALU_DEP_3)
	v_lshl_add_u32 v34, v35, 10, 0x2000
	v_lshlrev_b32_e32 v32, 23, v32
	s_delay_alu instid0(VALU_DEP_2) | instskip(NEXT) | instid1(VALU_DEP_1)
	v_and_or_b32 v1, 0x8000, v1, v34
	v_lshl_or_b32 v32, v1, 16, v32
.LBB247_282:                            ;   in Loop: Header=BB247_267 Depth=1
	s_or_b32 exec_lo, exec_lo, s26
.LBB247_283:                            ;   in Loop: Header=BB247_267 Depth=1
	s_delay_alu instid0(SALU_CYCLE_1)
	s_or_b32 exec_lo, exec_lo, s25
.LBB247_284:                            ;   in Loop: Header=BB247_267 Depth=1
	s_wait_alu 0xfffe
	s_or_b32 exec_lo, exec_lo, s1
	v_lshrrev_b32_e32 v1, 16, v9
	v_mov_b32_e32 v34, 0
	s_mov_b32 s1, exec_lo
	s_delay_alu instid0(VALU_DEP_2) | instskip(NEXT) | instid1(VALU_DEP_1)
	v_dual_mov_b32 v35, 0 :: v_dual_and_b32 v36, 0xff, v1
	v_cmpx_ne_u16_e32 0, v36
	s_cbranch_execz .LBB247_292
; %bb.285:                              ;   in Loop: Header=BB247_267 Depth=1
	v_mov_b32_e32 v35, 0x8000
	s_mov_b32 s25, exec_lo
	v_cmpx_ne_u16_e32 0x80, v36
	s_cbranch_execz .LBB247_291
; %bb.286:                              ;   in Loop: Header=BB247_267 Depth=1
	v_bfe_u32 v37, v9, 16, 7
	v_mov_b32_e32 v35, 0x7c01
	s_mov_b32 s26, exec_lo
	s_delay_alu instid0(VALU_DEP_2)
	v_cmpx_ne_u32_e32 0x7f, v37
	s_cbranch_execz .LBB247_290
; %bb.287:                              ;   in Loop: Header=BB247_267 Depth=1
	v_and_b32_e32 v35, 7, v1
	v_lshrrev_b32_e32 v36, 3, v37
	s_mov_b32 s27, exec_lo
	v_cmpx_gt_u32_e32 8, v37
; %bb.288:                              ;   in Loop: Header=BB247_267 Depth=1
	s_delay_alu instid0(VALU_DEP_3) | instskip(NEXT) | instid1(VALU_DEP_1)
	v_clz_i32_u32_e32 v35, v35
	v_min_u32_e32 v37, 32, v35
	s_delay_alu instid0(VALU_DEP_1) | instskip(NEXT) | instid1(VALU_DEP_1)
	v_subrev_nc_u32_e32 v35, 28, v37
	v_lshlrev_b64_e32 v[35:36], v35, v[1:2]
	v_sub_nc_u32_e32 v36, 29, v37
	s_delay_alu instid0(VALU_DEP_2)
	v_and_b32_e32 v35, 7, v35
; %bb.289:                              ;   in Loop: Header=BB247_267 Depth=1
	s_or_b32 exec_lo, exec_lo, s27
	v_lshlrev_b32_e32 v1, 8, v1
	s_delay_alu instid0(VALU_DEP_3) | instskip(NEXT) | instid1(VALU_DEP_3)
	v_lshl_add_u32 v36, v36, 10, 0x2000
	v_lshlrev_b32_e32 v35, 7, v35
	s_delay_alu instid0(VALU_DEP_3) | instskip(NEXT) | instid1(VALU_DEP_3)
	v_and_b32_e32 v1, 0x8000, v1
	v_and_b32_e32 v36, 0xfc00, v36
	s_delay_alu instid0(VALU_DEP_1)
	v_or3_b32 v35, v1, v36, v35
.LBB247_290:                            ;   in Loop: Header=BB247_267 Depth=1
	s_or_b32 exec_lo, exec_lo, s26
.LBB247_291:                            ;   in Loop: Header=BB247_267 Depth=1
	s_delay_alu instid0(SALU_CYCLE_1)
	s_or_b32 exec_lo, exec_lo, s25
.LBB247_292:                            ;   in Loop: Header=BB247_267 Depth=1
	s_wait_alu 0xfffe
	s_or_b32 exec_lo, exec_lo, s1
	s_delay_alu instid0(SALU_CYCLE_1)
	s_mov_b32 s1, exec_lo
	v_cmpx_lt_u32_e32 0xffffff, v9
	s_cbranch_execz .LBB247_300
; %bb.293:                              ;   in Loop: Header=BB247_267 Depth=1
	v_lshrrev_b32_e32 v1, 24, v9
	v_bfrev_b32_e32 v34, 1
	s_mov_b32 s25, exec_lo
	s_delay_alu instid0(VALU_DEP_2)
	v_cmpx_ne_u32_e32 0x80, v1
	s_cbranch_execz .LBB247_299
; %bb.294:                              ;   in Loop: Header=BB247_267 Depth=1
	v_and_b32_e32 v37, 0x7f, v1
	v_mov_b32_e32 v34, 0x7c010000
	s_mov_b32 s26, exec_lo
	s_delay_alu instid0(VALU_DEP_2)
	v_cmpx_ne_u32_e32 0x7f, v37
	s_cbranch_execz .LBB247_298
; %bb.295:                              ;   in Loop: Header=BB247_267 Depth=1
	v_and_b32_e32 v34, 7, v1
	v_lshrrev_b32_e32 v36, 3, v37
	s_mov_b32 s27, exec_lo
	v_cmpx_gt_u32_e32 8, v37
; %bb.296:                              ;   in Loop: Header=BB247_267 Depth=1
	s_delay_alu instid0(VALU_DEP_3) | instskip(NEXT) | instid1(VALU_DEP_1)
	v_clz_i32_u32_e32 v34, v34
	v_min_u32_e32 v34, 32, v34
	s_delay_alu instid0(VALU_DEP_1) | instskip(NEXT) | instid1(VALU_DEP_1)
	v_subrev_nc_u32_e32 v36, 28, v34
	v_lshlrev_b64_e32 v[37:38], v36, v[1:2]
	v_sub_nc_u32_e32 v36, 29, v34
	s_delay_alu instid0(VALU_DEP_2)
	v_and_b32_e32 v34, 7, v37
; %bb.297:                              ;   in Loop: Header=BB247_267 Depth=1
	s_or_b32 exec_lo, exec_lo, s27
	v_lshlrev_b32_e32 v1, 8, v1
	s_delay_alu instid0(VALU_DEP_3) | instskip(NEXT) | instid1(VALU_DEP_3)
	v_lshl_add_u32 v36, v36, 10, 0x2000
	v_lshlrev_b32_e32 v34, 23, v34
	s_delay_alu instid0(VALU_DEP_2) | instskip(NEXT) | instid1(VALU_DEP_1)
	v_and_or_b32 v1, 0x8000, v1, v36
	v_lshl_or_b32 v34, v1, 16, v34
.LBB247_298:                            ;   in Loop: Header=BB247_267 Depth=1
	s_or_b32 exec_lo, exec_lo, s26
.LBB247_299:                            ;   in Loop: Header=BB247_267 Depth=1
	s_delay_alu instid0(SALU_CYCLE_1)
	s_or_b32 exec_lo, exec_lo, s25
.LBB247_300:                            ;   in Loop: Header=BB247_267 Depth=1
	s_wait_alu 0xfffe
	s_or_b32 exec_lo, exec_lo, s1
	v_dual_mov_b32 v1, v10 :: v_dual_and_b32 v38, 0xff, v10
	v_dual_mov_b32 v36, 0 :: v_dual_mov_b32 v37, 0
	s_mov_b32 s1, exec_lo
	s_delay_alu instid0(VALU_DEP_2)
	v_cmpx_ne_u16_e32 0, v38
	s_cbranch_execz .LBB247_308
; %bb.301:                              ;   in Loop: Header=BB247_267 Depth=1
	v_mov_b32_e32 v37, 0x8000
	s_mov_b32 s25, exec_lo
	v_cmpx_ne_u16_e32 0x80, v38
	s_cbranch_execz .LBB247_307
; %bb.302:                              ;   in Loop: Header=BB247_267 Depth=1
	v_and_b32_e32 v39, 0x7f, v10
	v_mov_b32_e32 v37, 0x7c01
	s_mov_b32 s26, exec_lo
	s_delay_alu instid0(VALU_DEP_2)
	v_cmpx_ne_u32_e32 0x7f, v39
	s_cbranch_execz .LBB247_306
; %bb.303:                              ;   in Loop: Header=BB247_267 Depth=1
	v_and_b32_e32 v37, 7, v10
	v_lshrrev_b32_e32 v38, 3, v39
	s_mov_b32 s27, exec_lo
	v_cmpx_gt_u32_e32 8, v39
; %bb.304:                              ;   in Loop: Header=BB247_267 Depth=1
	s_delay_alu instid0(VALU_DEP_3) | instskip(NEXT) | instid1(VALU_DEP_1)
	v_clz_i32_u32_e32 v37, v37
	v_min_u32_e32 v39, 32, v37
	s_delay_alu instid0(VALU_DEP_1) | instskip(NEXT) | instid1(VALU_DEP_1)
	v_subrev_nc_u32_e32 v37, 28, v39
	v_lshlrev_b64_e32 v[37:38], v37, v[1:2]
	v_sub_nc_u32_e32 v38, 29, v39
	s_delay_alu instid0(VALU_DEP_2)
	v_and_b32_e32 v37, 7, v37
; %bb.305:                              ;   in Loop: Header=BB247_267 Depth=1
	s_or_b32 exec_lo, exec_lo, s27
	v_lshlrev_b32_e32 v39, 8, v10
	s_delay_alu instid0(VALU_DEP_3) | instskip(NEXT) | instid1(VALU_DEP_3)
	v_lshl_add_u32 v38, v38, 10, 0x2000
	v_lshlrev_b32_e32 v37, 7, v37
	s_delay_alu instid0(VALU_DEP_3) | instskip(NEXT) | instid1(VALU_DEP_3)
	v_and_b32_e32 v39, 0x8000, v39
	v_and_b32_e32 v38, 0xfc00, v38
	s_delay_alu instid0(VALU_DEP_1)
	v_or3_b32 v37, v39, v38, v37
.LBB247_306:                            ;   in Loop: Header=BB247_267 Depth=1
	s_or_b32 exec_lo, exec_lo, s26
.LBB247_307:                            ;   in Loop: Header=BB247_267 Depth=1
	s_delay_alu instid0(SALU_CYCLE_1)
	s_or_b32 exec_lo, exec_lo, s25
.LBB247_308:                            ;   in Loop: Header=BB247_267 Depth=1
	s_wait_alu 0xfffe
	s_or_b32 exec_lo, exec_lo, s1
	v_lshrrev_b16 v1, 8, v1
	v_mov_b32_e32 v38, 0
	s_mov_b32 s1, exec_lo
	s_delay_alu instid0(VALU_DEP_2)
	v_cmpx_ne_u16_e32 0, v1
	s_cbranch_execz .LBB247_316
; %bb.309:                              ;   in Loop: Header=BB247_267 Depth=1
	v_bfrev_b32_e32 v38, 1
	s_mov_b32 s25, exec_lo
	v_cmpx_ne_u16_e32 0x80, v1
	s_cbranch_execz .LBB247_315
; %bb.310:                              ;   in Loop: Header=BB247_267 Depth=1
	v_and_b32_e32 v39, 0xffff, v1
	v_mov_b32_e32 v38, 0x7c010000
	s_mov_b32 s26, exec_lo
	s_delay_alu instid0(VALU_DEP_2) | instskip(NEXT) | instid1(VALU_DEP_1)
	v_and_b32_e32 v41, 0x7f, v39
	v_cmpx_ne_u32_e32 0x7f, v41
	s_cbranch_execz .LBB247_314
; %bb.311:                              ;   in Loop: Header=BB247_267 Depth=1
	v_and_b32_e32 v38, 7, v39
	v_lshrrev_b32_e32 v40, 3, v41
	s_mov_b32 s27, exec_lo
	v_cmpx_gt_u32_e32 8, v41
; %bb.312:                              ;   in Loop: Header=BB247_267 Depth=1
	s_delay_alu instid0(VALU_DEP_3) | instskip(NEXT) | instid1(VALU_DEP_1)
	v_clz_i32_u32_e32 v38, v38
	v_min_u32_e32 v38, 32, v38
	s_delay_alu instid0(VALU_DEP_1) | instskip(NEXT) | instid1(VALU_DEP_1)
	v_subrev_nc_u32_e32 v40, 28, v38
	v_lshlrev_b64_e32 v[41:42], v40, v[1:2]
	v_sub_nc_u32_e32 v40, 29, v38
	s_delay_alu instid0(VALU_DEP_2)
	v_and_b32_e32 v38, 7, v41
; %bb.313:                              ;   in Loop: Header=BB247_267 Depth=1
	s_or_b32 exec_lo, exec_lo, s27
	v_lshlrev_b32_e32 v1, 8, v39
	s_delay_alu instid0(VALU_DEP_3) | instskip(NEXT) | instid1(VALU_DEP_3)
	v_lshl_add_u32 v39, v40, 10, 0x2000
	v_lshlrev_b32_e32 v38, 23, v38
	s_delay_alu instid0(VALU_DEP_2) | instskip(NEXT) | instid1(VALU_DEP_1)
	v_and_or_b32 v1, 0x8000, v1, v39
	v_lshl_or_b32 v38, v1, 16, v38
.LBB247_314:                            ;   in Loop: Header=BB247_267 Depth=1
	s_or_b32 exec_lo, exec_lo, s26
.LBB247_315:                            ;   in Loop: Header=BB247_267 Depth=1
	s_delay_alu instid0(SALU_CYCLE_1)
	s_or_b32 exec_lo, exec_lo, s25
.LBB247_316:                            ;   in Loop: Header=BB247_267 Depth=1
	s_wait_alu 0xfffe
	s_or_b32 exec_lo, exec_lo, s1
	v_lshrrev_b32_e32 v1, 16, v10
	s_mov_b32 s1, exec_lo
	s_delay_alu instid0(VALU_DEP_1) | instskip(NEXT) | instid1(VALU_DEP_1)
	v_and_b32_e32 v39, 0xff, v1
	v_cmpx_ne_u16_e32 0, v39
	s_cbranch_execz .LBB247_324
; %bb.317:                              ;   in Loop: Header=BB247_267 Depth=1
	v_mov_b32_e32 v36, 0x8000
	s_mov_b32 s25, exec_lo
	v_cmpx_ne_u16_e32 0x80, v39
	s_cbranch_execz .LBB247_323
; %bb.318:                              ;   in Loop: Header=BB247_267 Depth=1
	v_bfe_u32 v40, v10, 16, 7
	v_mov_b32_e32 v36, 0x7c01
	s_mov_b32 s26, exec_lo
	s_delay_alu instid0(VALU_DEP_2)
	v_cmpx_ne_u32_e32 0x7f, v40
	s_cbranch_execz .LBB247_322
; %bb.319:                              ;   in Loop: Header=BB247_267 Depth=1
	v_and_b32_e32 v36, 7, v1
	v_lshrrev_b32_e32 v39, 3, v40
	s_mov_b32 s27, exec_lo
	v_cmpx_gt_u32_e32 8, v40
; %bb.320:                              ;   in Loop: Header=BB247_267 Depth=1
	s_delay_alu instid0(VALU_DEP_3) | instskip(NEXT) | instid1(VALU_DEP_1)
	v_clz_i32_u32_e32 v36, v36
	v_min_u32_e32 v36, 32, v36
	s_delay_alu instid0(VALU_DEP_1) | instskip(NEXT) | instid1(VALU_DEP_1)
	v_subrev_nc_u32_e32 v39, 28, v36
	v_lshlrev_b64_e32 v[40:41], v39, v[1:2]
	v_sub_nc_u32_e32 v39, 29, v36
	s_delay_alu instid0(VALU_DEP_2)
	v_and_b32_e32 v36, 7, v40
; %bb.321:                              ;   in Loop: Header=BB247_267 Depth=1
	s_or_b32 exec_lo, exec_lo, s27
	v_lshlrev_b32_e32 v1, 8, v1
	s_delay_alu instid0(VALU_DEP_3) | instskip(NEXT) | instid1(VALU_DEP_3)
	v_lshl_add_u32 v39, v39, 10, 0x2000
	v_lshlrev_b32_e32 v36, 7, v36
	s_delay_alu instid0(VALU_DEP_3) | instskip(NEXT) | instid1(VALU_DEP_3)
	v_and_b32_e32 v1, 0x8000, v1
	v_and_b32_e32 v39, 0xfc00, v39
	s_delay_alu instid0(VALU_DEP_1)
	v_or3_b32 v36, v1, v39, v36
.LBB247_322:                            ;   in Loop: Header=BB247_267 Depth=1
	s_or_b32 exec_lo, exec_lo, s26
.LBB247_323:                            ;   in Loop: Header=BB247_267 Depth=1
	s_delay_alu instid0(SALU_CYCLE_1)
	s_or_b32 exec_lo, exec_lo, s25
.LBB247_324:                            ;   in Loop: Header=BB247_267 Depth=1
	s_wait_alu 0xfffe
	s_or_b32 exec_lo, exec_lo, s1
	v_cmp_lt_u64_e64 s0, s[2:3], v[9:10]
	v_mov_b32_e32 v9, 0
	s_and_saveexec_b32 s1, s0
	s_cbranch_execz .LBB247_332
; %bb.325:                              ;   in Loop: Header=BB247_267 Depth=1
	v_lshrrev_b32_e32 v1, 24, v10
	v_bfrev_b32_e32 v9, 1
	s_mov_b32 s25, exec_lo
	s_delay_alu instid0(VALU_DEP_2)
	v_cmpx_ne_u32_e32 0x80, v1
	s_cbranch_execz .LBB247_331
; %bb.326:                              ;   in Loop: Header=BB247_267 Depth=1
	v_and_b32_e32 v39, 0x7f, v1
	v_mov_b32_e32 v9, 0x7c010000
	s_mov_b32 s26, exec_lo
	s_delay_alu instid0(VALU_DEP_2)
	v_cmpx_ne_u32_e32 0x7f, v39
	s_cbranch_execz .LBB247_330
; %bb.327:                              ;   in Loop: Header=BB247_267 Depth=1
	v_and_b32_e32 v9, 7, v1
	v_lshrrev_b32_e32 v10, 3, v39
	s_mov_b32 s27, exec_lo
	v_cmpx_gt_u32_e32 8, v39
; %bb.328:                              ;   in Loop: Header=BB247_267 Depth=1
	s_delay_alu instid0(VALU_DEP_3) | instskip(NEXT) | instid1(VALU_DEP_1)
	v_clz_i32_u32_e32 v9, v9
	v_min_u32_e32 v39, 32, v9
	s_delay_alu instid0(VALU_DEP_1) | instskip(NEXT) | instid1(VALU_DEP_1)
	v_subrev_nc_u32_e32 v9, 28, v39
	v_lshlrev_b64_e32 v[9:10], v9, v[1:2]
	v_sub_nc_u32_e32 v10, 29, v39
	s_delay_alu instid0(VALU_DEP_2)
	v_and_b32_e32 v9, 7, v9
; %bb.329:                              ;   in Loop: Header=BB247_267 Depth=1
	s_or_b32 exec_lo, exec_lo, s27
	v_lshlrev_b32_e32 v1, 8, v1
	s_delay_alu instid0(VALU_DEP_3) | instskip(NEXT) | instid1(VALU_DEP_3)
	v_lshl_add_u32 v10, v10, 10, 0x2000
	v_lshlrev_b32_e32 v9, 23, v9
	s_delay_alu instid0(VALU_DEP_2) | instskip(NEXT) | instid1(VALU_DEP_1)
	v_and_or_b32 v1, 0x8000, v1, v10
	v_lshl_or_b32 v9, v1, 16, v9
.LBB247_330:                            ;   in Loop: Header=BB247_267 Depth=1
	s_or_b32 exec_lo, exec_lo, s26
.LBB247_331:                            ;   in Loop: Header=BB247_267 Depth=1
	s_delay_alu instid0(SALU_CYCLE_1)
	s_or_b32 exec_lo, exec_lo, s25
.LBB247_332:                            ;   in Loop: Header=BB247_267 Depth=1
	s_wait_alu 0xfffe
	s_or_b32 exec_lo, exec_lo, s1
	v_or_b32_e32 v1, v34, v35
	s_wait_loadcnt 0x0
	v_fma_mixlo_f16 v10, v31, v34, 0 op_sel:[0,1,0] op_sel_hi:[0,1,0]
	v_or_b32_e32 v33, v32, v33
	v_or_b32_e32 v35, v38, v37
	;; [unrolled: 1-line block ×3, first 2 shown]
	v_fma_mixlo_f16 v1, v31, v1, 0 op_sel_hi:[0,1,0]
	v_fma_mixlo_f16 v34, v31, v32, 0 op_sel:[0,1,0] op_sel_hi:[0,1,0]
	v_lshlrev_b32_e32 v32, 16, v10
	v_fma_mixlo_f16 v10, v31, v33, 0 op_sel_hi:[0,1,0]
	v_fma_mixlo_f16 v35, v31, v35, 0 op_sel_hi:[0,1,0]
	v_and_b32_e32 v33, 0xffff, v1
	v_fma_mixlo_f16 v1, v31, v38, 0 op_sel:[0,1,0] op_sel_hi:[0,1,0]
	v_fma_mixlo_f16 v37, v31, v9, 0 op_sel:[0,1,0] op_sel_hi:[0,1,0]
	v_fma_mixlo_f16 v36, v31, v36, 0 op_sel_hi:[0,1,0]
	v_lshlrev_b32_e32 v34, 16, v34
	v_and_b32_e32 v39, 0xffff, v10
	v_lshlrev_b32_e32 v9, 16, v1
	v_and_b32_e32 v31, 0xffff, v35
	;; [unrolled: 2-line block ×3, first 2 shown]
	v_cmp_eq_u32_e64 s0, s37, v13
	v_or_b32_e32 v35, v32, v33
	v_or_b32_e32 v36, v34, v39
	;; [unrolled: 1-line block ×4, first 2 shown]
	s_and_saveexec_b32 s25, s0
	s_cbranch_execz .LBB247_334
; %bb.333:                              ;   in Loop: Header=BB247_267 Depth=1
	v_add_nc_u32_e32 v35, 1, v12
	v_cmp_gt_i32_e64 s1, s34, v12
	v_add_nc_u32_e32 v36, 2, v12
	v_add_nc_u32_e32 v38, 3, v12
	s_wait_alu 0xf1ff
	s_delay_alu instid0(VALU_DEP_3) | instskip(SKIP_3) | instid1(VALU_DEP_2)
	v_cndmask_b32_e64 v37, 0, v39, s1
	v_cmp_gt_i32_e64 s1, s34, v35
	v_add_nc_u32_e32 v35, 4, v12
	s_wait_alu 0xf1ff
	v_cndmask_b32_e64 v34, 0, v34, s1
	v_cmp_gt_i32_e64 s1, s34, v36
	v_add_nc_u32_e32 v36, 5, v12
	s_wait_alu 0xf1ff
	s_delay_alu instid0(VALU_DEP_2) | instskip(SKIP_3) | instid1(VALU_DEP_2)
	v_cndmask_b32_e64 v33, 0, v33, s1
	v_cmp_gt_i32_e64 s1, s34, v38
	v_add_nc_u32_e32 v38, 6, v12
	s_wait_alu 0xf1ff
	v_cndmask_b32_e64 v32, 0, v32, s1
	v_cmp_gt_i32_e64 s1, s34, v35
	v_add_nc_u32_e32 v35, 7, v12
	s_wait_alu 0xf1ff
	s_delay_alu instid0(VALU_DEP_2) | instskip(SKIP_3) | instid1(VALU_DEP_2)
	v_cndmask_b32_e64 v31, 0, v31, s1
	v_cmp_gt_i32_e64 s1, s34, v36
	v_or_b32_e32 v36, v34, v37
	s_wait_alu 0xf1ff
	v_cndmask_b32_e64 v9, 0, v9, s1
	v_cmp_gt_i32_e64 s1, s34, v38
	s_delay_alu instid0(VALU_DEP_2) | instskip(SKIP_1) | instid1(VALU_DEP_2)
	v_or_b32_e32 v37, v9, v31
	s_wait_alu 0xf1ff
	v_cndmask_b32_e64 v10, 0, v10, s1
	v_cmp_gt_i32_e64 s1, s34, v35
	v_or_b32_e32 v35, v32, v33
	s_wait_alu 0xf1ff
	s_delay_alu instid0(VALU_DEP_2) | instskip(NEXT) | instid1(VALU_DEP_1)
	v_cndmask_b32_e64 v1, 0, v1, s1
	v_or_b32_e32 v38, v1, v10
.LBB247_334:                            ;   in Loop: Header=BB247_267 Depth=1
	s_or_b32 exec_lo, exec_lo, s25
	v_and_b32_e32 v1, 0xffff, v26
	v_dual_mov_b32 v31, 0 :: v_dual_and_b32 v10, 0xffff, v28
	v_and_b32_e32 v30, 0xffff, v30
	v_and_b32_e32 v9, 0xffff, v27
	s_mov_b32 s25, exec_lo
	s_delay_alu instid0(VALU_DEP_3) | instskip(NEXT) | instid1(VALU_DEP_3)
	v_lshl_or_b32 v26, v25, 16, v10
	v_lshl_or_b32 v25, v29, 16, v30
	v_mov_b32_e32 v30, 0
	v_lshl_or_b32 v28, v23, 16, v1
	;;#ASMSTART
	v_pk_mul_f16 v1, v28, v36;

	;;#ASMEND
	v_lshl_or_b32 v27, v24, 16, v9
	;;#ASMSTART
	v_pk_mul_f16 v9, v27, v35;

	;;#ASMEND
	;;#ASMSTART
	v_pk_mul_f16 v10, v26, v37;

	;;#ASMEND
	;; [unrolled: 4-line block ×3, first 2 shown]
	;;#ASMSTART
	v_pk_add_f16 v1, v1, v9;

	;;#ASMEND
	;;#ASMSTART
	v_pk_add_f16 v1, v1, v10;

	;;#ASMEND
	;; [unrolled: 4-line block ×3, first 2 shown]
	v_and_b32_e32 v9, 0xffff, v1
	v_lshrrev_b32_e32 v1, 16, v1
	;;#ASMSTART
	v_cvt_f32_f16 v23, v9;
	;;#ASMEND
	;;#ASMSTART
	v_cvt_f32_f16 v24, v1;
	;;#ASMEND
	global_load_b64 v[9:10], v[7:8], off offset:256
	global_load_b32 v29, v30, s[10:11]
	s_wait_loadcnt 0x1
	v_and_b32_e32 v1, 0xff, v9
	s_delay_alu instid0(VALU_DEP_1)
	v_cmpx_ne_u16_e32 0, v1
	s_cbranch_execz .LBB247_342
; %bb.335:                              ;   in Loop: Header=BB247_267 Depth=1
	v_mov_b32_e32 v31, 0x8000
	s_mov_b32 s26, exec_lo
	v_cmpx_ne_u16_e32 0x80, v1
	s_cbranch_execz .LBB247_341
; %bb.336:                              ;   in Loop: Header=BB247_267 Depth=1
	v_and_b32_e32 v32, 0x7f, v9
	v_mov_b32_e32 v31, 0x7c01
	s_mov_b32 s27, exec_lo
	s_delay_alu instid0(VALU_DEP_2)
	v_cmpx_ne_u32_e32 0x7f, v32
	s_cbranch_execz .LBB247_340
; %bb.337:                              ;   in Loop: Header=BB247_267 Depth=1
	v_and_b32_e32 v1, 7, v9
	v_lshrrev_b32_e32 v31, 3, v32
	s_mov_b32 s28, exec_lo
	v_cmpx_gt_u32_e32 8, v32
; %bb.338:                              ;   in Loop: Header=BB247_267 Depth=1
	s_delay_alu instid0(VALU_DEP_3) | instskip(NEXT) | instid1(VALU_DEP_1)
	v_clz_i32_u32_e32 v1, v1
	v_min_u32_e32 v1, 32, v1
	s_delay_alu instid0(VALU_DEP_1) | instskip(NEXT) | instid1(VALU_DEP_1)
	v_subrev_nc_u32_e32 v31, 28, v1
	v_lshlrev_b64_e32 v[32:33], v31, v[9:10]
	v_sub_nc_u32_e32 v31, 29, v1
	s_delay_alu instid0(VALU_DEP_2)
	v_and_b32_e32 v1, 7, v32
; %bb.339:                              ;   in Loop: Header=BB247_267 Depth=1
	s_wait_alu 0xfffe
	s_or_b32 exec_lo, exec_lo, s28
	v_lshlrev_b32_e32 v32, 8, v9
	v_lshl_add_u32 v31, v31, 10, 0x2000
	v_lshlrev_b32_e32 v1, 7, v1
	s_delay_alu instid0(VALU_DEP_3) | instskip(NEXT) | instid1(VALU_DEP_3)
	v_and_b32_e32 v32, 0x8000, v32
	v_and_b32_e32 v31, 0xfc00, v31
	s_delay_alu instid0(VALU_DEP_1)
	v_or3_b32 v31, v32, v31, v1
.LBB247_340:                            ;   in Loop: Header=BB247_267 Depth=1
	s_or_b32 exec_lo, exec_lo, s27
.LBB247_341:                            ;   in Loop: Header=BB247_267 Depth=1
	s_delay_alu instid0(SALU_CYCLE_1)
	s_or_b32 exec_lo, exec_lo, s26
.LBB247_342:                            ;   in Loop: Header=BB247_267 Depth=1
	s_delay_alu instid0(SALU_CYCLE_1) | instskip(SKIP_2) | instid1(VALU_DEP_1)
	s_or_b32 exec_lo, exec_lo, s25
	v_lshrrev_b16 v1, 8, v9
	s_mov_b32 s25, exec_lo
	v_cmpx_ne_u16_e32 0, v1
	s_cbranch_execz .LBB247_350
; %bb.343:                              ;   in Loop: Header=BB247_267 Depth=1
	v_bfrev_b32_e32 v30, 1
	s_mov_b32 s26, exec_lo
	v_cmpx_ne_u16_e32 0x80, v1
	s_cbranch_execz .LBB247_349
; %bb.344:                              ;   in Loop: Header=BB247_267 Depth=1
	v_and_b32_e32 v32, 0xffff, v1
	v_mov_b32_e32 v30, 0x7c010000
	s_mov_b32 s27, exec_lo
	s_delay_alu instid0(VALU_DEP_2) | instskip(NEXT) | instid1(VALU_DEP_1)
	v_and_b32_e32 v34, 0x7f, v32
	v_cmpx_ne_u32_e32 0x7f, v34
	s_cbranch_execz .LBB247_348
; %bb.345:                              ;   in Loop: Header=BB247_267 Depth=1
	v_and_b32_e32 v30, 7, v32
	v_lshrrev_b32_e32 v33, 3, v34
	s_mov_b32 s28, exec_lo
	v_cmpx_gt_u32_e32 8, v34
; %bb.346:                              ;   in Loop: Header=BB247_267 Depth=1
	s_delay_alu instid0(VALU_DEP_3) | instskip(NEXT) | instid1(VALU_DEP_1)
	v_clz_i32_u32_e32 v30, v30
	v_min_u32_e32 v30, 32, v30
	s_delay_alu instid0(VALU_DEP_1) | instskip(NEXT) | instid1(VALU_DEP_1)
	v_subrev_nc_u32_e32 v33, 28, v30
	v_lshlrev_b64_e32 v[34:35], v33, v[1:2]
	v_sub_nc_u32_e32 v33, 29, v30
	s_delay_alu instid0(VALU_DEP_2)
	v_and_b32_e32 v30, 7, v34
; %bb.347:                              ;   in Loop: Header=BB247_267 Depth=1
	s_wait_alu 0xfffe
	s_or_b32 exec_lo, exec_lo, s28
	v_lshlrev_b32_e32 v1, 8, v32
	v_lshl_add_u32 v32, v33, 10, 0x2000
	v_lshlrev_b32_e32 v30, 23, v30
	s_delay_alu instid0(VALU_DEP_2) | instskip(NEXT) | instid1(VALU_DEP_1)
	v_and_or_b32 v1, 0x8000, v1, v32
	v_lshl_or_b32 v30, v1, 16, v30
.LBB247_348:                            ;   in Loop: Header=BB247_267 Depth=1
	s_or_b32 exec_lo, exec_lo, s27
.LBB247_349:                            ;   in Loop: Header=BB247_267 Depth=1
	s_delay_alu instid0(SALU_CYCLE_1)
	s_or_b32 exec_lo, exec_lo, s26
.LBB247_350:                            ;   in Loop: Header=BB247_267 Depth=1
	s_delay_alu instid0(SALU_CYCLE_1) | instskip(SKIP_3) | instid1(VALU_DEP_2)
	s_or_b32 exec_lo, exec_lo, s25
	v_lshrrev_b32_e32 v1, 16, v9
	v_mov_b32_e32 v32, 0
	s_mov_b32 s25, exec_lo
	v_dual_mov_b32 v33, 0 :: v_dual_and_b32 v34, 0xff, v1
	s_delay_alu instid0(VALU_DEP_1)
	v_cmpx_ne_u16_e32 0, v34
	s_cbranch_execz .LBB247_358
; %bb.351:                              ;   in Loop: Header=BB247_267 Depth=1
	v_mov_b32_e32 v33, 0x8000
	s_mov_b32 s26, exec_lo
	v_cmpx_ne_u16_e32 0x80, v34
	s_cbranch_execz .LBB247_357
; %bb.352:                              ;   in Loop: Header=BB247_267 Depth=1
	v_bfe_u32 v35, v9, 16, 7
	v_mov_b32_e32 v33, 0x7c01
	s_mov_b32 s27, exec_lo
	s_delay_alu instid0(VALU_DEP_2)
	v_cmpx_ne_u32_e32 0x7f, v35
	s_cbranch_execz .LBB247_356
; %bb.353:                              ;   in Loop: Header=BB247_267 Depth=1
	v_and_b32_e32 v33, 7, v1
	v_lshrrev_b32_e32 v34, 3, v35
	s_mov_b32 s28, exec_lo
	v_cmpx_gt_u32_e32 8, v35
; %bb.354:                              ;   in Loop: Header=BB247_267 Depth=1
	s_delay_alu instid0(VALU_DEP_3) | instskip(NEXT) | instid1(VALU_DEP_1)
	v_clz_i32_u32_e32 v33, v33
	v_min_u32_e32 v35, 32, v33
	s_delay_alu instid0(VALU_DEP_1) | instskip(NEXT) | instid1(VALU_DEP_1)
	v_subrev_nc_u32_e32 v33, 28, v35
	v_lshlrev_b64_e32 v[33:34], v33, v[1:2]
	v_sub_nc_u32_e32 v34, 29, v35
	s_delay_alu instid0(VALU_DEP_2)
	v_and_b32_e32 v33, 7, v33
; %bb.355:                              ;   in Loop: Header=BB247_267 Depth=1
	s_wait_alu 0xfffe
	s_or_b32 exec_lo, exec_lo, s28
	v_lshlrev_b32_e32 v1, 8, v1
	v_lshl_add_u32 v34, v34, 10, 0x2000
	v_lshlrev_b32_e32 v33, 7, v33
	s_delay_alu instid0(VALU_DEP_3) | instskip(NEXT) | instid1(VALU_DEP_3)
	v_and_b32_e32 v1, 0x8000, v1
	v_and_b32_e32 v34, 0xfc00, v34
	s_delay_alu instid0(VALU_DEP_1)
	v_or3_b32 v33, v1, v34, v33
.LBB247_356:                            ;   in Loop: Header=BB247_267 Depth=1
	s_or_b32 exec_lo, exec_lo, s27
.LBB247_357:                            ;   in Loop: Header=BB247_267 Depth=1
	s_delay_alu instid0(SALU_CYCLE_1)
	s_or_b32 exec_lo, exec_lo, s26
.LBB247_358:                            ;   in Loop: Header=BB247_267 Depth=1
	s_delay_alu instid0(SALU_CYCLE_1) | instskip(NEXT) | instid1(SALU_CYCLE_1)
	s_or_b32 exec_lo, exec_lo, s25
	s_mov_b32 s25, exec_lo
	v_cmpx_lt_u32_e32 0xffffff, v9
	s_cbranch_execz .LBB247_366
; %bb.359:                              ;   in Loop: Header=BB247_267 Depth=1
	v_lshrrev_b32_e32 v1, 24, v9
	v_bfrev_b32_e32 v32, 1
	s_mov_b32 s26, exec_lo
	s_delay_alu instid0(VALU_DEP_2)
	v_cmpx_ne_u32_e32 0x80, v1
	s_cbranch_execz .LBB247_365
; %bb.360:                              ;   in Loop: Header=BB247_267 Depth=1
	v_and_b32_e32 v35, 0x7f, v1
	v_mov_b32_e32 v32, 0x7c010000
	s_mov_b32 s27, exec_lo
	s_delay_alu instid0(VALU_DEP_2)
	v_cmpx_ne_u32_e32 0x7f, v35
	s_cbranch_execz .LBB247_364
; %bb.361:                              ;   in Loop: Header=BB247_267 Depth=1
	v_and_b32_e32 v32, 7, v1
	v_lshrrev_b32_e32 v34, 3, v35
	s_mov_b32 s28, exec_lo
	v_cmpx_gt_u32_e32 8, v35
; %bb.362:                              ;   in Loop: Header=BB247_267 Depth=1
	s_delay_alu instid0(VALU_DEP_3) | instskip(NEXT) | instid1(VALU_DEP_1)
	v_clz_i32_u32_e32 v32, v32
	v_min_u32_e32 v32, 32, v32
	s_delay_alu instid0(VALU_DEP_1) | instskip(NEXT) | instid1(VALU_DEP_1)
	v_subrev_nc_u32_e32 v34, 28, v32
	v_lshlrev_b64_e32 v[35:36], v34, v[1:2]
	v_sub_nc_u32_e32 v34, 29, v32
	s_delay_alu instid0(VALU_DEP_2)
	v_and_b32_e32 v32, 7, v35
; %bb.363:                              ;   in Loop: Header=BB247_267 Depth=1
	s_wait_alu 0xfffe
	s_or_b32 exec_lo, exec_lo, s28
	v_lshlrev_b32_e32 v1, 8, v1
	v_lshl_add_u32 v34, v34, 10, 0x2000
	v_lshlrev_b32_e32 v32, 23, v32
	s_delay_alu instid0(VALU_DEP_2) | instskip(NEXT) | instid1(VALU_DEP_1)
	v_and_or_b32 v1, 0x8000, v1, v34
	v_lshl_or_b32 v32, v1, 16, v32
.LBB247_364:                            ;   in Loop: Header=BB247_267 Depth=1
	s_or_b32 exec_lo, exec_lo, s27
.LBB247_365:                            ;   in Loop: Header=BB247_267 Depth=1
	s_delay_alu instid0(SALU_CYCLE_1)
	s_or_b32 exec_lo, exec_lo, s26
.LBB247_366:                            ;   in Loop: Header=BB247_267 Depth=1
	s_delay_alu instid0(SALU_CYCLE_1) | instskip(SKIP_3) | instid1(VALU_DEP_2)
	s_or_b32 exec_lo, exec_lo, s25
	v_dual_mov_b32 v1, v10 :: v_dual_and_b32 v36, 0xff, v10
	v_dual_mov_b32 v34, 0 :: v_dual_mov_b32 v35, 0
	s_mov_b32 s25, exec_lo
	v_cmpx_ne_u16_e32 0, v36
	s_cbranch_execz .LBB247_374
; %bb.367:                              ;   in Loop: Header=BB247_267 Depth=1
	v_mov_b32_e32 v35, 0x8000
	s_mov_b32 s26, exec_lo
	v_cmpx_ne_u16_e32 0x80, v36
	s_cbranch_execz .LBB247_373
; %bb.368:                              ;   in Loop: Header=BB247_267 Depth=1
	v_and_b32_e32 v37, 0x7f, v10
	v_mov_b32_e32 v35, 0x7c01
	s_mov_b32 s27, exec_lo
	s_delay_alu instid0(VALU_DEP_2)
	v_cmpx_ne_u32_e32 0x7f, v37
	s_cbranch_execz .LBB247_372
; %bb.369:                              ;   in Loop: Header=BB247_267 Depth=1
	v_and_b32_e32 v35, 7, v10
	v_lshrrev_b32_e32 v36, 3, v37
	s_mov_b32 s28, exec_lo
	v_cmpx_gt_u32_e32 8, v37
; %bb.370:                              ;   in Loop: Header=BB247_267 Depth=1
	s_delay_alu instid0(VALU_DEP_3) | instskip(NEXT) | instid1(VALU_DEP_1)
	v_clz_i32_u32_e32 v35, v35
	v_min_u32_e32 v37, 32, v35
	s_delay_alu instid0(VALU_DEP_1) | instskip(NEXT) | instid1(VALU_DEP_1)
	v_subrev_nc_u32_e32 v35, 28, v37
	v_lshlrev_b64_e32 v[35:36], v35, v[1:2]
	v_sub_nc_u32_e32 v36, 29, v37
	s_delay_alu instid0(VALU_DEP_2)
	v_and_b32_e32 v35, 7, v35
; %bb.371:                              ;   in Loop: Header=BB247_267 Depth=1
	s_wait_alu 0xfffe
	s_or_b32 exec_lo, exec_lo, s28
	v_lshlrev_b32_e32 v37, 8, v10
	v_lshl_add_u32 v36, v36, 10, 0x2000
	v_lshlrev_b32_e32 v35, 7, v35
	s_delay_alu instid0(VALU_DEP_3) | instskip(NEXT) | instid1(VALU_DEP_3)
	v_and_b32_e32 v37, 0x8000, v37
	v_and_b32_e32 v36, 0xfc00, v36
	s_delay_alu instid0(VALU_DEP_1)
	v_or3_b32 v35, v37, v36, v35
.LBB247_372:                            ;   in Loop: Header=BB247_267 Depth=1
	s_or_b32 exec_lo, exec_lo, s27
.LBB247_373:                            ;   in Loop: Header=BB247_267 Depth=1
	s_delay_alu instid0(SALU_CYCLE_1)
	s_or_b32 exec_lo, exec_lo, s26
.LBB247_374:                            ;   in Loop: Header=BB247_267 Depth=1
	s_delay_alu instid0(SALU_CYCLE_1) | instskip(SKIP_3) | instid1(VALU_DEP_2)
	s_or_b32 exec_lo, exec_lo, s25
	v_lshrrev_b16 v1, 8, v1
	v_mov_b32_e32 v36, 0
	s_mov_b32 s25, exec_lo
	v_cmpx_ne_u16_e32 0, v1
	s_cbranch_execz .LBB247_382
; %bb.375:                              ;   in Loop: Header=BB247_267 Depth=1
	v_bfrev_b32_e32 v36, 1
	s_mov_b32 s26, exec_lo
	v_cmpx_ne_u16_e32 0x80, v1
	s_cbranch_execz .LBB247_381
; %bb.376:                              ;   in Loop: Header=BB247_267 Depth=1
	v_and_b32_e32 v37, 0xffff, v1
	v_mov_b32_e32 v36, 0x7c010000
	s_mov_b32 s27, exec_lo
	s_delay_alu instid0(VALU_DEP_2) | instskip(NEXT) | instid1(VALU_DEP_1)
	v_and_b32_e32 v39, 0x7f, v37
	v_cmpx_ne_u32_e32 0x7f, v39
	s_cbranch_execz .LBB247_380
; %bb.377:                              ;   in Loop: Header=BB247_267 Depth=1
	v_and_b32_e32 v36, 7, v37
	v_lshrrev_b32_e32 v38, 3, v39
	s_mov_b32 s28, exec_lo
	v_cmpx_gt_u32_e32 8, v39
; %bb.378:                              ;   in Loop: Header=BB247_267 Depth=1
	s_delay_alu instid0(VALU_DEP_3) | instskip(NEXT) | instid1(VALU_DEP_1)
	v_clz_i32_u32_e32 v36, v36
	v_min_u32_e32 v36, 32, v36
	s_delay_alu instid0(VALU_DEP_1) | instskip(NEXT) | instid1(VALU_DEP_1)
	v_subrev_nc_u32_e32 v38, 28, v36
	v_lshlrev_b64_e32 v[39:40], v38, v[1:2]
	v_sub_nc_u32_e32 v38, 29, v36
	s_delay_alu instid0(VALU_DEP_2)
	v_and_b32_e32 v36, 7, v39
; %bb.379:                              ;   in Loop: Header=BB247_267 Depth=1
	s_wait_alu 0xfffe
	s_or_b32 exec_lo, exec_lo, s28
	v_lshlrev_b32_e32 v1, 8, v37
	v_lshl_add_u32 v37, v38, 10, 0x2000
	v_lshlrev_b32_e32 v36, 23, v36
	s_delay_alu instid0(VALU_DEP_2) | instskip(NEXT) | instid1(VALU_DEP_1)
	v_and_or_b32 v1, 0x8000, v1, v37
	v_lshl_or_b32 v36, v1, 16, v36
.LBB247_380:                            ;   in Loop: Header=BB247_267 Depth=1
	s_or_b32 exec_lo, exec_lo, s27
.LBB247_381:                            ;   in Loop: Header=BB247_267 Depth=1
	s_delay_alu instid0(SALU_CYCLE_1)
	s_or_b32 exec_lo, exec_lo, s26
.LBB247_382:                            ;   in Loop: Header=BB247_267 Depth=1
	s_delay_alu instid0(SALU_CYCLE_1) | instskip(SKIP_2) | instid1(VALU_DEP_1)
	s_or_b32 exec_lo, exec_lo, s25
	v_lshrrev_b32_e32 v1, 16, v10
	s_mov_b32 s25, exec_lo
	v_and_b32_e32 v37, 0xff, v1
	s_delay_alu instid0(VALU_DEP_1)
	v_cmpx_ne_u16_e32 0, v37
	s_cbranch_execz .LBB247_390
; %bb.383:                              ;   in Loop: Header=BB247_267 Depth=1
	v_mov_b32_e32 v34, 0x8000
	s_mov_b32 s26, exec_lo
	v_cmpx_ne_u16_e32 0x80, v37
	s_cbranch_execz .LBB247_389
; %bb.384:                              ;   in Loop: Header=BB247_267 Depth=1
	v_bfe_u32 v38, v10, 16, 7
	v_mov_b32_e32 v34, 0x7c01
	s_mov_b32 s27, exec_lo
	s_delay_alu instid0(VALU_DEP_2)
	v_cmpx_ne_u32_e32 0x7f, v38
	s_cbranch_execz .LBB247_388
; %bb.385:                              ;   in Loop: Header=BB247_267 Depth=1
	v_and_b32_e32 v34, 7, v1
	v_lshrrev_b32_e32 v37, 3, v38
	s_mov_b32 s28, exec_lo
	v_cmpx_gt_u32_e32 8, v38
; %bb.386:                              ;   in Loop: Header=BB247_267 Depth=1
	s_delay_alu instid0(VALU_DEP_3) | instskip(NEXT) | instid1(VALU_DEP_1)
	v_clz_i32_u32_e32 v34, v34
	v_min_u32_e32 v34, 32, v34
	s_delay_alu instid0(VALU_DEP_1) | instskip(NEXT) | instid1(VALU_DEP_1)
	v_subrev_nc_u32_e32 v37, 28, v34
	v_lshlrev_b64_e32 v[38:39], v37, v[1:2]
	v_sub_nc_u32_e32 v37, 29, v34
	s_delay_alu instid0(VALU_DEP_2)
	v_and_b32_e32 v34, 7, v38
; %bb.387:                              ;   in Loop: Header=BB247_267 Depth=1
	s_wait_alu 0xfffe
	s_or_b32 exec_lo, exec_lo, s28
	v_lshlrev_b32_e32 v1, 8, v1
	v_lshl_add_u32 v37, v37, 10, 0x2000
	v_lshlrev_b32_e32 v34, 7, v34
	s_delay_alu instid0(VALU_DEP_3) | instskip(NEXT) | instid1(VALU_DEP_3)
	v_and_b32_e32 v1, 0x8000, v1
	v_and_b32_e32 v37, 0xfc00, v37
	s_delay_alu instid0(VALU_DEP_1)
	v_or3_b32 v34, v1, v37, v34
.LBB247_388:                            ;   in Loop: Header=BB247_267 Depth=1
	s_or_b32 exec_lo, exec_lo, s27
.LBB247_389:                            ;   in Loop: Header=BB247_267 Depth=1
	s_delay_alu instid0(SALU_CYCLE_1)
	s_or_b32 exec_lo, exec_lo, s26
.LBB247_390:                            ;   in Loop: Header=BB247_267 Depth=1
	s_delay_alu instid0(SALU_CYCLE_1)
	s_or_b32 exec_lo, exec_lo, s25
	v_cmp_lt_u64_e64 s1, s[2:3], v[9:10]
	v_mov_b32_e32 v9, 0
	s_and_saveexec_b32 s25, s1
	s_cbranch_execz .LBB247_398
; %bb.391:                              ;   in Loop: Header=BB247_267 Depth=1
	v_lshrrev_b32_e32 v1, 24, v10
	v_bfrev_b32_e32 v9, 1
	s_mov_b32 s26, exec_lo
	s_delay_alu instid0(VALU_DEP_2)
	v_cmpx_ne_u32_e32 0x80, v1
	s_cbranch_execz .LBB247_397
; %bb.392:                              ;   in Loop: Header=BB247_267 Depth=1
	v_and_b32_e32 v37, 0x7f, v1
	v_mov_b32_e32 v9, 0x7c010000
	s_mov_b32 s27, exec_lo
	s_delay_alu instid0(VALU_DEP_2)
	v_cmpx_ne_u32_e32 0x7f, v37
	s_cbranch_execz .LBB247_396
; %bb.393:                              ;   in Loop: Header=BB247_267 Depth=1
	v_and_b32_e32 v9, 7, v1
	v_lshrrev_b32_e32 v10, 3, v37
	s_mov_b32 s28, exec_lo
	v_cmpx_gt_u32_e32 8, v37
; %bb.394:                              ;   in Loop: Header=BB247_267 Depth=1
	s_delay_alu instid0(VALU_DEP_3) | instskip(NEXT) | instid1(VALU_DEP_1)
	v_clz_i32_u32_e32 v9, v9
	v_min_u32_e32 v37, 32, v9
	s_delay_alu instid0(VALU_DEP_1) | instskip(NEXT) | instid1(VALU_DEP_1)
	v_subrev_nc_u32_e32 v9, 28, v37
	v_lshlrev_b64_e32 v[9:10], v9, v[1:2]
	v_sub_nc_u32_e32 v10, 29, v37
	s_delay_alu instid0(VALU_DEP_2)
	v_and_b32_e32 v9, 7, v9
; %bb.395:                              ;   in Loop: Header=BB247_267 Depth=1
	s_wait_alu 0xfffe
	s_or_b32 exec_lo, exec_lo, s28
	v_lshlrev_b32_e32 v1, 8, v1
	v_lshl_add_u32 v10, v10, 10, 0x2000
	v_lshlrev_b32_e32 v9, 23, v9
	s_delay_alu instid0(VALU_DEP_2) | instskip(NEXT) | instid1(VALU_DEP_1)
	v_and_or_b32 v1, 0x8000, v1, v10
	v_lshl_or_b32 v9, v1, 16, v9
.LBB247_396:                            ;   in Loop: Header=BB247_267 Depth=1
	s_or_b32 exec_lo, exec_lo, s27
.LBB247_397:                            ;   in Loop: Header=BB247_267 Depth=1
	s_delay_alu instid0(SALU_CYCLE_1)
	s_or_b32 exec_lo, exec_lo, s26
.LBB247_398:                            ;   in Loop: Header=BB247_267 Depth=1
	s_delay_alu instid0(SALU_CYCLE_1)
	s_or_b32 exec_lo, exec_lo, s25
	v_or_b32_e32 v1, v32, v33
	s_wait_loadcnt 0x0
	v_fma_mixlo_f16 v10, v29, v32, 0 op_sel:[0,1,0] op_sel_hi:[0,1,0]
	v_or_b32_e32 v31, v30, v31
	v_or_b32_e32 v33, v36, v35
	;; [unrolled: 1-line block ×3, first 2 shown]
	v_fma_mixlo_f16 v1, v29, v1, 0 op_sel_hi:[0,1,0]
	v_fma_mixlo_f16 v32, v29, v30, 0 op_sel:[0,1,0] op_sel_hi:[0,1,0]
	v_lshlrev_b32_e32 v30, 16, v10
	v_fma_mixlo_f16 v10, v29, v31, 0 op_sel_hi:[0,1,0]
	v_fma_mixlo_f16 v33, v29, v33, 0 op_sel_hi:[0,1,0]
	v_and_b32_e32 v31, 0xffff, v1
	v_fma_mixlo_f16 v1, v29, v36, 0 op_sel:[0,1,0] op_sel_hi:[0,1,0]
	v_fma_mixlo_f16 v35, v29, v9, 0 op_sel:[0,1,0] op_sel_hi:[0,1,0]
	v_fma_mixlo_f16 v34, v29, v34, 0 op_sel_hi:[0,1,0]
	v_lshlrev_b32_e32 v32, 16, v32
	v_and_b32_e32 v36, 0xffff, v10
	v_lshlrev_b32_e32 v9, 16, v1
	v_and_b32_e32 v29, 0xffff, v33
	;; [unrolled: 2-line block ×3, first 2 shown]
	v_or_b32_e32 v33, v30, v31
	v_or_b32_e32 v37, v32, v36
	;; [unrolled: 1-line block ×3, first 2 shown]
	s_delay_alu instid0(VALU_DEP_4)
	v_or_b32_e32 v34, v1, v10
	s_and_saveexec_b32 s25, s0
	s_cbranch_execz .LBB247_400
; %bb.399:                              ;   in Loop: Header=BB247_267 Depth=1
	v_add_nc_u32_e32 v33, 1, v12
	v_cmp_gt_i32_e64 s1, s34, v12
	v_add_nc_u32_e32 v34, 2, v12
	s_wait_alu 0xf1ff
	s_delay_alu instid0(VALU_DEP_2) | instskip(SKIP_4) | instid1(VALU_DEP_3)
	v_cndmask_b32_e64 v35, 0, v36, s1
	v_cmp_gt_i32_e64 s1, s34, v33
	v_add_nc_u32_e32 v36, 3, v12
	v_add_nc_u32_e32 v33, 4, v12
	s_wait_alu 0xf1ff
	v_cndmask_b32_e64 v32, 0, v32, s1
	v_cmp_gt_i32_e64 s1, s34, v34
	v_add_nc_u32_e32 v34, 5, v12
	s_delay_alu instid0(VALU_DEP_3) | instskip(SKIP_1) | instid1(VALU_DEP_3)
	v_or_b32_e32 v37, v32, v35
	s_wait_alu 0xf1ff
	v_cndmask_b32_e64 v31, 0, v31, s1
	v_cmp_gt_i32_e64 s1, s34, v36
	v_add_nc_u32_e32 v36, 6, v12
	s_wait_alu 0xf1ff
	s_delay_alu instid0(VALU_DEP_2) | instskip(SKIP_3) | instid1(VALU_DEP_2)
	v_cndmask_b32_e64 v30, 0, v30, s1
	v_cmp_gt_i32_e64 s1, s34, v33
	v_add_nc_u32_e32 v33, 7, v12
	s_wait_alu 0xf1ff
	v_cndmask_b32_e64 v29, 0, v29, s1
	v_cmp_gt_i32_e64 s1, s34, v34
	s_wait_alu 0xf1ff
	s_delay_alu instid0(VALU_DEP_1) | instskip(SKIP_1) | instid1(VALU_DEP_2)
	v_cndmask_b32_e64 v9, 0, v9, s1
	v_cmp_gt_i32_e64 s1, s34, v36
	v_or_b32_e32 v35, v9, v29
	s_wait_alu 0xf1ff
	s_delay_alu instid0(VALU_DEP_2) | instskip(SKIP_3) | instid1(VALU_DEP_2)
	v_cndmask_b32_e64 v10, 0, v10, s1
	v_cmp_gt_i32_e64 s1, s34, v33
	v_or_b32_e32 v33, v30, v31
	s_wait_alu 0xf1ff
	v_cndmask_b32_e64 v1, 0, v1, s1
	s_delay_alu instid0(VALU_DEP_1)
	v_or_b32_e32 v34, v1, v10
.LBB247_400:                            ;   in Loop: Header=BB247_267 Depth=1
	s_or_b32 exec_lo, exec_lo, s25
	;;#ASMSTART
	v_pk_mul_f16 v1, v28, v37;

	;;#ASMEND
	;;#ASMSTART
	v_pk_mul_f16 v9, v27, v33;

	;;#ASMEND
	;; [unrolled: 4-line block ×4, first 2 shown]
	;;#ASMSTART
	v_pk_add_f16 v1, v1, v9;

	;;#ASMEND
	;;#ASMSTART
	v_pk_add_f16 v1, v1, v10;

	;;#ASMEND
	;; [unrolled: 4-line block ×3, first 2 shown]
	v_dual_mov_b32 v30, 0 :: v_dual_and_b32 v9, 0xffff, v1
	v_lshrrev_b32_e32 v1, 16, v1
	;;#ASMSTART
	v_cvt_f32_f16 v9, v9;
	;;#ASMEND
	;;#ASMSTART
	v_cvt_f32_f16 v10, v1;
	;;#ASMEND
	global_load_b64 v[7:8], v[7:8], off offset:512
	global_load_b32 v29, v30, s[10:11]
	v_mov_b32_e32 v31, 0
	s_mov_b32 s25, exec_lo
	s_wait_loadcnt 0x1
	v_and_b32_e32 v1, 0xff, v7
	s_delay_alu instid0(VALU_DEP_1)
	v_cmpx_ne_u16_e32 0, v1
	s_cbranch_execz .LBB247_408
; %bb.401:                              ;   in Loop: Header=BB247_267 Depth=1
	v_mov_b32_e32 v31, 0x8000
	s_mov_b32 s26, exec_lo
	v_cmpx_ne_u16_e32 0x80, v1
	s_cbranch_execz .LBB247_407
; %bb.402:                              ;   in Loop: Header=BB247_267 Depth=1
	v_and_b32_e32 v32, 0x7f, v7
	v_mov_b32_e32 v31, 0x7c01
	s_mov_b32 s27, exec_lo
	s_delay_alu instid0(VALU_DEP_2)
	v_cmpx_ne_u32_e32 0x7f, v32
	s_cbranch_execz .LBB247_406
; %bb.403:                              ;   in Loop: Header=BB247_267 Depth=1
	v_and_b32_e32 v1, 7, v7
	v_lshrrev_b32_e32 v31, 3, v32
	s_mov_b32 s28, exec_lo
	v_cmpx_gt_u32_e32 8, v32
; %bb.404:                              ;   in Loop: Header=BB247_267 Depth=1
	s_delay_alu instid0(VALU_DEP_3) | instskip(NEXT) | instid1(VALU_DEP_1)
	v_clz_i32_u32_e32 v1, v1
	v_min_u32_e32 v1, 32, v1
	s_delay_alu instid0(VALU_DEP_1) | instskip(NEXT) | instid1(VALU_DEP_1)
	v_subrev_nc_u32_e32 v31, 28, v1
	v_lshlrev_b64_e32 v[32:33], v31, v[7:8]
	v_sub_nc_u32_e32 v31, 29, v1
	s_delay_alu instid0(VALU_DEP_2)
	v_and_b32_e32 v1, 7, v32
; %bb.405:                              ;   in Loop: Header=BB247_267 Depth=1
	s_wait_alu 0xfffe
	s_or_b32 exec_lo, exec_lo, s28
	v_lshlrev_b32_e32 v32, 8, v7
	v_lshl_add_u32 v31, v31, 10, 0x2000
	v_lshlrev_b32_e32 v1, 7, v1
	s_delay_alu instid0(VALU_DEP_3) | instskip(NEXT) | instid1(VALU_DEP_3)
	v_and_b32_e32 v32, 0x8000, v32
	v_and_b32_e32 v31, 0xfc00, v31
	s_delay_alu instid0(VALU_DEP_1)
	v_or3_b32 v31, v32, v31, v1
.LBB247_406:                            ;   in Loop: Header=BB247_267 Depth=1
	s_or_b32 exec_lo, exec_lo, s27
.LBB247_407:                            ;   in Loop: Header=BB247_267 Depth=1
	s_delay_alu instid0(SALU_CYCLE_1)
	s_or_b32 exec_lo, exec_lo, s26
.LBB247_408:                            ;   in Loop: Header=BB247_267 Depth=1
	s_delay_alu instid0(SALU_CYCLE_1) | instskip(SKIP_2) | instid1(VALU_DEP_1)
	s_or_b32 exec_lo, exec_lo, s25
	v_lshrrev_b16 v1, 8, v7
	s_mov_b32 s25, exec_lo
	v_cmpx_ne_u16_e32 0, v1
	s_cbranch_execz .LBB247_416
; %bb.409:                              ;   in Loop: Header=BB247_267 Depth=1
	v_bfrev_b32_e32 v30, 1
	s_mov_b32 s26, exec_lo
	v_cmpx_ne_u16_e32 0x80, v1
	s_cbranch_execz .LBB247_415
; %bb.410:                              ;   in Loop: Header=BB247_267 Depth=1
	v_and_b32_e32 v32, 0xffff, v1
	v_mov_b32_e32 v30, 0x7c010000
	s_mov_b32 s27, exec_lo
	s_delay_alu instid0(VALU_DEP_2) | instskip(NEXT) | instid1(VALU_DEP_1)
	v_and_b32_e32 v34, 0x7f, v32
	v_cmpx_ne_u32_e32 0x7f, v34
	s_cbranch_execz .LBB247_414
; %bb.411:                              ;   in Loop: Header=BB247_267 Depth=1
	v_and_b32_e32 v30, 7, v32
	v_lshrrev_b32_e32 v33, 3, v34
	s_mov_b32 s28, exec_lo
	v_cmpx_gt_u32_e32 8, v34
; %bb.412:                              ;   in Loop: Header=BB247_267 Depth=1
	s_delay_alu instid0(VALU_DEP_3) | instskip(NEXT) | instid1(VALU_DEP_1)
	v_clz_i32_u32_e32 v30, v30
	v_min_u32_e32 v30, 32, v30
	s_delay_alu instid0(VALU_DEP_1) | instskip(NEXT) | instid1(VALU_DEP_1)
	v_subrev_nc_u32_e32 v33, 28, v30
	v_lshlrev_b64_e32 v[34:35], v33, v[1:2]
	v_sub_nc_u32_e32 v33, 29, v30
	s_delay_alu instid0(VALU_DEP_2)
	v_and_b32_e32 v30, 7, v34
; %bb.413:                              ;   in Loop: Header=BB247_267 Depth=1
	s_wait_alu 0xfffe
	s_or_b32 exec_lo, exec_lo, s28
	v_lshlrev_b32_e32 v1, 8, v32
	v_lshl_add_u32 v32, v33, 10, 0x2000
	v_lshlrev_b32_e32 v30, 23, v30
	s_delay_alu instid0(VALU_DEP_2) | instskip(NEXT) | instid1(VALU_DEP_1)
	v_and_or_b32 v1, 0x8000, v1, v32
	v_lshl_or_b32 v30, v1, 16, v30
.LBB247_414:                            ;   in Loop: Header=BB247_267 Depth=1
	s_or_b32 exec_lo, exec_lo, s27
.LBB247_415:                            ;   in Loop: Header=BB247_267 Depth=1
	s_delay_alu instid0(SALU_CYCLE_1)
	s_or_b32 exec_lo, exec_lo, s26
.LBB247_416:                            ;   in Loop: Header=BB247_267 Depth=1
	s_delay_alu instid0(SALU_CYCLE_1) | instskip(SKIP_3) | instid1(VALU_DEP_2)
	s_or_b32 exec_lo, exec_lo, s25
	v_lshrrev_b32_e32 v1, 16, v7
	v_mov_b32_e32 v32, 0
	s_mov_b32 s25, exec_lo
	v_dual_mov_b32 v33, 0 :: v_dual_and_b32 v34, 0xff, v1
	s_delay_alu instid0(VALU_DEP_1)
	v_cmpx_ne_u16_e32 0, v34
	s_cbranch_execz .LBB247_424
; %bb.417:                              ;   in Loop: Header=BB247_267 Depth=1
	v_mov_b32_e32 v33, 0x8000
	s_mov_b32 s26, exec_lo
	v_cmpx_ne_u16_e32 0x80, v34
	s_cbranch_execz .LBB247_423
; %bb.418:                              ;   in Loop: Header=BB247_267 Depth=1
	v_bfe_u32 v35, v7, 16, 7
	v_mov_b32_e32 v33, 0x7c01
	s_mov_b32 s27, exec_lo
	s_delay_alu instid0(VALU_DEP_2)
	v_cmpx_ne_u32_e32 0x7f, v35
	s_cbranch_execz .LBB247_422
; %bb.419:                              ;   in Loop: Header=BB247_267 Depth=1
	v_and_b32_e32 v33, 7, v1
	v_lshrrev_b32_e32 v34, 3, v35
	s_mov_b32 s28, exec_lo
	v_cmpx_gt_u32_e32 8, v35
; %bb.420:                              ;   in Loop: Header=BB247_267 Depth=1
	s_delay_alu instid0(VALU_DEP_3) | instskip(NEXT) | instid1(VALU_DEP_1)
	v_clz_i32_u32_e32 v33, v33
	v_min_u32_e32 v35, 32, v33
	s_delay_alu instid0(VALU_DEP_1) | instskip(NEXT) | instid1(VALU_DEP_1)
	v_subrev_nc_u32_e32 v33, 28, v35
	v_lshlrev_b64_e32 v[33:34], v33, v[1:2]
	v_sub_nc_u32_e32 v34, 29, v35
	s_delay_alu instid0(VALU_DEP_2)
	v_and_b32_e32 v33, 7, v33
; %bb.421:                              ;   in Loop: Header=BB247_267 Depth=1
	s_wait_alu 0xfffe
	s_or_b32 exec_lo, exec_lo, s28
	v_lshlrev_b32_e32 v1, 8, v1
	v_lshl_add_u32 v34, v34, 10, 0x2000
	v_lshlrev_b32_e32 v33, 7, v33
	s_delay_alu instid0(VALU_DEP_3) | instskip(NEXT) | instid1(VALU_DEP_3)
	v_and_b32_e32 v1, 0x8000, v1
	v_and_b32_e32 v34, 0xfc00, v34
	s_delay_alu instid0(VALU_DEP_1)
	v_or3_b32 v33, v1, v34, v33
.LBB247_422:                            ;   in Loop: Header=BB247_267 Depth=1
	s_or_b32 exec_lo, exec_lo, s27
.LBB247_423:                            ;   in Loop: Header=BB247_267 Depth=1
	s_delay_alu instid0(SALU_CYCLE_1)
	s_or_b32 exec_lo, exec_lo, s26
.LBB247_424:                            ;   in Loop: Header=BB247_267 Depth=1
	s_delay_alu instid0(SALU_CYCLE_1) | instskip(NEXT) | instid1(SALU_CYCLE_1)
	s_or_b32 exec_lo, exec_lo, s25
	s_mov_b32 s25, exec_lo
	v_cmpx_lt_u32_e32 0xffffff, v7
	s_cbranch_execz .LBB247_432
; %bb.425:                              ;   in Loop: Header=BB247_267 Depth=1
	v_lshrrev_b32_e32 v1, 24, v7
	v_bfrev_b32_e32 v32, 1
	s_mov_b32 s26, exec_lo
	s_delay_alu instid0(VALU_DEP_2)
	v_cmpx_ne_u32_e32 0x80, v1
	s_cbranch_execz .LBB247_431
; %bb.426:                              ;   in Loop: Header=BB247_267 Depth=1
	v_and_b32_e32 v35, 0x7f, v1
	v_mov_b32_e32 v32, 0x7c010000
	s_mov_b32 s27, exec_lo
	s_delay_alu instid0(VALU_DEP_2)
	v_cmpx_ne_u32_e32 0x7f, v35
	s_cbranch_execz .LBB247_430
; %bb.427:                              ;   in Loop: Header=BB247_267 Depth=1
	v_and_b32_e32 v32, 7, v1
	v_lshrrev_b32_e32 v34, 3, v35
	s_mov_b32 s28, exec_lo
	v_cmpx_gt_u32_e32 8, v35
; %bb.428:                              ;   in Loop: Header=BB247_267 Depth=1
	s_delay_alu instid0(VALU_DEP_3) | instskip(NEXT) | instid1(VALU_DEP_1)
	v_clz_i32_u32_e32 v32, v32
	v_min_u32_e32 v32, 32, v32
	s_delay_alu instid0(VALU_DEP_1) | instskip(NEXT) | instid1(VALU_DEP_1)
	v_subrev_nc_u32_e32 v34, 28, v32
	v_lshlrev_b64_e32 v[35:36], v34, v[1:2]
	v_sub_nc_u32_e32 v34, 29, v32
	s_delay_alu instid0(VALU_DEP_2)
	v_and_b32_e32 v32, 7, v35
; %bb.429:                              ;   in Loop: Header=BB247_267 Depth=1
	s_wait_alu 0xfffe
	s_or_b32 exec_lo, exec_lo, s28
	v_lshlrev_b32_e32 v1, 8, v1
	v_lshl_add_u32 v34, v34, 10, 0x2000
	v_lshlrev_b32_e32 v32, 23, v32
	s_delay_alu instid0(VALU_DEP_2) | instskip(NEXT) | instid1(VALU_DEP_1)
	v_and_or_b32 v1, 0x8000, v1, v34
	v_lshl_or_b32 v32, v1, 16, v32
.LBB247_430:                            ;   in Loop: Header=BB247_267 Depth=1
	s_or_b32 exec_lo, exec_lo, s27
.LBB247_431:                            ;   in Loop: Header=BB247_267 Depth=1
	s_delay_alu instid0(SALU_CYCLE_1)
	s_or_b32 exec_lo, exec_lo, s26
.LBB247_432:                            ;   in Loop: Header=BB247_267 Depth=1
	s_delay_alu instid0(SALU_CYCLE_1) | instskip(SKIP_3) | instid1(VALU_DEP_2)
	s_or_b32 exec_lo, exec_lo, s25
	v_dual_mov_b32 v1, v8 :: v_dual_and_b32 v36, 0xff, v8
	v_dual_mov_b32 v34, 0 :: v_dual_mov_b32 v35, 0
	s_mov_b32 s25, exec_lo
	v_cmpx_ne_u16_e32 0, v36
	s_cbranch_execz .LBB247_440
; %bb.433:                              ;   in Loop: Header=BB247_267 Depth=1
	v_mov_b32_e32 v35, 0x8000
	s_mov_b32 s26, exec_lo
	v_cmpx_ne_u16_e32 0x80, v36
	s_cbranch_execz .LBB247_439
; %bb.434:                              ;   in Loop: Header=BB247_267 Depth=1
	v_and_b32_e32 v37, 0x7f, v8
	v_mov_b32_e32 v35, 0x7c01
	s_mov_b32 s27, exec_lo
	s_delay_alu instid0(VALU_DEP_2)
	v_cmpx_ne_u32_e32 0x7f, v37
	s_cbranch_execz .LBB247_438
; %bb.435:                              ;   in Loop: Header=BB247_267 Depth=1
	v_and_b32_e32 v35, 7, v8
	v_lshrrev_b32_e32 v36, 3, v37
	s_mov_b32 s28, exec_lo
	v_cmpx_gt_u32_e32 8, v37
; %bb.436:                              ;   in Loop: Header=BB247_267 Depth=1
	s_delay_alu instid0(VALU_DEP_3) | instskip(NEXT) | instid1(VALU_DEP_1)
	v_clz_i32_u32_e32 v35, v35
	v_min_u32_e32 v37, 32, v35
	s_delay_alu instid0(VALU_DEP_1) | instskip(NEXT) | instid1(VALU_DEP_1)
	v_subrev_nc_u32_e32 v35, 28, v37
	v_lshlrev_b64_e32 v[35:36], v35, v[1:2]
	v_sub_nc_u32_e32 v36, 29, v37
	s_delay_alu instid0(VALU_DEP_2)
	v_and_b32_e32 v35, 7, v35
; %bb.437:                              ;   in Loop: Header=BB247_267 Depth=1
	s_wait_alu 0xfffe
	s_or_b32 exec_lo, exec_lo, s28
	v_lshlrev_b32_e32 v37, 8, v8
	v_lshl_add_u32 v36, v36, 10, 0x2000
	v_lshlrev_b32_e32 v35, 7, v35
	s_delay_alu instid0(VALU_DEP_3) | instskip(NEXT) | instid1(VALU_DEP_3)
	v_and_b32_e32 v37, 0x8000, v37
	v_and_b32_e32 v36, 0xfc00, v36
	s_delay_alu instid0(VALU_DEP_1)
	v_or3_b32 v35, v37, v36, v35
.LBB247_438:                            ;   in Loop: Header=BB247_267 Depth=1
	s_or_b32 exec_lo, exec_lo, s27
.LBB247_439:                            ;   in Loop: Header=BB247_267 Depth=1
	s_delay_alu instid0(SALU_CYCLE_1)
	s_or_b32 exec_lo, exec_lo, s26
.LBB247_440:                            ;   in Loop: Header=BB247_267 Depth=1
	s_delay_alu instid0(SALU_CYCLE_1) | instskip(SKIP_3) | instid1(VALU_DEP_2)
	s_or_b32 exec_lo, exec_lo, s25
	v_lshrrev_b16 v1, 8, v1
	v_mov_b32_e32 v36, 0
	s_mov_b32 s25, exec_lo
	v_cmpx_ne_u16_e32 0, v1
	s_cbranch_execz .LBB247_448
; %bb.441:                              ;   in Loop: Header=BB247_267 Depth=1
	v_bfrev_b32_e32 v36, 1
	s_mov_b32 s26, exec_lo
	v_cmpx_ne_u16_e32 0x80, v1
	s_cbranch_execz .LBB247_447
; %bb.442:                              ;   in Loop: Header=BB247_267 Depth=1
	v_and_b32_e32 v37, 0xffff, v1
	v_mov_b32_e32 v36, 0x7c010000
	s_mov_b32 s27, exec_lo
	s_delay_alu instid0(VALU_DEP_2) | instskip(NEXT) | instid1(VALU_DEP_1)
	v_and_b32_e32 v39, 0x7f, v37
	v_cmpx_ne_u32_e32 0x7f, v39
	s_cbranch_execz .LBB247_446
; %bb.443:                              ;   in Loop: Header=BB247_267 Depth=1
	v_and_b32_e32 v36, 7, v37
	v_lshrrev_b32_e32 v38, 3, v39
	s_mov_b32 s28, exec_lo
	v_cmpx_gt_u32_e32 8, v39
; %bb.444:                              ;   in Loop: Header=BB247_267 Depth=1
	s_delay_alu instid0(VALU_DEP_3) | instskip(NEXT) | instid1(VALU_DEP_1)
	v_clz_i32_u32_e32 v36, v36
	v_min_u32_e32 v36, 32, v36
	s_delay_alu instid0(VALU_DEP_1) | instskip(NEXT) | instid1(VALU_DEP_1)
	v_subrev_nc_u32_e32 v38, 28, v36
	v_lshlrev_b64_e32 v[39:40], v38, v[1:2]
	v_sub_nc_u32_e32 v38, 29, v36
	s_delay_alu instid0(VALU_DEP_2)
	v_and_b32_e32 v36, 7, v39
; %bb.445:                              ;   in Loop: Header=BB247_267 Depth=1
	s_wait_alu 0xfffe
	s_or_b32 exec_lo, exec_lo, s28
	v_lshlrev_b32_e32 v1, 8, v37
	v_lshl_add_u32 v37, v38, 10, 0x2000
	v_lshlrev_b32_e32 v36, 23, v36
	s_delay_alu instid0(VALU_DEP_2) | instskip(NEXT) | instid1(VALU_DEP_1)
	v_and_or_b32 v1, 0x8000, v1, v37
	v_lshl_or_b32 v36, v1, 16, v36
.LBB247_446:                            ;   in Loop: Header=BB247_267 Depth=1
	s_or_b32 exec_lo, exec_lo, s27
.LBB247_447:                            ;   in Loop: Header=BB247_267 Depth=1
	s_delay_alu instid0(SALU_CYCLE_1)
	s_or_b32 exec_lo, exec_lo, s26
.LBB247_448:                            ;   in Loop: Header=BB247_267 Depth=1
	s_delay_alu instid0(SALU_CYCLE_1) | instskip(SKIP_2) | instid1(VALU_DEP_1)
	s_or_b32 exec_lo, exec_lo, s25
	v_lshrrev_b32_e32 v1, 16, v8
	s_mov_b32 s25, exec_lo
	v_and_b32_e32 v37, 0xff, v1
	s_delay_alu instid0(VALU_DEP_1)
	v_cmpx_ne_u16_e32 0, v37
	s_cbranch_execz .LBB247_456
; %bb.449:                              ;   in Loop: Header=BB247_267 Depth=1
	v_mov_b32_e32 v34, 0x8000
	s_mov_b32 s26, exec_lo
	v_cmpx_ne_u16_e32 0x80, v37
	s_cbranch_execz .LBB247_455
; %bb.450:                              ;   in Loop: Header=BB247_267 Depth=1
	v_bfe_u32 v38, v8, 16, 7
	v_mov_b32_e32 v34, 0x7c01
	s_mov_b32 s27, exec_lo
	s_delay_alu instid0(VALU_DEP_2)
	v_cmpx_ne_u32_e32 0x7f, v38
	s_cbranch_execz .LBB247_454
; %bb.451:                              ;   in Loop: Header=BB247_267 Depth=1
	v_and_b32_e32 v34, 7, v1
	v_lshrrev_b32_e32 v37, 3, v38
	s_mov_b32 s28, exec_lo
	v_cmpx_gt_u32_e32 8, v38
; %bb.452:                              ;   in Loop: Header=BB247_267 Depth=1
	s_delay_alu instid0(VALU_DEP_3) | instskip(NEXT) | instid1(VALU_DEP_1)
	v_clz_i32_u32_e32 v34, v34
	v_min_u32_e32 v34, 32, v34
	s_delay_alu instid0(VALU_DEP_1) | instskip(NEXT) | instid1(VALU_DEP_1)
	v_subrev_nc_u32_e32 v37, 28, v34
	v_lshlrev_b64_e32 v[38:39], v37, v[1:2]
	v_sub_nc_u32_e32 v37, 29, v34
	s_delay_alu instid0(VALU_DEP_2)
	v_and_b32_e32 v34, 7, v38
; %bb.453:                              ;   in Loop: Header=BB247_267 Depth=1
	s_wait_alu 0xfffe
	s_or_b32 exec_lo, exec_lo, s28
	v_lshlrev_b32_e32 v1, 8, v1
	v_lshl_add_u32 v37, v37, 10, 0x2000
	v_lshlrev_b32_e32 v34, 7, v34
	s_delay_alu instid0(VALU_DEP_3) | instskip(NEXT) | instid1(VALU_DEP_3)
	v_and_b32_e32 v1, 0x8000, v1
	v_and_b32_e32 v37, 0xfc00, v37
	s_delay_alu instid0(VALU_DEP_1)
	v_or3_b32 v34, v1, v37, v34
.LBB247_454:                            ;   in Loop: Header=BB247_267 Depth=1
	s_or_b32 exec_lo, exec_lo, s27
.LBB247_455:                            ;   in Loop: Header=BB247_267 Depth=1
	s_delay_alu instid0(SALU_CYCLE_1)
	s_or_b32 exec_lo, exec_lo, s26
.LBB247_456:                            ;   in Loop: Header=BB247_267 Depth=1
	s_delay_alu instid0(SALU_CYCLE_1)
	s_or_b32 exec_lo, exec_lo, s25
	v_cmp_lt_u64_e64 s1, s[2:3], v[7:8]
	v_mov_b32_e32 v7, 0
	s_and_saveexec_b32 s25, s1
	s_cbranch_execz .LBB247_464
; %bb.457:                              ;   in Loop: Header=BB247_267 Depth=1
	v_lshrrev_b32_e32 v1, 24, v8
	v_bfrev_b32_e32 v7, 1
	s_mov_b32 s26, exec_lo
	s_delay_alu instid0(VALU_DEP_2)
	v_cmpx_ne_u32_e32 0x80, v1
	s_cbranch_execz .LBB247_463
; %bb.458:                              ;   in Loop: Header=BB247_267 Depth=1
	v_and_b32_e32 v37, 0x7f, v1
	v_mov_b32_e32 v7, 0x7c010000
	s_mov_b32 s27, exec_lo
	s_delay_alu instid0(VALU_DEP_2)
	v_cmpx_ne_u32_e32 0x7f, v37
	s_cbranch_execz .LBB247_462
; %bb.459:                              ;   in Loop: Header=BB247_267 Depth=1
	v_and_b32_e32 v7, 7, v1
	v_lshrrev_b32_e32 v8, 3, v37
	s_mov_b32 s28, exec_lo
	v_cmpx_gt_u32_e32 8, v37
; %bb.460:                              ;   in Loop: Header=BB247_267 Depth=1
	s_delay_alu instid0(VALU_DEP_3) | instskip(NEXT) | instid1(VALU_DEP_1)
	v_clz_i32_u32_e32 v7, v7
	v_min_u32_e32 v37, 32, v7
	s_delay_alu instid0(VALU_DEP_1) | instskip(NEXT) | instid1(VALU_DEP_1)
	v_subrev_nc_u32_e32 v7, 28, v37
	v_lshlrev_b64_e32 v[7:8], v7, v[1:2]
	v_sub_nc_u32_e32 v8, 29, v37
	s_delay_alu instid0(VALU_DEP_2)
	v_and_b32_e32 v7, 7, v7
; %bb.461:                              ;   in Loop: Header=BB247_267 Depth=1
	s_wait_alu 0xfffe
	s_or_b32 exec_lo, exec_lo, s28
	v_lshlrev_b32_e32 v1, 8, v1
	v_lshl_add_u32 v8, v8, 10, 0x2000
	v_lshlrev_b32_e32 v7, 23, v7
	s_delay_alu instid0(VALU_DEP_2) | instskip(NEXT) | instid1(VALU_DEP_1)
	v_and_or_b32 v1, 0x8000, v1, v8
	v_lshl_or_b32 v7, v1, 16, v7
.LBB247_462:                            ;   in Loop: Header=BB247_267 Depth=1
	s_or_b32 exec_lo, exec_lo, s27
.LBB247_463:                            ;   in Loop: Header=BB247_267 Depth=1
	s_delay_alu instid0(SALU_CYCLE_1)
	s_or_b32 exec_lo, exec_lo, s26
.LBB247_464:                            ;   in Loop: Header=BB247_267 Depth=1
	s_delay_alu instid0(SALU_CYCLE_1)
	s_or_b32 exec_lo, exec_lo, s25
	v_or_b32_e32 v1, v32, v33
	s_wait_loadcnt 0x0
	v_fma_mixlo_f16 v8, v29, v32, 0 op_sel:[0,1,0] op_sel_hi:[0,1,0]
	v_or_b32_e32 v31, v30, v31
	v_or_b32_e32 v33, v36, v35
	;; [unrolled: 1-line block ×3, first 2 shown]
	v_fma_mixlo_f16 v1, v29, v1, 0 op_sel_hi:[0,1,0]
	v_fma_mixlo_f16 v32, v29, v30, 0 op_sel:[0,1,0] op_sel_hi:[0,1,0]
	v_lshlrev_b32_e32 v30, 16, v8
	v_fma_mixlo_f16 v8, v29, v31, 0 op_sel_hi:[0,1,0]
	v_fma_mixlo_f16 v33, v29, v33, 0 op_sel_hi:[0,1,0]
	v_and_b32_e32 v31, 0xffff, v1
	v_fma_mixlo_f16 v1, v29, v36, 0 op_sel:[0,1,0] op_sel_hi:[0,1,0]
	v_fma_mixlo_f16 v35, v29, v7, 0 op_sel:[0,1,0] op_sel_hi:[0,1,0]
	v_fma_mixlo_f16 v34, v29, v34, 0 op_sel_hi:[0,1,0]
	v_lshlrev_b32_e32 v32, 16, v32
	v_and_b32_e32 v36, 0xffff, v8
	v_lshlrev_b32_e32 v7, 16, v1
	v_and_b32_e32 v29, 0xffff, v33
	;; [unrolled: 2-line block ×3, first 2 shown]
	v_or_b32_e32 v33, v30, v31
	v_or_b32_e32 v37, v32, v36
	;; [unrolled: 1-line block ×3, first 2 shown]
	s_delay_alu instid0(VALU_DEP_4)
	v_or_b32_e32 v34, v1, v8
	s_and_saveexec_b32 s25, s0
	s_cbranch_execz .LBB247_466
; %bb.465:                              ;   in Loop: Header=BB247_267 Depth=1
	v_add_nc_u32_e32 v33, 1, v12
	v_cmp_gt_i32_e64 s1, s34, v12
	v_add_nc_u32_e32 v34, 2, v12
	s_wait_alu 0xf1ff
	s_delay_alu instid0(VALU_DEP_2) | instskip(SKIP_4) | instid1(VALU_DEP_3)
	v_cndmask_b32_e64 v35, 0, v36, s1
	v_cmp_gt_i32_e64 s1, s34, v33
	v_add_nc_u32_e32 v36, 3, v12
	v_add_nc_u32_e32 v33, 4, v12
	s_wait_alu 0xf1ff
	v_cndmask_b32_e64 v32, 0, v32, s1
	v_cmp_gt_i32_e64 s1, s34, v34
	v_add_nc_u32_e32 v34, 5, v12
	s_delay_alu instid0(VALU_DEP_3) | instskip(SKIP_1) | instid1(VALU_DEP_3)
	v_or_b32_e32 v37, v32, v35
	s_wait_alu 0xf1ff
	v_cndmask_b32_e64 v31, 0, v31, s1
	v_cmp_gt_i32_e64 s1, s34, v36
	v_add_nc_u32_e32 v36, 6, v12
	s_wait_alu 0xf1ff
	s_delay_alu instid0(VALU_DEP_2) | instskip(SKIP_3) | instid1(VALU_DEP_2)
	v_cndmask_b32_e64 v30, 0, v30, s1
	v_cmp_gt_i32_e64 s1, s34, v33
	v_add_nc_u32_e32 v33, 7, v12
	s_wait_alu 0xf1ff
	v_cndmask_b32_e64 v29, 0, v29, s1
	v_cmp_gt_i32_e64 s1, s34, v34
	s_wait_alu 0xf1ff
	s_delay_alu instid0(VALU_DEP_1) | instskip(SKIP_1) | instid1(VALU_DEP_2)
	v_cndmask_b32_e64 v7, 0, v7, s1
	v_cmp_gt_i32_e64 s1, s34, v36
	v_or_b32_e32 v35, v7, v29
	s_wait_alu 0xf1ff
	s_delay_alu instid0(VALU_DEP_2) | instskip(SKIP_3) | instid1(VALU_DEP_2)
	v_cndmask_b32_e64 v8, 0, v8, s1
	v_cmp_gt_i32_e64 s1, s34, v33
	v_or_b32_e32 v33, v30, v31
	s_wait_alu 0xf1ff
	v_cndmask_b32_e64 v1, 0, v1, s1
	s_delay_alu instid0(VALU_DEP_1)
	v_or_b32_e32 v34, v1, v8
.LBB247_466:                            ;   in Loop: Header=BB247_267 Depth=1
	s_or_b32 exec_lo, exec_lo, s25
	;;#ASMSTART
	v_pk_mul_f16 v1, v28, v37;

	;;#ASMEND
	;;#ASMSTART
	v_pk_mul_f16 v7, v27, v33;

	;;#ASMEND
	;; [unrolled: 4-line block ×4, first 2 shown]
	;;#ASMSTART
	v_pk_add_f16 v1, v1, v7;

	;;#ASMEND
	;;#ASMSTART
	v_pk_add_f16 v1, v1, v8;

	;;#ASMEND
	;; [unrolled: 4-line block ×3, first 2 shown]
	v_and_b32_e32 v7, 0xffff, v1
	v_lshrrev_b32_e32 v1, 16, v1
	;;#ASMSTART
	v_cvt_f32_f16 v7, v7;
	;;#ASMEND
	;;#ASMSTART
	v_cvt_f32_f16 v8, v1;
	;;#ASMEND
	s_and_saveexec_b32 s25, vcc_lo
	s_cbranch_execz .LBB247_265
; %bb.467:                              ;   in Loop: Header=BB247_267 Depth=1
	v_add_co_u32 v5, s1, v5, v22
	s_wait_alu 0xf1ff
	v_add_co_ci_u32_e64 v6, null, 0, v6, s1
	v_mov_b32_e32 v31, 0
	s_mov_b32 s26, exec_lo
	global_load_b64 v[5:6], v[5:6], off
	s_wait_loadcnt 0x0
	v_dual_mov_b32 v30, 0 :: v_dual_and_b32 v1, 0xff, v5
	global_load_b32 v29, v30, s[10:11]
	v_cmpx_ne_u16_e32 0, v1
	s_cbranch_execz .LBB247_475
; %bb.468:                              ;   in Loop: Header=BB247_267 Depth=1
	v_mov_b32_e32 v31, 0x8000
	s_mov_b32 s27, exec_lo
	v_cmpx_ne_u16_e32 0x80, v1
	s_cbranch_execz .LBB247_474
; %bb.469:                              ;   in Loop: Header=BB247_267 Depth=1
	v_and_b32_e32 v32, 0x7f, v5
	v_mov_b32_e32 v31, 0x7c01
	s_mov_b32 s28, exec_lo
	s_delay_alu instid0(VALU_DEP_2)
	v_cmpx_ne_u32_e32 0x7f, v32
	s_cbranch_execz .LBB247_473
; %bb.470:                              ;   in Loop: Header=BB247_267 Depth=1
	v_and_b32_e32 v1, 7, v5
	v_lshrrev_b32_e32 v31, 3, v32
	s_mov_b32 s29, exec_lo
	v_cmpx_gt_u32_e32 8, v32
; %bb.471:                              ;   in Loop: Header=BB247_267 Depth=1
	s_delay_alu instid0(VALU_DEP_3) | instskip(NEXT) | instid1(VALU_DEP_1)
	v_clz_i32_u32_e32 v1, v1
	v_min_u32_e32 v1, 32, v1
	s_delay_alu instid0(VALU_DEP_1) | instskip(NEXT) | instid1(VALU_DEP_1)
	v_subrev_nc_u32_e32 v31, 28, v1
	v_lshlrev_b64_e32 v[32:33], v31, v[5:6]
	v_sub_nc_u32_e32 v31, 29, v1
	s_delay_alu instid0(VALU_DEP_2)
	v_and_b32_e32 v1, 7, v32
; %bb.472:                              ;   in Loop: Header=BB247_267 Depth=1
	s_wait_alu 0xfffe
	s_or_b32 exec_lo, exec_lo, s29
	v_lshlrev_b32_e32 v32, 8, v5
	v_lshl_add_u32 v31, v31, 10, 0x2000
	v_lshlrev_b32_e32 v1, 7, v1
	s_delay_alu instid0(VALU_DEP_3) | instskip(NEXT) | instid1(VALU_DEP_3)
	v_and_b32_e32 v32, 0x8000, v32
	v_and_b32_e32 v31, 0xfc00, v31
	s_delay_alu instid0(VALU_DEP_1)
	v_or3_b32 v31, v32, v31, v1
.LBB247_473:                            ;   in Loop: Header=BB247_267 Depth=1
	s_wait_alu 0xfffe
	s_or_b32 exec_lo, exec_lo, s28
.LBB247_474:                            ;   in Loop: Header=BB247_267 Depth=1
	s_delay_alu instid0(SALU_CYCLE_1)
	s_or_b32 exec_lo, exec_lo, s27
.LBB247_475:                            ;   in Loop: Header=BB247_267 Depth=1
	s_delay_alu instid0(SALU_CYCLE_1) | instskip(SKIP_2) | instid1(VALU_DEP_1)
	s_or_b32 exec_lo, exec_lo, s26
	v_lshrrev_b16 v1, 8, v5
	s_mov_b32 s26, exec_lo
	v_cmpx_ne_u16_e32 0, v1
	s_cbranch_execz .LBB247_483
; %bb.476:                              ;   in Loop: Header=BB247_267 Depth=1
	v_bfrev_b32_e32 v30, 1
	s_mov_b32 s27, exec_lo
	v_cmpx_ne_u16_e32 0x80, v1
	s_cbranch_execz .LBB247_482
; %bb.477:                              ;   in Loop: Header=BB247_267 Depth=1
	v_and_b32_e32 v32, 0xffff, v1
	v_mov_b32_e32 v30, 0x7c010000
	s_mov_b32 s28, exec_lo
	s_delay_alu instid0(VALU_DEP_2) | instskip(NEXT) | instid1(VALU_DEP_1)
	v_and_b32_e32 v34, 0x7f, v32
	v_cmpx_ne_u32_e32 0x7f, v34
	s_cbranch_execz .LBB247_481
; %bb.478:                              ;   in Loop: Header=BB247_267 Depth=1
	v_and_b32_e32 v30, 7, v32
	v_lshrrev_b32_e32 v33, 3, v34
	s_mov_b32 s29, exec_lo
	v_cmpx_gt_u32_e32 8, v34
; %bb.479:                              ;   in Loop: Header=BB247_267 Depth=1
	s_delay_alu instid0(VALU_DEP_3) | instskip(NEXT) | instid1(VALU_DEP_1)
	v_clz_i32_u32_e32 v30, v30
	v_min_u32_e32 v30, 32, v30
	s_delay_alu instid0(VALU_DEP_1) | instskip(NEXT) | instid1(VALU_DEP_1)
	v_subrev_nc_u32_e32 v33, 28, v30
	v_lshlrev_b64_e32 v[34:35], v33, v[1:2]
	v_sub_nc_u32_e32 v33, 29, v30
	s_delay_alu instid0(VALU_DEP_2)
	v_and_b32_e32 v30, 7, v34
; %bb.480:                              ;   in Loop: Header=BB247_267 Depth=1
	s_wait_alu 0xfffe
	s_or_b32 exec_lo, exec_lo, s29
	v_lshlrev_b32_e32 v1, 8, v32
	v_lshl_add_u32 v32, v33, 10, 0x2000
	v_lshlrev_b32_e32 v30, 23, v30
	s_delay_alu instid0(VALU_DEP_2) | instskip(NEXT) | instid1(VALU_DEP_1)
	v_and_or_b32 v1, 0x8000, v1, v32
	v_lshl_or_b32 v30, v1, 16, v30
.LBB247_481:                            ;   in Loop: Header=BB247_267 Depth=1
	s_wait_alu 0xfffe
	s_or_b32 exec_lo, exec_lo, s28
.LBB247_482:                            ;   in Loop: Header=BB247_267 Depth=1
	s_delay_alu instid0(SALU_CYCLE_1)
	s_or_b32 exec_lo, exec_lo, s27
.LBB247_483:                            ;   in Loop: Header=BB247_267 Depth=1
	s_delay_alu instid0(SALU_CYCLE_1) | instskip(SKIP_3) | instid1(VALU_DEP_2)
	s_or_b32 exec_lo, exec_lo, s26
	v_lshrrev_b32_e32 v1, 16, v5
	v_mov_b32_e32 v32, 0
	s_mov_b32 s26, exec_lo
	v_dual_mov_b32 v33, 0 :: v_dual_and_b32 v34, 0xff, v1
	s_delay_alu instid0(VALU_DEP_1)
	v_cmpx_ne_u16_e32 0, v34
	s_cbranch_execz .LBB247_491
; %bb.484:                              ;   in Loop: Header=BB247_267 Depth=1
	v_mov_b32_e32 v33, 0x8000
	s_mov_b32 s27, exec_lo
	v_cmpx_ne_u16_e32 0x80, v34
	s_cbranch_execz .LBB247_490
; %bb.485:                              ;   in Loop: Header=BB247_267 Depth=1
	v_bfe_u32 v35, v5, 16, 7
	v_mov_b32_e32 v33, 0x7c01
	s_mov_b32 s28, exec_lo
	s_delay_alu instid0(VALU_DEP_2)
	v_cmpx_ne_u32_e32 0x7f, v35
	s_cbranch_execz .LBB247_489
; %bb.486:                              ;   in Loop: Header=BB247_267 Depth=1
	v_and_b32_e32 v33, 7, v1
	v_lshrrev_b32_e32 v34, 3, v35
	s_mov_b32 s29, exec_lo
	v_cmpx_gt_u32_e32 8, v35
; %bb.487:                              ;   in Loop: Header=BB247_267 Depth=1
	s_delay_alu instid0(VALU_DEP_3) | instskip(NEXT) | instid1(VALU_DEP_1)
	v_clz_i32_u32_e32 v33, v33
	v_min_u32_e32 v35, 32, v33
	s_delay_alu instid0(VALU_DEP_1) | instskip(NEXT) | instid1(VALU_DEP_1)
	v_subrev_nc_u32_e32 v33, 28, v35
	v_lshlrev_b64_e32 v[33:34], v33, v[1:2]
	v_sub_nc_u32_e32 v34, 29, v35
	s_delay_alu instid0(VALU_DEP_2)
	v_and_b32_e32 v33, 7, v33
; %bb.488:                              ;   in Loop: Header=BB247_267 Depth=1
	s_wait_alu 0xfffe
	s_or_b32 exec_lo, exec_lo, s29
	v_lshlrev_b32_e32 v1, 8, v1
	v_lshl_add_u32 v34, v34, 10, 0x2000
	v_lshlrev_b32_e32 v33, 7, v33
	s_delay_alu instid0(VALU_DEP_3) | instskip(NEXT) | instid1(VALU_DEP_3)
	v_and_b32_e32 v1, 0x8000, v1
	v_and_b32_e32 v34, 0xfc00, v34
	s_delay_alu instid0(VALU_DEP_1)
	v_or3_b32 v33, v1, v34, v33
.LBB247_489:                            ;   in Loop: Header=BB247_267 Depth=1
	s_wait_alu 0xfffe
	s_or_b32 exec_lo, exec_lo, s28
.LBB247_490:                            ;   in Loop: Header=BB247_267 Depth=1
	s_delay_alu instid0(SALU_CYCLE_1)
	s_or_b32 exec_lo, exec_lo, s27
.LBB247_491:                            ;   in Loop: Header=BB247_267 Depth=1
	s_delay_alu instid0(SALU_CYCLE_1) | instskip(NEXT) | instid1(SALU_CYCLE_1)
	s_or_b32 exec_lo, exec_lo, s26
	s_mov_b32 s26, exec_lo
	v_cmpx_lt_u32_e32 0xffffff, v5
	s_cbranch_execz .LBB247_499
; %bb.492:                              ;   in Loop: Header=BB247_267 Depth=1
	v_lshrrev_b32_e32 v1, 24, v5
	v_bfrev_b32_e32 v32, 1
	s_mov_b32 s27, exec_lo
	s_delay_alu instid0(VALU_DEP_2)
	v_cmpx_ne_u32_e32 0x80, v1
	s_cbranch_execz .LBB247_498
; %bb.493:                              ;   in Loop: Header=BB247_267 Depth=1
	v_and_b32_e32 v35, 0x7f, v1
	v_mov_b32_e32 v32, 0x7c010000
	s_mov_b32 s28, exec_lo
	s_delay_alu instid0(VALU_DEP_2)
	v_cmpx_ne_u32_e32 0x7f, v35
	s_cbranch_execz .LBB247_497
; %bb.494:                              ;   in Loop: Header=BB247_267 Depth=1
	v_and_b32_e32 v32, 7, v1
	v_lshrrev_b32_e32 v34, 3, v35
	s_mov_b32 s29, exec_lo
	v_cmpx_gt_u32_e32 8, v35
; %bb.495:                              ;   in Loop: Header=BB247_267 Depth=1
	s_delay_alu instid0(VALU_DEP_3) | instskip(NEXT) | instid1(VALU_DEP_1)
	v_clz_i32_u32_e32 v32, v32
	v_min_u32_e32 v32, 32, v32
	s_delay_alu instid0(VALU_DEP_1) | instskip(NEXT) | instid1(VALU_DEP_1)
	v_subrev_nc_u32_e32 v34, 28, v32
	v_lshlrev_b64_e32 v[35:36], v34, v[1:2]
	v_sub_nc_u32_e32 v34, 29, v32
	s_delay_alu instid0(VALU_DEP_2)
	v_and_b32_e32 v32, 7, v35
; %bb.496:                              ;   in Loop: Header=BB247_267 Depth=1
	s_wait_alu 0xfffe
	s_or_b32 exec_lo, exec_lo, s29
	v_lshlrev_b32_e32 v1, 8, v1
	v_lshl_add_u32 v34, v34, 10, 0x2000
	v_lshlrev_b32_e32 v32, 23, v32
	s_delay_alu instid0(VALU_DEP_2) | instskip(NEXT) | instid1(VALU_DEP_1)
	v_and_or_b32 v1, 0x8000, v1, v34
	v_lshl_or_b32 v32, v1, 16, v32
.LBB247_497:                            ;   in Loop: Header=BB247_267 Depth=1
	s_wait_alu 0xfffe
	s_or_b32 exec_lo, exec_lo, s28
.LBB247_498:                            ;   in Loop: Header=BB247_267 Depth=1
	s_delay_alu instid0(SALU_CYCLE_1)
	s_or_b32 exec_lo, exec_lo, s27
.LBB247_499:                            ;   in Loop: Header=BB247_267 Depth=1
	s_delay_alu instid0(SALU_CYCLE_1) | instskip(SKIP_3) | instid1(VALU_DEP_2)
	s_or_b32 exec_lo, exec_lo, s26
	v_dual_mov_b32 v1, v6 :: v_dual_and_b32 v36, 0xff, v6
	v_dual_mov_b32 v34, 0 :: v_dual_mov_b32 v35, 0
	s_mov_b32 s26, exec_lo
	v_cmpx_ne_u16_e32 0, v36
	s_cbranch_execz .LBB247_507
; %bb.500:                              ;   in Loop: Header=BB247_267 Depth=1
	v_mov_b32_e32 v35, 0x8000
	s_mov_b32 s27, exec_lo
	v_cmpx_ne_u16_e32 0x80, v36
	s_cbranch_execz .LBB247_506
; %bb.501:                              ;   in Loop: Header=BB247_267 Depth=1
	v_and_b32_e32 v37, 0x7f, v6
	v_mov_b32_e32 v35, 0x7c01
	s_mov_b32 s28, exec_lo
	s_delay_alu instid0(VALU_DEP_2)
	v_cmpx_ne_u32_e32 0x7f, v37
	s_cbranch_execz .LBB247_505
; %bb.502:                              ;   in Loop: Header=BB247_267 Depth=1
	v_and_b32_e32 v35, 7, v6
	v_lshrrev_b32_e32 v36, 3, v37
	s_mov_b32 s29, exec_lo
	v_cmpx_gt_u32_e32 8, v37
; %bb.503:                              ;   in Loop: Header=BB247_267 Depth=1
	s_delay_alu instid0(VALU_DEP_3) | instskip(NEXT) | instid1(VALU_DEP_1)
	v_clz_i32_u32_e32 v35, v35
	v_min_u32_e32 v37, 32, v35
	s_delay_alu instid0(VALU_DEP_1) | instskip(NEXT) | instid1(VALU_DEP_1)
	v_subrev_nc_u32_e32 v35, 28, v37
	v_lshlrev_b64_e32 v[35:36], v35, v[1:2]
	v_sub_nc_u32_e32 v36, 29, v37
	s_delay_alu instid0(VALU_DEP_2)
	v_and_b32_e32 v35, 7, v35
; %bb.504:                              ;   in Loop: Header=BB247_267 Depth=1
	s_wait_alu 0xfffe
	s_or_b32 exec_lo, exec_lo, s29
	v_lshlrev_b32_e32 v37, 8, v6
	v_lshl_add_u32 v36, v36, 10, 0x2000
	v_lshlrev_b32_e32 v35, 7, v35
	s_delay_alu instid0(VALU_DEP_3) | instskip(NEXT) | instid1(VALU_DEP_3)
	v_and_b32_e32 v37, 0x8000, v37
	v_and_b32_e32 v36, 0xfc00, v36
	s_delay_alu instid0(VALU_DEP_1)
	v_or3_b32 v35, v37, v36, v35
.LBB247_505:                            ;   in Loop: Header=BB247_267 Depth=1
	s_wait_alu 0xfffe
	s_or_b32 exec_lo, exec_lo, s28
.LBB247_506:                            ;   in Loop: Header=BB247_267 Depth=1
	s_delay_alu instid0(SALU_CYCLE_1)
	s_or_b32 exec_lo, exec_lo, s27
.LBB247_507:                            ;   in Loop: Header=BB247_267 Depth=1
	s_delay_alu instid0(SALU_CYCLE_1) | instskip(SKIP_3) | instid1(VALU_DEP_2)
	s_or_b32 exec_lo, exec_lo, s26
	v_lshrrev_b16 v1, 8, v1
	v_mov_b32_e32 v36, 0
	s_mov_b32 s26, exec_lo
	v_cmpx_ne_u16_e32 0, v1
	s_cbranch_execz .LBB247_515
; %bb.508:                              ;   in Loop: Header=BB247_267 Depth=1
	v_bfrev_b32_e32 v36, 1
	s_mov_b32 s27, exec_lo
	v_cmpx_ne_u16_e32 0x80, v1
	s_cbranch_execz .LBB247_514
; %bb.509:                              ;   in Loop: Header=BB247_267 Depth=1
	v_and_b32_e32 v37, 0xffff, v1
	v_mov_b32_e32 v36, 0x7c010000
	s_mov_b32 s28, exec_lo
	s_delay_alu instid0(VALU_DEP_2) | instskip(NEXT) | instid1(VALU_DEP_1)
	v_and_b32_e32 v39, 0x7f, v37
	v_cmpx_ne_u32_e32 0x7f, v39
	s_cbranch_execz .LBB247_513
; %bb.510:                              ;   in Loop: Header=BB247_267 Depth=1
	v_and_b32_e32 v36, 7, v37
	v_lshrrev_b32_e32 v38, 3, v39
	s_mov_b32 s29, exec_lo
	v_cmpx_gt_u32_e32 8, v39
; %bb.511:                              ;   in Loop: Header=BB247_267 Depth=1
	s_delay_alu instid0(VALU_DEP_3) | instskip(NEXT) | instid1(VALU_DEP_1)
	v_clz_i32_u32_e32 v36, v36
	v_min_u32_e32 v36, 32, v36
	s_delay_alu instid0(VALU_DEP_1) | instskip(NEXT) | instid1(VALU_DEP_1)
	v_subrev_nc_u32_e32 v38, 28, v36
	v_lshlrev_b64_e32 v[39:40], v38, v[1:2]
	v_sub_nc_u32_e32 v38, 29, v36
	s_delay_alu instid0(VALU_DEP_2)
	v_and_b32_e32 v36, 7, v39
; %bb.512:                              ;   in Loop: Header=BB247_267 Depth=1
	s_wait_alu 0xfffe
	s_or_b32 exec_lo, exec_lo, s29
	v_lshlrev_b32_e32 v1, 8, v37
	v_lshl_add_u32 v37, v38, 10, 0x2000
	v_lshlrev_b32_e32 v36, 23, v36
	s_delay_alu instid0(VALU_DEP_2) | instskip(NEXT) | instid1(VALU_DEP_1)
	v_and_or_b32 v1, 0x8000, v1, v37
	v_lshl_or_b32 v36, v1, 16, v36
.LBB247_513:                            ;   in Loop: Header=BB247_267 Depth=1
	s_wait_alu 0xfffe
	s_or_b32 exec_lo, exec_lo, s28
.LBB247_514:                            ;   in Loop: Header=BB247_267 Depth=1
	s_delay_alu instid0(SALU_CYCLE_1)
	s_or_b32 exec_lo, exec_lo, s27
.LBB247_515:                            ;   in Loop: Header=BB247_267 Depth=1
	s_delay_alu instid0(SALU_CYCLE_1) | instskip(SKIP_2) | instid1(VALU_DEP_1)
	s_or_b32 exec_lo, exec_lo, s26
	v_lshrrev_b32_e32 v1, 16, v6
	s_mov_b32 s26, exec_lo
	v_and_b32_e32 v37, 0xff, v1
	s_delay_alu instid0(VALU_DEP_1)
	v_cmpx_ne_u16_e32 0, v37
	s_cbranch_execz .LBB247_523
; %bb.516:                              ;   in Loop: Header=BB247_267 Depth=1
	v_mov_b32_e32 v34, 0x8000
	s_mov_b32 s27, exec_lo
	v_cmpx_ne_u16_e32 0x80, v37
	s_cbranch_execz .LBB247_522
; %bb.517:                              ;   in Loop: Header=BB247_267 Depth=1
	v_bfe_u32 v38, v6, 16, 7
	v_mov_b32_e32 v34, 0x7c01
	s_mov_b32 s28, exec_lo
	s_delay_alu instid0(VALU_DEP_2)
	v_cmpx_ne_u32_e32 0x7f, v38
	s_cbranch_execz .LBB247_521
; %bb.518:                              ;   in Loop: Header=BB247_267 Depth=1
	v_and_b32_e32 v34, 7, v1
	v_lshrrev_b32_e32 v37, 3, v38
	s_mov_b32 s29, exec_lo
	v_cmpx_gt_u32_e32 8, v38
; %bb.519:                              ;   in Loop: Header=BB247_267 Depth=1
	s_delay_alu instid0(VALU_DEP_3) | instskip(NEXT) | instid1(VALU_DEP_1)
	v_clz_i32_u32_e32 v34, v34
	v_min_u32_e32 v34, 32, v34
	s_delay_alu instid0(VALU_DEP_1) | instskip(NEXT) | instid1(VALU_DEP_1)
	v_subrev_nc_u32_e32 v37, 28, v34
	v_lshlrev_b64_e32 v[38:39], v37, v[1:2]
	v_sub_nc_u32_e32 v37, 29, v34
	s_delay_alu instid0(VALU_DEP_2)
	v_and_b32_e32 v34, 7, v38
; %bb.520:                              ;   in Loop: Header=BB247_267 Depth=1
	s_wait_alu 0xfffe
	s_or_b32 exec_lo, exec_lo, s29
	v_lshlrev_b32_e32 v1, 8, v1
	v_lshl_add_u32 v37, v37, 10, 0x2000
	v_lshlrev_b32_e32 v34, 7, v34
	s_delay_alu instid0(VALU_DEP_3) | instskip(NEXT) | instid1(VALU_DEP_3)
	v_and_b32_e32 v1, 0x8000, v1
	v_and_b32_e32 v37, 0xfc00, v37
	s_delay_alu instid0(VALU_DEP_1)
	v_or3_b32 v34, v1, v37, v34
.LBB247_521:                            ;   in Loop: Header=BB247_267 Depth=1
	s_wait_alu 0xfffe
	s_or_b32 exec_lo, exec_lo, s28
.LBB247_522:                            ;   in Loop: Header=BB247_267 Depth=1
	s_delay_alu instid0(SALU_CYCLE_1)
	s_or_b32 exec_lo, exec_lo, s27
.LBB247_523:                            ;   in Loop: Header=BB247_267 Depth=1
	s_delay_alu instid0(SALU_CYCLE_1)
	s_or_b32 exec_lo, exec_lo, s26
	v_cmp_lt_u64_e64 s1, s[2:3], v[5:6]
	v_mov_b32_e32 v5, 0
	s_and_saveexec_b32 s26, s1
	s_cbranch_execz .LBB247_531
; %bb.524:                              ;   in Loop: Header=BB247_267 Depth=1
	v_lshrrev_b32_e32 v1, 24, v6
	v_bfrev_b32_e32 v5, 1
	s_mov_b32 s27, exec_lo
	s_delay_alu instid0(VALU_DEP_2)
	v_cmpx_ne_u32_e32 0x80, v1
	s_cbranch_execz .LBB247_530
; %bb.525:                              ;   in Loop: Header=BB247_267 Depth=1
	v_and_b32_e32 v37, 0x7f, v1
	v_mov_b32_e32 v5, 0x7c010000
	s_mov_b32 s28, exec_lo
	s_delay_alu instid0(VALU_DEP_2)
	v_cmpx_ne_u32_e32 0x7f, v37
	s_cbranch_execz .LBB247_529
; %bb.526:                              ;   in Loop: Header=BB247_267 Depth=1
	v_and_b32_e32 v5, 7, v1
	v_lshrrev_b32_e32 v6, 3, v37
	s_mov_b32 s29, exec_lo
	v_cmpx_gt_u32_e32 8, v37
; %bb.527:                              ;   in Loop: Header=BB247_267 Depth=1
	s_delay_alu instid0(VALU_DEP_3) | instskip(NEXT) | instid1(VALU_DEP_1)
	v_clz_i32_u32_e32 v5, v5
	v_min_u32_e32 v37, 32, v5
	s_delay_alu instid0(VALU_DEP_1) | instskip(NEXT) | instid1(VALU_DEP_1)
	v_subrev_nc_u32_e32 v5, 28, v37
	v_lshlrev_b64_e32 v[5:6], v5, v[1:2]
	v_sub_nc_u32_e32 v6, 29, v37
	s_delay_alu instid0(VALU_DEP_2)
	v_and_b32_e32 v5, 7, v5
; %bb.528:                              ;   in Loop: Header=BB247_267 Depth=1
	s_wait_alu 0xfffe
	s_or_b32 exec_lo, exec_lo, s29
	v_lshlrev_b32_e32 v1, 8, v1
	v_lshl_add_u32 v6, v6, 10, 0x2000
	v_lshlrev_b32_e32 v5, 23, v5
	s_delay_alu instid0(VALU_DEP_2) | instskip(NEXT) | instid1(VALU_DEP_1)
	v_and_or_b32 v1, 0x8000, v1, v6
	v_lshl_or_b32 v5, v1, 16, v5
.LBB247_529:                            ;   in Loop: Header=BB247_267 Depth=1
	s_wait_alu 0xfffe
	s_or_b32 exec_lo, exec_lo, s28
.LBB247_530:                            ;   in Loop: Header=BB247_267 Depth=1
	s_delay_alu instid0(SALU_CYCLE_1)
	s_or_b32 exec_lo, exec_lo, s27
.LBB247_531:                            ;   in Loop: Header=BB247_267 Depth=1
	s_delay_alu instid0(SALU_CYCLE_1)
	s_or_b32 exec_lo, exec_lo, s26
	v_or_b32_e32 v1, v32, v33
	s_wait_loadcnt 0x0
	v_fma_mixlo_f16 v6, v29, v32, 0 op_sel:[0,1,0] op_sel_hi:[0,1,0]
	v_or_b32_e32 v31, v30, v31
	v_or_b32_e32 v33, v36, v35
	;; [unrolled: 1-line block ×3, first 2 shown]
	v_fma_mixlo_f16 v1, v29, v1, 0 op_sel_hi:[0,1,0]
	v_fma_mixlo_f16 v32, v29, v30, 0 op_sel:[0,1,0] op_sel_hi:[0,1,0]
	v_lshlrev_b32_e32 v30, 16, v6
	v_fma_mixlo_f16 v6, v29, v31, 0 op_sel_hi:[0,1,0]
	v_fma_mixlo_f16 v33, v29, v33, 0 op_sel_hi:[0,1,0]
	v_and_b32_e32 v31, 0xffff, v1
	v_fma_mixlo_f16 v1, v29, v36, 0 op_sel:[0,1,0] op_sel_hi:[0,1,0]
	v_fma_mixlo_f16 v35, v29, v5, 0 op_sel:[0,1,0] op_sel_hi:[0,1,0]
	v_fma_mixlo_f16 v34, v29, v34, 0 op_sel_hi:[0,1,0]
	v_lshlrev_b32_e32 v32, 16, v32
	v_and_b32_e32 v37, 0xffff, v6
	v_lshlrev_b32_e32 v5, 16, v1
	v_and_b32_e32 v29, 0xffff, v33
	;; [unrolled: 2-line block ×3, first 2 shown]
	v_or_b32_e32 v35, v30, v31
	v_or_b32_e32 v36, v32, v37
	;; [unrolled: 1-line block ×3, first 2 shown]
	s_delay_alu instid0(VALU_DEP_4)
	v_or_b32_e32 v33, v1, v6
	s_and_saveexec_b32 s1, s0
	s_cbranch_execz .LBB247_264
; %bb.532:                              ;   in Loop: Header=BB247_267 Depth=1
	v_add_nc_u32_e32 v33, 1, v12
	v_cmp_gt_i32_e64 s0, s34, v12
	v_add_nc_u32_e32 v34, 2, v12
	v_add_nc_u32_e32 v36, 3, v12
	s_wait_alu 0xf1ff
	s_delay_alu instid0(VALU_DEP_3) | instskip(SKIP_3) | instid1(VALU_DEP_2)
	v_cndmask_b32_e64 v35, 0, v37, s0
	v_cmp_gt_i32_e64 s0, s34, v33
	v_add_nc_u32_e32 v33, 4, v12
	s_wait_alu 0xf1ff
	v_cndmask_b32_e64 v32, 0, v32, s0
	v_cmp_gt_i32_e64 s0, s34, v34
	v_add_nc_u32_e32 v34, 5, v12
	s_wait_alu 0xf1ff
	s_delay_alu instid0(VALU_DEP_2) | instskip(SKIP_3) | instid1(VALU_DEP_2)
	v_cndmask_b32_e64 v31, 0, v31, s0
	v_cmp_gt_i32_e64 s0, s34, v36
	v_add_nc_u32_e32 v36, 6, v12
	s_wait_alu 0xf1ff
	v_cndmask_b32_e64 v30, 0, v30, s0
	v_cmp_gt_i32_e64 s0, s34, v33
	v_add_nc_u32_e32 v33, 7, v12
	s_wait_alu 0xf1ff
	s_delay_alu instid0(VALU_DEP_2) | instskip(SKIP_2) | instid1(VALU_DEP_1)
	v_cndmask_b32_e64 v29, 0, v29, s0
	v_cmp_gt_i32_e64 s0, s34, v34
	s_wait_alu 0xf1ff
	v_cndmask_b32_e64 v5, 0, v5, s0
	v_cmp_gt_i32_e64 s0, s34, v36
	v_or_b32_e32 v36, v32, v35
	v_or_b32_e32 v35, v30, v31
	s_delay_alu instid0(VALU_DEP_4) | instskip(SKIP_4) | instid1(VALU_DEP_1)
	v_or_b32_e32 v34, v5, v29
	s_wait_alu 0xf1ff
	v_cndmask_b32_e64 v6, 0, v6, s0
	v_cmp_gt_i32_e64 s0, s34, v33
	s_wait_alu 0xf1ff
	v_cndmask_b32_e64 v1, 0, v1, s0
	s_delay_alu instid0(VALU_DEP_1)
	v_or_b32_e32 v33, v1, v6
	s_branch .LBB247_264
.LBB247_533:
	s_or_b32 exec_lo, exec_lo, s17
.LBB247_534:
	s_wait_alu 0xfffe
	s_or_b32 exec_lo, exec_lo, s6
	s_movk_i32 s0, 0x1c0
	v_and_b32_e32 v1, 0x3c0, v0
	s_wait_alu 0xfffe
	v_mad_u32_u24 v4, v11, s0, 0x100
	v_or_b32_e32 v3, 0x60, v0
	s_mov_b32 s0, exec_lo
	s_wait_loadcnt 0x0
	s_wait_storecnt 0x0
	s_barrier_signal -1
	s_barrier_wait -1
	global_inv scope:SCOPE_SE
	v_cmpx_eq_u32_e32 64, v1
	s_cbranch_execz .LBB247_537
; %bb.535:
	v_add_nc_u32_e32 v1, 0xfffffc80, v4
	v_cmp_gt_u32_e32 vcc_lo, 0x70, v3
	s_delay_alu instid0(VALU_DEP_2)
	v_lshl_add_u32 v2, v14, 2, v1
	ds_store_2addr_b32 v2, v19, v18 offset1:32
	ds_store_b32 v2, v17 offset:256
	s_and_b32 exec_lo, exec_lo, vcc_lo
; %bb.536:
	v_lshl_add_u32 v1, v3, 2, v1
	ds_store_b32 v1, v16
.LBB247_537:
	s_wait_alu 0xfffe
	s_or_b32 exec_lo, exec_lo, s0
	v_lshl_add_u32 v5, v14, 2, v4
	s_mov_b32 s0, exec_lo
	s_wait_loadcnt_dscnt 0x0
	s_barrier_signal -1
	s_barrier_wait -1
	global_inv scope:SCOPE_SE
	v_cmpx_gt_u32_e32 64, v0
	s_cbranch_execz .LBB247_541
; %bb.538:
	v_lshl_or_b32 v1, v0, 2, 0x80
	s_mov_b32 s1, exec_lo
	s_delay_alu instid0(VALU_DEP_1)
	v_add_nc_u32_e32 v6, v4, v1
	ds_load_2addr_stride64_b32 v[1:2], v5 offset1:1
	ds_load_b32 v6, v6
	v_cmpx_gt_u32_e32 0x70, v3
	s_cbranch_execz .LBB247_540
; %bb.539:
	v_lshl_add_u32 v7, v3, 2, v4
	ds_load_b32 v7, v7
	s_wait_dscnt 0x0
	v_add_f32_e32 v16, v16, v7
.LBB247_540:
	s_wait_alu 0xfffe
	s_or_b32 exec_lo, exec_lo, s1
	s_wait_dscnt 0x0
	v_dual_add_f32 v19, v19, v1 :: v_dual_add_f32 v18, v18, v6
	v_add_f32_e32 v17, v17, v2
.LBB247_541:
	s_wait_alu 0xfffe
	s_or_b32 exec_lo, exec_lo, s0
	v_and_b32_e32 v1, 0x3e0, v0
	s_mov_b32 s0, exec_lo
	s_wait_loadcnt 0x0
	s_barrier_signal -1
	s_barrier_wait -1
	global_inv scope:SCOPE_SE
	v_cmpx_eq_u32_e32 32, v1
	s_cbranch_execz .LBB247_544
; %bb.542:
	v_lshl_add_u32 v1, v14, 2, 0x100
	v_cmp_gt_u32_e32 vcc_lo, 0x70, v3
	ds_store_b32 v1, v19
	ds_store_b32 v15, v18
	ds_store_b32 v1, v17 offset:256
	s_and_b32 exec_lo, exec_lo, vcc_lo
; %bb.543:
	v_lshl_add_u32 v1, v3, 2, 0x100
	ds_store_b32 v1, v16
.LBB247_544:
	s_wait_alu 0xfffe
	s_or_b32 exec_lo, exec_lo, s0
	v_cmp_gt_u32_e32 vcc_lo, 32, v0
	s_wait_loadcnt_dscnt 0x0
	s_barrier_signal -1
	s_barrier_wait -1
	global_inv scope:SCOPE_SE
	s_and_saveexec_b32 s1, vcc_lo
	s_cbranch_execz .LBB247_548
; %bb.545:
	v_lshl_add_u32 v6, v0, 2, v4
	s_mov_b32 s2, exec_lo
	ds_load_b32 v4, v5
	ds_load_2addr_b32 v[1:2], v6 offset0:32 offset1:64
	v_cmpx_gt_u32_e32 0x70, v3
	s_cbranch_execz .LBB247_547
; %bb.546:
	ds_load_b32 v5, v6 offset:384
	s_wait_dscnt 0x0
	v_add_f32_e32 v16, v16, v5
.LBB247_547:
	s_wait_alu 0xfffe
	s_or_b32 exec_lo, exec_lo, s2
	s_wait_dscnt 0x0
	v_dual_add_f32 v19, v19, v4 :: v_dual_add_f32 v18, v18, v1
	v_add_f32_e32 v17, v17, v2
.LBB247_548:
	s_wait_alu 0xfffe
	s_or_b32 exec_lo, exec_lo, s1
	s_wait_loadcnt 0x0
	s_barrier_signal -1
	s_barrier_wait -1
	global_inv scope:SCOPE_SE
	s_and_saveexec_b32 s0, vcc_lo
	s_cbranch_execz .LBB247_551
; %bb.549:
	s_mul_i32 s0, s18, 0x70
	s_mul_i32 s2, s12, s20
	s_wait_alu 0xfffe
	s_ashr_i32 s1, s0, 31
	s_ashr_i32 s3, s2, 31
	s_wait_alu 0xfffe
	s_lshl_b64 s[0:1], s[0:1], 1
	s_lshl_b64 s[2:3], s[2:3], 1
	s_wait_alu 0xfffe
	s_add_nc_u64 s[0:1], s[8:9], s[0:1]
	v_lshlrev_b32_e32 v0, 1, v0
	s_mul_i32 s4, s33, 0xe0
	s_wait_alu 0xfffe
	s_add_nc_u64 s[0:1], s[0:1], s[2:3]
	s_mov_b32 s5, 0
	v_cmp_gt_u32_e32 vcc_lo, 0x70, v3
	s_wait_alu 0xfffe
	s_add_nc_u64 s[0:1], s[0:1], s[4:5]
	;;#ASMSTART
	v_cvt_f16_f32 v1, v19;

	;;#ASMEND
	global_store_b16 v0, v1, s[0:1]
	;;#ASMSTART
	v_cvt_f16_f32 v1, v18;

	;;#ASMEND
	global_store_b16 v0, v1, s[0:1] offset:64
	;;#ASMSTART
	v_cvt_f16_f32 v1, v17;

	;;#ASMEND
	global_store_b16 v0, v1, s[0:1] offset:128
	s_and_b32 exec_lo, exec_lo, vcc_lo
	s_cbranch_execz .LBB247_551
; %bb.550:
	s_wait_alu 0xfffe
	v_add_co_u32 v0, s0, s0, v0
	s_wait_alu 0xf1ff
	v_add_co_ci_u32_e64 v1, null, s1, 0, s0
	;;#ASMSTART
	v_cvt_f16_f32 v2, v16;

	;;#ASMEND
	global_store_b16 v[0:1], v2, off offset:192
.LBB247_551:
	s_endpgm
	.section	.rodata,"a",@progbits
	.p2align	6, 0x0
	.amdhsa_kernel _ZN4vllm25paged_attention_v2_kernelIthLi112ELi8ELi128ELNS_18Fp8KVCacheDataTypeE1ELb1ELi512EEEvPfS2_PT_PKS3_PKT0_S9_ifPKiSB_iPKfiiiSD_SD_iiiii
		.amdhsa_group_segment_fixed_size 256
		.amdhsa_private_segment_fixed_size 0
		.amdhsa_kernarg_size 400
		.amdhsa_user_sgpr_count 2
		.amdhsa_user_sgpr_dispatch_ptr 0
		.amdhsa_user_sgpr_queue_ptr 0
		.amdhsa_user_sgpr_kernarg_segment_ptr 1
		.amdhsa_user_sgpr_dispatch_id 0
		.amdhsa_user_sgpr_private_segment_size 0
		.amdhsa_wavefront_size32 1
		.amdhsa_uses_dynamic_stack 0
		.amdhsa_enable_private_segment 0
		.amdhsa_system_sgpr_workgroup_id_x 1
		.amdhsa_system_sgpr_workgroup_id_y 1
		.amdhsa_system_sgpr_workgroup_id_z 1
		.amdhsa_system_sgpr_workgroup_info 0
		.amdhsa_system_vgpr_workitem_id 0
		.amdhsa_next_free_vgpr 72
		.amdhsa_next_free_sgpr 46
		.amdhsa_reserve_vcc 1
		.amdhsa_float_round_mode_32 0
		.amdhsa_float_round_mode_16_64 0
		.amdhsa_float_denorm_mode_32 3
		.amdhsa_float_denorm_mode_16_64 3
		.amdhsa_fp16_overflow 0
		.amdhsa_workgroup_processor_mode 1
		.amdhsa_memory_ordered 1
		.amdhsa_forward_progress 1
		.amdhsa_inst_pref_size 164
		.amdhsa_round_robin_scheduling 0
		.amdhsa_exception_fp_ieee_invalid_op 0
		.amdhsa_exception_fp_denorm_src 0
		.amdhsa_exception_fp_ieee_div_zero 0
		.amdhsa_exception_fp_ieee_overflow 0
		.amdhsa_exception_fp_ieee_underflow 0
		.amdhsa_exception_fp_ieee_inexact 0
		.amdhsa_exception_int_div_zero 0
	.end_amdhsa_kernel
	.section	.text._ZN4vllm25paged_attention_v2_kernelIthLi112ELi8ELi128ELNS_18Fp8KVCacheDataTypeE1ELb1ELi512EEEvPfS2_PT_PKS3_PKT0_S9_ifPKiSB_iPKfiiiSD_SD_iiiii,"axG",@progbits,_ZN4vllm25paged_attention_v2_kernelIthLi112ELi8ELi128ELNS_18Fp8KVCacheDataTypeE1ELb1ELi512EEEvPfS2_PT_PKS3_PKT0_S9_ifPKiSB_iPKfiiiSD_SD_iiiii,comdat
.Lfunc_end247:
	.size	_ZN4vllm25paged_attention_v2_kernelIthLi112ELi8ELi128ELNS_18Fp8KVCacheDataTypeE1ELb1ELi512EEEvPfS2_PT_PKS3_PKT0_S9_ifPKiSB_iPKfiiiSD_SD_iiiii, .Lfunc_end247-_ZN4vllm25paged_attention_v2_kernelIthLi112ELi8ELi128ELNS_18Fp8KVCacheDataTypeE1ELb1ELi512EEEvPfS2_PT_PKS3_PKT0_S9_ifPKiSB_iPKfiiiSD_SD_iiiii
                                        ; -- End function
	.set _ZN4vllm25paged_attention_v2_kernelIthLi112ELi8ELi128ELNS_18Fp8KVCacheDataTypeE1ELb1ELi512EEEvPfS2_PT_PKS3_PKT0_S9_ifPKiSB_iPKfiiiSD_SD_iiiii.num_vgpr, 72
	.set _ZN4vllm25paged_attention_v2_kernelIthLi112ELi8ELi128ELNS_18Fp8KVCacheDataTypeE1ELb1ELi512EEEvPfS2_PT_PKS3_PKT0_S9_ifPKiSB_iPKfiiiSD_SD_iiiii.num_agpr, 0
	.set _ZN4vllm25paged_attention_v2_kernelIthLi112ELi8ELi128ELNS_18Fp8KVCacheDataTypeE1ELb1ELi512EEEvPfS2_PT_PKS3_PKT0_S9_ifPKiSB_iPKfiiiSD_SD_iiiii.numbered_sgpr, 46
	.set _ZN4vllm25paged_attention_v2_kernelIthLi112ELi8ELi128ELNS_18Fp8KVCacheDataTypeE1ELb1ELi512EEEvPfS2_PT_PKS3_PKT0_S9_ifPKiSB_iPKfiiiSD_SD_iiiii.num_named_barrier, 0
	.set _ZN4vllm25paged_attention_v2_kernelIthLi112ELi8ELi128ELNS_18Fp8KVCacheDataTypeE1ELb1ELi512EEEvPfS2_PT_PKS3_PKT0_S9_ifPKiSB_iPKfiiiSD_SD_iiiii.private_seg_size, 0
	.set _ZN4vllm25paged_attention_v2_kernelIthLi112ELi8ELi128ELNS_18Fp8KVCacheDataTypeE1ELb1ELi512EEEvPfS2_PT_PKS3_PKT0_S9_ifPKiSB_iPKfiiiSD_SD_iiiii.uses_vcc, 1
	.set _ZN4vllm25paged_attention_v2_kernelIthLi112ELi8ELi128ELNS_18Fp8KVCacheDataTypeE1ELb1ELi512EEEvPfS2_PT_PKS3_PKT0_S9_ifPKiSB_iPKfiiiSD_SD_iiiii.uses_flat_scratch, 0
	.set _ZN4vllm25paged_attention_v2_kernelIthLi112ELi8ELi128ELNS_18Fp8KVCacheDataTypeE1ELb1ELi512EEEvPfS2_PT_PKS3_PKT0_S9_ifPKiSB_iPKfiiiSD_SD_iiiii.has_dyn_sized_stack, 0
	.set _ZN4vllm25paged_attention_v2_kernelIthLi112ELi8ELi128ELNS_18Fp8KVCacheDataTypeE1ELb1ELi512EEEvPfS2_PT_PKS3_PKT0_S9_ifPKiSB_iPKfiiiSD_SD_iiiii.has_recursion, 0
	.set _ZN4vllm25paged_attention_v2_kernelIthLi112ELi8ELi128ELNS_18Fp8KVCacheDataTypeE1ELb1ELi512EEEvPfS2_PT_PKS3_PKT0_S9_ifPKiSB_iPKfiiiSD_SD_iiiii.has_indirect_call, 0
	.section	.AMDGPU.csdata,"",@progbits
; Kernel info:
; codeLenInByte = 20972
; TotalNumSgprs: 48
; NumVgprs: 72
; ScratchSize: 0
; MemoryBound: 0
; FloatMode: 240
; IeeeMode: 1
; LDSByteSize: 256 bytes/workgroup (compile time only)
; SGPRBlocks: 0
; VGPRBlocks: 8
; NumSGPRsForWavesPerEU: 48
; NumVGPRsForWavesPerEU: 72
; Occupancy: 16
; WaveLimiterHint : 1
; COMPUTE_PGM_RSRC2:SCRATCH_EN: 0
; COMPUTE_PGM_RSRC2:USER_SGPR: 2
; COMPUTE_PGM_RSRC2:TRAP_HANDLER: 0
; COMPUTE_PGM_RSRC2:TGID_X_EN: 1
; COMPUTE_PGM_RSRC2:TGID_Y_EN: 1
; COMPUTE_PGM_RSRC2:TGID_Z_EN: 1
; COMPUTE_PGM_RSRC2:TIDIG_COMP_CNT: 0
	.section	.text._ZN4vllm25paged_attention_v2_kernelIthLi120ELi8ELi128ELNS_18Fp8KVCacheDataTypeE1ELb1ELi512EEEvPfS2_PT_PKS3_PKT0_S9_ifPKiSB_iPKfiiiSD_SD_iiiii,"axG",@progbits,_ZN4vllm25paged_attention_v2_kernelIthLi120ELi8ELi128ELNS_18Fp8KVCacheDataTypeE1ELb1ELi512EEEvPfS2_PT_PKS3_PKT0_S9_ifPKiSB_iPKfiiiSD_SD_iiiii,comdat
	.protected	_ZN4vllm25paged_attention_v2_kernelIthLi120ELi8ELi128ELNS_18Fp8KVCacheDataTypeE1ELb1ELi512EEEvPfS2_PT_PKS3_PKT0_S9_ifPKiSB_iPKfiiiSD_SD_iiiii ; -- Begin function _ZN4vllm25paged_attention_v2_kernelIthLi120ELi8ELi128ELNS_18Fp8KVCacheDataTypeE1ELb1ELi512EEEvPfS2_PT_PKS3_PKT0_S9_ifPKiSB_iPKfiiiSD_SD_iiiii
	.globl	_ZN4vllm25paged_attention_v2_kernelIthLi120ELi8ELi128ELNS_18Fp8KVCacheDataTypeE1ELb1ELi512EEEvPfS2_PT_PKS3_PKT0_S9_ifPKiSB_iPKfiiiSD_SD_iiiii
	.p2align	8
	.type	_ZN4vllm25paged_attention_v2_kernelIthLi120ELi8ELi128ELNS_18Fp8KVCacheDataTypeE1ELb1ELi512EEEvPfS2_PT_PKS3_PKT0_S9_ifPKiSB_iPKfiiiSD_SD_iiiii,@function
_ZN4vllm25paged_attention_v2_kernelIthLi120ELi8ELi128ELNS_18Fp8KVCacheDataTypeE1ELb1ELi512EEEvPfS2_PT_PKS3_PKT0_S9_ifPKiSB_iPKfiiiSD_SD_iiiii: ; @_ZN4vllm25paged_attention_v2_kernelIthLi120ELi8ELi128ELNS_18Fp8KVCacheDataTypeE1ELb1ELi512EEEvPfS2_PT_PKS3_PKT0_S9_ifPKiSB_iPKfiiiSD_SD_iiiii
; %bb.0:
	s_load_b64 s[2:3], s[0:1], 0x40
	s_and_b32 s19, ttmp7, 0xffff
	s_lshr_b32 s33, ttmp7, 16
	s_lshl_b32 s4, s19, 2
	s_lshl_b32 s36, s33, 9
	s_wait_kmcnt 0x0
	s_load_b32 s34, s[2:3], s4 offset:0x0
	s_wait_kmcnt 0x0
	s_cmp_ge_i32 s36, s34
	s_cbranch_scc1 .LBB248_567
; %bb.1:
	s_clause 0x1
	s_load_b32 s35, s[0:1], 0x90
	s_load_b64 s[6:7], s[0:1], 0x30
	s_wait_kmcnt 0x0
	s_abs_i32 s5, s35
	s_abs_i32 s2, s6
	s_delay_alu instid0(SALU_CYCLE_1) | instskip(SKIP_1) | instid1(SALU_CYCLE_2)
	s_cvt_f32_u32 s3, s2
	s_sub_co_i32 s4, 0, s2
	v_rcp_iflag_f32_e32 v1, s3
	s_delay_alu instid0(TRANS32_DEP_1) | instskip(SKIP_2) | instid1(SALU_CYCLE_2)
	v_readfirstlane_b32 s3, v1
	s_mul_f32 s3, s3, 0x4f7ffffe
	s_wait_alu 0xfffe
	s_cvt_u32_f32 s3, s3
	s_wait_alu 0xfffe
	s_delay_alu instid0(SALU_CYCLE_2) | instskip(NEXT) | instid1(SALU_CYCLE_1)
	s_mul_i32 s4, s4, s3
	s_mul_hi_u32 s4, s3, s4
	s_delay_alu instid0(SALU_CYCLE_1)
	s_add_co_i32 s3, s3, s4
	s_xor_b32 s4, s35, s6
	s_wait_alu 0xfffe
	s_mul_hi_u32 s3, s5, s3
	s_ashr_i32 s4, s4, 31
	s_wait_alu 0xfffe
	s_mul_i32 s8, s3, s2
	s_delay_alu instid0(SALU_CYCLE_1)
	s_sub_co_i32 s5, s5, s8
	s_add_co_i32 s8, s3, 1
	s_sub_co_i32 s9, s5, s2
	s_cmp_ge_u32 s5, s2
	s_cselect_b32 s3, s8, s3
	s_cselect_b32 s5, s9, s5
	s_wait_alu 0xfffe
	s_add_co_i32 s8, s3, 1
	s_cmp_ge_u32 s5, s2
	s_cselect_b32 s2, s8, s3
	s_load_b64 s[8:9], s[0:1], 0x50
	s_xor_b32 s2, s2, s4
	s_mov_b32 s3, 0
	s_wait_alu 0xfffe
	s_sub_co_i32 s11, s2, s4
	s_mov_b32 s30, s3
	s_abs_i32 s10, s11
	s_delay_alu instid0(SALU_CYCLE_1) | instskip(SKIP_1) | instid1(SALU_CYCLE_2)
	s_cvt_f32_u32 s2, s10
	s_wait_alu 0xfffe
	v_rcp_iflag_f32_e32 v1, s2
	s_delay_alu instid0(TRANS32_DEP_1) | instskip(SKIP_2) | instid1(SALU_CYCLE_2)
	v_readfirstlane_b32 s2, v1
	s_mul_f32 s2, s2, 0x4f7ffffe
	s_wait_alu 0xfffe
	s_cvt_u32_f32 s4, s2
	s_sub_co_i32 s2, 0, s10
	s_wait_alu 0xfffe
	s_delay_alu instid0(SALU_CYCLE_1)
	s_mul_i32 s2, s2, s4
	s_wait_alu 0xfffe
	s_mul_hi_u32 s5, s4, s2
	s_abs_i32 s2, ttmp9
	s_add_co_i32 s4, s4, s5
	s_mov_b32 s5, s3
	s_wait_kmcnt 0x0
	s_cmp_eq_u64 s[8:9], 0
	s_cbranch_scc1 .LBB248_3
; %bb.2:
	s_mov_b32 s12, ttmp9
	s_ashr_i32 s13, ttmp9, 31
	s_delay_alu instid0(SALU_CYCLE_1) | instskip(NEXT) | instid1(SALU_CYCLE_1)
	s_lshl_b64 s[12:13], s[12:13], 2
	s_add_nc_u64 s[8:9], s[8:9], s[12:13]
	s_load_b32 s30, s[8:9], 0x0
.LBB248_3:
	s_load_b96 s[16:18], s[0:1], 0x58
	v_and_b32_e32 v1, 3, v0
	s_mul_u64 s[4:5], s[2:3], s[4:5]
	s_ashr_i32 s3, ttmp9, 31
	s_ashr_i32 s4, s11, 31
	s_mul_i32 s20, ttmp9, 0x78
	s_mov_b32 s8, exec_lo
	v_cmpx_gt_u32_e32 60, v0
	s_cbranch_execz .LBB248_5
; %bb.4:
	s_load_b64 s[12:13], s[0:1], 0x18
	s_wait_kmcnt 0x0
	s_mul_i32 s14, s16, s19
	s_ashr_i32 s21, s20, 31
	s_ashr_i32 s15, s14, 31
	v_lshlrev_b32_e32 v2, 2, v0
	s_lshl_b64 s[14:15], s[14:15], 1
	v_and_b32_e32 v3, 0x3fc, v0
	s_delay_alu instid0(VALU_DEP_1) | instskip(SKIP_2) | instid1(SALU_CYCLE_1)
	v_mad_u32_u24 v3, v1, 60, v3
	s_add_nc_u64 s[12:13], s[12:13], s[14:15]
	s_lshl_b64 s[14:15], s[20:21], 1
	s_add_nc_u64 s[12:13], s[12:13], s[14:15]
	global_load_b32 v2, v2, s[12:13]
	s_wait_loadcnt 0x0
	ds_store_b32 v3, v2
.LBB248_5:
	s_or_b32 exec_lo, exec_lo, s8
	s_load_b128 s[12:15], s[0:1], 0x78
	s_mul_i32 s8, s5, s10
	s_xor_b32 s3, s3, s4
	s_sub_co_i32 s2, s2, s8
	s_add_co_i32 s4, s5, 1
	s_wait_alu 0xfffe
	s_sub_co_i32 s8, s2, s10
	s_cmp_ge_u32 s2, s10
                                        ; implicit-def: $sgpr21
	s_cselect_b32 s4, s4, s5
	s_cselect_b32 s2, s8, s2
	s_add_co_i32 s5, s4, 1
	s_wait_alu 0xfffe
	s_cmp_ge_u32 s2, s10
	s_load_b32 s8, s[0:1], 0x88
	s_cselect_b32 s2, s5, s4
	s_add_co_i32 s9, s34, -1
	s_wait_alu 0xfffe
	s_xor_b32 s2, s2, s3
	s_mov_b32 s10, -1
	s_wait_alu 0xfffe
	s_sub_co_i32 s28, s2, s3
	s_wait_dscnt 0x0
	s_barrier_signal -1
	s_wait_kmcnt 0x0
	s_abs_i32 s16, s15
	s_barrier_wait -1
	s_cvt_f32_u32 s4, s16
	global_inv scope:SCOPE_SE
	v_rcp_iflag_f32_e32 v2, s4
	s_delay_alu instid0(TRANS32_DEP_1) | instskip(SKIP_2) | instid1(SALU_CYCLE_2)
	v_readfirstlane_b32 s4, v2
	s_mul_f32 s2, s4, 0x4f7ffffe
	s_wait_alu 0xfffe
	s_cvt_u32_f32 s4, s2
	s_sub_co_i32 s2, 0, s16
	s_wait_alu 0xfffe
	s_delay_alu instid0(SALU_CYCLE_1)
	s_mul_i32 s3, s2, s4
	s_abs_i32 s2, s9
	s_wait_alu 0xfffe
	s_mul_hi_u32 s5, s4, s3
	s_mov_b32 s3, 0
	s_wait_alu 0xfffe
	s_add_co_i32 s22, s4, s5
	s_cmp_lt_i32 s8, 0
	s_mov_b32 s23, s3
	s_cbranch_scc0 .LBB248_7
; %bb.6:
	s_mul_i32 s4, s12, s6
	s_mov_b32 s10, s3
	s_wait_alu 0xfffe
	s_add_co_i32 s4, s28, s4
	s_wait_alu 0xfffe
	s_mul_i32 s4, s4, s8
	s_wait_alu 0xfffe
	s_sub_co_i32 s21, 1, s4
.LBB248_7:
	s_mul_u64 s[4:5], s[2:3], s[22:23]
	s_ashr_i32 s3, s9, 31
	s_and_not1_b32 vcc_lo, exec_lo, s10
	s_ashr_i32 s15, s15, 31
	s_cbranch_vccnz .LBB248_9
; %bb.8:
	s_mul_i32 s4, s35, s12
	s_wait_alu 0xfffe
	s_add_co_i32 s4, s4, ttmp9
	s_wait_alu 0xfffe
	s_mul_i32 s4, s4, s8
	s_wait_alu 0xfffe
	s_add_co_i32 s21, s4, 1
.LBB248_9:
	s_clause 0x3
	s_load_b32 s4, s[0:1], 0x48
	s_load_b64 s[24:25], s[0:1], 0x38
	s_load_b32 s12, s[0:1], 0x98
	s_load_b128 s[8:11], s[0:1], 0x68
	s_mul_i32 s6, s5, s16
	s_xor_b32 s3, s3, s15
	s_sub_co_i32 s2, s2, s6
	s_add_co_i32 s23, s5, 1
	v_lshrrev_b32_e32 v11, 5, v0
	v_mov_b32_e32 v15, 0xff7fffff
	v_mbcnt_lo_u32_b32 v10, -1, 0
	s_mul_i32 s28, s28, s18
	s_delay_alu instid0(VALU_DEP_3)
	v_lshl_add_u32 v12, v11, 3, s36
	s_wait_kmcnt 0x0
	s_mul_i32 s26, s4, s19
	s_wait_alu 0xfffe
	s_sub_co_i32 s4, s2, s16
	s_ashr_i32 s27, s26, 31
	s_cmp_ge_u32 s2, s16
	s_cselect_b32 s5, s23, s5
	s_wait_alu 0xfffe
	s_cselect_b32 s2, s4, s2
	s_add_co_i32 s4, s5, 1
	s_wait_alu 0xfffe
	s_cmp_ge_u32 s2, s16
	s_cselect_b32 s2, s4, s5
	s_add_co_i32 s4, s34, 7
	s_lshl_b32 s39, s33, 6
	s_wait_alu 0xfffe
	s_ashr_i32 s5, s4, 31
	v_or_b32_e32 v13, s39, v11
	s_wait_alu 0xfffe
	s_lshr_b32 s5, s5, 29
	s_wait_alu 0xfffe
	s_add_co_i32 s4, s4, s5
	s_add_co_i32 s5, s39, 64
	s_wait_alu 0xfffe
	s_ashr_i32 s37, s4, 3
	s_xor_b32 s4, s2, s3
	s_wait_alu 0xfffe
	s_min_i32 s23, s5, s37
	v_lshlrev_b32_e32 v9, 2, v13
	v_cmp_gt_i32_e64 s2, s23, v13
	s_sub_co_i32 s38, s4, s3
	s_and_saveexec_b32 s6, s2
	s_cbranch_execz .LBB248_261
; %bb.10:
	s_wait_alu 0xfffe
	s_sub_co_i32 s18, s38, s13
	s_ashr_i32 s29, s28, 31
	s_cmp_neq_f32 s30, 0
	s_load_b64 s[4:5], s[0:1], 0x20
	v_bfe_u32 v14, v0, 2, 3
	v_mov_b32_e32 v2, 0
	s_cselect_b32 vcc_lo, -1, 0
	s_abs_i32 s31, s14
	v_dual_mov_b32 v15, 0xff7fffff :: v_dual_lshlrev_b32 v4, 1, v1
	s_cvt_f32_u32 s3, s31
	v_mul_u32_u24_e32 v16, 60, v1
	v_dual_mov_b32 v20, 0xff7fffff :: v_dual_lshlrev_b32 v5, 2, v14
	s_wait_alu 0xfffe
	v_rcp_iflag_f32_e32 v3, s3
	v_cmp_eq_u32_e64 s3, 0, v1
	v_lshlrev_b32_e32 v1, 4, v14
	v_lshl_or_b32 v8, v11, 5, v5
	s_lshl_b64 s[42:43], s[26:27], 2
	v_subrev_nc_u32_e32 v7, s34, v14
	s_add_nc_u64 s[42:43], s[24:25], s[42:43]
	s_sub_co_i32 s44, 0, s31
	v_lshl_add_u32 v17, v11, 3, s36
	s_wait_kmcnt 0x0
	s_add_nc_u64 s[4:5], s[4:5], s[28:29]
	v_readfirstlane_b32 s41, v3
	s_wait_alu 0xfffe
	v_add_co_u32 v1, s4, s4, v1
	s_wait_alu 0xf1ff
	v_add_co_ci_u32_e64 v5, null, s5, 0, s4
	s_mul_f32 s29, s41, 0x4f7ffffe
	v_add_co_u32 v3, s4, v1, v4
	s_wait_alu 0xf1ff
	v_add_co_ci_u32_e64 v4, null, 0, v5, s4
	s_cvt_u32_f32 s5, s29
	v_add_co_u32 v5, s4, s42, v9
	s_wait_alu 0xf1ff
	v_add_co_ci_u32_e64 v6, null, s43, 0, s4
	s_wait_alu 0xfffe
	s_mul_i32 s44, s44, s5
	v_dual_mov_b32 v21, v13 :: v_dual_add_nc_u32 v18, 1, v7
	v_add_nc_u32_e32 v19, 0x110, v8
	s_mul_hi_u32 s4, s5, s44
	s_mov_b32 s40, 0
	s_mov_b32 s29, s17
	s_wait_alu 0xfffe
	s_add_co_i32 s41, s5, s4
	s_branch .LBB248_13
.LBB248_11:                             ;   in Loop: Header=BB248_13 Depth=1
	s_wait_alu 0xfffe
	s_or_b32 exec_lo, exec_lo, s42
.LBB248_12:                             ;   in Loop: Header=BB248_13 Depth=1
	s_wait_alu 0xfffe
	s_or_b32 exec_lo, exec_lo, s5
	v_add_nc_u32_e32 v21, 4, v21
	v_add_co_u32 v5, s5, v5, 16
	s_wait_alu 0xf1ff
	v_add_co_ci_u32_e64 v6, null, 0, v6, s5
	s_delay_alu instid0(VALU_DEP_3)
	v_cmp_le_i32_e64 s4, s23, v21
	v_add_nc_u32_e32 v17, 32, v17
	v_add_nc_u32_e32 v19, 0x80, v19
	s_or_b32 s40, s4, s40
	s_wait_alu 0xfffe
	s_and_not1_b32 exec_lo, exec_lo, s40
	s_cbranch_execz .LBB248_260
.LBB248_13:                             ; =>This Inner Loop Header: Depth=1
	v_sub_nc_u32_e32 v1, 0, v17
	s_delay_alu instid0(VALU_DEP_1) | instskip(SKIP_1) | instid1(VALU_DEP_1)
	v_max_i32_e32 v1, v17, v1
	s_wait_dscnt 0x0
	v_mul_hi_u32 v7, v1, s22
	s_delay_alu instid0(VALU_DEP_1) | instskip(NEXT) | instid1(VALU_DEP_1)
	v_mul_lo_u32 v8, v7, s16
	v_sub_nc_u32_e32 v1, v1, v8
	v_add_nc_u32_e32 v8, 1, v7
	s_delay_alu instid0(VALU_DEP_2) | instskip(SKIP_2) | instid1(VALU_DEP_1)
	v_subrev_nc_u32_e32 v22, s16, v1
	v_cmp_le_u32_e64 s4, s16, v1
	s_wait_alu 0xf1ff
	v_cndmask_b32_e64 v7, v7, v8, s4
	s_delay_alu instid0(VALU_DEP_3) | instskip(SKIP_1) | instid1(VALU_DEP_3)
	v_cndmask_b32_e64 v1, v1, v22, s4
	v_ashrrev_i32_e32 v8, 31, v17
	v_add_nc_u32_e32 v22, 1, v7
	s_delay_alu instid0(VALU_DEP_3) | instskip(NEXT) | instid1(VALU_DEP_3)
	v_cmp_le_u32_e64 s4, s16, v1
	v_xor_b32_e32 v8, s15, v8
	s_wait_alu 0xf1ff
	s_delay_alu instid0(VALU_DEP_2) | instskip(NEXT) | instid1(VALU_DEP_1)
	v_cndmask_b32_e64 v1, v7, v22, s4
	v_xor_b32_e32 v1, v1, v8
	s_delay_alu instid0(VALU_DEP_1) | instskip(NEXT) | instid1(VALU_DEP_1)
	v_sub_nc_u32_e32 v1, v1, v8
	v_add_nc_u32_e32 v7, s21, v1
	v_cmp_ge_i32_e64 s5, s18, v1
	s_delay_alu instid0(VALU_DEP_2) | instskip(NEXT) | instid1(VALU_DEP_1)
	v_sub_nc_u32_e32 v8, 0, v7
	v_max_i32_e32 v8, v7, v8
	v_ashrrev_i32_e32 v7, 31, v7
	s_delay_alu instid0(VALU_DEP_2) | instskip(NEXT) | instid1(VALU_DEP_1)
	v_mul_hi_u32 v22, v8, s41
	v_mul_lo_u32 v22, v22, s31
	s_delay_alu instid0(VALU_DEP_1) | instskip(NEXT) | instid1(VALU_DEP_1)
	v_sub_nc_u32_e32 v8, v8, v22
	v_subrev_nc_u32_e32 v22, s31, v8
	v_cmp_le_u32_e64 s4, s31, v8
	s_wait_alu 0xf1ff
	s_delay_alu instid0(VALU_DEP_1) | instskip(NEXT) | instid1(VALU_DEP_1)
	v_cndmask_b32_e64 v8, v8, v22, s4
	v_subrev_nc_u32_e32 v22, s31, v8
	v_cmp_le_u32_e64 s4, s31, v8
	s_wait_alu 0xf1ff
	s_delay_alu instid0(VALU_DEP_1) | instskip(NEXT) | instid1(VALU_DEP_1)
	v_cndmask_b32_e64 v8, v8, v22, s4
	v_xor_b32_e32 v8, v8, v7
	s_delay_alu instid0(VALU_DEP_1) | instskip(NEXT) | instid1(VALU_DEP_1)
	v_sub_nc_u32_e32 v7, v8, v7
	v_cmp_ne_u32_e64 s4, 0, v7
	s_and_b32 s4, s4, s5
	s_wait_alu 0xfffe
	s_and_saveexec_b32 s5, s4
	s_wait_alu 0xfffe
	s_xor_b32 s4, exec_lo, s5
	s_cbranch_execz .LBB248_17
; %bb.14:                               ;   in Loop: Header=BB248_13 Depth=1
	s_and_saveexec_b32 s5, s3
; %bb.15:                               ;   in Loop: Header=BB248_13 Depth=1
	ds_store_b32 v19, v20
; %bb.16:                               ;   in Loop: Header=BB248_13 Depth=1
	s_wait_alu 0xfffe
	s_or_b32 exec_lo, exec_lo, s5
.LBB248_17:                             ;   in Loop: Header=BB248_13 Depth=1
	s_wait_alu 0xfffe
	s_and_not1_saveexec_b32 s5, s4
	s_cbranch_execz .LBB248_12
; %bb.18:                               ;   in Loop: Header=BB248_13 Depth=1
	global_load_b32 v1, v[5:6], off
	s_wait_loadcnt 0x0
	v_mad_co_i64_i32 v[7:8], null, v1, s29, v[3:4]
	global_load_u16 v1, v[7:8], off
	s_wait_loadcnt 0x0
	v_dual_mov_b32 v23, 0 :: v_dual_and_b32 v24, 0xff, v1
	global_load_b32 v22, v23, s[8:9]
	v_and_b32_e32 v1, 0xffff, v1
	v_cmp_ne_u16_e64 s4, 0, v24
	v_mov_b32_e32 v24, 0
	s_and_saveexec_b32 s42, s4
	s_cbranch_execz .LBB248_26
; %bb.19:                               ;   in Loop: Header=BB248_13 Depth=1
	v_and_b32_e32 v24, 0xff, v1
	s_delay_alu instid0(VALU_DEP_1)
	v_cmp_ne_u16_e64 s4, 0x80, v24
	v_mov_b32_e32 v24, 0x8000
	s_and_saveexec_b32 s43, s4
	s_cbranch_execz .LBB248_25
; %bb.20:                               ;   in Loop: Header=BB248_13 Depth=1
	v_and_b32_e32 v26, 0x7f, v1
	v_mov_b32_e32 v24, 0x7c01
	s_mov_b32 s44, exec_lo
	s_delay_alu instid0(VALU_DEP_2)
	v_cmpx_ne_u32_e32 0x7f, v26
	s_cbranch_execz .LBB248_24
; %bb.21:                               ;   in Loop: Header=BB248_13 Depth=1
	v_and_b32_e32 v24, 7, v1
	v_lshrrev_b32_e32 v25, 3, v26
	s_mov_b32 s45, exec_lo
	v_cmpx_gt_u32_e32 8, v26
; %bb.22:                               ;   in Loop: Header=BB248_13 Depth=1
	s_delay_alu instid0(VALU_DEP_3) | instskip(NEXT) | instid1(VALU_DEP_1)
	v_clz_i32_u32_e32 v24, v24
	v_min_u32_e32 v26, 32, v24
	s_delay_alu instid0(VALU_DEP_1) | instskip(NEXT) | instid1(VALU_DEP_1)
	v_subrev_nc_u32_e32 v24, 28, v26
	v_lshlrev_b64_e32 v[24:25], v24, v[1:2]
	v_sub_nc_u32_e32 v25, 29, v26
	s_delay_alu instid0(VALU_DEP_2)
	v_and_b32_e32 v24, 7, v24
; %bb.23:                               ;   in Loop: Header=BB248_13 Depth=1
	s_or_b32 exec_lo, exec_lo, s45
	v_lshlrev_b32_e32 v26, 8, v1
	s_delay_alu instid0(VALU_DEP_3) | instskip(NEXT) | instid1(VALU_DEP_3)
	v_lshl_add_u32 v25, v25, 10, 0x2000
	v_lshlrev_b32_e32 v24, 7, v24
	s_delay_alu instid0(VALU_DEP_3) | instskip(NEXT) | instid1(VALU_DEP_3)
	v_and_b32_e32 v26, 0x8000, v26
	v_and_b32_e32 v25, 0xfc00, v25
	s_delay_alu instid0(VALU_DEP_1)
	v_or3_b32 v24, v26, v25, v24
.LBB248_24:                             ;   in Loop: Header=BB248_13 Depth=1
	s_or_b32 exec_lo, exec_lo, s44
.LBB248_25:                             ;   in Loop: Header=BB248_13 Depth=1
	s_wait_alu 0xfffe
	s_or_b32 exec_lo, exec_lo, s43
.LBB248_26:                             ;   in Loop: Header=BB248_13 Depth=1
	s_wait_alu 0xfffe
	s_or_b32 exec_lo, exec_lo, s42
	v_lshrrev_b16 v1, 8, v1
	s_mov_b32 s42, exec_lo
	s_delay_alu instid0(VALU_DEP_1)
	v_cmpx_ne_u16_e32 0, v1
	s_cbranch_execz .LBB248_34
; %bb.27:                               ;   in Loop: Header=BB248_13 Depth=1
	v_bfrev_b32_e32 v23, 1
	s_mov_b32 s43, exec_lo
	v_cmpx_ne_u16_e32 0x80, v1
	s_cbranch_execz .LBB248_33
; %bb.28:                               ;   in Loop: Header=BB248_13 Depth=1
	v_and_b32_e32 v25, 0xffff, v1
	v_mov_b32_e32 v23, 0x7c010000
	s_mov_b32 s44, exec_lo
	s_delay_alu instid0(VALU_DEP_2) | instskip(NEXT) | instid1(VALU_DEP_1)
	v_and_b32_e32 v27, 0x7f, v25
	v_cmpx_ne_u32_e32 0x7f, v27
	s_cbranch_execz .LBB248_32
; %bb.29:                               ;   in Loop: Header=BB248_13 Depth=1
	v_and_b32_e32 v23, 7, v25
	v_lshrrev_b32_e32 v26, 3, v27
	s_mov_b32 s45, exec_lo
	v_cmpx_gt_u32_e32 8, v27
; %bb.30:                               ;   in Loop: Header=BB248_13 Depth=1
	s_delay_alu instid0(VALU_DEP_3) | instskip(NEXT) | instid1(VALU_DEP_1)
	v_clz_i32_u32_e32 v23, v23
	v_min_u32_e32 v23, 32, v23
	s_delay_alu instid0(VALU_DEP_1) | instskip(NEXT) | instid1(VALU_DEP_1)
	v_subrev_nc_u32_e32 v26, 28, v23
	v_lshlrev_b64_e32 v[27:28], v26, v[1:2]
	v_sub_nc_u32_e32 v26, 29, v23
	s_delay_alu instid0(VALU_DEP_2)
	v_and_b32_e32 v23, 7, v27
; %bb.31:                               ;   in Loop: Header=BB248_13 Depth=1
	s_or_b32 exec_lo, exec_lo, s45
	v_lshlrev_b32_e32 v1, 8, v25
	s_delay_alu instid0(VALU_DEP_3) | instskip(NEXT) | instid1(VALU_DEP_3)
	v_lshl_add_u32 v25, v26, 10, 0x2000
	v_lshlrev_b32_e32 v23, 23, v23
	s_delay_alu instid0(VALU_DEP_2) | instskip(NEXT) | instid1(VALU_DEP_1)
	v_and_or_b32 v1, 0x8000, v1, v25
	v_lshl_or_b32 v23, v1, 16, v23
.LBB248_32:                             ;   in Loop: Header=BB248_13 Depth=1
	s_or_b32 exec_lo, exec_lo, s44
.LBB248_33:                             ;   in Loop: Header=BB248_13 Depth=1
	s_wait_alu 0xfffe
	s_or_b32 exec_lo, exec_lo, s43
.LBB248_34:                             ;   in Loop: Header=BB248_13 Depth=1
	s_wait_alu 0xfffe
	s_or_b32 exec_lo, exec_lo, s42
	global_load_u16 v1, v[7:8], off offset:8
	s_wait_loadcnt 0x0
	v_dual_mov_b32 v25, 0 :: v_dual_and_b32 v26, 0xff, v1
	v_and_b32_e32 v1, 0xffff, v1
	s_delay_alu instid0(VALU_DEP_2)
	v_cmp_ne_u16_e64 s4, 0, v26
	v_mov_b32_e32 v26, 0
	s_and_saveexec_b32 s42, s4
	s_cbranch_execz .LBB248_42
; %bb.35:                               ;   in Loop: Header=BB248_13 Depth=1
	v_and_b32_e32 v26, 0xff, v1
	s_delay_alu instid0(VALU_DEP_1)
	v_cmp_ne_u16_e64 s4, 0x80, v26
	v_mov_b32_e32 v26, 0x8000
	s_and_saveexec_b32 s43, s4
	s_cbranch_execz .LBB248_41
; %bb.36:                               ;   in Loop: Header=BB248_13 Depth=1
	v_and_b32_e32 v28, 0x7f, v1
	v_mov_b32_e32 v26, 0x7c01
	s_mov_b32 s44, exec_lo
	s_delay_alu instid0(VALU_DEP_2)
	v_cmpx_ne_u32_e32 0x7f, v28
	s_cbranch_execz .LBB248_40
; %bb.37:                               ;   in Loop: Header=BB248_13 Depth=1
	v_and_b32_e32 v26, 7, v1
	v_lshrrev_b32_e32 v27, 3, v28
	s_mov_b32 s45, exec_lo
	v_cmpx_gt_u32_e32 8, v28
; %bb.38:                               ;   in Loop: Header=BB248_13 Depth=1
	s_delay_alu instid0(VALU_DEP_3) | instskip(NEXT) | instid1(VALU_DEP_1)
	v_clz_i32_u32_e32 v26, v26
	v_min_u32_e32 v28, 32, v26
	s_delay_alu instid0(VALU_DEP_1) | instskip(NEXT) | instid1(VALU_DEP_1)
	v_subrev_nc_u32_e32 v26, 28, v28
	v_lshlrev_b64_e32 v[26:27], v26, v[1:2]
	v_sub_nc_u32_e32 v27, 29, v28
	s_delay_alu instid0(VALU_DEP_2)
	v_and_b32_e32 v26, 7, v26
; %bb.39:                               ;   in Loop: Header=BB248_13 Depth=1
	s_or_b32 exec_lo, exec_lo, s45
	v_lshlrev_b32_e32 v28, 8, v1
	s_delay_alu instid0(VALU_DEP_3) | instskip(NEXT) | instid1(VALU_DEP_3)
	v_lshl_add_u32 v27, v27, 10, 0x2000
	v_lshlrev_b32_e32 v26, 7, v26
	s_delay_alu instid0(VALU_DEP_3) | instskip(NEXT) | instid1(VALU_DEP_3)
	v_and_b32_e32 v28, 0x8000, v28
	v_and_b32_e32 v27, 0xfc00, v27
	s_delay_alu instid0(VALU_DEP_1)
	v_or3_b32 v26, v28, v27, v26
.LBB248_40:                             ;   in Loop: Header=BB248_13 Depth=1
	s_or_b32 exec_lo, exec_lo, s44
.LBB248_41:                             ;   in Loop: Header=BB248_13 Depth=1
	s_wait_alu 0xfffe
	s_or_b32 exec_lo, exec_lo, s43
.LBB248_42:                             ;   in Loop: Header=BB248_13 Depth=1
	s_wait_alu 0xfffe
	s_or_b32 exec_lo, exec_lo, s42
	v_lshrrev_b16 v1, 8, v1
	s_mov_b32 s42, exec_lo
	s_delay_alu instid0(VALU_DEP_1)
	v_cmpx_ne_u16_e32 0, v1
	s_cbranch_execz .LBB248_50
; %bb.43:                               ;   in Loop: Header=BB248_13 Depth=1
	v_bfrev_b32_e32 v25, 1
	s_mov_b32 s43, exec_lo
	v_cmpx_ne_u16_e32 0x80, v1
	s_cbranch_execz .LBB248_49
; %bb.44:                               ;   in Loop: Header=BB248_13 Depth=1
	v_and_b32_e32 v27, 0xffff, v1
	v_mov_b32_e32 v25, 0x7c010000
	s_mov_b32 s44, exec_lo
	s_delay_alu instid0(VALU_DEP_2) | instskip(NEXT) | instid1(VALU_DEP_1)
	v_and_b32_e32 v29, 0x7f, v27
	v_cmpx_ne_u32_e32 0x7f, v29
	s_cbranch_execz .LBB248_48
; %bb.45:                               ;   in Loop: Header=BB248_13 Depth=1
	v_and_b32_e32 v25, 7, v27
	v_lshrrev_b32_e32 v28, 3, v29
	s_mov_b32 s45, exec_lo
	v_cmpx_gt_u32_e32 8, v29
; %bb.46:                               ;   in Loop: Header=BB248_13 Depth=1
	s_delay_alu instid0(VALU_DEP_3) | instskip(NEXT) | instid1(VALU_DEP_1)
	v_clz_i32_u32_e32 v25, v25
	v_min_u32_e32 v25, 32, v25
	s_delay_alu instid0(VALU_DEP_1) | instskip(NEXT) | instid1(VALU_DEP_1)
	v_subrev_nc_u32_e32 v28, 28, v25
	v_lshlrev_b64_e32 v[29:30], v28, v[1:2]
	v_sub_nc_u32_e32 v28, 29, v25
	s_delay_alu instid0(VALU_DEP_2)
	v_and_b32_e32 v25, 7, v29
; %bb.47:                               ;   in Loop: Header=BB248_13 Depth=1
	s_or_b32 exec_lo, exec_lo, s45
	v_lshlrev_b32_e32 v1, 8, v27
	s_delay_alu instid0(VALU_DEP_3) | instskip(NEXT) | instid1(VALU_DEP_3)
	v_lshl_add_u32 v27, v28, 10, 0x2000
	v_lshlrev_b32_e32 v25, 23, v25
	s_delay_alu instid0(VALU_DEP_2) | instskip(NEXT) | instid1(VALU_DEP_1)
	v_and_or_b32 v1, 0x8000, v1, v27
	v_lshl_or_b32 v25, v1, 16, v25
.LBB248_48:                             ;   in Loop: Header=BB248_13 Depth=1
	s_or_b32 exec_lo, exec_lo, s44
.LBB248_49:                             ;   in Loop: Header=BB248_13 Depth=1
	s_wait_alu 0xfffe
	s_or_b32 exec_lo, exec_lo, s43
.LBB248_50:                             ;   in Loop: Header=BB248_13 Depth=1
	s_wait_alu 0xfffe
	s_or_b32 exec_lo, exec_lo, s42
	global_load_u16 v1, v[7:8], off offset:128
	s_wait_loadcnt 0x0
	v_dual_mov_b32 v27, 0 :: v_dual_and_b32 v28, 0xff, v1
	v_and_b32_e32 v1, 0xffff, v1
	s_delay_alu instid0(VALU_DEP_2)
	v_cmp_ne_u16_e64 s4, 0, v28
	v_mov_b32_e32 v28, 0
	s_and_saveexec_b32 s42, s4
	s_cbranch_execz .LBB248_58
; %bb.51:                               ;   in Loop: Header=BB248_13 Depth=1
	v_and_b32_e32 v28, 0xff, v1
	s_delay_alu instid0(VALU_DEP_1)
	v_cmp_ne_u16_e64 s4, 0x80, v28
	v_mov_b32_e32 v28, 0x8000
	s_and_saveexec_b32 s43, s4
	s_cbranch_execz .LBB248_57
; %bb.52:                               ;   in Loop: Header=BB248_13 Depth=1
	v_and_b32_e32 v30, 0x7f, v1
	v_mov_b32_e32 v28, 0x7c01
	s_mov_b32 s44, exec_lo
	s_delay_alu instid0(VALU_DEP_2)
	v_cmpx_ne_u32_e32 0x7f, v30
	s_cbranch_execz .LBB248_56
; %bb.53:                               ;   in Loop: Header=BB248_13 Depth=1
	v_and_b32_e32 v28, 7, v1
	v_lshrrev_b32_e32 v29, 3, v30
	s_mov_b32 s45, exec_lo
	v_cmpx_gt_u32_e32 8, v30
; %bb.54:                               ;   in Loop: Header=BB248_13 Depth=1
	s_delay_alu instid0(VALU_DEP_3) | instskip(NEXT) | instid1(VALU_DEP_1)
	v_clz_i32_u32_e32 v28, v28
	v_min_u32_e32 v30, 32, v28
	s_delay_alu instid0(VALU_DEP_1) | instskip(NEXT) | instid1(VALU_DEP_1)
	v_subrev_nc_u32_e32 v28, 28, v30
	v_lshlrev_b64_e32 v[28:29], v28, v[1:2]
	v_sub_nc_u32_e32 v29, 29, v30
	s_delay_alu instid0(VALU_DEP_2)
	v_and_b32_e32 v28, 7, v28
; %bb.55:                               ;   in Loop: Header=BB248_13 Depth=1
	s_or_b32 exec_lo, exec_lo, s45
	v_lshlrev_b32_e32 v30, 8, v1
	s_delay_alu instid0(VALU_DEP_3) | instskip(NEXT) | instid1(VALU_DEP_3)
	v_lshl_add_u32 v29, v29, 10, 0x2000
	v_lshlrev_b32_e32 v28, 7, v28
	s_delay_alu instid0(VALU_DEP_3) | instskip(NEXT) | instid1(VALU_DEP_3)
	v_and_b32_e32 v30, 0x8000, v30
	v_and_b32_e32 v29, 0xfc00, v29
	s_delay_alu instid0(VALU_DEP_1)
	v_or3_b32 v28, v30, v29, v28
.LBB248_56:                             ;   in Loop: Header=BB248_13 Depth=1
	s_or_b32 exec_lo, exec_lo, s44
.LBB248_57:                             ;   in Loop: Header=BB248_13 Depth=1
	s_wait_alu 0xfffe
	s_or_b32 exec_lo, exec_lo, s43
.LBB248_58:                             ;   in Loop: Header=BB248_13 Depth=1
	s_wait_alu 0xfffe
	s_or_b32 exec_lo, exec_lo, s42
	v_lshrrev_b16 v1, 8, v1
	s_mov_b32 s42, exec_lo
	s_delay_alu instid0(VALU_DEP_1)
	v_cmpx_ne_u16_e32 0, v1
	s_cbranch_execz .LBB248_66
; %bb.59:                               ;   in Loop: Header=BB248_13 Depth=1
	v_bfrev_b32_e32 v27, 1
	s_mov_b32 s43, exec_lo
	v_cmpx_ne_u16_e32 0x80, v1
	s_cbranch_execz .LBB248_65
; %bb.60:                               ;   in Loop: Header=BB248_13 Depth=1
	v_and_b32_e32 v29, 0xffff, v1
	v_mov_b32_e32 v27, 0x7c010000
	s_mov_b32 s44, exec_lo
	s_delay_alu instid0(VALU_DEP_2) | instskip(NEXT) | instid1(VALU_DEP_1)
	v_and_b32_e32 v31, 0x7f, v29
	v_cmpx_ne_u32_e32 0x7f, v31
	s_cbranch_execz .LBB248_64
; %bb.61:                               ;   in Loop: Header=BB248_13 Depth=1
	v_and_b32_e32 v27, 7, v29
	v_lshrrev_b32_e32 v30, 3, v31
	s_mov_b32 s45, exec_lo
	v_cmpx_gt_u32_e32 8, v31
; %bb.62:                               ;   in Loop: Header=BB248_13 Depth=1
	s_delay_alu instid0(VALU_DEP_3) | instskip(NEXT) | instid1(VALU_DEP_1)
	v_clz_i32_u32_e32 v27, v27
	v_min_u32_e32 v27, 32, v27
	s_delay_alu instid0(VALU_DEP_1) | instskip(NEXT) | instid1(VALU_DEP_1)
	v_subrev_nc_u32_e32 v30, 28, v27
	v_lshlrev_b64_e32 v[31:32], v30, v[1:2]
	v_sub_nc_u32_e32 v30, 29, v27
	s_delay_alu instid0(VALU_DEP_2)
	v_and_b32_e32 v27, 7, v31
; %bb.63:                               ;   in Loop: Header=BB248_13 Depth=1
	s_or_b32 exec_lo, exec_lo, s45
	v_lshlrev_b32_e32 v1, 8, v29
	s_delay_alu instid0(VALU_DEP_3) | instskip(NEXT) | instid1(VALU_DEP_3)
	v_lshl_add_u32 v29, v30, 10, 0x2000
	v_lshlrev_b32_e32 v27, 23, v27
	s_delay_alu instid0(VALU_DEP_2) | instskip(NEXT) | instid1(VALU_DEP_1)
	v_and_or_b32 v1, 0x8000, v1, v29
	v_lshl_or_b32 v27, v1, 16, v27
.LBB248_64:                             ;   in Loop: Header=BB248_13 Depth=1
	s_or_b32 exec_lo, exec_lo, s44
.LBB248_65:                             ;   in Loop: Header=BB248_13 Depth=1
	s_wait_alu 0xfffe
	s_or_b32 exec_lo, exec_lo, s43
.LBB248_66:                             ;   in Loop: Header=BB248_13 Depth=1
	s_wait_alu 0xfffe
	s_or_b32 exec_lo, exec_lo, s42
	global_load_u16 v1, v[7:8], off offset:136
	s_wait_loadcnt 0x0
	v_dual_mov_b32 v29, 0 :: v_dual_and_b32 v30, 0xff, v1
	v_and_b32_e32 v1, 0xffff, v1
	s_delay_alu instid0(VALU_DEP_2)
	v_cmp_ne_u16_e64 s4, 0, v30
	v_mov_b32_e32 v30, 0
	s_and_saveexec_b32 s42, s4
	s_cbranch_execz .LBB248_74
; %bb.67:                               ;   in Loop: Header=BB248_13 Depth=1
	v_and_b32_e32 v30, 0xff, v1
	s_delay_alu instid0(VALU_DEP_1)
	v_cmp_ne_u16_e64 s4, 0x80, v30
	v_mov_b32_e32 v30, 0x8000
	s_and_saveexec_b32 s43, s4
	s_cbranch_execz .LBB248_73
; %bb.68:                               ;   in Loop: Header=BB248_13 Depth=1
	v_and_b32_e32 v32, 0x7f, v1
	v_mov_b32_e32 v30, 0x7c01
	s_mov_b32 s44, exec_lo
	s_delay_alu instid0(VALU_DEP_2)
	v_cmpx_ne_u32_e32 0x7f, v32
	s_cbranch_execz .LBB248_72
; %bb.69:                               ;   in Loop: Header=BB248_13 Depth=1
	v_and_b32_e32 v30, 7, v1
	v_lshrrev_b32_e32 v31, 3, v32
	s_mov_b32 s45, exec_lo
	v_cmpx_gt_u32_e32 8, v32
; %bb.70:                               ;   in Loop: Header=BB248_13 Depth=1
	s_delay_alu instid0(VALU_DEP_3) | instskip(NEXT) | instid1(VALU_DEP_1)
	v_clz_i32_u32_e32 v30, v30
	v_min_u32_e32 v32, 32, v30
	s_delay_alu instid0(VALU_DEP_1) | instskip(NEXT) | instid1(VALU_DEP_1)
	v_subrev_nc_u32_e32 v30, 28, v32
	v_lshlrev_b64_e32 v[30:31], v30, v[1:2]
	v_sub_nc_u32_e32 v31, 29, v32
	s_delay_alu instid0(VALU_DEP_2)
	v_and_b32_e32 v30, 7, v30
; %bb.71:                               ;   in Loop: Header=BB248_13 Depth=1
	s_or_b32 exec_lo, exec_lo, s45
	v_lshlrev_b32_e32 v32, 8, v1
	s_delay_alu instid0(VALU_DEP_3) | instskip(NEXT) | instid1(VALU_DEP_3)
	v_lshl_add_u32 v31, v31, 10, 0x2000
	v_lshlrev_b32_e32 v30, 7, v30
	s_delay_alu instid0(VALU_DEP_3) | instskip(NEXT) | instid1(VALU_DEP_3)
	v_and_b32_e32 v32, 0x8000, v32
	v_and_b32_e32 v31, 0xfc00, v31
	s_delay_alu instid0(VALU_DEP_1)
	v_or3_b32 v30, v32, v31, v30
.LBB248_72:                             ;   in Loop: Header=BB248_13 Depth=1
	s_or_b32 exec_lo, exec_lo, s44
.LBB248_73:                             ;   in Loop: Header=BB248_13 Depth=1
	s_wait_alu 0xfffe
	s_or_b32 exec_lo, exec_lo, s43
.LBB248_74:                             ;   in Loop: Header=BB248_13 Depth=1
	s_wait_alu 0xfffe
	s_or_b32 exec_lo, exec_lo, s42
	v_lshrrev_b16 v1, 8, v1
	s_mov_b32 s42, exec_lo
	s_delay_alu instid0(VALU_DEP_1)
	v_cmpx_ne_u16_e32 0, v1
	s_cbranch_execz .LBB248_82
; %bb.75:                               ;   in Loop: Header=BB248_13 Depth=1
	v_bfrev_b32_e32 v29, 1
	s_mov_b32 s43, exec_lo
	v_cmpx_ne_u16_e32 0x80, v1
	s_cbranch_execz .LBB248_81
; %bb.76:                               ;   in Loop: Header=BB248_13 Depth=1
	v_and_b32_e32 v31, 0xffff, v1
	v_mov_b32_e32 v29, 0x7c010000
	s_mov_b32 s44, exec_lo
	s_delay_alu instid0(VALU_DEP_2) | instskip(NEXT) | instid1(VALU_DEP_1)
	v_and_b32_e32 v33, 0x7f, v31
	v_cmpx_ne_u32_e32 0x7f, v33
	s_cbranch_execz .LBB248_80
; %bb.77:                               ;   in Loop: Header=BB248_13 Depth=1
	v_and_b32_e32 v29, 7, v31
	v_lshrrev_b32_e32 v32, 3, v33
	s_mov_b32 s45, exec_lo
	v_cmpx_gt_u32_e32 8, v33
; %bb.78:                               ;   in Loop: Header=BB248_13 Depth=1
	s_delay_alu instid0(VALU_DEP_3) | instskip(NEXT) | instid1(VALU_DEP_1)
	v_clz_i32_u32_e32 v29, v29
	v_min_u32_e32 v29, 32, v29
	s_delay_alu instid0(VALU_DEP_1) | instskip(NEXT) | instid1(VALU_DEP_1)
	v_subrev_nc_u32_e32 v32, 28, v29
	v_lshlrev_b64_e32 v[33:34], v32, v[1:2]
	v_sub_nc_u32_e32 v32, 29, v29
	s_delay_alu instid0(VALU_DEP_2)
	v_and_b32_e32 v29, 7, v33
; %bb.79:                               ;   in Loop: Header=BB248_13 Depth=1
	s_or_b32 exec_lo, exec_lo, s45
	v_lshlrev_b32_e32 v1, 8, v31
	s_delay_alu instid0(VALU_DEP_3) | instskip(NEXT) | instid1(VALU_DEP_3)
	v_lshl_add_u32 v31, v32, 10, 0x2000
	v_lshlrev_b32_e32 v29, 23, v29
	s_delay_alu instid0(VALU_DEP_2) | instskip(NEXT) | instid1(VALU_DEP_1)
	v_and_or_b32 v1, 0x8000, v1, v31
	v_lshl_or_b32 v29, v1, 16, v29
.LBB248_80:                             ;   in Loop: Header=BB248_13 Depth=1
	s_or_b32 exec_lo, exec_lo, s44
.LBB248_81:                             ;   in Loop: Header=BB248_13 Depth=1
	s_wait_alu 0xfffe
	s_or_b32 exec_lo, exec_lo, s43
.LBB248_82:                             ;   in Loop: Header=BB248_13 Depth=1
	s_wait_alu 0xfffe
	s_or_b32 exec_lo, exec_lo, s42
	global_load_u16 v1, v[7:8], off offset:256
	s_wait_loadcnt 0x0
	v_dual_mov_b32 v31, 0 :: v_dual_and_b32 v32, 0xff, v1
	v_and_b32_e32 v1, 0xffff, v1
	s_delay_alu instid0(VALU_DEP_2)
	v_cmp_ne_u16_e64 s4, 0, v32
	v_mov_b32_e32 v32, 0
	s_and_saveexec_b32 s42, s4
	s_cbranch_execz .LBB248_90
; %bb.83:                               ;   in Loop: Header=BB248_13 Depth=1
	v_and_b32_e32 v32, 0xff, v1
	s_delay_alu instid0(VALU_DEP_1)
	v_cmp_ne_u16_e64 s4, 0x80, v32
	v_mov_b32_e32 v32, 0x8000
	s_and_saveexec_b32 s43, s4
	s_cbranch_execz .LBB248_89
; %bb.84:                               ;   in Loop: Header=BB248_13 Depth=1
	v_and_b32_e32 v34, 0x7f, v1
	v_mov_b32_e32 v32, 0x7c01
	s_mov_b32 s44, exec_lo
	s_delay_alu instid0(VALU_DEP_2)
	v_cmpx_ne_u32_e32 0x7f, v34
	s_cbranch_execz .LBB248_88
; %bb.85:                               ;   in Loop: Header=BB248_13 Depth=1
	v_and_b32_e32 v32, 7, v1
	v_lshrrev_b32_e32 v33, 3, v34
	s_mov_b32 s45, exec_lo
	v_cmpx_gt_u32_e32 8, v34
; %bb.86:                               ;   in Loop: Header=BB248_13 Depth=1
	s_delay_alu instid0(VALU_DEP_3) | instskip(NEXT) | instid1(VALU_DEP_1)
	v_clz_i32_u32_e32 v32, v32
	v_min_u32_e32 v34, 32, v32
	s_delay_alu instid0(VALU_DEP_1) | instskip(NEXT) | instid1(VALU_DEP_1)
	v_subrev_nc_u32_e32 v32, 28, v34
	v_lshlrev_b64_e32 v[32:33], v32, v[1:2]
	v_sub_nc_u32_e32 v33, 29, v34
	s_delay_alu instid0(VALU_DEP_2)
	v_and_b32_e32 v32, 7, v32
; %bb.87:                               ;   in Loop: Header=BB248_13 Depth=1
	s_or_b32 exec_lo, exec_lo, s45
	v_lshlrev_b32_e32 v34, 8, v1
	s_delay_alu instid0(VALU_DEP_3) | instskip(NEXT) | instid1(VALU_DEP_3)
	v_lshl_add_u32 v33, v33, 10, 0x2000
	v_lshlrev_b32_e32 v32, 7, v32
	s_delay_alu instid0(VALU_DEP_3) | instskip(NEXT) | instid1(VALU_DEP_3)
	v_and_b32_e32 v34, 0x8000, v34
	v_and_b32_e32 v33, 0xfc00, v33
	s_delay_alu instid0(VALU_DEP_1)
	v_or3_b32 v32, v34, v33, v32
.LBB248_88:                             ;   in Loop: Header=BB248_13 Depth=1
	s_or_b32 exec_lo, exec_lo, s44
.LBB248_89:                             ;   in Loop: Header=BB248_13 Depth=1
	s_wait_alu 0xfffe
	s_or_b32 exec_lo, exec_lo, s43
.LBB248_90:                             ;   in Loop: Header=BB248_13 Depth=1
	s_wait_alu 0xfffe
	s_or_b32 exec_lo, exec_lo, s42
	v_lshrrev_b16 v1, 8, v1
	s_mov_b32 s42, exec_lo
	s_delay_alu instid0(VALU_DEP_1)
	v_cmpx_ne_u16_e32 0, v1
	s_cbranch_execz .LBB248_98
; %bb.91:                               ;   in Loop: Header=BB248_13 Depth=1
	v_bfrev_b32_e32 v31, 1
	s_mov_b32 s43, exec_lo
	v_cmpx_ne_u16_e32 0x80, v1
	s_cbranch_execz .LBB248_97
; %bb.92:                               ;   in Loop: Header=BB248_13 Depth=1
	v_and_b32_e32 v33, 0xffff, v1
	v_mov_b32_e32 v31, 0x7c010000
	s_mov_b32 s44, exec_lo
	s_delay_alu instid0(VALU_DEP_2) | instskip(NEXT) | instid1(VALU_DEP_1)
	v_and_b32_e32 v35, 0x7f, v33
	v_cmpx_ne_u32_e32 0x7f, v35
	s_cbranch_execz .LBB248_96
; %bb.93:                               ;   in Loop: Header=BB248_13 Depth=1
	v_and_b32_e32 v31, 7, v33
	v_lshrrev_b32_e32 v34, 3, v35
	s_mov_b32 s45, exec_lo
	v_cmpx_gt_u32_e32 8, v35
; %bb.94:                               ;   in Loop: Header=BB248_13 Depth=1
	s_delay_alu instid0(VALU_DEP_3) | instskip(NEXT) | instid1(VALU_DEP_1)
	v_clz_i32_u32_e32 v31, v31
	v_min_u32_e32 v31, 32, v31
	s_delay_alu instid0(VALU_DEP_1) | instskip(NEXT) | instid1(VALU_DEP_1)
	v_subrev_nc_u32_e32 v34, 28, v31
	v_lshlrev_b64_e32 v[35:36], v34, v[1:2]
	v_sub_nc_u32_e32 v34, 29, v31
	s_delay_alu instid0(VALU_DEP_2)
	v_and_b32_e32 v31, 7, v35
; %bb.95:                               ;   in Loop: Header=BB248_13 Depth=1
	s_or_b32 exec_lo, exec_lo, s45
	v_lshlrev_b32_e32 v1, 8, v33
	s_delay_alu instid0(VALU_DEP_3) | instskip(NEXT) | instid1(VALU_DEP_3)
	v_lshl_add_u32 v33, v34, 10, 0x2000
	v_lshlrev_b32_e32 v31, 23, v31
	s_delay_alu instid0(VALU_DEP_2) | instskip(NEXT) | instid1(VALU_DEP_1)
	v_and_or_b32 v1, 0x8000, v1, v33
	v_lshl_or_b32 v31, v1, 16, v31
.LBB248_96:                             ;   in Loop: Header=BB248_13 Depth=1
	s_or_b32 exec_lo, exec_lo, s44
.LBB248_97:                             ;   in Loop: Header=BB248_13 Depth=1
	s_wait_alu 0xfffe
	s_or_b32 exec_lo, exec_lo, s43
.LBB248_98:                             ;   in Loop: Header=BB248_13 Depth=1
	s_wait_alu 0xfffe
	s_or_b32 exec_lo, exec_lo, s42
	global_load_u16 v1, v[7:8], off offset:264
	s_wait_loadcnt 0x0
	v_dual_mov_b32 v33, 0 :: v_dual_and_b32 v34, 0xff, v1
	v_and_b32_e32 v1, 0xffff, v1
	s_delay_alu instid0(VALU_DEP_2)
	v_cmp_ne_u16_e64 s4, 0, v34
	v_mov_b32_e32 v34, 0
	s_and_saveexec_b32 s42, s4
	s_cbranch_execz .LBB248_106
; %bb.99:                               ;   in Loop: Header=BB248_13 Depth=1
	v_and_b32_e32 v34, 0xff, v1
	s_delay_alu instid0(VALU_DEP_1)
	v_cmp_ne_u16_e64 s4, 0x80, v34
	v_mov_b32_e32 v34, 0x8000
	s_and_saveexec_b32 s43, s4
	s_cbranch_execz .LBB248_105
; %bb.100:                              ;   in Loop: Header=BB248_13 Depth=1
	v_and_b32_e32 v36, 0x7f, v1
	v_mov_b32_e32 v34, 0x7c01
	s_mov_b32 s44, exec_lo
	s_delay_alu instid0(VALU_DEP_2)
	v_cmpx_ne_u32_e32 0x7f, v36
	s_cbranch_execz .LBB248_104
; %bb.101:                              ;   in Loop: Header=BB248_13 Depth=1
	v_and_b32_e32 v34, 7, v1
	v_lshrrev_b32_e32 v35, 3, v36
	s_mov_b32 s45, exec_lo
	v_cmpx_gt_u32_e32 8, v36
; %bb.102:                              ;   in Loop: Header=BB248_13 Depth=1
	s_delay_alu instid0(VALU_DEP_3) | instskip(NEXT) | instid1(VALU_DEP_1)
	v_clz_i32_u32_e32 v34, v34
	v_min_u32_e32 v36, 32, v34
	s_delay_alu instid0(VALU_DEP_1) | instskip(NEXT) | instid1(VALU_DEP_1)
	v_subrev_nc_u32_e32 v34, 28, v36
	v_lshlrev_b64_e32 v[34:35], v34, v[1:2]
	v_sub_nc_u32_e32 v35, 29, v36
	s_delay_alu instid0(VALU_DEP_2)
	v_and_b32_e32 v34, 7, v34
; %bb.103:                              ;   in Loop: Header=BB248_13 Depth=1
	s_or_b32 exec_lo, exec_lo, s45
	v_lshlrev_b32_e32 v36, 8, v1
	s_delay_alu instid0(VALU_DEP_3) | instskip(NEXT) | instid1(VALU_DEP_3)
	v_lshl_add_u32 v35, v35, 10, 0x2000
	v_lshlrev_b32_e32 v34, 7, v34
	s_delay_alu instid0(VALU_DEP_3) | instskip(NEXT) | instid1(VALU_DEP_3)
	v_and_b32_e32 v36, 0x8000, v36
	v_and_b32_e32 v35, 0xfc00, v35
	s_delay_alu instid0(VALU_DEP_1)
	v_or3_b32 v34, v36, v35, v34
.LBB248_104:                            ;   in Loop: Header=BB248_13 Depth=1
	s_or_b32 exec_lo, exec_lo, s44
.LBB248_105:                            ;   in Loop: Header=BB248_13 Depth=1
	s_wait_alu 0xfffe
	s_or_b32 exec_lo, exec_lo, s43
.LBB248_106:                            ;   in Loop: Header=BB248_13 Depth=1
	s_wait_alu 0xfffe
	s_or_b32 exec_lo, exec_lo, s42
	v_lshrrev_b16 v1, 8, v1
	s_mov_b32 s42, exec_lo
	s_delay_alu instid0(VALU_DEP_1)
	v_cmpx_ne_u16_e32 0, v1
	s_cbranch_execz .LBB248_114
; %bb.107:                              ;   in Loop: Header=BB248_13 Depth=1
	v_bfrev_b32_e32 v33, 1
	s_mov_b32 s43, exec_lo
	v_cmpx_ne_u16_e32 0x80, v1
	s_cbranch_execz .LBB248_113
; %bb.108:                              ;   in Loop: Header=BB248_13 Depth=1
	v_and_b32_e32 v35, 0xffff, v1
	v_mov_b32_e32 v33, 0x7c010000
	s_mov_b32 s44, exec_lo
	s_delay_alu instid0(VALU_DEP_2) | instskip(NEXT) | instid1(VALU_DEP_1)
	v_and_b32_e32 v37, 0x7f, v35
	v_cmpx_ne_u32_e32 0x7f, v37
	s_cbranch_execz .LBB248_112
; %bb.109:                              ;   in Loop: Header=BB248_13 Depth=1
	v_and_b32_e32 v33, 7, v35
	v_lshrrev_b32_e32 v36, 3, v37
	s_mov_b32 s45, exec_lo
	v_cmpx_gt_u32_e32 8, v37
; %bb.110:                              ;   in Loop: Header=BB248_13 Depth=1
	s_delay_alu instid0(VALU_DEP_3) | instskip(NEXT) | instid1(VALU_DEP_1)
	v_clz_i32_u32_e32 v33, v33
	v_min_u32_e32 v33, 32, v33
	s_delay_alu instid0(VALU_DEP_1) | instskip(NEXT) | instid1(VALU_DEP_1)
	v_subrev_nc_u32_e32 v36, 28, v33
	v_lshlrev_b64_e32 v[37:38], v36, v[1:2]
	v_sub_nc_u32_e32 v36, 29, v33
	s_delay_alu instid0(VALU_DEP_2)
	v_and_b32_e32 v33, 7, v37
; %bb.111:                              ;   in Loop: Header=BB248_13 Depth=1
	s_or_b32 exec_lo, exec_lo, s45
	v_lshlrev_b32_e32 v1, 8, v35
	s_delay_alu instid0(VALU_DEP_3) | instskip(NEXT) | instid1(VALU_DEP_3)
	v_lshl_add_u32 v35, v36, 10, 0x2000
	v_lshlrev_b32_e32 v33, 23, v33
	s_delay_alu instid0(VALU_DEP_2) | instskip(NEXT) | instid1(VALU_DEP_1)
	v_and_or_b32 v1, 0x8000, v1, v35
	v_lshl_or_b32 v33, v1, 16, v33
.LBB248_112:                            ;   in Loop: Header=BB248_13 Depth=1
	s_or_b32 exec_lo, exec_lo, s44
.LBB248_113:                            ;   in Loop: Header=BB248_13 Depth=1
	s_wait_alu 0xfffe
	s_or_b32 exec_lo, exec_lo, s43
.LBB248_114:                            ;   in Loop: Header=BB248_13 Depth=1
	s_wait_alu 0xfffe
	s_or_b32 exec_lo, exec_lo, s42
	global_load_u16 v1, v[7:8], off offset:384
	s_wait_loadcnt 0x0
	v_dual_mov_b32 v35, 0 :: v_dual_and_b32 v36, 0xff, v1
	v_and_b32_e32 v1, 0xffff, v1
	s_delay_alu instid0(VALU_DEP_2)
	v_cmp_ne_u16_e64 s4, 0, v36
	v_mov_b32_e32 v36, 0
	s_and_saveexec_b32 s42, s4
	s_cbranch_execz .LBB248_122
; %bb.115:                              ;   in Loop: Header=BB248_13 Depth=1
	v_and_b32_e32 v36, 0xff, v1
	s_delay_alu instid0(VALU_DEP_1)
	v_cmp_ne_u16_e64 s4, 0x80, v36
	v_mov_b32_e32 v36, 0x8000
	s_and_saveexec_b32 s43, s4
	s_cbranch_execz .LBB248_121
; %bb.116:                              ;   in Loop: Header=BB248_13 Depth=1
	v_and_b32_e32 v38, 0x7f, v1
	v_mov_b32_e32 v36, 0x7c01
	s_mov_b32 s44, exec_lo
	s_delay_alu instid0(VALU_DEP_2)
	v_cmpx_ne_u32_e32 0x7f, v38
	s_cbranch_execz .LBB248_120
; %bb.117:                              ;   in Loop: Header=BB248_13 Depth=1
	v_and_b32_e32 v36, 7, v1
	v_lshrrev_b32_e32 v37, 3, v38
	s_mov_b32 s45, exec_lo
	v_cmpx_gt_u32_e32 8, v38
; %bb.118:                              ;   in Loop: Header=BB248_13 Depth=1
	s_delay_alu instid0(VALU_DEP_3) | instskip(NEXT) | instid1(VALU_DEP_1)
	v_clz_i32_u32_e32 v36, v36
	v_min_u32_e32 v38, 32, v36
	s_delay_alu instid0(VALU_DEP_1) | instskip(NEXT) | instid1(VALU_DEP_1)
	v_subrev_nc_u32_e32 v36, 28, v38
	v_lshlrev_b64_e32 v[36:37], v36, v[1:2]
	v_sub_nc_u32_e32 v37, 29, v38
	s_delay_alu instid0(VALU_DEP_2)
	v_and_b32_e32 v36, 7, v36
; %bb.119:                              ;   in Loop: Header=BB248_13 Depth=1
	s_or_b32 exec_lo, exec_lo, s45
	v_lshlrev_b32_e32 v38, 8, v1
	s_delay_alu instid0(VALU_DEP_3) | instskip(NEXT) | instid1(VALU_DEP_3)
	v_lshl_add_u32 v37, v37, 10, 0x2000
	v_lshlrev_b32_e32 v36, 7, v36
	s_delay_alu instid0(VALU_DEP_3) | instskip(NEXT) | instid1(VALU_DEP_3)
	v_and_b32_e32 v38, 0x8000, v38
	v_and_b32_e32 v37, 0xfc00, v37
	s_delay_alu instid0(VALU_DEP_1)
	v_or3_b32 v36, v38, v37, v36
.LBB248_120:                            ;   in Loop: Header=BB248_13 Depth=1
	s_or_b32 exec_lo, exec_lo, s44
.LBB248_121:                            ;   in Loop: Header=BB248_13 Depth=1
	s_wait_alu 0xfffe
	s_or_b32 exec_lo, exec_lo, s43
.LBB248_122:                            ;   in Loop: Header=BB248_13 Depth=1
	s_wait_alu 0xfffe
	s_or_b32 exec_lo, exec_lo, s42
	v_lshrrev_b16 v1, 8, v1
	s_mov_b32 s42, exec_lo
	s_delay_alu instid0(VALU_DEP_1)
	v_cmpx_ne_u16_e32 0, v1
	s_cbranch_execz .LBB248_130
; %bb.123:                              ;   in Loop: Header=BB248_13 Depth=1
	v_bfrev_b32_e32 v35, 1
	s_mov_b32 s43, exec_lo
	v_cmpx_ne_u16_e32 0x80, v1
	s_cbranch_execz .LBB248_129
; %bb.124:                              ;   in Loop: Header=BB248_13 Depth=1
	v_and_b32_e32 v37, 0xffff, v1
	v_mov_b32_e32 v35, 0x7c010000
	s_mov_b32 s44, exec_lo
	s_delay_alu instid0(VALU_DEP_2) | instskip(NEXT) | instid1(VALU_DEP_1)
	v_and_b32_e32 v39, 0x7f, v37
	v_cmpx_ne_u32_e32 0x7f, v39
	s_cbranch_execz .LBB248_128
; %bb.125:                              ;   in Loop: Header=BB248_13 Depth=1
	v_and_b32_e32 v35, 7, v37
	v_lshrrev_b32_e32 v38, 3, v39
	s_mov_b32 s45, exec_lo
	v_cmpx_gt_u32_e32 8, v39
; %bb.126:                              ;   in Loop: Header=BB248_13 Depth=1
	s_delay_alu instid0(VALU_DEP_3) | instskip(NEXT) | instid1(VALU_DEP_1)
	v_clz_i32_u32_e32 v35, v35
	v_min_u32_e32 v35, 32, v35
	s_delay_alu instid0(VALU_DEP_1) | instskip(NEXT) | instid1(VALU_DEP_1)
	v_subrev_nc_u32_e32 v38, 28, v35
	v_lshlrev_b64_e32 v[39:40], v38, v[1:2]
	v_sub_nc_u32_e32 v38, 29, v35
	s_delay_alu instid0(VALU_DEP_2)
	v_and_b32_e32 v35, 7, v39
; %bb.127:                              ;   in Loop: Header=BB248_13 Depth=1
	s_or_b32 exec_lo, exec_lo, s45
	v_lshlrev_b32_e32 v1, 8, v37
	s_delay_alu instid0(VALU_DEP_3) | instskip(NEXT) | instid1(VALU_DEP_3)
	v_lshl_add_u32 v37, v38, 10, 0x2000
	v_lshlrev_b32_e32 v35, 23, v35
	s_delay_alu instid0(VALU_DEP_2) | instskip(NEXT) | instid1(VALU_DEP_1)
	v_and_or_b32 v1, 0x8000, v1, v37
	v_lshl_or_b32 v35, v1, 16, v35
.LBB248_128:                            ;   in Loop: Header=BB248_13 Depth=1
	s_or_b32 exec_lo, exec_lo, s44
.LBB248_129:                            ;   in Loop: Header=BB248_13 Depth=1
	s_wait_alu 0xfffe
	s_or_b32 exec_lo, exec_lo, s43
.LBB248_130:                            ;   in Loop: Header=BB248_13 Depth=1
	s_wait_alu 0xfffe
	s_or_b32 exec_lo, exec_lo, s42
	global_load_u16 v1, v[7:8], off offset:392
	s_wait_loadcnt 0x0
	v_dual_mov_b32 v37, 0 :: v_dual_and_b32 v38, 0xff, v1
	v_and_b32_e32 v1, 0xffff, v1
	s_delay_alu instid0(VALU_DEP_2)
	v_cmp_ne_u16_e64 s4, 0, v38
	v_mov_b32_e32 v38, 0
	s_and_saveexec_b32 s42, s4
	s_cbranch_execz .LBB248_138
; %bb.131:                              ;   in Loop: Header=BB248_13 Depth=1
	v_and_b32_e32 v38, 0xff, v1
	s_delay_alu instid0(VALU_DEP_1)
	v_cmp_ne_u16_e64 s4, 0x80, v38
	v_mov_b32_e32 v38, 0x8000
	s_and_saveexec_b32 s43, s4
	s_cbranch_execz .LBB248_137
; %bb.132:                              ;   in Loop: Header=BB248_13 Depth=1
	v_and_b32_e32 v40, 0x7f, v1
	v_mov_b32_e32 v38, 0x7c01
	s_mov_b32 s44, exec_lo
	s_delay_alu instid0(VALU_DEP_2)
	v_cmpx_ne_u32_e32 0x7f, v40
	s_cbranch_execz .LBB248_136
; %bb.133:                              ;   in Loop: Header=BB248_13 Depth=1
	v_and_b32_e32 v38, 7, v1
	v_lshrrev_b32_e32 v39, 3, v40
	s_mov_b32 s45, exec_lo
	v_cmpx_gt_u32_e32 8, v40
; %bb.134:                              ;   in Loop: Header=BB248_13 Depth=1
	s_delay_alu instid0(VALU_DEP_3) | instskip(NEXT) | instid1(VALU_DEP_1)
	v_clz_i32_u32_e32 v38, v38
	v_min_u32_e32 v40, 32, v38
	s_delay_alu instid0(VALU_DEP_1) | instskip(NEXT) | instid1(VALU_DEP_1)
	v_subrev_nc_u32_e32 v38, 28, v40
	v_lshlrev_b64_e32 v[38:39], v38, v[1:2]
	v_sub_nc_u32_e32 v39, 29, v40
	s_delay_alu instid0(VALU_DEP_2)
	v_and_b32_e32 v38, 7, v38
; %bb.135:                              ;   in Loop: Header=BB248_13 Depth=1
	s_or_b32 exec_lo, exec_lo, s45
	v_lshlrev_b32_e32 v40, 8, v1
	s_delay_alu instid0(VALU_DEP_3) | instskip(NEXT) | instid1(VALU_DEP_3)
	v_lshl_add_u32 v39, v39, 10, 0x2000
	v_lshlrev_b32_e32 v38, 7, v38
	s_delay_alu instid0(VALU_DEP_3) | instskip(NEXT) | instid1(VALU_DEP_3)
	v_and_b32_e32 v40, 0x8000, v40
	v_and_b32_e32 v39, 0xfc00, v39
	s_delay_alu instid0(VALU_DEP_1)
	v_or3_b32 v38, v40, v39, v38
.LBB248_136:                            ;   in Loop: Header=BB248_13 Depth=1
	s_or_b32 exec_lo, exec_lo, s44
.LBB248_137:                            ;   in Loop: Header=BB248_13 Depth=1
	s_wait_alu 0xfffe
	s_or_b32 exec_lo, exec_lo, s43
.LBB248_138:                            ;   in Loop: Header=BB248_13 Depth=1
	s_wait_alu 0xfffe
	s_or_b32 exec_lo, exec_lo, s42
	v_lshrrev_b16 v1, 8, v1
	s_mov_b32 s42, exec_lo
	s_delay_alu instid0(VALU_DEP_1)
	v_cmpx_ne_u16_e32 0, v1
	s_cbranch_execz .LBB248_146
; %bb.139:                              ;   in Loop: Header=BB248_13 Depth=1
	v_bfrev_b32_e32 v37, 1
	s_mov_b32 s43, exec_lo
	v_cmpx_ne_u16_e32 0x80, v1
	s_cbranch_execz .LBB248_145
; %bb.140:                              ;   in Loop: Header=BB248_13 Depth=1
	v_and_b32_e32 v39, 0xffff, v1
	v_mov_b32_e32 v37, 0x7c010000
	s_mov_b32 s44, exec_lo
	s_delay_alu instid0(VALU_DEP_2) | instskip(NEXT) | instid1(VALU_DEP_1)
	v_and_b32_e32 v41, 0x7f, v39
	v_cmpx_ne_u32_e32 0x7f, v41
	s_cbranch_execz .LBB248_144
; %bb.141:                              ;   in Loop: Header=BB248_13 Depth=1
	v_and_b32_e32 v37, 7, v39
	v_lshrrev_b32_e32 v40, 3, v41
	s_mov_b32 s45, exec_lo
	v_cmpx_gt_u32_e32 8, v41
; %bb.142:                              ;   in Loop: Header=BB248_13 Depth=1
	s_delay_alu instid0(VALU_DEP_3) | instskip(NEXT) | instid1(VALU_DEP_1)
	v_clz_i32_u32_e32 v37, v37
	v_min_u32_e32 v37, 32, v37
	s_delay_alu instid0(VALU_DEP_1) | instskip(NEXT) | instid1(VALU_DEP_1)
	v_subrev_nc_u32_e32 v40, 28, v37
	v_lshlrev_b64_e32 v[41:42], v40, v[1:2]
	v_sub_nc_u32_e32 v40, 29, v37
	s_delay_alu instid0(VALU_DEP_2)
	v_and_b32_e32 v37, 7, v41
; %bb.143:                              ;   in Loop: Header=BB248_13 Depth=1
	s_or_b32 exec_lo, exec_lo, s45
	v_lshlrev_b32_e32 v1, 8, v39
	s_delay_alu instid0(VALU_DEP_3) | instskip(NEXT) | instid1(VALU_DEP_3)
	v_lshl_add_u32 v39, v40, 10, 0x2000
	v_lshlrev_b32_e32 v37, 23, v37
	s_delay_alu instid0(VALU_DEP_2) | instskip(NEXT) | instid1(VALU_DEP_1)
	v_and_or_b32 v1, 0x8000, v1, v39
	v_lshl_or_b32 v37, v1, 16, v37
.LBB248_144:                            ;   in Loop: Header=BB248_13 Depth=1
	s_or_b32 exec_lo, exec_lo, s44
.LBB248_145:                            ;   in Loop: Header=BB248_13 Depth=1
	s_wait_alu 0xfffe
	s_or_b32 exec_lo, exec_lo, s43
.LBB248_146:                            ;   in Loop: Header=BB248_13 Depth=1
	s_wait_alu 0xfffe
	s_or_b32 exec_lo, exec_lo, s42
	global_load_u16 v1, v[7:8], off offset:512
	s_wait_loadcnt 0x0
	v_dual_mov_b32 v39, 0 :: v_dual_and_b32 v40, 0xff, v1
	v_and_b32_e32 v1, 0xffff, v1
	s_delay_alu instid0(VALU_DEP_2)
	v_cmp_ne_u16_e64 s4, 0, v40
	v_mov_b32_e32 v40, 0
	s_and_saveexec_b32 s42, s4
	s_cbranch_execz .LBB248_154
; %bb.147:                              ;   in Loop: Header=BB248_13 Depth=1
	v_and_b32_e32 v40, 0xff, v1
	s_delay_alu instid0(VALU_DEP_1)
	v_cmp_ne_u16_e64 s4, 0x80, v40
	v_mov_b32_e32 v40, 0x8000
	s_and_saveexec_b32 s43, s4
	s_cbranch_execz .LBB248_153
; %bb.148:                              ;   in Loop: Header=BB248_13 Depth=1
	v_and_b32_e32 v42, 0x7f, v1
	v_mov_b32_e32 v40, 0x7c01
	s_mov_b32 s44, exec_lo
	s_delay_alu instid0(VALU_DEP_2)
	v_cmpx_ne_u32_e32 0x7f, v42
	s_cbranch_execz .LBB248_152
; %bb.149:                              ;   in Loop: Header=BB248_13 Depth=1
	v_and_b32_e32 v40, 7, v1
	v_lshrrev_b32_e32 v41, 3, v42
	s_mov_b32 s45, exec_lo
	v_cmpx_gt_u32_e32 8, v42
; %bb.150:                              ;   in Loop: Header=BB248_13 Depth=1
	s_delay_alu instid0(VALU_DEP_3) | instskip(NEXT) | instid1(VALU_DEP_1)
	v_clz_i32_u32_e32 v40, v40
	v_min_u32_e32 v42, 32, v40
	s_delay_alu instid0(VALU_DEP_1) | instskip(NEXT) | instid1(VALU_DEP_1)
	v_subrev_nc_u32_e32 v40, 28, v42
	v_lshlrev_b64_e32 v[40:41], v40, v[1:2]
	v_sub_nc_u32_e32 v41, 29, v42
	s_delay_alu instid0(VALU_DEP_2)
	v_and_b32_e32 v40, 7, v40
; %bb.151:                              ;   in Loop: Header=BB248_13 Depth=1
	s_or_b32 exec_lo, exec_lo, s45
	v_lshlrev_b32_e32 v42, 8, v1
	s_delay_alu instid0(VALU_DEP_3) | instskip(NEXT) | instid1(VALU_DEP_3)
	v_lshl_add_u32 v41, v41, 10, 0x2000
	v_lshlrev_b32_e32 v40, 7, v40
	s_delay_alu instid0(VALU_DEP_3) | instskip(NEXT) | instid1(VALU_DEP_3)
	v_and_b32_e32 v42, 0x8000, v42
	v_and_b32_e32 v41, 0xfc00, v41
	s_delay_alu instid0(VALU_DEP_1)
	v_or3_b32 v40, v42, v41, v40
.LBB248_152:                            ;   in Loop: Header=BB248_13 Depth=1
	s_or_b32 exec_lo, exec_lo, s44
.LBB248_153:                            ;   in Loop: Header=BB248_13 Depth=1
	s_wait_alu 0xfffe
	s_or_b32 exec_lo, exec_lo, s43
.LBB248_154:                            ;   in Loop: Header=BB248_13 Depth=1
	s_wait_alu 0xfffe
	s_or_b32 exec_lo, exec_lo, s42
	v_lshrrev_b16 v1, 8, v1
	s_mov_b32 s42, exec_lo
	s_delay_alu instid0(VALU_DEP_1)
	v_cmpx_ne_u16_e32 0, v1
	s_cbranch_execz .LBB248_162
; %bb.155:                              ;   in Loop: Header=BB248_13 Depth=1
	v_bfrev_b32_e32 v39, 1
	s_mov_b32 s43, exec_lo
	v_cmpx_ne_u16_e32 0x80, v1
	s_cbranch_execz .LBB248_161
; %bb.156:                              ;   in Loop: Header=BB248_13 Depth=1
	v_and_b32_e32 v41, 0xffff, v1
	v_mov_b32_e32 v39, 0x7c010000
	s_mov_b32 s44, exec_lo
	s_delay_alu instid0(VALU_DEP_2) | instskip(NEXT) | instid1(VALU_DEP_1)
	v_and_b32_e32 v43, 0x7f, v41
	v_cmpx_ne_u32_e32 0x7f, v43
	s_cbranch_execz .LBB248_160
; %bb.157:                              ;   in Loop: Header=BB248_13 Depth=1
	v_and_b32_e32 v39, 7, v41
	v_lshrrev_b32_e32 v42, 3, v43
	s_mov_b32 s45, exec_lo
	v_cmpx_gt_u32_e32 8, v43
; %bb.158:                              ;   in Loop: Header=BB248_13 Depth=1
	s_delay_alu instid0(VALU_DEP_3) | instskip(NEXT) | instid1(VALU_DEP_1)
	v_clz_i32_u32_e32 v39, v39
	v_min_u32_e32 v39, 32, v39
	s_delay_alu instid0(VALU_DEP_1) | instskip(NEXT) | instid1(VALU_DEP_1)
	v_subrev_nc_u32_e32 v42, 28, v39
	v_lshlrev_b64_e32 v[43:44], v42, v[1:2]
	v_sub_nc_u32_e32 v42, 29, v39
	s_delay_alu instid0(VALU_DEP_2)
	v_and_b32_e32 v39, 7, v43
; %bb.159:                              ;   in Loop: Header=BB248_13 Depth=1
	s_or_b32 exec_lo, exec_lo, s45
	v_lshlrev_b32_e32 v1, 8, v41
	s_delay_alu instid0(VALU_DEP_3) | instskip(NEXT) | instid1(VALU_DEP_3)
	v_lshl_add_u32 v41, v42, 10, 0x2000
	v_lshlrev_b32_e32 v39, 23, v39
	s_delay_alu instid0(VALU_DEP_2) | instskip(NEXT) | instid1(VALU_DEP_1)
	v_and_or_b32 v1, 0x8000, v1, v41
	v_lshl_or_b32 v39, v1, 16, v39
.LBB248_160:                            ;   in Loop: Header=BB248_13 Depth=1
	s_or_b32 exec_lo, exec_lo, s44
.LBB248_161:                            ;   in Loop: Header=BB248_13 Depth=1
	s_wait_alu 0xfffe
	s_or_b32 exec_lo, exec_lo, s43
.LBB248_162:                            ;   in Loop: Header=BB248_13 Depth=1
	s_wait_alu 0xfffe
	s_or_b32 exec_lo, exec_lo, s42
	global_load_u16 v1, v[7:8], off offset:520
	s_wait_loadcnt 0x0
	v_dual_mov_b32 v41, 0 :: v_dual_and_b32 v42, 0xff, v1
	v_and_b32_e32 v1, 0xffff, v1
	s_delay_alu instid0(VALU_DEP_2)
	v_cmp_ne_u16_e64 s4, 0, v42
	v_mov_b32_e32 v42, 0
	s_and_saveexec_b32 s42, s4
	s_cbranch_execz .LBB248_170
; %bb.163:                              ;   in Loop: Header=BB248_13 Depth=1
	v_and_b32_e32 v42, 0xff, v1
	s_delay_alu instid0(VALU_DEP_1)
	v_cmp_ne_u16_e64 s4, 0x80, v42
	v_mov_b32_e32 v42, 0x8000
	s_and_saveexec_b32 s43, s4
	s_cbranch_execz .LBB248_169
; %bb.164:                              ;   in Loop: Header=BB248_13 Depth=1
	v_and_b32_e32 v44, 0x7f, v1
	v_mov_b32_e32 v42, 0x7c01
	s_mov_b32 s44, exec_lo
	s_delay_alu instid0(VALU_DEP_2)
	v_cmpx_ne_u32_e32 0x7f, v44
	s_cbranch_execz .LBB248_168
; %bb.165:                              ;   in Loop: Header=BB248_13 Depth=1
	v_and_b32_e32 v42, 7, v1
	v_lshrrev_b32_e32 v43, 3, v44
	s_mov_b32 s45, exec_lo
	v_cmpx_gt_u32_e32 8, v44
; %bb.166:                              ;   in Loop: Header=BB248_13 Depth=1
	s_delay_alu instid0(VALU_DEP_3) | instskip(NEXT) | instid1(VALU_DEP_1)
	v_clz_i32_u32_e32 v42, v42
	v_min_u32_e32 v44, 32, v42
	s_delay_alu instid0(VALU_DEP_1) | instskip(NEXT) | instid1(VALU_DEP_1)
	v_subrev_nc_u32_e32 v42, 28, v44
	v_lshlrev_b64_e32 v[42:43], v42, v[1:2]
	v_sub_nc_u32_e32 v43, 29, v44
	s_delay_alu instid0(VALU_DEP_2)
	v_and_b32_e32 v42, 7, v42
; %bb.167:                              ;   in Loop: Header=BB248_13 Depth=1
	s_or_b32 exec_lo, exec_lo, s45
	v_lshlrev_b32_e32 v44, 8, v1
	s_delay_alu instid0(VALU_DEP_3) | instskip(NEXT) | instid1(VALU_DEP_3)
	v_lshl_add_u32 v43, v43, 10, 0x2000
	v_lshlrev_b32_e32 v42, 7, v42
	s_delay_alu instid0(VALU_DEP_3) | instskip(NEXT) | instid1(VALU_DEP_3)
	v_and_b32_e32 v44, 0x8000, v44
	v_and_b32_e32 v43, 0xfc00, v43
	s_delay_alu instid0(VALU_DEP_1)
	v_or3_b32 v42, v44, v43, v42
.LBB248_168:                            ;   in Loop: Header=BB248_13 Depth=1
	s_or_b32 exec_lo, exec_lo, s44
.LBB248_169:                            ;   in Loop: Header=BB248_13 Depth=1
	s_wait_alu 0xfffe
	s_or_b32 exec_lo, exec_lo, s43
.LBB248_170:                            ;   in Loop: Header=BB248_13 Depth=1
	s_wait_alu 0xfffe
	s_or_b32 exec_lo, exec_lo, s42
	v_lshrrev_b16 v1, 8, v1
	s_mov_b32 s42, exec_lo
	s_delay_alu instid0(VALU_DEP_1)
	v_cmpx_ne_u16_e32 0, v1
	s_cbranch_execz .LBB248_178
; %bb.171:                              ;   in Loop: Header=BB248_13 Depth=1
	v_bfrev_b32_e32 v41, 1
	s_mov_b32 s43, exec_lo
	v_cmpx_ne_u16_e32 0x80, v1
	s_cbranch_execz .LBB248_177
; %bb.172:                              ;   in Loop: Header=BB248_13 Depth=1
	v_and_b32_e32 v43, 0xffff, v1
	v_mov_b32_e32 v41, 0x7c010000
	s_mov_b32 s44, exec_lo
	s_delay_alu instid0(VALU_DEP_2) | instskip(NEXT) | instid1(VALU_DEP_1)
	v_and_b32_e32 v45, 0x7f, v43
	v_cmpx_ne_u32_e32 0x7f, v45
	s_cbranch_execz .LBB248_176
; %bb.173:                              ;   in Loop: Header=BB248_13 Depth=1
	v_and_b32_e32 v41, 7, v43
	v_lshrrev_b32_e32 v44, 3, v45
	s_mov_b32 s45, exec_lo
	v_cmpx_gt_u32_e32 8, v45
; %bb.174:                              ;   in Loop: Header=BB248_13 Depth=1
	s_delay_alu instid0(VALU_DEP_3) | instskip(NEXT) | instid1(VALU_DEP_1)
	v_clz_i32_u32_e32 v41, v41
	v_min_u32_e32 v41, 32, v41
	s_delay_alu instid0(VALU_DEP_1) | instskip(NEXT) | instid1(VALU_DEP_1)
	v_subrev_nc_u32_e32 v44, 28, v41
	v_lshlrev_b64_e32 v[45:46], v44, v[1:2]
	v_sub_nc_u32_e32 v44, 29, v41
	s_delay_alu instid0(VALU_DEP_2)
	v_and_b32_e32 v41, 7, v45
; %bb.175:                              ;   in Loop: Header=BB248_13 Depth=1
	s_or_b32 exec_lo, exec_lo, s45
	v_lshlrev_b32_e32 v1, 8, v43
	s_delay_alu instid0(VALU_DEP_3) | instskip(NEXT) | instid1(VALU_DEP_3)
	v_lshl_add_u32 v43, v44, 10, 0x2000
	v_lshlrev_b32_e32 v41, 23, v41
	s_delay_alu instid0(VALU_DEP_2) | instskip(NEXT) | instid1(VALU_DEP_1)
	v_and_or_b32 v1, 0x8000, v1, v43
	v_lshl_or_b32 v41, v1, 16, v41
.LBB248_176:                            ;   in Loop: Header=BB248_13 Depth=1
	s_or_b32 exec_lo, exec_lo, s44
.LBB248_177:                            ;   in Loop: Header=BB248_13 Depth=1
	s_wait_alu 0xfffe
	s_or_b32 exec_lo, exec_lo, s43
.LBB248_178:                            ;   in Loop: Header=BB248_13 Depth=1
	s_wait_alu 0xfffe
	s_or_b32 exec_lo, exec_lo, s42
	global_load_u16 v1, v[7:8], off offset:640
	s_wait_loadcnt 0x0
	v_dual_mov_b32 v43, 0 :: v_dual_and_b32 v44, 0xff, v1
	v_and_b32_e32 v1, 0xffff, v1
	s_delay_alu instid0(VALU_DEP_2)
	v_cmp_ne_u16_e64 s4, 0, v44
	v_mov_b32_e32 v44, 0
	s_and_saveexec_b32 s42, s4
	s_cbranch_execz .LBB248_186
; %bb.179:                              ;   in Loop: Header=BB248_13 Depth=1
	v_and_b32_e32 v44, 0xff, v1
	s_delay_alu instid0(VALU_DEP_1)
	v_cmp_ne_u16_e64 s4, 0x80, v44
	v_mov_b32_e32 v44, 0x8000
	s_and_saveexec_b32 s43, s4
	s_cbranch_execz .LBB248_185
; %bb.180:                              ;   in Loop: Header=BB248_13 Depth=1
	v_and_b32_e32 v46, 0x7f, v1
	v_mov_b32_e32 v44, 0x7c01
	s_mov_b32 s44, exec_lo
	s_delay_alu instid0(VALU_DEP_2)
	v_cmpx_ne_u32_e32 0x7f, v46
	s_cbranch_execz .LBB248_184
; %bb.181:                              ;   in Loop: Header=BB248_13 Depth=1
	v_and_b32_e32 v44, 7, v1
	v_lshrrev_b32_e32 v45, 3, v46
	s_mov_b32 s45, exec_lo
	v_cmpx_gt_u32_e32 8, v46
; %bb.182:                              ;   in Loop: Header=BB248_13 Depth=1
	s_delay_alu instid0(VALU_DEP_3) | instskip(NEXT) | instid1(VALU_DEP_1)
	v_clz_i32_u32_e32 v44, v44
	v_min_u32_e32 v46, 32, v44
	s_delay_alu instid0(VALU_DEP_1) | instskip(NEXT) | instid1(VALU_DEP_1)
	v_subrev_nc_u32_e32 v44, 28, v46
	v_lshlrev_b64_e32 v[44:45], v44, v[1:2]
	v_sub_nc_u32_e32 v45, 29, v46
	s_delay_alu instid0(VALU_DEP_2)
	v_and_b32_e32 v44, 7, v44
; %bb.183:                              ;   in Loop: Header=BB248_13 Depth=1
	s_or_b32 exec_lo, exec_lo, s45
	v_lshlrev_b32_e32 v46, 8, v1
	s_delay_alu instid0(VALU_DEP_3) | instskip(NEXT) | instid1(VALU_DEP_3)
	v_lshl_add_u32 v45, v45, 10, 0x2000
	v_lshlrev_b32_e32 v44, 7, v44
	s_delay_alu instid0(VALU_DEP_3) | instskip(NEXT) | instid1(VALU_DEP_3)
	v_and_b32_e32 v46, 0x8000, v46
	v_and_b32_e32 v45, 0xfc00, v45
	s_delay_alu instid0(VALU_DEP_1)
	v_or3_b32 v44, v46, v45, v44
.LBB248_184:                            ;   in Loop: Header=BB248_13 Depth=1
	s_or_b32 exec_lo, exec_lo, s44
.LBB248_185:                            ;   in Loop: Header=BB248_13 Depth=1
	s_wait_alu 0xfffe
	s_or_b32 exec_lo, exec_lo, s43
.LBB248_186:                            ;   in Loop: Header=BB248_13 Depth=1
	s_wait_alu 0xfffe
	s_or_b32 exec_lo, exec_lo, s42
	v_lshrrev_b16 v1, 8, v1
	s_mov_b32 s42, exec_lo
	s_delay_alu instid0(VALU_DEP_1)
	v_cmpx_ne_u16_e32 0, v1
	s_cbranch_execz .LBB248_194
; %bb.187:                              ;   in Loop: Header=BB248_13 Depth=1
	v_bfrev_b32_e32 v43, 1
	s_mov_b32 s43, exec_lo
	v_cmpx_ne_u16_e32 0x80, v1
	s_cbranch_execz .LBB248_193
; %bb.188:                              ;   in Loop: Header=BB248_13 Depth=1
	v_and_b32_e32 v45, 0xffff, v1
	v_mov_b32_e32 v43, 0x7c010000
	s_mov_b32 s44, exec_lo
	s_delay_alu instid0(VALU_DEP_2) | instskip(NEXT) | instid1(VALU_DEP_1)
	v_and_b32_e32 v47, 0x7f, v45
	v_cmpx_ne_u32_e32 0x7f, v47
	s_cbranch_execz .LBB248_192
; %bb.189:                              ;   in Loop: Header=BB248_13 Depth=1
	v_and_b32_e32 v43, 7, v45
	v_lshrrev_b32_e32 v46, 3, v47
	s_mov_b32 s45, exec_lo
	v_cmpx_gt_u32_e32 8, v47
; %bb.190:                              ;   in Loop: Header=BB248_13 Depth=1
	s_delay_alu instid0(VALU_DEP_3) | instskip(NEXT) | instid1(VALU_DEP_1)
	v_clz_i32_u32_e32 v43, v43
	v_min_u32_e32 v43, 32, v43
	s_delay_alu instid0(VALU_DEP_1) | instskip(NEXT) | instid1(VALU_DEP_1)
	v_subrev_nc_u32_e32 v46, 28, v43
	v_lshlrev_b64_e32 v[47:48], v46, v[1:2]
	v_sub_nc_u32_e32 v46, 29, v43
	s_delay_alu instid0(VALU_DEP_2)
	v_and_b32_e32 v43, 7, v47
; %bb.191:                              ;   in Loop: Header=BB248_13 Depth=1
	s_or_b32 exec_lo, exec_lo, s45
	v_lshlrev_b32_e32 v1, 8, v45
	s_delay_alu instid0(VALU_DEP_3) | instskip(NEXT) | instid1(VALU_DEP_3)
	v_lshl_add_u32 v45, v46, 10, 0x2000
	v_lshlrev_b32_e32 v43, 23, v43
	s_delay_alu instid0(VALU_DEP_2) | instskip(NEXT) | instid1(VALU_DEP_1)
	v_and_or_b32 v1, 0x8000, v1, v45
	v_lshl_or_b32 v43, v1, 16, v43
.LBB248_192:                            ;   in Loop: Header=BB248_13 Depth=1
	s_or_b32 exec_lo, exec_lo, s44
.LBB248_193:                            ;   in Loop: Header=BB248_13 Depth=1
	s_wait_alu 0xfffe
	s_or_b32 exec_lo, exec_lo, s43
.LBB248_194:                            ;   in Loop: Header=BB248_13 Depth=1
	s_wait_alu 0xfffe
	s_or_b32 exec_lo, exec_lo, s42
	global_load_u16 v1, v[7:8], off offset:648
	s_wait_loadcnt 0x0
	v_dual_mov_b32 v45, 0 :: v_dual_and_b32 v46, 0xff, v1
	v_and_b32_e32 v1, 0xffff, v1
	s_delay_alu instid0(VALU_DEP_2)
	v_cmp_ne_u16_e64 s4, 0, v46
	v_mov_b32_e32 v46, 0
	s_and_saveexec_b32 s42, s4
	s_cbranch_execz .LBB248_202
; %bb.195:                              ;   in Loop: Header=BB248_13 Depth=1
	v_and_b32_e32 v46, 0xff, v1
	s_delay_alu instid0(VALU_DEP_1)
	v_cmp_ne_u16_e64 s4, 0x80, v46
	v_mov_b32_e32 v46, 0x8000
	s_and_saveexec_b32 s43, s4
	s_cbranch_execz .LBB248_201
; %bb.196:                              ;   in Loop: Header=BB248_13 Depth=1
	v_and_b32_e32 v48, 0x7f, v1
	v_mov_b32_e32 v46, 0x7c01
	s_mov_b32 s44, exec_lo
	s_delay_alu instid0(VALU_DEP_2)
	v_cmpx_ne_u32_e32 0x7f, v48
	s_cbranch_execz .LBB248_200
; %bb.197:                              ;   in Loop: Header=BB248_13 Depth=1
	v_and_b32_e32 v46, 7, v1
	v_lshrrev_b32_e32 v47, 3, v48
	s_mov_b32 s45, exec_lo
	v_cmpx_gt_u32_e32 8, v48
; %bb.198:                              ;   in Loop: Header=BB248_13 Depth=1
	s_delay_alu instid0(VALU_DEP_3) | instskip(NEXT) | instid1(VALU_DEP_1)
	v_clz_i32_u32_e32 v46, v46
	v_min_u32_e32 v48, 32, v46
	s_delay_alu instid0(VALU_DEP_1) | instskip(NEXT) | instid1(VALU_DEP_1)
	v_subrev_nc_u32_e32 v46, 28, v48
	v_lshlrev_b64_e32 v[46:47], v46, v[1:2]
	v_sub_nc_u32_e32 v47, 29, v48
	s_delay_alu instid0(VALU_DEP_2)
	v_and_b32_e32 v46, 7, v46
; %bb.199:                              ;   in Loop: Header=BB248_13 Depth=1
	s_or_b32 exec_lo, exec_lo, s45
	v_lshlrev_b32_e32 v48, 8, v1
	s_delay_alu instid0(VALU_DEP_3) | instskip(NEXT) | instid1(VALU_DEP_3)
	v_lshl_add_u32 v47, v47, 10, 0x2000
	v_lshlrev_b32_e32 v46, 7, v46
	s_delay_alu instid0(VALU_DEP_3) | instskip(NEXT) | instid1(VALU_DEP_3)
	v_and_b32_e32 v48, 0x8000, v48
	v_and_b32_e32 v47, 0xfc00, v47
	s_delay_alu instid0(VALU_DEP_1)
	v_or3_b32 v46, v48, v47, v46
.LBB248_200:                            ;   in Loop: Header=BB248_13 Depth=1
	s_or_b32 exec_lo, exec_lo, s44
.LBB248_201:                            ;   in Loop: Header=BB248_13 Depth=1
	s_wait_alu 0xfffe
	s_or_b32 exec_lo, exec_lo, s43
.LBB248_202:                            ;   in Loop: Header=BB248_13 Depth=1
	s_wait_alu 0xfffe
	s_or_b32 exec_lo, exec_lo, s42
	v_lshrrev_b16 v1, 8, v1
	s_mov_b32 s42, exec_lo
	s_delay_alu instid0(VALU_DEP_1)
	v_cmpx_ne_u16_e32 0, v1
	s_cbranch_execz .LBB248_210
; %bb.203:                              ;   in Loop: Header=BB248_13 Depth=1
	v_bfrev_b32_e32 v45, 1
	s_mov_b32 s43, exec_lo
	v_cmpx_ne_u16_e32 0x80, v1
	s_cbranch_execz .LBB248_209
; %bb.204:                              ;   in Loop: Header=BB248_13 Depth=1
	v_and_b32_e32 v47, 0xffff, v1
	v_mov_b32_e32 v45, 0x7c010000
	s_mov_b32 s44, exec_lo
	s_delay_alu instid0(VALU_DEP_2) | instskip(NEXT) | instid1(VALU_DEP_1)
	v_and_b32_e32 v49, 0x7f, v47
	v_cmpx_ne_u32_e32 0x7f, v49
	s_cbranch_execz .LBB248_208
; %bb.205:                              ;   in Loop: Header=BB248_13 Depth=1
	v_and_b32_e32 v45, 7, v47
	v_lshrrev_b32_e32 v48, 3, v49
	s_mov_b32 s45, exec_lo
	v_cmpx_gt_u32_e32 8, v49
; %bb.206:                              ;   in Loop: Header=BB248_13 Depth=1
	s_delay_alu instid0(VALU_DEP_3) | instskip(NEXT) | instid1(VALU_DEP_1)
	v_clz_i32_u32_e32 v45, v45
	v_min_u32_e32 v45, 32, v45
	s_delay_alu instid0(VALU_DEP_1) | instskip(NEXT) | instid1(VALU_DEP_1)
	v_subrev_nc_u32_e32 v48, 28, v45
	v_lshlrev_b64_e32 v[49:50], v48, v[1:2]
	v_sub_nc_u32_e32 v48, 29, v45
	s_delay_alu instid0(VALU_DEP_2)
	v_and_b32_e32 v45, 7, v49
; %bb.207:                              ;   in Loop: Header=BB248_13 Depth=1
	s_or_b32 exec_lo, exec_lo, s45
	v_lshlrev_b32_e32 v1, 8, v47
	s_delay_alu instid0(VALU_DEP_3) | instskip(NEXT) | instid1(VALU_DEP_3)
	v_lshl_add_u32 v47, v48, 10, 0x2000
	v_lshlrev_b32_e32 v45, 23, v45
	s_delay_alu instid0(VALU_DEP_2) | instskip(NEXT) | instid1(VALU_DEP_1)
	v_and_or_b32 v1, 0x8000, v1, v47
	v_lshl_or_b32 v45, v1, 16, v45
.LBB248_208:                            ;   in Loop: Header=BB248_13 Depth=1
	s_or_b32 exec_lo, exec_lo, s44
.LBB248_209:                            ;   in Loop: Header=BB248_13 Depth=1
	s_wait_alu 0xfffe
	s_or_b32 exec_lo, exec_lo, s43
.LBB248_210:                            ;   in Loop: Header=BB248_13 Depth=1
	s_wait_alu 0xfffe
	s_or_b32 exec_lo, exec_lo, s42
	global_load_u16 v1, v[7:8], off offset:768
	s_wait_loadcnt 0x0
	v_dual_mov_b32 v47, 0 :: v_dual_and_b32 v48, 0xff, v1
	v_and_b32_e32 v1, 0xffff, v1
	s_delay_alu instid0(VALU_DEP_2)
	v_cmp_ne_u16_e64 s4, 0, v48
	v_mov_b32_e32 v48, 0
	s_and_saveexec_b32 s42, s4
	s_cbranch_execz .LBB248_218
; %bb.211:                              ;   in Loop: Header=BB248_13 Depth=1
	v_and_b32_e32 v48, 0xff, v1
	s_delay_alu instid0(VALU_DEP_1)
	v_cmp_ne_u16_e64 s4, 0x80, v48
	v_mov_b32_e32 v48, 0x8000
	s_and_saveexec_b32 s43, s4
	s_cbranch_execz .LBB248_217
; %bb.212:                              ;   in Loop: Header=BB248_13 Depth=1
	v_and_b32_e32 v50, 0x7f, v1
	v_mov_b32_e32 v48, 0x7c01
	s_mov_b32 s44, exec_lo
	s_delay_alu instid0(VALU_DEP_2)
	v_cmpx_ne_u32_e32 0x7f, v50
	s_cbranch_execz .LBB248_216
; %bb.213:                              ;   in Loop: Header=BB248_13 Depth=1
	v_and_b32_e32 v48, 7, v1
	v_lshrrev_b32_e32 v49, 3, v50
	s_mov_b32 s45, exec_lo
	v_cmpx_gt_u32_e32 8, v50
; %bb.214:                              ;   in Loop: Header=BB248_13 Depth=1
	s_delay_alu instid0(VALU_DEP_3) | instskip(NEXT) | instid1(VALU_DEP_1)
	v_clz_i32_u32_e32 v48, v48
	v_min_u32_e32 v50, 32, v48
	s_delay_alu instid0(VALU_DEP_1) | instskip(NEXT) | instid1(VALU_DEP_1)
	v_subrev_nc_u32_e32 v48, 28, v50
	v_lshlrev_b64_e32 v[48:49], v48, v[1:2]
	v_sub_nc_u32_e32 v49, 29, v50
	s_delay_alu instid0(VALU_DEP_2)
	v_and_b32_e32 v48, 7, v48
; %bb.215:                              ;   in Loop: Header=BB248_13 Depth=1
	s_or_b32 exec_lo, exec_lo, s45
	v_lshlrev_b32_e32 v50, 8, v1
	s_delay_alu instid0(VALU_DEP_3) | instskip(NEXT) | instid1(VALU_DEP_3)
	v_lshl_add_u32 v49, v49, 10, 0x2000
	v_lshlrev_b32_e32 v48, 7, v48
	s_delay_alu instid0(VALU_DEP_3) | instskip(NEXT) | instid1(VALU_DEP_3)
	v_and_b32_e32 v50, 0x8000, v50
	v_and_b32_e32 v49, 0xfc00, v49
	s_delay_alu instid0(VALU_DEP_1)
	v_or3_b32 v48, v50, v49, v48
.LBB248_216:                            ;   in Loop: Header=BB248_13 Depth=1
	s_or_b32 exec_lo, exec_lo, s44
.LBB248_217:                            ;   in Loop: Header=BB248_13 Depth=1
	s_wait_alu 0xfffe
	s_or_b32 exec_lo, exec_lo, s43
.LBB248_218:                            ;   in Loop: Header=BB248_13 Depth=1
	s_wait_alu 0xfffe
	s_or_b32 exec_lo, exec_lo, s42
	v_lshrrev_b16 v1, 8, v1
	s_mov_b32 s42, exec_lo
	s_delay_alu instid0(VALU_DEP_1)
	v_cmpx_ne_u16_e32 0, v1
	s_cbranch_execz .LBB248_226
; %bb.219:                              ;   in Loop: Header=BB248_13 Depth=1
	v_bfrev_b32_e32 v47, 1
	s_mov_b32 s43, exec_lo
	v_cmpx_ne_u16_e32 0x80, v1
	s_cbranch_execz .LBB248_225
; %bb.220:                              ;   in Loop: Header=BB248_13 Depth=1
	v_and_b32_e32 v49, 0xffff, v1
	v_mov_b32_e32 v47, 0x7c010000
	s_mov_b32 s44, exec_lo
	s_delay_alu instid0(VALU_DEP_2) | instskip(NEXT) | instid1(VALU_DEP_1)
	v_and_b32_e32 v51, 0x7f, v49
	v_cmpx_ne_u32_e32 0x7f, v51
	s_cbranch_execz .LBB248_224
; %bb.221:                              ;   in Loop: Header=BB248_13 Depth=1
	v_and_b32_e32 v47, 7, v49
	v_lshrrev_b32_e32 v50, 3, v51
	s_mov_b32 s45, exec_lo
	v_cmpx_gt_u32_e32 8, v51
; %bb.222:                              ;   in Loop: Header=BB248_13 Depth=1
	s_delay_alu instid0(VALU_DEP_3) | instskip(NEXT) | instid1(VALU_DEP_1)
	v_clz_i32_u32_e32 v47, v47
	v_min_u32_e32 v47, 32, v47
	s_delay_alu instid0(VALU_DEP_1) | instskip(NEXT) | instid1(VALU_DEP_1)
	v_subrev_nc_u32_e32 v50, 28, v47
	v_lshlrev_b64_e32 v[51:52], v50, v[1:2]
	v_sub_nc_u32_e32 v50, 29, v47
	s_delay_alu instid0(VALU_DEP_2)
	v_and_b32_e32 v47, 7, v51
; %bb.223:                              ;   in Loop: Header=BB248_13 Depth=1
	s_or_b32 exec_lo, exec_lo, s45
	v_lshlrev_b32_e32 v1, 8, v49
	s_delay_alu instid0(VALU_DEP_3) | instskip(NEXT) | instid1(VALU_DEP_3)
	v_lshl_add_u32 v49, v50, 10, 0x2000
	v_lshlrev_b32_e32 v47, 23, v47
	s_delay_alu instid0(VALU_DEP_2) | instskip(NEXT) | instid1(VALU_DEP_1)
	v_and_or_b32 v1, 0x8000, v1, v49
	v_lshl_or_b32 v47, v1, 16, v47
.LBB248_224:                            ;   in Loop: Header=BB248_13 Depth=1
	s_or_b32 exec_lo, exec_lo, s44
.LBB248_225:                            ;   in Loop: Header=BB248_13 Depth=1
	s_wait_alu 0xfffe
	s_or_b32 exec_lo, exec_lo, s43
.LBB248_226:                            ;   in Loop: Header=BB248_13 Depth=1
	s_wait_alu 0xfffe
	s_or_b32 exec_lo, exec_lo, s42
	global_load_u16 v1, v[7:8], off offset:776
	s_wait_loadcnt 0x0
	v_dual_mov_b32 v49, 0 :: v_dual_and_b32 v50, 0xff, v1
	v_and_b32_e32 v1, 0xffff, v1
	s_delay_alu instid0(VALU_DEP_2)
	v_cmp_ne_u16_e64 s4, 0, v50
	v_mov_b32_e32 v50, 0
	s_and_saveexec_b32 s42, s4
	s_cbranch_execz .LBB248_234
; %bb.227:                              ;   in Loop: Header=BB248_13 Depth=1
	v_and_b32_e32 v50, 0xff, v1
	s_delay_alu instid0(VALU_DEP_1)
	v_cmp_ne_u16_e64 s4, 0x80, v50
	v_mov_b32_e32 v50, 0x8000
	s_and_saveexec_b32 s43, s4
	s_cbranch_execz .LBB248_233
; %bb.228:                              ;   in Loop: Header=BB248_13 Depth=1
	v_and_b32_e32 v52, 0x7f, v1
	v_mov_b32_e32 v50, 0x7c01
	s_mov_b32 s44, exec_lo
	s_delay_alu instid0(VALU_DEP_2)
	v_cmpx_ne_u32_e32 0x7f, v52
	s_cbranch_execz .LBB248_232
; %bb.229:                              ;   in Loop: Header=BB248_13 Depth=1
	v_and_b32_e32 v50, 7, v1
	v_lshrrev_b32_e32 v51, 3, v52
	s_mov_b32 s45, exec_lo
	v_cmpx_gt_u32_e32 8, v52
; %bb.230:                              ;   in Loop: Header=BB248_13 Depth=1
	s_delay_alu instid0(VALU_DEP_3) | instskip(NEXT) | instid1(VALU_DEP_1)
	v_clz_i32_u32_e32 v50, v50
	v_min_u32_e32 v52, 32, v50
	s_delay_alu instid0(VALU_DEP_1) | instskip(NEXT) | instid1(VALU_DEP_1)
	v_subrev_nc_u32_e32 v50, 28, v52
	v_lshlrev_b64_e32 v[50:51], v50, v[1:2]
	v_sub_nc_u32_e32 v51, 29, v52
	s_delay_alu instid0(VALU_DEP_2)
	v_and_b32_e32 v50, 7, v50
; %bb.231:                              ;   in Loop: Header=BB248_13 Depth=1
	s_or_b32 exec_lo, exec_lo, s45
	v_lshlrev_b32_e32 v52, 8, v1
	s_delay_alu instid0(VALU_DEP_3) | instskip(NEXT) | instid1(VALU_DEP_3)
	v_lshl_add_u32 v51, v51, 10, 0x2000
	v_lshlrev_b32_e32 v50, 7, v50
	s_delay_alu instid0(VALU_DEP_3) | instskip(NEXT) | instid1(VALU_DEP_3)
	v_and_b32_e32 v52, 0x8000, v52
	v_and_b32_e32 v51, 0xfc00, v51
	s_delay_alu instid0(VALU_DEP_1)
	v_or3_b32 v50, v52, v51, v50
.LBB248_232:                            ;   in Loop: Header=BB248_13 Depth=1
	s_or_b32 exec_lo, exec_lo, s44
.LBB248_233:                            ;   in Loop: Header=BB248_13 Depth=1
	s_wait_alu 0xfffe
	s_or_b32 exec_lo, exec_lo, s43
.LBB248_234:                            ;   in Loop: Header=BB248_13 Depth=1
	s_wait_alu 0xfffe
	s_or_b32 exec_lo, exec_lo, s42
	v_lshrrev_b16 v1, 8, v1
	s_mov_b32 s42, exec_lo
	s_delay_alu instid0(VALU_DEP_1)
	v_cmpx_ne_u16_e32 0, v1
	s_cbranch_execz .LBB248_242
; %bb.235:                              ;   in Loop: Header=BB248_13 Depth=1
	v_bfrev_b32_e32 v49, 1
	s_mov_b32 s43, exec_lo
	v_cmpx_ne_u16_e32 0x80, v1
	s_cbranch_execz .LBB248_241
; %bb.236:                              ;   in Loop: Header=BB248_13 Depth=1
	v_and_b32_e32 v51, 0xffff, v1
	v_mov_b32_e32 v49, 0x7c010000
	s_mov_b32 s44, exec_lo
	s_delay_alu instid0(VALU_DEP_2) | instskip(NEXT) | instid1(VALU_DEP_1)
	v_and_b32_e32 v53, 0x7f, v51
	v_cmpx_ne_u32_e32 0x7f, v53
	s_cbranch_execz .LBB248_240
; %bb.237:                              ;   in Loop: Header=BB248_13 Depth=1
	v_and_b32_e32 v49, 7, v51
	v_lshrrev_b32_e32 v52, 3, v53
	s_mov_b32 s45, exec_lo
	v_cmpx_gt_u32_e32 8, v53
; %bb.238:                              ;   in Loop: Header=BB248_13 Depth=1
	s_delay_alu instid0(VALU_DEP_3) | instskip(NEXT) | instid1(VALU_DEP_1)
	v_clz_i32_u32_e32 v49, v49
	v_min_u32_e32 v49, 32, v49
	s_delay_alu instid0(VALU_DEP_1) | instskip(NEXT) | instid1(VALU_DEP_1)
	v_subrev_nc_u32_e32 v52, 28, v49
	v_lshlrev_b64_e32 v[53:54], v52, v[1:2]
	v_sub_nc_u32_e32 v52, 29, v49
	s_delay_alu instid0(VALU_DEP_2)
	v_and_b32_e32 v49, 7, v53
; %bb.239:                              ;   in Loop: Header=BB248_13 Depth=1
	s_or_b32 exec_lo, exec_lo, s45
	v_lshlrev_b32_e32 v1, 8, v51
	s_delay_alu instid0(VALU_DEP_3) | instskip(NEXT) | instid1(VALU_DEP_3)
	v_lshl_add_u32 v51, v52, 10, 0x2000
	v_lshlrev_b32_e32 v49, 23, v49
	s_delay_alu instid0(VALU_DEP_2) | instskip(NEXT) | instid1(VALU_DEP_1)
	v_and_or_b32 v1, 0x8000, v1, v51
	v_lshl_or_b32 v49, v1, 16, v49
.LBB248_240:                            ;   in Loop: Header=BB248_13 Depth=1
	s_or_b32 exec_lo, exec_lo, s44
.LBB248_241:                            ;   in Loop: Header=BB248_13 Depth=1
	s_wait_alu 0xfffe
	s_or_b32 exec_lo, exec_lo, s43
.LBB248_242:                            ;   in Loop: Header=BB248_13 Depth=1
	s_wait_alu 0xfffe
	s_or_b32 exec_lo, exec_lo, s42
	global_load_u16 v1, v[7:8], off offset:896
	s_wait_loadcnt 0x0
	v_dual_mov_b32 v7, 0 :: v_dual_and_b32 v8, 0xff, v1
	v_and_b32_e32 v1, 0xffff, v1
	s_delay_alu instid0(VALU_DEP_2)
	v_cmp_ne_u16_e64 s4, 0, v8
	v_mov_b32_e32 v8, 0
	s_and_saveexec_b32 s42, s4
	s_cbranch_execz .LBB248_250
; %bb.243:                              ;   in Loop: Header=BB248_13 Depth=1
	v_and_b32_e32 v8, 0xff, v1
	s_delay_alu instid0(VALU_DEP_1)
	v_cmp_ne_u16_e64 s4, 0x80, v8
	v_mov_b32_e32 v8, 0x8000
	s_and_saveexec_b32 s43, s4
	s_cbranch_execz .LBB248_249
; %bb.244:                              ;   in Loop: Header=BB248_13 Depth=1
	v_and_b32_e32 v52, 0x7f, v1
	v_mov_b32_e32 v8, 0x7c01
	s_mov_b32 s44, exec_lo
	s_delay_alu instid0(VALU_DEP_2)
	v_cmpx_ne_u32_e32 0x7f, v52
	s_cbranch_execz .LBB248_248
; %bb.245:                              ;   in Loop: Header=BB248_13 Depth=1
	v_and_b32_e32 v8, 7, v1
	v_lshrrev_b32_e32 v51, 3, v52
	s_mov_b32 s45, exec_lo
	v_cmpx_gt_u32_e32 8, v52
; %bb.246:                              ;   in Loop: Header=BB248_13 Depth=1
	s_delay_alu instid0(VALU_DEP_3) | instskip(NEXT) | instid1(VALU_DEP_1)
	v_clz_i32_u32_e32 v8, v8
	v_min_u32_e32 v8, 32, v8
	s_delay_alu instid0(VALU_DEP_1) | instskip(NEXT) | instid1(VALU_DEP_1)
	v_subrev_nc_u32_e32 v51, 28, v8
	v_lshlrev_b64_e32 v[52:53], v51, v[1:2]
	v_sub_nc_u32_e32 v51, 29, v8
	s_delay_alu instid0(VALU_DEP_2)
	v_and_b32_e32 v8, 7, v52
; %bb.247:                              ;   in Loop: Header=BB248_13 Depth=1
	s_or_b32 exec_lo, exec_lo, s45
	v_lshlrev_b32_e32 v52, 8, v1
	s_delay_alu instid0(VALU_DEP_3) | instskip(NEXT) | instid1(VALU_DEP_3)
	v_lshl_add_u32 v51, v51, 10, 0x2000
	v_lshlrev_b32_e32 v8, 7, v8
	s_delay_alu instid0(VALU_DEP_3) | instskip(NEXT) | instid1(VALU_DEP_3)
	v_and_b32_e32 v52, 0x8000, v52
	v_and_b32_e32 v51, 0xfc00, v51
	s_delay_alu instid0(VALU_DEP_1)
	v_or3_b32 v8, v52, v51, v8
.LBB248_248:                            ;   in Loop: Header=BB248_13 Depth=1
	s_or_b32 exec_lo, exec_lo, s44
.LBB248_249:                            ;   in Loop: Header=BB248_13 Depth=1
	s_wait_alu 0xfffe
	s_or_b32 exec_lo, exec_lo, s43
.LBB248_250:                            ;   in Loop: Header=BB248_13 Depth=1
	s_wait_alu 0xfffe
	s_or_b32 exec_lo, exec_lo, s42
	v_lshrrev_b16 v1, 8, v1
	s_mov_b32 s42, exec_lo
	s_delay_alu instid0(VALU_DEP_1)
	v_cmpx_ne_u16_e32 0, v1
	s_cbranch_execz .LBB248_258
; %bb.251:                              ;   in Loop: Header=BB248_13 Depth=1
	v_bfrev_b32_e32 v7, 1
	s_mov_b32 s43, exec_lo
	v_cmpx_ne_u16_e32 0x80, v1
	s_cbranch_execz .LBB248_257
; %bb.252:                              ;   in Loop: Header=BB248_13 Depth=1
	v_and_b32_e32 v51, 0xffff, v1
	v_mov_b32_e32 v7, 0x7c010000
	s_mov_b32 s44, exec_lo
	s_delay_alu instid0(VALU_DEP_2) | instskip(NEXT) | instid1(VALU_DEP_1)
	v_and_b32_e32 v53, 0x7f, v51
	v_cmpx_ne_u32_e32 0x7f, v53
	s_cbranch_execz .LBB248_256
; %bb.253:                              ;   in Loop: Header=BB248_13 Depth=1
	v_and_b32_e32 v7, 7, v51
	v_lshrrev_b32_e32 v52, 3, v53
	s_mov_b32 s45, exec_lo
	v_cmpx_gt_u32_e32 8, v53
; %bb.254:                              ;   in Loop: Header=BB248_13 Depth=1
	s_delay_alu instid0(VALU_DEP_3) | instskip(NEXT) | instid1(VALU_DEP_1)
	v_clz_i32_u32_e32 v7, v7
	v_min_u32_e32 v7, 32, v7
	s_delay_alu instid0(VALU_DEP_1) | instskip(NEXT) | instid1(VALU_DEP_1)
	v_subrev_nc_u32_e32 v52, 28, v7
	v_lshlrev_b64_e32 v[53:54], v52, v[1:2]
	v_sub_nc_u32_e32 v52, 29, v7
	s_delay_alu instid0(VALU_DEP_2)
	v_and_b32_e32 v7, 7, v53
; %bb.255:                              ;   in Loop: Header=BB248_13 Depth=1
	s_or_b32 exec_lo, exec_lo, s45
	v_lshlrev_b32_e32 v1, 8, v51
	s_delay_alu instid0(VALU_DEP_3) | instskip(NEXT) | instid1(VALU_DEP_3)
	v_lshl_add_u32 v51, v52, 10, 0x2000
	v_lshlrev_b32_e32 v7, 23, v7
	s_delay_alu instid0(VALU_DEP_2) | instskip(NEXT) | instid1(VALU_DEP_1)
	v_and_or_b32 v1, 0x8000, v1, v51
	v_lshl_or_b32 v7, v1, 16, v7
.LBB248_256:                            ;   in Loop: Header=BB248_13 Depth=1
	s_or_b32 exec_lo, exec_lo, s44
.LBB248_257:                            ;   in Loop: Header=BB248_13 Depth=1
	s_wait_alu 0xfffe
	s_or_b32 exec_lo, exec_lo, s43
.LBB248_258:                            ;   in Loop: Header=BB248_13 Depth=1
	s_wait_alu 0xfffe
	s_or_b32 exec_lo, exec_lo, s42
	ds_load_b32 v1, v16
	v_or_b32_e32 v24, v23, v24
	v_fma_mixlo_f16 v23, v22, v23, 0 op_sel:[0,1,0] op_sel_hi:[0,1,0]
	v_or_b32_e32 v26, v25, v26
	v_fma_mixlo_f16 v25, v22, v25, 0 op_sel:[0,1,0] op_sel_hi:[0,1,0]
	v_or_b32_e32 v28, v27, v28
	v_fma_mixlo_f16 v24, v22, v24, 0 op_sel_hi:[0,1,0]
	v_and_b32_e32 v53, 0xffff, v23
	v_fma_mixlo_f16 v26, v22, v26, 0 op_sel_hi:[0,1,0]
	v_and_b32_e32 v55, 0xffff, v25
	;; [unrolled: 2-line block ×3, first 2 shown]
	v_fma_mixlo_f16 v27, v22, v27, 0 op_sel:[0,1,0] op_sel_hi:[0,1,0]
	v_or_b32_e32 v30, v29, v30
	v_fma_mixlo_f16 v29, v22, v29, 0 op_sel:[0,1,0] op_sel_hi:[0,1,0]
	v_and_b32_e32 v56, 0xffff, v28
	v_or_b32_e32 v32, v31, v32
	v_and_b32_e32 v57, 0xffff, v27
	v_fma_mixlo_f16 v30, v22, v30, 0 op_sel_hi:[0,1,0]
	v_and_b32_e32 v59, 0xffff, v29
	s_wait_dscnt 0x0
	v_and_b32_e32 v51, 0xffff, v1
	v_lshrrev_b32_e32 v52, 16, v1
	;;#ASMSTART
	v_cvt_f32_f16 v1, v51;
	;;#ASMEND
	;;#ASMSTART
	v_cvt_f32_f16 v23, v52;
	;;#ASMEND
	;; [unrolled: 3-line block ×4, first 2 shown]
	ds_load_b32 v52, v16 offset:4
	v_fma_mixlo_f16 v32, v22, v32, 0 op_sel_hi:[0,1,0]
	v_fma_mixlo_f16 v31, v22, v31, 0 op_sel:[0,1,0] op_sel_hi:[0,1,0]
	v_or_b32_e32 v34, v33, v34
	v_fma_mixlo_f16 v33, v22, v33, 0 op_sel:[0,1,0] op_sel_hi:[0,1,0]
	v_or_b32_e32 v36, v35, v36
	v_and_b32_e32 v60, 0xffff, v32
	v_and_b32_e32 v61, 0xffff, v31
	v_fma_mixlo_f16 v34, v22, v34, 0 op_sel_hi:[0,1,0]
	v_and_b32_e32 v63, 0xffff, v33
	v_fma_mixlo_f16 v36, v22, v36, 0 op_sel_hi:[0,1,0]
	v_fma_mixlo_f16 v35, v22, v35, 0 op_sel:[0,1,0] op_sel_hi:[0,1,0]
	v_or_b32_e32 v38, v37, v38
	v_fma_mixlo_f16 v37, v22, v37, 0 op_sel:[0,1,0] op_sel_hi:[0,1,0]
	v_or_b32_e32 v40, v39, v40
	v_and_b32_e32 v64, 0xffff, v36
	v_and_b32_e32 v65, 0xffff, v35
	v_fma_mixlo_f16 v38, v22, v38, 0 op_sel_hi:[0,1,0]
	v_and_b32_e32 v67, 0xffff, v37
	v_fma_mixlo_f16 v40, v22, v40, 0 op_sel_hi:[0,1,0]
	s_wait_dscnt 0x0
	v_and_b32_e32 v53, 0xffff, v52
	v_lshrrev_b32_e32 v52, 16, v52
	;;#ASMSTART
	v_cvt_f32_f16 v25, v53;
	;;#ASMEND
	v_and_b32_e32 v54, 0xffff, v26
	;;#ASMSTART
	v_cvt_f32_f16 v26, v52;
	;;#ASMEND
	;;#ASMSTART
	v_cvt_f32_f16 v52, v54;
	;;#ASMEND
	;; [unrolled: 3-line block ×3, first 2 shown]
	ds_load_b32 v54, v16 offset:8
	v_dual_mul_f32 v25, v25, v52 :: v_dual_and_b32 v58, 0xffff, v30
	v_fma_mixlo_f16 v39, v22, v39, 0 op_sel:[0,1,0] op_sel_hi:[0,1,0]
	v_and_b32_e32 v68, 0xffff, v40
	v_or_b32_e32 v42, v41, v42
	s_delay_alu instid0(VALU_DEP_4) | instskip(SKIP_2) | instid1(VALU_DEP_4)
	v_fmac_f32_e32 v25, v1, v24
	v_fma_mixlo_f16 v41, v22, v41, 0 op_sel:[0,1,0] op_sel_hi:[0,1,0]
	v_dual_mul_f32 v26, v26, v53 :: v_dual_and_b32 v69, 0xffff, v39
	v_fma_mixlo_f16 v42, v22, v42, 0 op_sel_hi:[0,1,0]
	v_or_b32_e32 v44, v43, v44
	s_delay_alu instid0(VALU_DEP_4)
	v_and_b32_e32 v71, 0xffff, v41
	v_fma_mixlo_f16 v43, v22, v43, 0 op_sel:[0,1,0] op_sel_hi:[0,1,0]
	v_or_b32_e32 v46, v45, v46
	v_fma_mixlo_f16 v45, v22, v45, 0 op_sel:[0,1,0] op_sel_hi:[0,1,0]
	v_fma_mixlo_f16 v44, v22, v44, 0 op_sel_hi:[0,1,0]
	v_fmac_f32_e32 v26, v23, v51
	v_and_b32_e32 v73, 0xffff, v43
	v_fma_mixlo_f16 v46, v22, v46, 0 op_sel_hi:[0,1,0]
	s_wait_dscnt 0x0
	v_and_b32_e32 v55, 0xffff, v54
	v_lshrrev_b32_e32 v54, 16, v54
	;;#ASMSTART
	v_cvt_f32_f16 v27, v55;
	;;#ASMEND
	;;#ASMSTART
	v_cvt_f32_f16 v28, v54;
	;;#ASMEND
	;; [unrolled: 3-line block ×4, first 2 shown]
	ds_load_b32 v56, v16 offset:12
	v_dual_fmac_f32 v25, v27, v54 :: v_dual_and_b32 v72, 0xffff, v44
	v_dual_fmac_f32 v26, v28, v55 :: v_dual_and_b32 v75, 0xffff, v45
	v_or_b32_e32 v48, v47, v48
	v_fma_mixlo_f16 v47, v22, v47, 0 op_sel:[0,1,0] op_sel_hi:[0,1,0]
	v_or_b32_e32 v8, v7, v8
	v_fma_mixlo_f16 v7, v22, v7, 0 op_sel:[0,1,0] op_sel_hi:[0,1,0]
	s_delay_alu instid0(VALU_DEP_4) | instskip(NEXT) | instid1(VALU_DEP_4)
	v_fma_mixlo_f16 v1, v22, v48, 0 op_sel_hi:[0,1,0]
	v_and_b32_e32 v47, 0xffff, v47
	s_delay_alu instid0(VALU_DEP_4) | instskip(NEXT) | instid1(VALU_DEP_3)
	v_fma_mixlo_f16 v8, v22, v8, 0 op_sel_hi:[0,1,0]
	v_and_b32_e32 v27, 0xffff, v1
	s_wait_dscnt 0x0
	v_and_b32_e32 v57, 0xffff, v56
	v_lshrrev_b32_e32 v56, 16, v56
	;;#ASMSTART
	v_cvt_f32_f16 v29, v57;
	;;#ASMEND
	;;#ASMSTART
	v_cvt_f32_f16 v30, v56;
	;;#ASMEND
	;; [unrolled: 3-line block ×4, first 2 shown]
	ds_load_b32 v58, v16 offset:16
	v_dual_fmac_f32 v25, v29, v56 :: v_dual_and_b32 v62, 0xffff, v34
	v_fmac_f32_e32 v26, v30, v57
	v_or_b32_e32 v29, v49, v50
	v_fma_mixlo_f16 v30, v22, v49, 0 op_sel:[0,1,0] op_sel_hi:[0,1,0]
	s_delay_alu instid0(VALU_DEP_2)
	v_fma_mixlo_f16 v29, v22, v29, 0 op_sel_hi:[0,1,0]
	s_wait_dscnt 0x0
	v_and_b32_e32 v59, 0xffff, v58
	v_lshrrev_b32_e32 v58, 16, v58
	;;#ASMSTART
	v_cvt_f32_f16 v31, v59;
	;;#ASMEND
	;;#ASMSTART
	v_cvt_f32_f16 v32, v58;
	;;#ASMEND
	;; [unrolled: 3-line block ×4, first 2 shown]
	ds_load_b32 v60, v16 offset:20
	v_dual_fmac_f32 v25, v31, v58 :: v_dual_fmac_f32 v26, v32, v59
	v_and_b32_e32 v31, 0xffff, v30
	s_wait_dscnt 0x0
	v_and_b32_e32 v61, 0xffff, v60
	v_lshrrev_b32_e32 v60, 16, v60
	;;#ASMSTART
	v_cvt_f32_f16 v33, v61;
	;;#ASMEND
	;;#ASMSTART
	v_cvt_f32_f16 v34, v60;
	;;#ASMEND
	;; [unrolled: 3-line block ×4, first 2 shown]
	ds_load_b32 v62, v16 offset:24
	v_dual_fmac_f32 v25, v33, v60 :: v_dual_and_b32 v66, 0xffff, v38
	v_fmac_f32_e32 v26, v34, v61
	v_and_b32_e32 v33, 0xffff, v29
	v_and_b32_e32 v34, 0xffff, v7
	s_wait_dscnt 0x0
	v_and_b32_e32 v63, 0xffff, v62
	v_lshrrev_b32_e32 v62, 16, v62
	;;#ASMSTART
	v_cvt_f32_f16 v35, v63;
	;;#ASMEND
	;;#ASMSTART
	v_cvt_f32_f16 v36, v62;
	;;#ASMEND
	;; [unrolled: 3-line block ×4, first 2 shown]
	ds_load_b32 v64, v16 offset:28
	v_dual_fmac_f32 v25, v35, v62 :: v_dual_fmac_f32 v26, v36, v63
	s_wait_dscnt 0x0
	v_and_b32_e32 v65, 0xffff, v64
	v_lshrrev_b32_e32 v64, 16, v64
	;;#ASMSTART
	v_cvt_f32_f16 v37, v65;
	;;#ASMEND
	;;#ASMSTART
	v_cvt_f32_f16 v38, v64;
	;;#ASMEND
	;; [unrolled: 3-line block ×4, first 2 shown]
	ds_load_b32 v66, v16 offset:32
	v_dual_fmac_f32 v25, v37, v64 :: v_dual_and_b32 v70, 0xffff, v42
	s_wait_dscnt 0x0
	v_dual_fmac_f32 v26, v38, v65 :: v_dual_and_b32 v67, 0xffff, v66
	v_lshrrev_b32_e32 v66, 16, v66
	;;#ASMSTART
	v_cvt_f32_f16 v39, v67;
	;;#ASMEND
	;;#ASMSTART
	v_cvt_f32_f16 v40, v66;
	;;#ASMEND
	;;#ASMSTART
	v_cvt_f32_f16 v66, v68;
	;;#ASMEND
	;;#ASMSTART
	v_cvt_f32_f16 v67, v69;
	;;#ASMEND
	ds_load_b32 v68, v16 offset:36
	v_dual_fmac_f32 v25, v39, v66 :: v_dual_fmac_f32 v26, v40, v67
	s_wait_dscnt 0x0
	v_and_b32_e32 v69, 0xffff, v68
	v_lshrrev_b32_e32 v68, 16, v68
	;;#ASMSTART
	v_cvt_f32_f16 v41, v69;
	;;#ASMEND
	;;#ASMSTART
	v_cvt_f32_f16 v42, v68;
	;;#ASMEND
	;;#ASMSTART
	v_cvt_f32_f16 v68, v70;
	;;#ASMEND
	;;#ASMSTART
	v_cvt_f32_f16 v69, v71;
	;;#ASMEND
	ds_load_b32 v70, v16 offset:40
	v_dual_fmac_f32 v25, v41, v68 :: v_dual_and_b32 v74, 0xffff, v46
	s_wait_dscnt 0x0
	v_dual_fmac_f32 v26, v42, v69 :: v_dual_and_b32 v71, 0xffff, v70
	v_lshrrev_b32_e32 v70, 16, v70
	;;#ASMSTART
	v_cvt_f32_f16 v43, v71;
	;;#ASMEND
	;;#ASMSTART
	v_cvt_f32_f16 v44, v70;
	;;#ASMEND
	;; [unrolled: 3-line block ×4, first 2 shown]
	ds_load_b32 v72, v16 offset:44
	v_dual_fmac_f32 v25, v43, v70 :: v_dual_fmac_f32 v26, v44, v71
	s_wait_dscnt 0x0
	v_and_b32_e32 v73, 0xffff, v72
	v_lshrrev_b32_e32 v72, 16, v72
	;;#ASMSTART
	v_cvt_f32_f16 v45, v73;
	;;#ASMEND
	;;#ASMSTART
	v_cvt_f32_f16 v46, v72;
	;;#ASMEND
	;; [unrolled: 3-line block ×4, first 2 shown]
	ds_load_b32 v74, v16 offset:48
	v_dual_fmac_f32 v25, v45, v72 :: v_dual_fmac_f32 v26, v46, v73
	s_wait_dscnt 0x0
	v_and_b32_e32 v23, 0xffff, v74
	v_lshrrev_b32_e32 v24, 16, v74
	;;#ASMSTART
	v_cvt_f32_f16 v1, v23;
	;;#ASMEND
	;;#ASMSTART
	v_cvt_f32_f16 v23, v24;
	;;#ASMEND
	;; [unrolled: 3-line block ×4, first 2 shown]
	ds_load_b32 v28, v16 offset:52
	v_dual_fmac_f32 v25, v1, v24 :: v_dual_fmac_f32 v26, v23, v27
	v_and_b32_e32 v23, 0xffff, v8
	s_wait_dscnt 0x0
	v_and_b32_e32 v30, 0xffff, v28
	v_lshrrev_b32_e32 v32, 16, v28
	;;#ASMSTART
	v_cvt_f32_f16 v28, v30;
	;;#ASMEND
	;;#ASMSTART
	v_cvt_f32_f16 v29, v32;
	;;#ASMEND
	;; [unrolled: 3-line block ×4, first 2 shown]
	ds_load_b32 v32, v16 offset:56
	v_xor_b32_e32 v33, 2, v10
	v_dual_fmac_f32 v25, v28, v30 :: v_dual_fmac_f32 v26, v29, v31
	s_delay_alu instid0(VALU_DEP_2) | instskip(SKIP_1) | instid1(VALU_DEP_1)
	v_cmp_gt_i32_e64 s4, 32, v33
	s_wait_alu 0xf1ff
	v_cndmask_b32_e64 v7, v10, v33, s4
	s_wait_dscnt 0x0
	v_and_b32_e32 v1, 0xffff, v32
	v_lshrrev_b32_e32 v22, 16, v32
	;;#ASMSTART
	v_cvt_f32_f16 v1, v1;
	;;#ASMEND
	;;#ASMSTART
	v_cvt_f32_f16 v8, v22;
	;;#ASMEND
	;; [unrolled: 3-line block ×4, first 2 shown]
	v_dual_fmac_f32 v25, v1, v22 :: v_dual_fmac_f32 v26, v8, v23
	v_lshlrev_b32_e32 v1, 2, v7
	v_xor_b32_e32 v8, 1, v10
	s_delay_alu instid0(VALU_DEP_3) | instskip(NEXT) | instid1(VALU_DEP_2)
	v_add_f32_e32 v7, v25, v26
	v_cmp_gt_i32_e64 s4, 32, v8
	ds_bpermute_b32 v1, v1, v7
	s_wait_alu 0xf1ff
	v_cndmask_b32_e64 v8, v10, v8, s4
	s_wait_dscnt 0x0
	v_add_f32_e32 v1, v7, v1
	s_delay_alu instid0(VALU_DEP_2)
	v_lshlrev_b32_e32 v7, 2, v8
	ds_bpermute_b32 v7, v7, v1
	s_and_saveexec_b32 s42, s3
	s_cbranch_execz .LBB248_11
; %bb.259:                              ;   in Loop: Header=BB248_13 Depth=1
	s_wait_dscnt 0x0
	v_dual_add_f32 v1, v1, v7 :: v_dual_add_nc_u32 v8, v18, v17
	s_delay_alu instid0(VALU_DEP_1) | instskip(NEXT) | instid1(VALU_DEP_1)
	v_cvt_f32_i32_e32 v8, v8
	v_mul_f32_e32 v8, s30, v8
	s_delay_alu instid0(VALU_DEP_1) | instskip(NEXT) | instid1(VALU_DEP_1)
	v_dual_cndmask_b32 v7, 0, v8 :: v_dual_max_num_f32 v8, v15, v15
	v_fmac_f32_e32 v7, s7, v1
	s_delay_alu instid0(VALU_DEP_1) | instskip(NEXT) | instid1(VALU_DEP_1)
	v_dual_max_num_f32 v8, v8, v7 :: v_dual_add_nc_u32 v1, v14, v17
	v_cmp_gt_i32_e64 s4, s34, v1
	s_wait_alu 0xf1ff
	s_delay_alu instid0(VALU_DEP_1) | instskip(NEXT) | instid1(VALU_DEP_3)
	v_cndmask_b32_e64 v1, 0, v7, s4
	v_cndmask_b32_e64 v15, v15, v8, s4
	ds_store_b32 v19, v1
	s_branch .LBB248_11
.LBB248_260:
	s_or_b32 exec_lo, exec_lo, s40
.LBB248_261:
	s_delay_alu instid0(SALU_CYCLE_1)
	s_or_b32 exec_lo, exec_lo, s6
	v_xor_b32_e32 v1, 16, v10
	v_xor_b32_e32 v3, 8, v10
	;; [unrolled: 1-line block ×3, first 2 shown]
	s_clause 0x2
	s_load_b128 s[4:7], s[0:1], 0x0
	s_load_b64 s[8:9], s[0:1], 0x10
	s_load_b64 s[30:31], s[0:1], 0x28
	v_max_num_f32_e32 v4, v15, v15
	v_cmp_gt_i32_e32 vcc_lo, 32, v1
	s_wait_alu 0xfffd
	v_dual_cndmask_b32 v1, v10, v1 :: v_dual_and_b32 v14, 31, v0
	v_cmp_gt_i32_e32 vcc_lo, 32, v3
	s_wait_alu 0xfffd
	s_delay_alu instid0(VALU_DEP_2)
	v_dual_cndmask_b32 v3, v10, v3 :: v_dual_lshlrev_b32 v2, 2, v1
	v_cmp_gt_i32_e32 vcc_lo, 32, v5
	ds_bpermute_b32 v1, v2, v15
	v_lshlrev_b32_e32 v3, 2, v3
	s_wait_alu 0xfffd
	v_cndmask_b32_e32 v5, v10, v5, vcc_lo
	v_cmp_eq_u32_e32 vcc_lo, 0, v14
	s_wait_dscnt 0x0
	v_max_num_f32_e32 v1, v1, v1
	s_delay_alu instid0(VALU_DEP_1) | instskip(SKIP_3) | instid1(VALU_DEP_1)
	v_max_num_f32_e32 v1, v4, v1
	ds_bpermute_b32 v4, v3, v1
	s_wait_dscnt 0x0
	v_max_num_f32_e32 v4, v4, v4
	v_dual_max_num_f32 v1, v1, v4 :: v_dual_lshlrev_b32 v4, 2, v11
	v_lshlrev_b32_e32 v6, 2, v5
	ds_bpermute_b32 v5, v6, v1
	s_and_saveexec_b32 s0, vcc_lo
	s_cbranch_execz .LBB248_263
; %bb.262:
	s_wait_dscnt 0x0
	v_max_num_f32_e32 v5, v5, v5
	v_max_num_f32_e32 v1, v1, v1
	s_delay_alu instid0(VALU_DEP_1)
	v_max_num_f32_e32 v1, v1, v5
	ds_store_b32 v4, v1 offset:240
.LBB248_263:
	s_or_b32 exec_lo, exec_lo, s0
	v_cmp_gt_u32_e64 s0, 4, v14
	v_mov_b32_e32 v1, 0xff7fffff
	s_wait_dscnt 0x0
	v_lshlrev_b32_e32 v5, 2, v14
	s_wait_loadcnt 0x0
	s_barrier_signal -1
	s_barrier_wait -1
	global_inv scope:SCOPE_SE
	s_and_saveexec_b32 s1, s0
; %bb.264:
	ds_load_b32 v1, v5 offset:240
; %bb.265:
	s_or_b32 exec_lo, exec_lo, s1
	v_xor_b32_e32 v7, 2, v10
	v_xor_b32_e32 v15, 1, v10
	s_delay_alu instid0(VALU_DEP_2) | instskip(NEXT) | instid1(VALU_DEP_1)
	v_cmp_gt_i32_e64 s1, 32, v7
	v_cndmask_b32_e64 v7, v10, v7, s1
	s_delay_alu instid0(VALU_DEP_3) | instskip(NEXT) | instid1(VALU_DEP_2)
	v_cmp_gt_i32_e64 s1, 32, v15
	v_lshlrev_b32_e32 v7, 2, v7
	s_wait_alu 0xf1ff
	s_delay_alu instid0(VALU_DEP_2)
	v_cndmask_b32_e64 v10, v10, v15, s1
	s_sub_co_i32 s1, s23, s39
	s_wait_alu 0xfffe
	s_lshl_b32 s1, s1, 3
	s_wait_dscnt 0x0
	ds_bpermute_b32 v8, v7, v1
	v_max_num_f32_e32 v1, v1, v1
	s_wait_alu 0xfffe
	s_add_co_i32 s1, s1, s36
	s_wait_alu 0xfffe
	s_min_i32 s1, s1, s34
	s_wait_alu 0xfffe
	s_sub_co_i32 s18, s1, s36
	s_wait_alu 0xfffe
	v_cmp_gt_i32_e64 s1, s18, v0
	s_wait_dscnt 0x0
	v_dual_max_num_f32 v15, v8, v8 :: v_dual_lshlrev_b32 v8, 2, v10
	s_delay_alu instid0(VALU_DEP_1) | instskip(SKIP_4) | instid1(VALU_DEP_1)
	v_max_num_f32_e32 v1, v1, v15
	v_lshl_add_u32 v15, v0, 2, 0x110
	ds_bpermute_b32 v10, v8, v1
	s_wait_dscnt 0x0
	v_max_num_f32_e32 v10, v10, v10
	v_dual_max_num_f32 v1, v1, v10 :: v_dual_mov_b32 v10, 0
	ds_bpermute_b32 v1, v10, v1
	s_and_saveexec_b32 s29, s1
	s_cbranch_execz .LBB248_269
; %bb.266:
	v_lshl_add_u32 v16, v0, 2, 0x110
	v_dual_mov_b32 v10, 0 :: v_dual_mov_b32 v17, v0
	s_mov_b32 s36, 0
.LBB248_267:                            ; =>This Inner Loop Header: Depth=1
	ds_load_b32 v18, v16
	s_wait_dscnt 0x0
	v_sub_f32_e32 v18, v18, v1
	s_delay_alu instid0(VALU_DEP_1) | instskip(NEXT) | instid1(VALU_DEP_1)
	v_mul_f32_e32 v18, 0x3fb8aa3b, v18
	v_exp_f32_e32 v18, v18
	s_delay_alu instid0(TRANS32_DEP_1) | instskip(NEXT) | instid1(VALU_DEP_1)
	v_dual_add_f32 v10, v10, v18 :: v_dual_add_nc_u32 v17, 0x80, v17
	v_cmp_le_i32_e64 s3, s18, v17
	ds_store_b32 v16, v18
	v_add_nc_u32_e32 v16, 0x200, v16
	s_wait_alu 0xfffe
	s_or_b32 s36, s3, s36
	s_wait_alu 0xfffe
	s_and_not1_b32 exec_lo, exec_lo, s36
	s_cbranch_execnz .LBB248_267
; %bb.268:
	s_or_b32 exec_lo, exec_lo, s36
.LBB248_269:
	s_wait_alu 0xfffe
	s_or_b32 exec_lo, exec_lo, s29
	ds_bpermute_b32 v2, v2, v10
	s_wait_dscnt 0x0
	v_add_f32_e32 v2, v10, v2
	ds_bpermute_b32 v3, v3, v2
	s_wait_dscnt 0x0
	v_add_f32_e32 v2, v2, v3
	;; [unrolled: 3-line block ×5, first 2 shown]
	s_and_saveexec_b32 s3, vcc_lo
; %bb.270:
	ds_store_b32 v4, v2 offset:256
; %bb.271:
	s_wait_alu 0xfffe
	s_or_b32 exec_lo, exec_lo, s3
	s_wait_loadcnt_dscnt 0x0
	s_barrier_signal -1
	s_barrier_wait -1
	global_inv scope:SCOPE_SE
	s_and_saveexec_b32 s3, s0
; %bb.272:
	ds_load_b32 v2, v5 offset:256
; %bb.273:
	s_wait_alu 0xfffe
	s_or_b32 exec_lo, exec_lo, s3
	s_wait_dscnt 0x0
	ds_bpermute_b32 v3, v7, v2
	s_wait_dscnt 0x0
	v_add_f32_e32 v2, v2, v3
	ds_bpermute_b32 v3, v8, v2
	s_wait_dscnt 0x0
	v_dual_add_f32 v2, v2, v3 :: v_dual_mov_b32 v3, 0
	ds_bpermute_b32 v2, v3, v2
	s_and_saveexec_b32 s0, s1
	s_cbranch_execz .LBB248_276
; %bb.274:
	s_wait_dscnt 0x0
	v_add_f32_e32 v4, 0x358637bd, v2
	s_mov_b32 s1, 0
	s_delay_alu instid0(VALU_DEP_1) | instskip(NEXT) | instid1(VALU_DEP_1)
	v_div_scale_f32 v3, null, v4, v4, 1.0
	v_rcp_f32_e32 v5, v3
	s_delay_alu instid0(TRANS32_DEP_1) | instskip(NEXT) | instid1(VALU_DEP_1)
	v_fma_f32 v6, -v3, v5, 1.0
	v_fmac_f32_e32 v5, v6, v5
	v_div_scale_f32 v7, vcc_lo, 1.0, v4, 1.0
	s_delay_alu instid0(VALU_DEP_1) | instskip(NEXT) | instid1(VALU_DEP_1)
	v_mul_f32_e32 v6, v7, v5
	v_fma_f32 v8, -v3, v6, v7
	s_delay_alu instid0(VALU_DEP_1) | instskip(NEXT) | instid1(VALU_DEP_1)
	v_fmac_f32_e32 v6, v8, v5
	v_fma_f32 v3, -v3, v6, v7
	s_wait_alu 0xfffd
	s_delay_alu instid0(VALU_DEP_1) | instskip(SKIP_1) | instid1(VALU_DEP_2)
	v_div_fmas_f32 v5, v3, v5, v6
	v_mov_b32_e32 v3, v15
	v_div_fixup_f32 v4, v5, v4, 1.0
	v_mov_b32_e32 v5, v0
.LBB248_275:                            ; =>This Inner Loop Header: Depth=1
	ds_load_b32 v6, v3
	s_wait_dscnt 0x0
	v_dual_mul_f32 v6, v4, v6 :: v_dual_add_nc_u32 v5, 0x80, v5
	s_delay_alu instid0(VALU_DEP_1)
	v_cmp_le_i32_e32 vcc_lo, s18, v5
	ds_store_b32 v3, v6
	v_add_nc_u32_e32 v3, 0x200, v3
	s_wait_alu 0xfffe
	s_or_b32 s1, vcc_lo, s1
	s_wait_alu 0xfffe
	s_and_not1_b32 exec_lo, exec_lo, s1
	s_cbranch_execnz .LBB248_275
.LBB248_276:
	s_wait_alu 0xfffe
	s_or_b32 exec_lo, exec_lo, s0
	s_mul_i32 s0, s12, s19
	s_wait_loadcnt_dscnt 0x0
	s_wait_alu 0xfffe
	s_mul_i32 s18, s0, s35
	s_mov_b32 s0, exec_lo
	s_barrier_signal -1
	s_barrier_wait -1
	global_inv scope:SCOPE_SE
	v_cmpx_eq_u32_e32 0, v0
	s_cbranch_execz .LBB248_278
; %bb.277:
	s_wait_alu 0xfffe
	s_ashr_i32 s19, s18, 31
	s_mul_i32 s40, s12, ttmp9
	s_lshl_b32 s1, s33, 2
	s_wait_alu 0xfffe
	s_lshl_b64 s[42:43], s[18:19], 2
	s_ashr_i32 s41, s40, 31
	v_mov_b32_e32 v3, s1
	s_wait_kmcnt 0x0
	s_wait_alu 0xfffe
	s_add_nc_u64 s[6:7], s[6:7], s[42:43]
	s_lshl_b64 s[40:41], s[40:41], 2
	s_add_nc_u64 s[4:5], s[4:5], s[42:43]
	s_wait_alu 0xfffe
	s_add_nc_u64 s[6:7], s[6:7], s[40:41]
	s_add_nc_u64 s[4:5], s[4:5], s[40:41]
	s_clause 0x1
	global_store_b32 v3, v1, s[6:7]
	global_store_b32 v3, v2, s[4:5]
.LBB248_278:
	s_wait_alu 0xfffe
	s_or_b32 exec_lo, exec_lo, s0
	v_dual_mov_b32 v19, 0 :: v_dual_mov_b32 v18, 0
	v_dual_mov_b32 v17, 0 :: v_dual_mov_b32 v16, 0
	s_wait_kmcnt 0x0
	s_and_saveexec_b32 s6, s2
	s_cbranch_execz .LBB248_550
; %bb.279:
	s_abs_i32 s7, s14
	v_or_b32_e32 v5, 0x60, v14
	s_wait_alu 0xfffe
	s_cvt_f32_u32 s0, s7
	s_sub_co_i32 s5, 0, s7
	v_dual_mov_b32 v17, 0 :: v_dual_lshlrev_b32 v20, 3, v14
	s_wait_alu 0xfffe
	v_rcp_iflag_f32_e32 v1, s0
	s_lshl_b64 s[0:1], s[26:27], 2
	v_dual_mov_b32 v2, 0 :: v_dual_mov_b32 v19, 0
	s_wait_alu 0xfffe
	s_add_nc_u64 s[0:1], s[24:25], s[0:1]
	v_lshl_add_u32 v21, v11, 5, 0x110
	s_wait_alu 0xfffe
	v_add_co_u32 v3, s0, s0, v9
	v_mov_b32_e32 v16, 0
	v_mov_b32_e32 v18, 0
	v_readfirstlane_b32 s4, v1
	s_wait_alu 0xf1ff
	v_add_co_ci_u32_e64 v4, null, s1, 0, s0
	v_lshlrev_b32_e32 v22, 3, v5
	s_ashr_i32 s29, s28, 31
	s_mul_f32 s4, s4, 0x4f7ffffe
	s_mov_b32 s2, -1
	s_sub_co_i32 s13, s38, s13
	s_mov_b32 s14, s17
	s_wait_alu 0xfffe
	s_cvt_u32_f32 s19, s4
	s_mov_b32 s3, 0xffffff
	s_add_co_i32 s37, s37, -1
	s_mov_b32 s17, 0
	s_wait_alu 0xfffe
	s_mul_i32 s5, s5, s19
	v_cmp_gt_u32_e32 vcc_lo, 0x78, v5
	s_wait_alu 0xfffe
	s_mul_hi_u32 s0, s19, s5
	s_add_nc_u64 s[4:5], s[30:31], s[28:29]
	s_wait_alu 0xfffe
	s_add_co_i32 s19, s19, s0
	s_branch .LBB248_283
.LBB248_280:                            ;   in Loop: Header=BB248_283 Depth=1
	s_wait_alu 0xfffe
	s_or_b32 exec_lo, exec_lo, s1
	;;#ASMSTART
	v_pk_mul_f16 v1, v28, v36;

	;;#ASMEND
	;;#ASMSTART
	v_pk_mul_f16 v5, v27, v35;

	;;#ASMEND
	;; [unrolled: 4-line block ×4, first 2 shown]
	;;#ASMSTART
	v_pk_add_f16 v1, v1, v5;

	;;#ASMEND
	;;#ASMSTART
	v_pk_add_f16 v1, v1, v6;

	;;#ASMEND
	;; [unrolled: 4-line block ×3, first 2 shown]
	v_and_b32_e32 v5, 0xffff, v1
	v_lshrrev_b32_e32 v6, 16, v1
	;;#ASMSTART
	v_cvt_f32_f16 v1, v5;
	;;#ASMEND
	;;#ASMSTART
	v_cvt_f32_f16 v5, v6;
	;;#ASMEND
	s_delay_alu instid0(VALU_DEP_2) | instskip(NEXT) | instid1(VALU_DEP_1)
	v_add_f32_e32 v1, v1, v5
	v_add_f32_e32 v16, v16, v1
.LBB248_281:                            ;   in Loop: Header=BB248_283 Depth=1
	s_or_b32 exec_lo, exec_lo, s25
	v_dual_add_f32 v1, v9, v10 :: v_dual_add_f32 v6, v7, v8
	s_delay_alu instid0(VALU_DEP_1) | instskip(NEXT) | instid1(VALU_DEP_2)
	v_dual_add_f32 v5, v23, v24 :: v_dual_add_f32 v18, v18, v1
	v_add_f32_e32 v17, v17, v6
	s_delay_alu instid0(VALU_DEP_2)
	v_add_f32_e32 v19, v19, v5
.LBB248_282:                            ;   in Loop: Header=BB248_283 Depth=1
	s_or_b32 exec_lo, exec_lo, s24
	v_add_nc_u32_e32 v13, 4, v13
	v_add_co_u32 v3, s1, v3, 16
	s_wait_alu 0xf1ff
	v_add_co_ci_u32_e64 v4, null, 0, v4, s1
	s_delay_alu instid0(VALU_DEP_3)
	v_cmp_le_i32_e64 s0, s23, v13
	v_add_nc_u32_e32 v12, 32, v12
	v_add_nc_u32_e32 v21, 0x80, v21
	s_or_b32 s17, s0, s17
	s_wait_alu 0xfffe
	s_and_not1_b32 exec_lo, exec_lo, s17
	s_cbranch_execz .LBB248_549
.LBB248_283:                            ; =>This Inner Loop Header: Depth=1
	v_sub_nc_u32_e32 v1, 0, v12
	s_delay_alu instid0(VALU_DEP_1) | instskip(NEXT) | instid1(VALU_DEP_1)
	v_max_i32_e32 v1, v12, v1
	v_mul_hi_u32 v5, v1, s22
	s_delay_alu instid0(VALU_DEP_1) | instskip(NEXT) | instid1(VALU_DEP_1)
	v_mul_lo_u32 v6, v5, s16
	v_sub_nc_u32_e32 v1, v1, v6
	v_add_nc_u32_e32 v6, 1, v5
	s_delay_alu instid0(VALU_DEP_2) | instskip(SKIP_2) | instid1(VALU_DEP_1)
	v_subrev_nc_u32_e32 v7, s16, v1
	v_cmp_le_u32_e64 s0, s16, v1
	s_wait_alu 0xf1ff
	v_cndmask_b32_e64 v5, v5, v6, s0
	s_delay_alu instid0(VALU_DEP_3) | instskip(SKIP_1) | instid1(VALU_DEP_3)
	v_cndmask_b32_e64 v1, v1, v7, s0
	v_ashrrev_i32_e32 v6, 31, v12
	v_add_nc_u32_e32 v7, 1, v5
	s_delay_alu instid0(VALU_DEP_3) | instskip(NEXT) | instid1(VALU_DEP_3)
	v_cmp_le_u32_e64 s0, s16, v1
	v_xor_b32_e32 v6, s15, v6
	s_wait_alu 0xf1ff
	s_delay_alu instid0(VALU_DEP_2) | instskip(NEXT) | instid1(VALU_DEP_1)
	v_cndmask_b32_e64 v1, v5, v7, s0
	v_xor_b32_e32 v1, v1, v6
	s_delay_alu instid0(VALU_DEP_1) | instskip(NEXT) | instid1(VALU_DEP_1)
	v_sub_nc_u32_e32 v1, v1, v6
	v_add_nc_u32_e32 v5, s21, v1
	v_cmp_lt_i32_e64 s1, s13, v1
	s_delay_alu instid0(VALU_DEP_2) | instskip(NEXT) | instid1(VALU_DEP_1)
	v_sub_nc_u32_e32 v6, 0, v5
	v_max_i32_e32 v6, v5, v6
	v_ashrrev_i32_e32 v5, 31, v5
	s_wait_alu 0xfffe
	s_delay_alu instid0(VALU_DEP_2) | instskip(NEXT) | instid1(VALU_DEP_1)
	v_mul_hi_u32 v7, v6, s19
	v_mul_lo_u32 v7, v7, s7
	s_delay_alu instid0(VALU_DEP_1) | instskip(NEXT) | instid1(VALU_DEP_1)
	v_sub_nc_u32_e32 v6, v6, v7
	v_subrev_nc_u32_e32 v7, s7, v6
	v_cmp_le_u32_e64 s0, s7, v6
	s_wait_alu 0xf1ff
	s_delay_alu instid0(VALU_DEP_1) | instskip(NEXT) | instid1(VALU_DEP_1)
	v_cndmask_b32_e64 v6, v6, v7, s0
	v_subrev_nc_u32_e32 v7, s7, v6
	v_cmp_le_u32_e64 s0, s7, v6
	s_wait_alu 0xf1ff
	s_delay_alu instid0(VALU_DEP_1) | instskip(NEXT) | instid1(VALU_DEP_1)
	v_cndmask_b32_e64 v6, v6, v7, s0
	v_xor_b32_e32 v6, v6, v5
	s_delay_alu instid0(VALU_DEP_1) | instskip(NEXT) | instid1(VALU_DEP_1)
	v_sub_nc_u32_e32 v5, v6, v5
	v_cmp_eq_u32_e64 s0, 0, v5
	s_or_b32 s0, s0, s1
	s_wait_alu 0xfffe
	s_and_saveexec_b32 s24, s0
	s_cbranch_execz .LBB248_282
; %bb.284:                              ;   in Loop: Header=BB248_283 Depth=1
	global_load_b32 v1, v[3:4], off
	ds_load_2addr_b64 v[7:10], v21 offset1:1
	ds_load_2addr_b64 v[28:31], v21 offset0:2 offset1:3
	v_mov_b32_e32 v33, 0
	s_mov_b32 s1, exec_lo
	s_wait_dscnt 0x1
	;;#ASMSTART
	v_cvt_f16_f32 v26, v7;

	;;#ASMEND
	;;#ASMSTART
	v_cvt_f16_f32 v23, v8;

	;;#ASMEND
	;; [unrolled: 4-line block ×4, first 2 shown]
	s_wait_dscnt 0x0
	;;#ASMSTART
	v_cvt_f16_f32 v28, v28;

	;;#ASMEND
	;;#ASMSTART
	v_cvt_f16_f32 v25, v29;

	;;#ASMEND
	;; [unrolled: 4-line block ×4, first 2 shown]
	s_wait_loadcnt 0x0
	v_mad_co_i64_i32 v[5:6], null, v1, s14, s[4:5]
	s_delay_alu instid0(VALU_DEP_1) | instskip(SKIP_1) | instid1(VALU_DEP_2)
	v_add_co_u32 v7, s0, v5, v20
	s_wait_alu 0xf1ff
	v_add_co_ci_u32_e64 v8, null, 0, v6, s0
	global_load_b64 v[9:10], v[7:8], off
	s_wait_loadcnt 0x0
	v_dual_mov_b32 v32, 0 :: v_dual_and_b32 v1, 0xff, v9
	global_load_b32 v31, v32, s[10:11]
	v_cmpx_ne_u16_e32 0, v1
	s_cbranch_execz .LBB248_292
; %bb.285:                              ;   in Loop: Header=BB248_283 Depth=1
	v_mov_b32_e32 v33, 0x8000
	s_mov_b32 s25, exec_lo
	v_cmpx_ne_u16_e32 0x80, v1
	s_cbranch_execz .LBB248_291
; %bb.286:                              ;   in Loop: Header=BB248_283 Depth=1
	v_and_b32_e32 v34, 0x7f, v9
	v_mov_b32_e32 v33, 0x7c01
	s_mov_b32 s26, exec_lo
	s_delay_alu instid0(VALU_DEP_2)
	v_cmpx_ne_u32_e32 0x7f, v34
	s_cbranch_execz .LBB248_290
; %bb.287:                              ;   in Loop: Header=BB248_283 Depth=1
	v_and_b32_e32 v1, 7, v9
	v_lshrrev_b32_e32 v33, 3, v34
	s_mov_b32 s27, exec_lo
	v_cmpx_gt_u32_e32 8, v34
; %bb.288:                              ;   in Loop: Header=BB248_283 Depth=1
	s_delay_alu instid0(VALU_DEP_3) | instskip(NEXT) | instid1(VALU_DEP_1)
	v_clz_i32_u32_e32 v1, v1
	v_min_u32_e32 v1, 32, v1
	s_delay_alu instid0(VALU_DEP_1) | instskip(NEXT) | instid1(VALU_DEP_1)
	v_subrev_nc_u32_e32 v33, 28, v1
	v_lshlrev_b64_e32 v[34:35], v33, v[9:10]
	v_sub_nc_u32_e32 v33, 29, v1
	s_delay_alu instid0(VALU_DEP_2)
	v_and_b32_e32 v1, 7, v34
; %bb.289:                              ;   in Loop: Header=BB248_283 Depth=1
	s_or_b32 exec_lo, exec_lo, s27
	v_lshlrev_b32_e32 v34, 8, v9
	s_delay_alu instid0(VALU_DEP_3) | instskip(NEXT) | instid1(VALU_DEP_3)
	v_lshl_add_u32 v33, v33, 10, 0x2000
	v_lshlrev_b32_e32 v1, 7, v1
	s_delay_alu instid0(VALU_DEP_3) | instskip(NEXT) | instid1(VALU_DEP_3)
	v_and_b32_e32 v34, 0x8000, v34
	v_and_b32_e32 v33, 0xfc00, v33
	s_delay_alu instid0(VALU_DEP_1)
	v_or3_b32 v33, v34, v33, v1
.LBB248_290:                            ;   in Loop: Header=BB248_283 Depth=1
	s_or_b32 exec_lo, exec_lo, s26
.LBB248_291:                            ;   in Loop: Header=BB248_283 Depth=1
	s_delay_alu instid0(SALU_CYCLE_1)
	s_or_b32 exec_lo, exec_lo, s25
.LBB248_292:                            ;   in Loop: Header=BB248_283 Depth=1
	s_wait_alu 0xfffe
	s_or_b32 exec_lo, exec_lo, s1
	v_lshrrev_b16 v1, 8, v9
	s_mov_b32 s1, exec_lo
	s_delay_alu instid0(VALU_DEP_1)
	v_cmpx_ne_u16_e32 0, v1
	s_cbranch_execz .LBB248_300
; %bb.293:                              ;   in Loop: Header=BB248_283 Depth=1
	v_bfrev_b32_e32 v32, 1
	s_mov_b32 s25, exec_lo
	v_cmpx_ne_u16_e32 0x80, v1
	s_cbranch_execz .LBB248_299
; %bb.294:                              ;   in Loop: Header=BB248_283 Depth=1
	v_and_b32_e32 v34, 0xffff, v1
	v_mov_b32_e32 v32, 0x7c010000
	s_mov_b32 s26, exec_lo
	s_delay_alu instid0(VALU_DEP_2) | instskip(NEXT) | instid1(VALU_DEP_1)
	v_and_b32_e32 v36, 0x7f, v34
	v_cmpx_ne_u32_e32 0x7f, v36
	s_cbranch_execz .LBB248_298
; %bb.295:                              ;   in Loop: Header=BB248_283 Depth=1
	v_and_b32_e32 v32, 7, v34
	v_lshrrev_b32_e32 v35, 3, v36
	s_mov_b32 s27, exec_lo
	v_cmpx_gt_u32_e32 8, v36
; %bb.296:                              ;   in Loop: Header=BB248_283 Depth=1
	s_delay_alu instid0(VALU_DEP_3) | instskip(NEXT) | instid1(VALU_DEP_1)
	v_clz_i32_u32_e32 v32, v32
	v_min_u32_e32 v32, 32, v32
	s_delay_alu instid0(VALU_DEP_1) | instskip(NEXT) | instid1(VALU_DEP_1)
	v_subrev_nc_u32_e32 v35, 28, v32
	v_lshlrev_b64_e32 v[36:37], v35, v[1:2]
	v_sub_nc_u32_e32 v35, 29, v32
	s_delay_alu instid0(VALU_DEP_2)
	v_and_b32_e32 v32, 7, v36
; %bb.297:                              ;   in Loop: Header=BB248_283 Depth=1
	s_or_b32 exec_lo, exec_lo, s27
	v_lshlrev_b32_e32 v1, 8, v34
	s_delay_alu instid0(VALU_DEP_3) | instskip(NEXT) | instid1(VALU_DEP_3)
	v_lshl_add_u32 v34, v35, 10, 0x2000
	v_lshlrev_b32_e32 v32, 23, v32
	s_delay_alu instid0(VALU_DEP_2) | instskip(NEXT) | instid1(VALU_DEP_1)
	v_and_or_b32 v1, 0x8000, v1, v34
	v_lshl_or_b32 v32, v1, 16, v32
.LBB248_298:                            ;   in Loop: Header=BB248_283 Depth=1
	s_or_b32 exec_lo, exec_lo, s26
.LBB248_299:                            ;   in Loop: Header=BB248_283 Depth=1
	s_delay_alu instid0(SALU_CYCLE_1)
	s_or_b32 exec_lo, exec_lo, s25
.LBB248_300:                            ;   in Loop: Header=BB248_283 Depth=1
	s_wait_alu 0xfffe
	s_or_b32 exec_lo, exec_lo, s1
	v_lshrrev_b32_e32 v1, 16, v9
	v_mov_b32_e32 v34, 0
	s_mov_b32 s1, exec_lo
	s_delay_alu instid0(VALU_DEP_2) | instskip(NEXT) | instid1(VALU_DEP_1)
	v_dual_mov_b32 v35, 0 :: v_dual_and_b32 v36, 0xff, v1
	v_cmpx_ne_u16_e32 0, v36
	s_cbranch_execz .LBB248_308
; %bb.301:                              ;   in Loop: Header=BB248_283 Depth=1
	v_mov_b32_e32 v35, 0x8000
	s_mov_b32 s25, exec_lo
	v_cmpx_ne_u16_e32 0x80, v36
	s_cbranch_execz .LBB248_307
; %bb.302:                              ;   in Loop: Header=BB248_283 Depth=1
	v_bfe_u32 v37, v9, 16, 7
	v_mov_b32_e32 v35, 0x7c01
	s_mov_b32 s26, exec_lo
	s_delay_alu instid0(VALU_DEP_2)
	v_cmpx_ne_u32_e32 0x7f, v37
	s_cbranch_execz .LBB248_306
; %bb.303:                              ;   in Loop: Header=BB248_283 Depth=1
	v_and_b32_e32 v35, 7, v1
	v_lshrrev_b32_e32 v36, 3, v37
	s_mov_b32 s27, exec_lo
	v_cmpx_gt_u32_e32 8, v37
; %bb.304:                              ;   in Loop: Header=BB248_283 Depth=1
	s_delay_alu instid0(VALU_DEP_3) | instskip(NEXT) | instid1(VALU_DEP_1)
	v_clz_i32_u32_e32 v35, v35
	v_min_u32_e32 v37, 32, v35
	s_delay_alu instid0(VALU_DEP_1) | instskip(NEXT) | instid1(VALU_DEP_1)
	v_subrev_nc_u32_e32 v35, 28, v37
	v_lshlrev_b64_e32 v[35:36], v35, v[1:2]
	v_sub_nc_u32_e32 v36, 29, v37
	s_delay_alu instid0(VALU_DEP_2)
	v_and_b32_e32 v35, 7, v35
; %bb.305:                              ;   in Loop: Header=BB248_283 Depth=1
	s_or_b32 exec_lo, exec_lo, s27
	v_lshlrev_b32_e32 v1, 8, v1
	s_delay_alu instid0(VALU_DEP_3) | instskip(NEXT) | instid1(VALU_DEP_3)
	v_lshl_add_u32 v36, v36, 10, 0x2000
	v_lshlrev_b32_e32 v35, 7, v35
	s_delay_alu instid0(VALU_DEP_3) | instskip(NEXT) | instid1(VALU_DEP_3)
	v_and_b32_e32 v1, 0x8000, v1
	v_and_b32_e32 v36, 0xfc00, v36
	s_delay_alu instid0(VALU_DEP_1)
	v_or3_b32 v35, v1, v36, v35
.LBB248_306:                            ;   in Loop: Header=BB248_283 Depth=1
	s_or_b32 exec_lo, exec_lo, s26
.LBB248_307:                            ;   in Loop: Header=BB248_283 Depth=1
	s_delay_alu instid0(SALU_CYCLE_1)
	s_or_b32 exec_lo, exec_lo, s25
.LBB248_308:                            ;   in Loop: Header=BB248_283 Depth=1
	s_wait_alu 0xfffe
	s_or_b32 exec_lo, exec_lo, s1
	s_delay_alu instid0(SALU_CYCLE_1)
	s_mov_b32 s1, exec_lo
	v_cmpx_lt_u32_e32 0xffffff, v9
	s_cbranch_execz .LBB248_316
; %bb.309:                              ;   in Loop: Header=BB248_283 Depth=1
	v_lshrrev_b32_e32 v1, 24, v9
	v_bfrev_b32_e32 v34, 1
	s_mov_b32 s25, exec_lo
	s_delay_alu instid0(VALU_DEP_2)
	v_cmpx_ne_u32_e32 0x80, v1
	s_cbranch_execz .LBB248_315
; %bb.310:                              ;   in Loop: Header=BB248_283 Depth=1
	v_and_b32_e32 v37, 0x7f, v1
	v_mov_b32_e32 v34, 0x7c010000
	s_mov_b32 s26, exec_lo
	s_delay_alu instid0(VALU_DEP_2)
	v_cmpx_ne_u32_e32 0x7f, v37
	s_cbranch_execz .LBB248_314
; %bb.311:                              ;   in Loop: Header=BB248_283 Depth=1
	v_and_b32_e32 v34, 7, v1
	v_lshrrev_b32_e32 v36, 3, v37
	s_mov_b32 s27, exec_lo
	v_cmpx_gt_u32_e32 8, v37
; %bb.312:                              ;   in Loop: Header=BB248_283 Depth=1
	s_delay_alu instid0(VALU_DEP_3) | instskip(NEXT) | instid1(VALU_DEP_1)
	v_clz_i32_u32_e32 v34, v34
	v_min_u32_e32 v34, 32, v34
	s_delay_alu instid0(VALU_DEP_1) | instskip(NEXT) | instid1(VALU_DEP_1)
	v_subrev_nc_u32_e32 v36, 28, v34
	v_lshlrev_b64_e32 v[37:38], v36, v[1:2]
	v_sub_nc_u32_e32 v36, 29, v34
	s_delay_alu instid0(VALU_DEP_2)
	v_and_b32_e32 v34, 7, v37
; %bb.313:                              ;   in Loop: Header=BB248_283 Depth=1
	s_or_b32 exec_lo, exec_lo, s27
	v_lshlrev_b32_e32 v1, 8, v1
	s_delay_alu instid0(VALU_DEP_3) | instskip(NEXT) | instid1(VALU_DEP_3)
	v_lshl_add_u32 v36, v36, 10, 0x2000
	v_lshlrev_b32_e32 v34, 23, v34
	s_delay_alu instid0(VALU_DEP_2) | instskip(NEXT) | instid1(VALU_DEP_1)
	v_and_or_b32 v1, 0x8000, v1, v36
	v_lshl_or_b32 v34, v1, 16, v34
.LBB248_314:                            ;   in Loop: Header=BB248_283 Depth=1
	s_or_b32 exec_lo, exec_lo, s26
.LBB248_315:                            ;   in Loop: Header=BB248_283 Depth=1
	s_delay_alu instid0(SALU_CYCLE_1)
	s_or_b32 exec_lo, exec_lo, s25
.LBB248_316:                            ;   in Loop: Header=BB248_283 Depth=1
	s_wait_alu 0xfffe
	s_or_b32 exec_lo, exec_lo, s1
	v_dual_mov_b32 v1, v10 :: v_dual_and_b32 v38, 0xff, v10
	v_dual_mov_b32 v36, 0 :: v_dual_mov_b32 v37, 0
	s_mov_b32 s1, exec_lo
	s_delay_alu instid0(VALU_DEP_2)
	v_cmpx_ne_u16_e32 0, v38
	s_cbranch_execz .LBB248_324
; %bb.317:                              ;   in Loop: Header=BB248_283 Depth=1
	v_mov_b32_e32 v37, 0x8000
	s_mov_b32 s25, exec_lo
	v_cmpx_ne_u16_e32 0x80, v38
	s_cbranch_execz .LBB248_323
; %bb.318:                              ;   in Loop: Header=BB248_283 Depth=1
	v_and_b32_e32 v39, 0x7f, v10
	v_mov_b32_e32 v37, 0x7c01
	s_mov_b32 s26, exec_lo
	s_delay_alu instid0(VALU_DEP_2)
	v_cmpx_ne_u32_e32 0x7f, v39
	s_cbranch_execz .LBB248_322
; %bb.319:                              ;   in Loop: Header=BB248_283 Depth=1
	v_and_b32_e32 v37, 7, v10
	v_lshrrev_b32_e32 v38, 3, v39
	s_mov_b32 s27, exec_lo
	v_cmpx_gt_u32_e32 8, v39
; %bb.320:                              ;   in Loop: Header=BB248_283 Depth=1
	s_delay_alu instid0(VALU_DEP_3) | instskip(NEXT) | instid1(VALU_DEP_1)
	v_clz_i32_u32_e32 v37, v37
	v_min_u32_e32 v39, 32, v37
	s_delay_alu instid0(VALU_DEP_1) | instskip(NEXT) | instid1(VALU_DEP_1)
	v_subrev_nc_u32_e32 v37, 28, v39
	v_lshlrev_b64_e32 v[37:38], v37, v[1:2]
	v_sub_nc_u32_e32 v38, 29, v39
	s_delay_alu instid0(VALU_DEP_2)
	v_and_b32_e32 v37, 7, v37
; %bb.321:                              ;   in Loop: Header=BB248_283 Depth=1
	s_or_b32 exec_lo, exec_lo, s27
	v_lshlrev_b32_e32 v39, 8, v10
	s_delay_alu instid0(VALU_DEP_3) | instskip(NEXT) | instid1(VALU_DEP_3)
	v_lshl_add_u32 v38, v38, 10, 0x2000
	v_lshlrev_b32_e32 v37, 7, v37
	s_delay_alu instid0(VALU_DEP_3) | instskip(NEXT) | instid1(VALU_DEP_3)
	v_and_b32_e32 v39, 0x8000, v39
	v_and_b32_e32 v38, 0xfc00, v38
	s_delay_alu instid0(VALU_DEP_1)
	v_or3_b32 v37, v39, v38, v37
.LBB248_322:                            ;   in Loop: Header=BB248_283 Depth=1
	s_or_b32 exec_lo, exec_lo, s26
.LBB248_323:                            ;   in Loop: Header=BB248_283 Depth=1
	s_delay_alu instid0(SALU_CYCLE_1)
	s_or_b32 exec_lo, exec_lo, s25
.LBB248_324:                            ;   in Loop: Header=BB248_283 Depth=1
	s_wait_alu 0xfffe
	s_or_b32 exec_lo, exec_lo, s1
	v_lshrrev_b16 v1, 8, v1
	v_mov_b32_e32 v38, 0
	s_mov_b32 s1, exec_lo
	s_delay_alu instid0(VALU_DEP_2)
	v_cmpx_ne_u16_e32 0, v1
	s_cbranch_execz .LBB248_332
; %bb.325:                              ;   in Loop: Header=BB248_283 Depth=1
	v_bfrev_b32_e32 v38, 1
	s_mov_b32 s25, exec_lo
	v_cmpx_ne_u16_e32 0x80, v1
	s_cbranch_execz .LBB248_331
; %bb.326:                              ;   in Loop: Header=BB248_283 Depth=1
	v_and_b32_e32 v39, 0xffff, v1
	v_mov_b32_e32 v38, 0x7c010000
	s_mov_b32 s26, exec_lo
	s_delay_alu instid0(VALU_DEP_2) | instskip(NEXT) | instid1(VALU_DEP_1)
	v_and_b32_e32 v41, 0x7f, v39
	v_cmpx_ne_u32_e32 0x7f, v41
	s_cbranch_execz .LBB248_330
; %bb.327:                              ;   in Loop: Header=BB248_283 Depth=1
	v_and_b32_e32 v38, 7, v39
	v_lshrrev_b32_e32 v40, 3, v41
	s_mov_b32 s27, exec_lo
	v_cmpx_gt_u32_e32 8, v41
; %bb.328:                              ;   in Loop: Header=BB248_283 Depth=1
	s_delay_alu instid0(VALU_DEP_3) | instskip(NEXT) | instid1(VALU_DEP_1)
	v_clz_i32_u32_e32 v38, v38
	v_min_u32_e32 v38, 32, v38
	s_delay_alu instid0(VALU_DEP_1) | instskip(NEXT) | instid1(VALU_DEP_1)
	v_subrev_nc_u32_e32 v40, 28, v38
	v_lshlrev_b64_e32 v[41:42], v40, v[1:2]
	v_sub_nc_u32_e32 v40, 29, v38
	s_delay_alu instid0(VALU_DEP_2)
	v_and_b32_e32 v38, 7, v41
; %bb.329:                              ;   in Loop: Header=BB248_283 Depth=1
	s_or_b32 exec_lo, exec_lo, s27
	v_lshlrev_b32_e32 v1, 8, v39
	s_delay_alu instid0(VALU_DEP_3) | instskip(NEXT) | instid1(VALU_DEP_3)
	v_lshl_add_u32 v39, v40, 10, 0x2000
	v_lshlrev_b32_e32 v38, 23, v38
	s_delay_alu instid0(VALU_DEP_2) | instskip(NEXT) | instid1(VALU_DEP_1)
	v_and_or_b32 v1, 0x8000, v1, v39
	v_lshl_or_b32 v38, v1, 16, v38
.LBB248_330:                            ;   in Loop: Header=BB248_283 Depth=1
	s_or_b32 exec_lo, exec_lo, s26
.LBB248_331:                            ;   in Loop: Header=BB248_283 Depth=1
	s_delay_alu instid0(SALU_CYCLE_1)
	s_or_b32 exec_lo, exec_lo, s25
.LBB248_332:                            ;   in Loop: Header=BB248_283 Depth=1
	s_wait_alu 0xfffe
	s_or_b32 exec_lo, exec_lo, s1
	v_lshrrev_b32_e32 v1, 16, v10
	s_mov_b32 s1, exec_lo
	s_delay_alu instid0(VALU_DEP_1) | instskip(NEXT) | instid1(VALU_DEP_1)
	v_and_b32_e32 v39, 0xff, v1
	v_cmpx_ne_u16_e32 0, v39
	s_cbranch_execz .LBB248_340
; %bb.333:                              ;   in Loop: Header=BB248_283 Depth=1
	v_mov_b32_e32 v36, 0x8000
	s_mov_b32 s25, exec_lo
	v_cmpx_ne_u16_e32 0x80, v39
	s_cbranch_execz .LBB248_339
; %bb.334:                              ;   in Loop: Header=BB248_283 Depth=1
	v_bfe_u32 v40, v10, 16, 7
	v_mov_b32_e32 v36, 0x7c01
	s_mov_b32 s26, exec_lo
	s_delay_alu instid0(VALU_DEP_2)
	v_cmpx_ne_u32_e32 0x7f, v40
	s_cbranch_execz .LBB248_338
; %bb.335:                              ;   in Loop: Header=BB248_283 Depth=1
	v_and_b32_e32 v36, 7, v1
	v_lshrrev_b32_e32 v39, 3, v40
	s_mov_b32 s27, exec_lo
	v_cmpx_gt_u32_e32 8, v40
; %bb.336:                              ;   in Loop: Header=BB248_283 Depth=1
	s_delay_alu instid0(VALU_DEP_3) | instskip(NEXT) | instid1(VALU_DEP_1)
	v_clz_i32_u32_e32 v36, v36
	v_min_u32_e32 v36, 32, v36
	s_delay_alu instid0(VALU_DEP_1) | instskip(NEXT) | instid1(VALU_DEP_1)
	v_subrev_nc_u32_e32 v39, 28, v36
	v_lshlrev_b64_e32 v[40:41], v39, v[1:2]
	v_sub_nc_u32_e32 v39, 29, v36
	s_delay_alu instid0(VALU_DEP_2)
	v_and_b32_e32 v36, 7, v40
; %bb.337:                              ;   in Loop: Header=BB248_283 Depth=1
	s_or_b32 exec_lo, exec_lo, s27
	v_lshlrev_b32_e32 v1, 8, v1
	s_delay_alu instid0(VALU_DEP_3) | instskip(NEXT) | instid1(VALU_DEP_3)
	v_lshl_add_u32 v39, v39, 10, 0x2000
	v_lshlrev_b32_e32 v36, 7, v36
	s_delay_alu instid0(VALU_DEP_3) | instskip(NEXT) | instid1(VALU_DEP_3)
	v_and_b32_e32 v1, 0x8000, v1
	v_and_b32_e32 v39, 0xfc00, v39
	s_delay_alu instid0(VALU_DEP_1)
	v_or3_b32 v36, v1, v39, v36
.LBB248_338:                            ;   in Loop: Header=BB248_283 Depth=1
	s_or_b32 exec_lo, exec_lo, s26
.LBB248_339:                            ;   in Loop: Header=BB248_283 Depth=1
	s_delay_alu instid0(SALU_CYCLE_1)
	s_or_b32 exec_lo, exec_lo, s25
.LBB248_340:                            ;   in Loop: Header=BB248_283 Depth=1
	s_wait_alu 0xfffe
	s_or_b32 exec_lo, exec_lo, s1
	v_cmp_lt_u64_e64 s0, s[2:3], v[9:10]
	v_mov_b32_e32 v9, 0
	s_and_saveexec_b32 s1, s0
	s_cbranch_execz .LBB248_348
; %bb.341:                              ;   in Loop: Header=BB248_283 Depth=1
	v_lshrrev_b32_e32 v1, 24, v10
	v_bfrev_b32_e32 v9, 1
	s_mov_b32 s25, exec_lo
	s_delay_alu instid0(VALU_DEP_2)
	v_cmpx_ne_u32_e32 0x80, v1
	s_cbranch_execz .LBB248_347
; %bb.342:                              ;   in Loop: Header=BB248_283 Depth=1
	v_and_b32_e32 v39, 0x7f, v1
	v_mov_b32_e32 v9, 0x7c010000
	s_mov_b32 s26, exec_lo
	s_delay_alu instid0(VALU_DEP_2)
	v_cmpx_ne_u32_e32 0x7f, v39
	s_cbranch_execz .LBB248_346
; %bb.343:                              ;   in Loop: Header=BB248_283 Depth=1
	v_and_b32_e32 v9, 7, v1
	v_lshrrev_b32_e32 v10, 3, v39
	s_mov_b32 s27, exec_lo
	v_cmpx_gt_u32_e32 8, v39
; %bb.344:                              ;   in Loop: Header=BB248_283 Depth=1
	s_delay_alu instid0(VALU_DEP_3) | instskip(NEXT) | instid1(VALU_DEP_1)
	v_clz_i32_u32_e32 v9, v9
	v_min_u32_e32 v39, 32, v9
	s_delay_alu instid0(VALU_DEP_1) | instskip(NEXT) | instid1(VALU_DEP_1)
	v_subrev_nc_u32_e32 v9, 28, v39
	v_lshlrev_b64_e32 v[9:10], v9, v[1:2]
	v_sub_nc_u32_e32 v10, 29, v39
	s_delay_alu instid0(VALU_DEP_2)
	v_and_b32_e32 v9, 7, v9
; %bb.345:                              ;   in Loop: Header=BB248_283 Depth=1
	s_or_b32 exec_lo, exec_lo, s27
	v_lshlrev_b32_e32 v1, 8, v1
	s_delay_alu instid0(VALU_DEP_3) | instskip(NEXT) | instid1(VALU_DEP_3)
	v_lshl_add_u32 v10, v10, 10, 0x2000
	v_lshlrev_b32_e32 v9, 23, v9
	s_delay_alu instid0(VALU_DEP_2) | instskip(NEXT) | instid1(VALU_DEP_1)
	v_and_or_b32 v1, 0x8000, v1, v10
	v_lshl_or_b32 v9, v1, 16, v9
.LBB248_346:                            ;   in Loop: Header=BB248_283 Depth=1
	s_or_b32 exec_lo, exec_lo, s26
.LBB248_347:                            ;   in Loop: Header=BB248_283 Depth=1
	s_delay_alu instid0(SALU_CYCLE_1)
	s_or_b32 exec_lo, exec_lo, s25
.LBB248_348:                            ;   in Loop: Header=BB248_283 Depth=1
	s_wait_alu 0xfffe
	s_or_b32 exec_lo, exec_lo, s1
	v_or_b32_e32 v1, v34, v35
	s_wait_loadcnt 0x0
	v_fma_mixlo_f16 v10, v31, v34, 0 op_sel:[0,1,0] op_sel_hi:[0,1,0]
	v_or_b32_e32 v33, v32, v33
	v_or_b32_e32 v35, v38, v37
	v_or_b32_e32 v36, v9, v36
	v_fma_mixlo_f16 v1, v31, v1, 0 op_sel_hi:[0,1,0]
	v_fma_mixlo_f16 v34, v31, v32, 0 op_sel:[0,1,0] op_sel_hi:[0,1,0]
	v_lshlrev_b32_e32 v32, 16, v10
	v_fma_mixlo_f16 v10, v31, v33, 0 op_sel_hi:[0,1,0]
	v_fma_mixlo_f16 v35, v31, v35, 0 op_sel_hi:[0,1,0]
	v_and_b32_e32 v33, 0xffff, v1
	v_fma_mixlo_f16 v1, v31, v38, 0 op_sel:[0,1,0] op_sel_hi:[0,1,0]
	v_fma_mixlo_f16 v37, v31, v9, 0 op_sel:[0,1,0] op_sel_hi:[0,1,0]
	v_fma_mixlo_f16 v36, v31, v36, 0 op_sel_hi:[0,1,0]
	v_lshlrev_b32_e32 v34, 16, v34
	v_and_b32_e32 v39, 0xffff, v10
	v_lshlrev_b32_e32 v9, 16, v1
	v_and_b32_e32 v31, 0xffff, v35
	;; [unrolled: 2-line block ×3, first 2 shown]
	v_cmp_eq_u32_e64 s0, s37, v13
	v_or_b32_e32 v35, v32, v33
	v_or_b32_e32 v36, v34, v39
	;; [unrolled: 1-line block ×4, first 2 shown]
	s_and_saveexec_b32 s25, s0
	s_cbranch_execz .LBB248_350
; %bb.349:                              ;   in Loop: Header=BB248_283 Depth=1
	v_add_nc_u32_e32 v35, 1, v12
	v_cmp_gt_i32_e64 s1, s34, v12
	v_add_nc_u32_e32 v36, 2, v12
	v_add_nc_u32_e32 v38, 3, v12
	s_wait_alu 0xf1ff
	s_delay_alu instid0(VALU_DEP_3) | instskip(SKIP_3) | instid1(VALU_DEP_2)
	v_cndmask_b32_e64 v37, 0, v39, s1
	v_cmp_gt_i32_e64 s1, s34, v35
	v_add_nc_u32_e32 v35, 4, v12
	s_wait_alu 0xf1ff
	v_cndmask_b32_e64 v34, 0, v34, s1
	v_cmp_gt_i32_e64 s1, s34, v36
	v_add_nc_u32_e32 v36, 5, v12
	s_wait_alu 0xf1ff
	s_delay_alu instid0(VALU_DEP_2) | instskip(SKIP_3) | instid1(VALU_DEP_2)
	v_cndmask_b32_e64 v33, 0, v33, s1
	v_cmp_gt_i32_e64 s1, s34, v38
	v_add_nc_u32_e32 v38, 6, v12
	s_wait_alu 0xf1ff
	v_cndmask_b32_e64 v32, 0, v32, s1
	v_cmp_gt_i32_e64 s1, s34, v35
	v_add_nc_u32_e32 v35, 7, v12
	s_wait_alu 0xf1ff
	s_delay_alu instid0(VALU_DEP_2) | instskip(SKIP_3) | instid1(VALU_DEP_2)
	v_cndmask_b32_e64 v31, 0, v31, s1
	v_cmp_gt_i32_e64 s1, s34, v36
	v_or_b32_e32 v36, v34, v37
	s_wait_alu 0xf1ff
	v_cndmask_b32_e64 v9, 0, v9, s1
	v_cmp_gt_i32_e64 s1, s34, v38
	s_delay_alu instid0(VALU_DEP_2) | instskip(SKIP_1) | instid1(VALU_DEP_2)
	v_or_b32_e32 v37, v9, v31
	s_wait_alu 0xf1ff
	v_cndmask_b32_e64 v10, 0, v10, s1
	v_cmp_gt_i32_e64 s1, s34, v35
	v_or_b32_e32 v35, v32, v33
	s_wait_alu 0xf1ff
	s_delay_alu instid0(VALU_DEP_2) | instskip(NEXT) | instid1(VALU_DEP_1)
	v_cndmask_b32_e64 v1, 0, v1, s1
	v_or_b32_e32 v38, v1, v10
.LBB248_350:                            ;   in Loop: Header=BB248_283 Depth=1
	s_or_b32 exec_lo, exec_lo, s25
	v_and_b32_e32 v1, 0xffff, v26
	v_dual_mov_b32 v31, 0 :: v_dual_and_b32 v10, 0xffff, v28
	v_and_b32_e32 v30, 0xffff, v30
	v_and_b32_e32 v9, 0xffff, v27
	s_mov_b32 s25, exec_lo
	s_delay_alu instid0(VALU_DEP_3) | instskip(NEXT) | instid1(VALU_DEP_3)
	v_lshl_or_b32 v26, v25, 16, v10
	v_lshl_or_b32 v25, v29, 16, v30
	v_mov_b32_e32 v30, 0
	v_lshl_or_b32 v28, v23, 16, v1
	;;#ASMSTART
	v_pk_mul_f16 v1, v28, v36;

	;;#ASMEND
	v_lshl_or_b32 v27, v24, 16, v9
	;;#ASMSTART
	v_pk_mul_f16 v9, v27, v35;

	;;#ASMEND
	;;#ASMSTART
	v_pk_mul_f16 v10, v26, v37;

	;;#ASMEND
	;; [unrolled: 4-line block ×3, first 2 shown]
	;;#ASMSTART
	v_pk_add_f16 v1, v1, v9;

	;;#ASMEND
	;;#ASMSTART
	v_pk_add_f16 v1, v1, v10;

	;;#ASMEND
	;; [unrolled: 4-line block ×3, first 2 shown]
	v_and_b32_e32 v9, 0xffff, v1
	v_lshrrev_b32_e32 v1, 16, v1
	;;#ASMSTART
	v_cvt_f32_f16 v23, v9;
	;;#ASMEND
	;;#ASMSTART
	v_cvt_f32_f16 v24, v1;
	;;#ASMEND
	global_load_b64 v[9:10], v[7:8], off offset:256
	global_load_b32 v29, v30, s[10:11]
	s_wait_loadcnt 0x1
	v_and_b32_e32 v1, 0xff, v9
	s_delay_alu instid0(VALU_DEP_1)
	v_cmpx_ne_u16_e32 0, v1
	s_cbranch_execz .LBB248_358
; %bb.351:                              ;   in Loop: Header=BB248_283 Depth=1
	v_mov_b32_e32 v31, 0x8000
	s_mov_b32 s26, exec_lo
	v_cmpx_ne_u16_e32 0x80, v1
	s_cbranch_execz .LBB248_357
; %bb.352:                              ;   in Loop: Header=BB248_283 Depth=1
	v_and_b32_e32 v32, 0x7f, v9
	v_mov_b32_e32 v31, 0x7c01
	s_mov_b32 s27, exec_lo
	s_delay_alu instid0(VALU_DEP_2)
	v_cmpx_ne_u32_e32 0x7f, v32
	s_cbranch_execz .LBB248_356
; %bb.353:                              ;   in Loop: Header=BB248_283 Depth=1
	v_and_b32_e32 v1, 7, v9
	v_lshrrev_b32_e32 v31, 3, v32
	s_mov_b32 s28, exec_lo
	v_cmpx_gt_u32_e32 8, v32
; %bb.354:                              ;   in Loop: Header=BB248_283 Depth=1
	s_delay_alu instid0(VALU_DEP_3) | instskip(NEXT) | instid1(VALU_DEP_1)
	v_clz_i32_u32_e32 v1, v1
	v_min_u32_e32 v1, 32, v1
	s_delay_alu instid0(VALU_DEP_1) | instskip(NEXT) | instid1(VALU_DEP_1)
	v_subrev_nc_u32_e32 v31, 28, v1
	v_lshlrev_b64_e32 v[32:33], v31, v[9:10]
	v_sub_nc_u32_e32 v31, 29, v1
	s_delay_alu instid0(VALU_DEP_2)
	v_and_b32_e32 v1, 7, v32
; %bb.355:                              ;   in Loop: Header=BB248_283 Depth=1
	s_wait_alu 0xfffe
	s_or_b32 exec_lo, exec_lo, s28
	v_lshlrev_b32_e32 v32, 8, v9
	v_lshl_add_u32 v31, v31, 10, 0x2000
	v_lshlrev_b32_e32 v1, 7, v1
	s_delay_alu instid0(VALU_DEP_3) | instskip(NEXT) | instid1(VALU_DEP_3)
	v_and_b32_e32 v32, 0x8000, v32
	v_and_b32_e32 v31, 0xfc00, v31
	s_delay_alu instid0(VALU_DEP_1)
	v_or3_b32 v31, v32, v31, v1
.LBB248_356:                            ;   in Loop: Header=BB248_283 Depth=1
	s_or_b32 exec_lo, exec_lo, s27
.LBB248_357:                            ;   in Loop: Header=BB248_283 Depth=1
	s_delay_alu instid0(SALU_CYCLE_1)
	s_or_b32 exec_lo, exec_lo, s26
.LBB248_358:                            ;   in Loop: Header=BB248_283 Depth=1
	s_delay_alu instid0(SALU_CYCLE_1) | instskip(SKIP_2) | instid1(VALU_DEP_1)
	s_or_b32 exec_lo, exec_lo, s25
	v_lshrrev_b16 v1, 8, v9
	s_mov_b32 s25, exec_lo
	v_cmpx_ne_u16_e32 0, v1
	s_cbranch_execz .LBB248_366
; %bb.359:                              ;   in Loop: Header=BB248_283 Depth=1
	v_bfrev_b32_e32 v30, 1
	s_mov_b32 s26, exec_lo
	v_cmpx_ne_u16_e32 0x80, v1
	s_cbranch_execz .LBB248_365
; %bb.360:                              ;   in Loop: Header=BB248_283 Depth=1
	v_and_b32_e32 v32, 0xffff, v1
	v_mov_b32_e32 v30, 0x7c010000
	s_mov_b32 s27, exec_lo
	s_delay_alu instid0(VALU_DEP_2) | instskip(NEXT) | instid1(VALU_DEP_1)
	v_and_b32_e32 v34, 0x7f, v32
	v_cmpx_ne_u32_e32 0x7f, v34
	s_cbranch_execz .LBB248_364
; %bb.361:                              ;   in Loop: Header=BB248_283 Depth=1
	v_and_b32_e32 v30, 7, v32
	v_lshrrev_b32_e32 v33, 3, v34
	s_mov_b32 s28, exec_lo
	v_cmpx_gt_u32_e32 8, v34
; %bb.362:                              ;   in Loop: Header=BB248_283 Depth=1
	s_delay_alu instid0(VALU_DEP_3) | instskip(NEXT) | instid1(VALU_DEP_1)
	v_clz_i32_u32_e32 v30, v30
	v_min_u32_e32 v30, 32, v30
	s_delay_alu instid0(VALU_DEP_1) | instskip(NEXT) | instid1(VALU_DEP_1)
	v_subrev_nc_u32_e32 v33, 28, v30
	v_lshlrev_b64_e32 v[34:35], v33, v[1:2]
	v_sub_nc_u32_e32 v33, 29, v30
	s_delay_alu instid0(VALU_DEP_2)
	v_and_b32_e32 v30, 7, v34
; %bb.363:                              ;   in Loop: Header=BB248_283 Depth=1
	s_wait_alu 0xfffe
	s_or_b32 exec_lo, exec_lo, s28
	v_lshlrev_b32_e32 v1, 8, v32
	v_lshl_add_u32 v32, v33, 10, 0x2000
	v_lshlrev_b32_e32 v30, 23, v30
	s_delay_alu instid0(VALU_DEP_2) | instskip(NEXT) | instid1(VALU_DEP_1)
	v_and_or_b32 v1, 0x8000, v1, v32
	v_lshl_or_b32 v30, v1, 16, v30
.LBB248_364:                            ;   in Loop: Header=BB248_283 Depth=1
	s_or_b32 exec_lo, exec_lo, s27
.LBB248_365:                            ;   in Loop: Header=BB248_283 Depth=1
	s_delay_alu instid0(SALU_CYCLE_1)
	s_or_b32 exec_lo, exec_lo, s26
.LBB248_366:                            ;   in Loop: Header=BB248_283 Depth=1
	s_delay_alu instid0(SALU_CYCLE_1) | instskip(SKIP_3) | instid1(VALU_DEP_2)
	s_or_b32 exec_lo, exec_lo, s25
	v_lshrrev_b32_e32 v1, 16, v9
	v_mov_b32_e32 v32, 0
	s_mov_b32 s25, exec_lo
	v_dual_mov_b32 v33, 0 :: v_dual_and_b32 v34, 0xff, v1
	s_delay_alu instid0(VALU_DEP_1)
	v_cmpx_ne_u16_e32 0, v34
	s_cbranch_execz .LBB248_374
; %bb.367:                              ;   in Loop: Header=BB248_283 Depth=1
	v_mov_b32_e32 v33, 0x8000
	s_mov_b32 s26, exec_lo
	v_cmpx_ne_u16_e32 0x80, v34
	s_cbranch_execz .LBB248_373
; %bb.368:                              ;   in Loop: Header=BB248_283 Depth=1
	v_bfe_u32 v35, v9, 16, 7
	v_mov_b32_e32 v33, 0x7c01
	s_mov_b32 s27, exec_lo
	s_delay_alu instid0(VALU_DEP_2)
	v_cmpx_ne_u32_e32 0x7f, v35
	s_cbranch_execz .LBB248_372
; %bb.369:                              ;   in Loop: Header=BB248_283 Depth=1
	v_and_b32_e32 v33, 7, v1
	v_lshrrev_b32_e32 v34, 3, v35
	s_mov_b32 s28, exec_lo
	v_cmpx_gt_u32_e32 8, v35
; %bb.370:                              ;   in Loop: Header=BB248_283 Depth=1
	s_delay_alu instid0(VALU_DEP_3) | instskip(NEXT) | instid1(VALU_DEP_1)
	v_clz_i32_u32_e32 v33, v33
	v_min_u32_e32 v35, 32, v33
	s_delay_alu instid0(VALU_DEP_1) | instskip(NEXT) | instid1(VALU_DEP_1)
	v_subrev_nc_u32_e32 v33, 28, v35
	v_lshlrev_b64_e32 v[33:34], v33, v[1:2]
	v_sub_nc_u32_e32 v34, 29, v35
	s_delay_alu instid0(VALU_DEP_2)
	v_and_b32_e32 v33, 7, v33
; %bb.371:                              ;   in Loop: Header=BB248_283 Depth=1
	s_wait_alu 0xfffe
	s_or_b32 exec_lo, exec_lo, s28
	v_lshlrev_b32_e32 v1, 8, v1
	v_lshl_add_u32 v34, v34, 10, 0x2000
	v_lshlrev_b32_e32 v33, 7, v33
	s_delay_alu instid0(VALU_DEP_3) | instskip(NEXT) | instid1(VALU_DEP_3)
	v_and_b32_e32 v1, 0x8000, v1
	v_and_b32_e32 v34, 0xfc00, v34
	s_delay_alu instid0(VALU_DEP_1)
	v_or3_b32 v33, v1, v34, v33
.LBB248_372:                            ;   in Loop: Header=BB248_283 Depth=1
	s_or_b32 exec_lo, exec_lo, s27
.LBB248_373:                            ;   in Loop: Header=BB248_283 Depth=1
	s_delay_alu instid0(SALU_CYCLE_1)
	s_or_b32 exec_lo, exec_lo, s26
.LBB248_374:                            ;   in Loop: Header=BB248_283 Depth=1
	s_delay_alu instid0(SALU_CYCLE_1) | instskip(NEXT) | instid1(SALU_CYCLE_1)
	s_or_b32 exec_lo, exec_lo, s25
	s_mov_b32 s25, exec_lo
	v_cmpx_lt_u32_e32 0xffffff, v9
	s_cbranch_execz .LBB248_382
; %bb.375:                              ;   in Loop: Header=BB248_283 Depth=1
	v_lshrrev_b32_e32 v1, 24, v9
	v_bfrev_b32_e32 v32, 1
	s_mov_b32 s26, exec_lo
	s_delay_alu instid0(VALU_DEP_2)
	v_cmpx_ne_u32_e32 0x80, v1
	s_cbranch_execz .LBB248_381
; %bb.376:                              ;   in Loop: Header=BB248_283 Depth=1
	v_and_b32_e32 v35, 0x7f, v1
	v_mov_b32_e32 v32, 0x7c010000
	s_mov_b32 s27, exec_lo
	s_delay_alu instid0(VALU_DEP_2)
	v_cmpx_ne_u32_e32 0x7f, v35
	s_cbranch_execz .LBB248_380
; %bb.377:                              ;   in Loop: Header=BB248_283 Depth=1
	v_and_b32_e32 v32, 7, v1
	v_lshrrev_b32_e32 v34, 3, v35
	s_mov_b32 s28, exec_lo
	v_cmpx_gt_u32_e32 8, v35
; %bb.378:                              ;   in Loop: Header=BB248_283 Depth=1
	s_delay_alu instid0(VALU_DEP_3) | instskip(NEXT) | instid1(VALU_DEP_1)
	v_clz_i32_u32_e32 v32, v32
	v_min_u32_e32 v32, 32, v32
	s_delay_alu instid0(VALU_DEP_1) | instskip(NEXT) | instid1(VALU_DEP_1)
	v_subrev_nc_u32_e32 v34, 28, v32
	v_lshlrev_b64_e32 v[35:36], v34, v[1:2]
	v_sub_nc_u32_e32 v34, 29, v32
	s_delay_alu instid0(VALU_DEP_2)
	v_and_b32_e32 v32, 7, v35
; %bb.379:                              ;   in Loop: Header=BB248_283 Depth=1
	s_wait_alu 0xfffe
	s_or_b32 exec_lo, exec_lo, s28
	v_lshlrev_b32_e32 v1, 8, v1
	v_lshl_add_u32 v34, v34, 10, 0x2000
	v_lshlrev_b32_e32 v32, 23, v32
	s_delay_alu instid0(VALU_DEP_2) | instskip(NEXT) | instid1(VALU_DEP_1)
	v_and_or_b32 v1, 0x8000, v1, v34
	v_lshl_or_b32 v32, v1, 16, v32
.LBB248_380:                            ;   in Loop: Header=BB248_283 Depth=1
	s_or_b32 exec_lo, exec_lo, s27
.LBB248_381:                            ;   in Loop: Header=BB248_283 Depth=1
	s_delay_alu instid0(SALU_CYCLE_1)
	s_or_b32 exec_lo, exec_lo, s26
.LBB248_382:                            ;   in Loop: Header=BB248_283 Depth=1
	s_delay_alu instid0(SALU_CYCLE_1) | instskip(SKIP_3) | instid1(VALU_DEP_2)
	s_or_b32 exec_lo, exec_lo, s25
	v_dual_mov_b32 v1, v10 :: v_dual_and_b32 v36, 0xff, v10
	v_dual_mov_b32 v34, 0 :: v_dual_mov_b32 v35, 0
	s_mov_b32 s25, exec_lo
	v_cmpx_ne_u16_e32 0, v36
	s_cbranch_execz .LBB248_390
; %bb.383:                              ;   in Loop: Header=BB248_283 Depth=1
	v_mov_b32_e32 v35, 0x8000
	s_mov_b32 s26, exec_lo
	v_cmpx_ne_u16_e32 0x80, v36
	s_cbranch_execz .LBB248_389
; %bb.384:                              ;   in Loop: Header=BB248_283 Depth=1
	v_and_b32_e32 v37, 0x7f, v10
	v_mov_b32_e32 v35, 0x7c01
	s_mov_b32 s27, exec_lo
	s_delay_alu instid0(VALU_DEP_2)
	v_cmpx_ne_u32_e32 0x7f, v37
	s_cbranch_execz .LBB248_388
; %bb.385:                              ;   in Loop: Header=BB248_283 Depth=1
	v_and_b32_e32 v35, 7, v10
	v_lshrrev_b32_e32 v36, 3, v37
	s_mov_b32 s28, exec_lo
	v_cmpx_gt_u32_e32 8, v37
; %bb.386:                              ;   in Loop: Header=BB248_283 Depth=1
	s_delay_alu instid0(VALU_DEP_3) | instskip(NEXT) | instid1(VALU_DEP_1)
	v_clz_i32_u32_e32 v35, v35
	v_min_u32_e32 v37, 32, v35
	s_delay_alu instid0(VALU_DEP_1) | instskip(NEXT) | instid1(VALU_DEP_1)
	v_subrev_nc_u32_e32 v35, 28, v37
	v_lshlrev_b64_e32 v[35:36], v35, v[1:2]
	v_sub_nc_u32_e32 v36, 29, v37
	s_delay_alu instid0(VALU_DEP_2)
	v_and_b32_e32 v35, 7, v35
; %bb.387:                              ;   in Loop: Header=BB248_283 Depth=1
	s_wait_alu 0xfffe
	s_or_b32 exec_lo, exec_lo, s28
	v_lshlrev_b32_e32 v37, 8, v10
	v_lshl_add_u32 v36, v36, 10, 0x2000
	v_lshlrev_b32_e32 v35, 7, v35
	s_delay_alu instid0(VALU_DEP_3) | instskip(NEXT) | instid1(VALU_DEP_3)
	v_and_b32_e32 v37, 0x8000, v37
	v_and_b32_e32 v36, 0xfc00, v36
	s_delay_alu instid0(VALU_DEP_1)
	v_or3_b32 v35, v37, v36, v35
.LBB248_388:                            ;   in Loop: Header=BB248_283 Depth=1
	s_or_b32 exec_lo, exec_lo, s27
.LBB248_389:                            ;   in Loop: Header=BB248_283 Depth=1
	s_delay_alu instid0(SALU_CYCLE_1)
	s_or_b32 exec_lo, exec_lo, s26
.LBB248_390:                            ;   in Loop: Header=BB248_283 Depth=1
	s_delay_alu instid0(SALU_CYCLE_1) | instskip(SKIP_3) | instid1(VALU_DEP_2)
	s_or_b32 exec_lo, exec_lo, s25
	v_lshrrev_b16 v1, 8, v1
	v_mov_b32_e32 v36, 0
	s_mov_b32 s25, exec_lo
	v_cmpx_ne_u16_e32 0, v1
	s_cbranch_execz .LBB248_398
; %bb.391:                              ;   in Loop: Header=BB248_283 Depth=1
	v_bfrev_b32_e32 v36, 1
	s_mov_b32 s26, exec_lo
	v_cmpx_ne_u16_e32 0x80, v1
	s_cbranch_execz .LBB248_397
; %bb.392:                              ;   in Loop: Header=BB248_283 Depth=1
	v_and_b32_e32 v37, 0xffff, v1
	v_mov_b32_e32 v36, 0x7c010000
	s_mov_b32 s27, exec_lo
	s_delay_alu instid0(VALU_DEP_2) | instskip(NEXT) | instid1(VALU_DEP_1)
	v_and_b32_e32 v39, 0x7f, v37
	v_cmpx_ne_u32_e32 0x7f, v39
	s_cbranch_execz .LBB248_396
; %bb.393:                              ;   in Loop: Header=BB248_283 Depth=1
	v_and_b32_e32 v36, 7, v37
	v_lshrrev_b32_e32 v38, 3, v39
	s_mov_b32 s28, exec_lo
	v_cmpx_gt_u32_e32 8, v39
; %bb.394:                              ;   in Loop: Header=BB248_283 Depth=1
	s_delay_alu instid0(VALU_DEP_3) | instskip(NEXT) | instid1(VALU_DEP_1)
	v_clz_i32_u32_e32 v36, v36
	v_min_u32_e32 v36, 32, v36
	s_delay_alu instid0(VALU_DEP_1) | instskip(NEXT) | instid1(VALU_DEP_1)
	v_subrev_nc_u32_e32 v38, 28, v36
	v_lshlrev_b64_e32 v[39:40], v38, v[1:2]
	v_sub_nc_u32_e32 v38, 29, v36
	s_delay_alu instid0(VALU_DEP_2)
	v_and_b32_e32 v36, 7, v39
; %bb.395:                              ;   in Loop: Header=BB248_283 Depth=1
	s_wait_alu 0xfffe
	s_or_b32 exec_lo, exec_lo, s28
	v_lshlrev_b32_e32 v1, 8, v37
	v_lshl_add_u32 v37, v38, 10, 0x2000
	v_lshlrev_b32_e32 v36, 23, v36
	s_delay_alu instid0(VALU_DEP_2) | instskip(NEXT) | instid1(VALU_DEP_1)
	v_and_or_b32 v1, 0x8000, v1, v37
	v_lshl_or_b32 v36, v1, 16, v36
.LBB248_396:                            ;   in Loop: Header=BB248_283 Depth=1
	s_or_b32 exec_lo, exec_lo, s27
.LBB248_397:                            ;   in Loop: Header=BB248_283 Depth=1
	s_delay_alu instid0(SALU_CYCLE_1)
	s_or_b32 exec_lo, exec_lo, s26
.LBB248_398:                            ;   in Loop: Header=BB248_283 Depth=1
	s_delay_alu instid0(SALU_CYCLE_1) | instskip(SKIP_2) | instid1(VALU_DEP_1)
	s_or_b32 exec_lo, exec_lo, s25
	v_lshrrev_b32_e32 v1, 16, v10
	s_mov_b32 s25, exec_lo
	v_and_b32_e32 v37, 0xff, v1
	s_delay_alu instid0(VALU_DEP_1)
	v_cmpx_ne_u16_e32 0, v37
	s_cbranch_execz .LBB248_406
; %bb.399:                              ;   in Loop: Header=BB248_283 Depth=1
	v_mov_b32_e32 v34, 0x8000
	s_mov_b32 s26, exec_lo
	v_cmpx_ne_u16_e32 0x80, v37
	s_cbranch_execz .LBB248_405
; %bb.400:                              ;   in Loop: Header=BB248_283 Depth=1
	v_bfe_u32 v38, v10, 16, 7
	v_mov_b32_e32 v34, 0x7c01
	s_mov_b32 s27, exec_lo
	s_delay_alu instid0(VALU_DEP_2)
	v_cmpx_ne_u32_e32 0x7f, v38
	s_cbranch_execz .LBB248_404
; %bb.401:                              ;   in Loop: Header=BB248_283 Depth=1
	v_and_b32_e32 v34, 7, v1
	v_lshrrev_b32_e32 v37, 3, v38
	s_mov_b32 s28, exec_lo
	v_cmpx_gt_u32_e32 8, v38
; %bb.402:                              ;   in Loop: Header=BB248_283 Depth=1
	s_delay_alu instid0(VALU_DEP_3) | instskip(NEXT) | instid1(VALU_DEP_1)
	v_clz_i32_u32_e32 v34, v34
	v_min_u32_e32 v34, 32, v34
	s_delay_alu instid0(VALU_DEP_1) | instskip(NEXT) | instid1(VALU_DEP_1)
	v_subrev_nc_u32_e32 v37, 28, v34
	v_lshlrev_b64_e32 v[38:39], v37, v[1:2]
	v_sub_nc_u32_e32 v37, 29, v34
	s_delay_alu instid0(VALU_DEP_2)
	v_and_b32_e32 v34, 7, v38
; %bb.403:                              ;   in Loop: Header=BB248_283 Depth=1
	s_wait_alu 0xfffe
	s_or_b32 exec_lo, exec_lo, s28
	v_lshlrev_b32_e32 v1, 8, v1
	v_lshl_add_u32 v37, v37, 10, 0x2000
	v_lshlrev_b32_e32 v34, 7, v34
	s_delay_alu instid0(VALU_DEP_3) | instskip(NEXT) | instid1(VALU_DEP_3)
	v_and_b32_e32 v1, 0x8000, v1
	v_and_b32_e32 v37, 0xfc00, v37
	s_delay_alu instid0(VALU_DEP_1)
	v_or3_b32 v34, v1, v37, v34
.LBB248_404:                            ;   in Loop: Header=BB248_283 Depth=1
	s_or_b32 exec_lo, exec_lo, s27
.LBB248_405:                            ;   in Loop: Header=BB248_283 Depth=1
	s_delay_alu instid0(SALU_CYCLE_1)
	s_or_b32 exec_lo, exec_lo, s26
.LBB248_406:                            ;   in Loop: Header=BB248_283 Depth=1
	s_delay_alu instid0(SALU_CYCLE_1)
	s_or_b32 exec_lo, exec_lo, s25
	v_cmp_lt_u64_e64 s1, s[2:3], v[9:10]
	v_mov_b32_e32 v9, 0
	s_and_saveexec_b32 s25, s1
	s_cbranch_execz .LBB248_414
; %bb.407:                              ;   in Loop: Header=BB248_283 Depth=1
	v_lshrrev_b32_e32 v1, 24, v10
	v_bfrev_b32_e32 v9, 1
	s_mov_b32 s26, exec_lo
	s_delay_alu instid0(VALU_DEP_2)
	v_cmpx_ne_u32_e32 0x80, v1
	s_cbranch_execz .LBB248_413
; %bb.408:                              ;   in Loop: Header=BB248_283 Depth=1
	v_and_b32_e32 v37, 0x7f, v1
	v_mov_b32_e32 v9, 0x7c010000
	s_mov_b32 s27, exec_lo
	s_delay_alu instid0(VALU_DEP_2)
	v_cmpx_ne_u32_e32 0x7f, v37
	s_cbranch_execz .LBB248_412
; %bb.409:                              ;   in Loop: Header=BB248_283 Depth=1
	v_and_b32_e32 v9, 7, v1
	v_lshrrev_b32_e32 v10, 3, v37
	s_mov_b32 s28, exec_lo
	v_cmpx_gt_u32_e32 8, v37
; %bb.410:                              ;   in Loop: Header=BB248_283 Depth=1
	s_delay_alu instid0(VALU_DEP_3) | instskip(NEXT) | instid1(VALU_DEP_1)
	v_clz_i32_u32_e32 v9, v9
	v_min_u32_e32 v37, 32, v9
	s_delay_alu instid0(VALU_DEP_1) | instskip(NEXT) | instid1(VALU_DEP_1)
	v_subrev_nc_u32_e32 v9, 28, v37
	v_lshlrev_b64_e32 v[9:10], v9, v[1:2]
	v_sub_nc_u32_e32 v10, 29, v37
	s_delay_alu instid0(VALU_DEP_2)
	v_and_b32_e32 v9, 7, v9
; %bb.411:                              ;   in Loop: Header=BB248_283 Depth=1
	s_wait_alu 0xfffe
	s_or_b32 exec_lo, exec_lo, s28
	v_lshlrev_b32_e32 v1, 8, v1
	v_lshl_add_u32 v10, v10, 10, 0x2000
	v_lshlrev_b32_e32 v9, 23, v9
	s_delay_alu instid0(VALU_DEP_2) | instskip(NEXT) | instid1(VALU_DEP_1)
	v_and_or_b32 v1, 0x8000, v1, v10
	v_lshl_or_b32 v9, v1, 16, v9
.LBB248_412:                            ;   in Loop: Header=BB248_283 Depth=1
	s_or_b32 exec_lo, exec_lo, s27
.LBB248_413:                            ;   in Loop: Header=BB248_283 Depth=1
	s_delay_alu instid0(SALU_CYCLE_1)
	s_or_b32 exec_lo, exec_lo, s26
.LBB248_414:                            ;   in Loop: Header=BB248_283 Depth=1
	s_delay_alu instid0(SALU_CYCLE_1)
	s_or_b32 exec_lo, exec_lo, s25
	v_or_b32_e32 v1, v32, v33
	s_wait_loadcnt 0x0
	v_fma_mixlo_f16 v10, v29, v32, 0 op_sel:[0,1,0] op_sel_hi:[0,1,0]
	v_or_b32_e32 v31, v30, v31
	v_or_b32_e32 v33, v36, v35
	;; [unrolled: 1-line block ×3, first 2 shown]
	v_fma_mixlo_f16 v1, v29, v1, 0 op_sel_hi:[0,1,0]
	v_fma_mixlo_f16 v32, v29, v30, 0 op_sel:[0,1,0] op_sel_hi:[0,1,0]
	v_lshlrev_b32_e32 v30, 16, v10
	v_fma_mixlo_f16 v10, v29, v31, 0 op_sel_hi:[0,1,0]
	v_fma_mixlo_f16 v33, v29, v33, 0 op_sel_hi:[0,1,0]
	v_and_b32_e32 v31, 0xffff, v1
	v_fma_mixlo_f16 v1, v29, v36, 0 op_sel:[0,1,0] op_sel_hi:[0,1,0]
	v_fma_mixlo_f16 v35, v29, v9, 0 op_sel:[0,1,0] op_sel_hi:[0,1,0]
	v_fma_mixlo_f16 v34, v29, v34, 0 op_sel_hi:[0,1,0]
	v_lshlrev_b32_e32 v32, 16, v32
	v_and_b32_e32 v36, 0xffff, v10
	v_lshlrev_b32_e32 v9, 16, v1
	v_and_b32_e32 v29, 0xffff, v33
	;; [unrolled: 2-line block ×3, first 2 shown]
	v_or_b32_e32 v33, v30, v31
	v_or_b32_e32 v37, v32, v36
	;; [unrolled: 1-line block ×3, first 2 shown]
	s_delay_alu instid0(VALU_DEP_4)
	v_or_b32_e32 v34, v1, v10
	s_and_saveexec_b32 s25, s0
	s_cbranch_execz .LBB248_416
; %bb.415:                              ;   in Loop: Header=BB248_283 Depth=1
	v_add_nc_u32_e32 v33, 1, v12
	v_cmp_gt_i32_e64 s1, s34, v12
	v_add_nc_u32_e32 v34, 2, v12
	s_wait_alu 0xf1ff
	s_delay_alu instid0(VALU_DEP_2) | instskip(SKIP_4) | instid1(VALU_DEP_3)
	v_cndmask_b32_e64 v35, 0, v36, s1
	v_cmp_gt_i32_e64 s1, s34, v33
	v_add_nc_u32_e32 v36, 3, v12
	v_add_nc_u32_e32 v33, 4, v12
	s_wait_alu 0xf1ff
	v_cndmask_b32_e64 v32, 0, v32, s1
	v_cmp_gt_i32_e64 s1, s34, v34
	v_add_nc_u32_e32 v34, 5, v12
	s_delay_alu instid0(VALU_DEP_3) | instskip(SKIP_1) | instid1(VALU_DEP_3)
	v_or_b32_e32 v37, v32, v35
	s_wait_alu 0xf1ff
	v_cndmask_b32_e64 v31, 0, v31, s1
	v_cmp_gt_i32_e64 s1, s34, v36
	v_add_nc_u32_e32 v36, 6, v12
	s_wait_alu 0xf1ff
	s_delay_alu instid0(VALU_DEP_2) | instskip(SKIP_3) | instid1(VALU_DEP_2)
	v_cndmask_b32_e64 v30, 0, v30, s1
	v_cmp_gt_i32_e64 s1, s34, v33
	v_add_nc_u32_e32 v33, 7, v12
	s_wait_alu 0xf1ff
	v_cndmask_b32_e64 v29, 0, v29, s1
	v_cmp_gt_i32_e64 s1, s34, v34
	s_wait_alu 0xf1ff
	s_delay_alu instid0(VALU_DEP_1) | instskip(SKIP_1) | instid1(VALU_DEP_2)
	v_cndmask_b32_e64 v9, 0, v9, s1
	v_cmp_gt_i32_e64 s1, s34, v36
	v_or_b32_e32 v35, v9, v29
	s_wait_alu 0xf1ff
	s_delay_alu instid0(VALU_DEP_2) | instskip(SKIP_3) | instid1(VALU_DEP_2)
	v_cndmask_b32_e64 v10, 0, v10, s1
	v_cmp_gt_i32_e64 s1, s34, v33
	v_or_b32_e32 v33, v30, v31
	s_wait_alu 0xf1ff
	v_cndmask_b32_e64 v1, 0, v1, s1
	s_delay_alu instid0(VALU_DEP_1)
	v_or_b32_e32 v34, v1, v10
.LBB248_416:                            ;   in Loop: Header=BB248_283 Depth=1
	s_or_b32 exec_lo, exec_lo, s25
	;;#ASMSTART
	v_pk_mul_f16 v1, v28, v37;

	;;#ASMEND
	;;#ASMSTART
	v_pk_mul_f16 v9, v27, v33;

	;;#ASMEND
	;; [unrolled: 4-line block ×4, first 2 shown]
	;;#ASMSTART
	v_pk_add_f16 v1, v1, v9;

	;;#ASMEND
	;;#ASMSTART
	v_pk_add_f16 v1, v1, v10;

	;;#ASMEND
	;; [unrolled: 4-line block ×3, first 2 shown]
	v_dual_mov_b32 v30, 0 :: v_dual_and_b32 v9, 0xffff, v1
	v_lshrrev_b32_e32 v1, 16, v1
	;;#ASMSTART
	v_cvt_f32_f16 v9, v9;
	;;#ASMEND
	;;#ASMSTART
	v_cvt_f32_f16 v10, v1;
	;;#ASMEND
	global_load_b64 v[7:8], v[7:8], off offset:512
	global_load_b32 v29, v30, s[10:11]
	v_mov_b32_e32 v31, 0
	s_mov_b32 s25, exec_lo
	s_wait_loadcnt 0x1
	v_and_b32_e32 v1, 0xff, v7
	s_delay_alu instid0(VALU_DEP_1)
	v_cmpx_ne_u16_e32 0, v1
	s_cbranch_execz .LBB248_424
; %bb.417:                              ;   in Loop: Header=BB248_283 Depth=1
	v_mov_b32_e32 v31, 0x8000
	s_mov_b32 s26, exec_lo
	v_cmpx_ne_u16_e32 0x80, v1
	s_cbranch_execz .LBB248_423
; %bb.418:                              ;   in Loop: Header=BB248_283 Depth=1
	v_and_b32_e32 v32, 0x7f, v7
	v_mov_b32_e32 v31, 0x7c01
	s_mov_b32 s27, exec_lo
	s_delay_alu instid0(VALU_DEP_2)
	v_cmpx_ne_u32_e32 0x7f, v32
	s_cbranch_execz .LBB248_422
; %bb.419:                              ;   in Loop: Header=BB248_283 Depth=1
	v_and_b32_e32 v1, 7, v7
	v_lshrrev_b32_e32 v31, 3, v32
	s_mov_b32 s28, exec_lo
	v_cmpx_gt_u32_e32 8, v32
; %bb.420:                              ;   in Loop: Header=BB248_283 Depth=1
	s_delay_alu instid0(VALU_DEP_3) | instskip(NEXT) | instid1(VALU_DEP_1)
	v_clz_i32_u32_e32 v1, v1
	v_min_u32_e32 v1, 32, v1
	s_delay_alu instid0(VALU_DEP_1) | instskip(NEXT) | instid1(VALU_DEP_1)
	v_subrev_nc_u32_e32 v31, 28, v1
	v_lshlrev_b64_e32 v[32:33], v31, v[7:8]
	v_sub_nc_u32_e32 v31, 29, v1
	s_delay_alu instid0(VALU_DEP_2)
	v_and_b32_e32 v1, 7, v32
; %bb.421:                              ;   in Loop: Header=BB248_283 Depth=1
	s_wait_alu 0xfffe
	s_or_b32 exec_lo, exec_lo, s28
	v_lshlrev_b32_e32 v32, 8, v7
	v_lshl_add_u32 v31, v31, 10, 0x2000
	v_lshlrev_b32_e32 v1, 7, v1
	s_delay_alu instid0(VALU_DEP_3) | instskip(NEXT) | instid1(VALU_DEP_3)
	v_and_b32_e32 v32, 0x8000, v32
	v_and_b32_e32 v31, 0xfc00, v31
	s_delay_alu instid0(VALU_DEP_1)
	v_or3_b32 v31, v32, v31, v1
.LBB248_422:                            ;   in Loop: Header=BB248_283 Depth=1
	s_or_b32 exec_lo, exec_lo, s27
.LBB248_423:                            ;   in Loop: Header=BB248_283 Depth=1
	s_delay_alu instid0(SALU_CYCLE_1)
	s_or_b32 exec_lo, exec_lo, s26
.LBB248_424:                            ;   in Loop: Header=BB248_283 Depth=1
	s_delay_alu instid0(SALU_CYCLE_1) | instskip(SKIP_2) | instid1(VALU_DEP_1)
	s_or_b32 exec_lo, exec_lo, s25
	v_lshrrev_b16 v1, 8, v7
	s_mov_b32 s25, exec_lo
	v_cmpx_ne_u16_e32 0, v1
	s_cbranch_execz .LBB248_432
; %bb.425:                              ;   in Loop: Header=BB248_283 Depth=1
	v_bfrev_b32_e32 v30, 1
	s_mov_b32 s26, exec_lo
	v_cmpx_ne_u16_e32 0x80, v1
	s_cbranch_execz .LBB248_431
; %bb.426:                              ;   in Loop: Header=BB248_283 Depth=1
	v_and_b32_e32 v32, 0xffff, v1
	v_mov_b32_e32 v30, 0x7c010000
	s_mov_b32 s27, exec_lo
	s_delay_alu instid0(VALU_DEP_2) | instskip(NEXT) | instid1(VALU_DEP_1)
	v_and_b32_e32 v34, 0x7f, v32
	v_cmpx_ne_u32_e32 0x7f, v34
	s_cbranch_execz .LBB248_430
; %bb.427:                              ;   in Loop: Header=BB248_283 Depth=1
	v_and_b32_e32 v30, 7, v32
	v_lshrrev_b32_e32 v33, 3, v34
	s_mov_b32 s28, exec_lo
	v_cmpx_gt_u32_e32 8, v34
; %bb.428:                              ;   in Loop: Header=BB248_283 Depth=1
	s_delay_alu instid0(VALU_DEP_3) | instskip(NEXT) | instid1(VALU_DEP_1)
	v_clz_i32_u32_e32 v30, v30
	v_min_u32_e32 v30, 32, v30
	s_delay_alu instid0(VALU_DEP_1) | instskip(NEXT) | instid1(VALU_DEP_1)
	v_subrev_nc_u32_e32 v33, 28, v30
	v_lshlrev_b64_e32 v[34:35], v33, v[1:2]
	v_sub_nc_u32_e32 v33, 29, v30
	s_delay_alu instid0(VALU_DEP_2)
	v_and_b32_e32 v30, 7, v34
; %bb.429:                              ;   in Loop: Header=BB248_283 Depth=1
	s_wait_alu 0xfffe
	s_or_b32 exec_lo, exec_lo, s28
	v_lshlrev_b32_e32 v1, 8, v32
	v_lshl_add_u32 v32, v33, 10, 0x2000
	v_lshlrev_b32_e32 v30, 23, v30
	s_delay_alu instid0(VALU_DEP_2) | instskip(NEXT) | instid1(VALU_DEP_1)
	v_and_or_b32 v1, 0x8000, v1, v32
	v_lshl_or_b32 v30, v1, 16, v30
.LBB248_430:                            ;   in Loop: Header=BB248_283 Depth=1
	s_or_b32 exec_lo, exec_lo, s27
.LBB248_431:                            ;   in Loop: Header=BB248_283 Depth=1
	s_delay_alu instid0(SALU_CYCLE_1)
	s_or_b32 exec_lo, exec_lo, s26
.LBB248_432:                            ;   in Loop: Header=BB248_283 Depth=1
	s_delay_alu instid0(SALU_CYCLE_1) | instskip(SKIP_3) | instid1(VALU_DEP_2)
	s_or_b32 exec_lo, exec_lo, s25
	v_lshrrev_b32_e32 v1, 16, v7
	v_mov_b32_e32 v32, 0
	s_mov_b32 s25, exec_lo
	v_dual_mov_b32 v33, 0 :: v_dual_and_b32 v34, 0xff, v1
	s_delay_alu instid0(VALU_DEP_1)
	v_cmpx_ne_u16_e32 0, v34
	s_cbranch_execz .LBB248_440
; %bb.433:                              ;   in Loop: Header=BB248_283 Depth=1
	v_mov_b32_e32 v33, 0x8000
	s_mov_b32 s26, exec_lo
	v_cmpx_ne_u16_e32 0x80, v34
	s_cbranch_execz .LBB248_439
; %bb.434:                              ;   in Loop: Header=BB248_283 Depth=1
	v_bfe_u32 v35, v7, 16, 7
	v_mov_b32_e32 v33, 0x7c01
	s_mov_b32 s27, exec_lo
	s_delay_alu instid0(VALU_DEP_2)
	v_cmpx_ne_u32_e32 0x7f, v35
	s_cbranch_execz .LBB248_438
; %bb.435:                              ;   in Loop: Header=BB248_283 Depth=1
	v_and_b32_e32 v33, 7, v1
	v_lshrrev_b32_e32 v34, 3, v35
	s_mov_b32 s28, exec_lo
	v_cmpx_gt_u32_e32 8, v35
; %bb.436:                              ;   in Loop: Header=BB248_283 Depth=1
	s_delay_alu instid0(VALU_DEP_3) | instskip(NEXT) | instid1(VALU_DEP_1)
	v_clz_i32_u32_e32 v33, v33
	v_min_u32_e32 v35, 32, v33
	s_delay_alu instid0(VALU_DEP_1) | instskip(NEXT) | instid1(VALU_DEP_1)
	v_subrev_nc_u32_e32 v33, 28, v35
	v_lshlrev_b64_e32 v[33:34], v33, v[1:2]
	v_sub_nc_u32_e32 v34, 29, v35
	s_delay_alu instid0(VALU_DEP_2)
	v_and_b32_e32 v33, 7, v33
; %bb.437:                              ;   in Loop: Header=BB248_283 Depth=1
	s_wait_alu 0xfffe
	s_or_b32 exec_lo, exec_lo, s28
	v_lshlrev_b32_e32 v1, 8, v1
	v_lshl_add_u32 v34, v34, 10, 0x2000
	v_lshlrev_b32_e32 v33, 7, v33
	s_delay_alu instid0(VALU_DEP_3) | instskip(NEXT) | instid1(VALU_DEP_3)
	v_and_b32_e32 v1, 0x8000, v1
	v_and_b32_e32 v34, 0xfc00, v34
	s_delay_alu instid0(VALU_DEP_1)
	v_or3_b32 v33, v1, v34, v33
.LBB248_438:                            ;   in Loop: Header=BB248_283 Depth=1
	s_or_b32 exec_lo, exec_lo, s27
.LBB248_439:                            ;   in Loop: Header=BB248_283 Depth=1
	s_delay_alu instid0(SALU_CYCLE_1)
	s_or_b32 exec_lo, exec_lo, s26
.LBB248_440:                            ;   in Loop: Header=BB248_283 Depth=1
	s_delay_alu instid0(SALU_CYCLE_1) | instskip(NEXT) | instid1(SALU_CYCLE_1)
	s_or_b32 exec_lo, exec_lo, s25
	s_mov_b32 s25, exec_lo
	v_cmpx_lt_u32_e32 0xffffff, v7
	s_cbranch_execz .LBB248_448
; %bb.441:                              ;   in Loop: Header=BB248_283 Depth=1
	v_lshrrev_b32_e32 v1, 24, v7
	v_bfrev_b32_e32 v32, 1
	s_mov_b32 s26, exec_lo
	s_delay_alu instid0(VALU_DEP_2)
	v_cmpx_ne_u32_e32 0x80, v1
	s_cbranch_execz .LBB248_447
; %bb.442:                              ;   in Loop: Header=BB248_283 Depth=1
	v_and_b32_e32 v35, 0x7f, v1
	v_mov_b32_e32 v32, 0x7c010000
	s_mov_b32 s27, exec_lo
	s_delay_alu instid0(VALU_DEP_2)
	v_cmpx_ne_u32_e32 0x7f, v35
	s_cbranch_execz .LBB248_446
; %bb.443:                              ;   in Loop: Header=BB248_283 Depth=1
	v_and_b32_e32 v32, 7, v1
	v_lshrrev_b32_e32 v34, 3, v35
	s_mov_b32 s28, exec_lo
	v_cmpx_gt_u32_e32 8, v35
; %bb.444:                              ;   in Loop: Header=BB248_283 Depth=1
	s_delay_alu instid0(VALU_DEP_3) | instskip(NEXT) | instid1(VALU_DEP_1)
	v_clz_i32_u32_e32 v32, v32
	v_min_u32_e32 v32, 32, v32
	s_delay_alu instid0(VALU_DEP_1) | instskip(NEXT) | instid1(VALU_DEP_1)
	v_subrev_nc_u32_e32 v34, 28, v32
	v_lshlrev_b64_e32 v[35:36], v34, v[1:2]
	v_sub_nc_u32_e32 v34, 29, v32
	s_delay_alu instid0(VALU_DEP_2)
	v_and_b32_e32 v32, 7, v35
; %bb.445:                              ;   in Loop: Header=BB248_283 Depth=1
	s_wait_alu 0xfffe
	s_or_b32 exec_lo, exec_lo, s28
	v_lshlrev_b32_e32 v1, 8, v1
	v_lshl_add_u32 v34, v34, 10, 0x2000
	v_lshlrev_b32_e32 v32, 23, v32
	s_delay_alu instid0(VALU_DEP_2) | instskip(NEXT) | instid1(VALU_DEP_1)
	v_and_or_b32 v1, 0x8000, v1, v34
	v_lshl_or_b32 v32, v1, 16, v32
.LBB248_446:                            ;   in Loop: Header=BB248_283 Depth=1
	s_or_b32 exec_lo, exec_lo, s27
.LBB248_447:                            ;   in Loop: Header=BB248_283 Depth=1
	s_delay_alu instid0(SALU_CYCLE_1)
	s_or_b32 exec_lo, exec_lo, s26
.LBB248_448:                            ;   in Loop: Header=BB248_283 Depth=1
	s_delay_alu instid0(SALU_CYCLE_1) | instskip(SKIP_3) | instid1(VALU_DEP_2)
	s_or_b32 exec_lo, exec_lo, s25
	v_dual_mov_b32 v1, v8 :: v_dual_and_b32 v36, 0xff, v8
	v_dual_mov_b32 v34, 0 :: v_dual_mov_b32 v35, 0
	s_mov_b32 s25, exec_lo
	v_cmpx_ne_u16_e32 0, v36
	s_cbranch_execz .LBB248_456
; %bb.449:                              ;   in Loop: Header=BB248_283 Depth=1
	v_mov_b32_e32 v35, 0x8000
	s_mov_b32 s26, exec_lo
	v_cmpx_ne_u16_e32 0x80, v36
	s_cbranch_execz .LBB248_455
; %bb.450:                              ;   in Loop: Header=BB248_283 Depth=1
	v_and_b32_e32 v37, 0x7f, v8
	v_mov_b32_e32 v35, 0x7c01
	s_mov_b32 s27, exec_lo
	s_delay_alu instid0(VALU_DEP_2)
	v_cmpx_ne_u32_e32 0x7f, v37
	s_cbranch_execz .LBB248_454
; %bb.451:                              ;   in Loop: Header=BB248_283 Depth=1
	v_and_b32_e32 v35, 7, v8
	v_lshrrev_b32_e32 v36, 3, v37
	s_mov_b32 s28, exec_lo
	v_cmpx_gt_u32_e32 8, v37
; %bb.452:                              ;   in Loop: Header=BB248_283 Depth=1
	s_delay_alu instid0(VALU_DEP_3) | instskip(NEXT) | instid1(VALU_DEP_1)
	v_clz_i32_u32_e32 v35, v35
	v_min_u32_e32 v37, 32, v35
	s_delay_alu instid0(VALU_DEP_1) | instskip(NEXT) | instid1(VALU_DEP_1)
	v_subrev_nc_u32_e32 v35, 28, v37
	v_lshlrev_b64_e32 v[35:36], v35, v[1:2]
	v_sub_nc_u32_e32 v36, 29, v37
	s_delay_alu instid0(VALU_DEP_2)
	v_and_b32_e32 v35, 7, v35
; %bb.453:                              ;   in Loop: Header=BB248_283 Depth=1
	s_wait_alu 0xfffe
	s_or_b32 exec_lo, exec_lo, s28
	v_lshlrev_b32_e32 v37, 8, v8
	v_lshl_add_u32 v36, v36, 10, 0x2000
	v_lshlrev_b32_e32 v35, 7, v35
	s_delay_alu instid0(VALU_DEP_3) | instskip(NEXT) | instid1(VALU_DEP_3)
	v_and_b32_e32 v37, 0x8000, v37
	v_and_b32_e32 v36, 0xfc00, v36
	s_delay_alu instid0(VALU_DEP_1)
	v_or3_b32 v35, v37, v36, v35
.LBB248_454:                            ;   in Loop: Header=BB248_283 Depth=1
	s_or_b32 exec_lo, exec_lo, s27
.LBB248_455:                            ;   in Loop: Header=BB248_283 Depth=1
	s_delay_alu instid0(SALU_CYCLE_1)
	s_or_b32 exec_lo, exec_lo, s26
.LBB248_456:                            ;   in Loop: Header=BB248_283 Depth=1
	s_delay_alu instid0(SALU_CYCLE_1) | instskip(SKIP_3) | instid1(VALU_DEP_2)
	s_or_b32 exec_lo, exec_lo, s25
	v_lshrrev_b16 v1, 8, v1
	v_mov_b32_e32 v36, 0
	s_mov_b32 s25, exec_lo
	v_cmpx_ne_u16_e32 0, v1
	s_cbranch_execz .LBB248_464
; %bb.457:                              ;   in Loop: Header=BB248_283 Depth=1
	v_bfrev_b32_e32 v36, 1
	s_mov_b32 s26, exec_lo
	v_cmpx_ne_u16_e32 0x80, v1
	s_cbranch_execz .LBB248_463
; %bb.458:                              ;   in Loop: Header=BB248_283 Depth=1
	v_and_b32_e32 v37, 0xffff, v1
	v_mov_b32_e32 v36, 0x7c010000
	s_mov_b32 s27, exec_lo
	s_delay_alu instid0(VALU_DEP_2) | instskip(NEXT) | instid1(VALU_DEP_1)
	v_and_b32_e32 v39, 0x7f, v37
	v_cmpx_ne_u32_e32 0x7f, v39
	s_cbranch_execz .LBB248_462
; %bb.459:                              ;   in Loop: Header=BB248_283 Depth=1
	v_and_b32_e32 v36, 7, v37
	v_lshrrev_b32_e32 v38, 3, v39
	s_mov_b32 s28, exec_lo
	v_cmpx_gt_u32_e32 8, v39
; %bb.460:                              ;   in Loop: Header=BB248_283 Depth=1
	s_delay_alu instid0(VALU_DEP_3) | instskip(NEXT) | instid1(VALU_DEP_1)
	v_clz_i32_u32_e32 v36, v36
	v_min_u32_e32 v36, 32, v36
	s_delay_alu instid0(VALU_DEP_1) | instskip(NEXT) | instid1(VALU_DEP_1)
	v_subrev_nc_u32_e32 v38, 28, v36
	v_lshlrev_b64_e32 v[39:40], v38, v[1:2]
	v_sub_nc_u32_e32 v38, 29, v36
	s_delay_alu instid0(VALU_DEP_2)
	v_and_b32_e32 v36, 7, v39
; %bb.461:                              ;   in Loop: Header=BB248_283 Depth=1
	s_wait_alu 0xfffe
	s_or_b32 exec_lo, exec_lo, s28
	v_lshlrev_b32_e32 v1, 8, v37
	v_lshl_add_u32 v37, v38, 10, 0x2000
	v_lshlrev_b32_e32 v36, 23, v36
	s_delay_alu instid0(VALU_DEP_2) | instskip(NEXT) | instid1(VALU_DEP_1)
	v_and_or_b32 v1, 0x8000, v1, v37
	v_lshl_or_b32 v36, v1, 16, v36
.LBB248_462:                            ;   in Loop: Header=BB248_283 Depth=1
	s_or_b32 exec_lo, exec_lo, s27
.LBB248_463:                            ;   in Loop: Header=BB248_283 Depth=1
	s_delay_alu instid0(SALU_CYCLE_1)
	s_or_b32 exec_lo, exec_lo, s26
.LBB248_464:                            ;   in Loop: Header=BB248_283 Depth=1
	s_delay_alu instid0(SALU_CYCLE_1) | instskip(SKIP_2) | instid1(VALU_DEP_1)
	s_or_b32 exec_lo, exec_lo, s25
	v_lshrrev_b32_e32 v1, 16, v8
	s_mov_b32 s25, exec_lo
	v_and_b32_e32 v37, 0xff, v1
	s_delay_alu instid0(VALU_DEP_1)
	v_cmpx_ne_u16_e32 0, v37
	s_cbranch_execz .LBB248_472
; %bb.465:                              ;   in Loop: Header=BB248_283 Depth=1
	v_mov_b32_e32 v34, 0x8000
	s_mov_b32 s26, exec_lo
	v_cmpx_ne_u16_e32 0x80, v37
	s_cbranch_execz .LBB248_471
; %bb.466:                              ;   in Loop: Header=BB248_283 Depth=1
	v_bfe_u32 v38, v8, 16, 7
	v_mov_b32_e32 v34, 0x7c01
	s_mov_b32 s27, exec_lo
	s_delay_alu instid0(VALU_DEP_2)
	v_cmpx_ne_u32_e32 0x7f, v38
	s_cbranch_execz .LBB248_470
; %bb.467:                              ;   in Loop: Header=BB248_283 Depth=1
	v_and_b32_e32 v34, 7, v1
	v_lshrrev_b32_e32 v37, 3, v38
	s_mov_b32 s28, exec_lo
	v_cmpx_gt_u32_e32 8, v38
; %bb.468:                              ;   in Loop: Header=BB248_283 Depth=1
	s_delay_alu instid0(VALU_DEP_3) | instskip(NEXT) | instid1(VALU_DEP_1)
	v_clz_i32_u32_e32 v34, v34
	v_min_u32_e32 v34, 32, v34
	s_delay_alu instid0(VALU_DEP_1) | instskip(NEXT) | instid1(VALU_DEP_1)
	v_subrev_nc_u32_e32 v37, 28, v34
	v_lshlrev_b64_e32 v[38:39], v37, v[1:2]
	v_sub_nc_u32_e32 v37, 29, v34
	s_delay_alu instid0(VALU_DEP_2)
	v_and_b32_e32 v34, 7, v38
; %bb.469:                              ;   in Loop: Header=BB248_283 Depth=1
	s_wait_alu 0xfffe
	s_or_b32 exec_lo, exec_lo, s28
	v_lshlrev_b32_e32 v1, 8, v1
	v_lshl_add_u32 v37, v37, 10, 0x2000
	v_lshlrev_b32_e32 v34, 7, v34
	s_delay_alu instid0(VALU_DEP_3) | instskip(NEXT) | instid1(VALU_DEP_3)
	v_and_b32_e32 v1, 0x8000, v1
	v_and_b32_e32 v37, 0xfc00, v37
	s_delay_alu instid0(VALU_DEP_1)
	v_or3_b32 v34, v1, v37, v34
.LBB248_470:                            ;   in Loop: Header=BB248_283 Depth=1
	s_or_b32 exec_lo, exec_lo, s27
.LBB248_471:                            ;   in Loop: Header=BB248_283 Depth=1
	s_delay_alu instid0(SALU_CYCLE_1)
	s_or_b32 exec_lo, exec_lo, s26
.LBB248_472:                            ;   in Loop: Header=BB248_283 Depth=1
	s_delay_alu instid0(SALU_CYCLE_1)
	s_or_b32 exec_lo, exec_lo, s25
	v_cmp_lt_u64_e64 s1, s[2:3], v[7:8]
	v_mov_b32_e32 v7, 0
	s_and_saveexec_b32 s25, s1
	s_cbranch_execz .LBB248_480
; %bb.473:                              ;   in Loop: Header=BB248_283 Depth=1
	v_lshrrev_b32_e32 v1, 24, v8
	v_bfrev_b32_e32 v7, 1
	s_mov_b32 s26, exec_lo
	s_delay_alu instid0(VALU_DEP_2)
	v_cmpx_ne_u32_e32 0x80, v1
	s_cbranch_execz .LBB248_479
; %bb.474:                              ;   in Loop: Header=BB248_283 Depth=1
	v_and_b32_e32 v37, 0x7f, v1
	v_mov_b32_e32 v7, 0x7c010000
	s_mov_b32 s27, exec_lo
	s_delay_alu instid0(VALU_DEP_2)
	v_cmpx_ne_u32_e32 0x7f, v37
	s_cbranch_execz .LBB248_478
; %bb.475:                              ;   in Loop: Header=BB248_283 Depth=1
	v_and_b32_e32 v7, 7, v1
	v_lshrrev_b32_e32 v8, 3, v37
	s_mov_b32 s28, exec_lo
	v_cmpx_gt_u32_e32 8, v37
; %bb.476:                              ;   in Loop: Header=BB248_283 Depth=1
	s_delay_alu instid0(VALU_DEP_3) | instskip(NEXT) | instid1(VALU_DEP_1)
	v_clz_i32_u32_e32 v7, v7
	v_min_u32_e32 v37, 32, v7
	s_delay_alu instid0(VALU_DEP_1) | instskip(NEXT) | instid1(VALU_DEP_1)
	v_subrev_nc_u32_e32 v7, 28, v37
	v_lshlrev_b64_e32 v[7:8], v7, v[1:2]
	v_sub_nc_u32_e32 v8, 29, v37
	s_delay_alu instid0(VALU_DEP_2)
	v_and_b32_e32 v7, 7, v7
; %bb.477:                              ;   in Loop: Header=BB248_283 Depth=1
	s_wait_alu 0xfffe
	s_or_b32 exec_lo, exec_lo, s28
	v_lshlrev_b32_e32 v1, 8, v1
	v_lshl_add_u32 v8, v8, 10, 0x2000
	v_lshlrev_b32_e32 v7, 23, v7
	s_delay_alu instid0(VALU_DEP_2) | instskip(NEXT) | instid1(VALU_DEP_1)
	v_and_or_b32 v1, 0x8000, v1, v8
	v_lshl_or_b32 v7, v1, 16, v7
.LBB248_478:                            ;   in Loop: Header=BB248_283 Depth=1
	s_or_b32 exec_lo, exec_lo, s27
.LBB248_479:                            ;   in Loop: Header=BB248_283 Depth=1
	s_delay_alu instid0(SALU_CYCLE_1)
	s_or_b32 exec_lo, exec_lo, s26
.LBB248_480:                            ;   in Loop: Header=BB248_283 Depth=1
	s_delay_alu instid0(SALU_CYCLE_1)
	s_or_b32 exec_lo, exec_lo, s25
	v_or_b32_e32 v1, v32, v33
	s_wait_loadcnt 0x0
	v_fma_mixlo_f16 v8, v29, v32, 0 op_sel:[0,1,0] op_sel_hi:[0,1,0]
	v_or_b32_e32 v31, v30, v31
	v_or_b32_e32 v33, v36, v35
	;; [unrolled: 1-line block ×3, first 2 shown]
	v_fma_mixlo_f16 v1, v29, v1, 0 op_sel_hi:[0,1,0]
	v_fma_mixlo_f16 v32, v29, v30, 0 op_sel:[0,1,0] op_sel_hi:[0,1,0]
	v_lshlrev_b32_e32 v30, 16, v8
	v_fma_mixlo_f16 v8, v29, v31, 0 op_sel_hi:[0,1,0]
	v_fma_mixlo_f16 v33, v29, v33, 0 op_sel_hi:[0,1,0]
	v_and_b32_e32 v31, 0xffff, v1
	v_fma_mixlo_f16 v1, v29, v36, 0 op_sel:[0,1,0] op_sel_hi:[0,1,0]
	v_fma_mixlo_f16 v35, v29, v7, 0 op_sel:[0,1,0] op_sel_hi:[0,1,0]
	v_fma_mixlo_f16 v34, v29, v34, 0 op_sel_hi:[0,1,0]
	v_lshlrev_b32_e32 v32, 16, v32
	v_and_b32_e32 v36, 0xffff, v8
	v_lshlrev_b32_e32 v7, 16, v1
	v_and_b32_e32 v29, 0xffff, v33
	;; [unrolled: 2-line block ×3, first 2 shown]
	v_or_b32_e32 v33, v30, v31
	v_or_b32_e32 v37, v32, v36
	;; [unrolled: 1-line block ×3, first 2 shown]
	s_delay_alu instid0(VALU_DEP_4)
	v_or_b32_e32 v34, v1, v8
	s_and_saveexec_b32 s25, s0
	s_cbranch_execz .LBB248_482
; %bb.481:                              ;   in Loop: Header=BB248_283 Depth=1
	v_add_nc_u32_e32 v33, 1, v12
	v_cmp_gt_i32_e64 s1, s34, v12
	v_add_nc_u32_e32 v34, 2, v12
	s_wait_alu 0xf1ff
	s_delay_alu instid0(VALU_DEP_2) | instskip(SKIP_4) | instid1(VALU_DEP_3)
	v_cndmask_b32_e64 v35, 0, v36, s1
	v_cmp_gt_i32_e64 s1, s34, v33
	v_add_nc_u32_e32 v36, 3, v12
	v_add_nc_u32_e32 v33, 4, v12
	s_wait_alu 0xf1ff
	v_cndmask_b32_e64 v32, 0, v32, s1
	v_cmp_gt_i32_e64 s1, s34, v34
	v_add_nc_u32_e32 v34, 5, v12
	s_delay_alu instid0(VALU_DEP_3) | instskip(SKIP_1) | instid1(VALU_DEP_3)
	v_or_b32_e32 v37, v32, v35
	s_wait_alu 0xf1ff
	v_cndmask_b32_e64 v31, 0, v31, s1
	v_cmp_gt_i32_e64 s1, s34, v36
	v_add_nc_u32_e32 v36, 6, v12
	s_wait_alu 0xf1ff
	s_delay_alu instid0(VALU_DEP_2) | instskip(SKIP_3) | instid1(VALU_DEP_2)
	v_cndmask_b32_e64 v30, 0, v30, s1
	v_cmp_gt_i32_e64 s1, s34, v33
	v_add_nc_u32_e32 v33, 7, v12
	s_wait_alu 0xf1ff
	v_cndmask_b32_e64 v29, 0, v29, s1
	v_cmp_gt_i32_e64 s1, s34, v34
	s_wait_alu 0xf1ff
	s_delay_alu instid0(VALU_DEP_1) | instskip(SKIP_1) | instid1(VALU_DEP_2)
	v_cndmask_b32_e64 v7, 0, v7, s1
	v_cmp_gt_i32_e64 s1, s34, v36
	v_or_b32_e32 v35, v7, v29
	s_wait_alu 0xf1ff
	s_delay_alu instid0(VALU_DEP_2) | instskip(SKIP_3) | instid1(VALU_DEP_2)
	v_cndmask_b32_e64 v8, 0, v8, s1
	v_cmp_gt_i32_e64 s1, s34, v33
	v_or_b32_e32 v33, v30, v31
	s_wait_alu 0xf1ff
	v_cndmask_b32_e64 v1, 0, v1, s1
	s_delay_alu instid0(VALU_DEP_1)
	v_or_b32_e32 v34, v1, v8
.LBB248_482:                            ;   in Loop: Header=BB248_283 Depth=1
	s_or_b32 exec_lo, exec_lo, s25
	;;#ASMSTART
	v_pk_mul_f16 v1, v28, v37;

	;;#ASMEND
	;;#ASMSTART
	v_pk_mul_f16 v7, v27, v33;

	;;#ASMEND
	;;#ASMSTART
	v_pk_mul_f16 v8, v26, v35;

	;;#ASMEND
	;;#ASMSTART
	v_pk_mul_f16 v29, v25, v34;

	;;#ASMEND
	;;#ASMSTART
	v_pk_add_f16 v1, v1, v7;

	;;#ASMEND
	;;#ASMSTART
	v_pk_add_f16 v1, v1, v8;

	;;#ASMEND
	;; [unrolled: 4-line block ×3, first 2 shown]
	v_and_b32_e32 v7, 0xffff, v1
	v_lshrrev_b32_e32 v1, 16, v1
	;;#ASMSTART
	v_cvt_f32_f16 v7, v7;
	;;#ASMEND
	;;#ASMSTART
	v_cvt_f32_f16 v8, v1;
	;;#ASMEND
	s_and_saveexec_b32 s25, vcc_lo
	s_cbranch_execz .LBB248_281
; %bb.483:                              ;   in Loop: Header=BB248_283 Depth=1
	v_add_co_u32 v5, s1, v5, v22
	s_wait_alu 0xf1ff
	v_add_co_ci_u32_e64 v6, null, 0, v6, s1
	v_mov_b32_e32 v31, 0
	s_mov_b32 s26, exec_lo
	global_load_b64 v[5:6], v[5:6], off
	s_wait_loadcnt 0x0
	v_dual_mov_b32 v30, 0 :: v_dual_and_b32 v1, 0xff, v5
	global_load_b32 v29, v30, s[10:11]
	v_cmpx_ne_u16_e32 0, v1
	s_cbranch_execz .LBB248_491
; %bb.484:                              ;   in Loop: Header=BB248_283 Depth=1
	v_mov_b32_e32 v31, 0x8000
	s_mov_b32 s27, exec_lo
	v_cmpx_ne_u16_e32 0x80, v1
	s_cbranch_execz .LBB248_490
; %bb.485:                              ;   in Loop: Header=BB248_283 Depth=1
	v_and_b32_e32 v32, 0x7f, v5
	v_mov_b32_e32 v31, 0x7c01
	s_mov_b32 s28, exec_lo
	s_delay_alu instid0(VALU_DEP_2)
	v_cmpx_ne_u32_e32 0x7f, v32
	s_cbranch_execz .LBB248_489
; %bb.486:                              ;   in Loop: Header=BB248_283 Depth=1
	v_and_b32_e32 v1, 7, v5
	v_lshrrev_b32_e32 v31, 3, v32
	s_mov_b32 s29, exec_lo
	v_cmpx_gt_u32_e32 8, v32
; %bb.487:                              ;   in Loop: Header=BB248_283 Depth=1
	s_delay_alu instid0(VALU_DEP_3) | instskip(NEXT) | instid1(VALU_DEP_1)
	v_clz_i32_u32_e32 v1, v1
	v_min_u32_e32 v1, 32, v1
	s_delay_alu instid0(VALU_DEP_1) | instskip(NEXT) | instid1(VALU_DEP_1)
	v_subrev_nc_u32_e32 v31, 28, v1
	v_lshlrev_b64_e32 v[32:33], v31, v[5:6]
	v_sub_nc_u32_e32 v31, 29, v1
	s_delay_alu instid0(VALU_DEP_2)
	v_and_b32_e32 v1, 7, v32
; %bb.488:                              ;   in Loop: Header=BB248_283 Depth=1
	s_wait_alu 0xfffe
	s_or_b32 exec_lo, exec_lo, s29
	v_lshlrev_b32_e32 v32, 8, v5
	v_lshl_add_u32 v31, v31, 10, 0x2000
	v_lshlrev_b32_e32 v1, 7, v1
	s_delay_alu instid0(VALU_DEP_3) | instskip(NEXT) | instid1(VALU_DEP_3)
	v_and_b32_e32 v32, 0x8000, v32
	v_and_b32_e32 v31, 0xfc00, v31
	s_delay_alu instid0(VALU_DEP_1)
	v_or3_b32 v31, v32, v31, v1
.LBB248_489:                            ;   in Loop: Header=BB248_283 Depth=1
	s_wait_alu 0xfffe
	s_or_b32 exec_lo, exec_lo, s28
.LBB248_490:                            ;   in Loop: Header=BB248_283 Depth=1
	s_delay_alu instid0(SALU_CYCLE_1)
	s_or_b32 exec_lo, exec_lo, s27
.LBB248_491:                            ;   in Loop: Header=BB248_283 Depth=1
	s_delay_alu instid0(SALU_CYCLE_1) | instskip(SKIP_2) | instid1(VALU_DEP_1)
	s_or_b32 exec_lo, exec_lo, s26
	v_lshrrev_b16 v1, 8, v5
	s_mov_b32 s26, exec_lo
	v_cmpx_ne_u16_e32 0, v1
	s_cbranch_execz .LBB248_499
; %bb.492:                              ;   in Loop: Header=BB248_283 Depth=1
	v_bfrev_b32_e32 v30, 1
	s_mov_b32 s27, exec_lo
	v_cmpx_ne_u16_e32 0x80, v1
	s_cbranch_execz .LBB248_498
; %bb.493:                              ;   in Loop: Header=BB248_283 Depth=1
	v_and_b32_e32 v32, 0xffff, v1
	v_mov_b32_e32 v30, 0x7c010000
	s_mov_b32 s28, exec_lo
	s_delay_alu instid0(VALU_DEP_2) | instskip(NEXT) | instid1(VALU_DEP_1)
	v_and_b32_e32 v34, 0x7f, v32
	v_cmpx_ne_u32_e32 0x7f, v34
	s_cbranch_execz .LBB248_497
; %bb.494:                              ;   in Loop: Header=BB248_283 Depth=1
	v_and_b32_e32 v30, 7, v32
	v_lshrrev_b32_e32 v33, 3, v34
	s_mov_b32 s29, exec_lo
	v_cmpx_gt_u32_e32 8, v34
; %bb.495:                              ;   in Loop: Header=BB248_283 Depth=1
	s_delay_alu instid0(VALU_DEP_3) | instskip(NEXT) | instid1(VALU_DEP_1)
	v_clz_i32_u32_e32 v30, v30
	v_min_u32_e32 v30, 32, v30
	s_delay_alu instid0(VALU_DEP_1) | instskip(NEXT) | instid1(VALU_DEP_1)
	v_subrev_nc_u32_e32 v33, 28, v30
	v_lshlrev_b64_e32 v[34:35], v33, v[1:2]
	v_sub_nc_u32_e32 v33, 29, v30
	s_delay_alu instid0(VALU_DEP_2)
	v_and_b32_e32 v30, 7, v34
; %bb.496:                              ;   in Loop: Header=BB248_283 Depth=1
	s_wait_alu 0xfffe
	s_or_b32 exec_lo, exec_lo, s29
	v_lshlrev_b32_e32 v1, 8, v32
	v_lshl_add_u32 v32, v33, 10, 0x2000
	v_lshlrev_b32_e32 v30, 23, v30
	s_delay_alu instid0(VALU_DEP_2) | instskip(NEXT) | instid1(VALU_DEP_1)
	v_and_or_b32 v1, 0x8000, v1, v32
	v_lshl_or_b32 v30, v1, 16, v30
.LBB248_497:                            ;   in Loop: Header=BB248_283 Depth=1
	s_wait_alu 0xfffe
	s_or_b32 exec_lo, exec_lo, s28
.LBB248_498:                            ;   in Loop: Header=BB248_283 Depth=1
	s_delay_alu instid0(SALU_CYCLE_1)
	s_or_b32 exec_lo, exec_lo, s27
.LBB248_499:                            ;   in Loop: Header=BB248_283 Depth=1
	s_delay_alu instid0(SALU_CYCLE_1) | instskip(SKIP_3) | instid1(VALU_DEP_2)
	s_or_b32 exec_lo, exec_lo, s26
	v_lshrrev_b32_e32 v1, 16, v5
	v_mov_b32_e32 v32, 0
	s_mov_b32 s26, exec_lo
	v_dual_mov_b32 v33, 0 :: v_dual_and_b32 v34, 0xff, v1
	s_delay_alu instid0(VALU_DEP_1)
	v_cmpx_ne_u16_e32 0, v34
	s_cbranch_execz .LBB248_507
; %bb.500:                              ;   in Loop: Header=BB248_283 Depth=1
	v_mov_b32_e32 v33, 0x8000
	s_mov_b32 s27, exec_lo
	v_cmpx_ne_u16_e32 0x80, v34
	s_cbranch_execz .LBB248_506
; %bb.501:                              ;   in Loop: Header=BB248_283 Depth=1
	v_bfe_u32 v35, v5, 16, 7
	v_mov_b32_e32 v33, 0x7c01
	s_mov_b32 s28, exec_lo
	s_delay_alu instid0(VALU_DEP_2)
	v_cmpx_ne_u32_e32 0x7f, v35
	s_cbranch_execz .LBB248_505
; %bb.502:                              ;   in Loop: Header=BB248_283 Depth=1
	v_and_b32_e32 v33, 7, v1
	v_lshrrev_b32_e32 v34, 3, v35
	s_mov_b32 s29, exec_lo
	v_cmpx_gt_u32_e32 8, v35
; %bb.503:                              ;   in Loop: Header=BB248_283 Depth=1
	s_delay_alu instid0(VALU_DEP_3) | instskip(NEXT) | instid1(VALU_DEP_1)
	v_clz_i32_u32_e32 v33, v33
	v_min_u32_e32 v35, 32, v33
	s_delay_alu instid0(VALU_DEP_1) | instskip(NEXT) | instid1(VALU_DEP_1)
	v_subrev_nc_u32_e32 v33, 28, v35
	v_lshlrev_b64_e32 v[33:34], v33, v[1:2]
	v_sub_nc_u32_e32 v34, 29, v35
	s_delay_alu instid0(VALU_DEP_2)
	v_and_b32_e32 v33, 7, v33
; %bb.504:                              ;   in Loop: Header=BB248_283 Depth=1
	s_wait_alu 0xfffe
	s_or_b32 exec_lo, exec_lo, s29
	v_lshlrev_b32_e32 v1, 8, v1
	v_lshl_add_u32 v34, v34, 10, 0x2000
	v_lshlrev_b32_e32 v33, 7, v33
	s_delay_alu instid0(VALU_DEP_3) | instskip(NEXT) | instid1(VALU_DEP_3)
	v_and_b32_e32 v1, 0x8000, v1
	v_and_b32_e32 v34, 0xfc00, v34
	s_delay_alu instid0(VALU_DEP_1)
	v_or3_b32 v33, v1, v34, v33
.LBB248_505:                            ;   in Loop: Header=BB248_283 Depth=1
	s_wait_alu 0xfffe
	s_or_b32 exec_lo, exec_lo, s28
.LBB248_506:                            ;   in Loop: Header=BB248_283 Depth=1
	s_delay_alu instid0(SALU_CYCLE_1)
	s_or_b32 exec_lo, exec_lo, s27
.LBB248_507:                            ;   in Loop: Header=BB248_283 Depth=1
	s_delay_alu instid0(SALU_CYCLE_1) | instskip(NEXT) | instid1(SALU_CYCLE_1)
	s_or_b32 exec_lo, exec_lo, s26
	s_mov_b32 s26, exec_lo
	v_cmpx_lt_u32_e32 0xffffff, v5
	s_cbranch_execz .LBB248_515
; %bb.508:                              ;   in Loop: Header=BB248_283 Depth=1
	v_lshrrev_b32_e32 v1, 24, v5
	v_bfrev_b32_e32 v32, 1
	s_mov_b32 s27, exec_lo
	s_delay_alu instid0(VALU_DEP_2)
	v_cmpx_ne_u32_e32 0x80, v1
	s_cbranch_execz .LBB248_514
; %bb.509:                              ;   in Loop: Header=BB248_283 Depth=1
	v_and_b32_e32 v35, 0x7f, v1
	v_mov_b32_e32 v32, 0x7c010000
	s_mov_b32 s28, exec_lo
	s_delay_alu instid0(VALU_DEP_2)
	v_cmpx_ne_u32_e32 0x7f, v35
	s_cbranch_execz .LBB248_513
; %bb.510:                              ;   in Loop: Header=BB248_283 Depth=1
	v_and_b32_e32 v32, 7, v1
	v_lshrrev_b32_e32 v34, 3, v35
	s_mov_b32 s29, exec_lo
	v_cmpx_gt_u32_e32 8, v35
; %bb.511:                              ;   in Loop: Header=BB248_283 Depth=1
	s_delay_alu instid0(VALU_DEP_3) | instskip(NEXT) | instid1(VALU_DEP_1)
	v_clz_i32_u32_e32 v32, v32
	v_min_u32_e32 v32, 32, v32
	s_delay_alu instid0(VALU_DEP_1) | instskip(NEXT) | instid1(VALU_DEP_1)
	v_subrev_nc_u32_e32 v34, 28, v32
	v_lshlrev_b64_e32 v[35:36], v34, v[1:2]
	v_sub_nc_u32_e32 v34, 29, v32
	s_delay_alu instid0(VALU_DEP_2)
	v_and_b32_e32 v32, 7, v35
; %bb.512:                              ;   in Loop: Header=BB248_283 Depth=1
	s_wait_alu 0xfffe
	s_or_b32 exec_lo, exec_lo, s29
	v_lshlrev_b32_e32 v1, 8, v1
	v_lshl_add_u32 v34, v34, 10, 0x2000
	v_lshlrev_b32_e32 v32, 23, v32
	s_delay_alu instid0(VALU_DEP_2) | instskip(NEXT) | instid1(VALU_DEP_1)
	v_and_or_b32 v1, 0x8000, v1, v34
	v_lshl_or_b32 v32, v1, 16, v32
.LBB248_513:                            ;   in Loop: Header=BB248_283 Depth=1
	s_wait_alu 0xfffe
	s_or_b32 exec_lo, exec_lo, s28
.LBB248_514:                            ;   in Loop: Header=BB248_283 Depth=1
	s_delay_alu instid0(SALU_CYCLE_1)
	s_or_b32 exec_lo, exec_lo, s27
.LBB248_515:                            ;   in Loop: Header=BB248_283 Depth=1
	s_delay_alu instid0(SALU_CYCLE_1) | instskip(SKIP_3) | instid1(VALU_DEP_2)
	s_or_b32 exec_lo, exec_lo, s26
	v_dual_mov_b32 v1, v6 :: v_dual_and_b32 v36, 0xff, v6
	v_dual_mov_b32 v34, 0 :: v_dual_mov_b32 v35, 0
	s_mov_b32 s26, exec_lo
	v_cmpx_ne_u16_e32 0, v36
	s_cbranch_execz .LBB248_523
; %bb.516:                              ;   in Loop: Header=BB248_283 Depth=1
	v_mov_b32_e32 v35, 0x8000
	s_mov_b32 s27, exec_lo
	v_cmpx_ne_u16_e32 0x80, v36
	s_cbranch_execz .LBB248_522
; %bb.517:                              ;   in Loop: Header=BB248_283 Depth=1
	v_and_b32_e32 v37, 0x7f, v6
	v_mov_b32_e32 v35, 0x7c01
	s_mov_b32 s28, exec_lo
	s_delay_alu instid0(VALU_DEP_2)
	v_cmpx_ne_u32_e32 0x7f, v37
	s_cbranch_execz .LBB248_521
; %bb.518:                              ;   in Loop: Header=BB248_283 Depth=1
	v_and_b32_e32 v35, 7, v6
	v_lshrrev_b32_e32 v36, 3, v37
	s_mov_b32 s29, exec_lo
	v_cmpx_gt_u32_e32 8, v37
; %bb.519:                              ;   in Loop: Header=BB248_283 Depth=1
	s_delay_alu instid0(VALU_DEP_3) | instskip(NEXT) | instid1(VALU_DEP_1)
	v_clz_i32_u32_e32 v35, v35
	v_min_u32_e32 v37, 32, v35
	s_delay_alu instid0(VALU_DEP_1) | instskip(NEXT) | instid1(VALU_DEP_1)
	v_subrev_nc_u32_e32 v35, 28, v37
	v_lshlrev_b64_e32 v[35:36], v35, v[1:2]
	v_sub_nc_u32_e32 v36, 29, v37
	s_delay_alu instid0(VALU_DEP_2)
	v_and_b32_e32 v35, 7, v35
; %bb.520:                              ;   in Loop: Header=BB248_283 Depth=1
	s_wait_alu 0xfffe
	s_or_b32 exec_lo, exec_lo, s29
	v_lshlrev_b32_e32 v37, 8, v6
	v_lshl_add_u32 v36, v36, 10, 0x2000
	v_lshlrev_b32_e32 v35, 7, v35
	s_delay_alu instid0(VALU_DEP_3) | instskip(NEXT) | instid1(VALU_DEP_3)
	v_and_b32_e32 v37, 0x8000, v37
	v_and_b32_e32 v36, 0xfc00, v36
	s_delay_alu instid0(VALU_DEP_1)
	v_or3_b32 v35, v37, v36, v35
.LBB248_521:                            ;   in Loop: Header=BB248_283 Depth=1
	s_wait_alu 0xfffe
	s_or_b32 exec_lo, exec_lo, s28
.LBB248_522:                            ;   in Loop: Header=BB248_283 Depth=1
	s_delay_alu instid0(SALU_CYCLE_1)
	s_or_b32 exec_lo, exec_lo, s27
.LBB248_523:                            ;   in Loop: Header=BB248_283 Depth=1
	s_delay_alu instid0(SALU_CYCLE_1) | instskip(SKIP_3) | instid1(VALU_DEP_2)
	s_or_b32 exec_lo, exec_lo, s26
	v_lshrrev_b16 v1, 8, v1
	v_mov_b32_e32 v36, 0
	s_mov_b32 s26, exec_lo
	v_cmpx_ne_u16_e32 0, v1
	s_cbranch_execz .LBB248_531
; %bb.524:                              ;   in Loop: Header=BB248_283 Depth=1
	v_bfrev_b32_e32 v36, 1
	s_mov_b32 s27, exec_lo
	v_cmpx_ne_u16_e32 0x80, v1
	s_cbranch_execz .LBB248_530
; %bb.525:                              ;   in Loop: Header=BB248_283 Depth=1
	v_and_b32_e32 v37, 0xffff, v1
	v_mov_b32_e32 v36, 0x7c010000
	s_mov_b32 s28, exec_lo
	s_delay_alu instid0(VALU_DEP_2) | instskip(NEXT) | instid1(VALU_DEP_1)
	v_and_b32_e32 v39, 0x7f, v37
	v_cmpx_ne_u32_e32 0x7f, v39
	s_cbranch_execz .LBB248_529
; %bb.526:                              ;   in Loop: Header=BB248_283 Depth=1
	v_and_b32_e32 v36, 7, v37
	v_lshrrev_b32_e32 v38, 3, v39
	s_mov_b32 s29, exec_lo
	v_cmpx_gt_u32_e32 8, v39
; %bb.527:                              ;   in Loop: Header=BB248_283 Depth=1
	s_delay_alu instid0(VALU_DEP_3) | instskip(NEXT) | instid1(VALU_DEP_1)
	v_clz_i32_u32_e32 v36, v36
	v_min_u32_e32 v36, 32, v36
	s_delay_alu instid0(VALU_DEP_1) | instskip(NEXT) | instid1(VALU_DEP_1)
	v_subrev_nc_u32_e32 v38, 28, v36
	v_lshlrev_b64_e32 v[39:40], v38, v[1:2]
	v_sub_nc_u32_e32 v38, 29, v36
	s_delay_alu instid0(VALU_DEP_2)
	v_and_b32_e32 v36, 7, v39
; %bb.528:                              ;   in Loop: Header=BB248_283 Depth=1
	s_wait_alu 0xfffe
	s_or_b32 exec_lo, exec_lo, s29
	v_lshlrev_b32_e32 v1, 8, v37
	v_lshl_add_u32 v37, v38, 10, 0x2000
	v_lshlrev_b32_e32 v36, 23, v36
	s_delay_alu instid0(VALU_DEP_2) | instskip(NEXT) | instid1(VALU_DEP_1)
	v_and_or_b32 v1, 0x8000, v1, v37
	v_lshl_or_b32 v36, v1, 16, v36
.LBB248_529:                            ;   in Loop: Header=BB248_283 Depth=1
	s_wait_alu 0xfffe
	s_or_b32 exec_lo, exec_lo, s28
.LBB248_530:                            ;   in Loop: Header=BB248_283 Depth=1
	s_delay_alu instid0(SALU_CYCLE_1)
	s_or_b32 exec_lo, exec_lo, s27
.LBB248_531:                            ;   in Loop: Header=BB248_283 Depth=1
	s_delay_alu instid0(SALU_CYCLE_1) | instskip(SKIP_2) | instid1(VALU_DEP_1)
	s_or_b32 exec_lo, exec_lo, s26
	v_lshrrev_b32_e32 v1, 16, v6
	s_mov_b32 s26, exec_lo
	v_and_b32_e32 v37, 0xff, v1
	s_delay_alu instid0(VALU_DEP_1)
	v_cmpx_ne_u16_e32 0, v37
	s_cbranch_execz .LBB248_539
; %bb.532:                              ;   in Loop: Header=BB248_283 Depth=1
	v_mov_b32_e32 v34, 0x8000
	s_mov_b32 s27, exec_lo
	v_cmpx_ne_u16_e32 0x80, v37
	s_cbranch_execz .LBB248_538
; %bb.533:                              ;   in Loop: Header=BB248_283 Depth=1
	v_bfe_u32 v38, v6, 16, 7
	v_mov_b32_e32 v34, 0x7c01
	s_mov_b32 s28, exec_lo
	s_delay_alu instid0(VALU_DEP_2)
	v_cmpx_ne_u32_e32 0x7f, v38
	s_cbranch_execz .LBB248_537
; %bb.534:                              ;   in Loop: Header=BB248_283 Depth=1
	v_and_b32_e32 v34, 7, v1
	v_lshrrev_b32_e32 v37, 3, v38
	s_mov_b32 s29, exec_lo
	v_cmpx_gt_u32_e32 8, v38
; %bb.535:                              ;   in Loop: Header=BB248_283 Depth=1
	s_delay_alu instid0(VALU_DEP_3) | instskip(NEXT) | instid1(VALU_DEP_1)
	v_clz_i32_u32_e32 v34, v34
	v_min_u32_e32 v34, 32, v34
	s_delay_alu instid0(VALU_DEP_1) | instskip(NEXT) | instid1(VALU_DEP_1)
	v_subrev_nc_u32_e32 v37, 28, v34
	v_lshlrev_b64_e32 v[38:39], v37, v[1:2]
	v_sub_nc_u32_e32 v37, 29, v34
	s_delay_alu instid0(VALU_DEP_2)
	v_and_b32_e32 v34, 7, v38
; %bb.536:                              ;   in Loop: Header=BB248_283 Depth=1
	s_wait_alu 0xfffe
	s_or_b32 exec_lo, exec_lo, s29
	v_lshlrev_b32_e32 v1, 8, v1
	v_lshl_add_u32 v37, v37, 10, 0x2000
	v_lshlrev_b32_e32 v34, 7, v34
	s_delay_alu instid0(VALU_DEP_3) | instskip(NEXT) | instid1(VALU_DEP_3)
	v_and_b32_e32 v1, 0x8000, v1
	v_and_b32_e32 v37, 0xfc00, v37
	s_delay_alu instid0(VALU_DEP_1)
	v_or3_b32 v34, v1, v37, v34
.LBB248_537:                            ;   in Loop: Header=BB248_283 Depth=1
	s_wait_alu 0xfffe
	s_or_b32 exec_lo, exec_lo, s28
.LBB248_538:                            ;   in Loop: Header=BB248_283 Depth=1
	s_delay_alu instid0(SALU_CYCLE_1)
	s_or_b32 exec_lo, exec_lo, s27
.LBB248_539:                            ;   in Loop: Header=BB248_283 Depth=1
	s_delay_alu instid0(SALU_CYCLE_1)
	s_or_b32 exec_lo, exec_lo, s26
	v_cmp_lt_u64_e64 s1, s[2:3], v[5:6]
	v_mov_b32_e32 v5, 0
	s_and_saveexec_b32 s26, s1
	s_cbranch_execz .LBB248_547
; %bb.540:                              ;   in Loop: Header=BB248_283 Depth=1
	v_lshrrev_b32_e32 v1, 24, v6
	v_bfrev_b32_e32 v5, 1
	s_mov_b32 s27, exec_lo
	s_delay_alu instid0(VALU_DEP_2)
	v_cmpx_ne_u32_e32 0x80, v1
	s_cbranch_execz .LBB248_546
; %bb.541:                              ;   in Loop: Header=BB248_283 Depth=1
	v_and_b32_e32 v37, 0x7f, v1
	v_mov_b32_e32 v5, 0x7c010000
	s_mov_b32 s28, exec_lo
	s_delay_alu instid0(VALU_DEP_2)
	v_cmpx_ne_u32_e32 0x7f, v37
	s_cbranch_execz .LBB248_545
; %bb.542:                              ;   in Loop: Header=BB248_283 Depth=1
	v_and_b32_e32 v5, 7, v1
	v_lshrrev_b32_e32 v6, 3, v37
	s_mov_b32 s29, exec_lo
	v_cmpx_gt_u32_e32 8, v37
; %bb.543:                              ;   in Loop: Header=BB248_283 Depth=1
	s_delay_alu instid0(VALU_DEP_3) | instskip(NEXT) | instid1(VALU_DEP_1)
	v_clz_i32_u32_e32 v5, v5
	v_min_u32_e32 v37, 32, v5
	s_delay_alu instid0(VALU_DEP_1) | instskip(NEXT) | instid1(VALU_DEP_1)
	v_subrev_nc_u32_e32 v5, 28, v37
	v_lshlrev_b64_e32 v[5:6], v5, v[1:2]
	v_sub_nc_u32_e32 v6, 29, v37
	s_delay_alu instid0(VALU_DEP_2)
	v_and_b32_e32 v5, 7, v5
; %bb.544:                              ;   in Loop: Header=BB248_283 Depth=1
	s_wait_alu 0xfffe
	s_or_b32 exec_lo, exec_lo, s29
	v_lshlrev_b32_e32 v1, 8, v1
	v_lshl_add_u32 v6, v6, 10, 0x2000
	v_lshlrev_b32_e32 v5, 23, v5
	s_delay_alu instid0(VALU_DEP_2) | instskip(NEXT) | instid1(VALU_DEP_1)
	v_and_or_b32 v1, 0x8000, v1, v6
	v_lshl_or_b32 v5, v1, 16, v5
.LBB248_545:                            ;   in Loop: Header=BB248_283 Depth=1
	s_wait_alu 0xfffe
	s_or_b32 exec_lo, exec_lo, s28
.LBB248_546:                            ;   in Loop: Header=BB248_283 Depth=1
	s_delay_alu instid0(SALU_CYCLE_1)
	s_or_b32 exec_lo, exec_lo, s27
.LBB248_547:                            ;   in Loop: Header=BB248_283 Depth=1
	s_delay_alu instid0(SALU_CYCLE_1)
	s_or_b32 exec_lo, exec_lo, s26
	v_or_b32_e32 v1, v32, v33
	s_wait_loadcnt 0x0
	v_fma_mixlo_f16 v6, v29, v32, 0 op_sel:[0,1,0] op_sel_hi:[0,1,0]
	v_or_b32_e32 v31, v30, v31
	v_or_b32_e32 v33, v36, v35
	;; [unrolled: 1-line block ×3, first 2 shown]
	v_fma_mixlo_f16 v1, v29, v1, 0 op_sel_hi:[0,1,0]
	v_fma_mixlo_f16 v32, v29, v30, 0 op_sel:[0,1,0] op_sel_hi:[0,1,0]
	v_lshlrev_b32_e32 v30, 16, v6
	v_fma_mixlo_f16 v6, v29, v31, 0 op_sel_hi:[0,1,0]
	v_fma_mixlo_f16 v33, v29, v33, 0 op_sel_hi:[0,1,0]
	v_and_b32_e32 v31, 0xffff, v1
	v_fma_mixlo_f16 v1, v29, v36, 0 op_sel:[0,1,0] op_sel_hi:[0,1,0]
	v_fma_mixlo_f16 v35, v29, v5, 0 op_sel:[0,1,0] op_sel_hi:[0,1,0]
	v_fma_mixlo_f16 v34, v29, v34, 0 op_sel_hi:[0,1,0]
	v_lshlrev_b32_e32 v32, 16, v32
	v_and_b32_e32 v37, 0xffff, v6
	v_lshlrev_b32_e32 v5, 16, v1
	v_and_b32_e32 v29, 0xffff, v33
	;; [unrolled: 2-line block ×3, first 2 shown]
	v_or_b32_e32 v35, v30, v31
	v_or_b32_e32 v36, v32, v37
	;; [unrolled: 1-line block ×3, first 2 shown]
	s_delay_alu instid0(VALU_DEP_4)
	v_or_b32_e32 v33, v1, v6
	s_and_saveexec_b32 s1, s0
	s_cbranch_execz .LBB248_280
; %bb.548:                              ;   in Loop: Header=BB248_283 Depth=1
	v_add_nc_u32_e32 v33, 1, v12
	v_cmp_gt_i32_e64 s0, s34, v12
	v_add_nc_u32_e32 v34, 2, v12
	v_add_nc_u32_e32 v36, 3, v12
	s_wait_alu 0xf1ff
	s_delay_alu instid0(VALU_DEP_3) | instskip(SKIP_3) | instid1(VALU_DEP_2)
	v_cndmask_b32_e64 v35, 0, v37, s0
	v_cmp_gt_i32_e64 s0, s34, v33
	v_add_nc_u32_e32 v33, 4, v12
	s_wait_alu 0xf1ff
	v_cndmask_b32_e64 v32, 0, v32, s0
	v_cmp_gt_i32_e64 s0, s34, v34
	v_add_nc_u32_e32 v34, 5, v12
	s_wait_alu 0xf1ff
	s_delay_alu instid0(VALU_DEP_2) | instskip(SKIP_3) | instid1(VALU_DEP_2)
	v_cndmask_b32_e64 v31, 0, v31, s0
	v_cmp_gt_i32_e64 s0, s34, v36
	v_add_nc_u32_e32 v36, 6, v12
	s_wait_alu 0xf1ff
	v_cndmask_b32_e64 v30, 0, v30, s0
	v_cmp_gt_i32_e64 s0, s34, v33
	v_add_nc_u32_e32 v33, 7, v12
	s_wait_alu 0xf1ff
	s_delay_alu instid0(VALU_DEP_2) | instskip(SKIP_2) | instid1(VALU_DEP_1)
	v_cndmask_b32_e64 v29, 0, v29, s0
	v_cmp_gt_i32_e64 s0, s34, v34
	s_wait_alu 0xf1ff
	v_cndmask_b32_e64 v5, 0, v5, s0
	v_cmp_gt_i32_e64 s0, s34, v36
	v_or_b32_e32 v36, v32, v35
	v_or_b32_e32 v35, v30, v31
	s_delay_alu instid0(VALU_DEP_4) | instskip(SKIP_4) | instid1(VALU_DEP_1)
	v_or_b32_e32 v34, v5, v29
	s_wait_alu 0xf1ff
	v_cndmask_b32_e64 v6, 0, v6, s0
	v_cmp_gt_i32_e64 s0, s34, v33
	s_wait_alu 0xf1ff
	v_cndmask_b32_e64 v1, 0, v1, s0
	s_delay_alu instid0(VALU_DEP_1)
	v_or_b32_e32 v33, v1, v6
	s_branch .LBB248_280
.LBB248_549:
	s_or_b32 exec_lo, exec_lo, s17
.LBB248_550:
	s_wait_alu 0xfffe
	s_or_b32 exec_lo, exec_lo, s6
	s_movk_i32 s0, 0x1e0
	v_and_b32_e32 v1, 0x3c0, v0
	s_wait_alu 0xfffe
	v_mad_u32_u24 v4, v11, s0, 0x110
	v_or_b32_e32 v3, 0x60, v0
	s_mov_b32 s0, exec_lo
	s_wait_loadcnt 0x0
	s_wait_storecnt 0x0
	s_barrier_signal -1
	s_barrier_wait -1
	global_inv scope:SCOPE_SE
	v_cmpx_eq_u32_e32 64, v1
	s_cbranch_execz .LBB248_553
; %bb.551:
	v_add_nc_u32_e32 v1, 0xfffffc40, v4
	v_cmp_gt_u32_e32 vcc_lo, 0x78, v3
	s_delay_alu instid0(VALU_DEP_2)
	v_lshl_add_u32 v2, v14, 2, v1
	ds_store_2addr_b32 v2, v19, v18 offset1:32
	ds_store_b32 v2, v17 offset:256
	s_and_b32 exec_lo, exec_lo, vcc_lo
; %bb.552:
	v_lshl_add_u32 v1, v3, 2, v1
	ds_store_b32 v1, v16
.LBB248_553:
	s_wait_alu 0xfffe
	s_or_b32 exec_lo, exec_lo, s0
	v_lshl_add_u32 v5, v14, 2, v4
	s_mov_b32 s0, exec_lo
	s_wait_loadcnt_dscnt 0x0
	s_barrier_signal -1
	s_barrier_wait -1
	global_inv scope:SCOPE_SE
	v_cmpx_gt_u32_e32 64, v0
	s_cbranch_execz .LBB248_557
; %bb.554:
	v_lshl_or_b32 v1, v0, 2, 0x80
	s_mov_b32 s1, exec_lo
	s_delay_alu instid0(VALU_DEP_1)
	v_add_nc_u32_e32 v6, v4, v1
	ds_load_2addr_stride64_b32 v[1:2], v5 offset1:1
	ds_load_b32 v6, v6
	v_cmpx_gt_u32_e32 0x78, v3
	s_cbranch_execz .LBB248_556
; %bb.555:
	v_lshl_add_u32 v7, v3, 2, v4
	ds_load_b32 v7, v7
	s_wait_dscnt 0x0
	v_add_f32_e32 v16, v16, v7
.LBB248_556:
	s_wait_alu 0xfffe
	s_or_b32 exec_lo, exec_lo, s1
	s_wait_dscnt 0x0
	v_dual_add_f32 v19, v19, v1 :: v_dual_add_f32 v18, v18, v6
	v_add_f32_e32 v17, v17, v2
.LBB248_557:
	s_wait_alu 0xfffe
	s_or_b32 exec_lo, exec_lo, s0
	v_and_b32_e32 v1, 0x3e0, v0
	s_mov_b32 s0, exec_lo
	s_wait_loadcnt 0x0
	s_barrier_signal -1
	s_barrier_wait -1
	global_inv scope:SCOPE_SE
	v_cmpx_eq_u32_e32 32, v1
	s_cbranch_execz .LBB248_560
; %bb.558:
	v_lshl_add_u32 v1, v14, 2, 0x110
	v_cmp_gt_u32_e32 vcc_lo, 0x78, v3
	ds_store_b32 v1, v19
	ds_store_b32 v15, v18
	ds_store_b32 v1, v17 offset:256
	s_and_b32 exec_lo, exec_lo, vcc_lo
; %bb.559:
	v_lshl_add_u32 v1, v3, 2, 0x110
	ds_store_b32 v1, v16
.LBB248_560:
	s_wait_alu 0xfffe
	s_or_b32 exec_lo, exec_lo, s0
	v_cmp_gt_u32_e32 vcc_lo, 32, v0
	s_wait_loadcnt_dscnt 0x0
	s_barrier_signal -1
	s_barrier_wait -1
	global_inv scope:SCOPE_SE
	s_and_saveexec_b32 s1, vcc_lo
	s_cbranch_execz .LBB248_564
; %bb.561:
	v_lshl_add_u32 v6, v0, 2, v4
	s_mov_b32 s2, exec_lo
	ds_load_b32 v4, v5
	ds_load_2addr_b32 v[1:2], v6 offset0:32 offset1:64
	v_cmpx_gt_u32_e32 0x78, v3
	s_cbranch_execz .LBB248_563
; %bb.562:
	ds_load_b32 v5, v6 offset:384
	s_wait_dscnt 0x0
	v_add_f32_e32 v16, v16, v5
.LBB248_563:
	s_wait_alu 0xfffe
	s_or_b32 exec_lo, exec_lo, s2
	s_wait_dscnt 0x0
	v_dual_add_f32 v19, v19, v4 :: v_dual_add_f32 v18, v18, v1
	v_add_f32_e32 v17, v17, v2
.LBB248_564:
	s_wait_alu 0xfffe
	s_or_b32 exec_lo, exec_lo, s1
	s_wait_loadcnt 0x0
	s_barrier_signal -1
	s_barrier_wait -1
	global_inv scope:SCOPE_SE
	s_and_saveexec_b32 s0, vcc_lo
	s_cbranch_execz .LBB248_567
; %bb.565:
	s_mul_i32 s0, s18, 0x78
	s_mul_i32 s2, s12, s20
	s_wait_alu 0xfffe
	s_ashr_i32 s1, s0, 31
	s_ashr_i32 s3, s2, 31
	s_wait_alu 0xfffe
	s_lshl_b64 s[0:1], s[0:1], 1
	s_lshl_b64 s[2:3], s[2:3], 1
	s_wait_alu 0xfffe
	s_add_nc_u64 s[0:1], s[8:9], s[0:1]
	v_lshlrev_b32_e32 v0, 1, v0
	s_mul_i32 s4, s33, 0xf0
	s_wait_alu 0xfffe
	s_add_nc_u64 s[0:1], s[0:1], s[2:3]
	s_mov_b32 s5, 0
	v_cmp_gt_u32_e32 vcc_lo, 0x78, v3
	s_wait_alu 0xfffe
	s_add_nc_u64 s[0:1], s[0:1], s[4:5]
	;;#ASMSTART
	v_cvt_f16_f32 v1, v19;

	;;#ASMEND
	global_store_b16 v0, v1, s[0:1]
	;;#ASMSTART
	v_cvt_f16_f32 v1, v18;

	;;#ASMEND
	global_store_b16 v0, v1, s[0:1] offset:64
	;;#ASMSTART
	v_cvt_f16_f32 v1, v17;

	;;#ASMEND
	global_store_b16 v0, v1, s[0:1] offset:128
	s_and_b32 exec_lo, exec_lo, vcc_lo
	s_cbranch_execz .LBB248_567
; %bb.566:
	s_wait_alu 0xfffe
	v_add_co_u32 v0, s0, s0, v0
	s_wait_alu 0xf1ff
	v_add_co_ci_u32_e64 v1, null, s1, 0, s0
	;;#ASMSTART
	v_cvt_f16_f32 v2, v16;

	;;#ASMEND
	global_store_b16 v[0:1], v2, off offset:192
.LBB248_567:
	s_endpgm
	.section	.rodata,"a",@progbits
	.p2align	6, 0x0
	.amdhsa_kernel _ZN4vllm25paged_attention_v2_kernelIthLi120ELi8ELi128ELNS_18Fp8KVCacheDataTypeE1ELb1ELi512EEEvPfS2_PT_PKS3_PKT0_S9_ifPKiSB_iPKfiiiSD_SD_iiiii
		.amdhsa_group_segment_fixed_size 272
		.amdhsa_private_segment_fixed_size 0
		.amdhsa_kernarg_size 400
		.amdhsa_user_sgpr_count 2
		.amdhsa_user_sgpr_dispatch_ptr 0
		.amdhsa_user_sgpr_queue_ptr 0
		.amdhsa_user_sgpr_kernarg_segment_ptr 1
		.amdhsa_user_sgpr_dispatch_id 0
		.amdhsa_user_sgpr_private_segment_size 0
		.amdhsa_wavefront_size32 1
		.amdhsa_uses_dynamic_stack 0
		.amdhsa_enable_private_segment 0
		.amdhsa_system_sgpr_workgroup_id_x 1
		.amdhsa_system_sgpr_workgroup_id_y 1
		.amdhsa_system_sgpr_workgroup_id_z 1
		.amdhsa_system_sgpr_workgroup_info 0
		.amdhsa_system_vgpr_workitem_id 0
		.amdhsa_next_free_vgpr 76
		.amdhsa_next_free_sgpr 46
		.amdhsa_reserve_vcc 1
		.amdhsa_float_round_mode_32 0
		.amdhsa_float_round_mode_16_64 0
		.amdhsa_float_denorm_mode_32 3
		.amdhsa_float_denorm_mode_16_64 3
		.amdhsa_fp16_overflow 0
		.amdhsa_workgroup_processor_mode 1
		.amdhsa_memory_ordered 1
		.amdhsa_forward_progress 1
		.amdhsa_inst_pref_size 169
		.amdhsa_round_robin_scheduling 0
		.amdhsa_exception_fp_ieee_invalid_op 0
		.amdhsa_exception_fp_denorm_src 0
		.amdhsa_exception_fp_ieee_div_zero 0
		.amdhsa_exception_fp_ieee_overflow 0
		.amdhsa_exception_fp_ieee_underflow 0
		.amdhsa_exception_fp_ieee_inexact 0
		.amdhsa_exception_int_div_zero 0
	.end_amdhsa_kernel
	.section	.text._ZN4vllm25paged_attention_v2_kernelIthLi120ELi8ELi128ELNS_18Fp8KVCacheDataTypeE1ELb1ELi512EEEvPfS2_PT_PKS3_PKT0_S9_ifPKiSB_iPKfiiiSD_SD_iiiii,"axG",@progbits,_ZN4vllm25paged_attention_v2_kernelIthLi120ELi8ELi128ELNS_18Fp8KVCacheDataTypeE1ELb1ELi512EEEvPfS2_PT_PKS3_PKT0_S9_ifPKiSB_iPKfiiiSD_SD_iiiii,comdat
.Lfunc_end248:
	.size	_ZN4vllm25paged_attention_v2_kernelIthLi120ELi8ELi128ELNS_18Fp8KVCacheDataTypeE1ELb1ELi512EEEvPfS2_PT_PKS3_PKT0_S9_ifPKiSB_iPKfiiiSD_SD_iiiii, .Lfunc_end248-_ZN4vllm25paged_attention_v2_kernelIthLi120ELi8ELi128ELNS_18Fp8KVCacheDataTypeE1ELb1ELi512EEEvPfS2_PT_PKS3_PKT0_S9_ifPKiSB_iPKfiiiSD_SD_iiiii
                                        ; -- End function
	.set _ZN4vllm25paged_attention_v2_kernelIthLi120ELi8ELi128ELNS_18Fp8KVCacheDataTypeE1ELb1ELi512EEEvPfS2_PT_PKS3_PKT0_S9_ifPKiSB_iPKfiiiSD_SD_iiiii.num_vgpr, 76
	.set _ZN4vllm25paged_attention_v2_kernelIthLi120ELi8ELi128ELNS_18Fp8KVCacheDataTypeE1ELb1ELi512EEEvPfS2_PT_PKS3_PKT0_S9_ifPKiSB_iPKfiiiSD_SD_iiiii.num_agpr, 0
	.set _ZN4vllm25paged_attention_v2_kernelIthLi120ELi8ELi128ELNS_18Fp8KVCacheDataTypeE1ELb1ELi512EEEvPfS2_PT_PKS3_PKT0_S9_ifPKiSB_iPKfiiiSD_SD_iiiii.numbered_sgpr, 46
	.set _ZN4vllm25paged_attention_v2_kernelIthLi120ELi8ELi128ELNS_18Fp8KVCacheDataTypeE1ELb1ELi512EEEvPfS2_PT_PKS3_PKT0_S9_ifPKiSB_iPKfiiiSD_SD_iiiii.num_named_barrier, 0
	.set _ZN4vllm25paged_attention_v2_kernelIthLi120ELi8ELi128ELNS_18Fp8KVCacheDataTypeE1ELb1ELi512EEEvPfS2_PT_PKS3_PKT0_S9_ifPKiSB_iPKfiiiSD_SD_iiiii.private_seg_size, 0
	.set _ZN4vllm25paged_attention_v2_kernelIthLi120ELi8ELi128ELNS_18Fp8KVCacheDataTypeE1ELb1ELi512EEEvPfS2_PT_PKS3_PKT0_S9_ifPKiSB_iPKfiiiSD_SD_iiiii.uses_vcc, 1
	.set _ZN4vllm25paged_attention_v2_kernelIthLi120ELi8ELi128ELNS_18Fp8KVCacheDataTypeE1ELb1ELi512EEEvPfS2_PT_PKS3_PKT0_S9_ifPKiSB_iPKfiiiSD_SD_iiiii.uses_flat_scratch, 0
	.set _ZN4vllm25paged_attention_v2_kernelIthLi120ELi8ELi128ELNS_18Fp8KVCacheDataTypeE1ELb1ELi512EEEvPfS2_PT_PKS3_PKT0_S9_ifPKiSB_iPKfiiiSD_SD_iiiii.has_dyn_sized_stack, 0
	.set _ZN4vllm25paged_attention_v2_kernelIthLi120ELi8ELi128ELNS_18Fp8KVCacheDataTypeE1ELb1ELi512EEEvPfS2_PT_PKS3_PKT0_S9_ifPKiSB_iPKfiiiSD_SD_iiiii.has_recursion, 0
	.set _ZN4vllm25paged_attention_v2_kernelIthLi120ELi8ELi128ELNS_18Fp8KVCacheDataTypeE1ELb1ELi512EEEvPfS2_PT_PKS3_PKT0_S9_ifPKiSB_iPKfiiiSD_SD_iiiii.has_indirect_call, 0
	.section	.AMDGPU.csdata,"",@progbits
; Kernel info:
; codeLenInByte = 21532
; TotalNumSgprs: 48
; NumVgprs: 76
; ScratchSize: 0
; MemoryBound: 0
; FloatMode: 240
; IeeeMode: 1
; LDSByteSize: 272 bytes/workgroup (compile time only)
; SGPRBlocks: 0
; VGPRBlocks: 9
; NumSGPRsForWavesPerEU: 48
; NumVGPRsForWavesPerEU: 76
; Occupancy: 16
; WaveLimiterHint : 1
; COMPUTE_PGM_RSRC2:SCRATCH_EN: 0
; COMPUTE_PGM_RSRC2:USER_SGPR: 2
; COMPUTE_PGM_RSRC2:TRAP_HANDLER: 0
; COMPUTE_PGM_RSRC2:TGID_X_EN: 1
; COMPUTE_PGM_RSRC2:TGID_Y_EN: 1
; COMPUTE_PGM_RSRC2:TGID_Z_EN: 1
; COMPUTE_PGM_RSRC2:TIDIG_COMP_CNT: 0
	.section	.text._ZN4vllm25paged_attention_v2_kernelIthLi128ELi8ELi128ELNS_18Fp8KVCacheDataTypeE1ELb1ELi512EEEvPfS2_PT_PKS3_PKT0_S9_ifPKiSB_iPKfiiiSD_SD_iiiii,"axG",@progbits,_ZN4vllm25paged_attention_v2_kernelIthLi128ELi8ELi128ELNS_18Fp8KVCacheDataTypeE1ELb1ELi512EEEvPfS2_PT_PKS3_PKT0_S9_ifPKiSB_iPKfiiiSD_SD_iiiii,comdat
	.protected	_ZN4vllm25paged_attention_v2_kernelIthLi128ELi8ELi128ELNS_18Fp8KVCacheDataTypeE1ELb1ELi512EEEvPfS2_PT_PKS3_PKT0_S9_ifPKiSB_iPKfiiiSD_SD_iiiii ; -- Begin function _ZN4vllm25paged_attention_v2_kernelIthLi128ELi8ELi128ELNS_18Fp8KVCacheDataTypeE1ELb1ELi512EEEvPfS2_PT_PKS3_PKT0_S9_ifPKiSB_iPKfiiiSD_SD_iiiii
	.globl	_ZN4vllm25paged_attention_v2_kernelIthLi128ELi8ELi128ELNS_18Fp8KVCacheDataTypeE1ELb1ELi512EEEvPfS2_PT_PKS3_PKT0_S9_ifPKiSB_iPKfiiiSD_SD_iiiii
	.p2align	8
	.type	_ZN4vllm25paged_attention_v2_kernelIthLi128ELi8ELi128ELNS_18Fp8KVCacheDataTypeE1ELb1ELi512EEEvPfS2_PT_PKS3_PKT0_S9_ifPKiSB_iPKfiiiSD_SD_iiiii,@function
_ZN4vllm25paged_attention_v2_kernelIthLi128ELi8ELi128ELNS_18Fp8KVCacheDataTypeE1ELb1ELi512EEEvPfS2_PT_PKS3_PKT0_S9_ifPKiSB_iPKfiiiSD_SD_iiiii: ; @_ZN4vllm25paged_attention_v2_kernelIthLi128ELi8ELi128ELNS_18Fp8KVCacheDataTypeE1ELb1ELi512EEEvPfS2_PT_PKS3_PKT0_S9_ifPKiSB_iPKfiiiSD_SD_iiiii
; %bb.0:
	s_load_b64 s[2:3], s[0:1], 0x40
	s_and_b32 s37, ttmp7, 0xffff
	s_lshr_b32 s33, ttmp7, 16
	s_lshl_b32 s4, s37, 2
	s_lshl_b32 s39, s33, 9
	s_wait_kmcnt 0x0
	s_load_b32 s36, s[2:3], s4 offset:0x0
	s_wait_kmcnt 0x0
	s_cmp_ge_i32 s39, s36
	s_cbranch_scc1 .LBB249_574
; %bb.1:
	s_clause 0x1
	s_load_b32 s38, s[0:1], 0x90
	s_load_b64 s[6:7], s[0:1], 0x30
	s_wait_kmcnt 0x0
	s_abs_i32 s5, s38
	s_abs_i32 s2, s6
	s_delay_alu instid0(SALU_CYCLE_1) | instskip(SKIP_1) | instid1(SALU_CYCLE_2)
	s_cvt_f32_u32 s3, s2
	s_sub_co_i32 s4, 0, s2
	v_rcp_iflag_f32_e32 v1, s3
	s_delay_alu instid0(TRANS32_DEP_1) | instskip(SKIP_2) | instid1(SALU_CYCLE_2)
	v_readfirstlane_b32 s3, v1
	s_mul_f32 s3, s3, 0x4f7ffffe
	s_wait_alu 0xfffe
	s_cvt_u32_f32 s3, s3
	s_wait_alu 0xfffe
	s_delay_alu instid0(SALU_CYCLE_2) | instskip(NEXT) | instid1(SALU_CYCLE_1)
	s_mul_i32 s4, s4, s3
	s_mul_hi_u32 s4, s3, s4
	s_delay_alu instid0(SALU_CYCLE_1)
	s_add_co_i32 s3, s3, s4
	s_xor_b32 s4, s38, s6
	s_wait_alu 0xfffe
	s_mul_hi_u32 s3, s5, s3
	s_ashr_i32 s4, s4, 31
	s_wait_alu 0xfffe
	s_mul_i32 s8, s3, s2
	s_delay_alu instid0(SALU_CYCLE_1)
	s_sub_co_i32 s5, s5, s8
	s_add_co_i32 s8, s3, 1
	s_sub_co_i32 s9, s5, s2
	s_cmp_ge_u32 s5, s2
	s_cselect_b32 s3, s8, s3
	s_cselect_b32 s5, s9, s5
	s_wait_alu 0xfffe
	s_add_co_i32 s8, s3, 1
	s_cmp_ge_u32 s5, s2
	s_mov_b32 s5, 0
	s_cselect_b32 s2, s8, s3
	s_load_b64 s[8:9], s[0:1], 0x50
	s_xor_b32 s2, s2, s4
	s_mov_b32 s18, s5
	s_wait_alu 0xfffe
	s_sub_co_i32 s11, s2, s4
	s_abs_i32 s4, ttmp9
	s_abs_i32 s10, s11
	s_delay_alu instid0(SALU_CYCLE_1) | instskip(SKIP_2) | instid1(SALU_CYCLE_1)
	s_cvt_f32_u32 s2, s10
	s_sub_co_i32 s3, 0, s10
	s_wait_alu 0xfffe
	v_rcp_iflag_f32_e32 v1, s2
	s_delay_alu instid0(TRANS32_DEP_1) | instskip(SKIP_2) | instid1(SALU_CYCLE_2)
	v_readfirstlane_b32 s2, v1
	s_mul_f32 s2, s2, 0x4f7ffffe
	s_wait_alu 0xfffe
	s_cvt_u32_f32 s2, s2
	s_wait_alu 0xfffe
	s_delay_alu instid0(SALU_CYCLE_2)
	s_mul_i32 s3, s3, s2
	s_wait_alu 0xfffe
	s_mul_hi_u32 s3, s2, s3
	s_wait_alu 0xfffe
	s_add_co_i32 s2, s2, s3
	s_mov_b32 s3, s5
	s_wait_kmcnt 0x0
	s_cmp_eq_u64 s[8:9], 0
	s_cbranch_scc1 .LBB249_3
; %bb.2:
	s_mov_b32 s12, ttmp9
	s_ashr_i32 s13, ttmp9, 31
	s_delay_alu instid0(SALU_CYCLE_1) | instskip(NEXT) | instid1(SALU_CYCLE_1)
	s_lshl_b64 s[12:13], s[12:13], 2
	s_add_nc_u64 s[8:9], s[8:9], s[12:13]
	s_load_b32 s18, s[8:9], 0x0
.LBB249_3:
	s_load_b96 s[20:22], s[0:1], 0x58
	s_mul_u64 s[2:3], s[4:5], s[2:3]
	v_and_b32_e32 v1, 3, v0
	v_cmp_gt_u32_e64 s2, 64, v0
	s_ashr_i32 s5, ttmp9, 31
	s_ashr_i32 s8, s11, 31
	s_lshl_b32 s24, ttmp9, 7
	s_wait_alu 0xfffe
	s_and_saveexec_b32 s9, s2
	s_cbranch_execz .LBB249_5
; %bb.4:
	s_load_b64 s[12:13], s[0:1], 0x18
	s_wait_kmcnt 0x0
	s_mul_i32 s14, s20, s37
	s_ashr_i32 s25, s24, 31
	s_ashr_i32 s15, s14, 31
	v_lshlrev_b32_e32 v2, 2, v0
	s_lshl_b64 s[14:15], s[14:15], 1
	v_and_b32_e32 v3, 0x3fc, v0
	s_delay_alu instid0(VALU_DEP_1) | instskip(SKIP_2) | instid1(SALU_CYCLE_1)
	v_lshl_add_u32 v3, v1, 6, v3
	s_add_nc_u64 s[12:13], s[12:13], s[14:15]
	s_lshl_b64 s[14:15], s[24:25], 1
	s_add_nc_u64 s[12:13], s[12:13], s[14:15]
	global_load_b32 v2, v2, s[12:13]
	s_wait_loadcnt 0x0
	ds_store_b32 v3, v2
.LBB249_5:
	s_or_b32 exec_lo, exec_lo, s9
	s_load_b128 s[12:15], s[0:1], 0x78
	s_mul_i32 s9, s3, s10
	s_xor_b32 s5, s5, s8
	s_sub_co_i32 s4, s4, s9
	s_add_co_i32 s8, s3, 1
	s_sub_co_i32 s9, s4, s10
	s_cmp_ge_u32 s4, s10
                                        ; implicit-def: $sgpr25
	s_cselect_b32 s3, s8, s3
	s_cselect_b32 s4, s9, s4
	s_wait_alu 0xfffe
	s_add_co_i32 s8, s3, 1
	s_cmp_ge_u32 s4, s10
	s_mov_b32 s9, -1
	s_cselect_b32 s4, s8, s3
	s_load_b32 s3, s[0:1], 0x88
	s_xor_b32 s4, s4, s5
	s_wait_dscnt 0x0
	s_sub_co_i32 s19, s4, s5
	s_barrier_signal -1
	s_barrier_wait -1
	s_wait_kmcnt 0x0
	s_abs_i32 s20, s15
	global_inv scope:SCOPE_SE
	s_cvt_f32_u32 s8, s20
	s_delay_alu instid0(SALU_CYCLE_3) | instskip(NEXT) | instid1(TRANS32_DEP_1)
	v_rcp_iflag_f32_e32 v2, s8
	v_readfirstlane_b32 s8, v2
	s_mul_f32 s4, s8, 0x4f7ffffe
	s_add_co_i32 s8, s36, -1
	s_delay_alu instid0(SALU_CYCLE_2) | instskip(SKIP_1) | instid1(SALU_CYCLE_2)
	s_cvt_u32_f32 s10, s4
	s_sub_co_i32 s4, 0, s20
	s_mul_i32 s5, s4, s10
	s_wait_alu 0xfffe
	s_abs_i32 s4, s8
	s_mul_hi_u32 s11, s10, s5
	s_mov_b32 s5, 0
	s_add_co_i32 s26, s10, s11
	s_cmp_lt_i32 s3, 0
	s_mov_b32 s27, s5
	s_cbranch_scc0 .LBB249_7
; %bb.6:
	s_mul_i32 s6, s12, s6
	s_mov_b32 s9, s5
	s_add_co_i32 s6, s19, s6
	s_delay_alu instid0(SALU_CYCLE_1) | instskip(NEXT) | instid1(SALU_CYCLE_1)
	s_mul_i32 s6, s6, s3
	s_sub_co_i32 s25, 1, s6
.LBB249_7:
	s_mul_u64 s[16:17], s[4:5], s[26:27]
	s_ashr_i32 s5, s8, 31
	s_wait_alu 0xfffe
	s_and_not1_b32 vcc_lo, exec_lo, s9
	s_ashr_i32 s15, s15, 31
	s_cbranch_vccnz .LBB249_9
; %bb.8:
	s_mul_i32 s6, s38, s12
	s_delay_alu instid0(SALU_CYCLE_1) | instskip(NEXT) | instid1(SALU_CYCLE_1)
	s_add_co_i32 s6, s6, ttmp9
	s_mul_i32 s3, s6, s3
	s_wait_alu 0xfffe
	s_add_co_i32 s25, s3, 1
.LBB249_9:
	s_clause 0x3
	s_load_b32 s3, s[0:1], 0x48
	s_load_b64 s[28:29], s[0:1], 0x38
	s_load_b32 s12, s[0:1], 0x98
	s_load_b128 s[8:11], s[0:1], 0x68
	s_mul_i32 s6, s17, s20
	s_xor_b32 s5, s5, s15
	s_sub_co_i32 s4, s4, s6
	s_add_co_i32 s16, s17, 1
	v_lshrrev_b32_e32 v11, 5, v0
	v_mov_b32_e32 v15, 0xff7fffff
	v_mbcnt_lo_u32_b32 v10, -1, 0
	s_mul_i32 s22, s19, s22
	s_delay_alu instid0(VALU_DEP_3)
	v_lshl_add_u32 v12, v11, 3, s39
	s_wait_kmcnt 0x0
	s_mul_i32 s30, s3, s37
	s_sub_co_i32 s3, s4, s20
	s_ashr_i32 s31, s30, 31
	s_cmp_ge_u32 s4, s20
	s_cselect_b32 s6, s16, s17
	s_wait_alu 0xfffe
	s_cselect_b32 s3, s3, s4
	s_add_co_i32 s4, s6, 1
	s_wait_alu 0xfffe
	s_cmp_ge_u32 s3, s20
	s_cselect_b32 s3, s4, s6
	s_add_co_i32 s4, s36, 7
	s_lshl_b32 s42, s33, 6
	s_ashr_i32 s6, s4, 31
	v_or_b32_e32 v13, s42, v11
	s_lshr_b32 s6, s6, 29
	s_delay_alu instid0(SALU_CYCLE_1)
	s_add_co_i32 s4, s4, s6
	s_add_co_i32 s6, s42, 64
	s_ashr_i32 s40, s4, 3
	s_wait_alu 0xfffe
	s_xor_b32 s4, s3, s5
	s_min_i32 s27, s6, s40
	v_lshlrev_b32_e32 v9, 2, v13
	v_cmp_gt_i32_e64 s3, s27, v13
	s_sub_co_i32 s41, s4, s5
	s_and_saveexec_b32 s16, s3
	s_cbranch_execz .LBB249_277
; %bb.10:
	s_sub_co_i32 s17, s41, s13
	s_ashr_i32 s23, s22, 31
	s_cmp_neq_f32 s18, 0
	s_load_b64 s[44:45], s[0:1], 0x20
	v_bfe_u32 v14, v0, 2, 3
	v_mov_b32_e32 v2, 0
	s_cselect_b32 vcc_lo, -1, 0
	s_abs_i32 s19, s14
	v_dual_mov_b32 v15, 0xff7fffff :: v_dual_lshlrev_b32 v4, 1, v1
	s_cvt_f32_u32 s4, s19
	v_dual_mov_b32 v21, v13 :: v_dual_lshlrev_b32 v16, 6, v1
	v_dual_mov_b32 v20, 0xff7fffff :: v_dual_lshlrev_b32 v5, 2, v14
	s_delay_alu instid0(SALU_CYCLE_1) | instskip(SKIP_2) | instid1(VALU_DEP_3)
	v_rcp_iflag_f32_e32 v3, s4
	v_cmp_eq_u32_e64 s4, 0, v1
	v_lshlrev_b32_e32 v1, 4, v14
	v_lshl_or_b32 v8, v11, 5, v5
	s_lshl_b64 s[46:47], s[30:31], 2
	v_subrev_nc_u32_e32 v7, s36, v14
	s_add_nc_u64 s[46:47], s[28:29], s[46:47]
	s_sub_co_i32 s6, 0, s19
	s_wait_kmcnt 0x0
	s_add_nc_u64 s[44:45], s[44:45], s[22:23]
	v_lshl_add_u32 v17, v11, 3, s39
	v_readfirstlane_b32 s5, v3
	v_add_co_u32 v1, s23, s44, v1
	s_delay_alu instid0(VALU_DEP_1)
	v_add_co_ci_u32_e64 v5, null, s45, 0, s23
	s_mul_f32 s5, s5, 0x4f7ffffe
	v_add_nc_u32_e32 v18, 1, v7
	v_add_nc_u32_e32 v19, 0x120, v8
	s_mov_b32 s34, 0
	s_wait_alu 0xfffe
	s_cvt_u32_f32 s35, s5
	v_add_co_u32 v3, s5, v1, v4
	s_wait_alu 0xf1ff
	v_add_co_ci_u32_e64 v4, null, 0, v5, s5
	v_add_co_u32 v5, s5, s46, v9
	s_mul_i32 s6, s6, s35
	s_wait_alu 0xf1ff
	v_add_co_ci_u32_e64 v6, null, s47, 0, s5
	s_mul_hi_u32 s5, s35, s6
	s_mov_b32 s23, s21
	s_wait_alu 0xfffe
	s_add_co_i32 s35, s35, s5
	s_branch .LBB249_13
.LBB249_11:                             ;   in Loop: Header=BB249_13 Depth=1
	s_wait_alu 0xfffe
	s_or_b32 exec_lo, exec_lo, s43
.LBB249_12:                             ;   in Loop: Header=BB249_13 Depth=1
	s_wait_alu 0xfffe
	s_or_b32 exec_lo, exec_lo, s6
	v_add_nc_u32_e32 v21, 4, v21
	v_add_co_u32 v5, s6, v5, 16
	s_wait_alu 0xf1ff
	v_add_co_ci_u32_e64 v6, null, 0, v6, s6
	s_delay_alu instid0(VALU_DEP_3)
	v_cmp_le_i32_e64 s5, s27, v21
	v_add_nc_u32_e32 v17, 32, v17
	v_add_nc_u32_e32 v19, 0x80, v19
	s_or_b32 s34, s5, s34
	s_wait_alu 0xfffe
	s_and_not1_b32 exec_lo, exec_lo, s34
	s_cbranch_execz .LBB249_276
.LBB249_13:                             ; =>This Inner Loop Header: Depth=1
	v_sub_nc_u32_e32 v1, 0, v17
	s_delay_alu instid0(VALU_DEP_1) | instskip(SKIP_1) | instid1(VALU_DEP_1)
	v_max_i32_e32 v1, v17, v1
	s_wait_dscnt 0x0
	v_mul_hi_u32 v7, v1, s26
	s_delay_alu instid0(VALU_DEP_1) | instskip(NEXT) | instid1(VALU_DEP_1)
	v_mul_lo_u32 v8, v7, s20
	v_sub_nc_u32_e32 v1, v1, v8
	v_add_nc_u32_e32 v8, 1, v7
	s_delay_alu instid0(VALU_DEP_2) | instskip(SKIP_2) | instid1(VALU_DEP_1)
	v_subrev_nc_u32_e32 v22, s20, v1
	v_cmp_le_u32_e64 s5, s20, v1
	s_wait_alu 0xf1ff
	v_cndmask_b32_e64 v7, v7, v8, s5
	s_delay_alu instid0(VALU_DEP_3) | instskip(SKIP_1) | instid1(VALU_DEP_3)
	v_cndmask_b32_e64 v1, v1, v22, s5
	v_ashrrev_i32_e32 v8, 31, v17
	v_add_nc_u32_e32 v22, 1, v7
	s_delay_alu instid0(VALU_DEP_3) | instskip(NEXT) | instid1(VALU_DEP_3)
	v_cmp_le_u32_e64 s5, s20, v1
	v_xor_b32_e32 v8, s15, v8
	s_wait_alu 0xf1ff
	s_delay_alu instid0(VALU_DEP_2) | instskip(NEXT) | instid1(VALU_DEP_1)
	v_cndmask_b32_e64 v1, v7, v22, s5
	v_xor_b32_e32 v1, v1, v8
	s_delay_alu instid0(VALU_DEP_1) | instskip(NEXT) | instid1(VALU_DEP_1)
	v_sub_nc_u32_e32 v1, v1, v8
	v_add_nc_u32_e32 v7, s25, v1
	v_cmp_ge_i32_e64 s6, s17, v1
	s_delay_alu instid0(VALU_DEP_2) | instskip(NEXT) | instid1(VALU_DEP_1)
	v_sub_nc_u32_e32 v8, 0, v7
	v_max_i32_e32 v8, v7, v8
	v_ashrrev_i32_e32 v7, 31, v7
	s_delay_alu instid0(VALU_DEP_2) | instskip(NEXT) | instid1(VALU_DEP_1)
	v_mul_hi_u32 v22, v8, s35
	v_mul_lo_u32 v22, v22, s19
	s_delay_alu instid0(VALU_DEP_1) | instskip(NEXT) | instid1(VALU_DEP_1)
	v_sub_nc_u32_e32 v8, v8, v22
	v_subrev_nc_u32_e32 v22, s19, v8
	v_cmp_le_u32_e64 s5, s19, v8
	s_wait_alu 0xf1ff
	s_delay_alu instid0(VALU_DEP_1) | instskip(NEXT) | instid1(VALU_DEP_1)
	v_cndmask_b32_e64 v8, v8, v22, s5
	v_subrev_nc_u32_e32 v22, s19, v8
	v_cmp_le_u32_e64 s5, s19, v8
	s_wait_alu 0xf1ff
	s_delay_alu instid0(VALU_DEP_1) | instskip(NEXT) | instid1(VALU_DEP_1)
	v_cndmask_b32_e64 v8, v8, v22, s5
	v_xor_b32_e32 v8, v8, v7
	s_delay_alu instid0(VALU_DEP_1) | instskip(NEXT) | instid1(VALU_DEP_1)
	v_sub_nc_u32_e32 v7, v8, v7
	v_cmp_ne_u32_e64 s5, 0, v7
	s_and_b32 s5, s5, s6
	s_wait_alu 0xfffe
	s_and_saveexec_b32 s6, s5
	s_wait_alu 0xfffe
	s_xor_b32 s5, exec_lo, s6
	s_cbranch_execz .LBB249_17
; %bb.14:                               ;   in Loop: Header=BB249_13 Depth=1
	s_and_saveexec_b32 s6, s4
; %bb.15:                               ;   in Loop: Header=BB249_13 Depth=1
	ds_store_b32 v19, v20
; %bb.16:                               ;   in Loop: Header=BB249_13 Depth=1
	s_wait_alu 0xfffe
	s_or_b32 exec_lo, exec_lo, s6
.LBB249_17:                             ;   in Loop: Header=BB249_13 Depth=1
	s_wait_alu 0xfffe
	s_and_not1_saveexec_b32 s6, s5
	s_cbranch_execz .LBB249_12
; %bb.18:                               ;   in Loop: Header=BB249_13 Depth=1
	global_load_b32 v1, v[5:6], off
	s_wait_loadcnt 0x0
	v_mad_co_i64_i32 v[7:8], null, v1, s23, v[3:4]
	global_load_u16 v1, v[7:8], off
	s_wait_loadcnt 0x0
	v_dual_mov_b32 v23, 0 :: v_dual_and_b32 v24, 0xff, v1
	global_load_b32 v22, v23, s[8:9]
	v_and_b32_e32 v1, 0xffff, v1
	v_cmp_ne_u16_e64 s5, 0, v24
	v_mov_b32_e32 v24, 0
	s_and_saveexec_b32 s43, s5
	s_cbranch_execz .LBB249_26
; %bb.19:                               ;   in Loop: Header=BB249_13 Depth=1
	v_and_b32_e32 v24, 0xff, v1
	s_delay_alu instid0(VALU_DEP_1)
	v_cmp_ne_u16_e64 s5, 0x80, v24
	v_mov_b32_e32 v24, 0x8000
	s_and_saveexec_b32 s44, s5
	s_cbranch_execz .LBB249_25
; %bb.20:                               ;   in Loop: Header=BB249_13 Depth=1
	v_and_b32_e32 v26, 0x7f, v1
	v_mov_b32_e32 v24, 0x7c01
	s_mov_b32 s45, exec_lo
	s_delay_alu instid0(VALU_DEP_2)
	v_cmpx_ne_u32_e32 0x7f, v26
	s_cbranch_execz .LBB249_24
; %bb.21:                               ;   in Loop: Header=BB249_13 Depth=1
	v_and_b32_e32 v24, 7, v1
	v_lshrrev_b32_e32 v25, 3, v26
	s_mov_b32 s46, exec_lo
	v_cmpx_gt_u32_e32 8, v26
; %bb.22:                               ;   in Loop: Header=BB249_13 Depth=1
	s_delay_alu instid0(VALU_DEP_3) | instskip(NEXT) | instid1(VALU_DEP_1)
	v_clz_i32_u32_e32 v24, v24
	v_min_u32_e32 v26, 32, v24
	s_delay_alu instid0(VALU_DEP_1) | instskip(NEXT) | instid1(VALU_DEP_1)
	v_subrev_nc_u32_e32 v24, 28, v26
	v_lshlrev_b64_e32 v[24:25], v24, v[1:2]
	v_sub_nc_u32_e32 v25, 29, v26
	s_delay_alu instid0(VALU_DEP_2)
	v_and_b32_e32 v24, 7, v24
; %bb.23:                               ;   in Loop: Header=BB249_13 Depth=1
	s_wait_alu 0xfffe
	s_or_b32 exec_lo, exec_lo, s46
	v_lshlrev_b32_e32 v26, 8, v1
	v_lshl_add_u32 v25, v25, 10, 0x2000
	v_lshlrev_b32_e32 v24, 7, v24
	s_delay_alu instid0(VALU_DEP_3) | instskip(NEXT) | instid1(VALU_DEP_3)
	v_and_b32_e32 v26, 0x8000, v26
	v_and_b32_e32 v25, 0xfc00, v25
	s_delay_alu instid0(VALU_DEP_1)
	v_or3_b32 v24, v26, v25, v24
.LBB249_24:                             ;   in Loop: Header=BB249_13 Depth=1
	s_wait_alu 0xfffe
	s_or_b32 exec_lo, exec_lo, s45
.LBB249_25:                             ;   in Loop: Header=BB249_13 Depth=1
	s_wait_alu 0xfffe
	s_or_b32 exec_lo, exec_lo, s44
.LBB249_26:                             ;   in Loop: Header=BB249_13 Depth=1
	s_wait_alu 0xfffe
	s_or_b32 exec_lo, exec_lo, s43
	v_lshrrev_b16 v1, 8, v1
	s_mov_b32 s43, exec_lo
	s_delay_alu instid0(VALU_DEP_1)
	v_cmpx_ne_u16_e32 0, v1
	s_cbranch_execz .LBB249_34
; %bb.27:                               ;   in Loop: Header=BB249_13 Depth=1
	v_bfrev_b32_e32 v23, 1
	s_mov_b32 s44, exec_lo
	v_cmpx_ne_u16_e32 0x80, v1
	s_cbranch_execz .LBB249_33
; %bb.28:                               ;   in Loop: Header=BB249_13 Depth=1
	v_and_b32_e32 v25, 0xffff, v1
	v_mov_b32_e32 v23, 0x7c010000
	s_mov_b32 s45, exec_lo
	s_delay_alu instid0(VALU_DEP_2) | instskip(NEXT) | instid1(VALU_DEP_1)
	v_and_b32_e32 v27, 0x7f, v25
	v_cmpx_ne_u32_e32 0x7f, v27
	s_cbranch_execz .LBB249_32
; %bb.29:                               ;   in Loop: Header=BB249_13 Depth=1
	v_and_b32_e32 v23, 7, v25
	v_lshrrev_b32_e32 v26, 3, v27
	s_mov_b32 s46, exec_lo
	v_cmpx_gt_u32_e32 8, v27
; %bb.30:                               ;   in Loop: Header=BB249_13 Depth=1
	s_delay_alu instid0(VALU_DEP_3) | instskip(NEXT) | instid1(VALU_DEP_1)
	v_clz_i32_u32_e32 v23, v23
	v_min_u32_e32 v23, 32, v23
	s_delay_alu instid0(VALU_DEP_1) | instskip(NEXT) | instid1(VALU_DEP_1)
	v_subrev_nc_u32_e32 v26, 28, v23
	v_lshlrev_b64_e32 v[27:28], v26, v[1:2]
	v_sub_nc_u32_e32 v26, 29, v23
	s_delay_alu instid0(VALU_DEP_2)
	v_and_b32_e32 v23, 7, v27
; %bb.31:                               ;   in Loop: Header=BB249_13 Depth=1
	s_wait_alu 0xfffe
	s_or_b32 exec_lo, exec_lo, s46
	v_lshlrev_b32_e32 v1, 8, v25
	v_lshl_add_u32 v25, v26, 10, 0x2000
	v_lshlrev_b32_e32 v23, 23, v23
	s_delay_alu instid0(VALU_DEP_2) | instskip(NEXT) | instid1(VALU_DEP_1)
	v_and_or_b32 v1, 0x8000, v1, v25
	v_lshl_or_b32 v23, v1, 16, v23
.LBB249_32:                             ;   in Loop: Header=BB249_13 Depth=1
	s_wait_alu 0xfffe
	s_or_b32 exec_lo, exec_lo, s45
.LBB249_33:                             ;   in Loop: Header=BB249_13 Depth=1
	s_wait_alu 0xfffe
	s_or_b32 exec_lo, exec_lo, s44
.LBB249_34:                             ;   in Loop: Header=BB249_13 Depth=1
	s_wait_alu 0xfffe
	s_or_b32 exec_lo, exec_lo, s43
	global_load_u16 v1, v[7:8], off offset:8
	s_wait_loadcnt 0x0
	v_dual_mov_b32 v25, 0 :: v_dual_and_b32 v26, 0xff, v1
	v_and_b32_e32 v1, 0xffff, v1
	s_delay_alu instid0(VALU_DEP_2)
	v_cmp_ne_u16_e64 s5, 0, v26
	v_mov_b32_e32 v26, 0
	s_and_saveexec_b32 s43, s5
	s_cbranch_execz .LBB249_42
; %bb.35:                               ;   in Loop: Header=BB249_13 Depth=1
	v_and_b32_e32 v26, 0xff, v1
	s_delay_alu instid0(VALU_DEP_1)
	v_cmp_ne_u16_e64 s5, 0x80, v26
	v_mov_b32_e32 v26, 0x8000
	s_and_saveexec_b32 s44, s5
	s_cbranch_execz .LBB249_41
; %bb.36:                               ;   in Loop: Header=BB249_13 Depth=1
	v_and_b32_e32 v28, 0x7f, v1
	v_mov_b32_e32 v26, 0x7c01
	s_mov_b32 s45, exec_lo
	s_delay_alu instid0(VALU_DEP_2)
	v_cmpx_ne_u32_e32 0x7f, v28
	s_cbranch_execz .LBB249_40
; %bb.37:                               ;   in Loop: Header=BB249_13 Depth=1
	v_and_b32_e32 v26, 7, v1
	v_lshrrev_b32_e32 v27, 3, v28
	s_mov_b32 s46, exec_lo
	v_cmpx_gt_u32_e32 8, v28
; %bb.38:                               ;   in Loop: Header=BB249_13 Depth=1
	s_delay_alu instid0(VALU_DEP_3) | instskip(NEXT) | instid1(VALU_DEP_1)
	v_clz_i32_u32_e32 v26, v26
	v_min_u32_e32 v28, 32, v26
	s_delay_alu instid0(VALU_DEP_1) | instskip(NEXT) | instid1(VALU_DEP_1)
	v_subrev_nc_u32_e32 v26, 28, v28
	v_lshlrev_b64_e32 v[26:27], v26, v[1:2]
	v_sub_nc_u32_e32 v27, 29, v28
	s_delay_alu instid0(VALU_DEP_2)
	v_and_b32_e32 v26, 7, v26
; %bb.39:                               ;   in Loop: Header=BB249_13 Depth=1
	s_wait_alu 0xfffe
	s_or_b32 exec_lo, exec_lo, s46
	v_lshlrev_b32_e32 v28, 8, v1
	v_lshl_add_u32 v27, v27, 10, 0x2000
	v_lshlrev_b32_e32 v26, 7, v26
	s_delay_alu instid0(VALU_DEP_3) | instskip(NEXT) | instid1(VALU_DEP_3)
	v_and_b32_e32 v28, 0x8000, v28
	v_and_b32_e32 v27, 0xfc00, v27
	s_delay_alu instid0(VALU_DEP_1)
	v_or3_b32 v26, v28, v27, v26
.LBB249_40:                             ;   in Loop: Header=BB249_13 Depth=1
	s_wait_alu 0xfffe
	s_or_b32 exec_lo, exec_lo, s45
.LBB249_41:                             ;   in Loop: Header=BB249_13 Depth=1
	s_wait_alu 0xfffe
	s_or_b32 exec_lo, exec_lo, s44
.LBB249_42:                             ;   in Loop: Header=BB249_13 Depth=1
	s_wait_alu 0xfffe
	s_or_b32 exec_lo, exec_lo, s43
	v_lshrrev_b16 v1, 8, v1
	s_mov_b32 s43, exec_lo
	s_delay_alu instid0(VALU_DEP_1)
	v_cmpx_ne_u16_e32 0, v1
	s_cbranch_execz .LBB249_50
; %bb.43:                               ;   in Loop: Header=BB249_13 Depth=1
	v_bfrev_b32_e32 v25, 1
	s_mov_b32 s44, exec_lo
	v_cmpx_ne_u16_e32 0x80, v1
	s_cbranch_execz .LBB249_49
; %bb.44:                               ;   in Loop: Header=BB249_13 Depth=1
	v_and_b32_e32 v27, 0xffff, v1
	v_mov_b32_e32 v25, 0x7c010000
	s_mov_b32 s45, exec_lo
	s_delay_alu instid0(VALU_DEP_2) | instskip(NEXT) | instid1(VALU_DEP_1)
	v_and_b32_e32 v29, 0x7f, v27
	v_cmpx_ne_u32_e32 0x7f, v29
	s_cbranch_execz .LBB249_48
; %bb.45:                               ;   in Loop: Header=BB249_13 Depth=1
	v_and_b32_e32 v25, 7, v27
	v_lshrrev_b32_e32 v28, 3, v29
	s_mov_b32 s46, exec_lo
	v_cmpx_gt_u32_e32 8, v29
; %bb.46:                               ;   in Loop: Header=BB249_13 Depth=1
	s_delay_alu instid0(VALU_DEP_3) | instskip(NEXT) | instid1(VALU_DEP_1)
	v_clz_i32_u32_e32 v25, v25
	v_min_u32_e32 v25, 32, v25
	s_delay_alu instid0(VALU_DEP_1) | instskip(NEXT) | instid1(VALU_DEP_1)
	v_subrev_nc_u32_e32 v28, 28, v25
	v_lshlrev_b64_e32 v[29:30], v28, v[1:2]
	v_sub_nc_u32_e32 v28, 29, v25
	s_delay_alu instid0(VALU_DEP_2)
	v_and_b32_e32 v25, 7, v29
; %bb.47:                               ;   in Loop: Header=BB249_13 Depth=1
	s_wait_alu 0xfffe
	s_or_b32 exec_lo, exec_lo, s46
	v_lshlrev_b32_e32 v1, 8, v27
	v_lshl_add_u32 v27, v28, 10, 0x2000
	v_lshlrev_b32_e32 v25, 23, v25
	s_delay_alu instid0(VALU_DEP_2) | instskip(NEXT) | instid1(VALU_DEP_1)
	v_and_or_b32 v1, 0x8000, v1, v27
	v_lshl_or_b32 v25, v1, 16, v25
.LBB249_48:                             ;   in Loop: Header=BB249_13 Depth=1
	s_wait_alu 0xfffe
	s_or_b32 exec_lo, exec_lo, s45
.LBB249_49:                             ;   in Loop: Header=BB249_13 Depth=1
	s_wait_alu 0xfffe
	s_or_b32 exec_lo, exec_lo, s44
.LBB249_50:                             ;   in Loop: Header=BB249_13 Depth=1
	s_wait_alu 0xfffe
	s_or_b32 exec_lo, exec_lo, s43
	global_load_u16 v1, v[7:8], off offset:128
	s_wait_loadcnt 0x0
	v_dual_mov_b32 v27, 0 :: v_dual_and_b32 v28, 0xff, v1
	v_and_b32_e32 v1, 0xffff, v1
	s_delay_alu instid0(VALU_DEP_2)
	v_cmp_ne_u16_e64 s5, 0, v28
	v_mov_b32_e32 v28, 0
	s_and_saveexec_b32 s43, s5
	s_cbranch_execz .LBB249_58
; %bb.51:                               ;   in Loop: Header=BB249_13 Depth=1
	v_and_b32_e32 v28, 0xff, v1
	s_delay_alu instid0(VALU_DEP_1)
	v_cmp_ne_u16_e64 s5, 0x80, v28
	v_mov_b32_e32 v28, 0x8000
	s_and_saveexec_b32 s44, s5
	s_cbranch_execz .LBB249_57
; %bb.52:                               ;   in Loop: Header=BB249_13 Depth=1
	v_and_b32_e32 v30, 0x7f, v1
	v_mov_b32_e32 v28, 0x7c01
	s_mov_b32 s45, exec_lo
	s_delay_alu instid0(VALU_DEP_2)
	v_cmpx_ne_u32_e32 0x7f, v30
	s_cbranch_execz .LBB249_56
; %bb.53:                               ;   in Loop: Header=BB249_13 Depth=1
	v_and_b32_e32 v28, 7, v1
	v_lshrrev_b32_e32 v29, 3, v30
	s_mov_b32 s46, exec_lo
	v_cmpx_gt_u32_e32 8, v30
; %bb.54:                               ;   in Loop: Header=BB249_13 Depth=1
	s_delay_alu instid0(VALU_DEP_3) | instskip(NEXT) | instid1(VALU_DEP_1)
	v_clz_i32_u32_e32 v28, v28
	v_min_u32_e32 v30, 32, v28
	s_delay_alu instid0(VALU_DEP_1) | instskip(NEXT) | instid1(VALU_DEP_1)
	v_subrev_nc_u32_e32 v28, 28, v30
	v_lshlrev_b64_e32 v[28:29], v28, v[1:2]
	v_sub_nc_u32_e32 v29, 29, v30
	s_delay_alu instid0(VALU_DEP_2)
	v_and_b32_e32 v28, 7, v28
; %bb.55:                               ;   in Loop: Header=BB249_13 Depth=1
	s_wait_alu 0xfffe
	s_or_b32 exec_lo, exec_lo, s46
	v_lshlrev_b32_e32 v30, 8, v1
	v_lshl_add_u32 v29, v29, 10, 0x2000
	v_lshlrev_b32_e32 v28, 7, v28
	s_delay_alu instid0(VALU_DEP_3) | instskip(NEXT) | instid1(VALU_DEP_3)
	v_and_b32_e32 v30, 0x8000, v30
	v_and_b32_e32 v29, 0xfc00, v29
	s_delay_alu instid0(VALU_DEP_1)
	v_or3_b32 v28, v30, v29, v28
.LBB249_56:                             ;   in Loop: Header=BB249_13 Depth=1
	s_wait_alu 0xfffe
	s_or_b32 exec_lo, exec_lo, s45
.LBB249_57:                             ;   in Loop: Header=BB249_13 Depth=1
	s_wait_alu 0xfffe
	s_or_b32 exec_lo, exec_lo, s44
.LBB249_58:                             ;   in Loop: Header=BB249_13 Depth=1
	s_wait_alu 0xfffe
	s_or_b32 exec_lo, exec_lo, s43
	v_lshrrev_b16 v1, 8, v1
	s_mov_b32 s43, exec_lo
	s_delay_alu instid0(VALU_DEP_1)
	v_cmpx_ne_u16_e32 0, v1
	s_cbranch_execz .LBB249_66
; %bb.59:                               ;   in Loop: Header=BB249_13 Depth=1
	v_bfrev_b32_e32 v27, 1
	s_mov_b32 s44, exec_lo
	v_cmpx_ne_u16_e32 0x80, v1
	s_cbranch_execz .LBB249_65
; %bb.60:                               ;   in Loop: Header=BB249_13 Depth=1
	v_and_b32_e32 v29, 0xffff, v1
	v_mov_b32_e32 v27, 0x7c010000
	s_mov_b32 s45, exec_lo
	s_delay_alu instid0(VALU_DEP_2) | instskip(NEXT) | instid1(VALU_DEP_1)
	v_and_b32_e32 v31, 0x7f, v29
	v_cmpx_ne_u32_e32 0x7f, v31
	s_cbranch_execz .LBB249_64
; %bb.61:                               ;   in Loop: Header=BB249_13 Depth=1
	v_and_b32_e32 v27, 7, v29
	v_lshrrev_b32_e32 v30, 3, v31
	s_mov_b32 s46, exec_lo
	v_cmpx_gt_u32_e32 8, v31
; %bb.62:                               ;   in Loop: Header=BB249_13 Depth=1
	s_delay_alu instid0(VALU_DEP_3) | instskip(NEXT) | instid1(VALU_DEP_1)
	v_clz_i32_u32_e32 v27, v27
	v_min_u32_e32 v27, 32, v27
	s_delay_alu instid0(VALU_DEP_1) | instskip(NEXT) | instid1(VALU_DEP_1)
	v_subrev_nc_u32_e32 v30, 28, v27
	v_lshlrev_b64_e32 v[31:32], v30, v[1:2]
	v_sub_nc_u32_e32 v30, 29, v27
	s_delay_alu instid0(VALU_DEP_2)
	v_and_b32_e32 v27, 7, v31
; %bb.63:                               ;   in Loop: Header=BB249_13 Depth=1
	s_wait_alu 0xfffe
	s_or_b32 exec_lo, exec_lo, s46
	v_lshlrev_b32_e32 v1, 8, v29
	v_lshl_add_u32 v29, v30, 10, 0x2000
	v_lshlrev_b32_e32 v27, 23, v27
	s_delay_alu instid0(VALU_DEP_2) | instskip(NEXT) | instid1(VALU_DEP_1)
	v_and_or_b32 v1, 0x8000, v1, v29
	v_lshl_or_b32 v27, v1, 16, v27
.LBB249_64:                             ;   in Loop: Header=BB249_13 Depth=1
	s_wait_alu 0xfffe
	s_or_b32 exec_lo, exec_lo, s45
.LBB249_65:                             ;   in Loop: Header=BB249_13 Depth=1
	s_wait_alu 0xfffe
	s_or_b32 exec_lo, exec_lo, s44
.LBB249_66:                             ;   in Loop: Header=BB249_13 Depth=1
	s_wait_alu 0xfffe
	s_or_b32 exec_lo, exec_lo, s43
	global_load_u16 v1, v[7:8], off offset:136
	s_wait_loadcnt 0x0
	v_dual_mov_b32 v29, 0 :: v_dual_and_b32 v30, 0xff, v1
	v_and_b32_e32 v1, 0xffff, v1
	s_delay_alu instid0(VALU_DEP_2)
	v_cmp_ne_u16_e64 s5, 0, v30
	v_mov_b32_e32 v30, 0
	s_and_saveexec_b32 s43, s5
	s_cbranch_execz .LBB249_74
; %bb.67:                               ;   in Loop: Header=BB249_13 Depth=1
	v_and_b32_e32 v30, 0xff, v1
	s_delay_alu instid0(VALU_DEP_1)
	v_cmp_ne_u16_e64 s5, 0x80, v30
	v_mov_b32_e32 v30, 0x8000
	s_and_saveexec_b32 s44, s5
	s_cbranch_execz .LBB249_73
; %bb.68:                               ;   in Loop: Header=BB249_13 Depth=1
	v_and_b32_e32 v32, 0x7f, v1
	v_mov_b32_e32 v30, 0x7c01
	s_mov_b32 s45, exec_lo
	s_delay_alu instid0(VALU_DEP_2)
	v_cmpx_ne_u32_e32 0x7f, v32
	s_cbranch_execz .LBB249_72
; %bb.69:                               ;   in Loop: Header=BB249_13 Depth=1
	v_and_b32_e32 v30, 7, v1
	v_lshrrev_b32_e32 v31, 3, v32
	s_mov_b32 s46, exec_lo
	v_cmpx_gt_u32_e32 8, v32
; %bb.70:                               ;   in Loop: Header=BB249_13 Depth=1
	s_delay_alu instid0(VALU_DEP_3) | instskip(NEXT) | instid1(VALU_DEP_1)
	v_clz_i32_u32_e32 v30, v30
	v_min_u32_e32 v32, 32, v30
	s_delay_alu instid0(VALU_DEP_1) | instskip(NEXT) | instid1(VALU_DEP_1)
	v_subrev_nc_u32_e32 v30, 28, v32
	v_lshlrev_b64_e32 v[30:31], v30, v[1:2]
	v_sub_nc_u32_e32 v31, 29, v32
	s_delay_alu instid0(VALU_DEP_2)
	v_and_b32_e32 v30, 7, v30
; %bb.71:                               ;   in Loop: Header=BB249_13 Depth=1
	s_wait_alu 0xfffe
	s_or_b32 exec_lo, exec_lo, s46
	v_lshlrev_b32_e32 v32, 8, v1
	v_lshl_add_u32 v31, v31, 10, 0x2000
	v_lshlrev_b32_e32 v30, 7, v30
	s_delay_alu instid0(VALU_DEP_3) | instskip(NEXT) | instid1(VALU_DEP_3)
	v_and_b32_e32 v32, 0x8000, v32
	v_and_b32_e32 v31, 0xfc00, v31
	s_delay_alu instid0(VALU_DEP_1)
	v_or3_b32 v30, v32, v31, v30
.LBB249_72:                             ;   in Loop: Header=BB249_13 Depth=1
	s_wait_alu 0xfffe
	s_or_b32 exec_lo, exec_lo, s45
.LBB249_73:                             ;   in Loop: Header=BB249_13 Depth=1
	s_wait_alu 0xfffe
	s_or_b32 exec_lo, exec_lo, s44
.LBB249_74:                             ;   in Loop: Header=BB249_13 Depth=1
	s_wait_alu 0xfffe
	s_or_b32 exec_lo, exec_lo, s43
	v_lshrrev_b16 v1, 8, v1
	s_mov_b32 s43, exec_lo
	s_delay_alu instid0(VALU_DEP_1)
	v_cmpx_ne_u16_e32 0, v1
	s_cbranch_execz .LBB249_82
; %bb.75:                               ;   in Loop: Header=BB249_13 Depth=1
	v_bfrev_b32_e32 v29, 1
	s_mov_b32 s44, exec_lo
	v_cmpx_ne_u16_e32 0x80, v1
	s_cbranch_execz .LBB249_81
; %bb.76:                               ;   in Loop: Header=BB249_13 Depth=1
	v_and_b32_e32 v31, 0xffff, v1
	v_mov_b32_e32 v29, 0x7c010000
	s_mov_b32 s45, exec_lo
	s_delay_alu instid0(VALU_DEP_2) | instskip(NEXT) | instid1(VALU_DEP_1)
	v_and_b32_e32 v33, 0x7f, v31
	v_cmpx_ne_u32_e32 0x7f, v33
	s_cbranch_execz .LBB249_80
; %bb.77:                               ;   in Loop: Header=BB249_13 Depth=1
	v_and_b32_e32 v29, 7, v31
	v_lshrrev_b32_e32 v32, 3, v33
	s_mov_b32 s46, exec_lo
	v_cmpx_gt_u32_e32 8, v33
; %bb.78:                               ;   in Loop: Header=BB249_13 Depth=1
	s_delay_alu instid0(VALU_DEP_3) | instskip(NEXT) | instid1(VALU_DEP_1)
	v_clz_i32_u32_e32 v29, v29
	v_min_u32_e32 v29, 32, v29
	s_delay_alu instid0(VALU_DEP_1) | instskip(NEXT) | instid1(VALU_DEP_1)
	v_subrev_nc_u32_e32 v32, 28, v29
	v_lshlrev_b64_e32 v[33:34], v32, v[1:2]
	v_sub_nc_u32_e32 v32, 29, v29
	s_delay_alu instid0(VALU_DEP_2)
	v_and_b32_e32 v29, 7, v33
; %bb.79:                               ;   in Loop: Header=BB249_13 Depth=1
	s_wait_alu 0xfffe
	s_or_b32 exec_lo, exec_lo, s46
	v_lshlrev_b32_e32 v1, 8, v31
	v_lshl_add_u32 v31, v32, 10, 0x2000
	v_lshlrev_b32_e32 v29, 23, v29
	s_delay_alu instid0(VALU_DEP_2) | instskip(NEXT) | instid1(VALU_DEP_1)
	v_and_or_b32 v1, 0x8000, v1, v31
	v_lshl_or_b32 v29, v1, 16, v29
.LBB249_80:                             ;   in Loop: Header=BB249_13 Depth=1
	s_wait_alu 0xfffe
	s_or_b32 exec_lo, exec_lo, s45
.LBB249_81:                             ;   in Loop: Header=BB249_13 Depth=1
	s_wait_alu 0xfffe
	s_or_b32 exec_lo, exec_lo, s44
.LBB249_82:                             ;   in Loop: Header=BB249_13 Depth=1
	s_wait_alu 0xfffe
	s_or_b32 exec_lo, exec_lo, s43
	global_load_u16 v1, v[7:8], off offset:256
	s_wait_loadcnt 0x0
	v_dual_mov_b32 v31, 0 :: v_dual_and_b32 v32, 0xff, v1
	v_and_b32_e32 v1, 0xffff, v1
	s_delay_alu instid0(VALU_DEP_2)
	v_cmp_ne_u16_e64 s5, 0, v32
	v_mov_b32_e32 v32, 0
	s_and_saveexec_b32 s43, s5
	s_cbranch_execz .LBB249_90
; %bb.83:                               ;   in Loop: Header=BB249_13 Depth=1
	v_and_b32_e32 v32, 0xff, v1
	s_delay_alu instid0(VALU_DEP_1)
	v_cmp_ne_u16_e64 s5, 0x80, v32
	v_mov_b32_e32 v32, 0x8000
	s_and_saveexec_b32 s44, s5
	s_cbranch_execz .LBB249_89
; %bb.84:                               ;   in Loop: Header=BB249_13 Depth=1
	v_and_b32_e32 v34, 0x7f, v1
	v_mov_b32_e32 v32, 0x7c01
	s_mov_b32 s45, exec_lo
	s_delay_alu instid0(VALU_DEP_2)
	v_cmpx_ne_u32_e32 0x7f, v34
	s_cbranch_execz .LBB249_88
; %bb.85:                               ;   in Loop: Header=BB249_13 Depth=1
	v_and_b32_e32 v32, 7, v1
	v_lshrrev_b32_e32 v33, 3, v34
	s_mov_b32 s46, exec_lo
	v_cmpx_gt_u32_e32 8, v34
; %bb.86:                               ;   in Loop: Header=BB249_13 Depth=1
	s_delay_alu instid0(VALU_DEP_3) | instskip(NEXT) | instid1(VALU_DEP_1)
	v_clz_i32_u32_e32 v32, v32
	v_min_u32_e32 v34, 32, v32
	s_delay_alu instid0(VALU_DEP_1) | instskip(NEXT) | instid1(VALU_DEP_1)
	v_subrev_nc_u32_e32 v32, 28, v34
	v_lshlrev_b64_e32 v[32:33], v32, v[1:2]
	v_sub_nc_u32_e32 v33, 29, v34
	s_delay_alu instid0(VALU_DEP_2)
	v_and_b32_e32 v32, 7, v32
; %bb.87:                               ;   in Loop: Header=BB249_13 Depth=1
	s_wait_alu 0xfffe
	s_or_b32 exec_lo, exec_lo, s46
	v_lshlrev_b32_e32 v34, 8, v1
	v_lshl_add_u32 v33, v33, 10, 0x2000
	v_lshlrev_b32_e32 v32, 7, v32
	s_delay_alu instid0(VALU_DEP_3) | instskip(NEXT) | instid1(VALU_DEP_3)
	v_and_b32_e32 v34, 0x8000, v34
	v_and_b32_e32 v33, 0xfc00, v33
	s_delay_alu instid0(VALU_DEP_1)
	v_or3_b32 v32, v34, v33, v32
.LBB249_88:                             ;   in Loop: Header=BB249_13 Depth=1
	s_wait_alu 0xfffe
	s_or_b32 exec_lo, exec_lo, s45
.LBB249_89:                             ;   in Loop: Header=BB249_13 Depth=1
	s_wait_alu 0xfffe
	s_or_b32 exec_lo, exec_lo, s44
.LBB249_90:                             ;   in Loop: Header=BB249_13 Depth=1
	s_wait_alu 0xfffe
	s_or_b32 exec_lo, exec_lo, s43
	v_lshrrev_b16 v1, 8, v1
	s_mov_b32 s43, exec_lo
	s_delay_alu instid0(VALU_DEP_1)
	v_cmpx_ne_u16_e32 0, v1
	s_cbranch_execz .LBB249_98
; %bb.91:                               ;   in Loop: Header=BB249_13 Depth=1
	v_bfrev_b32_e32 v31, 1
	s_mov_b32 s44, exec_lo
	v_cmpx_ne_u16_e32 0x80, v1
	s_cbranch_execz .LBB249_97
; %bb.92:                               ;   in Loop: Header=BB249_13 Depth=1
	v_and_b32_e32 v33, 0xffff, v1
	v_mov_b32_e32 v31, 0x7c010000
	s_mov_b32 s45, exec_lo
	s_delay_alu instid0(VALU_DEP_2) | instskip(NEXT) | instid1(VALU_DEP_1)
	v_and_b32_e32 v35, 0x7f, v33
	v_cmpx_ne_u32_e32 0x7f, v35
	s_cbranch_execz .LBB249_96
; %bb.93:                               ;   in Loop: Header=BB249_13 Depth=1
	v_and_b32_e32 v31, 7, v33
	v_lshrrev_b32_e32 v34, 3, v35
	s_mov_b32 s46, exec_lo
	v_cmpx_gt_u32_e32 8, v35
; %bb.94:                               ;   in Loop: Header=BB249_13 Depth=1
	s_delay_alu instid0(VALU_DEP_3) | instskip(NEXT) | instid1(VALU_DEP_1)
	v_clz_i32_u32_e32 v31, v31
	v_min_u32_e32 v31, 32, v31
	s_delay_alu instid0(VALU_DEP_1) | instskip(NEXT) | instid1(VALU_DEP_1)
	v_subrev_nc_u32_e32 v34, 28, v31
	v_lshlrev_b64_e32 v[35:36], v34, v[1:2]
	v_sub_nc_u32_e32 v34, 29, v31
	s_delay_alu instid0(VALU_DEP_2)
	v_and_b32_e32 v31, 7, v35
; %bb.95:                               ;   in Loop: Header=BB249_13 Depth=1
	s_wait_alu 0xfffe
	s_or_b32 exec_lo, exec_lo, s46
	v_lshlrev_b32_e32 v1, 8, v33
	v_lshl_add_u32 v33, v34, 10, 0x2000
	v_lshlrev_b32_e32 v31, 23, v31
	s_delay_alu instid0(VALU_DEP_2) | instskip(NEXT) | instid1(VALU_DEP_1)
	v_and_or_b32 v1, 0x8000, v1, v33
	v_lshl_or_b32 v31, v1, 16, v31
.LBB249_96:                             ;   in Loop: Header=BB249_13 Depth=1
	s_wait_alu 0xfffe
	s_or_b32 exec_lo, exec_lo, s45
.LBB249_97:                             ;   in Loop: Header=BB249_13 Depth=1
	s_wait_alu 0xfffe
	s_or_b32 exec_lo, exec_lo, s44
.LBB249_98:                             ;   in Loop: Header=BB249_13 Depth=1
	s_wait_alu 0xfffe
	s_or_b32 exec_lo, exec_lo, s43
	global_load_u16 v1, v[7:8], off offset:264
	s_wait_loadcnt 0x0
	v_dual_mov_b32 v33, 0 :: v_dual_and_b32 v34, 0xff, v1
	v_and_b32_e32 v1, 0xffff, v1
	s_delay_alu instid0(VALU_DEP_2)
	v_cmp_ne_u16_e64 s5, 0, v34
	v_mov_b32_e32 v34, 0
	s_and_saveexec_b32 s43, s5
	s_cbranch_execz .LBB249_106
; %bb.99:                               ;   in Loop: Header=BB249_13 Depth=1
	v_and_b32_e32 v34, 0xff, v1
	s_delay_alu instid0(VALU_DEP_1)
	v_cmp_ne_u16_e64 s5, 0x80, v34
	v_mov_b32_e32 v34, 0x8000
	s_and_saveexec_b32 s44, s5
	s_cbranch_execz .LBB249_105
; %bb.100:                              ;   in Loop: Header=BB249_13 Depth=1
	v_and_b32_e32 v36, 0x7f, v1
	v_mov_b32_e32 v34, 0x7c01
	s_mov_b32 s45, exec_lo
	s_delay_alu instid0(VALU_DEP_2)
	v_cmpx_ne_u32_e32 0x7f, v36
	s_cbranch_execz .LBB249_104
; %bb.101:                              ;   in Loop: Header=BB249_13 Depth=1
	v_and_b32_e32 v34, 7, v1
	v_lshrrev_b32_e32 v35, 3, v36
	s_mov_b32 s46, exec_lo
	v_cmpx_gt_u32_e32 8, v36
; %bb.102:                              ;   in Loop: Header=BB249_13 Depth=1
	s_delay_alu instid0(VALU_DEP_3) | instskip(NEXT) | instid1(VALU_DEP_1)
	v_clz_i32_u32_e32 v34, v34
	v_min_u32_e32 v36, 32, v34
	s_delay_alu instid0(VALU_DEP_1) | instskip(NEXT) | instid1(VALU_DEP_1)
	v_subrev_nc_u32_e32 v34, 28, v36
	v_lshlrev_b64_e32 v[34:35], v34, v[1:2]
	v_sub_nc_u32_e32 v35, 29, v36
	s_delay_alu instid0(VALU_DEP_2)
	v_and_b32_e32 v34, 7, v34
; %bb.103:                              ;   in Loop: Header=BB249_13 Depth=1
	s_wait_alu 0xfffe
	s_or_b32 exec_lo, exec_lo, s46
	v_lshlrev_b32_e32 v36, 8, v1
	v_lshl_add_u32 v35, v35, 10, 0x2000
	v_lshlrev_b32_e32 v34, 7, v34
	s_delay_alu instid0(VALU_DEP_3) | instskip(NEXT) | instid1(VALU_DEP_3)
	v_and_b32_e32 v36, 0x8000, v36
	v_and_b32_e32 v35, 0xfc00, v35
	s_delay_alu instid0(VALU_DEP_1)
	v_or3_b32 v34, v36, v35, v34
.LBB249_104:                            ;   in Loop: Header=BB249_13 Depth=1
	s_wait_alu 0xfffe
	s_or_b32 exec_lo, exec_lo, s45
.LBB249_105:                            ;   in Loop: Header=BB249_13 Depth=1
	s_wait_alu 0xfffe
	s_or_b32 exec_lo, exec_lo, s44
.LBB249_106:                            ;   in Loop: Header=BB249_13 Depth=1
	s_wait_alu 0xfffe
	s_or_b32 exec_lo, exec_lo, s43
	v_lshrrev_b16 v1, 8, v1
	s_mov_b32 s43, exec_lo
	s_delay_alu instid0(VALU_DEP_1)
	v_cmpx_ne_u16_e32 0, v1
	s_cbranch_execz .LBB249_114
; %bb.107:                              ;   in Loop: Header=BB249_13 Depth=1
	v_bfrev_b32_e32 v33, 1
	s_mov_b32 s44, exec_lo
	v_cmpx_ne_u16_e32 0x80, v1
	s_cbranch_execz .LBB249_113
; %bb.108:                              ;   in Loop: Header=BB249_13 Depth=1
	v_and_b32_e32 v35, 0xffff, v1
	v_mov_b32_e32 v33, 0x7c010000
	s_mov_b32 s45, exec_lo
	s_delay_alu instid0(VALU_DEP_2) | instskip(NEXT) | instid1(VALU_DEP_1)
	v_and_b32_e32 v37, 0x7f, v35
	v_cmpx_ne_u32_e32 0x7f, v37
	s_cbranch_execz .LBB249_112
; %bb.109:                              ;   in Loop: Header=BB249_13 Depth=1
	v_and_b32_e32 v33, 7, v35
	v_lshrrev_b32_e32 v36, 3, v37
	s_mov_b32 s46, exec_lo
	v_cmpx_gt_u32_e32 8, v37
; %bb.110:                              ;   in Loop: Header=BB249_13 Depth=1
	s_delay_alu instid0(VALU_DEP_3) | instskip(NEXT) | instid1(VALU_DEP_1)
	v_clz_i32_u32_e32 v33, v33
	v_min_u32_e32 v33, 32, v33
	s_delay_alu instid0(VALU_DEP_1) | instskip(NEXT) | instid1(VALU_DEP_1)
	v_subrev_nc_u32_e32 v36, 28, v33
	v_lshlrev_b64_e32 v[37:38], v36, v[1:2]
	v_sub_nc_u32_e32 v36, 29, v33
	s_delay_alu instid0(VALU_DEP_2)
	v_and_b32_e32 v33, 7, v37
; %bb.111:                              ;   in Loop: Header=BB249_13 Depth=1
	s_wait_alu 0xfffe
	s_or_b32 exec_lo, exec_lo, s46
	v_lshlrev_b32_e32 v1, 8, v35
	v_lshl_add_u32 v35, v36, 10, 0x2000
	v_lshlrev_b32_e32 v33, 23, v33
	s_delay_alu instid0(VALU_DEP_2) | instskip(NEXT) | instid1(VALU_DEP_1)
	v_and_or_b32 v1, 0x8000, v1, v35
	v_lshl_or_b32 v33, v1, 16, v33
.LBB249_112:                            ;   in Loop: Header=BB249_13 Depth=1
	s_wait_alu 0xfffe
	s_or_b32 exec_lo, exec_lo, s45
.LBB249_113:                            ;   in Loop: Header=BB249_13 Depth=1
	s_wait_alu 0xfffe
	s_or_b32 exec_lo, exec_lo, s44
.LBB249_114:                            ;   in Loop: Header=BB249_13 Depth=1
	s_wait_alu 0xfffe
	s_or_b32 exec_lo, exec_lo, s43
	global_load_u16 v1, v[7:8], off offset:384
	s_wait_loadcnt 0x0
	v_dual_mov_b32 v35, 0 :: v_dual_and_b32 v36, 0xff, v1
	v_and_b32_e32 v1, 0xffff, v1
	s_delay_alu instid0(VALU_DEP_2)
	v_cmp_ne_u16_e64 s5, 0, v36
	v_mov_b32_e32 v36, 0
	s_and_saveexec_b32 s43, s5
	s_cbranch_execz .LBB249_122
; %bb.115:                              ;   in Loop: Header=BB249_13 Depth=1
	v_and_b32_e32 v36, 0xff, v1
	s_delay_alu instid0(VALU_DEP_1)
	v_cmp_ne_u16_e64 s5, 0x80, v36
	v_mov_b32_e32 v36, 0x8000
	s_and_saveexec_b32 s44, s5
	s_cbranch_execz .LBB249_121
; %bb.116:                              ;   in Loop: Header=BB249_13 Depth=1
	v_and_b32_e32 v38, 0x7f, v1
	v_mov_b32_e32 v36, 0x7c01
	s_mov_b32 s45, exec_lo
	s_delay_alu instid0(VALU_DEP_2)
	v_cmpx_ne_u32_e32 0x7f, v38
	s_cbranch_execz .LBB249_120
; %bb.117:                              ;   in Loop: Header=BB249_13 Depth=1
	v_and_b32_e32 v36, 7, v1
	v_lshrrev_b32_e32 v37, 3, v38
	s_mov_b32 s46, exec_lo
	v_cmpx_gt_u32_e32 8, v38
; %bb.118:                              ;   in Loop: Header=BB249_13 Depth=1
	s_delay_alu instid0(VALU_DEP_3) | instskip(NEXT) | instid1(VALU_DEP_1)
	v_clz_i32_u32_e32 v36, v36
	v_min_u32_e32 v38, 32, v36
	s_delay_alu instid0(VALU_DEP_1) | instskip(NEXT) | instid1(VALU_DEP_1)
	v_subrev_nc_u32_e32 v36, 28, v38
	v_lshlrev_b64_e32 v[36:37], v36, v[1:2]
	v_sub_nc_u32_e32 v37, 29, v38
	s_delay_alu instid0(VALU_DEP_2)
	v_and_b32_e32 v36, 7, v36
; %bb.119:                              ;   in Loop: Header=BB249_13 Depth=1
	s_wait_alu 0xfffe
	s_or_b32 exec_lo, exec_lo, s46
	v_lshlrev_b32_e32 v38, 8, v1
	v_lshl_add_u32 v37, v37, 10, 0x2000
	v_lshlrev_b32_e32 v36, 7, v36
	s_delay_alu instid0(VALU_DEP_3) | instskip(NEXT) | instid1(VALU_DEP_3)
	v_and_b32_e32 v38, 0x8000, v38
	v_and_b32_e32 v37, 0xfc00, v37
	s_delay_alu instid0(VALU_DEP_1)
	v_or3_b32 v36, v38, v37, v36
.LBB249_120:                            ;   in Loop: Header=BB249_13 Depth=1
	s_wait_alu 0xfffe
	s_or_b32 exec_lo, exec_lo, s45
.LBB249_121:                            ;   in Loop: Header=BB249_13 Depth=1
	s_wait_alu 0xfffe
	s_or_b32 exec_lo, exec_lo, s44
.LBB249_122:                            ;   in Loop: Header=BB249_13 Depth=1
	s_wait_alu 0xfffe
	s_or_b32 exec_lo, exec_lo, s43
	v_lshrrev_b16 v1, 8, v1
	s_mov_b32 s43, exec_lo
	s_delay_alu instid0(VALU_DEP_1)
	v_cmpx_ne_u16_e32 0, v1
	s_cbranch_execz .LBB249_130
; %bb.123:                              ;   in Loop: Header=BB249_13 Depth=1
	v_bfrev_b32_e32 v35, 1
	s_mov_b32 s44, exec_lo
	v_cmpx_ne_u16_e32 0x80, v1
	s_cbranch_execz .LBB249_129
; %bb.124:                              ;   in Loop: Header=BB249_13 Depth=1
	v_and_b32_e32 v37, 0xffff, v1
	v_mov_b32_e32 v35, 0x7c010000
	s_mov_b32 s45, exec_lo
	s_delay_alu instid0(VALU_DEP_2) | instskip(NEXT) | instid1(VALU_DEP_1)
	v_and_b32_e32 v39, 0x7f, v37
	v_cmpx_ne_u32_e32 0x7f, v39
	s_cbranch_execz .LBB249_128
; %bb.125:                              ;   in Loop: Header=BB249_13 Depth=1
	v_and_b32_e32 v35, 7, v37
	v_lshrrev_b32_e32 v38, 3, v39
	s_mov_b32 s46, exec_lo
	v_cmpx_gt_u32_e32 8, v39
; %bb.126:                              ;   in Loop: Header=BB249_13 Depth=1
	s_delay_alu instid0(VALU_DEP_3) | instskip(NEXT) | instid1(VALU_DEP_1)
	v_clz_i32_u32_e32 v35, v35
	v_min_u32_e32 v35, 32, v35
	s_delay_alu instid0(VALU_DEP_1) | instskip(NEXT) | instid1(VALU_DEP_1)
	v_subrev_nc_u32_e32 v38, 28, v35
	v_lshlrev_b64_e32 v[39:40], v38, v[1:2]
	v_sub_nc_u32_e32 v38, 29, v35
	s_delay_alu instid0(VALU_DEP_2)
	v_and_b32_e32 v35, 7, v39
; %bb.127:                              ;   in Loop: Header=BB249_13 Depth=1
	s_wait_alu 0xfffe
	s_or_b32 exec_lo, exec_lo, s46
	v_lshlrev_b32_e32 v1, 8, v37
	v_lshl_add_u32 v37, v38, 10, 0x2000
	v_lshlrev_b32_e32 v35, 23, v35
	s_delay_alu instid0(VALU_DEP_2) | instskip(NEXT) | instid1(VALU_DEP_1)
	v_and_or_b32 v1, 0x8000, v1, v37
	v_lshl_or_b32 v35, v1, 16, v35
.LBB249_128:                            ;   in Loop: Header=BB249_13 Depth=1
	s_wait_alu 0xfffe
	s_or_b32 exec_lo, exec_lo, s45
.LBB249_129:                            ;   in Loop: Header=BB249_13 Depth=1
	s_wait_alu 0xfffe
	s_or_b32 exec_lo, exec_lo, s44
.LBB249_130:                            ;   in Loop: Header=BB249_13 Depth=1
	s_wait_alu 0xfffe
	s_or_b32 exec_lo, exec_lo, s43
	global_load_u16 v1, v[7:8], off offset:392
	s_wait_loadcnt 0x0
	v_dual_mov_b32 v37, 0 :: v_dual_and_b32 v38, 0xff, v1
	v_and_b32_e32 v1, 0xffff, v1
	s_delay_alu instid0(VALU_DEP_2)
	v_cmp_ne_u16_e64 s5, 0, v38
	v_mov_b32_e32 v38, 0
	s_and_saveexec_b32 s43, s5
	s_cbranch_execz .LBB249_138
; %bb.131:                              ;   in Loop: Header=BB249_13 Depth=1
	v_and_b32_e32 v38, 0xff, v1
	s_delay_alu instid0(VALU_DEP_1)
	v_cmp_ne_u16_e64 s5, 0x80, v38
	v_mov_b32_e32 v38, 0x8000
	s_and_saveexec_b32 s44, s5
	s_cbranch_execz .LBB249_137
; %bb.132:                              ;   in Loop: Header=BB249_13 Depth=1
	v_and_b32_e32 v40, 0x7f, v1
	v_mov_b32_e32 v38, 0x7c01
	s_mov_b32 s45, exec_lo
	s_delay_alu instid0(VALU_DEP_2)
	v_cmpx_ne_u32_e32 0x7f, v40
	s_cbranch_execz .LBB249_136
; %bb.133:                              ;   in Loop: Header=BB249_13 Depth=1
	v_and_b32_e32 v38, 7, v1
	v_lshrrev_b32_e32 v39, 3, v40
	s_mov_b32 s46, exec_lo
	v_cmpx_gt_u32_e32 8, v40
; %bb.134:                              ;   in Loop: Header=BB249_13 Depth=1
	s_delay_alu instid0(VALU_DEP_3) | instskip(NEXT) | instid1(VALU_DEP_1)
	v_clz_i32_u32_e32 v38, v38
	v_min_u32_e32 v40, 32, v38
	s_delay_alu instid0(VALU_DEP_1) | instskip(NEXT) | instid1(VALU_DEP_1)
	v_subrev_nc_u32_e32 v38, 28, v40
	v_lshlrev_b64_e32 v[38:39], v38, v[1:2]
	v_sub_nc_u32_e32 v39, 29, v40
	s_delay_alu instid0(VALU_DEP_2)
	v_and_b32_e32 v38, 7, v38
; %bb.135:                              ;   in Loop: Header=BB249_13 Depth=1
	s_wait_alu 0xfffe
	s_or_b32 exec_lo, exec_lo, s46
	v_lshlrev_b32_e32 v40, 8, v1
	v_lshl_add_u32 v39, v39, 10, 0x2000
	v_lshlrev_b32_e32 v38, 7, v38
	s_delay_alu instid0(VALU_DEP_3) | instskip(NEXT) | instid1(VALU_DEP_3)
	v_and_b32_e32 v40, 0x8000, v40
	v_and_b32_e32 v39, 0xfc00, v39
	s_delay_alu instid0(VALU_DEP_1)
	v_or3_b32 v38, v40, v39, v38
.LBB249_136:                            ;   in Loop: Header=BB249_13 Depth=1
	s_wait_alu 0xfffe
	s_or_b32 exec_lo, exec_lo, s45
.LBB249_137:                            ;   in Loop: Header=BB249_13 Depth=1
	s_wait_alu 0xfffe
	s_or_b32 exec_lo, exec_lo, s44
.LBB249_138:                            ;   in Loop: Header=BB249_13 Depth=1
	s_wait_alu 0xfffe
	s_or_b32 exec_lo, exec_lo, s43
	v_lshrrev_b16 v1, 8, v1
	s_mov_b32 s43, exec_lo
	s_delay_alu instid0(VALU_DEP_1)
	v_cmpx_ne_u16_e32 0, v1
	s_cbranch_execz .LBB249_146
; %bb.139:                              ;   in Loop: Header=BB249_13 Depth=1
	v_bfrev_b32_e32 v37, 1
	s_mov_b32 s44, exec_lo
	v_cmpx_ne_u16_e32 0x80, v1
	s_cbranch_execz .LBB249_145
; %bb.140:                              ;   in Loop: Header=BB249_13 Depth=1
	v_and_b32_e32 v39, 0xffff, v1
	v_mov_b32_e32 v37, 0x7c010000
	s_mov_b32 s45, exec_lo
	s_delay_alu instid0(VALU_DEP_2) | instskip(NEXT) | instid1(VALU_DEP_1)
	v_and_b32_e32 v41, 0x7f, v39
	v_cmpx_ne_u32_e32 0x7f, v41
	s_cbranch_execz .LBB249_144
; %bb.141:                              ;   in Loop: Header=BB249_13 Depth=1
	v_and_b32_e32 v37, 7, v39
	v_lshrrev_b32_e32 v40, 3, v41
	s_mov_b32 s46, exec_lo
	v_cmpx_gt_u32_e32 8, v41
; %bb.142:                              ;   in Loop: Header=BB249_13 Depth=1
	s_delay_alu instid0(VALU_DEP_3) | instskip(NEXT) | instid1(VALU_DEP_1)
	v_clz_i32_u32_e32 v37, v37
	v_min_u32_e32 v37, 32, v37
	s_delay_alu instid0(VALU_DEP_1) | instskip(NEXT) | instid1(VALU_DEP_1)
	v_subrev_nc_u32_e32 v40, 28, v37
	v_lshlrev_b64_e32 v[41:42], v40, v[1:2]
	v_sub_nc_u32_e32 v40, 29, v37
	s_delay_alu instid0(VALU_DEP_2)
	v_and_b32_e32 v37, 7, v41
; %bb.143:                              ;   in Loop: Header=BB249_13 Depth=1
	s_wait_alu 0xfffe
	s_or_b32 exec_lo, exec_lo, s46
	v_lshlrev_b32_e32 v1, 8, v39
	v_lshl_add_u32 v39, v40, 10, 0x2000
	v_lshlrev_b32_e32 v37, 23, v37
	s_delay_alu instid0(VALU_DEP_2) | instskip(NEXT) | instid1(VALU_DEP_1)
	v_and_or_b32 v1, 0x8000, v1, v39
	v_lshl_or_b32 v37, v1, 16, v37
.LBB249_144:                            ;   in Loop: Header=BB249_13 Depth=1
	s_wait_alu 0xfffe
	s_or_b32 exec_lo, exec_lo, s45
.LBB249_145:                            ;   in Loop: Header=BB249_13 Depth=1
	s_wait_alu 0xfffe
	s_or_b32 exec_lo, exec_lo, s44
.LBB249_146:                            ;   in Loop: Header=BB249_13 Depth=1
	s_wait_alu 0xfffe
	s_or_b32 exec_lo, exec_lo, s43
	global_load_u16 v1, v[7:8], off offset:512
	s_wait_loadcnt 0x0
	v_dual_mov_b32 v39, 0 :: v_dual_and_b32 v40, 0xff, v1
	v_and_b32_e32 v1, 0xffff, v1
	s_delay_alu instid0(VALU_DEP_2)
	v_cmp_ne_u16_e64 s5, 0, v40
	v_mov_b32_e32 v40, 0
	s_and_saveexec_b32 s43, s5
	s_cbranch_execz .LBB249_154
; %bb.147:                              ;   in Loop: Header=BB249_13 Depth=1
	v_and_b32_e32 v40, 0xff, v1
	s_delay_alu instid0(VALU_DEP_1)
	v_cmp_ne_u16_e64 s5, 0x80, v40
	v_mov_b32_e32 v40, 0x8000
	s_and_saveexec_b32 s44, s5
	s_cbranch_execz .LBB249_153
; %bb.148:                              ;   in Loop: Header=BB249_13 Depth=1
	v_and_b32_e32 v42, 0x7f, v1
	v_mov_b32_e32 v40, 0x7c01
	s_mov_b32 s45, exec_lo
	s_delay_alu instid0(VALU_DEP_2)
	v_cmpx_ne_u32_e32 0x7f, v42
	s_cbranch_execz .LBB249_152
; %bb.149:                              ;   in Loop: Header=BB249_13 Depth=1
	v_and_b32_e32 v40, 7, v1
	v_lshrrev_b32_e32 v41, 3, v42
	s_mov_b32 s46, exec_lo
	v_cmpx_gt_u32_e32 8, v42
; %bb.150:                              ;   in Loop: Header=BB249_13 Depth=1
	s_delay_alu instid0(VALU_DEP_3) | instskip(NEXT) | instid1(VALU_DEP_1)
	v_clz_i32_u32_e32 v40, v40
	v_min_u32_e32 v42, 32, v40
	s_delay_alu instid0(VALU_DEP_1) | instskip(NEXT) | instid1(VALU_DEP_1)
	v_subrev_nc_u32_e32 v40, 28, v42
	v_lshlrev_b64_e32 v[40:41], v40, v[1:2]
	v_sub_nc_u32_e32 v41, 29, v42
	s_delay_alu instid0(VALU_DEP_2)
	v_and_b32_e32 v40, 7, v40
; %bb.151:                              ;   in Loop: Header=BB249_13 Depth=1
	s_wait_alu 0xfffe
	s_or_b32 exec_lo, exec_lo, s46
	v_lshlrev_b32_e32 v42, 8, v1
	v_lshl_add_u32 v41, v41, 10, 0x2000
	v_lshlrev_b32_e32 v40, 7, v40
	s_delay_alu instid0(VALU_DEP_3) | instskip(NEXT) | instid1(VALU_DEP_3)
	v_and_b32_e32 v42, 0x8000, v42
	v_and_b32_e32 v41, 0xfc00, v41
	s_delay_alu instid0(VALU_DEP_1)
	v_or3_b32 v40, v42, v41, v40
.LBB249_152:                            ;   in Loop: Header=BB249_13 Depth=1
	s_wait_alu 0xfffe
	s_or_b32 exec_lo, exec_lo, s45
.LBB249_153:                            ;   in Loop: Header=BB249_13 Depth=1
	s_wait_alu 0xfffe
	s_or_b32 exec_lo, exec_lo, s44
.LBB249_154:                            ;   in Loop: Header=BB249_13 Depth=1
	s_wait_alu 0xfffe
	s_or_b32 exec_lo, exec_lo, s43
	v_lshrrev_b16 v1, 8, v1
	s_mov_b32 s43, exec_lo
	s_delay_alu instid0(VALU_DEP_1)
	v_cmpx_ne_u16_e32 0, v1
	s_cbranch_execz .LBB249_162
; %bb.155:                              ;   in Loop: Header=BB249_13 Depth=1
	v_bfrev_b32_e32 v39, 1
	s_mov_b32 s44, exec_lo
	v_cmpx_ne_u16_e32 0x80, v1
	s_cbranch_execz .LBB249_161
; %bb.156:                              ;   in Loop: Header=BB249_13 Depth=1
	v_and_b32_e32 v41, 0xffff, v1
	v_mov_b32_e32 v39, 0x7c010000
	s_mov_b32 s45, exec_lo
	s_delay_alu instid0(VALU_DEP_2) | instskip(NEXT) | instid1(VALU_DEP_1)
	v_and_b32_e32 v43, 0x7f, v41
	v_cmpx_ne_u32_e32 0x7f, v43
	s_cbranch_execz .LBB249_160
; %bb.157:                              ;   in Loop: Header=BB249_13 Depth=1
	v_and_b32_e32 v39, 7, v41
	v_lshrrev_b32_e32 v42, 3, v43
	s_mov_b32 s46, exec_lo
	v_cmpx_gt_u32_e32 8, v43
; %bb.158:                              ;   in Loop: Header=BB249_13 Depth=1
	s_delay_alu instid0(VALU_DEP_3) | instskip(NEXT) | instid1(VALU_DEP_1)
	v_clz_i32_u32_e32 v39, v39
	v_min_u32_e32 v39, 32, v39
	s_delay_alu instid0(VALU_DEP_1) | instskip(NEXT) | instid1(VALU_DEP_1)
	v_subrev_nc_u32_e32 v42, 28, v39
	v_lshlrev_b64_e32 v[43:44], v42, v[1:2]
	v_sub_nc_u32_e32 v42, 29, v39
	s_delay_alu instid0(VALU_DEP_2)
	v_and_b32_e32 v39, 7, v43
; %bb.159:                              ;   in Loop: Header=BB249_13 Depth=1
	s_wait_alu 0xfffe
	s_or_b32 exec_lo, exec_lo, s46
	v_lshlrev_b32_e32 v1, 8, v41
	v_lshl_add_u32 v41, v42, 10, 0x2000
	v_lshlrev_b32_e32 v39, 23, v39
	s_delay_alu instid0(VALU_DEP_2) | instskip(NEXT) | instid1(VALU_DEP_1)
	v_and_or_b32 v1, 0x8000, v1, v41
	v_lshl_or_b32 v39, v1, 16, v39
.LBB249_160:                            ;   in Loop: Header=BB249_13 Depth=1
	s_wait_alu 0xfffe
	s_or_b32 exec_lo, exec_lo, s45
.LBB249_161:                            ;   in Loop: Header=BB249_13 Depth=1
	s_wait_alu 0xfffe
	s_or_b32 exec_lo, exec_lo, s44
.LBB249_162:                            ;   in Loop: Header=BB249_13 Depth=1
	s_wait_alu 0xfffe
	s_or_b32 exec_lo, exec_lo, s43
	global_load_u16 v1, v[7:8], off offset:520
	s_wait_loadcnt 0x0
	v_dual_mov_b32 v41, 0 :: v_dual_and_b32 v42, 0xff, v1
	v_and_b32_e32 v1, 0xffff, v1
	s_delay_alu instid0(VALU_DEP_2)
	v_cmp_ne_u16_e64 s5, 0, v42
	v_mov_b32_e32 v42, 0
	s_and_saveexec_b32 s43, s5
	s_cbranch_execz .LBB249_170
; %bb.163:                              ;   in Loop: Header=BB249_13 Depth=1
	v_and_b32_e32 v42, 0xff, v1
	s_delay_alu instid0(VALU_DEP_1)
	v_cmp_ne_u16_e64 s5, 0x80, v42
	v_mov_b32_e32 v42, 0x8000
	s_and_saveexec_b32 s44, s5
	s_cbranch_execz .LBB249_169
; %bb.164:                              ;   in Loop: Header=BB249_13 Depth=1
	v_and_b32_e32 v44, 0x7f, v1
	v_mov_b32_e32 v42, 0x7c01
	s_mov_b32 s45, exec_lo
	s_delay_alu instid0(VALU_DEP_2)
	v_cmpx_ne_u32_e32 0x7f, v44
	s_cbranch_execz .LBB249_168
; %bb.165:                              ;   in Loop: Header=BB249_13 Depth=1
	v_and_b32_e32 v42, 7, v1
	v_lshrrev_b32_e32 v43, 3, v44
	s_mov_b32 s46, exec_lo
	v_cmpx_gt_u32_e32 8, v44
; %bb.166:                              ;   in Loop: Header=BB249_13 Depth=1
	s_delay_alu instid0(VALU_DEP_3) | instskip(NEXT) | instid1(VALU_DEP_1)
	v_clz_i32_u32_e32 v42, v42
	v_min_u32_e32 v44, 32, v42
	s_delay_alu instid0(VALU_DEP_1) | instskip(NEXT) | instid1(VALU_DEP_1)
	v_subrev_nc_u32_e32 v42, 28, v44
	v_lshlrev_b64_e32 v[42:43], v42, v[1:2]
	v_sub_nc_u32_e32 v43, 29, v44
	s_delay_alu instid0(VALU_DEP_2)
	v_and_b32_e32 v42, 7, v42
; %bb.167:                              ;   in Loop: Header=BB249_13 Depth=1
	s_wait_alu 0xfffe
	s_or_b32 exec_lo, exec_lo, s46
	v_lshlrev_b32_e32 v44, 8, v1
	v_lshl_add_u32 v43, v43, 10, 0x2000
	v_lshlrev_b32_e32 v42, 7, v42
	s_delay_alu instid0(VALU_DEP_3) | instskip(NEXT) | instid1(VALU_DEP_3)
	v_and_b32_e32 v44, 0x8000, v44
	v_and_b32_e32 v43, 0xfc00, v43
	s_delay_alu instid0(VALU_DEP_1)
	v_or3_b32 v42, v44, v43, v42
.LBB249_168:                            ;   in Loop: Header=BB249_13 Depth=1
	s_wait_alu 0xfffe
	s_or_b32 exec_lo, exec_lo, s45
.LBB249_169:                            ;   in Loop: Header=BB249_13 Depth=1
	s_wait_alu 0xfffe
	s_or_b32 exec_lo, exec_lo, s44
.LBB249_170:                            ;   in Loop: Header=BB249_13 Depth=1
	s_wait_alu 0xfffe
	s_or_b32 exec_lo, exec_lo, s43
	v_lshrrev_b16 v1, 8, v1
	s_mov_b32 s43, exec_lo
	s_delay_alu instid0(VALU_DEP_1)
	v_cmpx_ne_u16_e32 0, v1
	s_cbranch_execz .LBB249_178
; %bb.171:                              ;   in Loop: Header=BB249_13 Depth=1
	v_bfrev_b32_e32 v41, 1
	s_mov_b32 s44, exec_lo
	v_cmpx_ne_u16_e32 0x80, v1
	s_cbranch_execz .LBB249_177
; %bb.172:                              ;   in Loop: Header=BB249_13 Depth=1
	v_and_b32_e32 v43, 0xffff, v1
	v_mov_b32_e32 v41, 0x7c010000
	s_mov_b32 s45, exec_lo
	s_delay_alu instid0(VALU_DEP_2) | instskip(NEXT) | instid1(VALU_DEP_1)
	v_and_b32_e32 v45, 0x7f, v43
	v_cmpx_ne_u32_e32 0x7f, v45
	s_cbranch_execz .LBB249_176
; %bb.173:                              ;   in Loop: Header=BB249_13 Depth=1
	v_and_b32_e32 v41, 7, v43
	v_lshrrev_b32_e32 v44, 3, v45
	s_mov_b32 s46, exec_lo
	v_cmpx_gt_u32_e32 8, v45
; %bb.174:                              ;   in Loop: Header=BB249_13 Depth=1
	s_delay_alu instid0(VALU_DEP_3) | instskip(NEXT) | instid1(VALU_DEP_1)
	v_clz_i32_u32_e32 v41, v41
	v_min_u32_e32 v41, 32, v41
	s_delay_alu instid0(VALU_DEP_1) | instskip(NEXT) | instid1(VALU_DEP_1)
	v_subrev_nc_u32_e32 v44, 28, v41
	v_lshlrev_b64_e32 v[45:46], v44, v[1:2]
	v_sub_nc_u32_e32 v44, 29, v41
	s_delay_alu instid0(VALU_DEP_2)
	v_and_b32_e32 v41, 7, v45
; %bb.175:                              ;   in Loop: Header=BB249_13 Depth=1
	s_wait_alu 0xfffe
	s_or_b32 exec_lo, exec_lo, s46
	v_lshlrev_b32_e32 v1, 8, v43
	v_lshl_add_u32 v43, v44, 10, 0x2000
	v_lshlrev_b32_e32 v41, 23, v41
	s_delay_alu instid0(VALU_DEP_2) | instskip(NEXT) | instid1(VALU_DEP_1)
	v_and_or_b32 v1, 0x8000, v1, v43
	v_lshl_or_b32 v41, v1, 16, v41
.LBB249_176:                            ;   in Loop: Header=BB249_13 Depth=1
	s_wait_alu 0xfffe
	s_or_b32 exec_lo, exec_lo, s45
.LBB249_177:                            ;   in Loop: Header=BB249_13 Depth=1
	s_wait_alu 0xfffe
	s_or_b32 exec_lo, exec_lo, s44
.LBB249_178:                            ;   in Loop: Header=BB249_13 Depth=1
	s_wait_alu 0xfffe
	s_or_b32 exec_lo, exec_lo, s43
	global_load_u16 v1, v[7:8], off offset:640
	s_wait_loadcnt 0x0
	v_dual_mov_b32 v43, 0 :: v_dual_and_b32 v44, 0xff, v1
	v_and_b32_e32 v1, 0xffff, v1
	s_delay_alu instid0(VALU_DEP_2)
	v_cmp_ne_u16_e64 s5, 0, v44
	v_mov_b32_e32 v44, 0
	s_and_saveexec_b32 s43, s5
	s_cbranch_execz .LBB249_186
; %bb.179:                              ;   in Loop: Header=BB249_13 Depth=1
	v_and_b32_e32 v44, 0xff, v1
	s_delay_alu instid0(VALU_DEP_1)
	v_cmp_ne_u16_e64 s5, 0x80, v44
	v_mov_b32_e32 v44, 0x8000
	s_and_saveexec_b32 s44, s5
	s_cbranch_execz .LBB249_185
; %bb.180:                              ;   in Loop: Header=BB249_13 Depth=1
	v_and_b32_e32 v46, 0x7f, v1
	v_mov_b32_e32 v44, 0x7c01
	s_mov_b32 s45, exec_lo
	s_delay_alu instid0(VALU_DEP_2)
	v_cmpx_ne_u32_e32 0x7f, v46
	s_cbranch_execz .LBB249_184
; %bb.181:                              ;   in Loop: Header=BB249_13 Depth=1
	v_and_b32_e32 v44, 7, v1
	v_lshrrev_b32_e32 v45, 3, v46
	s_mov_b32 s46, exec_lo
	v_cmpx_gt_u32_e32 8, v46
; %bb.182:                              ;   in Loop: Header=BB249_13 Depth=1
	s_delay_alu instid0(VALU_DEP_3) | instskip(NEXT) | instid1(VALU_DEP_1)
	v_clz_i32_u32_e32 v44, v44
	v_min_u32_e32 v46, 32, v44
	s_delay_alu instid0(VALU_DEP_1) | instskip(NEXT) | instid1(VALU_DEP_1)
	v_subrev_nc_u32_e32 v44, 28, v46
	v_lshlrev_b64_e32 v[44:45], v44, v[1:2]
	v_sub_nc_u32_e32 v45, 29, v46
	s_delay_alu instid0(VALU_DEP_2)
	v_and_b32_e32 v44, 7, v44
; %bb.183:                              ;   in Loop: Header=BB249_13 Depth=1
	s_wait_alu 0xfffe
	s_or_b32 exec_lo, exec_lo, s46
	v_lshlrev_b32_e32 v46, 8, v1
	v_lshl_add_u32 v45, v45, 10, 0x2000
	v_lshlrev_b32_e32 v44, 7, v44
	s_delay_alu instid0(VALU_DEP_3) | instskip(NEXT) | instid1(VALU_DEP_3)
	v_and_b32_e32 v46, 0x8000, v46
	v_and_b32_e32 v45, 0xfc00, v45
	s_delay_alu instid0(VALU_DEP_1)
	v_or3_b32 v44, v46, v45, v44
.LBB249_184:                            ;   in Loop: Header=BB249_13 Depth=1
	s_wait_alu 0xfffe
	s_or_b32 exec_lo, exec_lo, s45
.LBB249_185:                            ;   in Loop: Header=BB249_13 Depth=1
	s_wait_alu 0xfffe
	s_or_b32 exec_lo, exec_lo, s44
.LBB249_186:                            ;   in Loop: Header=BB249_13 Depth=1
	s_wait_alu 0xfffe
	s_or_b32 exec_lo, exec_lo, s43
	v_lshrrev_b16 v1, 8, v1
	s_mov_b32 s43, exec_lo
	s_delay_alu instid0(VALU_DEP_1)
	v_cmpx_ne_u16_e32 0, v1
	s_cbranch_execz .LBB249_194
; %bb.187:                              ;   in Loop: Header=BB249_13 Depth=1
	v_bfrev_b32_e32 v43, 1
	s_mov_b32 s44, exec_lo
	v_cmpx_ne_u16_e32 0x80, v1
	s_cbranch_execz .LBB249_193
; %bb.188:                              ;   in Loop: Header=BB249_13 Depth=1
	v_and_b32_e32 v45, 0xffff, v1
	v_mov_b32_e32 v43, 0x7c010000
	s_mov_b32 s45, exec_lo
	s_delay_alu instid0(VALU_DEP_2) | instskip(NEXT) | instid1(VALU_DEP_1)
	v_and_b32_e32 v47, 0x7f, v45
	v_cmpx_ne_u32_e32 0x7f, v47
	s_cbranch_execz .LBB249_192
; %bb.189:                              ;   in Loop: Header=BB249_13 Depth=1
	v_and_b32_e32 v43, 7, v45
	v_lshrrev_b32_e32 v46, 3, v47
	s_mov_b32 s46, exec_lo
	v_cmpx_gt_u32_e32 8, v47
; %bb.190:                              ;   in Loop: Header=BB249_13 Depth=1
	s_delay_alu instid0(VALU_DEP_3) | instskip(NEXT) | instid1(VALU_DEP_1)
	v_clz_i32_u32_e32 v43, v43
	v_min_u32_e32 v43, 32, v43
	s_delay_alu instid0(VALU_DEP_1) | instskip(NEXT) | instid1(VALU_DEP_1)
	v_subrev_nc_u32_e32 v46, 28, v43
	v_lshlrev_b64_e32 v[47:48], v46, v[1:2]
	v_sub_nc_u32_e32 v46, 29, v43
	s_delay_alu instid0(VALU_DEP_2)
	v_and_b32_e32 v43, 7, v47
; %bb.191:                              ;   in Loop: Header=BB249_13 Depth=1
	s_wait_alu 0xfffe
	s_or_b32 exec_lo, exec_lo, s46
	v_lshlrev_b32_e32 v1, 8, v45
	v_lshl_add_u32 v45, v46, 10, 0x2000
	v_lshlrev_b32_e32 v43, 23, v43
	s_delay_alu instid0(VALU_DEP_2) | instskip(NEXT) | instid1(VALU_DEP_1)
	v_and_or_b32 v1, 0x8000, v1, v45
	v_lshl_or_b32 v43, v1, 16, v43
.LBB249_192:                            ;   in Loop: Header=BB249_13 Depth=1
	s_wait_alu 0xfffe
	s_or_b32 exec_lo, exec_lo, s45
.LBB249_193:                            ;   in Loop: Header=BB249_13 Depth=1
	s_wait_alu 0xfffe
	s_or_b32 exec_lo, exec_lo, s44
.LBB249_194:                            ;   in Loop: Header=BB249_13 Depth=1
	s_wait_alu 0xfffe
	s_or_b32 exec_lo, exec_lo, s43
	global_load_u16 v1, v[7:8], off offset:648
	s_wait_loadcnt 0x0
	v_dual_mov_b32 v45, 0 :: v_dual_and_b32 v46, 0xff, v1
	v_and_b32_e32 v1, 0xffff, v1
	s_delay_alu instid0(VALU_DEP_2)
	v_cmp_ne_u16_e64 s5, 0, v46
	v_mov_b32_e32 v46, 0
	s_and_saveexec_b32 s43, s5
	s_cbranch_execz .LBB249_202
; %bb.195:                              ;   in Loop: Header=BB249_13 Depth=1
	v_and_b32_e32 v46, 0xff, v1
	s_delay_alu instid0(VALU_DEP_1)
	v_cmp_ne_u16_e64 s5, 0x80, v46
	v_mov_b32_e32 v46, 0x8000
	s_and_saveexec_b32 s44, s5
	s_cbranch_execz .LBB249_201
; %bb.196:                              ;   in Loop: Header=BB249_13 Depth=1
	v_and_b32_e32 v48, 0x7f, v1
	v_mov_b32_e32 v46, 0x7c01
	s_mov_b32 s45, exec_lo
	s_delay_alu instid0(VALU_DEP_2)
	v_cmpx_ne_u32_e32 0x7f, v48
	s_cbranch_execz .LBB249_200
; %bb.197:                              ;   in Loop: Header=BB249_13 Depth=1
	v_and_b32_e32 v46, 7, v1
	v_lshrrev_b32_e32 v47, 3, v48
	s_mov_b32 s46, exec_lo
	v_cmpx_gt_u32_e32 8, v48
; %bb.198:                              ;   in Loop: Header=BB249_13 Depth=1
	s_delay_alu instid0(VALU_DEP_3) | instskip(NEXT) | instid1(VALU_DEP_1)
	v_clz_i32_u32_e32 v46, v46
	v_min_u32_e32 v48, 32, v46
	s_delay_alu instid0(VALU_DEP_1) | instskip(NEXT) | instid1(VALU_DEP_1)
	v_subrev_nc_u32_e32 v46, 28, v48
	v_lshlrev_b64_e32 v[46:47], v46, v[1:2]
	v_sub_nc_u32_e32 v47, 29, v48
	s_delay_alu instid0(VALU_DEP_2)
	v_and_b32_e32 v46, 7, v46
; %bb.199:                              ;   in Loop: Header=BB249_13 Depth=1
	s_wait_alu 0xfffe
	s_or_b32 exec_lo, exec_lo, s46
	v_lshlrev_b32_e32 v48, 8, v1
	v_lshl_add_u32 v47, v47, 10, 0x2000
	v_lshlrev_b32_e32 v46, 7, v46
	s_delay_alu instid0(VALU_DEP_3) | instskip(NEXT) | instid1(VALU_DEP_3)
	v_and_b32_e32 v48, 0x8000, v48
	v_and_b32_e32 v47, 0xfc00, v47
	s_delay_alu instid0(VALU_DEP_1)
	v_or3_b32 v46, v48, v47, v46
.LBB249_200:                            ;   in Loop: Header=BB249_13 Depth=1
	s_wait_alu 0xfffe
	s_or_b32 exec_lo, exec_lo, s45
.LBB249_201:                            ;   in Loop: Header=BB249_13 Depth=1
	s_wait_alu 0xfffe
	s_or_b32 exec_lo, exec_lo, s44
.LBB249_202:                            ;   in Loop: Header=BB249_13 Depth=1
	s_wait_alu 0xfffe
	s_or_b32 exec_lo, exec_lo, s43
	v_lshrrev_b16 v1, 8, v1
	s_mov_b32 s43, exec_lo
	s_delay_alu instid0(VALU_DEP_1)
	v_cmpx_ne_u16_e32 0, v1
	s_cbranch_execz .LBB249_210
; %bb.203:                              ;   in Loop: Header=BB249_13 Depth=1
	v_bfrev_b32_e32 v45, 1
	s_mov_b32 s44, exec_lo
	v_cmpx_ne_u16_e32 0x80, v1
	s_cbranch_execz .LBB249_209
; %bb.204:                              ;   in Loop: Header=BB249_13 Depth=1
	v_and_b32_e32 v47, 0xffff, v1
	v_mov_b32_e32 v45, 0x7c010000
	s_mov_b32 s45, exec_lo
	s_delay_alu instid0(VALU_DEP_2) | instskip(NEXT) | instid1(VALU_DEP_1)
	v_and_b32_e32 v49, 0x7f, v47
	v_cmpx_ne_u32_e32 0x7f, v49
	s_cbranch_execz .LBB249_208
; %bb.205:                              ;   in Loop: Header=BB249_13 Depth=1
	v_and_b32_e32 v45, 7, v47
	v_lshrrev_b32_e32 v48, 3, v49
	s_mov_b32 s46, exec_lo
	v_cmpx_gt_u32_e32 8, v49
; %bb.206:                              ;   in Loop: Header=BB249_13 Depth=1
	s_delay_alu instid0(VALU_DEP_3) | instskip(NEXT) | instid1(VALU_DEP_1)
	v_clz_i32_u32_e32 v45, v45
	v_min_u32_e32 v45, 32, v45
	s_delay_alu instid0(VALU_DEP_1) | instskip(NEXT) | instid1(VALU_DEP_1)
	v_subrev_nc_u32_e32 v48, 28, v45
	v_lshlrev_b64_e32 v[49:50], v48, v[1:2]
	v_sub_nc_u32_e32 v48, 29, v45
	s_delay_alu instid0(VALU_DEP_2)
	v_and_b32_e32 v45, 7, v49
; %bb.207:                              ;   in Loop: Header=BB249_13 Depth=1
	s_wait_alu 0xfffe
	s_or_b32 exec_lo, exec_lo, s46
	v_lshlrev_b32_e32 v1, 8, v47
	v_lshl_add_u32 v47, v48, 10, 0x2000
	v_lshlrev_b32_e32 v45, 23, v45
	s_delay_alu instid0(VALU_DEP_2) | instskip(NEXT) | instid1(VALU_DEP_1)
	v_and_or_b32 v1, 0x8000, v1, v47
	v_lshl_or_b32 v45, v1, 16, v45
.LBB249_208:                            ;   in Loop: Header=BB249_13 Depth=1
	s_wait_alu 0xfffe
	s_or_b32 exec_lo, exec_lo, s45
.LBB249_209:                            ;   in Loop: Header=BB249_13 Depth=1
	s_wait_alu 0xfffe
	s_or_b32 exec_lo, exec_lo, s44
.LBB249_210:                            ;   in Loop: Header=BB249_13 Depth=1
	s_wait_alu 0xfffe
	s_or_b32 exec_lo, exec_lo, s43
	global_load_u16 v1, v[7:8], off offset:768
	s_wait_loadcnt 0x0
	v_dual_mov_b32 v47, 0 :: v_dual_and_b32 v48, 0xff, v1
	v_and_b32_e32 v1, 0xffff, v1
	s_delay_alu instid0(VALU_DEP_2)
	v_cmp_ne_u16_e64 s5, 0, v48
	v_mov_b32_e32 v48, 0
	s_and_saveexec_b32 s43, s5
	s_cbranch_execz .LBB249_218
; %bb.211:                              ;   in Loop: Header=BB249_13 Depth=1
	v_and_b32_e32 v48, 0xff, v1
	s_delay_alu instid0(VALU_DEP_1)
	v_cmp_ne_u16_e64 s5, 0x80, v48
	v_mov_b32_e32 v48, 0x8000
	s_and_saveexec_b32 s44, s5
	s_cbranch_execz .LBB249_217
; %bb.212:                              ;   in Loop: Header=BB249_13 Depth=1
	v_and_b32_e32 v50, 0x7f, v1
	v_mov_b32_e32 v48, 0x7c01
	s_mov_b32 s45, exec_lo
	s_delay_alu instid0(VALU_DEP_2)
	v_cmpx_ne_u32_e32 0x7f, v50
	s_cbranch_execz .LBB249_216
; %bb.213:                              ;   in Loop: Header=BB249_13 Depth=1
	v_and_b32_e32 v48, 7, v1
	v_lshrrev_b32_e32 v49, 3, v50
	s_mov_b32 s46, exec_lo
	v_cmpx_gt_u32_e32 8, v50
; %bb.214:                              ;   in Loop: Header=BB249_13 Depth=1
	s_delay_alu instid0(VALU_DEP_3) | instskip(NEXT) | instid1(VALU_DEP_1)
	v_clz_i32_u32_e32 v48, v48
	v_min_u32_e32 v50, 32, v48
	s_delay_alu instid0(VALU_DEP_1) | instskip(NEXT) | instid1(VALU_DEP_1)
	v_subrev_nc_u32_e32 v48, 28, v50
	v_lshlrev_b64_e32 v[48:49], v48, v[1:2]
	v_sub_nc_u32_e32 v49, 29, v50
	s_delay_alu instid0(VALU_DEP_2)
	v_and_b32_e32 v48, 7, v48
; %bb.215:                              ;   in Loop: Header=BB249_13 Depth=1
	s_wait_alu 0xfffe
	s_or_b32 exec_lo, exec_lo, s46
	v_lshlrev_b32_e32 v50, 8, v1
	v_lshl_add_u32 v49, v49, 10, 0x2000
	v_lshlrev_b32_e32 v48, 7, v48
	s_delay_alu instid0(VALU_DEP_3) | instskip(NEXT) | instid1(VALU_DEP_3)
	v_and_b32_e32 v50, 0x8000, v50
	v_and_b32_e32 v49, 0xfc00, v49
	s_delay_alu instid0(VALU_DEP_1)
	v_or3_b32 v48, v50, v49, v48
.LBB249_216:                            ;   in Loop: Header=BB249_13 Depth=1
	s_wait_alu 0xfffe
	s_or_b32 exec_lo, exec_lo, s45
.LBB249_217:                            ;   in Loop: Header=BB249_13 Depth=1
	s_wait_alu 0xfffe
	s_or_b32 exec_lo, exec_lo, s44
.LBB249_218:                            ;   in Loop: Header=BB249_13 Depth=1
	s_wait_alu 0xfffe
	s_or_b32 exec_lo, exec_lo, s43
	v_lshrrev_b16 v1, 8, v1
	s_mov_b32 s43, exec_lo
	s_delay_alu instid0(VALU_DEP_1)
	v_cmpx_ne_u16_e32 0, v1
	s_cbranch_execz .LBB249_226
; %bb.219:                              ;   in Loop: Header=BB249_13 Depth=1
	v_bfrev_b32_e32 v47, 1
	s_mov_b32 s44, exec_lo
	v_cmpx_ne_u16_e32 0x80, v1
	s_cbranch_execz .LBB249_225
; %bb.220:                              ;   in Loop: Header=BB249_13 Depth=1
	v_and_b32_e32 v49, 0xffff, v1
	v_mov_b32_e32 v47, 0x7c010000
	s_mov_b32 s45, exec_lo
	s_delay_alu instid0(VALU_DEP_2) | instskip(NEXT) | instid1(VALU_DEP_1)
	v_and_b32_e32 v51, 0x7f, v49
	v_cmpx_ne_u32_e32 0x7f, v51
	s_cbranch_execz .LBB249_224
; %bb.221:                              ;   in Loop: Header=BB249_13 Depth=1
	v_and_b32_e32 v47, 7, v49
	v_lshrrev_b32_e32 v50, 3, v51
	s_mov_b32 s46, exec_lo
	v_cmpx_gt_u32_e32 8, v51
; %bb.222:                              ;   in Loop: Header=BB249_13 Depth=1
	s_delay_alu instid0(VALU_DEP_3) | instskip(NEXT) | instid1(VALU_DEP_1)
	v_clz_i32_u32_e32 v47, v47
	v_min_u32_e32 v47, 32, v47
	s_delay_alu instid0(VALU_DEP_1) | instskip(NEXT) | instid1(VALU_DEP_1)
	v_subrev_nc_u32_e32 v50, 28, v47
	v_lshlrev_b64_e32 v[51:52], v50, v[1:2]
	v_sub_nc_u32_e32 v50, 29, v47
	s_delay_alu instid0(VALU_DEP_2)
	v_and_b32_e32 v47, 7, v51
; %bb.223:                              ;   in Loop: Header=BB249_13 Depth=1
	s_wait_alu 0xfffe
	s_or_b32 exec_lo, exec_lo, s46
	v_lshlrev_b32_e32 v1, 8, v49
	v_lshl_add_u32 v49, v50, 10, 0x2000
	v_lshlrev_b32_e32 v47, 23, v47
	s_delay_alu instid0(VALU_DEP_2) | instskip(NEXT) | instid1(VALU_DEP_1)
	v_and_or_b32 v1, 0x8000, v1, v49
	v_lshl_or_b32 v47, v1, 16, v47
.LBB249_224:                            ;   in Loop: Header=BB249_13 Depth=1
	s_wait_alu 0xfffe
	s_or_b32 exec_lo, exec_lo, s45
.LBB249_225:                            ;   in Loop: Header=BB249_13 Depth=1
	s_wait_alu 0xfffe
	s_or_b32 exec_lo, exec_lo, s44
.LBB249_226:                            ;   in Loop: Header=BB249_13 Depth=1
	s_wait_alu 0xfffe
	s_or_b32 exec_lo, exec_lo, s43
	global_load_u16 v1, v[7:8], off offset:776
	s_wait_loadcnt 0x0
	v_dual_mov_b32 v49, 0 :: v_dual_and_b32 v50, 0xff, v1
	v_and_b32_e32 v1, 0xffff, v1
	s_delay_alu instid0(VALU_DEP_2)
	v_cmp_ne_u16_e64 s5, 0, v50
	v_mov_b32_e32 v50, 0
	s_and_saveexec_b32 s43, s5
	s_cbranch_execz .LBB249_234
; %bb.227:                              ;   in Loop: Header=BB249_13 Depth=1
	v_and_b32_e32 v50, 0xff, v1
	s_delay_alu instid0(VALU_DEP_1)
	v_cmp_ne_u16_e64 s5, 0x80, v50
	v_mov_b32_e32 v50, 0x8000
	s_and_saveexec_b32 s44, s5
	s_cbranch_execz .LBB249_233
; %bb.228:                              ;   in Loop: Header=BB249_13 Depth=1
	v_and_b32_e32 v52, 0x7f, v1
	v_mov_b32_e32 v50, 0x7c01
	s_mov_b32 s45, exec_lo
	s_delay_alu instid0(VALU_DEP_2)
	v_cmpx_ne_u32_e32 0x7f, v52
	s_cbranch_execz .LBB249_232
; %bb.229:                              ;   in Loop: Header=BB249_13 Depth=1
	v_and_b32_e32 v50, 7, v1
	v_lshrrev_b32_e32 v51, 3, v52
	s_mov_b32 s46, exec_lo
	v_cmpx_gt_u32_e32 8, v52
; %bb.230:                              ;   in Loop: Header=BB249_13 Depth=1
	s_delay_alu instid0(VALU_DEP_3) | instskip(NEXT) | instid1(VALU_DEP_1)
	v_clz_i32_u32_e32 v50, v50
	v_min_u32_e32 v52, 32, v50
	s_delay_alu instid0(VALU_DEP_1) | instskip(NEXT) | instid1(VALU_DEP_1)
	v_subrev_nc_u32_e32 v50, 28, v52
	v_lshlrev_b64_e32 v[50:51], v50, v[1:2]
	v_sub_nc_u32_e32 v51, 29, v52
	s_delay_alu instid0(VALU_DEP_2)
	v_and_b32_e32 v50, 7, v50
; %bb.231:                              ;   in Loop: Header=BB249_13 Depth=1
	s_wait_alu 0xfffe
	s_or_b32 exec_lo, exec_lo, s46
	v_lshlrev_b32_e32 v52, 8, v1
	v_lshl_add_u32 v51, v51, 10, 0x2000
	v_lshlrev_b32_e32 v50, 7, v50
	s_delay_alu instid0(VALU_DEP_3) | instskip(NEXT) | instid1(VALU_DEP_3)
	v_and_b32_e32 v52, 0x8000, v52
	v_and_b32_e32 v51, 0xfc00, v51
	s_delay_alu instid0(VALU_DEP_1)
	v_or3_b32 v50, v52, v51, v50
.LBB249_232:                            ;   in Loop: Header=BB249_13 Depth=1
	s_wait_alu 0xfffe
	s_or_b32 exec_lo, exec_lo, s45
.LBB249_233:                            ;   in Loop: Header=BB249_13 Depth=1
	s_wait_alu 0xfffe
	s_or_b32 exec_lo, exec_lo, s44
.LBB249_234:                            ;   in Loop: Header=BB249_13 Depth=1
	s_wait_alu 0xfffe
	s_or_b32 exec_lo, exec_lo, s43
	v_lshrrev_b16 v1, 8, v1
	s_mov_b32 s43, exec_lo
	s_delay_alu instid0(VALU_DEP_1)
	v_cmpx_ne_u16_e32 0, v1
	s_cbranch_execz .LBB249_242
; %bb.235:                              ;   in Loop: Header=BB249_13 Depth=1
	v_bfrev_b32_e32 v49, 1
	s_mov_b32 s44, exec_lo
	v_cmpx_ne_u16_e32 0x80, v1
	s_cbranch_execz .LBB249_241
; %bb.236:                              ;   in Loop: Header=BB249_13 Depth=1
	v_and_b32_e32 v51, 0xffff, v1
	v_mov_b32_e32 v49, 0x7c010000
	s_mov_b32 s45, exec_lo
	s_delay_alu instid0(VALU_DEP_2) | instskip(NEXT) | instid1(VALU_DEP_1)
	v_and_b32_e32 v53, 0x7f, v51
	v_cmpx_ne_u32_e32 0x7f, v53
	s_cbranch_execz .LBB249_240
; %bb.237:                              ;   in Loop: Header=BB249_13 Depth=1
	v_and_b32_e32 v49, 7, v51
	v_lshrrev_b32_e32 v52, 3, v53
	s_mov_b32 s46, exec_lo
	v_cmpx_gt_u32_e32 8, v53
; %bb.238:                              ;   in Loop: Header=BB249_13 Depth=1
	s_delay_alu instid0(VALU_DEP_3) | instskip(NEXT) | instid1(VALU_DEP_1)
	v_clz_i32_u32_e32 v49, v49
	v_min_u32_e32 v49, 32, v49
	s_delay_alu instid0(VALU_DEP_1) | instskip(NEXT) | instid1(VALU_DEP_1)
	v_subrev_nc_u32_e32 v52, 28, v49
	v_lshlrev_b64_e32 v[53:54], v52, v[1:2]
	v_sub_nc_u32_e32 v52, 29, v49
	s_delay_alu instid0(VALU_DEP_2)
	v_and_b32_e32 v49, 7, v53
; %bb.239:                              ;   in Loop: Header=BB249_13 Depth=1
	s_wait_alu 0xfffe
	s_or_b32 exec_lo, exec_lo, s46
	v_lshlrev_b32_e32 v1, 8, v51
	v_lshl_add_u32 v51, v52, 10, 0x2000
	v_lshlrev_b32_e32 v49, 23, v49
	s_delay_alu instid0(VALU_DEP_2) | instskip(NEXT) | instid1(VALU_DEP_1)
	v_and_or_b32 v1, 0x8000, v1, v51
	v_lshl_or_b32 v49, v1, 16, v49
.LBB249_240:                            ;   in Loop: Header=BB249_13 Depth=1
	s_wait_alu 0xfffe
	s_or_b32 exec_lo, exec_lo, s45
.LBB249_241:                            ;   in Loop: Header=BB249_13 Depth=1
	s_wait_alu 0xfffe
	s_or_b32 exec_lo, exec_lo, s44
.LBB249_242:                            ;   in Loop: Header=BB249_13 Depth=1
	s_wait_alu 0xfffe
	s_or_b32 exec_lo, exec_lo, s43
	global_load_u16 v1, v[7:8], off offset:896
	s_wait_loadcnt 0x0
	v_dual_mov_b32 v51, 0 :: v_dual_and_b32 v52, 0xff, v1
	v_and_b32_e32 v1, 0xffff, v1
	s_delay_alu instid0(VALU_DEP_2)
	v_cmp_ne_u16_e64 s5, 0, v52
	v_mov_b32_e32 v52, 0
	s_and_saveexec_b32 s43, s5
	s_cbranch_execz .LBB249_250
; %bb.243:                              ;   in Loop: Header=BB249_13 Depth=1
	v_and_b32_e32 v52, 0xff, v1
	s_delay_alu instid0(VALU_DEP_1)
	v_cmp_ne_u16_e64 s5, 0x80, v52
	v_mov_b32_e32 v52, 0x8000
	s_and_saveexec_b32 s44, s5
	s_cbranch_execz .LBB249_249
; %bb.244:                              ;   in Loop: Header=BB249_13 Depth=1
	v_and_b32_e32 v54, 0x7f, v1
	v_mov_b32_e32 v52, 0x7c01
	s_mov_b32 s45, exec_lo
	s_delay_alu instid0(VALU_DEP_2)
	v_cmpx_ne_u32_e32 0x7f, v54
	s_cbranch_execz .LBB249_248
; %bb.245:                              ;   in Loop: Header=BB249_13 Depth=1
	v_and_b32_e32 v52, 7, v1
	v_lshrrev_b32_e32 v53, 3, v54
	s_mov_b32 s46, exec_lo
	v_cmpx_gt_u32_e32 8, v54
; %bb.246:                              ;   in Loop: Header=BB249_13 Depth=1
	s_delay_alu instid0(VALU_DEP_3) | instskip(NEXT) | instid1(VALU_DEP_1)
	v_clz_i32_u32_e32 v52, v52
	v_min_u32_e32 v54, 32, v52
	s_delay_alu instid0(VALU_DEP_1) | instskip(NEXT) | instid1(VALU_DEP_1)
	v_subrev_nc_u32_e32 v52, 28, v54
	v_lshlrev_b64_e32 v[52:53], v52, v[1:2]
	v_sub_nc_u32_e32 v53, 29, v54
	s_delay_alu instid0(VALU_DEP_2)
	v_and_b32_e32 v52, 7, v52
; %bb.247:                              ;   in Loop: Header=BB249_13 Depth=1
	s_wait_alu 0xfffe
	s_or_b32 exec_lo, exec_lo, s46
	v_lshlrev_b32_e32 v54, 8, v1
	v_lshl_add_u32 v53, v53, 10, 0x2000
	v_lshlrev_b32_e32 v52, 7, v52
	s_delay_alu instid0(VALU_DEP_3) | instskip(NEXT) | instid1(VALU_DEP_3)
	v_and_b32_e32 v54, 0x8000, v54
	v_and_b32_e32 v53, 0xfc00, v53
	s_delay_alu instid0(VALU_DEP_1)
	v_or3_b32 v52, v54, v53, v52
.LBB249_248:                            ;   in Loop: Header=BB249_13 Depth=1
	s_wait_alu 0xfffe
	s_or_b32 exec_lo, exec_lo, s45
.LBB249_249:                            ;   in Loop: Header=BB249_13 Depth=1
	s_wait_alu 0xfffe
	s_or_b32 exec_lo, exec_lo, s44
.LBB249_250:                            ;   in Loop: Header=BB249_13 Depth=1
	s_wait_alu 0xfffe
	s_or_b32 exec_lo, exec_lo, s43
	v_lshrrev_b16 v1, 8, v1
	s_mov_b32 s43, exec_lo
	s_delay_alu instid0(VALU_DEP_1)
	v_cmpx_ne_u16_e32 0, v1
	s_cbranch_execz .LBB249_258
; %bb.251:                              ;   in Loop: Header=BB249_13 Depth=1
	v_bfrev_b32_e32 v51, 1
	s_mov_b32 s44, exec_lo
	v_cmpx_ne_u16_e32 0x80, v1
	s_cbranch_execz .LBB249_257
; %bb.252:                              ;   in Loop: Header=BB249_13 Depth=1
	v_and_b32_e32 v53, 0xffff, v1
	v_mov_b32_e32 v51, 0x7c010000
	s_mov_b32 s45, exec_lo
	s_delay_alu instid0(VALU_DEP_2) | instskip(NEXT) | instid1(VALU_DEP_1)
	v_and_b32_e32 v55, 0x7f, v53
	v_cmpx_ne_u32_e32 0x7f, v55
	s_cbranch_execz .LBB249_256
; %bb.253:                              ;   in Loop: Header=BB249_13 Depth=1
	v_and_b32_e32 v51, 7, v53
	v_lshrrev_b32_e32 v54, 3, v55
	s_mov_b32 s46, exec_lo
	v_cmpx_gt_u32_e32 8, v55
; %bb.254:                              ;   in Loop: Header=BB249_13 Depth=1
	s_delay_alu instid0(VALU_DEP_3) | instskip(NEXT) | instid1(VALU_DEP_1)
	v_clz_i32_u32_e32 v51, v51
	v_min_u32_e32 v51, 32, v51
	s_delay_alu instid0(VALU_DEP_1) | instskip(NEXT) | instid1(VALU_DEP_1)
	v_subrev_nc_u32_e32 v54, 28, v51
	v_lshlrev_b64_e32 v[55:56], v54, v[1:2]
	v_sub_nc_u32_e32 v54, 29, v51
	s_delay_alu instid0(VALU_DEP_2)
	v_and_b32_e32 v51, 7, v55
; %bb.255:                              ;   in Loop: Header=BB249_13 Depth=1
	s_wait_alu 0xfffe
	s_or_b32 exec_lo, exec_lo, s46
	v_lshlrev_b32_e32 v1, 8, v53
	v_lshl_add_u32 v53, v54, 10, 0x2000
	v_lshlrev_b32_e32 v51, 23, v51
	s_delay_alu instid0(VALU_DEP_2) | instskip(NEXT) | instid1(VALU_DEP_1)
	v_and_or_b32 v1, 0x8000, v1, v53
	v_lshl_or_b32 v51, v1, 16, v51
.LBB249_256:                            ;   in Loop: Header=BB249_13 Depth=1
	s_wait_alu 0xfffe
	s_or_b32 exec_lo, exec_lo, s45
.LBB249_257:                            ;   in Loop: Header=BB249_13 Depth=1
	s_wait_alu 0xfffe
	s_or_b32 exec_lo, exec_lo, s44
.LBB249_258:                            ;   in Loop: Header=BB249_13 Depth=1
	s_wait_alu 0xfffe
	s_or_b32 exec_lo, exec_lo, s43
	global_load_u16 v1, v[7:8], off offset:904
	s_wait_loadcnt 0x0
	v_dual_mov_b32 v7, 0 :: v_dual_and_b32 v8, 0xff, v1
	v_and_b32_e32 v1, 0xffff, v1
	s_delay_alu instid0(VALU_DEP_2)
	v_cmp_ne_u16_e64 s5, 0, v8
	v_mov_b32_e32 v8, 0
	s_and_saveexec_b32 s43, s5
	s_cbranch_execz .LBB249_266
; %bb.259:                              ;   in Loop: Header=BB249_13 Depth=1
	v_and_b32_e32 v8, 0xff, v1
	s_delay_alu instid0(VALU_DEP_1)
	v_cmp_ne_u16_e64 s5, 0x80, v8
	v_mov_b32_e32 v8, 0x8000
	s_and_saveexec_b32 s44, s5
	s_cbranch_execz .LBB249_265
; %bb.260:                              ;   in Loop: Header=BB249_13 Depth=1
	v_and_b32_e32 v54, 0x7f, v1
	v_mov_b32_e32 v8, 0x7c01
	s_mov_b32 s45, exec_lo
	s_delay_alu instid0(VALU_DEP_2)
	v_cmpx_ne_u32_e32 0x7f, v54
	s_cbranch_execz .LBB249_264
; %bb.261:                              ;   in Loop: Header=BB249_13 Depth=1
	v_and_b32_e32 v8, 7, v1
	v_lshrrev_b32_e32 v53, 3, v54
	s_mov_b32 s46, exec_lo
	v_cmpx_gt_u32_e32 8, v54
; %bb.262:                              ;   in Loop: Header=BB249_13 Depth=1
	s_delay_alu instid0(VALU_DEP_3) | instskip(NEXT) | instid1(VALU_DEP_1)
	v_clz_i32_u32_e32 v8, v8
	v_min_u32_e32 v8, 32, v8
	s_delay_alu instid0(VALU_DEP_1) | instskip(NEXT) | instid1(VALU_DEP_1)
	v_subrev_nc_u32_e32 v53, 28, v8
	v_lshlrev_b64_e32 v[54:55], v53, v[1:2]
	v_sub_nc_u32_e32 v53, 29, v8
	s_delay_alu instid0(VALU_DEP_2)
	v_and_b32_e32 v8, 7, v54
; %bb.263:                              ;   in Loop: Header=BB249_13 Depth=1
	s_wait_alu 0xfffe
	s_or_b32 exec_lo, exec_lo, s46
	v_lshlrev_b32_e32 v54, 8, v1
	v_lshl_add_u32 v53, v53, 10, 0x2000
	v_lshlrev_b32_e32 v8, 7, v8
	s_delay_alu instid0(VALU_DEP_3) | instskip(NEXT) | instid1(VALU_DEP_3)
	v_and_b32_e32 v54, 0x8000, v54
	v_and_b32_e32 v53, 0xfc00, v53
	s_delay_alu instid0(VALU_DEP_1)
	v_or3_b32 v8, v54, v53, v8
.LBB249_264:                            ;   in Loop: Header=BB249_13 Depth=1
	s_wait_alu 0xfffe
	s_or_b32 exec_lo, exec_lo, s45
.LBB249_265:                            ;   in Loop: Header=BB249_13 Depth=1
	s_wait_alu 0xfffe
	s_or_b32 exec_lo, exec_lo, s44
.LBB249_266:                            ;   in Loop: Header=BB249_13 Depth=1
	s_wait_alu 0xfffe
	s_or_b32 exec_lo, exec_lo, s43
	v_lshrrev_b16 v1, 8, v1
	s_mov_b32 s43, exec_lo
	s_delay_alu instid0(VALU_DEP_1)
	v_cmpx_ne_u16_e32 0, v1
	s_cbranch_execz .LBB249_274
; %bb.267:                              ;   in Loop: Header=BB249_13 Depth=1
	v_bfrev_b32_e32 v7, 1
	s_mov_b32 s44, exec_lo
	v_cmpx_ne_u16_e32 0x80, v1
	s_cbranch_execz .LBB249_273
; %bb.268:                              ;   in Loop: Header=BB249_13 Depth=1
	v_and_b32_e32 v53, 0xffff, v1
	v_mov_b32_e32 v7, 0x7c010000
	s_mov_b32 s45, exec_lo
	s_delay_alu instid0(VALU_DEP_2) | instskip(NEXT) | instid1(VALU_DEP_1)
	v_and_b32_e32 v55, 0x7f, v53
	v_cmpx_ne_u32_e32 0x7f, v55
	s_cbranch_execz .LBB249_272
; %bb.269:                              ;   in Loop: Header=BB249_13 Depth=1
	v_and_b32_e32 v7, 7, v53
	v_lshrrev_b32_e32 v54, 3, v55
	s_mov_b32 s46, exec_lo
	v_cmpx_gt_u32_e32 8, v55
; %bb.270:                              ;   in Loop: Header=BB249_13 Depth=1
	s_delay_alu instid0(VALU_DEP_3) | instskip(NEXT) | instid1(VALU_DEP_1)
	v_clz_i32_u32_e32 v7, v7
	v_min_u32_e32 v7, 32, v7
	s_delay_alu instid0(VALU_DEP_1) | instskip(NEXT) | instid1(VALU_DEP_1)
	v_subrev_nc_u32_e32 v54, 28, v7
	v_lshlrev_b64_e32 v[55:56], v54, v[1:2]
	v_sub_nc_u32_e32 v54, 29, v7
	s_delay_alu instid0(VALU_DEP_2)
	v_and_b32_e32 v7, 7, v55
; %bb.271:                              ;   in Loop: Header=BB249_13 Depth=1
	s_wait_alu 0xfffe
	s_or_b32 exec_lo, exec_lo, s46
	v_lshlrev_b32_e32 v1, 8, v53
	v_lshl_add_u32 v53, v54, 10, 0x2000
	v_lshlrev_b32_e32 v7, 23, v7
	s_delay_alu instid0(VALU_DEP_2) | instskip(NEXT) | instid1(VALU_DEP_1)
	v_and_or_b32 v1, 0x8000, v1, v53
	v_lshl_or_b32 v7, v1, 16, v7
.LBB249_272:                            ;   in Loop: Header=BB249_13 Depth=1
	s_wait_alu 0xfffe
	s_or_b32 exec_lo, exec_lo, s45
.LBB249_273:                            ;   in Loop: Header=BB249_13 Depth=1
	s_wait_alu 0xfffe
	s_or_b32 exec_lo, exec_lo, s44
.LBB249_274:                            ;   in Loop: Header=BB249_13 Depth=1
	s_wait_alu 0xfffe
	s_or_b32 exec_lo, exec_lo, s43
	ds_load_b32 v1, v16
	v_or_b32_e32 v24, v23, v24
	v_fma_mixlo_f16 v23, v22, v23, 0 op_sel:[0,1,0] op_sel_hi:[0,1,0]
	v_or_b32_e32 v26, v25, v26
	v_fma_mixlo_f16 v25, v22, v25, 0 op_sel:[0,1,0] op_sel_hi:[0,1,0]
	v_or_b32_e32 v28, v27, v28
	v_fma_mixlo_f16 v24, v22, v24, 0 op_sel_hi:[0,1,0]
	v_and_b32_e32 v55, 0xffff, v23
	v_fma_mixlo_f16 v26, v22, v26, 0 op_sel_hi:[0,1,0]
	v_and_b32_e32 v57, 0xffff, v25
	v_fma_mixlo_f16 v28, v22, v28, 0 op_sel_hi:[0,1,0]
	v_and_b32_e32 v24, 0xffff, v24
	v_fma_mixlo_f16 v27, v22, v27, 0 op_sel:[0,1,0] op_sel_hi:[0,1,0]
	v_or_b32_e32 v30, v29, v30
	v_fma_mixlo_f16 v29, v22, v29, 0 op_sel:[0,1,0] op_sel_hi:[0,1,0]
	v_and_b32_e32 v58, 0xffff, v28
	v_or_b32_e32 v32, v31, v32
	v_and_b32_e32 v59, 0xffff, v27
	v_fma_mixlo_f16 v30, v22, v30, 0 op_sel_hi:[0,1,0]
	v_and_b32_e32 v61, 0xffff, v29
	s_wait_dscnt 0x0
	v_and_b32_e32 v53, 0xffff, v1
	v_lshrrev_b32_e32 v54, 16, v1
	;;#ASMSTART
	v_cvt_f32_f16 v1, v53;
	;;#ASMEND
	;;#ASMSTART
	v_cvt_f32_f16 v23, v54;
	;;#ASMEND
	;; [unrolled: 3-line block ×4, first 2 shown]
	ds_load_b32 v54, v16 offset:4
	v_and_b32_e32 v56, 0xffff, v26
	v_fma_mixlo_f16 v32, v22, v32, 0 op_sel_hi:[0,1,0]
	v_fma_mixlo_f16 v31, v22, v31, 0 op_sel:[0,1,0] op_sel_hi:[0,1,0]
	v_or_b32_e32 v34, v33, v34
	v_fma_mixlo_f16 v33, v22, v33, 0 op_sel:[0,1,0] op_sel_hi:[0,1,0]
	v_or_b32_e32 v36, v35, v36
	v_fma_mixlo_f16 v35, v22, v35, 0 op_sel:[0,1,0] op_sel_hi:[0,1,0]
	v_and_b32_e32 v63, 0xffff, v31
	v_fma_mixlo_f16 v34, v22, v34, 0 op_sel_hi:[0,1,0]
	v_and_b32_e32 v65, 0xffff, v33
	v_fma_mixlo_f16 v36, v22, v36, 0 op_sel_hi:[0,1,0]
	v_and_b32_e32 v67, 0xffff, v35
	v_or_b32_e32 v38, v37, v38
	v_fma_mixlo_f16 v37, v22, v37, 0 op_sel:[0,1,0] op_sel_hi:[0,1,0]
	v_or_b32_e32 v40, v39, v40
	v_and_b32_e32 v66, 0xffff, v36
	v_fma_mixlo_f16 v39, v22, v39, 0 op_sel:[0,1,0] op_sel_hi:[0,1,0]
	v_fma_mixlo_f16 v38, v22, v38, 0 op_sel_hi:[0,1,0]
	v_and_b32_e32 v69, 0xffff, v37
	s_wait_dscnt 0x0
	v_and_b32_e32 v55, 0xffff, v54
	v_lshrrev_b32_e32 v54, 16, v54
	;;#ASMSTART
	v_cvt_f32_f16 v25, v55;
	;;#ASMEND
	;;#ASMSTART
	v_cvt_f32_f16 v26, v54;
	;;#ASMEND
	;; [unrolled: 3-line block ×4, first 2 shown]
	ds_load_b32 v56, v16 offset:8
	v_mul_f32_e32 v25, v25, v54
	v_fma_mixlo_f16 v40, v22, v40, 0 op_sel_hi:[0,1,0]
	v_and_b32_e32 v71, 0xffff, v39
	v_or_b32_e32 v42, v41, v42
	v_fma_mixlo_f16 v41, v22, v41, 0 op_sel:[0,1,0] op_sel_hi:[0,1,0]
	v_fmac_f32_e32 v25, v1, v24
	v_or_b32_e32 v44, v43, v44
	v_fma_mixlo_f16 v43, v22, v43, 0 op_sel:[0,1,0] op_sel_hi:[0,1,0]
	v_fma_mixlo_f16 v42, v22, v42, 0 op_sel_hi:[0,1,0]
	v_and_b32_e32 v73, 0xffff, v41
	v_or_b32_e32 v46, v45, v46
	v_fma_mixlo_f16 v44, v22, v44, 0 op_sel_hi:[0,1,0]
	v_and_b32_e32 v75, 0xffff, v43
	v_fma_mixlo_f16 v45, v22, v45, 0 op_sel:[0,1,0] op_sel_hi:[0,1,0]
	v_mul_f32_e32 v26, v26, v55
	v_fma_mixlo_f16 v46, v22, v46, 0 op_sel_hi:[0,1,0]
	v_and_b32_e32 v74, 0xffff, v44
	v_or_b32_e32 v48, v47, v48
	v_and_b32_e32 v77, 0xffff, v45
	s_wait_dscnt 0x0
	v_and_b32_e32 v57, 0xffff, v56
	v_lshrrev_b32_e32 v56, 16, v56
	;;#ASMSTART
	v_cvt_f32_f16 v27, v57;
	;;#ASMEND
	;;#ASMSTART
	v_cvt_f32_f16 v28, v56;
	;;#ASMEND
	;; [unrolled: 3-line block ×4, first 2 shown]
	ds_load_b32 v58, v16 offset:12
	v_dual_fmac_f32 v25, v27, v56 :: v_dual_and_b32 v60, 0xffff, v30
	v_fmac_f32_e32 v26, v23, v53
	v_fma_mixlo_f16 v48, v22, v48, 0 op_sel_hi:[0,1,0]
	v_fma_mixlo_f16 v47, v22, v47, 0 op_sel:[0,1,0] op_sel_hi:[0,1,0]
	v_or_b32_e32 v1, v49, v50
	v_fma_mixlo_f16 v23, v22, v49, 0 op_sel:[0,1,0] op_sel_hi:[0,1,0]
	v_fmac_f32_e32 v26, v28, v57
	v_or_b32_e32 v8, v7, v8
	v_and_b32_e32 v79, 0xffff, v47
	v_fma_mixlo_f16 v1, v22, v1, 0 op_sel_hi:[0,1,0]
	v_and_b32_e32 v27, 0xffff, v23
	v_fma_mixlo_f16 v7, v22, v7, 0 op_sel:[0,1,0] op_sel_hi:[0,1,0]
	v_fma_mixlo_f16 v8, v22, v8, 0 op_sel_hi:[0,1,0]
	s_wait_dscnt 0x0
	v_and_b32_e32 v59, 0xffff, v58
	v_lshrrev_b32_e32 v58, 16, v58
	;;#ASMSTART
	v_cvt_f32_f16 v29, v59;
	;;#ASMEND
	;;#ASMSTART
	v_cvt_f32_f16 v30, v58;
	;;#ASMEND
	;;#ASMSTART
	v_cvt_f32_f16 v58, v60;
	;;#ASMEND
	;;#ASMSTART
	v_cvt_f32_f16 v59, v61;
	;;#ASMEND
	ds_load_b32 v60, v16 offset:16
	v_dual_fmac_f32 v25, v29, v58 :: v_dual_and_b32 v62, 0xffff, v32
	v_fmac_f32_e32 v26, v30, v59
	v_or_b32_e32 v29, v51, v52
	v_fma_mixlo_f16 v30, v22, v51, 0 op_sel:[0,1,0] op_sel_hi:[0,1,0]
	s_delay_alu instid0(VALU_DEP_2)
	v_fma_mixlo_f16 v29, v22, v29, 0 op_sel_hi:[0,1,0]
	s_wait_dscnt 0x0
	v_and_b32_e32 v61, 0xffff, v60
	v_lshrrev_b32_e32 v60, 16, v60
	;;#ASMSTART
	v_cvt_f32_f16 v31, v61;
	;;#ASMEND
	;;#ASMSTART
	v_cvt_f32_f16 v32, v60;
	;;#ASMEND
	;; [unrolled: 3-line block ×4, first 2 shown]
	ds_load_b32 v62, v16 offset:20
	v_dual_fmac_f32 v25, v31, v60 :: v_dual_and_b32 v64, 0xffff, v34
	v_dual_fmac_f32 v26, v32, v61 :: v_dual_and_b32 v31, 0xffff, v30
	s_wait_dscnt 0x0
	v_and_b32_e32 v63, 0xffff, v62
	v_lshrrev_b32_e32 v62, 16, v62
	;;#ASMSTART
	v_cvt_f32_f16 v33, v63;
	;;#ASMEND
	;;#ASMSTART
	v_cvt_f32_f16 v34, v62;
	;;#ASMEND
	;; [unrolled: 3-line block ×4, first 2 shown]
	ds_load_b32 v64, v16 offset:24
	v_dual_fmac_f32 v25, v33, v62 :: v_dual_fmac_f32 v26, v34, v63
	v_and_b32_e32 v33, 0xffff, v29
	s_wait_dscnt 0x0
	v_and_b32_e32 v65, 0xffff, v64
	v_lshrrev_b32_e32 v64, 16, v64
	;;#ASMSTART
	v_cvt_f32_f16 v35, v65;
	;;#ASMEND
	;;#ASMSTART
	v_cvt_f32_f16 v36, v64;
	;;#ASMEND
	;;#ASMSTART
	v_cvt_f32_f16 v64, v66;
	;;#ASMEND
	;;#ASMSTART
	v_cvt_f32_f16 v65, v67;
	;;#ASMEND
	ds_load_b32 v66, v16 offset:28
	v_dual_fmac_f32 v25, v35, v64 :: v_dual_and_b32 v68, 0xffff, v38
	s_wait_dscnt 0x0
	v_dual_fmac_f32 v26, v36, v65 :: v_dual_and_b32 v67, 0xffff, v66
	v_lshrrev_b32_e32 v66, 16, v66
	;;#ASMSTART
	v_cvt_f32_f16 v37, v67;
	;;#ASMEND
	;;#ASMSTART
	v_cvt_f32_f16 v38, v66;
	;;#ASMEND
	;;#ASMSTART
	v_cvt_f32_f16 v66, v68;
	;;#ASMEND
	;;#ASMSTART
	v_cvt_f32_f16 v67, v69;
	;;#ASMEND
	ds_load_b32 v68, v16 offset:32
	v_dual_fmac_f32 v25, v37, v66 :: v_dual_and_b32 v70, 0xffff, v40
	s_wait_dscnt 0x0
	v_dual_fmac_f32 v26, v38, v67 :: v_dual_and_b32 v69, 0xffff, v68
	;; [unrolled: 17-line block ×3, first 2 shown]
	v_lshrrev_b32_e32 v70, 16, v70
	;;#ASMSTART
	v_cvt_f32_f16 v41, v71;
	;;#ASMEND
	;;#ASMSTART
	v_cvt_f32_f16 v42, v70;
	;;#ASMEND
	;;#ASMSTART
	v_cvt_f32_f16 v70, v72;
	;;#ASMEND
	;;#ASMSTART
	v_cvt_f32_f16 v71, v73;
	;;#ASMEND
	ds_load_b32 v72, v16 offset:40
	v_dual_fmac_f32 v25, v41, v70 :: v_dual_fmac_f32 v26, v42, v71
	s_wait_dscnt 0x0
	v_and_b32_e32 v73, 0xffff, v72
	v_lshrrev_b32_e32 v72, 16, v72
	;;#ASMSTART
	v_cvt_f32_f16 v43, v73;
	;;#ASMEND
	;;#ASMSTART
	v_cvt_f32_f16 v44, v72;
	;;#ASMEND
	;;#ASMSTART
	v_cvt_f32_f16 v72, v74;
	;;#ASMEND
	;;#ASMSTART
	v_cvt_f32_f16 v73, v75;
	;;#ASMEND
	ds_load_b32 v74, v16 offset:44
	v_dual_fmac_f32 v25, v43, v72 :: v_dual_and_b32 v76, 0xffff, v46
	s_wait_dscnt 0x0
	v_dual_fmac_f32 v26, v44, v73 :: v_dual_and_b32 v75, 0xffff, v74
	v_lshrrev_b32_e32 v74, 16, v74
	;;#ASMSTART
	v_cvt_f32_f16 v45, v75;
	;;#ASMEND
	;;#ASMSTART
	v_cvt_f32_f16 v46, v74;
	;;#ASMEND
	;;#ASMSTART
	v_cvt_f32_f16 v74, v76;
	;;#ASMEND
	;;#ASMSTART
	v_cvt_f32_f16 v75, v77;
	;;#ASMEND
	ds_load_b32 v76, v16 offset:48
	v_dual_fmac_f32 v25, v45, v74 :: v_dual_and_b32 v78, 0xffff, v48
	s_wait_dscnt 0x0
	v_dual_fmac_f32 v26, v46, v75 :: v_dual_and_b32 v77, 0xffff, v76
	;; [unrolled: 17-line block ×3, first 2 shown]
	v_lshrrev_b32_e32 v24, 16, v78
	;;#ASMSTART
	v_cvt_f32_f16 v1, v23;
	;;#ASMEND
	;;#ASMSTART
	v_cvt_f32_f16 v23, v24;
	;;#ASMEND
	;; [unrolled: 3-line block ×4, first 2 shown]
	ds_load_b32 v28, v16 offset:56
	v_dual_fmac_f32 v25, v1, v24 :: v_dual_and_b32 v34, 0xffff, v7
	v_dual_fmac_f32 v26, v23, v27 :: v_dual_and_b32 v23, 0xffff, v8
	s_wait_dscnt 0x0
	v_and_b32_e32 v30, 0xffff, v28
	v_lshrrev_b32_e32 v32, 16, v28
	;;#ASMSTART
	v_cvt_f32_f16 v28, v30;
	;;#ASMEND
	;;#ASMSTART
	v_cvt_f32_f16 v29, v32;
	;;#ASMEND
	;; [unrolled: 3-line block ×4, first 2 shown]
	ds_load_b32 v32, v16 offset:60
	v_xor_b32_e32 v33, 2, v10
	v_dual_fmac_f32 v25, v28, v30 :: v_dual_fmac_f32 v26, v29, v31
	s_delay_alu instid0(VALU_DEP_2) | instskip(SKIP_1) | instid1(VALU_DEP_1)
	v_cmp_gt_i32_e64 s5, 32, v33
	s_wait_alu 0xf1ff
	v_cndmask_b32_e64 v7, v10, v33, s5
	s_wait_dscnt 0x0
	v_and_b32_e32 v1, 0xffff, v32
	v_lshrrev_b32_e32 v22, 16, v32
	;;#ASMSTART
	v_cvt_f32_f16 v1, v1;
	;;#ASMEND
	;;#ASMSTART
	v_cvt_f32_f16 v8, v22;
	;;#ASMEND
	;; [unrolled: 3-line block ×4, first 2 shown]
	v_dual_fmac_f32 v25, v1, v22 :: v_dual_fmac_f32 v26, v8, v23
	v_lshlrev_b32_e32 v1, 2, v7
	v_xor_b32_e32 v8, 1, v10
	s_delay_alu instid0(VALU_DEP_3) | instskip(NEXT) | instid1(VALU_DEP_2)
	v_add_f32_e32 v7, v25, v26
	v_cmp_gt_i32_e64 s5, 32, v8
	ds_bpermute_b32 v1, v1, v7
	s_wait_alu 0xf1ff
	v_cndmask_b32_e64 v8, v10, v8, s5
	s_wait_dscnt 0x0
	v_add_f32_e32 v1, v7, v1
	s_delay_alu instid0(VALU_DEP_2)
	v_lshlrev_b32_e32 v7, 2, v8
	ds_bpermute_b32 v7, v7, v1
	s_and_saveexec_b32 s43, s4
	s_cbranch_execz .LBB249_11
; %bb.275:                              ;   in Loop: Header=BB249_13 Depth=1
	s_wait_dscnt 0x0
	v_dual_add_f32 v1, v1, v7 :: v_dual_add_nc_u32 v8, v18, v17
	s_delay_alu instid0(VALU_DEP_1) | instskip(NEXT) | instid1(VALU_DEP_1)
	v_cvt_f32_i32_e32 v8, v8
	v_mul_f32_e32 v8, s18, v8
	s_delay_alu instid0(VALU_DEP_1) | instskip(NEXT) | instid1(VALU_DEP_1)
	v_dual_cndmask_b32 v7, 0, v8 :: v_dual_max_num_f32 v8, v15, v15
	v_fmac_f32_e32 v7, s7, v1
	s_delay_alu instid0(VALU_DEP_1) | instskip(NEXT) | instid1(VALU_DEP_1)
	v_dual_max_num_f32 v8, v8, v7 :: v_dual_add_nc_u32 v1, v14, v17
	v_cmp_gt_i32_e64 s5, s36, v1
	s_wait_alu 0xf1ff
	s_delay_alu instid0(VALU_DEP_1) | instskip(NEXT) | instid1(VALU_DEP_3)
	v_cndmask_b32_e64 v1, 0, v7, s5
	v_cndmask_b32_e64 v15, v15, v8, s5
	ds_store_b32 v19, v1
	s_branch .LBB249_11
.LBB249_276:
	s_or_b32 exec_lo, exec_lo, s34
.LBB249_277:
	s_delay_alu instid0(SALU_CYCLE_1)
	s_or_b32 exec_lo, exec_lo, s16
	v_xor_b32_e32 v1, 16, v10
	v_xor_b32_e32 v3, 8, v10
	s_clause 0x2
	s_load_b128 s[16:19], s[0:1], 0x0
	s_load_b64 s[6:7], s[0:1], 0x10
	s_load_b64 s[34:35], s[0:1], 0x28
	v_dual_max_num_f32 v5, v15, v15 :: v_dual_and_b32 v14, 31, v0
	v_cmp_gt_i32_e32 vcc_lo, 32, v1
	s_wait_alu 0xfffd
	v_cndmask_b32_e32 v1, v10, v1, vcc_lo
	v_cmp_gt_i32_e32 vcc_lo, 32, v3
	s_wait_alu 0xfffd
	v_cndmask_b32_e32 v3, v10, v3, vcc_lo
	s_delay_alu instid0(VALU_DEP_1) | instskip(SKIP_4) | instid1(VALU_DEP_1)
	v_lshlrev_b32_e32 v4, 2, v3
	v_lshlrev_b32_e32 v2, 2, v1
	ds_bpermute_b32 v1, v2, v15
	s_wait_dscnt 0x0
	v_max_num_f32_e32 v1, v1, v1
	v_max_num_f32_e32 v1, v5, v1
	v_xor_b32_e32 v5, 4, v10
	ds_bpermute_b32 v3, v4, v1
	v_cmp_gt_i32_e32 vcc_lo, 32, v5
	s_wait_alu 0xfffd
	v_cndmask_b32_e32 v5, v10, v5, vcc_lo
	v_cmp_eq_u32_e32 vcc_lo, 0, v14
	s_delay_alu instid0(VALU_DEP_2) | instskip(SKIP_3) | instid1(VALU_DEP_1)
	v_lshlrev_b32_e32 v7, 2, v5
	v_lshlrev_b32_e32 v5, 2, v11
	s_wait_dscnt 0x0
	v_max_num_f32_e32 v3, v3, v3
	v_max_num_f32_e32 v1, v1, v3
	ds_bpermute_b32 v3, v7, v1
	s_and_saveexec_b32 s0, vcc_lo
	s_cbranch_execz .LBB249_279
; %bb.278:
	s_wait_dscnt 0x0
	v_max_num_f32_e32 v3, v3, v3
	v_max_num_f32_e32 v1, v1, v1
	s_delay_alu instid0(VALU_DEP_1)
	v_max_num_f32_e32 v1, v1, v3
	ds_store_b32 v5, v1 offset:256
.LBB249_279:
	s_or_b32 exec_lo, exec_lo, s0
	v_cmp_gt_u32_e64 s0, 4, v14
	v_dual_mov_b32 v1, 0xff7fffff :: v_dual_lshlrev_b32 v6, 2, v14
	s_wait_loadcnt_dscnt 0x0
	s_barrier_signal -1
	s_barrier_wait -1
	global_inv scope:SCOPE_SE
	s_and_saveexec_b32 s1, s0
; %bb.280:
	ds_load_b32 v1, v6 offset:256
; %bb.281:
	s_or_b32 exec_lo, exec_lo, s1
	v_xor_b32_e32 v3, 2, v10
	v_xor_b32_e32 v15, 1, v10
	s_delay_alu instid0(VALU_DEP_2) | instskip(NEXT) | instid1(VALU_DEP_1)
	v_cmp_gt_i32_e64 s1, 32, v3
	v_cndmask_b32_e64 v3, v10, v3, s1
	s_delay_alu instid0(VALU_DEP_3) | instskip(NEXT) | instid1(VALU_DEP_2)
	v_cmp_gt_i32_e64 s1, 32, v15
	v_lshlrev_b32_e32 v8, 2, v3
	s_wait_alu 0xf1ff
	s_delay_alu instid0(VALU_DEP_2)
	v_cndmask_b32_e64 v10, v10, v15, s1
	v_mov_b32_e32 v15, 0
	s_sub_co_i32 s1, s27, s42
	s_wait_alu 0xfffe
	s_lshl_b32 s1, s1, 3
	s_wait_dscnt 0x0
	ds_bpermute_b32 v3, v8, v1
	v_max_num_f32_e32 v1, v1, v1
	s_wait_alu 0xfffe
	s_add_co_i32 s1, s1, s39
	v_lshlrev_b32_e32 v10, 2, v10
	s_wait_alu 0xfffe
	s_min_i32 s1, s1, s36
	s_wait_alu 0xfffe
	s_sub_co_i32 s5, s1, s39
	s_wait_alu 0xfffe
	v_cmp_gt_i32_e64 s1, s5, v0
	s_wait_dscnt 0x0
	v_max_num_f32_e32 v3, v3, v3
	s_delay_alu instid0(VALU_DEP_1) | instskip(SKIP_3) | instid1(VALU_DEP_1)
	v_max_num_f32_e32 v1, v1, v3
	ds_bpermute_b32 v3, v10, v1
	s_wait_dscnt 0x0
	v_max_num_f32_e32 v3, v3, v3
	v_max_num_f32_e32 v1, v1, v3
	v_lshl_add_u32 v3, v0, 2, 0x120
	ds_bpermute_b32 v1, v15, v1
	s_and_saveexec_b32 s8, s1
	s_cbranch_execz .LBB249_285
; %bb.282:
	v_lshl_add_u32 v16, v0, 2, 0x120
	v_mov_b32_e32 v15, 0
	v_mov_b32_e32 v17, v0
	s_mov_b32 s9, 0
.LBB249_283:                            ; =>This Inner Loop Header: Depth=1
	ds_load_b32 v18, v16
	v_add_nc_u32_e32 v17, 0x80, v17
	s_delay_alu instid0(VALU_DEP_1) | instskip(SKIP_4) | instid1(VALU_DEP_1)
	v_cmp_le_i32_e64 s4, s5, v17
	s_wait_alu 0xfffe
	s_or_b32 s9, s4, s9
	s_wait_dscnt 0x0
	v_sub_f32_e32 v18, v18, v1
	v_mul_f32_e32 v18, 0x3fb8aa3b, v18
	s_delay_alu instid0(VALU_DEP_1)
	v_exp_f32_e32 v18, v18
	ds_store_b32 v16, v18
	v_dual_add_f32 v15, v15, v18 :: v_dual_add_nc_u32 v16, 0x200, v16
	s_wait_alu 0xfffe
	s_and_not1_b32 exec_lo, exec_lo, s9
	s_cbranch_execnz .LBB249_283
; %bb.284:
	s_or_b32 exec_lo, exec_lo, s9
.LBB249_285:
	s_wait_alu 0xfffe
	s_or_b32 exec_lo, exec_lo, s8
	ds_bpermute_b32 v2, v2, v15
	s_wait_dscnt 0x0
	v_add_f32_e32 v2, v15, v2
	ds_bpermute_b32 v4, v4, v2
	s_wait_dscnt 0x0
	v_add_f32_e32 v2, v2, v4
	;; [unrolled: 3-line block ×5, first 2 shown]
	s_and_saveexec_b32 s4, vcc_lo
; %bb.286:
	ds_store_b32 v5, v2 offset:272
; %bb.287:
	s_wait_alu 0xfffe
	s_or_b32 exec_lo, exec_lo, s4
	s_wait_loadcnt_dscnt 0x0
	s_barrier_signal -1
	s_barrier_wait -1
	global_inv scope:SCOPE_SE
	s_and_saveexec_b32 s4, s0
; %bb.288:
	ds_load_b32 v2, v6 offset:272
; %bb.289:
	s_wait_alu 0xfffe
	s_or_b32 exec_lo, exec_lo, s4
	s_wait_dscnt 0x0
	ds_bpermute_b32 v4, v8, v2
	s_wait_dscnt 0x0
	v_add_f32_e32 v2, v2, v4
	ds_bpermute_b32 v4, v10, v2
	s_wait_dscnt 0x0
	v_add_f32_e32 v2, v2, v4
	v_mov_b32_e32 v4, 0
	ds_bpermute_b32 v2, v4, v2
	s_and_saveexec_b32 s0, s1
	s_cbranch_execz .LBB249_292
; %bb.290:
	s_wait_dscnt 0x0
	v_add_f32_e32 v4, 0x358637bd, v2
	s_mov_b32 s1, 0
	s_delay_alu instid0(VALU_DEP_1) | instskip(SKIP_1) | instid1(VALU_DEP_2)
	v_div_scale_f32 v5, null, v4, v4, 1.0
	v_div_scale_f32 v8, vcc_lo, 1.0, v4, 1.0
	v_rcp_f32_e32 v6, v5
	s_delay_alu instid0(TRANS32_DEP_1) | instskip(NEXT) | instid1(VALU_DEP_1)
	v_fma_f32 v7, -v5, v6, 1.0
	v_fmac_f32_e32 v6, v7, v6
	s_delay_alu instid0(VALU_DEP_1) | instskip(NEXT) | instid1(VALU_DEP_1)
	v_mul_f32_e32 v7, v8, v6
	v_fma_f32 v10, -v5, v7, v8
	s_delay_alu instid0(VALU_DEP_1) | instskip(NEXT) | instid1(VALU_DEP_1)
	v_fmac_f32_e32 v7, v10, v6
	v_fma_f32 v5, -v5, v7, v8
	s_wait_alu 0xfffd
	s_delay_alu instid0(VALU_DEP_1) | instskip(NEXT) | instid1(VALU_DEP_1)
	v_div_fmas_f32 v5, v5, v6, v7
	v_div_fixup_f32 v4, v5, v4, 1.0
	v_mov_b32_e32 v5, v0
.LBB249_291:                            ; =>This Inner Loop Header: Depth=1
	ds_load_b32 v6, v3
	s_wait_dscnt 0x0
	v_dual_mul_f32 v6, v4, v6 :: v_dual_add_nc_u32 v5, 0x80, v5
	s_delay_alu instid0(VALU_DEP_1)
	v_cmp_le_i32_e32 vcc_lo, s5, v5
	ds_store_b32 v3, v6
	v_add_nc_u32_e32 v3, 0x200, v3
	s_wait_alu 0xfffe
	s_or_b32 s1, vcc_lo, s1
	s_wait_alu 0xfffe
	s_and_not1_b32 exec_lo, exec_lo, s1
	s_cbranch_execnz .LBB249_291
.LBB249_292:
	s_wait_alu 0xfffe
	s_or_b32 exec_lo, exec_lo, s0
	s_mul_i32 s0, s12, s37
	s_wait_loadcnt_dscnt 0x0
	s_wait_alu 0xfffe
	s_mul_i32 s4, s0, s38
	s_mov_b32 s0, exec_lo
	s_barrier_signal -1
	s_barrier_wait -1
	global_inv scope:SCOPE_SE
	v_cmpx_eq_u32_e32 0, v0
	s_cbranch_execz .LBB249_294
; %bb.293:
	s_wait_alu 0xfffe
	s_ashr_i32 s5, s4, 31
	s_mul_i32 s8, s12, ttmp9
	s_lshl_b32 s1, s33, 2
	s_wait_alu 0xfffe
	s_lshl_b64 s[38:39], s[4:5], 2
	s_ashr_i32 s9, s8, 31
	v_mov_b32_e32 v3, s1
	s_wait_kmcnt 0x0
	s_wait_alu 0xfffe
	s_add_nc_u64 s[18:19], s[18:19], s[38:39]
	s_lshl_b64 s[8:9], s[8:9], 2
	s_add_nc_u64 s[16:17], s[16:17], s[38:39]
	s_wait_alu 0xfffe
	s_add_nc_u64 s[18:19], s[18:19], s[8:9]
	s_add_nc_u64 s[8:9], s[16:17], s[8:9]
	s_clause 0x1
	global_store_b32 v3, v1, s[18:19]
	global_store_b32 v3, v2, s[8:9]
.LBB249_294:
	s_wait_alu 0xfffe
	s_or_b32 exec_lo, exec_lo, s0
	v_dual_mov_b32 v18, 0 :: v_dual_mov_b32 v17, 0
	v_dual_mov_b32 v16, 0 :: v_dual_mov_b32 v15, 0
	s_and_saveexec_b32 s1, s3
	s_cbranch_execz .LBB249_564
; %bb.295:
	s_abs_i32 s3, s14
	s_wait_kmcnt 0x0
	s_lshl_b64 s[16:17], s[30:31], 2
	s_wait_alu 0xfffe
	s_cvt_f32_u32 s0, s3
	v_dual_mov_b32 v2, 0 :: v_dual_lshlrev_b32 v5, 3, v14
	s_ashr_i32 s23, s22, 31
	s_wait_alu 0xfffe
	v_rcp_iflag_f32_e32 v1, s0
	s_add_nc_u64 s[16:17], s[28:29], s[16:17]
	s_add_nc_u64 s[18:19], s[34:35], s[22:23]
	s_wait_alu 0xfffe
	v_add_co_u32 v3, s16, s16, v9
	s_sub_co_i32 s14, 0, s3
	v_add_co_ci_u32_e64 v4, null, s17, 0, s16
	v_add_co_u32 v5, s16, s18, v5
	s_delay_alu instid0(TRANS32_DEP_1)
	v_readfirstlane_b32 s0, v1
	v_lshl_add_u32 v19, v11, 5, 0x120
	v_dual_mov_b32 v15, 0 :: v_dual_mov_b32 v16, 0
	v_dual_mov_b32 v17, 0 :: v_dual_mov_b32 v18, 0
	s_mul_f32 s0, s0, 0x4f7ffffe
	v_add_co_ci_u32_e64 v6, null, s19, 0, s16
	s_mov_b32 s8, -1
	s_wait_alu 0xfffe
	s_cvt_u32_f32 s0, s0
	s_sub_co_i32 s5, s41, s13
	s_mov_b32 s13, s21
	s_mov_b32 s9, 0xffffff
	s_wait_alu 0xfffe
	s_mul_i32 s14, s14, s0
	s_add_co_i32 s40, s40, -1
	s_wait_alu 0xfffe
	s_mul_hi_u32 s16, s0, s14
	s_mov_b32 s14, 0
	s_wait_alu 0xfffe
	s_add_co_i32 s16, s0, s16
	s_branch .LBB249_298
.LBB249_296:                            ;   in Loop: Header=BB249_298 Depth=1
	s_wait_alu 0xfffe
	s_or_b32 exec_lo, exec_lo, s0
	;;#ASMSTART
	v_pk_mul_f16 v20, v32, v37;

	;;#ASMEND
	;;#ASMSTART
	v_pk_mul_f16 v8, v31, v8;

	;;#ASMEND
	;; [unrolled: 4-line block ×4, first 2 shown]
	;;#ASMSTART
	v_pk_add_f16 v8, v20, v8;

	;;#ASMEND
	;;#ASMSTART
	v_pk_add_f16 v7, v8, v7;

	;;#ASMEND
	;; [unrolled: 4-line block ×3, first 2 shown]
	v_and_b32_e32 v20, 0xffff, v1
	v_lshrrev_b32_e32 v21, 16, v1
	v_add_f32_e32 v1, v9, v10
	;;#ASMSTART
	v_cvt_f32_f16 v9, v20;
	;;#ASMEND
	v_dual_add_f32 v7, v33, v34 :: v_dual_add_f32 v8, v27, v28
	;;#ASMSTART
	v_cvt_f32_f16 v10, v21;
	;;#ASMEND
	s_delay_alu instid0(VALU_DEP_2) | instskip(NEXT) | instid1(VALU_DEP_2)
	v_dual_add_f32 v9, v9, v10 :: v_dual_add_f32 v16, v16, v1
	v_dual_add_f32 v17, v17, v7 :: v_dual_add_f32 v18, v18, v8
	s_delay_alu instid0(VALU_DEP_2)
	v_add_f32_e32 v15, v15, v9
.LBB249_297:                            ;   in Loop: Header=BB249_298 Depth=1
	s_wait_alu 0xfffe
	s_or_b32 exec_lo, exec_lo, s17
	v_add_nc_u32_e32 v13, 4, v13
	v_add_co_u32 v3, s0, v3, 16
	s_wait_alu 0xf1ff
	v_add_co_ci_u32_e64 v4, null, 0, v4, s0
	s_delay_alu instid0(VALU_DEP_3)
	v_cmp_le_i32_e32 vcc_lo, s27, v13
	v_add_nc_u32_e32 v12, 32, v12
	v_add_nc_u32_e32 v19, 0x80, v19
	s_or_b32 s14, vcc_lo, s14
	s_wait_alu 0xfffe
	s_and_not1_b32 exec_lo, exec_lo, s14
	s_cbranch_execz .LBB249_563
.LBB249_298:                            ; =>This Inner Loop Header: Depth=1
	v_sub_nc_u32_e32 v1, 0, v12
	s_delay_alu instid0(VALU_DEP_1) | instskip(NEXT) | instid1(VALU_DEP_1)
	v_max_i32_e32 v1, v12, v1
	v_mul_hi_u32 v7, v1, s26
	s_delay_alu instid0(VALU_DEP_1) | instskip(NEXT) | instid1(VALU_DEP_1)
	v_mul_lo_u32 v8, v7, s20
	v_sub_nc_u32_e32 v1, v1, v8
	s_delay_alu instid0(VALU_DEP_1) | instskip(SKIP_2) | instid1(VALU_DEP_2)
	v_subrev_nc_u32_e32 v9, s20, v1
	v_cmp_le_u32_e32 vcc_lo, s20, v1
	s_wait_alu 0xfffd
	v_dual_cndmask_b32 v1, v1, v9 :: v_dual_add_nc_u32 v8, 1, v7
	s_delay_alu instid0(VALU_DEP_1) | instskip(SKIP_1) | instid1(VALU_DEP_3)
	v_cndmask_b32_e32 v7, v7, v8, vcc_lo
	v_ashrrev_i32_e32 v8, 31, v12
	v_cmp_le_u32_e32 vcc_lo, s20, v1
	s_delay_alu instid0(VALU_DEP_3) | instskip(NEXT) | instid1(VALU_DEP_3)
	v_add_nc_u32_e32 v9, 1, v7
	v_xor_b32_e32 v8, s15, v8
	s_wait_alu 0xfffd
	s_delay_alu instid0(VALU_DEP_2) | instskip(NEXT) | instid1(VALU_DEP_1)
	v_cndmask_b32_e32 v1, v7, v9, vcc_lo
	v_xor_b32_e32 v1, v1, v8
	s_delay_alu instid0(VALU_DEP_1) | instskip(NEXT) | instid1(VALU_DEP_1)
	v_sub_nc_u32_e32 v1, v1, v8
	v_add_nc_u32_e32 v7, s25, v1
	v_cmp_lt_i32_e64 s0, s5, v1
	s_delay_alu instid0(VALU_DEP_2) | instskip(NEXT) | instid1(VALU_DEP_1)
	v_sub_nc_u32_e32 v8, 0, v7
	v_max_i32_e32 v8, v7, v8
	v_ashrrev_i32_e32 v7, 31, v7
	s_wait_alu 0xfffe
	s_delay_alu instid0(VALU_DEP_2) | instskip(NEXT) | instid1(VALU_DEP_1)
	v_mul_hi_u32 v9, v8, s16
	v_mul_lo_u32 v9, v9, s3
	s_delay_alu instid0(VALU_DEP_1) | instskip(NEXT) | instid1(VALU_DEP_1)
	v_sub_nc_u32_e32 v8, v8, v9
	v_subrev_nc_u32_e32 v9, s3, v8
	v_cmp_le_u32_e32 vcc_lo, s3, v8
	s_wait_alu 0xfffd
	s_delay_alu instid0(VALU_DEP_2) | instskip(NEXT) | instid1(VALU_DEP_1)
	v_cndmask_b32_e32 v8, v8, v9, vcc_lo
	v_subrev_nc_u32_e32 v9, s3, v8
	v_cmp_le_u32_e32 vcc_lo, s3, v8
	s_wait_alu 0xfffd
	s_delay_alu instid0(VALU_DEP_2) | instskip(NEXT) | instid1(VALU_DEP_1)
	v_cndmask_b32_e32 v8, v8, v9, vcc_lo
	v_xor_b32_e32 v8, v8, v7
	s_delay_alu instid0(VALU_DEP_1) | instskip(NEXT) | instid1(VALU_DEP_1)
	v_sub_nc_u32_e32 v7, v8, v7
	v_cmp_eq_u32_e32 vcc_lo, 0, v7
	s_or_b32 s0, vcc_lo, s0
	s_wait_alu 0xfffe
	s_and_saveexec_b32 s17, s0
	s_cbranch_execz .LBB249_297
; %bb.299:                              ;   in Loop: Header=BB249_298 Depth=1
	global_load_b32 v1, v[3:4], off
	ds_load_2addr_b64 v[20:23], v19 offset1:1
	ds_load_2addr_b64 v[32:35], v19 offset0:2 offset1:3
	s_mov_b32 s0, exec_lo
	s_wait_dscnt 0x1
	;;#ASMSTART
	v_cvt_f16_f32 v27, v20;

	;;#ASMEND
	;;#ASMSTART
	v_cvt_f16_f32 v28, v21;

	;;#ASMEND
	;; [unrolled: 4-line block ×4, first 2 shown]
	s_wait_dscnt 0x0
	;;#ASMSTART
	v_cvt_f16_f32 v32, v32;

	;;#ASMEND
	;;#ASMSTART
	v_cvt_f16_f32 v30, v33;

	;;#ASMEND
	;; [unrolled: 4-line block ×4, first 2 shown]
	v_dual_mov_b32 v21, 0 :: v_dual_mov_b32 v22, 0
	global_load_b32 v20, v21, s[10:11]
	s_wait_loadcnt 0x1
	v_mad_co_i64_i32 v[7:8], null, v1, s13, v[5:6]
	global_load_b64 v[9:10], v[7:8], off
	s_wait_loadcnt 0x0
	v_and_b32_e32 v1, 0xff, v9
	s_delay_alu instid0(VALU_DEP_1)
	v_cmpx_ne_u16_e32 0, v1
	s_cbranch_execz .LBB249_307
; %bb.300:                              ;   in Loop: Header=BB249_298 Depth=1
	v_mov_b32_e32 v22, 0x8000
	s_mov_b32 s18, exec_lo
	v_cmpx_ne_u16_e32 0x80, v1
	s_cbranch_execz .LBB249_306
; %bb.301:                              ;   in Loop: Header=BB249_298 Depth=1
	v_and_b32_e32 v23, 0x7f, v9
	v_mov_b32_e32 v22, 0x7c01
	s_mov_b32 s19, exec_lo
	s_delay_alu instid0(VALU_DEP_2)
	v_cmpx_ne_u32_e32 0x7f, v23
	s_cbranch_execz .LBB249_305
; %bb.302:                              ;   in Loop: Header=BB249_298 Depth=1
	v_and_b32_e32 v1, 7, v9
	v_lshrrev_b32_e32 v22, 3, v23
	s_mov_b32 s21, exec_lo
	v_cmpx_gt_u32_e32 8, v23
; %bb.303:                              ;   in Loop: Header=BB249_298 Depth=1
	s_delay_alu instid0(VALU_DEP_3) | instskip(NEXT) | instid1(VALU_DEP_1)
	v_clz_i32_u32_e32 v1, v1
	v_min_u32_e32 v1, 32, v1
	s_delay_alu instid0(VALU_DEP_1) | instskip(NEXT) | instid1(VALU_DEP_1)
	v_subrev_nc_u32_e32 v22, 28, v1
	v_lshlrev_b64_e32 v[23:24], v22, v[9:10]
	v_sub_nc_u32_e32 v22, 29, v1
	s_delay_alu instid0(VALU_DEP_2)
	v_and_b32_e32 v1, 7, v23
; %bb.304:                              ;   in Loop: Header=BB249_298 Depth=1
	s_wait_alu 0xfffe
	s_or_b32 exec_lo, exec_lo, s21
	v_lshlrev_b32_e32 v23, 8, v9
	v_lshl_add_u32 v22, v22, 10, 0x2000
	v_lshlrev_b32_e32 v1, 7, v1
	s_delay_alu instid0(VALU_DEP_3) | instskip(NEXT) | instid1(VALU_DEP_3)
	v_and_b32_e32 v23, 0x8000, v23
	v_and_b32_e32 v22, 0xfc00, v22
	s_delay_alu instid0(VALU_DEP_1)
	v_or3_b32 v22, v23, v22, v1
.LBB249_305:                            ;   in Loop: Header=BB249_298 Depth=1
	s_wait_alu 0xfffe
	s_or_b32 exec_lo, exec_lo, s19
.LBB249_306:                            ;   in Loop: Header=BB249_298 Depth=1
	s_wait_alu 0xfffe
	s_or_b32 exec_lo, exec_lo, s18
.LBB249_307:                            ;   in Loop: Header=BB249_298 Depth=1
	s_wait_alu 0xfffe
	s_or_b32 exec_lo, exec_lo, s0
	v_lshrrev_b16 v1, 8, v9
	s_mov_b32 s0, exec_lo
	s_delay_alu instid0(VALU_DEP_1)
	v_cmpx_ne_u16_e32 0, v1
	s_cbranch_execz .LBB249_315
; %bb.308:                              ;   in Loop: Header=BB249_298 Depth=1
	v_bfrev_b32_e32 v21, 1
	s_mov_b32 s18, exec_lo
	v_cmpx_ne_u16_e32 0x80, v1
	s_cbranch_execz .LBB249_314
; %bb.309:                              ;   in Loop: Header=BB249_298 Depth=1
	v_and_b32_e32 v23, 0xffff, v1
	v_mov_b32_e32 v21, 0x7c010000
	s_mov_b32 s19, exec_lo
	s_delay_alu instid0(VALU_DEP_2) | instskip(NEXT) | instid1(VALU_DEP_1)
	v_and_b32_e32 v25, 0x7f, v23
	v_cmpx_ne_u32_e32 0x7f, v25
	s_cbranch_execz .LBB249_313
; %bb.310:                              ;   in Loop: Header=BB249_298 Depth=1
	v_and_b32_e32 v21, 7, v23
	v_lshrrev_b32_e32 v24, 3, v25
	s_mov_b32 s21, exec_lo
	v_cmpx_gt_u32_e32 8, v25
; %bb.311:                              ;   in Loop: Header=BB249_298 Depth=1
	s_delay_alu instid0(VALU_DEP_3) | instskip(NEXT) | instid1(VALU_DEP_1)
	v_clz_i32_u32_e32 v21, v21
	v_min_u32_e32 v21, 32, v21
	s_delay_alu instid0(VALU_DEP_1) | instskip(NEXT) | instid1(VALU_DEP_1)
	v_subrev_nc_u32_e32 v24, 28, v21
	v_lshlrev_b64_e32 v[25:26], v24, v[1:2]
	v_sub_nc_u32_e32 v24, 29, v21
	s_delay_alu instid0(VALU_DEP_2)
	v_and_b32_e32 v21, 7, v25
; %bb.312:                              ;   in Loop: Header=BB249_298 Depth=1
	s_wait_alu 0xfffe
	s_or_b32 exec_lo, exec_lo, s21
	v_lshlrev_b32_e32 v1, 8, v23
	v_lshl_add_u32 v23, v24, 10, 0x2000
	v_lshlrev_b32_e32 v21, 23, v21
	s_delay_alu instid0(VALU_DEP_2) | instskip(NEXT) | instid1(VALU_DEP_1)
	v_and_or_b32 v1, 0x8000, v1, v23
	v_lshl_or_b32 v21, v1, 16, v21
.LBB249_313:                            ;   in Loop: Header=BB249_298 Depth=1
	s_wait_alu 0xfffe
	s_or_b32 exec_lo, exec_lo, s19
.LBB249_314:                            ;   in Loop: Header=BB249_298 Depth=1
	s_wait_alu 0xfffe
	s_or_b32 exec_lo, exec_lo, s18
.LBB249_315:                            ;   in Loop: Header=BB249_298 Depth=1
	s_wait_alu 0xfffe
	s_or_b32 exec_lo, exec_lo, s0
	v_lshrrev_b32_e32 v1, 16, v9
	v_mov_b32_e32 v23, 0
	s_mov_b32 s0, exec_lo
	s_delay_alu instid0(VALU_DEP_2) | instskip(NEXT) | instid1(VALU_DEP_1)
	v_dual_mov_b32 v24, 0 :: v_dual_and_b32 v25, 0xff, v1
	v_cmpx_ne_u16_e32 0, v25
	s_cbranch_execz .LBB249_323
; %bb.316:                              ;   in Loop: Header=BB249_298 Depth=1
	v_mov_b32_e32 v24, 0x8000
	s_mov_b32 s18, exec_lo
	v_cmpx_ne_u16_e32 0x80, v25
	s_cbranch_execz .LBB249_322
; %bb.317:                              ;   in Loop: Header=BB249_298 Depth=1
	v_bfe_u32 v26, v9, 16, 7
	v_mov_b32_e32 v24, 0x7c01
	s_mov_b32 s19, exec_lo
	s_delay_alu instid0(VALU_DEP_2)
	v_cmpx_ne_u32_e32 0x7f, v26
	s_cbranch_execz .LBB249_321
; %bb.318:                              ;   in Loop: Header=BB249_298 Depth=1
	v_and_b32_e32 v24, 7, v1
	v_lshrrev_b32_e32 v25, 3, v26
	s_mov_b32 s21, exec_lo
	v_cmpx_gt_u32_e32 8, v26
; %bb.319:                              ;   in Loop: Header=BB249_298 Depth=1
	s_delay_alu instid0(VALU_DEP_3) | instskip(NEXT) | instid1(VALU_DEP_1)
	v_clz_i32_u32_e32 v24, v24
	v_min_u32_e32 v26, 32, v24
	s_delay_alu instid0(VALU_DEP_1) | instskip(NEXT) | instid1(VALU_DEP_1)
	v_subrev_nc_u32_e32 v24, 28, v26
	v_lshlrev_b64_e32 v[24:25], v24, v[1:2]
	v_sub_nc_u32_e32 v25, 29, v26
	s_delay_alu instid0(VALU_DEP_2)
	v_and_b32_e32 v24, 7, v24
; %bb.320:                              ;   in Loop: Header=BB249_298 Depth=1
	s_wait_alu 0xfffe
	s_or_b32 exec_lo, exec_lo, s21
	v_lshlrev_b32_e32 v1, 8, v1
	v_lshl_add_u32 v25, v25, 10, 0x2000
	v_lshlrev_b32_e32 v24, 7, v24
	s_delay_alu instid0(VALU_DEP_3) | instskip(NEXT) | instid1(VALU_DEP_3)
	v_and_b32_e32 v1, 0x8000, v1
	v_and_b32_e32 v25, 0xfc00, v25
	s_delay_alu instid0(VALU_DEP_1)
	v_or3_b32 v24, v1, v25, v24
.LBB249_321:                            ;   in Loop: Header=BB249_298 Depth=1
	s_wait_alu 0xfffe
	s_or_b32 exec_lo, exec_lo, s19
.LBB249_322:                            ;   in Loop: Header=BB249_298 Depth=1
	s_wait_alu 0xfffe
	s_or_b32 exec_lo, exec_lo, s18
.LBB249_323:                            ;   in Loop: Header=BB249_298 Depth=1
	s_wait_alu 0xfffe
	s_or_b32 exec_lo, exec_lo, s0
	s_delay_alu instid0(SALU_CYCLE_1)
	s_mov_b32 s0, exec_lo
	v_cmpx_lt_u32_e32 0xffffff, v9
	s_cbranch_execz .LBB249_331
; %bb.324:                              ;   in Loop: Header=BB249_298 Depth=1
	v_lshrrev_b32_e32 v1, 24, v9
	v_bfrev_b32_e32 v23, 1
	s_mov_b32 s18, exec_lo
	s_delay_alu instid0(VALU_DEP_2)
	v_cmpx_ne_u32_e32 0x80, v1
	s_cbranch_execz .LBB249_330
; %bb.325:                              ;   in Loop: Header=BB249_298 Depth=1
	v_and_b32_e32 v26, 0x7f, v1
	v_mov_b32_e32 v23, 0x7c010000
	s_mov_b32 s19, exec_lo
	s_delay_alu instid0(VALU_DEP_2)
	v_cmpx_ne_u32_e32 0x7f, v26
	s_cbranch_execz .LBB249_329
; %bb.326:                              ;   in Loop: Header=BB249_298 Depth=1
	v_and_b32_e32 v23, 7, v1
	v_lshrrev_b32_e32 v25, 3, v26
	s_mov_b32 s21, exec_lo
	v_cmpx_gt_u32_e32 8, v26
; %bb.327:                              ;   in Loop: Header=BB249_298 Depth=1
	s_delay_alu instid0(VALU_DEP_3) | instskip(NEXT) | instid1(VALU_DEP_1)
	v_clz_i32_u32_e32 v23, v23
	v_min_u32_e32 v23, 32, v23
	s_delay_alu instid0(VALU_DEP_1) | instskip(NEXT) | instid1(VALU_DEP_1)
	v_subrev_nc_u32_e32 v25, 28, v23
	v_lshlrev_b64_e32 v[35:36], v25, v[1:2]
	v_sub_nc_u32_e32 v25, 29, v23
	s_delay_alu instid0(VALU_DEP_2)
	v_and_b32_e32 v23, 7, v35
; %bb.328:                              ;   in Loop: Header=BB249_298 Depth=1
	s_wait_alu 0xfffe
	s_or_b32 exec_lo, exec_lo, s21
	v_lshlrev_b32_e32 v1, 8, v1
	v_lshl_add_u32 v25, v25, 10, 0x2000
	v_lshlrev_b32_e32 v23, 23, v23
	s_delay_alu instid0(VALU_DEP_2) | instskip(NEXT) | instid1(VALU_DEP_1)
	v_and_or_b32 v1, 0x8000, v1, v25
	v_lshl_or_b32 v23, v1, 16, v23
.LBB249_329:                            ;   in Loop: Header=BB249_298 Depth=1
	s_wait_alu 0xfffe
	s_or_b32 exec_lo, exec_lo, s19
.LBB249_330:                            ;   in Loop: Header=BB249_298 Depth=1
	s_wait_alu 0xfffe
	s_or_b32 exec_lo, exec_lo, s18
.LBB249_331:                            ;   in Loop: Header=BB249_298 Depth=1
	s_wait_alu 0xfffe
	s_or_b32 exec_lo, exec_lo, s0
	v_dual_mov_b32 v26, 0 :: v_dual_and_b32 v35, 0xff, v10
	v_mov_b32_e32 v1, v10
	v_mov_b32_e32 v25, 0
	s_mov_b32 s0, exec_lo
	s_delay_alu instid0(VALU_DEP_3)
	v_cmpx_ne_u16_e32 0, v35
	s_cbranch_execz .LBB249_339
; %bb.332:                              ;   in Loop: Header=BB249_298 Depth=1
	v_mov_b32_e32 v26, 0x8000
	s_mov_b32 s18, exec_lo
	v_cmpx_ne_u16_e32 0x80, v35
	s_cbranch_execz .LBB249_338
; %bb.333:                              ;   in Loop: Header=BB249_298 Depth=1
	v_and_b32_e32 v36, 0x7f, v10
	v_mov_b32_e32 v26, 0x7c01
	s_mov_b32 s19, exec_lo
	s_delay_alu instid0(VALU_DEP_2)
	v_cmpx_ne_u32_e32 0x7f, v36
	s_cbranch_execz .LBB249_337
; %bb.334:                              ;   in Loop: Header=BB249_298 Depth=1
	v_and_b32_e32 v26, 7, v10
	v_lshrrev_b32_e32 v35, 3, v36
	s_mov_b32 s21, exec_lo
	v_cmpx_gt_u32_e32 8, v36
; %bb.335:                              ;   in Loop: Header=BB249_298 Depth=1
	s_delay_alu instid0(VALU_DEP_3) | instskip(NEXT) | instid1(VALU_DEP_1)
	v_clz_i32_u32_e32 v26, v26
	v_min_u32_e32 v26, 32, v26
	s_delay_alu instid0(VALU_DEP_1) | instskip(NEXT) | instid1(VALU_DEP_1)
	v_subrev_nc_u32_e32 v35, 28, v26
	v_lshlrev_b64_e32 v[36:37], v35, v[1:2]
	v_sub_nc_u32_e32 v35, 29, v26
	s_delay_alu instid0(VALU_DEP_2)
	v_and_b32_e32 v26, 7, v36
; %bb.336:                              ;   in Loop: Header=BB249_298 Depth=1
	s_wait_alu 0xfffe
	s_or_b32 exec_lo, exec_lo, s21
	v_lshlrev_b32_e32 v36, 8, v10
	v_lshl_add_u32 v35, v35, 10, 0x2000
	v_lshlrev_b32_e32 v26, 7, v26
	s_delay_alu instid0(VALU_DEP_3) | instskip(NEXT) | instid1(VALU_DEP_3)
	v_and_b32_e32 v36, 0x8000, v36
	v_and_b32_e32 v35, 0xfc00, v35
	s_delay_alu instid0(VALU_DEP_1)
	v_or3_b32 v26, v36, v35, v26
.LBB249_337:                            ;   in Loop: Header=BB249_298 Depth=1
	s_wait_alu 0xfffe
	s_or_b32 exec_lo, exec_lo, s19
.LBB249_338:                            ;   in Loop: Header=BB249_298 Depth=1
	s_wait_alu 0xfffe
	s_or_b32 exec_lo, exec_lo, s18
.LBB249_339:                            ;   in Loop: Header=BB249_298 Depth=1
	s_wait_alu 0xfffe
	s_or_b32 exec_lo, exec_lo, s0
	v_lshrrev_b16 v1, 8, v1
	v_mov_b32_e32 v35, 0
	s_mov_b32 s0, exec_lo
	s_delay_alu instid0(VALU_DEP_2)
	v_cmpx_ne_u16_e32 0, v1
	s_cbranch_execz .LBB249_347
; %bb.340:                              ;   in Loop: Header=BB249_298 Depth=1
	v_bfrev_b32_e32 v35, 1
	s_mov_b32 s18, exec_lo
	v_cmpx_ne_u16_e32 0x80, v1
	s_cbranch_execz .LBB249_346
; %bb.341:                              ;   in Loop: Header=BB249_298 Depth=1
	v_and_b32_e32 v36, 0xffff, v1
	v_mov_b32_e32 v35, 0x7c010000
	s_mov_b32 s19, exec_lo
	s_delay_alu instid0(VALU_DEP_2) | instskip(NEXT) | instid1(VALU_DEP_1)
	v_and_b32_e32 v38, 0x7f, v36
	v_cmpx_ne_u32_e32 0x7f, v38
	s_cbranch_execz .LBB249_345
; %bb.342:                              ;   in Loop: Header=BB249_298 Depth=1
	v_and_b32_e32 v35, 7, v36
	v_lshrrev_b32_e32 v37, 3, v38
	s_mov_b32 s21, exec_lo
	v_cmpx_gt_u32_e32 8, v38
; %bb.343:                              ;   in Loop: Header=BB249_298 Depth=1
	s_delay_alu instid0(VALU_DEP_3) | instskip(NEXT) | instid1(VALU_DEP_1)
	v_clz_i32_u32_e32 v35, v35
	v_min_u32_e32 v35, 32, v35
	s_delay_alu instid0(VALU_DEP_1) | instskip(NEXT) | instid1(VALU_DEP_1)
	v_subrev_nc_u32_e32 v37, 28, v35
	v_lshlrev_b64_e32 v[38:39], v37, v[1:2]
	v_sub_nc_u32_e32 v37, 29, v35
	s_delay_alu instid0(VALU_DEP_2)
	v_and_b32_e32 v35, 7, v38
; %bb.344:                              ;   in Loop: Header=BB249_298 Depth=1
	s_wait_alu 0xfffe
	s_or_b32 exec_lo, exec_lo, s21
	v_lshlrev_b32_e32 v1, 8, v36
	v_lshl_add_u32 v36, v37, 10, 0x2000
	v_lshlrev_b32_e32 v35, 23, v35
	s_delay_alu instid0(VALU_DEP_2) | instskip(NEXT) | instid1(VALU_DEP_1)
	v_and_or_b32 v1, 0x8000, v1, v36
	v_lshl_or_b32 v35, v1, 16, v35
.LBB249_345:                            ;   in Loop: Header=BB249_298 Depth=1
	s_wait_alu 0xfffe
	s_or_b32 exec_lo, exec_lo, s19
.LBB249_346:                            ;   in Loop: Header=BB249_298 Depth=1
	s_wait_alu 0xfffe
	s_or_b32 exec_lo, exec_lo, s18
.LBB249_347:                            ;   in Loop: Header=BB249_298 Depth=1
	s_wait_alu 0xfffe
	s_or_b32 exec_lo, exec_lo, s0
	v_lshrrev_b32_e32 v1, 16, v10
	s_mov_b32 s0, exec_lo
	s_delay_alu instid0(VALU_DEP_1) | instskip(NEXT) | instid1(VALU_DEP_1)
	v_and_b32_e32 v36, 0xff, v1
	v_cmpx_ne_u16_e32 0, v36
	s_cbranch_execz .LBB249_355
; %bb.348:                              ;   in Loop: Header=BB249_298 Depth=1
	v_mov_b32_e32 v25, 0x8000
	s_mov_b32 s18, exec_lo
	v_cmpx_ne_u16_e32 0x80, v36
	s_cbranch_execz .LBB249_354
; %bb.349:                              ;   in Loop: Header=BB249_298 Depth=1
	v_bfe_u32 v37, v10, 16, 7
	v_mov_b32_e32 v25, 0x7c01
	s_mov_b32 s19, exec_lo
	s_delay_alu instid0(VALU_DEP_2)
	v_cmpx_ne_u32_e32 0x7f, v37
	s_cbranch_execz .LBB249_353
; %bb.350:                              ;   in Loop: Header=BB249_298 Depth=1
	v_and_b32_e32 v25, 7, v1
	v_lshrrev_b32_e32 v36, 3, v37
	s_mov_b32 s21, exec_lo
	v_cmpx_gt_u32_e32 8, v37
; %bb.351:                              ;   in Loop: Header=BB249_298 Depth=1
	s_delay_alu instid0(VALU_DEP_3) | instskip(NEXT) | instid1(VALU_DEP_1)
	v_clz_i32_u32_e32 v25, v25
	v_min_u32_e32 v25, 32, v25
	s_delay_alu instid0(VALU_DEP_1) | instskip(NEXT) | instid1(VALU_DEP_1)
	v_subrev_nc_u32_e32 v36, 28, v25
	v_lshlrev_b64_e32 v[37:38], v36, v[1:2]
	v_sub_nc_u32_e32 v36, 29, v25
	s_delay_alu instid0(VALU_DEP_2)
	v_and_b32_e32 v25, 7, v37
; %bb.352:                              ;   in Loop: Header=BB249_298 Depth=1
	s_wait_alu 0xfffe
	s_or_b32 exec_lo, exec_lo, s21
	v_lshlrev_b32_e32 v1, 8, v1
	v_lshl_add_u32 v36, v36, 10, 0x2000
	v_lshlrev_b32_e32 v25, 7, v25
	s_delay_alu instid0(VALU_DEP_3) | instskip(NEXT) | instid1(VALU_DEP_3)
	v_and_b32_e32 v1, 0x8000, v1
	v_and_b32_e32 v36, 0xfc00, v36
	s_delay_alu instid0(VALU_DEP_1)
	v_or3_b32 v25, v1, v36, v25
.LBB249_353:                            ;   in Loop: Header=BB249_298 Depth=1
	s_wait_alu 0xfffe
	s_or_b32 exec_lo, exec_lo, s19
.LBB249_354:                            ;   in Loop: Header=BB249_298 Depth=1
	s_wait_alu 0xfffe
	s_or_b32 exec_lo, exec_lo, s18
.LBB249_355:                            ;   in Loop: Header=BB249_298 Depth=1
	s_wait_alu 0xfffe
	s_or_b32 exec_lo, exec_lo, s0
	v_cmp_lt_u64_e32 vcc_lo, s[8:9], v[9:10]
	v_mov_b32_e32 v9, 0
	s_and_saveexec_b32 s0, vcc_lo
	s_cbranch_execz .LBB249_363
; %bb.356:                              ;   in Loop: Header=BB249_298 Depth=1
	v_lshrrev_b32_e32 v1, 24, v10
	v_bfrev_b32_e32 v9, 1
	s_mov_b32 s18, exec_lo
	s_delay_alu instid0(VALU_DEP_2)
	v_cmpx_ne_u32_e32 0x80, v1
	s_cbranch_execz .LBB249_362
; %bb.357:                              ;   in Loop: Header=BB249_298 Depth=1
	v_and_b32_e32 v36, 0x7f, v1
	v_mov_b32_e32 v9, 0x7c010000
	s_mov_b32 s19, exec_lo
	s_delay_alu instid0(VALU_DEP_2)
	v_cmpx_ne_u32_e32 0x7f, v36
	s_cbranch_execz .LBB249_361
; %bb.358:                              ;   in Loop: Header=BB249_298 Depth=1
	v_and_b32_e32 v9, 7, v1
	v_lshrrev_b32_e32 v10, 3, v36
	s_mov_b32 s21, exec_lo
	v_cmpx_gt_u32_e32 8, v36
; %bb.359:                              ;   in Loop: Header=BB249_298 Depth=1
	s_delay_alu instid0(VALU_DEP_3) | instskip(NEXT) | instid1(VALU_DEP_1)
	v_clz_i32_u32_e32 v9, v9
	v_min_u32_e32 v36, 32, v9
	s_delay_alu instid0(VALU_DEP_1) | instskip(NEXT) | instid1(VALU_DEP_1)
	v_subrev_nc_u32_e32 v9, 28, v36
	v_lshlrev_b64_e32 v[9:10], v9, v[1:2]
	v_sub_nc_u32_e32 v10, 29, v36
	s_delay_alu instid0(VALU_DEP_2)
	v_and_b32_e32 v9, 7, v9
; %bb.360:                              ;   in Loop: Header=BB249_298 Depth=1
	s_wait_alu 0xfffe
	s_or_b32 exec_lo, exec_lo, s21
	v_lshlrev_b32_e32 v1, 8, v1
	v_lshl_add_u32 v10, v10, 10, 0x2000
	v_lshlrev_b32_e32 v9, 23, v9
	s_delay_alu instid0(VALU_DEP_2) | instskip(NEXT) | instid1(VALU_DEP_1)
	v_and_or_b32 v1, 0x8000, v1, v10
	v_lshl_or_b32 v9, v1, 16, v9
.LBB249_361:                            ;   in Loop: Header=BB249_298 Depth=1
	s_wait_alu 0xfffe
	s_or_b32 exec_lo, exec_lo, s19
.LBB249_362:                            ;   in Loop: Header=BB249_298 Depth=1
	s_wait_alu 0xfffe
	s_or_b32 exec_lo, exec_lo, s18
.LBB249_363:                            ;   in Loop: Header=BB249_298 Depth=1
	s_wait_alu 0xfffe
	s_or_b32 exec_lo, exec_lo, s0
	v_or_b32_e32 v1, v23, v24
	v_fma_mixlo_f16 v10, v20, v23, 0 op_sel:[0,1,0] op_sel_hi:[0,1,0]
	v_or_b32_e32 v22, v21, v22
	v_fma_mixlo_f16 v21, v20, v21, 0 op_sel:[0,1,0] op_sel_hi:[0,1,0]
	v_or_b32_e32 v23, v35, v26
	v_fma_mixlo_f16 v1, v20, v1, 0 op_sel_hi:[0,1,0]
	v_or_b32_e32 v24, v9, v25
	v_fma_mixlo_f16 v9, v20, v9, 0 op_sel:[0,1,0] op_sel_hi:[0,1,0]
	v_lshlrev_b32_e32 v41, 16, v21
	v_fma_mixlo_f16 v21, v20, v22, 0 op_sel_hi:[0,1,0]
	v_and_b32_e32 v38, 0xffff, v1
	v_fma_mixlo_f16 v1, v20, v35, 0 op_sel:[0,1,0] op_sel_hi:[0,1,0]
	v_fma_mixlo_f16 v22, v20, v23, 0 op_sel_hi:[0,1,0]
	v_fma_mixlo_f16 v20, v20, v24, 0 op_sel_hi:[0,1,0]
	v_lshlrev_b32_e32 v10, 16, v10
	v_and_b32_e32 v43, 0xffff, v21
	v_lshlrev_b32_e32 v39, 16, v1
	v_and_b32_e32 v42, 0xffff, v22
	;; [unrolled: 2-line block ×3, first 2 shown]
	v_cmp_eq_u32_e32 vcc_lo, s40, v13
	v_or_b32_e32 v1, v10, v38
	v_or_b32_e32 v9, v41, v43
	;; [unrolled: 1-line block ×4, first 2 shown]
	v_add_nc_u32_e32 v26, 1, v12
	v_add_nc_u32_e32 v25, 2, v12
	;; [unrolled: 1-line block ×7, first 2 shown]
	s_and_saveexec_b32 s18, vcc_lo
	s_cbranch_execz .LBB249_365
; %bb.364:                              ;   in Loop: Header=BB249_298 Depth=1
	v_cmp_gt_i32_e64 s0, s36, v12
	s_wait_alu 0xf1ff
	s_delay_alu instid0(VALU_DEP_1) | instskip(SKIP_2) | instid1(VALU_DEP_1)
	v_cndmask_b32_e64 v1, 0, v43, s0
	v_cmp_gt_i32_e64 s0, s36, v26
	s_wait_alu 0xf1ff
	v_cndmask_b32_e64 v9, 0, v41, s0
	v_cmp_gt_i32_e64 s0, s36, v25
	s_delay_alu instid0(VALU_DEP_2) | instskip(SKIP_1) | instid1(VALU_DEP_2)
	v_or_b32_e32 v9, v9, v1
	s_wait_alu 0xf1ff
	v_cndmask_b32_e64 v35, 0, v38, s0
	v_cmp_gt_i32_e64 s0, s36, v24
	s_wait_alu 0xf1ff
	s_delay_alu instid0(VALU_DEP_1) | instskip(SKIP_1) | instid1(VALU_DEP_2)
	v_cndmask_b32_e64 v10, 0, v10, s0
	v_cmp_gt_i32_e64 s0, s36, v23
	v_or_b32_e32 v1, v10, v35
	s_wait_alu 0xf1ff
	s_delay_alu instid0(VALU_DEP_2) | instskip(SKIP_2) | instid1(VALU_DEP_1)
	v_cndmask_b32_e64 v37, 0, v42, s0
	v_cmp_gt_i32_e64 s0, s36, v22
	s_wait_alu 0xf1ff
	v_cndmask_b32_e64 v38, 0, v39, s0
	v_cmp_gt_i32_e64 s0, s36, v21
	s_delay_alu instid0(VALU_DEP_2) | instskip(SKIP_1) | instid1(VALU_DEP_2)
	v_or_b32_e32 v35, v38, v37
	s_wait_alu 0xf1ff
	v_cndmask_b32_e64 v39, 0, v40, s0
	v_cmp_gt_i32_e64 s0, s36, v20
	s_wait_alu 0xf1ff
	s_delay_alu instid0(VALU_DEP_1) | instskip(NEXT) | instid1(VALU_DEP_1)
	v_cndmask_b32_e64 v36, 0, v36, s0
	v_or_b32_e32 v37, v36, v39
.LBB249_365:                            ;   in Loop: Header=BB249_298 Depth=1
	s_wait_alu 0xfffe
	s_or_b32 exec_lo, exec_lo, s18
	v_and_b32_e32 v10, 0xffff, v27
	v_and_b32_e32 v27, 0xffff, v31
	;; [unrolled: 1-line block ×4, first 2 shown]
	s_mov_b32 s18, exec_lo
	v_lshl_or_b32 v32, v28, 16, v10
	v_lshl_or_b32 v31, v29, 16, v27
	;;#ASMSTART
	v_pk_mul_f16 v9, v32, v9;

	;;#ASMEND
	;;#ASMSTART
	v_pk_mul_f16 v1, v31, v1;

	;;#ASMEND
	v_lshl_or_b32 v30, v30, 16, v36
	v_lshl_or_b32 v29, v33, 16, v34
	;;#ASMSTART
	v_pk_mul_f16 v10, v30, v35;

	;;#ASMEND
	;;#ASMSTART
	v_pk_mul_f16 v27, v29, v37;

	;;#ASMEND
	;;#ASMSTART
	v_pk_add_f16 v1, v9, v1;

	;;#ASMEND
	;;#ASMSTART
	v_pk_add_f16 v1, v1, v10;
	;; [unrolled: 4-line block ×3, first 2 shown]

	;;#ASMEND
	v_and_b32_e32 v9, 0xffff, v1
	v_lshrrev_b32_e32 v1, 16, v1
	;;#ASMSTART
	v_cvt_f32_f16 v27, v9;
	;;#ASMEND
	;;#ASMSTART
	v_cvt_f32_f16 v28, v1;
	;;#ASMEND
	global_load_b64 v[9:10], v[7:8], off offset:256
	v_dual_mov_b32 v34, 0 :: v_dual_mov_b32 v35, 0
	global_load_b32 v33, v34, s[10:11]
	s_wait_loadcnt 0x1
	v_and_b32_e32 v1, 0xff, v9
	s_delay_alu instid0(VALU_DEP_1)
	v_cmpx_ne_u16_e32 0, v1
	s_cbranch_execz .LBB249_373
; %bb.366:                              ;   in Loop: Header=BB249_298 Depth=1
	v_mov_b32_e32 v35, 0x8000
	s_mov_b32 s19, exec_lo
	v_cmpx_ne_u16_e32 0x80, v1
	s_cbranch_execz .LBB249_372
; %bb.367:                              ;   in Loop: Header=BB249_298 Depth=1
	v_and_b32_e32 v36, 0x7f, v9
	v_mov_b32_e32 v35, 0x7c01
	s_mov_b32 s21, exec_lo
	s_delay_alu instid0(VALU_DEP_2)
	v_cmpx_ne_u32_e32 0x7f, v36
	s_cbranch_execz .LBB249_371
; %bb.368:                              ;   in Loop: Header=BB249_298 Depth=1
	v_and_b32_e32 v1, 7, v9
	v_lshrrev_b32_e32 v35, 3, v36
	s_mov_b32 s22, exec_lo
	v_cmpx_gt_u32_e32 8, v36
; %bb.369:                              ;   in Loop: Header=BB249_298 Depth=1
	s_delay_alu instid0(VALU_DEP_3) | instskip(NEXT) | instid1(VALU_DEP_1)
	v_clz_i32_u32_e32 v1, v1
	v_min_u32_e32 v1, 32, v1
	s_delay_alu instid0(VALU_DEP_1) | instskip(NEXT) | instid1(VALU_DEP_1)
	v_subrev_nc_u32_e32 v35, 28, v1
	v_lshlrev_b64_e32 v[36:37], v35, v[9:10]
	v_sub_nc_u32_e32 v35, 29, v1
	s_delay_alu instid0(VALU_DEP_2)
	v_and_b32_e32 v1, 7, v36
; %bb.370:                              ;   in Loop: Header=BB249_298 Depth=1
	s_wait_alu 0xfffe
	s_or_b32 exec_lo, exec_lo, s22
	v_lshlrev_b32_e32 v36, 8, v9
	v_lshl_add_u32 v35, v35, 10, 0x2000
	v_lshlrev_b32_e32 v1, 7, v1
	s_delay_alu instid0(VALU_DEP_3) | instskip(NEXT) | instid1(VALU_DEP_3)
	v_and_b32_e32 v36, 0x8000, v36
	v_and_b32_e32 v35, 0xfc00, v35
	s_delay_alu instid0(VALU_DEP_1)
	v_or3_b32 v35, v36, v35, v1
.LBB249_371:                            ;   in Loop: Header=BB249_298 Depth=1
	s_wait_alu 0xfffe
	s_or_b32 exec_lo, exec_lo, s21
.LBB249_372:                            ;   in Loop: Header=BB249_298 Depth=1
	s_wait_alu 0xfffe
	s_or_b32 exec_lo, exec_lo, s19
.LBB249_373:                            ;   in Loop: Header=BB249_298 Depth=1
	s_wait_alu 0xfffe
	s_or_b32 exec_lo, exec_lo, s18
	v_lshrrev_b16 v1, 8, v9
	s_mov_b32 s18, exec_lo
	s_delay_alu instid0(VALU_DEP_1)
	v_cmpx_ne_u16_e32 0, v1
	s_cbranch_execz .LBB249_381
; %bb.374:                              ;   in Loop: Header=BB249_298 Depth=1
	v_bfrev_b32_e32 v34, 1
	s_mov_b32 s19, exec_lo
	v_cmpx_ne_u16_e32 0x80, v1
	s_cbranch_execz .LBB249_380
; %bb.375:                              ;   in Loop: Header=BB249_298 Depth=1
	v_and_b32_e32 v36, 0xffff, v1
	v_mov_b32_e32 v34, 0x7c010000
	s_mov_b32 s21, exec_lo
	s_delay_alu instid0(VALU_DEP_2) | instskip(NEXT) | instid1(VALU_DEP_1)
	v_and_b32_e32 v38, 0x7f, v36
	v_cmpx_ne_u32_e32 0x7f, v38
	s_cbranch_execz .LBB249_379
; %bb.376:                              ;   in Loop: Header=BB249_298 Depth=1
	v_and_b32_e32 v34, 7, v36
	v_lshrrev_b32_e32 v37, 3, v38
	s_mov_b32 s22, exec_lo
	v_cmpx_gt_u32_e32 8, v38
; %bb.377:                              ;   in Loop: Header=BB249_298 Depth=1
	s_delay_alu instid0(VALU_DEP_3) | instskip(NEXT) | instid1(VALU_DEP_1)
	v_clz_i32_u32_e32 v34, v34
	v_min_u32_e32 v34, 32, v34
	s_delay_alu instid0(VALU_DEP_1) | instskip(NEXT) | instid1(VALU_DEP_1)
	v_subrev_nc_u32_e32 v37, 28, v34
	v_lshlrev_b64_e32 v[38:39], v37, v[1:2]
	v_sub_nc_u32_e32 v37, 29, v34
	s_delay_alu instid0(VALU_DEP_2)
	v_and_b32_e32 v34, 7, v38
; %bb.378:                              ;   in Loop: Header=BB249_298 Depth=1
	s_wait_alu 0xfffe
	s_or_b32 exec_lo, exec_lo, s22
	v_lshlrev_b32_e32 v1, 8, v36
	v_lshl_add_u32 v36, v37, 10, 0x2000
	v_lshlrev_b32_e32 v34, 23, v34
	s_delay_alu instid0(VALU_DEP_2) | instskip(NEXT) | instid1(VALU_DEP_1)
	v_and_or_b32 v1, 0x8000, v1, v36
	v_lshl_or_b32 v34, v1, 16, v34
.LBB249_379:                            ;   in Loop: Header=BB249_298 Depth=1
	s_wait_alu 0xfffe
	s_or_b32 exec_lo, exec_lo, s21
.LBB249_380:                            ;   in Loop: Header=BB249_298 Depth=1
	s_wait_alu 0xfffe
	s_or_b32 exec_lo, exec_lo, s19
.LBB249_381:                            ;   in Loop: Header=BB249_298 Depth=1
	s_wait_alu 0xfffe
	s_or_b32 exec_lo, exec_lo, s18
	v_lshrrev_b32_e32 v1, 16, v9
	v_mov_b32_e32 v36, 0
	s_mov_b32 s18, exec_lo
	s_delay_alu instid0(VALU_DEP_2) | instskip(NEXT) | instid1(VALU_DEP_1)
	v_dual_mov_b32 v37, 0 :: v_dual_and_b32 v38, 0xff, v1
	v_cmpx_ne_u16_e32 0, v38
	s_cbranch_execz .LBB249_389
; %bb.382:                              ;   in Loop: Header=BB249_298 Depth=1
	v_mov_b32_e32 v37, 0x8000
	s_mov_b32 s19, exec_lo
	v_cmpx_ne_u16_e32 0x80, v38
	s_cbranch_execz .LBB249_388
; %bb.383:                              ;   in Loop: Header=BB249_298 Depth=1
	v_bfe_u32 v39, v9, 16, 7
	v_mov_b32_e32 v37, 0x7c01
	s_mov_b32 s21, exec_lo
	s_delay_alu instid0(VALU_DEP_2)
	v_cmpx_ne_u32_e32 0x7f, v39
	s_cbranch_execz .LBB249_387
; %bb.384:                              ;   in Loop: Header=BB249_298 Depth=1
	v_and_b32_e32 v37, 7, v1
	v_lshrrev_b32_e32 v38, 3, v39
	s_mov_b32 s22, exec_lo
	v_cmpx_gt_u32_e32 8, v39
; %bb.385:                              ;   in Loop: Header=BB249_298 Depth=1
	s_delay_alu instid0(VALU_DEP_3) | instskip(NEXT) | instid1(VALU_DEP_1)
	v_clz_i32_u32_e32 v37, v37
	v_min_u32_e32 v39, 32, v37
	s_delay_alu instid0(VALU_DEP_1) | instskip(NEXT) | instid1(VALU_DEP_1)
	v_subrev_nc_u32_e32 v37, 28, v39
	v_lshlrev_b64_e32 v[37:38], v37, v[1:2]
	v_sub_nc_u32_e32 v38, 29, v39
	s_delay_alu instid0(VALU_DEP_2)
	v_and_b32_e32 v37, 7, v37
; %bb.386:                              ;   in Loop: Header=BB249_298 Depth=1
	s_wait_alu 0xfffe
	s_or_b32 exec_lo, exec_lo, s22
	v_lshlrev_b32_e32 v1, 8, v1
	v_lshl_add_u32 v38, v38, 10, 0x2000
	v_lshlrev_b32_e32 v37, 7, v37
	s_delay_alu instid0(VALU_DEP_3) | instskip(NEXT) | instid1(VALU_DEP_3)
	v_and_b32_e32 v1, 0x8000, v1
	v_and_b32_e32 v38, 0xfc00, v38
	s_delay_alu instid0(VALU_DEP_1)
	v_or3_b32 v37, v1, v38, v37
.LBB249_387:                            ;   in Loop: Header=BB249_298 Depth=1
	s_wait_alu 0xfffe
	s_or_b32 exec_lo, exec_lo, s21
.LBB249_388:                            ;   in Loop: Header=BB249_298 Depth=1
	s_wait_alu 0xfffe
	s_or_b32 exec_lo, exec_lo, s19
.LBB249_389:                            ;   in Loop: Header=BB249_298 Depth=1
	s_wait_alu 0xfffe
	s_or_b32 exec_lo, exec_lo, s18
	s_delay_alu instid0(SALU_CYCLE_1)
	s_mov_b32 s18, exec_lo
	v_cmpx_lt_u32_e32 0xffffff, v9
	s_cbranch_execz .LBB249_397
; %bb.390:                              ;   in Loop: Header=BB249_298 Depth=1
	v_lshrrev_b32_e32 v1, 24, v9
	v_bfrev_b32_e32 v36, 1
	s_mov_b32 s19, exec_lo
	s_delay_alu instid0(VALU_DEP_2)
	v_cmpx_ne_u32_e32 0x80, v1
	s_cbranch_execz .LBB249_396
; %bb.391:                              ;   in Loop: Header=BB249_298 Depth=1
	v_and_b32_e32 v39, 0x7f, v1
	v_mov_b32_e32 v36, 0x7c010000
	s_mov_b32 s21, exec_lo
	s_delay_alu instid0(VALU_DEP_2)
	v_cmpx_ne_u32_e32 0x7f, v39
	s_cbranch_execz .LBB249_395
; %bb.392:                              ;   in Loop: Header=BB249_298 Depth=1
	v_and_b32_e32 v36, 7, v1
	v_lshrrev_b32_e32 v38, 3, v39
	s_mov_b32 s22, exec_lo
	v_cmpx_gt_u32_e32 8, v39
; %bb.393:                              ;   in Loop: Header=BB249_298 Depth=1
	s_delay_alu instid0(VALU_DEP_3) | instskip(NEXT) | instid1(VALU_DEP_1)
	v_clz_i32_u32_e32 v36, v36
	v_min_u32_e32 v36, 32, v36
	s_delay_alu instid0(VALU_DEP_1) | instskip(NEXT) | instid1(VALU_DEP_1)
	v_subrev_nc_u32_e32 v38, 28, v36
	v_lshlrev_b64_e32 v[39:40], v38, v[1:2]
	v_sub_nc_u32_e32 v38, 29, v36
	s_delay_alu instid0(VALU_DEP_2)
	v_and_b32_e32 v36, 7, v39
; %bb.394:                              ;   in Loop: Header=BB249_298 Depth=1
	s_wait_alu 0xfffe
	s_or_b32 exec_lo, exec_lo, s22
	v_lshlrev_b32_e32 v1, 8, v1
	v_lshl_add_u32 v38, v38, 10, 0x2000
	v_lshlrev_b32_e32 v36, 23, v36
	s_delay_alu instid0(VALU_DEP_2) | instskip(NEXT) | instid1(VALU_DEP_1)
	v_and_or_b32 v1, 0x8000, v1, v38
	v_lshl_or_b32 v36, v1, 16, v36
.LBB249_395:                            ;   in Loop: Header=BB249_298 Depth=1
	s_wait_alu 0xfffe
	s_or_b32 exec_lo, exec_lo, s21
.LBB249_396:                            ;   in Loop: Header=BB249_298 Depth=1
	s_wait_alu 0xfffe
	s_or_b32 exec_lo, exec_lo, s19
.LBB249_397:                            ;   in Loop: Header=BB249_298 Depth=1
	s_wait_alu 0xfffe
	s_or_b32 exec_lo, exec_lo, s18
	v_dual_mov_b32 v1, v10 :: v_dual_and_b32 v40, 0xff, v10
	v_dual_mov_b32 v38, 0 :: v_dual_mov_b32 v39, 0
	s_mov_b32 s18, exec_lo
	s_delay_alu instid0(VALU_DEP_2)
	v_cmpx_ne_u16_e32 0, v40
	s_cbranch_execz .LBB249_405
; %bb.398:                              ;   in Loop: Header=BB249_298 Depth=1
	v_mov_b32_e32 v39, 0x8000
	s_mov_b32 s19, exec_lo
	v_cmpx_ne_u16_e32 0x80, v40
	s_cbranch_execz .LBB249_404
; %bb.399:                              ;   in Loop: Header=BB249_298 Depth=1
	v_and_b32_e32 v41, 0x7f, v10
	v_mov_b32_e32 v39, 0x7c01
	s_mov_b32 s21, exec_lo
	s_delay_alu instid0(VALU_DEP_2)
	v_cmpx_ne_u32_e32 0x7f, v41
	s_cbranch_execz .LBB249_403
; %bb.400:                              ;   in Loop: Header=BB249_298 Depth=1
	v_and_b32_e32 v39, 7, v10
	v_lshrrev_b32_e32 v40, 3, v41
	s_mov_b32 s22, exec_lo
	v_cmpx_gt_u32_e32 8, v41
; %bb.401:                              ;   in Loop: Header=BB249_298 Depth=1
	s_delay_alu instid0(VALU_DEP_3) | instskip(NEXT) | instid1(VALU_DEP_1)
	v_clz_i32_u32_e32 v39, v39
	v_min_u32_e32 v41, 32, v39
	s_delay_alu instid0(VALU_DEP_1) | instskip(NEXT) | instid1(VALU_DEP_1)
	v_subrev_nc_u32_e32 v39, 28, v41
	v_lshlrev_b64_e32 v[39:40], v39, v[1:2]
	v_sub_nc_u32_e32 v40, 29, v41
	s_delay_alu instid0(VALU_DEP_2)
	v_and_b32_e32 v39, 7, v39
; %bb.402:                              ;   in Loop: Header=BB249_298 Depth=1
	s_wait_alu 0xfffe
	s_or_b32 exec_lo, exec_lo, s22
	v_lshlrev_b32_e32 v41, 8, v10
	v_lshl_add_u32 v40, v40, 10, 0x2000
	v_lshlrev_b32_e32 v39, 7, v39
	s_delay_alu instid0(VALU_DEP_3) | instskip(NEXT) | instid1(VALU_DEP_3)
	v_and_b32_e32 v41, 0x8000, v41
	v_and_b32_e32 v40, 0xfc00, v40
	s_delay_alu instid0(VALU_DEP_1)
	v_or3_b32 v39, v41, v40, v39
.LBB249_403:                            ;   in Loop: Header=BB249_298 Depth=1
	s_wait_alu 0xfffe
	s_or_b32 exec_lo, exec_lo, s21
.LBB249_404:                            ;   in Loop: Header=BB249_298 Depth=1
	s_wait_alu 0xfffe
	s_or_b32 exec_lo, exec_lo, s19
.LBB249_405:                            ;   in Loop: Header=BB249_298 Depth=1
	s_wait_alu 0xfffe
	s_or_b32 exec_lo, exec_lo, s18
	v_lshrrev_b16 v1, 8, v1
	v_mov_b32_e32 v40, 0
	s_mov_b32 s18, exec_lo
	s_delay_alu instid0(VALU_DEP_2)
	v_cmpx_ne_u16_e32 0, v1
	s_cbranch_execz .LBB249_413
; %bb.406:                              ;   in Loop: Header=BB249_298 Depth=1
	v_bfrev_b32_e32 v40, 1
	s_mov_b32 s19, exec_lo
	v_cmpx_ne_u16_e32 0x80, v1
	s_cbranch_execz .LBB249_412
; %bb.407:                              ;   in Loop: Header=BB249_298 Depth=1
	v_and_b32_e32 v41, 0xffff, v1
	v_mov_b32_e32 v40, 0x7c010000
	s_mov_b32 s21, exec_lo
	s_delay_alu instid0(VALU_DEP_2) | instskip(NEXT) | instid1(VALU_DEP_1)
	v_and_b32_e32 v43, 0x7f, v41
	v_cmpx_ne_u32_e32 0x7f, v43
	s_cbranch_execz .LBB249_411
; %bb.408:                              ;   in Loop: Header=BB249_298 Depth=1
	v_and_b32_e32 v40, 7, v41
	v_lshrrev_b32_e32 v42, 3, v43
	s_mov_b32 s22, exec_lo
	v_cmpx_gt_u32_e32 8, v43
; %bb.409:                              ;   in Loop: Header=BB249_298 Depth=1
	s_delay_alu instid0(VALU_DEP_3) | instskip(NEXT) | instid1(VALU_DEP_1)
	v_clz_i32_u32_e32 v40, v40
	v_min_u32_e32 v40, 32, v40
	s_delay_alu instid0(VALU_DEP_1) | instskip(NEXT) | instid1(VALU_DEP_1)
	v_subrev_nc_u32_e32 v42, 28, v40
	v_lshlrev_b64_e32 v[43:44], v42, v[1:2]
	v_sub_nc_u32_e32 v42, 29, v40
	s_delay_alu instid0(VALU_DEP_2)
	v_and_b32_e32 v40, 7, v43
; %bb.410:                              ;   in Loop: Header=BB249_298 Depth=1
	s_wait_alu 0xfffe
	s_or_b32 exec_lo, exec_lo, s22
	v_lshlrev_b32_e32 v1, 8, v41
	v_lshl_add_u32 v41, v42, 10, 0x2000
	v_lshlrev_b32_e32 v40, 23, v40
	s_delay_alu instid0(VALU_DEP_2) | instskip(NEXT) | instid1(VALU_DEP_1)
	v_and_or_b32 v1, 0x8000, v1, v41
	v_lshl_or_b32 v40, v1, 16, v40
.LBB249_411:                            ;   in Loop: Header=BB249_298 Depth=1
	s_wait_alu 0xfffe
	s_or_b32 exec_lo, exec_lo, s21
.LBB249_412:                            ;   in Loop: Header=BB249_298 Depth=1
	s_wait_alu 0xfffe
	s_or_b32 exec_lo, exec_lo, s19
.LBB249_413:                            ;   in Loop: Header=BB249_298 Depth=1
	s_wait_alu 0xfffe
	s_or_b32 exec_lo, exec_lo, s18
	v_lshrrev_b32_e32 v1, 16, v10
	s_mov_b32 s18, exec_lo
	s_delay_alu instid0(VALU_DEP_1) | instskip(NEXT) | instid1(VALU_DEP_1)
	v_and_b32_e32 v41, 0xff, v1
	v_cmpx_ne_u16_e32 0, v41
	s_cbranch_execz .LBB249_421
; %bb.414:                              ;   in Loop: Header=BB249_298 Depth=1
	v_mov_b32_e32 v38, 0x8000
	s_mov_b32 s19, exec_lo
	v_cmpx_ne_u16_e32 0x80, v41
	s_cbranch_execz .LBB249_420
; %bb.415:                              ;   in Loop: Header=BB249_298 Depth=1
	v_bfe_u32 v42, v10, 16, 7
	v_mov_b32_e32 v38, 0x7c01
	s_mov_b32 s21, exec_lo
	s_delay_alu instid0(VALU_DEP_2)
	v_cmpx_ne_u32_e32 0x7f, v42
	s_cbranch_execz .LBB249_419
; %bb.416:                              ;   in Loop: Header=BB249_298 Depth=1
	v_and_b32_e32 v38, 7, v1
	v_lshrrev_b32_e32 v41, 3, v42
	s_mov_b32 s22, exec_lo
	v_cmpx_gt_u32_e32 8, v42
; %bb.417:                              ;   in Loop: Header=BB249_298 Depth=1
	s_delay_alu instid0(VALU_DEP_3) | instskip(NEXT) | instid1(VALU_DEP_1)
	v_clz_i32_u32_e32 v38, v38
	v_min_u32_e32 v38, 32, v38
	s_delay_alu instid0(VALU_DEP_1) | instskip(NEXT) | instid1(VALU_DEP_1)
	v_subrev_nc_u32_e32 v41, 28, v38
	v_lshlrev_b64_e32 v[42:43], v41, v[1:2]
	v_sub_nc_u32_e32 v41, 29, v38
	s_delay_alu instid0(VALU_DEP_2)
	v_and_b32_e32 v38, 7, v42
; %bb.418:                              ;   in Loop: Header=BB249_298 Depth=1
	s_wait_alu 0xfffe
	s_or_b32 exec_lo, exec_lo, s22
	v_lshlrev_b32_e32 v1, 8, v1
	v_lshl_add_u32 v41, v41, 10, 0x2000
	v_lshlrev_b32_e32 v38, 7, v38
	s_delay_alu instid0(VALU_DEP_3) | instskip(NEXT) | instid1(VALU_DEP_3)
	v_and_b32_e32 v1, 0x8000, v1
	v_and_b32_e32 v41, 0xfc00, v41
	s_delay_alu instid0(VALU_DEP_1)
	v_or3_b32 v38, v1, v41, v38
.LBB249_419:                            ;   in Loop: Header=BB249_298 Depth=1
	s_wait_alu 0xfffe
	s_or_b32 exec_lo, exec_lo, s21
.LBB249_420:                            ;   in Loop: Header=BB249_298 Depth=1
	s_wait_alu 0xfffe
	s_or_b32 exec_lo, exec_lo, s19
.LBB249_421:                            ;   in Loop: Header=BB249_298 Depth=1
	s_wait_alu 0xfffe
	s_or_b32 exec_lo, exec_lo, s18
	v_cmp_lt_u64_e64 s0, s[8:9], v[9:10]
	v_mov_b32_e32 v9, 0
	s_and_saveexec_b32 s18, s0
	s_cbranch_execz .LBB249_429
; %bb.422:                              ;   in Loop: Header=BB249_298 Depth=1
	v_lshrrev_b32_e32 v1, 24, v10
	v_bfrev_b32_e32 v9, 1
	s_mov_b32 s19, exec_lo
	s_delay_alu instid0(VALU_DEP_2)
	v_cmpx_ne_u32_e32 0x80, v1
	s_cbranch_execz .LBB249_428
; %bb.423:                              ;   in Loop: Header=BB249_298 Depth=1
	v_and_b32_e32 v41, 0x7f, v1
	v_mov_b32_e32 v9, 0x7c010000
	s_mov_b32 s21, exec_lo
	s_delay_alu instid0(VALU_DEP_2)
	v_cmpx_ne_u32_e32 0x7f, v41
	s_cbranch_execz .LBB249_427
; %bb.424:                              ;   in Loop: Header=BB249_298 Depth=1
	v_and_b32_e32 v9, 7, v1
	v_lshrrev_b32_e32 v10, 3, v41
	s_mov_b32 s22, exec_lo
	v_cmpx_gt_u32_e32 8, v41
; %bb.425:                              ;   in Loop: Header=BB249_298 Depth=1
	s_delay_alu instid0(VALU_DEP_3) | instskip(NEXT) | instid1(VALU_DEP_1)
	v_clz_i32_u32_e32 v9, v9
	v_min_u32_e32 v41, 32, v9
	s_delay_alu instid0(VALU_DEP_1) | instskip(NEXT) | instid1(VALU_DEP_1)
	v_subrev_nc_u32_e32 v9, 28, v41
	v_lshlrev_b64_e32 v[9:10], v9, v[1:2]
	v_sub_nc_u32_e32 v10, 29, v41
	s_delay_alu instid0(VALU_DEP_2)
	v_and_b32_e32 v9, 7, v9
; %bb.426:                              ;   in Loop: Header=BB249_298 Depth=1
	s_wait_alu 0xfffe
	s_or_b32 exec_lo, exec_lo, s22
	v_lshlrev_b32_e32 v1, 8, v1
	v_lshl_add_u32 v10, v10, 10, 0x2000
	v_lshlrev_b32_e32 v9, 23, v9
	s_delay_alu instid0(VALU_DEP_2) | instskip(NEXT) | instid1(VALU_DEP_1)
	v_and_or_b32 v1, 0x8000, v1, v10
	v_lshl_or_b32 v9, v1, 16, v9
.LBB249_427:                            ;   in Loop: Header=BB249_298 Depth=1
	s_wait_alu 0xfffe
	s_or_b32 exec_lo, exec_lo, s21
.LBB249_428:                            ;   in Loop: Header=BB249_298 Depth=1
	s_wait_alu 0xfffe
	s_or_b32 exec_lo, exec_lo, s19
.LBB249_429:                            ;   in Loop: Header=BB249_298 Depth=1
	s_wait_alu 0xfffe
	s_or_b32 exec_lo, exec_lo, s18
	v_or_b32_e32 v1, v36, v37
	s_wait_loadcnt 0x0
	v_fma_mixlo_f16 v10, v33, v36, 0 op_sel:[0,1,0] op_sel_hi:[0,1,0]
	v_or_b32_e32 v36, v34, v35
	v_fma_mixlo_f16 v34, v33, v34, 0 op_sel:[0,1,0] op_sel_hi:[0,1,0]
	v_or_b32_e32 v37, v40, v39
	v_or_b32_e32 v38, v9, v38
	v_fma_mixlo_f16 v39, v33, v1, 0 op_sel_hi:[0,1,0]
	v_fma_mixlo_f16 v9, v33, v9, 0 op_sel:[0,1,0] op_sel_hi:[0,1,0]
	v_lshlrev_b32_e32 v35, 16, v34
	v_fma_mixlo_f16 v34, v33, v36, 0 op_sel_hi:[0,1,0]
	v_fma_mixlo_f16 v36, v33, v40, 0 op_sel:[0,1,0] op_sel_hi:[0,1,0]
	v_fma_mixlo_f16 v37, v33, v37, 0 op_sel_hi:[0,1,0]
	v_fma_mixlo_f16 v38, v33, v38, 0 op_sel_hi:[0,1,0]
	v_lshlrev_b32_e32 v1, 16, v10
	v_and_b32_e32 v10, 0xffff, v39
	v_and_b32_e32 v41, 0xffff, v34
	v_lshlrev_b32_e32 v33, 16, v36
	v_and_b32_e32 v37, 0xffff, v37
	v_lshlrev_b32_e32 v9, 16, v9
	v_and_b32_e32 v34, 0xffff, v38
	v_or_b32_e32 v36, v1, v10
	v_or_b32_e32 v40, v35, v41
	;; [unrolled: 1-line block ×3, first 2 shown]
	s_delay_alu instid0(VALU_DEP_4)
	v_or_b32_e32 v38, v9, v34
	s_and_saveexec_b32 s18, vcc_lo
	s_cbranch_execz .LBB249_431
; %bb.430:                              ;   in Loop: Header=BB249_298 Depth=1
	v_cmp_gt_i32_e64 s0, s36, v12
	s_wait_alu 0xf1ff
	s_delay_alu instid0(VALU_DEP_1) | instskip(SKIP_2) | instid1(VALU_DEP_1)
	v_cndmask_b32_e64 v36, 0, v41, s0
	v_cmp_gt_i32_e64 s0, s36, v26
	s_wait_alu 0xf1ff
	v_cndmask_b32_e64 v35, 0, v35, s0
	v_cmp_gt_i32_e64 s0, s36, v25
	s_delay_alu instid0(VALU_DEP_2) | instskip(SKIP_1) | instid1(VALU_DEP_2)
	v_or_b32_e32 v40, v35, v36
	s_wait_alu 0xf1ff
	v_cndmask_b32_e64 v10, 0, v10, s0
	v_cmp_gt_i32_e64 s0, s36, v24
	s_wait_alu 0xf1ff
	s_delay_alu instid0(VALU_DEP_1) | instskip(SKIP_1) | instid1(VALU_DEP_2)
	v_cndmask_b32_e64 v1, 0, v1, s0
	v_cmp_gt_i32_e64 s0, s36, v23
	v_or_b32_e32 v36, v1, v10
	s_wait_alu 0xf1ff
	s_delay_alu instid0(VALU_DEP_2) | instskip(SKIP_2) | instid1(VALU_DEP_1)
	v_cndmask_b32_e64 v37, 0, v37, s0
	v_cmp_gt_i32_e64 s0, s36, v22
	s_wait_alu 0xf1ff
	v_cndmask_b32_e64 v33, 0, v33, s0
	v_cmp_gt_i32_e64 s0, s36, v21
	s_delay_alu instid0(VALU_DEP_2) | instskip(SKIP_1) | instid1(VALU_DEP_2)
	v_or_b32_e32 v39, v33, v37
	s_wait_alu 0xf1ff
	v_cndmask_b32_e64 v34, 0, v34, s0
	v_cmp_gt_i32_e64 s0, s36, v20
	s_wait_alu 0xf1ff
	s_delay_alu instid0(VALU_DEP_1) | instskip(NEXT) | instid1(VALU_DEP_1)
	v_cndmask_b32_e64 v9, 0, v9, s0
	v_or_b32_e32 v38, v9, v34
.LBB249_431:                            ;   in Loop: Header=BB249_298 Depth=1
	s_wait_alu 0xfffe
	s_or_b32 exec_lo, exec_lo, s18
	;;#ASMSTART
	v_pk_mul_f16 v1, v32, v40;

	;;#ASMEND
	;;#ASMSTART
	v_pk_mul_f16 v9, v31, v36;

	;;#ASMEND
	;; [unrolled: 4-line block ×4, first 2 shown]
	;;#ASMSTART
	v_pk_add_f16 v1, v1, v9;

	;;#ASMEND
	;;#ASMSTART
	v_pk_add_f16 v1, v1, v10;

	;;#ASMEND
	;; [unrolled: 4-line block ×3, first 2 shown]
	v_dual_mov_b32 v36, 0 :: v_dual_and_b32 v9, 0xffff, v1
	v_lshrrev_b32_e32 v1, 16, v1
	;;#ASMSTART
	v_cvt_f32_f16 v33, v9;
	;;#ASMEND
	;;#ASMSTART
	v_cvt_f32_f16 v34, v1;
	;;#ASMEND
	global_load_b64 v[9:10], v[7:8], off offset:512
	global_load_b32 v35, v36, s[10:11]
	v_mov_b32_e32 v37, 0
	s_mov_b32 s18, exec_lo
	s_wait_loadcnt 0x1
	v_and_b32_e32 v1, 0xff, v9
	s_delay_alu instid0(VALU_DEP_1)
	v_cmpx_ne_u16_e32 0, v1
	s_cbranch_execz .LBB249_439
; %bb.432:                              ;   in Loop: Header=BB249_298 Depth=1
	v_mov_b32_e32 v37, 0x8000
	s_mov_b32 s19, exec_lo
	v_cmpx_ne_u16_e32 0x80, v1
	s_cbranch_execz .LBB249_438
; %bb.433:                              ;   in Loop: Header=BB249_298 Depth=1
	v_and_b32_e32 v38, 0x7f, v9
	v_mov_b32_e32 v37, 0x7c01
	s_mov_b32 s21, exec_lo
	s_delay_alu instid0(VALU_DEP_2)
	v_cmpx_ne_u32_e32 0x7f, v38
	s_cbranch_execz .LBB249_437
; %bb.434:                              ;   in Loop: Header=BB249_298 Depth=1
	v_and_b32_e32 v1, 7, v9
	v_lshrrev_b32_e32 v37, 3, v38
	s_mov_b32 s22, exec_lo
	v_cmpx_gt_u32_e32 8, v38
; %bb.435:                              ;   in Loop: Header=BB249_298 Depth=1
	s_delay_alu instid0(VALU_DEP_3) | instskip(NEXT) | instid1(VALU_DEP_1)
	v_clz_i32_u32_e32 v1, v1
	v_min_u32_e32 v1, 32, v1
	s_delay_alu instid0(VALU_DEP_1) | instskip(NEXT) | instid1(VALU_DEP_1)
	v_subrev_nc_u32_e32 v37, 28, v1
	v_lshlrev_b64_e32 v[38:39], v37, v[9:10]
	v_sub_nc_u32_e32 v37, 29, v1
	s_delay_alu instid0(VALU_DEP_2)
	v_and_b32_e32 v1, 7, v38
; %bb.436:                              ;   in Loop: Header=BB249_298 Depth=1
	s_wait_alu 0xfffe
	s_or_b32 exec_lo, exec_lo, s22
	v_lshlrev_b32_e32 v38, 8, v9
	v_lshl_add_u32 v37, v37, 10, 0x2000
	v_lshlrev_b32_e32 v1, 7, v1
	s_delay_alu instid0(VALU_DEP_3) | instskip(NEXT) | instid1(VALU_DEP_3)
	v_and_b32_e32 v38, 0x8000, v38
	v_and_b32_e32 v37, 0xfc00, v37
	s_delay_alu instid0(VALU_DEP_1)
	v_or3_b32 v37, v38, v37, v1
.LBB249_437:                            ;   in Loop: Header=BB249_298 Depth=1
	s_wait_alu 0xfffe
	s_or_b32 exec_lo, exec_lo, s21
.LBB249_438:                            ;   in Loop: Header=BB249_298 Depth=1
	s_wait_alu 0xfffe
	s_or_b32 exec_lo, exec_lo, s19
.LBB249_439:                            ;   in Loop: Header=BB249_298 Depth=1
	s_wait_alu 0xfffe
	s_or_b32 exec_lo, exec_lo, s18
	v_lshrrev_b16 v1, 8, v9
	s_mov_b32 s18, exec_lo
	s_delay_alu instid0(VALU_DEP_1)
	v_cmpx_ne_u16_e32 0, v1
	s_cbranch_execz .LBB249_447
; %bb.440:                              ;   in Loop: Header=BB249_298 Depth=1
	v_bfrev_b32_e32 v36, 1
	s_mov_b32 s19, exec_lo
	v_cmpx_ne_u16_e32 0x80, v1
	s_cbranch_execz .LBB249_446
; %bb.441:                              ;   in Loop: Header=BB249_298 Depth=1
	v_and_b32_e32 v38, 0xffff, v1
	v_mov_b32_e32 v36, 0x7c010000
	s_mov_b32 s21, exec_lo
	s_delay_alu instid0(VALU_DEP_2) | instskip(NEXT) | instid1(VALU_DEP_1)
	v_and_b32_e32 v40, 0x7f, v38
	v_cmpx_ne_u32_e32 0x7f, v40
	s_cbranch_execz .LBB249_445
; %bb.442:                              ;   in Loop: Header=BB249_298 Depth=1
	v_and_b32_e32 v36, 7, v38
	v_lshrrev_b32_e32 v39, 3, v40
	s_mov_b32 s22, exec_lo
	v_cmpx_gt_u32_e32 8, v40
; %bb.443:                              ;   in Loop: Header=BB249_298 Depth=1
	s_delay_alu instid0(VALU_DEP_3) | instskip(NEXT) | instid1(VALU_DEP_1)
	v_clz_i32_u32_e32 v36, v36
	v_min_u32_e32 v36, 32, v36
	s_delay_alu instid0(VALU_DEP_1) | instskip(NEXT) | instid1(VALU_DEP_1)
	v_subrev_nc_u32_e32 v39, 28, v36
	v_lshlrev_b64_e32 v[40:41], v39, v[1:2]
	v_sub_nc_u32_e32 v39, 29, v36
	s_delay_alu instid0(VALU_DEP_2)
	v_and_b32_e32 v36, 7, v40
; %bb.444:                              ;   in Loop: Header=BB249_298 Depth=1
	s_wait_alu 0xfffe
	s_or_b32 exec_lo, exec_lo, s22
	v_lshlrev_b32_e32 v1, 8, v38
	v_lshl_add_u32 v38, v39, 10, 0x2000
	v_lshlrev_b32_e32 v36, 23, v36
	s_delay_alu instid0(VALU_DEP_2) | instskip(NEXT) | instid1(VALU_DEP_1)
	v_and_or_b32 v1, 0x8000, v1, v38
	v_lshl_or_b32 v36, v1, 16, v36
.LBB249_445:                            ;   in Loop: Header=BB249_298 Depth=1
	s_wait_alu 0xfffe
	s_or_b32 exec_lo, exec_lo, s21
.LBB249_446:                            ;   in Loop: Header=BB249_298 Depth=1
	s_wait_alu 0xfffe
	s_or_b32 exec_lo, exec_lo, s19
.LBB249_447:                            ;   in Loop: Header=BB249_298 Depth=1
	s_wait_alu 0xfffe
	s_or_b32 exec_lo, exec_lo, s18
	v_lshrrev_b32_e32 v1, 16, v9
	v_mov_b32_e32 v38, 0
	s_mov_b32 s18, exec_lo
	s_delay_alu instid0(VALU_DEP_2) | instskip(NEXT) | instid1(VALU_DEP_1)
	v_dual_mov_b32 v39, 0 :: v_dual_and_b32 v40, 0xff, v1
	v_cmpx_ne_u16_e32 0, v40
	s_cbranch_execz .LBB249_455
; %bb.448:                              ;   in Loop: Header=BB249_298 Depth=1
	v_mov_b32_e32 v39, 0x8000
	s_mov_b32 s19, exec_lo
	v_cmpx_ne_u16_e32 0x80, v40
	s_cbranch_execz .LBB249_454
; %bb.449:                              ;   in Loop: Header=BB249_298 Depth=1
	v_bfe_u32 v41, v9, 16, 7
	v_mov_b32_e32 v39, 0x7c01
	s_mov_b32 s21, exec_lo
	s_delay_alu instid0(VALU_DEP_2)
	v_cmpx_ne_u32_e32 0x7f, v41
	s_cbranch_execz .LBB249_453
; %bb.450:                              ;   in Loop: Header=BB249_298 Depth=1
	v_and_b32_e32 v39, 7, v1
	v_lshrrev_b32_e32 v40, 3, v41
	s_mov_b32 s22, exec_lo
	v_cmpx_gt_u32_e32 8, v41
; %bb.451:                              ;   in Loop: Header=BB249_298 Depth=1
	s_delay_alu instid0(VALU_DEP_3) | instskip(NEXT) | instid1(VALU_DEP_1)
	v_clz_i32_u32_e32 v39, v39
	v_min_u32_e32 v41, 32, v39
	s_delay_alu instid0(VALU_DEP_1) | instskip(NEXT) | instid1(VALU_DEP_1)
	v_subrev_nc_u32_e32 v39, 28, v41
	v_lshlrev_b64_e32 v[39:40], v39, v[1:2]
	v_sub_nc_u32_e32 v40, 29, v41
	s_delay_alu instid0(VALU_DEP_2)
	v_and_b32_e32 v39, 7, v39
; %bb.452:                              ;   in Loop: Header=BB249_298 Depth=1
	s_wait_alu 0xfffe
	s_or_b32 exec_lo, exec_lo, s22
	v_lshlrev_b32_e32 v1, 8, v1
	v_lshl_add_u32 v40, v40, 10, 0x2000
	v_lshlrev_b32_e32 v39, 7, v39
	s_delay_alu instid0(VALU_DEP_3) | instskip(NEXT) | instid1(VALU_DEP_3)
	v_and_b32_e32 v1, 0x8000, v1
	v_and_b32_e32 v40, 0xfc00, v40
	s_delay_alu instid0(VALU_DEP_1)
	v_or3_b32 v39, v1, v40, v39
.LBB249_453:                            ;   in Loop: Header=BB249_298 Depth=1
	s_wait_alu 0xfffe
	s_or_b32 exec_lo, exec_lo, s21
.LBB249_454:                            ;   in Loop: Header=BB249_298 Depth=1
	s_wait_alu 0xfffe
	s_or_b32 exec_lo, exec_lo, s19
.LBB249_455:                            ;   in Loop: Header=BB249_298 Depth=1
	s_wait_alu 0xfffe
	s_or_b32 exec_lo, exec_lo, s18
	s_delay_alu instid0(SALU_CYCLE_1)
	s_mov_b32 s18, exec_lo
	v_cmpx_lt_u32_e32 0xffffff, v9
	s_cbranch_execz .LBB249_463
; %bb.456:                              ;   in Loop: Header=BB249_298 Depth=1
	v_lshrrev_b32_e32 v1, 24, v9
	v_bfrev_b32_e32 v38, 1
	s_mov_b32 s19, exec_lo
	s_delay_alu instid0(VALU_DEP_2)
	v_cmpx_ne_u32_e32 0x80, v1
	s_cbranch_execz .LBB249_462
; %bb.457:                              ;   in Loop: Header=BB249_298 Depth=1
	v_and_b32_e32 v41, 0x7f, v1
	v_mov_b32_e32 v38, 0x7c010000
	s_mov_b32 s21, exec_lo
	s_delay_alu instid0(VALU_DEP_2)
	v_cmpx_ne_u32_e32 0x7f, v41
	s_cbranch_execz .LBB249_461
; %bb.458:                              ;   in Loop: Header=BB249_298 Depth=1
	v_and_b32_e32 v38, 7, v1
	v_lshrrev_b32_e32 v40, 3, v41
	s_mov_b32 s22, exec_lo
	v_cmpx_gt_u32_e32 8, v41
; %bb.459:                              ;   in Loop: Header=BB249_298 Depth=1
	s_delay_alu instid0(VALU_DEP_3) | instskip(NEXT) | instid1(VALU_DEP_1)
	v_clz_i32_u32_e32 v38, v38
	v_min_u32_e32 v38, 32, v38
	s_delay_alu instid0(VALU_DEP_1) | instskip(NEXT) | instid1(VALU_DEP_1)
	v_subrev_nc_u32_e32 v40, 28, v38
	v_lshlrev_b64_e32 v[41:42], v40, v[1:2]
	v_sub_nc_u32_e32 v40, 29, v38
	s_delay_alu instid0(VALU_DEP_2)
	v_and_b32_e32 v38, 7, v41
; %bb.460:                              ;   in Loop: Header=BB249_298 Depth=1
	s_wait_alu 0xfffe
	s_or_b32 exec_lo, exec_lo, s22
	v_lshlrev_b32_e32 v1, 8, v1
	v_lshl_add_u32 v40, v40, 10, 0x2000
	v_lshlrev_b32_e32 v38, 23, v38
	s_delay_alu instid0(VALU_DEP_2) | instskip(NEXT) | instid1(VALU_DEP_1)
	v_and_or_b32 v1, 0x8000, v1, v40
	v_lshl_or_b32 v38, v1, 16, v38
.LBB249_461:                            ;   in Loop: Header=BB249_298 Depth=1
	s_wait_alu 0xfffe
	s_or_b32 exec_lo, exec_lo, s21
.LBB249_462:                            ;   in Loop: Header=BB249_298 Depth=1
	s_wait_alu 0xfffe
	s_or_b32 exec_lo, exec_lo, s19
.LBB249_463:                            ;   in Loop: Header=BB249_298 Depth=1
	s_wait_alu 0xfffe
	s_or_b32 exec_lo, exec_lo, s18
	v_dual_mov_b32 v1, v10 :: v_dual_and_b32 v42, 0xff, v10
	v_dual_mov_b32 v40, 0 :: v_dual_mov_b32 v41, 0
	s_mov_b32 s18, exec_lo
	s_delay_alu instid0(VALU_DEP_2)
	v_cmpx_ne_u16_e32 0, v42
	s_cbranch_execz .LBB249_471
; %bb.464:                              ;   in Loop: Header=BB249_298 Depth=1
	v_mov_b32_e32 v41, 0x8000
	s_mov_b32 s19, exec_lo
	v_cmpx_ne_u16_e32 0x80, v42
	s_cbranch_execz .LBB249_470
; %bb.465:                              ;   in Loop: Header=BB249_298 Depth=1
	v_and_b32_e32 v43, 0x7f, v10
	v_mov_b32_e32 v41, 0x7c01
	s_mov_b32 s21, exec_lo
	s_delay_alu instid0(VALU_DEP_2)
	v_cmpx_ne_u32_e32 0x7f, v43
	s_cbranch_execz .LBB249_469
; %bb.466:                              ;   in Loop: Header=BB249_298 Depth=1
	v_and_b32_e32 v41, 7, v10
	v_lshrrev_b32_e32 v42, 3, v43
	s_mov_b32 s22, exec_lo
	v_cmpx_gt_u32_e32 8, v43
; %bb.467:                              ;   in Loop: Header=BB249_298 Depth=1
	s_delay_alu instid0(VALU_DEP_3) | instskip(NEXT) | instid1(VALU_DEP_1)
	v_clz_i32_u32_e32 v41, v41
	v_min_u32_e32 v43, 32, v41
	s_delay_alu instid0(VALU_DEP_1) | instskip(NEXT) | instid1(VALU_DEP_1)
	v_subrev_nc_u32_e32 v41, 28, v43
	v_lshlrev_b64_e32 v[41:42], v41, v[1:2]
	v_sub_nc_u32_e32 v42, 29, v43
	s_delay_alu instid0(VALU_DEP_2)
	v_and_b32_e32 v41, 7, v41
; %bb.468:                              ;   in Loop: Header=BB249_298 Depth=1
	s_wait_alu 0xfffe
	s_or_b32 exec_lo, exec_lo, s22
	v_lshlrev_b32_e32 v43, 8, v10
	v_lshl_add_u32 v42, v42, 10, 0x2000
	v_lshlrev_b32_e32 v41, 7, v41
	s_delay_alu instid0(VALU_DEP_3) | instskip(NEXT) | instid1(VALU_DEP_3)
	v_and_b32_e32 v43, 0x8000, v43
	v_and_b32_e32 v42, 0xfc00, v42
	s_delay_alu instid0(VALU_DEP_1)
	v_or3_b32 v41, v43, v42, v41
.LBB249_469:                            ;   in Loop: Header=BB249_298 Depth=1
	s_wait_alu 0xfffe
	s_or_b32 exec_lo, exec_lo, s21
.LBB249_470:                            ;   in Loop: Header=BB249_298 Depth=1
	s_wait_alu 0xfffe
	s_or_b32 exec_lo, exec_lo, s19
.LBB249_471:                            ;   in Loop: Header=BB249_298 Depth=1
	s_wait_alu 0xfffe
	s_or_b32 exec_lo, exec_lo, s18
	v_lshrrev_b16 v1, 8, v1
	v_mov_b32_e32 v42, 0
	s_mov_b32 s18, exec_lo
	s_delay_alu instid0(VALU_DEP_2)
	v_cmpx_ne_u16_e32 0, v1
	s_cbranch_execz .LBB249_479
; %bb.472:                              ;   in Loop: Header=BB249_298 Depth=1
	v_bfrev_b32_e32 v42, 1
	s_mov_b32 s19, exec_lo
	v_cmpx_ne_u16_e32 0x80, v1
	s_cbranch_execz .LBB249_478
; %bb.473:                              ;   in Loop: Header=BB249_298 Depth=1
	v_and_b32_e32 v43, 0xffff, v1
	v_mov_b32_e32 v42, 0x7c010000
	s_mov_b32 s21, exec_lo
	s_delay_alu instid0(VALU_DEP_2) | instskip(NEXT) | instid1(VALU_DEP_1)
	v_and_b32_e32 v45, 0x7f, v43
	v_cmpx_ne_u32_e32 0x7f, v45
	s_cbranch_execz .LBB249_477
; %bb.474:                              ;   in Loop: Header=BB249_298 Depth=1
	v_and_b32_e32 v42, 7, v43
	v_lshrrev_b32_e32 v44, 3, v45
	s_mov_b32 s22, exec_lo
	v_cmpx_gt_u32_e32 8, v45
; %bb.475:                              ;   in Loop: Header=BB249_298 Depth=1
	s_delay_alu instid0(VALU_DEP_3) | instskip(NEXT) | instid1(VALU_DEP_1)
	v_clz_i32_u32_e32 v42, v42
	v_min_u32_e32 v42, 32, v42
	s_delay_alu instid0(VALU_DEP_1) | instskip(NEXT) | instid1(VALU_DEP_1)
	v_subrev_nc_u32_e32 v44, 28, v42
	v_lshlrev_b64_e32 v[45:46], v44, v[1:2]
	v_sub_nc_u32_e32 v44, 29, v42
	s_delay_alu instid0(VALU_DEP_2)
	v_and_b32_e32 v42, 7, v45
; %bb.476:                              ;   in Loop: Header=BB249_298 Depth=1
	s_wait_alu 0xfffe
	s_or_b32 exec_lo, exec_lo, s22
	v_lshlrev_b32_e32 v1, 8, v43
	v_lshl_add_u32 v43, v44, 10, 0x2000
	v_lshlrev_b32_e32 v42, 23, v42
	s_delay_alu instid0(VALU_DEP_2) | instskip(NEXT) | instid1(VALU_DEP_1)
	v_and_or_b32 v1, 0x8000, v1, v43
	v_lshl_or_b32 v42, v1, 16, v42
.LBB249_477:                            ;   in Loop: Header=BB249_298 Depth=1
	s_wait_alu 0xfffe
	s_or_b32 exec_lo, exec_lo, s21
.LBB249_478:                            ;   in Loop: Header=BB249_298 Depth=1
	s_wait_alu 0xfffe
	s_or_b32 exec_lo, exec_lo, s19
.LBB249_479:                            ;   in Loop: Header=BB249_298 Depth=1
	s_wait_alu 0xfffe
	s_or_b32 exec_lo, exec_lo, s18
	v_lshrrev_b32_e32 v1, 16, v10
	s_mov_b32 s18, exec_lo
	s_delay_alu instid0(VALU_DEP_1) | instskip(NEXT) | instid1(VALU_DEP_1)
	v_and_b32_e32 v43, 0xff, v1
	v_cmpx_ne_u16_e32 0, v43
	s_cbranch_execz .LBB249_487
; %bb.480:                              ;   in Loop: Header=BB249_298 Depth=1
	v_mov_b32_e32 v40, 0x8000
	s_mov_b32 s19, exec_lo
	v_cmpx_ne_u16_e32 0x80, v43
	s_cbranch_execz .LBB249_486
; %bb.481:                              ;   in Loop: Header=BB249_298 Depth=1
	v_bfe_u32 v44, v10, 16, 7
	v_mov_b32_e32 v40, 0x7c01
	s_mov_b32 s21, exec_lo
	s_delay_alu instid0(VALU_DEP_2)
	v_cmpx_ne_u32_e32 0x7f, v44
	s_cbranch_execz .LBB249_485
; %bb.482:                              ;   in Loop: Header=BB249_298 Depth=1
	v_and_b32_e32 v40, 7, v1
	v_lshrrev_b32_e32 v43, 3, v44
	s_mov_b32 s22, exec_lo
	v_cmpx_gt_u32_e32 8, v44
; %bb.483:                              ;   in Loop: Header=BB249_298 Depth=1
	s_delay_alu instid0(VALU_DEP_3) | instskip(NEXT) | instid1(VALU_DEP_1)
	v_clz_i32_u32_e32 v40, v40
	v_min_u32_e32 v40, 32, v40
	s_delay_alu instid0(VALU_DEP_1) | instskip(NEXT) | instid1(VALU_DEP_1)
	v_subrev_nc_u32_e32 v43, 28, v40
	v_lshlrev_b64_e32 v[44:45], v43, v[1:2]
	v_sub_nc_u32_e32 v43, 29, v40
	s_delay_alu instid0(VALU_DEP_2)
	v_and_b32_e32 v40, 7, v44
; %bb.484:                              ;   in Loop: Header=BB249_298 Depth=1
	s_wait_alu 0xfffe
	s_or_b32 exec_lo, exec_lo, s22
	v_lshlrev_b32_e32 v1, 8, v1
	v_lshl_add_u32 v43, v43, 10, 0x2000
	v_lshlrev_b32_e32 v40, 7, v40
	s_delay_alu instid0(VALU_DEP_3) | instskip(NEXT) | instid1(VALU_DEP_3)
	v_and_b32_e32 v1, 0x8000, v1
	v_and_b32_e32 v43, 0xfc00, v43
	s_delay_alu instid0(VALU_DEP_1)
	v_or3_b32 v40, v1, v43, v40
.LBB249_485:                            ;   in Loop: Header=BB249_298 Depth=1
	s_wait_alu 0xfffe
	s_or_b32 exec_lo, exec_lo, s21
.LBB249_486:                            ;   in Loop: Header=BB249_298 Depth=1
	s_wait_alu 0xfffe
	s_or_b32 exec_lo, exec_lo, s19
.LBB249_487:                            ;   in Loop: Header=BB249_298 Depth=1
	s_wait_alu 0xfffe
	s_or_b32 exec_lo, exec_lo, s18
	v_cmp_lt_u64_e64 s0, s[8:9], v[9:10]
	v_mov_b32_e32 v9, 0
	s_and_saveexec_b32 s18, s0
	s_cbranch_execz .LBB249_495
; %bb.488:                              ;   in Loop: Header=BB249_298 Depth=1
	v_lshrrev_b32_e32 v1, 24, v10
	v_bfrev_b32_e32 v9, 1
	s_mov_b32 s19, exec_lo
	s_delay_alu instid0(VALU_DEP_2)
	v_cmpx_ne_u32_e32 0x80, v1
	s_cbranch_execz .LBB249_494
; %bb.489:                              ;   in Loop: Header=BB249_298 Depth=1
	v_and_b32_e32 v43, 0x7f, v1
	v_mov_b32_e32 v9, 0x7c010000
	s_mov_b32 s21, exec_lo
	s_delay_alu instid0(VALU_DEP_2)
	v_cmpx_ne_u32_e32 0x7f, v43
	s_cbranch_execz .LBB249_493
; %bb.490:                              ;   in Loop: Header=BB249_298 Depth=1
	v_and_b32_e32 v9, 7, v1
	v_lshrrev_b32_e32 v10, 3, v43
	s_mov_b32 s22, exec_lo
	v_cmpx_gt_u32_e32 8, v43
; %bb.491:                              ;   in Loop: Header=BB249_298 Depth=1
	s_delay_alu instid0(VALU_DEP_3) | instskip(NEXT) | instid1(VALU_DEP_1)
	v_clz_i32_u32_e32 v9, v9
	v_min_u32_e32 v43, 32, v9
	s_delay_alu instid0(VALU_DEP_1) | instskip(NEXT) | instid1(VALU_DEP_1)
	v_subrev_nc_u32_e32 v9, 28, v43
	v_lshlrev_b64_e32 v[9:10], v9, v[1:2]
	v_sub_nc_u32_e32 v10, 29, v43
	s_delay_alu instid0(VALU_DEP_2)
	v_and_b32_e32 v9, 7, v9
; %bb.492:                              ;   in Loop: Header=BB249_298 Depth=1
	s_wait_alu 0xfffe
	s_or_b32 exec_lo, exec_lo, s22
	v_lshlrev_b32_e32 v1, 8, v1
	v_lshl_add_u32 v10, v10, 10, 0x2000
	v_lshlrev_b32_e32 v9, 23, v9
	s_delay_alu instid0(VALU_DEP_2) | instskip(NEXT) | instid1(VALU_DEP_1)
	v_and_or_b32 v1, 0x8000, v1, v10
	v_lshl_or_b32 v9, v1, 16, v9
.LBB249_493:                            ;   in Loop: Header=BB249_298 Depth=1
	s_wait_alu 0xfffe
	s_or_b32 exec_lo, exec_lo, s21
.LBB249_494:                            ;   in Loop: Header=BB249_298 Depth=1
	s_wait_alu 0xfffe
	s_or_b32 exec_lo, exec_lo, s19
.LBB249_495:                            ;   in Loop: Header=BB249_298 Depth=1
	s_wait_alu 0xfffe
	s_or_b32 exec_lo, exec_lo, s18
	v_or_b32_e32 v1, v38, v39
	s_wait_loadcnt 0x0
	v_fma_mixlo_f16 v10, v35, v38, 0 op_sel:[0,1,0] op_sel_hi:[0,1,0]
	v_or_b32_e32 v38, v36, v37
	v_fma_mixlo_f16 v36, v35, v36, 0 op_sel:[0,1,0] op_sel_hi:[0,1,0]
	v_or_b32_e32 v39, v42, v41
	v_or_b32_e32 v40, v9, v40
	v_fma_mixlo_f16 v41, v35, v1, 0 op_sel_hi:[0,1,0]
	v_fma_mixlo_f16 v9, v35, v9, 0 op_sel:[0,1,0] op_sel_hi:[0,1,0]
	v_lshlrev_b32_e32 v37, 16, v36
	v_fma_mixlo_f16 v36, v35, v38, 0 op_sel_hi:[0,1,0]
	v_fma_mixlo_f16 v38, v35, v42, 0 op_sel:[0,1,0] op_sel_hi:[0,1,0]
	v_fma_mixlo_f16 v39, v35, v39, 0 op_sel_hi:[0,1,0]
	v_fma_mixlo_f16 v40, v35, v40, 0 op_sel_hi:[0,1,0]
	v_lshlrev_b32_e32 v1, 16, v10
	v_and_b32_e32 v10, 0xffff, v41
	v_and_b32_e32 v43, 0xffff, v36
	v_lshlrev_b32_e32 v35, 16, v38
	v_and_b32_e32 v39, 0xffff, v39
	v_lshlrev_b32_e32 v9, 16, v9
	v_and_b32_e32 v36, 0xffff, v40
	v_or_b32_e32 v38, v1, v10
	v_or_b32_e32 v42, v37, v43
	;; [unrolled: 1-line block ×3, first 2 shown]
	s_delay_alu instid0(VALU_DEP_4)
	v_or_b32_e32 v40, v9, v36
	s_and_saveexec_b32 s18, vcc_lo
	s_cbranch_execz .LBB249_497
; %bb.496:                              ;   in Loop: Header=BB249_298 Depth=1
	v_cmp_gt_i32_e64 s0, s36, v12
	s_wait_alu 0xf1ff
	s_delay_alu instid0(VALU_DEP_1) | instskip(SKIP_2) | instid1(VALU_DEP_1)
	v_cndmask_b32_e64 v38, 0, v43, s0
	v_cmp_gt_i32_e64 s0, s36, v26
	s_wait_alu 0xf1ff
	v_cndmask_b32_e64 v37, 0, v37, s0
	v_cmp_gt_i32_e64 s0, s36, v25
	s_delay_alu instid0(VALU_DEP_2) | instskip(SKIP_1) | instid1(VALU_DEP_2)
	v_or_b32_e32 v42, v37, v38
	s_wait_alu 0xf1ff
	v_cndmask_b32_e64 v10, 0, v10, s0
	v_cmp_gt_i32_e64 s0, s36, v24
	s_wait_alu 0xf1ff
	s_delay_alu instid0(VALU_DEP_1) | instskip(SKIP_1) | instid1(VALU_DEP_2)
	v_cndmask_b32_e64 v1, 0, v1, s0
	v_cmp_gt_i32_e64 s0, s36, v23
	v_or_b32_e32 v38, v1, v10
	s_wait_alu 0xf1ff
	s_delay_alu instid0(VALU_DEP_2) | instskip(SKIP_2) | instid1(VALU_DEP_1)
	v_cndmask_b32_e64 v39, 0, v39, s0
	v_cmp_gt_i32_e64 s0, s36, v22
	s_wait_alu 0xf1ff
	v_cndmask_b32_e64 v35, 0, v35, s0
	v_cmp_gt_i32_e64 s0, s36, v21
	s_delay_alu instid0(VALU_DEP_2) | instskip(SKIP_1) | instid1(VALU_DEP_2)
	v_or_b32_e32 v41, v35, v39
	s_wait_alu 0xf1ff
	v_cndmask_b32_e64 v36, 0, v36, s0
	v_cmp_gt_i32_e64 s0, s36, v20
	s_wait_alu 0xf1ff
	s_delay_alu instid0(VALU_DEP_1) | instskip(NEXT) | instid1(VALU_DEP_1)
	v_cndmask_b32_e64 v9, 0, v9, s0
	v_or_b32_e32 v40, v9, v36
.LBB249_497:                            ;   in Loop: Header=BB249_298 Depth=1
	s_wait_alu 0xfffe
	s_or_b32 exec_lo, exec_lo, s18
	;;#ASMSTART
	v_pk_mul_f16 v1, v32, v42;

	;;#ASMEND
	;;#ASMSTART
	v_pk_mul_f16 v9, v31, v38;

	;;#ASMEND
	;; [unrolled: 4-line block ×4, first 2 shown]
	;;#ASMSTART
	v_pk_add_f16 v1, v1, v9;

	;;#ASMEND
	;;#ASMSTART
	v_pk_add_f16 v1, v1, v10;

	;;#ASMEND
	;; [unrolled: 4-line block ×3, first 2 shown]
	v_dual_mov_b32 v36, 0 :: v_dual_and_b32 v9, 0xffff, v1
	v_lshrrev_b32_e32 v1, 16, v1
	;;#ASMSTART
	v_cvt_f32_f16 v9, v9;
	;;#ASMEND
	;;#ASMSTART
	v_cvt_f32_f16 v10, v1;
	;;#ASMEND
	global_load_b64 v[7:8], v[7:8], off offset:768
	global_load_b32 v35, v36, s[10:11]
	v_mov_b32_e32 v37, 0
	s_mov_b32 s18, exec_lo
	s_wait_loadcnt 0x1
	v_and_b32_e32 v1, 0xff, v7
	s_delay_alu instid0(VALU_DEP_1)
	v_cmpx_ne_u16_e32 0, v1
	s_cbranch_execz .LBB249_505
; %bb.498:                              ;   in Loop: Header=BB249_298 Depth=1
	v_mov_b32_e32 v37, 0x8000
	s_mov_b32 s19, exec_lo
	v_cmpx_ne_u16_e32 0x80, v1
	s_cbranch_execz .LBB249_504
; %bb.499:                              ;   in Loop: Header=BB249_298 Depth=1
	v_and_b32_e32 v38, 0x7f, v7
	v_mov_b32_e32 v37, 0x7c01
	s_mov_b32 s21, exec_lo
	s_delay_alu instid0(VALU_DEP_2)
	v_cmpx_ne_u32_e32 0x7f, v38
	s_cbranch_execz .LBB249_503
; %bb.500:                              ;   in Loop: Header=BB249_298 Depth=1
	v_and_b32_e32 v1, 7, v7
	v_lshrrev_b32_e32 v37, 3, v38
	s_mov_b32 s22, exec_lo
	v_cmpx_gt_u32_e32 8, v38
; %bb.501:                              ;   in Loop: Header=BB249_298 Depth=1
	s_delay_alu instid0(VALU_DEP_3) | instskip(NEXT) | instid1(VALU_DEP_1)
	v_clz_i32_u32_e32 v1, v1
	v_min_u32_e32 v1, 32, v1
	s_delay_alu instid0(VALU_DEP_1) | instskip(NEXT) | instid1(VALU_DEP_1)
	v_subrev_nc_u32_e32 v37, 28, v1
	v_lshlrev_b64_e32 v[38:39], v37, v[7:8]
	v_sub_nc_u32_e32 v37, 29, v1
	s_delay_alu instid0(VALU_DEP_2)
	v_and_b32_e32 v1, 7, v38
; %bb.502:                              ;   in Loop: Header=BB249_298 Depth=1
	s_wait_alu 0xfffe
	s_or_b32 exec_lo, exec_lo, s22
	v_lshlrev_b32_e32 v38, 8, v7
	v_lshl_add_u32 v37, v37, 10, 0x2000
	v_lshlrev_b32_e32 v1, 7, v1
	s_delay_alu instid0(VALU_DEP_3) | instskip(NEXT) | instid1(VALU_DEP_3)
	v_and_b32_e32 v38, 0x8000, v38
	v_and_b32_e32 v37, 0xfc00, v37
	s_delay_alu instid0(VALU_DEP_1)
	v_or3_b32 v37, v38, v37, v1
.LBB249_503:                            ;   in Loop: Header=BB249_298 Depth=1
	s_wait_alu 0xfffe
	s_or_b32 exec_lo, exec_lo, s21
.LBB249_504:                            ;   in Loop: Header=BB249_298 Depth=1
	s_wait_alu 0xfffe
	s_or_b32 exec_lo, exec_lo, s19
.LBB249_505:                            ;   in Loop: Header=BB249_298 Depth=1
	s_wait_alu 0xfffe
	s_or_b32 exec_lo, exec_lo, s18
	v_lshrrev_b16 v1, 8, v7
	s_mov_b32 s18, exec_lo
	s_delay_alu instid0(VALU_DEP_1)
	v_cmpx_ne_u16_e32 0, v1
	s_cbranch_execz .LBB249_513
; %bb.506:                              ;   in Loop: Header=BB249_298 Depth=1
	v_bfrev_b32_e32 v36, 1
	s_mov_b32 s19, exec_lo
	v_cmpx_ne_u16_e32 0x80, v1
	s_cbranch_execz .LBB249_512
; %bb.507:                              ;   in Loop: Header=BB249_298 Depth=1
	v_and_b32_e32 v38, 0xffff, v1
	v_mov_b32_e32 v36, 0x7c010000
	s_mov_b32 s21, exec_lo
	s_delay_alu instid0(VALU_DEP_2) | instskip(NEXT) | instid1(VALU_DEP_1)
	v_and_b32_e32 v40, 0x7f, v38
	v_cmpx_ne_u32_e32 0x7f, v40
	s_cbranch_execz .LBB249_511
; %bb.508:                              ;   in Loop: Header=BB249_298 Depth=1
	v_and_b32_e32 v36, 7, v38
	v_lshrrev_b32_e32 v39, 3, v40
	s_mov_b32 s22, exec_lo
	v_cmpx_gt_u32_e32 8, v40
; %bb.509:                              ;   in Loop: Header=BB249_298 Depth=1
	s_delay_alu instid0(VALU_DEP_3) | instskip(NEXT) | instid1(VALU_DEP_1)
	v_clz_i32_u32_e32 v36, v36
	v_min_u32_e32 v36, 32, v36
	s_delay_alu instid0(VALU_DEP_1) | instskip(NEXT) | instid1(VALU_DEP_1)
	v_subrev_nc_u32_e32 v39, 28, v36
	v_lshlrev_b64_e32 v[40:41], v39, v[1:2]
	v_sub_nc_u32_e32 v39, 29, v36
	s_delay_alu instid0(VALU_DEP_2)
	v_and_b32_e32 v36, 7, v40
; %bb.510:                              ;   in Loop: Header=BB249_298 Depth=1
	s_wait_alu 0xfffe
	s_or_b32 exec_lo, exec_lo, s22
	v_lshlrev_b32_e32 v1, 8, v38
	v_lshl_add_u32 v38, v39, 10, 0x2000
	v_lshlrev_b32_e32 v36, 23, v36
	s_delay_alu instid0(VALU_DEP_2) | instskip(NEXT) | instid1(VALU_DEP_1)
	v_and_or_b32 v1, 0x8000, v1, v38
	v_lshl_or_b32 v36, v1, 16, v36
.LBB249_511:                            ;   in Loop: Header=BB249_298 Depth=1
	s_wait_alu 0xfffe
	s_or_b32 exec_lo, exec_lo, s21
.LBB249_512:                            ;   in Loop: Header=BB249_298 Depth=1
	s_wait_alu 0xfffe
	s_or_b32 exec_lo, exec_lo, s19
.LBB249_513:                            ;   in Loop: Header=BB249_298 Depth=1
	s_wait_alu 0xfffe
	s_or_b32 exec_lo, exec_lo, s18
	v_lshrrev_b32_e32 v1, 16, v7
	v_mov_b32_e32 v38, 0
	s_mov_b32 s18, exec_lo
	s_delay_alu instid0(VALU_DEP_2) | instskip(NEXT) | instid1(VALU_DEP_1)
	v_dual_mov_b32 v39, 0 :: v_dual_and_b32 v40, 0xff, v1
	v_cmpx_ne_u16_e32 0, v40
	s_cbranch_execz .LBB249_521
; %bb.514:                              ;   in Loop: Header=BB249_298 Depth=1
	v_mov_b32_e32 v39, 0x8000
	s_mov_b32 s19, exec_lo
	v_cmpx_ne_u16_e32 0x80, v40
	s_cbranch_execz .LBB249_520
; %bb.515:                              ;   in Loop: Header=BB249_298 Depth=1
	v_bfe_u32 v41, v7, 16, 7
	v_mov_b32_e32 v39, 0x7c01
	s_mov_b32 s21, exec_lo
	s_delay_alu instid0(VALU_DEP_2)
	v_cmpx_ne_u32_e32 0x7f, v41
	s_cbranch_execz .LBB249_519
; %bb.516:                              ;   in Loop: Header=BB249_298 Depth=1
	v_and_b32_e32 v39, 7, v1
	v_lshrrev_b32_e32 v40, 3, v41
	s_mov_b32 s22, exec_lo
	v_cmpx_gt_u32_e32 8, v41
; %bb.517:                              ;   in Loop: Header=BB249_298 Depth=1
	s_delay_alu instid0(VALU_DEP_3) | instskip(NEXT) | instid1(VALU_DEP_1)
	v_clz_i32_u32_e32 v39, v39
	v_min_u32_e32 v41, 32, v39
	s_delay_alu instid0(VALU_DEP_1) | instskip(NEXT) | instid1(VALU_DEP_1)
	v_subrev_nc_u32_e32 v39, 28, v41
	v_lshlrev_b64_e32 v[39:40], v39, v[1:2]
	v_sub_nc_u32_e32 v40, 29, v41
	s_delay_alu instid0(VALU_DEP_2)
	v_and_b32_e32 v39, 7, v39
; %bb.518:                              ;   in Loop: Header=BB249_298 Depth=1
	s_wait_alu 0xfffe
	s_or_b32 exec_lo, exec_lo, s22
	v_lshlrev_b32_e32 v1, 8, v1
	v_lshl_add_u32 v40, v40, 10, 0x2000
	v_lshlrev_b32_e32 v39, 7, v39
	s_delay_alu instid0(VALU_DEP_3) | instskip(NEXT) | instid1(VALU_DEP_3)
	v_and_b32_e32 v1, 0x8000, v1
	v_and_b32_e32 v40, 0xfc00, v40
	s_delay_alu instid0(VALU_DEP_1)
	v_or3_b32 v39, v1, v40, v39
.LBB249_519:                            ;   in Loop: Header=BB249_298 Depth=1
	s_wait_alu 0xfffe
	s_or_b32 exec_lo, exec_lo, s21
.LBB249_520:                            ;   in Loop: Header=BB249_298 Depth=1
	s_wait_alu 0xfffe
	s_or_b32 exec_lo, exec_lo, s19
.LBB249_521:                            ;   in Loop: Header=BB249_298 Depth=1
	s_wait_alu 0xfffe
	s_or_b32 exec_lo, exec_lo, s18
	s_delay_alu instid0(SALU_CYCLE_1)
	s_mov_b32 s18, exec_lo
	v_cmpx_lt_u32_e32 0xffffff, v7
	s_cbranch_execz .LBB249_529
; %bb.522:                              ;   in Loop: Header=BB249_298 Depth=1
	v_lshrrev_b32_e32 v1, 24, v7
	v_bfrev_b32_e32 v38, 1
	s_mov_b32 s19, exec_lo
	s_delay_alu instid0(VALU_DEP_2)
	v_cmpx_ne_u32_e32 0x80, v1
	s_cbranch_execz .LBB249_528
; %bb.523:                              ;   in Loop: Header=BB249_298 Depth=1
	v_and_b32_e32 v41, 0x7f, v1
	v_mov_b32_e32 v38, 0x7c010000
	s_mov_b32 s21, exec_lo
	s_delay_alu instid0(VALU_DEP_2)
	v_cmpx_ne_u32_e32 0x7f, v41
	s_cbranch_execz .LBB249_527
; %bb.524:                              ;   in Loop: Header=BB249_298 Depth=1
	v_and_b32_e32 v38, 7, v1
	v_lshrrev_b32_e32 v40, 3, v41
	s_mov_b32 s22, exec_lo
	v_cmpx_gt_u32_e32 8, v41
; %bb.525:                              ;   in Loop: Header=BB249_298 Depth=1
	s_delay_alu instid0(VALU_DEP_3) | instskip(NEXT) | instid1(VALU_DEP_1)
	v_clz_i32_u32_e32 v38, v38
	v_min_u32_e32 v38, 32, v38
	s_delay_alu instid0(VALU_DEP_1) | instskip(NEXT) | instid1(VALU_DEP_1)
	v_subrev_nc_u32_e32 v40, 28, v38
	v_lshlrev_b64_e32 v[41:42], v40, v[1:2]
	v_sub_nc_u32_e32 v40, 29, v38
	s_delay_alu instid0(VALU_DEP_2)
	v_and_b32_e32 v38, 7, v41
; %bb.526:                              ;   in Loop: Header=BB249_298 Depth=1
	s_wait_alu 0xfffe
	s_or_b32 exec_lo, exec_lo, s22
	v_lshlrev_b32_e32 v1, 8, v1
	v_lshl_add_u32 v40, v40, 10, 0x2000
	v_lshlrev_b32_e32 v38, 23, v38
	s_delay_alu instid0(VALU_DEP_2) | instskip(NEXT) | instid1(VALU_DEP_1)
	v_and_or_b32 v1, 0x8000, v1, v40
	v_lshl_or_b32 v38, v1, 16, v38
.LBB249_527:                            ;   in Loop: Header=BB249_298 Depth=1
	s_wait_alu 0xfffe
	s_or_b32 exec_lo, exec_lo, s21
.LBB249_528:                            ;   in Loop: Header=BB249_298 Depth=1
	s_wait_alu 0xfffe
	s_or_b32 exec_lo, exec_lo, s19
.LBB249_529:                            ;   in Loop: Header=BB249_298 Depth=1
	s_wait_alu 0xfffe
	s_or_b32 exec_lo, exec_lo, s18
	v_dual_mov_b32 v1, v8 :: v_dual_and_b32 v42, 0xff, v8
	v_dual_mov_b32 v40, 0 :: v_dual_mov_b32 v41, 0
	s_mov_b32 s18, exec_lo
	s_delay_alu instid0(VALU_DEP_2)
	v_cmpx_ne_u16_e32 0, v42
	s_cbranch_execz .LBB249_537
; %bb.530:                              ;   in Loop: Header=BB249_298 Depth=1
	v_mov_b32_e32 v41, 0x8000
	s_mov_b32 s19, exec_lo
	v_cmpx_ne_u16_e32 0x80, v42
	s_cbranch_execz .LBB249_536
; %bb.531:                              ;   in Loop: Header=BB249_298 Depth=1
	v_and_b32_e32 v43, 0x7f, v8
	v_mov_b32_e32 v41, 0x7c01
	s_mov_b32 s21, exec_lo
	s_delay_alu instid0(VALU_DEP_2)
	v_cmpx_ne_u32_e32 0x7f, v43
	s_cbranch_execz .LBB249_535
; %bb.532:                              ;   in Loop: Header=BB249_298 Depth=1
	v_and_b32_e32 v41, 7, v8
	v_lshrrev_b32_e32 v42, 3, v43
	s_mov_b32 s22, exec_lo
	v_cmpx_gt_u32_e32 8, v43
; %bb.533:                              ;   in Loop: Header=BB249_298 Depth=1
	s_delay_alu instid0(VALU_DEP_3) | instskip(NEXT) | instid1(VALU_DEP_1)
	v_clz_i32_u32_e32 v41, v41
	v_min_u32_e32 v43, 32, v41
	s_delay_alu instid0(VALU_DEP_1) | instskip(NEXT) | instid1(VALU_DEP_1)
	v_subrev_nc_u32_e32 v41, 28, v43
	v_lshlrev_b64_e32 v[41:42], v41, v[1:2]
	v_sub_nc_u32_e32 v42, 29, v43
	s_delay_alu instid0(VALU_DEP_2)
	v_and_b32_e32 v41, 7, v41
; %bb.534:                              ;   in Loop: Header=BB249_298 Depth=1
	s_wait_alu 0xfffe
	s_or_b32 exec_lo, exec_lo, s22
	v_lshlrev_b32_e32 v43, 8, v8
	v_lshl_add_u32 v42, v42, 10, 0x2000
	v_lshlrev_b32_e32 v41, 7, v41
	s_delay_alu instid0(VALU_DEP_3) | instskip(NEXT) | instid1(VALU_DEP_3)
	v_and_b32_e32 v43, 0x8000, v43
	v_and_b32_e32 v42, 0xfc00, v42
	s_delay_alu instid0(VALU_DEP_1)
	v_or3_b32 v41, v43, v42, v41
.LBB249_535:                            ;   in Loop: Header=BB249_298 Depth=1
	s_wait_alu 0xfffe
	s_or_b32 exec_lo, exec_lo, s21
.LBB249_536:                            ;   in Loop: Header=BB249_298 Depth=1
	s_wait_alu 0xfffe
	s_or_b32 exec_lo, exec_lo, s19
.LBB249_537:                            ;   in Loop: Header=BB249_298 Depth=1
	s_wait_alu 0xfffe
	s_or_b32 exec_lo, exec_lo, s18
	v_lshrrev_b16 v1, 8, v1
	v_mov_b32_e32 v42, 0
	s_mov_b32 s18, exec_lo
	s_delay_alu instid0(VALU_DEP_2)
	v_cmpx_ne_u16_e32 0, v1
	s_cbranch_execz .LBB249_545
; %bb.538:                              ;   in Loop: Header=BB249_298 Depth=1
	v_bfrev_b32_e32 v42, 1
	s_mov_b32 s19, exec_lo
	v_cmpx_ne_u16_e32 0x80, v1
	s_cbranch_execz .LBB249_544
; %bb.539:                              ;   in Loop: Header=BB249_298 Depth=1
	v_and_b32_e32 v43, 0xffff, v1
	v_mov_b32_e32 v42, 0x7c010000
	s_mov_b32 s21, exec_lo
	s_delay_alu instid0(VALU_DEP_2) | instskip(NEXT) | instid1(VALU_DEP_1)
	v_and_b32_e32 v45, 0x7f, v43
	v_cmpx_ne_u32_e32 0x7f, v45
	s_cbranch_execz .LBB249_543
; %bb.540:                              ;   in Loop: Header=BB249_298 Depth=1
	v_and_b32_e32 v42, 7, v43
	v_lshrrev_b32_e32 v44, 3, v45
	s_mov_b32 s22, exec_lo
	v_cmpx_gt_u32_e32 8, v45
; %bb.541:                              ;   in Loop: Header=BB249_298 Depth=1
	s_delay_alu instid0(VALU_DEP_3) | instskip(NEXT) | instid1(VALU_DEP_1)
	v_clz_i32_u32_e32 v42, v42
	v_min_u32_e32 v42, 32, v42
	s_delay_alu instid0(VALU_DEP_1) | instskip(NEXT) | instid1(VALU_DEP_1)
	v_subrev_nc_u32_e32 v44, 28, v42
	v_lshlrev_b64_e32 v[45:46], v44, v[1:2]
	v_sub_nc_u32_e32 v44, 29, v42
	s_delay_alu instid0(VALU_DEP_2)
	v_and_b32_e32 v42, 7, v45
; %bb.542:                              ;   in Loop: Header=BB249_298 Depth=1
	s_wait_alu 0xfffe
	s_or_b32 exec_lo, exec_lo, s22
	v_lshlrev_b32_e32 v1, 8, v43
	v_lshl_add_u32 v43, v44, 10, 0x2000
	v_lshlrev_b32_e32 v42, 23, v42
	s_delay_alu instid0(VALU_DEP_2) | instskip(NEXT) | instid1(VALU_DEP_1)
	v_and_or_b32 v1, 0x8000, v1, v43
	v_lshl_or_b32 v42, v1, 16, v42
.LBB249_543:                            ;   in Loop: Header=BB249_298 Depth=1
	s_wait_alu 0xfffe
	s_or_b32 exec_lo, exec_lo, s21
.LBB249_544:                            ;   in Loop: Header=BB249_298 Depth=1
	s_wait_alu 0xfffe
	s_or_b32 exec_lo, exec_lo, s19
.LBB249_545:                            ;   in Loop: Header=BB249_298 Depth=1
	s_wait_alu 0xfffe
	s_or_b32 exec_lo, exec_lo, s18
	v_lshrrev_b32_e32 v1, 16, v8
	s_mov_b32 s18, exec_lo
	s_delay_alu instid0(VALU_DEP_1) | instskip(NEXT) | instid1(VALU_DEP_1)
	v_and_b32_e32 v43, 0xff, v1
	v_cmpx_ne_u16_e32 0, v43
	s_cbranch_execz .LBB249_553
; %bb.546:                              ;   in Loop: Header=BB249_298 Depth=1
	v_mov_b32_e32 v40, 0x8000
	s_mov_b32 s19, exec_lo
	v_cmpx_ne_u16_e32 0x80, v43
	s_cbranch_execz .LBB249_552
; %bb.547:                              ;   in Loop: Header=BB249_298 Depth=1
	v_bfe_u32 v44, v8, 16, 7
	v_mov_b32_e32 v40, 0x7c01
	s_mov_b32 s21, exec_lo
	s_delay_alu instid0(VALU_DEP_2)
	v_cmpx_ne_u32_e32 0x7f, v44
	s_cbranch_execz .LBB249_551
; %bb.548:                              ;   in Loop: Header=BB249_298 Depth=1
	v_and_b32_e32 v40, 7, v1
	v_lshrrev_b32_e32 v43, 3, v44
	s_mov_b32 s22, exec_lo
	v_cmpx_gt_u32_e32 8, v44
; %bb.549:                              ;   in Loop: Header=BB249_298 Depth=1
	s_delay_alu instid0(VALU_DEP_3) | instskip(NEXT) | instid1(VALU_DEP_1)
	v_clz_i32_u32_e32 v40, v40
	v_min_u32_e32 v40, 32, v40
	s_delay_alu instid0(VALU_DEP_1) | instskip(NEXT) | instid1(VALU_DEP_1)
	v_subrev_nc_u32_e32 v43, 28, v40
	v_lshlrev_b64_e32 v[44:45], v43, v[1:2]
	v_sub_nc_u32_e32 v43, 29, v40
	s_delay_alu instid0(VALU_DEP_2)
	v_and_b32_e32 v40, 7, v44
; %bb.550:                              ;   in Loop: Header=BB249_298 Depth=1
	s_wait_alu 0xfffe
	s_or_b32 exec_lo, exec_lo, s22
	v_lshlrev_b32_e32 v1, 8, v1
	v_lshl_add_u32 v43, v43, 10, 0x2000
	v_lshlrev_b32_e32 v40, 7, v40
	s_delay_alu instid0(VALU_DEP_3) | instskip(NEXT) | instid1(VALU_DEP_3)
	v_and_b32_e32 v1, 0x8000, v1
	v_and_b32_e32 v43, 0xfc00, v43
	s_delay_alu instid0(VALU_DEP_1)
	v_or3_b32 v40, v1, v43, v40
.LBB249_551:                            ;   in Loop: Header=BB249_298 Depth=1
	s_wait_alu 0xfffe
	s_or_b32 exec_lo, exec_lo, s21
.LBB249_552:                            ;   in Loop: Header=BB249_298 Depth=1
	s_wait_alu 0xfffe
	s_or_b32 exec_lo, exec_lo, s19
.LBB249_553:                            ;   in Loop: Header=BB249_298 Depth=1
	s_wait_alu 0xfffe
	s_or_b32 exec_lo, exec_lo, s18
	v_cmp_lt_u64_e64 s0, s[8:9], v[7:8]
	v_mov_b32_e32 v7, 0
	s_and_saveexec_b32 s18, s0
	s_cbranch_execz .LBB249_561
; %bb.554:                              ;   in Loop: Header=BB249_298 Depth=1
	v_lshrrev_b32_e32 v1, 24, v8
	v_bfrev_b32_e32 v7, 1
	s_mov_b32 s19, exec_lo
	s_delay_alu instid0(VALU_DEP_2)
	v_cmpx_ne_u32_e32 0x80, v1
	s_cbranch_execz .LBB249_560
; %bb.555:                              ;   in Loop: Header=BB249_298 Depth=1
	v_and_b32_e32 v43, 0x7f, v1
	v_mov_b32_e32 v7, 0x7c010000
	s_mov_b32 s21, exec_lo
	s_delay_alu instid0(VALU_DEP_2)
	v_cmpx_ne_u32_e32 0x7f, v43
	s_cbranch_execz .LBB249_559
; %bb.556:                              ;   in Loop: Header=BB249_298 Depth=1
	v_and_b32_e32 v7, 7, v1
	v_lshrrev_b32_e32 v8, 3, v43
	s_mov_b32 s22, exec_lo
	v_cmpx_gt_u32_e32 8, v43
; %bb.557:                              ;   in Loop: Header=BB249_298 Depth=1
	s_delay_alu instid0(VALU_DEP_3) | instskip(NEXT) | instid1(VALU_DEP_1)
	v_clz_i32_u32_e32 v7, v7
	v_min_u32_e32 v43, 32, v7
	s_delay_alu instid0(VALU_DEP_1) | instskip(NEXT) | instid1(VALU_DEP_1)
	v_subrev_nc_u32_e32 v7, 28, v43
	v_lshlrev_b64_e32 v[7:8], v7, v[1:2]
	v_sub_nc_u32_e32 v8, 29, v43
	s_delay_alu instid0(VALU_DEP_2)
	v_and_b32_e32 v7, 7, v7
; %bb.558:                              ;   in Loop: Header=BB249_298 Depth=1
	s_wait_alu 0xfffe
	s_or_b32 exec_lo, exec_lo, s22
	v_lshlrev_b32_e32 v1, 8, v1
	v_lshl_add_u32 v8, v8, 10, 0x2000
	v_lshlrev_b32_e32 v7, 23, v7
	s_delay_alu instid0(VALU_DEP_2) | instskip(NEXT) | instid1(VALU_DEP_1)
	v_and_or_b32 v1, 0x8000, v1, v8
	v_lshl_or_b32 v7, v1, 16, v7
.LBB249_559:                            ;   in Loop: Header=BB249_298 Depth=1
	s_wait_alu 0xfffe
	s_or_b32 exec_lo, exec_lo, s21
.LBB249_560:                            ;   in Loop: Header=BB249_298 Depth=1
	s_wait_alu 0xfffe
	s_or_b32 exec_lo, exec_lo, s19
.LBB249_561:                            ;   in Loop: Header=BB249_298 Depth=1
	s_wait_alu 0xfffe
	s_or_b32 exec_lo, exec_lo, s18
	v_or_b32_e32 v1, v38, v39
	s_wait_loadcnt 0x0
	v_fma_mixlo_f16 v8, v35, v38, 0 op_sel:[0,1,0] op_sel_hi:[0,1,0]
	v_or_b32_e32 v37, v36, v37
	v_fma_mixlo_f16 v38, v35, v36, 0 op_sel:[0,1,0] op_sel_hi:[0,1,0]
	v_or_b32_e32 v39, v42, v41
	v_fma_mixlo_f16 v1, v35, v1, 0 op_sel_hi:[0,1,0]
	v_or_b32_e32 v40, v7, v40
	v_lshlrev_b32_e32 v36, 16, v8
	v_lshlrev_b32_e32 v41, 16, v38
	v_fma_mixlo_f16 v8, v35, v37, 0 op_sel_hi:[0,1,0]
	v_and_b32_e32 v38, 0xffff, v1
	v_fma_mixlo_f16 v1, v35, v42, 0 op_sel:[0,1,0] op_sel_hi:[0,1,0]
	v_fma_mixlo_f16 v37, v35, v39, 0 op_sel_hi:[0,1,0]
	v_fma_mixlo_f16 v7, v35, v7, 0 op_sel:[0,1,0] op_sel_hi:[0,1,0]
	v_fma_mixlo_f16 v40, v35, v40, 0 op_sel_hi:[0,1,0]
	v_and_b32_e32 v43, 0xffff, v8
	v_lshlrev_b32_e32 v39, 16, v1
	v_and_b32_e32 v42, 0xffff, v37
	v_lshlrev_b32_e32 v35, 16, v7
	v_and_b32_e32 v40, 0xffff, v40
	v_or_b32_e32 v8, v36, v38
	v_or_b32_e32 v37, v41, v43
	;; [unrolled: 1-line block ×3, first 2 shown]
	s_delay_alu instid0(VALU_DEP_4)
	v_or_b32_e32 v1, v35, v40
	s_and_saveexec_b32 s0, vcc_lo
	s_cbranch_execz .LBB249_296
; %bb.562:                              ;   in Loop: Header=BB249_298 Depth=1
	v_cmp_gt_i32_e32 vcc_lo, s36, v12
	s_wait_alu 0xfffd
	v_cndmask_b32_e32 v1, 0, v43, vcc_lo
	v_cmp_gt_i32_e32 vcc_lo, s36, v26
	s_wait_alu 0xfffd
	v_cndmask_b32_e32 v7, 0, v41, vcc_lo
	;; [unrolled: 3-line block ×4, first 2 shown]
	v_cmp_gt_i32_e32 vcc_lo, s36, v23
	v_or_b32_e32 v37, v7, v1
	s_delay_alu instid0(VALU_DEP_3)
	v_or_b32_e32 v8, v24, v8
	s_wait_alu 0xfffd
	v_cndmask_b32_e32 v23, 0, v42, vcc_lo
	v_cmp_gt_i32_e32 vcc_lo, s36, v22
	s_wait_alu 0xfffd
	v_cndmask_b32_e32 v22, 0, v39, vcc_lo
	v_cmp_gt_i32_e32 vcc_lo, s36, v21
	s_delay_alu instid0(VALU_DEP_2)
	v_or_b32_e32 v7, v22, v23
	s_wait_alu 0xfffd
	v_cndmask_b32_e32 v21, 0, v40, vcc_lo
	v_cmp_gt_i32_e32 vcc_lo, s36, v20
	s_wait_alu 0xfffd
	v_cndmask_b32_e32 v20, 0, v35, vcc_lo
	s_delay_alu instid0(VALU_DEP_1)
	v_or_b32_e32 v1, v20, v21
	s_branch .LBB249_296
.LBB249_563:
	s_or_b32 exec_lo, exec_lo, s14
.LBB249_564:
	s_wait_alu 0xfffe
	s_or_b32 exec_lo, exec_lo, s1
	v_lshl_add_u32 v2, v14, 2, 0x120
	v_and_b32_e32 v3, 0x3c0, v0
	s_mov_b32 s0, exec_lo
	s_wait_loadcnt 0x0
	s_wait_storecnt 0x0
	s_barrier_signal -1
	v_lshl_add_u32 v1, v11, 9, v2
	s_barrier_wait -1
	global_inv scope:SCOPE_SE
	v_cmpx_eq_u32_e32 64, v3
	s_cbranch_execz .LBB249_566
; %bb.565:
	v_add_nc_u32_e32 v3, 0xfffffc00, v1
	v_add_nc_u32_e32 v4, 0xfffffc80, v1
	;; [unrolled: 1-line block ×4, first 2 shown]
	ds_store_b32 v3, v18
	ds_store_b32 v4, v17
	;; [unrolled: 1-line block ×4, first 2 shown]
.LBB249_566:
	s_wait_alu 0xfffe
	s_or_b32 exec_lo, exec_lo, s0
	s_wait_loadcnt_dscnt 0x0
	s_barrier_signal -1
	s_barrier_wait -1
	global_inv scope:SCOPE_SE
	s_and_saveexec_b32 s0, s2
	s_cbranch_execz .LBB249_568
; %bb.567:
	ds_load_2addr_b32 v[3:4], v1 offset1:32
	ds_load_2addr_b32 v[5:6], v1 offset0:64 offset1:96
	s_wait_dscnt 0x1
	v_dual_add_f32 v18, v18, v3 :: v_dual_add_f32 v17, v17, v4
	s_wait_dscnt 0x0
	v_dual_add_f32 v16, v16, v5 :: v_dual_add_f32 v15, v15, v6
.LBB249_568:
	s_wait_alu 0xfffe
	s_or_b32 exec_lo, exec_lo, s0
	v_and_b32_e32 v3, 0x3e0, v0
	s_mov_b32 s0, exec_lo
	s_wait_loadcnt 0x0
	s_barrier_signal -1
	s_barrier_wait -1
	global_inv scope:SCOPE_SE
	v_cmpx_eq_u32_e32 32, v3
	s_cbranch_execz .LBB249_570
; %bb.569:
	ds_store_2addr_b32 v2, v18, v17 offset1:32
	ds_store_2addr_b32 v2, v16, v15 offset0:64 offset1:96
.LBB249_570:
	s_wait_alu 0xfffe
	s_or_b32 exec_lo, exec_lo, s0
	v_cmp_gt_u32_e32 vcc_lo, 32, v0
	s_wait_loadcnt_dscnt 0x0
	s_barrier_signal -1
	s_barrier_wait -1
	global_inv scope:SCOPE_SE
	s_and_saveexec_b32 s0, vcc_lo
	s_cbranch_execz .LBB249_572
; %bb.571:
	ds_load_2addr_b32 v[2:3], v1 offset1:32
	ds_load_2addr_b32 v[4:5], v1 offset0:64 offset1:96
	s_wait_dscnt 0x1
	v_dual_add_f32 v18, v18, v2 :: v_dual_add_f32 v17, v17, v3
	s_wait_dscnt 0x0
	v_dual_add_f32 v16, v16, v4 :: v_dual_add_f32 v15, v15, v5
.LBB249_572:
	s_wait_alu 0xfffe
	s_or_b32 exec_lo, exec_lo, s0
	s_wait_loadcnt 0x0
	s_barrier_signal -1
	s_barrier_wait -1
	global_inv scope:SCOPE_SE
	s_and_saveexec_b32 s0, vcc_lo
	s_cbranch_execz .LBB249_574
; %bb.573:
	s_lshl_b32 s0, s4, 7
	s_mul_i32 s2, s12, s24
	s_wait_alu 0xfffe
	s_ashr_i32 s1, s0, 31
	s_ashr_i32 s3, s2, 31
	s_wait_alu 0xfffe
	s_lshl_b64 s[0:1], s[0:1], 1
	s_lshl_b64 s[2:3], s[2:3], 1
	s_wait_kmcnt 0x0
	s_wait_alu 0xfffe
	s_add_nc_u64 s[0:1], s[6:7], s[0:1]
	v_lshlrev_b32_e32 v0, 1, v0
	s_lshl_b32 s4, s33, 8
	s_wait_alu 0xfffe
	s_add_nc_u64 s[0:1], s[0:1], s[2:3]
	s_mov_b32 s5, 0
	;;#ASMSTART
	v_cvt_f16_f32 v1, v18;

	;;#ASMEND
	s_wait_alu 0xfffe
	s_add_nc_u64 s[0:1], s[0:1], s[4:5]
	global_store_b16 v0, v1, s[0:1]
	;;#ASMSTART
	v_cvt_f16_f32 v1, v17;

	;;#ASMEND
	global_store_b16 v0, v1, s[0:1] offset:64
	;;#ASMSTART
	v_cvt_f16_f32 v1, v16;

	;;#ASMEND
	global_store_b16 v0, v1, s[0:1] offset:128
	;; [unrolled: 5-line block ×3, first 2 shown]
.LBB249_574:
	s_endpgm
	.section	.rodata,"a",@progbits
	.p2align	6, 0x0
	.amdhsa_kernel _ZN4vllm25paged_attention_v2_kernelIthLi128ELi8ELi128ELNS_18Fp8KVCacheDataTypeE1ELb1ELi512EEEvPfS2_PT_PKS3_PKT0_S9_ifPKiSB_iPKfiiiSD_SD_iiiii
		.amdhsa_group_segment_fixed_size 288
		.amdhsa_private_segment_fixed_size 0
		.amdhsa_kernarg_size 400
		.amdhsa_user_sgpr_count 2
		.amdhsa_user_sgpr_dispatch_ptr 0
		.amdhsa_user_sgpr_queue_ptr 0
		.amdhsa_user_sgpr_kernarg_segment_ptr 1
		.amdhsa_user_sgpr_dispatch_id 0
		.amdhsa_user_sgpr_private_segment_size 0
		.amdhsa_wavefront_size32 1
		.amdhsa_uses_dynamic_stack 0
		.amdhsa_enable_private_segment 0
		.amdhsa_system_sgpr_workgroup_id_x 1
		.amdhsa_system_sgpr_workgroup_id_y 1
		.amdhsa_system_sgpr_workgroup_id_z 1
		.amdhsa_system_sgpr_workgroup_info 0
		.amdhsa_system_vgpr_workitem_id 0
		.amdhsa_next_free_vgpr 80
		.amdhsa_next_free_sgpr 48
		.amdhsa_reserve_vcc 1
		.amdhsa_float_round_mode_32 0
		.amdhsa_float_round_mode_16_64 0
		.amdhsa_float_denorm_mode_32 3
		.amdhsa_float_denorm_mode_16_64 3
		.amdhsa_fp16_overflow 0
		.amdhsa_workgroup_processor_mode 1
		.amdhsa_memory_ordered 1
		.amdhsa_forward_progress 1
		.amdhsa_inst_pref_size 171
		.amdhsa_round_robin_scheduling 0
		.amdhsa_exception_fp_ieee_invalid_op 0
		.amdhsa_exception_fp_denorm_src 0
		.amdhsa_exception_fp_ieee_div_zero 0
		.amdhsa_exception_fp_ieee_overflow 0
		.amdhsa_exception_fp_ieee_underflow 0
		.amdhsa_exception_fp_ieee_inexact 0
		.amdhsa_exception_int_div_zero 0
	.end_amdhsa_kernel
	.section	.text._ZN4vllm25paged_attention_v2_kernelIthLi128ELi8ELi128ELNS_18Fp8KVCacheDataTypeE1ELb1ELi512EEEvPfS2_PT_PKS3_PKT0_S9_ifPKiSB_iPKfiiiSD_SD_iiiii,"axG",@progbits,_ZN4vllm25paged_attention_v2_kernelIthLi128ELi8ELi128ELNS_18Fp8KVCacheDataTypeE1ELb1ELi512EEEvPfS2_PT_PKS3_PKT0_S9_ifPKiSB_iPKfiiiSD_SD_iiiii,comdat
.Lfunc_end249:
	.size	_ZN4vllm25paged_attention_v2_kernelIthLi128ELi8ELi128ELNS_18Fp8KVCacheDataTypeE1ELb1ELi512EEEvPfS2_PT_PKS3_PKT0_S9_ifPKiSB_iPKfiiiSD_SD_iiiii, .Lfunc_end249-_ZN4vllm25paged_attention_v2_kernelIthLi128ELi8ELi128ELNS_18Fp8KVCacheDataTypeE1ELb1ELi512EEEvPfS2_PT_PKS3_PKT0_S9_ifPKiSB_iPKfiiiSD_SD_iiiii
                                        ; -- End function
	.set _ZN4vllm25paged_attention_v2_kernelIthLi128ELi8ELi128ELNS_18Fp8KVCacheDataTypeE1ELb1ELi512EEEvPfS2_PT_PKS3_PKT0_S9_ifPKiSB_iPKfiiiSD_SD_iiiii.num_vgpr, 80
	.set _ZN4vllm25paged_attention_v2_kernelIthLi128ELi8ELi128ELNS_18Fp8KVCacheDataTypeE1ELb1ELi512EEEvPfS2_PT_PKS3_PKT0_S9_ifPKiSB_iPKfiiiSD_SD_iiiii.num_agpr, 0
	.set _ZN4vllm25paged_attention_v2_kernelIthLi128ELi8ELi128ELNS_18Fp8KVCacheDataTypeE1ELb1ELi512EEEvPfS2_PT_PKS3_PKT0_S9_ifPKiSB_iPKfiiiSD_SD_iiiii.numbered_sgpr, 48
	.set _ZN4vllm25paged_attention_v2_kernelIthLi128ELi8ELi128ELNS_18Fp8KVCacheDataTypeE1ELb1ELi512EEEvPfS2_PT_PKS3_PKT0_S9_ifPKiSB_iPKfiiiSD_SD_iiiii.num_named_barrier, 0
	.set _ZN4vllm25paged_attention_v2_kernelIthLi128ELi8ELi128ELNS_18Fp8KVCacheDataTypeE1ELb1ELi512EEEvPfS2_PT_PKS3_PKT0_S9_ifPKiSB_iPKfiiiSD_SD_iiiii.private_seg_size, 0
	.set _ZN4vllm25paged_attention_v2_kernelIthLi128ELi8ELi128ELNS_18Fp8KVCacheDataTypeE1ELb1ELi512EEEvPfS2_PT_PKS3_PKT0_S9_ifPKiSB_iPKfiiiSD_SD_iiiii.uses_vcc, 1
	.set _ZN4vllm25paged_attention_v2_kernelIthLi128ELi8ELi128ELNS_18Fp8KVCacheDataTypeE1ELb1ELi512EEEvPfS2_PT_PKS3_PKT0_S9_ifPKiSB_iPKfiiiSD_SD_iiiii.uses_flat_scratch, 0
	.set _ZN4vllm25paged_attention_v2_kernelIthLi128ELi8ELi128ELNS_18Fp8KVCacheDataTypeE1ELb1ELi512EEEvPfS2_PT_PKS3_PKT0_S9_ifPKiSB_iPKfiiiSD_SD_iiiii.has_dyn_sized_stack, 0
	.set _ZN4vllm25paged_attention_v2_kernelIthLi128ELi8ELi128ELNS_18Fp8KVCacheDataTypeE1ELb1ELi512EEEvPfS2_PT_PKS3_PKT0_S9_ifPKiSB_iPKfiiiSD_SD_iiiii.has_recursion, 0
	.set _ZN4vllm25paged_attention_v2_kernelIthLi128ELi8ELi128ELNS_18Fp8KVCacheDataTypeE1ELb1ELi512EEEvPfS2_PT_PKS3_PKT0_S9_ifPKiSB_iPKfiiiSD_SD_iiiii.has_indirect_call, 0
	.section	.AMDGPU.csdata,"",@progbits
; Kernel info:
; codeLenInByte = 21808
; TotalNumSgprs: 50
; NumVgprs: 80
; ScratchSize: 0
; MemoryBound: 0
; FloatMode: 240
; IeeeMode: 1
; LDSByteSize: 288 bytes/workgroup (compile time only)
; SGPRBlocks: 0
; VGPRBlocks: 9
; NumSGPRsForWavesPerEU: 50
; NumVGPRsForWavesPerEU: 80
; Occupancy: 16
; WaveLimiterHint : 1
; COMPUTE_PGM_RSRC2:SCRATCH_EN: 0
; COMPUTE_PGM_RSRC2:USER_SGPR: 2
; COMPUTE_PGM_RSRC2:TRAP_HANDLER: 0
; COMPUTE_PGM_RSRC2:TGID_X_EN: 1
; COMPUTE_PGM_RSRC2:TGID_Y_EN: 1
; COMPUTE_PGM_RSRC2:TGID_Z_EN: 1
; COMPUTE_PGM_RSRC2:TIDIG_COMP_CNT: 0
	.section	.text._ZN4vllm25paged_attention_v2_kernelIthLi192ELi8ELi128ELNS_18Fp8KVCacheDataTypeE1ELb1ELi512EEEvPfS2_PT_PKS3_PKT0_S9_ifPKiSB_iPKfiiiSD_SD_iiiii,"axG",@progbits,_ZN4vllm25paged_attention_v2_kernelIthLi192ELi8ELi128ELNS_18Fp8KVCacheDataTypeE1ELb1ELi512EEEvPfS2_PT_PKS3_PKT0_S9_ifPKiSB_iPKfiiiSD_SD_iiiii,comdat
	.protected	_ZN4vllm25paged_attention_v2_kernelIthLi192ELi8ELi128ELNS_18Fp8KVCacheDataTypeE1ELb1ELi512EEEvPfS2_PT_PKS3_PKT0_S9_ifPKiSB_iPKfiiiSD_SD_iiiii ; -- Begin function _ZN4vllm25paged_attention_v2_kernelIthLi192ELi8ELi128ELNS_18Fp8KVCacheDataTypeE1ELb1ELi512EEEvPfS2_PT_PKS3_PKT0_S9_ifPKiSB_iPKfiiiSD_SD_iiiii
	.globl	_ZN4vllm25paged_attention_v2_kernelIthLi192ELi8ELi128ELNS_18Fp8KVCacheDataTypeE1ELb1ELi512EEEvPfS2_PT_PKS3_PKT0_S9_ifPKiSB_iPKfiiiSD_SD_iiiii
	.p2align	8
	.type	_ZN4vllm25paged_attention_v2_kernelIthLi192ELi8ELi128ELNS_18Fp8KVCacheDataTypeE1ELb1ELi512EEEvPfS2_PT_PKS3_PKT0_S9_ifPKiSB_iPKfiiiSD_SD_iiiii,@function
_ZN4vllm25paged_attention_v2_kernelIthLi192ELi8ELi128ELNS_18Fp8KVCacheDataTypeE1ELb1ELi512EEEvPfS2_PT_PKS3_PKT0_S9_ifPKiSB_iPKfiiiSD_SD_iiiii: ; @_ZN4vllm25paged_attention_v2_kernelIthLi192ELi8ELi128ELNS_18Fp8KVCacheDataTypeE1ELb1ELi512EEEvPfS2_PT_PKS3_PKT0_S9_ifPKiSB_iPKfiiiSD_SD_iiiii
; %bb.0:
	s_load_b64 s[2:3], s[0:1], 0x40
	s_and_b32 s28, ttmp7, 0xffff
	s_lshr_b32 s33, ttmp7, 16
	s_lshl_b32 s4, s28, 2
	s_lshl_b32 s35, s33, 9
	s_wait_kmcnt 0x0
	s_load_b32 s34, s[2:3], s4 offset:0x0
	s_wait_kmcnt 0x0
	s_cmp_ge_i32 s35, s34
	s_cbranch_scc1 .LBB250_834
; %bb.1:
	s_clause 0x1
	s_load_b32 s29, s[0:1], 0x90
	s_load_b64 s[6:7], s[0:1], 0x30
	s_wait_kmcnt 0x0
	s_abs_i32 s5, s29
	s_abs_i32 s2, s6
	s_delay_alu instid0(SALU_CYCLE_1) | instskip(SKIP_1) | instid1(SALU_CYCLE_2)
	s_cvt_f32_u32 s3, s2
	s_sub_co_i32 s4, 0, s2
	v_rcp_iflag_f32_e32 v1, s3
	s_delay_alu instid0(TRANS32_DEP_1) | instskip(SKIP_2) | instid1(SALU_CYCLE_2)
	v_readfirstlane_b32 s3, v1
	s_mul_f32 s3, s3, 0x4f7ffffe
	s_wait_alu 0xfffe
	s_cvt_u32_f32 s3, s3
	s_wait_alu 0xfffe
	s_delay_alu instid0(SALU_CYCLE_2) | instskip(NEXT) | instid1(SALU_CYCLE_1)
	s_mul_i32 s4, s4, s3
	s_mul_hi_u32 s4, s3, s4
	s_delay_alu instid0(SALU_CYCLE_1)
	s_add_co_i32 s3, s3, s4
	s_xor_b32 s4, s29, s6
	s_wait_alu 0xfffe
	s_mul_hi_u32 s3, s5, s3
	s_ashr_i32 s4, s4, 31
	s_wait_alu 0xfffe
	s_mul_i32 s8, s3, s2
	s_delay_alu instid0(SALU_CYCLE_1)
	s_sub_co_i32 s5, s5, s8
	s_add_co_i32 s8, s3, 1
	s_sub_co_i32 s9, s5, s2
	s_cmp_ge_u32 s5, s2
	s_cselect_b32 s3, s8, s3
	s_cselect_b32 s5, s9, s5
	s_wait_alu 0xfffe
	s_add_co_i32 s8, s3, 1
	s_cmp_ge_u32 s5, s2
	s_cselect_b32 s2, s8, s3
	s_load_b64 s[8:9], s[0:1], 0x50
	s_xor_b32 s2, s2, s4
	s_mov_b32 s3, 0
	s_wait_alu 0xfffe
	s_sub_co_i32 s11, s2, s4
	s_mov_b32 s30, s3
	s_abs_i32 s10, s11
	s_delay_alu instid0(SALU_CYCLE_1) | instskip(SKIP_1) | instid1(SALU_CYCLE_2)
	s_cvt_f32_u32 s2, s10
	s_wait_alu 0xfffe
	v_rcp_iflag_f32_e32 v1, s2
	s_delay_alu instid0(TRANS32_DEP_1) | instskip(SKIP_2) | instid1(SALU_CYCLE_2)
	v_readfirstlane_b32 s2, v1
	s_mul_f32 s2, s2, 0x4f7ffffe
	s_wait_alu 0xfffe
	s_cvt_u32_f32 s4, s2
	s_sub_co_i32 s2, 0, s10
	s_wait_alu 0xfffe
	s_delay_alu instid0(SALU_CYCLE_1)
	s_mul_i32 s2, s2, s4
	s_wait_alu 0xfffe
	s_mul_hi_u32 s5, s4, s2
	s_abs_i32 s2, ttmp9
	s_add_co_i32 s4, s4, s5
	s_mov_b32 s5, s3
	s_wait_kmcnt 0x0
	s_cmp_eq_u64 s[8:9], 0
	s_cbranch_scc1 .LBB250_3
; %bb.2:
	s_mov_b32 s12, ttmp9
	s_ashr_i32 s13, ttmp9, 31
	s_delay_alu instid0(SALU_CYCLE_1) | instskip(NEXT) | instid1(SALU_CYCLE_1)
	s_lshl_b64 s[12:13], s[12:13], 2
	s_add_nc_u64 s[8:9], s[8:9], s[12:13]
	s_load_b32 s30, s[8:9], 0x0
.LBB250_3:
	s_load_b96 s[16:18], s[0:1], 0x58
	v_and_b32_e32 v1, 3, v0
	s_mul_u64 s[4:5], s[2:3], s[4:5]
	s_ashr_i32 s3, ttmp9, 31
	s_ashr_i32 s4, s11, 31
	s_mul_i32 s20, ttmp9, 0xc0
	s_mov_b32 s8, exec_lo
	v_cmpx_gt_u32_e32 0x60, v0
	s_cbranch_execz .LBB250_5
; %bb.4:
	s_load_b64 s[12:13], s[0:1], 0x18
	s_wait_kmcnt 0x0
	s_mul_i32 s14, s16, s28
	s_ashr_i32 s21, s20, 31
	s_ashr_i32 s15, s14, 31
	v_lshlrev_b32_e32 v2, 2, v0
	s_lshl_b64 s[14:15], s[14:15], 1
	v_and_b32_e32 v3, 0x3fc, v0
	s_delay_alu instid0(VALU_DEP_1) | instskip(SKIP_2) | instid1(SALU_CYCLE_1)
	v_mad_u32_u24 v3, 0x60, v1, v3
	s_add_nc_u64 s[12:13], s[12:13], s[14:15]
	s_lshl_b64 s[14:15], s[20:21], 1
	s_add_nc_u64 s[12:13], s[12:13], s[14:15]
	global_load_b32 v2, v2, s[12:13]
	s_wait_loadcnt 0x0
	ds_store_b32 v3, v2
.LBB250_5:
	s_or_b32 exec_lo, exec_lo, s8
	s_load_b128 s[12:15], s[0:1], 0x78
	s_mul_i32 s8, s5, s10
	s_xor_b32 s3, s3, s4
	s_sub_co_i32 s2, s2, s8
	s_add_co_i32 s4, s5, 1
	s_wait_alu 0xfffe
	s_sub_co_i32 s8, s2, s10
	s_cmp_ge_u32 s2, s10
                                        ; implicit-def: $sgpr21
	s_cselect_b32 s4, s4, s5
	s_cselect_b32 s2, s8, s2
	s_add_co_i32 s5, s4, 1
	s_wait_alu 0xfffe
	s_cmp_ge_u32 s2, s10
	s_load_b32 s8, s[0:1], 0x88
	s_cselect_b32 s2, s5, s4
	s_add_co_i32 s9, s34, -1
	s_wait_alu 0xfffe
	s_xor_b32 s2, s2, s3
	s_mov_b32 s10, -1
	s_wait_alu 0xfffe
	s_sub_co_i32 s19, s2, s3
	s_wait_dscnt 0x0
	s_barrier_signal -1
	s_wait_kmcnt 0x0
	s_abs_i32 s16, s15
	s_barrier_wait -1
	s_cvt_f32_u32 s4, s16
	global_inv scope:SCOPE_SE
	v_rcp_iflag_f32_e32 v2, s4
	s_delay_alu instid0(TRANS32_DEP_1) | instskip(SKIP_2) | instid1(SALU_CYCLE_2)
	v_readfirstlane_b32 s4, v2
	s_mul_f32 s2, s4, 0x4f7ffffe
	s_wait_alu 0xfffe
	s_cvt_u32_f32 s4, s2
	s_sub_co_i32 s2, 0, s16
	s_wait_alu 0xfffe
	s_delay_alu instid0(SALU_CYCLE_1)
	s_mul_i32 s3, s2, s4
	s_abs_i32 s2, s9
	s_wait_alu 0xfffe
	s_mul_hi_u32 s5, s4, s3
	s_mov_b32 s3, 0
	s_wait_alu 0xfffe
	s_add_co_i32 s22, s4, s5
	s_cmp_lt_i32 s8, 0
	s_mov_b32 s23, s3
	s_cbranch_scc0 .LBB250_7
; %bb.6:
	s_mul_i32 s4, s12, s6
	s_mov_b32 s10, s3
	s_wait_alu 0xfffe
	s_add_co_i32 s4, s19, s4
	s_wait_alu 0xfffe
	s_mul_i32 s4, s4, s8
	s_wait_alu 0xfffe
	s_sub_co_i32 s21, 1, s4
.LBB250_7:
	s_mul_u64 s[4:5], s[2:3], s[22:23]
	s_ashr_i32 s3, s9, 31
	s_and_not1_b32 vcc_lo, exec_lo, s10
	s_ashr_i32 s15, s15, 31
	s_cbranch_vccnz .LBB250_9
; %bb.8:
	s_mul_i32 s4, s29, s12
	s_wait_alu 0xfffe
	s_add_co_i32 s4, s4, ttmp9
	s_wait_alu 0xfffe
	s_mul_i32 s4, s4, s8
	s_wait_alu 0xfffe
	s_add_co_i32 s21, s4, 1
.LBB250_9:
	s_clause 0x3
	s_load_b32 s4, s[0:1], 0x48
	s_load_b64 s[24:25], s[0:1], 0x38
	s_load_b32 s12, s[0:1], 0x98
	s_load_b128 s[8:11], s[0:1], 0x68
	s_mul_i32 s6, s5, s16
	s_xor_b32 s3, s3, s15
	s_sub_co_i32 s2, s2, s6
	s_add_co_i32 s23, s5, 1
	v_lshrrev_b32_e32 v11, 5, v0
	v_mov_b32_e32 v15, 0xff7fffff
	v_mbcnt_lo_u32_b32 v10, -1, 0
	s_mul_i32 s18, s19, s18
	s_delay_alu instid0(VALU_DEP_3)
	v_lshl_add_u32 v12, v11, 3, s35
	s_wait_kmcnt 0x0
	s_mul_i32 s26, s4, s28
	s_wait_alu 0xfffe
	s_sub_co_i32 s4, s2, s16
	s_ashr_i32 s27, s26, 31
	s_cmp_ge_u32 s2, s16
	s_cselect_b32 s5, s23, s5
	s_wait_alu 0xfffe
	s_cselect_b32 s2, s4, s2
	s_add_co_i32 s4, s5, 1
	s_wait_alu 0xfffe
	s_cmp_ge_u32 s2, s16
	s_cselect_b32 s2, s4, s5
	s_add_co_i32 s4, s34, 7
	s_lshl_b32 s38, s33, 6
	s_wait_alu 0xfffe
	s_ashr_i32 s5, s4, 31
	v_or_b32_e32 v13, s38, v11
	s_wait_alu 0xfffe
	s_lshr_b32 s5, s5, 29
	s_wait_alu 0xfffe
	s_add_co_i32 s4, s4, s5
	s_add_co_i32 s5, s38, 64
	s_wait_alu 0xfffe
	s_ashr_i32 s36, s4, 3
	s_xor_b32 s4, s2, s3
	s_min_i32 s23, s5, s36
	v_lshlrev_b32_e32 v9, 2, v13
	v_cmp_gt_i32_e64 s2, s23, v13
	s_wait_alu 0xfffe
	s_sub_co_i32 s37, s4, s3
	s_and_saveexec_b32 s6, s2
	s_cbranch_execz .LBB250_405
; %bb.10:
	s_sub_co_i32 s31, s37, s13
	s_ashr_i32 s19, s18, 31
	s_cmp_neq_f32 s30, 0
	s_load_b64 s[4:5], s[0:1], 0x20
	v_bfe_u32 v14, v0, 2, 3
	v_mov_b32_e32 v2, 0
	s_cselect_b32 vcc_lo, -1, 0
	s_abs_i32 s39, s14
	v_dual_mov_b32 v15, 0xff7fffff :: v_dual_lshlrev_b32 v4, 1, v1
	s_wait_alu 0xfffe
	s_cvt_f32_u32 s3, s39
	v_mul_u32_u24_e32 v16, 0x60, v1
	v_dual_mov_b32 v20, 0xff7fffff :: v_dual_lshlrev_b32 v5, 2, v14
	s_wait_alu 0xfffe
	v_rcp_iflag_f32_e32 v3, s3
	v_cmp_eq_u32_e64 s3, 0, v1
	v_lshlrev_b32_e32 v1, 4, v14
	v_lshl_or_b32 v8, v11, 5, v5
	s_lshl_b64 s[42:43], s[26:27], 2
	v_subrev_nc_u32_e32 v7, s34, v14
	s_add_nc_u64 s[42:43], s[24:25], s[42:43]
	s_sub_co_i32 s44, 0, s39
	v_lshl_add_u32 v17, v11, 3, s35
	s_wait_kmcnt 0x0
	s_add_nc_u64 s[4:5], s[4:5], s[18:19]
	v_readfirstlane_b32 s41, v3
	s_wait_alu 0xfffe
	v_add_co_u32 v1, s4, s4, v1
	s_wait_alu 0xf1ff
	v_add_co_ci_u32_e64 v5, null, s5, 0, s4
	s_mul_f32 s19, s41, 0x4f7ffffe
	v_add_co_u32 v3, s4, v1, v4
	s_wait_alu 0xf1ff
	v_add_co_ci_u32_e64 v4, null, 0, v5, s4
	s_cvt_u32_f32 s5, s19
	v_add_co_u32 v5, s4, s42, v9
	s_wait_alu 0xf1ff
	v_add_co_ci_u32_e64 v6, null, s43, 0, s4
	s_wait_alu 0xfffe
	s_mul_i32 s44, s44, s5
	v_dual_mov_b32 v21, v13 :: v_dual_add_nc_u32 v18, 1, v7
	v_add_nc_u32_e32 v19, 0x1a0, v8
	s_mul_hi_u32 s4, s5, s44
	s_mov_b32 s40, 0
	s_mov_b32 s19, s17
	s_wait_alu 0xfffe
	s_add_co_i32 s41, s5, s4
	s_branch .LBB250_13
.LBB250_11:                             ;   in Loop: Header=BB250_13 Depth=1
	s_wait_alu 0xfffe
	s_or_b32 exec_lo, exec_lo, s42
.LBB250_12:                             ;   in Loop: Header=BB250_13 Depth=1
	s_wait_alu 0xfffe
	s_or_b32 exec_lo, exec_lo, s5
	v_add_nc_u32_e32 v21, 4, v21
	v_add_co_u32 v5, s5, v5, 16
	s_wait_alu 0xf1ff
	v_add_co_ci_u32_e64 v6, null, 0, v6, s5
	s_delay_alu instid0(VALU_DEP_3)
	v_cmp_le_i32_e64 s4, s23, v21
	v_add_nc_u32_e32 v17, 32, v17
	v_add_nc_u32_e32 v19, 0x80, v19
	s_or_b32 s40, s4, s40
	s_wait_alu 0xfffe
	s_and_not1_b32 exec_lo, exec_lo, s40
	s_cbranch_execz .LBB250_404
.LBB250_13:                             ; =>This Inner Loop Header: Depth=1
	v_sub_nc_u32_e32 v1, 0, v17
	s_delay_alu instid0(VALU_DEP_1) | instskip(SKIP_1) | instid1(VALU_DEP_1)
	v_max_i32_e32 v1, v17, v1
	s_wait_dscnt 0x0
	v_mul_hi_u32 v7, v1, s22
	s_delay_alu instid0(VALU_DEP_1) | instskip(NEXT) | instid1(VALU_DEP_1)
	v_mul_lo_u32 v8, v7, s16
	v_sub_nc_u32_e32 v1, v1, v8
	v_add_nc_u32_e32 v8, 1, v7
	s_delay_alu instid0(VALU_DEP_2) | instskip(SKIP_2) | instid1(VALU_DEP_1)
	v_subrev_nc_u32_e32 v22, s16, v1
	v_cmp_le_u32_e64 s4, s16, v1
	s_wait_alu 0xf1ff
	v_cndmask_b32_e64 v7, v7, v8, s4
	s_delay_alu instid0(VALU_DEP_3) | instskip(SKIP_1) | instid1(VALU_DEP_3)
	v_cndmask_b32_e64 v1, v1, v22, s4
	v_ashrrev_i32_e32 v8, 31, v17
	v_add_nc_u32_e32 v22, 1, v7
	s_delay_alu instid0(VALU_DEP_3) | instskip(NEXT) | instid1(VALU_DEP_3)
	v_cmp_le_u32_e64 s4, s16, v1
	v_xor_b32_e32 v8, s15, v8
	s_wait_alu 0xf1ff
	s_delay_alu instid0(VALU_DEP_2) | instskip(NEXT) | instid1(VALU_DEP_1)
	v_cndmask_b32_e64 v1, v7, v22, s4
	v_xor_b32_e32 v1, v1, v8
	s_delay_alu instid0(VALU_DEP_1) | instskip(NEXT) | instid1(VALU_DEP_1)
	v_sub_nc_u32_e32 v1, v1, v8
	v_add_nc_u32_e32 v7, s21, v1
	v_cmp_ge_i32_e64 s5, s31, v1
	s_delay_alu instid0(VALU_DEP_2) | instskip(NEXT) | instid1(VALU_DEP_1)
	v_sub_nc_u32_e32 v8, 0, v7
	v_max_i32_e32 v8, v7, v8
	v_ashrrev_i32_e32 v7, 31, v7
	s_delay_alu instid0(VALU_DEP_2) | instskip(NEXT) | instid1(VALU_DEP_1)
	v_mul_hi_u32 v22, v8, s41
	v_mul_lo_u32 v22, v22, s39
	s_delay_alu instid0(VALU_DEP_1) | instskip(NEXT) | instid1(VALU_DEP_1)
	v_sub_nc_u32_e32 v8, v8, v22
	v_subrev_nc_u32_e32 v22, s39, v8
	v_cmp_le_u32_e64 s4, s39, v8
	s_wait_alu 0xf1ff
	s_delay_alu instid0(VALU_DEP_1) | instskip(NEXT) | instid1(VALU_DEP_1)
	v_cndmask_b32_e64 v8, v8, v22, s4
	v_subrev_nc_u32_e32 v22, s39, v8
	v_cmp_le_u32_e64 s4, s39, v8
	s_wait_alu 0xf1ff
	s_delay_alu instid0(VALU_DEP_1) | instskip(NEXT) | instid1(VALU_DEP_1)
	v_cndmask_b32_e64 v8, v8, v22, s4
	v_xor_b32_e32 v8, v8, v7
	s_delay_alu instid0(VALU_DEP_1) | instskip(NEXT) | instid1(VALU_DEP_1)
	v_sub_nc_u32_e32 v7, v8, v7
	v_cmp_ne_u32_e64 s4, 0, v7
	s_and_b32 s4, s4, s5
	s_wait_alu 0xfffe
	s_and_saveexec_b32 s5, s4
	s_wait_alu 0xfffe
	s_xor_b32 s4, exec_lo, s5
	s_cbranch_execz .LBB250_17
; %bb.14:                               ;   in Loop: Header=BB250_13 Depth=1
	s_and_saveexec_b32 s5, s3
; %bb.15:                               ;   in Loop: Header=BB250_13 Depth=1
	ds_store_b32 v19, v20
; %bb.16:                               ;   in Loop: Header=BB250_13 Depth=1
	s_wait_alu 0xfffe
	s_or_b32 exec_lo, exec_lo, s5
.LBB250_17:                             ;   in Loop: Header=BB250_13 Depth=1
	s_wait_alu 0xfffe
	s_and_not1_saveexec_b32 s5, s4
	s_cbranch_execz .LBB250_12
; %bb.18:                               ;   in Loop: Header=BB250_13 Depth=1
	global_load_b32 v1, v[5:6], off
	s_wait_loadcnt 0x0
	v_mad_co_i64_i32 v[7:8], null, v1, s19, v[3:4]
	global_load_u16 v1, v[7:8], off
	s_wait_loadcnt 0x0
	v_dual_mov_b32 v23, 0 :: v_dual_and_b32 v24, 0xff, v1
	global_load_b32 v22, v23, s[8:9]
	v_and_b32_e32 v1, 0xffff, v1
	v_cmp_ne_u16_e64 s4, 0, v24
	v_mov_b32_e32 v24, 0
	s_and_saveexec_b32 s42, s4
	s_cbranch_execz .LBB250_26
; %bb.19:                               ;   in Loop: Header=BB250_13 Depth=1
	v_and_b32_e32 v24, 0xff, v1
	s_delay_alu instid0(VALU_DEP_1)
	v_cmp_ne_u16_e64 s4, 0x80, v24
	v_mov_b32_e32 v24, 0x8000
	s_and_saveexec_b32 s43, s4
	s_cbranch_execz .LBB250_25
; %bb.20:                               ;   in Loop: Header=BB250_13 Depth=1
	v_and_b32_e32 v26, 0x7f, v1
	v_mov_b32_e32 v24, 0x7c01
	s_mov_b32 s44, exec_lo
	s_delay_alu instid0(VALU_DEP_2)
	v_cmpx_ne_u32_e32 0x7f, v26
	s_cbranch_execz .LBB250_24
; %bb.21:                               ;   in Loop: Header=BB250_13 Depth=1
	v_and_b32_e32 v24, 7, v1
	v_lshrrev_b32_e32 v25, 3, v26
	s_mov_b32 s45, exec_lo
	v_cmpx_gt_u32_e32 8, v26
; %bb.22:                               ;   in Loop: Header=BB250_13 Depth=1
	s_delay_alu instid0(VALU_DEP_3) | instskip(NEXT) | instid1(VALU_DEP_1)
	v_clz_i32_u32_e32 v24, v24
	v_min_u32_e32 v26, 32, v24
	s_delay_alu instid0(VALU_DEP_1) | instskip(NEXT) | instid1(VALU_DEP_1)
	v_subrev_nc_u32_e32 v24, 28, v26
	v_lshlrev_b64_e32 v[24:25], v24, v[1:2]
	v_sub_nc_u32_e32 v25, 29, v26
	s_delay_alu instid0(VALU_DEP_2)
	v_and_b32_e32 v24, 7, v24
; %bb.23:                               ;   in Loop: Header=BB250_13 Depth=1
	s_or_b32 exec_lo, exec_lo, s45
	v_lshlrev_b32_e32 v26, 8, v1
	s_delay_alu instid0(VALU_DEP_3) | instskip(NEXT) | instid1(VALU_DEP_3)
	v_lshl_add_u32 v25, v25, 10, 0x2000
	v_lshlrev_b32_e32 v24, 7, v24
	s_delay_alu instid0(VALU_DEP_3) | instskip(NEXT) | instid1(VALU_DEP_3)
	v_and_b32_e32 v26, 0x8000, v26
	v_and_b32_e32 v25, 0xfc00, v25
	s_delay_alu instid0(VALU_DEP_1)
	v_or3_b32 v24, v26, v25, v24
.LBB250_24:                             ;   in Loop: Header=BB250_13 Depth=1
	s_or_b32 exec_lo, exec_lo, s44
.LBB250_25:                             ;   in Loop: Header=BB250_13 Depth=1
	s_wait_alu 0xfffe
	s_or_b32 exec_lo, exec_lo, s43
.LBB250_26:                             ;   in Loop: Header=BB250_13 Depth=1
	s_wait_alu 0xfffe
	s_or_b32 exec_lo, exec_lo, s42
	v_lshrrev_b16 v1, 8, v1
	s_mov_b32 s42, exec_lo
	s_delay_alu instid0(VALU_DEP_1)
	v_cmpx_ne_u16_e32 0, v1
	s_cbranch_execz .LBB250_34
; %bb.27:                               ;   in Loop: Header=BB250_13 Depth=1
	v_bfrev_b32_e32 v23, 1
	s_mov_b32 s43, exec_lo
	v_cmpx_ne_u16_e32 0x80, v1
	s_cbranch_execz .LBB250_33
; %bb.28:                               ;   in Loop: Header=BB250_13 Depth=1
	v_and_b32_e32 v25, 0xffff, v1
	v_mov_b32_e32 v23, 0x7c010000
	s_mov_b32 s44, exec_lo
	s_delay_alu instid0(VALU_DEP_2) | instskip(NEXT) | instid1(VALU_DEP_1)
	v_and_b32_e32 v27, 0x7f, v25
	v_cmpx_ne_u32_e32 0x7f, v27
	s_cbranch_execz .LBB250_32
; %bb.29:                               ;   in Loop: Header=BB250_13 Depth=1
	v_and_b32_e32 v23, 7, v25
	v_lshrrev_b32_e32 v26, 3, v27
	s_mov_b32 s45, exec_lo
	v_cmpx_gt_u32_e32 8, v27
; %bb.30:                               ;   in Loop: Header=BB250_13 Depth=1
	s_delay_alu instid0(VALU_DEP_3) | instskip(NEXT) | instid1(VALU_DEP_1)
	v_clz_i32_u32_e32 v23, v23
	v_min_u32_e32 v23, 32, v23
	s_delay_alu instid0(VALU_DEP_1) | instskip(NEXT) | instid1(VALU_DEP_1)
	v_subrev_nc_u32_e32 v26, 28, v23
	v_lshlrev_b64_e32 v[27:28], v26, v[1:2]
	v_sub_nc_u32_e32 v26, 29, v23
	s_delay_alu instid0(VALU_DEP_2)
	v_and_b32_e32 v23, 7, v27
; %bb.31:                               ;   in Loop: Header=BB250_13 Depth=1
	s_or_b32 exec_lo, exec_lo, s45
	v_lshlrev_b32_e32 v1, 8, v25
	s_delay_alu instid0(VALU_DEP_3) | instskip(NEXT) | instid1(VALU_DEP_3)
	v_lshl_add_u32 v25, v26, 10, 0x2000
	v_lshlrev_b32_e32 v23, 23, v23
	s_delay_alu instid0(VALU_DEP_2) | instskip(NEXT) | instid1(VALU_DEP_1)
	v_and_or_b32 v1, 0x8000, v1, v25
	v_lshl_or_b32 v23, v1, 16, v23
.LBB250_32:                             ;   in Loop: Header=BB250_13 Depth=1
	s_or_b32 exec_lo, exec_lo, s44
.LBB250_33:                             ;   in Loop: Header=BB250_13 Depth=1
	s_wait_alu 0xfffe
	s_or_b32 exec_lo, exec_lo, s43
.LBB250_34:                             ;   in Loop: Header=BB250_13 Depth=1
	s_wait_alu 0xfffe
	s_or_b32 exec_lo, exec_lo, s42
	global_load_u16 v1, v[7:8], off offset:8
	s_wait_loadcnt 0x0
	v_dual_mov_b32 v25, 0 :: v_dual_and_b32 v26, 0xff, v1
	v_and_b32_e32 v1, 0xffff, v1
	s_delay_alu instid0(VALU_DEP_2)
	v_cmp_ne_u16_e64 s4, 0, v26
	v_mov_b32_e32 v26, 0
	s_and_saveexec_b32 s42, s4
	s_cbranch_execz .LBB250_42
; %bb.35:                               ;   in Loop: Header=BB250_13 Depth=1
	v_and_b32_e32 v26, 0xff, v1
	s_delay_alu instid0(VALU_DEP_1)
	v_cmp_ne_u16_e64 s4, 0x80, v26
	v_mov_b32_e32 v26, 0x8000
	s_and_saveexec_b32 s43, s4
	s_cbranch_execz .LBB250_41
; %bb.36:                               ;   in Loop: Header=BB250_13 Depth=1
	v_and_b32_e32 v28, 0x7f, v1
	v_mov_b32_e32 v26, 0x7c01
	s_mov_b32 s44, exec_lo
	s_delay_alu instid0(VALU_DEP_2)
	v_cmpx_ne_u32_e32 0x7f, v28
	s_cbranch_execz .LBB250_40
; %bb.37:                               ;   in Loop: Header=BB250_13 Depth=1
	v_and_b32_e32 v26, 7, v1
	v_lshrrev_b32_e32 v27, 3, v28
	s_mov_b32 s45, exec_lo
	v_cmpx_gt_u32_e32 8, v28
; %bb.38:                               ;   in Loop: Header=BB250_13 Depth=1
	s_delay_alu instid0(VALU_DEP_3) | instskip(NEXT) | instid1(VALU_DEP_1)
	v_clz_i32_u32_e32 v26, v26
	v_min_u32_e32 v28, 32, v26
	s_delay_alu instid0(VALU_DEP_1) | instskip(NEXT) | instid1(VALU_DEP_1)
	v_subrev_nc_u32_e32 v26, 28, v28
	v_lshlrev_b64_e32 v[26:27], v26, v[1:2]
	v_sub_nc_u32_e32 v27, 29, v28
	s_delay_alu instid0(VALU_DEP_2)
	v_and_b32_e32 v26, 7, v26
; %bb.39:                               ;   in Loop: Header=BB250_13 Depth=1
	s_or_b32 exec_lo, exec_lo, s45
	v_lshlrev_b32_e32 v28, 8, v1
	s_delay_alu instid0(VALU_DEP_3) | instskip(NEXT) | instid1(VALU_DEP_3)
	v_lshl_add_u32 v27, v27, 10, 0x2000
	v_lshlrev_b32_e32 v26, 7, v26
	s_delay_alu instid0(VALU_DEP_3) | instskip(NEXT) | instid1(VALU_DEP_3)
	v_and_b32_e32 v28, 0x8000, v28
	v_and_b32_e32 v27, 0xfc00, v27
	s_delay_alu instid0(VALU_DEP_1)
	v_or3_b32 v26, v28, v27, v26
.LBB250_40:                             ;   in Loop: Header=BB250_13 Depth=1
	s_or_b32 exec_lo, exec_lo, s44
.LBB250_41:                             ;   in Loop: Header=BB250_13 Depth=1
	s_wait_alu 0xfffe
	s_or_b32 exec_lo, exec_lo, s43
.LBB250_42:                             ;   in Loop: Header=BB250_13 Depth=1
	s_wait_alu 0xfffe
	s_or_b32 exec_lo, exec_lo, s42
	v_lshrrev_b16 v1, 8, v1
	s_mov_b32 s42, exec_lo
	s_delay_alu instid0(VALU_DEP_1)
	v_cmpx_ne_u16_e32 0, v1
	s_cbranch_execz .LBB250_50
; %bb.43:                               ;   in Loop: Header=BB250_13 Depth=1
	v_bfrev_b32_e32 v25, 1
	s_mov_b32 s43, exec_lo
	v_cmpx_ne_u16_e32 0x80, v1
	s_cbranch_execz .LBB250_49
; %bb.44:                               ;   in Loop: Header=BB250_13 Depth=1
	v_and_b32_e32 v27, 0xffff, v1
	v_mov_b32_e32 v25, 0x7c010000
	s_mov_b32 s44, exec_lo
	s_delay_alu instid0(VALU_DEP_2) | instskip(NEXT) | instid1(VALU_DEP_1)
	v_and_b32_e32 v29, 0x7f, v27
	v_cmpx_ne_u32_e32 0x7f, v29
	s_cbranch_execz .LBB250_48
; %bb.45:                               ;   in Loop: Header=BB250_13 Depth=1
	v_and_b32_e32 v25, 7, v27
	v_lshrrev_b32_e32 v28, 3, v29
	s_mov_b32 s45, exec_lo
	v_cmpx_gt_u32_e32 8, v29
; %bb.46:                               ;   in Loop: Header=BB250_13 Depth=1
	s_delay_alu instid0(VALU_DEP_3) | instskip(NEXT) | instid1(VALU_DEP_1)
	v_clz_i32_u32_e32 v25, v25
	v_min_u32_e32 v25, 32, v25
	s_delay_alu instid0(VALU_DEP_1) | instskip(NEXT) | instid1(VALU_DEP_1)
	v_subrev_nc_u32_e32 v28, 28, v25
	v_lshlrev_b64_e32 v[29:30], v28, v[1:2]
	v_sub_nc_u32_e32 v28, 29, v25
	s_delay_alu instid0(VALU_DEP_2)
	v_and_b32_e32 v25, 7, v29
; %bb.47:                               ;   in Loop: Header=BB250_13 Depth=1
	s_or_b32 exec_lo, exec_lo, s45
	v_lshlrev_b32_e32 v1, 8, v27
	s_delay_alu instid0(VALU_DEP_3) | instskip(NEXT) | instid1(VALU_DEP_3)
	v_lshl_add_u32 v27, v28, 10, 0x2000
	v_lshlrev_b32_e32 v25, 23, v25
	s_delay_alu instid0(VALU_DEP_2) | instskip(NEXT) | instid1(VALU_DEP_1)
	v_and_or_b32 v1, 0x8000, v1, v27
	v_lshl_or_b32 v25, v1, 16, v25
.LBB250_48:                             ;   in Loop: Header=BB250_13 Depth=1
	s_or_b32 exec_lo, exec_lo, s44
.LBB250_49:                             ;   in Loop: Header=BB250_13 Depth=1
	s_wait_alu 0xfffe
	s_or_b32 exec_lo, exec_lo, s43
.LBB250_50:                             ;   in Loop: Header=BB250_13 Depth=1
	s_wait_alu 0xfffe
	s_or_b32 exec_lo, exec_lo, s42
	global_load_u16 v1, v[7:8], off offset:128
	s_wait_loadcnt 0x0
	v_dual_mov_b32 v27, 0 :: v_dual_and_b32 v28, 0xff, v1
	v_and_b32_e32 v1, 0xffff, v1
	s_delay_alu instid0(VALU_DEP_2)
	v_cmp_ne_u16_e64 s4, 0, v28
	v_mov_b32_e32 v28, 0
	s_and_saveexec_b32 s42, s4
	s_cbranch_execz .LBB250_58
; %bb.51:                               ;   in Loop: Header=BB250_13 Depth=1
	v_and_b32_e32 v28, 0xff, v1
	s_delay_alu instid0(VALU_DEP_1)
	v_cmp_ne_u16_e64 s4, 0x80, v28
	v_mov_b32_e32 v28, 0x8000
	s_and_saveexec_b32 s43, s4
	s_cbranch_execz .LBB250_57
; %bb.52:                               ;   in Loop: Header=BB250_13 Depth=1
	v_and_b32_e32 v30, 0x7f, v1
	v_mov_b32_e32 v28, 0x7c01
	s_mov_b32 s44, exec_lo
	s_delay_alu instid0(VALU_DEP_2)
	v_cmpx_ne_u32_e32 0x7f, v30
	s_cbranch_execz .LBB250_56
; %bb.53:                               ;   in Loop: Header=BB250_13 Depth=1
	v_and_b32_e32 v28, 7, v1
	v_lshrrev_b32_e32 v29, 3, v30
	s_mov_b32 s45, exec_lo
	v_cmpx_gt_u32_e32 8, v30
; %bb.54:                               ;   in Loop: Header=BB250_13 Depth=1
	s_delay_alu instid0(VALU_DEP_3) | instskip(NEXT) | instid1(VALU_DEP_1)
	v_clz_i32_u32_e32 v28, v28
	v_min_u32_e32 v30, 32, v28
	s_delay_alu instid0(VALU_DEP_1) | instskip(NEXT) | instid1(VALU_DEP_1)
	v_subrev_nc_u32_e32 v28, 28, v30
	v_lshlrev_b64_e32 v[28:29], v28, v[1:2]
	v_sub_nc_u32_e32 v29, 29, v30
	s_delay_alu instid0(VALU_DEP_2)
	v_and_b32_e32 v28, 7, v28
; %bb.55:                               ;   in Loop: Header=BB250_13 Depth=1
	s_or_b32 exec_lo, exec_lo, s45
	v_lshlrev_b32_e32 v30, 8, v1
	s_delay_alu instid0(VALU_DEP_3) | instskip(NEXT) | instid1(VALU_DEP_3)
	v_lshl_add_u32 v29, v29, 10, 0x2000
	v_lshlrev_b32_e32 v28, 7, v28
	s_delay_alu instid0(VALU_DEP_3) | instskip(NEXT) | instid1(VALU_DEP_3)
	v_and_b32_e32 v30, 0x8000, v30
	v_and_b32_e32 v29, 0xfc00, v29
	s_delay_alu instid0(VALU_DEP_1)
	v_or3_b32 v28, v30, v29, v28
.LBB250_56:                             ;   in Loop: Header=BB250_13 Depth=1
	s_or_b32 exec_lo, exec_lo, s44
.LBB250_57:                             ;   in Loop: Header=BB250_13 Depth=1
	s_wait_alu 0xfffe
	s_or_b32 exec_lo, exec_lo, s43
.LBB250_58:                             ;   in Loop: Header=BB250_13 Depth=1
	s_wait_alu 0xfffe
	s_or_b32 exec_lo, exec_lo, s42
	v_lshrrev_b16 v1, 8, v1
	s_mov_b32 s42, exec_lo
	s_delay_alu instid0(VALU_DEP_1)
	v_cmpx_ne_u16_e32 0, v1
	s_cbranch_execz .LBB250_66
; %bb.59:                               ;   in Loop: Header=BB250_13 Depth=1
	v_bfrev_b32_e32 v27, 1
	s_mov_b32 s43, exec_lo
	v_cmpx_ne_u16_e32 0x80, v1
	s_cbranch_execz .LBB250_65
; %bb.60:                               ;   in Loop: Header=BB250_13 Depth=1
	v_and_b32_e32 v29, 0xffff, v1
	v_mov_b32_e32 v27, 0x7c010000
	s_mov_b32 s44, exec_lo
	s_delay_alu instid0(VALU_DEP_2) | instskip(NEXT) | instid1(VALU_DEP_1)
	v_and_b32_e32 v31, 0x7f, v29
	v_cmpx_ne_u32_e32 0x7f, v31
	s_cbranch_execz .LBB250_64
; %bb.61:                               ;   in Loop: Header=BB250_13 Depth=1
	v_and_b32_e32 v27, 7, v29
	v_lshrrev_b32_e32 v30, 3, v31
	s_mov_b32 s45, exec_lo
	v_cmpx_gt_u32_e32 8, v31
; %bb.62:                               ;   in Loop: Header=BB250_13 Depth=1
	s_delay_alu instid0(VALU_DEP_3) | instskip(NEXT) | instid1(VALU_DEP_1)
	v_clz_i32_u32_e32 v27, v27
	v_min_u32_e32 v27, 32, v27
	s_delay_alu instid0(VALU_DEP_1) | instskip(NEXT) | instid1(VALU_DEP_1)
	v_subrev_nc_u32_e32 v30, 28, v27
	v_lshlrev_b64_e32 v[31:32], v30, v[1:2]
	v_sub_nc_u32_e32 v30, 29, v27
	s_delay_alu instid0(VALU_DEP_2)
	v_and_b32_e32 v27, 7, v31
; %bb.63:                               ;   in Loop: Header=BB250_13 Depth=1
	s_or_b32 exec_lo, exec_lo, s45
	v_lshlrev_b32_e32 v1, 8, v29
	s_delay_alu instid0(VALU_DEP_3) | instskip(NEXT) | instid1(VALU_DEP_3)
	v_lshl_add_u32 v29, v30, 10, 0x2000
	v_lshlrev_b32_e32 v27, 23, v27
	s_delay_alu instid0(VALU_DEP_2) | instskip(NEXT) | instid1(VALU_DEP_1)
	v_and_or_b32 v1, 0x8000, v1, v29
	v_lshl_or_b32 v27, v1, 16, v27
.LBB250_64:                             ;   in Loop: Header=BB250_13 Depth=1
	s_or_b32 exec_lo, exec_lo, s44
.LBB250_65:                             ;   in Loop: Header=BB250_13 Depth=1
	s_wait_alu 0xfffe
	s_or_b32 exec_lo, exec_lo, s43
.LBB250_66:                             ;   in Loop: Header=BB250_13 Depth=1
	s_wait_alu 0xfffe
	s_or_b32 exec_lo, exec_lo, s42
	global_load_u16 v1, v[7:8], off offset:136
	s_wait_loadcnt 0x0
	v_dual_mov_b32 v29, 0 :: v_dual_and_b32 v30, 0xff, v1
	v_and_b32_e32 v1, 0xffff, v1
	s_delay_alu instid0(VALU_DEP_2)
	v_cmp_ne_u16_e64 s4, 0, v30
	v_mov_b32_e32 v30, 0
	s_and_saveexec_b32 s42, s4
	s_cbranch_execz .LBB250_74
; %bb.67:                               ;   in Loop: Header=BB250_13 Depth=1
	v_and_b32_e32 v30, 0xff, v1
	s_delay_alu instid0(VALU_DEP_1)
	v_cmp_ne_u16_e64 s4, 0x80, v30
	v_mov_b32_e32 v30, 0x8000
	s_and_saveexec_b32 s43, s4
	s_cbranch_execz .LBB250_73
; %bb.68:                               ;   in Loop: Header=BB250_13 Depth=1
	v_and_b32_e32 v32, 0x7f, v1
	v_mov_b32_e32 v30, 0x7c01
	s_mov_b32 s44, exec_lo
	s_delay_alu instid0(VALU_DEP_2)
	v_cmpx_ne_u32_e32 0x7f, v32
	s_cbranch_execz .LBB250_72
; %bb.69:                               ;   in Loop: Header=BB250_13 Depth=1
	v_and_b32_e32 v30, 7, v1
	v_lshrrev_b32_e32 v31, 3, v32
	s_mov_b32 s45, exec_lo
	v_cmpx_gt_u32_e32 8, v32
; %bb.70:                               ;   in Loop: Header=BB250_13 Depth=1
	s_delay_alu instid0(VALU_DEP_3) | instskip(NEXT) | instid1(VALU_DEP_1)
	v_clz_i32_u32_e32 v30, v30
	v_min_u32_e32 v32, 32, v30
	s_delay_alu instid0(VALU_DEP_1) | instskip(NEXT) | instid1(VALU_DEP_1)
	v_subrev_nc_u32_e32 v30, 28, v32
	v_lshlrev_b64_e32 v[30:31], v30, v[1:2]
	v_sub_nc_u32_e32 v31, 29, v32
	s_delay_alu instid0(VALU_DEP_2)
	v_and_b32_e32 v30, 7, v30
; %bb.71:                               ;   in Loop: Header=BB250_13 Depth=1
	s_or_b32 exec_lo, exec_lo, s45
	v_lshlrev_b32_e32 v32, 8, v1
	s_delay_alu instid0(VALU_DEP_3) | instskip(NEXT) | instid1(VALU_DEP_3)
	v_lshl_add_u32 v31, v31, 10, 0x2000
	v_lshlrev_b32_e32 v30, 7, v30
	s_delay_alu instid0(VALU_DEP_3) | instskip(NEXT) | instid1(VALU_DEP_3)
	v_and_b32_e32 v32, 0x8000, v32
	v_and_b32_e32 v31, 0xfc00, v31
	s_delay_alu instid0(VALU_DEP_1)
	v_or3_b32 v30, v32, v31, v30
.LBB250_72:                             ;   in Loop: Header=BB250_13 Depth=1
	s_or_b32 exec_lo, exec_lo, s44
.LBB250_73:                             ;   in Loop: Header=BB250_13 Depth=1
	s_wait_alu 0xfffe
	s_or_b32 exec_lo, exec_lo, s43
.LBB250_74:                             ;   in Loop: Header=BB250_13 Depth=1
	s_wait_alu 0xfffe
	s_or_b32 exec_lo, exec_lo, s42
	v_lshrrev_b16 v1, 8, v1
	s_mov_b32 s42, exec_lo
	s_delay_alu instid0(VALU_DEP_1)
	v_cmpx_ne_u16_e32 0, v1
	s_cbranch_execz .LBB250_82
; %bb.75:                               ;   in Loop: Header=BB250_13 Depth=1
	v_bfrev_b32_e32 v29, 1
	s_mov_b32 s43, exec_lo
	v_cmpx_ne_u16_e32 0x80, v1
	s_cbranch_execz .LBB250_81
; %bb.76:                               ;   in Loop: Header=BB250_13 Depth=1
	v_and_b32_e32 v31, 0xffff, v1
	v_mov_b32_e32 v29, 0x7c010000
	s_mov_b32 s44, exec_lo
	s_delay_alu instid0(VALU_DEP_2) | instskip(NEXT) | instid1(VALU_DEP_1)
	v_and_b32_e32 v33, 0x7f, v31
	v_cmpx_ne_u32_e32 0x7f, v33
	s_cbranch_execz .LBB250_80
; %bb.77:                               ;   in Loop: Header=BB250_13 Depth=1
	v_and_b32_e32 v29, 7, v31
	v_lshrrev_b32_e32 v32, 3, v33
	s_mov_b32 s45, exec_lo
	v_cmpx_gt_u32_e32 8, v33
; %bb.78:                               ;   in Loop: Header=BB250_13 Depth=1
	s_delay_alu instid0(VALU_DEP_3) | instskip(NEXT) | instid1(VALU_DEP_1)
	v_clz_i32_u32_e32 v29, v29
	v_min_u32_e32 v29, 32, v29
	s_delay_alu instid0(VALU_DEP_1) | instskip(NEXT) | instid1(VALU_DEP_1)
	v_subrev_nc_u32_e32 v32, 28, v29
	v_lshlrev_b64_e32 v[33:34], v32, v[1:2]
	v_sub_nc_u32_e32 v32, 29, v29
	s_delay_alu instid0(VALU_DEP_2)
	v_and_b32_e32 v29, 7, v33
; %bb.79:                               ;   in Loop: Header=BB250_13 Depth=1
	s_or_b32 exec_lo, exec_lo, s45
	v_lshlrev_b32_e32 v1, 8, v31
	s_delay_alu instid0(VALU_DEP_3) | instskip(NEXT) | instid1(VALU_DEP_3)
	v_lshl_add_u32 v31, v32, 10, 0x2000
	v_lshlrev_b32_e32 v29, 23, v29
	s_delay_alu instid0(VALU_DEP_2) | instskip(NEXT) | instid1(VALU_DEP_1)
	v_and_or_b32 v1, 0x8000, v1, v31
	v_lshl_or_b32 v29, v1, 16, v29
.LBB250_80:                             ;   in Loop: Header=BB250_13 Depth=1
	s_or_b32 exec_lo, exec_lo, s44
.LBB250_81:                             ;   in Loop: Header=BB250_13 Depth=1
	s_wait_alu 0xfffe
	s_or_b32 exec_lo, exec_lo, s43
.LBB250_82:                             ;   in Loop: Header=BB250_13 Depth=1
	s_wait_alu 0xfffe
	s_or_b32 exec_lo, exec_lo, s42
	global_load_u16 v1, v[7:8], off offset:256
	s_wait_loadcnt 0x0
	v_dual_mov_b32 v31, 0 :: v_dual_and_b32 v32, 0xff, v1
	v_and_b32_e32 v1, 0xffff, v1
	s_delay_alu instid0(VALU_DEP_2)
	v_cmp_ne_u16_e64 s4, 0, v32
	v_mov_b32_e32 v32, 0
	s_and_saveexec_b32 s42, s4
	s_cbranch_execz .LBB250_90
; %bb.83:                               ;   in Loop: Header=BB250_13 Depth=1
	v_and_b32_e32 v32, 0xff, v1
	s_delay_alu instid0(VALU_DEP_1)
	v_cmp_ne_u16_e64 s4, 0x80, v32
	v_mov_b32_e32 v32, 0x8000
	s_and_saveexec_b32 s43, s4
	s_cbranch_execz .LBB250_89
; %bb.84:                               ;   in Loop: Header=BB250_13 Depth=1
	v_and_b32_e32 v34, 0x7f, v1
	v_mov_b32_e32 v32, 0x7c01
	s_mov_b32 s44, exec_lo
	s_delay_alu instid0(VALU_DEP_2)
	v_cmpx_ne_u32_e32 0x7f, v34
	s_cbranch_execz .LBB250_88
; %bb.85:                               ;   in Loop: Header=BB250_13 Depth=1
	v_and_b32_e32 v32, 7, v1
	v_lshrrev_b32_e32 v33, 3, v34
	s_mov_b32 s45, exec_lo
	v_cmpx_gt_u32_e32 8, v34
; %bb.86:                               ;   in Loop: Header=BB250_13 Depth=1
	s_delay_alu instid0(VALU_DEP_3) | instskip(NEXT) | instid1(VALU_DEP_1)
	v_clz_i32_u32_e32 v32, v32
	v_min_u32_e32 v34, 32, v32
	s_delay_alu instid0(VALU_DEP_1) | instskip(NEXT) | instid1(VALU_DEP_1)
	v_subrev_nc_u32_e32 v32, 28, v34
	v_lshlrev_b64_e32 v[32:33], v32, v[1:2]
	v_sub_nc_u32_e32 v33, 29, v34
	s_delay_alu instid0(VALU_DEP_2)
	v_and_b32_e32 v32, 7, v32
; %bb.87:                               ;   in Loop: Header=BB250_13 Depth=1
	s_or_b32 exec_lo, exec_lo, s45
	v_lshlrev_b32_e32 v34, 8, v1
	s_delay_alu instid0(VALU_DEP_3) | instskip(NEXT) | instid1(VALU_DEP_3)
	v_lshl_add_u32 v33, v33, 10, 0x2000
	v_lshlrev_b32_e32 v32, 7, v32
	s_delay_alu instid0(VALU_DEP_3) | instskip(NEXT) | instid1(VALU_DEP_3)
	v_and_b32_e32 v34, 0x8000, v34
	v_and_b32_e32 v33, 0xfc00, v33
	s_delay_alu instid0(VALU_DEP_1)
	v_or3_b32 v32, v34, v33, v32
.LBB250_88:                             ;   in Loop: Header=BB250_13 Depth=1
	s_or_b32 exec_lo, exec_lo, s44
.LBB250_89:                             ;   in Loop: Header=BB250_13 Depth=1
	s_wait_alu 0xfffe
	s_or_b32 exec_lo, exec_lo, s43
.LBB250_90:                             ;   in Loop: Header=BB250_13 Depth=1
	s_wait_alu 0xfffe
	s_or_b32 exec_lo, exec_lo, s42
	v_lshrrev_b16 v1, 8, v1
	s_mov_b32 s42, exec_lo
	s_delay_alu instid0(VALU_DEP_1)
	v_cmpx_ne_u16_e32 0, v1
	s_cbranch_execz .LBB250_98
; %bb.91:                               ;   in Loop: Header=BB250_13 Depth=1
	v_bfrev_b32_e32 v31, 1
	s_mov_b32 s43, exec_lo
	v_cmpx_ne_u16_e32 0x80, v1
	s_cbranch_execz .LBB250_97
; %bb.92:                               ;   in Loop: Header=BB250_13 Depth=1
	v_and_b32_e32 v33, 0xffff, v1
	v_mov_b32_e32 v31, 0x7c010000
	s_mov_b32 s44, exec_lo
	s_delay_alu instid0(VALU_DEP_2) | instskip(NEXT) | instid1(VALU_DEP_1)
	v_and_b32_e32 v35, 0x7f, v33
	v_cmpx_ne_u32_e32 0x7f, v35
	s_cbranch_execz .LBB250_96
; %bb.93:                               ;   in Loop: Header=BB250_13 Depth=1
	v_and_b32_e32 v31, 7, v33
	v_lshrrev_b32_e32 v34, 3, v35
	s_mov_b32 s45, exec_lo
	v_cmpx_gt_u32_e32 8, v35
; %bb.94:                               ;   in Loop: Header=BB250_13 Depth=1
	s_delay_alu instid0(VALU_DEP_3) | instskip(NEXT) | instid1(VALU_DEP_1)
	v_clz_i32_u32_e32 v31, v31
	v_min_u32_e32 v31, 32, v31
	s_delay_alu instid0(VALU_DEP_1) | instskip(NEXT) | instid1(VALU_DEP_1)
	v_subrev_nc_u32_e32 v34, 28, v31
	v_lshlrev_b64_e32 v[35:36], v34, v[1:2]
	v_sub_nc_u32_e32 v34, 29, v31
	s_delay_alu instid0(VALU_DEP_2)
	v_and_b32_e32 v31, 7, v35
; %bb.95:                               ;   in Loop: Header=BB250_13 Depth=1
	s_or_b32 exec_lo, exec_lo, s45
	v_lshlrev_b32_e32 v1, 8, v33
	s_delay_alu instid0(VALU_DEP_3) | instskip(NEXT) | instid1(VALU_DEP_3)
	v_lshl_add_u32 v33, v34, 10, 0x2000
	v_lshlrev_b32_e32 v31, 23, v31
	s_delay_alu instid0(VALU_DEP_2) | instskip(NEXT) | instid1(VALU_DEP_1)
	v_and_or_b32 v1, 0x8000, v1, v33
	v_lshl_or_b32 v31, v1, 16, v31
.LBB250_96:                             ;   in Loop: Header=BB250_13 Depth=1
	s_or_b32 exec_lo, exec_lo, s44
.LBB250_97:                             ;   in Loop: Header=BB250_13 Depth=1
	s_wait_alu 0xfffe
	s_or_b32 exec_lo, exec_lo, s43
.LBB250_98:                             ;   in Loop: Header=BB250_13 Depth=1
	s_wait_alu 0xfffe
	s_or_b32 exec_lo, exec_lo, s42
	global_load_u16 v1, v[7:8], off offset:264
	s_wait_loadcnt 0x0
	v_dual_mov_b32 v33, 0 :: v_dual_and_b32 v34, 0xff, v1
	v_and_b32_e32 v1, 0xffff, v1
	s_delay_alu instid0(VALU_DEP_2)
	v_cmp_ne_u16_e64 s4, 0, v34
	v_mov_b32_e32 v34, 0
	s_and_saveexec_b32 s42, s4
	s_cbranch_execz .LBB250_106
; %bb.99:                               ;   in Loop: Header=BB250_13 Depth=1
	v_and_b32_e32 v34, 0xff, v1
	s_delay_alu instid0(VALU_DEP_1)
	v_cmp_ne_u16_e64 s4, 0x80, v34
	v_mov_b32_e32 v34, 0x8000
	s_and_saveexec_b32 s43, s4
	s_cbranch_execz .LBB250_105
; %bb.100:                              ;   in Loop: Header=BB250_13 Depth=1
	v_and_b32_e32 v36, 0x7f, v1
	v_mov_b32_e32 v34, 0x7c01
	s_mov_b32 s44, exec_lo
	s_delay_alu instid0(VALU_DEP_2)
	v_cmpx_ne_u32_e32 0x7f, v36
	s_cbranch_execz .LBB250_104
; %bb.101:                              ;   in Loop: Header=BB250_13 Depth=1
	v_and_b32_e32 v34, 7, v1
	v_lshrrev_b32_e32 v35, 3, v36
	s_mov_b32 s45, exec_lo
	v_cmpx_gt_u32_e32 8, v36
; %bb.102:                              ;   in Loop: Header=BB250_13 Depth=1
	s_delay_alu instid0(VALU_DEP_3) | instskip(NEXT) | instid1(VALU_DEP_1)
	v_clz_i32_u32_e32 v34, v34
	v_min_u32_e32 v36, 32, v34
	s_delay_alu instid0(VALU_DEP_1) | instskip(NEXT) | instid1(VALU_DEP_1)
	v_subrev_nc_u32_e32 v34, 28, v36
	v_lshlrev_b64_e32 v[34:35], v34, v[1:2]
	v_sub_nc_u32_e32 v35, 29, v36
	s_delay_alu instid0(VALU_DEP_2)
	v_and_b32_e32 v34, 7, v34
; %bb.103:                              ;   in Loop: Header=BB250_13 Depth=1
	s_or_b32 exec_lo, exec_lo, s45
	v_lshlrev_b32_e32 v36, 8, v1
	s_delay_alu instid0(VALU_DEP_3) | instskip(NEXT) | instid1(VALU_DEP_3)
	v_lshl_add_u32 v35, v35, 10, 0x2000
	v_lshlrev_b32_e32 v34, 7, v34
	s_delay_alu instid0(VALU_DEP_3) | instskip(NEXT) | instid1(VALU_DEP_3)
	v_and_b32_e32 v36, 0x8000, v36
	v_and_b32_e32 v35, 0xfc00, v35
	s_delay_alu instid0(VALU_DEP_1)
	v_or3_b32 v34, v36, v35, v34
.LBB250_104:                            ;   in Loop: Header=BB250_13 Depth=1
	s_or_b32 exec_lo, exec_lo, s44
.LBB250_105:                            ;   in Loop: Header=BB250_13 Depth=1
	s_wait_alu 0xfffe
	s_or_b32 exec_lo, exec_lo, s43
.LBB250_106:                            ;   in Loop: Header=BB250_13 Depth=1
	s_wait_alu 0xfffe
	s_or_b32 exec_lo, exec_lo, s42
	v_lshrrev_b16 v1, 8, v1
	s_mov_b32 s42, exec_lo
	s_delay_alu instid0(VALU_DEP_1)
	v_cmpx_ne_u16_e32 0, v1
	s_cbranch_execz .LBB250_114
; %bb.107:                              ;   in Loop: Header=BB250_13 Depth=1
	v_bfrev_b32_e32 v33, 1
	s_mov_b32 s43, exec_lo
	v_cmpx_ne_u16_e32 0x80, v1
	s_cbranch_execz .LBB250_113
; %bb.108:                              ;   in Loop: Header=BB250_13 Depth=1
	v_and_b32_e32 v35, 0xffff, v1
	v_mov_b32_e32 v33, 0x7c010000
	s_mov_b32 s44, exec_lo
	s_delay_alu instid0(VALU_DEP_2) | instskip(NEXT) | instid1(VALU_DEP_1)
	v_and_b32_e32 v37, 0x7f, v35
	v_cmpx_ne_u32_e32 0x7f, v37
	s_cbranch_execz .LBB250_112
; %bb.109:                              ;   in Loop: Header=BB250_13 Depth=1
	v_and_b32_e32 v33, 7, v35
	v_lshrrev_b32_e32 v36, 3, v37
	s_mov_b32 s45, exec_lo
	v_cmpx_gt_u32_e32 8, v37
; %bb.110:                              ;   in Loop: Header=BB250_13 Depth=1
	s_delay_alu instid0(VALU_DEP_3) | instskip(NEXT) | instid1(VALU_DEP_1)
	v_clz_i32_u32_e32 v33, v33
	v_min_u32_e32 v33, 32, v33
	s_delay_alu instid0(VALU_DEP_1) | instskip(NEXT) | instid1(VALU_DEP_1)
	v_subrev_nc_u32_e32 v36, 28, v33
	v_lshlrev_b64_e32 v[37:38], v36, v[1:2]
	v_sub_nc_u32_e32 v36, 29, v33
	s_delay_alu instid0(VALU_DEP_2)
	v_and_b32_e32 v33, 7, v37
; %bb.111:                              ;   in Loop: Header=BB250_13 Depth=1
	s_or_b32 exec_lo, exec_lo, s45
	v_lshlrev_b32_e32 v1, 8, v35
	s_delay_alu instid0(VALU_DEP_3) | instskip(NEXT) | instid1(VALU_DEP_3)
	v_lshl_add_u32 v35, v36, 10, 0x2000
	v_lshlrev_b32_e32 v33, 23, v33
	s_delay_alu instid0(VALU_DEP_2) | instskip(NEXT) | instid1(VALU_DEP_1)
	v_and_or_b32 v1, 0x8000, v1, v35
	v_lshl_or_b32 v33, v1, 16, v33
.LBB250_112:                            ;   in Loop: Header=BB250_13 Depth=1
	s_or_b32 exec_lo, exec_lo, s44
.LBB250_113:                            ;   in Loop: Header=BB250_13 Depth=1
	s_wait_alu 0xfffe
	s_or_b32 exec_lo, exec_lo, s43
.LBB250_114:                            ;   in Loop: Header=BB250_13 Depth=1
	s_wait_alu 0xfffe
	s_or_b32 exec_lo, exec_lo, s42
	global_load_u16 v1, v[7:8], off offset:384
	s_wait_loadcnt 0x0
	v_dual_mov_b32 v35, 0 :: v_dual_and_b32 v36, 0xff, v1
	v_and_b32_e32 v1, 0xffff, v1
	s_delay_alu instid0(VALU_DEP_2)
	v_cmp_ne_u16_e64 s4, 0, v36
	v_mov_b32_e32 v36, 0
	s_and_saveexec_b32 s42, s4
	s_cbranch_execz .LBB250_122
; %bb.115:                              ;   in Loop: Header=BB250_13 Depth=1
	v_and_b32_e32 v36, 0xff, v1
	s_delay_alu instid0(VALU_DEP_1)
	v_cmp_ne_u16_e64 s4, 0x80, v36
	v_mov_b32_e32 v36, 0x8000
	s_and_saveexec_b32 s43, s4
	s_cbranch_execz .LBB250_121
; %bb.116:                              ;   in Loop: Header=BB250_13 Depth=1
	v_and_b32_e32 v38, 0x7f, v1
	v_mov_b32_e32 v36, 0x7c01
	s_mov_b32 s44, exec_lo
	s_delay_alu instid0(VALU_DEP_2)
	v_cmpx_ne_u32_e32 0x7f, v38
	s_cbranch_execz .LBB250_120
; %bb.117:                              ;   in Loop: Header=BB250_13 Depth=1
	v_and_b32_e32 v36, 7, v1
	v_lshrrev_b32_e32 v37, 3, v38
	s_mov_b32 s45, exec_lo
	v_cmpx_gt_u32_e32 8, v38
; %bb.118:                              ;   in Loop: Header=BB250_13 Depth=1
	s_delay_alu instid0(VALU_DEP_3) | instskip(NEXT) | instid1(VALU_DEP_1)
	v_clz_i32_u32_e32 v36, v36
	v_min_u32_e32 v38, 32, v36
	s_delay_alu instid0(VALU_DEP_1) | instskip(NEXT) | instid1(VALU_DEP_1)
	v_subrev_nc_u32_e32 v36, 28, v38
	v_lshlrev_b64_e32 v[36:37], v36, v[1:2]
	v_sub_nc_u32_e32 v37, 29, v38
	s_delay_alu instid0(VALU_DEP_2)
	v_and_b32_e32 v36, 7, v36
; %bb.119:                              ;   in Loop: Header=BB250_13 Depth=1
	s_or_b32 exec_lo, exec_lo, s45
	v_lshlrev_b32_e32 v38, 8, v1
	s_delay_alu instid0(VALU_DEP_3) | instskip(NEXT) | instid1(VALU_DEP_3)
	v_lshl_add_u32 v37, v37, 10, 0x2000
	v_lshlrev_b32_e32 v36, 7, v36
	s_delay_alu instid0(VALU_DEP_3) | instskip(NEXT) | instid1(VALU_DEP_3)
	v_and_b32_e32 v38, 0x8000, v38
	v_and_b32_e32 v37, 0xfc00, v37
	s_delay_alu instid0(VALU_DEP_1)
	v_or3_b32 v36, v38, v37, v36
.LBB250_120:                            ;   in Loop: Header=BB250_13 Depth=1
	s_or_b32 exec_lo, exec_lo, s44
.LBB250_121:                            ;   in Loop: Header=BB250_13 Depth=1
	s_wait_alu 0xfffe
	s_or_b32 exec_lo, exec_lo, s43
.LBB250_122:                            ;   in Loop: Header=BB250_13 Depth=1
	s_wait_alu 0xfffe
	s_or_b32 exec_lo, exec_lo, s42
	v_lshrrev_b16 v1, 8, v1
	s_mov_b32 s42, exec_lo
	s_delay_alu instid0(VALU_DEP_1)
	v_cmpx_ne_u16_e32 0, v1
	s_cbranch_execz .LBB250_130
; %bb.123:                              ;   in Loop: Header=BB250_13 Depth=1
	v_bfrev_b32_e32 v35, 1
	s_mov_b32 s43, exec_lo
	v_cmpx_ne_u16_e32 0x80, v1
	s_cbranch_execz .LBB250_129
; %bb.124:                              ;   in Loop: Header=BB250_13 Depth=1
	v_and_b32_e32 v37, 0xffff, v1
	v_mov_b32_e32 v35, 0x7c010000
	s_mov_b32 s44, exec_lo
	s_delay_alu instid0(VALU_DEP_2) | instskip(NEXT) | instid1(VALU_DEP_1)
	v_and_b32_e32 v39, 0x7f, v37
	v_cmpx_ne_u32_e32 0x7f, v39
	s_cbranch_execz .LBB250_128
; %bb.125:                              ;   in Loop: Header=BB250_13 Depth=1
	v_and_b32_e32 v35, 7, v37
	v_lshrrev_b32_e32 v38, 3, v39
	s_mov_b32 s45, exec_lo
	v_cmpx_gt_u32_e32 8, v39
; %bb.126:                              ;   in Loop: Header=BB250_13 Depth=1
	s_delay_alu instid0(VALU_DEP_3) | instskip(NEXT) | instid1(VALU_DEP_1)
	v_clz_i32_u32_e32 v35, v35
	v_min_u32_e32 v35, 32, v35
	s_delay_alu instid0(VALU_DEP_1) | instskip(NEXT) | instid1(VALU_DEP_1)
	v_subrev_nc_u32_e32 v38, 28, v35
	v_lshlrev_b64_e32 v[39:40], v38, v[1:2]
	v_sub_nc_u32_e32 v38, 29, v35
	s_delay_alu instid0(VALU_DEP_2)
	v_and_b32_e32 v35, 7, v39
; %bb.127:                              ;   in Loop: Header=BB250_13 Depth=1
	s_or_b32 exec_lo, exec_lo, s45
	v_lshlrev_b32_e32 v1, 8, v37
	s_delay_alu instid0(VALU_DEP_3) | instskip(NEXT) | instid1(VALU_DEP_3)
	v_lshl_add_u32 v37, v38, 10, 0x2000
	v_lshlrev_b32_e32 v35, 23, v35
	s_delay_alu instid0(VALU_DEP_2) | instskip(NEXT) | instid1(VALU_DEP_1)
	v_and_or_b32 v1, 0x8000, v1, v37
	v_lshl_or_b32 v35, v1, 16, v35
.LBB250_128:                            ;   in Loop: Header=BB250_13 Depth=1
	s_or_b32 exec_lo, exec_lo, s44
.LBB250_129:                            ;   in Loop: Header=BB250_13 Depth=1
	s_wait_alu 0xfffe
	s_or_b32 exec_lo, exec_lo, s43
.LBB250_130:                            ;   in Loop: Header=BB250_13 Depth=1
	s_wait_alu 0xfffe
	s_or_b32 exec_lo, exec_lo, s42
	global_load_u16 v1, v[7:8], off offset:392
	s_wait_loadcnt 0x0
	v_dual_mov_b32 v37, 0 :: v_dual_and_b32 v38, 0xff, v1
	v_and_b32_e32 v1, 0xffff, v1
	s_delay_alu instid0(VALU_DEP_2)
	v_cmp_ne_u16_e64 s4, 0, v38
	v_mov_b32_e32 v38, 0
	s_and_saveexec_b32 s42, s4
	s_cbranch_execz .LBB250_138
; %bb.131:                              ;   in Loop: Header=BB250_13 Depth=1
	v_and_b32_e32 v38, 0xff, v1
	s_delay_alu instid0(VALU_DEP_1)
	v_cmp_ne_u16_e64 s4, 0x80, v38
	v_mov_b32_e32 v38, 0x8000
	s_and_saveexec_b32 s43, s4
	s_cbranch_execz .LBB250_137
; %bb.132:                              ;   in Loop: Header=BB250_13 Depth=1
	v_and_b32_e32 v40, 0x7f, v1
	v_mov_b32_e32 v38, 0x7c01
	s_mov_b32 s44, exec_lo
	s_delay_alu instid0(VALU_DEP_2)
	v_cmpx_ne_u32_e32 0x7f, v40
	s_cbranch_execz .LBB250_136
; %bb.133:                              ;   in Loop: Header=BB250_13 Depth=1
	v_and_b32_e32 v38, 7, v1
	v_lshrrev_b32_e32 v39, 3, v40
	s_mov_b32 s45, exec_lo
	v_cmpx_gt_u32_e32 8, v40
; %bb.134:                              ;   in Loop: Header=BB250_13 Depth=1
	s_delay_alu instid0(VALU_DEP_3) | instskip(NEXT) | instid1(VALU_DEP_1)
	v_clz_i32_u32_e32 v38, v38
	v_min_u32_e32 v40, 32, v38
	s_delay_alu instid0(VALU_DEP_1) | instskip(NEXT) | instid1(VALU_DEP_1)
	v_subrev_nc_u32_e32 v38, 28, v40
	v_lshlrev_b64_e32 v[38:39], v38, v[1:2]
	v_sub_nc_u32_e32 v39, 29, v40
	s_delay_alu instid0(VALU_DEP_2)
	v_and_b32_e32 v38, 7, v38
; %bb.135:                              ;   in Loop: Header=BB250_13 Depth=1
	s_or_b32 exec_lo, exec_lo, s45
	v_lshlrev_b32_e32 v40, 8, v1
	s_delay_alu instid0(VALU_DEP_3) | instskip(NEXT) | instid1(VALU_DEP_3)
	v_lshl_add_u32 v39, v39, 10, 0x2000
	v_lshlrev_b32_e32 v38, 7, v38
	s_delay_alu instid0(VALU_DEP_3) | instskip(NEXT) | instid1(VALU_DEP_3)
	v_and_b32_e32 v40, 0x8000, v40
	v_and_b32_e32 v39, 0xfc00, v39
	s_delay_alu instid0(VALU_DEP_1)
	v_or3_b32 v38, v40, v39, v38
.LBB250_136:                            ;   in Loop: Header=BB250_13 Depth=1
	s_or_b32 exec_lo, exec_lo, s44
.LBB250_137:                            ;   in Loop: Header=BB250_13 Depth=1
	s_wait_alu 0xfffe
	s_or_b32 exec_lo, exec_lo, s43
.LBB250_138:                            ;   in Loop: Header=BB250_13 Depth=1
	s_wait_alu 0xfffe
	s_or_b32 exec_lo, exec_lo, s42
	v_lshrrev_b16 v1, 8, v1
	s_mov_b32 s42, exec_lo
	s_delay_alu instid0(VALU_DEP_1)
	v_cmpx_ne_u16_e32 0, v1
	s_cbranch_execz .LBB250_146
; %bb.139:                              ;   in Loop: Header=BB250_13 Depth=1
	v_bfrev_b32_e32 v37, 1
	s_mov_b32 s43, exec_lo
	v_cmpx_ne_u16_e32 0x80, v1
	s_cbranch_execz .LBB250_145
; %bb.140:                              ;   in Loop: Header=BB250_13 Depth=1
	v_and_b32_e32 v39, 0xffff, v1
	v_mov_b32_e32 v37, 0x7c010000
	s_mov_b32 s44, exec_lo
	s_delay_alu instid0(VALU_DEP_2) | instskip(NEXT) | instid1(VALU_DEP_1)
	v_and_b32_e32 v41, 0x7f, v39
	v_cmpx_ne_u32_e32 0x7f, v41
	s_cbranch_execz .LBB250_144
; %bb.141:                              ;   in Loop: Header=BB250_13 Depth=1
	v_and_b32_e32 v37, 7, v39
	v_lshrrev_b32_e32 v40, 3, v41
	s_mov_b32 s45, exec_lo
	v_cmpx_gt_u32_e32 8, v41
; %bb.142:                              ;   in Loop: Header=BB250_13 Depth=1
	s_delay_alu instid0(VALU_DEP_3) | instskip(NEXT) | instid1(VALU_DEP_1)
	v_clz_i32_u32_e32 v37, v37
	v_min_u32_e32 v37, 32, v37
	s_delay_alu instid0(VALU_DEP_1) | instskip(NEXT) | instid1(VALU_DEP_1)
	v_subrev_nc_u32_e32 v40, 28, v37
	v_lshlrev_b64_e32 v[41:42], v40, v[1:2]
	v_sub_nc_u32_e32 v40, 29, v37
	s_delay_alu instid0(VALU_DEP_2)
	v_and_b32_e32 v37, 7, v41
; %bb.143:                              ;   in Loop: Header=BB250_13 Depth=1
	s_or_b32 exec_lo, exec_lo, s45
	v_lshlrev_b32_e32 v1, 8, v39
	s_delay_alu instid0(VALU_DEP_3) | instskip(NEXT) | instid1(VALU_DEP_3)
	v_lshl_add_u32 v39, v40, 10, 0x2000
	v_lshlrev_b32_e32 v37, 23, v37
	s_delay_alu instid0(VALU_DEP_2) | instskip(NEXT) | instid1(VALU_DEP_1)
	v_and_or_b32 v1, 0x8000, v1, v39
	v_lshl_or_b32 v37, v1, 16, v37
.LBB250_144:                            ;   in Loop: Header=BB250_13 Depth=1
	s_or_b32 exec_lo, exec_lo, s44
.LBB250_145:                            ;   in Loop: Header=BB250_13 Depth=1
	s_wait_alu 0xfffe
	s_or_b32 exec_lo, exec_lo, s43
.LBB250_146:                            ;   in Loop: Header=BB250_13 Depth=1
	s_wait_alu 0xfffe
	s_or_b32 exec_lo, exec_lo, s42
	global_load_u16 v1, v[7:8], off offset:512
	s_wait_loadcnt 0x0
	v_dual_mov_b32 v39, 0 :: v_dual_and_b32 v40, 0xff, v1
	v_and_b32_e32 v1, 0xffff, v1
	s_delay_alu instid0(VALU_DEP_2)
	v_cmp_ne_u16_e64 s4, 0, v40
	v_mov_b32_e32 v40, 0
	s_and_saveexec_b32 s42, s4
	s_cbranch_execz .LBB250_154
; %bb.147:                              ;   in Loop: Header=BB250_13 Depth=1
	v_and_b32_e32 v40, 0xff, v1
	s_delay_alu instid0(VALU_DEP_1)
	v_cmp_ne_u16_e64 s4, 0x80, v40
	v_mov_b32_e32 v40, 0x8000
	s_and_saveexec_b32 s43, s4
	s_cbranch_execz .LBB250_153
; %bb.148:                              ;   in Loop: Header=BB250_13 Depth=1
	v_and_b32_e32 v42, 0x7f, v1
	v_mov_b32_e32 v40, 0x7c01
	s_mov_b32 s44, exec_lo
	s_delay_alu instid0(VALU_DEP_2)
	v_cmpx_ne_u32_e32 0x7f, v42
	s_cbranch_execz .LBB250_152
; %bb.149:                              ;   in Loop: Header=BB250_13 Depth=1
	v_and_b32_e32 v40, 7, v1
	v_lshrrev_b32_e32 v41, 3, v42
	s_mov_b32 s45, exec_lo
	v_cmpx_gt_u32_e32 8, v42
; %bb.150:                              ;   in Loop: Header=BB250_13 Depth=1
	s_delay_alu instid0(VALU_DEP_3) | instskip(NEXT) | instid1(VALU_DEP_1)
	v_clz_i32_u32_e32 v40, v40
	v_min_u32_e32 v42, 32, v40
	s_delay_alu instid0(VALU_DEP_1) | instskip(NEXT) | instid1(VALU_DEP_1)
	v_subrev_nc_u32_e32 v40, 28, v42
	v_lshlrev_b64_e32 v[40:41], v40, v[1:2]
	v_sub_nc_u32_e32 v41, 29, v42
	s_delay_alu instid0(VALU_DEP_2)
	v_and_b32_e32 v40, 7, v40
; %bb.151:                              ;   in Loop: Header=BB250_13 Depth=1
	s_or_b32 exec_lo, exec_lo, s45
	v_lshlrev_b32_e32 v42, 8, v1
	s_delay_alu instid0(VALU_DEP_3) | instskip(NEXT) | instid1(VALU_DEP_3)
	v_lshl_add_u32 v41, v41, 10, 0x2000
	v_lshlrev_b32_e32 v40, 7, v40
	s_delay_alu instid0(VALU_DEP_3) | instskip(NEXT) | instid1(VALU_DEP_3)
	v_and_b32_e32 v42, 0x8000, v42
	v_and_b32_e32 v41, 0xfc00, v41
	s_delay_alu instid0(VALU_DEP_1)
	v_or3_b32 v40, v42, v41, v40
.LBB250_152:                            ;   in Loop: Header=BB250_13 Depth=1
	s_or_b32 exec_lo, exec_lo, s44
.LBB250_153:                            ;   in Loop: Header=BB250_13 Depth=1
	s_wait_alu 0xfffe
	s_or_b32 exec_lo, exec_lo, s43
.LBB250_154:                            ;   in Loop: Header=BB250_13 Depth=1
	s_wait_alu 0xfffe
	s_or_b32 exec_lo, exec_lo, s42
	v_lshrrev_b16 v1, 8, v1
	s_mov_b32 s42, exec_lo
	s_delay_alu instid0(VALU_DEP_1)
	v_cmpx_ne_u16_e32 0, v1
	s_cbranch_execz .LBB250_162
; %bb.155:                              ;   in Loop: Header=BB250_13 Depth=1
	v_bfrev_b32_e32 v39, 1
	s_mov_b32 s43, exec_lo
	v_cmpx_ne_u16_e32 0x80, v1
	s_cbranch_execz .LBB250_161
; %bb.156:                              ;   in Loop: Header=BB250_13 Depth=1
	v_and_b32_e32 v41, 0xffff, v1
	v_mov_b32_e32 v39, 0x7c010000
	s_mov_b32 s44, exec_lo
	s_delay_alu instid0(VALU_DEP_2) | instskip(NEXT) | instid1(VALU_DEP_1)
	v_and_b32_e32 v43, 0x7f, v41
	v_cmpx_ne_u32_e32 0x7f, v43
	s_cbranch_execz .LBB250_160
; %bb.157:                              ;   in Loop: Header=BB250_13 Depth=1
	v_and_b32_e32 v39, 7, v41
	v_lshrrev_b32_e32 v42, 3, v43
	s_mov_b32 s45, exec_lo
	v_cmpx_gt_u32_e32 8, v43
; %bb.158:                              ;   in Loop: Header=BB250_13 Depth=1
	s_delay_alu instid0(VALU_DEP_3) | instskip(NEXT) | instid1(VALU_DEP_1)
	v_clz_i32_u32_e32 v39, v39
	v_min_u32_e32 v39, 32, v39
	s_delay_alu instid0(VALU_DEP_1) | instskip(NEXT) | instid1(VALU_DEP_1)
	v_subrev_nc_u32_e32 v42, 28, v39
	v_lshlrev_b64_e32 v[43:44], v42, v[1:2]
	v_sub_nc_u32_e32 v42, 29, v39
	s_delay_alu instid0(VALU_DEP_2)
	v_and_b32_e32 v39, 7, v43
; %bb.159:                              ;   in Loop: Header=BB250_13 Depth=1
	s_or_b32 exec_lo, exec_lo, s45
	v_lshlrev_b32_e32 v1, 8, v41
	s_delay_alu instid0(VALU_DEP_3) | instskip(NEXT) | instid1(VALU_DEP_3)
	v_lshl_add_u32 v41, v42, 10, 0x2000
	v_lshlrev_b32_e32 v39, 23, v39
	s_delay_alu instid0(VALU_DEP_2) | instskip(NEXT) | instid1(VALU_DEP_1)
	v_and_or_b32 v1, 0x8000, v1, v41
	v_lshl_or_b32 v39, v1, 16, v39
.LBB250_160:                            ;   in Loop: Header=BB250_13 Depth=1
	s_or_b32 exec_lo, exec_lo, s44
.LBB250_161:                            ;   in Loop: Header=BB250_13 Depth=1
	s_wait_alu 0xfffe
	s_or_b32 exec_lo, exec_lo, s43
.LBB250_162:                            ;   in Loop: Header=BB250_13 Depth=1
	s_wait_alu 0xfffe
	s_or_b32 exec_lo, exec_lo, s42
	global_load_u16 v1, v[7:8], off offset:520
	s_wait_loadcnt 0x0
	v_dual_mov_b32 v41, 0 :: v_dual_and_b32 v42, 0xff, v1
	v_and_b32_e32 v1, 0xffff, v1
	s_delay_alu instid0(VALU_DEP_2)
	v_cmp_ne_u16_e64 s4, 0, v42
	v_mov_b32_e32 v42, 0
	s_and_saveexec_b32 s42, s4
	s_cbranch_execz .LBB250_170
; %bb.163:                              ;   in Loop: Header=BB250_13 Depth=1
	v_and_b32_e32 v42, 0xff, v1
	s_delay_alu instid0(VALU_DEP_1)
	v_cmp_ne_u16_e64 s4, 0x80, v42
	v_mov_b32_e32 v42, 0x8000
	s_and_saveexec_b32 s43, s4
	s_cbranch_execz .LBB250_169
; %bb.164:                              ;   in Loop: Header=BB250_13 Depth=1
	v_and_b32_e32 v44, 0x7f, v1
	v_mov_b32_e32 v42, 0x7c01
	s_mov_b32 s44, exec_lo
	s_delay_alu instid0(VALU_DEP_2)
	v_cmpx_ne_u32_e32 0x7f, v44
	s_cbranch_execz .LBB250_168
; %bb.165:                              ;   in Loop: Header=BB250_13 Depth=1
	v_and_b32_e32 v42, 7, v1
	v_lshrrev_b32_e32 v43, 3, v44
	s_mov_b32 s45, exec_lo
	v_cmpx_gt_u32_e32 8, v44
; %bb.166:                              ;   in Loop: Header=BB250_13 Depth=1
	s_delay_alu instid0(VALU_DEP_3) | instskip(NEXT) | instid1(VALU_DEP_1)
	v_clz_i32_u32_e32 v42, v42
	v_min_u32_e32 v44, 32, v42
	s_delay_alu instid0(VALU_DEP_1) | instskip(NEXT) | instid1(VALU_DEP_1)
	v_subrev_nc_u32_e32 v42, 28, v44
	v_lshlrev_b64_e32 v[42:43], v42, v[1:2]
	v_sub_nc_u32_e32 v43, 29, v44
	s_delay_alu instid0(VALU_DEP_2)
	v_and_b32_e32 v42, 7, v42
; %bb.167:                              ;   in Loop: Header=BB250_13 Depth=1
	s_or_b32 exec_lo, exec_lo, s45
	v_lshlrev_b32_e32 v44, 8, v1
	s_delay_alu instid0(VALU_DEP_3) | instskip(NEXT) | instid1(VALU_DEP_3)
	v_lshl_add_u32 v43, v43, 10, 0x2000
	v_lshlrev_b32_e32 v42, 7, v42
	s_delay_alu instid0(VALU_DEP_3) | instskip(NEXT) | instid1(VALU_DEP_3)
	v_and_b32_e32 v44, 0x8000, v44
	v_and_b32_e32 v43, 0xfc00, v43
	s_delay_alu instid0(VALU_DEP_1)
	v_or3_b32 v42, v44, v43, v42
.LBB250_168:                            ;   in Loop: Header=BB250_13 Depth=1
	s_or_b32 exec_lo, exec_lo, s44
.LBB250_169:                            ;   in Loop: Header=BB250_13 Depth=1
	s_wait_alu 0xfffe
	s_or_b32 exec_lo, exec_lo, s43
.LBB250_170:                            ;   in Loop: Header=BB250_13 Depth=1
	s_wait_alu 0xfffe
	s_or_b32 exec_lo, exec_lo, s42
	v_lshrrev_b16 v1, 8, v1
	s_mov_b32 s42, exec_lo
	s_delay_alu instid0(VALU_DEP_1)
	v_cmpx_ne_u16_e32 0, v1
	s_cbranch_execz .LBB250_178
; %bb.171:                              ;   in Loop: Header=BB250_13 Depth=1
	v_bfrev_b32_e32 v41, 1
	s_mov_b32 s43, exec_lo
	v_cmpx_ne_u16_e32 0x80, v1
	s_cbranch_execz .LBB250_177
; %bb.172:                              ;   in Loop: Header=BB250_13 Depth=1
	v_and_b32_e32 v43, 0xffff, v1
	v_mov_b32_e32 v41, 0x7c010000
	s_mov_b32 s44, exec_lo
	s_delay_alu instid0(VALU_DEP_2) | instskip(NEXT) | instid1(VALU_DEP_1)
	v_and_b32_e32 v45, 0x7f, v43
	v_cmpx_ne_u32_e32 0x7f, v45
	s_cbranch_execz .LBB250_176
; %bb.173:                              ;   in Loop: Header=BB250_13 Depth=1
	v_and_b32_e32 v41, 7, v43
	v_lshrrev_b32_e32 v44, 3, v45
	s_mov_b32 s45, exec_lo
	v_cmpx_gt_u32_e32 8, v45
; %bb.174:                              ;   in Loop: Header=BB250_13 Depth=1
	s_delay_alu instid0(VALU_DEP_3) | instskip(NEXT) | instid1(VALU_DEP_1)
	v_clz_i32_u32_e32 v41, v41
	v_min_u32_e32 v41, 32, v41
	s_delay_alu instid0(VALU_DEP_1) | instskip(NEXT) | instid1(VALU_DEP_1)
	v_subrev_nc_u32_e32 v44, 28, v41
	v_lshlrev_b64_e32 v[45:46], v44, v[1:2]
	v_sub_nc_u32_e32 v44, 29, v41
	s_delay_alu instid0(VALU_DEP_2)
	v_and_b32_e32 v41, 7, v45
; %bb.175:                              ;   in Loop: Header=BB250_13 Depth=1
	s_or_b32 exec_lo, exec_lo, s45
	v_lshlrev_b32_e32 v1, 8, v43
	s_delay_alu instid0(VALU_DEP_3) | instskip(NEXT) | instid1(VALU_DEP_3)
	v_lshl_add_u32 v43, v44, 10, 0x2000
	v_lshlrev_b32_e32 v41, 23, v41
	s_delay_alu instid0(VALU_DEP_2) | instskip(NEXT) | instid1(VALU_DEP_1)
	v_and_or_b32 v1, 0x8000, v1, v43
	v_lshl_or_b32 v41, v1, 16, v41
.LBB250_176:                            ;   in Loop: Header=BB250_13 Depth=1
	s_or_b32 exec_lo, exec_lo, s44
.LBB250_177:                            ;   in Loop: Header=BB250_13 Depth=1
	s_wait_alu 0xfffe
	s_or_b32 exec_lo, exec_lo, s43
.LBB250_178:                            ;   in Loop: Header=BB250_13 Depth=1
	s_wait_alu 0xfffe
	s_or_b32 exec_lo, exec_lo, s42
	global_load_u16 v1, v[7:8], off offset:640
	s_wait_loadcnt 0x0
	v_dual_mov_b32 v43, 0 :: v_dual_and_b32 v44, 0xff, v1
	v_and_b32_e32 v1, 0xffff, v1
	s_delay_alu instid0(VALU_DEP_2)
	v_cmp_ne_u16_e64 s4, 0, v44
	v_mov_b32_e32 v44, 0
	s_and_saveexec_b32 s42, s4
	s_cbranch_execz .LBB250_186
; %bb.179:                              ;   in Loop: Header=BB250_13 Depth=1
	v_and_b32_e32 v44, 0xff, v1
	s_delay_alu instid0(VALU_DEP_1)
	v_cmp_ne_u16_e64 s4, 0x80, v44
	v_mov_b32_e32 v44, 0x8000
	s_and_saveexec_b32 s43, s4
	s_cbranch_execz .LBB250_185
; %bb.180:                              ;   in Loop: Header=BB250_13 Depth=1
	v_and_b32_e32 v46, 0x7f, v1
	v_mov_b32_e32 v44, 0x7c01
	s_mov_b32 s44, exec_lo
	s_delay_alu instid0(VALU_DEP_2)
	v_cmpx_ne_u32_e32 0x7f, v46
	s_cbranch_execz .LBB250_184
; %bb.181:                              ;   in Loop: Header=BB250_13 Depth=1
	v_and_b32_e32 v44, 7, v1
	v_lshrrev_b32_e32 v45, 3, v46
	s_mov_b32 s45, exec_lo
	v_cmpx_gt_u32_e32 8, v46
; %bb.182:                              ;   in Loop: Header=BB250_13 Depth=1
	s_delay_alu instid0(VALU_DEP_3) | instskip(NEXT) | instid1(VALU_DEP_1)
	v_clz_i32_u32_e32 v44, v44
	v_min_u32_e32 v46, 32, v44
	s_delay_alu instid0(VALU_DEP_1) | instskip(NEXT) | instid1(VALU_DEP_1)
	v_subrev_nc_u32_e32 v44, 28, v46
	v_lshlrev_b64_e32 v[44:45], v44, v[1:2]
	v_sub_nc_u32_e32 v45, 29, v46
	s_delay_alu instid0(VALU_DEP_2)
	v_and_b32_e32 v44, 7, v44
; %bb.183:                              ;   in Loop: Header=BB250_13 Depth=1
	s_or_b32 exec_lo, exec_lo, s45
	v_lshlrev_b32_e32 v46, 8, v1
	s_delay_alu instid0(VALU_DEP_3) | instskip(NEXT) | instid1(VALU_DEP_3)
	v_lshl_add_u32 v45, v45, 10, 0x2000
	v_lshlrev_b32_e32 v44, 7, v44
	s_delay_alu instid0(VALU_DEP_3) | instskip(NEXT) | instid1(VALU_DEP_3)
	v_and_b32_e32 v46, 0x8000, v46
	v_and_b32_e32 v45, 0xfc00, v45
	s_delay_alu instid0(VALU_DEP_1)
	v_or3_b32 v44, v46, v45, v44
.LBB250_184:                            ;   in Loop: Header=BB250_13 Depth=1
	s_or_b32 exec_lo, exec_lo, s44
.LBB250_185:                            ;   in Loop: Header=BB250_13 Depth=1
	s_wait_alu 0xfffe
	s_or_b32 exec_lo, exec_lo, s43
.LBB250_186:                            ;   in Loop: Header=BB250_13 Depth=1
	s_wait_alu 0xfffe
	s_or_b32 exec_lo, exec_lo, s42
	v_lshrrev_b16 v1, 8, v1
	s_mov_b32 s42, exec_lo
	s_delay_alu instid0(VALU_DEP_1)
	v_cmpx_ne_u16_e32 0, v1
	s_cbranch_execz .LBB250_194
; %bb.187:                              ;   in Loop: Header=BB250_13 Depth=1
	v_bfrev_b32_e32 v43, 1
	s_mov_b32 s43, exec_lo
	v_cmpx_ne_u16_e32 0x80, v1
	s_cbranch_execz .LBB250_193
; %bb.188:                              ;   in Loop: Header=BB250_13 Depth=1
	v_and_b32_e32 v45, 0xffff, v1
	v_mov_b32_e32 v43, 0x7c010000
	s_mov_b32 s44, exec_lo
	s_delay_alu instid0(VALU_DEP_2) | instskip(NEXT) | instid1(VALU_DEP_1)
	v_and_b32_e32 v47, 0x7f, v45
	v_cmpx_ne_u32_e32 0x7f, v47
	s_cbranch_execz .LBB250_192
; %bb.189:                              ;   in Loop: Header=BB250_13 Depth=1
	v_and_b32_e32 v43, 7, v45
	v_lshrrev_b32_e32 v46, 3, v47
	s_mov_b32 s45, exec_lo
	v_cmpx_gt_u32_e32 8, v47
; %bb.190:                              ;   in Loop: Header=BB250_13 Depth=1
	s_delay_alu instid0(VALU_DEP_3) | instskip(NEXT) | instid1(VALU_DEP_1)
	v_clz_i32_u32_e32 v43, v43
	v_min_u32_e32 v43, 32, v43
	s_delay_alu instid0(VALU_DEP_1) | instskip(NEXT) | instid1(VALU_DEP_1)
	v_subrev_nc_u32_e32 v46, 28, v43
	v_lshlrev_b64_e32 v[47:48], v46, v[1:2]
	v_sub_nc_u32_e32 v46, 29, v43
	s_delay_alu instid0(VALU_DEP_2)
	v_and_b32_e32 v43, 7, v47
; %bb.191:                              ;   in Loop: Header=BB250_13 Depth=1
	s_or_b32 exec_lo, exec_lo, s45
	v_lshlrev_b32_e32 v1, 8, v45
	s_delay_alu instid0(VALU_DEP_3) | instskip(NEXT) | instid1(VALU_DEP_3)
	v_lshl_add_u32 v45, v46, 10, 0x2000
	v_lshlrev_b32_e32 v43, 23, v43
	s_delay_alu instid0(VALU_DEP_2) | instskip(NEXT) | instid1(VALU_DEP_1)
	v_and_or_b32 v1, 0x8000, v1, v45
	v_lshl_or_b32 v43, v1, 16, v43
.LBB250_192:                            ;   in Loop: Header=BB250_13 Depth=1
	s_or_b32 exec_lo, exec_lo, s44
.LBB250_193:                            ;   in Loop: Header=BB250_13 Depth=1
	s_wait_alu 0xfffe
	s_or_b32 exec_lo, exec_lo, s43
.LBB250_194:                            ;   in Loop: Header=BB250_13 Depth=1
	s_wait_alu 0xfffe
	s_or_b32 exec_lo, exec_lo, s42
	global_load_u16 v1, v[7:8], off offset:648
	s_wait_loadcnt 0x0
	v_dual_mov_b32 v45, 0 :: v_dual_and_b32 v46, 0xff, v1
	v_and_b32_e32 v1, 0xffff, v1
	s_delay_alu instid0(VALU_DEP_2)
	v_cmp_ne_u16_e64 s4, 0, v46
	v_mov_b32_e32 v46, 0
	s_and_saveexec_b32 s42, s4
	s_cbranch_execz .LBB250_202
; %bb.195:                              ;   in Loop: Header=BB250_13 Depth=1
	v_and_b32_e32 v46, 0xff, v1
	s_delay_alu instid0(VALU_DEP_1)
	v_cmp_ne_u16_e64 s4, 0x80, v46
	v_mov_b32_e32 v46, 0x8000
	s_and_saveexec_b32 s43, s4
	s_cbranch_execz .LBB250_201
; %bb.196:                              ;   in Loop: Header=BB250_13 Depth=1
	v_and_b32_e32 v48, 0x7f, v1
	v_mov_b32_e32 v46, 0x7c01
	s_mov_b32 s44, exec_lo
	s_delay_alu instid0(VALU_DEP_2)
	v_cmpx_ne_u32_e32 0x7f, v48
	s_cbranch_execz .LBB250_200
; %bb.197:                              ;   in Loop: Header=BB250_13 Depth=1
	v_and_b32_e32 v46, 7, v1
	v_lshrrev_b32_e32 v47, 3, v48
	s_mov_b32 s45, exec_lo
	v_cmpx_gt_u32_e32 8, v48
; %bb.198:                              ;   in Loop: Header=BB250_13 Depth=1
	s_delay_alu instid0(VALU_DEP_3) | instskip(NEXT) | instid1(VALU_DEP_1)
	v_clz_i32_u32_e32 v46, v46
	v_min_u32_e32 v48, 32, v46
	s_delay_alu instid0(VALU_DEP_1) | instskip(NEXT) | instid1(VALU_DEP_1)
	v_subrev_nc_u32_e32 v46, 28, v48
	v_lshlrev_b64_e32 v[46:47], v46, v[1:2]
	v_sub_nc_u32_e32 v47, 29, v48
	s_delay_alu instid0(VALU_DEP_2)
	v_and_b32_e32 v46, 7, v46
; %bb.199:                              ;   in Loop: Header=BB250_13 Depth=1
	s_or_b32 exec_lo, exec_lo, s45
	v_lshlrev_b32_e32 v48, 8, v1
	s_delay_alu instid0(VALU_DEP_3) | instskip(NEXT) | instid1(VALU_DEP_3)
	v_lshl_add_u32 v47, v47, 10, 0x2000
	v_lshlrev_b32_e32 v46, 7, v46
	s_delay_alu instid0(VALU_DEP_3) | instskip(NEXT) | instid1(VALU_DEP_3)
	v_and_b32_e32 v48, 0x8000, v48
	v_and_b32_e32 v47, 0xfc00, v47
	s_delay_alu instid0(VALU_DEP_1)
	v_or3_b32 v46, v48, v47, v46
.LBB250_200:                            ;   in Loop: Header=BB250_13 Depth=1
	s_or_b32 exec_lo, exec_lo, s44
.LBB250_201:                            ;   in Loop: Header=BB250_13 Depth=1
	s_wait_alu 0xfffe
	s_or_b32 exec_lo, exec_lo, s43
.LBB250_202:                            ;   in Loop: Header=BB250_13 Depth=1
	s_wait_alu 0xfffe
	s_or_b32 exec_lo, exec_lo, s42
	v_lshrrev_b16 v1, 8, v1
	s_mov_b32 s42, exec_lo
	s_delay_alu instid0(VALU_DEP_1)
	v_cmpx_ne_u16_e32 0, v1
	s_cbranch_execz .LBB250_210
; %bb.203:                              ;   in Loop: Header=BB250_13 Depth=1
	v_bfrev_b32_e32 v45, 1
	s_mov_b32 s43, exec_lo
	v_cmpx_ne_u16_e32 0x80, v1
	s_cbranch_execz .LBB250_209
; %bb.204:                              ;   in Loop: Header=BB250_13 Depth=1
	v_and_b32_e32 v47, 0xffff, v1
	v_mov_b32_e32 v45, 0x7c010000
	s_mov_b32 s44, exec_lo
	s_delay_alu instid0(VALU_DEP_2) | instskip(NEXT) | instid1(VALU_DEP_1)
	v_and_b32_e32 v49, 0x7f, v47
	v_cmpx_ne_u32_e32 0x7f, v49
	s_cbranch_execz .LBB250_208
; %bb.205:                              ;   in Loop: Header=BB250_13 Depth=1
	v_and_b32_e32 v45, 7, v47
	v_lshrrev_b32_e32 v48, 3, v49
	s_mov_b32 s45, exec_lo
	v_cmpx_gt_u32_e32 8, v49
; %bb.206:                              ;   in Loop: Header=BB250_13 Depth=1
	s_delay_alu instid0(VALU_DEP_3) | instskip(NEXT) | instid1(VALU_DEP_1)
	v_clz_i32_u32_e32 v45, v45
	v_min_u32_e32 v45, 32, v45
	s_delay_alu instid0(VALU_DEP_1) | instskip(NEXT) | instid1(VALU_DEP_1)
	v_subrev_nc_u32_e32 v48, 28, v45
	v_lshlrev_b64_e32 v[49:50], v48, v[1:2]
	v_sub_nc_u32_e32 v48, 29, v45
	s_delay_alu instid0(VALU_DEP_2)
	v_and_b32_e32 v45, 7, v49
; %bb.207:                              ;   in Loop: Header=BB250_13 Depth=1
	s_or_b32 exec_lo, exec_lo, s45
	v_lshlrev_b32_e32 v1, 8, v47
	s_delay_alu instid0(VALU_DEP_3) | instskip(NEXT) | instid1(VALU_DEP_3)
	v_lshl_add_u32 v47, v48, 10, 0x2000
	v_lshlrev_b32_e32 v45, 23, v45
	s_delay_alu instid0(VALU_DEP_2) | instskip(NEXT) | instid1(VALU_DEP_1)
	v_and_or_b32 v1, 0x8000, v1, v47
	v_lshl_or_b32 v45, v1, 16, v45
.LBB250_208:                            ;   in Loop: Header=BB250_13 Depth=1
	s_or_b32 exec_lo, exec_lo, s44
.LBB250_209:                            ;   in Loop: Header=BB250_13 Depth=1
	s_wait_alu 0xfffe
	s_or_b32 exec_lo, exec_lo, s43
.LBB250_210:                            ;   in Loop: Header=BB250_13 Depth=1
	s_wait_alu 0xfffe
	s_or_b32 exec_lo, exec_lo, s42
	global_load_u16 v1, v[7:8], off offset:768
	s_wait_loadcnt 0x0
	v_dual_mov_b32 v47, 0 :: v_dual_and_b32 v48, 0xff, v1
	v_and_b32_e32 v1, 0xffff, v1
	s_delay_alu instid0(VALU_DEP_2)
	v_cmp_ne_u16_e64 s4, 0, v48
	v_mov_b32_e32 v48, 0
	s_and_saveexec_b32 s42, s4
	s_cbranch_execz .LBB250_218
; %bb.211:                              ;   in Loop: Header=BB250_13 Depth=1
	v_and_b32_e32 v48, 0xff, v1
	s_delay_alu instid0(VALU_DEP_1)
	v_cmp_ne_u16_e64 s4, 0x80, v48
	v_mov_b32_e32 v48, 0x8000
	s_and_saveexec_b32 s43, s4
	s_cbranch_execz .LBB250_217
; %bb.212:                              ;   in Loop: Header=BB250_13 Depth=1
	v_and_b32_e32 v50, 0x7f, v1
	v_mov_b32_e32 v48, 0x7c01
	s_mov_b32 s44, exec_lo
	s_delay_alu instid0(VALU_DEP_2)
	v_cmpx_ne_u32_e32 0x7f, v50
	s_cbranch_execz .LBB250_216
; %bb.213:                              ;   in Loop: Header=BB250_13 Depth=1
	v_and_b32_e32 v48, 7, v1
	v_lshrrev_b32_e32 v49, 3, v50
	s_mov_b32 s45, exec_lo
	v_cmpx_gt_u32_e32 8, v50
; %bb.214:                              ;   in Loop: Header=BB250_13 Depth=1
	s_delay_alu instid0(VALU_DEP_3) | instskip(NEXT) | instid1(VALU_DEP_1)
	v_clz_i32_u32_e32 v48, v48
	v_min_u32_e32 v50, 32, v48
	s_delay_alu instid0(VALU_DEP_1) | instskip(NEXT) | instid1(VALU_DEP_1)
	v_subrev_nc_u32_e32 v48, 28, v50
	v_lshlrev_b64_e32 v[48:49], v48, v[1:2]
	v_sub_nc_u32_e32 v49, 29, v50
	s_delay_alu instid0(VALU_DEP_2)
	v_and_b32_e32 v48, 7, v48
; %bb.215:                              ;   in Loop: Header=BB250_13 Depth=1
	s_or_b32 exec_lo, exec_lo, s45
	v_lshlrev_b32_e32 v50, 8, v1
	s_delay_alu instid0(VALU_DEP_3) | instskip(NEXT) | instid1(VALU_DEP_3)
	v_lshl_add_u32 v49, v49, 10, 0x2000
	v_lshlrev_b32_e32 v48, 7, v48
	s_delay_alu instid0(VALU_DEP_3) | instskip(NEXT) | instid1(VALU_DEP_3)
	v_and_b32_e32 v50, 0x8000, v50
	v_and_b32_e32 v49, 0xfc00, v49
	s_delay_alu instid0(VALU_DEP_1)
	v_or3_b32 v48, v50, v49, v48
.LBB250_216:                            ;   in Loop: Header=BB250_13 Depth=1
	s_or_b32 exec_lo, exec_lo, s44
.LBB250_217:                            ;   in Loop: Header=BB250_13 Depth=1
	s_wait_alu 0xfffe
	s_or_b32 exec_lo, exec_lo, s43
.LBB250_218:                            ;   in Loop: Header=BB250_13 Depth=1
	s_wait_alu 0xfffe
	s_or_b32 exec_lo, exec_lo, s42
	v_lshrrev_b16 v1, 8, v1
	s_mov_b32 s42, exec_lo
	s_delay_alu instid0(VALU_DEP_1)
	v_cmpx_ne_u16_e32 0, v1
	s_cbranch_execz .LBB250_226
; %bb.219:                              ;   in Loop: Header=BB250_13 Depth=1
	v_bfrev_b32_e32 v47, 1
	s_mov_b32 s43, exec_lo
	v_cmpx_ne_u16_e32 0x80, v1
	s_cbranch_execz .LBB250_225
; %bb.220:                              ;   in Loop: Header=BB250_13 Depth=1
	v_and_b32_e32 v49, 0xffff, v1
	v_mov_b32_e32 v47, 0x7c010000
	s_mov_b32 s44, exec_lo
	s_delay_alu instid0(VALU_DEP_2) | instskip(NEXT) | instid1(VALU_DEP_1)
	v_and_b32_e32 v51, 0x7f, v49
	v_cmpx_ne_u32_e32 0x7f, v51
	s_cbranch_execz .LBB250_224
; %bb.221:                              ;   in Loop: Header=BB250_13 Depth=1
	v_and_b32_e32 v47, 7, v49
	v_lshrrev_b32_e32 v50, 3, v51
	s_mov_b32 s45, exec_lo
	v_cmpx_gt_u32_e32 8, v51
; %bb.222:                              ;   in Loop: Header=BB250_13 Depth=1
	s_delay_alu instid0(VALU_DEP_3) | instskip(NEXT) | instid1(VALU_DEP_1)
	v_clz_i32_u32_e32 v47, v47
	v_min_u32_e32 v47, 32, v47
	s_delay_alu instid0(VALU_DEP_1) | instskip(NEXT) | instid1(VALU_DEP_1)
	v_subrev_nc_u32_e32 v50, 28, v47
	v_lshlrev_b64_e32 v[51:52], v50, v[1:2]
	v_sub_nc_u32_e32 v50, 29, v47
	s_delay_alu instid0(VALU_DEP_2)
	v_and_b32_e32 v47, 7, v51
; %bb.223:                              ;   in Loop: Header=BB250_13 Depth=1
	s_or_b32 exec_lo, exec_lo, s45
	v_lshlrev_b32_e32 v1, 8, v49
	s_delay_alu instid0(VALU_DEP_3) | instskip(NEXT) | instid1(VALU_DEP_3)
	v_lshl_add_u32 v49, v50, 10, 0x2000
	v_lshlrev_b32_e32 v47, 23, v47
	s_delay_alu instid0(VALU_DEP_2) | instskip(NEXT) | instid1(VALU_DEP_1)
	v_and_or_b32 v1, 0x8000, v1, v49
	v_lshl_or_b32 v47, v1, 16, v47
.LBB250_224:                            ;   in Loop: Header=BB250_13 Depth=1
	s_or_b32 exec_lo, exec_lo, s44
.LBB250_225:                            ;   in Loop: Header=BB250_13 Depth=1
	s_wait_alu 0xfffe
	s_or_b32 exec_lo, exec_lo, s43
.LBB250_226:                            ;   in Loop: Header=BB250_13 Depth=1
	s_wait_alu 0xfffe
	s_or_b32 exec_lo, exec_lo, s42
	global_load_u16 v1, v[7:8], off offset:776
	s_wait_loadcnt 0x0
	v_dual_mov_b32 v49, 0 :: v_dual_and_b32 v50, 0xff, v1
	v_and_b32_e32 v1, 0xffff, v1
	s_delay_alu instid0(VALU_DEP_2)
	v_cmp_ne_u16_e64 s4, 0, v50
	v_mov_b32_e32 v50, 0
	s_and_saveexec_b32 s42, s4
	s_cbranch_execz .LBB250_234
; %bb.227:                              ;   in Loop: Header=BB250_13 Depth=1
	v_and_b32_e32 v50, 0xff, v1
	s_delay_alu instid0(VALU_DEP_1)
	v_cmp_ne_u16_e64 s4, 0x80, v50
	v_mov_b32_e32 v50, 0x8000
	s_and_saveexec_b32 s43, s4
	s_cbranch_execz .LBB250_233
; %bb.228:                              ;   in Loop: Header=BB250_13 Depth=1
	v_and_b32_e32 v52, 0x7f, v1
	v_mov_b32_e32 v50, 0x7c01
	s_mov_b32 s44, exec_lo
	s_delay_alu instid0(VALU_DEP_2)
	v_cmpx_ne_u32_e32 0x7f, v52
	s_cbranch_execz .LBB250_232
; %bb.229:                              ;   in Loop: Header=BB250_13 Depth=1
	v_and_b32_e32 v50, 7, v1
	v_lshrrev_b32_e32 v51, 3, v52
	s_mov_b32 s45, exec_lo
	v_cmpx_gt_u32_e32 8, v52
; %bb.230:                              ;   in Loop: Header=BB250_13 Depth=1
	s_delay_alu instid0(VALU_DEP_3) | instskip(NEXT) | instid1(VALU_DEP_1)
	v_clz_i32_u32_e32 v50, v50
	v_min_u32_e32 v52, 32, v50
	s_delay_alu instid0(VALU_DEP_1) | instskip(NEXT) | instid1(VALU_DEP_1)
	v_subrev_nc_u32_e32 v50, 28, v52
	v_lshlrev_b64_e32 v[50:51], v50, v[1:2]
	v_sub_nc_u32_e32 v51, 29, v52
	s_delay_alu instid0(VALU_DEP_2)
	v_and_b32_e32 v50, 7, v50
; %bb.231:                              ;   in Loop: Header=BB250_13 Depth=1
	s_or_b32 exec_lo, exec_lo, s45
	v_lshlrev_b32_e32 v52, 8, v1
	s_delay_alu instid0(VALU_DEP_3) | instskip(NEXT) | instid1(VALU_DEP_3)
	v_lshl_add_u32 v51, v51, 10, 0x2000
	v_lshlrev_b32_e32 v50, 7, v50
	s_delay_alu instid0(VALU_DEP_3) | instskip(NEXT) | instid1(VALU_DEP_3)
	v_and_b32_e32 v52, 0x8000, v52
	v_and_b32_e32 v51, 0xfc00, v51
	s_delay_alu instid0(VALU_DEP_1)
	v_or3_b32 v50, v52, v51, v50
.LBB250_232:                            ;   in Loop: Header=BB250_13 Depth=1
	s_or_b32 exec_lo, exec_lo, s44
.LBB250_233:                            ;   in Loop: Header=BB250_13 Depth=1
	s_wait_alu 0xfffe
	s_or_b32 exec_lo, exec_lo, s43
.LBB250_234:                            ;   in Loop: Header=BB250_13 Depth=1
	s_wait_alu 0xfffe
	s_or_b32 exec_lo, exec_lo, s42
	v_lshrrev_b16 v1, 8, v1
	s_mov_b32 s42, exec_lo
	s_delay_alu instid0(VALU_DEP_1)
	v_cmpx_ne_u16_e32 0, v1
	s_cbranch_execz .LBB250_242
; %bb.235:                              ;   in Loop: Header=BB250_13 Depth=1
	v_bfrev_b32_e32 v49, 1
	s_mov_b32 s43, exec_lo
	v_cmpx_ne_u16_e32 0x80, v1
	s_cbranch_execz .LBB250_241
; %bb.236:                              ;   in Loop: Header=BB250_13 Depth=1
	v_and_b32_e32 v51, 0xffff, v1
	v_mov_b32_e32 v49, 0x7c010000
	s_mov_b32 s44, exec_lo
	s_delay_alu instid0(VALU_DEP_2) | instskip(NEXT) | instid1(VALU_DEP_1)
	v_and_b32_e32 v53, 0x7f, v51
	v_cmpx_ne_u32_e32 0x7f, v53
	s_cbranch_execz .LBB250_240
; %bb.237:                              ;   in Loop: Header=BB250_13 Depth=1
	v_and_b32_e32 v49, 7, v51
	v_lshrrev_b32_e32 v52, 3, v53
	s_mov_b32 s45, exec_lo
	v_cmpx_gt_u32_e32 8, v53
; %bb.238:                              ;   in Loop: Header=BB250_13 Depth=1
	s_delay_alu instid0(VALU_DEP_3) | instskip(NEXT) | instid1(VALU_DEP_1)
	v_clz_i32_u32_e32 v49, v49
	v_min_u32_e32 v49, 32, v49
	s_delay_alu instid0(VALU_DEP_1) | instskip(NEXT) | instid1(VALU_DEP_1)
	v_subrev_nc_u32_e32 v52, 28, v49
	v_lshlrev_b64_e32 v[53:54], v52, v[1:2]
	v_sub_nc_u32_e32 v52, 29, v49
	s_delay_alu instid0(VALU_DEP_2)
	v_and_b32_e32 v49, 7, v53
; %bb.239:                              ;   in Loop: Header=BB250_13 Depth=1
	s_or_b32 exec_lo, exec_lo, s45
	v_lshlrev_b32_e32 v1, 8, v51
	s_delay_alu instid0(VALU_DEP_3) | instskip(NEXT) | instid1(VALU_DEP_3)
	v_lshl_add_u32 v51, v52, 10, 0x2000
	v_lshlrev_b32_e32 v49, 23, v49
	s_delay_alu instid0(VALU_DEP_2) | instskip(NEXT) | instid1(VALU_DEP_1)
	v_and_or_b32 v1, 0x8000, v1, v51
	v_lshl_or_b32 v49, v1, 16, v49
.LBB250_240:                            ;   in Loop: Header=BB250_13 Depth=1
	s_or_b32 exec_lo, exec_lo, s44
.LBB250_241:                            ;   in Loop: Header=BB250_13 Depth=1
	s_wait_alu 0xfffe
	s_or_b32 exec_lo, exec_lo, s43
.LBB250_242:                            ;   in Loop: Header=BB250_13 Depth=1
	s_wait_alu 0xfffe
	s_or_b32 exec_lo, exec_lo, s42
	global_load_u16 v1, v[7:8], off offset:896
	s_wait_loadcnt 0x0
	v_dual_mov_b32 v51, 0 :: v_dual_and_b32 v52, 0xff, v1
	v_and_b32_e32 v1, 0xffff, v1
	s_delay_alu instid0(VALU_DEP_2)
	v_cmp_ne_u16_e64 s4, 0, v52
	v_mov_b32_e32 v52, 0
	s_and_saveexec_b32 s42, s4
	s_cbranch_execz .LBB250_250
; %bb.243:                              ;   in Loop: Header=BB250_13 Depth=1
	v_and_b32_e32 v52, 0xff, v1
	s_delay_alu instid0(VALU_DEP_1)
	v_cmp_ne_u16_e64 s4, 0x80, v52
	v_mov_b32_e32 v52, 0x8000
	s_and_saveexec_b32 s43, s4
	s_cbranch_execz .LBB250_249
; %bb.244:                              ;   in Loop: Header=BB250_13 Depth=1
	v_and_b32_e32 v54, 0x7f, v1
	v_mov_b32_e32 v52, 0x7c01
	s_mov_b32 s44, exec_lo
	s_delay_alu instid0(VALU_DEP_2)
	v_cmpx_ne_u32_e32 0x7f, v54
	s_cbranch_execz .LBB250_248
; %bb.245:                              ;   in Loop: Header=BB250_13 Depth=1
	v_and_b32_e32 v52, 7, v1
	v_lshrrev_b32_e32 v53, 3, v54
	s_mov_b32 s45, exec_lo
	v_cmpx_gt_u32_e32 8, v54
; %bb.246:                              ;   in Loop: Header=BB250_13 Depth=1
	s_delay_alu instid0(VALU_DEP_3) | instskip(NEXT) | instid1(VALU_DEP_1)
	v_clz_i32_u32_e32 v52, v52
	v_min_u32_e32 v54, 32, v52
	s_delay_alu instid0(VALU_DEP_1) | instskip(NEXT) | instid1(VALU_DEP_1)
	v_subrev_nc_u32_e32 v52, 28, v54
	v_lshlrev_b64_e32 v[52:53], v52, v[1:2]
	v_sub_nc_u32_e32 v53, 29, v54
	s_delay_alu instid0(VALU_DEP_2)
	v_and_b32_e32 v52, 7, v52
; %bb.247:                              ;   in Loop: Header=BB250_13 Depth=1
	s_or_b32 exec_lo, exec_lo, s45
	v_lshlrev_b32_e32 v54, 8, v1
	s_delay_alu instid0(VALU_DEP_3) | instskip(NEXT) | instid1(VALU_DEP_3)
	v_lshl_add_u32 v53, v53, 10, 0x2000
	v_lshlrev_b32_e32 v52, 7, v52
	s_delay_alu instid0(VALU_DEP_3) | instskip(NEXT) | instid1(VALU_DEP_3)
	v_and_b32_e32 v54, 0x8000, v54
	v_and_b32_e32 v53, 0xfc00, v53
	s_delay_alu instid0(VALU_DEP_1)
	v_or3_b32 v52, v54, v53, v52
.LBB250_248:                            ;   in Loop: Header=BB250_13 Depth=1
	s_or_b32 exec_lo, exec_lo, s44
.LBB250_249:                            ;   in Loop: Header=BB250_13 Depth=1
	s_wait_alu 0xfffe
	s_or_b32 exec_lo, exec_lo, s43
.LBB250_250:                            ;   in Loop: Header=BB250_13 Depth=1
	s_wait_alu 0xfffe
	s_or_b32 exec_lo, exec_lo, s42
	v_lshrrev_b16 v1, 8, v1
	s_mov_b32 s42, exec_lo
	s_delay_alu instid0(VALU_DEP_1)
	v_cmpx_ne_u16_e32 0, v1
	s_cbranch_execz .LBB250_258
; %bb.251:                              ;   in Loop: Header=BB250_13 Depth=1
	v_bfrev_b32_e32 v51, 1
	s_mov_b32 s43, exec_lo
	v_cmpx_ne_u16_e32 0x80, v1
	s_cbranch_execz .LBB250_257
; %bb.252:                              ;   in Loop: Header=BB250_13 Depth=1
	v_and_b32_e32 v53, 0xffff, v1
	v_mov_b32_e32 v51, 0x7c010000
	s_mov_b32 s44, exec_lo
	s_delay_alu instid0(VALU_DEP_2) | instskip(NEXT) | instid1(VALU_DEP_1)
	v_and_b32_e32 v55, 0x7f, v53
	v_cmpx_ne_u32_e32 0x7f, v55
	s_cbranch_execz .LBB250_256
; %bb.253:                              ;   in Loop: Header=BB250_13 Depth=1
	v_and_b32_e32 v51, 7, v53
	v_lshrrev_b32_e32 v54, 3, v55
	s_mov_b32 s45, exec_lo
	v_cmpx_gt_u32_e32 8, v55
; %bb.254:                              ;   in Loop: Header=BB250_13 Depth=1
	s_delay_alu instid0(VALU_DEP_3) | instskip(NEXT) | instid1(VALU_DEP_1)
	v_clz_i32_u32_e32 v51, v51
	v_min_u32_e32 v51, 32, v51
	s_delay_alu instid0(VALU_DEP_1) | instskip(NEXT) | instid1(VALU_DEP_1)
	v_subrev_nc_u32_e32 v54, 28, v51
	v_lshlrev_b64_e32 v[55:56], v54, v[1:2]
	v_sub_nc_u32_e32 v54, 29, v51
	s_delay_alu instid0(VALU_DEP_2)
	v_and_b32_e32 v51, 7, v55
; %bb.255:                              ;   in Loop: Header=BB250_13 Depth=1
	s_or_b32 exec_lo, exec_lo, s45
	v_lshlrev_b32_e32 v1, 8, v53
	s_delay_alu instid0(VALU_DEP_3) | instskip(NEXT) | instid1(VALU_DEP_3)
	v_lshl_add_u32 v53, v54, 10, 0x2000
	v_lshlrev_b32_e32 v51, 23, v51
	s_delay_alu instid0(VALU_DEP_2) | instskip(NEXT) | instid1(VALU_DEP_1)
	v_and_or_b32 v1, 0x8000, v1, v53
	v_lshl_or_b32 v51, v1, 16, v51
.LBB250_256:                            ;   in Loop: Header=BB250_13 Depth=1
	s_or_b32 exec_lo, exec_lo, s44
.LBB250_257:                            ;   in Loop: Header=BB250_13 Depth=1
	s_wait_alu 0xfffe
	s_or_b32 exec_lo, exec_lo, s43
.LBB250_258:                            ;   in Loop: Header=BB250_13 Depth=1
	s_wait_alu 0xfffe
	s_or_b32 exec_lo, exec_lo, s42
	global_load_u16 v1, v[7:8], off offset:904
	s_wait_loadcnt 0x0
	v_dual_mov_b32 v53, 0 :: v_dual_and_b32 v54, 0xff, v1
	v_and_b32_e32 v1, 0xffff, v1
	s_delay_alu instid0(VALU_DEP_2)
	v_cmp_ne_u16_e64 s4, 0, v54
	v_mov_b32_e32 v54, 0
	s_and_saveexec_b32 s42, s4
	s_cbranch_execz .LBB250_266
; %bb.259:                              ;   in Loop: Header=BB250_13 Depth=1
	v_and_b32_e32 v54, 0xff, v1
	s_delay_alu instid0(VALU_DEP_1)
	v_cmp_ne_u16_e64 s4, 0x80, v54
	v_mov_b32_e32 v54, 0x8000
	s_and_saveexec_b32 s43, s4
	s_cbranch_execz .LBB250_265
; %bb.260:                              ;   in Loop: Header=BB250_13 Depth=1
	v_and_b32_e32 v56, 0x7f, v1
	v_mov_b32_e32 v54, 0x7c01
	s_mov_b32 s44, exec_lo
	s_delay_alu instid0(VALU_DEP_2)
	v_cmpx_ne_u32_e32 0x7f, v56
	s_cbranch_execz .LBB250_264
; %bb.261:                              ;   in Loop: Header=BB250_13 Depth=1
	v_and_b32_e32 v54, 7, v1
	v_lshrrev_b32_e32 v55, 3, v56
	s_mov_b32 s45, exec_lo
	v_cmpx_gt_u32_e32 8, v56
; %bb.262:                              ;   in Loop: Header=BB250_13 Depth=1
	s_delay_alu instid0(VALU_DEP_3) | instskip(NEXT) | instid1(VALU_DEP_1)
	v_clz_i32_u32_e32 v54, v54
	v_min_u32_e32 v56, 32, v54
	s_delay_alu instid0(VALU_DEP_1) | instskip(NEXT) | instid1(VALU_DEP_1)
	v_subrev_nc_u32_e32 v54, 28, v56
	v_lshlrev_b64_e32 v[54:55], v54, v[1:2]
	v_sub_nc_u32_e32 v55, 29, v56
	s_delay_alu instid0(VALU_DEP_2)
	v_and_b32_e32 v54, 7, v54
; %bb.263:                              ;   in Loop: Header=BB250_13 Depth=1
	s_or_b32 exec_lo, exec_lo, s45
	v_lshlrev_b32_e32 v56, 8, v1
	s_delay_alu instid0(VALU_DEP_3) | instskip(NEXT) | instid1(VALU_DEP_3)
	v_lshl_add_u32 v55, v55, 10, 0x2000
	v_lshlrev_b32_e32 v54, 7, v54
	s_delay_alu instid0(VALU_DEP_3) | instskip(NEXT) | instid1(VALU_DEP_3)
	v_and_b32_e32 v56, 0x8000, v56
	v_and_b32_e32 v55, 0xfc00, v55
	s_delay_alu instid0(VALU_DEP_1)
	v_or3_b32 v54, v56, v55, v54
.LBB250_264:                            ;   in Loop: Header=BB250_13 Depth=1
	s_or_b32 exec_lo, exec_lo, s44
.LBB250_265:                            ;   in Loop: Header=BB250_13 Depth=1
	s_wait_alu 0xfffe
	s_or_b32 exec_lo, exec_lo, s43
.LBB250_266:                            ;   in Loop: Header=BB250_13 Depth=1
	s_wait_alu 0xfffe
	s_or_b32 exec_lo, exec_lo, s42
	v_lshrrev_b16 v1, 8, v1
	s_mov_b32 s42, exec_lo
	s_delay_alu instid0(VALU_DEP_1)
	v_cmpx_ne_u16_e32 0, v1
	s_cbranch_execz .LBB250_274
; %bb.267:                              ;   in Loop: Header=BB250_13 Depth=1
	v_bfrev_b32_e32 v53, 1
	s_mov_b32 s43, exec_lo
	v_cmpx_ne_u16_e32 0x80, v1
	s_cbranch_execz .LBB250_273
; %bb.268:                              ;   in Loop: Header=BB250_13 Depth=1
	v_and_b32_e32 v55, 0xffff, v1
	v_mov_b32_e32 v53, 0x7c010000
	s_mov_b32 s44, exec_lo
	s_delay_alu instid0(VALU_DEP_2) | instskip(NEXT) | instid1(VALU_DEP_1)
	v_and_b32_e32 v57, 0x7f, v55
	v_cmpx_ne_u32_e32 0x7f, v57
	s_cbranch_execz .LBB250_272
; %bb.269:                              ;   in Loop: Header=BB250_13 Depth=1
	v_and_b32_e32 v53, 7, v55
	v_lshrrev_b32_e32 v56, 3, v57
	s_mov_b32 s45, exec_lo
	v_cmpx_gt_u32_e32 8, v57
; %bb.270:                              ;   in Loop: Header=BB250_13 Depth=1
	s_delay_alu instid0(VALU_DEP_3) | instskip(NEXT) | instid1(VALU_DEP_1)
	v_clz_i32_u32_e32 v53, v53
	v_min_u32_e32 v53, 32, v53
	s_delay_alu instid0(VALU_DEP_1) | instskip(NEXT) | instid1(VALU_DEP_1)
	v_subrev_nc_u32_e32 v56, 28, v53
	v_lshlrev_b64_e32 v[57:58], v56, v[1:2]
	v_sub_nc_u32_e32 v56, 29, v53
	s_delay_alu instid0(VALU_DEP_2)
	v_and_b32_e32 v53, 7, v57
; %bb.271:                              ;   in Loop: Header=BB250_13 Depth=1
	s_or_b32 exec_lo, exec_lo, s45
	v_lshlrev_b32_e32 v1, 8, v55
	s_delay_alu instid0(VALU_DEP_3) | instskip(NEXT) | instid1(VALU_DEP_3)
	v_lshl_add_u32 v55, v56, 10, 0x2000
	v_lshlrev_b32_e32 v53, 23, v53
	s_delay_alu instid0(VALU_DEP_2) | instskip(NEXT) | instid1(VALU_DEP_1)
	v_and_or_b32 v1, 0x8000, v1, v55
	v_lshl_or_b32 v53, v1, 16, v53
.LBB250_272:                            ;   in Loop: Header=BB250_13 Depth=1
	s_or_b32 exec_lo, exec_lo, s44
.LBB250_273:                            ;   in Loop: Header=BB250_13 Depth=1
	s_wait_alu 0xfffe
	s_or_b32 exec_lo, exec_lo, s43
.LBB250_274:                            ;   in Loop: Header=BB250_13 Depth=1
	s_wait_alu 0xfffe
	s_or_b32 exec_lo, exec_lo, s42
	global_load_u16 v1, v[7:8], off offset:1024
	s_wait_loadcnt 0x0
	v_dual_mov_b32 v55, 0 :: v_dual_and_b32 v56, 0xff, v1
	v_and_b32_e32 v1, 0xffff, v1
	s_delay_alu instid0(VALU_DEP_2)
	v_cmp_ne_u16_e64 s4, 0, v56
	v_mov_b32_e32 v56, 0
	s_and_saveexec_b32 s42, s4
	s_cbranch_execz .LBB250_282
; %bb.275:                              ;   in Loop: Header=BB250_13 Depth=1
	v_and_b32_e32 v56, 0xff, v1
	s_delay_alu instid0(VALU_DEP_1)
	v_cmp_ne_u16_e64 s4, 0x80, v56
	v_mov_b32_e32 v56, 0x8000
	s_and_saveexec_b32 s43, s4
	s_cbranch_execz .LBB250_281
; %bb.276:                              ;   in Loop: Header=BB250_13 Depth=1
	v_and_b32_e32 v58, 0x7f, v1
	v_mov_b32_e32 v56, 0x7c01
	s_mov_b32 s44, exec_lo
	s_delay_alu instid0(VALU_DEP_2)
	v_cmpx_ne_u32_e32 0x7f, v58
	s_cbranch_execz .LBB250_280
; %bb.277:                              ;   in Loop: Header=BB250_13 Depth=1
	v_and_b32_e32 v56, 7, v1
	v_lshrrev_b32_e32 v57, 3, v58
	s_mov_b32 s45, exec_lo
	v_cmpx_gt_u32_e32 8, v58
; %bb.278:                              ;   in Loop: Header=BB250_13 Depth=1
	s_delay_alu instid0(VALU_DEP_3) | instskip(NEXT) | instid1(VALU_DEP_1)
	v_clz_i32_u32_e32 v56, v56
	v_min_u32_e32 v58, 32, v56
	s_delay_alu instid0(VALU_DEP_1) | instskip(NEXT) | instid1(VALU_DEP_1)
	v_subrev_nc_u32_e32 v56, 28, v58
	v_lshlrev_b64_e32 v[56:57], v56, v[1:2]
	v_sub_nc_u32_e32 v57, 29, v58
	s_delay_alu instid0(VALU_DEP_2)
	v_and_b32_e32 v56, 7, v56
; %bb.279:                              ;   in Loop: Header=BB250_13 Depth=1
	s_or_b32 exec_lo, exec_lo, s45
	v_lshlrev_b32_e32 v58, 8, v1
	s_delay_alu instid0(VALU_DEP_3) | instskip(NEXT) | instid1(VALU_DEP_3)
	v_lshl_add_u32 v57, v57, 10, 0x2000
	v_lshlrev_b32_e32 v56, 7, v56
	s_delay_alu instid0(VALU_DEP_3) | instskip(NEXT) | instid1(VALU_DEP_3)
	v_and_b32_e32 v58, 0x8000, v58
	v_and_b32_e32 v57, 0xfc00, v57
	s_delay_alu instid0(VALU_DEP_1)
	v_or3_b32 v56, v58, v57, v56
.LBB250_280:                            ;   in Loop: Header=BB250_13 Depth=1
	s_or_b32 exec_lo, exec_lo, s44
.LBB250_281:                            ;   in Loop: Header=BB250_13 Depth=1
	s_wait_alu 0xfffe
	s_or_b32 exec_lo, exec_lo, s43
.LBB250_282:                            ;   in Loop: Header=BB250_13 Depth=1
	s_wait_alu 0xfffe
	s_or_b32 exec_lo, exec_lo, s42
	v_lshrrev_b16 v1, 8, v1
	s_mov_b32 s42, exec_lo
	s_delay_alu instid0(VALU_DEP_1)
	v_cmpx_ne_u16_e32 0, v1
	s_cbranch_execz .LBB250_290
; %bb.283:                              ;   in Loop: Header=BB250_13 Depth=1
	v_bfrev_b32_e32 v55, 1
	s_mov_b32 s43, exec_lo
	v_cmpx_ne_u16_e32 0x80, v1
	s_cbranch_execz .LBB250_289
; %bb.284:                              ;   in Loop: Header=BB250_13 Depth=1
	v_and_b32_e32 v57, 0xffff, v1
	v_mov_b32_e32 v55, 0x7c010000
	s_mov_b32 s44, exec_lo
	s_delay_alu instid0(VALU_DEP_2) | instskip(NEXT) | instid1(VALU_DEP_1)
	v_and_b32_e32 v59, 0x7f, v57
	v_cmpx_ne_u32_e32 0x7f, v59
	s_cbranch_execz .LBB250_288
; %bb.285:                              ;   in Loop: Header=BB250_13 Depth=1
	v_and_b32_e32 v55, 7, v57
	v_lshrrev_b32_e32 v58, 3, v59
	s_mov_b32 s45, exec_lo
	v_cmpx_gt_u32_e32 8, v59
; %bb.286:                              ;   in Loop: Header=BB250_13 Depth=1
	s_delay_alu instid0(VALU_DEP_3) | instskip(NEXT) | instid1(VALU_DEP_1)
	v_clz_i32_u32_e32 v55, v55
	v_min_u32_e32 v55, 32, v55
	s_delay_alu instid0(VALU_DEP_1) | instskip(NEXT) | instid1(VALU_DEP_1)
	v_subrev_nc_u32_e32 v58, 28, v55
	v_lshlrev_b64_e32 v[59:60], v58, v[1:2]
	v_sub_nc_u32_e32 v58, 29, v55
	s_delay_alu instid0(VALU_DEP_2)
	v_and_b32_e32 v55, 7, v59
; %bb.287:                              ;   in Loop: Header=BB250_13 Depth=1
	s_or_b32 exec_lo, exec_lo, s45
	v_lshlrev_b32_e32 v1, 8, v57
	s_delay_alu instid0(VALU_DEP_3) | instskip(NEXT) | instid1(VALU_DEP_3)
	v_lshl_add_u32 v57, v58, 10, 0x2000
	v_lshlrev_b32_e32 v55, 23, v55
	s_delay_alu instid0(VALU_DEP_2) | instskip(NEXT) | instid1(VALU_DEP_1)
	v_and_or_b32 v1, 0x8000, v1, v57
	v_lshl_or_b32 v55, v1, 16, v55
.LBB250_288:                            ;   in Loop: Header=BB250_13 Depth=1
	s_or_b32 exec_lo, exec_lo, s44
.LBB250_289:                            ;   in Loop: Header=BB250_13 Depth=1
	s_wait_alu 0xfffe
	s_or_b32 exec_lo, exec_lo, s43
.LBB250_290:                            ;   in Loop: Header=BB250_13 Depth=1
	s_wait_alu 0xfffe
	s_or_b32 exec_lo, exec_lo, s42
	global_load_u16 v1, v[7:8], off offset:1032
	s_wait_loadcnt 0x0
	v_dual_mov_b32 v57, 0 :: v_dual_and_b32 v58, 0xff, v1
	v_and_b32_e32 v1, 0xffff, v1
	s_delay_alu instid0(VALU_DEP_2)
	v_cmp_ne_u16_e64 s4, 0, v58
	v_mov_b32_e32 v58, 0
	s_and_saveexec_b32 s42, s4
	s_cbranch_execz .LBB250_298
; %bb.291:                              ;   in Loop: Header=BB250_13 Depth=1
	v_and_b32_e32 v58, 0xff, v1
	s_delay_alu instid0(VALU_DEP_1)
	v_cmp_ne_u16_e64 s4, 0x80, v58
	v_mov_b32_e32 v58, 0x8000
	s_and_saveexec_b32 s43, s4
	s_cbranch_execz .LBB250_297
; %bb.292:                              ;   in Loop: Header=BB250_13 Depth=1
	v_and_b32_e32 v60, 0x7f, v1
	v_mov_b32_e32 v58, 0x7c01
	s_mov_b32 s44, exec_lo
	s_delay_alu instid0(VALU_DEP_2)
	v_cmpx_ne_u32_e32 0x7f, v60
	s_cbranch_execz .LBB250_296
; %bb.293:                              ;   in Loop: Header=BB250_13 Depth=1
	v_and_b32_e32 v58, 7, v1
	v_lshrrev_b32_e32 v59, 3, v60
	s_mov_b32 s45, exec_lo
	v_cmpx_gt_u32_e32 8, v60
; %bb.294:                              ;   in Loop: Header=BB250_13 Depth=1
	s_delay_alu instid0(VALU_DEP_3) | instskip(NEXT) | instid1(VALU_DEP_1)
	v_clz_i32_u32_e32 v58, v58
	v_min_u32_e32 v60, 32, v58
	s_delay_alu instid0(VALU_DEP_1) | instskip(NEXT) | instid1(VALU_DEP_1)
	v_subrev_nc_u32_e32 v58, 28, v60
	v_lshlrev_b64_e32 v[58:59], v58, v[1:2]
	v_sub_nc_u32_e32 v59, 29, v60
	s_delay_alu instid0(VALU_DEP_2)
	v_and_b32_e32 v58, 7, v58
; %bb.295:                              ;   in Loop: Header=BB250_13 Depth=1
	s_or_b32 exec_lo, exec_lo, s45
	v_lshlrev_b32_e32 v60, 8, v1
	s_delay_alu instid0(VALU_DEP_3) | instskip(NEXT) | instid1(VALU_DEP_3)
	v_lshl_add_u32 v59, v59, 10, 0x2000
	v_lshlrev_b32_e32 v58, 7, v58
	s_delay_alu instid0(VALU_DEP_3) | instskip(NEXT) | instid1(VALU_DEP_3)
	v_and_b32_e32 v60, 0x8000, v60
	v_and_b32_e32 v59, 0xfc00, v59
	s_delay_alu instid0(VALU_DEP_1)
	v_or3_b32 v58, v60, v59, v58
.LBB250_296:                            ;   in Loop: Header=BB250_13 Depth=1
	s_or_b32 exec_lo, exec_lo, s44
.LBB250_297:                            ;   in Loop: Header=BB250_13 Depth=1
	s_wait_alu 0xfffe
	s_or_b32 exec_lo, exec_lo, s43
.LBB250_298:                            ;   in Loop: Header=BB250_13 Depth=1
	s_wait_alu 0xfffe
	s_or_b32 exec_lo, exec_lo, s42
	v_lshrrev_b16 v1, 8, v1
	s_mov_b32 s42, exec_lo
	s_delay_alu instid0(VALU_DEP_1)
	v_cmpx_ne_u16_e32 0, v1
	s_cbranch_execz .LBB250_306
; %bb.299:                              ;   in Loop: Header=BB250_13 Depth=1
	v_bfrev_b32_e32 v57, 1
	s_mov_b32 s43, exec_lo
	v_cmpx_ne_u16_e32 0x80, v1
	s_cbranch_execz .LBB250_305
; %bb.300:                              ;   in Loop: Header=BB250_13 Depth=1
	v_and_b32_e32 v59, 0xffff, v1
	v_mov_b32_e32 v57, 0x7c010000
	s_mov_b32 s44, exec_lo
	s_delay_alu instid0(VALU_DEP_2) | instskip(NEXT) | instid1(VALU_DEP_1)
	v_and_b32_e32 v61, 0x7f, v59
	v_cmpx_ne_u32_e32 0x7f, v61
	s_cbranch_execz .LBB250_304
; %bb.301:                              ;   in Loop: Header=BB250_13 Depth=1
	v_and_b32_e32 v57, 7, v59
	v_lshrrev_b32_e32 v60, 3, v61
	s_mov_b32 s45, exec_lo
	v_cmpx_gt_u32_e32 8, v61
; %bb.302:                              ;   in Loop: Header=BB250_13 Depth=1
	s_delay_alu instid0(VALU_DEP_3) | instskip(NEXT) | instid1(VALU_DEP_1)
	v_clz_i32_u32_e32 v57, v57
	v_min_u32_e32 v57, 32, v57
	s_delay_alu instid0(VALU_DEP_1) | instskip(NEXT) | instid1(VALU_DEP_1)
	v_subrev_nc_u32_e32 v60, 28, v57
	v_lshlrev_b64_e32 v[61:62], v60, v[1:2]
	v_sub_nc_u32_e32 v60, 29, v57
	s_delay_alu instid0(VALU_DEP_2)
	v_and_b32_e32 v57, 7, v61
; %bb.303:                              ;   in Loop: Header=BB250_13 Depth=1
	s_or_b32 exec_lo, exec_lo, s45
	v_lshlrev_b32_e32 v1, 8, v59
	s_delay_alu instid0(VALU_DEP_3) | instskip(NEXT) | instid1(VALU_DEP_3)
	v_lshl_add_u32 v59, v60, 10, 0x2000
	v_lshlrev_b32_e32 v57, 23, v57
	s_delay_alu instid0(VALU_DEP_2) | instskip(NEXT) | instid1(VALU_DEP_1)
	v_and_or_b32 v1, 0x8000, v1, v59
	v_lshl_or_b32 v57, v1, 16, v57
.LBB250_304:                            ;   in Loop: Header=BB250_13 Depth=1
	s_or_b32 exec_lo, exec_lo, s44
.LBB250_305:                            ;   in Loop: Header=BB250_13 Depth=1
	s_wait_alu 0xfffe
	s_or_b32 exec_lo, exec_lo, s43
.LBB250_306:                            ;   in Loop: Header=BB250_13 Depth=1
	s_wait_alu 0xfffe
	s_or_b32 exec_lo, exec_lo, s42
	global_load_u16 v1, v[7:8], off offset:1152
	s_wait_loadcnt 0x0
	v_dual_mov_b32 v59, 0 :: v_dual_and_b32 v60, 0xff, v1
	v_and_b32_e32 v1, 0xffff, v1
	s_delay_alu instid0(VALU_DEP_2)
	v_cmp_ne_u16_e64 s4, 0, v60
	v_mov_b32_e32 v60, 0
	s_and_saveexec_b32 s42, s4
	s_cbranch_execz .LBB250_314
; %bb.307:                              ;   in Loop: Header=BB250_13 Depth=1
	v_and_b32_e32 v60, 0xff, v1
	s_delay_alu instid0(VALU_DEP_1)
	v_cmp_ne_u16_e64 s4, 0x80, v60
	v_mov_b32_e32 v60, 0x8000
	s_and_saveexec_b32 s43, s4
	s_cbranch_execz .LBB250_313
; %bb.308:                              ;   in Loop: Header=BB250_13 Depth=1
	v_and_b32_e32 v62, 0x7f, v1
	v_mov_b32_e32 v60, 0x7c01
	s_mov_b32 s44, exec_lo
	s_delay_alu instid0(VALU_DEP_2)
	v_cmpx_ne_u32_e32 0x7f, v62
	s_cbranch_execz .LBB250_312
; %bb.309:                              ;   in Loop: Header=BB250_13 Depth=1
	v_and_b32_e32 v60, 7, v1
	v_lshrrev_b32_e32 v61, 3, v62
	s_mov_b32 s45, exec_lo
	v_cmpx_gt_u32_e32 8, v62
; %bb.310:                              ;   in Loop: Header=BB250_13 Depth=1
	s_delay_alu instid0(VALU_DEP_3) | instskip(NEXT) | instid1(VALU_DEP_1)
	v_clz_i32_u32_e32 v60, v60
	v_min_u32_e32 v62, 32, v60
	s_delay_alu instid0(VALU_DEP_1) | instskip(NEXT) | instid1(VALU_DEP_1)
	v_subrev_nc_u32_e32 v60, 28, v62
	v_lshlrev_b64_e32 v[60:61], v60, v[1:2]
	v_sub_nc_u32_e32 v61, 29, v62
	s_delay_alu instid0(VALU_DEP_2)
	v_and_b32_e32 v60, 7, v60
; %bb.311:                              ;   in Loop: Header=BB250_13 Depth=1
	s_or_b32 exec_lo, exec_lo, s45
	v_lshlrev_b32_e32 v62, 8, v1
	s_delay_alu instid0(VALU_DEP_3) | instskip(NEXT) | instid1(VALU_DEP_3)
	v_lshl_add_u32 v61, v61, 10, 0x2000
	v_lshlrev_b32_e32 v60, 7, v60
	s_delay_alu instid0(VALU_DEP_3) | instskip(NEXT) | instid1(VALU_DEP_3)
	v_and_b32_e32 v62, 0x8000, v62
	v_and_b32_e32 v61, 0xfc00, v61
	s_delay_alu instid0(VALU_DEP_1)
	v_or3_b32 v60, v62, v61, v60
.LBB250_312:                            ;   in Loop: Header=BB250_13 Depth=1
	s_or_b32 exec_lo, exec_lo, s44
.LBB250_313:                            ;   in Loop: Header=BB250_13 Depth=1
	s_wait_alu 0xfffe
	s_or_b32 exec_lo, exec_lo, s43
.LBB250_314:                            ;   in Loop: Header=BB250_13 Depth=1
	s_wait_alu 0xfffe
	s_or_b32 exec_lo, exec_lo, s42
	v_lshrrev_b16 v1, 8, v1
	s_mov_b32 s42, exec_lo
	s_delay_alu instid0(VALU_DEP_1)
	v_cmpx_ne_u16_e32 0, v1
	s_cbranch_execz .LBB250_322
; %bb.315:                              ;   in Loop: Header=BB250_13 Depth=1
	v_bfrev_b32_e32 v59, 1
	s_mov_b32 s43, exec_lo
	v_cmpx_ne_u16_e32 0x80, v1
	s_cbranch_execz .LBB250_321
; %bb.316:                              ;   in Loop: Header=BB250_13 Depth=1
	v_and_b32_e32 v61, 0xffff, v1
	v_mov_b32_e32 v59, 0x7c010000
	s_mov_b32 s44, exec_lo
	s_delay_alu instid0(VALU_DEP_2) | instskip(NEXT) | instid1(VALU_DEP_1)
	v_and_b32_e32 v63, 0x7f, v61
	v_cmpx_ne_u32_e32 0x7f, v63
	s_cbranch_execz .LBB250_320
; %bb.317:                              ;   in Loop: Header=BB250_13 Depth=1
	v_and_b32_e32 v59, 7, v61
	v_lshrrev_b32_e32 v62, 3, v63
	s_mov_b32 s45, exec_lo
	v_cmpx_gt_u32_e32 8, v63
; %bb.318:                              ;   in Loop: Header=BB250_13 Depth=1
	s_delay_alu instid0(VALU_DEP_3) | instskip(NEXT) | instid1(VALU_DEP_1)
	v_clz_i32_u32_e32 v59, v59
	v_min_u32_e32 v59, 32, v59
	s_delay_alu instid0(VALU_DEP_1) | instskip(NEXT) | instid1(VALU_DEP_1)
	v_subrev_nc_u32_e32 v62, 28, v59
	v_lshlrev_b64_e32 v[63:64], v62, v[1:2]
	v_sub_nc_u32_e32 v62, 29, v59
	s_delay_alu instid0(VALU_DEP_2)
	v_and_b32_e32 v59, 7, v63
; %bb.319:                              ;   in Loop: Header=BB250_13 Depth=1
	s_or_b32 exec_lo, exec_lo, s45
	v_lshlrev_b32_e32 v1, 8, v61
	s_delay_alu instid0(VALU_DEP_3) | instskip(NEXT) | instid1(VALU_DEP_3)
	v_lshl_add_u32 v61, v62, 10, 0x2000
	v_lshlrev_b32_e32 v59, 23, v59
	s_delay_alu instid0(VALU_DEP_2) | instskip(NEXT) | instid1(VALU_DEP_1)
	v_and_or_b32 v1, 0x8000, v1, v61
	v_lshl_or_b32 v59, v1, 16, v59
.LBB250_320:                            ;   in Loop: Header=BB250_13 Depth=1
	s_or_b32 exec_lo, exec_lo, s44
.LBB250_321:                            ;   in Loop: Header=BB250_13 Depth=1
	s_wait_alu 0xfffe
	s_or_b32 exec_lo, exec_lo, s43
.LBB250_322:                            ;   in Loop: Header=BB250_13 Depth=1
	s_wait_alu 0xfffe
	s_or_b32 exec_lo, exec_lo, s42
	global_load_u16 v1, v[7:8], off offset:1160
	s_wait_loadcnt 0x0
	v_dual_mov_b32 v61, 0 :: v_dual_and_b32 v62, 0xff, v1
	v_and_b32_e32 v1, 0xffff, v1
	s_delay_alu instid0(VALU_DEP_2)
	v_cmp_ne_u16_e64 s4, 0, v62
	v_mov_b32_e32 v62, 0
	s_and_saveexec_b32 s42, s4
	s_cbranch_execz .LBB250_330
; %bb.323:                              ;   in Loop: Header=BB250_13 Depth=1
	v_and_b32_e32 v62, 0xff, v1
	s_delay_alu instid0(VALU_DEP_1)
	v_cmp_ne_u16_e64 s4, 0x80, v62
	v_mov_b32_e32 v62, 0x8000
	s_and_saveexec_b32 s43, s4
	s_cbranch_execz .LBB250_329
; %bb.324:                              ;   in Loop: Header=BB250_13 Depth=1
	v_and_b32_e32 v64, 0x7f, v1
	v_mov_b32_e32 v62, 0x7c01
	s_mov_b32 s44, exec_lo
	s_delay_alu instid0(VALU_DEP_2)
	v_cmpx_ne_u32_e32 0x7f, v64
	s_cbranch_execz .LBB250_328
; %bb.325:                              ;   in Loop: Header=BB250_13 Depth=1
	v_and_b32_e32 v62, 7, v1
	v_lshrrev_b32_e32 v63, 3, v64
	s_mov_b32 s45, exec_lo
	v_cmpx_gt_u32_e32 8, v64
; %bb.326:                              ;   in Loop: Header=BB250_13 Depth=1
	s_delay_alu instid0(VALU_DEP_3) | instskip(NEXT) | instid1(VALU_DEP_1)
	v_clz_i32_u32_e32 v62, v62
	v_min_u32_e32 v64, 32, v62
	s_delay_alu instid0(VALU_DEP_1) | instskip(NEXT) | instid1(VALU_DEP_1)
	v_subrev_nc_u32_e32 v62, 28, v64
	v_lshlrev_b64_e32 v[62:63], v62, v[1:2]
	v_sub_nc_u32_e32 v63, 29, v64
	s_delay_alu instid0(VALU_DEP_2)
	v_and_b32_e32 v62, 7, v62
; %bb.327:                              ;   in Loop: Header=BB250_13 Depth=1
	s_or_b32 exec_lo, exec_lo, s45
	v_lshlrev_b32_e32 v64, 8, v1
	s_delay_alu instid0(VALU_DEP_3) | instskip(NEXT) | instid1(VALU_DEP_3)
	v_lshl_add_u32 v63, v63, 10, 0x2000
	v_lshlrev_b32_e32 v62, 7, v62
	s_delay_alu instid0(VALU_DEP_3) | instskip(NEXT) | instid1(VALU_DEP_3)
	v_and_b32_e32 v64, 0x8000, v64
	v_and_b32_e32 v63, 0xfc00, v63
	s_delay_alu instid0(VALU_DEP_1)
	v_or3_b32 v62, v64, v63, v62
.LBB250_328:                            ;   in Loop: Header=BB250_13 Depth=1
	s_or_b32 exec_lo, exec_lo, s44
.LBB250_329:                            ;   in Loop: Header=BB250_13 Depth=1
	s_wait_alu 0xfffe
	s_or_b32 exec_lo, exec_lo, s43
.LBB250_330:                            ;   in Loop: Header=BB250_13 Depth=1
	s_wait_alu 0xfffe
	s_or_b32 exec_lo, exec_lo, s42
	v_lshrrev_b16 v1, 8, v1
	s_mov_b32 s42, exec_lo
	s_delay_alu instid0(VALU_DEP_1)
	v_cmpx_ne_u16_e32 0, v1
	s_cbranch_execz .LBB250_338
; %bb.331:                              ;   in Loop: Header=BB250_13 Depth=1
	v_bfrev_b32_e32 v61, 1
	s_mov_b32 s43, exec_lo
	v_cmpx_ne_u16_e32 0x80, v1
	s_cbranch_execz .LBB250_337
; %bb.332:                              ;   in Loop: Header=BB250_13 Depth=1
	v_and_b32_e32 v63, 0xffff, v1
	v_mov_b32_e32 v61, 0x7c010000
	s_mov_b32 s44, exec_lo
	s_delay_alu instid0(VALU_DEP_2) | instskip(NEXT) | instid1(VALU_DEP_1)
	v_and_b32_e32 v65, 0x7f, v63
	v_cmpx_ne_u32_e32 0x7f, v65
	s_cbranch_execz .LBB250_336
; %bb.333:                              ;   in Loop: Header=BB250_13 Depth=1
	v_and_b32_e32 v61, 7, v63
	v_lshrrev_b32_e32 v64, 3, v65
	s_mov_b32 s45, exec_lo
	v_cmpx_gt_u32_e32 8, v65
; %bb.334:                              ;   in Loop: Header=BB250_13 Depth=1
	s_delay_alu instid0(VALU_DEP_3) | instskip(NEXT) | instid1(VALU_DEP_1)
	v_clz_i32_u32_e32 v61, v61
	v_min_u32_e32 v61, 32, v61
	s_delay_alu instid0(VALU_DEP_1) | instskip(NEXT) | instid1(VALU_DEP_1)
	v_subrev_nc_u32_e32 v64, 28, v61
	v_lshlrev_b64_e32 v[65:66], v64, v[1:2]
	v_sub_nc_u32_e32 v64, 29, v61
	s_delay_alu instid0(VALU_DEP_2)
	v_and_b32_e32 v61, 7, v65
; %bb.335:                              ;   in Loop: Header=BB250_13 Depth=1
	s_or_b32 exec_lo, exec_lo, s45
	v_lshlrev_b32_e32 v1, 8, v63
	s_delay_alu instid0(VALU_DEP_3) | instskip(NEXT) | instid1(VALU_DEP_3)
	v_lshl_add_u32 v63, v64, 10, 0x2000
	v_lshlrev_b32_e32 v61, 23, v61
	s_delay_alu instid0(VALU_DEP_2) | instskip(NEXT) | instid1(VALU_DEP_1)
	v_and_or_b32 v1, 0x8000, v1, v63
	v_lshl_or_b32 v61, v1, 16, v61
.LBB250_336:                            ;   in Loop: Header=BB250_13 Depth=1
	s_or_b32 exec_lo, exec_lo, s44
.LBB250_337:                            ;   in Loop: Header=BB250_13 Depth=1
	s_wait_alu 0xfffe
	s_or_b32 exec_lo, exec_lo, s43
.LBB250_338:                            ;   in Loop: Header=BB250_13 Depth=1
	s_wait_alu 0xfffe
	s_or_b32 exec_lo, exec_lo, s42
	global_load_u16 v1, v[7:8], off offset:1280
	s_wait_loadcnt 0x0
	v_dual_mov_b32 v63, 0 :: v_dual_and_b32 v64, 0xff, v1
	v_and_b32_e32 v1, 0xffff, v1
	s_delay_alu instid0(VALU_DEP_2)
	v_cmp_ne_u16_e64 s4, 0, v64
	v_mov_b32_e32 v64, 0
	s_and_saveexec_b32 s42, s4
	s_cbranch_execz .LBB250_346
; %bb.339:                              ;   in Loop: Header=BB250_13 Depth=1
	v_and_b32_e32 v64, 0xff, v1
	s_delay_alu instid0(VALU_DEP_1)
	v_cmp_ne_u16_e64 s4, 0x80, v64
	v_mov_b32_e32 v64, 0x8000
	s_and_saveexec_b32 s43, s4
	s_cbranch_execz .LBB250_345
; %bb.340:                              ;   in Loop: Header=BB250_13 Depth=1
	v_and_b32_e32 v66, 0x7f, v1
	v_mov_b32_e32 v64, 0x7c01
	s_mov_b32 s44, exec_lo
	s_delay_alu instid0(VALU_DEP_2)
	v_cmpx_ne_u32_e32 0x7f, v66
	s_cbranch_execz .LBB250_344
; %bb.341:                              ;   in Loop: Header=BB250_13 Depth=1
	v_and_b32_e32 v64, 7, v1
	v_lshrrev_b32_e32 v65, 3, v66
	s_mov_b32 s45, exec_lo
	v_cmpx_gt_u32_e32 8, v66
; %bb.342:                              ;   in Loop: Header=BB250_13 Depth=1
	s_delay_alu instid0(VALU_DEP_3) | instskip(NEXT) | instid1(VALU_DEP_1)
	v_clz_i32_u32_e32 v64, v64
	v_min_u32_e32 v66, 32, v64
	s_delay_alu instid0(VALU_DEP_1) | instskip(NEXT) | instid1(VALU_DEP_1)
	v_subrev_nc_u32_e32 v64, 28, v66
	v_lshlrev_b64_e32 v[64:65], v64, v[1:2]
	v_sub_nc_u32_e32 v65, 29, v66
	s_delay_alu instid0(VALU_DEP_2)
	v_and_b32_e32 v64, 7, v64
; %bb.343:                              ;   in Loop: Header=BB250_13 Depth=1
	s_or_b32 exec_lo, exec_lo, s45
	v_lshlrev_b32_e32 v66, 8, v1
	s_delay_alu instid0(VALU_DEP_3) | instskip(NEXT) | instid1(VALU_DEP_3)
	v_lshl_add_u32 v65, v65, 10, 0x2000
	v_lshlrev_b32_e32 v64, 7, v64
	s_delay_alu instid0(VALU_DEP_3) | instskip(NEXT) | instid1(VALU_DEP_3)
	v_and_b32_e32 v66, 0x8000, v66
	v_and_b32_e32 v65, 0xfc00, v65
	s_delay_alu instid0(VALU_DEP_1)
	v_or3_b32 v64, v66, v65, v64
.LBB250_344:                            ;   in Loop: Header=BB250_13 Depth=1
	s_or_b32 exec_lo, exec_lo, s44
.LBB250_345:                            ;   in Loop: Header=BB250_13 Depth=1
	s_wait_alu 0xfffe
	s_or_b32 exec_lo, exec_lo, s43
.LBB250_346:                            ;   in Loop: Header=BB250_13 Depth=1
	s_wait_alu 0xfffe
	s_or_b32 exec_lo, exec_lo, s42
	v_lshrrev_b16 v1, 8, v1
	s_mov_b32 s42, exec_lo
	s_delay_alu instid0(VALU_DEP_1)
	v_cmpx_ne_u16_e32 0, v1
	s_cbranch_execz .LBB250_354
; %bb.347:                              ;   in Loop: Header=BB250_13 Depth=1
	v_bfrev_b32_e32 v63, 1
	s_mov_b32 s43, exec_lo
	v_cmpx_ne_u16_e32 0x80, v1
	s_cbranch_execz .LBB250_353
; %bb.348:                              ;   in Loop: Header=BB250_13 Depth=1
	v_and_b32_e32 v65, 0xffff, v1
	v_mov_b32_e32 v63, 0x7c010000
	s_mov_b32 s44, exec_lo
	s_delay_alu instid0(VALU_DEP_2) | instskip(NEXT) | instid1(VALU_DEP_1)
	v_and_b32_e32 v67, 0x7f, v65
	v_cmpx_ne_u32_e32 0x7f, v67
	s_cbranch_execz .LBB250_352
; %bb.349:                              ;   in Loop: Header=BB250_13 Depth=1
	v_and_b32_e32 v63, 7, v65
	v_lshrrev_b32_e32 v66, 3, v67
	s_mov_b32 s45, exec_lo
	v_cmpx_gt_u32_e32 8, v67
; %bb.350:                              ;   in Loop: Header=BB250_13 Depth=1
	s_delay_alu instid0(VALU_DEP_3) | instskip(NEXT) | instid1(VALU_DEP_1)
	v_clz_i32_u32_e32 v63, v63
	v_min_u32_e32 v63, 32, v63
	s_delay_alu instid0(VALU_DEP_1) | instskip(NEXT) | instid1(VALU_DEP_1)
	v_subrev_nc_u32_e32 v66, 28, v63
	v_lshlrev_b64_e32 v[67:68], v66, v[1:2]
	v_sub_nc_u32_e32 v66, 29, v63
	s_delay_alu instid0(VALU_DEP_2)
	v_and_b32_e32 v63, 7, v67
; %bb.351:                              ;   in Loop: Header=BB250_13 Depth=1
	s_or_b32 exec_lo, exec_lo, s45
	v_lshlrev_b32_e32 v1, 8, v65
	s_delay_alu instid0(VALU_DEP_3) | instskip(NEXT) | instid1(VALU_DEP_3)
	v_lshl_add_u32 v65, v66, 10, 0x2000
	v_lshlrev_b32_e32 v63, 23, v63
	s_delay_alu instid0(VALU_DEP_2) | instskip(NEXT) | instid1(VALU_DEP_1)
	v_and_or_b32 v1, 0x8000, v1, v65
	v_lshl_or_b32 v63, v1, 16, v63
.LBB250_352:                            ;   in Loop: Header=BB250_13 Depth=1
	s_or_b32 exec_lo, exec_lo, s44
.LBB250_353:                            ;   in Loop: Header=BB250_13 Depth=1
	s_wait_alu 0xfffe
	s_or_b32 exec_lo, exec_lo, s43
.LBB250_354:                            ;   in Loop: Header=BB250_13 Depth=1
	s_wait_alu 0xfffe
	s_or_b32 exec_lo, exec_lo, s42
	global_load_u16 v1, v[7:8], off offset:1288
	s_wait_loadcnt 0x0
	v_dual_mov_b32 v65, 0 :: v_dual_and_b32 v66, 0xff, v1
	v_and_b32_e32 v1, 0xffff, v1
	s_delay_alu instid0(VALU_DEP_2)
	v_cmp_ne_u16_e64 s4, 0, v66
	v_mov_b32_e32 v66, 0
	s_and_saveexec_b32 s42, s4
	s_cbranch_execz .LBB250_362
; %bb.355:                              ;   in Loop: Header=BB250_13 Depth=1
	v_and_b32_e32 v66, 0xff, v1
	s_delay_alu instid0(VALU_DEP_1)
	v_cmp_ne_u16_e64 s4, 0x80, v66
	v_mov_b32_e32 v66, 0x8000
	s_and_saveexec_b32 s43, s4
	s_cbranch_execz .LBB250_361
; %bb.356:                              ;   in Loop: Header=BB250_13 Depth=1
	v_and_b32_e32 v68, 0x7f, v1
	v_mov_b32_e32 v66, 0x7c01
	s_mov_b32 s44, exec_lo
	s_delay_alu instid0(VALU_DEP_2)
	v_cmpx_ne_u32_e32 0x7f, v68
	s_cbranch_execz .LBB250_360
; %bb.357:                              ;   in Loop: Header=BB250_13 Depth=1
	v_and_b32_e32 v66, 7, v1
	v_lshrrev_b32_e32 v67, 3, v68
	s_mov_b32 s45, exec_lo
	v_cmpx_gt_u32_e32 8, v68
; %bb.358:                              ;   in Loop: Header=BB250_13 Depth=1
	s_delay_alu instid0(VALU_DEP_3) | instskip(NEXT) | instid1(VALU_DEP_1)
	v_clz_i32_u32_e32 v66, v66
	v_min_u32_e32 v68, 32, v66
	s_delay_alu instid0(VALU_DEP_1) | instskip(NEXT) | instid1(VALU_DEP_1)
	v_subrev_nc_u32_e32 v66, 28, v68
	v_lshlrev_b64_e32 v[66:67], v66, v[1:2]
	v_sub_nc_u32_e32 v67, 29, v68
	s_delay_alu instid0(VALU_DEP_2)
	v_and_b32_e32 v66, 7, v66
; %bb.359:                              ;   in Loop: Header=BB250_13 Depth=1
	s_or_b32 exec_lo, exec_lo, s45
	v_lshlrev_b32_e32 v68, 8, v1
	s_delay_alu instid0(VALU_DEP_3) | instskip(NEXT) | instid1(VALU_DEP_3)
	v_lshl_add_u32 v67, v67, 10, 0x2000
	v_lshlrev_b32_e32 v66, 7, v66
	s_delay_alu instid0(VALU_DEP_3) | instskip(NEXT) | instid1(VALU_DEP_3)
	v_and_b32_e32 v68, 0x8000, v68
	v_and_b32_e32 v67, 0xfc00, v67
	s_delay_alu instid0(VALU_DEP_1)
	v_or3_b32 v66, v68, v67, v66
.LBB250_360:                            ;   in Loop: Header=BB250_13 Depth=1
	s_or_b32 exec_lo, exec_lo, s44
.LBB250_361:                            ;   in Loop: Header=BB250_13 Depth=1
	s_wait_alu 0xfffe
	s_or_b32 exec_lo, exec_lo, s43
.LBB250_362:                            ;   in Loop: Header=BB250_13 Depth=1
	s_wait_alu 0xfffe
	s_or_b32 exec_lo, exec_lo, s42
	v_lshrrev_b16 v1, 8, v1
	s_mov_b32 s42, exec_lo
	s_delay_alu instid0(VALU_DEP_1)
	v_cmpx_ne_u16_e32 0, v1
	s_cbranch_execz .LBB250_370
; %bb.363:                              ;   in Loop: Header=BB250_13 Depth=1
	v_bfrev_b32_e32 v65, 1
	s_mov_b32 s43, exec_lo
	v_cmpx_ne_u16_e32 0x80, v1
	s_cbranch_execz .LBB250_369
; %bb.364:                              ;   in Loop: Header=BB250_13 Depth=1
	v_and_b32_e32 v67, 0xffff, v1
	v_mov_b32_e32 v65, 0x7c010000
	s_mov_b32 s44, exec_lo
	s_delay_alu instid0(VALU_DEP_2) | instskip(NEXT) | instid1(VALU_DEP_1)
	v_and_b32_e32 v69, 0x7f, v67
	v_cmpx_ne_u32_e32 0x7f, v69
	s_cbranch_execz .LBB250_368
; %bb.365:                              ;   in Loop: Header=BB250_13 Depth=1
	v_and_b32_e32 v65, 7, v67
	v_lshrrev_b32_e32 v68, 3, v69
	s_mov_b32 s45, exec_lo
	v_cmpx_gt_u32_e32 8, v69
; %bb.366:                              ;   in Loop: Header=BB250_13 Depth=1
	s_delay_alu instid0(VALU_DEP_3) | instskip(NEXT) | instid1(VALU_DEP_1)
	v_clz_i32_u32_e32 v65, v65
	v_min_u32_e32 v65, 32, v65
	s_delay_alu instid0(VALU_DEP_1) | instskip(NEXT) | instid1(VALU_DEP_1)
	v_subrev_nc_u32_e32 v68, 28, v65
	v_lshlrev_b64_e32 v[69:70], v68, v[1:2]
	v_sub_nc_u32_e32 v68, 29, v65
	s_delay_alu instid0(VALU_DEP_2)
	v_and_b32_e32 v65, 7, v69
; %bb.367:                              ;   in Loop: Header=BB250_13 Depth=1
	s_or_b32 exec_lo, exec_lo, s45
	v_lshlrev_b32_e32 v1, 8, v67
	s_delay_alu instid0(VALU_DEP_3) | instskip(NEXT) | instid1(VALU_DEP_3)
	v_lshl_add_u32 v67, v68, 10, 0x2000
	v_lshlrev_b32_e32 v65, 23, v65
	s_delay_alu instid0(VALU_DEP_2) | instskip(NEXT) | instid1(VALU_DEP_1)
	v_and_or_b32 v1, 0x8000, v1, v67
	v_lshl_or_b32 v65, v1, 16, v65
.LBB250_368:                            ;   in Loop: Header=BB250_13 Depth=1
	s_or_b32 exec_lo, exec_lo, s44
.LBB250_369:                            ;   in Loop: Header=BB250_13 Depth=1
	s_wait_alu 0xfffe
	s_or_b32 exec_lo, exec_lo, s43
.LBB250_370:                            ;   in Loop: Header=BB250_13 Depth=1
	s_wait_alu 0xfffe
	s_or_b32 exec_lo, exec_lo, s42
	global_load_u16 v1, v[7:8], off offset:1408
	s_wait_loadcnt 0x0
	v_dual_mov_b32 v67, 0 :: v_dual_and_b32 v68, 0xff, v1
	v_and_b32_e32 v1, 0xffff, v1
	s_delay_alu instid0(VALU_DEP_2)
	v_cmp_ne_u16_e64 s4, 0, v68
	v_mov_b32_e32 v68, 0
	s_and_saveexec_b32 s42, s4
	s_cbranch_execz .LBB250_378
; %bb.371:                              ;   in Loop: Header=BB250_13 Depth=1
	v_and_b32_e32 v68, 0xff, v1
	s_delay_alu instid0(VALU_DEP_1)
	v_cmp_ne_u16_e64 s4, 0x80, v68
	v_mov_b32_e32 v68, 0x8000
	s_and_saveexec_b32 s43, s4
	s_cbranch_execz .LBB250_377
; %bb.372:                              ;   in Loop: Header=BB250_13 Depth=1
	v_and_b32_e32 v70, 0x7f, v1
	v_mov_b32_e32 v68, 0x7c01
	s_mov_b32 s44, exec_lo
	s_delay_alu instid0(VALU_DEP_2)
	v_cmpx_ne_u32_e32 0x7f, v70
	s_cbranch_execz .LBB250_376
; %bb.373:                              ;   in Loop: Header=BB250_13 Depth=1
	v_and_b32_e32 v68, 7, v1
	v_lshrrev_b32_e32 v69, 3, v70
	s_mov_b32 s45, exec_lo
	v_cmpx_gt_u32_e32 8, v70
; %bb.374:                              ;   in Loop: Header=BB250_13 Depth=1
	s_delay_alu instid0(VALU_DEP_3) | instskip(NEXT) | instid1(VALU_DEP_1)
	v_clz_i32_u32_e32 v68, v68
	v_min_u32_e32 v70, 32, v68
	s_delay_alu instid0(VALU_DEP_1) | instskip(NEXT) | instid1(VALU_DEP_1)
	v_subrev_nc_u32_e32 v68, 28, v70
	v_lshlrev_b64_e32 v[68:69], v68, v[1:2]
	v_sub_nc_u32_e32 v69, 29, v70
	s_delay_alu instid0(VALU_DEP_2)
	v_and_b32_e32 v68, 7, v68
; %bb.375:                              ;   in Loop: Header=BB250_13 Depth=1
	s_or_b32 exec_lo, exec_lo, s45
	v_lshlrev_b32_e32 v70, 8, v1
	s_delay_alu instid0(VALU_DEP_3) | instskip(NEXT) | instid1(VALU_DEP_3)
	v_lshl_add_u32 v69, v69, 10, 0x2000
	v_lshlrev_b32_e32 v68, 7, v68
	s_delay_alu instid0(VALU_DEP_3) | instskip(NEXT) | instid1(VALU_DEP_3)
	v_and_b32_e32 v70, 0x8000, v70
	v_and_b32_e32 v69, 0xfc00, v69
	s_delay_alu instid0(VALU_DEP_1)
	v_or3_b32 v68, v70, v69, v68
.LBB250_376:                            ;   in Loop: Header=BB250_13 Depth=1
	s_or_b32 exec_lo, exec_lo, s44
.LBB250_377:                            ;   in Loop: Header=BB250_13 Depth=1
	s_wait_alu 0xfffe
	s_or_b32 exec_lo, exec_lo, s43
.LBB250_378:                            ;   in Loop: Header=BB250_13 Depth=1
	s_wait_alu 0xfffe
	s_or_b32 exec_lo, exec_lo, s42
	v_lshrrev_b16 v1, 8, v1
	s_mov_b32 s42, exec_lo
	s_delay_alu instid0(VALU_DEP_1)
	v_cmpx_ne_u16_e32 0, v1
	s_cbranch_execz .LBB250_386
; %bb.379:                              ;   in Loop: Header=BB250_13 Depth=1
	v_bfrev_b32_e32 v67, 1
	s_mov_b32 s43, exec_lo
	v_cmpx_ne_u16_e32 0x80, v1
	s_cbranch_execz .LBB250_385
; %bb.380:                              ;   in Loop: Header=BB250_13 Depth=1
	v_and_b32_e32 v69, 0xffff, v1
	v_mov_b32_e32 v67, 0x7c010000
	s_mov_b32 s44, exec_lo
	s_delay_alu instid0(VALU_DEP_2) | instskip(NEXT) | instid1(VALU_DEP_1)
	v_and_b32_e32 v71, 0x7f, v69
	v_cmpx_ne_u32_e32 0x7f, v71
	s_cbranch_execz .LBB250_384
; %bb.381:                              ;   in Loop: Header=BB250_13 Depth=1
	v_and_b32_e32 v67, 7, v69
	v_lshrrev_b32_e32 v70, 3, v71
	s_mov_b32 s45, exec_lo
	v_cmpx_gt_u32_e32 8, v71
; %bb.382:                              ;   in Loop: Header=BB250_13 Depth=1
	s_delay_alu instid0(VALU_DEP_3) | instskip(NEXT) | instid1(VALU_DEP_1)
	v_clz_i32_u32_e32 v67, v67
	v_min_u32_e32 v67, 32, v67
	s_delay_alu instid0(VALU_DEP_1) | instskip(NEXT) | instid1(VALU_DEP_1)
	v_subrev_nc_u32_e32 v70, 28, v67
	v_lshlrev_b64_e32 v[71:72], v70, v[1:2]
	v_sub_nc_u32_e32 v70, 29, v67
	s_delay_alu instid0(VALU_DEP_2)
	v_and_b32_e32 v67, 7, v71
; %bb.383:                              ;   in Loop: Header=BB250_13 Depth=1
	s_or_b32 exec_lo, exec_lo, s45
	v_lshlrev_b32_e32 v1, 8, v69
	s_delay_alu instid0(VALU_DEP_3) | instskip(NEXT) | instid1(VALU_DEP_3)
	v_lshl_add_u32 v69, v70, 10, 0x2000
	v_lshlrev_b32_e32 v67, 23, v67
	s_delay_alu instid0(VALU_DEP_2) | instskip(NEXT) | instid1(VALU_DEP_1)
	v_and_or_b32 v1, 0x8000, v1, v69
	v_lshl_or_b32 v67, v1, 16, v67
.LBB250_384:                            ;   in Loop: Header=BB250_13 Depth=1
	s_or_b32 exec_lo, exec_lo, s44
.LBB250_385:                            ;   in Loop: Header=BB250_13 Depth=1
	s_wait_alu 0xfffe
	s_or_b32 exec_lo, exec_lo, s43
.LBB250_386:                            ;   in Loop: Header=BB250_13 Depth=1
	s_wait_alu 0xfffe
	s_or_b32 exec_lo, exec_lo, s42
	global_load_u16 v1, v[7:8], off offset:1416
	s_wait_loadcnt 0x0
	v_dual_mov_b32 v7, 0 :: v_dual_and_b32 v8, 0xff, v1
	v_and_b32_e32 v1, 0xffff, v1
	s_delay_alu instid0(VALU_DEP_2)
	v_cmp_ne_u16_e64 s4, 0, v8
	v_mov_b32_e32 v8, 0
	s_and_saveexec_b32 s42, s4
	s_cbranch_execz .LBB250_394
; %bb.387:                              ;   in Loop: Header=BB250_13 Depth=1
	v_and_b32_e32 v8, 0xff, v1
	s_delay_alu instid0(VALU_DEP_1)
	v_cmp_ne_u16_e64 s4, 0x80, v8
	v_mov_b32_e32 v8, 0x8000
	s_and_saveexec_b32 s43, s4
	s_cbranch_execz .LBB250_393
; %bb.388:                              ;   in Loop: Header=BB250_13 Depth=1
	v_and_b32_e32 v70, 0x7f, v1
	v_mov_b32_e32 v8, 0x7c01
	s_mov_b32 s44, exec_lo
	s_delay_alu instid0(VALU_DEP_2)
	v_cmpx_ne_u32_e32 0x7f, v70
	s_cbranch_execz .LBB250_392
; %bb.389:                              ;   in Loop: Header=BB250_13 Depth=1
	v_and_b32_e32 v8, 7, v1
	v_lshrrev_b32_e32 v69, 3, v70
	s_mov_b32 s45, exec_lo
	v_cmpx_gt_u32_e32 8, v70
; %bb.390:                              ;   in Loop: Header=BB250_13 Depth=1
	s_delay_alu instid0(VALU_DEP_3) | instskip(NEXT) | instid1(VALU_DEP_1)
	v_clz_i32_u32_e32 v8, v8
	v_min_u32_e32 v8, 32, v8
	s_delay_alu instid0(VALU_DEP_1) | instskip(NEXT) | instid1(VALU_DEP_1)
	v_subrev_nc_u32_e32 v69, 28, v8
	v_lshlrev_b64_e32 v[70:71], v69, v[1:2]
	v_sub_nc_u32_e32 v69, 29, v8
	s_delay_alu instid0(VALU_DEP_2)
	v_and_b32_e32 v8, 7, v70
; %bb.391:                              ;   in Loop: Header=BB250_13 Depth=1
	s_or_b32 exec_lo, exec_lo, s45
	v_lshlrev_b32_e32 v70, 8, v1
	s_delay_alu instid0(VALU_DEP_3) | instskip(NEXT) | instid1(VALU_DEP_3)
	v_lshl_add_u32 v69, v69, 10, 0x2000
	v_lshlrev_b32_e32 v8, 7, v8
	s_delay_alu instid0(VALU_DEP_3) | instskip(NEXT) | instid1(VALU_DEP_3)
	v_and_b32_e32 v70, 0x8000, v70
	v_and_b32_e32 v69, 0xfc00, v69
	s_delay_alu instid0(VALU_DEP_1)
	v_or3_b32 v8, v70, v69, v8
.LBB250_392:                            ;   in Loop: Header=BB250_13 Depth=1
	s_or_b32 exec_lo, exec_lo, s44
.LBB250_393:                            ;   in Loop: Header=BB250_13 Depth=1
	s_wait_alu 0xfffe
	s_or_b32 exec_lo, exec_lo, s43
.LBB250_394:                            ;   in Loop: Header=BB250_13 Depth=1
	s_wait_alu 0xfffe
	s_or_b32 exec_lo, exec_lo, s42
	v_lshrrev_b16 v1, 8, v1
	s_mov_b32 s42, exec_lo
	s_delay_alu instid0(VALU_DEP_1)
	v_cmpx_ne_u16_e32 0, v1
	s_cbranch_execz .LBB250_402
; %bb.395:                              ;   in Loop: Header=BB250_13 Depth=1
	v_bfrev_b32_e32 v7, 1
	s_mov_b32 s43, exec_lo
	v_cmpx_ne_u16_e32 0x80, v1
	s_cbranch_execz .LBB250_401
; %bb.396:                              ;   in Loop: Header=BB250_13 Depth=1
	v_and_b32_e32 v69, 0xffff, v1
	v_mov_b32_e32 v7, 0x7c010000
	s_mov_b32 s44, exec_lo
	s_delay_alu instid0(VALU_DEP_2) | instskip(NEXT) | instid1(VALU_DEP_1)
	v_and_b32_e32 v71, 0x7f, v69
	v_cmpx_ne_u32_e32 0x7f, v71
	s_cbranch_execz .LBB250_400
; %bb.397:                              ;   in Loop: Header=BB250_13 Depth=1
	v_and_b32_e32 v7, 7, v69
	v_lshrrev_b32_e32 v70, 3, v71
	s_mov_b32 s45, exec_lo
	v_cmpx_gt_u32_e32 8, v71
; %bb.398:                              ;   in Loop: Header=BB250_13 Depth=1
	s_delay_alu instid0(VALU_DEP_3) | instskip(NEXT) | instid1(VALU_DEP_1)
	v_clz_i32_u32_e32 v7, v7
	v_min_u32_e32 v7, 32, v7
	s_delay_alu instid0(VALU_DEP_1) | instskip(NEXT) | instid1(VALU_DEP_1)
	v_subrev_nc_u32_e32 v70, 28, v7
	v_lshlrev_b64_e32 v[71:72], v70, v[1:2]
	v_sub_nc_u32_e32 v70, 29, v7
	s_delay_alu instid0(VALU_DEP_2)
	v_and_b32_e32 v7, 7, v71
; %bb.399:                              ;   in Loop: Header=BB250_13 Depth=1
	s_or_b32 exec_lo, exec_lo, s45
	v_lshlrev_b32_e32 v1, 8, v69
	s_delay_alu instid0(VALU_DEP_3) | instskip(NEXT) | instid1(VALU_DEP_3)
	v_lshl_add_u32 v69, v70, 10, 0x2000
	v_lshlrev_b32_e32 v7, 23, v7
	s_delay_alu instid0(VALU_DEP_2) | instskip(NEXT) | instid1(VALU_DEP_1)
	v_and_or_b32 v1, 0x8000, v1, v69
	v_lshl_or_b32 v7, v1, 16, v7
.LBB250_400:                            ;   in Loop: Header=BB250_13 Depth=1
	s_or_b32 exec_lo, exec_lo, s44
.LBB250_401:                            ;   in Loop: Header=BB250_13 Depth=1
	s_wait_alu 0xfffe
	s_or_b32 exec_lo, exec_lo, s43
.LBB250_402:                            ;   in Loop: Header=BB250_13 Depth=1
	s_wait_alu 0xfffe
	s_or_b32 exec_lo, exec_lo, s42
	ds_load_b32 v1, v16
	v_or_b32_e32 v24, v23, v24
	v_fma_mixlo_f16 v23, v22, v23, 0 op_sel:[0,1,0] op_sel_hi:[0,1,0]
	v_or_b32_e32 v26, v25, v26
	v_fma_mixlo_f16 v25, v22, v25, 0 op_sel:[0,1,0] op_sel_hi:[0,1,0]
	v_or_b32_e32 v28, v27, v28
	v_fma_mixlo_f16 v24, v22, v24, 0 op_sel_hi:[0,1,0]
	v_and_b32_e32 v71, 0xffff, v23
	v_fma_mixlo_f16 v26, v22, v26, 0 op_sel_hi:[0,1,0]
	v_and_b32_e32 v73, 0xffff, v25
	;; [unrolled: 2-line block ×3, first 2 shown]
	v_fma_mixlo_f16 v27, v22, v27, 0 op_sel:[0,1,0] op_sel_hi:[0,1,0]
	v_or_b32_e32 v30, v29, v30
	v_fma_mixlo_f16 v29, v22, v29, 0 op_sel:[0,1,0] op_sel_hi:[0,1,0]
	v_and_b32_e32 v74, 0xffff, v28
	v_or_b32_e32 v32, v31, v32
	v_and_b32_e32 v75, 0xffff, v27
	v_fma_mixlo_f16 v30, v22, v30, 0 op_sel_hi:[0,1,0]
	v_and_b32_e32 v77, 0xffff, v29
	s_wait_dscnt 0x0
	v_and_b32_e32 v69, 0xffff, v1
	v_lshrrev_b32_e32 v70, 16, v1
	;;#ASMSTART
	v_cvt_f32_f16 v1, v69;
	;;#ASMEND
	;;#ASMSTART
	v_cvt_f32_f16 v23, v70;
	;;#ASMEND
	;; [unrolled: 3-line block ×4, first 2 shown]
	ds_load_b32 v70, v16 offset:4
	v_and_b32_e32 v72, 0xffff, v26
	v_fma_mixlo_f16 v32, v22, v32, 0 op_sel_hi:[0,1,0]
	v_fma_mixlo_f16 v31, v22, v31, 0 op_sel:[0,1,0] op_sel_hi:[0,1,0]
	v_or_b32_e32 v34, v33, v34
	v_fma_mixlo_f16 v33, v22, v33, 0 op_sel:[0,1,0] op_sel_hi:[0,1,0]
	v_or_b32_e32 v36, v35, v36
	v_fma_mixlo_f16 v35, v22, v35, 0 op_sel:[0,1,0] op_sel_hi:[0,1,0]
	v_and_b32_e32 v79, 0xffff, v31
	v_fma_mixlo_f16 v34, v22, v34, 0 op_sel_hi:[0,1,0]
	v_and_b32_e32 v81, 0xffff, v33
	v_fma_mixlo_f16 v36, v22, v36, 0 op_sel_hi:[0,1,0]
	v_and_b32_e32 v83, 0xffff, v35
	v_or_b32_e32 v38, v37, v38
	v_fma_mixlo_f16 v37, v22, v37, 0 op_sel:[0,1,0] op_sel_hi:[0,1,0]
	v_or_b32_e32 v40, v39, v40
	v_and_b32_e32 v82, 0xffff, v36
	v_fma_mixlo_f16 v39, v22, v39, 0 op_sel:[0,1,0] op_sel_hi:[0,1,0]
	v_fma_mixlo_f16 v38, v22, v38, 0 op_sel_hi:[0,1,0]
	v_and_b32_e32 v85, 0xffff, v37
	s_wait_dscnt 0x0
	v_and_b32_e32 v71, 0xffff, v70
	v_lshrrev_b32_e32 v70, 16, v70
	;;#ASMSTART
	v_cvt_f32_f16 v25, v71;
	;;#ASMEND
	;;#ASMSTART
	v_cvt_f32_f16 v26, v70;
	;;#ASMEND
	;; [unrolled: 3-line block ×4, first 2 shown]
	ds_load_b32 v72, v16 offset:8
	v_mul_f32_e32 v25, v25, v70
	v_fma_mixlo_f16 v40, v22, v40, 0 op_sel_hi:[0,1,0]
	v_and_b32_e32 v87, 0xffff, v39
	v_or_b32_e32 v42, v41, v42
	v_fma_mixlo_f16 v41, v22, v41, 0 op_sel:[0,1,0] op_sel_hi:[0,1,0]
	v_fmac_f32_e32 v25, v1, v24
	v_or_b32_e32 v44, v43, v44
	v_fma_mixlo_f16 v43, v22, v43, 0 op_sel:[0,1,0] op_sel_hi:[0,1,0]
	v_fma_mixlo_f16 v42, v22, v42, 0 op_sel_hi:[0,1,0]
	v_and_b32_e32 v89, 0xffff, v41
	v_or_b32_e32 v46, v45, v46
	v_fma_mixlo_f16 v44, v22, v44, 0 op_sel_hi:[0,1,0]
	v_and_b32_e32 v91, 0xffff, v43
	v_fma_mixlo_f16 v45, v22, v45, 0 op_sel:[0,1,0] op_sel_hi:[0,1,0]
	v_or_b32_e32 v48, v47, v48
	v_fma_mixlo_f16 v46, v22, v46, 0 op_sel_hi:[0,1,0]
	v_and_b32_e32 v90, 0xffff, v44
	v_fma_mixlo_f16 v47, v22, v47, 0 op_sel:[0,1,0] op_sel_hi:[0,1,0]
	v_and_b32_e32 v93, 0xffff, v45
	s_wait_dscnt 0x0
	v_and_b32_e32 v73, 0xffff, v72
	v_lshrrev_b32_e32 v72, 16, v72
	;;#ASMSTART
	v_cvt_f32_f16 v27, v73;
	;;#ASMEND
	;;#ASMSTART
	v_cvt_f32_f16 v28, v72;
	;;#ASMEND
	;; [unrolled: 3-line block ×4, first 2 shown]
	ds_load_b32 v74, v16 offset:12
	v_dual_fmac_f32 v25, v27, v72 :: v_dual_and_b32 v76, 0xffff, v30
	v_fma_mixlo_f16 v48, v22, v48, 0 op_sel_hi:[0,1,0]
	v_and_b32_e32 v95, 0xffff, v47
	v_or_b32_e32 v50, v49, v50
	v_fma_mixlo_f16 v49, v22, v49, 0 op_sel:[0,1,0] op_sel_hi:[0,1,0]
	v_or_b32_e32 v52, v51, v52
	v_fma_mixlo_f16 v51, v22, v51, 0 op_sel:[0,1,0] op_sel_hi:[0,1,0]
	v_or_b32_e32 v54, v53, v54
	v_fma_mixlo_f16 v50, v22, v50, 0 op_sel_hi:[0,1,0]
	v_and_b32_e32 v97, 0xffff, v49
	v_fma_mixlo_f16 v52, v22, v52, 0 op_sel_hi:[0,1,0]
	v_and_b32_e32 v99, 0xffff, v51
	v_fma_mixlo_f16 v54, v22, v54, 0 op_sel_hi:[0,1,0]
	v_fma_mixlo_f16 v53, v22, v53, 0 op_sel:[0,1,0] op_sel_hi:[0,1,0]
	v_or_b32_e32 v56, v55, v56
	v_and_b32_e32 v98, 0xffff, v52
	v_fma_mixlo_f16 v55, v22, v55, 0 op_sel:[0,1,0] op_sel_hi:[0,1,0]
	v_or_b32_e32 v58, v57, v58
	s_wait_dscnt 0x0
	v_and_b32_e32 v75, 0xffff, v74
	v_lshrrev_b32_e32 v74, 16, v74
	;;#ASMSTART
	v_cvt_f32_f16 v29, v75;
	;;#ASMEND
	;;#ASMSTART
	v_cvt_f32_f16 v30, v74;
	;;#ASMEND
	;; [unrolled: 3-line block ×4, first 2 shown]
	ds_load_b32 v76, v16 offset:16
	v_dual_fmac_f32 v25, v29, v74 :: v_dual_and_b32 v78, 0xffff, v32
	v_and_b32_e32 v101, 0xffff, v53
	v_fma_mixlo_f16 v56, v22, v56, 0 op_sel_hi:[0,1,0]
	v_and_b32_e32 v103, 0xffff, v55
	v_fma_mixlo_f16 v58, v22, v58, 0 op_sel_hi:[0,1,0]
	v_fma_mixlo_f16 v57, v22, v57, 0 op_sel:[0,1,0] op_sel_hi:[0,1,0]
	v_or_b32_e32 v60, v59, v60
	v_mul_f32_e32 v26, v26, v71
	v_fma_mixlo_f16 v59, v22, v59, 0 op_sel:[0,1,0] op_sel_hi:[0,1,0]
	v_or_b32_e32 v62, v61, v62
	v_and_b32_e32 v105, 0xffff, v57
	v_fma_mixlo_f16 v60, v22, v60, 0 op_sel_hi:[0,1,0]
	s_delay_alu instid0(VALU_DEP_4) | instskip(NEXT) | instid1(VALU_DEP_4)
	v_dual_fmac_f32 v26, v23, v69 :: v_dual_and_b32 v107, 0xffff, v59
	v_fma_mixlo_f16 v62, v22, v62, 0 op_sel_hi:[0,1,0]
	v_fma_mixlo_f16 v61, v22, v61, 0 op_sel:[0,1,0] op_sel_hi:[0,1,0]
	s_delay_alu instid0(VALU_DEP_4)
	v_and_b32_e32 v106, 0xffff, v60
	s_wait_dscnt 0x0
	v_dual_fmac_f32 v26, v28, v73 :: v_dual_and_b32 v77, 0xffff, v76
	v_lshrrev_b32_e32 v76, 16, v76
	;;#ASMSTART
	v_cvt_f32_f16 v31, v77;
	;;#ASMEND
	;;#ASMSTART
	v_cvt_f32_f16 v32, v76;
	;;#ASMEND
	;;#ASMSTART
	v_cvt_f32_f16 v76, v78;
	;;#ASMEND
	;;#ASMSTART
	v_cvt_f32_f16 v77, v79;
	;;#ASMEND
	ds_load_b32 v78, v16 offset:20
	v_dual_fmac_f32 v25, v31, v76 :: v_dual_and_b32 v80, 0xffff, v34
	v_dual_fmac_f32 v26, v30, v75 :: v_dual_and_b32 v61, 0xffff, v61
	v_or_b32_e32 v29, v63, v64
	v_fma_mixlo_f16 v30, v22, v63, 0 op_sel:[0,1,0] op_sel_hi:[0,1,0]
	v_or_b32_e32 v8, v7, v8
	s_delay_alu instid0(VALU_DEP_4) | instskip(NEXT) | instid1(VALU_DEP_4)
	v_fmac_f32_e32 v26, v32, v77
	v_fma_mixlo_f16 v29, v22, v29, 0 op_sel_hi:[0,1,0]
	s_delay_alu instid0(VALU_DEP_4) | instskip(NEXT) | instid1(VALU_DEP_4)
	v_and_b32_e32 v31, 0xffff, v30
	v_fma_mixlo_f16 v8, v22, v8, 0 op_sel_hi:[0,1,0]
	s_wait_dscnt 0x0
	v_and_b32_e32 v79, 0xffff, v78
	v_lshrrev_b32_e32 v78, 16, v78
	;;#ASMSTART
	v_cvt_f32_f16 v33, v79;
	;;#ASMEND
	;;#ASMSTART
	v_cvt_f32_f16 v34, v78;
	;;#ASMEND
	;; [unrolled: 3-line block ×4, first 2 shown]
	ds_load_b32 v80, v16 offset:24
	v_dual_fmac_f32 v25, v33, v78 :: v_dual_fmac_f32 v26, v34, v79
	v_and_b32_e32 v33, 0xffff, v29
	v_fma_mixlo_f16 v34, v22, v65, 0 op_sel:[0,1,0] op_sel_hi:[0,1,0]
	s_wait_dscnt 0x0
	v_and_b32_e32 v81, 0xffff, v80
	v_lshrrev_b32_e32 v80, 16, v80
	;;#ASMSTART
	v_cvt_f32_f16 v35, v81;
	;;#ASMEND
	;;#ASMSTART
	v_cvt_f32_f16 v36, v80;
	;;#ASMEND
	;; [unrolled: 3-line block ×4, first 2 shown]
	ds_load_b32 v82, v16 offset:28
	v_dual_fmac_f32 v25, v35, v80 :: v_dual_and_b32 v84, 0xffff, v38
	v_dual_fmac_f32 v26, v36, v81 :: v_dual_and_b32 v35, 0xffff, v34
	s_wait_dscnt 0x0
	v_and_b32_e32 v83, 0xffff, v82
	v_lshrrev_b32_e32 v82, 16, v82
	;;#ASMSTART
	v_cvt_f32_f16 v37, v83;
	;;#ASMEND
	;;#ASMSTART
	v_cvt_f32_f16 v38, v82;
	;;#ASMEND
	;; [unrolled: 3-line block ×4, first 2 shown]
	ds_load_b32 v84, v16 offset:32
	v_dual_fmac_f32 v25, v37, v82 :: v_dual_and_b32 v86, 0xffff, v40
	v_fmac_f32_e32 v26, v38, v83
	v_fma_mixlo_f16 v38, v22, v67, 0 op_sel:[0,1,0] op_sel_hi:[0,1,0]
	s_wait_dscnt 0x0
	v_and_b32_e32 v85, 0xffff, v84
	v_lshrrev_b32_e32 v84, 16, v84
	;;#ASMSTART
	v_cvt_f32_f16 v39, v85;
	;;#ASMEND
	;;#ASMSTART
	v_cvt_f32_f16 v40, v84;
	;;#ASMEND
	;; [unrolled: 3-line block ×4, first 2 shown]
	ds_load_b32 v86, v16 offset:36
	v_dual_fmac_f32 v25, v39, v84 :: v_dual_and_b32 v88, 0xffff, v42
	v_dual_fmac_f32 v26, v40, v85 :: v_dual_and_b32 v39, 0xffff, v38
	s_wait_dscnt 0x0
	v_and_b32_e32 v87, 0xffff, v86
	v_lshrrev_b32_e32 v86, 16, v86
	;;#ASMSTART
	v_cvt_f32_f16 v41, v87;
	;;#ASMEND
	;;#ASMSTART
	v_cvt_f32_f16 v42, v86;
	;;#ASMEND
	;; [unrolled: 3-line block ×4, first 2 shown]
	ds_load_b32 v88, v16 offset:40
	v_dual_fmac_f32 v25, v41, v86 :: v_dual_fmac_f32 v26, v42, v87
	s_wait_dscnt 0x0
	v_and_b32_e32 v89, 0xffff, v88
	v_lshrrev_b32_e32 v88, 16, v88
	;;#ASMSTART
	v_cvt_f32_f16 v43, v89;
	;;#ASMEND
	;;#ASMSTART
	v_cvt_f32_f16 v44, v88;
	;;#ASMEND
	;;#ASMSTART
	v_cvt_f32_f16 v88, v90;
	;;#ASMEND
	;;#ASMSTART
	v_cvt_f32_f16 v89, v91;
	;;#ASMEND
	ds_load_b32 v90, v16 offset:44
	v_dual_fmac_f32 v25, v43, v88 :: v_dual_and_b32 v92, 0xffff, v46
	s_wait_dscnt 0x0
	v_dual_fmac_f32 v26, v44, v89 :: v_dual_and_b32 v91, 0xffff, v90
	v_lshrrev_b32_e32 v90, 16, v90
	;;#ASMSTART
	v_cvt_f32_f16 v45, v91;
	;;#ASMEND
	;;#ASMSTART
	v_cvt_f32_f16 v46, v90;
	;;#ASMEND
	;;#ASMSTART
	v_cvt_f32_f16 v90, v92;
	;;#ASMEND
	;;#ASMSTART
	v_cvt_f32_f16 v91, v93;
	;;#ASMEND
	ds_load_b32 v92, v16 offset:48
	v_dual_fmac_f32 v25, v45, v90 :: v_dual_and_b32 v94, 0xffff, v48
	s_wait_dscnt 0x0
	v_dual_fmac_f32 v26, v46, v91 :: v_dual_and_b32 v93, 0xffff, v92
	;; [unrolled: 17-line block ×3, first 2 shown]
	v_lshrrev_b32_e32 v94, 16, v94
	;;#ASMSTART
	v_cvt_f32_f16 v49, v95;
	;;#ASMEND
	;;#ASMSTART
	v_cvt_f32_f16 v50, v94;
	;;#ASMEND
	;; [unrolled: 3-line block ×4, first 2 shown]
	ds_load_b32 v96, v16 offset:56
	v_dual_fmac_f32 v25, v49, v94 :: v_dual_fmac_f32 v26, v50, v95
	s_wait_dscnt 0x0
	v_and_b32_e32 v97, 0xffff, v96
	v_lshrrev_b32_e32 v96, 16, v96
	;;#ASMSTART
	v_cvt_f32_f16 v51, v97;
	;;#ASMEND
	;;#ASMSTART
	v_cvt_f32_f16 v52, v96;
	;;#ASMEND
	;;#ASMSTART
	v_cvt_f32_f16 v96, v98;
	;;#ASMEND
	;;#ASMSTART
	v_cvt_f32_f16 v97, v99;
	;;#ASMEND
	ds_load_b32 v98, v16 offset:60
	v_dual_fmac_f32 v25, v51, v96 :: v_dual_and_b32 v100, 0xffff, v54
	s_wait_dscnt 0x0
	v_dual_fmac_f32 v26, v52, v97 :: v_dual_and_b32 v99, 0xffff, v98
	v_lshrrev_b32_e32 v98, 16, v98
	;;#ASMSTART
	v_cvt_f32_f16 v53, v99;
	;;#ASMEND
	;;#ASMSTART
	v_cvt_f32_f16 v54, v98;
	;;#ASMEND
	;;#ASMSTART
	v_cvt_f32_f16 v98, v100;
	;;#ASMEND
	;;#ASMSTART
	v_cvt_f32_f16 v99, v101;
	;;#ASMEND
	ds_load_b32 v100, v16 offset:64
	v_dual_fmac_f32 v25, v53, v98 :: v_dual_and_b32 v102, 0xffff, v56
	s_wait_dscnt 0x0
	v_dual_fmac_f32 v26, v54, v99 :: v_dual_and_b32 v101, 0xffff, v100
	;; [unrolled: 17-line block ×3, first 2 shown]
	v_lshrrev_b32_e32 v102, 16, v102
	;;#ASMSTART
	v_cvt_f32_f16 v57, v103;
	;;#ASMEND
	;;#ASMSTART
	v_cvt_f32_f16 v58, v102;
	;;#ASMEND
	;; [unrolled: 3-line block ×4, first 2 shown]
	ds_load_b32 v104, v16 offset:72
	v_dual_fmac_f32 v25, v57, v102 :: v_dual_fmac_f32 v26, v58, v103
	s_wait_dscnt 0x0
	v_and_b32_e32 v105, 0xffff, v104
	v_lshrrev_b32_e32 v104, 16, v104
	;;#ASMSTART
	v_cvt_f32_f16 v59, v105;
	;;#ASMEND
	;;#ASMSTART
	v_cvt_f32_f16 v60, v104;
	;;#ASMEND
	;; [unrolled: 3-line block ×4, first 2 shown]
	ds_load_b32 v106, v16 offset:76
	v_dual_fmac_f32 v25, v59, v104 :: v_dual_and_b32 v24, 0xffff, v62
	s_wait_dscnt 0x0
	v_dual_fmac_f32 v26, v60, v105 :: v_dual_and_b32 v1, 0xffff, v106
	v_lshrrev_b32_e32 v23, 16, v106
	;;#ASMSTART
	v_cvt_f32_f16 v1, v1;
	;;#ASMEND
	;;#ASMSTART
	v_cvt_f32_f16 v23, v23;
	;;#ASMEND
	;;#ASMSTART
	v_cvt_f32_f16 v24, v24;
	;;#ASMEND
	;;#ASMSTART
	v_cvt_f32_f16 v27, v61;
	;;#ASMEND
	ds_load_b32 v28, v16 offset:80
	v_dual_fmac_f32 v25, v1, v24 :: v_dual_fmac_f32 v26, v23, v27
	v_fma_mixlo_f16 v1, v22, v7, 0 op_sel:[0,1,0] op_sel_hi:[0,1,0]
	v_xor_b32_e32 v7, 2, v10
	v_and_b32_e32 v24, 0xffff, v8
	s_delay_alu instid0(VALU_DEP_3) | instskip(NEXT) | instid1(VALU_DEP_3)
	v_and_b32_e32 v23, 0xffff, v1
	v_cmp_gt_i32_e64 s4, 32, v7
	s_wait_alu 0xf1ff
	s_delay_alu instid0(VALU_DEP_1) | instskip(NEXT) | instid1(VALU_DEP_1)
	v_cndmask_b32_e64 v1, v10, v7, s4
	v_lshlrev_b32_e32 v1, 2, v1
	s_wait_dscnt 0x0
	v_and_b32_e32 v30, 0xffff, v28
	v_lshrrev_b32_e32 v32, 16, v28
	;;#ASMSTART
	v_cvt_f32_f16 v28, v30;
	;;#ASMEND
	;;#ASMSTART
	v_cvt_f32_f16 v29, v32;
	;;#ASMEND
	;; [unrolled: 3-line block ×4, first 2 shown]
	ds_load_b32 v32, v16 offset:84
	v_or_b32_e32 v33, v65, v66
	v_dual_fmac_f32 v25, v28, v30 :: v_dual_fmac_f32 v26, v29, v31
	s_delay_alu instid0(VALU_DEP_2) | instskip(NEXT) | instid1(VALU_DEP_1)
	v_fma_mixlo_f16 v33, v22, v33, 0 op_sel_hi:[0,1,0]
	v_and_b32_e32 v37, 0xffff, v33
	s_wait_dscnt 0x0
	v_and_b32_e32 v34, 0xffff, v32
	v_lshrrev_b32_e32 v36, 16, v32
	;;#ASMSTART
	v_cvt_f32_f16 v32, v34;
	;;#ASMEND
	;;#ASMSTART
	v_cvt_f32_f16 v33, v36;
	;;#ASMEND
	;; [unrolled: 3-line block ×4, first 2 shown]
	ds_load_b32 v36, v16 offset:88
	v_or_b32_e32 v37, v67, v68
	v_dual_fmac_f32 v25, v32, v34 :: v_dual_fmac_f32 v26, v33, v35
	s_delay_alu instid0(VALU_DEP_2) | instskip(NEXT) | instid1(VALU_DEP_1)
	v_fma_mixlo_f16 v37, v22, v37, 0 op_sel_hi:[0,1,0]
	v_and_b32_e32 v41, 0xffff, v37
	s_wait_dscnt 0x0
	v_and_b32_e32 v38, 0xffff, v36
	v_lshrrev_b32_e32 v40, 16, v36
	;;#ASMSTART
	v_cvt_f32_f16 v36, v38;
	;;#ASMEND
	;;#ASMSTART
	v_cvt_f32_f16 v37, v40;
	;;#ASMEND
	;; [unrolled: 3-line block ×4, first 2 shown]
	ds_load_b32 v40, v16 offset:92
	v_dual_fmac_f32 v25, v36, v38 :: v_dual_fmac_f32 v26, v37, v39
	s_wait_dscnt 0x0
	v_and_b32_e32 v7, 0xffff, v40
	v_lshrrev_b32_e32 v22, 16, v40
	;;#ASMSTART
	v_cvt_f32_f16 v7, v7;
	;;#ASMEND
	;;#ASMSTART
	v_cvt_f32_f16 v8, v22;
	;;#ASMEND
	;; [unrolled: 3-line block ×4, first 2 shown]
	v_dual_fmac_f32 v25, v7, v22 :: v_dual_fmac_f32 v26, v8, v23
	v_xor_b32_e32 v8, 1, v10
	s_delay_alu instid0(VALU_DEP_2) | instskip(NEXT) | instid1(VALU_DEP_2)
	v_add_f32_e32 v7, v25, v26
	v_cmp_gt_i32_e64 s4, 32, v8
	ds_bpermute_b32 v1, v1, v7
	s_wait_alu 0xf1ff
	v_cndmask_b32_e64 v8, v10, v8, s4
	s_wait_dscnt 0x0
	v_add_f32_e32 v1, v7, v1
	s_delay_alu instid0(VALU_DEP_2)
	v_lshlrev_b32_e32 v7, 2, v8
	ds_bpermute_b32 v7, v7, v1
	s_and_saveexec_b32 s42, s3
	s_cbranch_execz .LBB250_11
; %bb.403:                              ;   in Loop: Header=BB250_13 Depth=1
	s_wait_dscnt 0x0
	v_dual_add_f32 v1, v1, v7 :: v_dual_add_nc_u32 v8, v18, v17
	s_delay_alu instid0(VALU_DEP_1) | instskip(NEXT) | instid1(VALU_DEP_1)
	v_cvt_f32_i32_e32 v8, v8
	v_mul_f32_e32 v8, s30, v8
	s_delay_alu instid0(VALU_DEP_1) | instskip(NEXT) | instid1(VALU_DEP_1)
	v_dual_cndmask_b32 v7, 0, v8 :: v_dual_max_num_f32 v8, v15, v15
	v_fmac_f32_e32 v7, s7, v1
	s_delay_alu instid0(VALU_DEP_1) | instskip(NEXT) | instid1(VALU_DEP_1)
	v_dual_max_num_f32 v8, v8, v7 :: v_dual_add_nc_u32 v1, v14, v17
	v_cmp_gt_i32_e64 s4, s34, v1
	s_wait_alu 0xf1ff
	s_delay_alu instid0(VALU_DEP_1) | instskip(NEXT) | instid1(VALU_DEP_3)
	v_cndmask_b32_e64 v1, 0, v7, s4
	v_cndmask_b32_e64 v15, v15, v8, s4
	ds_store_b32 v19, v1
	s_branch .LBB250_11
.LBB250_404:
	s_or_b32 exec_lo, exec_lo, s40
.LBB250_405:
	s_delay_alu instid0(SALU_CYCLE_1)
	s_or_b32 exec_lo, exec_lo, s6
	v_xor_b32_e32 v1, 16, v10
	v_xor_b32_e32 v3, 8, v10
	s_clause 0x2
	s_load_b128 s[4:7], s[0:1], 0x0
	s_load_b64 s[8:9], s[0:1], 0x10
	s_load_b64 s[30:31], s[0:1], 0x28
	v_dual_max_num_f32 v5, v15, v15 :: v_dual_and_b32 v14, 31, v0
	v_cmp_gt_i32_e32 vcc_lo, 32, v1
	s_wait_alu 0xfffd
	v_cndmask_b32_e32 v1, v10, v1, vcc_lo
	v_cmp_gt_i32_e32 vcc_lo, 32, v3
	s_wait_alu 0xfffd
	v_cndmask_b32_e32 v3, v10, v3, vcc_lo
	s_delay_alu instid0(VALU_DEP_1) | instskip(SKIP_4) | instid1(VALU_DEP_1)
	v_lshlrev_b32_e32 v4, 2, v3
	v_lshlrev_b32_e32 v2, 2, v1
	ds_bpermute_b32 v1, v2, v15
	s_wait_dscnt 0x0
	v_max_num_f32_e32 v1, v1, v1
	v_max_num_f32_e32 v1, v5, v1
	v_xor_b32_e32 v5, 4, v10
	ds_bpermute_b32 v3, v4, v1
	v_cmp_gt_i32_e32 vcc_lo, 32, v5
	s_wait_alu 0xfffd
	v_cndmask_b32_e32 v5, v10, v5, vcc_lo
	v_cmp_eq_u32_e32 vcc_lo, 0, v14
	s_delay_alu instid0(VALU_DEP_2) | instskip(SKIP_3) | instid1(VALU_DEP_1)
	v_lshlrev_b32_e32 v7, 2, v5
	v_lshlrev_b32_e32 v5, 2, v11
	s_wait_dscnt 0x0
	v_max_num_f32_e32 v3, v3, v3
	v_max_num_f32_e32 v1, v1, v3
	ds_bpermute_b32 v3, v7, v1
	s_and_saveexec_b32 s0, vcc_lo
	s_cbranch_execz .LBB250_407
; %bb.406:
	s_wait_dscnt 0x0
	v_max_num_f32_e32 v3, v3, v3
	v_max_num_f32_e32 v1, v1, v1
	s_delay_alu instid0(VALU_DEP_1)
	v_max_num_f32_e32 v1, v1, v3
	ds_store_b32 v5, v1 offset:384
.LBB250_407:
	s_or_b32 exec_lo, exec_lo, s0
	v_cmp_gt_u32_e64 s0, 4, v14
	v_dual_mov_b32 v1, 0xff7fffff :: v_dual_lshlrev_b32 v6, 2, v14
	s_wait_loadcnt_dscnt 0x0
	s_barrier_signal -1
	s_barrier_wait -1
	global_inv scope:SCOPE_SE
	s_and_saveexec_b32 s1, s0
; %bb.408:
	ds_load_b32 v1, v6 offset:384
; %bb.409:
	s_or_b32 exec_lo, exec_lo, s1
	v_xor_b32_e32 v3, 2, v10
	v_xor_b32_e32 v15, 1, v10
	s_delay_alu instid0(VALU_DEP_2) | instskip(NEXT) | instid1(VALU_DEP_1)
	v_cmp_gt_i32_e64 s1, 32, v3
	v_cndmask_b32_e64 v3, v10, v3, s1
	s_delay_alu instid0(VALU_DEP_3) | instskip(NEXT) | instid1(VALU_DEP_2)
	v_cmp_gt_i32_e64 s1, 32, v15
	v_lshlrev_b32_e32 v8, 2, v3
	s_wait_alu 0xf1ff
	s_delay_alu instid0(VALU_DEP_2)
	v_cndmask_b32_e64 v10, v10, v15, s1
	v_mov_b32_e32 v15, 0
	s_sub_co_i32 s1, s23, s38
	s_wait_alu 0xfffe
	s_lshl_b32 s1, s1, 3
	s_wait_dscnt 0x0
	ds_bpermute_b32 v3, v8, v1
	v_max_num_f32_e32 v1, v1, v1
	s_wait_alu 0xfffe
	s_add_co_i32 s1, s1, s35
	v_lshlrev_b32_e32 v10, 2, v10
	s_wait_alu 0xfffe
	s_min_i32 s1, s1, s34
	s_wait_alu 0xfffe
	s_sub_co_i32 s19, s1, s35
	s_wait_alu 0xfffe
	v_cmp_gt_i32_e64 s1, s19, v0
	s_wait_dscnt 0x0
	v_max_num_f32_e32 v3, v3, v3
	s_delay_alu instid0(VALU_DEP_1) | instskip(SKIP_3) | instid1(VALU_DEP_1)
	v_max_num_f32_e32 v1, v1, v3
	ds_bpermute_b32 v3, v10, v1
	s_wait_dscnt 0x0
	v_max_num_f32_e32 v3, v3, v3
	v_max_num_f32_e32 v1, v1, v3
	v_lshl_add_u32 v3, v0, 2, 0x1a0
	ds_bpermute_b32 v1, v15, v1
	s_and_saveexec_b32 s35, s1
	s_cbranch_execz .LBB250_413
; %bb.410:
	v_lshl_add_u32 v16, v0, 2, 0x1a0
	v_mov_b32_e32 v15, 0
	v_mov_b32_e32 v17, v0
	s_mov_b32 s38, 0
.LBB250_411:                            ; =>This Inner Loop Header: Depth=1
	ds_load_b32 v18, v16
	v_add_nc_u32_e32 v17, 0x80, v17
	s_delay_alu instid0(VALU_DEP_1) | instskip(SKIP_4) | instid1(VALU_DEP_1)
	v_cmp_le_i32_e64 s3, s19, v17
	s_wait_alu 0xfffe
	s_or_b32 s38, s3, s38
	s_wait_dscnt 0x0
	v_sub_f32_e32 v18, v18, v1
	v_mul_f32_e32 v18, 0x3fb8aa3b, v18
	s_delay_alu instid0(VALU_DEP_1)
	v_exp_f32_e32 v18, v18
	ds_store_b32 v16, v18
	v_dual_add_f32 v15, v15, v18 :: v_dual_add_nc_u32 v16, 0x200, v16
	s_wait_alu 0xfffe
	s_and_not1_b32 exec_lo, exec_lo, s38
	s_cbranch_execnz .LBB250_411
; %bb.412:
	s_or_b32 exec_lo, exec_lo, s38
.LBB250_413:
	s_wait_alu 0xfffe
	s_or_b32 exec_lo, exec_lo, s35
	ds_bpermute_b32 v2, v2, v15
	s_wait_dscnt 0x0
	v_add_f32_e32 v2, v15, v2
	ds_bpermute_b32 v4, v4, v2
	s_wait_dscnt 0x0
	v_add_f32_e32 v2, v2, v4
	;; [unrolled: 3-line block ×5, first 2 shown]
	s_and_saveexec_b32 s3, vcc_lo
; %bb.414:
	ds_store_b32 v5, v2 offset:400
; %bb.415:
	s_wait_alu 0xfffe
	s_or_b32 exec_lo, exec_lo, s3
	s_wait_loadcnt_dscnt 0x0
	s_barrier_signal -1
	s_barrier_wait -1
	global_inv scope:SCOPE_SE
	s_and_saveexec_b32 s3, s0
; %bb.416:
	ds_load_b32 v2, v6 offset:400
; %bb.417:
	s_wait_alu 0xfffe
	s_or_b32 exec_lo, exec_lo, s3
	s_wait_dscnt 0x0
	ds_bpermute_b32 v4, v8, v2
	s_wait_dscnt 0x0
	v_add_f32_e32 v2, v2, v4
	ds_bpermute_b32 v4, v10, v2
	s_wait_dscnt 0x0
	v_add_f32_e32 v2, v2, v4
	v_mov_b32_e32 v4, 0
	ds_bpermute_b32 v2, v4, v2
	s_and_saveexec_b32 s0, s1
	s_cbranch_execz .LBB250_420
; %bb.418:
	s_wait_dscnt 0x0
	v_add_f32_e32 v4, 0x358637bd, v2
	s_mov_b32 s1, 0
	s_delay_alu instid0(VALU_DEP_1) | instskip(SKIP_1) | instid1(VALU_DEP_2)
	v_div_scale_f32 v5, null, v4, v4, 1.0
	v_div_scale_f32 v8, vcc_lo, 1.0, v4, 1.0
	v_rcp_f32_e32 v6, v5
	s_delay_alu instid0(TRANS32_DEP_1) | instskip(NEXT) | instid1(VALU_DEP_1)
	v_fma_f32 v7, -v5, v6, 1.0
	v_fmac_f32_e32 v6, v7, v6
	s_delay_alu instid0(VALU_DEP_1) | instskip(NEXT) | instid1(VALU_DEP_1)
	v_mul_f32_e32 v7, v8, v6
	v_fma_f32 v10, -v5, v7, v8
	s_delay_alu instid0(VALU_DEP_1) | instskip(NEXT) | instid1(VALU_DEP_1)
	v_fmac_f32_e32 v7, v10, v6
	v_fma_f32 v5, -v5, v7, v8
	s_wait_alu 0xfffd
	s_delay_alu instid0(VALU_DEP_1) | instskip(NEXT) | instid1(VALU_DEP_1)
	v_div_fmas_f32 v5, v5, v6, v7
	v_div_fixup_f32 v4, v5, v4, 1.0
	v_mov_b32_e32 v5, v0
.LBB250_419:                            ; =>This Inner Loop Header: Depth=1
	ds_load_b32 v6, v3
	s_wait_dscnt 0x0
	v_dual_mul_f32 v6, v4, v6 :: v_dual_add_nc_u32 v5, 0x80, v5
	s_delay_alu instid0(VALU_DEP_1)
	v_cmp_le_i32_e32 vcc_lo, s19, v5
	ds_store_b32 v3, v6
	v_add_nc_u32_e32 v3, 0x200, v3
	s_wait_alu 0xfffe
	s_or_b32 s1, vcc_lo, s1
	s_wait_alu 0xfffe
	s_and_not1_b32 exec_lo, exec_lo, s1
	s_cbranch_execnz .LBB250_419
.LBB250_420:
	s_wait_alu 0xfffe
	s_or_b32 exec_lo, exec_lo, s0
	s_mul_i32 s0, s12, s28
	s_wait_loadcnt_dscnt 0x0
	s_wait_alu 0xfffe
	s_mul_i32 s28, s0, s29
	s_mov_b32 s0, exec_lo
	s_barrier_signal -1
	s_barrier_wait -1
	global_inv scope:SCOPE_SE
	v_cmpx_eq_u32_e32 0, v0
	s_cbranch_execz .LBB250_422
; %bb.421:
	s_ashr_i32 s29, s28, 31
	s_wait_alu 0xfffe
	s_mul_i32 s38, s12, ttmp9
	s_lshl_b32 s1, s33, 2
	s_lshl_b64 s[40:41], s[28:29], 2
	s_wait_alu 0xfffe
	s_ashr_i32 s39, s38, 31
	v_mov_b32_e32 v3, s1
	s_wait_kmcnt 0x0
	s_add_nc_u64 s[6:7], s[6:7], s[40:41]
	s_wait_alu 0xfffe
	s_lshl_b64 s[38:39], s[38:39], 2
	s_add_nc_u64 s[4:5], s[4:5], s[40:41]
	s_wait_alu 0xfffe
	s_add_nc_u64 s[6:7], s[6:7], s[38:39]
	s_add_nc_u64 s[4:5], s[4:5], s[38:39]
	s_clause 0x1
	global_store_b32 v3, v1, s[6:7]
	global_store_b32 v3, v2, s[4:5]
.LBB250_422:
	s_wait_alu 0xfffe
	s_or_b32 exec_lo, exec_lo, s0
	v_dual_mov_b32 v20, 0 :: v_dual_mov_b32 v19, 0
	v_dual_mov_b32 v18, 0 :: v_dual_mov_b32 v17, 0
	;; [unrolled: 1-line block ×3, first 2 shown]
	s_and_saveexec_b32 s1, s2
	s_cbranch_execz .LBB250_824
; %bb.423:
	s_wait_kmcnt 0x0
	s_abs_i32 s4, s14
	s_lshl_b64 s[26:27], s[26:27], 2
	s_wait_alu 0xfffe
	s_cvt_f32_u32 s0, s4
	v_dual_mov_b32 v2, 0 :: v_dual_lshlrev_b32 v5, 3, v14
	s_ashr_i32 s19, s18, 31
	s_wait_alu 0xfffe
	v_rcp_iflag_f32_e32 v1, s0
	s_add_nc_u64 s[24:25], s[24:25], s[26:27]
	s_sub_co_i32 s5, s37, s13
	s_add_nc_u64 s[18:19], s[30:31], s[18:19]
	v_add_co_u32 v3, s13, s24, v9
	s_sub_co_i32 s7, 0, s4
	v_add_co_ci_u32_e64 v4, null, s25, 0, s13
	s_wait_alu 0xfffe
	v_add_co_u32 v5, s13, s18, v5
	s_delay_alu instid0(TRANS32_DEP_1)
	v_readfirstlane_b32 s0, v1
	v_lshl_add_u32 v21, v11, 5, 0x1a0
	v_dual_mov_b32 v15, 0 :: v_dual_mov_b32 v16, 0
	v_dual_mov_b32 v17, 0 :: v_dual_mov_b32 v18, 0
	s_mul_f32 s0, s0, 0x4f7ffffe
	v_add_co_ci_u32_e64 v6, null, s19, 0, s13
	v_dual_mov_b32 v19, 0 :: v_dual_mov_b32 v20, 0
	s_wait_alu 0xfffe
	s_cvt_u32_f32 s0, s0
	s_mov_b32 s2, -1
	s_mov_b32 s6, s17
	s_mov_b32 s3, 0xffffff
	s_wait_alu 0xfffe
	s_mul_i32 s7, s7, s0
	s_add_co_i32 s36, s36, -1
	s_wait_alu 0xfffe
	s_mul_hi_u32 s13, s0, s7
	s_mov_b32 s7, 0
	s_wait_alu 0xfffe
	s_add_co_i32 s13, s0, s13
	s_branch .LBB250_426
.LBB250_424:                            ;   in Loop: Header=BB250_426 Depth=1
	s_wait_alu 0xfffe
	s_or_b32 exec_lo, exec_lo, s0
	v_dual_add_f32 v9, v9, v10 :: v_dual_add_f32 v10, v39, v40
	;;#ASMSTART
	v_pk_mul_f16 v22, v34, v41;

	;;#ASMEND
	;;#ASMSTART
	v_pk_mul_f16 v8, v33, v8;

	;;#ASMEND
	;; [unrolled: 4-line block ×4, first 2 shown]
	v_add_f32_e32 v16, v16, v9
	;;#ASMSTART
	v_pk_add_f16 v8, v22, v8;

	;;#ASMEND
	;;#ASMSTART
	v_pk_add_f16 v7, v8, v7;

	;;#ASMEND
	;;#ASMSTART
	v_pk_add_f16 v1, v7, v1;

	;;#ASMEND
	v_dual_add_f32 v8, v29, v30 :: v_dual_and_b32 v9, 0xffff, v1
	v_lshrrev_b32_e32 v22, 16, v1
	;;#ASMSTART
	v_cvt_f32_f16 v9, v9;
	;;#ASMEND
	v_add_f32_e32 v1, v37, v38
	v_add_f32_e32 v7, v35, v36
	;;#ASMSTART
	v_cvt_f32_f16 v22, v22;
	;;#ASMEND
	v_dual_add_f32 v9, v9, v22 :: v_dual_add_f32 v20, v20, v8
	s_delay_alu instid0(VALU_DEP_3) | instskip(NEXT) | instid1(VALU_DEP_3)
	v_dual_add_f32 v17, v17, v10 :: v_dual_add_f32 v18, v18, v1
	v_add_f32_e32 v19, v19, v7
	s_delay_alu instid0(VALU_DEP_3)
	v_add_f32_e32 v15, v15, v9
.LBB250_425:                            ;   in Loop: Header=BB250_426 Depth=1
	s_wait_alu 0xfffe
	s_or_b32 exec_lo, exec_lo, s14
	v_add_nc_u32_e32 v13, 4, v13
	v_add_co_u32 v3, s0, v3, 16
	s_wait_alu 0xf1ff
	v_add_co_ci_u32_e64 v4, null, 0, v4, s0
	s_delay_alu instid0(VALU_DEP_3)
	v_cmp_le_i32_e32 vcc_lo, s23, v13
	v_add_nc_u32_e32 v12, 32, v12
	v_add_nc_u32_e32 v21, 0x80, v21
	s_or_b32 s7, vcc_lo, s7
	s_wait_alu 0xfffe
	s_and_not1_b32 exec_lo, exec_lo, s7
	s_cbranch_execz .LBB250_823
.LBB250_426:                            ; =>This Inner Loop Header: Depth=1
	v_sub_nc_u32_e32 v1, 0, v12
	s_delay_alu instid0(VALU_DEP_1) | instskip(NEXT) | instid1(VALU_DEP_1)
	v_max_i32_e32 v1, v12, v1
	v_mul_hi_u32 v7, v1, s22
	s_delay_alu instid0(VALU_DEP_1) | instskip(NEXT) | instid1(VALU_DEP_1)
	v_mul_lo_u32 v8, v7, s16
	v_sub_nc_u32_e32 v1, v1, v8
	s_delay_alu instid0(VALU_DEP_1) | instskip(SKIP_2) | instid1(VALU_DEP_2)
	v_subrev_nc_u32_e32 v9, s16, v1
	v_cmp_le_u32_e32 vcc_lo, s16, v1
	s_wait_alu 0xfffd
	v_dual_cndmask_b32 v1, v1, v9 :: v_dual_add_nc_u32 v8, 1, v7
	s_delay_alu instid0(VALU_DEP_1) | instskip(SKIP_1) | instid1(VALU_DEP_3)
	v_cndmask_b32_e32 v7, v7, v8, vcc_lo
	v_ashrrev_i32_e32 v8, 31, v12
	v_cmp_le_u32_e32 vcc_lo, s16, v1
	s_delay_alu instid0(VALU_DEP_3) | instskip(NEXT) | instid1(VALU_DEP_3)
	v_add_nc_u32_e32 v9, 1, v7
	v_xor_b32_e32 v8, s15, v8
	s_wait_alu 0xfffd
	s_delay_alu instid0(VALU_DEP_2) | instskip(NEXT) | instid1(VALU_DEP_1)
	v_cndmask_b32_e32 v1, v7, v9, vcc_lo
	v_xor_b32_e32 v1, v1, v8
	s_delay_alu instid0(VALU_DEP_1) | instskip(NEXT) | instid1(VALU_DEP_1)
	v_sub_nc_u32_e32 v1, v1, v8
	v_add_nc_u32_e32 v7, s21, v1
	v_cmp_lt_i32_e64 s0, s5, v1
	s_delay_alu instid0(VALU_DEP_2) | instskip(NEXT) | instid1(VALU_DEP_1)
	v_sub_nc_u32_e32 v8, 0, v7
	v_max_i32_e32 v8, v7, v8
	v_ashrrev_i32_e32 v7, 31, v7
	s_wait_alu 0xfffe
	s_delay_alu instid0(VALU_DEP_2) | instskip(NEXT) | instid1(VALU_DEP_1)
	v_mul_hi_u32 v9, v8, s13
	v_mul_lo_u32 v9, v9, s4
	s_delay_alu instid0(VALU_DEP_1) | instskip(NEXT) | instid1(VALU_DEP_1)
	v_sub_nc_u32_e32 v8, v8, v9
	v_subrev_nc_u32_e32 v9, s4, v8
	v_cmp_le_u32_e32 vcc_lo, s4, v8
	s_wait_alu 0xfffd
	s_delay_alu instid0(VALU_DEP_2) | instskip(NEXT) | instid1(VALU_DEP_1)
	v_cndmask_b32_e32 v8, v8, v9, vcc_lo
	v_subrev_nc_u32_e32 v9, s4, v8
	v_cmp_le_u32_e32 vcc_lo, s4, v8
	s_wait_alu 0xfffd
	s_delay_alu instid0(VALU_DEP_2) | instskip(NEXT) | instid1(VALU_DEP_1)
	v_cndmask_b32_e32 v8, v8, v9, vcc_lo
	v_xor_b32_e32 v8, v8, v7
	s_delay_alu instid0(VALU_DEP_1) | instskip(NEXT) | instid1(VALU_DEP_1)
	v_sub_nc_u32_e32 v7, v8, v7
	v_cmp_eq_u32_e32 vcc_lo, 0, v7
	s_or_b32 s0, vcc_lo, s0
	s_wait_alu 0xfffe
	s_and_saveexec_b32 s14, s0
	s_cbranch_execz .LBB250_425
; %bb.427:                              ;   in Loop: Header=BB250_426 Depth=1
	global_load_b32 v1, v[3:4], off
	ds_load_2addr_b64 v[22:25], v21 offset1:1
	ds_load_2addr_b64 v[34:37], v21 offset0:2 offset1:3
	s_mov_b32 s0, exec_lo
	s_wait_dscnt 0x1
	;;#ASMSTART
	v_cvt_f16_f32 v29, v22;

	;;#ASMEND
	;;#ASMSTART
	v_cvt_f16_f32 v30, v23;

	;;#ASMEND
	;; [unrolled: 4-line block ×4, first 2 shown]
	s_wait_dscnt 0x0
	;;#ASMSTART
	v_cvt_f16_f32 v34, v34;

	;;#ASMEND
	;;#ASMSTART
	v_cvt_f16_f32 v32, v35;

	;;#ASMEND
	;; [unrolled: 4-line block ×4, first 2 shown]
	v_dual_mov_b32 v23, 0 :: v_dual_mov_b32 v24, 0
	global_load_b32 v22, v23, s[10:11]
	s_wait_loadcnt 0x1
	v_mad_co_i64_i32 v[7:8], null, v1, s6, v[5:6]
	global_load_b64 v[9:10], v[7:8], off
	s_wait_loadcnt 0x0
	v_and_b32_e32 v1, 0xff, v9
	s_delay_alu instid0(VALU_DEP_1)
	v_cmpx_ne_u16_e32 0, v1
	s_cbranch_execz .LBB250_435
; %bb.428:                              ;   in Loop: Header=BB250_426 Depth=1
	v_mov_b32_e32 v24, 0x8000
	s_mov_b32 s17, exec_lo
	v_cmpx_ne_u16_e32 0x80, v1
	s_cbranch_execz .LBB250_434
; %bb.429:                              ;   in Loop: Header=BB250_426 Depth=1
	v_and_b32_e32 v25, 0x7f, v9
	v_mov_b32_e32 v24, 0x7c01
	s_mov_b32 s18, exec_lo
	s_delay_alu instid0(VALU_DEP_2)
	v_cmpx_ne_u32_e32 0x7f, v25
	s_cbranch_execz .LBB250_433
; %bb.430:                              ;   in Loop: Header=BB250_426 Depth=1
	v_and_b32_e32 v1, 7, v9
	v_lshrrev_b32_e32 v24, 3, v25
	s_mov_b32 s19, exec_lo
	v_cmpx_gt_u32_e32 8, v25
; %bb.431:                              ;   in Loop: Header=BB250_426 Depth=1
	s_delay_alu instid0(VALU_DEP_3) | instskip(NEXT) | instid1(VALU_DEP_1)
	v_clz_i32_u32_e32 v1, v1
	v_min_u32_e32 v1, 32, v1
	s_delay_alu instid0(VALU_DEP_1) | instskip(NEXT) | instid1(VALU_DEP_1)
	v_subrev_nc_u32_e32 v24, 28, v1
	v_lshlrev_b64_e32 v[25:26], v24, v[9:10]
	v_sub_nc_u32_e32 v24, 29, v1
	s_delay_alu instid0(VALU_DEP_2)
	v_and_b32_e32 v1, 7, v25
; %bb.432:                              ;   in Loop: Header=BB250_426 Depth=1
	s_wait_alu 0xfffe
	s_or_b32 exec_lo, exec_lo, s19
	v_lshlrev_b32_e32 v25, 8, v9
	v_lshl_add_u32 v24, v24, 10, 0x2000
	v_lshlrev_b32_e32 v1, 7, v1
	s_delay_alu instid0(VALU_DEP_3) | instskip(NEXT) | instid1(VALU_DEP_3)
	v_and_b32_e32 v25, 0x8000, v25
	v_and_b32_e32 v24, 0xfc00, v24
	s_delay_alu instid0(VALU_DEP_1)
	v_or3_b32 v24, v25, v24, v1
.LBB250_433:                            ;   in Loop: Header=BB250_426 Depth=1
	s_wait_alu 0xfffe
	s_or_b32 exec_lo, exec_lo, s18
.LBB250_434:                            ;   in Loop: Header=BB250_426 Depth=1
	s_wait_alu 0xfffe
	s_or_b32 exec_lo, exec_lo, s17
.LBB250_435:                            ;   in Loop: Header=BB250_426 Depth=1
	s_wait_alu 0xfffe
	s_or_b32 exec_lo, exec_lo, s0
	v_lshrrev_b16 v1, 8, v9
	s_mov_b32 s0, exec_lo
	s_delay_alu instid0(VALU_DEP_1)
	v_cmpx_ne_u16_e32 0, v1
	s_cbranch_execz .LBB250_443
; %bb.436:                              ;   in Loop: Header=BB250_426 Depth=1
	v_bfrev_b32_e32 v23, 1
	s_mov_b32 s17, exec_lo
	v_cmpx_ne_u16_e32 0x80, v1
	s_cbranch_execz .LBB250_442
; %bb.437:                              ;   in Loop: Header=BB250_426 Depth=1
	v_and_b32_e32 v25, 0xffff, v1
	v_mov_b32_e32 v23, 0x7c010000
	s_mov_b32 s18, exec_lo
	s_delay_alu instid0(VALU_DEP_2) | instskip(NEXT) | instid1(VALU_DEP_1)
	v_and_b32_e32 v27, 0x7f, v25
	v_cmpx_ne_u32_e32 0x7f, v27
	s_cbranch_execz .LBB250_441
; %bb.438:                              ;   in Loop: Header=BB250_426 Depth=1
	v_and_b32_e32 v23, 7, v25
	v_lshrrev_b32_e32 v26, 3, v27
	s_mov_b32 s19, exec_lo
	v_cmpx_gt_u32_e32 8, v27
; %bb.439:                              ;   in Loop: Header=BB250_426 Depth=1
	s_delay_alu instid0(VALU_DEP_3) | instskip(NEXT) | instid1(VALU_DEP_1)
	v_clz_i32_u32_e32 v23, v23
	v_min_u32_e32 v23, 32, v23
	s_delay_alu instid0(VALU_DEP_1) | instskip(NEXT) | instid1(VALU_DEP_1)
	v_subrev_nc_u32_e32 v26, 28, v23
	v_lshlrev_b64_e32 v[27:28], v26, v[1:2]
	v_sub_nc_u32_e32 v26, 29, v23
	s_delay_alu instid0(VALU_DEP_2)
	v_and_b32_e32 v23, 7, v27
; %bb.440:                              ;   in Loop: Header=BB250_426 Depth=1
	s_wait_alu 0xfffe
	s_or_b32 exec_lo, exec_lo, s19
	v_lshlrev_b32_e32 v1, 8, v25
	v_lshl_add_u32 v25, v26, 10, 0x2000
	v_lshlrev_b32_e32 v23, 23, v23
	s_delay_alu instid0(VALU_DEP_2) | instskip(NEXT) | instid1(VALU_DEP_1)
	v_and_or_b32 v1, 0x8000, v1, v25
	v_lshl_or_b32 v23, v1, 16, v23
.LBB250_441:                            ;   in Loop: Header=BB250_426 Depth=1
	s_wait_alu 0xfffe
	s_or_b32 exec_lo, exec_lo, s18
.LBB250_442:                            ;   in Loop: Header=BB250_426 Depth=1
	s_wait_alu 0xfffe
	s_or_b32 exec_lo, exec_lo, s17
.LBB250_443:                            ;   in Loop: Header=BB250_426 Depth=1
	s_wait_alu 0xfffe
	s_or_b32 exec_lo, exec_lo, s0
	v_lshrrev_b32_e32 v1, 16, v9
	v_mov_b32_e32 v25, 0
	s_mov_b32 s0, exec_lo
	s_delay_alu instid0(VALU_DEP_2) | instskip(NEXT) | instid1(VALU_DEP_1)
	v_dual_mov_b32 v26, 0 :: v_dual_and_b32 v27, 0xff, v1
	v_cmpx_ne_u16_e32 0, v27
	s_cbranch_execz .LBB250_451
; %bb.444:                              ;   in Loop: Header=BB250_426 Depth=1
	v_mov_b32_e32 v26, 0x8000
	s_mov_b32 s17, exec_lo
	v_cmpx_ne_u16_e32 0x80, v27
	s_cbranch_execz .LBB250_450
; %bb.445:                              ;   in Loop: Header=BB250_426 Depth=1
	v_bfe_u32 v28, v9, 16, 7
	v_mov_b32_e32 v26, 0x7c01
	s_mov_b32 s18, exec_lo
	s_delay_alu instid0(VALU_DEP_2)
	v_cmpx_ne_u32_e32 0x7f, v28
	s_cbranch_execz .LBB250_449
; %bb.446:                              ;   in Loop: Header=BB250_426 Depth=1
	v_and_b32_e32 v26, 7, v1
	v_lshrrev_b32_e32 v27, 3, v28
	s_mov_b32 s19, exec_lo
	v_cmpx_gt_u32_e32 8, v28
; %bb.447:                              ;   in Loop: Header=BB250_426 Depth=1
	s_delay_alu instid0(VALU_DEP_3) | instskip(NEXT) | instid1(VALU_DEP_1)
	v_clz_i32_u32_e32 v26, v26
	v_min_u32_e32 v28, 32, v26
	s_delay_alu instid0(VALU_DEP_1) | instskip(NEXT) | instid1(VALU_DEP_1)
	v_subrev_nc_u32_e32 v26, 28, v28
	v_lshlrev_b64_e32 v[26:27], v26, v[1:2]
	v_sub_nc_u32_e32 v27, 29, v28
	s_delay_alu instid0(VALU_DEP_2)
	v_and_b32_e32 v26, 7, v26
; %bb.448:                              ;   in Loop: Header=BB250_426 Depth=1
	s_wait_alu 0xfffe
	s_or_b32 exec_lo, exec_lo, s19
	v_lshlrev_b32_e32 v1, 8, v1
	v_lshl_add_u32 v27, v27, 10, 0x2000
	v_lshlrev_b32_e32 v26, 7, v26
	s_delay_alu instid0(VALU_DEP_3) | instskip(NEXT) | instid1(VALU_DEP_3)
	v_and_b32_e32 v1, 0x8000, v1
	v_and_b32_e32 v27, 0xfc00, v27
	s_delay_alu instid0(VALU_DEP_1)
	v_or3_b32 v26, v1, v27, v26
.LBB250_449:                            ;   in Loop: Header=BB250_426 Depth=1
	s_wait_alu 0xfffe
	s_or_b32 exec_lo, exec_lo, s18
.LBB250_450:                            ;   in Loop: Header=BB250_426 Depth=1
	s_wait_alu 0xfffe
	s_or_b32 exec_lo, exec_lo, s17
.LBB250_451:                            ;   in Loop: Header=BB250_426 Depth=1
	s_wait_alu 0xfffe
	s_or_b32 exec_lo, exec_lo, s0
	s_delay_alu instid0(SALU_CYCLE_1)
	s_mov_b32 s0, exec_lo
	v_cmpx_lt_u32_e32 0xffffff, v9
	s_cbranch_execz .LBB250_459
; %bb.452:                              ;   in Loop: Header=BB250_426 Depth=1
	v_lshrrev_b32_e32 v1, 24, v9
	v_bfrev_b32_e32 v25, 1
	s_mov_b32 s17, exec_lo
	s_delay_alu instid0(VALU_DEP_2)
	v_cmpx_ne_u32_e32 0x80, v1
	s_cbranch_execz .LBB250_458
; %bb.453:                              ;   in Loop: Header=BB250_426 Depth=1
	v_and_b32_e32 v28, 0x7f, v1
	v_mov_b32_e32 v25, 0x7c010000
	s_mov_b32 s18, exec_lo
	s_delay_alu instid0(VALU_DEP_2)
	v_cmpx_ne_u32_e32 0x7f, v28
	s_cbranch_execz .LBB250_457
; %bb.454:                              ;   in Loop: Header=BB250_426 Depth=1
	v_and_b32_e32 v25, 7, v1
	v_lshrrev_b32_e32 v27, 3, v28
	s_mov_b32 s19, exec_lo
	v_cmpx_gt_u32_e32 8, v28
; %bb.455:                              ;   in Loop: Header=BB250_426 Depth=1
	s_delay_alu instid0(VALU_DEP_3) | instskip(NEXT) | instid1(VALU_DEP_1)
	v_clz_i32_u32_e32 v25, v25
	v_min_u32_e32 v25, 32, v25
	s_delay_alu instid0(VALU_DEP_1) | instskip(NEXT) | instid1(VALU_DEP_1)
	v_subrev_nc_u32_e32 v27, 28, v25
	v_lshlrev_b64_e32 v[37:38], v27, v[1:2]
	v_sub_nc_u32_e32 v27, 29, v25
	s_delay_alu instid0(VALU_DEP_2)
	v_and_b32_e32 v25, 7, v37
; %bb.456:                              ;   in Loop: Header=BB250_426 Depth=1
	s_wait_alu 0xfffe
	s_or_b32 exec_lo, exec_lo, s19
	v_lshlrev_b32_e32 v1, 8, v1
	v_lshl_add_u32 v27, v27, 10, 0x2000
	v_lshlrev_b32_e32 v25, 23, v25
	s_delay_alu instid0(VALU_DEP_2) | instskip(NEXT) | instid1(VALU_DEP_1)
	v_and_or_b32 v1, 0x8000, v1, v27
	v_lshl_or_b32 v25, v1, 16, v25
.LBB250_457:                            ;   in Loop: Header=BB250_426 Depth=1
	s_wait_alu 0xfffe
	s_or_b32 exec_lo, exec_lo, s18
.LBB250_458:                            ;   in Loop: Header=BB250_426 Depth=1
	s_wait_alu 0xfffe
	s_or_b32 exec_lo, exec_lo, s17
.LBB250_459:                            ;   in Loop: Header=BB250_426 Depth=1
	s_wait_alu 0xfffe
	s_or_b32 exec_lo, exec_lo, s0
	v_dual_mov_b32 v28, 0 :: v_dual_and_b32 v37, 0xff, v10
	v_mov_b32_e32 v1, v10
	v_mov_b32_e32 v27, 0
	s_mov_b32 s0, exec_lo
	s_delay_alu instid0(VALU_DEP_3)
	v_cmpx_ne_u16_e32 0, v37
	s_cbranch_execz .LBB250_467
; %bb.460:                              ;   in Loop: Header=BB250_426 Depth=1
	v_mov_b32_e32 v28, 0x8000
	s_mov_b32 s17, exec_lo
	v_cmpx_ne_u16_e32 0x80, v37
	s_cbranch_execz .LBB250_466
; %bb.461:                              ;   in Loop: Header=BB250_426 Depth=1
	v_and_b32_e32 v38, 0x7f, v10
	v_mov_b32_e32 v28, 0x7c01
	s_mov_b32 s18, exec_lo
	s_delay_alu instid0(VALU_DEP_2)
	v_cmpx_ne_u32_e32 0x7f, v38
	s_cbranch_execz .LBB250_465
; %bb.462:                              ;   in Loop: Header=BB250_426 Depth=1
	v_and_b32_e32 v28, 7, v10
	v_lshrrev_b32_e32 v37, 3, v38
	s_mov_b32 s19, exec_lo
	v_cmpx_gt_u32_e32 8, v38
; %bb.463:                              ;   in Loop: Header=BB250_426 Depth=1
	s_delay_alu instid0(VALU_DEP_3) | instskip(NEXT) | instid1(VALU_DEP_1)
	v_clz_i32_u32_e32 v28, v28
	v_min_u32_e32 v28, 32, v28
	s_delay_alu instid0(VALU_DEP_1) | instskip(NEXT) | instid1(VALU_DEP_1)
	v_subrev_nc_u32_e32 v37, 28, v28
	v_lshlrev_b64_e32 v[38:39], v37, v[1:2]
	v_sub_nc_u32_e32 v37, 29, v28
	s_delay_alu instid0(VALU_DEP_2)
	v_and_b32_e32 v28, 7, v38
; %bb.464:                              ;   in Loop: Header=BB250_426 Depth=1
	s_wait_alu 0xfffe
	s_or_b32 exec_lo, exec_lo, s19
	v_lshlrev_b32_e32 v38, 8, v10
	v_lshl_add_u32 v37, v37, 10, 0x2000
	v_lshlrev_b32_e32 v28, 7, v28
	s_delay_alu instid0(VALU_DEP_3) | instskip(NEXT) | instid1(VALU_DEP_3)
	v_and_b32_e32 v38, 0x8000, v38
	v_and_b32_e32 v37, 0xfc00, v37
	s_delay_alu instid0(VALU_DEP_1)
	v_or3_b32 v28, v38, v37, v28
.LBB250_465:                            ;   in Loop: Header=BB250_426 Depth=1
	s_wait_alu 0xfffe
	s_or_b32 exec_lo, exec_lo, s18
.LBB250_466:                            ;   in Loop: Header=BB250_426 Depth=1
	s_wait_alu 0xfffe
	s_or_b32 exec_lo, exec_lo, s17
.LBB250_467:                            ;   in Loop: Header=BB250_426 Depth=1
	s_wait_alu 0xfffe
	s_or_b32 exec_lo, exec_lo, s0
	v_lshrrev_b16 v1, 8, v1
	v_mov_b32_e32 v37, 0
	s_mov_b32 s0, exec_lo
	s_delay_alu instid0(VALU_DEP_2)
	v_cmpx_ne_u16_e32 0, v1
	s_cbranch_execz .LBB250_475
; %bb.468:                              ;   in Loop: Header=BB250_426 Depth=1
	v_bfrev_b32_e32 v37, 1
	s_mov_b32 s17, exec_lo
	v_cmpx_ne_u16_e32 0x80, v1
	s_cbranch_execz .LBB250_474
; %bb.469:                              ;   in Loop: Header=BB250_426 Depth=1
	v_and_b32_e32 v38, 0xffff, v1
	v_mov_b32_e32 v37, 0x7c010000
	s_mov_b32 s18, exec_lo
	s_delay_alu instid0(VALU_DEP_2) | instskip(NEXT) | instid1(VALU_DEP_1)
	v_and_b32_e32 v40, 0x7f, v38
	v_cmpx_ne_u32_e32 0x7f, v40
	s_cbranch_execz .LBB250_473
; %bb.470:                              ;   in Loop: Header=BB250_426 Depth=1
	v_and_b32_e32 v37, 7, v38
	v_lshrrev_b32_e32 v39, 3, v40
	s_mov_b32 s19, exec_lo
	v_cmpx_gt_u32_e32 8, v40
; %bb.471:                              ;   in Loop: Header=BB250_426 Depth=1
	s_delay_alu instid0(VALU_DEP_3) | instskip(NEXT) | instid1(VALU_DEP_1)
	v_clz_i32_u32_e32 v37, v37
	v_min_u32_e32 v37, 32, v37
	s_delay_alu instid0(VALU_DEP_1) | instskip(NEXT) | instid1(VALU_DEP_1)
	v_subrev_nc_u32_e32 v39, 28, v37
	v_lshlrev_b64_e32 v[40:41], v39, v[1:2]
	v_sub_nc_u32_e32 v39, 29, v37
	s_delay_alu instid0(VALU_DEP_2)
	v_and_b32_e32 v37, 7, v40
; %bb.472:                              ;   in Loop: Header=BB250_426 Depth=1
	s_wait_alu 0xfffe
	s_or_b32 exec_lo, exec_lo, s19
	v_lshlrev_b32_e32 v1, 8, v38
	v_lshl_add_u32 v38, v39, 10, 0x2000
	v_lshlrev_b32_e32 v37, 23, v37
	s_delay_alu instid0(VALU_DEP_2) | instskip(NEXT) | instid1(VALU_DEP_1)
	v_and_or_b32 v1, 0x8000, v1, v38
	v_lshl_or_b32 v37, v1, 16, v37
.LBB250_473:                            ;   in Loop: Header=BB250_426 Depth=1
	s_wait_alu 0xfffe
	s_or_b32 exec_lo, exec_lo, s18
.LBB250_474:                            ;   in Loop: Header=BB250_426 Depth=1
	s_wait_alu 0xfffe
	s_or_b32 exec_lo, exec_lo, s17
.LBB250_475:                            ;   in Loop: Header=BB250_426 Depth=1
	s_wait_alu 0xfffe
	s_or_b32 exec_lo, exec_lo, s0
	v_lshrrev_b32_e32 v1, 16, v10
	s_mov_b32 s0, exec_lo
	s_delay_alu instid0(VALU_DEP_1) | instskip(NEXT) | instid1(VALU_DEP_1)
	v_and_b32_e32 v38, 0xff, v1
	v_cmpx_ne_u16_e32 0, v38
	s_cbranch_execz .LBB250_483
; %bb.476:                              ;   in Loop: Header=BB250_426 Depth=1
	v_mov_b32_e32 v27, 0x8000
	s_mov_b32 s17, exec_lo
	v_cmpx_ne_u16_e32 0x80, v38
	s_cbranch_execz .LBB250_482
; %bb.477:                              ;   in Loop: Header=BB250_426 Depth=1
	v_bfe_u32 v39, v10, 16, 7
	v_mov_b32_e32 v27, 0x7c01
	s_mov_b32 s18, exec_lo
	s_delay_alu instid0(VALU_DEP_2)
	v_cmpx_ne_u32_e32 0x7f, v39
	s_cbranch_execz .LBB250_481
; %bb.478:                              ;   in Loop: Header=BB250_426 Depth=1
	v_and_b32_e32 v27, 7, v1
	v_lshrrev_b32_e32 v38, 3, v39
	s_mov_b32 s19, exec_lo
	v_cmpx_gt_u32_e32 8, v39
; %bb.479:                              ;   in Loop: Header=BB250_426 Depth=1
	s_delay_alu instid0(VALU_DEP_3) | instskip(NEXT) | instid1(VALU_DEP_1)
	v_clz_i32_u32_e32 v27, v27
	v_min_u32_e32 v27, 32, v27
	s_delay_alu instid0(VALU_DEP_1) | instskip(NEXT) | instid1(VALU_DEP_1)
	v_subrev_nc_u32_e32 v38, 28, v27
	v_lshlrev_b64_e32 v[39:40], v38, v[1:2]
	v_sub_nc_u32_e32 v38, 29, v27
	s_delay_alu instid0(VALU_DEP_2)
	v_and_b32_e32 v27, 7, v39
; %bb.480:                              ;   in Loop: Header=BB250_426 Depth=1
	s_wait_alu 0xfffe
	s_or_b32 exec_lo, exec_lo, s19
	v_lshlrev_b32_e32 v1, 8, v1
	v_lshl_add_u32 v38, v38, 10, 0x2000
	v_lshlrev_b32_e32 v27, 7, v27
	s_delay_alu instid0(VALU_DEP_3) | instskip(NEXT) | instid1(VALU_DEP_3)
	v_and_b32_e32 v1, 0x8000, v1
	v_and_b32_e32 v38, 0xfc00, v38
	s_delay_alu instid0(VALU_DEP_1)
	v_or3_b32 v27, v1, v38, v27
.LBB250_481:                            ;   in Loop: Header=BB250_426 Depth=1
	s_wait_alu 0xfffe
	s_or_b32 exec_lo, exec_lo, s18
.LBB250_482:                            ;   in Loop: Header=BB250_426 Depth=1
	s_wait_alu 0xfffe
	s_or_b32 exec_lo, exec_lo, s17
.LBB250_483:                            ;   in Loop: Header=BB250_426 Depth=1
	s_wait_alu 0xfffe
	s_or_b32 exec_lo, exec_lo, s0
	v_cmp_lt_u64_e32 vcc_lo, s[2:3], v[9:10]
	v_mov_b32_e32 v9, 0
	s_and_saveexec_b32 s0, vcc_lo
	s_cbranch_execz .LBB250_491
; %bb.484:                              ;   in Loop: Header=BB250_426 Depth=1
	v_lshrrev_b32_e32 v1, 24, v10
	v_bfrev_b32_e32 v9, 1
	s_mov_b32 s17, exec_lo
	s_delay_alu instid0(VALU_DEP_2)
	v_cmpx_ne_u32_e32 0x80, v1
	s_cbranch_execz .LBB250_490
; %bb.485:                              ;   in Loop: Header=BB250_426 Depth=1
	v_and_b32_e32 v38, 0x7f, v1
	v_mov_b32_e32 v9, 0x7c010000
	s_mov_b32 s18, exec_lo
	s_delay_alu instid0(VALU_DEP_2)
	v_cmpx_ne_u32_e32 0x7f, v38
	s_cbranch_execz .LBB250_489
; %bb.486:                              ;   in Loop: Header=BB250_426 Depth=1
	v_and_b32_e32 v9, 7, v1
	v_lshrrev_b32_e32 v10, 3, v38
	s_mov_b32 s19, exec_lo
	v_cmpx_gt_u32_e32 8, v38
; %bb.487:                              ;   in Loop: Header=BB250_426 Depth=1
	s_delay_alu instid0(VALU_DEP_3) | instskip(NEXT) | instid1(VALU_DEP_1)
	v_clz_i32_u32_e32 v9, v9
	v_min_u32_e32 v38, 32, v9
	s_delay_alu instid0(VALU_DEP_1) | instskip(NEXT) | instid1(VALU_DEP_1)
	v_subrev_nc_u32_e32 v9, 28, v38
	v_lshlrev_b64_e32 v[9:10], v9, v[1:2]
	v_sub_nc_u32_e32 v10, 29, v38
	s_delay_alu instid0(VALU_DEP_2)
	v_and_b32_e32 v9, 7, v9
; %bb.488:                              ;   in Loop: Header=BB250_426 Depth=1
	s_wait_alu 0xfffe
	s_or_b32 exec_lo, exec_lo, s19
	v_lshlrev_b32_e32 v1, 8, v1
	v_lshl_add_u32 v10, v10, 10, 0x2000
	v_lshlrev_b32_e32 v9, 23, v9
	s_delay_alu instid0(VALU_DEP_2) | instskip(NEXT) | instid1(VALU_DEP_1)
	v_and_or_b32 v1, 0x8000, v1, v10
	v_lshl_or_b32 v9, v1, 16, v9
.LBB250_489:                            ;   in Loop: Header=BB250_426 Depth=1
	s_wait_alu 0xfffe
	s_or_b32 exec_lo, exec_lo, s18
.LBB250_490:                            ;   in Loop: Header=BB250_426 Depth=1
	s_wait_alu 0xfffe
	s_or_b32 exec_lo, exec_lo, s17
.LBB250_491:                            ;   in Loop: Header=BB250_426 Depth=1
	s_wait_alu 0xfffe
	s_or_b32 exec_lo, exec_lo, s0
	v_or_b32_e32 v1, v25, v26
	v_fma_mixlo_f16 v10, v22, v25, 0 op_sel:[0,1,0] op_sel_hi:[0,1,0]
	v_or_b32_e32 v24, v23, v24
	v_fma_mixlo_f16 v23, v22, v23, 0 op_sel:[0,1,0] op_sel_hi:[0,1,0]
	v_or_b32_e32 v25, v37, v28
	v_fma_mixlo_f16 v1, v22, v1, 0 op_sel_hi:[0,1,0]
	v_or_b32_e32 v26, v9, v27
	v_fma_mixlo_f16 v9, v22, v9, 0 op_sel:[0,1,0] op_sel_hi:[0,1,0]
	v_lshlrev_b32_e32 v43, 16, v23
	v_fma_mixlo_f16 v23, v22, v24, 0 op_sel_hi:[0,1,0]
	v_and_b32_e32 v40, 0xffff, v1
	v_fma_mixlo_f16 v1, v22, v37, 0 op_sel:[0,1,0] op_sel_hi:[0,1,0]
	v_fma_mixlo_f16 v24, v22, v25, 0 op_sel_hi:[0,1,0]
	v_fma_mixlo_f16 v22, v22, v26, 0 op_sel_hi:[0,1,0]
	v_lshlrev_b32_e32 v10, 16, v10
	v_and_b32_e32 v45, 0xffff, v23
	v_lshlrev_b32_e32 v41, 16, v1
	v_and_b32_e32 v44, 0xffff, v24
	v_lshlrev_b32_e32 v38, 16, v9
	v_and_b32_e32 v42, 0xffff, v22
	v_cmp_eq_u32_e32 vcc_lo, s36, v13
	v_or_b32_e32 v1, v10, v40
	v_or_b32_e32 v9, v43, v45
	;; [unrolled: 1-line block ×4, first 2 shown]
	v_add_nc_u32_e32 v28, 1, v12
	v_add_nc_u32_e32 v27, 2, v12
	;; [unrolled: 1-line block ×7, first 2 shown]
	s_and_saveexec_b32 s17, vcc_lo
	s_cbranch_execz .LBB250_493
; %bb.492:                              ;   in Loop: Header=BB250_426 Depth=1
	v_cmp_gt_i32_e64 s0, s34, v12
	s_wait_alu 0xf1ff
	s_delay_alu instid0(VALU_DEP_1) | instskip(SKIP_2) | instid1(VALU_DEP_1)
	v_cndmask_b32_e64 v1, 0, v45, s0
	v_cmp_gt_i32_e64 s0, s34, v28
	s_wait_alu 0xf1ff
	v_cndmask_b32_e64 v9, 0, v43, s0
	v_cmp_gt_i32_e64 s0, s34, v27
	s_delay_alu instid0(VALU_DEP_2) | instskip(SKIP_1) | instid1(VALU_DEP_2)
	v_or_b32_e32 v9, v9, v1
	s_wait_alu 0xf1ff
	v_cndmask_b32_e64 v37, 0, v40, s0
	v_cmp_gt_i32_e64 s0, s34, v26
	s_wait_alu 0xf1ff
	s_delay_alu instid0(VALU_DEP_1) | instskip(SKIP_1) | instid1(VALU_DEP_2)
	v_cndmask_b32_e64 v10, 0, v10, s0
	v_cmp_gt_i32_e64 s0, s34, v25
	v_or_b32_e32 v1, v10, v37
	s_wait_alu 0xf1ff
	s_delay_alu instid0(VALU_DEP_2) | instskip(SKIP_2) | instid1(VALU_DEP_1)
	v_cndmask_b32_e64 v39, 0, v44, s0
	v_cmp_gt_i32_e64 s0, s34, v24
	s_wait_alu 0xf1ff
	v_cndmask_b32_e64 v40, 0, v41, s0
	v_cmp_gt_i32_e64 s0, s34, v23
	s_delay_alu instid0(VALU_DEP_2) | instskip(SKIP_1) | instid1(VALU_DEP_2)
	v_or_b32_e32 v37, v40, v39
	s_wait_alu 0xf1ff
	v_cndmask_b32_e64 v41, 0, v42, s0
	v_cmp_gt_i32_e64 s0, s34, v22
	s_wait_alu 0xf1ff
	s_delay_alu instid0(VALU_DEP_1) | instskip(NEXT) | instid1(VALU_DEP_1)
	v_cndmask_b32_e64 v38, 0, v38, s0
	v_or_b32_e32 v39, v38, v41
.LBB250_493:                            ;   in Loop: Header=BB250_426 Depth=1
	s_wait_alu 0xfffe
	s_or_b32 exec_lo, exec_lo, s17
	v_and_b32_e32 v10, 0xffff, v29
	v_and_b32_e32 v29, 0xffff, v33
	v_and_b32_e32 v38, 0xffff, v34
	v_and_b32_e32 v36, 0xffff, v36
	s_mov_b32 s17, exec_lo
	v_lshl_or_b32 v34, v30, 16, v10
	v_lshl_or_b32 v33, v31, 16, v29
	;;#ASMSTART
	v_pk_mul_f16 v9, v34, v9;

	;;#ASMEND
	;;#ASMSTART
	v_pk_mul_f16 v1, v33, v1;

	;;#ASMEND
	v_lshl_or_b32 v32, v32, 16, v38
	v_lshl_or_b32 v31, v35, 16, v36
	;;#ASMSTART
	v_pk_mul_f16 v10, v32, v37;

	;;#ASMEND
	;;#ASMSTART
	v_pk_mul_f16 v29, v31, v39;

	;;#ASMEND
	;;#ASMSTART
	v_pk_add_f16 v1, v9, v1;

	;;#ASMEND
	;;#ASMSTART
	v_pk_add_f16 v1, v1, v10;
	;; [unrolled: 4-line block ×3, first 2 shown]

	;;#ASMEND
	v_and_b32_e32 v9, 0xffff, v1
	v_lshrrev_b32_e32 v1, 16, v1
	;;#ASMSTART
	v_cvt_f32_f16 v29, v9;
	;;#ASMEND
	;;#ASMSTART
	v_cvt_f32_f16 v30, v1;
	;;#ASMEND
	global_load_b64 v[9:10], v[7:8], off offset:256
	v_dual_mov_b32 v36, 0 :: v_dual_mov_b32 v37, 0
	global_load_b32 v35, v36, s[10:11]
	s_wait_loadcnt 0x1
	v_and_b32_e32 v1, 0xff, v9
	s_delay_alu instid0(VALU_DEP_1)
	v_cmpx_ne_u16_e32 0, v1
	s_cbranch_execz .LBB250_501
; %bb.494:                              ;   in Loop: Header=BB250_426 Depth=1
	v_mov_b32_e32 v37, 0x8000
	s_mov_b32 s18, exec_lo
	v_cmpx_ne_u16_e32 0x80, v1
	s_cbranch_execz .LBB250_500
; %bb.495:                              ;   in Loop: Header=BB250_426 Depth=1
	v_and_b32_e32 v38, 0x7f, v9
	v_mov_b32_e32 v37, 0x7c01
	s_mov_b32 s19, exec_lo
	s_delay_alu instid0(VALU_DEP_2)
	v_cmpx_ne_u32_e32 0x7f, v38
	s_cbranch_execz .LBB250_499
; %bb.496:                              ;   in Loop: Header=BB250_426 Depth=1
	v_and_b32_e32 v1, 7, v9
	v_lshrrev_b32_e32 v37, 3, v38
	s_mov_b32 s24, exec_lo
	v_cmpx_gt_u32_e32 8, v38
; %bb.497:                              ;   in Loop: Header=BB250_426 Depth=1
	s_delay_alu instid0(VALU_DEP_3) | instskip(NEXT) | instid1(VALU_DEP_1)
	v_clz_i32_u32_e32 v1, v1
	v_min_u32_e32 v1, 32, v1
	s_delay_alu instid0(VALU_DEP_1) | instskip(NEXT) | instid1(VALU_DEP_1)
	v_subrev_nc_u32_e32 v37, 28, v1
	v_lshlrev_b64_e32 v[38:39], v37, v[9:10]
	v_sub_nc_u32_e32 v37, 29, v1
	s_delay_alu instid0(VALU_DEP_2)
	v_and_b32_e32 v1, 7, v38
; %bb.498:                              ;   in Loop: Header=BB250_426 Depth=1
	s_wait_alu 0xfffe
	s_or_b32 exec_lo, exec_lo, s24
	v_lshlrev_b32_e32 v38, 8, v9
	v_lshl_add_u32 v37, v37, 10, 0x2000
	v_lshlrev_b32_e32 v1, 7, v1
	s_delay_alu instid0(VALU_DEP_3) | instskip(NEXT) | instid1(VALU_DEP_3)
	v_and_b32_e32 v38, 0x8000, v38
	v_and_b32_e32 v37, 0xfc00, v37
	s_delay_alu instid0(VALU_DEP_1)
	v_or3_b32 v37, v38, v37, v1
.LBB250_499:                            ;   in Loop: Header=BB250_426 Depth=1
	s_wait_alu 0xfffe
	s_or_b32 exec_lo, exec_lo, s19
.LBB250_500:                            ;   in Loop: Header=BB250_426 Depth=1
	s_wait_alu 0xfffe
	s_or_b32 exec_lo, exec_lo, s18
.LBB250_501:                            ;   in Loop: Header=BB250_426 Depth=1
	s_wait_alu 0xfffe
	s_or_b32 exec_lo, exec_lo, s17
	v_lshrrev_b16 v1, 8, v9
	s_mov_b32 s17, exec_lo
	s_delay_alu instid0(VALU_DEP_1)
	v_cmpx_ne_u16_e32 0, v1
	s_cbranch_execz .LBB250_509
; %bb.502:                              ;   in Loop: Header=BB250_426 Depth=1
	v_bfrev_b32_e32 v36, 1
	s_mov_b32 s18, exec_lo
	v_cmpx_ne_u16_e32 0x80, v1
	s_cbranch_execz .LBB250_508
; %bb.503:                              ;   in Loop: Header=BB250_426 Depth=1
	v_and_b32_e32 v38, 0xffff, v1
	v_mov_b32_e32 v36, 0x7c010000
	s_mov_b32 s19, exec_lo
	s_delay_alu instid0(VALU_DEP_2) | instskip(NEXT) | instid1(VALU_DEP_1)
	v_and_b32_e32 v40, 0x7f, v38
	v_cmpx_ne_u32_e32 0x7f, v40
	s_cbranch_execz .LBB250_507
; %bb.504:                              ;   in Loop: Header=BB250_426 Depth=1
	v_and_b32_e32 v36, 7, v38
	v_lshrrev_b32_e32 v39, 3, v40
	s_mov_b32 s24, exec_lo
	v_cmpx_gt_u32_e32 8, v40
; %bb.505:                              ;   in Loop: Header=BB250_426 Depth=1
	s_delay_alu instid0(VALU_DEP_3) | instskip(NEXT) | instid1(VALU_DEP_1)
	v_clz_i32_u32_e32 v36, v36
	v_min_u32_e32 v36, 32, v36
	s_delay_alu instid0(VALU_DEP_1) | instskip(NEXT) | instid1(VALU_DEP_1)
	v_subrev_nc_u32_e32 v39, 28, v36
	v_lshlrev_b64_e32 v[40:41], v39, v[1:2]
	v_sub_nc_u32_e32 v39, 29, v36
	s_delay_alu instid0(VALU_DEP_2)
	v_and_b32_e32 v36, 7, v40
; %bb.506:                              ;   in Loop: Header=BB250_426 Depth=1
	s_wait_alu 0xfffe
	s_or_b32 exec_lo, exec_lo, s24
	v_lshlrev_b32_e32 v1, 8, v38
	v_lshl_add_u32 v38, v39, 10, 0x2000
	v_lshlrev_b32_e32 v36, 23, v36
	s_delay_alu instid0(VALU_DEP_2) | instskip(NEXT) | instid1(VALU_DEP_1)
	v_and_or_b32 v1, 0x8000, v1, v38
	v_lshl_or_b32 v36, v1, 16, v36
.LBB250_507:                            ;   in Loop: Header=BB250_426 Depth=1
	s_wait_alu 0xfffe
	s_or_b32 exec_lo, exec_lo, s19
.LBB250_508:                            ;   in Loop: Header=BB250_426 Depth=1
	s_wait_alu 0xfffe
	s_or_b32 exec_lo, exec_lo, s18
.LBB250_509:                            ;   in Loop: Header=BB250_426 Depth=1
	s_wait_alu 0xfffe
	s_or_b32 exec_lo, exec_lo, s17
	v_lshrrev_b32_e32 v1, 16, v9
	v_mov_b32_e32 v38, 0
	s_mov_b32 s17, exec_lo
	s_delay_alu instid0(VALU_DEP_2) | instskip(NEXT) | instid1(VALU_DEP_1)
	v_dual_mov_b32 v39, 0 :: v_dual_and_b32 v40, 0xff, v1
	v_cmpx_ne_u16_e32 0, v40
	s_cbranch_execz .LBB250_517
; %bb.510:                              ;   in Loop: Header=BB250_426 Depth=1
	v_mov_b32_e32 v39, 0x8000
	s_mov_b32 s18, exec_lo
	v_cmpx_ne_u16_e32 0x80, v40
	s_cbranch_execz .LBB250_516
; %bb.511:                              ;   in Loop: Header=BB250_426 Depth=1
	v_bfe_u32 v41, v9, 16, 7
	v_mov_b32_e32 v39, 0x7c01
	s_mov_b32 s19, exec_lo
	s_delay_alu instid0(VALU_DEP_2)
	v_cmpx_ne_u32_e32 0x7f, v41
	s_cbranch_execz .LBB250_515
; %bb.512:                              ;   in Loop: Header=BB250_426 Depth=1
	v_and_b32_e32 v39, 7, v1
	v_lshrrev_b32_e32 v40, 3, v41
	s_mov_b32 s24, exec_lo
	v_cmpx_gt_u32_e32 8, v41
; %bb.513:                              ;   in Loop: Header=BB250_426 Depth=1
	s_delay_alu instid0(VALU_DEP_3) | instskip(NEXT) | instid1(VALU_DEP_1)
	v_clz_i32_u32_e32 v39, v39
	v_min_u32_e32 v41, 32, v39
	s_delay_alu instid0(VALU_DEP_1) | instskip(NEXT) | instid1(VALU_DEP_1)
	v_subrev_nc_u32_e32 v39, 28, v41
	v_lshlrev_b64_e32 v[39:40], v39, v[1:2]
	v_sub_nc_u32_e32 v40, 29, v41
	s_delay_alu instid0(VALU_DEP_2)
	v_and_b32_e32 v39, 7, v39
; %bb.514:                              ;   in Loop: Header=BB250_426 Depth=1
	s_wait_alu 0xfffe
	s_or_b32 exec_lo, exec_lo, s24
	v_lshlrev_b32_e32 v1, 8, v1
	v_lshl_add_u32 v40, v40, 10, 0x2000
	v_lshlrev_b32_e32 v39, 7, v39
	s_delay_alu instid0(VALU_DEP_3) | instskip(NEXT) | instid1(VALU_DEP_3)
	v_and_b32_e32 v1, 0x8000, v1
	v_and_b32_e32 v40, 0xfc00, v40
	s_delay_alu instid0(VALU_DEP_1)
	v_or3_b32 v39, v1, v40, v39
.LBB250_515:                            ;   in Loop: Header=BB250_426 Depth=1
	s_wait_alu 0xfffe
	s_or_b32 exec_lo, exec_lo, s19
.LBB250_516:                            ;   in Loop: Header=BB250_426 Depth=1
	s_wait_alu 0xfffe
	s_or_b32 exec_lo, exec_lo, s18
.LBB250_517:                            ;   in Loop: Header=BB250_426 Depth=1
	s_wait_alu 0xfffe
	s_or_b32 exec_lo, exec_lo, s17
	s_delay_alu instid0(SALU_CYCLE_1)
	s_mov_b32 s17, exec_lo
	v_cmpx_lt_u32_e32 0xffffff, v9
	s_cbranch_execz .LBB250_525
; %bb.518:                              ;   in Loop: Header=BB250_426 Depth=1
	v_lshrrev_b32_e32 v1, 24, v9
	v_bfrev_b32_e32 v38, 1
	s_mov_b32 s18, exec_lo
	s_delay_alu instid0(VALU_DEP_2)
	v_cmpx_ne_u32_e32 0x80, v1
	s_cbranch_execz .LBB250_524
; %bb.519:                              ;   in Loop: Header=BB250_426 Depth=1
	v_and_b32_e32 v41, 0x7f, v1
	v_mov_b32_e32 v38, 0x7c010000
	s_mov_b32 s19, exec_lo
	s_delay_alu instid0(VALU_DEP_2)
	v_cmpx_ne_u32_e32 0x7f, v41
	s_cbranch_execz .LBB250_523
; %bb.520:                              ;   in Loop: Header=BB250_426 Depth=1
	v_and_b32_e32 v38, 7, v1
	v_lshrrev_b32_e32 v40, 3, v41
	s_mov_b32 s24, exec_lo
	v_cmpx_gt_u32_e32 8, v41
; %bb.521:                              ;   in Loop: Header=BB250_426 Depth=1
	s_delay_alu instid0(VALU_DEP_3) | instskip(NEXT) | instid1(VALU_DEP_1)
	v_clz_i32_u32_e32 v38, v38
	v_min_u32_e32 v38, 32, v38
	s_delay_alu instid0(VALU_DEP_1) | instskip(NEXT) | instid1(VALU_DEP_1)
	v_subrev_nc_u32_e32 v40, 28, v38
	v_lshlrev_b64_e32 v[41:42], v40, v[1:2]
	v_sub_nc_u32_e32 v40, 29, v38
	s_delay_alu instid0(VALU_DEP_2)
	v_and_b32_e32 v38, 7, v41
; %bb.522:                              ;   in Loop: Header=BB250_426 Depth=1
	s_wait_alu 0xfffe
	s_or_b32 exec_lo, exec_lo, s24
	v_lshlrev_b32_e32 v1, 8, v1
	v_lshl_add_u32 v40, v40, 10, 0x2000
	v_lshlrev_b32_e32 v38, 23, v38
	s_delay_alu instid0(VALU_DEP_2) | instskip(NEXT) | instid1(VALU_DEP_1)
	v_and_or_b32 v1, 0x8000, v1, v40
	v_lshl_or_b32 v38, v1, 16, v38
.LBB250_523:                            ;   in Loop: Header=BB250_426 Depth=1
	s_wait_alu 0xfffe
	s_or_b32 exec_lo, exec_lo, s19
.LBB250_524:                            ;   in Loop: Header=BB250_426 Depth=1
	s_wait_alu 0xfffe
	s_or_b32 exec_lo, exec_lo, s18
.LBB250_525:                            ;   in Loop: Header=BB250_426 Depth=1
	s_wait_alu 0xfffe
	s_or_b32 exec_lo, exec_lo, s17
	v_dual_mov_b32 v1, v10 :: v_dual_and_b32 v42, 0xff, v10
	v_dual_mov_b32 v40, 0 :: v_dual_mov_b32 v41, 0
	s_mov_b32 s17, exec_lo
	s_delay_alu instid0(VALU_DEP_2)
	v_cmpx_ne_u16_e32 0, v42
	s_cbranch_execz .LBB250_533
; %bb.526:                              ;   in Loop: Header=BB250_426 Depth=1
	v_mov_b32_e32 v41, 0x8000
	s_mov_b32 s18, exec_lo
	v_cmpx_ne_u16_e32 0x80, v42
	s_cbranch_execz .LBB250_532
; %bb.527:                              ;   in Loop: Header=BB250_426 Depth=1
	v_and_b32_e32 v43, 0x7f, v10
	v_mov_b32_e32 v41, 0x7c01
	s_mov_b32 s19, exec_lo
	s_delay_alu instid0(VALU_DEP_2)
	v_cmpx_ne_u32_e32 0x7f, v43
	s_cbranch_execz .LBB250_531
; %bb.528:                              ;   in Loop: Header=BB250_426 Depth=1
	v_and_b32_e32 v41, 7, v10
	v_lshrrev_b32_e32 v42, 3, v43
	s_mov_b32 s24, exec_lo
	v_cmpx_gt_u32_e32 8, v43
; %bb.529:                              ;   in Loop: Header=BB250_426 Depth=1
	s_delay_alu instid0(VALU_DEP_3) | instskip(NEXT) | instid1(VALU_DEP_1)
	v_clz_i32_u32_e32 v41, v41
	v_min_u32_e32 v43, 32, v41
	s_delay_alu instid0(VALU_DEP_1) | instskip(NEXT) | instid1(VALU_DEP_1)
	v_subrev_nc_u32_e32 v41, 28, v43
	v_lshlrev_b64_e32 v[41:42], v41, v[1:2]
	v_sub_nc_u32_e32 v42, 29, v43
	s_delay_alu instid0(VALU_DEP_2)
	v_and_b32_e32 v41, 7, v41
; %bb.530:                              ;   in Loop: Header=BB250_426 Depth=1
	s_wait_alu 0xfffe
	s_or_b32 exec_lo, exec_lo, s24
	v_lshlrev_b32_e32 v43, 8, v10
	v_lshl_add_u32 v42, v42, 10, 0x2000
	v_lshlrev_b32_e32 v41, 7, v41
	s_delay_alu instid0(VALU_DEP_3) | instskip(NEXT) | instid1(VALU_DEP_3)
	v_and_b32_e32 v43, 0x8000, v43
	v_and_b32_e32 v42, 0xfc00, v42
	s_delay_alu instid0(VALU_DEP_1)
	v_or3_b32 v41, v43, v42, v41
.LBB250_531:                            ;   in Loop: Header=BB250_426 Depth=1
	s_wait_alu 0xfffe
	s_or_b32 exec_lo, exec_lo, s19
.LBB250_532:                            ;   in Loop: Header=BB250_426 Depth=1
	s_wait_alu 0xfffe
	s_or_b32 exec_lo, exec_lo, s18
.LBB250_533:                            ;   in Loop: Header=BB250_426 Depth=1
	s_wait_alu 0xfffe
	s_or_b32 exec_lo, exec_lo, s17
	v_lshrrev_b16 v1, 8, v1
	v_mov_b32_e32 v42, 0
	s_mov_b32 s17, exec_lo
	s_delay_alu instid0(VALU_DEP_2)
	v_cmpx_ne_u16_e32 0, v1
	s_cbranch_execz .LBB250_541
; %bb.534:                              ;   in Loop: Header=BB250_426 Depth=1
	v_bfrev_b32_e32 v42, 1
	s_mov_b32 s18, exec_lo
	v_cmpx_ne_u16_e32 0x80, v1
	s_cbranch_execz .LBB250_540
; %bb.535:                              ;   in Loop: Header=BB250_426 Depth=1
	v_and_b32_e32 v43, 0xffff, v1
	v_mov_b32_e32 v42, 0x7c010000
	s_mov_b32 s19, exec_lo
	s_delay_alu instid0(VALU_DEP_2) | instskip(NEXT) | instid1(VALU_DEP_1)
	v_and_b32_e32 v45, 0x7f, v43
	v_cmpx_ne_u32_e32 0x7f, v45
	s_cbranch_execz .LBB250_539
; %bb.536:                              ;   in Loop: Header=BB250_426 Depth=1
	v_and_b32_e32 v42, 7, v43
	v_lshrrev_b32_e32 v44, 3, v45
	s_mov_b32 s24, exec_lo
	v_cmpx_gt_u32_e32 8, v45
; %bb.537:                              ;   in Loop: Header=BB250_426 Depth=1
	s_delay_alu instid0(VALU_DEP_3) | instskip(NEXT) | instid1(VALU_DEP_1)
	v_clz_i32_u32_e32 v42, v42
	v_min_u32_e32 v42, 32, v42
	s_delay_alu instid0(VALU_DEP_1) | instskip(NEXT) | instid1(VALU_DEP_1)
	v_subrev_nc_u32_e32 v44, 28, v42
	v_lshlrev_b64_e32 v[45:46], v44, v[1:2]
	v_sub_nc_u32_e32 v44, 29, v42
	s_delay_alu instid0(VALU_DEP_2)
	v_and_b32_e32 v42, 7, v45
; %bb.538:                              ;   in Loop: Header=BB250_426 Depth=1
	s_wait_alu 0xfffe
	s_or_b32 exec_lo, exec_lo, s24
	v_lshlrev_b32_e32 v1, 8, v43
	v_lshl_add_u32 v43, v44, 10, 0x2000
	v_lshlrev_b32_e32 v42, 23, v42
	s_delay_alu instid0(VALU_DEP_2) | instskip(NEXT) | instid1(VALU_DEP_1)
	v_and_or_b32 v1, 0x8000, v1, v43
	v_lshl_or_b32 v42, v1, 16, v42
.LBB250_539:                            ;   in Loop: Header=BB250_426 Depth=1
	s_wait_alu 0xfffe
	s_or_b32 exec_lo, exec_lo, s19
.LBB250_540:                            ;   in Loop: Header=BB250_426 Depth=1
	s_wait_alu 0xfffe
	s_or_b32 exec_lo, exec_lo, s18
.LBB250_541:                            ;   in Loop: Header=BB250_426 Depth=1
	s_wait_alu 0xfffe
	s_or_b32 exec_lo, exec_lo, s17
	v_lshrrev_b32_e32 v1, 16, v10
	s_mov_b32 s17, exec_lo
	s_delay_alu instid0(VALU_DEP_1) | instskip(NEXT) | instid1(VALU_DEP_1)
	v_and_b32_e32 v43, 0xff, v1
	v_cmpx_ne_u16_e32 0, v43
	s_cbranch_execz .LBB250_549
; %bb.542:                              ;   in Loop: Header=BB250_426 Depth=1
	v_mov_b32_e32 v40, 0x8000
	s_mov_b32 s18, exec_lo
	v_cmpx_ne_u16_e32 0x80, v43
	s_cbranch_execz .LBB250_548
; %bb.543:                              ;   in Loop: Header=BB250_426 Depth=1
	v_bfe_u32 v44, v10, 16, 7
	v_mov_b32_e32 v40, 0x7c01
	s_mov_b32 s19, exec_lo
	s_delay_alu instid0(VALU_DEP_2)
	v_cmpx_ne_u32_e32 0x7f, v44
	s_cbranch_execz .LBB250_547
; %bb.544:                              ;   in Loop: Header=BB250_426 Depth=1
	v_and_b32_e32 v40, 7, v1
	v_lshrrev_b32_e32 v43, 3, v44
	s_mov_b32 s24, exec_lo
	v_cmpx_gt_u32_e32 8, v44
; %bb.545:                              ;   in Loop: Header=BB250_426 Depth=1
	s_delay_alu instid0(VALU_DEP_3) | instskip(NEXT) | instid1(VALU_DEP_1)
	v_clz_i32_u32_e32 v40, v40
	v_min_u32_e32 v40, 32, v40
	s_delay_alu instid0(VALU_DEP_1) | instskip(NEXT) | instid1(VALU_DEP_1)
	v_subrev_nc_u32_e32 v43, 28, v40
	v_lshlrev_b64_e32 v[44:45], v43, v[1:2]
	v_sub_nc_u32_e32 v43, 29, v40
	s_delay_alu instid0(VALU_DEP_2)
	v_and_b32_e32 v40, 7, v44
; %bb.546:                              ;   in Loop: Header=BB250_426 Depth=1
	s_wait_alu 0xfffe
	s_or_b32 exec_lo, exec_lo, s24
	v_lshlrev_b32_e32 v1, 8, v1
	v_lshl_add_u32 v43, v43, 10, 0x2000
	v_lshlrev_b32_e32 v40, 7, v40
	s_delay_alu instid0(VALU_DEP_3) | instskip(NEXT) | instid1(VALU_DEP_3)
	v_and_b32_e32 v1, 0x8000, v1
	v_and_b32_e32 v43, 0xfc00, v43
	s_delay_alu instid0(VALU_DEP_1)
	v_or3_b32 v40, v1, v43, v40
.LBB250_547:                            ;   in Loop: Header=BB250_426 Depth=1
	s_wait_alu 0xfffe
	s_or_b32 exec_lo, exec_lo, s19
.LBB250_548:                            ;   in Loop: Header=BB250_426 Depth=1
	s_wait_alu 0xfffe
	s_or_b32 exec_lo, exec_lo, s18
.LBB250_549:                            ;   in Loop: Header=BB250_426 Depth=1
	s_wait_alu 0xfffe
	s_or_b32 exec_lo, exec_lo, s17
	v_cmp_lt_u64_e64 s0, s[2:3], v[9:10]
	v_mov_b32_e32 v9, 0
	s_and_saveexec_b32 s17, s0
	s_cbranch_execz .LBB250_557
; %bb.550:                              ;   in Loop: Header=BB250_426 Depth=1
	v_lshrrev_b32_e32 v1, 24, v10
	v_bfrev_b32_e32 v9, 1
	s_mov_b32 s18, exec_lo
	s_delay_alu instid0(VALU_DEP_2)
	v_cmpx_ne_u32_e32 0x80, v1
	s_cbranch_execz .LBB250_556
; %bb.551:                              ;   in Loop: Header=BB250_426 Depth=1
	v_and_b32_e32 v43, 0x7f, v1
	v_mov_b32_e32 v9, 0x7c010000
	s_mov_b32 s19, exec_lo
	s_delay_alu instid0(VALU_DEP_2)
	v_cmpx_ne_u32_e32 0x7f, v43
	s_cbranch_execz .LBB250_555
; %bb.552:                              ;   in Loop: Header=BB250_426 Depth=1
	v_and_b32_e32 v9, 7, v1
	v_lshrrev_b32_e32 v10, 3, v43
	s_mov_b32 s24, exec_lo
	v_cmpx_gt_u32_e32 8, v43
; %bb.553:                              ;   in Loop: Header=BB250_426 Depth=1
	s_delay_alu instid0(VALU_DEP_3) | instskip(NEXT) | instid1(VALU_DEP_1)
	v_clz_i32_u32_e32 v9, v9
	v_min_u32_e32 v43, 32, v9
	s_delay_alu instid0(VALU_DEP_1) | instskip(NEXT) | instid1(VALU_DEP_1)
	v_subrev_nc_u32_e32 v9, 28, v43
	v_lshlrev_b64_e32 v[9:10], v9, v[1:2]
	v_sub_nc_u32_e32 v10, 29, v43
	s_delay_alu instid0(VALU_DEP_2)
	v_and_b32_e32 v9, 7, v9
; %bb.554:                              ;   in Loop: Header=BB250_426 Depth=1
	s_wait_alu 0xfffe
	s_or_b32 exec_lo, exec_lo, s24
	v_lshlrev_b32_e32 v1, 8, v1
	v_lshl_add_u32 v10, v10, 10, 0x2000
	v_lshlrev_b32_e32 v9, 23, v9
	s_delay_alu instid0(VALU_DEP_2) | instskip(NEXT) | instid1(VALU_DEP_1)
	v_and_or_b32 v1, 0x8000, v1, v10
	v_lshl_or_b32 v9, v1, 16, v9
.LBB250_555:                            ;   in Loop: Header=BB250_426 Depth=1
	s_wait_alu 0xfffe
	s_or_b32 exec_lo, exec_lo, s19
.LBB250_556:                            ;   in Loop: Header=BB250_426 Depth=1
	s_wait_alu 0xfffe
	s_or_b32 exec_lo, exec_lo, s18
.LBB250_557:                            ;   in Loop: Header=BB250_426 Depth=1
	s_wait_alu 0xfffe
	s_or_b32 exec_lo, exec_lo, s17
	v_or_b32_e32 v1, v38, v39
	s_wait_loadcnt 0x0
	v_fma_mixlo_f16 v10, v35, v38, 0 op_sel:[0,1,0] op_sel_hi:[0,1,0]
	v_or_b32_e32 v38, v36, v37
	v_fma_mixlo_f16 v36, v35, v36, 0 op_sel:[0,1,0] op_sel_hi:[0,1,0]
	v_or_b32_e32 v39, v42, v41
	v_or_b32_e32 v40, v9, v40
	v_fma_mixlo_f16 v41, v35, v1, 0 op_sel_hi:[0,1,0]
	v_fma_mixlo_f16 v9, v35, v9, 0 op_sel:[0,1,0] op_sel_hi:[0,1,0]
	v_lshlrev_b32_e32 v37, 16, v36
	v_fma_mixlo_f16 v36, v35, v38, 0 op_sel_hi:[0,1,0]
	v_fma_mixlo_f16 v38, v35, v42, 0 op_sel:[0,1,0] op_sel_hi:[0,1,0]
	v_fma_mixlo_f16 v39, v35, v39, 0 op_sel_hi:[0,1,0]
	v_fma_mixlo_f16 v40, v35, v40, 0 op_sel_hi:[0,1,0]
	v_lshlrev_b32_e32 v1, 16, v10
	v_and_b32_e32 v10, 0xffff, v41
	v_and_b32_e32 v43, 0xffff, v36
	v_lshlrev_b32_e32 v35, 16, v38
	v_and_b32_e32 v39, 0xffff, v39
	v_lshlrev_b32_e32 v9, 16, v9
	v_and_b32_e32 v36, 0xffff, v40
	v_or_b32_e32 v38, v1, v10
	v_or_b32_e32 v42, v37, v43
	;; [unrolled: 1-line block ×3, first 2 shown]
	s_delay_alu instid0(VALU_DEP_4)
	v_or_b32_e32 v40, v9, v36
	s_and_saveexec_b32 s17, vcc_lo
	s_cbranch_execz .LBB250_559
; %bb.558:                              ;   in Loop: Header=BB250_426 Depth=1
	v_cmp_gt_i32_e64 s0, s34, v12
	s_wait_alu 0xf1ff
	s_delay_alu instid0(VALU_DEP_1) | instskip(SKIP_2) | instid1(VALU_DEP_1)
	v_cndmask_b32_e64 v38, 0, v43, s0
	v_cmp_gt_i32_e64 s0, s34, v28
	s_wait_alu 0xf1ff
	v_cndmask_b32_e64 v37, 0, v37, s0
	v_cmp_gt_i32_e64 s0, s34, v27
	s_delay_alu instid0(VALU_DEP_2) | instskip(SKIP_1) | instid1(VALU_DEP_2)
	v_or_b32_e32 v42, v37, v38
	s_wait_alu 0xf1ff
	v_cndmask_b32_e64 v10, 0, v10, s0
	v_cmp_gt_i32_e64 s0, s34, v26
	s_wait_alu 0xf1ff
	s_delay_alu instid0(VALU_DEP_1) | instskip(SKIP_1) | instid1(VALU_DEP_2)
	v_cndmask_b32_e64 v1, 0, v1, s0
	v_cmp_gt_i32_e64 s0, s34, v25
	v_or_b32_e32 v38, v1, v10
	s_wait_alu 0xf1ff
	s_delay_alu instid0(VALU_DEP_2) | instskip(SKIP_2) | instid1(VALU_DEP_1)
	v_cndmask_b32_e64 v39, 0, v39, s0
	v_cmp_gt_i32_e64 s0, s34, v24
	s_wait_alu 0xf1ff
	v_cndmask_b32_e64 v35, 0, v35, s0
	v_cmp_gt_i32_e64 s0, s34, v23
	s_delay_alu instid0(VALU_DEP_2) | instskip(SKIP_1) | instid1(VALU_DEP_2)
	v_or_b32_e32 v41, v35, v39
	s_wait_alu 0xf1ff
	v_cndmask_b32_e64 v36, 0, v36, s0
	v_cmp_gt_i32_e64 s0, s34, v22
	s_wait_alu 0xf1ff
	s_delay_alu instid0(VALU_DEP_1) | instskip(NEXT) | instid1(VALU_DEP_1)
	v_cndmask_b32_e64 v9, 0, v9, s0
	v_or_b32_e32 v40, v9, v36
.LBB250_559:                            ;   in Loop: Header=BB250_426 Depth=1
	s_wait_alu 0xfffe
	s_or_b32 exec_lo, exec_lo, s17
	;;#ASMSTART
	v_pk_mul_f16 v1, v34, v42;

	;;#ASMEND
	;;#ASMSTART
	v_pk_mul_f16 v9, v33, v38;

	;;#ASMEND
	;; [unrolled: 4-line block ×4, first 2 shown]
	;;#ASMSTART
	v_pk_add_f16 v1, v1, v9;

	;;#ASMEND
	;;#ASMSTART
	v_pk_add_f16 v1, v1, v10;

	;;#ASMEND
	;;#ASMSTART
	v_pk_add_f16 v1, v1, v35;

	;;#ASMEND
	v_dual_mov_b32 v38, 0 :: v_dual_and_b32 v9, 0xffff, v1
	v_lshrrev_b32_e32 v1, 16, v1
	;;#ASMSTART
	v_cvt_f32_f16 v35, v9;
	;;#ASMEND
	;;#ASMSTART
	v_cvt_f32_f16 v36, v1;
	;;#ASMEND
	global_load_b64 v[9:10], v[7:8], off offset:512
	global_load_b32 v37, v38, s[10:11]
	v_mov_b32_e32 v39, 0
	s_mov_b32 s17, exec_lo
	s_wait_loadcnt 0x1
	v_and_b32_e32 v1, 0xff, v9
	s_delay_alu instid0(VALU_DEP_1)
	v_cmpx_ne_u16_e32 0, v1
	s_cbranch_execz .LBB250_567
; %bb.560:                              ;   in Loop: Header=BB250_426 Depth=1
	v_mov_b32_e32 v39, 0x8000
	s_mov_b32 s18, exec_lo
	v_cmpx_ne_u16_e32 0x80, v1
	s_cbranch_execz .LBB250_566
; %bb.561:                              ;   in Loop: Header=BB250_426 Depth=1
	v_and_b32_e32 v40, 0x7f, v9
	v_mov_b32_e32 v39, 0x7c01
	s_mov_b32 s19, exec_lo
	s_delay_alu instid0(VALU_DEP_2)
	v_cmpx_ne_u32_e32 0x7f, v40
	s_cbranch_execz .LBB250_565
; %bb.562:                              ;   in Loop: Header=BB250_426 Depth=1
	v_and_b32_e32 v1, 7, v9
	v_lshrrev_b32_e32 v39, 3, v40
	s_mov_b32 s24, exec_lo
	v_cmpx_gt_u32_e32 8, v40
; %bb.563:                              ;   in Loop: Header=BB250_426 Depth=1
	s_delay_alu instid0(VALU_DEP_3) | instskip(NEXT) | instid1(VALU_DEP_1)
	v_clz_i32_u32_e32 v1, v1
	v_min_u32_e32 v1, 32, v1
	s_delay_alu instid0(VALU_DEP_1) | instskip(NEXT) | instid1(VALU_DEP_1)
	v_subrev_nc_u32_e32 v39, 28, v1
	v_lshlrev_b64_e32 v[40:41], v39, v[9:10]
	v_sub_nc_u32_e32 v39, 29, v1
	s_delay_alu instid0(VALU_DEP_2)
	v_and_b32_e32 v1, 7, v40
; %bb.564:                              ;   in Loop: Header=BB250_426 Depth=1
	s_wait_alu 0xfffe
	s_or_b32 exec_lo, exec_lo, s24
	v_lshlrev_b32_e32 v40, 8, v9
	v_lshl_add_u32 v39, v39, 10, 0x2000
	v_lshlrev_b32_e32 v1, 7, v1
	s_delay_alu instid0(VALU_DEP_3) | instskip(NEXT) | instid1(VALU_DEP_3)
	v_and_b32_e32 v40, 0x8000, v40
	v_and_b32_e32 v39, 0xfc00, v39
	s_delay_alu instid0(VALU_DEP_1)
	v_or3_b32 v39, v40, v39, v1
.LBB250_565:                            ;   in Loop: Header=BB250_426 Depth=1
	s_wait_alu 0xfffe
	s_or_b32 exec_lo, exec_lo, s19
.LBB250_566:                            ;   in Loop: Header=BB250_426 Depth=1
	s_wait_alu 0xfffe
	s_or_b32 exec_lo, exec_lo, s18
.LBB250_567:                            ;   in Loop: Header=BB250_426 Depth=1
	s_wait_alu 0xfffe
	s_or_b32 exec_lo, exec_lo, s17
	v_lshrrev_b16 v1, 8, v9
	s_mov_b32 s17, exec_lo
	s_delay_alu instid0(VALU_DEP_1)
	v_cmpx_ne_u16_e32 0, v1
	s_cbranch_execz .LBB250_575
; %bb.568:                              ;   in Loop: Header=BB250_426 Depth=1
	v_bfrev_b32_e32 v38, 1
	s_mov_b32 s18, exec_lo
	v_cmpx_ne_u16_e32 0x80, v1
	s_cbranch_execz .LBB250_574
; %bb.569:                              ;   in Loop: Header=BB250_426 Depth=1
	v_and_b32_e32 v40, 0xffff, v1
	v_mov_b32_e32 v38, 0x7c010000
	s_mov_b32 s19, exec_lo
	s_delay_alu instid0(VALU_DEP_2) | instskip(NEXT) | instid1(VALU_DEP_1)
	v_and_b32_e32 v42, 0x7f, v40
	v_cmpx_ne_u32_e32 0x7f, v42
	s_cbranch_execz .LBB250_573
; %bb.570:                              ;   in Loop: Header=BB250_426 Depth=1
	v_and_b32_e32 v38, 7, v40
	v_lshrrev_b32_e32 v41, 3, v42
	s_mov_b32 s24, exec_lo
	v_cmpx_gt_u32_e32 8, v42
; %bb.571:                              ;   in Loop: Header=BB250_426 Depth=1
	s_delay_alu instid0(VALU_DEP_3) | instskip(NEXT) | instid1(VALU_DEP_1)
	v_clz_i32_u32_e32 v38, v38
	v_min_u32_e32 v38, 32, v38
	s_delay_alu instid0(VALU_DEP_1) | instskip(NEXT) | instid1(VALU_DEP_1)
	v_subrev_nc_u32_e32 v41, 28, v38
	v_lshlrev_b64_e32 v[42:43], v41, v[1:2]
	v_sub_nc_u32_e32 v41, 29, v38
	s_delay_alu instid0(VALU_DEP_2)
	v_and_b32_e32 v38, 7, v42
; %bb.572:                              ;   in Loop: Header=BB250_426 Depth=1
	s_wait_alu 0xfffe
	s_or_b32 exec_lo, exec_lo, s24
	v_lshlrev_b32_e32 v1, 8, v40
	v_lshl_add_u32 v40, v41, 10, 0x2000
	v_lshlrev_b32_e32 v38, 23, v38
	s_delay_alu instid0(VALU_DEP_2) | instskip(NEXT) | instid1(VALU_DEP_1)
	v_and_or_b32 v1, 0x8000, v1, v40
	v_lshl_or_b32 v38, v1, 16, v38
.LBB250_573:                            ;   in Loop: Header=BB250_426 Depth=1
	s_wait_alu 0xfffe
	s_or_b32 exec_lo, exec_lo, s19
.LBB250_574:                            ;   in Loop: Header=BB250_426 Depth=1
	s_wait_alu 0xfffe
	s_or_b32 exec_lo, exec_lo, s18
.LBB250_575:                            ;   in Loop: Header=BB250_426 Depth=1
	s_wait_alu 0xfffe
	s_or_b32 exec_lo, exec_lo, s17
	v_lshrrev_b32_e32 v1, 16, v9
	v_mov_b32_e32 v40, 0
	s_mov_b32 s17, exec_lo
	s_delay_alu instid0(VALU_DEP_2) | instskip(NEXT) | instid1(VALU_DEP_1)
	v_dual_mov_b32 v41, 0 :: v_dual_and_b32 v42, 0xff, v1
	v_cmpx_ne_u16_e32 0, v42
	s_cbranch_execz .LBB250_583
; %bb.576:                              ;   in Loop: Header=BB250_426 Depth=1
	v_mov_b32_e32 v41, 0x8000
	s_mov_b32 s18, exec_lo
	v_cmpx_ne_u16_e32 0x80, v42
	s_cbranch_execz .LBB250_582
; %bb.577:                              ;   in Loop: Header=BB250_426 Depth=1
	v_bfe_u32 v43, v9, 16, 7
	v_mov_b32_e32 v41, 0x7c01
	s_mov_b32 s19, exec_lo
	s_delay_alu instid0(VALU_DEP_2)
	v_cmpx_ne_u32_e32 0x7f, v43
	s_cbranch_execz .LBB250_581
; %bb.578:                              ;   in Loop: Header=BB250_426 Depth=1
	v_and_b32_e32 v41, 7, v1
	v_lshrrev_b32_e32 v42, 3, v43
	s_mov_b32 s24, exec_lo
	v_cmpx_gt_u32_e32 8, v43
; %bb.579:                              ;   in Loop: Header=BB250_426 Depth=1
	s_delay_alu instid0(VALU_DEP_3) | instskip(NEXT) | instid1(VALU_DEP_1)
	v_clz_i32_u32_e32 v41, v41
	v_min_u32_e32 v43, 32, v41
	s_delay_alu instid0(VALU_DEP_1) | instskip(NEXT) | instid1(VALU_DEP_1)
	v_subrev_nc_u32_e32 v41, 28, v43
	v_lshlrev_b64_e32 v[41:42], v41, v[1:2]
	v_sub_nc_u32_e32 v42, 29, v43
	s_delay_alu instid0(VALU_DEP_2)
	v_and_b32_e32 v41, 7, v41
; %bb.580:                              ;   in Loop: Header=BB250_426 Depth=1
	s_wait_alu 0xfffe
	s_or_b32 exec_lo, exec_lo, s24
	v_lshlrev_b32_e32 v1, 8, v1
	v_lshl_add_u32 v42, v42, 10, 0x2000
	v_lshlrev_b32_e32 v41, 7, v41
	s_delay_alu instid0(VALU_DEP_3) | instskip(NEXT) | instid1(VALU_DEP_3)
	v_and_b32_e32 v1, 0x8000, v1
	v_and_b32_e32 v42, 0xfc00, v42
	s_delay_alu instid0(VALU_DEP_1)
	v_or3_b32 v41, v1, v42, v41
.LBB250_581:                            ;   in Loop: Header=BB250_426 Depth=1
	s_wait_alu 0xfffe
	s_or_b32 exec_lo, exec_lo, s19
.LBB250_582:                            ;   in Loop: Header=BB250_426 Depth=1
	s_wait_alu 0xfffe
	s_or_b32 exec_lo, exec_lo, s18
.LBB250_583:                            ;   in Loop: Header=BB250_426 Depth=1
	s_wait_alu 0xfffe
	s_or_b32 exec_lo, exec_lo, s17
	s_delay_alu instid0(SALU_CYCLE_1)
	s_mov_b32 s17, exec_lo
	v_cmpx_lt_u32_e32 0xffffff, v9
	s_cbranch_execz .LBB250_591
; %bb.584:                              ;   in Loop: Header=BB250_426 Depth=1
	v_lshrrev_b32_e32 v1, 24, v9
	v_bfrev_b32_e32 v40, 1
	s_mov_b32 s18, exec_lo
	s_delay_alu instid0(VALU_DEP_2)
	v_cmpx_ne_u32_e32 0x80, v1
	s_cbranch_execz .LBB250_590
; %bb.585:                              ;   in Loop: Header=BB250_426 Depth=1
	v_and_b32_e32 v43, 0x7f, v1
	v_mov_b32_e32 v40, 0x7c010000
	s_mov_b32 s19, exec_lo
	s_delay_alu instid0(VALU_DEP_2)
	v_cmpx_ne_u32_e32 0x7f, v43
	s_cbranch_execz .LBB250_589
; %bb.586:                              ;   in Loop: Header=BB250_426 Depth=1
	v_and_b32_e32 v40, 7, v1
	v_lshrrev_b32_e32 v42, 3, v43
	s_mov_b32 s24, exec_lo
	v_cmpx_gt_u32_e32 8, v43
; %bb.587:                              ;   in Loop: Header=BB250_426 Depth=1
	s_delay_alu instid0(VALU_DEP_3) | instskip(NEXT) | instid1(VALU_DEP_1)
	v_clz_i32_u32_e32 v40, v40
	v_min_u32_e32 v40, 32, v40
	s_delay_alu instid0(VALU_DEP_1) | instskip(NEXT) | instid1(VALU_DEP_1)
	v_subrev_nc_u32_e32 v42, 28, v40
	v_lshlrev_b64_e32 v[43:44], v42, v[1:2]
	v_sub_nc_u32_e32 v42, 29, v40
	s_delay_alu instid0(VALU_DEP_2)
	v_and_b32_e32 v40, 7, v43
; %bb.588:                              ;   in Loop: Header=BB250_426 Depth=1
	s_wait_alu 0xfffe
	s_or_b32 exec_lo, exec_lo, s24
	v_lshlrev_b32_e32 v1, 8, v1
	v_lshl_add_u32 v42, v42, 10, 0x2000
	v_lshlrev_b32_e32 v40, 23, v40
	s_delay_alu instid0(VALU_DEP_2) | instskip(NEXT) | instid1(VALU_DEP_1)
	v_and_or_b32 v1, 0x8000, v1, v42
	v_lshl_or_b32 v40, v1, 16, v40
.LBB250_589:                            ;   in Loop: Header=BB250_426 Depth=1
	s_wait_alu 0xfffe
	s_or_b32 exec_lo, exec_lo, s19
.LBB250_590:                            ;   in Loop: Header=BB250_426 Depth=1
	s_wait_alu 0xfffe
	s_or_b32 exec_lo, exec_lo, s18
.LBB250_591:                            ;   in Loop: Header=BB250_426 Depth=1
	s_wait_alu 0xfffe
	s_or_b32 exec_lo, exec_lo, s17
	v_dual_mov_b32 v1, v10 :: v_dual_and_b32 v44, 0xff, v10
	v_dual_mov_b32 v42, 0 :: v_dual_mov_b32 v43, 0
	s_mov_b32 s17, exec_lo
	s_delay_alu instid0(VALU_DEP_2)
	v_cmpx_ne_u16_e32 0, v44
	s_cbranch_execz .LBB250_599
; %bb.592:                              ;   in Loop: Header=BB250_426 Depth=1
	v_mov_b32_e32 v43, 0x8000
	s_mov_b32 s18, exec_lo
	v_cmpx_ne_u16_e32 0x80, v44
	s_cbranch_execz .LBB250_598
; %bb.593:                              ;   in Loop: Header=BB250_426 Depth=1
	v_and_b32_e32 v45, 0x7f, v10
	v_mov_b32_e32 v43, 0x7c01
	s_mov_b32 s19, exec_lo
	s_delay_alu instid0(VALU_DEP_2)
	v_cmpx_ne_u32_e32 0x7f, v45
	s_cbranch_execz .LBB250_597
; %bb.594:                              ;   in Loop: Header=BB250_426 Depth=1
	v_and_b32_e32 v43, 7, v10
	v_lshrrev_b32_e32 v44, 3, v45
	s_mov_b32 s24, exec_lo
	v_cmpx_gt_u32_e32 8, v45
; %bb.595:                              ;   in Loop: Header=BB250_426 Depth=1
	s_delay_alu instid0(VALU_DEP_3) | instskip(NEXT) | instid1(VALU_DEP_1)
	v_clz_i32_u32_e32 v43, v43
	v_min_u32_e32 v45, 32, v43
	s_delay_alu instid0(VALU_DEP_1) | instskip(NEXT) | instid1(VALU_DEP_1)
	v_subrev_nc_u32_e32 v43, 28, v45
	v_lshlrev_b64_e32 v[43:44], v43, v[1:2]
	v_sub_nc_u32_e32 v44, 29, v45
	s_delay_alu instid0(VALU_DEP_2)
	v_and_b32_e32 v43, 7, v43
; %bb.596:                              ;   in Loop: Header=BB250_426 Depth=1
	s_wait_alu 0xfffe
	s_or_b32 exec_lo, exec_lo, s24
	v_lshlrev_b32_e32 v45, 8, v10
	v_lshl_add_u32 v44, v44, 10, 0x2000
	v_lshlrev_b32_e32 v43, 7, v43
	s_delay_alu instid0(VALU_DEP_3) | instskip(NEXT) | instid1(VALU_DEP_3)
	v_and_b32_e32 v45, 0x8000, v45
	v_and_b32_e32 v44, 0xfc00, v44
	s_delay_alu instid0(VALU_DEP_1)
	v_or3_b32 v43, v45, v44, v43
.LBB250_597:                            ;   in Loop: Header=BB250_426 Depth=1
	s_wait_alu 0xfffe
	s_or_b32 exec_lo, exec_lo, s19
.LBB250_598:                            ;   in Loop: Header=BB250_426 Depth=1
	s_wait_alu 0xfffe
	s_or_b32 exec_lo, exec_lo, s18
.LBB250_599:                            ;   in Loop: Header=BB250_426 Depth=1
	s_wait_alu 0xfffe
	s_or_b32 exec_lo, exec_lo, s17
	v_lshrrev_b16 v1, 8, v1
	v_mov_b32_e32 v44, 0
	s_mov_b32 s17, exec_lo
	s_delay_alu instid0(VALU_DEP_2)
	v_cmpx_ne_u16_e32 0, v1
	s_cbranch_execz .LBB250_607
; %bb.600:                              ;   in Loop: Header=BB250_426 Depth=1
	v_bfrev_b32_e32 v44, 1
	s_mov_b32 s18, exec_lo
	v_cmpx_ne_u16_e32 0x80, v1
	s_cbranch_execz .LBB250_606
; %bb.601:                              ;   in Loop: Header=BB250_426 Depth=1
	v_and_b32_e32 v45, 0xffff, v1
	v_mov_b32_e32 v44, 0x7c010000
	s_mov_b32 s19, exec_lo
	s_delay_alu instid0(VALU_DEP_2) | instskip(NEXT) | instid1(VALU_DEP_1)
	v_and_b32_e32 v47, 0x7f, v45
	v_cmpx_ne_u32_e32 0x7f, v47
	s_cbranch_execz .LBB250_605
; %bb.602:                              ;   in Loop: Header=BB250_426 Depth=1
	v_and_b32_e32 v44, 7, v45
	v_lshrrev_b32_e32 v46, 3, v47
	s_mov_b32 s24, exec_lo
	v_cmpx_gt_u32_e32 8, v47
; %bb.603:                              ;   in Loop: Header=BB250_426 Depth=1
	s_delay_alu instid0(VALU_DEP_3) | instskip(NEXT) | instid1(VALU_DEP_1)
	v_clz_i32_u32_e32 v44, v44
	v_min_u32_e32 v44, 32, v44
	s_delay_alu instid0(VALU_DEP_1) | instskip(NEXT) | instid1(VALU_DEP_1)
	v_subrev_nc_u32_e32 v46, 28, v44
	v_lshlrev_b64_e32 v[47:48], v46, v[1:2]
	v_sub_nc_u32_e32 v46, 29, v44
	s_delay_alu instid0(VALU_DEP_2)
	v_and_b32_e32 v44, 7, v47
; %bb.604:                              ;   in Loop: Header=BB250_426 Depth=1
	s_wait_alu 0xfffe
	s_or_b32 exec_lo, exec_lo, s24
	v_lshlrev_b32_e32 v1, 8, v45
	v_lshl_add_u32 v45, v46, 10, 0x2000
	v_lshlrev_b32_e32 v44, 23, v44
	s_delay_alu instid0(VALU_DEP_2) | instskip(NEXT) | instid1(VALU_DEP_1)
	v_and_or_b32 v1, 0x8000, v1, v45
	v_lshl_or_b32 v44, v1, 16, v44
.LBB250_605:                            ;   in Loop: Header=BB250_426 Depth=1
	s_wait_alu 0xfffe
	s_or_b32 exec_lo, exec_lo, s19
.LBB250_606:                            ;   in Loop: Header=BB250_426 Depth=1
	s_wait_alu 0xfffe
	s_or_b32 exec_lo, exec_lo, s18
.LBB250_607:                            ;   in Loop: Header=BB250_426 Depth=1
	s_wait_alu 0xfffe
	s_or_b32 exec_lo, exec_lo, s17
	v_lshrrev_b32_e32 v1, 16, v10
	s_mov_b32 s17, exec_lo
	s_delay_alu instid0(VALU_DEP_1) | instskip(NEXT) | instid1(VALU_DEP_1)
	v_and_b32_e32 v45, 0xff, v1
	v_cmpx_ne_u16_e32 0, v45
	s_cbranch_execz .LBB250_615
; %bb.608:                              ;   in Loop: Header=BB250_426 Depth=1
	v_mov_b32_e32 v42, 0x8000
	s_mov_b32 s18, exec_lo
	v_cmpx_ne_u16_e32 0x80, v45
	s_cbranch_execz .LBB250_614
; %bb.609:                              ;   in Loop: Header=BB250_426 Depth=1
	v_bfe_u32 v46, v10, 16, 7
	v_mov_b32_e32 v42, 0x7c01
	s_mov_b32 s19, exec_lo
	s_delay_alu instid0(VALU_DEP_2)
	v_cmpx_ne_u32_e32 0x7f, v46
	s_cbranch_execz .LBB250_613
; %bb.610:                              ;   in Loop: Header=BB250_426 Depth=1
	v_and_b32_e32 v42, 7, v1
	v_lshrrev_b32_e32 v45, 3, v46
	s_mov_b32 s24, exec_lo
	v_cmpx_gt_u32_e32 8, v46
; %bb.611:                              ;   in Loop: Header=BB250_426 Depth=1
	s_delay_alu instid0(VALU_DEP_3) | instskip(NEXT) | instid1(VALU_DEP_1)
	v_clz_i32_u32_e32 v42, v42
	v_min_u32_e32 v42, 32, v42
	s_delay_alu instid0(VALU_DEP_1) | instskip(NEXT) | instid1(VALU_DEP_1)
	v_subrev_nc_u32_e32 v45, 28, v42
	v_lshlrev_b64_e32 v[46:47], v45, v[1:2]
	v_sub_nc_u32_e32 v45, 29, v42
	s_delay_alu instid0(VALU_DEP_2)
	v_and_b32_e32 v42, 7, v46
; %bb.612:                              ;   in Loop: Header=BB250_426 Depth=1
	s_wait_alu 0xfffe
	s_or_b32 exec_lo, exec_lo, s24
	v_lshlrev_b32_e32 v1, 8, v1
	v_lshl_add_u32 v45, v45, 10, 0x2000
	v_lshlrev_b32_e32 v42, 7, v42
	s_delay_alu instid0(VALU_DEP_3) | instskip(NEXT) | instid1(VALU_DEP_3)
	v_and_b32_e32 v1, 0x8000, v1
	v_and_b32_e32 v45, 0xfc00, v45
	s_delay_alu instid0(VALU_DEP_1)
	v_or3_b32 v42, v1, v45, v42
.LBB250_613:                            ;   in Loop: Header=BB250_426 Depth=1
	s_wait_alu 0xfffe
	s_or_b32 exec_lo, exec_lo, s19
.LBB250_614:                            ;   in Loop: Header=BB250_426 Depth=1
	s_wait_alu 0xfffe
	s_or_b32 exec_lo, exec_lo, s18
.LBB250_615:                            ;   in Loop: Header=BB250_426 Depth=1
	s_wait_alu 0xfffe
	s_or_b32 exec_lo, exec_lo, s17
	v_cmp_lt_u64_e64 s0, s[2:3], v[9:10]
	v_mov_b32_e32 v9, 0
	s_and_saveexec_b32 s17, s0
	s_cbranch_execz .LBB250_623
; %bb.616:                              ;   in Loop: Header=BB250_426 Depth=1
	v_lshrrev_b32_e32 v1, 24, v10
	v_bfrev_b32_e32 v9, 1
	s_mov_b32 s18, exec_lo
	s_delay_alu instid0(VALU_DEP_2)
	v_cmpx_ne_u32_e32 0x80, v1
	s_cbranch_execz .LBB250_622
; %bb.617:                              ;   in Loop: Header=BB250_426 Depth=1
	v_and_b32_e32 v45, 0x7f, v1
	v_mov_b32_e32 v9, 0x7c010000
	s_mov_b32 s19, exec_lo
	s_delay_alu instid0(VALU_DEP_2)
	v_cmpx_ne_u32_e32 0x7f, v45
	s_cbranch_execz .LBB250_621
; %bb.618:                              ;   in Loop: Header=BB250_426 Depth=1
	v_and_b32_e32 v9, 7, v1
	v_lshrrev_b32_e32 v10, 3, v45
	s_mov_b32 s24, exec_lo
	v_cmpx_gt_u32_e32 8, v45
; %bb.619:                              ;   in Loop: Header=BB250_426 Depth=1
	s_delay_alu instid0(VALU_DEP_3) | instskip(NEXT) | instid1(VALU_DEP_1)
	v_clz_i32_u32_e32 v9, v9
	v_min_u32_e32 v45, 32, v9
	s_delay_alu instid0(VALU_DEP_1) | instskip(NEXT) | instid1(VALU_DEP_1)
	v_subrev_nc_u32_e32 v9, 28, v45
	v_lshlrev_b64_e32 v[9:10], v9, v[1:2]
	v_sub_nc_u32_e32 v10, 29, v45
	s_delay_alu instid0(VALU_DEP_2)
	v_and_b32_e32 v9, 7, v9
; %bb.620:                              ;   in Loop: Header=BB250_426 Depth=1
	s_wait_alu 0xfffe
	s_or_b32 exec_lo, exec_lo, s24
	v_lshlrev_b32_e32 v1, 8, v1
	v_lshl_add_u32 v10, v10, 10, 0x2000
	v_lshlrev_b32_e32 v9, 23, v9
	s_delay_alu instid0(VALU_DEP_2) | instskip(NEXT) | instid1(VALU_DEP_1)
	v_and_or_b32 v1, 0x8000, v1, v10
	v_lshl_or_b32 v9, v1, 16, v9
.LBB250_621:                            ;   in Loop: Header=BB250_426 Depth=1
	s_wait_alu 0xfffe
	s_or_b32 exec_lo, exec_lo, s19
.LBB250_622:                            ;   in Loop: Header=BB250_426 Depth=1
	s_wait_alu 0xfffe
	s_or_b32 exec_lo, exec_lo, s18
.LBB250_623:                            ;   in Loop: Header=BB250_426 Depth=1
	s_wait_alu 0xfffe
	s_or_b32 exec_lo, exec_lo, s17
	v_or_b32_e32 v1, v40, v41
	s_wait_loadcnt 0x0
	v_fma_mixlo_f16 v10, v37, v40, 0 op_sel:[0,1,0] op_sel_hi:[0,1,0]
	v_or_b32_e32 v40, v38, v39
	v_fma_mixlo_f16 v38, v37, v38, 0 op_sel:[0,1,0] op_sel_hi:[0,1,0]
	v_or_b32_e32 v41, v44, v43
	v_or_b32_e32 v42, v9, v42
	v_fma_mixlo_f16 v43, v37, v1, 0 op_sel_hi:[0,1,0]
	v_fma_mixlo_f16 v9, v37, v9, 0 op_sel:[0,1,0] op_sel_hi:[0,1,0]
	v_lshlrev_b32_e32 v39, 16, v38
	v_fma_mixlo_f16 v38, v37, v40, 0 op_sel_hi:[0,1,0]
	v_fma_mixlo_f16 v40, v37, v44, 0 op_sel:[0,1,0] op_sel_hi:[0,1,0]
	v_fma_mixlo_f16 v41, v37, v41, 0 op_sel_hi:[0,1,0]
	v_fma_mixlo_f16 v42, v37, v42, 0 op_sel_hi:[0,1,0]
	v_lshlrev_b32_e32 v1, 16, v10
	v_and_b32_e32 v10, 0xffff, v43
	v_and_b32_e32 v45, 0xffff, v38
	v_lshlrev_b32_e32 v37, 16, v40
	v_and_b32_e32 v41, 0xffff, v41
	v_lshlrev_b32_e32 v9, 16, v9
	v_and_b32_e32 v38, 0xffff, v42
	v_or_b32_e32 v40, v1, v10
	v_or_b32_e32 v44, v39, v45
	;; [unrolled: 1-line block ×3, first 2 shown]
	s_delay_alu instid0(VALU_DEP_4)
	v_or_b32_e32 v42, v9, v38
	s_and_saveexec_b32 s17, vcc_lo
	s_cbranch_execz .LBB250_625
; %bb.624:                              ;   in Loop: Header=BB250_426 Depth=1
	v_cmp_gt_i32_e64 s0, s34, v12
	s_wait_alu 0xf1ff
	s_delay_alu instid0(VALU_DEP_1) | instskip(SKIP_2) | instid1(VALU_DEP_1)
	v_cndmask_b32_e64 v40, 0, v45, s0
	v_cmp_gt_i32_e64 s0, s34, v28
	s_wait_alu 0xf1ff
	v_cndmask_b32_e64 v39, 0, v39, s0
	v_cmp_gt_i32_e64 s0, s34, v27
	s_delay_alu instid0(VALU_DEP_2) | instskip(SKIP_1) | instid1(VALU_DEP_2)
	v_or_b32_e32 v44, v39, v40
	s_wait_alu 0xf1ff
	v_cndmask_b32_e64 v10, 0, v10, s0
	v_cmp_gt_i32_e64 s0, s34, v26
	s_wait_alu 0xf1ff
	s_delay_alu instid0(VALU_DEP_1) | instskip(SKIP_1) | instid1(VALU_DEP_2)
	v_cndmask_b32_e64 v1, 0, v1, s0
	v_cmp_gt_i32_e64 s0, s34, v25
	v_or_b32_e32 v40, v1, v10
	s_wait_alu 0xf1ff
	s_delay_alu instid0(VALU_DEP_2) | instskip(SKIP_2) | instid1(VALU_DEP_1)
	v_cndmask_b32_e64 v41, 0, v41, s0
	v_cmp_gt_i32_e64 s0, s34, v24
	s_wait_alu 0xf1ff
	v_cndmask_b32_e64 v37, 0, v37, s0
	v_cmp_gt_i32_e64 s0, s34, v23
	s_delay_alu instid0(VALU_DEP_2) | instskip(SKIP_1) | instid1(VALU_DEP_2)
	v_or_b32_e32 v43, v37, v41
	s_wait_alu 0xf1ff
	v_cndmask_b32_e64 v38, 0, v38, s0
	v_cmp_gt_i32_e64 s0, s34, v22
	s_wait_alu 0xf1ff
	s_delay_alu instid0(VALU_DEP_1) | instskip(NEXT) | instid1(VALU_DEP_1)
	v_cndmask_b32_e64 v9, 0, v9, s0
	v_or_b32_e32 v42, v9, v38
.LBB250_625:                            ;   in Loop: Header=BB250_426 Depth=1
	s_wait_alu 0xfffe
	s_or_b32 exec_lo, exec_lo, s17
	;;#ASMSTART
	v_pk_mul_f16 v1, v34, v44;

	;;#ASMEND
	;;#ASMSTART
	v_pk_mul_f16 v9, v33, v40;

	;;#ASMEND
	;; [unrolled: 4-line block ×4, first 2 shown]
	;;#ASMSTART
	v_pk_add_f16 v1, v1, v9;

	;;#ASMEND
	;;#ASMSTART
	v_pk_add_f16 v1, v1, v10;

	;;#ASMEND
	;; [unrolled: 4-line block ×3, first 2 shown]
	v_dual_mov_b32 v40, 0 :: v_dual_and_b32 v9, 0xffff, v1
	v_lshrrev_b32_e32 v1, 16, v1
	;;#ASMSTART
	v_cvt_f32_f16 v37, v9;
	;;#ASMEND
	;;#ASMSTART
	v_cvt_f32_f16 v38, v1;
	;;#ASMEND
	global_load_b64 v[9:10], v[7:8], off offset:768
	global_load_b32 v39, v40, s[10:11]
	v_mov_b32_e32 v41, 0
	s_mov_b32 s17, exec_lo
	s_wait_loadcnt 0x1
	v_and_b32_e32 v1, 0xff, v9
	s_delay_alu instid0(VALU_DEP_1)
	v_cmpx_ne_u16_e32 0, v1
	s_cbranch_execz .LBB250_633
; %bb.626:                              ;   in Loop: Header=BB250_426 Depth=1
	v_mov_b32_e32 v41, 0x8000
	s_mov_b32 s18, exec_lo
	v_cmpx_ne_u16_e32 0x80, v1
	s_cbranch_execz .LBB250_632
; %bb.627:                              ;   in Loop: Header=BB250_426 Depth=1
	v_and_b32_e32 v42, 0x7f, v9
	v_mov_b32_e32 v41, 0x7c01
	s_mov_b32 s19, exec_lo
	s_delay_alu instid0(VALU_DEP_2)
	v_cmpx_ne_u32_e32 0x7f, v42
	s_cbranch_execz .LBB250_631
; %bb.628:                              ;   in Loop: Header=BB250_426 Depth=1
	v_and_b32_e32 v1, 7, v9
	v_lshrrev_b32_e32 v41, 3, v42
	s_mov_b32 s24, exec_lo
	v_cmpx_gt_u32_e32 8, v42
; %bb.629:                              ;   in Loop: Header=BB250_426 Depth=1
	s_delay_alu instid0(VALU_DEP_3) | instskip(NEXT) | instid1(VALU_DEP_1)
	v_clz_i32_u32_e32 v1, v1
	v_min_u32_e32 v1, 32, v1
	s_delay_alu instid0(VALU_DEP_1) | instskip(NEXT) | instid1(VALU_DEP_1)
	v_subrev_nc_u32_e32 v41, 28, v1
	v_lshlrev_b64_e32 v[42:43], v41, v[9:10]
	v_sub_nc_u32_e32 v41, 29, v1
	s_delay_alu instid0(VALU_DEP_2)
	v_and_b32_e32 v1, 7, v42
; %bb.630:                              ;   in Loop: Header=BB250_426 Depth=1
	s_wait_alu 0xfffe
	s_or_b32 exec_lo, exec_lo, s24
	v_lshlrev_b32_e32 v42, 8, v9
	v_lshl_add_u32 v41, v41, 10, 0x2000
	v_lshlrev_b32_e32 v1, 7, v1
	s_delay_alu instid0(VALU_DEP_3) | instskip(NEXT) | instid1(VALU_DEP_3)
	v_and_b32_e32 v42, 0x8000, v42
	v_and_b32_e32 v41, 0xfc00, v41
	s_delay_alu instid0(VALU_DEP_1)
	v_or3_b32 v41, v42, v41, v1
.LBB250_631:                            ;   in Loop: Header=BB250_426 Depth=1
	s_wait_alu 0xfffe
	s_or_b32 exec_lo, exec_lo, s19
.LBB250_632:                            ;   in Loop: Header=BB250_426 Depth=1
	s_wait_alu 0xfffe
	s_or_b32 exec_lo, exec_lo, s18
.LBB250_633:                            ;   in Loop: Header=BB250_426 Depth=1
	s_wait_alu 0xfffe
	s_or_b32 exec_lo, exec_lo, s17
	v_lshrrev_b16 v1, 8, v9
	s_mov_b32 s17, exec_lo
	s_delay_alu instid0(VALU_DEP_1)
	v_cmpx_ne_u16_e32 0, v1
	s_cbranch_execz .LBB250_641
; %bb.634:                              ;   in Loop: Header=BB250_426 Depth=1
	v_bfrev_b32_e32 v40, 1
	s_mov_b32 s18, exec_lo
	v_cmpx_ne_u16_e32 0x80, v1
	s_cbranch_execz .LBB250_640
; %bb.635:                              ;   in Loop: Header=BB250_426 Depth=1
	v_and_b32_e32 v42, 0xffff, v1
	v_mov_b32_e32 v40, 0x7c010000
	s_mov_b32 s19, exec_lo
	s_delay_alu instid0(VALU_DEP_2) | instskip(NEXT) | instid1(VALU_DEP_1)
	v_and_b32_e32 v44, 0x7f, v42
	v_cmpx_ne_u32_e32 0x7f, v44
	s_cbranch_execz .LBB250_639
; %bb.636:                              ;   in Loop: Header=BB250_426 Depth=1
	v_and_b32_e32 v40, 7, v42
	v_lshrrev_b32_e32 v43, 3, v44
	s_mov_b32 s24, exec_lo
	v_cmpx_gt_u32_e32 8, v44
; %bb.637:                              ;   in Loop: Header=BB250_426 Depth=1
	s_delay_alu instid0(VALU_DEP_3) | instskip(NEXT) | instid1(VALU_DEP_1)
	v_clz_i32_u32_e32 v40, v40
	v_min_u32_e32 v40, 32, v40
	s_delay_alu instid0(VALU_DEP_1) | instskip(NEXT) | instid1(VALU_DEP_1)
	v_subrev_nc_u32_e32 v43, 28, v40
	v_lshlrev_b64_e32 v[44:45], v43, v[1:2]
	v_sub_nc_u32_e32 v43, 29, v40
	s_delay_alu instid0(VALU_DEP_2)
	v_and_b32_e32 v40, 7, v44
; %bb.638:                              ;   in Loop: Header=BB250_426 Depth=1
	s_wait_alu 0xfffe
	s_or_b32 exec_lo, exec_lo, s24
	v_lshlrev_b32_e32 v1, 8, v42
	v_lshl_add_u32 v42, v43, 10, 0x2000
	v_lshlrev_b32_e32 v40, 23, v40
	s_delay_alu instid0(VALU_DEP_2) | instskip(NEXT) | instid1(VALU_DEP_1)
	v_and_or_b32 v1, 0x8000, v1, v42
	v_lshl_or_b32 v40, v1, 16, v40
.LBB250_639:                            ;   in Loop: Header=BB250_426 Depth=1
	s_wait_alu 0xfffe
	s_or_b32 exec_lo, exec_lo, s19
.LBB250_640:                            ;   in Loop: Header=BB250_426 Depth=1
	s_wait_alu 0xfffe
	s_or_b32 exec_lo, exec_lo, s18
.LBB250_641:                            ;   in Loop: Header=BB250_426 Depth=1
	s_wait_alu 0xfffe
	s_or_b32 exec_lo, exec_lo, s17
	v_lshrrev_b32_e32 v1, 16, v9
	v_mov_b32_e32 v42, 0
	s_mov_b32 s17, exec_lo
	s_delay_alu instid0(VALU_DEP_2) | instskip(NEXT) | instid1(VALU_DEP_1)
	v_dual_mov_b32 v43, 0 :: v_dual_and_b32 v44, 0xff, v1
	v_cmpx_ne_u16_e32 0, v44
	s_cbranch_execz .LBB250_649
; %bb.642:                              ;   in Loop: Header=BB250_426 Depth=1
	v_mov_b32_e32 v43, 0x8000
	s_mov_b32 s18, exec_lo
	v_cmpx_ne_u16_e32 0x80, v44
	s_cbranch_execz .LBB250_648
; %bb.643:                              ;   in Loop: Header=BB250_426 Depth=1
	v_bfe_u32 v45, v9, 16, 7
	v_mov_b32_e32 v43, 0x7c01
	s_mov_b32 s19, exec_lo
	s_delay_alu instid0(VALU_DEP_2)
	v_cmpx_ne_u32_e32 0x7f, v45
	s_cbranch_execz .LBB250_647
; %bb.644:                              ;   in Loop: Header=BB250_426 Depth=1
	v_and_b32_e32 v43, 7, v1
	v_lshrrev_b32_e32 v44, 3, v45
	s_mov_b32 s24, exec_lo
	v_cmpx_gt_u32_e32 8, v45
; %bb.645:                              ;   in Loop: Header=BB250_426 Depth=1
	s_delay_alu instid0(VALU_DEP_3) | instskip(NEXT) | instid1(VALU_DEP_1)
	v_clz_i32_u32_e32 v43, v43
	v_min_u32_e32 v45, 32, v43
	s_delay_alu instid0(VALU_DEP_1) | instskip(NEXT) | instid1(VALU_DEP_1)
	v_subrev_nc_u32_e32 v43, 28, v45
	v_lshlrev_b64_e32 v[43:44], v43, v[1:2]
	v_sub_nc_u32_e32 v44, 29, v45
	s_delay_alu instid0(VALU_DEP_2)
	v_and_b32_e32 v43, 7, v43
; %bb.646:                              ;   in Loop: Header=BB250_426 Depth=1
	s_wait_alu 0xfffe
	s_or_b32 exec_lo, exec_lo, s24
	v_lshlrev_b32_e32 v1, 8, v1
	v_lshl_add_u32 v44, v44, 10, 0x2000
	v_lshlrev_b32_e32 v43, 7, v43
	s_delay_alu instid0(VALU_DEP_3) | instskip(NEXT) | instid1(VALU_DEP_3)
	v_and_b32_e32 v1, 0x8000, v1
	v_and_b32_e32 v44, 0xfc00, v44
	s_delay_alu instid0(VALU_DEP_1)
	v_or3_b32 v43, v1, v44, v43
.LBB250_647:                            ;   in Loop: Header=BB250_426 Depth=1
	s_wait_alu 0xfffe
	s_or_b32 exec_lo, exec_lo, s19
.LBB250_648:                            ;   in Loop: Header=BB250_426 Depth=1
	s_wait_alu 0xfffe
	s_or_b32 exec_lo, exec_lo, s18
.LBB250_649:                            ;   in Loop: Header=BB250_426 Depth=1
	s_wait_alu 0xfffe
	s_or_b32 exec_lo, exec_lo, s17
	s_delay_alu instid0(SALU_CYCLE_1)
	s_mov_b32 s17, exec_lo
	v_cmpx_lt_u32_e32 0xffffff, v9
	s_cbranch_execz .LBB250_657
; %bb.650:                              ;   in Loop: Header=BB250_426 Depth=1
	v_lshrrev_b32_e32 v1, 24, v9
	v_bfrev_b32_e32 v42, 1
	s_mov_b32 s18, exec_lo
	s_delay_alu instid0(VALU_DEP_2)
	v_cmpx_ne_u32_e32 0x80, v1
	s_cbranch_execz .LBB250_656
; %bb.651:                              ;   in Loop: Header=BB250_426 Depth=1
	v_and_b32_e32 v45, 0x7f, v1
	v_mov_b32_e32 v42, 0x7c010000
	s_mov_b32 s19, exec_lo
	s_delay_alu instid0(VALU_DEP_2)
	v_cmpx_ne_u32_e32 0x7f, v45
	s_cbranch_execz .LBB250_655
; %bb.652:                              ;   in Loop: Header=BB250_426 Depth=1
	v_and_b32_e32 v42, 7, v1
	v_lshrrev_b32_e32 v44, 3, v45
	s_mov_b32 s24, exec_lo
	v_cmpx_gt_u32_e32 8, v45
; %bb.653:                              ;   in Loop: Header=BB250_426 Depth=1
	s_delay_alu instid0(VALU_DEP_3) | instskip(NEXT) | instid1(VALU_DEP_1)
	v_clz_i32_u32_e32 v42, v42
	v_min_u32_e32 v42, 32, v42
	s_delay_alu instid0(VALU_DEP_1) | instskip(NEXT) | instid1(VALU_DEP_1)
	v_subrev_nc_u32_e32 v44, 28, v42
	v_lshlrev_b64_e32 v[45:46], v44, v[1:2]
	v_sub_nc_u32_e32 v44, 29, v42
	s_delay_alu instid0(VALU_DEP_2)
	v_and_b32_e32 v42, 7, v45
; %bb.654:                              ;   in Loop: Header=BB250_426 Depth=1
	s_wait_alu 0xfffe
	s_or_b32 exec_lo, exec_lo, s24
	v_lshlrev_b32_e32 v1, 8, v1
	v_lshl_add_u32 v44, v44, 10, 0x2000
	v_lshlrev_b32_e32 v42, 23, v42
	s_delay_alu instid0(VALU_DEP_2) | instskip(NEXT) | instid1(VALU_DEP_1)
	v_and_or_b32 v1, 0x8000, v1, v44
	v_lshl_or_b32 v42, v1, 16, v42
.LBB250_655:                            ;   in Loop: Header=BB250_426 Depth=1
	s_wait_alu 0xfffe
	s_or_b32 exec_lo, exec_lo, s19
.LBB250_656:                            ;   in Loop: Header=BB250_426 Depth=1
	s_wait_alu 0xfffe
	s_or_b32 exec_lo, exec_lo, s18
.LBB250_657:                            ;   in Loop: Header=BB250_426 Depth=1
	s_wait_alu 0xfffe
	s_or_b32 exec_lo, exec_lo, s17
	v_dual_mov_b32 v1, v10 :: v_dual_and_b32 v46, 0xff, v10
	v_dual_mov_b32 v44, 0 :: v_dual_mov_b32 v45, 0
	s_mov_b32 s17, exec_lo
	s_delay_alu instid0(VALU_DEP_2)
	v_cmpx_ne_u16_e32 0, v46
	s_cbranch_execz .LBB250_665
; %bb.658:                              ;   in Loop: Header=BB250_426 Depth=1
	v_mov_b32_e32 v45, 0x8000
	s_mov_b32 s18, exec_lo
	v_cmpx_ne_u16_e32 0x80, v46
	s_cbranch_execz .LBB250_664
; %bb.659:                              ;   in Loop: Header=BB250_426 Depth=1
	v_and_b32_e32 v47, 0x7f, v10
	v_mov_b32_e32 v45, 0x7c01
	s_mov_b32 s19, exec_lo
	s_delay_alu instid0(VALU_DEP_2)
	v_cmpx_ne_u32_e32 0x7f, v47
	s_cbranch_execz .LBB250_663
; %bb.660:                              ;   in Loop: Header=BB250_426 Depth=1
	v_and_b32_e32 v45, 7, v10
	v_lshrrev_b32_e32 v46, 3, v47
	s_mov_b32 s24, exec_lo
	v_cmpx_gt_u32_e32 8, v47
; %bb.661:                              ;   in Loop: Header=BB250_426 Depth=1
	s_delay_alu instid0(VALU_DEP_3) | instskip(NEXT) | instid1(VALU_DEP_1)
	v_clz_i32_u32_e32 v45, v45
	v_min_u32_e32 v47, 32, v45
	s_delay_alu instid0(VALU_DEP_1) | instskip(NEXT) | instid1(VALU_DEP_1)
	v_subrev_nc_u32_e32 v45, 28, v47
	v_lshlrev_b64_e32 v[45:46], v45, v[1:2]
	v_sub_nc_u32_e32 v46, 29, v47
	s_delay_alu instid0(VALU_DEP_2)
	v_and_b32_e32 v45, 7, v45
; %bb.662:                              ;   in Loop: Header=BB250_426 Depth=1
	s_wait_alu 0xfffe
	s_or_b32 exec_lo, exec_lo, s24
	v_lshlrev_b32_e32 v47, 8, v10
	v_lshl_add_u32 v46, v46, 10, 0x2000
	v_lshlrev_b32_e32 v45, 7, v45
	s_delay_alu instid0(VALU_DEP_3) | instskip(NEXT) | instid1(VALU_DEP_3)
	v_and_b32_e32 v47, 0x8000, v47
	v_and_b32_e32 v46, 0xfc00, v46
	s_delay_alu instid0(VALU_DEP_1)
	v_or3_b32 v45, v47, v46, v45
.LBB250_663:                            ;   in Loop: Header=BB250_426 Depth=1
	s_wait_alu 0xfffe
	s_or_b32 exec_lo, exec_lo, s19
.LBB250_664:                            ;   in Loop: Header=BB250_426 Depth=1
	s_wait_alu 0xfffe
	s_or_b32 exec_lo, exec_lo, s18
.LBB250_665:                            ;   in Loop: Header=BB250_426 Depth=1
	s_wait_alu 0xfffe
	s_or_b32 exec_lo, exec_lo, s17
	v_lshrrev_b16 v1, 8, v1
	v_mov_b32_e32 v46, 0
	s_mov_b32 s17, exec_lo
	s_delay_alu instid0(VALU_DEP_2)
	v_cmpx_ne_u16_e32 0, v1
	s_cbranch_execz .LBB250_673
; %bb.666:                              ;   in Loop: Header=BB250_426 Depth=1
	v_bfrev_b32_e32 v46, 1
	s_mov_b32 s18, exec_lo
	v_cmpx_ne_u16_e32 0x80, v1
	s_cbranch_execz .LBB250_672
; %bb.667:                              ;   in Loop: Header=BB250_426 Depth=1
	v_and_b32_e32 v47, 0xffff, v1
	v_mov_b32_e32 v46, 0x7c010000
	s_mov_b32 s19, exec_lo
	s_delay_alu instid0(VALU_DEP_2) | instskip(NEXT) | instid1(VALU_DEP_1)
	v_and_b32_e32 v49, 0x7f, v47
	v_cmpx_ne_u32_e32 0x7f, v49
	s_cbranch_execz .LBB250_671
; %bb.668:                              ;   in Loop: Header=BB250_426 Depth=1
	v_and_b32_e32 v46, 7, v47
	v_lshrrev_b32_e32 v48, 3, v49
	s_mov_b32 s24, exec_lo
	v_cmpx_gt_u32_e32 8, v49
; %bb.669:                              ;   in Loop: Header=BB250_426 Depth=1
	s_delay_alu instid0(VALU_DEP_3) | instskip(NEXT) | instid1(VALU_DEP_1)
	v_clz_i32_u32_e32 v46, v46
	v_min_u32_e32 v46, 32, v46
	s_delay_alu instid0(VALU_DEP_1) | instskip(NEXT) | instid1(VALU_DEP_1)
	v_subrev_nc_u32_e32 v48, 28, v46
	v_lshlrev_b64_e32 v[49:50], v48, v[1:2]
	v_sub_nc_u32_e32 v48, 29, v46
	s_delay_alu instid0(VALU_DEP_2)
	v_and_b32_e32 v46, 7, v49
; %bb.670:                              ;   in Loop: Header=BB250_426 Depth=1
	s_wait_alu 0xfffe
	s_or_b32 exec_lo, exec_lo, s24
	v_lshlrev_b32_e32 v1, 8, v47
	v_lshl_add_u32 v47, v48, 10, 0x2000
	v_lshlrev_b32_e32 v46, 23, v46
	s_delay_alu instid0(VALU_DEP_2) | instskip(NEXT) | instid1(VALU_DEP_1)
	v_and_or_b32 v1, 0x8000, v1, v47
	v_lshl_or_b32 v46, v1, 16, v46
.LBB250_671:                            ;   in Loop: Header=BB250_426 Depth=1
	s_wait_alu 0xfffe
	s_or_b32 exec_lo, exec_lo, s19
.LBB250_672:                            ;   in Loop: Header=BB250_426 Depth=1
	s_wait_alu 0xfffe
	s_or_b32 exec_lo, exec_lo, s18
.LBB250_673:                            ;   in Loop: Header=BB250_426 Depth=1
	s_wait_alu 0xfffe
	s_or_b32 exec_lo, exec_lo, s17
	v_lshrrev_b32_e32 v1, 16, v10
	s_mov_b32 s17, exec_lo
	s_delay_alu instid0(VALU_DEP_1) | instskip(NEXT) | instid1(VALU_DEP_1)
	v_and_b32_e32 v47, 0xff, v1
	v_cmpx_ne_u16_e32 0, v47
	s_cbranch_execz .LBB250_681
; %bb.674:                              ;   in Loop: Header=BB250_426 Depth=1
	v_mov_b32_e32 v44, 0x8000
	s_mov_b32 s18, exec_lo
	v_cmpx_ne_u16_e32 0x80, v47
	s_cbranch_execz .LBB250_680
; %bb.675:                              ;   in Loop: Header=BB250_426 Depth=1
	v_bfe_u32 v48, v10, 16, 7
	v_mov_b32_e32 v44, 0x7c01
	s_mov_b32 s19, exec_lo
	s_delay_alu instid0(VALU_DEP_2)
	v_cmpx_ne_u32_e32 0x7f, v48
	s_cbranch_execz .LBB250_679
; %bb.676:                              ;   in Loop: Header=BB250_426 Depth=1
	v_and_b32_e32 v44, 7, v1
	v_lshrrev_b32_e32 v47, 3, v48
	s_mov_b32 s24, exec_lo
	v_cmpx_gt_u32_e32 8, v48
; %bb.677:                              ;   in Loop: Header=BB250_426 Depth=1
	s_delay_alu instid0(VALU_DEP_3) | instskip(NEXT) | instid1(VALU_DEP_1)
	v_clz_i32_u32_e32 v44, v44
	v_min_u32_e32 v44, 32, v44
	s_delay_alu instid0(VALU_DEP_1) | instskip(NEXT) | instid1(VALU_DEP_1)
	v_subrev_nc_u32_e32 v47, 28, v44
	v_lshlrev_b64_e32 v[48:49], v47, v[1:2]
	v_sub_nc_u32_e32 v47, 29, v44
	s_delay_alu instid0(VALU_DEP_2)
	v_and_b32_e32 v44, 7, v48
; %bb.678:                              ;   in Loop: Header=BB250_426 Depth=1
	s_wait_alu 0xfffe
	s_or_b32 exec_lo, exec_lo, s24
	v_lshlrev_b32_e32 v1, 8, v1
	v_lshl_add_u32 v47, v47, 10, 0x2000
	v_lshlrev_b32_e32 v44, 7, v44
	s_delay_alu instid0(VALU_DEP_3) | instskip(NEXT) | instid1(VALU_DEP_3)
	v_and_b32_e32 v1, 0x8000, v1
	v_and_b32_e32 v47, 0xfc00, v47
	s_delay_alu instid0(VALU_DEP_1)
	v_or3_b32 v44, v1, v47, v44
.LBB250_679:                            ;   in Loop: Header=BB250_426 Depth=1
	s_wait_alu 0xfffe
	s_or_b32 exec_lo, exec_lo, s19
.LBB250_680:                            ;   in Loop: Header=BB250_426 Depth=1
	s_wait_alu 0xfffe
	s_or_b32 exec_lo, exec_lo, s18
.LBB250_681:                            ;   in Loop: Header=BB250_426 Depth=1
	s_wait_alu 0xfffe
	s_or_b32 exec_lo, exec_lo, s17
	v_cmp_lt_u64_e64 s0, s[2:3], v[9:10]
	v_mov_b32_e32 v9, 0
	s_and_saveexec_b32 s17, s0
	s_cbranch_execz .LBB250_689
; %bb.682:                              ;   in Loop: Header=BB250_426 Depth=1
	v_lshrrev_b32_e32 v1, 24, v10
	v_bfrev_b32_e32 v9, 1
	s_mov_b32 s18, exec_lo
	s_delay_alu instid0(VALU_DEP_2)
	v_cmpx_ne_u32_e32 0x80, v1
	s_cbranch_execz .LBB250_688
; %bb.683:                              ;   in Loop: Header=BB250_426 Depth=1
	v_and_b32_e32 v47, 0x7f, v1
	v_mov_b32_e32 v9, 0x7c010000
	s_mov_b32 s19, exec_lo
	s_delay_alu instid0(VALU_DEP_2)
	v_cmpx_ne_u32_e32 0x7f, v47
	s_cbranch_execz .LBB250_687
; %bb.684:                              ;   in Loop: Header=BB250_426 Depth=1
	v_and_b32_e32 v9, 7, v1
	v_lshrrev_b32_e32 v10, 3, v47
	s_mov_b32 s24, exec_lo
	v_cmpx_gt_u32_e32 8, v47
; %bb.685:                              ;   in Loop: Header=BB250_426 Depth=1
	s_delay_alu instid0(VALU_DEP_3) | instskip(NEXT) | instid1(VALU_DEP_1)
	v_clz_i32_u32_e32 v9, v9
	v_min_u32_e32 v47, 32, v9
	s_delay_alu instid0(VALU_DEP_1) | instskip(NEXT) | instid1(VALU_DEP_1)
	v_subrev_nc_u32_e32 v9, 28, v47
	v_lshlrev_b64_e32 v[9:10], v9, v[1:2]
	v_sub_nc_u32_e32 v10, 29, v47
	s_delay_alu instid0(VALU_DEP_2)
	v_and_b32_e32 v9, 7, v9
; %bb.686:                              ;   in Loop: Header=BB250_426 Depth=1
	s_wait_alu 0xfffe
	s_or_b32 exec_lo, exec_lo, s24
	v_lshlrev_b32_e32 v1, 8, v1
	v_lshl_add_u32 v10, v10, 10, 0x2000
	v_lshlrev_b32_e32 v9, 23, v9
	s_delay_alu instid0(VALU_DEP_2) | instskip(NEXT) | instid1(VALU_DEP_1)
	v_and_or_b32 v1, 0x8000, v1, v10
	v_lshl_or_b32 v9, v1, 16, v9
.LBB250_687:                            ;   in Loop: Header=BB250_426 Depth=1
	s_wait_alu 0xfffe
	s_or_b32 exec_lo, exec_lo, s19
.LBB250_688:                            ;   in Loop: Header=BB250_426 Depth=1
	s_wait_alu 0xfffe
	s_or_b32 exec_lo, exec_lo, s18
.LBB250_689:                            ;   in Loop: Header=BB250_426 Depth=1
	s_wait_alu 0xfffe
	s_or_b32 exec_lo, exec_lo, s17
	v_or_b32_e32 v1, v42, v43
	s_wait_loadcnt 0x0
	v_fma_mixlo_f16 v10, v39, v42, 0 op_sel:[0,1,0] op_sel_hi:[0,1,0]
	v_or_b32_e32 v42, v40, v41
	v_fma_mixlo_f16 v40, v39, v40, 0 op_sel:[0,1,0] op_sel_hi:[0,1,0]
	v_or_b32_e32 v43, v46, v45
	v_or_b32_e32 v44, v9, v44
	v_fma_mixlo_f16 v45, v39, v1, 0 op_sel_hi:[0,1,0]
	v_fma_mixlo_f16 v9, v39, v9, 0 op_sel:[0,1,0] op_sel_hi:[0,1,0]
	v_lshlrev_b32_e32 v41, 16, v40
	v_fma_mixlo_f16 v40, v39, v42, 0 op_sel_hi:[0,1,0]
	v_fma_mixlo_f16 v42, v39, v46, 0 op_sel:[0,1,0] op_sel_hi:[0,1,0]
	v_fma_mixlo_f16 v43, v39, v43, 0 op_sel_hi:[0,1,0]
	v_fma_mixlo_f16 v44, v39, v44, 0 op_sel_hi:[0,1,0]
	v_lshlrev_b32_e32 v1, 16, v10
	v_and_b32_e32 v10, 0xffff, v45
	v_and_b32_e32 v47, 0xffff, v40
	v_lshlrev_b32_e32 v39, 16, v42
	v_and_b32_e32 v43, 0xffff, v43
	v_lshlrev_b32_e32 v9, 16, v9
	v_and_b32_e32 v40, 0xffff, v44
	v_or_b32_e32 v42, v1, v10
	v_or_b32_e32 v46, v41, v47
	v_or_b32_e32 v45, v39, v43
	s_delay_alu instid0(VALU_DEP_4)
	v_or_b32_e32 v44, v9, v40
	s_and_saveexec_b32 s17, vcc_lo
	s_cbranch_execz .LBB250_691
; %bb.690:                              ;   in Loop: Header=BB250_426 Depth=1
	v_cmp_gt_i32_e64 s0, s34, v12
	s_wait_alu 0xf1ff
	s_delay_alu instid0(VALU_DEP_1) | instskip(SKIP_2) | instid1(VALU_DEP_1)
	v_cndmask_b32_e64 v42, 0, v47, s0
	v_cmp_gt_i32_e64 s0, s34, v28
	s_wait_alu 0xf1ff
	v_cndmask_b32_e64 v41, 0, v41, s0
	v_cmp_gt_i32_e64 s0, s34, v27
	s_delay_alu instid0(VALU_DEP_2) | instskip(SKIP_1) | instid1(VALU_DEP_2)
	v_or_b32_e32 v46, v41, v42
	s_wait_alu 0xf1ff
	v_cndmask_b32_e64 v10, 0, v10, s0
	v_cmp_gt_i32_e64 s0, s34, v26
	s_wait_alu 0xf1ff
	s_delay_alu instid0(VALU_DEP_1) | instskip(SKIP_1) | instid1(VALU_DEP_2)
	v_cndmask_b32_e64 v1, 0, v1, s0
	v_cmp_gt_i32_e64 s0, s34, v25
	v_or_b32_e32 v42, v1, v10
	s_wait_alu 0xf1ff
	s_delay_alu instid0(VALU_DEP_2) | instskip(SKIP_2) | instid1(VALU_DEP_1)
	v_cndmask_b32_e64 v43, 0, v43, s0
	v_cmp_gt_i32_e64 s0, s34, v24
	s_wait_alu 0xf1ff
	v_cndmask_b32_e64 v39, 0, v39, s0
	v_cmp_gt_i32_e64 s0, s34, v23
	s_delay_alu instid0(VALU_DEP_2) | instskip(SKIP_1) | instid1(VALU_DEP_2)
	v_or_b32_e32 v45, v39, v43
	s_wait_alu 0xf1ff
	v_cndmask_b32_e64 v40, 0, v40, s0
	v_cmp_gt_i32_e64 s0, s34, v22
	s_wait_alu 0xf1ff
	s_delay_alu instid0(VALU_DEP_1) | instskip(NEXT) | instid1(VALU_DEP_1)
	v_cndmask_b32_e64 v9, 0, v9, s0
	v_or_b32_e32 v44, v9, v40
.LBB250_691:                            ;   in Loop: Header=BB250_426 Depth=1
	s_wait_alu 0xfffe
	s_or_b32 exec_lo, exec_lo, s17
	;;#ASMSTART
	v_pk_mul_f16 v1, v34, v46;

	;;#ASMEND
	;;#ASMSTART
	v_pk_mul_f16 v9, v33, v42;

	;;#ASMEND
	;; [unrolled: 4-line block ×4, first 2 shown]
	;;#ASMSTART
	v_pk_add_f16 v1, v1, v9;

	;;#ASMEND
	;;#ASMSTART
	v_pk_add_f16 v1, v1, v10;

	;;#ASMEND
	;; [unrolled: 4-line block ×3, first 2 shown]
	v_dual_mov_b32 v42, 0 :: v_dual_and_b32 v9, 0xffff, v1
	v_lshrrev_b32_e32 v1, 16, v1
	;;#ASMSTART
	v_cvt_f32_f16 v39, v9;
	;;#ASMEND
	;;#ASMSTART
	v_cvt_f32_f16 v40, v1;
	;;#ASMEND
	global_load_b64 v[9:10], v[7:8], off offset:1024
	global_load_b32 v41, v42, s[10:11]
	v_mov_b32_e32 v43, 0
	s_mov_b32 s17, exec_lo
	s_wait_loadcnt 0x1
	v_and_b32_e32 v1, 0xff, v9
	s_delay_alu instid0(VALU_DEP_1)
	v_cmpx_ne_u16_e32 0, v1
	s_cbranch_execz .LBB250_699
; %bb.692:                              ;   in Loop: Header=BB250_426 Depth=1
	v_mov_b32_e32 v43, 0x8000
	s_mov_b32 s18, exec_lo
	v_cmpx_ne_u16_e32 0x80, v1
	s_cbranch_execz .LBB250_698
; %bb.693:                              ;   in Loop: Header=BB250_426 Depth=1
	v_and_b32_e32 v44, 0x7f, v9
	v_mov_b32_e32 v43, 0x7c01
	s_mov_b32 s19, exec_lo
	s_delay_alu instid0(VALU_DEP_2)
	v_cmpx_ne_u32_e32 0x7f, v44
	s_cbranch_execz .LBB250_697
; %bb.694:                              ;   in Loop: Header=BB250_426 Depth=1
	v_and_b32_e32 v1, 7, v9
	v_lshrrev_b32_e32 v43, 3, v44
	s_mov_b32 s24, exec_lo
	v_cmpx_gt_u32_e32 8, v44
; %bb.695:                              ;   in Loop: Header=BB250_426 Depth=1
	s_delay_alu instid0(VALU_DEP_3) | instskip(NEXT) | instid1(VALU_DEP_1)
	v_clz_i32_u32_e32 v1, v1
	v_min_u32_e32 v1, 32, v1
	s_delay_alu instid0(VALU_DEP_1) | instskip(NEXT) | instid1(VALU_DEP_1)
	v_subrev_nc_u32_e32 v43, 28, v1
	v_lshlrev_b64_e32 v[44:45], v43, v[9:10]
	v_sub_nc_u32_e32 v43, 29, v1
	s_delay_alu instid0(VALU_DEP_2)
	v_and_b32_e32 v1, 7, v44
; %bb.696:                              ;   in Loop: Header=BB250_426 Depth=1
	s_wait_alu 0xfffe
	s_or_b32 exec_lo, exec_lo, s24
	v_lshlrev_b32_e32 v44, 8, v9
	v_lshl_add_u32 v43, v43, 10, 0x2000
	v_lshlrev_b32_e32 v1, 7, v1
	s_delay_alu instid0(VALU_DEP_3) | instskip(NEXT) | instid1(VALU_DEP_3)
	v_and_b32_e32 v44, 0x8000, v44
	v_and_b32_e32 v43, 0xfc00, v43
	s_delay_alu instid0(VALU_DEP_1)
	v_or3_b32 v43, v44, v43, v1
.LBB250_697:                            ;   in Loop: Header=BB250_426 Depth=1
	s_wait_alu 0xfffe
	s_or_b32 exec_lo, exec_lo, s19
.LBB250_698:                            ;   in Loop: Header=BB250_426 Depth=1
	s_wait_alu 0xfffe
	s_or_b32 exec_lo, exec_lo, s18
.LBB250_699:                            ;   in Loop: Header=BB250_426 Depth=1
	s_wait_alu 0xfffe
	s_or_b32 exec_lo, exec_lo, s17
	v_lshrrev_b16 v1, 8, v9
	s_mov_b32 s17, exec_lo
	s_delay_alu instid0(VALU_DEP_1)
	v_cmpx_ne_u16_e32 0, v1
	s_cbranch_execz .LBB250_707
; %bb.700:                              ;   in Loop: Header=BB250_426 Depth=1
	v_bfrev_b32_e32 v42, 1
	s_mov_b32 s18, exec_lo
	v_cmpx_ne_u16_e32 0x80, v1
	s_cbranch_execz .LBB250_706
; %bb.701:                              ;   in Loop: Header=BB250_426 Depth=1
	v_and_b32_e32 v44, 0xffff, v1
	v_mov_b32_e32 v42, 0x7c010000
	s_mov_b32 s19, exec_lo
	s_delay_alu instid0(VALU_DEP_2) | instskip(NEXT) | instid1(VALU_DEP_1)
	v_and_b32_e32 v46, 0x7f, v44
	v_cmpx_ne_u32_e32 0x7f, v46
	s_cbranch_execz .LBB250_705
; %bb.702:                              ;   in Loop: Header=BB250_426 Depth=1
	v_and_b32_e32 v42, 7, v44
	v_lshrrev_b32_e32 v45, 3, v46
	s_mov_b32 s24, exec_lo
	v_cmpx_gt_u32_e32 8, v46
; %bb.703:                              ;   in Loop: Header=BB250_426 Depth=1
	s_delay_alu instid0(VALU_DEP_3) | instskip(NEXT) | instid1(VALU_DEP_1)
	v_clz_i32_u32_e32 v42, v42
	v_min_u32_e32 v42, 32, v42
	s_delay_alu instid0(VALU_DEP_1) | instskip(NEXT) | instid1(VALU_DEP_1)
	v_subrev_nc_u32_e32 v45, 28, v42
	v_lshlrev_b64_e32 v[46:47], v45, v[1:2]
	v_sub_nc_u32_e32 v45, 29, v42
	s_delay_alu instid0(VALU_DEP_2)
	v_and_b32_e32 v42, 7, v46
; %bb.704:                              ;   in Loop: Header=BB250_426 Depth=1
	s_wait_alu 0xfffe
	s_or_b32 exec_lo, exec_lo, s24
	v_lshlrev_b32_e32 v1, 8, v44
	v_lshl_add_u32 v44, v45, 10, 0x2000
	v_lshlrev_b32_e32 v42, 23, v42
	s_delay_alu instid0(VALU_DEP_2) | instskip(NEXT) | instid1(VALU_DEP_1)
	v_and_or_b32 v1, 0x8000, v1, v44
	v_lshl_or_b32 v42, v1, 16, v42
.LBB250_705:                            ;   in Loop: Header=BB250_426 Depth=1
	s_wait_alu 0xfffe
	s_or_b32 exec_lo, exec_lo, s19
.LBB250_706:                            ;   in Loop: Header=BB250_426 Depth=1
	s_wait_alu 0xfffe
	s_or_b32 exec_lo, exec_lo, s18
.LBB250_707:                            ;   in Loop: Header=BB250_426 Depth=1
	s_wait_alu 0xfffe
	s_or_b32 exec_lo, exec_lo, s17
	v_lshrrev_b32_e32 v1, 16, v9
	v_mov_b32_e32 v44, 0
	s_mov_b32 s17, exec_lo
	s_delay_alu instid0(VALU_DEP_2) | instskip(NEXT) | instid1(VALU_DEP_1)
	v_dual_mov_b32 v45, 0 :: v_dual_and_b32 v46, 0xff, v1
	v_cmpx_ne_u16_e32 0, v46
	s_cbranch_execz .LBB250_715
; %bb.708:                              ;   in Loop: Header=BB250_426 Depth=1
	v_mov_b32_e32 v45, 0x8000
	s_mov_b32 s18, exec_lo
	v_cmpx_ne_u16_e32 0x80, v46
	s_cbranch_execz .LBB250_714
; %bb.709:                              ;   in Loop: Header=BB250_426 Depth=1
	v_bfe_u32 v47, v9, 16, 7
	v_mov_b32_e32 v45, 0x7c01
	s_mov_b32 s19, exec_lo
	s_delay_alu instid0(VALU_DEP_2)
	v_cmpx_ne_u32_e32 0x7f, v47
	s_cbranch_execz .LBB250_713
; %bb.710:                              ;   in Loop: Header=BB250_426 Depth=1
	v_and_b32_e32 v45, 7, v1
	v_lshrrev_b32_e32 v46, 3, v47
	s_mov_b32 s24, exec_lo
	v_cmpx_gt_u32_e32 8, v47
; %bb.711:                              ;   in Loop: Header=BB250_426 Depth=1
	s_delay_alu instid0(VALU_DEP_3) | instskip(NEXT) | instid1(VALU_DEP_1)
	v_clz_i32_u32_e32 v45, v45
	v_min_u32_e32 v47, 32, v45
	s_delay_alu instid0(VALU_DEP_1) | instskip(NEXT) | instid1(VALU_DEP_1)
	v_subrev_nc_u32_e32 v45, 28, v47
	v_lshlrev_b64_e32 v[45:46], v45, v[1:2]
	v_sub_nc_u32_e32 v46, 29, v47
	s_delay_alu instid0(VALU_DEP_2)
	v_and_b32_e32 v45, 7, v45
; %bb.712:                              ;   in Loop: Header=BB250_426 Depth=1
	s_wait_alu 0xfffe
	s_or_b32 exec_lo, exec_lo, s24
	v_lshlrev_b32_e32 v1, 8, v1
	v_lshl_add_u32 v46, v46, 10, 0x2000
	v_lshlrev_b32_e32 v45, 7, v45
	s_delay_alu instid0(VALU_DEP_3) | instskip(NEXT) | instid1(VALU_DEP_3)
	v_and_b32_e32 v1, 0x8000, v1
	v_and_b32_e32 v46, 0xfc00, v46
	s_delay_alu instid0(VALU_DEP_1)
	v_or3_b32 v45, v1, v46, v45
.LBB250_713:                            ;   in Loop: Header=BB250_426 Depth=1
	s_wait_alu 0xfffe
	s_or_b32 exec_lo, exec_lo, s19
.LBB250_714:                            ;   in Loop: Header=BB250_426 Depth=1
	s_wait_alu 0xfffe
	s_or_b32 exec_lo, exec_lo, s18
.LBB250_715:                            ;   in Loop: Header=BB250_426 Depth=1
	s_wait_alu 0xfffe
	s_or_b32 exec_lo, exec_lo, s17
	s_delay_alu instid0(SALU_CYCLE_1)
	s_mov_b32 s17, exec_lo
	v_cmpx_lt_u32_e32 0xffffff, v9
	s_cbranch_execz .LBB250_723
; %bb.716:                              ;   in Loop: Header=BB250_426 Depth=1
	v_lshrrev_b32_e32 v1, 24, v9
	v_bfrev_b32_e32 v44, 1
	s_mov_b32 s18, exec_lo
	s_delay_alu instid0(VALU_DEP_2)
	v_cmpx_ne_u32_e32 0x80, v1
	s_cbranch_execz .LBB250_722
; %bb.717:                              ;   in Loop: Header=BB250_426 Depth=1
	v_and_b32_e32 v47, 0x7f, v1
	v_mov_b32_e32 v44, 0x7c010000
	s_mov_b32 s19, exec_lo
	s_delay_alu instid0(VALU_DEP_2)
	v_cmpx_ne_u32_e32 0x7f, v47
	s_cbranch_execz .LBB250_721
; %bb.718:                              ;   in Loop: Header=BB250_426 Depth=1
	v_and_b32_e32 v44, 7, v1
	v_lshrrev_b32_e32 v46, 3, v47
	s_mov_b32 s24, exec_lo
	v_cmpx_gt_u32_e32 8, v47
; %bb.719:                              ;   in Loop: Header=BB250_426 Depth=1
	s_delay_alu instid0(VALU_DEP_3) | instskip(NEXT) | instid1(VALU_DEP_1)
	v_clz_i32_u32_e32 v44, v44
	v_min_u32_e32 v44, 32, v44
	s_delay_alu instid0(VALU_DEP_1) | instskip(NEXT) | instid1(VALU_DEP_1)
	v_subrev_nc_u32_e32 v46, 28, v44
	v_lshlrev_b64_e32 v[47:48], v46, v[1:2]
	v_sub_nc_u32_e32 v46, 29, v44
	s_delay_alu instid0(VALU_DEP_2)
	v_and_b32_e32 v44, 7, v47
; %bb.720:                              ;   in Loop: Header=BB250_426 Depth=1
	s_wait_alu 0xfffe
	s_or_b32 exec_lo, exec_lo, s24
	v_lshlrev_b32_e32 v1, 8, v1
	v_lshl_add_u32 v46, v46, 10, 0x2000
	v_lshlrev_b32_e32 v44, 23, v44
	s_delay_alu instid0(VALU_DEP_2) | instskip(NEXT) | instid1(VALU_DEP_1)
	v_and_or_b32 v1, 0x8000, v1, v46
	v_lshl_or_b32 v44, v1, 16, v44
.LBB250_721:                            ;   in Loop: Header=BB250_426 Depth=1
	s_wait_alu 0xfffe
	s_or_b32 exec_lo, exec_lo, s19
.LBB250_722:                            ;   in Loop: Header=BB250_426 Depth=1
	s_wait_alu 0xfffe
	s_or_b32 exec_lo, exec_lo, s18
.LBB250_723:                            ;   in Loop: Header=BB250_426 Depth=1
	s_wait_alu 0xfffe
	s_or_b32 exec_lo, exec_lo, s17
	v_dual_mov_b32 v1, v10 :: v_dual_and_b32 v48, 0xff, v10
	v_dual_mov_b32 v46, 0 :: v_dual_mov_b32 v47, 0
	s_mov_b32 s17, exec_lo
	s_delay_alu instid0(VALU_DEP_2)
	v_cmpx_ne_u16_e32 0, v48
	s_cbranch_execz .LBB250_731
; %bb.724:                              ;   in Loop: Header=BB250_426 Depth=1
	v_mov_b32_e32 v47, 0x8000
	s_mov_b32 s18, exec_lo
	v_cmpx_ne_u16_e32 0x80, v48
	s_cbranch_execz .LBB250_730
; %bb.725:                              ;   in Loop: Header=BB250_426 Depth=1
	v_and_b32_e32 v49, 0x7f, v10
	v_mov_b32_e32 v47, 0x7c01
	s_mov_b32 s19, exec_lo
	s_delay_alu instid0(VALU_DEP_2)
	v_cmpx_ne_u32_e32 0x7f, v49
	s_cbranch_execz .LBB250_729
; %bb.726:                              ;   in Loop: Header=BB250_426 Depth=1
	v_and_b32_e32 v47, 7, v10
	v_lshrrev_b32_e32 v48, 3, v49
	s_mov_b32 s24, exec_lo
	v_cmpx_gt_u32_e32 8, v49
; %bb.727:                              ;   in Loop: Header=BB250_426 Depth=1
	s_delay_alu instid0(VALU_DEP_3) | instskip(NEXT) | instid1(VALU_DEP_1)
	v_clz_i32_u32_e32 v47, v47
	v_min_u32_e32 v49, 32, v47
	s_delay_alu instid0(VALU_DEP_1) | instskip(NEXT) | instid1(VALU_DEP_1)
	v_subrev_nc_u32_e32 v47, 28, v49
	v_lshlrev_b64_e32 v[47:48], v47, v[1:2]
	v_sub_nc_u32_e32 v48, 29, v49
	s_delay_alu instid0(VALU_DEP_2)
	v_and_b32_e32 v47, 7, v47
; %bb.728:                              ;   in Loop: Header=BB250_426 Depth=1
	s_wait_alu 0xfffe
	s_or_b32 exec_lo, exec_lo, s24
	v_lshlrev_b32_e32 v49, 8, v10
	v_lshl_add_u32 v48, v48, 10, 0x2000
	v_lshlrev_b32_e32 v47, 7, v47
	s_delay_alu instid0(VALU_DEP_3) | instskip(NEXT) | instid1(VALU_DEP_3)
	v_and_b32_e32 v49, 0x8000, v49
	v_and_b32_e32 v48, 0xfc00, v48
	s_delay_alu instid0(VALU_DEP_1)
	v_or3_b32 v47, v49, v48, v47
.LBB250_729:                            ;   in Loop: Header=BB250_426 Depth=1
	s_wait_alu 0xfffe
	s_or_b32 exec_lo, exec_lo, s19
.LBB250_730:                            ;   in Loop: Header=BB250_426 Depth=1
	s_wait_alu 0xfffe
	s_or_b32 exec_lo, exec_lo, s18
.LBB250_731:                            ;   in Loop: Header=BB250_426 Depth=1
	s_wait_alu 0xfffe
	s_or_b32 exec_lo, exec_lo, s17
	v_lshrrev_b16 v1, 8, v1
	v_mov_b32_e32 v48, 0
	s_mov_b32 s17, exec_lo
	s_delay_alu instid0(VALU_DEP_2)
	v_cmpx_ne_u16_e32 0, v1
	s_cbranch_execz .LBB250_739
; %bb.732:                              ;   in Loop: Header=BB250_426 Depth=1
	v_bfrev_b32_e32 v48, 1
	s_mov_b32 s18, exec_lo
	v_cmpx_ne_u16_e32 0x80, v1
	s_cbranch_execz .LBB250_738
; %bb.733:                              ;   in Loop: Header=BB250_426 Depth=1
	v_and_b32_e32 v49, 0xffff, v1
	v_mov_b32_e32 v48, 0x7c010000
	s_mov_b32 s19, exec_lo
	s_delay_alu instid0(VALU_DEP_2) | instskip(NEXT) | instid1(VALU_DEP_1)
	v_and_b32_e32 v51, 0x7f, v49
	v_cmpx_ne_u32_e32 0x7f, v51
	s_cbranch_execz .LBB250_737
; %bb.734:                              ;   in Loop: Header=BB250_426 Depth=1
	v_and_b32_e32 v48, 7, v49
	v_lshrrev_b32_e32 v50, 3, v51
	s_mov_b32 s24, exec_lo
	v_cmpx_gt_u32_e32 8, v51
; %bb.735:                              ;   in Loop: Header=BB250_426 Depth=1
	s_delay_alu instid0(VALU_DEP_3) | instskip(NEXT) | instid1(VALU_DEP_1)
	v_clz_i32_u32_e32 v48, v48
	v_min_u32_e32 v48, 32, v48
	s_delay_alu instid0(VALU_DEP_1) | instskip(NEXT) | instid1(VALU_DEP_1)
	v_subrev_nc_u32_e32 v50, 28, v48
	v_lshlrev_b64_e32 v[51:52], v50, v[1:2]
	v_sub_nc_u32_e32 v50, 29, v48
	s_delay_alu instid0(VALU_DEP_2)
	v_and_b32_e32 v48, 7, v51
; %bb.736:                              ;   in Loop: Header=BB250_426 Depth=1
	s_wait_alu 0xfffe
	s_or_b32 exec_lo, exec_lo, s24
	v_lshlrev_b32_e32 v1, 8, v49
	v_lshl_add_u32 v49, v50, 10, 0x2000
	v_lshlrev_b32_e32 v48, 23, v48
	s_delay_alu instid0(VALU_DEP_2) | instskip(NEXT) | instid1(VALU_DEP_1)
	v_and_or_b32 v1, 0x8000, v1, v49
	v_lshl_or_b32 v48, v1, 16, v48
.LBB250_737:                            ;   in Loop: Header=BB250_426 Depth=1
	s_wait_alu 0xfffe
	s_or_b32 exec_lo, exec_lo, s19
.LBB250_738:                            ;   in Loop: Header=BB250_426 Depth=1
	s_wait_alu 0xfffe
	s_or_b32 exec_lo, exec_lo, s18
.LBB250_739:                            ;   in Loop: Header=BB250_426 Depth=1
	s_wait_alu 0xfffe
	s_or_b32 exec_lo, exec_lo, s17
	v_lshrrev_b32_e32 v1, 16, v10
	s_mov_b32 s17, exec_lo
	s_delay_alu instid0(VALU_DEP_1) | instskip(NEXT) | instid1(VALU_DEP_1)
	v_and_b32_e32 v49, 0xff, v1
	v_cmpx_ne_u16_e32 0, v49
	s_cbranch_execz .LBB250_747
; %bb.740:                              ;   in Loop: Header=BB250_426 Depth=1
	v_mov_b32_e32 v46, 0x8000
	s_mov_b32 s18, exec_lo
	v_cmpx_ne_u16_e32 0x80, v49
	s_cbranch_execz .LBB250_746
; %bb.741:                              ;   in Loop: Header=BB250_426 Depth=1
	v_bfe_u32 v50, v10, 16, 7
	v_mov_b32_e32 v46, 0x7c01
	s_mov_b32 s19, exec_lo
	s_delay_alu instid0(VALU_DEP_2)
	v_cmpx_ne_u32_e32 0x7f, v50
	s_cbranch_execz .LBB250_745
; %bb.742:                              ;   in Loop: Header=BB250_426 Depth=1
	v_and_b32_e32 v46, 7, v1
	v_lshrrev_b32_e32 v49, 3, v50
	s_mov_b32 s24, exec_lo
	v_cmpx_gt_u32_e32 8, v50
; %bb.743:                              ;   in Loop: Header=BB250_426 Depth=1
	s_delay_alu instid0(VALU_DEP_3) | instskip(NEXT) | instid1(VALU_DEP_1)
	v_clz_i32_u32_e32 v46, v46
	v_min_u32_e32 v46, 32, v46
	s_delay_alu instid0(VALU_DEP_1) | instskip(NEXT) | instid1(VALU_DEP_1)
	v_subrev_nc_u32_e32 v49, 28, v46
	v_lshlrev_b64_e32 v[50:51], v49, v[1:2]
	v_sub_nc_u32_e32 v49, 29, v46
	s_delay_alu instid0(VALU_DEP_2)
	v_and_b32_e32 v46, 7, v50
; %bb.744:                              ;   in Loop: Header=BB250_426 Depth=1
	s_wait_alu 0xfffe
	s_or_b32 exec_lo, exec_lo, s24
	v_lshlrev_b32_e32 v1, 8, v1
	v_lshl_add_u32 v49, v49, 10, 0x2000
	v_lshlrev_b32_e32 v46, 7, v46
	s_delay_alu instid0(VALU_DEP_3) | instskip(NEXT) | instid1(VALU_DEP_3)
	v_and_b32_e32 v1, 0x8000, v1
	v_and_b32_e32 v49, 0xfc00, v49
	s_delay_alu instid0(VALU_DEP_1)
	v_or3_b32 v46, v1, v49, v46
.LBB250_745:                            ;   in Loop: Header=BB250_426 Depth=1
	s_wait_alu 0xfffe
	s_or_b32 exec_lo, exec_lo, s19
.LBB250_746:                            ;   in Loop: Header=BB250_426 Depth=1
	s_wait_alu 0xfffe
	s_or_b32 exec_lo, exec_lo, s18
.LBB250_747:                            ;   in Loop: Header=BB250_426 Depth=1
	s_wait_alu 0xfffe
	s_or_b32 exec_lo, exec_lo, s17
	v_cmp_lt_u64_e64 s0, s[2:3], v[9:10]
	v_mov_b32_e32 v9, 0
	s_and_saveexec_b32 s17, s0
	s_cbranch_execz .LBB250_755
; %bb.748:                              ;   in Loop: Header=BB250_426 Depth=1
	v_lshrrev_b32_e32 v1, 24, v10
	v_bfrev_b32_e32 v9, 1
	s_mov_b32 s18, exec_lo
	s_delay_alu instid0(VALU_DEP_2)
	v_cmpx_ne_u32_e32 0x80, v1
	s_cbranch_execz .LBB250_754
; %bb.749:                              ;   in Loop: Header=BB250_426 Depth=1
	v_and_b32_e32 v49, 0x7f, v1
	v_mov_b32_e32 v9, 0x7c010000
	s_mov_b32 s19, exec_lo
	s_delay_alu instid0(VALU_DEP_2)
	v_cmpx_ne_u32_e32 0x7f, v49
	s_cbranch_execz .LBB250_753
; %bb.750:                              ;   in Loop: Header=BB250_426 Depth=1
	v_and_b32_e32 v9, 7, v1
	v_lshrrev_b32_e32 v10, 3, v49
	s_mov_b32 s24, exec_lo
	v_cmpx_gt_u32_e32 8, v49
; %bb.751:                              ;   in Loop: Header=BB250_426 Depth=1
	s_delay_alu instid0(VALU_DEP_3) | instskip(NEXT) | instid1(VALU_DEP_1)
	v_clz_i32_u32_e32 v9, v9
	v_min_u32_e32 v49, 32, v9
	s_delay_alu instid0(VALU_DEP_1) | instskip(NEXT) | instid1(VALU_DEP_1)
	v_subrev_nc_u32_e32 v9, 28, v49
	v_lshlrev_b64_e32 v[9:10], v9, v[1:2]
	v_sub_nc_u32_e32 v10, 29, v49
	s_delay_alu instid0(VALU_DEP_2)
	v_and_b32_e32 v9, 7, v9
; %bb.752:                              ;   in Loop: Header=BB250_426 Depth=1
	s_wait_alu 0xfffe
	s_or_b32 exec_lo, exec_lo, s24
	v_lshlrev_b32_e32 v1, 8, v1
	v_lshl_add_u32 v10, v10, 10, 0x2000
	v_lshlrev_b32_e32 v9, 23, v9
	s_delay_alu instid0(VALU_DEP_2) | instskip(NEXT) | instid1(VALU_DEP_1)
	v_and_or_b32 v1, 0x8000, v1, v10
	v_lshl_or_b32 v9, v1, 16, v9
.LBB250_753:                            ;   in Loop: Header=BB250_426 Depth=1
	s_wait_alu 0xfffe
	s_or_b32 exec_lo, exec_lo, s19
.LBB250_754:                            ;   in Loop: Header=BB250_426 Depth=1
	s_wait_alu 0xfffe
	s_or_b32 exec_lo, exec_lo, s18
.LBB250_755:                            ;   in Loop: Header=BB250_426 Depth=1
	s_wait_alu 0xfffe
	s_or_b32 exec_lo, exec_lo, s17
	v_or_b32_e32 v1, v44, v45
	s_wait_loadcnt 0x0
	v_fma_mixlo_f16 v10, v41, v44, 0 op_sel:[0,1,0] op_sel_hi:[0,1,0]
	v_or_b32_e32 v44, v42, v43
	v_fma_mixlo_f16 v42, v41, v42, 0 op_sel:[0,1,0] op_sel_hi:[0,1,0]
	v_or_b32_e32 v45, v48, v47
	v_or_b32_e32 v46, v9, v46
	v_fma_mixlo_f16 v47, v41, v1, 0 op_sel_hi:[0,1,0]
	v_fma_mixlo_f16 v9, v41, v9, 0 op_sel:[0,1,0] op_sel_hi:[0,1,0]
	v_lshlrev_b32_e32 v43, 16, v42
	v_fma_mixlo_f16 v42, v41, v44, 0 op_sel_hi:[0,1,0]
	v_fma_mixlo_f16 v44, v41, v48, 0 op_sel:[0,1,0] op_sel_hi:[0,1,0]
	v_fma_mixlo_f16 v45, v41, v45, 0 op_sel_hi:[0,1,0]
	v_fma_mixlo_f16 v46, v41, v46, 0 op_sel_hi:[0,1,0]
	v_lshlrev_b32_e32 v1, 16, v10
	v_and_b32_e32 v10, 0xffff, v47
	v_and_b32_e32 v49, 0xffff, v42
	v_lshlrev_b32_e32 v41, 16, v44
	v_and_b32_e32 v45, 0xffff, v45
	v_lshlrev_b32_e32 v9, 16, v9
	v_and_b32_e32 v42, 0xffff, v46
	v_or_b32_e32 v44, v1, v10
	v_or_b32_e32 v48, v43, v49
	;; [unrolled: 1-line block ×3, first 2 shown]
	s_delay_alu instid0(VALU_DEP_4)
	v_or_b32_e32 v46, v9, v42
	s_and_saveexec_b32 s17, vcc_lo
	s_cbranch_execz .LBB250_757
; %bb.756:                              ;   in Loop: Header=BB250_426 Depth=1
	v_cmp_gt_i32_e64 s0, s34, v12
	s_wait_alu 0xf1ff
	s_delay_alu instid0(VALU_DEP_1) | instskip(SKIP_2) | instid1(VALU_DEP_1)
	v_cndmask_b32_e64 v44, 0, v49, s0
	v_cmp_gt_i32_e64 s0, s34, v28
	s_wait_alu 0xf1ff
	v_cndmask_b32_e64 v43, 0, v43, s0
	v_cmp_gt_i32_e64 s0, s34, v27
	s_delay_alu instid0(VALU_DEP_2) | instskip(SKIP_1) | instid1(VALU_DEP_2)
	v_or_b32_e32 v48, v43, v44
	s_wait_alu 0xf1ff
	v_cndmask_b32_e64 v10, 0, v10, s0
	v_cmp_gt_i32_e64 s0, s34, v26
	s_wait_alu 0xf1ff
	s_delay_alu instid0(VALU_DEP_1) | instskip(SKIP_1) | instid1(VALU_DEP_2)
	v_cndmask_b32_e64 v1, 0, v1, s0
	v_cmp_gt_i32_e64 s0, s34, v25
	v_or_b32_e32 v44, v1, v10
	s_wait_alu 0xf1ff
	s_delay_alu instid0(VALU_DEP_2) | instskip(SKIP_2) | instid1(VALU_DEP_1)
	v_cndmask_b32_e64 v45, 0, v45, s0
	v_cmp_gt_i32_e64 s0, s34, v24
	s_wait_alu 0xf1ff
	v_cndmask_b32_e64 v41, 0, v41, s0
	v_cmp_gt_i32_e64 s0, s34, v23
	s_delay_alu instid0(VALU_DEP_2) | instskip(SKIP_1) | instid1(VALU_DEP_2)
	v_or_b32_e32 v47, v41, v45
	s_wait_alu 0xf1ff
	v_cndmask_b32_e64 v42, 0, v42, s0
	v_cmp_gt_i32_e64 s0, s34, v22
	s_wait_alu 0xf1ff
	s_delay_alu instid0(VALU_DEP_1) | instskip(NEXT) | instid1(VALU_DEP_1)
	v_cndmask_b32_e64 v9, 0, v9, s0
	v_or_b32_e32 v46, v9, v42
.LBB250_757:                            ;   in Loop: Header=BB250_426 Depth=1
	s_wait_alu 0xfffe
	s_or_b32 exec_lo, exec_lo, s17
	;;#ASMSTART
	v_pk_mul_f16 v1, v34, v48;

	;;#ASMEND
	;;#ASMSTART
	v_pk_mul_f16 v9, v33, v44;

	;;#ASMEND
	;;#ASMSTART
	v_pk_mul_f16 v10, v32, v47;

	;;#ASMEND
	;;#ASMSTART
	v_pk_mul_f16 v41, v31, v46;

	;;#ASMEND
	;;#ASMSTART
	v_pk_add_f16 v1, v1, v9;

	;;#ASMEND
	;;#ASMSTART
	v_pk_add_f16 v1, v1, v10;

	;;#ASMEND
	;; [unrolled: 4-line block ×3, first 2 shown]
	v_dual_mov_b32 v42, 0 :: v_dual_and_b32 v9, 0xffff, v1
	v_lshrrev_b32_e32 v1, 16, v1
	;;#ASMSTART
	v_cvt_f32_f16 v9, v9;
	;;#ASMEND
	;;#ASMSTART
	v_cvt_f32_f16 v10, v1;
	;;#ASMEND
	global_load_b64 v[7:8], v[7:8], off offset:1280
	global_load_b32 v41, v42, s[10:11]
	v_mov_b32_e32 v43, 0
	s_mov_b32 s17, exec_lo
	s_wait_loadcnt 0x1
	v_and_b32_e32 v1, 0xff, v7
	s_delay_alu instid0(VALU_DEP_1)
	v_cmpx_ne_u16_e32 0, v1
	s_cbranch_execz .LBB250_765
; %bb.758:                              ;   in Loop: Header=BB250_426 Depth=1
	v_mov_b32_e32 v43, 0x8000
	s_mov_b32 s18, exec_lo
	v_cmpx_ne_u16_e32 0x80, v1
	s_cbranch_execz .LBB250_764
; %bb.759:                              ;   in Loop: Header=BB250_426 Depth=1
	v_and_b32_e32 v44, 0x7f, v7
	v_mov_b32_e32 v43, 0x7c01
	s_mov_b32 s19, exec_lo
	s_delay_alu instid0(VALU_DEP_2)
	v_cmpx_ne_u32_e32 0x7f, v44
	s_cbranch_execz .LBB250_763
; %bb.760:                              ;   in Loop: Header=BB250_426 Depth=1
	v_and_b32_e32 v1, 7, v7
	v_lshrrev_b32_e32 v43, 3, v44
	s_mov_b32 s24, exec_lo
	v_cmpx_gt_u32_e32 8, v44
; %bb.761:                              ;   in Loop: Header=BB250_426 Depth=1
	s_delay_alu instid0(VALU_DEP_3) | instskip(NEXT) | instid1(VALU_DEP_1)
	v_clz_i32_u32_e32 v1, v1
	v_min_u32_e32 v1, 32, v1
	s_delay_alu instid0(VALU_DEP_1) | instskip(NEXT) | instid1(VALU_DEP_1)
	v_subrev_nc_u32_e32 v43, 28, v1
	v_lshlrev_b64_e32 v[44:45], v43, v[7:8]
	v_sub_nc_u32_e32 v43, 29, v1
	s_delay_alu instid0(VALU_DEP_2)
	v_and_b32_e32 v1, 7, v44
; %bb.762:                              ;   in Loop: Header=BB250_426 Depth=1
	s_wait_alu 0xfffe
	s_or_b32 exec_lo, exec_lo, s24
	v_lshlrev_b32_e32 v44, 8, v7
	v_lshl_add_u32 v43, v43, 10, 0x2000
	v_lshlrev_b32_e32 v1, 7, v1
	s_delay_alu instid0(VALU_DEP_3) | instskip(NEXT) | instid1(VALU_DEP_3)
	v_and_b32_e32 v44, 0x8000, v44
	v_and_b32_e32 v43, 0xfc00, v43
	s_delay_alu instid0(VALU_DEP_1)
	v_or3_b32 v43, v44, v43, v1
.LBB250_763:                            ;   in Loop: Header=BB250_426 Depth=1
	s_wait_alu 0xfffe
	s_or_b32 exec_lo, exec_lo, s19
.LBB250_764:                            ;   in Loop: Header=BB250_426 Depth=1
	s_wait_alu 0xfffe
	s_or_b32 exec_lo, exec_lo, s18
.LBB250_765:                            ;   in Loop: Header=BB250_426 Depth=1
	s_wait_alu 0xfffe
	s_or_b32 exec_lo, exec_lo, s17
	v_lshrrev_b16 v1, 8, v7
	s_mov_b32 s17, exec_lo
	s_delay_alu instid0(VALU_DEP_1)
	v_cmpx_ne_u16_e32 0, v1
	s_cbranch_execz .LBB250_773
; %bb.766:                              ;   in Loop: Header=BB250_426 Depth=1
	v_bfrev_b32_e32 v42, 1
	s_mov_b32 s18, exec_lo
	v_cmpx_ne_u16_e32 0x80, v1
	s_cbranch_execz .LBB250_772
; %bb.767:                              ;   in Loop: Header=BB250_426 Depth=1
	v_and_b32_e32 v44, 0xffff, v1
	v_mov_b32_e32 v42, 0x7c010000
	s_mov_b32 s19, exec_lo
	s_delay_alu instid0(VALU_DEP_2) | instskip(NEXT) | instid1(VALU_DEP_1)
	v_and_b32_e32 v46, 0x7f, v44
	v_cmpx_ne_u32_e32 0x7f, v46
	s_cbranch_execz .LBB250_771
; %bb.768:                              ;   in Loop: Header=BB250_426 Depth=1
	v_and_b32_e32 v42, 7, v44
	v_lshrrev_b32_e32 v45, 3, v46
	s_mov_b32 s24, exec_lo
	v_cmpx_gt_u32_e32 8, v46
; %bb.769:                              ;   in Loop: Header=BB250_426 Depth=1
	s_delay_alu instid0(VALU_DEP_3) | instskip(NEXT) | instid1(VALU_DEP_1)
	v_clz_i32_u32_e32 v42, v42
	v_min_u32_e32 v42, 32, v42
	s_delay_alu instid0(VALU_DEP_1) | instskip(NEXT) | instid1(VALU_DEP_1)
	v_subrev_nc_u32_e32 v45, 28, v42
	v_lshlrev_b64_e32 v[46:47], v45, v[1:2]
	v_sub_nc_u32_e32 v45, 29, v42
	s_delay_alu instid0(VALU_DEP_2)
	v_and_b32_e32 v42, 7, v46
; %bb.770:                              ;   in Loop: Header=BB250_426 Depth=1
	s_wait_alu 0xfffe
	s_or_b32 exec_lo, exec_lo, s24
	v_lshlrev_b32_e32 v1, 8, v44
	v_lshl_add_u32 v44, v45, 10, 0x2000
	v_lshlrev_b32_e32 v42, 23, v42
	s_delay_alu instid0(VALU_DEP_2) | instskip(NEXT) | instid1(VALU_DEP_1)
	v_and_or_b32 v1, 0x8000, v1, v44
	v_lshl_or_b32 v42, v1, 16, v42
.LBB250_771:                            ;   in Loop: Header=BB250_426 Depth=1
	s_wait_alu 0xfffe
	s_or_b32 exec_lo, exec_lo, s19
.LBB250_772:                            ;   in Loop: Header=BB250_426 Depth=1
	s_wait_alu 0xfffe
	s_or_b32 exec_lo, exec_lo, s18
.LBB250_773:                            ;   in Loop: Header=BB250_426 Depth=1
	s_wait_alu 0xfffe
	s_or_b32 exec_lo, exec_lo, s17
	v_lshrrev_b32_e32 v1, 16, v7
	v_mov_b32_e32 v44, 0
	s_mov_b32 s17, exec_lo
	s_delay_alu instid0(VALU_DEP_2) | instskip(NEXT) | instid1(VALU_DEP_1)
	v_dual_mov_b32 v45, 0 :: v_dual_and_b32 v46, 0xff, v1
	v_cmpx_ne_u16_e32 0, v46
	s_cbranch_execz .LBB250_781
; %bb.774:                              ;   in Loop: Header=BB250_426 Depth=1
	v_mov_b32_e32 v45, 0x8000
	s_mov_b32 s18, exec_lo
	v_cmpx_ne_u16_e32 0x80, v46
	s_cbranch_execz .LBB250_780
; %bb.775:                              ;   in Loop: Header=BB250_426 Depth=1
	v_bfe_u32 v47, v7, 16, 7
	v_mov_b32_e32 v45, 0x7c01
	s_mov_b32 s19, exec_lo
	s_delay_alu instid0(VALU_DEP_2)
	v_cmpx_ne_u32_e32 0x7f, v47
	s_cbranch_execz .LBB250_779
; %bb.776:                              ;   in Loop: Header=BB250_426 Depth=1
	v_and_b32_e32 v45, 7, v1
	v_lshrrev_b32_e32 v46, 3, v47
	s_mov_b32 s24, exec_lo
	v_cmpx_gt_u32_e32 8, v47
; %bb.777:                              ;   in Loop: Header=BB250_426 Depth=1
	s_delay_alu instid0(VALU_DEP_3) | instskip(NEXT) | instid1(VALU_DEP_1)
	v_clz_i32_u32_e32 v45, v45
	v_min_u32_e32 v47, 32, v45
	s_delay_alu instid0(VALU_DEP_1) | instskip(NEXT) | instid1(VALU_DEP_1)
	v_subrev_nc_u32_e32 v45, 28, v47
	v_lshlrev_b64_e32 v[45:46], v45, v[1:2]
	v_sub_nc_u32_e32 v46, 29, v47
	s_delay_alu instid0(VALU_DEP_2)
	v_and_b32_e32 v45, 7, v45
; %bb.778:                              ;   in Loop: Header=BB250_426 Depth=1
	s_wait_alu 0xfffe
	s_or_b32 exec_lo, exec_lo, s24
	v_lshlrev_b32_e32 v1, 8, v1
	v_lshl_add_u32 v46, v46, 10, 0x2000
	v_lshlrev_b32_e32 v45, 7, v45
	s_delay_alu instid0(VALU_DEP_3) | instskip(NEXT) | instid1(VALU_DEP_3)
	v_and_b32_e32 v1, 0x8000, v1
	v_and_b32_e32 v46, 0xfc00, v46
	s_delay_alu instid0(VALU_DEP_1)
	v_or3_b32 v45, v1, v46, v45
.LBB250_779:                            ;   in Loop: Header=BB250_426 Depth=1
	s_wait_alu 0xfffe
	s_or_b32 exec_lo, exec_lo, s19
.LBB250_780:                            ;   in Loop: Header=BB250_426 Depth=1
	s_wait_alu 0xfffe
	s_or_b32 exec_lo, exec_lo, s18
.LBB250_781:                            ;   in Loop: Header=BB250_426 Depth=1
	s_wait_alu 0xfffe
	s_or_b32 exec_lo, exec_lo, s17
	s_delay_alu instid0(SALU_CYCLE_1)
	s_mov_b32 s17, exec_lo
	v_cmpx_lt_u32_e32 0xffffff, v7
	s_cbranch_execz .LBB250_789
; %bb.782:                              ;   in Loop: Header=BB250_426 Depth=1
	v_lshrrev_b32_e32 v1, 24, v7
	v_bfrev_b32_e32 v44, 1
	s_mov_b32 s18, exec_lo
	s_delay_alu instid0(VALU_DEP_2)
	v_cmpx_ne_u32_e32 0x80, v1
	s_cbranch_execz .LBB250_788
; %bb.783:                              ;   in Loop: Header=BB250_426 Depth=1
	v_and_b32_e32 v47, 0x7f, v1
	v_mov_b32_e32 v44, 0x7c010000
	s_mov_b32 s19, exec_lo
	s_delay_alu instid0(VALU_DEP_2)
	v_cmpx_ne_u32_e32 0x7f, v47
	s_cbranch_execz .LBB250_787
; %bb.784:                              ;   in Loop: Header=BB250_426 Depth=1
	v_and_b32_e32 v44, 7, v1
	v_lshrrev_b32_e32 v46, 3, v47
	s_mov_b32 s24, exec_lo
	v_cmpx_gt_u32_e32 8, v47
; %bb.785:                              ;   in Loop: Header=BB250_426 Depth=1
	s_delay_alu instid0(VALU_DEP_3) | instskip(NEXT) | instid1(VALU_DEP_1)
	v_clz_i32_u32_e32 v44, v44
	v_min_u32_e32 v44, 32, v44
	s_delay_alu instid0(VALU_DEP_1) | instskip(NEXT) | instid1(VALU_DEP_1)
	v_subrev_nc_u32_e32 v46, 28, v44
	v_lshlrev_b64_e32 v[47:48], v46, v[1:2]
	v_sub_nc_u32_e32 v46, 29, v44
	s_delay_alu instid0(VALU_DEP_2)
	v_and_b32_e32 v44, 7, v47
; %bb.786:                              ;   in Loop: Header=BB250_426 Depth=1
	s_wait_alu 0xfffe
	s_or_b32 exec_lo, exec_lo, s24
	v_lshlrev_b32_e32 v1, 8, v1
	v_lshl_add_u32 v46, v46, 10, 0x2000
	v_lshlrev_b32_e32 v44, 23, v44
	s_delay_alu instid0(VALU_DEP_2) | instskip(NEXT) | instid1(VALU_DEP_1)
	v_and_or_b32 v1, 0x8000, v1, v46
	v_lshl_or_b32 v44, v1, 16, v44
.LBB250_787:                            ;   in Loop: Header=BB250_426 Depth=1
	s_wait_alu 0xfffe
	s_or_b32 exec_lo, exec_lo, s19
.LBB250_788:                            ;   in Loop: Header=BB250_426 Depth=1
	s_wait_alu 0xfffe
	s_or_b32 exec_lo, exec_lo, s18
.LBB250_789:                            ;   in Loop: Header=BB250_426 Depth=1
	s_wait_alu 0xfffe
	s_or_b32 exec_lo, exec_lo, s17
	v_dual_mov_b32 v1, v8 :: v_dual_and_b32 v48, 0xff, v8
	v_dual_mov_b32 v46, 0 :: v_dual_mov_b32 v47, 0
	s_mov_b32 s17, exec_lo
	s_delay_alu instid0(VALU_DEP_2)
	v_cmpx_ne_u16_e32 0, v48
	s_cbranch_execz .LBB250_797
; %bb.790:                              ;   in Loop: Header=BB250_426 Depth=1
	v_mov_b32_e32 v47, 0x8000
	s_mov_b32 s18, exec_lo
	v_cmpx_ne_u16_e32 0x80, v48
	s_cbranch_execz .LBB250_796
; %bb.791:                              ;   in Loop: Header=BB250_426 Depth=1
	v_and_b32_e32 v49, 0x7f, v8
	v_mov_b32_e32 v47, 0x7c01
	s_mov_b32 s19, exec_lo
	s_delay_alu instid0(VALU_DEP_2)
	v_cmpx_ne_u32_e32 0x7f, v49
	s_cbranch_execz .LBB250_795
; %bb.792:                              ;   in Loop: Header=BB250_426 Depth=1
	v_and_b32_e32 v47, 7, v8
	v_lshrrev_b32_e32 v48, 3, v49
	s_mov_b32 s24, exec_lo
	v_cmpx_gt_u32_e32 8, v49
; %bb.793:                              ;   in Loop: Header=BB250_426 Depth=1
	s_delay_alu instid0(VALU_DEP_3) | instskip(NEXT) | instid1(VALU_DEP_1)
	v_clz_i32_u32_e32 v47, v47
	v_min_u32_e32 v49, 32, v47
	s_delay_alu instid0(VALU_DEP_1) | instskip(NEXT) | instid1(VALU_DEP_1)
	v_subrev_nc_u32_e32 v47, 28, v49
	v_lshlrev_b64_e32 v[47:48], v47, v[1:2]
	v_sub_nc_u32_e32 v48, 29, v49
	s_delay_alu instid0(VALU_DEP_2)
	v_and_b32_e32 v47, 7, v47
; %bb.794:                              ;   in Loop: Header=BB250_426 Depth=1
	s_wait_alu 0xfffe
	s_or_b32 exec_lo, exec_lo, s24
	v_lshlrev_b32_e32 v49, 8, v8
	v_lshl_add_u32 v48, v48, 10, 0x2000
	v_lshlrev_b32_e32 v47, 7, v47
	s_delay_alu instid0(VALU_DEP_3) | instskip(NEXT) | instid1(VALU_DEP_3)
	v_and_b32_e32 v49, 0x8000, v49
	v_and_b32_e32 v48, 0xfc00, v48
	s_delay_alu instid0(VALU_DEP_1)
	v_or3_b32 v47, v49, v48, v47
.LBB250_795:                            ;   in Loop: Header=BB250_426 Depth=1
	s_wait_alu 0xfffe
	s_or_b32 exec_lo, exec_lo, s19
.LBB250_796:                            ;   in Loop: Header=BB250_426 Depth=1
	s_wait_alu 0xfffe
	s_or_b32 exec_lo, exec_lo, s18
.LBB250_797:                            ;   in Loop: Header=BB250_426 Depth=1
	s_wait_alu 0xfffe
	s_or_b32 exec_lo, exec_lo, s17
	v_lshrrev_b16 v1, 8, v1
	v_mov_b32_e32 v48, 0
	s_mov_b32 s17, exec_lo
	s_delay_alu instid0(VALU_DEP_2)
	v_cmpx_ne_u16_e32 0, v1
	s_cbranch_execz .LBB250_805
; %bb.798:                              ;   in Loop: Header=BB250_426 Depth=1
	v_bfrev_b32_e32 v48, 1
	s_mov_b32 s18, exec_lo
	v_cmpx_ne_u16_e32 0x80, v1
	s_cbranch_execz .LBB250_804
; %bb.799:                              ;   in Loop: Header=BB250_426 Depth=1
	v_and_b32_e32 v49, 0xffff, v1
	v_mov_b32_e32 v48, 0x7c010000
	s_mov_b32 s19, exec_lo
	s_delay_alu instid0(VALU_DEP_2) | instskip(NEXT) | instid1(VALU_DEP_1)
	v_and_b32_e32 v51, 0x7f, v49
	v_cmpx_ne_u32_e32 0x7f, v51
	s_cbranch_execz .LBB250_803
; %bb.800:                              ;   in Loop: Header=BB250_426 Depth=1
	v_and_b32_e32 v48, 7, v49
	v_lshrrev_b32_e32 v50, 3, v51
	s_mov_b32 s24, exec_lo
	v_cmpx_gt_u32_e32 8, v51
; %bb.801:                              ;   in Loop: Header=BB250_426 Depth=1
	s_delay_alu instid0(VALU_DEP_3) | instskip(NEXT) | instid1(VALU_DEP_1)
	v_clz_i32_u32_e32 v48, v48
	v_min_u32_e32 v48, 32, v48
	s_delay_alu instid0(VALU_DEP_1) | instskip(NEXT) | instid1(VALU_DEP_1)
	v_subrev_nc_u32_e32 v50, 28, v48
	v_lshlrev_b64_e32 v[51:52], v50, v[1:2]
	v_sub_nc_u32_e32 v50, 29, v48
	s_delay_alu instid0(VALU_DEP_2)
	v_and_b32_e32 v48, 7, v51
; %bb.802:                              ;   in Loop: Header=BB250_426 Depth=1
	s_wait_alu 0xfffe
	s_or_b32 exec_lo, exec_lo, s24
	v_lshlrev_b32_e32 v1, 8, v49
	v_lshl_add_u32 v49, v50, 10, 0x2000
	v_lshlrev_b32_e32 v48, 23, v48
	s_delay_alu instid0(VALU_DEP_2) | instskip(NEXT) | instid1(VALU_DEP_1)
	v_and_or_b32 v1, 0x8000, v1, v49
	v_lshl_or_b32 v48, v1, 16, v48
.LBB250_803:                            ;   in Loop: Header=BB250_426 Depth=1
	s_wait_alu 0xfffe
	s_or_b32 exec_lo, exec_lo, s19
.LBB250_804:                            ;   in Loop: Header=BB250_426 Depth=1
	s_wait_alu 0xfffe
	s_or_b32 exec_lo, exec_lo, s18
.LBB250_805:                            ;   in Loop: Header=BB250_426 Depth=1
	s_wait_alu 0xfffe
	s_or_b32 exec_lo, exec_lo, s17
	v_lshrrev_b32_e32 v1, 16, v8
	s_mov_b32 s17, exec_lo
	s_delay_alu instid0(VALU_DEP_1) | instskip(NEXT) | instid1(VALU_DEP_1)
	v_and_b32_e32 v49, 0xff, v1
	v_cmpx_ne_u16_e32 0, v49
	s_cbranch_execz .LBB250_813
; %bb.806:                              ;   in Loop: Header=BB250_426 Depth=1
	v_mov_b32_e32 v46, 0x8000
	s_mov_b32 s18, exec_lo
	v_cmpx_ne_u16_e32 0x80, v49
	s_cbranch_execz .LBB250_812
; %bb.807:                              ;   in Loop: Header=BB250_426 Depth=1
	v_bfe_u32 v50, v8, 16, 7
	v_mov_b32_e32 v46, 0x7c01
	s_mov_b32 s19, exec_lo
	s_delay_alu instid0(VALU_DEP_2)
	v_cmpx_ne_u32_e32 0x7f, v50
	s_cbranch_execz .LBB250_811
; %bb.808:                              ;   in Loop: Header=BB250_426 Depth=1
	v_and_b32_e32 v46, 7, v1
	v_lshrrev_b32_e32 v49, 3, v50
	s_mov_b32 s24, exec_lo
	v_cmpx_gt_u32_e32 8, v50
; %bb.809:                              ;   in Loop: Header=BB250_426 Depth=1
	s_delay_alu instid0(VALU_DEP_3) | instskip(NEXT) | instid1(VALU_DEP_1)
	v_clz_i32_u32_e32 v46, v46
	v_min_u32_e32 v46, 32, v46
	s_delay_alu instid0(VALU_DEP_1) | instskip(NEXT) | instid1(VALU_DEP_1)
	v_subrev_nc_u32_e32 v49, 28, v46
	v_lshlrev_b64_e32 v[50:51], v49, v[1:2]
	v_sub_nc_u32_e32 v49, 29, v46
	s_delay_alu instid0(VALU_DEP_2)
	v_and_b32_e32 v46, 7, v50
; %bb.810:                              ;   in Loop: Header=BB250_426 Depth=1
	s_wait_alu 0xfffe
	s_or_b32 exec_lo, exec_lo, s24
	v_lshlrev_b32_e32 v1, 8, v1
	v_lshl_add_u32 v49, v49, 10, 0x2000
	v_lshlrev_b32_e32 v46, 7, v46
	s_delay_alu instid0(VALU_DEP_3) | instskip(NEXT) | instid1(VALU_DEP_3)
	v_and_b32_e32 v1, 0x8000, v1
	v_and_b32_e32 v49, 0xfc00, v49
	s_delay_alu instid0(VALU_DEP_1)
	v_or3_b32 v46, v1, v49, v46
.LBB250_811:                            ;   in Loop: Header=BB250_426 Depth=1
	s_wait_alu 0xfffe
	s_or_b32 exec_lo, exec_lo, s19
.LBB250_812:                            ;   in Loop: Header=BB250_426 Depth=1
	s_wait_alu 0xfffe
	s_or_b32 exec_lo, exec_lo, s18
.LBB250_813:                            ;   in Loop: Header=BB250_426 Depth=1
	s_wait_alu 0xfffe
	s_or_b32 exec_lo, exec_lo, s17
	v_cmp_lt_u64_e64 s0, s[2:3], v[7:8]
	v_mov_b32_e32 v7, 0
	s_and_saveexec_b32 s17, s0
	s_cbranch_execz .LBB250_821
; %bb.814:                              ;   in Loop: Header=BB250_426 Depth=1
	v_lshrrev_b32_e32 v1, 24, v8
	v_bfrev_b32_e32 v7, 1
	s_mov_b32 s18, exec_lo
	s_delay_alu instid0(VALU_DEP_2)
	v_cmpx_ne_u32_e32 0x80, v1
	s_cbranch_execz .LBB250_820
; %bb.815:                              ;   in Loop: Header=BB250_426 Depth=1
	v_and_b32_e32 v49, 0x7f, v1
	v_mov_b32_e32 v7, 0x7c010000
	s_mov_b32 s19, exec_lo
	s_delay_alu instid0(VALU_DEP_2)
	v_cmpx_ne_u32_e32 0x7f, v49
	s_cbranch_execz .LBB250_819
; %bb.816:                              ;   in Loop: Header=BB250_426 Depth=1
	v_and_b32_e32 v7, 7, v1
	v_lshrrev_b32_e32 v8, 3, v49
	s_mov_b32 s24, exec_lo
	v_cmpx_gt_u32_e32 8, v49
; %bb.817:                              ;   in Loop: Header=BB250_426 Depth=1
	s_delay_alu instid0(VALU_DEP_3) | instskip(NEXT) | instid1(VALU_DEP_1)
	v_clz_i32_u32_e32 v7, v7
	v_min_u32_e32 v49, 32, v7
	s_delay_alu instid0(VALU_DEP_1) | instskip(NEXT) | instid1(VALU_DEP_1)
	v_subrev_nc_u32_e32 v7, 28, v49
	v_lshlrev_b64_e32 v[7:8], v7, v[1:2]
	v_sub_nc_u32_e32 v8, 29, v49
	s_delay_alu instid0(VALU_DEP_2)
	v_and_b32_e32 v7, 7, v7
; %bb.818:                              ;   in Loop: Header=BB250_426 Depth=1
	s_wait_alu 0xfffe
	s_or_b32 exec_lo, exec_lo, s24
	v_lshlrev_b32_e32 v1, 8, v1
	v_lshl_add_u32 v8, v8, 10, 0x2000
	v_lshlrev_b32_e32 v7, 23, v7
	s_delay_alu instid0(VALU_DEP_2) | instskip(NEXT) | instid1(VALU_DEP_1)
	v_and_or_b32 v1, 0x8000, v1, v8
	v_lshl_or_b32 v7, v1, 16, v7
.LBB250_819:                            ;   in Loop: Header=BB250_426 Depth=1
	s_wait_alu 0xfffe
	s_or_b32 exec_lo, exec_lo, s19
.LBB250_820:                            ;   in Loop: Header=BB250_426 Depth=1
	s_wait_alu 0xfffe
	s_or_b32 exec_lo, exec_lo, s18
.LBB250_821:                            ;   in Loop: Header=BB250_426 Depth=1
	s_wait_alu 0xfffe
	s_or_b32 exec_lo, exec_lo, s17
	v_or_b32_e32 v1, v44, v45
	s_wait_loadcnt 0x0
	v_fma_mixlo_f16 v8, v41, v44, 0 op_sel:[0,1,0] op_sel_hi:[0,1,0]
	v_or_b32_e32 v43, v42, v43
	v_fma_mixlo_f16 v44, v41, v42, 0 op_sel:[0,1,0] op_sel_hi:[0,1,0]
	v_or_b32_e32 v45, v48, v47
	v_fma_mixlo_f16 v1, v41, v1, 0 op_sel_hi:[0,1,0]
	v_or_b32_e32 v46, v7, v46
	v_lshlrev_b32_e32 v42, 16, v8
	v_lshlrev_b32_e32 v47, 16, v44
	v_fma_mixlo_f16 v8, v41, v43, 0 op_sel_hi:[0,1,0]
	v_and_b32_e32 v44, 0xffff, v1
	v_fma_mixlo_f16 v1, v41, v48, 0 op_sel:[0,1,0] op_sel_hi:[0,1,0]
	v_fma_mixlo_f16 v43, v41, v45, 0 op_sel_hi:[0,1,0]
	v_fma_mixlo_f16 v7, v41, v7, 0 op_sel:[0,1,0] op_sel_hi:[0,1,0]
	v_fma_mixlo_f16 v41, v41, v46, 0 op_sel_hi:[0,1,0]
	v_and_b32_e32 v49, 0xffff, v8
	v_lshlrev_b32_e32 v45, 16, v1
	v_and_b32_e32 v48, 0xffff, v43
	v_lshlrev_b32_e32 v43, 16, v7
	v_and_b32_e32 v46, 0xffff, v41
	v_or_b32_e32 v8, v42, v44
	v_or_b32_e32 v41, v47, v49
	;; [unrolled: 1-line block ×3, first 2 shown]
	s_delay_alu instid0(VALU_DEP_4)
	v_or_b32_e32 v1, v43, v46
	s_and_saveexec_b32 s0, vcc_lo
	s_cbranch_execz .LBB250_424
; %bb.822:                              ;   in Loop: Header=BB250_426 Depth=1
	v_cmp_gt_i32_e32 vcc_lo, s34, v12
	s_wait_alu 0xfffd
	v_cndmask_b32_e32 v1, 0, v49, vcc_lo
	v_cmp_gt_i32_e32 vcc_lo, s34, v28
	s_wait_alu 0xfffd
	v_cndmask_b32_e32 v7, 0, v47, vcc_lo
	;; [unrolled: 3-line block ×4, first 2 shown]
	v_cmp_gt_i32_e32 vcc_lo, s34, v25
	v_or_b32_e32 v41, v7, v1
	s_delay_alu instid0(VALU_DEP_3)
	v_or_b32_e32 v8, v26, v8
	s_wait_alu 0xfffd
	v_cndmask_b32_e32 v25, 0, v48, vcc_lo
	v_cmp_gt_i32_e32 vcc_lo, s34, v24
	s_wait_alu 0xfffd
	v_cndmask_b32_e32 v24, 0, v45, vcc_lo
	v_cmp_gt_i32_e32 vcc_lo, s34, v23
	s_delay_alu instid0(VALU_DEP_2)
	v_or_b32_e32 v7, v24, v25
	s_wait_alu 0xfffd
	v_cndmask_b32_e32 v23, 0, v46, vcc_lo
	v_cmp_gt_i32_e32 vcc_lo, s34, v22
	s_wait_alu 0xfffd
	v_cndmask_b32_e32 v22, 0, v43, vcc_lo
	s_delay_alu instid0(VALU_DEP_1)
	v_or_b32_e32 v1, v22, v23
	s_branch .LBB250_424
.LBB250_823:
	s_or_b32 exec_lo, exec_lo, s7
.LBB250_824:
	s_wait_alu 0xfffe
	s_or_b32 exec_lo, exec_lo, s1
	v_lshl_add_u32 v2, v14, 2, 0x1a0
	v_and_b32_e32 v3, 0x3c0, v0
	s_mov_b32 s0, exec_lo
	s_wait_loadcnt 0x0
	s_wait_storecnt 0x0
	s_barrier_signal -1
	v_mad_u32_u24 v1, 0x300, v11, v2
	s_barrier_wait -1
	global_inv scope:SCOPE_SE
	v_cmpx_eq_u32_e32 64, v3
	s_cbranch_execz .LBB250_826
; %bb.825:
	v_add_nc_u32_e32 v3, 0xfffffa00, v1
	v_add_nc_u32_e32 v4, 0xfffffa80, v1
	;; [unrolled: 1-line block ×6, first 2 shown]
	ds_store_b32 v3, v20
	ds_store_b32 v4, v19
	;; [unrolled: 1-line block ×6, first 2 shown]
.LBB250_826:
	s_wait_alu 0xfffe
	s_or_b32 exec_lo, exec_lo, s0
	s_delay_alu instid0(SALU_CYCLE_1)
	s_mov_b32 s0, exec_lo
	s_wait_loadcnt_dscnt 0x0
	s_barrier_signal -1
	s_barrier_wait -1
	global_inv scope:SCOPE_SE
	v_cmpx_gt_u32_e32 64, v0
	s_cbranch_execz .LBB250_828
; %bb.827:
	ds_load_2addr_b32 v[3:4], v1 offset1:32
	ds_load_2addr_b32 v[5:6], v1 offset0:64 offset1:96
	ds_load_2addr_b32 v[7:8], v1 offset0:128 offset1:160
	s_wait_dscnt 0x2
	v_dual_add_f32 v20, v20, v3 :: v_dual_add_f32 v19, v19, v4
	s_wait_dscnt 0x1
	v_dual_add_f32 v18, v18, v5 :: v_dual_add_f32 v17, v17, v6
	;; [unrolled: 2-line block ×3, first 2 shown]
.LBB250_828:
	s_wait_alu 0xfffe
	s_or_b32 exec_lo, exec_lo, s0
	v_and_b32_e32 v3, 0x3e0, v0
	s_mov_b32 s0, exec_lo
	s_wait_loadcnt 0x0
	s_barrier_signal -1
	s_barrier_wait -1
	global_inv scope:SCOPE_SE
	v_cmpx_eq_u32_e32 32, v3
	s_cbranch_execz .LBB250_830
; %bb.829:
	ds_store_2addr_b32 v2, v20, v19 offset1:32
	ds_store_2addr_b32 v2, v18, v17 offset0:64 offset1:96
	ds_store_2addr_b32 v2, v16, v15 offset0:128 offset1:160
.LBB250_830:
	s_wait_alu 0xfffe
	s_or_b32 exec_lo, exec_lo, s0
	v_cmp_gt_u32_e32 vcc_lo, 32, v0
	s_wait_loadcnt_dscnt 0x0
	s_barrier_signal -1
	s_barrier_wait -1
	global_inv scope:SCOPE_SE
	s_and_saveexec_b32 s0, vcc_lo
	s_cbranch_execz .LBB250_832
; %bb.831:
	ds_load_2addr_b32 v[2:3], v1 offset1:32
	ds_load_2addr_b32 v[4:5], v1 offset0:64 offset1:96
	ds_load_2addr_b32 v[6:7], v1 offset0:128 offset1:160
	s_wait_dscnt 0x2
	v_dual_add_f32 v20, v20, v2 :: v_dual_add_f32 v19, v19, v3
	s_wait_dscnt 0x1
	v_dual_add_f32 v18, v18, v4 :: v_dual_add_f32 v17, v17, v5
	;; [unrolled: 2-line block ×3, first 2 shown]
.LBB250_832:
	s_wait_alu 0xfffe
	s_or_b32 exec_lo, exec_lo, s0
	s_wait_loadcnt 0x0
	s_barrier_signal -1
	s_barrier_wait -1
	global_inv scope:SCOPE_SE
	s_and_saveexec_b32 s0, vcc_lo
	s_cbranch_execz .LBB250_834
; %bb.833:
	s_mul_i32 s0, s28, 0xc0
	s_mul_i32 s2, s12, s20
	s_wait_alu 0xfffe
	s_ashr_i32 s1, s0, 31
	s_ashr_i32 s3, s2, 31
	s_wait_alu 0xfffe
	s_lshl_b64 s[0:1], s[0:1], 1
	s_lshl_b64 s[2:3], s[2:3], 1
	s_wait_kmcnt 0x0
	s_wait_alu 0xfffe
	s_add_nc_u64 s[0:1], s[8:9], s[0:1]
	v_lshlrev_b32_e32 v0, 1, v0
	s_mul_i32 s4, s33, 0x180
	s_wait_alu 0xfffe
	s_add_nc_u64 s[0:1], s[0:1], s[2:3]
	s_mov_b32 s5, 0
	;;#ASMSTART
	v_cvt_f16_f32 v1, v20;

	;;#ASMEND
	s_wait_alu 0xfffe
	s_add_nc_u64 s[0:1], s[0:1], s[4:5]
	global_store_b16 v0, v1, s[0:1]
	;;#ASMSTART
	v_cvt_f16_f32 v1, v19;

	;;#ASMEND
	global_store_b16 v0, v1, s[0:1] offset:64
	;;#ASMSTART
	v_cvt_f16_f32 v1, v18;

	;;#ASMEND
	global_store_b16 v0, v1, s[0:1] offset:128
	;; [unrolled: 5-line block ×5, first 2 shown]
.LBB250_834:
	s_nop 0
	s_sendmsg sendmsg(MSG_DEALLOC_VGPRS)
	s_endpgm
	.section	.rodata,"a",@progbits
	.p2align	6, 0x0
	.amdhsa_kernel _ZN4vllm25paged_attention_v2_kernelIthLi192ELi8ELi128ELNS_18Fp8KVCacheDataTypeE1ELb1ELi512EEEvPfS2_PT_PKS3_PKT0_S9_ifPKiSB_iPKfiiiSD_SD_iiiii
		.amdhsa_group_segment_fixed_size 416
		.amdhsa_private_segment_fixed_size 0
		.amdhsa_kernarg_size 400
		.amdhsa_user_sgpr_count 2
		.amdhsa_user_sgpr_dispatch_ptr 0
		.amdhsa_user_sgpr_queue_ptr 0
		.amdhsa_user_sgpr_kernarg_segment_ptr 1
		.amdhsa_user_sgpr_dispatch_id 0
		.amdhsa_user_sgpr_private_segment_size 0
		.amdhsa_wavefront_size32 1
		.amdhsa_uses_dynamic_stack 0
		.amdhsa_enable_private_segment 0
		.amdhsa_system_sgpr_workgroup_id_x 1
		.amdhsa_system_sgpr_workgroup_id_y 1
		.amdhsa_system_sgpr_workgroup_id_z 1
		.amdhsa_system_sgpr_workgroup_info 0
		.amdhsa_system_vgpr_workitem_id 0
		.amdhsa_next_free_vgpr 108
		.amdhsa_next_free_sgpr 46
		.amdhsa_reserve_vcc 1
		.amdhsa_float_round_mode_32 0
		.amdhsa_float_round_mode_16_64 0
		.amdhsa_float_denorm_mode_32 3
		.amdhsa_float_denorm_mode_16_64 3
		.amdhsa_fp16_overflow 0
		.amdhsa_workgroup_processor_mode 1
		.amdhsa_memory_ordered 1
		.amdhsa_forward_progress 1
		.amdhsa_inst_pref_size 240
		.amdhsa_round_robin_scheduling 0
		.amdhsa_exception_fp_ieee_invalid_op 0
		.amdhsa_exception_fp_denorm_src 0
		.amdhsa_exception_fp_ieee_div_zero 0
		.amdhsa_exception_fp_ieee_overflow 0
		.amdhsa_exception_fp_ieee_underflow 0
		.amdhsa_exception_fp_ieee_inexact 0
		.amdhsa_exception_int_div_zero 0
	.end_amdhsa_kernel
	.section	.text._ZN4vllm25paged_attention_v2_kernelIthLi192ELi8ELi128ELNS_18Fp8KVCacheDataTypeE1ELb1ELi512EEEvPfS2_PT_PKS3_PKT0_S9_ifPKiSB_iPKfiiiSD_SD_iiiii,"axG",@progbits,_ZN4vllm25paged_attention_v2_kernelIthLi192ELi8ELi128ELNS_18Fp8KVCacheDataTypeE1ELb1ELi512EEEvPfS2_PT_PKS3_PKT0_S9_ifPKiSB_iPKfiiiSD_SD_iiiii,comdat
.Lfunc_end250:
	.size	_ZN4vllm25paged_attention_v2_kernelIthLi192ELi8ELi128ELNS_18Fp8KVCacheDataTypeE1ELb1ELi512EEEvPfS2_PT_PKS3_PKT0_S9_ifPKiSB_iPKfiiiSD_SD_iiiii, .Lfunc_end250-_ZN4vllm25paged_attention_v2_kernelIthLi192ELi8ELi128ELNS_18Fp8KVCacheDataTypeE1ELb1ELi512EEEvPfS2_PT_PKS3_PKT0_S9_ifPKiSB_iPKfiiiSD_SD_iiiii
                                        ; -- End function
	.set _ZN4vllm25paged_attention_v2_kernelIthLi192ELi8ELi128ELNS_18Fp8KVCacheDataTypeE1ELb1ELi512EEEvPfS2_PT_PKS3_PKT0_S9_ifPKiSB_iPKfiiiSD_SD_iiiii.num_vgpr, 108
	.set _ZN4vllm25paged_attention_v2_kernelIthLi192ELi8ELi128ELNS_18Fp8KVCacheDataTypeE1ELb1ELi512EEEvPfS2_PT_PKS3_PKT0_S9_ifPKiSB_iPKfiiiSD_SD_iiiii.num_agpr, 0
	.set _ZN4vllm25paged_attention_v2_kernelIthLi192ELi8ELi128ELNS_18Fp8KVCacheDataTypeE1ELb1ELi512EEEvPfS2_PT_PKS3_PKT0_S9_ifPKiSB_iPKfiiiSD_SD_iiiii.numbered_sgpr, 46
	.set _ZN4vllm25paged_attention_v2_kernelIthLi192ELi8ELi128ELNS_18Fp8KVCacheDataTypeE1ELb1ELi512EEEvPfS2_PT_PKS3_PKT0_S9_ifPKiSB_iPKfiiiSD_SD_iiiii.num_named_barrier, 0
	.set _ZN4vllm25paged_attention_v2_kernelIthLi192ELi8ELi128ELNS_18Fp8KVCacheDataTypeE1ELb1ELi512EEEvPfS2_PT_PKS3_PKT0_S9_ifPKiSB_iPKfiiiSD_SD_iiiii.private_seg_size, 0
	.set _ZN4vllm25paged_attention_v2_kernelIthLi192ELi8ELi128ELNS_18Fp8KVCacheDataTypeE1ELb1ELi512EEEvPfS2_PT_PKS3_PKT0_S9_ifPKiSB_iPKfiiiSD_SD_iiiii.uses_vcc, 1
	.set _ZN4vllm25paged_attention_v2_kernelIthLi192ELi8ELi128ELNS_18Fp8KVCacheDataTypeE1ELb1ELi512EEEvPfS2_PT_PKS3_PKT0_S9_ifPKiSB_iPKfiiiSD_SD_iiiii.uses_flat_scratch, 0
	.set _ZN4vllm25paged_attention_v2_kernelIthLi192ELi8ELi128ELNS_18Fp8KVCacheDataTypeE1ELb1ELi512EEEvPfS2_PT_PKS3_PKT0_S9_ifPKiSB_iPKfiiiSD_SD_iiiii.has_dyn_sized_stack, 0
	.set _ZN4vllm25paged_attention_v2_kernelIthLi192ELi8ELi128ELNS_18Fp8KVCacheDataTypeE1ELb1ELi512EEEvPfS2_PT_PKS3_PKT0_S9_ifPKiSB_iPKfiiiSD_SD_iiiii.has_recursion, 0
	.set _ZN4vllm25paged_attention_v2_kernelIthLi192ELi8ELi128ELNS_18Fp8KVCacheDataTypeE1ELb1ELi512EEEvPfS2_PT_PKS3_PKT0_S9_ifPKiSB_iPKfiiiSD_SD_iiiii.has_indirect_call, 0
	.section	.AMDGPU.csdata,"",@progbits
; Kernel info:
; codeLenInByte = 30680
; TotalNumSgprs: 48
; NumVgprs: 108
; ScratchSize: 0
; MemoryBound: 0
; FloatMode: 240
; IeeeMode: 1
; LDSByteSize: 416 bytes/workgroup (compile time only)
; SGPRBlocks: 0
; VGPRBlocks: 13
; NumSGPRsForWavesPerEU: 48
; NumVGPRsForWavesPerEU: 108
; Occupancy: 12
; WaveLimiterHint : 1
; COMPUTE_PGM_RSRC2:SCRATCH_EN: 0
; COMPUTE_PGM_RSRC2:USER_SGPR: 2
; COMPUTE_PGM_RSRC2:TRAP_HANDLER: 0
; COMPUTE_PGM_RSRC2:TGID_X_EN: 1
; COMPUTE_PGM_RSRC2:TGID_Y_EN: 1
; COMPUTE_PGM_RSRC2:TGID_Z_EN: 1
; COMPUTE_PGM_RSRC2:TIDIG_COMP_CNT: 0
	.section	.text._ZN4vllm25paged_attention_v2_kernelIthLi256ELi8ELi128ELNS_18Fp8KVCacheDataTypeE1ELb1ELi512EEEvPfS2_PT_PKS3_PKT0_S9_ifPKiSB_iPKfiiiSD_SD_iiiii,"axG",@progbits,_ZN4vllm25paged_attention_v2_kernelIthLi256ELi8ELi128ELNS_18Fp8KVCacheDataTypeE1ELb1ELi512EEEvPfS2_PT_PKS3_PKT0_S9_ifPKiSB_iPKfiiiSD_SD_iiiii,comdat
	.protected	_ZN4vllm25paged_attention_v2_kernelIthLi256ELi8ELi128ELNS_18Fp8KVCacheDataTypeE1ELb1ELi512EEEvPfS2_PT_PKS3_PKT0_S9_ifPKiSB_iPKfiiiSD_SD_iiiii ; -- Begin function _ZN4vllm25paged_attention_v2_kernelIthLi256ELi8ELi128ELNS_18Fp8KVCacheDataTypeE1ELb1ELi512EEEvPfS2_PT_PKS3_PKT0_S9_ifPKiSB_iPKfiiiSD_SD_iiiii
	.globl	_ZN4vllm25paged_attention_v2_kernelIthLi256ELi8ELi128ELNS_18Fp8KVCacheDataTypeE1ELb1ELi512EEEvPfS2_PT_PKS3_PKT0_S9_ifPKiSB_iPKfiiiSD_SD_iiiii
	.p2align	8
	.type	_ZN4vllm25paged_attention_v2_kernelIthLi256ELi8ELi128ELNS_18Fp8KVCacheDataTypeE1ELb1ELi512EEEvPfS2_PT_PKS3_PKT0_S9_ifPKiSB_iPKfiiiSD_SD_iiiii,@function
_ZN4vllm25paged_attention_v2_kernelIthLi256ELi8ELi128ELNS_18Fp8KVCacheDataTypeE1ELb1ELi512EEEvPfS2_PT_PKS3_PKT0_S9_ifPKiSB_iPKfiiiSD_SD_iiiii: ; @_ZN4vllm25paged_attention_v2_kernelIthLi256ELi8ELi128ELNS_18Fp8KVCacheDataTypeE1ELb1ELi512EEEvPfS2_PT_PKS3_PKT0_S9_ifPKiSB_iPKfiiiSD_SD_iiiii
; %bb.0:
	s_load_b64 s[2:3], s[0:1], 0x40
	s_and_b32 s30, ttmp7, 0xffff
	s_lshr_b32 s33, ttmp7, 16
	s_lshl_b32 s4, s30, 2
	s_lshl_b32 s20, s33, 9
	s_wait_kmcnt 0x0
	s_load_b32 s21, s[2:3], s4 offset:0x0
	s_wait_kmcnt 0x0
	s_cmp_ge_i32 s20, s21
	s_cbranch_scc1 .LBB251_1094
; %bb.1:
	s_clause 0x1
	s_load_b32 s31, s[0:1], 0x90
	s_load_b64 s[6:7], s[0:1], 0x30
	s_wait_kmcnt 0x0
	s_abs_i32 s5, s31
	s_abs_i32 s2, s6
	s_delay_alu instid0(SALU_CYCLE_1) | instskip(SKIP_1) | instid1(SALU_CYCLE_2)
	s_cvt_f32_u32 s3, s2
	s_sub_co_i32 s4, 0, s2
	v_rcp_iflag_f32_e32 v1, s3
	s_delay_alu instid0(TRANS32_DEP_1) | instskip(SKIP_2) | instid1(SALU_CYCLE_2)
	v_readfirstlane_b32 s3, v1
	s_mul_f32 s3, s3, 0x4f7ffffe
	s_wait_alu 0xfffe
	s_cvt_u32_f32 s3, s3
	s_wait_alu 0xfffe
	s_delay_alu instid0(SALU_CYCLE_2) | instskip(NEXT) | instid1(SALU_CYCLE_1)
	s_mul_i32 s4, s4, s3
	s_mul_hi_u32 s4, s3, s4
	s_delay_alu instid0(SALU_CYCLE_1)
	s_add_co_i32 s3, s3, s4
	s_xor_b32 s4, s31, s6
	s_wait_alu 0xfffe
	s_mul_hi_u32 s3, s5, s3
	s_ashr_i32 s4, s4, 31
	s_wait_alu 0xfffe
	s_mul_i32 s8, s3, s2
	s_delay_alu instid0(SALU_CYCLE_1)
	s_sub_co_i32 s5, s5, s8
	s_add_co_i32 s8, s3, 1
	s_sub_co_i32 s9, s5, s2
	s_cmp_ge_u32 s5, s2
	s_cselect_b32 s3, s8, s3
	s_cselect_b32 s5, s9, s5
	s_wait_alu 0xfffe
	s_add_co_i32 s8, s3, 1
	s_cmp_ge_u32 s5, s2
	s_cselect_b32 s2, s8, s3
	s_load_b64 s[8:9], s[0:1], 0x50
	s_xor_b32 s2, s2, s4
	s_mov_b32 s3, 0
	s_wait_alu 0xfffe
	s_sub_co_i32 s11, s2, s4
	s_mov_b32 s34, s3
	s_abs_i32 s10, s11
	s_delay_alu instid0(SALU_CYCLE_1) | instskip(SKIP_1) | instid1(SALU_CYCLE_2)
	s_cvt_f32_u32 s2, s10
	s_wait_alu 0xfffe
	v_rcp_iflag_f32_e32 v1, s2
	s_delay_alu instid0(TRANS32_DEP_1) | instskip(SKIP_2) | instid1(SALU_CYCLE_2)
	v_readfirstlane_b32 s2, v1
	s_mul_f32 s2, s2, 0x4f7ffffe
	s_wait_alu 0xfffe
	s_cvt_u32_f32 s4, s2
	s_sub_co_i32 s2, 0, s10
	s_wait_alu 0xfffe
	s_delay_alu instid0(SALU_CYCLE_1)
	s_mul_i32 s2, s2, s4
	s_wait_alu 0xfffe
	s_mul_hi_u32 s5, s4, s2
	s_abs_i32 s2, ttmp9
	s_add_co_i32 s4, s4, s5
	s_mov_b32 s5, s3
	s_wait_kmcnt 0x0
	s_cmp_eq_u64 s[8:9], 0
	s_cbranch_scc1 .LBB251_3
; %bb.2:
	s_mov_b32 s12, ttmp9
	s_ashr_i32 s13, ttmp9, 31
	s_delay_alu instid0(SALU_CYCLE_1) | instskip(NEXT) | instid1(SALU_CYCLE_1)
	s_lshl_b64 s[12:13], s[12:13], 2
	s_add_nc_u64 s[8:9], s[8:9], s[12:13]
	s_load_b32 s34, s[8:9], 0x0
.LBB251_3:
	s_load_b96 s[16:18], s[0:1], 0x58
	v_and_b32_e32 v1, 3, v0
	s_mul_u64 s[4:5], s[2:3], s[4:5]
	s_ashr_i32 s3, ttmp9, 31
	s_ashr_i32 s4, s11, 31
	s_lshl_b32 s22, ttmp9, 8
	s_mov_b32 s8, exec_lo
	v_cmpx_gt_u32_e32 0x80, v0
	s_cbranch_execz .LBB251_5
; %bb.4:
	s_load_b64 s[12:13], s[0:1], 0x18
	s_wait_kmcnt 0x0
	s_mul_i32 s14, s16, s30
	s_ashr_i32 s23, s22, 31
	s_ashr_i32 s15, s14, 31
	v_lshlrev_b32_e32 v2, 2, v0
	s_lshl_b64 s[14:15], s[14:15], 1
	v_and_b32_e32 v3, 0x3fc, v0
	s_delay_alu instid0(VALU_DEP_1) | instskip(SKIP_2) | instid1(SALU_CYCLE_1)
	v_lshl_add_u32 v3, v1, 7, v3
	s_add_nc_u64 s[12:13], s[12:13], s[14:15]
	s_lshl_b64 s[14:15], s[22:23], 1
	s_add_nc_u64 s[12:13], s[12:13], s[14:15]
	global_load_b32 v2, v2, s[12:13]
	s_wait_loadcnt 0x0
	ds_store_b32 v3, v2
.LBB251_5:
	s_or_b32 exec_lo, exec_lo, s8
	s_load_b128 s[12:15], s[0:1], 0x78
	s_mul_i32 s8, s5, s10
	s_xor_b32 s3, s3, s4
	s_sub_co_i32 s2, s2, s8
	s_add_co_i32 s4, s5, 1
	s_wait_alu 0xfffe
	s_sub_co_i32 s8, s2, s10
	s_cmp_ge_u32 s2, s10
                                        ; implicit-def: $sgpr23
	s_cselect_b32 s4, s4, s5
	s_cselect_b32 s2, s8, s2
	s_add_co_i32 s5, s4, 1
	s_wait_alu 0xfffe
	s_cmp_ge_u32 s2, s10
	s_load_b32 s8, s[0:1], 0x88
	s_cselect_b32 s2, s5, s4
	s_add_co_i32 s9, s21, -1
	s_wait_alu 0xfffe
	s_xor_b32 s2, s2, s3
	s_mov_b32 s10, -1
	s_wait_alu 0xfffe
	s_sub_co_i32 s19, s2, s3
	s_wait_dscnt 0x0
	s_barrier_signal -1
	s_wait_kmcnt 0x0
	s_abs_i32 s16, s15
	s_barrier_wait -1
	s_cvt_f32_u32 s4, s16
	global_inv scope:SCOPE_SE
	v_rcp_iflag_f32_e32 v2, s4
	s_delay_alu instid0(TRANS32_DEP_1) | instskip(SKIP_2) | instid1(SALU_CYCLE_2)
	v_readfirstlane_b32 s4, v2
	s_mul_f32 s2, s4, 0x4f7ffffe
	s_wait_alu 0xfffe
	s_cvt_u32_f32 s4, s2
	s_sub_co_i32 s2, 0, s16
	s_wait_alu 0xfffe
	s_delay_alu instid0(SALU_CYCLE_1)
	s_mul_i32 s3, s2, s4
	s_abs_i32 s2, s9
	s_wait_alu 0xfffe
	s_mul_hi_u32 s5, s4, s3
	s_mov_b32 s3, 0
	s_wait_alu 0xfffe
	s_add_co_i32 s24, s4, s5
	s_cmp_lt_i32 s8, 0
	s_mov_b32 s25, s3
	s_cbranch_scc0 .LBB251_7
; %bb.6:
	s_mul_i32 s4, s12, s6
	s_mov_b32 s10, s3
	s_wait_alu 0xfffe
	s_add_co_i32 s4, s19, s4
	s_wait_alu 0xfffe
	s_mul_i32 s4, s4, s8
	s_wait_alu 0xfffe
	s_sub_co_i32 s23, 1, s4
.LBB251_7:
	s_mul_u64 s[4:5], s[2:3], s[24:25]
	s_ashr_i32 s3, s9, 31
	s_and_not1_b32 vcc_lo, exec_lo, s10
	s_ashr_i32 s15, s15, 31
	s_cbranch_vccnz .LBB251_9
; %bb.8:
	s_mul_i32 s4, s31, s12
	s_wait_alu 0xfffe
	s_add_co_i32 s4, s4, ttmp9
	s_wait_alu 0xfffe
	s_mul_i32 s4, s4, s8
	s_wait_alu 0xfffe
	s_add_co_i32 s23, s4, 1
.LBB251_9:
	s_clause 0x3
	s_load_b32 s4, s[0:1], 0x48
	s_load_b64 s[26:27], s[0:1], 0x38
	s_load_b32 s12, s[0:1], 0x98
	s_load_b128 s[8:11], s[0:1], 0x68
	s_mul_i32 s6, s5, s16
	s_xor_b32 s3, s3, s15
	s_sub_co_i32 s2, s2, s6
	s_add_co_i32 s25, s5, 1
	v_lshrrev_b32_e32 v11, 5, v0
	v_mov_b32_e32 v15, 0xff7fffff
	v_mbcnt_lo_u32_b32 v10, -1, 0
	s_mul_i32 s18, s19, s18
	s_delay_alu instid0(VALU_DEP_3)
	v_lshl_add_u32 v12, v11, 3, s20
	s_wait_kmcnt 0x0
	s_mul_i32 s28, s4, s30
	s_wait_alu 0xfffe
	s_sub_co_i32 s4, s2, s16
	s_ashr_i32 s29, s28, 31
	s_cmp_ge_u32 s2, s16
	s_cselect_b32 s5, s25, s5
	s_wait_alu 0xfffe
	s_cselect_b32 s2, s4, s2
	s_add_co_i32 s4, s5, 1
	s_wait_alu 0xfffe
	s_cmp_ge_u32 s2, s16
	s_cselect_b32 s2, s4, s5
	s_add_co_i32 s4, s21, 7
	s_lshl_b32 s38, s33, 6
	s_wait_alu 0xfffe
	s_ashr_i32 s5, s4, 31
	v_or_b32_e32 v13, s38, v11
	s_wait_alu 0xfffe
	s_lshr_b32 s5, s5, 29
	s_wait_alu 0xfffe
	s_add_co_i32 s4, s4, s5
	s_add_co_i32 s5, s38, 64
	s_wait_alu 0xfffe
	s_ashr_i32 s36, s4, 3
	s_xor_b32 s4, s2, s3
	s_min_i32 s25, s5, s36
	v_lshlrev_b32_e32 v9, 2, v13
	v_cmp_gt_i32_e64 s2, s25, v13
	s_wait_alu 0xfffe
	s_sub_co_i32 s37, s4, s3
	s_and_saveexec_b32 s6, s2
	s_cbranch_execz .LBB251_533
; %bb.10:
	s_sub_co_i32 s35, s37, s13
	s_ashr_i32 s19, s18, 31
	s_cmp_neq_f32 s34, 0
	s_load_b64 s[4:5], s[0:1], 0x20
	v_bfe_u32 v14, v0, 2, 3
	v_mov_b32_e32 v2, 0
	s_cselect_b32 vcc_lo, -1, 0
	s_abs_i32 s39, s14
	v_dual_mov_b32 v15, 0xff7fffff :: v_dual_lshlrev_b32 v4, 1, v1
	s_wait_alu 0xfffe
	s_cvt_f32_u32 s3, s39
	v_dual_mov_b32 v21, v13 :: v_dual_lshlrev_b32 v16, 7, v1
	v_dual_mov_b32 v20, 0xff7fffff :: v_dual_lshlrev_b32 v5, 2, v14
	s_wait_alu 0xfffe
	v_rcp_iflag_f32_e32 v3, s3
	v_cmp_eq_u32_e64 s3, 0, v1
	v_lshlrev_b32_e32 v1, 4, v14
	v_lshl_or_b32 v8, v11, 5, v5
	s_lshl_b64 s[42:43], s[28:29], 2
	v_subrev_nc_u32_e32 v7, s21, v14
	s_add_nc_u64 s[42:43], s[26:27], s[42:43]
	s_sub_co_i32 s44, 0, s39
	s_wait_kmcnt 0x0
	s_add_nc_u64 s[4:5], s[4:5], s[18:19]
	v_lshl_add_u32 v17, v11, 3, s20
	v_readfirstlane_b32 s41, v3
	s_wait_alu 0xfffe
	v_add_co_u32 v1, s4, s4, v1
	s_wait_alu 0xf1ff
	v_add_co_ci_u32_e64 v5, null, s5, 0, s4
	s_mul_f32 s19, s41, 0x4f7ffffe
	v_add_co_u32 v3, s4, v1, v4
	s_wait_alu 0xf1ff
	v_add_co_ci_u32_e64 v4, null, 0, v5, s4
	s_cvt_u32_f32 s5, s19
	v_add_co_u32 v5, s4, s42, v9
	s_wait_alu 0xf1ff
	v_add_co_ci_u32_e64 v6, null, s43, 0, s4
	s_wait_alu 0xfffe
	s_mul_i32 s44, s44, s5
	v_add_nc_u32_e32 v18, 1, v7
	v_add_nc_u32_e32 v19, 0x220, v8
	s_mul_hi_u32 s4, s5, s44
	s_mov_b32 s40, 0
	s_mov_b32 s19, s17
	s_wait_alu 0xfffe
	s_add_co_i32 s41, s5, s4
	s_branch .LBB251_13
.LBB251_11:                             ;   in Loop: Header=BB251_13 Depth=1
	s_wait_alu 0xfffe
	s_or_b32 exec_lo, exec_lo, s42
.LBB251_12:                             ;   in Loop: Header=BB251_13 Depth=1
	s_wait_alu 0xfffe
	s_or_b32 exec_lo, exec_lo, s5
	v_add_nc_u32_e32 v21, 4, v21
	v_add_co_u32 v5, s5, v5, 16
	s_wait_alu 0xf1ff
	v_add_co_ci_u32_e64 v6, null, 0, v6, s5
	s_delay_alu instid0(VALU_DEP_3)
	v_cmp_le_i32_e64 s4, s25, v21
	v_add_nc_u32_e32 v17, 32, v17
	v_add_nc_u32_e32 v19, 0x80, v19
	s_or_b32 s40, s4, s40
	s_wait_alu 0xfffe
	s_and_not1_b32 exec_lo, exec_lo, s40
	s_cbranch_execz .LBB251_532
.LBB251_13:                             ; =>This Inner Loop Header: Depth=1
	v_sub_nc_u32_e32 v1, 0, v17
	s_delay_alu instid0(VALU_DEP_1) | instskip(SKIP_1) | instid1(VALU_DEP_1)
	v_max_i32_e32 v1, v17, v1
	s_wait_dscnt 0x0
	v_mul_hi_u32 v7, v1, s24
	s_delay_alu instid0(VALU_DEP_1) | instskip(NEXT) | instid1(VALU_DEP_1)
	v_mul_lo_u32 v8, v7, s16
	v_sub_nc_u32_e32 v1, v1, v8
	v_add_nc_u32_e32 v8, 1, v7
	s_delay_alu instid0(VALU_DEP_2) | instskip(SKIP_2) | instid1(VALU_DEP_1)
	v_subrev_nc_u32_e32 v22, s16, v1
	v_cmp_le_u32_e64 s4, s16, v1
	s_wait_alu 0xf1ff
	v_cndmask_b32_e64 v7, v7, v8, s4
	s_delay_alu instid0(VALU_DEP_3) | instskip(SKIP_1) | instid1(VALU_DEP_3)
	v_cndmask_b32_e64 v1, v1, v22, s4
	v_ashrrev_i32_e32 v8, 31, v17
	v_add_nc_u32_e32 v22, 1, v7
	s_delay_alu instid0(VALU_DEP_3) | instskip(NEXT) | instid1(VALU_DEP_3)
	v_cmp_le_u32_e64 s4, s16, v1
	v_xor_b32_e32 v8, s15, v8
	s_wait_alu 0xf1ff
	s_delay_alu instid0(VALU_DEP_2) | instskip(NEXT) | instid1(VALU_DEP_1)
	v_cndmask_b32_e64 v1, v7, v22, s4
	v_xor_b32_e32 v1, v1, v8
	s_delay_alu instid0(VALU_DEP_1) | instskip(NEXT) | instid1(VALU_DEP_1)
	v_sub_nc_u32_e32 v1, v1, v8
	v_add_nc_u32_e32 v7, s23, v1
	v_cmp_ge_i32_e64 s5, s35, v1
	s_delay_alu instid0(VALU_DEP_2) | instskip(NEXT) | instid1(VALU_DEP_1)
	v_sub_nc_u32_e32 v8, 0, v7
	v_max_i32_e32 v8, v7, v8
	v_ashrrev_i32_e32 v7, 31, v7
	s_delay_alu instid0(VALU_DEP_2) | instskip(NEXT) | instid1(VALU_DEP_1)
	v_mul_hi_u32 v22, v8, s41
	v_mul_lo_u32 v22, v22, s39
	s_delay_alu instid0(VALU_DEP_1) | instskip(NEXT) | instid1(VALU_DEP_1)
	v_sub_nc_u32_e32 v8, v8, v22
	v_subrev_nc_u32_e32 v22, s39, v8
	v_cmp_le_u32_e64 s4, s39, v8
	s_wait_alu 0xf1ff
	s_delay_alu instid0(VALU_DEP_1) | instskip(NEXT) | instid1(VALU_DEP_1)
	v_cndmask_b32_e64 v8, v8, v22, s4
	v_subrev_nc_u32_e32 v22, s39, v8
	v_cmp_le_u32_e64 s4, s39, v8
	s_wait_alu 0xf1ff
	s_delay_alu instid0(VALU_DEP_1) | instskip(NEXT) | instid1(VALU_DEP_1)
	v_cndmask_b32_e64 v8, v8, v22, s4
	v_xor_b32_e32 v8, v8, v7
	s_delay_alu instid0(VALU_DEP_1) | instskip(NEXT) | instid1(VALU_DEP_1)
	v_sub_nc_u32_e32 v7, v8, v7
	v_cmp_ne_u32_e64 s4, 0, v7
	s_and_b32 s4, s4, s5
	s_wait_alu 0xfffe
	s_and_saveexec_b32 s5, s4
	s_wait_alu 0xfffe
	s_xor_b32 s4, exec_lo, s5
	s_cbranch_execz .LBB251_17
; %bb.14:                               ;   in Loop: Header=BB251_13 Depth=1
	s_and_saveexec_b32 s5, s3
; %bb.15:                               ;   in Loop: Header=BB251_13 Depth=1
	ds_store_b32 v19, v20
; %bb.16:                               ;   in Loop: Header=BB251_13 Depth=1
	s_wait_alu 0xfffe
	s_or_b32 exec_lo, exec_lo, s5
.LBB251_17:                             ;   in Loop: Header=BB251_13 Depth=1
	s_wait_alu 0xfffe
	s_and_not1_saveexec_b32 s5, s4
	s_cbranch_execz .LBB251_12
; %bb.18:                               ;   in Loop: Header=BB251_13 Depth=1
	global_load_b32 v1, v[5:6], off
	s_wait_loadcnt 0x0
	v_mad_co_i64_i32 v[7:8], null, v1, s19, v[3:4]
	global_load_u16 v1, v[7:8], off
	s_wait_loadcnt 0x0
	v_dual_mov_b32 v23, 0 :: v_dual_and_b32 v24, 0xff, v1
	global_load_b32 v22, v23, s[8:9]
	v_and_b32_e32 v1, 0xffff, v1
	v_cmp_ne_u16_e64 s4, 0, v24
	v_mov_b32_e32 v24, 0
	s_and_saveexec_b32 s42, s4
	s_cbranch_execz .LBB251_26
; %bb.19:                               ;   in Loop: Header=BB251_13 Depth=1
	v_and_b32_e32 v24, 0xff, v1
	s_delay_alu instid0(VALU_DEP_1)
	v_cmp_ne_u16_e64 s4, 0x80, v24
	v_mov_b32_e32 v24, 0x8000
	s_and_saveexec_b32 s43, s4
	s_cbranch_execz .LBB251_25
; %bb.20:                               ;   in Loop: Header=BB251_13 Depth=1
	v_and_b32_e32 v26, 0x7f, v1
	v_mov_b32_e32 v24, 0x7c01
	s_mov_b32 s44, exec_lo
	s_delay_alu instid0(VALU_DEP_2)
	v_cmpx_ne_u32_e32 0x7f, v26
	s_cbranch_execz .LBB251_24
; %bb.21:                               ;   in Loop: Header=BB251_13 Depth=1
	v_and_b32_e32 v24, 7, v1
	v_lshrrev_b32_e32 v25, 3, v26
	s_mov_b32 s45, exec_lo
	v_cmpx_gt_u32_e32 8, v26
; %bb.22:                               ;   in Loop: Header=BB251_13 Depth=1
	s_delay_alu instid0(VALU_DEP_3) | instskip(NEXT) | instid1(VALU_DEP_1)
	v_clz_i32_u32_e32 v24, v24
	v_min_u32_e32 v26, 32, v24
	s_delay_alu instid0(VALU_DEP_1) | instskip(NEXT) | instid1(VALU_DEP_1)
	v_subrev_nc_u32_e32 v24, 28, v26
	v_lshlrev_b64_e32 v[24:25], v24, v[1:2]
	v_sub_nc_u32_e32 v25, 29, v26
	s_delay_alu instid0(VALU_DEP_2)
	v_and_b32_e32 v24, 7, v24
; %bb.23:                               ;   in Loop: Header=BB251_13 Depth=1
	s_or_b32 exec_lo, exec_lo, s45
	v_lshlrev_b32_e32 v26, 8, v1
	s_delay_alu instid0(VALU_DEP_3) | instskip(NEXT) | instid1(VALU_DEP_3)
	v_lshl_add_u32 v25, v25, 10, 0x2000
	v_lshlrev_b32_e32 v24, 7, v24
	s_delay_alu instid0(VALU_DEP_3) | instskip(NEXT) | instid1(VALU_DEP_3)
	v_and_b32_e32 v26, 0x8000, v26
	v_and_b32_e32 v25, 0xfc00, v25
	s_delay_alu instid0(VALU_DEP_1)
	v_or3_b32 v24, v26, v25, v24
.LBB251_24:                             ;   in Loop: Header=BB251_13 Depth=1
	s_or_b32 exec_lo, exec_lo, s44
.LBB251_25:                             ;   in Loop: Header=BB251_13 Depth=1
	s_wait_alu 0xfffe
	s_or_b32 exec_lo, exec_lo, s43
.LBB251_26:                             ;   in Loop: Header=BB251_13 Depth=1
	s_wait_alu 0xfffe
	s_or_b32 exec_lo, exec_lo, s42
	v_lshrrev_b16 v1, 8, v1
	s_mov_b32 s42, exec_lo
	s_delay_alu instid0(VALU_DEP_1)
	v_cmpx_ne_u16_e32 0, v1
	s_cbranch_execz .LBB251_34
; %bb.27:                               ;   in Loop: Header=BB251_13 Depth=1
	v_bfrev_b32_e32 v23, 1
	s_mov_b32 s43, exec_lo
	v_cmpx_ne_u16_e32 0x80, v1
	s_cbranch_execz .LBB251_33
; %bb.28:                               ;   in Loop: Header=BB251_13 Depth=1
	v_and_b32_e32 v25, 0xffff, v1
	v_mov_b32_e32 v23, 0x7c010000
	s_mov_b32 s44, exec_lo
	s_delay_alu instid0(VALU_DEP_2) | instskip(NEXT) | instid1(VALU_DEP_1)
	v_and_b32_e32 v27, 0x7f, v25
	v_cmpx_ne_u32_e32 0x7f, v27
	s_cbranch_execz .LBB251_32
; %bb.29:                               ;   in Loop: Header=BB251_13 Depth=1
	v_and_b32_e32 v23, 7, v25
	v_lshrrev_b32_e32 v26, 3, v27
	s_mov_b32 s45, exec_lo
	v_cmpx_gt_u32_e32 8, v27
; %bb.30:                               ;   in Loop: Header=BB251_13 Depth=1
	s_delay_alu instid0(VALU_DEP_3) | instskip(NEXT) | instid1(VALU_DEP_1)
	v_clz_i32_u32_e32 v23, v23
	v_min_u32_e32 v23, 32, v23
	s_delay_alu instid0(VALU_DEP_1) | instskip(NEXT) | instid1(VALU_DEP_1)
	v_subrev_nc_u32_e32 v26, 28, v23
	v_lshlrev_b64_e32 v[27:28], v26, v[1:2]
	v_sub_nc_u32_e32 v26, 29, v23
	s_delay_alu instid0(VALU_DEP_2)
	v_and_b32_e32 v23, 7, v27
; %bb.31:                               ;   in Loop: Header=BB251_13 Depth=1
	s_or_b32 exec_lo, exec_lo, s45
	v_lshlrev_b32_e32 v1, 8, v25
	s_delay_alu instid0(VALU_DEP_3) | instskip(NEXT) | instid1(VALU_DEP_3)
	v_lshl_add_u32 v25, v26, 10, 0x2000
	v_lshlrev_b32_e32 v23, 23, v23
	s_delay_alu instid0(VALU_DEP_2) | instskip(NEXT) | instid1(VALU_DEP_1)
	v_and_or_b32 v1, 0x8000, v1, v25
	v_lshl_or_b32 v23, v1, 16, v23
.LBB251_32:                             ;   in Loop: Header=BB251_13 Depth=1
	s_or_b32 exec_lo, exec_lo, s44
.LBB251_33:                             ;   in Loop: Header=BB251_13 Depth=1
	s_wait_alu 0xfffe
	s_or_b32 exec_lo, exec_lo, s43
.LBB251_34:                             ;   in Loop: Header=BB251_13 Depth=1
	s_wait_alu 0xfffe
	s_or_b32 exec_lo, exec_lo, s42
	global_load_u16 v1, v[7:8], off offset:8
	s_wait_loadcnt 0x0
	v_dual_mov_b32 v25, 0 :: v_dual_and_b32 v26, 0xff, v1
	v_and_b32_e32 v1, 0xffff, v1
	s_delay_alu instid0(VALU_DEP_2)
	v_cmp_ne_u16_e64 s4, 0, v26
	v_mov_b32_e32 v26, 0
	s_and_saveexec_b32 s42, s4
	s_cbranch_execz .LBB251_42
; %bb.35:                               ;   in Loop: Header=BB251_13 Depth=1
	v_and_b32_e32 v26, 0xff, v1
	s_delay_alu instid0(VALU_DEP_1)
	v_cmp_ne_u16_e64 s4, 0x80, v26
	v_mov_b32_e32 v26, 0x8000
	s_and_saveexec_b32 s43, s4
	s_cbranch_execz .LBB251_41
; %bb.36:                               ;   in Loop: Header=BB251_13 Depth=1
	v_and_b32_e32 v28, 0x7f, v1
	v_mov_b32_e32 v26, 0x7c01
	s_mov_b32 s44, exec_lo
	s_delay_alu instid0(VALU_DEP_2)
	v_cmpx_ne_u32_e32 0x7f, v28
	s_cbranch_execz .LBB251_40
; %bb.37:                               ;   in Loop: Header=BB251_13 Depth=1
	v_and_b32_e32 v26, 7, v1
	v_lshrrev_b32_e32 v27, 3, v28
	s_mov_b32 s45, exec_lo
	v_cmpx_gt_u32_e32 8, v28
; %bb.38:                               ;   in Loop: Header=BB251_13 Depth=1
	s_delay_alu instid0(VALU_DEP_3) | instskip(NEXT) | instid1(VALU_DEP_1)
	v_clz_i32_u32_e32 v26, v26
	v_min_u32_e32 v28, 32, v26
	s_delay_alu instid0(VALU_DEP_1) | instskip(NEXT) | instid1(VALU_DEP_1)
	v_subrev_nc_u32_e32 v26, 28, v28
	v_lshlrev_b64_e32 v[26:27], v26, v[1:2]
	v_sub_nc_u32_e32 v27, 29, v28
	s_delay_alu instid0(VALU_DEP_2)
	v_and_b32_e32 v26, 7, v26
; %bb.39:                               ;   in Loop: Header=BB251_13 Depth=1
	s_or_b32 exec_lo, exec_lo, s45
	v_lshlrev_b32_e32 v28, 8, v1
	s_delay_alu instid0(VALU_DEP_3) | instskip(NEXT) | instid1(VALU_DEP_3)
	v_lshl_add_u32 v27, v27, 10, 0x2000
	v_lshlrev_b32_e32 v26, 7, v26
	s_delay_alu instid0(VALU_DEP_3) | instskip(NEXT) | instid1(VALU_DEP_3)
	v_and_b32_e32 v28, 0x8000, v28
	v_and_b32_e32 v27, 0xfc00, v27
	s_delay_alu instid0(VALU_DEP_1)
	v_or3_b32 v26, v28, v27, v26
.LBB251_40:                             ;   in Loop: Header=BB251_13 Depth=1
	s_or_b32 exec_lo, exec_lo, s44
.LBB251_41:                             ;   in Loop: Header=BB251_13 Depth=1
	s_wait_alu 0xfffe
	s_or_b32 exec_lo, exec_lo, s43
.LBB251_42:                             ;   in Loop: Header=BB251_13 Depth=1
	s_wait_alu 0xfffe
	s_or_b32 exec_lo, exec_lo, s42
	v_lshrrev_b16 v1, 8, v1
	s_mov_b32 s42, exec_lo
	s_delay_alu instid0(VALU_DEP_1)
	v_cmpx_ne_u16_e32 0, v1
	s_cbranch_execz .LBB251_50
; %bb.43:                               ;   in Loop: Header=BB251_13 Depth=1
	v_bfrev_b32_e32 v25, 1
	s_mov_b32 s43, exec_lo
	v_cmpx_ne_u16_e32 0x80, v1
	s_cbranch_execz .LBB251_49
; %bb.44:                               ;   in Loop: Header=BB251_13 Depth=1
	v_and_b32_e32 v27, 0xffff, v1
	v_mov_b32_e32 v25, 0x7c010000
	s_mov_b32 s44, exec_lo
	s_delay_alu instid0(VALU_DEP_2) | instskip(NEXT) | instid1(VALU_DEP_1)
	v_and_b32_e32 v29, 0x7f, v27
	v_cmpx_ne_u32_e32 0x7f, v29
	s_cbranch_execz .LBB251_48
; %bb.45:                               ;   in Loop: Header=BB251_13 Depth=1
	v_and_b32_e32 v25, 7, v27
	v_lshrrev_b32_e32 v28, 3, v29
	s_mov_b32 s45, exec_lo
	v_cmpx_gt_u32_e32 8, v29
; %bb.46:                               ;   in Loop: Header=BB251_13 Depth=1
	s_delay_alu instid0(VALU_DEP_3) | instskip(NEXT) | instid1(VALU_DEP_1)
	v_clz_i32_u32_e32 v25, v25
	v_min_u32_e32 v25, 32, v25
	s_delay_alu instid0(VALU_DEP_1) | instskip(NEXT) | instid1(VALU_DEP_1)
	v_subrev_nc_u32_e32 v28, 28, v25
	v_lshlrev_b64_e32 v[29:30], v28, v[1:2]
	v_sub_nc_u32_e32 v28, 29, v25
	s_delay_alu instid0(VALU_DEP_2)
	v_and_b32_e32 v25, 7, v29
; %bb.47:                               ;   in Loop: Header=BB251_13 Depth=1
	s_or_b32 exec_lo, exec_lo, s45
	v_lshlrev_b32_e32 v1, 8, v27
	s_delay_alu instid0(VALU_DEP_3) | instskip(NEXT) | instid1(VALU_DEP_3)
	v_lshl_add_u32 v27, v28, 10, 0x2000
	v_lshlrev_b32_e32 v25, 23, v25
	s_delay_alu instid0(VALU_DEP_2) | instskip(NEXT) | instid1(VALU_DEP_1)
	v_and_or_b32 v1, 0x8000, v1, v27
	v_lshl_or_b32 v25, v1, 16, v25
.LBB251_48:                             ;   in Loop: Header=BB251_13 Depth=1
	s_or_b32 exec_lo, exec_lo, s44
.LBB251_49:                             ;   in Loop: Header=BB251_13 Depth=1
	s_wait_alu 0xfffe
	s_or_b32 exec_lo, exec_lo, s43
.LBB251_50:                             ;   in Loop: Header=BB251_13 Depth=1
	s_wait_alu 0xfffe
	s_or_b32 exec_lo, exec_lo, s42
	global_load_u16 v1, v[7:8], off offset:128
	s_wait_loadcnt 0x0
	v_dual_mov_b32 v27, 0 :: v_dual_and_b32 v28, 0xff, v1
	v_and_b32_e32 v1, 0xffff, v1
	s_delay_alu instid0(VALU_DEP_2)
	v_cmp_ne_u16_e64 s4, 0, v28
	v_mov_b32_e32 v28, 0
	s_and_saveexec_b32 s42, s4
	s_cbranch_execz .LBB251_58
; %bb.51:                               ;   in Loop: Header=BB251_13 Depth=1
	v_and_b32_e32 v28, 0xff, v1
	s_delay_alu instid0(VALU_DEP_1)
	v_cmp_ne_u16_e64 s4, 0x80, v28
	v_mov_b32_e32 v28, 0x8000
	s_and_saveexec_b32 s43, s4
	s_cbranch_execz .LBB251_57
; %bb.52:                               ;   in Loop: Header=BB251_13 Depth=1
	v_and_b32_e32 v30, 0x7f, v1
	v_mov_b32_e32 v28, 0x7c01
	s_mov_b32 s44, exec_lo
	s_delay_alu instid0(VALU_DEP_2)
	v_cmpx_ne_u32_e32 0x7f, v30
	s_cbranch_execz .LBB251_56
; %bb.53:                               ;   in Loop: Header=BB251_13 Depth=1
	v_and_b32_e32 v28, 7, v1
	v_lshrrev_b32_e32 v29, 3, v30
	s_mov_b32 s45, exec_lo
	v_cmpx_gt_u32_e32 8, v30
; %bb.54:                               ;   in Loop: Header=BB251_13 Depth=1
	s_delay_alu instid0(VALU_DEP_3) | instskip(NEXT) | instid1(VALU_DEP_1)
	v_clz_i32_u32_e32 v28, v28
	v_min_u32_e32 v30, 32, v28
	s_delay_alu instid0(VALU_DEP_1) | instskip(NEXT) | instid1(VALU_DEP_1)
	v_subrev_nc_u32_e32 v28, 28, v30
	v_lshlrev_b64_e32 v[28:29], v28, v[1:2]
	v_sub_nc_u32_e32 v29, 29, v30
	s_delay_alu instid0(VALU_DEP_2)
	v_and_b32_e32 v28, 7, v28
; %bb.55:                               ;   in Loop: Header=BB251_13 Depth=1
	s_or_b32 exec_lo, exec_lo, s45
	v_lshlrev_b32_e32 v30, 8, v1
	s_delay_alu instid0(VALU_DEP_3) | instskip(NEXT) | instid1(VALU_DEP_3)
	v_lshl_add_u32 v29, v29, 10, 0x2000
	v_lshlrev_b32_e32 v28, 7, v28
	s_delay_alu instid0(VALU_DEP_3) | instskip(NEXT) | instid1(VALU_DEP_3)
	v_and_b32_e32 v30, 0x8000, v30
	v_and_b32_e32 v29, 0xfc00, v29
	s_delay_alu instid0(VALU_DEP_1)
	v_or3_b32 v28, v30, v29, v28
.LBB251_56:                             ;   in Loop: Header=BB251_13 Depth=1
	s_or_b32 exec_lo, exec_lo, s44
.LBB251_57:                             ;   in Loop: Header=BB251_13 Depth=1
	s_wait_alu 0xfffe
	s_or_b32 exec_lo, exec_lo, s43
.LBB251_58:                             ;   in Loop: Header=BB251_13 Depth=1
	s_wait_alu 0xfffe
	s_or_b32 exec_lo, exec_lo, s42
	v_lshrrev_b16 v1, 8, v1
	s_mov_b32 s42, exec_lo
	s_delay_alu instid0(VALU_DEP_1)
	v_cmpx_ne_u16_e32 0, v1
	s_cbranch_execz .LBB251_66
; %bb.59:                               ;   in Loop: Header=BB251_13 Depth=1
	v_bfrev_b32_e32 v27, 1
	s_mov_b32 s43, exec_lo
	v_cmpx_ne_u16_e32 0x80, v1
	s_cbranch_execz .LBB251_65
; %bb.60:                               ;   in Loop: Header=BB251_13 Depth=1
	v_and_b32_e32 v29, 0xffff, v1
	v_mov_b32_e32 v27, 0x7c010000
	s_mov_b32 s44, exec_lo
	s_delay_alu instid0(VALU_DEP_2) | instskip(NEXT) | instid1(VALU_DEP_1)
	v_and_b32_e32 v31, 0x7f, v29
	v_cmpx_ne_u32_e32 0x7f, v31
	s_cbranch_execz .LBB251_64
; %bb.61:                               ;   in Loop: Header=BB251_13 Depth=1
	v_and_b32_e32 v27, 7, v29
	v_lshrrev_b32_e32 v30, 3, v31
	s_mov_b32 s45, exec_lo
	v_cmpx_gt_u32_e32 8, v31
; %bb.62:                               ;   in Loop: Header=BB251_13 Depth=1
	s_delay_alu instid0(VALU_DEP_3) | instskip(NEXT) | instid1(VALU_DEP_1)
	v_clz_i32_u32_e32 v27, v27
	v_min_u32_e32 v27, 32, v27
	s_delay_alu instid0(VALU_DEP_1) | instskip(NEXT) | instid1(VALU_DEP_1)
	v_subrev_nc_u32_e32 v30, 28, v27
	v_lshlrev_b64_e32 v[31:32], v30, v[1:2]
	v_sub_nc_u32_e32 v30, 29, v27
	s_delay_alu instid0(VALU_DEP_2)
	v_and_b32_e32 v27, 7, v31
; %bb.63:                               ;   in Loop: Header=BB251_13 Depth=1
	s_or_b32 exec_lo, exec_lo, s45
	v_lshlrev_b32_e32 v1, 8, v29
	s_delay_alu instid0(VALU_DEP_3) | instskip(NEXT) | instid1(VALU_DEP_3)
	v_lshl_add_u32 v29, v30, 10, 0x2000
	v_lshlrev_b32_e32 v27, 23, v27
	s_delay_alu instid0(VALU_DEP_2) | instskip(NEXT) | instid1(VALU_DEP_1)
	v_and_or_b32 v1, 0x8000, v1, v29
	v_lshl_or_b32 v27, v1, 16, v27
.LBB251_64:                             ;   in Loop: Header=BB251_13 Depth=1
	s_or_b32 exec_lo, exec_lo, s44
.LBB251_65:                             ;   in Loop: Header=BB251_13 Depth=1
	s_wait_alu 0xfffe
	s_or_b32 exec_lo, exec_lo, s43
.LBB251_66:                             ;   in Loop: Header=BB251_13 Depth=1
	s_wait_alu 0xfffe
	s_or_b32 exec_lo, exec_lo, s42
	global_load_u16 v1, v[7:8], off offset:136
	s_wait_loadcnt 0x0
	v_dual_mov_b32 v29, 0 :: v_dual_and_b32 v30, 0xff, v1
	v_and_b32_e32 v1, 0xffff, v1
	s_delay_alu instid0(VALU_DEP_2)
	v_cmp_ne_u16_e64 s4, 0, v30
	v_mov_b32_e32 v30, 0
	s_and_saveexec_b32 s42, s4
	s_cbranch_execz .LBB251_74
; %bb.67:                               ;   in Loop: Header=BB251_13 Depth=1
	v_and_b32_e32 v30, 0xff, v1
	s_delay_alu instid0(VALU_DEP_1)
	v_cmp_ne_u16_e64 s4, 0x80, v30
	v_mov_b32_e32 v30, 0x8000
	s_and_saveexec_b32 s43, s4
	s_cbranch_execz .LBB251_73
; %bb.68:                               ;   in Loop: Header=BB251_13 Depth=1
	v_and_b32_e32 v32, 0x7f, v1
	v_mov_b32_e32 v30, 0x7c01
	s_mov_b32 s44, exec_lo
	s_delay_alu instid0(VALU_DEP_2)
	v_cmpx_ne_u32_e32 0x7f, v32
	s_cbranch_execz .LBB251_72
; %bb.69:                               ;   in Loop: Header=BB251_13 Depth=1
	v_and_b32_e32 v30, 7, v1
	v_lshrrev_b32_e32 v31, 3, v32
	s_mov_b32 s45, exec_lo
	v_cmpx_gt_u32_e32 8, v32
; %bb.70:                               ;   in Loop: Header=BB251_13 Depth=1
	s_delay_alu instid0(VALU_DEP_3) | instskip(NEXT) | instid1(VALU_DEP_1)
	v_clz_i32_u32_e32 v30, v30
	v_min_u32_e32 v32, 32, v30
	s_delay_alu instid0(VALU_DEP_1) | instskip(NEXT) | instid1(VALU_DEP_1)
	v_subrev_nc_u32_e32 v30, 28, v32
	v_lshlrev_b64_e32 v[30:31], v30, v[1:2]
	v_sub_nc_u32_e32 v31, 29, v32
	s_delay_alu instid0(VALU_DEP_2)
	v_and_b32_e32 v30, 7, v30
; %bb.71:                               ;   in Loop: Header=BB251_13 Depth=1
	s_or_b32 exec_lo, exec_lo, s45
	v_lshlrev_b32_e32 v32, 8, v1
	s_delay_alu instid0(VALU_DEP_3) | instskip(NEXT) | instid1(VALU_DEP_3)
	v_lshl_add_u32 v31, v31, 10, 0x2000
	v_lshlrev_b32_e32 v30, 7, v30
	s_delay_alu instid0(VALU_DEP_3) | instskip(NEXT) | instid1(VALU_DEP_3)
	v_and_b32_e32 v32, 0x8000, v32
	v_and_b32_e32 v31, 0xfc00, v31
	s_delay_alu instid0(VALU_DEP_1)
	v_or3_b32 v30, v32, v31, v30
.LBB251_72:                             ;   in Loop: Header=BB251_13 Depth=1
	s_or_b32 exec_lo, exec_lo, s44
.LBB251_73:                             ;   in Loop: Header=BB251_13 Depth=1
	s_wait_alu 0xfffe
	s_or_b32 exec_lo, exec_lo, s43
.LBB251_74:                             ;   in Loop: Header=BB251_13 Depth=1
	s_wait_alu 0xfffe
	s_or_b32 exec_lo, exec_lo, s42
	v_lshrrev_b16 v1, 8, v1
	s_mov_b32 s42, exec_lo
	s_delay_alu instid0(VALU_DEP_1)
	v_cmpx_ne_u16_e32 0, v1
	s_cbranch_execz .LBB251_82
; %bb.75:                               ;   in Loop: Header=BB251_13 Depth=1
	v_bfrev_b32_e32 v29, 1
	s_mov_b32 s43, exec_lo
	v_cmpx_ne_u16_e32 0x80, v1
	s_cbranch_execz .LBB251_81
; %bb.76:                               ;   in Loop: Header=BB251_13 Depth=1
	v_and_b32_e32 v31, 0xffff, v1
	v_mov_b32_e32 v29, 0x7c010000
	s_mov_b32 s44, exec_lo
	s_delay_alu instid0(VALU_DEP_2) | instskip(NEXT) | instid1(VALU_DEP_1)
	v_and_b32_e32 v33, 0x7f, v31
	v_cmpx_ne_u32_e32 0x7f, v33
	s_cbranch_execz .LBB251_80
; %bb.77:                               ;   in Loop: Header=BB251_13 Depth=1
	v_and_b32_e32 v29, 7, v31
	v_lshrrev_b32_e32 v32, 3, v33
	s_mov_b32 s45, exec_lo
	v_cmpx_gt_u32_e32 8, v33
; %bb.78:                               ;   in Loop: Header=BB251_13 Depth=1
	s_delay_alu instid0(VALU_DEP_3) | instskip(NEXT) | instid1(VALU_DEP_1)
	v_clz_i32_u32_e32 v29, v29
	v_min_u32_e32 v29, 32, v29
	s_delay_alu instid0(VALU_DEP_1) | instskip(NEXT) | instid1(VALU_DEP_1)
	v_subrev_nc_u32_e32 v32, 28, v29
	v_lshlrev_b64_e32 v[33:34], v32, v[1:2]
	v_sub_nc_u32_e32 v32, 29, v29
	s_delay_alu instid0(VALU_DEP_2)
	v_and_b32_e32 v29, 7, v33
; %bb.79:                               ;   in Loop: Header=BB251_13 Depth=1
	s_or_b32 exec_lo, exec_lo, s45
	v_lshlrev_b32_e32 v1, 8, v31
	s_delay_alu instid0(VALU_DEP_3) | instskip(NEXT) | instid1(VALU_DEP_3)
	v_lshl_add_u32 v31, v32, 10, 0x2000
	v_lshlrev_b32_e32 v29, 23, v29
	s_delay_alu instid0(VALU_DEP_2) | instskip(NEXT) | instid1(VALU_DEP_1)
	v_and_or_b32 v1, 0x8000, v1, v31
	v_lshl_or_b32 v29, v1, 16, v29
.LBB251_80:                             ;   in Loop: Header=BB251_13 Depth=1
	s_or_b32 exec_lo, exec_lo, s44
.LBB251_81:                             ;   in Loop: Header=BB251_13 Depth=1
	s_wait_alu 0xfffe
	s_or_b32 exec_lo, exec_lo, s43
.LBB251_82:                             ;   in Loop: Header=BB251_13 Depth=1
	s_wait_alu 0xfffe
	s_or_b32 exec_lo, exec_lo, s42
	global_load_u16 v1, v[7:8], off offset:256
	s_wait_loadcnt 0x0
	v_dual_mov_b32 v31, 0 :: v_dual_and_b32 v32, 0xff, v1
	v_and_b32_e32 v1, 0xffff, v1
	s_delay_alu instid0(VALU_DEP_2)
	v_cmp_ne_u16_e64 s4, 0, v32
	v_mov_b32_e32 v32, 0
	s_and_saveexec_b32 s42, s4
	s_cbranch_execz .LBB251_90
; %bb.83:                               ;   in Loop: Header=BB251_13 Depth=1
	v_and_b32_e32 v32, 0xff, v1
	s_delay_alu instid0(VALU_DEP_1)
	v_cmp_ne_u16_e64 s4, 0x80, v32
	v_mov_b32_e32 v32, 0x8000
	s_and_saveexec_b32 s43, s4
	s_cbranch_execz .LBB251_89
; %bb.84:                               ;   in Loop: Header=BB251_13 Depth=1
	v_and_b32_e32 v34, 0x7f, v1
	v_mov_b32_e32 v32, 0x7c01
	s_mov_b32 s44, exec_lo
	s_delay_alu instid0(VALU_DEP_2)
	v_cmpx_ne_u32_e32 0x7f, v34
	s_cbranch_execz .LBB251_88
; %bb.85:                               ;   in Loop: Header=BB251_13 Depth=1
	v_and_b32_e32 v32, 7, v1
	v_lshrrev_b32_e32 v33, 3, v34
	s_mov_b32 s45, exec_lo
	v_cmpx_gt_u32_e32 8, v34
; %bb.86:                               ;   in Loop: Header=BB251_13 Depth=1
	s_delay_alu instid0(VALU_DEP_3) | instskip(NEXT) | instid1(VALU_DEP_1)
	v_clz_i32_u32_e32 v32, v32
	v_min_u32_e32 v34, 32, v32
	s_delay_alu instid0(VALU_DEP_1) | instskip(NEXT) | instid1(VALU_DEP_1)
	v_subrev_nc_u32_e32 v32, 28, v34
	v_lshlrev_b64_e32 v[32:33], v32, v[1:2]
	v_sub_nc_u32_e32 v33, 29, v34
	s_delay_alu instid0(VALU_DEP_2)
	v_and_b32_e32 v32, 7, v32
; %bb.87:                               ;   in Loop: Header=BB251_13 Depth=1
	s_or_b32 exec_lo, exec_lo, s45
	v_lshlrev_b32_e32 v34, 8, v1
	s_delay_alu instid0(VALU_DEP_3) | instskip(NEXT) | instid1(VALU_DEP_3)
	v_lshl_add_u32 v33, v33, 10, 0x2000
	v_lshlrev_b32_e32 v32, 7, v32
	s_delay_alu instid0(VALU_DEP_3) | instskip(NEXT) | instid1(VALU_DEP_3)
	v_and_b32_e32 v34, 0x8000, v34
	v_and_b32_e32 v33, 0xfc00, v33
	s_delay_alu instid0(VALU_DEP_1)
	v_or3_b32 v32, v34, v33, v32
.LBB251_88:                             ;   in Loop: Header=BB251_13 Depth=1
	s_or_b32 exec_lo, exec_lo, s44
.LBB251_89:                             ;   in Loop: Header=BB251_13 Depth=1
	s_wait_alu 0xfffe
	s_or_b32 exec_lo, exec_lo, s43
.LBB251_90:                             ;   in Loop: Header=BB251_13 Depth=1
	s_wait_alu 0xfffe
	s_or_b32 exec_lo, exec_lo, s42
	v_lshrrev_b16 v1, 8, v1
	s_mov_b32 s42, exec_lo
	s_delay_alu instid0(VALU_DEP_1)
	v_cmpx_ne_u16_e32 0, v1
	s_cbranch_execz .LBB251_98
; %bb.91:                               ;   in Loop: Header=BB251_13 Depth=1
	v_bfrev_b32_e32 v31, 1
	s_mov_b32 s43, exec_lo
	v_cmpx_ne_u16_e32 0x80, v1
	s_cbranch_execz .LBB251_97
; %bb.92:                               ;   in Loop: Header=BB251_13 Depth=1
	v_and_b32_e32 v33, 0xffff, v1
	v_mov_b32_e32 v31, 0x7c010000
	s_mov_b32 s44, exec_lo
	s_delay_alu instid0(VALU_DEP_2) | instskip(NEXT) | instid1(VALU_DEP_1)
	v_and_b32_e32 v35, 0x7f, v33
	v_cmpx_ne_u32_e32 0x7f, v35
	s_cbranch_execz .LBB251_96
; %bb.93:                               ;   in Loop: Header=BB251_13 Depth=1
	v_and_b32_e32 v31, 7, v33
	v_lshrrev_b32_e32 v34, 3, v35
	s_mov_b32 s45, exec_lo
	v_cmpx_gt_u32_e32 8, v35
; %bb.94:                               ;   in Loop: Header=BB251_13 Depth=1
	s_delay_alu instid0(VALU_DEP_3) | instskip(NEXT) | instid1(VALU_DEP_1)
	v_clz_i32_u32_e32 v31, v31
	v_min_u32_e32 v31, 32, v31
	s_delay_alu instid0(VALU_DEP_1) | instskip(NEXT) | instid1(VALU_DEP_1)
	v_subrev_nc_u32_e32 v34, 28, v31
	v_lshlrev_b64_e32 v[35:36], v34, v[1:2]
	v_sub_nc_u32_e32 v34, 29, v31
	s_delay_alu instid0(VALU_DEP_2)
	v_and_b32_e32 v31, 7, v35
; %bb.95:                               ;   in Loop: Header=BB251_13 Depth=1
	s_or_b32 exec_lo, exec_lo, s45
	v_lshlrev_b32_e32 v1, 8, v33
	s_delay_alu instid0(VALU_DEP_3) | instskip(NEXT) | instid1(VALU_DEP_3)
	v_lshl_add_u32 v33, v34, 10, 0x2000
	v_lshlrev_b32_e32 v31, 23, v31
	s_delay_alu instid0(VALU_DEP_2) | instskip(NEXT) | instid1(VALU_DEP_1)
	v_and_or_b32 v1, 0x8000, v1, v33
	v_lshl_or_b32 v31, v1, 16, v31
.LBB251_96:                             ;   in Loop: Header=BB251_13 Depth=1
	s_or_b32 exec_lo, exec_lo, s44
.LBB251_97:                             ;   in Loop: Header=BB251_13 Depth=1
	s_wait_alu 0xfffe
	s_or_b32 exec_lo, exec_lo, s43
.LBB251_98:                             ;   in Loop: Header=BB251_13 Depth=1
	s_wait_alu 0xfffe
	s_or_b32 exec_lo, exec_lo, s42
	global_load_u16 v1, v[7:8], off offset:264
	s_wait_loadcnt 0x0
	v_dual_mov_b32 v33, 0 :: v_dual_and_b32 v34, 0xff, v1
	v_and_b32_e32 v1, 0xffff, v1
	s_delay_alu instid0(VALU_DEP_2)
	v_cmp_ne_u16_e64 s4, 0, v34
	v_mov_b32_e32 v34, 0
	s_and_saveexec_b32 s42, s4
	s_cbranch_execz .LBB251_106
; %bb.99:                               ;   in Loop: Header=BB251_13 Depth=1
	v_and_b32_e32 v34, 0xff, v1
	s_delay_alu instid0(VALU_DEP_1)
	v_cmp_ne_u16_e64 s4, 0x80, v34
	v_mov_b32_e32 v34, 0x8000
	s_and_saveexec_b32 s43, s4
	s_cbranch_execz .LBB251_105
; %bb.100:                              ;   in Loop: Header=BB251_13 Depth=1
	v_and_b32_e32 v36, 0x7f, v1
	v_mov_b32_e32 v34, 0x7c01
	s_mov_b32 s44, exec_lo
	s_delay_alu instid0(VALU_DEP_2)
	v_cmpx_ne_u32_e32 0x7f, v36
	s_cbranch_execz .LBB251_104
; %bb.101:                              ;   in Loop: Header=BB251_13 Depth=1
	v_and_b32_e32 v34, 7, v1
	v_lshrrev_b32_e32 v35, 3, v36
	s_mov_b32 s45, exec_lo
	v_cmpx_gt_u32_e32 8, v36
; %bb.102:                              ;   in Loop: Header=BB251_13 Depth=1
	s_delay_alu instid0(VALU_DEP_3) | instskip(NEXT) | instid1(VALU_DEP_1)
	v_clz_i32_u32_e32 v34, v34
	v_min_u32_e32 v36, 32, v34
	s_delay_alu instid0(VALU_DEP_1) | instskip(NEXT) | instid1(VALU_DEP_1)
	v_subrev_nc_u32_e32 v34, 28, v36
	v_lshlrev_b64_e32 v[34:35], v34, v[1:2]
	v_sub_nc_u32_e32 v35, 29, v36
	s_delay_alu instid0(VALU_DEP_2)
	v_and_b32_e32 v34, 7, v34
; %bb.103:                              ;   in Loop: Header=BB251_13 Depth=1
	s_or_b32 exec_lo, exec_lo, s45
	v_lshlrev_b32_e32 v36, 8, v1
	s_delay_alu instid0(VALU_DEP_3) | instskip(NEXT) | instid1(VALU_DEP_3)
	v_lshl_add_u32 v35, v35, 10, 0x2000
	v_lshlrev_b32_e32 v34, 7, v34
	s_delay_alu instid0(VALU_DEP_3) | instskip(NEXT) | instid1(VALU_DEP_3)
	v_and_b32_e32 v36, 0x8000, v36
	v_and_b32_e32 v35, 0xfc00, v35
	s_delay_alu instid0(VALU_DEP_1)
	v_or3_b32 v34, v36, v35, v34
.LBB251_104:                            ;   in Loop: Header=BB251_13 Depth=1
	s_or_b32 exec_lo, exec_lo, s44
.LBB251_105:                            ;   in Loop: Header=BB251_13 Depth=1
	s_wait_alu 0xfffe
	s_or_b32 exec_lo, exec_lo, s43
.LBB251_106:                            ;   in Loop: Header=BB251_13 Depth=1
	s_wait_alu 0xfffe
	s_or_b32 exec_lo, exec_lo, s42
	v_lshrrev_b16 v1, 8, v1
	s_mov_b32 s42, exec_lo
	s_delay_alu instid0(VALU_DEP_1)
	v_cmpx_ne_u16_e32 0, v1
	s_cbranch_execz .LBB251_114
; %bb.107:                              ;   in Loop: Header=BB251_13 Depth=1
	v_bfrev_b32_e32 v33, 1
	s_mov_b32 s43, exec_lo
	v_cmpx_ne_u16_e32 0x80, v1
	s_cbranch_execz .LBB251_113
; %bb.108:                              ;   in Loop: Header=BB251_13 Depth=1
	v_and_b32_e32 v35, 0xffff, v1
	v_mov_b32_e32 v33, 0x7c010000
	s_mov_b32 s44, exec_lo
	s_delay_alu instid0(VALU_DEP_2) | instskip(NEXT) | instid1(VALU_DEP_1)
	v_and_b32_e32 v37, 0x7f, v35
	v_cmpx_ne_u32_e32 0x7f, v37
	s_cbranch_execz .LBB251_112
; %bb.109:                              ;   in Loop: Header=BB251_13 Depth=1
	v_and_b32_e32 v33, 7, v35
	v_lshrrev_b32_e32 v36, 3, v37
	s_mov_b32 s45, exec_lo
	v_cmpx_gt_u32_e32 8, v37
; %bb.110:                              ;   in Loop: Header=BB251_13 Depth=1
	s_delay_alu instid0(VALU_DEP_3) | instskip(NEXT) | instid1(VALU_DEP_1)
	v_clz_i32_u32_e32 v33, v33
	v_min_u32_e32 v33, 32, v33
	s_delay_alu instid0(VALU_DEP_1) | instskip(NEXT) | instid1(VALU_DEP_1)
	v_subrev_nc_u32_e32 v36, 28, v33
	v_lshlrev_b64_e32 v[37:38], v36, v[1:2]
	v_sub_nc_u32_e32 v36, 29, v33
	s_delay_alu instid0(VALU_DEP_2)
	v_and_b32_e32 v33, 7, v37
; %bb.111:                              ;   in Loop: Header=BB251_13 Depth=1
	s_or_b32 exec_lo, exec_lo, s45
	v_lshlrev_b32_e32 v1, 8, v35
	s_delay_alu instid0(VALU_DEP_3) | instskip(NEXT) | instid1(VALU_DEP_3)
	v_lshl_add_u32 v35, v36, 10, 0x2000
	v_lshlrev_b32_e32 v33, 23, v33
	s_delay_alu instid0(VALU_DEP_2) | instskip(NEXT) | instid1(VALU_DEP_1)
	v_and_or_b32 v1, 0x8000, v1, v35
	v_lshl_or_b32 v33, v1, 16, v33
.LBB251_112:                            ;   in Loop: Header=BB251_13 Depth=1
	s_or_b32 exec_lo, exec_lo, s44
.LBB251_113:                            ;   in Loop: Header=BB251_13 Depth=1
	s_wait_alu 0xfffe
	s_or_b32 exec_lo, exec_lo, s43
.LBB251_114:                            ;   in Loop: Header=BB251_13 Depth=1
	s_wait_alu 0xfffe
	s_or_b32 exec_lo, exec_lo, s42
	global_load_u16 v1, v[7:8], off offset:384
	s_wait_loadcnt 0x0
	v_dual_mov_b32 v35, 0 :: v_dual_and_b32 v36, 0xff, v1
	v_and_b32_e32 v1, 0xffff, v1
	s_delay_alu instid0(VALU_DEP_2)
	v_cmp_ne_u16_e64 s4, 0, v36
	v_mov_b32_e32 v36, 0
	s_and_saveexec_b32 s42, s4
	s_cbranch_execz .LBB251_122
; %bb.115:                              ;   in Loop: Header=BB251_13 Depth=1
	v_and_b32_e32 v36, 0xff, v1
	s_delay_alu instid0(VALU_DEP_1)
	v_cmp_ne_u16_e64 s4, 0x80, v36
	v_mov_b32_e32 v36, 0x8000
	s_and_saveexec_b32 s43, s4
	s_cbranch_execz .LBB251_121
; %bb.116:                              ;   in Loop: Header=BB251_13 Depth=1
	v_and_b32_e32 v38, 0x7f, v1
	v_mov_b32_e32 v36, 0x7c01
	s_mov_b32 s44, exec_lo
	s_delay_alu instid0(VALU_DEP_2)
	v_cmpx_ne_u32_e32 0x7f, v38
	s_cbranch_execz .LBB251_120
; %bb.117:                              ;   in Loop: Header=BB251_13 Depth=1
	v_and_b32_e32 v36, 7, v1
	v_lshrrev_b32_e32 v37, 3, v38
	s_mov_b32 s45, exec_lo
	v_cmpx_gt_u32_e32 8, v38
; %bb.118:                              ;   in Loop: Header=BB251_13 Depth=1
	s_delay_alu instid0(VALU_DEP_3) | instskip(NEXT) | instid1(VALU_DEP_1)
	v_clz_i32_u32_e32 v36, v36
	v_min_u32_e32 v38, 32, v36
	s_delay_alu instid0(VALU_DEP_1) | instskip(NEXT) | instid1(VALU_DEP_1)
	v_subrev_nc_u32_e32 v36, 28, v38
	v_lshlrev_b64_e32 v[36:37], v36, v[1:2]
	v_sub_nc_u32_e32 v37, 29, v38
	s_delay_alu instid0(VALU_DEP_2)
	v_and_b32_e32 v36, 7, v36
; %bb.119:                              ;   in Loop: Header=BB251_13 Depth=1
	s_or_b32 exec_lo, exec_lo, s45
	v_lshlrev_b32_e32 v38, 8, v1
	s_delay_alu instid0(VALU_DEP_3) | instskip(NEXT) | instid1(VALU_DEP_3)
	v_lshl_add_u32 v37, v37, 10, 0x2000
	v_lshlrev_b32_e32 v36, 7, v36
	s_delay_alu instid0(VALU_DEP_3) | instskip(NEXT) | instid1(VALU_DEP_3)
	v_and_b32_e32 v38, 0x8000, v38
	v_and_b32_e32 v37, 0xfc00, v37
	s_delay_alu instid0(VALU_DEP_1)
	v_or3_b32 v36, v38, v37, v36
.LBB251_120:                            ;   in Loop: Header=BB251_13 Depth=1
	s_or_b32 exec_lo, exec_lo, s44
.LBB251_121:                            ;   in Loop: Header=BB251_13 Depth=1
	s_wait_alu 0xfffe
	s_or_b32 exec_lo, exec_lo, s43
.LBB251_122:                            ;   in Loop: Header=BB251_13 Depth=1
	s_wait_alu 0xfffe
	s_or_b32 exec_lo, exec_lo, s42
	v_lshrrev_b16 v1, 8, v1
	s_mov_b32 s42, exec_lo
	s_delay_alu instid0(VALU_DEP_1)
	v_cmpx_ne_u16_e32 0, v1
	s_cbranch_execz .LBB251_130
; %bb.123:                              ;   in Loop: Header=BB251_13 Depth=1
	v_bfrev_b32_e32 v35, 1
	s_mov_b32 s43, exec_lo
	v_cmpx_ne_u16_e32 0x80, v1
	s_cbranch_execz .LBB251_129
; %bb.124:                              ;   in Loop: Header=BB251_13 Depth=1
	v_and_b32_e32 v37, 0xffff, v1
	v_mov_b32_e32 v35, 0x7c010000
	s_mov_b32 s44, exec_lo
	s_delay_alu instid0(VALU_DEP_2) | instskip(NEXT) | instid1(VALU_DEP_1)
	v_and_b32_e32 v39, 0x7f, v37
	v_cmpx_ne_u32_e32 0x7f, v39
	s_cbranch_execz .LBB251_128
; %bb.125:                              ;   in Loop: Header=BB251_13 Depth=1
	v_and_b32_e32 v35, 7, v37
	v_lshrrev_b32_e32 v38, 3, v39
	s_mov_b32 s45, exec_lo
	v_cmpx_gt_u32_e32 8, v39
; %bb.126:                              ;   in Loop: Header=BB251_13 Depth=1
	s_delay_alu instid0(VALU_DEP_3) | instskip(NEXT) | instid1(VALU_DEP_1)
	v_clz_i32_u32_e32 v35, v35
	v_min_u32_e32 v35, 32, v35
	s_delay_alu instid0(VALU_DEP_1) | instskip(NEXT) | instid1(VALU_DEP_1)
	v_subrev_nc_u32_e32 v38, 28, v35
	v_lshlrev_b64_e32 v[39:40], v38, v[1:2]
	v_sub_nc_u32_e32 v38, 29, v35
	s_delay_alu instid0(VALU_DEP_2)
	v_and_b32_e32 v35, 7, v39
; %bb.127:                              ;   in Loop: Header=BB251_13 Depth=1
	s_or_b32 exec_lo, exec_lo, s45
	v_lshlrev_b32_e32 v1, 8, v37
	s_delay_alu instid0(VALU_DEP_3) | instskip(NEXT) | instid1(VALU_DEP_3)
	v_lshl_add_u32 v37, v38, 10, 0x2000
	v_lshlrev_b32_e32 v35, 23, v35
	s_delay_alu instid0(VALU_DEP_2) | instskip(NEXT) | instid1(VALU_DEP_1)
	v_and_or_b32 v1, 0x8000, v1, v37
	v_lshl_or_b32 v35, v1, 16, v35
.LBB251_128:                            ;   in Loop: Header=BB251_13 Depth=1
	s_or_b32 exec_lo, exec_lo, s44
.LBB251_129:                            ;   in Loop: Header=BB251_13 Depth=1
	s_wait_alu 0xfffe
	s_or_b32 exec_lo, exec_lo, s43
.LBB251_130:                            ;   in Loop: Header=BB251_13 Depth=1
	s_wait_alu 0xfffe
	s_or_b32 exec_lo, exec_lo, s42
	global_load_u16 v1, v[7:8], off offset:392
	s_wait_loadcnt 0x0
	v_dual_mov_b32 v37, 0 :: v_dual_and_b32 v38, 0xff, v1
	v_and_b32_e32 v1, 0xffff, v1
	s_delay_alu instid0(VALU_DEP_2)
	v_cmp_ne_u16_e64 s4, 0, v38
	v_mov_b32_e32 v38, 0
	s_and_saveexec_b32 s42, s4
	s_cbranch_execz .LBB251_138
; %bb.131:                              ;   in Loop: Header=BB251_13 Depth=1
	v_and_b32_e32 v38, 0xff, v1
	s_delay_alu instid0(VALU_DEP_1)
	v_cmp_ne_u16_e64 s4, 0x80, v38
	v_mov_b32_e32 v38, 0x8000
	s_and_saveexec_b32 s43, s4
	s_cbranch_execz .LBB251_137
; %bb.132:                              ;   in Loop: Header=BB251_13 Depth=1
	v_and_b32_e32 v40, 0x7f, v1
	v_mov_b32_e32 v38, 0x7c01
	s_mov_b32 s44, exec_lo
	s_delay_alu instid0(VALU_DEP_2)
	v_cmpx_ne_u32_e32 0x7f, v40
	s_cbranch_execz .LBB251_136
; %bb.133:                              ;   in Loop: Header=BB251_13 Depth=1
	v_and_b32_e32 v38, 7, v1
	v_lshrrev_b32_e32 v39, 3, v40
	s_mov_b32 s45, exec_lo
	v_cmpx_gt_u32_e32 8, v40
; %bb.134:                              ;   in Loop: Header=BB251_13 Depth=1
	s_delay_alu instid0(VALU_DEP_3) | instskip(NEXT) | instid1(VALU_DEP_1)
	v_clz_i32_u32_e32 v38, v38
	v_min_u32_e32 v40, 32, v38
	s_delay_alu instid0(VALU_DEP_1) | instskip(NEXT) | instid1(VALU_DEP_1)
	v_subrev_nc_u32_e32 v38, 28, v40
	v_lshlrev_b64_e32 v[38:39], v38, v[1:2]
	v_sub_nc_u32_e32 v39, 29, v40
	s_delay_alu instid0(VALU_DEP_2)
	v_and_b32_e32 v38, 7, v38
; %bb.135:                              ;   in Loop: Header=BB251_13 Depth=1
	s_or_b32 exec_lo, exec_lo, s45
	v_lshlrev_b32_e32 v40, 8, v1
	s_delay_alu instid0(VALU_DEP_3) | instskip(NEXT) | instid1(VALU_DEP_3)
	v_lshl_add_u32 v39, v39, 10, 0x2000
	v_lshlrev_b32_e32 v38, 7, v38
	s_delay_alu instid0(VALU_DEP_3) | instskip(NEXT) | instid1(VALU_DEP_3)
	v_and_b32_e32 v40, 0x8000, v40
	v_and_b32_e32 v39, 0xfc00, v39
	s_delay_alu instid0(VALU_DEP_1)
	v_or3_b32 v38, v40, v39, v38
.LBB251_136:                            ;   in Loop: Header=BB251_13 Depth=1
	s_or_b32 exec_lo, exec_lo, s44
.LBB251_137:                            ;   in Loop: Header=BB251_13 Depth=1
	s_wait_alu 0xfffe
	s_or_b32 exec_lo, exec_lo, s43
.LBB251_138:                            ;   in Loop: Header=BB251_13 Depth=1
	s_wait_alu 0xfffe
	s_or_b32 exec_lo, exec_lo, s42
	v_lshrrev_b16 v1, 8, v1
	s_mov_b32 s42, exec_lo
	s_delay_alu instid0(VALU_DEP_1)
	v_cmpx_ne_u16_e32 0, v1
	s_cbranch_execz .LBB251_146
; %bb.139:                              ;   in Loop: Header=BB251_13 Depth=1
	v_bfrev_b32_e32 v37, 1
	s_mov_b32 s43, exec_lo
	v_cmpx_ne_u16_e32 0x80, v1
	s_cbranch_execz .LBB251_145
; %bb.140:                              ;   in Loop: Header=BB251_13 Depth=1
	v_and_b32_e32 v39, 0xffff, v1
	v_mov_b32_e32 v37, 0x7c010000
	s_mov_b32 s44, exec_lo
	s_delay_alu instid0(VALU_DEP_2) | instskip(NEXT) | instid1(VALU_DEP_1)
	v_and_b32_e32 v41, 0x7f, v39
	v_cmpx_ne_u32_e32 0x7f, v41
	s_cbranch_execz .LBB251_144
; %bb.141:                              ;   in Loop: Header=BB251_13 Depth=1
	v_and_b32_e32 v37, 7, v39
	v_lshrrev_b32_e32 v40, 3, v41
	s_mov_b32 s45, exec_lo
	v_cmpx_gt_u32_e32 8, v41
; %bb.142:                              ;   in Loop: Header=BB251_13 Depth=1
	s_delay_alu instid0(VALU_DEP_3) | instskip(NEXT) | instid1(VALU_DEP_1)
	v_clz_i32_u32_e32 v37, v37
	v_min_u32_e32 v37, 32, v37
	s_delay_alu instid0(VALU_DEP_1) | instskip(NEXT) | instid1(VALU_DEP_1)
	v_subrev_nc_u32_e32 v40, 28, v37
	v_lshlrev_b64_e32 v[41:42], v40, v[1:2]
	v_sub_nc_u32_e32 v40, 29, v37
	s_delay_alu instid0(VALU_DEP_2)
	v_and_b32_e32 v37, 7, v41
; %bb.143:                              ;   in Loop: Header=BB251_13 Depth=1
	s_or_b32 exec_lo, exec_lo, s45
	v_lshlrev_b32_e32 v1, 8, v39
	s_delay_alu instid0(VALU_DEP_3) | instskip(NEXT) | instid1(VALU_DEP_3)
	v_lshl_add_u32 v39, v40, 10, 0x2000
	v_lshlrev_b32_e32 v37, 23, v37
	s_delay_alu instid0(VALU_DEP_2) | instskip(NEXT) | instid1(VALU_DEP_1)
	v_and_or_b32 v1, 0x8000, v1, v39
	v_lshl_or_b32 v37, v1, 16, v37
.LBB251_144:                            ;   in Loop: Header=BB251_13 Depth=1
	s_or_b32 exec_lo, exec_lo, s44
.LBB251_145:                            ;   in Loop: Header=BB251_13 Depth=1
	s_wait_alu 0xfffe
	s_or_b32 exec_lo, exec_lo, s43
.LBB251_146:                            ;   in Loop: Header=BB251_13 Depth=1
	s_wait_alu 0xfffe
	s_or_b32 exec_lo, exec_lo, s42
	global_load_u16 v1, v[7:8], off offset:512
	s_wait_loadcnt 0x0
	v_dual_mov_b32 v39, 0 :: v_dual_and_b32 v40, 0xff, v1
	v_and_b32_e32 v1, 0xffff, v1
	s_delay_alu instid0(VALU_DEP_2)
	v_cmp_ne_u16_e64 s4, 0, v40
	v_mov_b32_e32 v40, 0
	s_and_saveexec_b32 s42, s4
	s_cbranch_execz .LBB251_154
; %bb.147:                              ;   in Loop: Header=BB251_13 Depth=1
	v_and_b32_e32 v40, 0xff, v1
	s_delay_alu instid0(VALU_DEP_1)
	v_cmp_ne_u16_e64 s4, 0x80, v40
	v_mov_b32_e32 v40, 0x8000
	s_and_saveexec_b32 s43, s4
	s_cbranch_execz .LBB251_153
; %bb.148:                              ;   in Loop: Header=BB251_13 Depth=1
	v_and_b32_e32 v42, 0x7f, v1
	v_mov_b32_e32 v40, 0x7c01
	s_mov_b32 s44, exec_lo
	s_delay_alu instid0(VALU_DEP_2)
	v_cmpx_ne_u32_e32 0x7f, v42
	s_cbranch_execz .LBB251_152
; %bb.149:                              ;   in Loop: Header=BB251_13 Depth=1
	v_and_b32_e32 v40, 7, v1
	v_lshrrev_b32_e32 v41, 3, v42
	s_mov_b32 s45, exec_lo
	v_cmpx_gt_u32_e32 8, v42
; %bb.150:                              ;   in Loop: Header=BB251_13 Depth=1
	s_delay_alu instid0(VALU_DEP_3) | instskip(NEXT) | instid1(VALU_DEP_1)
	v_clz_i32_u32_e32 v40, v40
	v_min_u32_e32 v42, 32, v40
	s_delay_alu instid0(VALU_DEP_1) | instskip(NEXT) | instid1(VALU_DEP_1)
	v_subrev_nc_u32_e32 v40, 28, v42
	v_lshlrev_b64_e32 v[40:41], v40, v[1:2]
	v_sub_nc_u32_e32 v41, 29, v42
	s_delay_alu instid0(VALU_DEP_2)
	v_and_b32_e32 v40, 7, v40
; %bb.151:                              ;   in Loop: Header=BB251_13 Depth=1
	s_or_b32 exec_lo, exec_lo, s45
	v_lshlrev_b32_e32 v42, 8, v1
	s_delay_alu instid0(VALU_DEP_3) | instskip(NEXT) | instid1(VALU_DEP_3)
	v_lshl_add_u32 v41, v41, 10, 0x2000
	v_lshlrev_b32_e32 v40, 7, v40
	s_delay_alu instid0(VALU_DEP_3) | instskip(NEXT) | instid1(VALU_DEP_3)
	v_and_b32_e32 v42, 0x8000, v42
	v_and_b32_e32 v41, 0xfc00, v41
	s_delay_alu instid0(VALU_DEP_1)
	v_or3_b32 v40, v42, v41, v40
.LBB251_152:                            ;   in Loop: Header=BB251_13 Depth=1
	s_or_b32 exec_lo, exec_lo, s44
.LBB251_153:                            ;   in Loop: Header=BB251_13 Depth=1
	s_wait_alu 0xfffe
	s_or_b32 exec_lo, exec_lo, s43
.LBB251_154:                            ;   in Loop: Header=BB251_13 Depth=1
	s_wait_alu 0xfffe
	s_or_b32 exec_lo, exec_lo, s42
	v_lshrrev_b16 v1, 8, v1
	s_mov_b32 s42, exec_lo
	s_delay_alu instid0(VALU_DEP_1)
	v_cmpx_ne_u16_e32 0, v1
	s_cbranch_execz .LBB251_162
; %bb.155:                              ;   in Loop: Header=BB251_13 Depth=1
	v_bfrev_b32_e32 v39, 1
	s_mov_b32 s43, exec_lo
	v_cmpx_ne_u16_e32 0x80, v1
	s_cbranch_execz .LBB251_161
; %bb.156:                              ;   in Loop: Header=BB251_13 Depth=1
	v_and_b32_e32 v41, 0xffff, v1
	v_mov_b32_e32 v39, 0x7c010000
	s_mov_b32 s44, exec_lo
	s_delay_alu instid0(VALU_DEP_2) | instskip(NEXT) | instid1(VALU_DEP_1)
	v_and_b32_e32 v43, 0x7f, v41
	v_cmpx_ne_u32_e32 0x7f, v43
	s_cbranch_execz .LBB251_160
; %bb.157:                              ;   in Loop: Header=BB251_13 Depth=1
	v_and_b32_e32 v39, 7, v41
	v_lshrrev_b32_e32 v42, 3, v43
	s_mov_b32 s45, exec_lo
	v_cmpx_gt_u32_e32 8, v43
; %bb.158:                              ;   in Loop: Header=BB251_13 Depth=1
	s_delay_alu instid0(VALU_DEP_3) | instskip(NEXT) | instid1(VALU_DEP_1)
	v_clz_i32_u32_e32 v39, v39
	v_min_u32_e32 v39, 32, v39
	s_delay_alu instid0(VALU_DEP_1) | instskip(NEXT) | instid1(VALU_DEP_1)
	v_subrev_nc_u32_e32 v42, 28, v39
	v_lshlrev_b64_e32 v[43:44], v42, v[1:2]
	v_sub_nc_u32_e32 v42, 29, v39
	s_delay_alu instid0(VALU_DEP_2)
	v_and_b32_e32 v39, 7, v43
; %bb.159:                              ;   in Loop: Header=BB251_13 Depth=1
	s_or_b32 exec_lo, exec_lo, s45
	v_lshlrev_b32_e32 v1, 8, v41
	s_delay_alu instid0(VALU_DEP_3) | instskip(NEXT) | instid1(VALU_DEP_3)
	v_lshl_add_u32 v41, v42, 10, 0x2000
	v_lshlrev_b32_e32 v39, 23, v39
	s_delay_alu instid0(VALU_DEP_2) | instskip(NEXT) | instid1(VALU_DEP_1)
	v_and_or_b32 v1, 0x8000, v1, v41
	v_lshl_or_b32 v39, v1, 16, v39
.LBB251_160:                            ;   in Loop: Header=BB251_13 Depth=1
	s_or_b32 exec_lo, exec_lo, s44
.LBB251_161:                            ;   in Loop: Header=BB251_13 Depth=1
	s_wait_alu 0xfffe
	s_or_b32 exec_lo, exec_lo, s43
.LBB251_162:                            ;   in Loop: Header=BB251_13 Depth=1
	s_wait_alu 0xfffe
	s_or_b32 exec_lo, exec_lo, s42
	global_load_u16 v1, v[7:8], off offset:520
	s_wait_loadcnt 0x0
	v_dual_mov_b32 v41, 0 :: v_dual_and_b32 v42, 0xff, v1
	v_and_b32_e32 v1, 0xffff, v1
	s_delay_alu instid0(VALU_DEP_2)
	v_cmp_ne_u16_e64 s4, 0, v42
	v_mov_b32_e32 v42, 0
	s_and_saveexec_b32 s42, s4
	s_cbranch_execz .LBB251_170
; %bb.163:                              ;   in Loop: Header=BB251_13 Depth=1
	v_and_b32_e32 v42, 0xff, v1
	s_delay_alu instid0(VALU_DEP_1)
	v_cmp_ne_u16_e64 s4, 0x80, v42
	v_mov_b32_e32 v42, 0x8000
	s_and_saveexec_b32 s43, s4
	s_cbranch_execz .LBB251_169
; %bb.164:                              ;   in Loop: Header=BB251_13 Depth=1
	v_and_b32_e32 v44, 0x7f, v1
	v_mov_b32_e32 v42, 0x7c01
	s_mov_b32 s44, exec_lo
	s_delay_alu instid0(VALU_DEP_2)
	v_cmpx_ne_u32_e32 0x7f, v44
	s_cbranch_execz .LBB251_168
; %bb.165:                              ;   in Loop: Header=BB251_13 Depth=1
	v_and_b32_e32 v42, 7, v1
	v_lshrrev_b32_e32 v43, 3, v44
	s_mov_b32 s45, exec_lo
	v_cmpx_gt_u32_e32 8, v44
; %bb.166:                              ;   in Loop: Header=BB251_13 Depth=1
	s_delay_alu instid0(VALU_DEP_3) | instskip(NEXT) | instid1(VALU_DEP_1)
	v_clz_i32_u32_e32 v42, v42
	v_min_u32_e32 v44, 32, v42
	s_delay_alu instid0(VALU_DEP_1) | instskip(NEXT) | instid1(VALU_DEP_1)
	v_subrev_nc_u32_e32 v42, 28, v44
	v_lshlrev_b64_e32 v[42:43], v42, v[1:2]
	v_sub_nc_u32_e32 v43, 29, v44
	s_delay_alu instid0(VALU_DEP_2)
	v_and_b32_e32 v42, 7, v42
; %bb.167:                              ;   in Loop: Header=BB251_13 Depth=1
	s_or_b32 exec_lo, exec_lo, s45
	v_lshlrev_b32_e32 v44, 8, v1
	s_delay_alu instid0(VALU_DEP_3) | instskip(NEXT) | instid1(VALU_DEP_3)
	v_lshl_add_u32 v43, v43, 10, 0x2000
	v_lshlrev_b32_e32 v42, 7, v42
	s_delay_alu instid0(VALU_DEP_3) | instskip(NEXT) | instid1(VALU_DEP_3)
	v_and_b32_e32 v44, 0x8000, v44
	v_and_b32_e32 v43, 0xfc00, v43
	s_delay_alu instid0(VALU_DEP_1)
	v_or3_b32 v42, v44, v43, v42
.LBB251_168:                            ;   in Loop: Header=BB251_13 Depth=1
	s_or_b32 exec_lo, exec_lo, s44
.LBB251_169:                            ;   in Loop: Header=BB251_13 Depth=1
	s_wait_alu 0xfffe
	s_or_b32 exec_lo, exec_lo, s43
.LBB251_170:                            ;   in Loop: Header=BB251_13 Depth=1
	s_wait_alu 0xfffe
	s_or_b32 exec_lo, exec_lo, s42
	v_lshrrev_b16 v1, 8, v1
	s_mov_b32 s42, exec_lo
	s_delay_alu instid0(VALU_DEP_1)
	v_cmpx_ne_u16_e32 0, v1
	s_cbranch_execz .LBB251_178
; %bb.171:                              ;   in Loop: Header=BB251_13 Depth=1
	v_bfrev_b32_e32 v41, 1
	s_mov_b32 s43, exec_lo
	v_cmpx_ne_u16_e32 0x80, v1
	s_cbranch_execz .LBB251_177
; %bb.172:                              ;   in Loop: Header=BB251_13 Depth=1
	v_and_b32_e32 v43, 0xffff, v1
	v_mov_b32_e32 v41, 0x7c010000
	s_mov_b32 s44, exec_lo
	s_delay_alu instid0(VALU_DEP_2) | instskip(NEXT) | instid1(VALU_DEP_1)
	v_and_b32_e32 v45, 0x7f, v43
	v_cmpx_ne_u32_e32 0x7f, v45
	s_cbranch_execz .LBB251_176
; %bb.173:                              ;   in Loop: Header=BB251_13 Depth=1
	v_and_b32_e32 v41, 7, v43
	v_lshrrev_b32_e32 v44, 3, v45
	s_mov_b32 s45, exec_lo
	v_cmpx_gt_u32_e32 8, v45
; %bb.174:                              ;   in Loop: Header=BB251_13 Depth=1
	s_delay_alu instid0(VALU_DEP_3) | instskip(NEXT) | instid1(VALU_DEP_1)
	v_clz_i32_u32_e32 v41, v41
	v_min_u32_e32 v41, 32, v41
	s_delay_alu instid0(VALU_DEP_1) | instskip(NEXT) | instid1(VALU_DEP_1)
	v_subrev_nc_u32_e32 v44, 28, v41
	v_lshlrev_b64_e32 v[45:46], v44, v[1:2]
	v_sub_nc_u32_e32 v44, 29, v41
	s_delay_alu instid0(VALU_DEP_2)
	v_and_b32_e32 v41, 7, v45
; %bb.175:                              ;   in Loop: Header=BB251_13 Depth=1
	s_or_b32 exec_lo, exec_lo, s45
	v_lshlrev_b32_e32 v1, 8, v43
	s_delay_alu instid0(VALU_DEP_3) | instskip(NEXT) | instid1(VALU_DEP_3)
	v_lshl_add_u32 v43, v44, 10, 0x2000
	v_lshlrev_b32_e32 v41, 23, v41
	s_delay_alu instid0(VALU_DEP_2) | instskip(NEXT) | instid1(VALU_DEP_1)
	v_and_or_b32 v1, 0x8000, v1, v43
	v_lshl_or_b32 v41, v1, 16, v41
.LBB251_176:                            ;   in Loop: Header=BB251_13 Depth=1
	s_or_b32 exec_lo, exec_lo, s44
.LBB251_177:                            ;   in Loop: Header=BB251_13 Depth=1
	s_wait_alu 0xfffe
	s_or_b32 exec_lo, exec_lo, s43
.LBB251_178:                            ;   in Loop: Header=BB251_13 Depth=1
	s_wait_alu 0xfffe
	s_or_b32 exec_lo, exec_lo, s42
	global_load_u16 v1, v[7:8], off offset:640
	s_wait_loadcnt 0x0
	v_dual_mov_b32 v43, 0 :: v_dual_and_b32 v44, 0xff, v1
	v_and_b32_e32 v1, 0xffff, v1
	s_delay_alu instid0(VALU_DEP_2)
	v_cmp_ne_u16_e64 s4, 0, v44
	v_mov_b32_e32 v44, 0
	s_and_saveexec_b32 s42, s4
	s_cbranch_execz .LBB251_186
; %bb.179:                              ;   in Loop: Header=BB251_13 Depth=1
	v_and_b32_e32 v44, 0xff, v1
	s_delay_alu instid0(VALU_DEP_1)
	v_cmp_ne_u16_e64 s4, 0x80, v44
	v_mov_b32_e32 v44, 0x8000
	s_and_saveexec_b32 s43, s4
	s_cbranch_execz .LBB251_185
; %bb.180:                              ;   in Loop: Header=BB251_13 Depth=1
	v_and_b32_e32 v46, 0x7f, v1
	v_mov_b32_e32 v44, 0x7c01
	s_mov_b32 s44, exec_lo
	s_delay_alu instid0(VALU_DEP_2)
	v_cmpx_ne_u32_e32 0x7f, v46
	s_cbranch_execz .LBB251_184
; %bb.181:                              ;   in Loop: Header=BB251_13 Depth=1
	v_and_b32_e32 v44, 7, v1
	v_lshrrev_b32_e32 v45, 3, v46
	s_mov_b32 s45, exec_lo
	v_cmpx_gt_u32_e32 8, v46
; %bb.182:                              ;   in Loop: Header=BB251_13 Depth=1
	s_delay_alu instid0(VALU_DEP_3) | instskip(NEXT) | instid1(VALU_DEP_1)
	v_clz_i32_u32_e32 v44, v44
	v_min_u32_e32 v46, 32, v44
	s_delay_alu instid0(VALU_DEP_1) | instskip(NEXT) | instid1(VALU_DEP_1)
	v_subrev_nc_u32_e32 v44, 28, v46
	v_lshlrev_b64_e32 v[44:45], v44, v[1:2]
	v_sub_nc_u32_e32 v45, 29, v46
	s_delay_alu instid0(VALU_DEP_2)
	v_and_b32_e32 v44, 7, v44
; %bb.183:                              ;   in Loop: Header=BB251_13 Depth=1
	s_or_b32 exec_lo, exec_lo, s45
	v_lshlrev_b32_e32 v46, 8, v1
	s_delay_alu instid0(VALU_DEP_3) | instskip(NEXT) | instid1(VALU_DEP_3)
	v_lshl_add_u32 v45, v45, 10, 0x2000
	v_lshlrev_b32_e32 v44, 7, v44
	s_delay_alu instid0(VALU_DEP_3) | instskip(NEXT) | instid1(VALU_DEP_3)
	v_and_b32_e32 v46, 0x8000, v46
	v_and_b32_e32 v45, 0xfc00, v45
	s_delay_alu instid0(VALU_DEP_1)
	v_or3_b32 v44, v46, v45, v44
.LBB251_184:                            ;   in Loop: Header=BB251_13 Depth=1
	s_or_b32 exec_lo, exec_lo, s44
.LBB251_185:                            ;   in Loop: Header=BB251_13 Depth=1
	s_wait_alu 0xfffe
	s_or_b32 exec_lo, exec_lo, s43
.LBB251_186:                            ;   in Loop: Header=BB251_13 Depth=1
	s_wait_alu 0xfffe
	s_or_b32 exec_lo, exec_lo, s42
	v_lshrrev_b16 v1, 8, v1
	s_mov_b32 s42, exec_lo
	s_delay_alu instid0(VALU_DEP_1)
	v_cmpx_ne_u16_e32 0, v1
	s_cbranch_execz .LBB251_194
; %bb.187:                              ;   in Loop: Header=BB251_13 Depth=1
	v_bfrev_b32_e32 v43, 1
	s_mov_b32 s43, exec_lo
	v_cmpx_ne_u16_e32 0x80, v1
	s_cbranch_execz .LBB251_193
; %bb.188:                              ;   in Loop: Header=BB251_13 Depth=1
	v_and_b32_e32 v45, 0xffff, v1
	v_mov_b32_e32 v43, 0x7c010000
	s_mov_b32 s44, exec_lo
	s_delay_alu instid0(VALU_DEP_2) | instskip(NEXT) | instid1(VALU_DEP_1)
	v_and_b32_e32 v47, 0x7f, v45
	v_cmpx_ne_u32_e32 0x7f, v47
	s_cbranch_execz .LBB251_192
; %bb.189:                              ;   in Loop: Header=BB251_13 Depth=1
	v_and_b32_e32 v43, 7, v45
	v_lshrrev_b32_e32 v46, 3, v47
	s_mov_b32 s45, exec_lo
	v_cmpx_gt_u32_e32 8, v47
; %bb.190:                              ;   in Loop: Header=BB251_13 Depth=1
	s_delay_alu instid0(VALU_DEP_3) | instskip(NEXT) | instid1(VALU_DEP_1)
	v_clz_i32_u32_e32 v43, v43
	v_min_u32_e32 v43, 32, v43
	s_delay_alu instid0(VALU_DEP_1) | instskip(NEXT) | instid1(VALU_DEP_1)
	v_subrev_nc_u32_e32 v46, 28, v43
	v_lshlrev_b64_e32 v[47:48], v46, v[1:2]
	v_sub_nc_u32_e32 v46, 29, v43
	s_delay_alu instid0(VALU_DEP_2)
	v_and_b32_e32 v43, 7, v47
; %bb.191:                              ;   in Loop: Header=BB251_13 Depth=1
	s_or_b32 exec_lo, exec_lo, s45
	v_lshlrev_b32_e32 v1, 8, v45
	s_delay_alu instid0(VALU_DEP_3) | instskip(NEXT) | instid1(VALU_DEP_3)
	v_lshl_add_u32 v45, v46, 10, 0x2000
	v_lshlrev_b32_e32 v43, 23, v43
	s_delay_alu instid0(VALU_DEP_2) | instskip(NEXT) | instid1(VALU_DEP_1)
	v_and_or_b32 v1, 0x8000, v1, v45
	v_lshl_or_b32 v43, v1, 16, v43
.LBB251_192:                            ;   in Loop: Header=BB251_13 Depth=1
	s_or_b32 exec_lo, exec_lo, s44
.LBB251_193:                            ;   in Loop: Header=BB251_13 Depth=1
	s_wait_alu 0xfffe
	s_or_b32 exec_lo, exec_lo, s43
.LBB251_194:                            ;   in Loop: Header=BB251_13 Depth=1
	s_wait_alu 0xfffe
	s_or_b32 exec_lo, exec_lo, s42
	global_load_u16 v1, v[7:8], off offset:648
	s_wait_loadcnt 0x0
	v_dual_mov_b32 v45, 0 :: v_dual_and_b32 v46, 0xff, v1
	v_and_b32_e32 v1, 0xffff, v1
	s_delay_alu instid0(VALU_DEP_2)
	v_cmp_ne_u16_e64 s4, 0, v46
	v_mov_b32_e32 v46, 0
	s_and_saveexec_b32 s42, s4
	s_cbranch_execz .LBB251_202
; %bb.195:                              ;   in Loop: Header=BB251_13 Depth=1
	v_and_b32_e32 v46, 0xff, v1
	s_delay_alu instid0(VALU_DEP_1)
	v_cmp_ne_u16_e64 s4, 0x80, v46
	v_mov_b32_e32 v46, 0x8000
	s_and_saveexec_b32 s43, s4
	s_cbranch_execz .LBB251_201
; %bb.196:                              ;   in Loop: Header=BB251_13 Depth=1
	v_and_b32_e32 v48, 0x7f, v1
	v_mov_b32_e32 v46, 0x7c01
	s_mov_b32 s44, exec_lo
	s_delay_alu instid0(VALU_DEP_2)
	v_cmpx_ne_u32_e32 0x7f, v48
	s_cbranch_execz .LBB251_200
; %bb.197:                              ;   in Loop: Header=BB251_13 Depth=1
	v_and_b32_e32 v46, 7, v1
	v_lshrrev_b32_e32 v47, 3, v48
	s_mov_b32 s45, exec_lo
	v_cmpx_gt_u32_e32 8, v48
; %bb.198:                              ;   in Loop: Header=BB251_13 Depth=1
	s_delay_alu instid0(VALU_DEP_3) | instskip(NEXT) | instid1(VALU_DEP_1)
	v_clz_i32_u32_e32 v46, v46
	v_min_u32_e32 v48, 32, v46
	s_delay_alu instid0(VALU_DEP_1) | instskip(NEXT) | instid1(VALU_DEP_1)
	v_subrev_nc_u32_e32 v46, 28, v48
	v_lshlrev_b64_e32 v[46:47], v46, v[1:2]
	v_sub_nc_u32_e32 v47, 29, v48
	s_delay_alu instid0(VALU_DEP_2)
	v_and_b32_e32 v46, 7, v46
; %bb.199:                              ;   in Loop: Header=BB251_13 Depth=1
	s_or_b32 exec_lo, exec_lo, s45
	v_lshlrev_b32_e32 v48, 8, v1
	s_delay_alu instid0(VALU_DEP_3) | instskip(NEXT) | instid1(VALU_DEP_3)
	v_lshl_add_u32 v47, v47, 10, 0x2000
	v_lshlrev_b32_e32 v46, 7, v46
	s_delay_alu instid0(VALU_DEP_3) | instskip(NEXT) | instid1(VALU_DEP_3)
	v_and_b32_e32 v48, 0x8000, v48
	v_and_b32_e32 v47, 0xfc00, v47
	s_delay_alu instid0(VALU_DEP_1)
	v_or3_b32 v46, v48, v47, v46
.LBB251_200:                            ;   in Loop: Header=BB251_13 Depth=1
	s_or_b32 exec_lo, exec_lo, s44
.LBB251_201:                            ;   in Loop: Header=BB251_13 Depth=1
	s_wait_alu 0xfffe
	s_or_b32 exec_lo, exec_lo, s43
.LBB251_202:                            ;   in Loop: Header=BB251_13 Depth=1
	s_wait_alu 0xfffe
	s_or_b32 exec_lo, exec_lo, s42
	v_lshrrev_b16 v1, 8, v1
	s_mov_b32 s42, exec_lo
	s_delay_alu instid0(VALU_DEP_1)
	v_cmpx_ne_u16_e32 0, v1
	s_cbranch_execz .LBB251_210
; %bb.203:                              ;   in Loop: Header=BB251_13 Depth=1
	v_bfrev_b32_e32 v45, 1
	s_mov_b32 s43, exec_lo
	v_cmpx_ne_u16_e32 0x80, v1
	s_cbranch_execz .LBB251_209
; %bb.204:                              ;   in Loop: Header=BB251_13 Depth=1
	v_and_b32_e32 v47, 0xffff, v1
	v_mov_b32_e32 v45, 0x7c010000
	s_mov_b32 s44, exec_lo
	s_delay_alu instid0(VALU_DEP_2) | instskip(NEXT) | instid1(VALU_DEP_1)
	v_and_b32_e32 v49, 0x7f, v47
	v_cmpx_ne_u32_e32 0x7f, v49
	s_cbranch_execz .LBB251_208
; %bb.205:                              ;   in Loop: Header=BB251_13 Depth=1
	v_and_b32_e32 v45, 7, v47
	v_lshrrev_b32_e32 v48, 3, v49
	s_mov_b32 s45, exec_lo
	v_cmpx_gt_u32_e32 8, v49
; %bb.206:                              ;   in Loop: Header=BB251_13 Depth=1
	s_delay_alu instid0(VALU_DEP_3) | instskip(NEXT) | instid1(VALU_DEP_1)
	v_clz_i32_u32_e32 v45, v45
	v_min_u32_e32 v45, 32, v45
	s_delay_alu instid0(VALU_DEP_1) | instskip(NEXT) | instid1(VALU_DEP_1)
	v_subrev_nc_u32_e32 v48, 28, v45
	v_lshlrev_b64_e32 v[49:50], v48, v[1:2]
	v_sub_nc_u32_e32 v48, 29, v45
	s_delay_alu instid0(VALU_DEP_2)
	v_and_b32_e32 v45, 7, v49
; %bb.207:                              ;   in Loop: Header=BB251_13 Depth=1
	s_or_b32 exec_lo, exec_lo, s45
	v_lshlrev_b32_e32 v1, 8, v47
	s_delay_alu instid0(VALU_DEP_3) | instskip(NEXT) | instid1(VALU_DEP_3)
	v_lshl_add_u32 v47, v48, 10, 0x2000
	v_lshlrev_b32_e32 v45, 23, v45
	s_delay_alu instid0(VALU_DEP_2) | instskip(NEXT) | instid1(VALU_DEP_1)
	v_and_or_b32 v1, 0x8000, v1, v47
	v_lshl_or_b32 v45, v1, 16, v45
.LBB251_208:                            ;   in Loop: Header=BB251_13 Depth=1
	s_or_b32 exec_lo, exec_lo, s44
.LBB251_209:                            ;   in Loop: Header=BB251_13 Depth=1
	s_wait_alu 0xfffe
	s_or_b32 exec_lo, exec_lo, s43
.LBB251_210:                            ;   in Loop: Header=BB251_13 Depth=1
	s_wait_alu 0xfffe
	s_or_b32 exec_lo, exec_lo, s42
	global_load_u16 v1, v[7:8], off offset:768
	s_wait_loadcnt 0x0
	v_dual_mov_b32 v47, 0 :: v_dual_and_b32 v48, 0xff, v1
	v_and_b32_e32 v1, 0xffff, v1
	s_delay_alu instid0(VALU_DEP_2)
	v_cmp_ne_u16_e64 s4, 0, v48
	v_mov_b32_e32 v48, 0
	s_and_saveexec_b32 s42, s4
	s_cbranch_execz .LBB251_218
; %bb.211:                              ;   in Loop: Header=BB251_13 Depth=1
	v_and_b32_e32 v48, 0xff, v1
	s_delay_alu instid0(VALU_DEP_1)
	v_cmp_ne_u16_e64 s4, 0x80, v48
	v_mov_b32_e32 v48, 0x8000
	s_and_saveexec_b32 s43, s4
	s_cbranch_execz .LBB251_217
; %bb.212:                              ;   in Loop: Header=BB251_13 Depth=1
	v_and_b32_e32 v50, 0x7f, v1
	v_mov_b32_e32 v48, 0x7c01
	s_mov_b32 s44, exec_lo
	s_delay_alu instid0(VALU_DEP_2)
	v_cmpx_ne_u32_e32 0x7f, v50
	s_cbranch_execz .LBB251_216
; %bb.213:                              ;   in Loop: Header=BB251_13 Depth=1
	v_and_b32_e32 v48, 7, v1
	v_lshrrev_b32_e32 v49, 3, v50
	s_mov_b32 s45, exec_lo
	v_cmpx_gt_u32_e32 8, v50
; %bb.214:                              ;   in Loop: Header=BB251_13 Depth=1
	s_delay_alu instid0(VALU_DEP_3) | instskip(NEXT) | instid1(VALU_DEP_1)
	v_clz_i32_u32_e32 v48, v48
	v_min_u32_e32 v50, 32, v48
	s_delay_alu instid0(VALU_DEP_1) | instskip(NEXT) | instid1(VALU_DEP_1)
	v_subrev_nc_u32_e32 v48, 28, v50
	v_lshlrev_b64_e32 v[48:49], v48, v[1:2]
	v_sub_nc_u32_e32 v49, 29, v50
	s_delay_alu instid0(VALU_DEP_2)
	v_and_b32_e32 v48, 7, v48
; %bb.215:                              ;   in Loop: Header=BB251_13 Depth=1
	s_or_b32 exec_lo, exec_lo, s45
	v_lshlrev_b32_e32 v50, 8, v1
	s_delay_alu instid0(VALU_DEP_3) | instskip(NEXT) | instid1(VALU_DEP_3)
	v_lshl_add_u32 v49, v49, 10, 0x2000
	v_lshlrev_b32_e32 v48, 7, v48
	s_delay_alu instid0(VALU_DEP_3) | instskip(NEXT) | instid1(VALU_DEP_3)
	v_and_b32_e32 v50, 0x8000, v50
	v_and_b32_e32 v49, 0xfc00, v49
	s_delay_alu instid0(VALU_DEP_1)
	v_or3_b32 v48, v50, v49, v48
.LBB251_216:                            ;   in Loop: Header=BB251_13 Depth=1
	s_or_b32 exec_lo, exec_lo, s44
.LBB251_217:                            ;   in Loop: Header=BB251_13 Depth=1
	s_wait_alu 0xfffe
	s_or_b32 exec_lo, exec_lo, s43
.LBB251_218:                            ;   in Loop: Header=BB251_13 Depth=1
	s_wait_alu 0xfffe
	s_or_b32 exec_lo, exec_lo, s42
	v_lshrrev_b16 v1, 8, v1
	s_mov_b32 s42, exec_lo
	s_delay_alu instid0(VALU_DEP_1)
	v_cmpx_ne_u16_e32 0, v1
	s_cbranch_execz .LBB251_226
; %bb.219:                              ;   in Loop: Header=BB251_13 Depth=1
	v_bfrev_b32_e32 v47, 1
	s_mov_b32 s43, exec_lo
	v_cmpx_ne_u16_e32 0x80, v1
	s_cbranch_execz .LBB251_225
; %bb.220:                              ;   in Loop: Header=BB251_13 Depth=1
	v_and_b32_e32 v49, 0xffff, v1
	v_mov_b32_e32 v47, 0x7c010000
	s_mov_b32 s44, exec_lo
	s_delay_alu instid0(VALU_DEP_2) | instskip(NEXT) | instid1(VALU_DEP_1)
	v_and_b32_e32 v51, 0x7f, v49
	v_cmpx_ne_u32_e32 0x7f, v51
	s_cbranch_execz .LBB251_224
; %bb.221:                              ;   in Loop: Header=BB251_13 Depth=1
	v_and_b32_e32 v47, 7, v49
	v_lshrrev_b32_e32 v50, 3, v51
	s_mov_b32 s45, exec_lo
	v_cmpx_gt_u32_e32 8, v51
; %bb.222:                              ;   in Loop: Header=BB251_13 Depth=1
	s_delay_alu instid0(VALU_DEP_3) | instskip(NEXT) | instid1(VALU_DEP_1)
	v_clz_i32_u32_e32 v47, v47
	v_min_u32_e32 v47, 32, v47
	s_delay_alu instid0(VALU_DEP_1) | instskip(NEXT) | instid1(VALU_DEP_1)
	v_subrev_nc_u32_e32 v50, 28, v47
	v_lshlrev_b64_e32 v[51:52], v50, v[1:2]
	v_sub_nc_u32_e32 v50, 29, v47
	s_delay_alu instid0(VALU_DEP_2)
	v_and_b32_e32 v47, 7, v51
; %bb.223:                              ;   in Loop: Header=BB251_13 Depth=1
	s_or_b32 exec_lo, exec_lo, s45
	v_lshlrev_b32_e32 v1, 8, v49
	s_delay_alu instid0(VALU_DEP_3) | instskip(NEXT) | instid1(VALU_DEP_3)
	v_lshl_add_u32 v49, v50, 10, 0x2000
	v_lshlrev_b32_e32 v47, 23, v47
	s_delay_alu instid0(VALU_DEP_2) | instskip(NEXT) | instid1(VALU_DEP_1)
	v_and_or_b32 v1, 0x8000, v1, v49
	v_lshl_or_b32 v47, v1, 16, v47
.LBB251_224:                            ;   in Loop: Header=BB251_13 Depth=1
	s_or_b32 exec_lo, exec_lo, s44
.LBB251_225:                            ;   in Loop: Header=BB251_13 Depth=1
	s_wait_alu 0xfffe
	s_or_b32 exec_lo, exec_lo, s43
.LBB251_226:                            ;   in Loop: Header=BB251_13 Depth=1
	s_wait_alu 0xfffe
	s_or_b32 exec_lo, exec_lo, s42
	global_load_u16 v1, v[7:8], off offset:776
	s_wait_loadcnt 0x0
	v_dual_mov_b32 v49, 0 :: v_dual_and_b32 v50, 0xff, v1
	v_and_b32_e32 v1, 0xffff, v1
	s_delay_alu instid0(VALU_DEP_2)
	v_cmp_ne_u16_e64 s4, 0, v50
	v_mov_b32_e32 v50, 0
	s_and_saveexec_b32 s42, s4
	s_cbranch_execz .LBB251_234
; %bb.227:                              ;   in Loop: Header=BB251_13 Depth=1
	v_and_b32_e32 v50, 0xff, v1
	s_delay_alu instid0(VALU_DEP_1)
	v_cmp_ne_u16_e64 s4, 0x80, v50
	v_mov_b32_e32 v50, 0x8000
	s_and_saveexec_b32 s43, s4
	s_cbranch_execz .LBB251_233
; %bb.228:                              ;   in Loop: Header=BB251_13 Depth=1
	v_and_b32_e32 v52, 0x7f, v1
	v_mov_b32_e32 v50, 0x7c01
	s_mov_b32 s44, exec_lo
	s_delay_alu instid0(VALU_DEP_2)
	v_cmpx_ne_u32_e32 0x7f, v52
	s_cbranch_execz .LBB251_232
; %bb.229:                              ;   in Loop: Header=BB251_13 Depth=1
	v_and_b32_e32 v50, 7, v1
	v_lshrrev_b32_e32 v51, 3, v52
	s_mov_b32 s45, exec_lo
	v_cmpx_gt_u32_e32 8, v52
; %bb.230:                              ;   in Loop: Header=BB251_13 Depth=1
	s_delay_alu instid0(VALU_DEP_3) | instskip(NEXT) | instid1(VALU_DEP_1)
	v_clz_i32_u32_e32 v50, v50
	v_min_u32_e32 v52, 32, v50
	s_delay_alu instid0(VALU_DEP_1) | instskip(NEXT) | instid1(VALU_DEP_1)
	v_subrev_nc_u32_e32 v50, 28, v52
	v_lshlrev_b64_e32 v[50:51], v50, v[1:2]
	v_sub_nc_u32_e32 v51, 29, v52
	s_delay_alu instid0(VALU_DEP_2)
	v_and_b32_e32 v50, 7, v50
; %bb.231:                              ;   in Loop: Header=BB251_13 Depth=1
	s_or_b32 exec_lo, exec_lo, s45
	v_lshlrev_b32_e32 v52, 8, v1
	s_delay_alu instid0(VALU_DEP_3) | instskip(NEXT) | instid1(VALU_DEP_3)
	v_lshl_add_u32 v51, v51, 10, 0x2000
	v_lshlrev_b32_e32 v50, 7, v50
	s_delay_alu instid0(VALU_DEP_3) | instskip(NEXT) | instid1(VALU_DEP_3)
	v_and_b32_e32 v52, 0x8000, v52
	v_and_b32_e32 v51, 0xfc00, v51
	s_delay_alu instid0(VALU_DEP_1)
	v_or3_b32 v50, v52, v51, v50
.LBB251_232:                            ;   in Loop: Header=BB251_13 Depth=1
	s_or_b32 exec_lo, exec_lo, s44
.LBB251_233:                            ;   in Loop: Header=BB251_13 Depth=1
	s_wait_alu 0xfffe
	s_or_b32 exec_lo, exec_lo, s43
.LBB251_234:                            ;   in Loop: Header=BB251_13 Depth=1
	s_wait_alu 0xfffe
	s_or_b32 exec_lo, exec_lo, s42
	v_lshrrev_b16 v1, 8, v1
	s_mov_b32 s42, exec_lo
	s_delay_alu instid0(VALU_DEP_1)
	v_cmpx_ne_u16_e32 0, v1
	s_cbranch_execz .LBB251_242
; %bb.235:                              ;   in Loop: Header=BB251_13 Depth=1
	v_bfrev_b32_e32 v49, 1
	s_mov_b32 s43, exec_lo
	v_cmpx_ne_u16_e32 0x80, v1
	s_cbranch_execz .LBB251_241
; %bb.236:                              ;   in Loop: Header=BB251_13 Depth=1
	v_and_b32_e32 v51, 0xffff, v1
	v_mov_b32_e32 v49, 0x7c010000
	s_mov_b32 s44, exec_lo
	s_delay_alu instid0(VALU_DEP_2) | instskip(NEXT) | instid1(VALU_DEP_1)
	v_and_b32_e32 v53, 0x7f, v51
	v_cmpx_ne_u32_e32 0x7f, v53
	s_cbranch_execz .LBB251_240
; %bb.237:                              ;   in Loop: Header=BB251_13 Depth=1
	v_and_b32_e32 v49, 7, v51
	v_lshrrev_b32_e32 v52, 3, v53
	s_mov_b32 s45, exec_lo
	v_cmpx_gt_u32_e32 8, v53
; %bb.238:                              ;   in Loop: Header=BB251_13 Depth=1
	s_delay_alu instid0(VALU_DEP_3) | instskip(NEXT) | instid1(VALU_DEP_1)
	v_clz_i32_u32_e32 v49, v49
	v_min_u32_e32 v49, 32, v49
	s_delay_alu instid0(VALU_DEP_1) | instskip(NEXT) | instid1(VALU_DEP_1)
	v_subrev_nc_u32_e32 v52, 28, v49
	v_lshlrev_b64_e32 v[53:54], v52, v[1:2]
	v_sub_nc_u32_e32 v52, 29, v49
	s_delay_alu instid0(VALU_DEP_2)
	v_and_b32_e32 v49, 7, v53
; %bb.239:                              ;   in Loop: Header=BB251_13 Depth=1
	s_or_b32 exec_lo, exec_lo, s45
	v_lshlrev_b32_e32 v1, 8, v51
	s_delay_alu instid0(VALU_DEP_3) | instskip(NEXT) | instid1(VALU_DEP_3)
	v_lshl_add_u32 v51, v52, 10, 0x2000
	v_lshlrev_b32_e32 v49, 23, v49
	s_delay_alu instid0(VALU_DEP_2) | instskip(NEXT) | instid1(VALU_DEP_1)
	v_and_or_b32 v1, 0x8000, v1, v51
	v_lshl_or_b32 v49, v1, 16, v49
.LBB251_240:                            ;   in Loop: Header=BB251_13 Depth=1
	s_or_b32 exec_lo, exec_lo, s44
.LBB251_241:                            ;   in Loop: Header=BB251_13 Depth=1
	s_wait_alu 0xfffe
	s_or_b32 exec_lo, exec_lo, s43
.LBB251_242:                            ;   in Loop: Header=BB251_13 Depth=1
	s_wait_alu 0xfffe
	s_or_b32 exec_lo, exec_lo, s42
	global_load_u16 v1, v[7:8], off offset:896
	s_wait_loadcnt 0x0
	v_dual_mov_b32 v51, 0 :: v_dual_and_b32 v52, 0xff, v1
	v_and_b32_e32 v1, 0xffff, v1
	s_delay_alu instid0(VALU_DEP_2)
	v_cmp_ne_u16_e64 s4, 0, v52
	v_mov_b32_e32 v52, 0
	s_and_saveexec_b32 s42, s4
	s_cbranch_execz .LBB251_250
; %bb.243:                              ;   in Loop: Header=BB251_13 Depth=1
	v_and_b32_e32 v52, 0xff, v1
	s_delay_alu instid0(VALU_DEP_1)
	v_cmp_ne_u16_e64 s4, 0x80, v52
	v_mov_b32_e32 v52, 0x8000
	s_and_saveexec_b32 s43, s4
	s_cbranch_execz .LBB251_249
; %bb.244:                              ;   in Loop: Header=BB251_13 Depth=1
	v_and_b32_e32 v54, 0x7f, v1
	v_mov_b32_e32 v52, 0x7c01
	s_mov_b32 s44, exec_lo
	s_delay_alu instid0(VALU_DEP_2)
	v_cmpx_ne_u32_e32 0x7f, v54
	s_cbranch_execz .LBB251_248
; %bb.245:                              ;   in Loop: Header=BB251_13 Depth=1
	v_and_b32_e32 v52, 7, v1
	v_lshrrev_b32_e32 v53, 3, v54
	s_mov_b32 s45, exec_lo
	v_cmpx_gt_u32_e32 8, v54
; %bb.246:                              ;   in Loop: Header=BB251_13 Depth=1
	s_delay_alu instid0(VALU_DEP_3) | instskip(NEXT) | instid1(VALU_DEP_1)
	v_clz_i32_u32_e32 v52, v52
	v_min_u32_e32 v54, 32, v52
	s_delay_alu instid0(VALU_DEP_1) | instskip(NEXT) | instid1(VALU_DEP_1)
	v_subrev_nc_u32_e32 v52, 28, v54
	v_lshlrev_b64_e32 v[52:53], v52, v[1:2]
	v_sub_nc_u32_e32 v53, 29, v54
	s_delay_alu instid0(VALU_DEP_2)
	v_and_b32_e32 v52, 7, v52
; %bb.247:                              ;   in Loop: Header=BB251_13 Depth=1
	s_or_b32 exec_lo, exec_lo, s45
	v_lshlrev_b32_e32 v54, 8, v1
	s_delay_alu instid0(VALU_DEP_3) | instskip(NEXT) | instid1(VALU_DEP_3)
	v_lshl_add_u32 v53, v53, 10, 0x2000
	v_lshlrev_b32_e32 v52, 7, v52
	s_delay_alu instid0(VALU_DEP_3) | instskip(NEXT) | instid1(VALU_DEP_3)
	v_and_b32_e32 v54, 0x8000, v54
	v_and_b32_e32 v53, 0xfc00, v53
	s_delay_alu instid0(VALU_DEP_1)
	v_or3_b32 v52, v54, v53, v52
.LBB251_248:                            ;   in Loop: Header=BB251_13 Depth=1
	s_or_b32 exec_lo, exec_lo, s44
.LBB251_249:                            ;   in Loop: Header=BB251_13 Depth=1
	s_wait_alu 0xfffe
	s_or_b32 exec_lo, exec_lo, s43
.LBB251_250:                            ;   in Loop: Header=BB251_13 Depth=1
	s_wait_alu 0xfffe
	s_or_b32 exec_lo, exec_lo, s42
	v_lshrrev_b16 v1, 8, v1
	s_mov_b32 s42, exec_lo
	s_delay_alu instid0(VALU_DEP_1)
	v_cmpx_ne_u16_e32 0, v1
	s_cbranch_execz .LBB251_258
; %bb.251:                              ;   in Loop: Header=BB251_13 Depth=1
	v_bfrev_b32_e32 v51, 1
	s_mov_b32 s43, exec_lo
	v_cmpx_ne_u16_e32 0x80, v1
	s_cbranch_execz .LBB251_257
; %bb.252:                              ;   in Loop: Header=BB251_13 Depth=1
	v_and_b32_e32 v53, 0xffff, v1
	v_mov_b32_e32 v51, 0x7c010000
	s_mov_b32 s44, exec_lo
	s_delay_alu instid0(VALU_DEP_2) | instskip(NEXT) | instid1(VALU_DEP_1)
	v_and_b32_e32 v55, 0x7f, v53
	v_cmpx_ne_u32_e32 0x7f, v55
	s_cbranch_execz .LBB251_256
; %bb.253:                              ;   in Loop: Header=BB251_13 Depth=1
	v_and_b32_e32 v51, 7, v53
	v_lshrrev_b32_e32 v54, 3, v55
	s_mov_b32 s45, exec_lo
	v_cmpx_gt_u32_e32 8, v55
; %bb.254:                              ;   in Loop: Header=BB251_13 Depth=1
	s_delay_alu instid0(VALU_DEP_3) | instskip(NEXT) | instid1(VALU_DEP_1)
	v_clz_i32_u32_e32 v51, v51
	v_min_u32_e32 v51, 32, v51
	s_delay_alu instid0(VALU_DEP_1) | instskip(NEXT) | instid1(VALU_DEP_1)
	v_subrev_nc_u32_e32 v54, 28, v51
	v_lshlrev_b64_e32 v[55:56], v54, v[1:2]
	v_sub_nc_u32_e32 v54, 29, v51
	s_delay_alu instid0(VALU_DEP_2)
	v_and_b32_e32 v51, 7, v55
; %bb.255:                              ;   in Loop: Header=BB251_13 Depth=1
	s_or_b32 exec_lo, exec_lo, s45
	v_lshlrev_b32_e32 v1, 8, v53
	s_delay_alu instid0(VALU_DEP_3) | instskip(NEXT) | instid1(VALU_DEP_3)
	v_lshl_add_u32 v53, v54, 10, 0x2000
	v_lshlrev_b32_e32 v51, 23, v51
	s_delay_alu instid0(VALU_DEP_2) | instskip(NEXT) | instid1(VALU_DEP_1)
	v_and_or_b32 v1, 0x8000, v1, v53
	v_lshl_or_b32 v51, v1, 16, v51
.LBB251_256:                            ;   in Loop: Header=BB251_13 Depth=1
	s_or_b32 exec_lo, exec_lo, s44
.LBB251_257:                            ;   in Loop: Header=BB251_13 Depth=1
	s_wait_alu 0xfffe
	s_or_b32 exec_lo, exec_lo, s43
.LBB251_258:                            ;   in Loop: Header=BB251_13 Depth=1
	s_wait_alu 0xfffe
	s_or_b32 exec_lo, exec_lo, s42
	global_load_u16 v1, v[7:8], off offset:904
	s_wait_loadcnt 0x0
	v_dual_mov_b32 v53, 0 :: v_dual_and_b32 v54, 0xff, v1
	v_and_b32_e32 v1, 0xffff, v1
	s_delay_alu instid0(VALU_DEP_2)
	v_cmp_ne_u16_e64 s4, 0, v54
	v_mov_b32_e32 v54, 0
	s_and_saveexec_b32 s42, s4
	s_cbranch_execz .LBB251_266
; %bb.259:                              ;   in Loop: Header=BB251_13 Depth=1
	v_and_b32_e32 v54, 0xff, v1
	s_delay_alu instid0(VALU_DEP_1)
	v_cmp_ne_u16_e64 s4, 0x80, v54
	v_mov_b32_e32 v54, 0x8000
	s_and_saveexec_b32 s43, s4
	s_cbranch_execz .LBB251_265
; %bb.260:                              ;   in Loop: Header=BB251_13 Depth=1
	v_and_b32_e32 v56, 0x7f, v1
	v_mov_b32_e32 v54, 0x7c01
	s_mov_b32 s44, exec_lo
	s_delay_alu instid0(VALU_DEP_2)
	v_cmpx_ne_u32_e32 0x7f, v56
	s_cbranch_execz .LBB251_264
; %bb.261:                              ;   in Loop: Header=BB251_13 Depth=1
	v_and_b32_e32 v54, 7, v1
	v_lshrrev_b32_e32 v55, 3, v56
	s_mov_b32 s45, exec_lo
	v_cmpx_gt_u32_e32 8, v56
; %bb.262:                              ;   in Loop: Header=BB251_13 Depth=1
	s_delay_alu instid0(VALU_DEP_3) | instskip(NEXT) | instid1(VALU_DEP_1)
	v_clz_i32_u32_e32 v54, v54
	v_min_u32_e32 v56, 32, v54
	s_delay_alu instid0(VALU_DEP_1) | instskip(NEXT) | instid1(VALU_DEP_1)
	v_subrev_nc_u32_e32 v54, 28, v56
	v_lshlrev_b64_e32 v[54:55], v54, v[1:2]
	v_sub_nc_u32_e32 v55, 29, v56
	s_delay_alu instid0(VALU_DEP_2)
	v_and_b32_e32 v54, 7, v54
; %bb.263:                              ;   in Loop: Header=BB251_13 Depth=1
	s_or_b32 exec_lo, exec_lo, s45
	v_lshlrev_b32_e32 v56, 8, v1
	s_delay_alu instid0(VALU_DEP_3) | instskip(NEXT) | instid1(VALU_DEP_3)
	v_lshl_add_u32 v55, v55, 10, 0x2000
	v_lshlrev_b32_e32 v54, 7, v54
	s_delay_alu instid0(VALU_DEP_3) | instskip(NEXT) | instid1(VALU_DEP_3)
	v_and_b32_e32 v56, 0x8000, v56
	v_and_b32_e32 v55, 0xfc00, v55
	s_delay_alu instid0(VALU_DEP_1)
	v_or3_b32 v54, v56, v55, v54
.LBB251_264:                            ;   in Loop: Header=BB251_13 Depth=1
	s_or_b32 exec_lo, exec_lo, s44
.LBB251_265:                            ;   in Loop: Header=BB251_13 Depth=1
	s_wait_alu 0xfffe
	s_or_b32 exec_lo, exec_lo, s43
.LBB251_266:                            ;   in Loop: Header=BB251_13 Depth=1
	s_wait_alu 0xfffe
	s_or_b32 exec_lo, exec_lo, s42
	v_lshrrev_b16 v1, 8, v1
	s_mov_b32 s42, exec_lo
	s_delay_alu instid0(VALU_DEP_1)
	v_cmpx_ne_u16_e32 0, v1
	s_cbranch_execz .LBB251_274
; %bb.267:                              ;   in Loop: Header=BB251_13 Depth=1
	v_bfrev_b32_e32 v53, 1
	s_mov_b32 s43, exec_lo
	v_cmpx_ne_u16_e32 0x80, v1
	s_cbranch_execz .LBB251_273
; %bb.268:                              ;   in Loop: Header=BB251_13 Depth=1
	v_and_b32_e32 v55, 0xffff, v1
	v_mov_b32_e32 v53, 0x7c010000
	s_mov_b32 s44, exec_lo
	s_delay_alu instid0(VALU_DEP_2) | instskip(NEXT) | instid1(VALU_DEP_1)
	v_and_b32_e32 v57, 0x7f, v55
	v_cmpx_ne_u32_e32 0x7f, v57
	s_cbranch_execz .LBB251_272
; %bb.269:                              ;   in Loop: Header=BB251_13 Depth=1
	v_and_b32_e32 v53, 7, v55
	v_lshrrev_b32_e32 v56, 3, v57
	s_mov_b32 s45, exec_lo
	v_cmpx_gt_u32_e32 8, v57
; %bb.270:                              ;   in Loop: Header=BB251_13 Depth=1
	s_delay_alu instid0(VALU_DEP_3) | instskip(NEXT) | instid1(VALU_DEP_1)
	v_clz_i32_u32_e32 v53, v53
	v_min_u32_e32 v53, 32, v53
	s_delay_alu instid0(VALU_DEP_1) | instskip(NEXT) | instid1(VALU_DEP_1)
	v_subrev_nc_u32_e32 v56, 28, v53
	v_lshlrev_b64_e32 v[57:58], v56, v[1:2]
	v_sub_nc_u32_e32 v56, 29, v53
	s_delay_alu instid0(VALU_DEP_2)
	v_and_b32_e32 v53, 7, v57
; %bb.271:                              ;   in Loop: Header=BB251_13 Depth=1
	s_or_b32 exec_lo, exec_lo, s45
	v_lshlrev_b32_e32 v1, 8, v55
	s_delay_alu instid0(VALU_DEP_3) | instskip(NEXT) | instid1(VALU_DEP_3)
	v_lshl_add_u32 v55, v56, 10, 0x2000
	v_lshlrev_b32_e32 v53, 23, v53
	s_delay_alu instid0(VALU_DEP_2) | instskip(NEXT) | instid1(VALU_DEP_1)
	v_and_or_b32 v1, 0x8000, v1, v55
	v_lshl_or_b32 v53, v1, 16, v53
.LBB251_272:                            ;   in Loop: Header=BB251_13 Depth=1
	s_or_b32 exec_lo, exec_lo, s44
.LBB251_273:                            ;   in Loop: Header=BB251_13 Depth=1
	s_wait_alu 0xfffe
	s_or_b32 exec_lo, exec_lo, s43
.LBB251_274:                            ;   in Loop: Header=BB251_13 Depth=1
	s_wait_alu 0xfffe
	s_or_b32 exec_lo, exec_lo, s42
	global_load_u16 v1, v[7:8], off offset:1024
	s_wait_loadcnt 0x0
	v_dual_mov_b32 v55, 0 :: v_dual_and_b32 v56, 0xff, v1
	v_and_b32_e32 v1, 0xffff, v1
	s_delay_alu instid0(VALU_DEP_2)
	v_cmp_ne_u16_e64 s4, 0, v56
	v_mov_b32_e32 v56, 0
	s_and_saveexec_b32 s42, s4
	s_cbranch_execz .LBB251_282
; %bb.275:                              ;   in Loop: Header=BB251_13 Depth=1
	v_and_b32_e32 v56, 0xff, v1
	s_delay_alu instid0(VALU_DEP_1)
	v_cmp_ne_u16_e64 s4, 0x80, v56
	v_mov_b32_e32 v56, 0x8000
	s_and_saveexec_b32 s43, s4
	s_cbranch_execz .LBB251_281
; %bb.276:                              ;   in Loop: Header=BB251_13 Depth=1
	v_and_b32_e32 v58, 0x7f, v1
	v_mov_b32_e32 v56, 0x7c01
	s_mov_b32 s44, exec_lo
	s_delay_alu instid0(VALU_DEP_2)
	v_cmpx_ne_u32_e32 0x7f, v58
	s_cbranch_execz .LBB251_280
; %bb.277:                              ;   in Loop: Header=BB251_13 Depth=1
	v_and_b32_e32 v56, 7, v1
	v_lshrrev_b32_e32 v57, 3, v58
	s_mov_b32 s45, exec_lo
	v_cmpx_gt_u32_e32 8, v58
; %bb.278:                              ;   in Loop: Header=BB251_13 Depth=1
	s_delay_alu instid0(VALU_DEP_3) | instskip(NEXT) | instid1(VALU_DEP_1)
	v_clz_i32_u32_e32 v56, v56
	v_min_u32_e32 v58, 32, v56
	s_delay_alu instid0(VALU_DEP_1) | instskip(NEXT) | instid1(VALU_DEP_1)
	v_subrev_nc_u32_e32 v56, 28, v58
	v_lshlrev_b64_e32 v[56:57], v56, v[1:2]
	v_sub_nc_u32_e32 v57, 29, v58
	s_delay_alu instid0(VALU_DEP_2)
	v_and_b32_e32 v56, 7, v56
; %bb.279:                              ;   in Loop: Header=BB251_13 Depth=1
	s_or_b32 exec_lo, exec_lo, s45
	v_lshlrev_b32_e32 v58, 8, v1
	s_delay_alu instid0(VALU_DEP_3) | instskip(NEXT) | instid1(VALU_DEP_3)
	v_lshl_add_u32 v57, v57, 10, 0x2000
	v_lshlrev_b32_e32 v56, 7, v56
	s_delay_alu instid0(VALU_DEP_3) | instskip(NEXT) | instid1(VALU_DEP_3)
	v_and_b32_e32 v58, 0x8000, v58
	v_and_b32_e32 v57, 0xfc00, v57
	s_delay_alu instid0(VALU_DEP_1)
	v_or3_b32 v56, v58, v57, v56
.LBB251_280:                            ;   in Loop: Header=BB251_13 Depth=1
	s_or_b32 exec_lo, exec_lo, s44
.LBB251_281:                            ;   in Loop: Header=BB251_13 Depth=1
	s_wait_alu 0xfffe
	s_or_b32 exec_lo, exec_lo, s43
.LBB251_282:                            ;   in Loop: Header=BB251_13 Depth=1
	s_wait_alu 0xfffe
	s_or_b32 exec_lo, exec_lo, s42
	v_lshrrev_b16 v1, 8, v1
	s_mov_b32 s42, exec_lo
	s_delay_alu instid0(VALU_DEP_1)
	v_cmpx_ne_u16_e32 0, v1
	s_cbranch_execz .LBB251_290
; %bb.283:                              ;   in Loop: Header=BB251_13 Depth=1
	v_bfrev_b32_e32 v55, 1
	s_mov_b32 s43, exec_lo
	v_cmpx_ne_u16_e32 0x80, v1
	s_cbranch_execz .LBB251_289
; %bb.284:                              ;   in Loop: Header=BB251_13 Depth=1
	v_and_b32_e32 v57, 0xffff, v1
	v_mov_b32_e32 v55, 0x7c010000
	s_mov_b32 s44, exec_lo
	s_delay_alu instid0(VALU_DEP_2) | instskip(NEXT) | instid1(VALU_DEP_1)
	v_and_b32_e32 v59, 0x7f, v57
	v_cmpx_ne_u32_e32 0x7f, v59
	s_cbranch_execz .LBB251_288
; %bb.285:                              ;   in Loop: Header=BB251_13 Depth=1
	v_and_b32_e32 v55, 7, v57
	v_lshrrev_b32_e32 v58, 3, v59
	s_mov_b32 s45, exec_lo
	v_cmpx_gt_u32_e32 8, v59
; %bb.286:                              ;   in Loop: Header=BB251_13 Depth=1
	s_delay_alu instid0(VALU_DEP_3) | instskip(NEXT) | instid1(VALU_DEP_1)
	v_clz_i32_u32_e32 v55, v55
	v_min_u32_e32 v55, 32, v55
	s_delay_alu instid0(VALU_DEP_1) | instskip(NEXT) | instid1(VALU_DEP_1)
	v_subrev_nc_u32_e32 v58, 28, v55
	v_lshlrev_b64_e32 v[59:60], v58, v[1:2]
	v_sub_nc_u32_e32 v58, 29, v55
	s_delay_alu instid0(VALU_DEP_2)
	v_and_b32_e32 v55, 7, v59
; %bb.287:                              ;   in Loop: Header=BB251_13 Depth=1
	s_or_b32 exec_lo, exec_lo, s45
	v_lshlrev_b32_e32 v1, 8, v57
	s_delay_alu instid0(VALU_DEP_3) | instskip(NEXT) | instid1(VALU_DEP_3)
	v_lshl_add_u32 v57, v58, 10, 0x2000
	v_lshlrev_b32_e32 v55, 23, v55
	s_delay_alu instid0(VALU_DEP_2) | instskip(NEXT) | instid1(VALU_DEP_1)
	v_and_or_b32 v1, 0x8000, v1, v57
	v_lshl_or_b32 v55, v1, 16, v55
.LBB251_288:                            ;   in Loop: Header=BB251_13 Depth=1
	s_or_b32 exec_lo, exec_lo, s44
.LBB251_289:                            ;   in Loop: Header=BB251_13 Depth=1
	s_wait_alu 0xfffe
	s_or_b32 exec_lo, exec_lo, s43
.LBB251_290:                            ;   in Loop: Header=BB251_13 Depth=1
	s_wait_alu 0xfffe
	s_or_b32 exec_lo, exec_lo, s42
	global_load_u16 v1, v[7:8], off offset:1032
	s_wait_loadcnt 0x0
	v_dual_mov_b32 v57, 0 :: v_dual_and_b32 v58, 0xff, v1
	v_and_b32_e32 v1, 0xffff, v1
	s_delay_alu instid0(VALU_DEP_2)
	v_cmp_ne_u16_e64 s4, 0, v58
	v_mov_b32_e32 v58, 0
	s_and_saveexec_b32 s42, s4
	s_cbranch_execz .LBB251_298
; %bb.291:                              ;   in Loop: Header=BB251_13 Depth=1
	v_and_b32_e32 v58, 0xff, v1
	s_delay_alu instid0(VALU_DEP_1)
	v_cmp_ne_u16_e64 s4, 0x80, v58
	v_mov_b32_e32 v58, 0x8000
	s_and_saveexec_b32 s43, s4
	s_cbranch_execz .LBB251_297
; %bb.292:                              ;   in Loop: Header=BB251_13 Depth=1
	v_and_b32_e32 v60, 0x7f, v1
	v_mov_b32_e32 v58, 0x7c01
	s_mov_b32 s44, exec_lo
	s_delay_alu instid0(VALU_DEP_2)
	v_cmpx_ne_u32_e32 0x7f, v60
	s_cbranch_execz .LBB251_296
; %bb.293:                              ;   in Loop: Header=BB251_13 Depth=1
	v_and_b32_e32 v58, 7, v1
	v_lshrrev_b32_e32 v59, 3, v60
	s_mov_b32 s45, exec_lo
	v_cmpx_gt_u32_e32 8, v60
; %bb.294:                              ;   in Loop: Header=BB251_13 Depth=1
	s_delay_alu instid0(VALU_DEP_3) | instskip(NEXT) | instid1(VALU_DEP_1)
	v_clz_i32_u32_e32 v58, v58
	v_min_u32_e32 v60, 32, v58
	s_delay_alu instid0(VALU_DEP_1) | instskip(NEXT) | instid1(VALU_DEP_1)
	v_subrev_nc_u32_e32 v58, 28, v60
	v_lshlrev_b64_e32 v[58:59], v58, v[1:2]
	v_sub_nc_u32_e32 v59, 29, v60
	s_delay_alu instid0(VALU_DEP_2)
	v_and_b32_e32 v58, 7, v58
; %bb.295:                              ;   in Loop: Header=BB251_13 Depth=1
	s_or_b32 exec_lo, exec_lo, s45
	v_lshlrev_b32_e32 v60, 8, v1
	s_delay_alu instid0(VALU_DEP_3) | instskip(NEXT) | instid1(VALU_DEP_3)
	v_lshl_add_u32 v59, v59, 10, 0x2000
	v_lshlrev_b32_e32 v58, 7, v58
	s_delay_alu instid0(VALU_DEP_3) | instskip(NEXT) | instid1(VALU_DEP_3)
	v_and_b32_e32 v60, 0x8000, v60
	v_and_b32_e32 v59, 0xfc00, v59
	s_delay_alu instid0(VALU_DEP_1)
	v_or3_b32 v58, v60, v59, v58
.LBB251_296:                            ;   in Loop: Header=BB251_13 Depth=1
	s_or_b32 exec_lo, exec_lo, s44
.LBB251_297:                            ;   in Loop: Header=BB251_13 Depth=1
	s_wait_alu 0xfffe
	s_or_b32 exec_lo, exec_lo, s43
.LBB251_298:                            ;   in Loop: Header=BB251_13 Depth=1
	s_wait_alu 0xfffe
	s_or_b32 exec_lo, exec_lo, s42
	v_lshrrev_b16 v1, 8, v1
	s_mov_b32 s42, exec_lo
	s_delay_alu instid0(VALU_DEP_1)
	v_cmpx_ne_u16_e32 0, v1
	s_cbranch_execz .LBB251_306
; %bb.299:                              ;   in Loop: Header=BB251_13 Depth=1
	v_bfrev_b32_e32 v57, 1
	s_mov_b32 s43, exec_lo
	v_cmpx_ne_u16_e32 0x80, v1
	s_cbranch_execz .LBB251_305
; %bb.300:                              ;   in Loop: Header=BB251_13 Depth=1
	v_and_b32_e32 v59, 0xffff, v1
	v_mov_b32_e32 v57, 0x7c010000
	s_mov_b32 s44, exec_lo
	s_delay_alu instid0(VALU_DEP_2) | instskip(NEXT) | instid1(VALU_DEP_1)
	v_and_b32_e32 v61, 0x7f, v59
	v_cmpx_ne_u32_e32 0x7f, v61
	s_cbranch_execz .LBB251_304
; %bb.301:                              ;   in Loop: Header=BB251_13 Depth=1
	v_and_b32_e32 v57, 7, v59
	v_lshrrev_b32_e32 v60, 3, v61
	s_mov_b32 s45, exec_lo
	v_cmpx_gt_u32_e32 8, v61
; %bb.302:                              ;   in Loop: Header=BB251_13 Depth=1
	s_delay_alu instid0(VALU_DEP_3) | instskip(NEXT) | instid1(VALU_DEP_1)
	v_clz_i32_u32_e32 v57, v57
	v_min_u32_e32 v57, 32, v57
	s_delay_alu instid0(VALU_DEP_1) | instskip(NEXT) | instid1(VALU_DEP_1)
	v_subrev_nc_u32_e32 v60, 28, v57
	v_lshlrev_b64_e32 v[61:62], v60, v[1:2]
	v_sub_nc_u32_e32 v60, 29, v57
	s_delay_alu instid0(VALU_DEP_2)
	v_and_b32_e32 v57, 7, v61
; %bb.303:                              ;   in Loop: Header=BB251_13 Depth=1
	s_or_b32 exec_lo, exec_lo, s45
	v_lshlrev_b32_e32 v1, 8, v59
	s_delay_alu instid0(VALU_DEP_3) | instskip(NEXT) | instid1(VALU_DEP_3)
	v_lshl_add_u32 v59, v60, 10, 0x2000
	v_lshlrev_b32_e32 v57, 23, v57
	s_delay_alu instid0(VALU_DEP_2) | instskip(NEXT) | instid1(VALU_DEP_1)
	v_and_or_b32 v1, 0x8000, v1, v59
	v_lshl_or_b32 v57, v1, 16, v57
.LBB251_304:                            ;   in Loop: Header=BB251_13 Depth=1
	s_or_b32 exec_lo, exec_lo, s44
.LBB251_305:                            ;   in Loop: Header=BB251_13 Depth=1
	s_wait_alu 0xfffe
	s_or_b32 exec_lo, exec_lo, s43
.LBB251_306:                            ;   in Loop: Header=BB251_13 Depth=1
	s_wait_alu 0xfffe
	s_or_b32 exec_lo, exec_lo, s42
	global_load_u16 v1, v[7:8], off offset:1152
	s_wait_loadcnt 0x0
	v_dual_mov_b32 v59, 0 :: v_dual_and_b32 v60, 0xff, v1
	v_and_b32_e32 v1, 0xffff, v1
	s_delay_alu instid0(VALU_DEP_2)
	v_cmp_ne_u16_e64 s4, 0, v60
	v_mov_b32_e32 v60, 0
	s_and_saveexec_b32 s42, s4
	s_cbranch_execz .LBB251_314
; %bb.307:                              ;   in Loop: Header=BB251_13 Depth=1
	v_and_b32_e32 v60, 0xff, v1
	s_delay_alu instid0(VALU_DEP_1)
	v_cmp_ne_u16_e64 s4, 0x80, v60
	v_mov_b32_e32 v60, 0x8000
	s_and_saveexec_b32 s43, s4
	s_cbranch_execz .LBB251_313
; %bb.308:                              ;   in Loop: Header=BB251_13 Depth=1
	v_and_b32_e32 v62, 0x7f, v1
	v_mov_b32_e32 v60, 0x7c01
	s_mov_b32 s44, exec_lo
	s_delay_alu instid0(VALU_DEP_2)
	v_cmpx_ne_u32_e32 0x7f, v62
	s_cbranch_execz .LBB251_312
; %bb.309:                              ;   in Loop: Header=BB251_13 Depth=1
	v_and_b32_e32 v60, 7, v1
	v_lshrrev_b32_e32 v61, 3, v62
	s_mov_b32 s45, exec_lo
	v_cmpx_gt_u32_e32 8, v62
; %bb.310:                              ;   in Loop: Header=BB251_13 Depth=1
	s_delay_alu instid0(VALU_DEP_3) | instskip(NEXT) | instid1(VALU_DEP_1)
	v_clz_i32_u32_e32 v60, v60
	v_min_u32_e32 v62, 32, v60
	s_delay_alu instid0(VALU_DEP_1) | instskip(NEXT) | instid1(VALU_DEP_1)
	v_subrev_nc_u32_e32 v60, 28, v62
	v_lshlrev_b64_e32 v[60:61], v60, v[1:2]
	v_sub_nc_u32_e32 v61, 29, v62
	s_delay_alu instid0(VALU_DEP_2)
	v_and_b32_e32 v60, 7, v60
; %bb.311:                              ;   in Loop: Header=BB251_13 Depth=1
	s_or_b32 exec_lo, exec_lo, s45
	v_lshlrev_b32_e32 v62, 8, v1
	s_delay_alu instid0(VALU_DEP_3) | instskip(NEXT) | instid1(VALU_DEP_3)
	v_lshl_add_u32 v61, v61, 10, 0x2000
	v_lshlrev_b32_e32 v60, 7, v60
	s_delay_alu instid0(VALU_DEP_3) | instskip(NEXT) | instid1(VALU_DEP_3)
	v_and_b32_e32 v62, 0x8000, v62
	v_and_b32_e32 v61, 0xfc00, v61
	s_delay_alu instid0(VALU_DEP_1)
	v_or3_b32 v60, v62, v61, v60
.LBB251_312:                            ;   in Loop: Header=BB251_13 Depth=1
	s_or_b32 exec_lo, exec_lo, s44
.LBB251_313:                            ;   in Loop: Header=BB251_13 Depth=1
	s_wait_alu 0xfffe
	s_or_b32 exec_lo, exec_lo, s43
.LBB251_314:                            ;   in Loop: Header=BB251_13 Depth=1
	s_wait_alu 0xfffe
	s_or_b32 exec_lo, exec_lo, s42
	v_lshrrev_b16 v1, 8, v1
	s_mov_b32 s42, exec_lo
	s_delay_alu instid0(VALU_DEP_1)
	v_cmpx_ne_u16_e32 0, v1
	s_cbranch_execz .LBB251_322
; %bb.315:                              ;   in Loop: Header=BB251_13 Depth=1
	v_bfrev_b32_e32 v59, 1
	s_mov_b32 s43, exec_lo
	v_cmpx_ne_u16_e32 0x80, v1
	s_cbranch_execz .LBB251_321
; %bb.316:                              ;   in Loop: Header=BB251_13 Depth=1
	v_and_b32_e32 v61, 0xffff, v1
	v_mov_b32_e32 v59, 0x7c010000
	s_mov_b32 s44, exec_lo
	s_delay_alu instid0(VALU_DEP_2) | instskip(NEXT) | instid1(VALU_DEP_1)
	v_and_b32_e32 v63, 0x7f, v61
	v_cmpx_ne_u32_e32 0x7f, v63
	s_cbranch_execz .LBB251_320
; %bb.317:                              ;   in Loop: Header=BB251_13 Depth=1
	v_and_b32_e32 v59, 7, v61
	v_lshrrev_b32_e32 v62, 3, v63
	s_mov_b32 s45, exec_lo
	v_cmpx_gt_u32_e32 8, v63
; %bb.318:                              ;   in Loop: Header=BB251_13 Depth=1
	s_delay_alu instid0(VALU_DEP_3) | instskip(NEXT) | instid1(VALU_DEP_1)
	v_clz_i32_u32_e32 v59, v59
	v_min_u32_e32 v59, 32, v59
	s_delay_alu instid0(VALU_DEP_1) | instskip(NEXT) | instid1(VALU_DEP_1)
	v_subrev_nc_u32_e32 v62, 28, v59
	v_lshlrev_b64_e32 v[63:64], v62, v[1:2]
	v_sub_nc_u32_e32 v62, 29, v59
	s_delay_alu instid0(VALU_DEP_2)
	v_and_b32_e32 v59, 7, v63
; %bb.319:                              ;   in Loop: Header=BB251_13 Depth=1
	s_or_b32 exec_lo, exec_lo, s45
	v_lshlrev_b32_e32 v1, 8, v61
	s_delay_alu instid0(VALU_DEP_3) | instskip(NEXT) | instid1(VALU_DEP_3)
	v_lshl_add_u32 v61, v62, 10, 0x2000
	v_lshlrev_b32_e32 v59, 23, v59
	s_delay_alu instid0(VALU_DEP_2) | instskip(NEXT) | instid1(VALU_DEP_1)
	v_and_or_b32 v1, 0x8000, v1, v61
	v_lshl_or_b32 v59, v1, 16, v59
.LBB251_320:                            ;   in Loop: Header=BB251_13 Depth=1
	s_or_b32 exec_lo, exec_lo, s44
.LBB251_321:                            ;   in Loop: Header=BB251_13 Depth=1
	s_wait_alu 0xfffe
	s_or_b32 exec_lo, exec_lo, s43
.LBB251_322:                            ;   in Loop: Header=BB251_13 Depth=1
	s_wait_alu 0xfffe
	s_or_b32 exec_lo, exec_lo, s42
	global_load_u16 v1, v[7:8], off offset:1160
	s_wait_loadcnt 0x0
	v_dual_mov_b32 v61, 0 :: v_dual_and_b32 v62, 0xff, v1
	v_and_b32_e32 v1, 0xffff, v1
	s_delay_alu instid0(VALU_DEP_2)
	v_cmp_ne_u16_e64 s4, 0, v62
	v_mov_b32_e32 v62, 0
	s_and_saveexec_b32 s42, s4
	s_cbranch_execz .LBB251_330
; %bb.323:                              ;   in Loop: Header=BB251_13 Depth=1
	v_and_b32_e32 v62, 0xff, v1
	s_delay_alu instid0(VALU_DEP_1)
	v_cmp_ne_u16_e64 s4, 0x80, v62
	v_mov_b32_e32 v62, 0x8000
	s_and_saveexec_b32 s43, s4
	s_cbranch_execz .LBB251_329
; %bb.324:                              ;   in Loop: Header=BB251_13 Depth=1
	v_and_b32_e32 v64, 0x7f, v1
	v_mov_b32_e32 v62, 0x7c01
	s_mov_b32 s44, exec_lo
	s_delay_alu instid0(VALU_DEP_2)
	v_cmpx_ne_u32_e32 0x7f, v64
	s_cbranch_execz .LBB251_328
; %bb.325:                              ;   in Loop: Header=BB251_13 Depth=1
	v_and_b32_e32 v62, 7, v1
	v_lshrrev_b32_e32 v63, 3, v64
	s_mov_b32 s45, exec_lo
	v_cmpx_gt_u32_e32 8, v64
; %bb.326:                              ;   in Loop: Header=BB251_13 Depth=1
	s_delay_alu instid0(VALU_DEP_3) | instskip(NEXT) | instid1(VALU_DEP_1)
	v_clz_i32_u32_e32 v62, v62
	v_min_u32_e32 v64, 32, v62
	s_delay_alu instid0(VALU_DEP_1) | instskip(NEXT) | instid1(VALU_DEP_1)
	v_subrev_nc_u32_e32 v62, 28, v64
	v_lshlrev_b64_e32 v[62:63], v62, v[1:2]
	v_sub_nc_u32_e32 v63, 29, v64
	s_delay_alu instid0(VALU_DEP_2)
	v_and_b32_e32 v62, 7, v62
; %bb.327:                              ;   in Loop: Header=BB251_13 Depth=1
	s_or_b32 exec_lo, exec_lo, s45
	v_lshlrev_b32_e32 v64, 8, v1
	s_delay_alu instid0(VALU_DEP_3) | instskip(NEXT) | instid1(VALU_DEP_3)
	v_lshl_add_u32 v63, v63, 10, 0x2000
	v_lshlrev_b32_e32 v62, 7, v62
	s_delay_alu instid0(VALU_DEP_3) | instskip(NEXT) | instid1(VALU_DEP_3)
	v_and_b32_e32 v64, 0x8000, v64
	v_and_b32_e32 v63, 0xfc00, v63
	s_delay_alu instid0(VALU_DEP_1)
	v_or3_b32 v62, v64, v63, v62
.LBB251_328:                            ;   in Loop: Header=BB251_13 Depth=1
	s_or_b32 exec_lo, exec_lo, s44
.LBB251_329:                            ;   in Loop: Header=BB251_13 Depth=1
	s_wait_alu 0xfffe
	s_or_b32 exec_lo, exec_lo, s43
.LBB251_330:                            ;   in Loop: Header=BB251_13 Depth=1
	s_wait_alu 0xfffe
	s_or_b32 exec_lo, exec_lo, s42
	v_lshrrev_b16 v1, 8, v1
	s_mov_b32 s42, exec_lo
	s_delay_alu instid0(VALU_DEP_1)
	v_cmpx_ne_u16_e32 0, v1
	s_cbranch_execz .LBB251_338
; %bb.331:                              ;   in Loop: Header=BB251_13 Depth=1
	v_bfrev_b32_e32 v61, 1
	s_mov_b32 s43, exec_lo
	v_cmpx_ne_u16_e32 0x80, v1
	s_cbranch_execz .LBB251_337
; %bb.332:                              ;   in Loop: Header=BB251_13 Depth=1
	v_and_b32_e32 v63, 0xffff, v1
	v_mov_b32_e32 v61, 0x7c010000
	s_mov_b32 s44, exec_lo
	s_delay_alu instid0(VALU_DEP_2) | instskip(NEXT) | instid1(VALU_DEP_1)
	v_and_b32_e32 v65, 0x7f, v63
	v_cmpx_ne_u32_e32 0x7f, v65
	s_cbranch_execz .LBB251_336
; %bb.333:                              ;   in Loop: Header=BB251_13 Depth=1
	v_and_b32_e32 v61, 7, v63
	v_lshrrev_b32_e32 v64, 3, v65
	s_mov_b32 s45, exec_lo
	v_cmpx_gt_u32_e32 8, v65
; %bb.334:                              ;   in Loop: Header=BB251_13 Depth=1
	s_delay_alu instid0(VALU_DEP_3) | instskip(NEXT) | instid1(VALU_DEP_1)
	v_clz_i32_u32_e32 v61, v61
	v_min_u32_e32 v61, 32, v61
	s_delay_alu instid0(VALU_DEP_1) | instskip(NEXT) | instid1(VALU_DEP_1)
	v_subrev_nc_u32_e32 v64, 28, v61
	v_lshlrev_b64_e32 v[65:66], v64, v[1:2]
	v_sub_nc_u32_e32 v64, 29, v61
	s_delay_alu instid0(VALU_DEP_2)
	v_and_b32_e32 v61, 7, v65
; %bb.335:                              ;   in Loop: Header=BB251_13 Depth=1
	s_or_b32 exec_lo, exec_lo, s45
	v_lshlrev_b32_e32 v1, 8, v63
	s_delay_alu instid0(VALU_DEP_3) | instskip(NEXT) | instid1(VALU_DEP_3)
	v_lshl_add_u32 v63, v64, 10, 0x2000
	v_lshlrev_b32_e32 v61, 23, v61
	s_delay_alu instid0(VALU_DEP_2) | instskip(NEXT) | instid1(VALU_DEP_1)
	v_and_or_b32 v1, 0x8000, v1, v63
	v_lshl_or_b32 v61, v1, 16, v61
.LBB251_336:                            ;   in Loop: Header=BB251_13 Depth=1
	s_or_b32 exec_lo, exec_lo, s44
.LBB251_337:                            ;   in Loop: Header=BB251_13 Depth=1
	s_wait_alu 0xfffe
	s_or_b32 exec_lo, exec_lo, s43
.LBB251_338:                            ;   in Loop: Header=BB251_13 Depth=1
	s_wait_alu 0xfffe
	s_or_b32 exec_lo, exec_lo, s42
	global_load_u16 v1, v[7:8], off offset:1280
	s_wait_loadcnt 0x0
	v_dual_mov_b32 v63, 0 :: v_dual_and_b32 v64, 0xff, v1
	v_and_b32_e32 v1, 0xffff, v1
	s_delay_alu instid0(VALU_DEP_2)
	v_cmp_ne_u16_e64 s4, 0, v64
	v_mov_b32_e32 v64, 0
	s_and_saveexec_b32 s42, s4
	s_cbranch_execz .LBB251_346
; %bb.339:                              ;   in Loop: Header=BB251_13 Depth=1
	v_and_b32_e32 v64, 0xff, v1
	s_delay_alu instid0(VALU_DEP_1)
	v_cmp_ne_u16_e64 s4, 0x80, v64
	v_mov_b32_e32 v64, 0x8000
	s_and_saveexec_b32 s43, s4
	s_cbranch_execz .LBB251_345
; %bb.340:                              ;   in Loop: Header=BB251_13 Depth=1
	v_and_b32_e32 v66, 0x7f, v1
	v_mov_b32_e32 v64, 0x7c01
	s_mov_b32 s44, exec_lo
	s_delay_alu instid0(VALU_DEP_2)
	v_cmpx_ne_u32_e32 0x7f, v66
	s_cbranch_execz .LBB251_344
; %bb.341:                              ;   in Loop: Header=BB251_13 Depth=1
	v_and_b32_e32 v64, 7, v1
	v_lshrrev_b32_e32 v65, 3, v66
	s_mov_b32 s45, exec_lo
	v_cmpx_gt_u32_e32 8, v66
; %bb.342:                              ;   in Loop: Header=BB251_13 Depth=1
	s_delay_alu instid0(VALU_DEP_3) | instskip(NEXT) | instid1(VALU_DEP_1)
	v_clz_i32_u32_e32 v64, v64
	v_min_u32_e32 v66, 32, v64
	s_delay_alu instid0(VALU_DEP_1) | instskip(NEXT) | instid1(VALU_DEP_1)
	v_subrev_nc_u32_e32 v64, 28, v66
	v_lshlrev_b64_e32 v[64:65], v64, v[1:2]
	v_sub_nc_u32_e32 v65, 29, v66
	s_delay_alu instid0(VALU_DEP_2)
	v_and_b32_e32 v64, 7, v64
; %bb.343:                              ;   in Loop: Header=BB251_13 Depth=1
	s_or_b32 exec_lo, exec_lo, s45
	v_lshlrev_b32_e32 v66, 8, v1
	s_delay_alu instid0(VALU_DEP_3) | instskip(NEXT) | instid1(VALU_DEP_3)
	v_lshl_add_u32 v65, v65, 10, 0x2000
	v_lshlrev_b32_e32 v64, 7, v64
	s_delay_alu instid0(VALU_DEP_3) | instskip(NEXT) | instid1(VALU_DEP_3)
	v_and_b32_e32 v66, 0x8000, v66
	v_and_b32_e32 v65, 0xfc00, v65
	s_delay_alu instid0(VALU_DEP_1)
	v_or3_b32 v64, v66, v65, v64
.LBB251_344:                            ;   in Loop: Header=BB251_13 Depth=1
	s_or_b32 exec_lo, exec_lo, s44
.LBB251_345:                            ;   in Loop: Header=BB251_13 Depth=1
	s_wait_alu 0xfffe
	s_or_b32 exec_lo, exec_lo, s43
.LBB251_346:                            ;   in Loop: Header=BB251_13 Depth=1
	s_wait_alu 0xfffe
	s_or_b32 exec_lo, exec_lo, s42
	v_lshrrev_b16 v1, 8, v1
	s_mov_b32 s42, exec_lo
	s_delay_alu instid0(VALU_DEP_1)
	v_cmpx_ne_u16_e32 0, v1
	s_cbranch_execz .LBB251_354
; %bb.347:                              ;   in Loop: Header=BB251_13 Depth=1
	v_bfrev_b32_e32 v63, 1
	s_mov_b32 s43, exec_lo
	v_cmpx_ne_u16_e32 0x80, v1
	s_cbranch_execz .LBB251_353
; %bb.348:                              ;   in Loop: Header=BB251_13 Depth=1
	v_and_b32_e32 v65, 0xffff, v1
	v_mov_b32_e32 v63, 0x7c010000
	s_mov_b32 s44, exec_lo
	s_delay_alu instid0(VALU_DEP_2) | instskip(NEXT) | instid1(VALU_DEP_1)
	v_and_b32_e32 v67, 0x7f, v65
	v_cmpx_ne_u32_e32 0x7f, v67
	s_cbranch_execz .LBB251_352
; %bb.349:                              ;   in Loop: Header=BB251_13 Depth=1
	v_and_b32_e32 v63, 7, v65
	v_lshrrev_b32_e32 v66, 3, v67
	s_mov_b32 s45, exec_lo
	v_cmpx_gt_u32_e32 8, v67
; %bb.350:                              ;   in Loop: Header=BB251_13 Depth=1
	s_delay_alu instid0(VALU_DEP_3) | instskip(NEXT) | instid1(VALU_DEP_1)
	v_clz_i32_u32_e32 v63, v63
	v_min_u32_e32 v63, 32, v63
	s_delay_alu instid0(VALU_DEP_1) | instskip(NEXT) | instid1(VALU_DEP_1)
	v_subrev_nc_u32_e32 v66, 28, v63
	v_lshlrev_b64_e32 v[67:68], v66, v[1:2]
	v_sub_nc_u32_e32 v66, 29, v63
	s_delay_alu instid0(VALU_DEP_2)
	v_and_b32_e32 v63, 7, v67
; %bb.351:                              ;   in Loop: Header=BB251_13 Depth=1
	s_or_b32 exec_lo, exec_lo, s45
	v_lshlrev_b32_e32 v1, 8, v65
	s_delay_alu instid0(VALU_DEP_3) | instskip(NEXT) | instid1(VALU_DEP_3)
	v_lshl_add_u32 v65, v66, 10, 0x2000
	v_lshlrev_b32_e32 v63, 23, v63
	s_delay_alu instid0(VALU_DEP_2) | instskip(NEXT) | instid1(VALU_DEP_1)
	v_and_or_b32 v1, 0x8000, v1, v65
	v_lshl_or_b32 v63, v1, 16, v63
.LBB251_352:                            ;   in Loop: Header=BB251_13 Depth=1
	s_or_b32 exec_lo, exec_lo, s44
.LBB251_353:                            ;   in Loop: Header=BB251_13 Depth=1
	s_wait_alu 0xfffe
	s_or_b32 exec_lo, exec_lo, s43
.LBB251_354:                            ;   in Loop: Header=BB251_13 Depth=1
	s_wait_alu 0xfffe
	s_or_b32 exec_lo, exec_lo, s42
	global_load_u16 v1, v[7:8], off offset:1288
	s_wait_loadcnt 0x0
	v_dual_mov_b32 v65, 0 :: v_dual_and_b32 v66, 0xff, v1
	v_and_b32_e32 v1, 0xffff, v1
	s_delay_alu instid0(VALU_DEP_2)
	v_cmp_ne_u16_e64 s4, 0, v66
	v_mov_b32_e32 v66, 0
	s_and_saveexec_b32 s42, s4
	s_cbranch_execz .LBB251_362
; %bb.355:                              ;   in Loop: Header=BB251_13 Depth=1
	v_and_b32_e32 v66, 0xff, v1
	s_delay_alu instid0(VALU_DEP_1)
	v_cmp_ne_u16_e64 s4, 0x80, v66
	v_mov_b32_e32 v66, 0x8000
	s_and_saveexec_b32 s43, s4
	s_cbranch_execz .LBB251_361
; %bb.356:                              ;   in Loop: Header=BB251_13 Depth=1
	v_and_b32_e32 v68, 0x7f, v1
	v_mov_b32_e32 v66, 0x7c01
	s_mov_b32 s44, exec_lo
	s_delay_alu instid0(VALU_DEP_2)
	v_cmpx_ne_u32_e32 0x7f, v68
	s_cbranch_execz .LBB251_360
; %bb.357:                              ;   in Loop: Header=BB251_13 Depth=1
	v_and_b32_e32 v66, 7, v1
	v_lshrrev_b32_e32 v67, 3, v68
	s_mov_b32 s45, exec_lo
	v_cmpx_gt_u32_e32 8, v68
; %bb.358:                              ;   in Loop: Header=BB251_13 Depth=1
	s_delay_alu instid0(VALU_DEP_3) | instskip(NEXT) | instid1(VALU_DEP_1)
	v_clz_i32_u32_e32 v66, v66
	v_min_u32_e32 v68, 32, v66
	s_delay_alu instid0(VALU_DEP_1) | instskip(NEXT) | instid1(VALU_DEP_1)
	v_subrev_nc_u32_e32 v66, 28, v68
	v_lshlrev_b64_e32 v[66:67], v66, v[1:2]
	v_sub_nc_u32_e32 v67, 29, v68
	s_delay_alu instid0(VALU_DEP_2)
	v_and_b32_e32 v66, 7, v66
; %bb.359:                              ;   in Loop: Header=BB251_13 Depth=1
	s_or_b32 exec_lo, exec_lo, s45
	v_lshlrev_b32_e32 v68, 8, v1
	s_delay_alu instid0(VALU_DEP_3) | instskip(NEXT) | instid1(VALU_DEP_3)
	v_lshl_add_u32 v67, v67, 10, 0x2000
	v_lshlrev_b32_e32 v66, 7, v66
	s_delay_alu instid0(VALU_DEP_3) | instskip(NEXT) | instid1(VALU_DEP_3)
	v_and_b32_e32 v68, 0x8000, v68
	v_and_b32_e32 v67, 0xfc00, v67
	s_delay_alu instid0(VALU_DEP_1)
	v_or3_b32 v66, v68, v67, v66
.LBB251_360:                            ;   in Loop: Header=BB251_13 Depth=1
	s_or_b32 exec_lo, exec_lo, s44
.LBB251_361:                            ;   in Loop: Header=BB251_13 Depth=1
	s_wait_alu 0xfffe
	s_or_b32 exec_lo, exec_lo, s43
.LBB251_362:                            ;   in Loop: Header=BB251_13 Depth=1
	s_wait_alu 0xfffe
	s_or_b32 exec_lo, exec_lo, s42
	v_lshrrev_b16 v1, 8, v1
	s_mov_b32 s42, exec_lo
	s_delay_alu instid0(VALU_DEP_1)
	v_cmpx_ne_u16_e32 0, v1
	s_cbranch_execz .LBB251_370
; %bb.363:                              ;   in Loop: Header=BB251_13 Depth=1
	v_bfrev_b32_e32 v65, 1
	s_mov_b32 s43, exec_lo
	v_cmpx_ne_u16_e32 0x80, v1
	s_cbranch_execz .LBB251_369
; %bb.364:                              ;   in Loop: Header=BB251_13 Depth=1
	v_and_b32_e32 v67, 0xffff, v1
	v_mov_b32_e32 v65, 0x7c010000
	s_mov_b32 s44, exec_lo
	s_delay_alu instid0(VALU_DEP_2) | instskip(NEXT) | instid1(VALU_DEP_1)
	v_and_b32_e32 v69, 0x7f, v67
	v_cmpx_ne_u32_e32 0x7f, v69
	s_cbranch_execz .LBB251_368
; %bb.365:                              ;   in Loop: Header=BB251_13 Depth=1
	v_and_b32_e32 v65, 7, v67
	v_lshrrev_b32_e32 v68, 3, v69
	s_mov_b32 s45, exec_lo
	v_cmpx_gt_u32_e32 8, v69
; %bb.366:                              ;   in Loop: Header=BB251_13 Depth=1
	s_delay_alu instid0(VALU_DEP_3) | instskip(NEXT) | instid1(VALU_DEP_1)
	v_clz_i32_u32_e32 v65, v65
	v_min_u32_e32 v65, 32, v65
	s_delay_alu instid0(VALU_DEP_1) | instskip(NEXT) | instid1(VALU_DEP_1)
	v_subrev_nc_u32_e32 v68, 28, v65
	v_lshlrev_b64_e32 v[69:70], v68, v[1:2]
	v_sub_nc_u32_e32 v68, 29, v65
	s_delay_alu instid0(VALU_DEP_2)
	v_and_b32_e32 v65, 7, v69
; %bb.367:                              ;   in Loop: Header=BB251_13 Depth=1
	s_or_b32 exec_lo, exec_lo, s45
	v_lshlrev_b32_e32 v1, 8, v67
	s_delay_alu instid0(VALU_DEP_3) | instskip(NEXT) | instid1(VALU_DEP_3)
	v_lshl_add_u32 v67, v68, 10, 0x2000
	v_lshlrev_b32_e32 v65, 23, v65
	s_delay_alu instid0(VALU_DEP_2) | instskip(NEXT) | instid1(VALU_DEP_1)
	v_and_or_b32 v1, 0x8000, v1, v67
	v_lshl_or_b32 v65, v1, 16, v65
.LBB251_368:                            ;   in Loop: Header=BB251_13 Depth=1
	s_or_b32 exec_lo, exec_lo, s44
.LBB251_369:                            ;   in Loop: Header=BB251_13 Depth=1
	s_wait_alu 0xfffe
	s_or_b32 exec_lo, exec_lo, s43
.LBB251_370:                            ;   in Loop: Header=BB251_13 Depth=1
	s_wait_alu 0xfffe
	s_or_b32 exec_lo, exec_lo, s42
	global_load_u16 v1, v[7:8], off offset:1408
	s_wait_loadcnt 0x0
	v_dual_mov_b32 v67, 0 :: v_dual_and_b32 v68, 0xff, v1
	v_and_b32_e32 v1, 0xffff, v1
	s_delay_alu instid0(VALU_DEP_2)
	v_cmp_ne_u16_e64 s4, 0, v68
	v_mov_b32_e32 v68, 0
	s_and_saveexec_b32 s42, s4
	s_cbranch_execz .LBB251_378
; %bb.371:                              ;   in Loop: Header=BB251_13 Depth=1
	v_and_b32_e32 v68, 0xff, v1
	s_delay_alu instid0(VALU_DEP_1)
	v_cmp_ne_u16_e64 s4, 0x80, v68
	v_mov_b32_e32 v68, 0x8000
	s_and_saveexec_b32 s43, s4
	s_cbranch_execz .LBB251_377
; %bb.372:                              ;   in Loop: Header=BB251_13 Depth=1
	v_and_b32_e32 v70, 0x7f, v1
	v_mov_b32_e32 v68, 0x7c01
	s_mov_b32 s44, exec_lo
	s_delay_alu instid0(VALU_DEP_2)
	v_cmpx_ne_u32_e32 0x7f, v70
	s_cbranch_execz .LBB251_376
; %bb.373:                              ;   in Loop: Header=BB251_13 Depth=1
	v_and_b32_e32 v68, 7, v1
	v_lshrrev_b32_e32 v69, 3, v70
	s_mov_b32 s45, exec_lo
	v_cmpx_gt_u32_e32 8, v70
; %bb.374:                              ;   in Loop: Header=BB251_13 Depth=1
	s_delay_alu instid0(VALU_DEP_3) | instskip(NEXT) | instid1(VALU_DEP_1)
	v_clz_i32_u32_e32 v68, v68
	v_min_u32_e32 v70, 32, v68
	s_delay_alu instid0(VALU_DEP_1) | instskip(NEXT) | instid1(VALU_DEP_1)
	v_subrev_nc_u32_e32 v68, 28, v70
	v_lshlrev_b64_e32 v[68:69], v68, v[1:2]
	v_sub_nc_u32_e32 v69, 29, v70
	s_delay_alu instid0(VALU_DEP_2)
	v_and_b32_e32 v68, 7, v68
; %bb.375:                              ;   in Loop: Header=BB251_13 Depth=1
	s_or_b32 exec_lo, exec_lo, s45
	v_lshlrev_b32_e32 v70, 8, v1
	s_delay_alu instid0(VALU_DEP_3) | instskip(NEXT) | instid1(VALU_DEP_3)
	v_lshl_add_u32 v69, v69, 10, 0x2000
	v_lshlrev_b32_e32 v68, 7, v68
	s_delay_alu instid0(VALU_DEP_3) | instskip(NEXT) | instid1(VALU_DEP_3)
	v_and_b32_e32 v70, 0x8000, v70
	v_and_b32_e32 v69, 0xfc00, v69
	s_delay_alu instid0(VALU_DEP_1)
	v_or3_b32 v68, v70, v69, v68
.LBB251_376:                            ;   in Loop: Header=BB251_13 Depth=1
	s_or_b32 exec_lo, exec_lo, s44
.LBB251_377:                            ;   in Loop: Header=BB251_13 Depth=1
	s_wait_alu 0xfffe
	s_or_b32 exec_lo, exec_lo, s43
.LBB251_378:                            ;   in Loop: Header=BB251_13 Depth=1
	s_wait_alu 0xfffe
	s_or_b32 exec_lo, exec_lo, s42
	v_lshrrev_b16 v1, 8, v1
	s_mov_b32 s42, exec_lo
	s_delay_alu instid0(VALU_DEP_1)
	v_cmpx_ne_u16_e32 0, v1
	s_cbranch_execz .LBB251_386
; %bb.379:                              ;   in Loop: Header=BB251_13 Depth=1
	v_bfrev_b32_e32 v67, 1
	s_mov_b32 s43, exec_lo
	v_cmpx_ne_u16_e32 0x80, v1
	s_cbranch_execz .LBB251_385
; %bb.380:                              ;   in Loop: Header=BB251_13 Depth=1
	v_and_b32_e32 v69, 0xffff, v1
	v_mov_b32_e32 v67, 0x7c010000
	s_mov_b32 s44, exec_lo
	s_delay_alu instid0(VALU_DEP_2) | instskip(NEXT) | instid1(VALU_DEP_1)
	v_and_b32_e32 v71, 0x7f, v69
	v_cmpx_ne_u32_e32 0x7f, v71
	s_cbranch_execz .LBB251_384
; %bb.381:                              ;   in Loop: Header=BB251_13 Depth=1
	v_and_b32_e32 v67, 7, v69
	v_lshrrev_b32_e32 v70, 3, v71
	s_mov_b32 s45, exec_lo
	v_cmpx_gt_u32_e32 8, v71
; %bb.382:                              ;   in Loop: Header=BB251_13 Depth=1
	s_delay_alu instid0(VALU_DEP_3) | instskip(NEXT) | instid1(VALU_DEP_1)
	v_clz_i32_u32_e32 v67, v67
	v_min_u32_e32 v67, 32, v67
	s_delay_alu instid0(VALU_DEP_1) | instskip(NEXT) | instid1(VALU_DEP_1)
	v_subrev_nc_u32_e32 v70, 28, v67
	v_lshlrev_b64_e32 v[71:72], v70, v[1:2]
	v_sub_nc_u32_e32 v70, 29, v67
	s_delay_alu instid0(VALU_DEP_2)
	v_and_b32_e32 v67, 7, v71
; %bb.383:                              ;   in Loop: Header=BB251_13 Depth=1
	s_or_b32 exec_lo, exec_lo, s45
	v_lshlrev_b32_e32 v1, 8, v69
	s_delay_alu instid0(VALU_DEP_3) | instskip(NEXT) | instid1(VALU_DEP_3)
	v_lshl_add_u32 v69, v70, 10, 0x2000
	v_lshlrev_b32_e32 v67, 23, v67
	s_delay_alu instid0(VALU_DEP_2) | instskip(NEXT) | instid1(VALU_DEP_1)
	v_and_or_b32 v1, 0x8000, v1, v69
	v_lshl_or_b32 v67, v1, 16, v67
.LBB251_384:                            ;   in Loop: Header=BB251_13 Depth=1
	s_or_b32 exec_lo, exec_lo, s44
.LBB251_385:                            ;   in Loop: Header=BB251_13 Depth=1
	s_wait_alu 0xfffe
	s_or_b32 exec_lo, exec_lo, s43
.LBB251_386:                            ;   in Loop: Header=BB251_13 Depth=1
	s_wait_alu 0xfffe
	s_or_b32 exec_lo, exec_lo, s42
	global_load_u16 v1, v[7:8], off offset:1416
	s_wait_loadcnt 0x0
	v_dual_mov_b32 v69, 0 :: v_dual_and_b32 v70, 0xff, v1
	v_and_b32_e32 v1, 0xffff, v1
	s_delay_alu instid0(VALU_DEP_2)
	v_cmp_ne_u16_e64 s4, 0, v70
	v_mov_b32_e32 v70, 0
	s_and_saveexec_b32 s42, s4
	s_cbranch_execz .LBB251_394
; %bb.387:                              ;   in Loop: Header=BB251_13 Depth=1
	v_and_b32_e32 v70, 0xff, v1
	s_delay_alu instid0(VALU_DEP_1)
	v_cmp_ne_u16_e64 s4, 0x80, v70
	v_mov_b32_e32 v70, 0x8000
	s_and_saveexec_b32 s43, s4
	s_cbranch_execz .LBB251_393
; %bb.388:                              ;   in Loop: Header=BB251_13 Depth=1
	v_and_b32_e32 v72, 0x7f, v1
	v_mov_b32_e32 v70, 0x7c01
	s_mov_b32 s44, exec_lo
	s_delay_alu instid0(VALU_DEP_2)
	v_cmpx_ne_u32_e32 0x7f, v72
	s_cbranch_execz .LBB251_392
; %bb.389:                              ;   in Loop: Header=BB251_13 Depth=1
	v_and_b32_e32 v70, 7, v1
	v_lshrrev_b32_e32 v71, 3, v72
	s_mov_b32 s45, exec_lo
	v_cmpx_gt_u32_e32 8, v72
; %bb.390:                              ;   in Loop: Header=BB251_13 Depth=1
	s_delay_alu instid0(VALU_DEP_3) | instskip(NEXT) | instid1(VALU_DEP_1)
	v_clz_i32_u32_e32 v70, v70
	v_min_u32_e32 v72, 32, v70
	s_delay_alu instid0(VALU_DEP_1) | instskip(NEXT) | instid1(VALU_DEP_1)
	v_subrev_nc_u32_e32 v70, 28, v72
	v_lshlrev_b64_e32 v[70:71], v70, v[1:2]
	v_sub_nc_u32_e32 v71, 29, v72
	s_delay_alu instid0(VALU_DEP_2)
	v_and_b32_e32 v70, 7, v70
; %bb.391:                              ;   in Loop: Header=BB251_13 Depth=1
	s_or_b32 exec_lo, exec_lo, s45
	v_lshlrev_b32_e32 v72, 8, v1
	s_delay_alu instid0(VALU_DEP_3) | instskip(NEXT) | instid1(VALU_DEP_3)
	v_lshl_add_u32 v71, v71, 10, 0x2000
	v_lshlrev_b32_e32 v70, 7, v70
	s_delay_alu instid0(VALU_DEP_3) | instskip(NEXT) | instid1(VALU_DEP_3)
	v_and_b32_e32 v72, 0x8000, v72
	v_and_b32_e32 v71, 0xfc00, v71
	s_delay_alu instid0(VALU_DEP_1)
	v_or3_b32 v70, v72, v71, v70
.LBB251_392:                            ;   in Loop: Header=BB251_13 Depth=1
	s_or_b32 exec_lo, exec_lo, s44
.LBB251_393:                            ;   in Loop: Header=BB251_13 Depth=1
	s_wait_alu 0xfffe
	s_or_b32 exec_lo, exec_lo, s43
.LBB251_394:                            ;   in Loop: Header=BB251_13 Depth=1
	s_wait_alu 0xfffe
	s_or_b32 exec_lo, exec_lo, s42
	v_lshrrev_b16 v1, 8, v1
	s_mov_b32 s42, exec_lo
	s_delay_alu instid0(VALU_DEP_1)
	v_cmpx_ne_u16_e32 0, v1
	s_cbranch_execz .LBB251_402
; %bb.395:                              ;   in Loop: Header=BB251_13 Depth=1
	v_bfrev_b32_e32 v69, 1
	s_mov_b32 s43, exec_lo
	v_cmpx_ne_u16_e32 0x80, v1
	s_cbranch_execz .LBB251_401
; %bb.396:                              ;   in Loop: Header=BB251_13 Depth=1
	v_and_b32_e32 v71, 0xffff, v1
	v_mov_b32_e32 v69, 0x7c010000
	s_mov_b32 s44, exec_lo
	s_delay_alu instid0(VALU_DEP_2) | instskip(NEXT) | instid1(VALU_DEP_1)
	v_and_b32_e32 v73, 0x7f, v71
	v_cmpx_ne_u32_e32 0x7f, v73
	s_cbranch_execz .LBB251_400
; %bb.397:                              ;   in Loop: Header=BB251_13 Depth=1
	v_and_b32_e32 v69, 7, v71
	v_lshrrev_b32_e32 v72, 3, v73
	s_mov_b32 s45, exec_lo
	v_cmpx_gt_u32_e32 8, v73
; %bb.398:                              ;   in Loop: Header=BB251_13 Depth=1
	s_delay_alu instid0(VALU_DEP_3) | instskip(NEXT) | instid1(VALU_DEP_1)
	v_clz_i32_u32_e32 v69, v69
	v_min_u32_e32 v69, 32, v69
	s_delay_alu instid0(VALU_DEP_1) | instskip(NEXT) | instid1(VALU_DEP_1)
	v_subrev_nc_u32_e32 v72, 28, v69
	v_lshlrev_b64_e32 v[73:74], v72, v[1:2]
	v_sub_nc_u32_e32 v72, 29, v69
	s_delay_alu instid0(VALU_DEP_2)
	v_and_b32_e32 v69, 7, v73
; %bb.399:                              ;   in Loop: Header=BB251_13 Depth=1
	s_or_b32 exec_lo, exec_lo, s45
	v_lshlrev_b32_e32 v1, 8, v71
	s_delay_alu instid0(VALU_DEP_3) | instskip(NEXT) | instid1(VALU_DEP_3)
	v_lshl_add_u32 v71, v72, 10, 0x2000
	v_lshlrev_b32_e32 v69, 23, v69
	s_delay_alu instid0(VALU_DEP_2) | instskip(NEXT) | instid1(VALU_DEP_1)
	v_and_or_b32 v1, 0x8000, v1, v71
	v_lshl_or_b32 v69, v1, 16, v69
.LBB251_400:                            ;   in Loop: Header=BB251_13 Depth=1
	s_or_b32 exec_lo, exec_lo, s44
.LBB251_401:                            ;   in Loop: Header=BB251_13 Depth=1
	s_wait_alu 0xfffe
	s_or_b32 exec_lo, exec_lo, s43
.LBB251_402:                            ;   in Loop: Header=BB251_13 Depth=1
	s_wait_alu 0xfffe
	s_or_b32 exec_lo, exec_lo, s42
	global_load_u16 v1, v[7:8], off offset:1536
	s_wait_loadcnt 0x0
	v_dual_mov_b32 v71, 0 :: v_dual_and_b32 v72, 0xff, v1
	v_and_b32_e32 v1, 0xffff, v1
	s_delay_alu instid0(VALU_DEP_2)
	v_cmp_ne_u16_e64 s4, 0, v72
	v_mov_b32_e32 v72, 0
	s_and_saveexec_b32 s42, s4
	s_cbranch_execz .LBB251_410
; %bb.403:                              ;   in Loop: Header=BB251_13 Depth=1
	v_and_b32_e32 v72, 0xff, v1
	s_delay_alu instid0(VALU_DEP_1)
	v_cmp_ne_u16_e64 s4, 0x80, v72
	v_mov_b32_e32 v72, 0x8000
	s_and_saveexec_b32 s43, s4
	s_cbranch_execz .LBB251_409
; %bb.404:                              ;   in Loop: Header=BB251_13 Depth=1
	v_and_b32_e32 v74, 0x7f, v1
	v_mov_b32_e32 v72, 0x7c01
	s_mov_b32 s44, exec_lo
	s_delay_alu instid0(VALU_DEP_2)
	v_cmpx_ne_u32_e32 0x7f, v74
	s_cbranch_execz .LBB251_408
; %bb.405:                              ;   in Loop: Header=BB251_13 Depth=1
	v_and_b32_e32 v72, 7, v1
	v_lshrrev_b32_e32 v73, 3, v74
	s_mov_b32 s45, exec_lo
	v_cmpx_gt_u32_e32 8, v74
; %bb.406:                              ;   in Loop: Header=BB251_13 Depth=1
	s_delay_alu instid0(VALU_DEP_3) | instskip(NEXT) | instid1(VALU_DEP_1)
	v_clz_i32_u32_e32 v72, v72
	v_min_u32_e32 v74, 32, v72
	s_delay_alu instid0(VALU_DEP_1) | instskip(NEXT) | instid1(VALU_DEP_1)
	v_subrev_nc_u32_e32 v72, 28, v74
	v_lshlrev_b64_e32 v[72:73], v72, v[1:2]
	v_sub_nc_u32_e32 v73, 29, v74
	s_delay_alu instid0(VALU_DEP_2)
	v_and_b32_e32 v72, 7, v72
; %bb.407:                              ;   in Loop: Header=BB251_13 Depth=1
	s_or_b32 exec_lo, exec_lo, s45
	v_lshlrev_b32_e32 v74, 8, v1
	s_delay_alu instid0(VALU_DEP_3) | instskip(NEXT) | instid1(VALU_DEP_3)
	v_lshl_add_u32 v73, v73, 10, 0x2000
	v_lshlrev_b32_e32 v72, 7, v72
	s_delay_alu instid0(VALU_DEP_3) | instskip(NEXT) | instid1(VALU_DEP_3)
	v_and_b32_e32 v74, 0x8000, v74
	v_and_b32_e32 v73, 0xfc00, v73
	s_delay_alu instid0(VALU_DEP_1)
	v_or3_b32 v72, v74, v73, v72
.LBB251_408:                            ;   in Loop: Header=BB251_13 Depth=1
	s_or_b32 exec_lo, exec_lo, s44
.LBB251_409:                            ;   in Loop: Header=BB251_13 Depth=1
	s_wait_alu 0xfffe
	s_or_b32 exec_lo, exec_lo, s43
.LBB251_410:                            ;   in Loop: Header=BB251_13 Depth=1
	s_wait_alu 0xfffe
	s_or_b32 exec_lo, exec_lo, s42
	v_lshrrev_b16 v1, 8, v1
	s_mov_b32 s42, exec_lo
	s_delay_alu instid0(VALU_DEP_1)
	v_cmpx_ne_u16_e32 0, v1
	s_cbranch_execz .LBB251_418
; %bb.411:                              ;   in Loop: Header=BB251_13 Depth=1
	v_bfrev_b32_e32 v71, 1
	s_mov_b32 s43, exec_lo
	v_cmpx_ne_u16_e32 0x80, v1
	s_cbranch_execz .LBB251_417
; %bb.412:                              ;   in Loop: Header=BB251_13 Depth=1
	v_and_b32_e32 v73, 0xffff, v1
	v_mov_b32_e32 v71, 0x7c010000
	s_mov_b32 s44, exec_lo
	s_delay_alu instid0(VALU_DEP_2) | instskip(NEXT) | instid1(VALU_DEP_1)
	v_and_b32_e32 v75, 0x7f, v73
	v_cmpx_ne_u32_e32 0x7f, v75
	s_cbranch_execz .LBB251_416
; %bb.413:                              ;   in Loop: Header=BB251_13 Depth=1
	v_and_b32_e32 v71, 7, v73
	v_lshrrev_b32_e32 v74, 3, v75
	s_mov_b32 s45, exec_lo
	v_cmpx_gt_u32_e32 8, v75
; %bb.414:                              ;   in Loop: Header=BB251_13 Depth=1
	s_delay_alu instid0(VALU_DEP_3) | instskip(NEXT) | instid1(VALU_DEP_1)
	v_clz_i32_u32_e32 v71, v71
	v_min_u32_e32 v71, 32, v71
	s_delay_alu instid0(VALU_DEP_1) | instskip(NEXT) | instid1(VALU_DEP_1)
	v_subrev_nc_u32_e32 v74, 28, v71
	v_lshlrev_b64_e32 v[75:76], v74, v[1:2]
	v_sub_nc_u32_e32 v74, 29, v71
	s_delay_alu instid0(VALU_DEP_2)
	v_and_b32_e32 v71, 7, v75
; %bb.415:                              ;   in Loop: Header=BB251_13 Depth=1
	s_or_b32 exec_lo, exec_lo, s45
	v_lshlrev_b32_e32 v1, 8, v73
	s_delay_alu instid0(VALU_DEP_3) | instskip(NEXT) | instid1(VALU_DEP_3)
	v_lshl_add_u32 v73, v74, 10, 0x2000
	v_lshlrev_b32_e32 v71, 23, v71
	s_delay_alu instid0(VALU_DEP_2) | instskip(NEXT) | instid1(VALU_DEP_1)
	v_and_or_b32 v1, 0x8000, v1, v73
	v_lshl_or_b32 v71, v1, 16, v71
.LBB251_416:                            ;   in Loop: Header=BB251_13 Depth=1
	s_or_b32 exec_lo, exec_lo, s44
.LBB251_417:                            ;   in Loop: Header=BB251_13 Depth=1
	s_wait_alu 0xfffe
	s_or_b32 exec_lo, exec_lo, s43
.LBB251_418:                            ;   in Loop: Header=BB251_13 Depth=1
	s_wait_alu 0xfffe
	s_or_b32 exec_lo, exec_lo, s42
	global_load_u16 v1, v[7:8], off offset:1544
	s_wait_loadcnt 0x0
	v_dual_mov_b32 v73, 0 :: v_dual_and_b32 v74, 0xff, v1
	v_and_b32_e32 v1, 0xffff, v1
	s_delay_alu instid0(VALU_DEP_2)
	v_cmp_ne_u16_e64 s4, 0, v74
	v_mov_b32_e32 v74, 0
	s_and_saveexec_b32 s42, s4
	s_cbranch_execz .LBB251_426
; %bb.419:                              ;   in Loop: Header=BB251_13 Depth=1
	v_and_b32_e32 v74, 0xff, v1
	s_delay_alu instid0(VALU_DEP_1)
	v_cmp_ne_u16_e64 s4, 0x80, v74
	v_mov_b32_e32 v74, 0x8000
	s_and_saveexec_b32 s43, s4
	s_cbranch_execz .LBB251_425
; %bb.420:                              ;   in Loop: Header=BB251_13 Depth=1
	v_and_b32_e32 v76, 0x7f, v1
	v_mov_b32_e32 v74, 0x7c01
	s_mov_b32 s44, exec_lo
	s_delay_alu instid0(VALU_DEP_2)
	v_cmpx_ne_u32_e32 0x7f, v76
	s_cbranch_execz .LBB251_424
; %bb.421:                              ;   in Loop: Header=BB251_13 Depth=1
	v_and_b32_e32 v74, 7, v1
	v_lshrrev_b32_e32 v75, 3, v76
	s_mov_b32 s45, exec_lo
	v_cmpx_gt_u32_e32 8, v76
; %bb.422:                              ;   in Loop: Header=BB251_13 Depth=1
	s_delay_alu instid0(VALU_DEP_3) | instskip(NEXT) | instid1(VALU_DEP_1)
	v_clz_i32_u32_e32 v74, v74
	v_min_u32_e32 v76, 32, v74
	s_delay_alu instid0(VALU_DEP_1) | instskip(NEXT) | instid1(VALU_DEP_1)
	v_subrev_nc_u32_e32 v74, 28, v76
	v_lshlrev_b64_e32 v[74:75], v74, v[1:2]
	v_sub_nc_u32_e32 v75, 29, v76
	s_delay_alu instid0(VALU_DEP_2)
	v_and_b32_e32 v74, 7, v74
; %bb.423:                              ;   in Loop: Header=BB251_13 Depth=1
	s_or_b32 exec_lo, exec_lo, s45
	v_lshlrev_b32_e32 v76, 8, v1
	s_delay_alu instid0(VALU_DEP_3) | instskip(NEXT) | instid1(VALU_DEP_3)
	v_lshl_add_u32 v75, v75, 10, 0x2000
	v_lshlrev_b32_e32 v74, 7, v74
	s_delay_alu instid0(VALU_DEP_3) | instskip(NEXT) | instid1(VALU_DEP_3)
	v_and_b32_e32 v76, 0x8000, v76
	v_and_b32_e32 v75, 0xfc00, v75
	s_delay_alu instid0(VALU_DEP_1)
	v_or3_b32 v74, v76, v75, v74
.LBB251_424:                            ;   in Loop: Header=BB251_13 Depth=1
	s_or_b32 exec_lo, exec_lo, s44
.LBB251_425:                            ;   in Loop: Header=BB251_13 Depth=1
	s_wait_alu 0xfffe
	s_or_b32 exec_lo, exec_lo, s43
.LBB251_426:                            ;   in Loop: Header=BB251_13 Depth=1
	s_wait_alu 0xfffe
	s_or_b32 exec_lo, exec_lo, s42
	v_lshrrev_b16 v1, 8, v1
	s_mov_b32 s42, exec_lo
	s_delay_alu instid0(VALU_DEP_1)
	v_cmpx_ne_u16_e32 0, v1
	s_cbranch_execz .LBB251_434
; %bb.427:                              ;   in Loop: Header=BB251_13 Depth=1
	v_bfrev_b32_e32 v73, 1
	s_mov_b32 s43, exec_lo
	v_cmpx_ne_u16_e32 0x80, v1
	s_cbranch_execz .LBB251_433
; %bb.428:                              ;   in Loop: Header=BB251_13 Depth=1
	v_and_b32_e32 v75, 0xffff, v1
	v_mov_b32_e32 v73, 0x7c010000
	s_mov_b32 s44, exec_lo
	s_delay_alu instid0(VALU_DEP_2) | instskip(NEXT) | instid1(VALU_DEP_1)
	v_and_b32_e32 v77, 0x7f, v75
	v_cmpx_ne_u32_e32 0x7f, v77
	s_cbranch_execz .LBB251_432
; %bb.429:                              ;   in Loop: Header=BB251_13 Depth=1
	v_and_b32_e32 v73, 7, v75
	v_lshrrev_b32_e32 v76, 3, v77
	s_mov_b32 s45, exec_lo
	v_cmpx_gt_u32_e32 8, v77
; %bb.430:                              ;   in Loop: Header=BB251_13 Depth=1
	s_delay_alu instid0(VALU_DEP_3) | instskip(NEXT) | instid1(VALU_DEP_1)
	v_clz_i32_u32_e32 v73, v73
	v_min_u32_e32 v73, 32, v73
	s_delay_alu instid0(VALU_DEP_1) | instskip(NEXT) | instid1(VALU_DEP_1)
	v_subrev_nc_u32_e32 v76, 28, v73
	v_lshlrev_b64_e32 v[77:78], v76, v[1:2]
	v_sub_nc_u32_e32 v76, 29, v73
	s_delay_alu instid0(VALU_DEP_2)
	v_and_b32_e32 v73, 7, v77
; %bb.431:                              ;   in Loop: Header=BB251_13 Depth=1
	s_or_b32 exec_lo, exec_lo, s45
	v_lshlrev_b32_e32 v1, 8, v75
	s_delay_alu instid0(VALU_DEP_3) | instskip(NEXT) | instid1(VALU_DEP_3)
	v_lshl_add_u32 v75, v76, 10, 0x2000
	v_lshlrev_b32_e32 v73, 23, v73
	s_delay_alu instid0(VALU_DEP_2) | instskip(NEXT) | instid1(VALU_DEP_1)
	v_and_or_b32 v1, 0x8000, v1, v75
	v_lshl_or_b32 v73, v1, 16, v73
.LBB251_432:                            ;   in Loop: Header=BB251_13 Depth=1
	s_or_b32 exec_lo, exec_lo, s44
.LBB251_433:                            ;   in Loop: Header=BB251_13 Depth=1
	s_wait_alu 0xfffe
	s_or_b32 exec_lo, exec_lo, s43
.LBB251_434:                            ;   in Loop: Header=BB251_13 Depth=1
	s_wait_alu 0xfffe
	s_or_b32 exec_lo, exec_lo, s42
	global_load_u16 v1, v[7:8], off offset:1664
	s_wait_loadcnt 0x0
	v_dual_mov_b32 v75, 0 :: v_dual_and_b32 v76, 0xff, v1
	v_and_b32_e32 v1, 0xffff, v1
	s_delay_alu instid0(VALU_DEP_2)
	v_cmp_ne_u16_e64 s4, 0, v76
	v_mov_b32_e32 v76, 0
	s_and_saveexec_b32 s42, s4
	s_cbranch_execz .LBB251_442
; %bb.435:                              ;   in Loop: Header=BB251_13 Depth=1
	v_and_b32_e32 v76, 0xff, v1
	s_delay_alu instid0(VALU_DEP_1)
	v_cmp_ne_u16_e64 s4, 0x80, v76
	v_mov_b32_e32 v76, 0x8000
	s_and_saveexec_b32 s43, s4
	s_cbranch_execz .LBB251_441
; %bb.436:                              ;   in Loop: Header=BB251_13 Depth=1
	v_and_b32_e32 v78, 0x7f, v1
	v_mov_b32_e32 v76, 0x7c01
	s_mov_b32 s44, exec_lo
	s_delay_alu instid0(VALU_DEP_2)
	v_cmpx_ne_u32_e32 0x7f, v78
	s_cbranch_execz .LBB251_440
; %bb.437:                              ;   in Loop: Header=BB251_13 Depth=1
	v_and_b32_e32 v76, 7, v1
	v_lshrrev_b32_e32 v77, 3, v78
	s_mov_b32 s45, exec_lo
	v_cmpx_gt_u32_e32 8, v78
; %bb.438:                              ;   in Loop: Header=BB251_13 Depth=1
	s_delay_alu instid0(VALU_DEP_3) | instskip(NEXT) | instid1(VALU_DEP_1)
	v_clz_i32_u32_e32 v76, v76
	v_min_u32_e32 v78, 32, v76
	s_delay_alu instid0(VALU_DEP_1) | instskip(NEXT) | instid1(VALU_DEP_1)
	v_subrev_nc_u32_e32 v76, 28, v78
	v_lshlrev_b64_e32 v[76:77], v76, v[1:2]
	v_sub_nc_u32_e32 v77, 29, v78
	s_delay_alu instid0(VALU_DEP_2)
	v_and_b32_e32 v76, 7, v76
; %bb.439:                              ;   in Loop: Header=BB251_13 Depth=1
	s_or_b32 exec_lo, exec_lo, s45
	v_lshlrev_b32_e32 v78, 8, v1
	s_delay_alu instid0(VALU_DEP_3) | instskip(NEXT) | instid1(VALU_DEP_3)
	v_lshl_add_u32 v77, v77, 10, 0x2000
	v_lshlrev_b32_e32 v76, 7, v76
	s_delay_alu instid0(VALU_DEP_3) | instskip(NEXT) | instid1(VALU_DEP_3)
	v_and_b32_e32 v78, 0x8000, v78
	v_and_b32_e32 v77, 0xfc00, v77
	s_delay_alu instid0(VALU_DEP_1)
	v_or3_b32 v76, v78, v77, v76
.LBB251_440:                            ;   in Loop: Header=BB251_13 Depth=1
	s_or_b32 exec_lo, exec_lo, s44
.LBB251_441:                            ;   in Loop: Header=BB251_13 Depth=1
	s_wait_alu 0xfffe
	s_or_b32 exec_lo, exec_lo, s43
.LBB251_442:                            ;   in Loop: Header=BB251_13 Depth=1
	s_wait_alu 0xfffe
	s_or_b32 exec_lo, exec_lo, s42
	v_lshrrev_b16 v1, 8, v1
	s_mov_b32 s42, exec_lo
	s_delay_alu instid0(VALU_DEP_1)
	v_cmpx_ne_u16_e32 0, v1
	s_cbranch_execz .LBB251_450
; %bb.443:                              ;   in Loop: Header=BB251_13 Depth=1
	v_bfrev_b32_e32 v75, 1
	s_mov_b32 s43, exec_lo
	v_cmpx_ne_u16_e32 0x80, v1
	s_cbranch_execz .LBB251_449
; %bb.444:                              ;   in Loop: Header=BB251_13 Depth=1
	v_and_b32_e32 v77, 0xffff, v1
	v_mov_b32_e32 v75, 0x7c010000
	s_mov_b32 s44, exec_lo
	s_delay_alu instid0(VALU_DEP_2) | instskip(NEXT) | instid1(VALU_DEP_1)
	v_and_b32_e32 v79, 0x7f, v77
	v_cmpx_ne_u32_e32 0x7f, v79
	s_cbranch_execz .LBB251_448
; %bb.445:                              ;   in Loop: Header=BB251_13 Depth=1
	v_and_b32_e32 v75, 7, v77
	v_lshrrev_b32_e32 v78, 3, v79
	s_mov_b32 s45, exec_lo
	v_cmpx_gt_u32_e32 8, v79
; %bb.446:                              ;   in Loop: Header=BB251_13 Depth=1
	s_delay_alu instid0(VALU_DEP_3) | instskip(NEXT) | instid1(VALU_DEP_1)
	v_clz_i32_u32_e32 v75, v75
	v_min_u32_e32 v75, 32, v75
	s_delay_alu instid0(VALU_DEP_1) | instskip(NEXT) | instid1(VALU_DEP_1)
	v_subrev_nc_u32_e32 v78, 28, v75
	v_lshlrev_b64_e32 v[79:80], v78, v[1:2]
	v_sub_nc_u32_e32 v78, 29, v75
	s_delay_alu instid0(VALU_DEP_2)
	v_and_b32_e32 v75, 7, v79
; %bb.447:                              ;   in Loop: Header=BB251_13 Depth=1
	s_or_b32 exec_lo, exec_lo, s45
	v_lshlrev_b32_e32 v1, 8, v77
	s_delay_alu instid0(VALU_DEP_3) | instskip(NEXT) | instid1(VALU_DEP_3)
	v_lshl_add_u32 v77, v78, 10, 0x2000
	v_lshlrev_b32_e32 v75, 23, v75
	s_delay_alu instid0(VALU_DEP_2) | instskip(NEXT) | instid1(VALU_DEP_1)
	v_and_or_b32 v1, 0x8000, v1, v77
	v_lshl_or_b32 v75, v1, 16, v75
.LBB251_448:                            ;   in Loop: Header=BB251_13 Depth=1
	s_or_b32 exec_lo, exec_lo, s44
.LBB251_449:                            ;   in Loop: Header=BB251_13 Depth=1
	s_wait_alu 0xfffe
	s_or_b32 exec_lo, exec_lo, s43
.LBB251_450:                            ;   in Loop: Header=BB251_13 Depth=1
	s_wait_alu 0xfffe
	s_or_b32 exec_lo, exec_lo, s42
	global_load_u16 v1, v[7:8], off offset:1672
	s_wait_loadcnt 0x0
	v_dual_mov_b32 v77, 0 :: v_dual_and_b32 v78, 0xff, v1
	v_and_b32_e32 v1, 0xffff, v1
	s_delay_alu instid0(VALU_DEP_2)
	v_cmp_ne_u16_e64 s4, 0, v78
	v_mov_b32_e32 v78, 0
	s_and_saveexec_b32 s42, s4
	s_cbranch_execz .LBB251_458
; %bb.451:                              ;   in Loop: Header=BB251_13 Depth=1
	v_and_b32_e32 v78, 0xff, v1
	s_delay_alu instid0(VALU_DEP_1)
	v_cmp_ne_u16_e64 s4, 0x80, v78
	v_mov_b32_e32 v78, 0x8000
	s_and_saveexec_b32 s43, s4
	s_cbranch_execz .LBB251_457
; %bb.452:                              ;   in Loop: Header=BB251_13 Depth=1
	v_and_b32_e32 v80, 0x7f, v1
	v_mov_b32_e32 v78, 0x7c01
	s_mov_b32 s44, exec_lo
	s_delay_alu instid0(VALU_DEP_2)
	v_cmpx_ne_u32_e32 0x7f, v80
	s_cbranch_execz .LBB251_456
; %bb.453:                              ;   in Loop: Header=BB251_13 Depth=1
	v_and_b32_e32 v78, 7, v1
	v_lshrrev_b32_e32 v79, 3, v80
	s_mov_b32 s45, exec_lo
	v_cmpx_gt_u32_e32 8, v80
; %bb.454:                              ;   in Loop: Header=BB251_13 Depth=1
	s_delay_alu instid0(VALU_DEP_3) | instskip(NEXT) | instid1(VALU_DEP_1)
	v_clz_i32_u32_e32 v78, v78
	v_min_u32_e32 v80, 32, v78
	s_delay_alu instid0(VALU_DEP_1) | instskip(NEXT) | instid1(VALU_DEP_1)
	v_subrev_nc_u32_e32 v78, 28, v80
	v_lshlrev_b64_e32 v[78:79], v78, v[1:2]
	v_sub_nc_u32_e32 v79, 29, v80
	s_delay_alu instid0(VALU_DEP_2)
	v_and_b32_e32 v78, 7, v78
; %bb.455:                              ;   in Loop: Header=BB251_13 Depth=1
	s_or_b32 exec_lo, exec_lo, s45
	v_lshlrev_b32_e32 v80, 8, v1
	s_delay_alu instid0(VALU_DEP_3) | instskip(NEXT) | instid1(VALU_DEP_3)
	v_lshl_add_u32 v79, v79, 10, 0x2000
	v_lshlrev_b32_e32 v78, 7, v78
	s_delay_alu instid0(VALU_DEP_3) | instskip(NEXT) | instid1(VALU_DEP_3)
	v_and_b32_e32 v80, 0x8000, v80
	v_and_b32_e32 v79, 0xfc00, v79
	s_delay_alu instid0(VALU_DEP_1)
	v_or3_b32 v78, v80, v79, v78
.LBB251_456:                            ;   in Loop: Header=BB251_13 Depth=1
	s_or_b32 exec_lo, exec_lo, s44
.LBB251_457:                            ;   in Loop: Header=BB251_13 Depth=1
	s_wait_alu 0xfffe
	s_or_b32 exec_lo, exec_lo, s43
.LBB251_458:                            ;   in Loop: Header=BB251_13 Depth=1
	s_wait_alu 0xfffe
	s_or_b32 exec_lo, exec_lo, s42
	v_lshrrev_b16 v1, 8, v1
	s_mov_b32 s42, exec_lo
	s_delay_alu instid0(VALU_DEP_1)
	v_cmpx_ne_u16_e32 0, v1
	s_cbranch_execz .LBB251_466
; %bb.459:                              ;   in Loop: Header=BB251_13 Depth=1
	v_bfrev_b32_e32 v77, 1
	s_mov_b32 s43, exec_lo
	v_cmpx_ne_u16_e32 0x80, v1
	s_cbranch_execz .LBB251_465
; %bb.460:                              ;   in Loop: Header=BB251_13 Depth=1
	v_and_b32_e32 v79, 0xffff, v1
	v_mov_b32_e32 v77, 0x7c010000
	s_mov_b32 s44, exec_lo
	s_delay_alu instid0(VALU_DEP_2) | instskip(NEXT) | instid1(VALU_DEP_1)
	v_and_b32_e32 v81, 0x7f, v79
	v_cmpx_ne_u32_e32 0x7f, v81
	s_cbranch_execz .LBB251_464
; %bb.461:                              ;   in Loop: Header=BB251_13 Depth=1
	v_and_b32_e32 v77, 7, v79
	v_lshrrev_b32_e32 v80, 3, v81
	s_mov_b32 s45, exec_lo
	v_cmpx_gt_u32_e32 8, v81
; %bb.462:                              ;   in Loop: Header=BB251_13 Depth=1
	s_delay_alu instid0(VALU_DEP_3) | instskip(NEXT) | instid1(VALU_DEP_1)
	v_clz_i32_u32_e32 v77, v77
	v_min_u32_e32 v77, 32, v77
	s_delay_alu instid0(VALU_DEP_1) | instskip(NEXT) | instid1(VALU_DEP_1)
	v_subrev_nc_u32_e32 v80, 28, v77
	v_lshlrev_b64_e32 v[81:82], v80, v[1:2]
	v_sub_nc_u32_e32 v80, 29, v77
	s_delay_alu instid0(VALU_DEP_2)
	v_and_b32_e32 v77, 7, v81
; %bb.463:                              ;   in Loop: Header=BB251_13 Depth=1
	s_or_b32 exec_lo, exec_lo, s45
	v_lshlrev_b32_e32 v1, 8, v79
	s_delay_alu instid0(VALU_DEP_3) | instskip(NEXT) | instid1(VALU_DEP_3)
	v_lshl_add_u32 v79, v80, 10, 0x2000
	v_lshlrev_b32_e32 v77, 23, v77
	s_delay_alu instid0(VALU_DEP_2) | instskip(NEXT) | instid1(VALU_DEP_1)
	v_and_or_b32 v1, 0x8000, v1, v79
	v_lshl_or_b32 v77, v1, 16, v77
.LBB251_464:                            ;   in Loop: Header=BB251_13 Depth=1
	s_or_b32 exec_lo, exec_lo, s44
.LBB251_465:                            ;   in Loop: Header=BB251_13 Depth=1
	s_wait_alu 0xfffe
	s_or_b32 exec_lo, exec_lo, s43
.LBB251_466:                            ;   in Loop: Header=BB251_13 Depth=1
	s_wait_alu 0xfffe
	s_or_b32 exec_lo, exec_lo, s42
	global_load_u16 v1, v[7:8], off offset:1792
	s_wait_loadcnt 0x0
	v_dual_mov_b32 v79, 0 :: v_dual_and_b32 v80, 0xff, v1
	v_and_b32_e32 v1, 0xffff, v1
	s_delay_alu instid0(VALU_DEP_2)
	v_cmp_ne_u16_e64 s4, 0, v80
	v_mov_b32_e32 v80, 0
	s_and_saveexec_b32 s42, s4
	s_cbranch_execz .LBB251_474
; %bb.467:                              ;   in Loop: Header=BB251_13 Depth=1
	v_and_b32_e32 v80, 0xff, v1
	s_delay_alu instid0(VALU_DEP_1)
	v_cmp_ne_u16_e64 s4, 0x80, v80
	v_mov_b32_e32 v80, 0x8000
	s_and_saveexec_b32 s43, s4
	s_cbranch_execz .LBB251_473
; %bb.468:                              ;   in Loop: Header=BB251_13 Depth=1
	v_and_b32_e32 v82, 0x7f, v1
	v_mov_b32_e32 v80, 0x7c01
	s_mov_b32 s44, exec_lo
	s_delay_alu instid0(VALU_DEP_2)
	v_cmpx_ne_u32_e32 0x7f, v82
	s_cbranch_execz .LBB251_472
; %bb.469:                              ;   in Loop: Header=BB251_13 Depth=1
	v_and_b32_e32 v80, 7, v1
	v_lshrrev_b32_e32 v81, 3, v82
	s_mov_b32 s45, exec_lo
	v_cmpx_gt_u32_e32 8, v82
; %bb.470:                              ;   in Loop: Header=BB251_13 Depth=1
	s_delay_alu instid0(VALU_DEP_3) | instskip(NEXT) | instid1(VALU_DEP_1)
	v_clz_i32_u32_e32 v80, v80
	v_min_u32_e32 v82, 32, v80
	s_delay_alu instid0(VALU_DEP_1) | instskip(NEXT) | instid1(VALU_DEP_1)
	v_subrev_nc_u32_e32 v80, 28, v82
	v_lshlrev_b64_e32 v[80:81], v80, v[1:2]
	v_sub_nc_u32_e32 v81, 29, v82
	s_delay_alu instid0(VALU_DEP_2)
	v_and_b32_e32 v80, 7, v80
; %bb.471:                              ;   in Loop: Header=BB251_13 Depth=1
	s_or_b32 exec_lo, exec_lo, s45
	v_lshlrev_b32_e32 v82, 8, v1
	s_delay_alu instid0(VALU_DEP_3) | instskip(NEXT) | instid1(VALU_DEP_3)
	v_lshl_add_u32 v81, v81, 10, 0x2000
	v_lshlrev_b32_e32 v80, 7, v80
	s_delay_alu instid0(VALU_DEP_3) | instskip(NEXT) | instid1(VALU_DEP_3)
	v_and_b32_e32 v82, 0x8000, v82
	v_and_b32_e32 v81, 0xfc00, v81
	s_delay_alu instid0(VALU_DEP_1)
	v_or3_b32 v80, v82, v81, v80
.LBB251_472:                            ;   in Loop: Header=BB251_13 Depth=1
	s_or_b32 exec_lo, exec_lo, s44
.LBB251_473:                            ;   in Loop: Header=BB251_13 Depth=1
	s_wait_alu 0xfffe
	s_or_b32 exec_lo, exec_lo, s43
.LBB251_474:                            ;   in Loop: Header=BB251_13 Depth=1
	s_wait_alu 0xfffe
	s_or_b32 exec_lo, exec_lo, s42
	v_lshrrev_b16 v1, 8, v1
	s_mov_b32 s42, exec_lo
	s_delay_alu instid0(VALU_DEP_1)
	v_cmpx_ne_u16_e32 0, v1
	s_cbranch_execz .LBB251_482
; %bb.475:                              ;   in Loop: Header=BB251_13 Depth=1
	v_bfrev_b32_e32 v79, 1
	s_mov_b32 s43, exec_lo
	v_cmpx_ne_u16_e32 0x80, v1
	s_cbranch_execz .LBB251_481
; %bb.476:                              ;   in Loop: Header=BB251_13 Depth=1
	v_and_b32_e32 v81, 0xffff, v1
	v_mov_b32_e32 v79, 0x7c010000
	s_mov_b32 s44, exec_lo
	s_delay_alu instid0(VALU_DEP_2) | instskip(NEXT) | instid1(VALU_DEP_1)
	v_and_b32_e32 v83, 0x7f, v81
	v_cmpx_ne_u32_e32 0x7f, v83
	s_cbranch_execz .LBB251_480
; %bb.477:                              ;   in Loop: Header=BB251_13 Depth=1
	v_and_b32_e32 v79, 7, v81
	v_lshrrev_b32_e32 v82, 3, v83
	s_mov_b32 s45, exec_lo
	v_cmpx_gt_u32_e32 8, v83
; %bb.478:                              ;   in Loop: Header=BB251_13 Depth=1
	s_delay_alu instid0(VALU_DEP_3) | instskip(NEXT) | instid1(VALU_DEP_1)
	v_clz_i32_u32_e32 v79, v79
	v_min_u32_e32 v79, 32, v79
	s_delay_alu instid0(VALU_DEP_1) | instskip(NEXT) | instid1(VALU_DEP_1)
	v_subrev_nc_u32_e32 v82, 28, v79
	v_lshlrev_b64_e32 v[83:84], v82, v[1:2]
	v_sub_nc_u32_e32 v82, 29, v79
	s_delay_alu instid0(VALU_DEP_2)
	v_and_b32_e32 v79, 7, v83
; %bb.479:                              ;   in Loop: Header=BB251_13 Depth=1
	s_or_b32 exec_lo, exec_lo, s45
	v_lshlrev_b32_e32 v1, 8, v81
	s_delay_alu instid0(VALU_DEP_3) | instskip(NEXT) | instid1(VALU_DEP_3)
	v_lshl_add_u32 v81, v82, 10, 0x2000
	v_lshlrev_b32_e32 v79, 23, v79
	s_delay_alu instid0(VALU_DEP_2) | instskip(NEXT) | instid1(VALU_DEP_1)
	v_and_or_b32 v1, 0x8000, v1, v81
	v_lshl_or_b32 v79, v1, 16, v79
.LBB251_480:                            ;   in Loop: Header=BB251_13 Depth=1
	s_or_b32 exec_lo, exec_lo, s44
.LBB251_481:                            ;   in Loop: Header=BB251_13 Depth=1
	s_wait_alu 0xfffe
	s_or_b32 exec_lo, exec_lo, s43
.LBB251_482:                            ;   in Loop: Header=BB251_13 Depth=1
	s_wait_alu 0xfffe
	s_or_b32 exec_lo, exec_lo, s42
	global_load_u16 v1, v[7:8], off offset:1800
	s_wait_loadcnt 0x0
	v_dual_mov_b32 v81, 0 :: v_dual_and_b32 v82, 0xff, v1
	v_and_b32_e32 v1, 0xffff, v1
	s_delay_alu instid0(VALU_DEP_2)
	v_cmp_ne_u16_e64 s4, 0, v82
	v_mov_b32_e32 v82, 0
	s_and_saveexec_b32 s42, s4
	s_cbranch_execz .LBB251_490
; %bb.483:                              ;   in Loop: Header=BB251_13 Depth=1
	v_and_b32_e32 v82, 0xff, v1
	s_delay_alu instid0(VALU_DEP_1)
	v_cmp_ne_u16_e64 s4, 0x80, v82
	v_mov_b32_e32 v82, 0x8000
	s_and_saveexec_b32 s43, s4
	s_cbranch_execz .LBB251_489
; %bb.484:                              ;   in Loop: Header=BB251_13 Depth=1
	v_and_b32_e32 v84, 0x7f, v1
	v_mov_b32_e32 v82, 0x7c01
	s_mov_b32 s44, exec_lo
	s_delay_alu instid0(VALU_DEP_2)
	v_cmpx_ne_u32_e32 0x7f, v84
	s_cbranch_execz .LBB251_488
; %bb.485:                              ;   in Loop: Header=BB251_13 Depth=1
	v_and_b32_e32 v82, 7, v1
	v_lshrrev_b32_e32 v83, 3, v84
	s_mov_b32 s45, exec_lo
	v_cmpx_gt_u32_e32 8, v84
; %bb.486:                              ;   in Loop: Header=BB251_13 Depth=1
	s_delay_alu instid0(VALU_DEP_3) | instskip(NEXT) | instid1(VALU_DEP_1)
	v_clz_i32_u32_e32 v82, v82
	v_min_u32_e32 v84, 32, v82
	s_delay_alu instid0(VALU_DEP_1) | instskip(NEXT) | instid1(VALU_DEP_1)
	v_subrev_nc_u32_e32 v82, 28, v84
	v_lshlrev_b64_e32 v[82:83], v82, v[1:2]
	v_sub_nc_u32_e32 v83, 29, v84
	s_delay_alu instid0(VALU_DEP_2)
	v_and_b32_e32 v82, 7, v82
; %bb.487:                              ;   in Loop: Header=BB251_13 Depth=1
	s_or_b32 exec_lo, exec_lo, s45
	v_lshlrev_b32_e32 v84, 8, v1
	s_delay_alu instid0(VALU_DEP_3) | instskip(NEXT) | instid1(VALU_DEP_3)
	v_lshl_add_u32 v83, v83, 10, 0x2000
	v_lshlrev_b32_e32 v82, 7, v82
	s_delay_alu instid0(VALU_DEP_3) | instskip(NEXT) | instid1(VALU_DEP_3)
	v_and_b32_e32 v84, 0x8000, v84
	v_and_b32_e32 v83, 0xfc00, v83
	s_delay_alu instid0(VALU_DEP_1)
	v_or3_b32 v82, v84, v83, v82
.LBB251_488:                            ;   in Loop: Header=BB251_13 Depth=1
	s_or_b32 exec_lo, exec_lo, s44
.LBB251_489:                            ;   in Loop: Header=BB251_13 Depth=1
	s_wait_alu 0xfffe
	s_or_b32 exec_lo, exec_lo, s43
.LBB251_490:                            ;   in Loop: Header=BB251_13 Depth=1
	s_wait_alu 0xfffe
	s_or_b32 exec_lo, exec_lo, s42
	v_lshrrev_b16 v1, 8, v1
	s_mov_b32 s42, exec_lo
	s_delay_alu instid0(VALU_DEP_1)
	v_cmpx_ne_u16_e32 0, v1
	s_cbranch_execz .LBB251_498
; %bb.491:                              ;   in Loop: Header=BB251_13 Depth=1
	v_bfrev_b32_e32 v81, 1
	s_mov_b32 s43, exec_lo
	v_cmpx_ne_u16_e32 0x80, v1
	s_cbranch_execz .LBB251_497
; %bb.492:                              ;   in Loop: Header=BB251_13 Depth=1
	v_and_b32_e32 v83, 0xffff, v1
	v_mov_b32_e32 v81, 0x7c010000
	s_mov_b32 s44, exec_lo
	s_delay_alu instid0(VALU_DEP_2) | instskip(NEXT) | instid1(VALU_DEP_1)
	v_and_b32_e32 v85, 0x7f, v83
	v_cmpx_ne_u32_e32 0x7f, v85
	s_cbranch_execz .LBB251_496
; %bb.493:                              ;   in Loop: Header=BB251_13 Depth=1
	v_and_b32_e32 v81, 7, v83
	v_lshrrev_b32_e32 v84, 3, v85
	s_mov_b32 s45, exec_lo
	v_cmpx_gt_u32_e32 8, v85
; %bb.494:                              ;   in Loop: Header=BB251_13 Depth=1
	s_delay_alu instid0(VALU_DEP_3) | instskip(NEXT) | instid1(VALU_DEP_1)
	v_clz_i32_u32_e32 v81, v81
	v_min_u32_e32 v81, 32, v81
	s_delay_alu instid0(VALU_DEP_1) | instskip(NEXT) | instid1(VALU_DEP_1)
	v_subrev_nc_u32_e32 v84, 28, v81
	v_lshlrev_b64_e32 v[85:86], v84, v[1:2]
	v_sub_nc_u32_e32 v84, 29, v81
	s_delay_alu instid0(VALU_DEP_2)
	v_and_b32_e32 v81, 7, v85
; %bb.495:                              ;   in Loop: Header=BB251_13 Depth=1
	s_or_b32 exec_lo, exec_lo, s45
	v_lshlrev_b32_e32 v1, 8, v83
	s_delay_alu instid0(VALU_DEP_3) | instskip(NEXT) | instid1(VALU_DEP_3)
	v_lshl_add_u32 v83, v84, 10, 0x2000
	v_lshlrev_b32_e32 v81, 23, v81
	s_delay_alu instid0(VALU_DEP_2) | instskip(NEXT) | instid1(VALU_DEP_1)
	v_and_or_b32 v1, 0x8000, v1, v83
	v_lshl_or_b32 v81, v1, 16, v81
.LBB251_496:                            ;   in Loop: Header=BB251_13 Depth=1
	s_or_b32 exec_lo, exec_lo, s44
.LBB251_497:                            ;   in Loop: Header=BB251_13 Depth=1
	s_wait_alu 0xfffe
	s_or_b32 exec_lo, exec_lo, s43
.LBB251_498:                            ;   in Loop: Header=BB251_13 Depth=1
	s_wait_alu 0xfffe
	s_or_b32 exec_lo, exec_lo, s42
	global_load_u16 v1, v[7:8], off offset:1920
	s_wait_loadcnt 0x0
	v_dual_mov_b32 v83, 0 :: v_dual_and_b32 v84, 0xff, v1
	v_and_b32_e32 v1, 0xffff, v1
	s_delay_alu instid0(VALU_DEP_2)
	v_cmp_ne_u16_e64 s4, 0, v84
	v_mov_b32_e32 v84, 0
	s_and_saveexec_b32 s42, s4
	s_cbranch_execz .LBB251_506
; %bb.499:                              ;   in Loop: Header=BB251_13 Depth=1
	v_and_b32_e32 v84, 0xff, v1
	s_delay_alu instid0(VALU_DEP_1)
	v_cmp_ne_u16_e64 s4, 0x80, v84
	v_mov_b32_e32 v84, 0x8000
	s_and_saveexec_b32 s43, s4
	s_cbranch_execz .LBB251_505
; %bb.500:                              ;   in Loop: Header=BB251_13 Depth=1
	v_and_b32_e32 v86, 0x7f, v1
	v_mov_b32_e32 v84, 0x7c01
	s_mov_b32 s44, exec_lo
	s_delay_alu instid0(VALU_DEP_2)
	v_cmpx_ne_u32_e32 0x7f, v86
	s_cbranch_execz .LBB251_504
; %bb.501:                              ;   in Loop: Header=BB251_13 Depth=1
	v_and_b32_e32 v84, 7, v1
	v_lshrrev_b32_e32 v85, 3, v86
	s_mov_b32 s45, exec_lo
	v_cmpx_gt_u32_e32 8, v86
; %bb.502:                              ;   in Loop: Header=BB251_13 Depth=1
	s_delay_alu instid0(VALU_DEP_3) | instskip(NEXT) | instid1(VALU_DEP_1)
	v_clz_i32_u32_e32 v84, v84
	v_min_u32_e32 v86, 32, v84
	s_delay_alu instid0(VALU_DEP_1) | instskip(NEXT) | instid1(VALU_DEP_1)
	v_subrev_nc_u32_e32 v84, 28, v86
	v_lshlrev_b64_e32 v[84:85], v84, v[1:2]
	v_sub_nc_u32_e32 v85, 29, v86
	s_delay_alu instid0(VALU_DEP_2)
	v_and_b32_e32 v84, 7, v84
; %bb.503:                              ;   in Loop: Header=BB251_13 Depth=1
	s_or_b32 exec_lo, exec_lo, s45
	v_lshlrev_b32_e32 v86, 8, v1
	s_delay_alu instid0(VALU_DEP_3) | instskip(NEXT) | instid1(VALU_DEP_3)
	v_lshl_add_u32 v85, v85, 10, 0x2000
	v_lshlrev_b32_e32 v84, 7, v84
	s_delay_alu instid0(VALU_DEP_3) | instskip(NEXT) | instid1(VALU_DEP_3)
	v_and_b32_e32 v86, 0x8000, v86
	v_and_b32_e32 v85, 0xfc00, v85
	s_delay_alu instid0(VALU_DEP_1)
	v_or3_b32 v84, v86, v85, v84
.LBB251_504:                            ;   in Loop: Header=BB251_13 Depth=1
	s_or_b32 exec_lo, exec_lo, s44
.LBB251_505:                            ;   in Loop: Header=BB251_13 Depth=1
	s_wait_alu 0xfffe
	s_or_b32 exec_lo, exec_lo, s43
.LBB251_506:                            ;   in Loop: Header=BB251_13 Depth=1
	s_wait_alu 0xfffe
	s_or_b32 exec_lo, exec_lo, s42
	v_lshrrev_b16 v1, 8, v1
	s_mov_b32 s42, exec_lo
	s_delay_alu instid0(VALU_DEP_1)
	v_cmpx_ne_u16_e32 0, v1
	s_cbranch_execz .LBB251_514
; %bb.507:                              ;   in Loop: Header=BB251_13 Depth=1
	v_bfrev_b32_e32 v83, 1
	s_mov_b32 s43, exec_lo
	v_cmpx_ne_u16_e32 0x80, v1
	s_cbranch_execz .LBB251_513
; %bb.508:                              ;   in Loop: Header=BB251_13 Depth=1
	v_and_b32_e32 v85, 0xffff, v1
	v_mov_b32_e32 v83, 0x7c010000
	s_mov_b32 s44, exec_lo
	s_delay_alu instid0(VALU_DEP_2) | instskip(NEXT) | instid1(VALU_DEP_1)
	v_and_b32_e32 v87, 0x7f, v85
	v_cmpx_ne_u32_e32 0x7f, v87
	s_cbranch_execz .LBB251_512
; %bb.509:                              ;   in Loop: Header=BB251_13 Depth=1
	v_and_b32_e32 v83, 7, v85
	v_lshrrev_b32_e32 v86, 3, v87
	s_mov_b32 s45, exec_lo
	v_cmpx_gt_u32_e32 8, v87
; %bb.510:                              ;   in Loop: Header=BB251_13 Depth=1
	s_delay_alu instid0(VALU_DEP_3) | instskip(NEXT) | instid1(VALU_DEP_1)
	v_clz_i32_u32_e32 v83, v83
	v_min_u32_e32 v83, 32, v83
	s_delay_alu instid0(VALU_DEP_1) | instskip(NEXT) | instid1(VALU_DEP_1)
	v_subrev_nc_u32_e32 v86, 28, v83
	v_lshlrev_b64_e32 v[87:88], v86, v[1:2]
	v_sub_nc_u32_e32 v86, 29, v83
	s_delay_alu instid0(VALU_DEP_2)
	v_and_b32_e32 v83, 7, v87
; %bb.511:                              ;   in Loop: Header=BB251_13 Depth=1
	s_or_b32 exec_lo, exec_lo, s45
	v_lshlrev_b32_e32 v1, 8, v85
	s_delay_alu instid0(VALU_DEP_3) | instskip(NEXT) | instid1(VALU_DEP_3)
	v_lshl_add_u32 v85, v86, 10, 0x2000
	v_lshlrev_b32_e32 v83, 23, v83
	s_delay_alu instid0(VALU_DEP_2) | instskip(NEXT) | instid1(VALU_DEP_1)
	v_and_or_b32 v1, 0x8000, v1, v85
	v_lshl_or_b32 v83, v1, 16, v83
.LBB251_512:                            ;   in Loop: Header=BB251_13 Depth=1
	s_or_b32 exec_lo, exec_lo, s44
.LBB251_513:                            ;   in Loop: Header=BB251_13 Depth=1
	s_wait_alu 0xfffe
	s_or_b32 exec_lo, exec_lo, s43
.LBB251_514:                            ;   in Loop: Header=BB251_13 Depth=1
	s_wait_alu 0xfffe
	s_or_b32 exec_lo, exec_lo, s42
	global_load_u16 v1, v[7:8], off offset:1928
	s_wait_loadcnt 0x0
	v_dual_mov_b32 v7, 0 :: v_dual_and_b32 v8, 0xff, v1
	v_and_b32_e32 v1, 0xffff, v1
	s_delay_alu instid0(VALU_DEP_2)
	v_cmp_ne_u16_e64 s4, 0, v8
	v_mov_b32_e32 v8, 0
	s_and_saveexec_b32 s42, s4
	s_cbranch_execz .LBB251_522
; %bb.515:                              ;   in Loop: Header=BB251_13 Depth=1
	v_and_b32_e32 v8, 0xff, v1
	s_delay_alu instid0(VALU_DEP_1)
	v_cmp_ne_u16_e64 s4, 0x80, v8
	v_mov_b32_e32 v8, 0x8000
	s_and_saveexec_b32 s43, s4
	s_cbranch_execz .LBB251_521
; %bb.516:                              ;   in Loop: Header=BB251_13 Depth=1
	v_and_b32_e32 v86, 0x7f, v1
	v_mov_b32_e32 v8, 0x7c01
	s_mov_b32 s44, exec_lo
	s_delay_alu instid0(VALU_DEP_2)
	v_cmpx_ne_u32_e32 0x7f, v86
	s_cbranch_execz .LBB251_520
; %bb.517:                              ;   in Loop: Header=BB251_13 Depth=1
	v_and_b32_e32 v8, 7, v1
	v_lshrrev_b32_e32 v85, 3, v86
	s_mov_b32 s45, exec_lo
	v_cmpx_gt_u32_e32 8, v86
; %bb.518:                              ;   in Loop: Header=BB251_13 Depth=1
	s_delay_alu instid0(VALU_DEP_3) | instskip(NEXT) | instid1(VALU_DEP_1)
	v_clz_i32_u32_e32 v8, v8
	v_min_u32_e32 v8, 32, v8
	s_delay_alu instid0(VALU_DEP_1) | instskip(NEXT) | instid1(VALU_DEP_1)
	v_subrev_nc_u32_e32 v85, 28, v8
	v_lshlrev_b64_e32 v[86:87], v85, v[1:2]
	v_sub_nc_u32_e32 v85, 29, v8
	s_delay_alu instid0(VALU_DEP_2)
	v_and_b32_e32 v8, 7, v86
; %bb.519:                              ;   in Loop: Header=BB251_13 Depth=1
	s_or_b32 exec_lo, exec_lo, s45
	v_lshlrev_b32_e32 v86, 8, v1
	s_delay_alu instid0(VALU_DEP_3) | instskip(NEXT) | instid1(VALU_DEP_3)
	v_lshl_add_u32 v85, v85, 10, 0x2000
	v_lshlrev_b32_e32 v8, 7, v8
	s_delay_alu instid0(VALU_DEP_3) | instskip(NEXT) | instid1(VALU_DEP_3)
	v_and_b32_e32 v86, 0x8000, v86
	v_and_b32_e32 v85, 0xfc00, v85
	s_delay_alu instid0(VALU_DEP_1)
	v_or3_b32 v8, v86, v85, v8
.LBB251_520:                            ;   in Loop: Header=BB251_13 Depth=1
	s_or_b32 exec_lo, exec_lo, s44
.LBB251_521:                            ;   in Loop: Header=BB251_13 Depth=1
	s_wait_alu 0xfffe
	s_or_b32 exec_lo, exec_lo, s43
.LBB251_522:                            ;   in Loop: Header=BB251_13 Depth=1
	s_wait_alu 0xfffe
	s_or_b32 exec_lo, exec_lo, s42
	v_lshrrev_b16 v1, 8, v1
	s_mov_b32 s42, exec_lo
	s_delay_alu instid0(VALU_DEP_1)
	v_cmpx_ne_u16_e32 0, v1
	s_cbranch_execz .LBB251_530
; %bb.523:                              ;   in Loop: Header=BB251_13 Depth=1
	v_bfrev_b32_e32 v7, 1
	s_mov_b32 s43, exec_lo
	v_cmpx_ne_u16_e32 0x80, v1
	s_cbranch_execz .LBB251_529
; %bb.524:                              ;   in Loop: Header=BB251_13 Depth=1
	v_and_b32_e32 v85, 0xffff, v1
	v_mov_b32_e32 v7, 0x7c010000
	s_mov_b32 s44, exec_lo
	s_delay_alu instid0(VALU_DEP_2) | instskip(NEXT) | instid1(VALU_DEP_1)
	v_and_b32_e32 v87, 0x7f, v85
	v_cmpx_ne_u32_e32 0x7f, v87
	s_cbranch_execz .LBB251_528
; %bb.525:                              ;   in Loop: Header=BB251_13 Depth=1
	v_and_b32_e32 v7, 7, v85
	v_lshrrev_b32_e32 v86, 3, v87
	s_mov_b32 s45, exec_lo
	v_cmpx_gt_u32_e32 8, v87
; %bb.526:                              ;   in Loop: Header=BB251_13 Depth=1
	s_delay_alu instid0(VALU_DEP_3) | instskip(NEXT) | instid1(VALU_DEP_1)
	v_clz_i32_u32_e32 v7, v7
	v_min_u32_e32 v7, 32, v7
	s_delay_alu instid0(VALU_DEP_1) | instskip(NEXT) | instid1(VALU_DEP_1)
	v_subrev_nc_u32_e32 v86, 28, v7
	v_lshlrev_b64_e32 v[87:88], v86, v[1:2]
	v_sub_nc_u32_e32 v86, 29, v7
	s_delay_alu instid0(VALU_DEP_2)
	v_and_b32_e32 v7, 7, v87
; %bb.527:                              ;   in Loop: Header=BB251_13 Depth=1
	s_or_b32 exec_lo, exec_lo, s45
	v_lshlrev_b32_e32 v1, 8, v85
	s_delay_alu instid0(VALU_DEP_3) | instskip(NEXT) | instid1(VALU_DEP_3)
	v_lshl_add_u32 v85, v86, 10, 0x2000
	v_lshlrev_b32_e32 v7, 23, v7
	s_delay_alu instid0(VALU_DEP_2) | instskip(NEXT) | instid1(VALU_DEP_1)
	v_and_or_b32 v1, 0x8000, v1, v85
	v_lshl_or_b32 v7, v1, 16, v7
.LBB251_528:                            ;   in Loop: Header=BB251_13 Depth=1
	s_or_b32 exec_lo, exec_lo, s44
.LBB251_529:                            ;   in Loop: Header=BB251_13 Depth=1
	s_wait_alu 0xfffe
	s_or_b32 exec_lo, exec_lo, s43
.LBB251_530:                            ;   in Loop: Header=BB251_13 Depth=1
	s_wait_alu 0xfffe
	s_or_b32 exec_lo, exec_lo, s42
	ds_load_b32 v1, v16
	v_or_b32_e32 v24, v23, v24
	v_fma_mixlo_f16 v23, v22, v23, 0 op_sel:[0,1,0] op_sel_hi:[0,1,0]
	v_or_b32_e32 v26, v25, v26
	v_fma_mixlo_f16 v25, v22, v25, 0 op_sel:[0,1,0] op_sel_hi:[0,1,0]
	v_or_b32_e32 v28, v27, v28
	v_fma_mixlo_f16 v24, v22, v24, 0 op_sel_hi:[0,1,0]
	v_and_b32_e32 v23, 0xffff, v23
	v_fma_mixlo_f16 v26, v22, v26, 0 op_sel_hi:[0,1,0]
	v_and_b32_e32 v90, 0xffff, v25
	;; [unrolled: 2-line block ×3, first 2 shown]
	v_fma_mixlo_f16 v27, v22, v27, 0 op_sel:[0,1,0] op_sel_hi:[0,1,0]
	v_or_b32_e32 v30, v29, v30
	v_fma_mixlo_f16 v29, v22, v29, 0 op_sel:[0,1,0] op_sel_hi:[0,1,0]
	v_or_b32_e32 v32, v31, v32
	v_fma_mixlo_f16 v31, v22, v31, 0 op_sel:[0,1,0] op_sel_hi:[0,1,0]
	v_and_b32_e32 v91, 0xffff, v27
	v_fma_mixlo_f16 v30, v22, v30, 0 op_sel_hi:[0,1,0]
	v_and_b32_e32 v93, 0xffff, v29
	s_wait_dscnt 0x0
	v_and_b32_e32 v85, 0xffff, v1
	v_lshrrev_b32_e32 v1, 16, v1
	;;#ASMSTART
	v_cvt_f32_f16 v24, v85;
	;;#ASMEND
	;;#ASMSTART
	v_cvt_f32_f16 v1, v1;
	;;#ASMEND
	;; [unrolled: 3-line block ×4, first 2 shown]
	ds_load_b32 v86, v16 offset:4
	v_and_b32_e32 v26, 0xffff, v26
	v_and_b32_e32 v92, 0xffff, v30
	v_fma_mixlo_f16 v32, v22, v32, 0 op_sel_hi:[0,1,0]
	v_and_b32_e32 v95, 0xffff, v31
	v_or_b32_e32 v34, v33, v34
	v_fma_mixlo_f16 v33, v22, v33, 0 op_sel:[0,1,0] op_sel_hi:[0,1,0]
	v_or_b32_e32 v36, v35, v36
	v_and_b32_e32 v94, 0xffff, v32
	v_fma_mixlo_f16 v35, v22, v35, 0 op_sel:[0,1,0] op_sel_hi:[0,1,0]
	v_fma_mixlo_f16 v34, v22, v34, 0 op_sel_hi:[0,1,0]
	v_and_b32_e32 v97, 0xffff, v33
	v_fma_mixlo_f16 v36, v22, v36, 0 op_sel_hi:[0,1,0]
	v_or_b32_e32 v38, v37, v38
	v_and_b32_e32 v99, 0xffff, v35
	v_and_b32_e32 v96, 0xffff, v34
	v_fma_mixlo_f16 v37, v22, v37, 0 op_sel:[0,1,0] op_sel_hi:[0,1,0]
	v_and_b32_e32 v98, 0xffff, v36
	v_fma_mixlo_f16 v38, v22, v38, 0 op_sel_hi:[0,1,0]
	v_or_b32_e32 v40, v39, v40
	s_wait_dscnt 0x0
	v_and_b32_e32 v87, 0xffff, v86
	v_lshrrev_b32_e32 v86, 16, v86
	;;#ASMSTART
	v_cvt_f32_f16 v88, v87;
	;;#ASMEND
	;;#ASMSTART
	v_cvt_f32_f16 v25, v86;
	;;#ASMEND
	;; [unrolled: 3-line block ×4, first 2 shown]
	ds_load_b32 v86, v16 offset:8
	v_and_b32_e32 v90, 0xffff, v28
	v_and_b32_e32 v100, 0xffff, v38
	;; [unrolled: 1-line block ×3, first 2 shown]
	v_fma_mixlo_f16 v40, v22, v40, 0 op_sel_hi:[0,1,0]
	v_fma_mixlo_f16 v39, v22, v39, 0 op_sel:[0,1,0] op_sel_hi:[0,1,0]
	v_or_b32_e32 v42, v41, v42
	v_fma_mixlo_f16 v41, v22, v41, 0 op_sel:[0,1,0] op_sel_hi:[0,1,0]
	v_or_b32_e32 v44, v43, v44
	v_and_b32_e32 v102, 0xffff, v40
	v_and_b32_e32 v103, 0xffff, v39
	v_fma_mixlo_f16 v42, v22, v42, 0 op_sel_hi:[0,1,0]
	v_and_b32_e32 v105, 0xffff, v41
	v_fma_mixlo_f16 v44, v22, v44, 0 op_sel_hi:[0,1,0]
	v_fma_mixlo_f16 v43, v22, v43, 0 op_sel:[0,1,0] op_sel_hi:[0,1,0]
	v_or_b32_e32 v46, v45, v46
	v_and_b32_e32 v104, 0xffff, v42
	v_fma_mixlo_f16 v45, v22, v45, 0 op_sel:[0,1,0] op_sel_hi:[0,1,0]
	v_and_b32_e32 v106, 0xffff, v44
	v_and_b32_e32 v107, 0xffff, v43
	s_wait_dscnt 0x0
	v_and_b32_e32 v87, 0xffff, v86
	v_lshrrev_b32_e32 v86, 16, v86
	;;#ASMSTART
	v_cvt_f32_f16 v27, v87;
	;;#ASMEND
	;;#ASMSTART
	v_cvt_f32_f16 v28, v86;
	;;#ASMEND
	;; [unrolled: 3-line block ×4, first 2 shown]
	ds_load_b32 v90, v16 offset:12
	v_fma_mixlo_f16 v46, v22, v46, 0 op_sel_hi:[0,1,0]
	v_and_b32_e32 v109, 0xffff, v45
	v_or_b32_e32 v48, v47, v48
	v_fma_mixlo_f16 v47, v22, v47, 0 op_sel:[0,1,0] op_sel_hi:[0,1,0]
	v_or_b32_e32 v50, v49, v50
	v_and_b32_e32 v108, 0xffff, v46
	v_fma_mixlo_f16 v49, v22, v49, 0 op_sel:[0,1,0] op_sel_hi:[0,1,0]
	v_fma_mixlo_f16 v48, v22, v48, 0 op_sel_hi:[0,1,0]
	v_and_b32_e32 v111, 0xffff, v47
	v_fma_mixlo_f16 v50, v22, v50, 0 op_sel_hi:[0,1,0]
	v_or_b32_e32 v52, v51, v52
	v_and_b32_e32 v113, 0xffff, v49
	v_and_b32_e32 v110, 0xffff, v48
	v_fma_mixlo_f16 v51, v22, v51, 0 op_sel:[0,1,0] op_sel_hi:[0,1,0]
	v_and_b32_e32 v112, 0xffff, v50
	v_fma_mixlo_f16 v52, v22, v52, 0 op_sel_hi:[0,1,0]
	v_or_b32_e32 v54, v53, v54
	v_fma_mixlo_f16 v53, v22, v53, 0 op_sel:[0,1,0] op_sel_hi:[0,1,0]
	v_and_b32_e32 v115, 0xffff, v51
	s_wait_dscnt 0x0
	v_and_b32_e32 v91, 0xffff, v90
	v_lshrrev_b32_e32 v90, 16, v90
	;;#ASMSTART
	v_cvt_f32_f16 v29, v91;
	;;#ASMEND
	;;#ASMSTART
	v_cvt_f32_f16 v30, v90;
	;;#ASMEND
	;; [unrolled: 3-line block ×4, first 2 shown]
	ds_load_b32 v92, v16 offset:16
	v_and_b32_e32 v114, 0xffff, v52
	v_fma_mixlo_f16 v54, v22, v54, 0 op_sel_hi:[0,1,0]
	v_and_b32_e32 v117, 0xffff, v53
	v_or_b32_e32 v56, v55, v56
	v_fma_mixlo_f16 v55, v22, v55, 0 op_sel:[0,1,0] op_sel_hi:[0,1,0]
	v_or_b32_e32 v58, v57, v58
	v_and_b32_e32 v116, 0xffff, v54
	v_fma_mixlo_f16 v57, v22, v57, 0 op_sel:[0,1,0] op_sel_hi:[0,1,0]
	v_fma_mixlo_f16 v56, v22, v56, 0 op_sel_hi:[0,1,0]
	v_and_b32_e32 v119, 0xffff, v55
	v_fma_mixlo_f16 v58, v22, v58, 0 op_sel_hi:[0,1,0]
	v_or_b32_e32 v60, v59, v60
	v_and_b32_e32 v121, 0xffff, v57
	v_and_b32_e32 v118, 0xffff, v56
	v_fma_mixlo_f16 v59, v22, v59, 0 op_sel:[0,1,0] op_sel_hi:[0,1,0]
	v_and_b32_e32 v120, 0xffff, v58
	v_fma_mixlo_f16 v60, v22, v60, 0 op_sel_hi:[0,1,0]
	v_or_b32_e32 v62, v61, v62
	v_fma_mixlo_f16 v61, v22, v61, 0 op_sel:[0,1,0] op_sel_hi:[0,1,0]
	s_wait_dscnt 0x0
	v_and_b32_e32 v93, 0xffff, v92
	v_lshrrev_b32_e32 v92, 16, v92
	;;#ASMSTART
	v_cvt_f32_f16 v31, v93;
	;;#ASMEND
	;;#ASMSTART
	v_cvt_f32_f16 v32, v92;
	;;#ASMEND
	;;#ASMSTART
	v_cvt_f32_f16 v92, v94;
	;;#ASMEND
	;;#ASMSTART
	v_cvt_f32_f16 v93, v95;
	;;#ASMEND
	ds_load_b32 v94, v16 offset:20
	v_and_b32_e32 v122, 0xffff, v60
	v_and_b32_e32 v123, 0xffff, v59
	v_fma_mixlo_f16 v62, v22, v62, 0 op_sel_hi:[0,1,0]
	v_and_b32_e32 v125, 0xffff, v61
	v_or_b32_e32 v64, v63, v64
	v_fma_mixlo_f16 v63, v22, v63, 0 op_sel:[0,1,0] op_sel_hi:[0,1,0]
	v_or_b32_e32 v66, v65, v66
	v_and_b32_e32 v124, 0xffff, v62
	v_fma_mixlo_f16 v65, v22, v65, 0 op_sel:[0,1,0] op_sel_hi:[0,1,0]
	v_fma_mixlo_f16 v64, v22, v64, 0 op_sel_hi:[0,1,0]
	v_and_b32_e32 v127, 0xffff, v63
	v_fma_mixlo_f16 v66, v22, v66, 0 op_sel_hi:[0,1,0]
	v_or_b32_e32 v68, v67, v68
	v_and_b32_e32 v129, 0xffff, v65
	v_and_b32_e32 v126, 0xffff, v64
	v_fma_mixlo_f16 v67, v22, v67, 0 op_sel:[0,1,0] op_sel_hi:[0,1,0]
	v_and_b32_e32 v128, 0xffff, v66
	v_fma_mixlo_f16 v68, v22, v68, 0 op_sel_hi:[0,1,0]
	v_or_b32_e32 v70, v69, v70
	s_wait_dscnt 0x0
	v_and_b32_e32 v95, 0xffff, v94
	v_lshrrev_b32_e32 v94, 16, v94
	;;#ASMSTART
	v_cvt_f32_f16 v33, v95;
	;;#ASMEND
	;;#ASMSTART
	v_cvt_f32_f16 v34, v94;
	;;#ASMEND
	;; [unrolled: 3-line block ×4, first 2 shown]
	ds_load_b32 v96, v16 offset:24
	v_and_b32_e32 v130, 0xffff, v68
	v_and_b32_e32 v131, 0xffff, v67
	v_fma_mixlo_f16 v70, v22, v70, 0 op_sel_hi:[0,1,0]
	v_fma_mixlo_f16 v69, v22, v69, 0 op_sel:[0,1,0] op_sel_hi:[0,1,0]
	v_or_b32_e32 v72, v71, v72
	v_dual_mul_f32 v88, v88, v89 :: v_dual_mul_f32 v25, v25, v26
	s_delay_alu instid0(VALU_DEP_4) | instskip(NEXT) | instid1(VALU_DEP_4)
	v_and_b32_e32 v132, 0xffff, v70
	v_and_b32_e32 v133, 0xffff, v69
	s_delay_alu instid0(VALU_DEP_4) | instskip(SKIP_3) | instid1(VALU_DEP_4)
	v_fma_mixlo_f16 v72, v22, v72, 0 op_sel_hi:[0,1,0]
	v_fma_mixlo_f16 v71, v22, v71, 0 op_sel:[0,1,0] op_sel_hi:[0,1,0]
	v_dual_fmac_f32 v88, v24, v85 :: v_dual_fmac_f32 v25, v1, v23
	v_or_b32_e32 v74, v73, v74
	v_and_b32_e32 v72, 0xffff, v72
	v_fma_mixlo_f16 v73, v22, v73, 0 op_sel:[0,1,0] op_sel_hi:[0,1,0]
	s_delay_alu instid0(VALU_DEP_4) | instskip(NEXT) | instid1(VALU_DEP_4)
	v_dual_fmac_f32 v88, v27, v86 :: v_dual_fmac_f32 v25, v28, v87
	v_fma_mixlo_f16 v74, v22, v74, 0 op_sel_hi:[0,1,0]
	s_wait_dscnt 0x0
	v_and_b32_e32 v97, 0xffff, v96
	v_lshrrev_b32_e32 v96, 16, v96
	;;#ASMSTART
	v_cvt_f32_f16 v35, v97;
	;;#ASMEND
	;;#ASMSTART
	v_cvt_f32_f16 v36, v96;
	;;#ASMEND
	;; [unrolled: 3-line block ×4, first 2 shown]
	ds_load_b32 v98, v16 offset:28
	v_dual_fmac_f32 v88, v29, v90 :: v_dual_fmac_f32 v25, v30, v91
	v_and_b32_e32 v74, 0xffff, v74
	v_or_b32_e32 v1, v75, v76
	v_fma_mixlo_f16 v23, v22, v75, 0 op_sel:[0,1,0] op_sel_hi:[0,1,0]
	s_delay_alu instid0(VALU_DEP_4) | instskip(SKIP_1) | instid1(VALU_DEP_4)
	v_dual_fmac_f32 v88, v31, v92 :: v_dual_fmac_f32 v25, v32, v93
	v_or_b32_e32 v30, v77, v78
	v_fma_mixlo_f16 v1, v22, v1, 0 op_sel_hi:[0,1,0]
	s_delay_alu instid0(VALU_DEP_4) | instskip(NEXT) | instid1(VALU_DEP_4)
	v_and_b32_e32 v28, 0xffff, v23
	v_dual_fmac_f32 v88, v33, v94 :: v_dual_fmac_f32 v25, v34, v95
	v_fma_mixlo_f16 v31, v22, v77, 0 op_sel:[0,1,0] op_sel_hi:[0,1,0]
	s_delay_alu instid0(VALU_DEP_4) | instskip(SKIP_1) | instid1(VALU_DEP_4)
	v_and_b32_e32 v29, 0xffff, v1
	v_fma_mixlo_f16 v30, v22, v30, 0 op_sel_hi:[0,1,0]
	v_dual_fmac_f32 v88, v35, v96 :: v_dual_fmac_f32 v25, v36, v97
	s_delay_alu instid0(VALU_DEP_4)
	v_and_b32_e32 v32, 0xffff, v31
	v_fma_mixlo_f16 v35, v22, v79, 0 op_sel:[0,1,0] op_sel_hi:[0,1,0]
	s_wait_dscnt 0x0
	v_and_b32_e32 v99, 0xffff, v98
	v_lshrrev_b32_e32 v98, 16, v98
	;;#ASMSTART
	v_cvt_f32_f16 v37, v99;
	;;#ASMEND
	;;#ASMSTART
	v_cvt_f32_f16 v38, v98;
	;;#ASMEND
	;; [unrolled: 3-line block ×4, first 2 shown]
	ds_load_b32 v100, v16 offset:32
	v_dual_fmac_f32 v88, v37, v98 :: v_dual_fmac_f32 v25, v38, v99
	v_and_b32_e32 v34, 0xffff, v30
	v_and_b32_e32 v36, 0xffff, v35
	s_wait_dscnt 0x0
	v_and_b32_e32 v101, 0xffff, v100
	v_lshrrev_b32_e32 v100, 16, v100
	;;#ASMSTART
	v_cvt_f32_f16 v39, v101;
	;;#ASMEND
	;;#ASMSTART
	v_cvt_f32_f16 v40, v100;
	;;#ASMEND
	;; [unrolled: 3-line block ×4, first 2 shown]
	ds_load_b32 v102, v16 offset:36
	v_dual_fmac_f32 v88, v39, v100 :: v_dual_fmac_f32 v25, v40, v101
	v_fma_mixlo_f16 v39, v22, v81, 0 op_sel:[0,1,0] op_sel_hi:[0,1,0]
	s_delay_alu instid0(VALU_DEP_1)
	v_and_b32_e32 v40, 0xffff, v39
	s_wait_dscnt 0x0
	v_and_b32_e32 v103, 0xffff, v102
	v_lshrrev_b32_e32 v102, 16, v102
	;;#ASMSTART
	v_cvt_f32_f16 v41, v103;
	;;#ASMEND
	;;#ASMSTART
	v_cvt_f32_f16 v42, v102;
	;;#ASMEND
	;; [unrolled: 3-line block ×4, first 2 shown]
	ds_load_b32 v104, v16 offset:40
	v_dual_fmac_f32 v88, v41, v102 :: v_dual_fmac_f32 v25, v42, v103
	s_wait_dscnt 0x0
	v_and_b32_e32 v105, 0xffff, v104
	v_lshrrev_b32_e32 v104, 16, v104
	;;#ASMSTART
	v_cvt_f32_f16 v43, v105;
	;;#ASMEND
	;;#ASMSTART
	v_cvt_f32_f16 v44, v104;
	;;#ASMEND
	;; [unrolled: 3-line block ×4, first 2 shown]
	ds_load_b32 v106, v16 offset:44
	v_dual_fmac_f32 v88, v43, v104 :: v_dual_fmac_f32 v25, v44, v105
	v_fma_mixlo_f16 v43, v22, v83, 0 op_sel:[0,1,0] op_sel_hi:[0,1,0]
	s_delay_alu instid0(VALU_DEP_1)
	v_and_b32_e32 v43, 0xffff, v43
	s_wait_dscnt 0x0
	v_and_b32_e32 v107, 0xffff, v106
	v_lshrrev_b32_e32 v106, 16, v106
	;;#ASMSTART
	v_cvt_f32_f16 v45, v107;
	;;#ASMEND
	;;#ASMSTART
	v_cvt_f32_f16 v46, v106;
	;;#ASMEND
	;;#ASMSTART
	v_cvt_f32_f16 v106, v108;
	;;#ASMEND
	;;#ASMSTART
	v_cvt_f32_f16 v107, v109;
	;;#ASMEND
	ds_load_b32 v108, v16 offset:48
	v_dual_fmac_f32 v88, v45, v106 :: v_dual_fmac_f32 v25, v46, v107
	s_wait_dscnt 0x0
	v_and_b32_e32 v109, 0xffff, v108
	v_lshrrev_b32_e32 v108, 16, v108
	;;#ASMSTART
	v_cvt_f32_f16 v47, v109;
	;;#ASMEND
	;;#ASMSTART
	v_cvt_f32_f16 v48, v108;
	;;#ASMEND
	;;#ASMSTART
	v_cvt_f32_f16 v108, v110;
	;;#ASMEND
	;;#ASMSTART
	v_cvt_f32_f16 v109, v111;
	;;#ASMEND
	ds_load_b32 v110, v16 offset:52
	v_dual_fmac_f32 v88, v47, v108 :: v_dual_fmac_f32 v25, v48, v109
	;; [unrolled: 17-line block ×12, first 2 shown]
	s_wait_dscnt 0x0
	v_and_b32_e32 v131, 0xffff, v130
	v_lshrrev_b32_e32 v130, 16, v130
	;;#ASMSTART
	v_cvt_f32_f16 v69, v131;
	;;#ASMEND
	;;#ASMSTART
	v_cvt_f32_f16 v70, v130;
	;;#ASMEND
	;; [unrolled: 3-line block ×4, first 2 shown]
	ds_load_b32 v132, v16 offset:96
	v_dual_fmac_f32 v88, v69, v130 :: v_dual_and_b32 v133, 0xffff, v71
	v_fmac_f32_e32 v25, v70, v131
	s_wait_dscnt 0x0
	v_and_b32_e32 v89, 0xffff, v132
	v_lshrrev_b32_e32 v132, 16, v132
	;;#ASMSTART
	v_cvt_f32_f16 v24, v89;
	;;#ASMEND
	;;#ASMSTART
	v_cvt_f32_f16 v71, v132;
	;;#ASMEND
	;; [unrolled: 3-line block ×4, first 2 shown]
	ds_load_b32 v89, v16 offset:100
	v_dual_fmac_f32 v88, v24, v72 :: v_dual_and_b32 v133, 0xffff, v73
	v_fmac_f32_e32 v25, v71, v85
	s_wait_dscnt 0x0
	v_and_b32_e32 v132, 0xffff, v89
	v_lshrrev_b32_e32 v89, 16, v89
	;;#ASMSTART
	v_cvt_f32_f16 v26, v132;
	;;#ASMEND
	;;#ASMSTART
	v_cvt_f32_f16 v73, v89;
	;;#ASMEND
	;; [unrolled: 3-line block ×4, first 2 shown]
	ds_load_b32 v132, v16 offset:104
	v_dual_fmac_f32 v88, v26, v74 :: v_dual_fmac_f32 v25, v73, v89
	s_wait_dscnt 0x0
	v_and_b32_e32 v23, 0xffff, v132
	v_lshrrev_b32_e32 v27, 16, v132
	;;#ASMSTART
	v_cvt_f32_f16 v1, v23;
	;;#ASMEND
	;;#ASMSTART
	v_cvt_f32_f16 v23, v27;
	;;#ASMEND
	;; [unrolled: 3-line block ×4, first 2 shown]
	ds_load_b32 v29, v16 offset:108
	v_dual_fmac_f32 v88, v1, v27 :: v_dual_fmac_f32 v25, v23, v28
	v_or_b32_e32 v1, v7, v8
	v_xor_b32_e32 v8, 2, v10
	v_fma_mixlo_f16 v7, v22, v7, 0 op_sel:[0,1,0] op_sel_hi:[0,1,0]
	s_delay_alu instid0(VALU_DEP_3) | instskip(NEXT) | instid1(VALU_DEP_3)
	v_fma_mixlo_f16 v1, v22, v1, 0 op_sel_hi:[0,1,0]
	v_cmp_gt_i32_e64 s4, 32, v8
	s_delay_alu instid0(VALU_DEP_3) | instskip(NEXT) | instid1(VALU_DEP_3)
	v_and_b32_e32 v23, 0xffff, v7
	v_and_b32_e32 v27, 0xffff, v1
	s_wait_alu 0xf1ff
	s_delay_alu instid0(VALU_DEP_3)
	v_cndmask_b32_e64 v7, v10, v8, s4
	s_wait_dscnt 0x0
	v_and_b32_e32 v31, 0xffff, v29
	v_lshrrev_b32_e32 v33, 16, v29
	;;#ASMSTART
	v_cvt_f32_f16 v29, v31;
	;;#ASMEND
	;;#ASMSTART
	v_cvt_f32_f16 v30, v33;
	;;#ASMEND
	;;#ASMSTART
	v_cvt_f32_f16 v31, v34;
	;;#ASMEND
	;;#ASMSTART
	v_cvt_f32_f16 v32, v32;
	;;#ASMEND
	ds_load_b32 v33, v16 offset:112
	v_or_b32_e32 v34, v79, v80
	v_dual_fmac_f32 v88, v29, v31 :: v_dual_fmac_f32 v25, v30, v32
	s_delay_alu instid0(VALU_DEP_2) | instskip(NEXT) | instid1(VALU_DEP_1)
	v_fma_mixlo_f16 v34, v22, v34, 0 op_sel_hi:[0,1,0]
	v_and_b32_e32 v38, 0xffff, v34
	s_wait_dscnt 0x0
	v_and_b32_e32 v35, 0xffff, v33
	v_lshrrev_b32_e32 v37, 16, v33
	;;#ASMSTART
	v_cvt_f32_f16 v33, v35;
	;;#ASMEND
	;;#ASMSTART
	v_cvt_f32_f16 v34, v37;
	;;#ASMEND
	;;#ASMSTART
	v_cvt_f32_f16 v35, v38;
	;;#ASMEND
	;;#ASMSTART
	v_cvt_f32_f16 v36, v36;
	;;#ASMEND
	ds_load_b32 v37, v16 offset:116
	v_or_b32_e32 v38, v81, v82
	v_dual_fmac_f32 v88, v33, v35 :: v_dual_fmac_f32 v25, v34, v36
	s_delay_alu instid0(VALU_DEP_2) | instskip(NEXT) | instid1(VALU_DEP_1)
	v_fma_mixlo_f16 v38, v22, v38, 0 op_sel_hi:[0,1,0]
	v_and_b32_e32 v42, 0xffff, v38
	;; [unrolled: 21-line block ×3, first 2 shown]
	s_wait_dscnt 0x0
	v_and_b32_e32 v24, 0xffff, v41
	v_lshrrev_b32_e32 v41, 16, v41
	;;#ASMSTART
	v_cvt_f32_f16 v24, v24;
	;;#ASMEND
	;;#ASMSTART
	v_cvt_f32_f16 v26, v41;
	;;#ASMEND
	;; [unrolled: 3-line block ×4, first 2 shown]
	ds_load_b32 v43, v16 offset:124
	v_dual_fmac_f32 v88, v24, v41 :: v_dual_fmac_f32 v25, v26, v42
	s_wait_dscnt 0x0
	v_and_b32_e32 v8, 0xffff, v43
	v_lshrrev_b32_e32 v22, 16, v43
	;;#ASMSTART
	v_cvt_f32_f16 v1, v8;
	;;#ASMEND
	;;#ASMSTART
	v_cvt_f32_f16 v8, v22;
	;;#ASMEND
	;; [unrolled: 3-line block ×4, first 2 shown]
	v_dual_fmac_f32 v88, v1, v22 :: v_dual_fmac_f32 v25, v8, v23
	v_lshlrev_b32_e32 v1, 2, v7
	v_xor_b32_e32 v8, 1, v10
	s_delay_alu instid0(VALU_DEP_3) | instskip(NEXT) | instid1(VALU_DEP_2)
	v_add_f32_e32 v7, v88, v25
	v_cmp_gt_i32_e64 s4, 32, v8
	ds_bpermute_b32 v1, v1, v7
	s_wait_alu 0xf1ff
	v_cndmask_b32_e64 v8, v10, v8, s4
	s_wait_dscnt 0x0
	v_add_f32_e32 v1, v7, v1
	s_delay_alu instid0(VALU_DEP_2)
	v_lshlrev_b32_e32 v7, 2, v8
	ds_bpermute_b32 v7, v7, v1
	s_and_saveexec_b32 s42, s3
	s_cbranch_execz .LBB251_11
; %bb.531:                              ;   in Loop: Header=BB251_13 Depth=1
	s_wait_dscnt 0x0
	v_dual_add_f32 v1, v1, v7 :: v_dual_add_nc_u32 v8, v18, v17
	s_delay_alu instid0(VALU_DEP_1) | instskip(NEXT) | instid1(VALU_DEP_1)
	v_cvt_f32_i32_e32 v8, v8
	v_mul_f32_e32 v8, s34, v8
	s_delay_alu instid0(VALU_DEP_1) | instskip(NEXT) | instid1(VALU_DEP_1)
	v_dual_cndmask_b32 v7, 0, v8 :: v_dual_max_num_f32 v8, v15, v15
	v_fmac_f32_e32 v7, s7, v1
	s_delay_alu instid0(VALU_DEP_1) | instskip(NEXT) | instid1(VALU_DEP_1)
	v_dual_max_num_f32 v8, v8, v7 :: v_dual_add_nc_u32 v1, v14, v17
	v_cmp_gt_i32_e64 s4, s21, v1
	s_wait_alu 0xf1ff
	s_delay_alu instid0(VALU_DEP_1) | instskip(NEXT) | instid1(VALU_DEP_3)
	v_cndmask_b32_e64 v1, 0, v7, s4
	v_cndmask_b32_e64 v15, v15, v8, s4
	ds_store_b32 v19, v1
	s_branch .LBB251_11
.LBB251_532:
	s_or_b32 exec_lo, exec_lo, s40
.LBB251_533:
	s_delay_alu instid0(SALU_CYCLE_1)
	s_or_b32 exec_lo, exec_lo, s6
	v_xor_b32_e32 v1, 16, v10
	v_xor_b32_e32 v3, 8, v10
	s_clause 0x2
	s_load_b128 s[4:7], s[0:1], 0x0
	s_load_b64 s[8:9], s[0:1], 0x10
	s_load_b64 s[34:35], s[0:1], 0x28
	v_dual_max_num_f32 v5, v15, v15 :: v_dual_and_b32 v14, 31, v0
	v_cmp_gt_i32_e32 vcc_lo, 32, v1
	s_wait_alu 0xfffd
	v_cndmask_b32_e32 v1, v10, v1, vcc_lo
	v_cmp_gt_i32_e32 vcc_lo, 32, v3
	s_wait_alu 0xfffd
	v_cndmask_b32_e32 v3, v10, v3, vcc_lo
	s_delay_alu instid0(VALU_DEP_1) | instskip(SKIP_4) | instid1(VALU_DEP_1)
	v_lshlrev_b32_e32 v4, 2, v3
	v_lshlrev_b32_e32 v2, 2, v1
	ds_bpermute_b32 v1, v2, v15
	s_wait_dscnt 0x0
	v_max_num_f32_e32 v1, v1, v1
	v_max_num_f32_e32 v1, v5, v1
	v_xor_b32_e32 v5, 4, v10
	ds_bpermute_b32 v3, v4, v1
	v_cmp_gt_i32_e32 vcc_lo, 32, v5
	s_wait_alu 0xfffd
	v_cndmask_b32_e32 v5, v10, v5, vcc_lo
	v_cmp_eq_u32_e32 vcc_lo, 0, v14
	s_delay_alu instid0(VALU_DEP_2) | instskip(SKIP_3) | instid1(VALU_DEP_1)
	v_lshlrev_b32_e32 v7, 2, v5
	v_lshlrev_b32_e32 v5, 2, v11
	s_wait_dscnt 0x0
	v_max_num_f32_e32 v3, v3, v3
	v_max_num_f32_e32 v1, v1, v3
	ds_bpermute_b32 v3, v7, v1
	s_and_saveexec_b32 s0, vcc_lo
	s_cbranch_execz .LBB251_535
; %bb.534:
	s_wait_dscnt 0x0
	v_max_num_f32_e32 v3, v3, v3
	v_max_num_f32_e32 v1, v1, v1
	s_delay_alu instid0(VALU_DEP_1)
	v_max_num_f32_e32 v1, v1, v3
	ds_store_b32 v5, v1 offset:512
.LBB251_535:
	s_or_b32 exec_lo, exec_lo, s0
	v_cmp_gt_u32_e64 s0, 4, v14
	v_dual_mov_b32 v1, 0xff7fffff :: v_dual_lshlrev_b32 v6, 2, v14
	s_wait_loadcnt_dscnt 0x0
	s_barrier_signal -1
	s_barrier_wait -1
	global_inv scope:SCOPE_SE
	s_and_saveexec_b32 s1, s0
; %bb.536:
	ds_load_b32 v1, v6 offset:512
; %bb.537:
	s_or_b32 exec_lo, exec_lo, s1
	v_xor_b32_e32 v3, 2, v10
	v_xor_b32_e32 v15, 1, v10
	s_delay_alu instid0(VALU_DEP_2) | instskip(NEXT) | instid1(VALU_DEP_1)
	v_cmp_gt_i32_e64 s1, 32, v3
	v_cndmask_b32_e64 v3, v10, v3, s1
	s_delay_alu instid0(VALU_DEP_3) | instskip(NEXT) | instid1(VALU_DEP_2)
	v_cmp_gt_i32_e64 s1, 32, v15
	v_lshlrev_b32_e32 v8, 2, v3
	s_wait_alu 0xf1ff
	s_delay_alu instid0(VALU_DEP_2)
	v_cndmask_b32_e64 v10, v10, v15, s1
	v_mov_b32_e32 v15, 0
	s_sub_co_i32 s1, s25, s38
	s_wait_alu 0xfffe
	s_lshl_b32 s1, s1, 3
	s_wait_dscnt 0x0
	ds_bpermute_b32 v3, v8, v1
	v_max_num_f32_e32 v1, v1, v1
	s_wait_alu 0xfffe
	s_add_co_i32 s1, s1, s20
	v_lshlrev_b32_e32 v10, 2, v10
	s_wait_alu 0xfffe
	s_min_i32 s1, s1, s21
	s_wait_alu 0xfffe
	s_sub_co_i32 s19, s1, s20
	s_wait_alu 0xfffe
	v_cmp_gt_i32_e64 s1, s19, v0
	s_wait_dscnt 0x0
	v_max_num_f32_e32 v3, v3, v3
	s_delay_alu instid0(VALU_DEP_1) | instskip(SKIP_3) | instid1(VALU_DEP_1)
	v_max_num_f32_e32 v1, v1, v3
	ds_bpermute_b32 v3, v10, v1
	s_wait_dscnt 0x0
	v_max_num_f32_e32 v3, v3, v3
	v_max_num_f32_e32 v1, v1, v3
	v_lshl_add_u32 v3, v0, 2, 0x220
	ds_bpermute_b32 v1, v15, v1
	s_and_saveexec_b32 s38, s1
	s_cbranch_execz .LBB251_541
; %bb.538:
	v_lshl_add_u32 v16, v0, 2, 0x220
	v_mov_b32_e32 v15, 0
	v_mov_b32_e32 v17, v0
	s_mov_b32 s39, 0
.LBB251_539:                            ; =>This Inner Loop Header: Depth=1
	ds_load_b32 v18, v16
	v_add_nc_u32_e32 v17, 0x80, v17
	s_delay_alu instid0(VALU_DEP_1) | instskip(SKIP_4) | instid1(VALU_DEP_1)
	v_cmp_le_i32_e64 s3, s19, v17
	s_wait_alu 0xfffe
	s_or_b32 s39, s3, s39
	s_wait_dscnt 0x0
	v_sub_f32_e32 v18, v18, v1
	v_mul_f32_e32 v18, 0x3fb8aa3b, v18
	s_delay_alu instid0(VALU_DEP_1)
	v_exp_f32_e32 v18, v18
	ds_store_b32 v16, v18
	v_dual_add_f32 v15, v15, v18 :: v_dual_add_nc_u32 v16, 0x200, v16
	s_wait_alu 0xfffe
	s_and_not1_b32 exec_lo, exec_lo, s39
	s_cbranch_execnz .LBB251_539
; %bb.540:
	s_or_b32 exec_lo, exec_lo, s39
.LBB251_541:
	s_wait_alu 0xfffe
	s_or_b32 exec_lo, exec_lo, s38
	ds_bpermute_b32 v2, v2, v15
	s_wait_dscnt 0x0
	v_add_f32_e32 v2, v15, v2
	ds_bpermute_b32 v4, v4, v2
	s_wait_dscnt 0x0
	v_add_f32_e32 v2, v2, v4
	;; [unrolled: 3-line block ×5, first 2 shown]
	s_and_saveexec_b32 s3, vcc_lo
; %bb.542:
	ds_store_b32 v5, v2 offset:528
; %bb.543:
	s_wait_alu 0xfffe
	s_or_b32 exec_lo, exec_lo, s3
	s_wait_loadcnt_dscnt 0x0
	s_barrier_signal -1
	s_barrier_wait -1
	global_inv scope:SCOPE_SE
	s_and_saveexec_b32 s3, s0
; %bb.544:
	ds_load_b32 v2, v6 offset:528
; %bb.545:
	s_wait_alu 0xfffe
	s_or_b32 exec_lo, exec_lo, s3
	s_wait_dscnt 0x0
	ds_bpermute_b32 v4, v8, v2
	s_wait_dscnt 0x0
	v_add_f32_e32 v2, v2, v4
	ds_bpermute_b32 v4, v10, v2
	s_wait_dscnt 0x0
	v_add_f32_e32 v2, v2, v4
	v_mov_b32_e32 v4, 0
	ds_bpermute_b32 v2, v4, v2
	s_and_saveexec_b32 s0, s1
	s_cbranch_execz .LBB251_548
; %bb.546:
	s_wait_dscnt 0x0
	v_add_f32_e32 v4, 0x358637bd, v2
	s_mov_b32 s1, 0
	s_delay_alu instid0(VALU_DEP_1) | instskip(SKIP_1) | instid1(VALU_DEP_2)
	v_div_scale_f32 v5, null, v4, v4, 1.0
	v_div_scale_f32 v8, vcc_lo, 1.0, v4, 1.0
	v_rcp_f32_e32 v6, v5
	s_delay_alu instid0(TRANS32_DEP_1) | instskip(NEXT) | instid1(VALU_DEP_1)
	v_fma_f32 v7, -v5, v6, 1.0
	v_fmac_f32_e32 v6, v7, v6
	s_delay_alu instid0(VALU_DEP_1) | instskip(NEXT) | instid1(VALU_DEP_1)
	v_mul_f32_e32 v7, v8, v6
	v_fma_f32 v10, -v5, v7, v8
	s_delay_alu instid0(VALU_DEP_1) | instskip(NEXT) | instid1(VALU_DEP_1)
	v_fmac_f32_e32 v7, v10, v6
	v_fma_f32 v5, -v5, v7, v8
	s_wait_alu 0xfffd
	s_delay_alu instid0(VALU_DEP_1) | instskip(NEXT) | instid1(VALU_DEP_1)
	v_div_fmas_f32 v5, v5, v6, v7
	v_div_fixup_f32 v4, v5, v4, 1.0
	v_mov_b32_e32 v5, v0
.LBB251_547:                            ; =>This Inner Loop Header: Depth=1
	ds_load_b32 v6, v3
	s_wait_dscnt 0x0
	v_dual_mul_f32 v6, v4, v6 :: v_dual_add_nc_u32 v5, 0x80, v5
	s_delay_alu instid0(VALU_DEP_1)
	v_cmp_le_i32_e32 vcc_lo, s19, v5
	ds_store_b32 v3, v6
	v_add_nc_u32_e32 v3, 0x200, v3
	s_wait_alu 0xfffe
	s_or_b32 s1, vcc_lo, s1
	s_wait_alu 0xfffe
	s_and_not1_b32 exec_lo, exec_lo, s1
	s_cbranch_execnz .LBB251_547
.LBB251_548:
	s_wait_alu 0xfffe
	s_or_b32 exec_lo, exec_lo, s0
	s_mul_i32 s0, s12, s30
	s_wait_loadcnt_dscnt 0x0
	s_wait_alu 0xfffe
	s_mul_i32 s30, s0, s31
	s_mov_b32 s0, exec_lo
	s_barrier_signal -1
	s_barrier_wait -1
	global_inv scope:SCOPE_SE
	v_cmpx_eq_u32_e32 0, v0
	s_cbranch_execz .LBB251_550
; %bb.549:
	s_ashr_i32 s31, s30, 31
	s_wait_alu 0xfffe
	s_mul_i32 s38, s12, ttmp9
	s_lshl_b32 s1, s33, 2
	s_lshl_b64 s[40:41], s[30:31], 2
	s_wait_alu 0xfffe
	s_ashr_i32 s39, s38, 31
	v_mov_b32_e32 v3, s1
	s_wait_kmcnt 0x0
	s_add_nc_u64 s[6:7], s[6:7], s[40:41]
	s_wait_alu 0xfffe
	s_lshl_b64 s[38:39], s[38:39], 2
	s_add_nc_u64 s[4:5], s[4:5], s[40:41]
	s_wait_alu 0xfffe
	s_add_nc_u64 s[6:7], s[6:7], s[38:39]
	s_add_nc_u64 s[4:5], s[4:5], s[38:39]
	s_clause 0x1
	global_store_b32 v3, v1, s[6:7]
	global_store_b32 v3, v2, s[4:5]
.LBB251_550:
	s_wait_alu 0xfffe
	s_or_b32 exec_lo, exec_lo, s0
	v_dual_mov_b32 v22, 0 :: v_dual_mov_b32 v21, 0
	v_dual_mov_b32 v20, 0 :: v_dual_mov_b32 v19, 0
	;; [unrolled: 1-line block ×4, first 2 shown]
	s_and_saveexec_b32 s1, s2
	s_cbranch_execz .LBB251_1084
; %bb.551:
	s_wait_kmcnt 0x0
	s_abs_i32 s4, s14
	s_lshl_b64 s[28:29], s[28:29], 2
	s_wait_alu 0xfffe
	s_cvt_f32_u32 s0, s4
	v_dual_mov_b32 v2, 0 :: v_dual_lshlrev_b32 v5, 3, v14
	s_ashr_i32 s19, s18, 31
	s_wait_alu 0xfffe
	v_rcp_iflag_f32_e32 v1, s0
	s_add_nc_u64 s[26:27], s[26:27], s[28:29]
	s_sub_co_i32 s5, s37, s13
	s_add_nc_u64 s[18:19], s[34:35], s[18:19]
	v_add_co_u32 v3, s13, s26, v9
	s_sub_co_i32 s7, 0, s4
	v_add_co_ci_u32_e64 v4, null, s27, 0, s13
	s_wait_alu 0xfffe
	v_add_co_u32 v5, s13, s18, v5
	s_delay_alu instid0(TRANS32_DEP_1)
	v_readfirstlane_b32 s0, v1
	v_lshl_add_u32 v23, v11, 5, 0x220
	v_dual_mov_b32 v15, 0 :: v_dual_mov_b32 v16, 0
	v_dual_mov_b32 v17, 0 :: v_dual_mov_b32 v18, 0
	s_mul_f32 s0, s0, 0x4f7ffffe
	v_add_co_ci_u32_e64 v6, null, s19, 0, s13
	v_dual_mov_b32 v19, 0 :: v_dual_mov_b32 v20, 0
	s_wait_alu 0xfffe
	s_cvt_u32_f32 s0, s0
	v_dual_mov_b32 v21, 0 :: v_dual_mov_b32 v22, 0
	s_mov_b32 s2, -1
	s_wait_alu 0xfffe
	s_mul_i32 s7, s7, s0
	s_mov_b32 s6, s17
	s_wait_alu 0xfffe
	s_mul_hi_u32 s13, s0, s7
	s_mov_b32 s3, 0xffffff
	s_add_co_i32 s36, s36, -1
	s_mov_b32 s7, 0
	s_wait_alu 0xfffe
	s_add_co_i32 s13, s0, s13
	s_branch .LBB251_554
.LBB251_552:                            ;   in Loop: Header=BB251_554 Depth=1
	s_wait_alu 0xfffe
	s_or_b32 exec_lo, exec_lo, s0
	v_dual_add_f32 v9, v9, v10 :: v_dual_add_f32 v24, v43, v44
	v_add_f32_e32 v10, v45, v46
	s_delay_alu instid0(VALU_DEP_2) | instskip(NEXT) | instid1(VALU_DEP_3)
	v_add_f32_e32 v16, v16, v9
	v_dual_add_f32 v18, v18, v24 :: v_dual_add_f32 v9, v41, v42
	s_delay_alu instid0(VALU_DEP_3)
	v_add_f32_e32 v17, v17, v10
	;;#ASMSTART
	v_pk_mul_f16 v10, v36, v47;

	;;#ASMEND
	;;#ASMSTART
	v_pk_mul_f16 v8, v35, v8;

	;;#ASMEND
	;; [unrolled: 4-line block ×4, first 2 shown]
	;;#ASMSTART
	v_pk_add_f16 v8, v10, v8;

	;;#ASMEND
	;;#ASMSTART
	v_pk_add_f16 v7, v8, v7;

	;;#ASMEND
	;; [unrolled: 4-line block ×3, first 2 shown]
	v_dual_add_f32 v7, v37, v38 :: v_dual_and_b32 v10, 0xffff, v1
	v_lshrrev_b32_e32 v24, 16, v1
	;;#ASMSTART
	v_cvt_f32_f16 v10, v10;
	;;#ASMEND
	v_add_f32_e32 v1, v39, v40
	v_dual_add_f32 v8, v30, v32 :: v_dual_add_f32 v19, v19, v9
	;;#ASMSTART
	v_cvt_f32_f16 v24, v24;
	;;#ASMEND
	v_dual_add_f32 v10, v10, v24 :: v_dual_add_f32 v21, v21, v7
	s_delay_alu instid0(VALU_DEP_3) | instskip(NEXT) | instid1(VALU_DEP_2)
	v_add_f32_e32 v20, v20, v1
	v_dual_add_f32 v22, v22, v8 :: v_dual_add_f32 v15, v15, v10
.LBB251_553:                            ;   in Loop: Header=BB251_554 Depth=1
	s_wait_alu 0xfffe
	s_or_b32 exec_lo, exec_lo, s14
	v_add_nc_u32_e32 v13, 4, v13
	v_add_co_u32 v3, s0, v3, 16
	s_wait_alu 0xf1ff
	v_add_co_ci_u32_e64 v4, null, 0, v4, s0
	s_delay_alu instid0(VALU_DEP_3)
	v_cmp_le_i32_e32 vcc_lo, s25, v13
	v_add_nc_u32_e32 v12, 32, v12
	v_add_nc_u32_e32 v23, 0x80, v23
	s_or_b32 s7, vcc_lo, s7
	s_wait_alu 0xfffe
	s_and_not1_b32 exec_lo, exec_lo, s7
	s_cbranch_execz .LBB251_1083
.LBB251_554:                            ; =>This Inner Loop Header: Depth=1
	v_sub_nc_u32_e32 v1, 0, v12
	s_delay_alu instid0(VALU_DEP_1) | instskip(NEXT) | instid1(VALU_DEP_1)
	v_max_i32_e32 v1, v12, v1
	v_mul_hi_u32 v7, v1, s24
	s_delay_alu instid0(VALU_DEP_1) | instskip(NEXT) | instid1(VALU_DEP_1)
	v_mul_lo_u32 v8, v7, s16
	v_sub_nc_u32_e32 v1, v1, v8
	s_delay_alu instid0(VALU_DEP_1) | instskip(SKIP_2) | instid1(VALU_DEP_2)
	v_subrev_nc_u32_e32 v9, s16, v1
	v_cmp_le_u32_e32 vcc_lo, s16, v1
	s_wait_alu 0xfffd
	v_dual_cndmask_b32 v1, v1, v9 :: v_dual_add_nc_u32 v8, 1, v7
	s_delay_alu instid0(VALU_DEP_1) | instskip(SKIP_1) | instid1(VALU_DEP_3)
	v_cndmask_b32_e32 v7, v7, v8, vcc_lo
	v_ashrrev_i32_e32 v8, 31, v12
	v_cmp_le_u32_e32 vcc_lo, s16, v1
	s_delay_alu instid0(VALU_DEP_3) | instskip(NEXT) | instid1(VALU_DEP_3)
	v_add_nc_u32_e32 v9, 1, v7
	v_xor_b32_e32 v8, s15, v8
	s_wait_alu 0xfffd
	s_delay_alu instid0(VALU_DEP_2) | instskip(NEXT) | instid1(VALU_DEP_1)
	v_cndmask_b32_e32 v1, v7, v9, vcc_lo
	v_xor_b32_e32 v1, v1, v8
	s_delay_alu instid0(VALU_DEP_1) | instskip(NEXT) | instid1(VALU_DEP_1)
	v_sub_nc_u32_e32 v1, v1, v8
	v_add_nc_u32_e32 v7, s23, v1
	v_cmp_lt_i32_e64 s0, s5, v1
	s_delay_alu instid0(VALU_DEP_2) | instskip(NEXT) | instid1(VALU_DEP_1)
	v_sub_nc_u32_e32 v8, 0, v7
	v_max_i32_e32 v8, v7, v8
	v_ashrrev_i32_e32 v7, 31, v7
	s_wait_alu 0xfffe
	s_delay_alu instid0(VALU_DEP_2) | instskip(NEXT) | instid1(VALU_DEP_1)
	v_mul_hi_u32 v9, v8, s13
	v_mul_lo_u32 v9, v9, s4
	s_delay_alu instid0(VALU_DEP_1) | instskip(NEXT) | instid1(VALU_DEP_1)
	v_sub_nc_u32_e32 v8, v8, v9
	v_subrev_nc_u32_e32 v9, s4, v8
	v_cmp_le_u32_e32 vcc_lo, s4, v8
	s_wait_alu 0xfffd
	s_delay_alu instid0(VALU_DEP_2) | instskip(NEXT) | instid1(VALU_DEP_1)
	v_cndmask_b32_e32 v8, v8, v9, vcc_lo
	v_subrev_nc_u32_e32 v9, s4, v8
	v_cmp_le_u32_e32 vcc_lo, s4, v8
	s_wait_alu 0xfffd
	s_delay_alu instid0(VALU_DEP_2) | instskip(NEXT) | instid1(VALU_DEP_1)
	v_cndmask_b32_e32 v8, v8, v9, vcc_lo
	v_xor_b32_e32 v8, v8, v7
	s_delay_alu instid0(VALU_DEP_1) | instskip(NEXT) | instid1(VALU_DEP_1)
	v_sub_nc_u32_e32 v7, v8, v7
	v_cmp_eq_u32_e32 vcc_lo, 0, v7
	s_or_b32 s0, vcc_lo, s0
	s_wait_alu 0xfffe
	s_and_saveexec_b32 s14, s0
	s_cbranch_execz .LBB251_553
; %bb.555:                              ;   in Loop: Header=BB251_554 Depth=1
	global_load_b32 v1, v[3:4], off
	ds_load_2addr_b64 v[24:27], v23 offset1:1
	ds_load_2addr_b64 v[36:39], v23 offset0:2 offset1:3
	s_mov_b32 s0, exec_lo
	s_wait_dscnt 0x1
	;;#ASMSTART
	v_cvt_f16_f32 v30, v24;

	;;#ASMEND
	;;#ASMSTART
	v_cvt_f16_f32 v32, v25;

	;;#ASMEND
	;; [unrolled: 4-line block ×4, first 2 shown]
	s_wait_dscnt 0x0
	;;#ASMSTART
	v_cvt_f16_f32 v36, v36;

	;;#ASMEND
	;;#ASMSTART
	v_cvt_f16_f32 v34, v37;

	;;#ASMEND
	;; [unrolled: 4-line block ×4, first 2 shown]
	v_dual_mov_b32 v25, 0 :: v_dual_mov_b32 v26, 0
	global_load_b32 v24, v25, s[10:11]
	s_wait_loadcnt 0x1
	v_mad_co_i64_i32 v[7:8], null, v1, s6, v[5:6]
	global_load_b64 v[9:10], v[7:8], off
	s_wait_loadcnt 0x0
	v_and_b32_e32 v1, 0xff, v9
	s_delay_alu instid0(VALU_DEP_1)
	v_cmpx_ne_u16_e32 0, v1
	s_cbranch_execz .LBB251_563
; %bb.556:                              ;   in Loop: Header=BB251_554 Depth=1
	v_mov_b32_e32 v26, 0x8000
	s_mov_b32 s17, exec_lo
	v_cmpx_ne_u16_e32 0x80, v1
	s_cbranch_execz .LBB251_562
; %bb.557:                              ;   in Loop: Header=BB251_554 Depth=1
	v_and_b32_e32 v27, 0x7f, v9
	v_mov_b32_e32 v26, 0x7c01
	s_mov_b32 s18, exec_lo
	s_delay_alu instid0(VALU_DEP_2)
	v_cmpx_ne_u32_e32 0x7f, v27
	s_cbranch_execz .LBB251_561
; %bb.558:                              ;   in Loop: Header=BB251_554 Depth=1
	v_and_b32_e32 v1, 7, v9
	v_lshrrev_b32_e32 v26, 3, v27
	s_mov_b32 s19, exec_lo
	v_cmpx_gt_u32_e32 8, v27
; %bb.559:                              ;   in Loop: Header=BB251_554 Depth=1
	s_delay_alu instid0(VALU_DEP_3) | instskip(NEXT) | instid1(VALU_DEP_1)
	v_clz_i32_u32_e32 v1, v1
	v_min_u32_e32 v1, 32, v1
	s_delay_alu instid0(VALU_DEP_1) | instskip(NEXT) | instid1(VALU_DEP_1)
	v_subrev_nc_u32_e32 v26, 28, v1
	v_lshlrev_b64_e32 v[27:28], v26, v[9:10]
	v_sub_nc_u32_e32 v26, 29, v1
	s_delay_alu instid0(VALU_DEP_2)
	v_and_b32_e32 v1, 7, v27
; %bb.560:                              ;   in Loop: Header=BB251_554 Depth=1
	s_wait_alu 0xfffe
	s_or_b32 exec_lo, exec_lo, s19
	v_lshlrev_b32_e32 v27, 8, v9
	v_lshl_add_u32 v26, v26, 10, 0x2000
	v_lshlrev_b32_e32 v1, 7, v1
	s_delay_alu instid0(VALU_DEP_3) | instskip(NEXT) | instid1(VALU_DEP_3)
	v_and_b32_e32 v27, 0x8000, v27
	v_and_b32_e32 v26, 0xfc00, v26
	s_delay_alu instid0(VALU_DEP_1)
	v_or3_b32 v26, v27, v26, v1
.LBB251_561:                            ;   in Loop: Header=BB251_554 Depth=1
	s_wait_alu 0xfffe
	s_or_b32 exec_lo, exec_lo, s18
.LBB251_562:                            ;   in Loop: Header=BB251_554 Depth=1
	s_wait_alu 0xfffe
	s_or_b32 exec_lo, exec_lo, s17
.LBB251_563:                            ;   in Loop: Header=BB251_554 Depth=1
	s_wait_alu 0xfffe
	s_or_b32 exec_lo, exec_lo, s0
	v_lshrrev_b16 v1, 8, v9
	s_mov_b32 s0, exec_lo
	s_delay_alu instid0(VALU_DEP_1)
	v_cmpx_ne_u16_e32 0, v1
	s_cbranch_execz .LBB251_571
; %bb.564:                              ;   in Loop: Header=BB251_554 Depth=1
	v_bfrev_b32_e32 v25, 1
	s_mov_b32 s17, exec_lo
	v_cmpx_ne_u16_e32 0x80, v1
	s_cbranch_execz .LBB251_570
; %bb.565:                              ;   in Loop: Header=BB251_554 Depth=1
	v_and_b32_e32 v27, 0xffff, v1
	v_mov_b32_e32 v25, 0x7c010000
	s_mov_b32 s18, exec_lo
	s_delay_alu instid0(VALU_DEP_2) | instskip(NEXT) | instid1(VALU_DEP_1)
	v_and_b32_e32 v29, 0x7f, v27
	v_cmpx_ne_u32_e32 0x7f, v29
	s_cbranch_execz .LBB251_569
; %bb.566:                              ;   in Loop: Header=BB251_554 Depth=1
	v_and_b32_e32 v25, 7, v27
	v_lshrrev_b32_e32 v28, 3, v29
	s_mov_b32 s19, exec_lo
	v_cmpx_gt_u32_e32 8, v29
; %bb.567:                              ;   in Loop: Header=BB251_554 Depth=1
	s_delay_alu instid0(VALU_DEP_3) | instskip(NEXT) | instid1(VALU_DEP_1)
	v_clz_i32_u32_e32 v25, v25
	v_min_u32_e32 v25, 32, v25
	s_delay_alu instid0(VALU_DEP_1) | instskip(NEXT) | instid1(VALU_DEP_1)
	v_subrev_nc_u32_e32 v28, 28, v25
	v_lshlrev_b64_e32 v[39:40], v28, v[1:2]
	v_sub_nc_u32_e32 v28, 29, v25
	s_delay_alu instid0(VALU_DEP_2)
	v_and_b32_e32 v25, 7, v39
; %bb.568:                              ;   in Loop: Header=BB251_554 Depth=1
	s_wait_alu 0xfffe
	s_or_b32 exec_lo, exec_lo, s19
	v_lshlrev_b32_e32 v1, 8, v27
	v_lshl_add_u32 v27, v28, 10, 0x2000
	v_lshlrev_b32_e32 v25, 23, v25
	s_delay_alu instid0(VALU_DEP_2) | instskip(NEXT) | instid1(VALU_DEP_1)
	v_and_or_b32 v1, 0x8000, v1, v27
	v_lshl_or_b32 v25, v1, 16, v25
.LBB251_569:                            ;   in Loop: Header=BB251_554 Depth=1
	s_wait_alu 0xfffe
	s_or_b32 exec_lo, exec_lo, s18
.LBB251_570:                            ;   in Loop: Header=BB251_554 Depth=1
	s_wait_alu 0xfffe
	s_or_b32 exec_lo, exec_lo, s17
.LBB251_571:                            ;   in Loop: Header=BB251_554 Depth=1
	s_wait_alu 0xfffe
	s_or_b32 exec_lo, exec_lo, s0
	v_lshrrev_b32_e32 v1, 16, v9
	v_mov_b32_e32 v27, 0
	s_mov_b32 s0, exec_lo
	s_delay_alu instid0(VALU_DEP_2) | instskip(NEXT) | instid1(VALU_DEP_1)
	v_dual_mov_b32 v28, 0 :: v_dual_and_b32 v29, 0xff, v1
	v_cmpx_ne_u16_e32 0, v29
	s_cbranch_execz .LBB251_579
; %bb.572:                              ;   in Loop: Header=BB251_554 Depth=1
	v_mov_b32_e32 v28, 0x8000
	s_mov_b32 s17, exec_lo
	v_cmpx_ne_u16_e32 0x80, v29
	s_cbranch_execz .LBB251_578
; %bb.573:                              ;   in Loop: Header=BB251_554 Depth=1
	v_bfe_u32 v31, v9, 16, 7
	v_mov_b32_e32 v28, 0x7c01
	s_mov_b32 s18, exec_lo
	s_delay_alu instid0(VALU_DEP_2)
	v_cmpx_ne_u32_e32 0x7f, v31
	s_cbranch_execz .LBB251_577
; %bb.574:                              ;   in Loop: Header=BB251_554 Depth=1
	v_and_b32_e32 v28, 7, v1
	v_lshrrev_b32_e32 v29, 3, v31
	s_mov_b32 s19, exec_lo
	v_cmpx_gt_u32_e32 8, v31
; %bb.575:                              ;   in Loop: Header=BB251_554 Depth=1
	s_delay_alu instid0(VALU_DEP_3) | instskip(NEXT) | instid1(VALU_DEP_1)
	v_clz_i32_u32_e32 v28, v28
	v_min_u32_e32 v31, 32, v28
	s_delay_alu instid0(VALU_DEP_1) | instskip(NEXT) | instid1(VALU_DEP_1)
	v_subrev_nc_u32_e32 v28, 28, v31
	v_lshlrev_b64_e32 v[28:29], v28, v[1:2]
	v_sub_nc_u32_e32 v29, 29, v31
	s_delay_alu instid0(VALU_DEP_2)
	v_and_b32_e32 v28, 7, v28
; %bb.576:                              ;   in Loop: Header=BB251_554 Depth=1
	s_wait_alu 0xfffe
	s_or_b32 exec_lo, exec_lo, s19
	v_lshlrev_b32_e32 v1, 8, v1
	v_lshl_add_u32 v29, v29, 10, 0x2000
	v_lshlrev_b32_e32 v28, 7, v28
	s_delay_alu instid0(VALU_DEP_3) | instskip(NEXT) | instid1(VALU_DEP_3)
	v_and_b32_e32 v1, 0x8000, v1
	v_and_b32_e32 v29, 0xfc00, v29
	s_delay_alu instid0(VALU_DEP_1)
	v_or3_b32 v28, v1, v29, v28
.LBB251_577:                            ;   in Loop: Header=BB251_554 Depth=1
	s_wait_alu 0xfffe
	s_or_b32 exec_lo, exec_lo, s18
.LBB251_578:                            ;   in Loop: Header=BB251_554 Depth=1
	s_wait_alu 0xfffe
	s_or_b32 exec_lo, exec_lo, s17
.LBB251_579:                            ;   in Loop: Header=BB251_554 Depth=1
	s_wait_alu 0xfffe
	s_or_b32 exec_lo, exec_lo, s0
	s_delay_alu instid0(SALU_CYCLE_1)
	s_mov_b32 s0, exec_lo
	v_cmpx_lt_u32_e32 0xffffff, v9
	s_cbranch_execz .LBB251_587
; %bb.580:                              ;   in Loop: Header=BB251_554 Depth=1
	v_lshrrev_b32_e32 v1, 24, v9
	v_bfrev_b32_e32 v27, 1
	s_mov_b32 s17, exec_lo
	s_delay_alu instid0(VALU_DEP_2)
	v_cmpx_ne_u32_e32 0x80, v1
	s_cbranch_execz .LBB251_586
; %bb.581:                              ;   in Loop: Header=BB251_554 Depth=1
	v_and_b32_e32 v31, 0x7f, v1
	v_mov_b32_e32 v27, 0x7c010000
	s_mov_b32 s18, exec_lo
	s_delay_alu instid0(VALU_DEP_2)
	v_cmpx_ne_u32_e32 0x7f, v31
	s_cbranch_execz .LBB251_585
; %bb.582:                              ;   in Loop: Header=BB251_554 Depth=1
	v_and_b32_e32 v27, 7, v1
	v_lshrrev_b32_e32 v29, 3, v31
	s_mov_b32 s19, exec_lo
	v_cmpx_gt_u32_e32 8, v31
; %bb.583:                              ;   in Loop: Header=BB251_554 Depth=1
	s_delay_alu instid0(VALU_DEP_3) | instskip(NEXT) | instid1(VALU_DEP_1)
	v_clz_i32_u32_e32 v27, v27
	v_min_u32_e32 v27, 32, v27
	s_delay_alu instid0(VALU_DEP_1) | instskip(NEXT) | instid1(VALU_DEP_1)
	v_subrev_nc_u32_e32 v29, 28, v27
	v_lshlrev_b64_e32 v[39:40], v29, v[1:2]
	v_sub_nc_u32_e32 v29, 29, v27
	s_delay_alu instid0(VALU_DEP_2)
	v_and_b32_e32 v27, 7, v39
; %bb.584:                              ;   in Loop: Header=BB251_554 Depth=1
	s_wait_alu 0xfffe
	s_or_b32 exec_lo, exec_lo, s19
	v_lshlrev_b32_e32 v1, 8, v1
	v_lshl_add_u32 v29, v29, 10, 0x2000
	v_lshlrev_b32_e32 v27, 23, v27
	s_delay_alu instid0(VALU_DEP_2) | instskip(NEXT) | instid1(VALU_DEP_1)
	v_and_or_b32 v1, 0x8000, v1, v29
	v_lshl_or_b32 v27, v1, 16, v27
.LBB251_585:                            ;   in Loop: Header=BB251_554 Depth=1
	s_wait_alu 0xfffe
	s_or_b32 exec_lo, exec_lo, s18
.LBB251_586:                            ;   in Loop: Header=BB251_554 Depth=1
	s_wait_alu 0xfffe
	s_or_b32 exec_lo, exec_lo, s17
.LBB251_587:                            ;   in Loop: Header=BB251_554 Depth=1
	s_wait_alu 0xfffe
	s_or_b32 exec_lo, exec_lo, s0
	v_and_b32_e32 v39, 0xff, v10
	v_mov_b32_e32 v1, v10
	v_mov_b32_e32 v29, 0
	;; [unrolled: 1-line block ×3, first 2 shown]
	s_mov_b32 s0, exec_lo
	v_cmpx_ne_u16_e32 0, v39
	s_cbranch_execz .LBB251_595
; %bb.588:                              ;   in Loop: Header=BB251_554 Depth=1
	v_mov_b32_e32 v31, 0x8000
	s_mov_b32 s17, exec_lo
	v_cmpx_ne_u16_e32 0x80, v39
	s_cbranch_execz .LBB251_594
; %bb.589:                              ;   in Loop: Header=BB251_554 Depth=1
	v_and_b32_e32 v40, 0x7f, v10
	v_mov_b32_e32 v31, 0x7c01
	s_mov_b32 s18, exec_lo
	s_delay_alu instid0(VALU_DEP_2)
	v_cmpx_ne_u32_e32 0x7f, v40
	s_cbranch_execz .LBB251_593
; %bb.590:                              ;   in Loop: Header=BB251_554 Depth=1
	v_and_b32_e32 v31, 7, v10
	v_lshrrev_b32_e32 v39, 3, v40
	s_mov_b32 s19, exec_lo
	v_cmpx_gt_u32_e32 8, v40
; %bb.591:                              ;   in Loop: Header=BB251_554 Depth=1
	s_delay_alu instid0(VALU_DEP_3) | instskip(NEXT) | instid1(VALU_DEP_1)
	v_clz_i32_u32_e32 v31, v31
	v_min_u32_e32 v31, 32, v31
	s_delay_alu instid0(VALU_DEP_1) | instskip(NEXT) | instid1(VALU_DEP_1)
	v_subrev_nc_u32_e32 v39, 28, v31
	v_lshlrev_b64_e32 v[40:41], v39, v[1:2]
	v_sub_nc_u32_e32 v39, 29, v31
	s_delay_alu instid0(VALU_DEP_2)
	v_and_b32_e32 v31, 7, v40
; %bb.592:                              ;   in Loop: Header=BB251_554 Depth=1
	s_wait_alu 0xfffe
	s_or_b32 exec_lo, exec_lo, s19
	v_lshlrev_b32_e32 v40, 8, v10
	v_lshl_add_u32 v39, v39, 10, 0x2000
	v_lshlrev_b32_e32 v31, 7, v31
	s_delay_alu instid0(VALU_DEP_3) | instskip(NEXT) | instid1(VALU_DEP_3)
	v_and_b32_e32 v40, 0x8000, v40
	v_and_b32_e32 v39, 0xfc00, v39
	s_delay_alu instid0(VALU_DEP_1)
	v_or3_b32 v31, v40, v39, v31
.LBB251_593:                            ;   in Loop: Header=BB251_554 Depth=1
	s_wait_alu 0xfffe
	s_or_b32 exec_lo, exec_lo, s18
.LBB251_594:                            ;   in Loop: Header=BB251_554 Depth=1
	s_wait_alu 0xfffe
	s_or_b32 exec_lo, exec_lo, s17
.LBB251_595:                            ;   in Loop: Header=BB251_554 Depth=1
	s_wait_alu 0xfffe
	s_or_b32 exec_lo, exec_lo, s0
	v_lshrrev_b16 v1, 8, v1
	v_mov_b32_e32 v39, 0
	s_mov_b32 s0, exec_lo
	s_delay_alu instid0(VALU_DEP_2)
	v_cmpx_ne_u16_e32 0, v1
	s_cbranch_execz .LBB251_603
; %bb.596:                              ;   in Loop: Header=BB251_554 Depth=1
	v_bfrev_b32_e32 v39, 1
	s_mov_b32 s17, exec_lo
	v_cmpx_ne_u16_e32 0x80, v1
	s_cbranch_execz .LBB251_602
; %bb.597:                              ;   in Loop: Header=BB251_554 Depth=1
	v_and_b32_e32 v40, 0xffff, v1
	v_mov_b32_e32 v39, 0x7c010000
	s_mov_b32 s18, exec_lo
	s_delay_alu instid0(VALU_DEP_2) | instskip(NEXT) | instid1(VALU_DEP_1)
	v_and_b32_e32 v42, 0x7f, v40
	v_cmpx_ne_u32_e32 0x7f, v42
	s_cbranch_execz .LBB251_601
; %bb.598:                              ;   in Loop: Header=BB251_554 Depth=1
	v_and_b32_e32 v39, 7, v40
	v_lshrrev_b32_e32 v41, 3, v42
	s_mov_b32 s19, exec_lo
	v_cmpx_gt_u32_e32 8, v42
; %bb.599:                              ;   in Loop: Header=BB251_554 Depth=1
	s_delay_alu instid0(VALU_DEP_3) | instskip(NEXT) | instid1(VALU_DEP_1)
	v_clz_i32_u32_e32 v39, v39
	v_min_u32_e32 v39, 32, v39
	s_delay_alu instid0(VALU_DEP_1) | instskip(NEXT) | instid1(VALU_DEP_1)
	v_subrev_nc_u32_e32 v41, 28, v39
	v_lshlrev_b64_e32 v[42:43], v41, v[1:2]
	v_sub_nc_u32_e32 v41, 29, v39
	s_delay_alu instid0(VALU_DEP_2)
	v_and_b32_e32 v39, 7, v42
; %bb.600:                              ;   in Loop: Header=BB251_554 Depth=1
	s_wait_alu 0xfffe
	s_or_b32 exec_lo, exec_lo, s19
	v_lshlrev_b32_e32 v1, 8, v40
	v_lshl_add_u32 v40, v41, 10, 0x2000
	v_lshlrev_b32_e32 v39, 23, v39
	s_delay_alu instid0(VALU_DEP_2) | instskip(NEXT) | instid1(VALU_DEP_1)
	v_and_or_b32 v1, 0x8000, v1, v40
	v_lshl_or_b32 v39, v1, 16, v39
.LBB251_601:                            ;   in Loop: Header=BB251_554 Depth=1
	s_wait_alu 0xfffe
	s_or_b32 exec_lo, exec_lo, s18
.LBB251_602:                            ;   in Loop: Header=BB251_554 Depth=1
	s_wait_alu 0xfffe
	s_or_b32 exec_lo, exec_lo, s17
.LBB251_603:                            ;   in Loop: Header=BB251_554 Depth=1
	s_wait_alu 0xfffe
	s_or_b32 exec_lo, exec_lo, s0
	v_lshrrev_b32_e32 v1, 16, v10
	s_mov_b32 s0, exec_lo
	s_delay_alu instid0(VALU_DEP_1) | instskip(NEXT) | instid1(VALU_DEP_1)
	v_and_b32_e32 v40, 0xff, v1
	v_cmpx_ne_u16_e32 0, v40
	s_cbranch_execz .LBB251_611
; %bb.604:                              ;   in Loop: Header=BB251_554 Depth=1
	v_mov_b32_e32 v29, 0x8000
	s_mov_b32 s17, exec_lo
	v_cmpx_ne_u16_e32 0x80, v40
	s_cbranch_execz .LBB251_610
; %bb.605:                              ;   in Loop: Header=BB251_554 Depth=1
	v_bfe_u32 v41, v10, 16, 7
	v_mov_b32_e32 v29, 0x7c01
	s_mov_b32 s18, exec_lo
	s_delay_alu instid0(VALU_DEP_2)
	v_cmpx_ne_u32_e32 0x7f, v41
	s_cbranch_execz .LBB251_609
; %bb.606:                              ;   in Loop: Header=BB251_554 Depth=1
	v_and_b32_e32 v29, 7, v1
	v_lshrrev_b32_e32 v40, 3, v41
	s_mov_b32 s19, exec_lo
	v_cmpx_gt_u32_e32 8, v41
; %bb.607:                              ;   in Loop: Header=BB251_554 Depth=1
	s_delay_alu instid0(VALU_DEP_3) | instskip(NEXT) | instid1(VALU_DEP_1)
	v_clz_i32_u32_e32 v29, v29
	v_min_u32_e32 v29, 32, v29
	s_delay_alu instid0(VALU_DEP_1) | instskip(NEXT) | instid1(VALU_DEP_1)
	v_subrev_nc_u32_e32 v40, 28, v29
	v_lshlrev_b64_e32 v[41:42], v40, v[1:2]
	v_sub_nc_u32_e32 v40, 29, v29
	s_delay_alu instid0(VALU_DEP_2)
	v_and_b32_e32 v29, 7, v41
; %bb.608:                              ;   in Loop: Header=BB251_554 Depth=1
	s_wait_alu 0xfffe
	s_or_b32 exec_lo, exec_lo, s19
	v_lshlrev_b32_e32 v1, 8, v1
	v_lshl_add_u32 v40, v40, 10, 0x2000
	v_lshlrev_b32_e32 v29, 7, v29
	s_delay_alu instid0(VALU_DEP_3) | instskip(NEXT) | instid1(VALU_DEP_3)
	v_and_b32_e32 v1, 0x8000, v1
	v_and_b32_e32 v40, 0xfc00, v40
	s_delay_alu instid0(VALU_DEP_1)
	v_or3_b32 v29, v1, v40, v29
.LBB251_609:                            ;   in Loop: Header=BB251_554 Depth=1
	s_wait_alu 0xfffe
	s_or_b32 exec_lo, exec_lo, s18
.LBB251_610:                            ;   in Loop: Header=BB251_554 Depth=1
	s_wait_alu 0xfffe
	s_or_b32 exec_lo, exec_lo, s17
.LBB251_611:                            ;   in Loop: Header=BB251_554 Depth=1
	s_wait_alu 0xfffe
	s_or_b32 exec_lo, exec_lo, s0
	v_cmp_lt_u64_e32 vcc_lo, s[2:3], v[9:10]
	v_mov_b32_e32 v9, 0
	s_and_saveexec_b32 s0, vcc_lo
	s_cbranch_execz .LBB251_619
; %bb.612:                              ;   in Loop: Header=BB251_554 Depth=1
	v_lshrrev_b32_e32 v1, 24, v10
	v_bfrev_b32_e32 v9, 1
	s_mov_b32 s17, exec_lo
	s_delay_alu instid0(VALU_DEP_2)
	v_cmpx_ne_u32_e32 0x80, v1
	s_cbranch_execz .LBB251_618
; %bb.613:                              ;   in Loop: Header=BB251_554 Depth=1
	v_and_b32_e32 v40, 0x7f, v1
	v_mov_b32_e32 v9, 0x7c010000
	s_mov_b32 s18, exec_lo
	s_delay_alu instid0(VALU_DEP_2)
	v_cmpx_ne_u32_e32 0x7f, v40
	s_cbranch_execz .LBB251_617
; %bb.614:                              ;   in Loop: Header=BB251_554 Depth=1
	v_and_b32_e32 v9, 7, v1
	v_lshrrev_b32_e32 v10, 3, v40
	s_mov_b32 s19, exec_lo
	v_cmpx_gt_u32_e32 8, v40
; %bb.615:                              ;   in Loop: Header=BB251_554 Depth=1
	s_delay_alu instid0(VALU_DEP_3) | instskip(NEXT) | instid1(VALU_DEP_1)
	v_clz_i32_u32_e32 v9, v9
	v_min_u32_e32 v40, 32, v9
	s_delay_alu instid0(VALU_DEP_1) | instskip(NEXT) | instid1(VALU_DEP_1)
	v_subrev_nc_u32_e32 v9, 28, v40
	v_lshlrev_b64_e32 v[9:10], v9, v[1:2]
	v_sub_nc_u32_e32 v10, 29, v40
	s_delay_alu instid0(VALU_DEP_2)
	v_and_b32_e32 v9, 7, v9
; %bb.616:                              ;   in Loop: Header=BB251_554 Depth=1
	s_wait_alu 0xfffe
	s_or_b32 exec_lo, exec_lo, s19
	v_lshlrev_b32_e32 v1, 8, v1
	v_lshl_add_u32 v10, v10, 10, 0x2000
	v_lshlrev_b32_e32 v9, 23, v9
	s_delay_alu instid0(VALU_DEP_2) | instskip(NEXT) | instid1(VALU_DEP_1)
	v_and_or_b32 v1, 0x8000, v1, v10
	v_lshl_or_b32 v9, v1, 16, v9
.LBB251_617:                            ;   in Loop: Header=BB251_554 Depth=1
	s_wait_alu 0xfffe
	s_or_b32 exec_lo, exec_lo, s18
.LBB251_618:                            ;   in Loop: Header=BB251_554 Depth=1
	s_wait_alu 0xfffe
	s_or_b32 exec_lo, exec_lo, s17
.LBB251_619:                            ;   in Loop: Header=BB251_554 Depth=1
	s_wait_alu 0xfffe
	s_or_b32 exec_lo, exec_lo, s0
	v_or_b32_e32 v1, v27, v28
	v_fma_mixlo_f16 v10, v24, v27, 0 op_sel:[0,1,0] op_sel_hi:[0,1,0]
	v_or_b32_e32 v26, v25, v26
	v_fma_mixlo_f16 v25, v24, v25, 0 op_sel:[0,1,0] op_sel_hi:[0,1,0]
	v_or_b32_e32 v27, v39, v31
	v_fma_mixlo_f16 v1, v24, v1, 0 op_sel_hi:[0,1,0]
	v_or_b32_e32 v28, v9, v29
	v_fma_mixlo_f16 v9, v24, v9, 0 op_sel:[0,1,0] op_sel_hi:[0,1,0]
	v_lshlrev_b32_e32 v45, 16, v25
	v_fma_mixlo_f16 v25, v24, v26, 0 op_sel_hi:[0,1,0]
	v_and_b32_e32 v42, 0xffff, v1
	v_fma_mixlo_f16 v1, v24, v39, 0 op_sel:[0,1,0] op_sel_hi:[0,1,0]
	v_fma_mixlo_f16 v26, v24, v27, 0 op_sel_hi:[0,1,0]
	v_fma_mixlo_f16 v24, v24, v28, 0 op_sel_hi:[0,1,0]
	v_lshlrev_b32_e32 v10, 16, v10
	v_and_b32_e32 v47, 0xffff, v25
	v_lshlrev_b32_e32 v43, 16, v1
	v_and_b32_e32 v46, 0xffff, v26
	;; [unrolled: 2-line block ×3, first 2 shown]
	v_cmp_eq_u32_e32 vcc_lo, s36, v13
	v_or_b32_e32 v1, v10, v42
	v_or_b32_e32 v9, v45, v47
	;; [unrolled: 1-line block ×4, first 2 shown]
	v_add_nc_u32_e32 v31, 1, v12
	v_add_nc_u32_e32 v29, 2, v12
	;; [unrolled: 1-line block ×7, first 2 shown]
	s_and_saveexec_b32 s17, vcc_lo
	s_cbranch_execz .LBB251_621
; %bb.620:                              ;   in Loop: Header=BB251_554 Depth=1
	v_cmp_gt_i32_e64 s0, s21, v12
	s_wait_alu 0xf1ff
	s_delay_alu instid0(VALU_DEP_1) | instskip(SKIP_2) | instid1(VALU_DEP_1)
	v_cndmask_b32_e64 v1, 0, v47, s0
	v_cmp_gt_i32_e64 s0, s21, v31
	s_wait_alu 0xf1ff
	v_cndmask_b32_e64 v9, 0, v45, s0
	v_cmp_gt_i32_e64 s0, s21, v29
	s_delay_alu instid0(VALU_DEP_2) | instskip(SKIP_1) | instid1(VALU_DEP_2)
	v_or_b32_e32 v9, v9, v1
	s_wait_alu 0xf1ff
	v_cndmask_b32_e64 v39, 0, v42, s0
	v_cmp_gt_i32_e64 s0, s21, v28
	s_wait_alu 0xf1ff
	s_delay_alu instid0(VALU_DEP_1) | instskip(SKIP_1) | instid1(VALU_DEP_2)
	v_cndmask_b32_e64 v10, 0, v10, s0
	v_cmp_gt_i32_e64 s0, s21, v27
	v_or_b32_e32 v1, v10, v39
	s_wait_alu 0xf1ff
	s_delay_alu instid0(VALU_DEP_2) | instskip(SKIP_2) | instid1(VALU_DEP_1)
	v_cndmask_b32_e64 v41, 0, v46, s0
	v_cmp_gt_i32_e64 s0, s21, v26
	s_wait_alu 0xf1ff
	v_cndmask_b32_e64 v42, 0, v43, s0
	v_cmp_gt_i32_e64 s0, s21, v25
	s_delay_alu instid0(VALU_DEP_2) | instskip(SKIP_1) | instid1(VALU_DEP_2)
	v_or_b32_e32 v39, v42, v41
	s_wait_alu 0xf1ff
	v_cndmask_b32_e64 v43, 0, v44, s0
	v_cmp_gt_i32_e64 s0, s21, v24
	s_wait_alu 0xf1ff
	s_delay_alu instid0(VALU_DEP_1) | instskip(NEXT) | instid1(VALU_DEP_1)
	v_cndmask_b32_e64 v40, 0, v40, s0
	v_or_b32_e32 v41, v40, v43
.LBB251_621:                            ;   in Loop: Header=BB251_554 Depth=1
	s_wait_alu 0xfffe
	s_or_b32 exec_lo, exec_lo, s17
	v_and_b32_e32 v10, 0xffff, v30
	v_and_b32_e32 v30, 0xffff, v35
	;; [unrolled: 1-line block ×4, first 2 shown]
	s_mov_b32 s17, exec_lo
	v_lshl_or_b32 v36, v32, 16, v10
	v_lshl_or_b32 v35, v33, 16, v30
	;;#ASMSTART
	v_pk_mul_f16 v9, v36, v9;

	;;#ASMEND
	;;#ASMSTART
	v_pk_mul_f16 v1, v35, v1;

	;;#ASMEND
	v_lshl_or_b32 v34, v34, 16, v40
	v_lshl_or_b32 v33, v37, 16, v38
	;;#ASMSTART
	v_pk_mul_f16 v10, v34, v39;

	;;#ASMEND
	;;#ASMSTART
	v_pk_mul_f16 v30, v33, v41;

	;;#ASMEND
	;;#ASMSTART
	v_pk_add_f16 v1, v9, v1;

	;;#ASMEND
	;;#ASMSTART
	v_pk_add_f16 v1, v1, v10;
	;; [unrolled: 4-line block ×3, first 2 shown]

	;;#ASMEND
	v_dual_mov_b32 v38, 0 :: v_dual_and_b32 v9, 0xffff, v1
	v_lshrrev_b32_e32 v1, 16, v1
	;;#ASMSTART
	v_cvt_f32_f16 v30, v9;
	;;#ASMEND
	;;#ASMSTART
	v_cvt_f32_f16 v32, v1;
	;;#ASMEND
	global_load_b64 v[9:10], v[7:8], off offset:256
	global_load_b32 v37, v38, s[10:11]
	v_mov_b32_e32 v39, 0
	s_wait_loadcnt 0x1
	v_and_b32_e32 v1, 0xff, v9
	s_delay_alu instid0(VALU_DEP_1)
	v_cmpx_ne_u16_e32 0, v1
	s_cbranch_execz .LBB251_629
; %bb.622:                              ;   in Loop: Header=BB251_554 Depth=1
	v_mov_b32_e32 v39, 0x8000
	s_mov_b32 s18, exec_lo
	v_cmpx_ne_u16_e32 0x80, v1
	s_cbranch_execz .LBB251_628
; %bb.623:                              ;   in Loop: Header=BB251_554 Depth=1
	v_and_b32_e32 v40, 0x7f, v9
	v_mov_b32_e32 v39, 0x7c01
	s_mov_b32 s19, exec_lo
	s_delay_alu instid0(VALU_DEP_2)
	v_cmpx_ne_u32_e32 0x7f, v40
	s_cbranch_execz .LBB251_627
; %bb.624:                              ;   in Loop: Header=BB251_554 Depth=1
	v_and_b32_e32 v1, 7, v9
	v_lshrrev_b32_e32 v39, 3, v40
	s_mov_b32 s26, exec_lo
	v_cmpx_gt_u32_e32 8, v40
; %bb.625:                              ;   in Loop: Header=BB251_554 Depth=1
	s_delay_alu instid0(VALU_DEP_3) | instskip(NEXT) | instid1(VALU_DEP_1)
	v_clz_i32_u32_e32 v1, v1
	v_min_u32_e32 v1, 32, v1
	s_delay_alu instid0(VALU_DEP_1) | instskip(NEXT) | instid1(VALU_DEP_1)
	v_subrev_nc_u32_e32 v39, 28, v1
	v_lshlrev_b64_e32 v[40:41], v39, v[9:10]
	v_sub_nc_u32_e32 v39, 29, v1
	s_delay_alu instid0(VALU_DEP_2)
	v_and_b32_e32 v1, 7, v40
; %bb.626:                              ;   in Loop: Header=BB251_554 Depth=1
	s_wait_alu 0xfffe
	s_or_b32 exec_lo, exec_lo, s26
	v_lshlrev_b32_e32 v40, 8, v9
	v_lshl_add_u32 v39, v39, 10, 0x2000
	v_lshlrev_b32_e32 v1, 7, v1
	s_delay_alu instid0(VALU_DEP_3) | instskip(NEXT) | instid1(VALU_DEP_3)
	v_and_b32_e32 v40, 0x8000, v40
	v_and_b32_e32 v39, 0xfc00, v39
	s_delay_alu instid0(VALU_DEP_1)
	v_or3_b32 v39, v40, v39, v1
.LBB251_627:                            ;   in Loop: Header=BB251_554 Depth=1
	s_wait_alu 0xfffe
	s_or_b32 exec_lo, exec_lo, s19
.LBB251_628:                            ;   in Loop: Header=BB251_554 Depth=1
	s_wait_alu 0xfffe
	s_or_b32 exec_lo, exec_lo, s18
.LBB251_629:                            ;   in Loop: Header=BB251_554 Depth=1
	s_wait_alu 0xfffe
	s_or_b32 exec_lo, exec_lo, s17
	v_lshrrev_b16 v1, 8, v9
	s_mov_b32 s17, exec_lo
	s_delay_alu instid0(VALU_DEP_1)
	v_cmpx_ne_u16_e32 0, v1
	s_cbranch_execz .LBB251_637
; %bb.630:                              ;   in Loop: Header=BB251_554 Depth=1
	v_bfrev_b32_e32 v38, 1
	s_mov_b32 s18, exec_lo
	v_cmpx_ne_u16_e32 0x80, v1
	s_cbranch_execz .LBB251_636
; %bb.631:                              ;   in Loop: Header=BB251_554 Depth=1
	v_and_b32_e32 v40, 0xffff, v1
	v_mov_b32_e32 v38, 0x7c010000
	s_mov_b32 s19, exec_lo
	s_delay_alu instid0(VALU_DEP_2) | instskip(NEXT) | instid1(VALU_DEP_1)
	v_and_b32_e32 v42, 0x7f, v40
	v_cmpx_ne_u32_e32 0x7f, v42
	s_cbranch_execz .LBB251_635
; %bb.632:                              ;   in Loop: Header=BB251_554 Depth=1
	v_and_b32_e32 v38, 7, v40
	v_lshrrev_b32_e32 v41, 3, v42
	s_mov_b32 s26, exec_lo
	v_cmpx_gt_u32_e32 8, v42
; %bb.633:                              ;   in Loop: Header=BB251_554 Depth=1
	s_delay_alu instid0(VALU_DEP_3) | instskip(NEXT) | instid1(VALU_DEP_1)
	v_clz_i32_u32_e32 v38, v38
	v_min_u32_e32 v38, 32, v38
	s_delay_alu instid0(VALU_DEP_1) | instskip(NEXT) | instid1(VALU_DEP_1)
	v_subrev_nc_u32_e32 v41, 28, v38
	v_lshlrev_b64_e32 v[42:43], v41, v[1:2]
	v_sub_nc_u32_e32 v41, 29, v38
	s_delay_alu instid0(VALU_DEP_2)
	v_and_b32_e32 v38, 7, v42
; %bb.634:                              ;   in Loop: Header=BB251_554 Depth=1
	s_wait_alu 0xfffe
	s_or_b32 exec_lo, exec_lo, s26
	v_lshlrev_b32_e32 v1, 8, v40
	v_lshl_add_u32 v40, v41, 10, 0x2000
	v_lshlrev_b32_e32 v38, 23, v38
	s_delay_alu instid0(VALU_DEP_2) | instskip(NEXT) | instid1(VALU_DEP_1)
	v_and_or_b32 v1, 0x8000, v1, v40
	v_lshl_or_b32 v38, v1, 16, v38
.LBB251_635:                            ;   in Loop: Header=BB251_554 Depth=1
	s_wait_alu 0xfffe
	s_or_b32 exec_lo, exec_lo, s19
.LBB251_636:                            ;   in Loop: Header=BB251_554 Depth=1
	s_wait_alu 0xfffe
	s_or_b32 exec_lo, exec_lo, s18
.LBB251_637:                            ;   in Loop: Header=BB251_554 Depth=1
	s_wait_alu 0xfffe
	s_or_b32 exec_lo, exec_lo, s17
	v_lshrrev_b32_e32 v1, 16, v9
	v_mov_b32_e32 v40, 0
	s_mov_b32 s17, exec_lo
	s_delay_alu instid0(VALU_DEP_2) | instskip(NEXT) | instid1(VALU_DEP_1)
	v_dual_mov_b32 v41, 0 :: v_dual_and_b32 v42, 0xff, v1
	v_cmpx_ne_u16_e32 0, v42
	s_cbranch_execz .LBB251_645
; %bb.638:                              ;   in Loop: Header=BB251_554 Depth=1
	v_mov_b32_e32 v41, 0x8000
	s_mov_b32 s18, exec_lo
	v_cmpx_ne_u16_e32 0x80, v42
	s_cbranch_execz .LBB251_644
; %bb.639:                              ;   in Loop: Header=BB251_554 Depth=1
	v_bfe_u32 v43, v9, 16, 7
	v_mov_b32_e32 v41, 0x7c01
	s_mov_b32 s19, exec_lo
	s_delay_alu instid0(VALU_DEP_2)
	v_cmpx_ne_u32_e32 0x7f, v43
	s_cbranch_execz .LBB251_643
; %bb.640:                              ;   in Loop: Header=BB251_554 Depth=1
	v_and_b32_e32 v41, 7, v1
	v_lshrrev_b32_e32 v42, 3, v43
	s_mov_b32 s26, exec_lo
	v_cmpx_gt_u32_e32 8, v43
; %bb.641:                              ;   in Loop: Header=BB251_554 Depth=1
	s_delay_alu instid0(VALU_DEP_3) | instskip(NEXT) | instid1(VALU_DEP_1)
	v_clz_i32_u32_e32 v41, v41
	v_min_u32_e32 v43, 32, v41
	s_delay_alu instid0(VALU_DEP_1) | instskip(NEXT) | instid1(VALU_DEP_1)
	v_subrev_nc_u32_e32 v41, 28, v43
	v_lshlrev_b64_e32 v[41:42], v41, v[1:2]
	v_sub_nc_u32_e32 v42, 29, v43
	s_delay_alu instid0(VALU_DEP_2)
	v_and_b32_e32 v41, 7, v41
; %bb.642:                              ;   in Loop: Header=BB251_554 Depth=1
	s_wait_alu 0xfffe
	s_or_b32 exec_lo, exec_lo, s26
	v_lshlrev_b32_e32 v1, 8, v1
	v_lshl_add_u32 v42, v42, 10, 0x2000
	v_lshlrev_b32_e32 v41, 7, v41
	s_delay_alu instid0(VALU_DEP_3) | instskip(NEXT) | instid1(VALU_DEP_3)
	v_and_b32_e32 v1, 0x8000, v1
	v_and_b32_e32 v42, 0xfc00, v42
	s_delay_alu instid0(VALU_DEP_1)
	v_or3_b32 v41, v1, v42, v41
.LBB251_643:                            ;   in Loop: Header=BB251_554 Depth=1
	s_wait_alu 0xfffe
	s_or_b32 exec_lo, exec_lo, s19
.LBB251_644:                            ;   in Loop: Header=BB251_554 Depth=1
	s_wait_alu 0xfffe
	s_or_b32 exec_lo, exec_lo, s18
.LBB251_645:                            ;   in Loop: Header=BB251_554 Depth=1
	s_wait_alu 0xfffe
	s_or_b32 exec_lo, exec_lo, s17
	s_delay_alu instid0(SALU_CYCLE_1)
	s_mov_b32 s17, exec_lo
	v_cmpx_lt_u32_e32 0xffffff, v9
	s_cbranch_execz .LBB251_653
; %bb.646:                              ;   in Loop: Header=BB251_554 Depth=1
	v_lshrrev_b32_e32 v1, 24, v9
	v_bfrev_b32_e32 v40, 1
	s_mov_b32 s18, exec_lo
	s_delay_alu instid0(VALU_DEP_2)
	v_cmpx_ne_u32_e32 0x80, v1
	s_cbranch_execz .LBB251_652
; %bb.647:                              ;   in Loop: Header=BB251_554 Depth=1
	v_and_b32_e32 v43, 0x7f, v1
	v_mov_b32_e32 v40, 0x7c010000
	s_mov_b32 s19, exec_lo
	s_delay_alu instid0(VALU_DEP_2)
	v_cmpx_ne_u32_e32 0x7f, v43
	s_cbranch_execz .LBB251_651
; %bb.648:                              ;   in Loop: Header=BB251_554 Depth=1
	v_and_b32_e32 v40, 7, v1
	v_lshrrev_b32_e32 v42, 3, v43
	s_mov_b32 s26, exec_lo
	v_cmpx_gt_u32_e32 8, v43
; %bb.649:                              ;   in Loop: Header=BB251_554 Depth=1
	s_delay_alu instid0(VALU_DEP_3) | instskip(NEXT) | instid1(VALU_DEP_1)
	v_clz_i32_u32_e32 v40, v40
	v_min_u32_e32 v40, 32, v40
	s_delay_alu instid0(VALU_DEP_1) | instskip(NEXT) | instid1(VALU_DEP_1)
	v_subrev_nc_u32_e32 v42, 28, v40
	v_lshlrev_b64_e32 v[43:44], v42, v[1:2]
	v_sub_nc_u32_e32 v42, 29, v40
	s_delay_alu instid0(VALU_DEP_2)
	v_and_b32_e32 v40, 7, v43
; %bb.650:                              ;   in Loop: Header=BB251_554 Depth=1
	s_wait_alu 0xfffe
	s_or_b32 exec_lo, exec_lo, s26
	v_lshlrev_b32_e32 v1, 8, v1
	v_lshl_add_u32 v42, v42, 10, 0x2000
	v_lshlrev_b32_e32 v40, 23, v40
	s_delay_alu instid0(VALU_DEP_2) | instskip(NEXT) | instid1(VALU_DEP_1)
	v_and_or_b32 v1, 0x8000, v1, v42
	v_lshl_or_b32 v40, v1, 16, v40
.LBB251_651:                            ;   in Loop: Header=BB251_554 Depth=1
	s_wait_alu 0xfffe
	s_or_b32 exec_lo, exec_lo, s19
.LBB251_652:                            ;   in Loop: Header=BB251_554 Depth=1
	s_wait_alu 0xfffe
	s_or_b32 exec_lo, exec_lo, s18
.LBB251_653:                            ;   in Loop: Header=BB251_554 Depth=1
	s_wait_alu 0xfffe
	s_or_b32 exec_lo, exec_lo, s17
	v_dual_mov_b32 v1, v10 :: v_dual_and_b32 v44, 0xff, v10
	v_dual_mov_b32 v42, 0 :: v_dual_mov_b32 v43, 0
	s_mov_b32 s17, exec_lo
	s_delay_alu instid0(VALU_DEP_2)
	v_cmpx_ne_u16_e32 0, v44
	s_cbranch_execz .LBB251_661
; %bb.654:                              ;   in Loop: Header=BB251_554 Depth=1
	v_mov_b32_e32 v43, 0x8000
	s_mov_b32 s18, exec_lo
	v_cmpx_ne_u16_e32 0x80, v44
	s_cbranch_execz .LBB251_660
; %bb.655:                              ;   in Loop: Header=BB251_554 Depth=1
	v_and_b32_e32 v45, 0x7f, v10
	v_mov_b32_e32 v43, 0x7c01
	s_mov_b32 s19, exec_lo
	s_delay_alu instid0(VALU_DEP_2)
	v_cmpx_ne_u32_e32 0x7f, v45
	s_cbranch_execz .LBB251_659
; %bb.656:                              ;   in Loop: Header=BB251_554 Depth=1
	v_and_b32_e32 v43, 7, v10
	v_lshrrev_b32_e32 v44, 3, v45
	s_mov_b32 s26, exec_lo
	v_cmpx_gt_u32_e32 8, v45
; %bb.657:                              ;   in Loop: Header=BB251_554 Depth=1
	s_delay_alu instid0(VALU_DEP_3) | instskip(NEXT) | instid1(VALU_DEP_1)
	v_clz_i32_u32_e32 v43, v43
	v_min_u32_e32 v45, 32, v43
	s_delay_alu instid0(VALU_DEP_1) | instskip(NEXT) | instid1(VALU_DEP_1)
	v_subrev_nc_u32_e32 v43, 28, v45
	v_lshlrev_b64_e32 v[43:44], v43, v[1:2]
	v_sub_nc_u32_e32 v44, 29, v45
	s_delay_alu instid0(VALU_DEP_2)
	v_and_b32_e32 v43, 7, v43
; %bb.658:                              ;   in Loop: Header=BB251_554 Depth=1
	s_wait_alu 0xfffe
	s_or_b32 exec_lo, exec_lo, s26
	v_lshlrev_b32_e32 v45, 8, v10
	v_lshl_add_u32 v44, v44, 10, 0x2000
	v_lshlrev_b32_e32 v43, 7, v43
	s_delay_alu instid0(VALU_DEP_3) | instskip(NEXT) | instid1(VALU_DEP_3)
	v_and_b32_e32 v45, 0x8000, v45
	v_and_b32_e32 v44, 0xfc00, v44
	s_delay_alu instid0(VALU_DEP_1)
	v_or3_b32 v43, v45, v44, v43
.LBB251_659:                            ;   in Loop: Header=BB251_554 Depth=1
	s_wait_alu 0xfffe
	s_or_b32 exec_lo, exec_lo, s19
.LBB251_660:                            ;   in Loop: Header=BB251_554 Depth=1
	s_wait_alu 0xfffe
	s_or_b32 exec_lo, exec_lo, s18
.LBB251_661:                            ;   in Loop: Header=BB251_554 Depth=1
	s_wait_alu 0xfffe
	s_or_b32 exec_lo, exec_lo, s17
	v_lshrrev_b16 v1, 8, v1
	v_mov_b32_e32 v44, 0
	s_mov_b32 s17, exec_lo
	s_delay_alu instid0(VALU_DEP_2)
	v_cmpx_ne_u16_e32 0, v1
	s_cbranch_execz .LBB251_669
; %bb.662:                              ;   in Loop: Header=BB251_554 Depth=1
	v_bfrev_b32_e32 v44, 1
	s_mov_b32 s18, exec_lo
	v_cmpx_ne_u16_e32 0x80, v1
	s_cbranch_execz .LBB251_668
; %bb.663:                              ;   in Loop: Header=BB251_554 Depth=1
	v_and_b32_e32 v45, 0xffff, v1
	v_mov_b32_e32 v44, 0x7c010000
	s_mov_b32 s19, exec_lo
	s_delay_alu instid0(VALU_DEP_2) | instskip(NEXT) | instid1(VALU_DEP_1)
	v_and_b32_e32 v47, 0x7f, v45
	v_cmpx_ne_u32_e32 0x7f, v47
	s_cbranch_execz .LBB251_667
; %bb.664:                              ;   in Loop: Header=BB251_554 Depth=1
	v_and_b32_e32 v44, 7, v45
	v_lshrrev_b32_e32 v46, 3, v47
	s_mov_b32 s26, exec_lo
	v_cmpx_gt_u32_e32 8, v47
; %bb.665:                              ;   in Loop: Header=BB251_554 Depth=1
	s_delay_alu instid0(VALU_DEP_3) | instskip(NEXT) | instid1(VALU_DEP_1)
	v_clz_i32_u32_e32 v44, v44
	v_min_u32_e32 v44, 32, v44
	s_delay_alu instid0(VALU_DEP_1) | instskip(NEXT) | instid1(VALU_DEP_1)
	v_subrev_nc_u32_e32 v46, 28, v44
	v_lshlrev_b64_e32 v[47:48], v46, v[1:2]
	v_sub_nc_u32_e32 v46, 29, v44
	s_delay_alu instid0(VALU_DEP_2)
	v_and_b32_e32 v44, 7, v47
; %bb.666:                              ;   in Loop: Header=BB251_554 Depth=1
	s_wait_alu 0xfffe
	s_or_b32 exec_lo, exec_lo, s26
	v_lshlrev_b32_e32 v1, 8, v45
	v_lshl_add_u32 v45, v46, 10, 0x2000
	v_lshlrev_b32_e32 v44, 23, v44
	s_delay_alu instid0(VALU_DEP_2) | instskip(NEXT) | instid1(VALU_DEP_1)
	v_and_or_b32 v1, 0x8000, v1, v45
	v_lshl_or_b32 v44, v1, 16, v44
.LBB251_667:                            ;   in Loop: Header=BB251_554 Depth=1
	s_wait_alu 0xfffe
	s_or_b32 exec_lo, exec_lo, s19
.LBB251_668:                            ;   in Loop: Header=BB251_554 Depth=1
	s_wait_alu 0xfffe
	s_or_b32 exec_lo, exec_lo, s18
.LBB251_669:                            ;   in Loop: Header=BB251_554 Depth=1
	s_wait_alu 0xfffe
	s_or_b32 exec_lo, exec_lo, s17
	v_lshrrev_b32_e32 v1, 16, v10
	s_mov_b32 s17, exec_lo
	s_delay_alu instid0(VALU_DEP_1) | instskip(NEXT) | instid1(VALU_DEP_1)
	v_and_b32_e32 v45, 0xff, v1
	v_cmpx_ne_u16_e32 0, v45
	s_cbranch_execz .LBB251_677
; %bb.670:                              ;   in Loop: Header=BB251_554 Depth=1
	v_mov_b32_e32 v42, 0x8000
	s_mov_b32 s18, exec_lo
	v_cmpx_ne_u16_e32 0x80, v45
	s_cbranch_execz .LBB251_676
; %bb.671:                              ;   in Loop: Header=BB251_554 Depth=1
	v_bfe_u32 v46, v10, 16, 7
	v_mov_b32_e32 v42, 0x7c01
	s_mov_b32 s19, exec_lo
	s_delay_alu instid0(VALU_DEP_2)
	v_cmpx_ne_u32_e32 0x7f, v46
	s_cbranch_execz .LBB251_675
; %bb.672:                              ;   in Loop: Header=BB251_554 Depth=1
	v_and_b32_e32 v42, 7, v1
	v_lshrrev_b32_e32 v45, 3, v46
	s_mov_b32 s26, exec_lo
	v_cmpx_gt_u32_e32 8, v46
; %bb.673:                              ;   in Loop: Header=BB251_554 Depth=1
	s_delay_alu instid0(VALU_DEP_3) | instskip(NEXT) | instid1(VALU_DEP_1)
	v_clz_i32_u32_e32 v42, v42
	v_min_u32_e32 v42, 32, v42
	s_delay_alu instid0(VALU_DEP_1) | instskip(NEXT) | instid1(VALU_DEP_1)
	v_subrev_nc_u32_e32 v45, 28, v42
	v_lshlrev_b64_e32 v[46:47], v45, v[1:2]
	v_sub_nc_u32_e32 v45, 29, v42
	s_delay_alu instid0(VALU_DEP_2)
	v_and_b32_e32 v42, 7, v46
; %bb.674:                              ;   in Loop: Header=BB251_554 Depth=1
	s_wait_alu 0xfffe
	s_or_b32 exec_lo, exec_lo, s26
	v_lshlrev_b32_e32 v1, 8, v1
	v_lshl_add_u32 v45, v45, 10, 0x2000
	v_lshlrev_b32_e32 v42, 7, v42
	s_delay_alu instid0(VALU_DEP_3) | instskip(NEXT) | instid1(VALU_DEP_3)
	v_and_b32_e32 v1, 0x8000, v1
	v_and_b32_e32 v45, 0xfc00, v45
	s_delay_alu instid0(VALU_DEP_1)
	v_or3_b32 v42, v1, v45, v42
.LBB251_675:                            ;   in Loop: Header=BB251_554 Depth=1
	s_wait_alu 0xfffe
	s_or_b32 exec_lo, exec_lo, s19
.LBB251_676:                            ;   in Loop: Header=BB251_554 Depth=1
	s_wait_alu 0xfffe
	s_or_b32 exec_lo, exec_lo, s18
.LBB251_677:                            ;   in Loop: Header=BB251_554 Depth=1
	s_wait_alu 0xfffe
	s_or_b32 exec_lo, exec_lo, s17
	v_cmp_lt_u64_e64 s0, s[2:3], v[9:10]
	v_mov_b32_e32 v9, 0
	s_and_saveexec_b32 s17, s0
	s_cbranch_execz .LBB251_685
; %bb.678:                              ;   in Loop: Header=BB251_554 Depth=1
	v_lshrrev_b32_e32 v1, 24, v10
	v_bfrev_b32_e32 v9, 1
	s_mov_b32 s18, exec_lo
	s_delay_alu instid0(VALU_DEP_2)
	v_cmpx_ne_u32_e32 0x80, v1
	s_cbranch_execz .LBB251_684
; %bb.679:                              ;   in Loop: Header=BB251_554 Depth=1
	v_and_b32_e32 v45, 0x7f, v1
	v_mov_b32_e32 v9, 0x7c010000
	s_mov_b32 s19, exec_lo
	s_delay_alu instid0(VALU_DEP_2)
	v_cmpx_ne_u32_e32 0x7f, v45
	s_cbranch_execz .LBB251_683
; %bb.680:                              ;   in Loop: Header=BB251_554 Depth=1
	v_and_b32_e32 v9, 7, v1
	v_lshrrev_b32_e32 v10, 3, v45
	s_mov_b32 s26, exec_lo
	v_cmpx_gt_u32_e32 8, v45
; %bb.681:                              ;   in Loop: Header=BB251_554 Depth=1
	s_delay_alu instid0(VALU_DEP_3) | instskip(NEXT) | instid1(VALU_DEP_1)
	v_clz_i32_u32_e32 v9, v9
	v_min_u32_e32 v45, 32, v9
	s_delay_alu instid0(VALU_DEP_1) | instskip(NEXT) | instid1(VALU_DEP_1)
	v_subrev_nc_u32_e32 v9, 28, v45
	v_lshlrev_b64_e32 v[9:10], v9, v[1:2]
	v_sub_nc_u32_e32 v10, 29, v45
	s_delay_alu instid0(VALU_DEP_2)
	v_and_b32_e32 v9, 7, v9
; %bb.682:                              ;   in Loop: Header=BB251_554 Depth=1
	s_wait_alu 0xfffe
	s_or_b32 exec_lo, exec_lo, s26
	v_lshlrev_b32_e32 v1, 8, v1
	v_lshl_add_u32 v10, v10, 10, 0x2000
	v_lshlrev_b32_e32 v9, 23, v9
	s_delay_alu instid0(VALU_DEP_2) | instskip(NEXT) | instid1(VALU_DEP_1)
	v_and_or_b32 v1, 0x8000, v1, v10
	v_lshl_or_b32 v9, v1, 16, v9
.LBB251_683:                            ;   in Loop: Header=BB251_554 Depth=1
	s_wait_alu 0xfffe
	s_or_b32 exec_lo, exec_lo, s19
.LBB251_684:                            ;   in Loop: Header=BB251_554 Depth=1
	s_wait_alu 0xfffe
	s_or_b32 exec_lo, exec_lo, s18
.LBB251_685:                            ;   in Loop: Header=BB251_554 Depth=1
	s_wait_alu 0xfffe
	s_or_b32 exec_lo, exec_lo, s17
	v_or_b32_e32 v1, v40, v41
	s_wait_loadcnt 0x0
	v_fma_mixlo_f16 v10, v37, v40, 0 op_sel:[0,1,0] op_sel_hi:[0,1,0]
	v_or_b32_e32 v40, v38, v39
	v_fma_mixlo_f16 v38, v37, v38, 0 op_sel:[0,1,0] op_sel_hi:[0,1,0]
	v_or_b32_e32 v41, v44, v43
	v_or_b32_e32 v42, v9, v42
	v_fma_mixlo_f16 v43, v37, v1, 0 op_sel_hi:[0,1,0]
	v_fma_mixlo_f16 v9, v37, v9, 0 op_sel:[0,1,0] op_sel_hi:[0,1,0]
	v_lshlrev_b32_e32 v39, 16, v38
	v_fma_mixlo_f16 v38, v37, v40, 0 op_sel_hi:[0,1,0]
	v_fma_mixlo_f16 v40, v37, v44, 0 op_sel:[0,1,0] op_sel_hi:[0,1,0]
	v_fma_mixlo_f16 v41, v37, v41, 0 op_sel_hi:[0,1,0]
	v_fma_mixlo_f16 v42, v37, v42, 0 op_sel_hi:[0,1,0]
	v_lshlrev_b32_e32 v1, 16, v10
	v_and_b32_e32 v10, 0xffff, v43
	v_and_b32_e32 v45, 0xffff, v38
	v_lshlrev_b32_e32 v37, 16, v40
	v_and_b32_e32 v41, 0xffff, v41
	v_lshlrev_b32_e32 v9, 16, v9
	v_and_b32_e32 v38, 0xffff, v42
	v_or_b32_e32 v40, v1, v10
	v_or_b32_e32 v44, v39, v45
	v_or_b32_e32 v43, v37, v41
	s_delay_alu instid0(VALU_DEP_4)
	v_or_b32_e32 v42, v9, v38
	s_and_saveexec_b32 s17, vcc_lo
	s_cbranch_execz .LBB251_687
; %bb.686:                              ;   in Loop: Header=BB251_554 Depth=1
	v_cmp_gt_i32_e64 s0, s21, v12
	s_wait_alu 0xf1ff
	s_delay_alu instid0(VALU_DEP_1) | instskip(SKIP_2) | instid1(VALU_DEP_1)
	v_cndmask_b32_e64 v40, 0, v45, s0
	v_cmp_gt_i32_e64 s0, s21, v31
	s_wait_alu 0xf1ff
	v_cndmask_b32_e64 v39, 0, v39, s0
	v_cmp_gt_i32_e64 s0, s21, v29
	s_delay_alu instid0(VALU_DEP_2) | instskip(SKIP_1) | instid1(VALU_DEP_2)
	v_or_b32_e32 v44, v39, v40
	s_wait_alu 0xf1ff
	v_cndmask_b32_e64 v10, 0, v10, s0
	v_cmp_gt_i32_e64 s0, s21, v28
	s_wait_alu 0xf1ff
	s_delay_alu instid0(VALU_DEP_1) | instskip(SKIP_1) | instid1(VALU_DEP_2)
	v_cndmask_b32_e64 v1, 0, v1, s0
	v_cmp_gt_i32_e64 s0, s21, v27
	v_or_b32_e32 v40, v1, v10
	s_wait_alu 0xf1ff
	s_delay_alu instid0(VALU_DEP_2) | instskip(SKIP_2) | instid1(VALU_DEP_1)
	v_cndmask_b32_e64 v41, 0, v41, s0
	v_cmp_gt_i32_e64 s0, s21, v26
	s_wait_alu 0xf1ff
	v_cndmask_b32_e64 v37, 0, v37, s0
	v_cmp_gt_i32_e64 s0, s21, v25
	s_delay_alu instid0(VALU_DEP_2) | instskip(SKIP_1) | instid1(VALU_DEP_2)
	v_or_b32_e32 v43, v37, v41
	s_wait_alu 0xf1ff
	v_cndmask_b32_e64 v38, 0, v38, s0
	v_cmp_gt_i32_e64 s0, s21, v24
	s_wait_alu 0xf1ff
	s_delay_alu instid0(VALU_DEP_1) | instskip(NEXT) | instid1(VALU_DEP_1)
	v_cndmask_b32_e64 v9, 0, v9, s0
	v_or_b32_e32 v42, v9, v38
.LBB251_687:                            ;   in Loop: Header=BB251_554 Depth=1
	s_wait_alu 0xfffe
	s_or_b32 exec_lo, exec_lo, s17
	;;#ASMSTART
	v_pk_mul_f16 v1, v36, v44;

	;;#ASMEND
	;;#ASMSTART
	v_pk_mul_f16 v9, v35, v40;

	;;#ASMEND
	;; [unrolled: 4-line block ×4, first 2 shown]
	;;#ASMSTART
	v_pk_add_f16 v1, v1, v9;

	;;#ASMEND
	;;#ASMSTART
	v_pk_add_f16 v1, v1, v10;

	;;#ASMEND
	;; [unrolled: 4-line block ×3, first 2 shown]
	v_dual_mov_b32 v40, 0 :: v_dual_and_b32 v9, 0xffff, v1
	v_lshrrev_b32_e32 v1, 16, v1
	;;#ASMSTART
	v_cvt_f32_f16 v37, v9;
	;;#ASMEND
	;;#ASMSTART
	v_cvt_f32_f16 v38, v1;
	;;#ASMEND
	global_load_b64 v[9:10], v[7:8], off offset:512
	global_load_b32 v39, v40, s[10:11]
	v_mov_b32_e32 v41, 0
	s_mov_b32 s17, exec_lo
	s_wait_loadcnt 0x1
	v_and_b32_e32 v1, 0xff, v9
	s_delay_alu instid0(VALU_DEP_1)
	v_cmpx_ne_u16_e32 0, v1
	s_cbranch_execz .LBB251_695
; %bb.688:                              ;   in Loop: Header=BB251_554 Depth=1
	v_mov_b32_e32 v41, 0x8000
	s_mov_b32 s18, exec_lo
	v_cmpx_ne_u16_e32 0x80, v1
	s_cbranch_execz .LBB251_694
; %bb.689:                              ;   in Loop: Header=BB251_554 Depth=1
	v_and_b32_e32 v42, 0x7f, v9
	v_mov_b32_e32 v41, 0x7c01
	s_mov_b32 s19, exec_lo
	s_delay_alu instid0(VALU_DEP_2)
	v_cmpx_ne_u32_e32 0x7f, v42
	s_cbranch_execz .LBB251_693
; %bb.690:                              ;   in Loop: Header=BB251_554 Depth=1
	v_and_b32_e32 v1, 7, v9
	v_lshrrev_b32_e32 v41, 3, v42
	s_mov_b32 s26, exec_lo
	v_cmpx_gt_u32_e32 8, v42
; %bb.691:                              ;   in Loop: Header=BB251_554 Depth=1
	s_delay_alu instid0(VALU_DEP_3) | instskip(NEXT) | instid1(VALU_DEP_1)
	v_clz_i32_u32_e32 v1, v1
	v_min_u32_e32 v1, 32, v1
	s_delay_alu instid0(VALU_DEP_1) | instskip(NEXT) | instid1(VALU_DEP_1)
	v_subrev_nc_u32_e32 v41, 28, v1
	v_lshlrev_b64_e32 v[42:43], v41, v[9:10]
	v_sub_nc_u32_e32 v41, 29, v1
	s_delay_alu instid0(VALU_DEP_2)
	v_and_b32_e32 v1, 7, v42
; %bb.692:                              ;   in Loop: Header=BB251_554 Depth=1
	s_wait_alu 0xfffe
	s_or_b32 exec_lo, exec_lo, s26
	v_lshlrev_b32_e32 v42, 8, v9
	v_lshl_add_u32 v41, v41, 10, 0x2000
	v_lshlrev_b32_e32 v1, 7, v1
	s_delay_alu instid0(VALU_DEP_3) | instskip(NEXT) | instid1(VALU_DEP_3)
	v_and_b32_e32 v42, 0x8000, v42
	v_and_b32_e32 v41, 0xfc00, v41
	s_delay_alu instid0(VALU_DEP_1)
	v_or3_b32 v41, v42, v41, v1
.LBB251_693:                            ;   in Loop: Header=BB251_554 Depth=1
	s_wait_alu 0xfffe
	s_or_b32 exec_lo, exec_lo, s19
.LBB251_694:                            ;   in Loop: Header=BB251_554 Depth=1
	s_wait_alu 0xfffe
	s_or_b32 exec_lo, exec_lo, s18
.LBB251_695:                            ;   in Loop: Header=BB251_554 Depth=1
	s_wait_alu 0xfffe
	s_or_b32 exec_lo, exec_lo, s17
	v_lshrrev_b16 v1, 8, v9
	s_mov_b32 s17, exec_lo
	s_delay_alu instid0(VALU_DEP_1)
	v_cmpx_ne_u16_e32 0, v1
	s_cbranch_execz .LBB251_703
; %bb.696:                              ;   in Loop: Header=BB251_554 Depth=1
	v_bfrev_b32_e32 v40, 1
	s_mov_b32 s18, exec_lo
	v_cmpx_ne_u16_e32 0x80, v1
	s_cbranch_execz .LBB251_702
; %bb.697:                              ;   in Loop: Header=BB251_554 Depth=1
	v_and_b32_e32 v42, 0xffff, v1
	v_mov_b32_e32 v40, 0x7c010000
	s_mov_b32 s19, exec_lo
	s_delay_alu instid0(VALU_DEP_2) | instskip(NEXT) | instid1(VALU_DEP_1)
	v_and_b32_e32 v44, 0x7f, v42
	v_cmpx_ne_u32_e32 0x7f, v44
	s_cbranch_execz .LBB251_701
; %bb.698:                              ;   in Loop: Header=BB251_554 Depth=1
	v_and_b32_e32 v40, 7, v42
	v_lshrrev_b32_e32 v43, 3, v44
	s_mov_b32 s26, exec_lo
	v_cmpx_gt_u32_e32 8, v44
; %bb.699:                              ;   in Loop: Header=BB251_554 Depth=1
	s_delay_alu instid0(VALU_DEP_3) | instskip(NEXT) | instid1(VALU_DEP_1)
	v_clz_i32_u32_e32 v40, v40
	v_min_u32_e32 v40, 32, v40
	s_delay_alu instid0(VALU_DEP_1) | instskip(NEXT) | instid1(VALU_DEP_1)
	v_subrev_nc_u32_e32 v43, 28, v40
	v_lshlrev_b64_e32 v[44:45], v43, v[1:2]
	v_sub_nc_u32_e32 v43, 29, v40
	s_delay_alu instid0(VALU_DEP_2)
	v_and_b32_e32 v40, 7, v44
; %bb.700:                              ;   in Loop: Header=BB251_554 Depth=1
	s_wait_alu 0xfffe
	s_or_b32 exec_lo, exec_lo, s26
	v_lshlrev_b32_e32 v1, 8, v42
	v_lshl_add_u32 v42, v43, 10, 0x2000
	v_lshlrev_b32_e32 v40, 23, v40
	s_delay_alu instid0(VALU_DEP_2) | instskip(NEXT) | instid1(VALU_DEP_1)
	v_and_or_b32 v1, 0x8000, v1, v42
	v_lshl_or_b32 v40, v1, 16, v40
.LBB251_701:                            ;   in Loop: Header=BB251_554 Depth=1
	s_wait_alu 0xfffe
	s_or_b32 exec_lo, exec_lo, s19
.LBB251_702:                            ;   in Loop: Header=BB251_554 Depth=1
	s_wait_alu 0xfffe
	s_or_b32 exec_lo, exec_lo, s18
.LBB251_703:                            ;   in Loop: Header=BB251_554 Depth=1
	s_wait_alu 0xfffe
	s_or_b32 exec_lo, exec_lo, s17
	v_lshrrev_b32_e32 v1, 16, v9
	v_mov_b32_e32 v42, 0
	s_mov_b32 s17, exec_lo
	s_delay_alu instid0(VALU_DEP_2) | instskip(NEXT) | instid1(VALU_DEP_1)
	v_dual_mov_b32 v43, 0 :: v_dual_and_b32 v44, 0xff, v1
	v_cmpx_ne_u16_e32 0, v44
	s_cbranch_execz .LBB251_711
; %bb.704:                              ;   in Loop: Header=BB251_554 Depth=1
	v_mov_b32_e32 v43, 0x8000
	s_mov_b32 s18, exec_lo
	v_cmpx_ne_u16_e32 0x80, v44
	s_cbranch_execz .LBB251_710
; %bb.705:                              ;   in Loop: Header=BB251_554 Depth=1
	v_bfe_u32 v45, v9, 16, 7
	v_mov_b32_e32 v43, 0x7c01
	s_mov_b32 s19, exec_lo
	s_delay_alu instid0(VALU_DEP_2)
	v_cmpx_ne_u32_e32 0x7f, v45
	s_cbranch_execz .LBB251_709
; %bb.706:                              ;   in Loop: Header=BB251_554 Depth=1
	v_and_b32_e32 v43, 7, v1
	v_lshrrev_b32_e32 v44, 3, v45
	s_mov_b32 s26, exec_lo
	v_cmpx_gt_u32_e32 8, v45
; %bb.707:                              ;   in Loop: Header=BB251_554 Depth=1
	s_delay_alu instid0(VALU_DEP_3) | instskip(NEXT) | instid1(VALU_DEP_1)
	v_clz_i32_u32_e32 v43, v43
	v_min_u32_e32 v45, 32, v43
	s_delay_alu instid0(VALU_DEP_1) | instskip(NEXT) | instid1(VALU_DEP_1)
	v_subrev_nc_u32_e32 v43, 28, v45
	v_lshlrev_b64_e32 v[43:44], v43, v[1:2]
	v_sub_nc_u32_e32 v44, 29, v45
	s_delay_alu instid0(VALU_DEP_2)
	v_and_b32_e32 v43, 7, v43
; %bb.708:                              ;   in Loop: Header=BB251_554 Depth=1
	s_wait_alu 0xfffe
	s_or_b32 exec_lo, exec_lo, s26
	v_lshlrev_b32_e32 v1, 8, v1
	v_lshl_add_u32 v44, v44, 10, 0x2000
	v_lshlrev_b32_e32 v43, 7, v43
	s_delay_alu instid0(VALU_DEP_3) | instskip(NEXT) | instid1(VALU_DEP_3)
	v_and_b32_e32 v1, 0x8000, v1
	v_and_b32_e32 v44, 0xfc00, v44
	s_delay_alu instid0(VALU_DEP_1)
	v_or3_b32 v43, v1, v44, v43
.LBB251_709:                            ;   in Loop: Header=BB251_554 Depth=1
	s_wait_alu 0xfffe
	s_or_b32 exec_lo, exec_lo, s19
.LBB251_710:                            ;   in Loop: Header=BB251_554 Depth=1
	s_wait_alu 0xfffe
	s_or_b32 exec_lo, exec_lo, s18
.LBB251_711:                            ;   in Loop: Header=BB251_554 Depth=1
	s_wait_alu 0xfffe
	s_or_b32 exec_lo, exec_lo, s17
	s_delay_alu instid0(SALU_CYCLE_1)
	s_mov_b32 s17, exec_lo
	v_cmpx_lt_u32_e32 0xffffff, v9
	s_cbranch_execz .LBB251_719
; %bb.712:                              ;   in Loop: Header=BB251_554 Depth=1
	v_lshrrev_b32_e32 v1, 24, v9
	v_bfrev_b32_e32 v42, 1
	s_mov_b32 s18, exec_lo
	s_delay_alu instid0(VALU_DEP_2)
	v_cmpx_ne_u32_e32 0x80, v1
	s_cbranch_execz .LBB251_718
; %bb.713:                              ;   in Loop: Header=BB251_554 Depth=1
	v_and_b32_e32 v45, 0x7f, v1
	v_mov_b32_e32 v42, 0x7c010000
	s_mov_b32 s19, exec_lo
	s_delay_alu instid0(VALU_DEP_2)
	v_cmpx_ne_u32_e32 0x7f, v45
	s_cbranch_execz .LBB251_717
; %bb.714:                              ;   in Loop: Header=BB251_554 Depth=1
	v_and_b32_e32 v42, 7, v1
	v_lshrrev_b32_e32 v44, 3, v45
	s_mov_b32 s26, exec_lo
	v_cmpx_gt_u32_e32 8, v45
; %bb.715:                              ;   in Loop: Header=BB251_554 Depth=1
	s_delay_alu instid0(VALU_DEP_3) | instskip(NEXT) | instid1(VALU_DEP_1)
	v_clz_i32_u32_e32 v42, v42
	v_min_u32_e32 v42, 32, v42
	s_delay_alu instid0(VALU_DEP_1) | instskip(NEXT) | instid1(VALU_DEP_1)
	v_subrev_nc_u32_e32 v44, 28, v42
	v_lshlrev_b64_e32 v[45:46], v44, v[1:2]
	v_sub_nc_u32_e32 v44, 29, v42
	s_delay_alu instid0(VALU_DEP_2)
	v_and_b32_e32 v42, 7, v45
; %bb.716:                              ;   in Loop: Header=BB251_554 Depth=1
	s_wait_alu 0xfffe
	s_or_b32 exec_lo, exec_lo, s26
	v_lshlrev_b32_e32 v1, 8, v1
	v_lshl_add_u32 v44, v44, 10, 0x2000
	v_lshlrev_b32_e32 v42, 23, v42
	s_delay_alu instid0(VALU_DEP_2) | instskip(NEXT) | instid1(VALU_DEP_1)
	v_and_or_b32 v1, 0x8000, v1, v44
	v_lshl_or_b32 v42, v1, 16, v42
.LBB251_717:                            ;   in Loop: Header=BB251_554 Depth=1
	s_wait_alu 0xfffe
	s_or_b32 exec_lo, exec_lo, s19
.LBB251_718:                            ;   in Loop: Header=BB251_554 Depth=1
	s_wait_alu 0xfffe
	s_or_b32 exec_lo, exec_lo, s18
.LBB251_719:                            ;   in Loop: Header=BB251_554 Depth=1
	s_wait_alu 0xfffe
	s_or_b32 exec_lo, exec_lo, s17
	v_dual_mov_b32 v1, v10 :: v_dual_and_b32 v46, 0xff, v10
	v_dual_mov_b32 v44, 0 :: v_dual_mov_b32 v45, 0
	s_mov_b32 s17, exec_lo
	s_delay_alu instid0(VALU_DEP_2)
	v_cmpx_ne_u16_e32 0, v46
	s_cbranch_execz .LBB251_727
; %bb.720:                              ;   in Loop: Header=BB251_554 Depth=1
	v_mov_b32_e32 v45, 0x8000
	s_mov_b32 s18, exec_lo
	v_cmpx_ne_u16_e32 0x80, v46
	s_cbranch_execz .LBB251_726
; %bb.721:                              ;   in Loop: Header=BB251_554 Depth=1
	v_and_b32_e32 v47, 0x7f, v10
	v_mov_b32_e32 v45, 0x7c01
	s_mov_b32 s19, exec_lo
	s_delay_alu instid0(VALU_DEP_2)
	v_cmpx_ne_u32_e32 0x7f, v47
	s_cbranch_execz .LBB251_725
; %bb.722:                              ;   in Loop: Header=BB251_554 Depth=1
	v_and_b32_e32 v45, 7, v10
	v_lshrrev_b32_e32 v46, 3, v47
	s_mov_b32 s26, exec_lo
	v_cmpx_gt_u32_e32 8, v47
; %bb.723:                              ;   in Loop: Header=BB251_554 Depth=1
	s_delay_alu instid0(VALU_DEP_3) | instskip(NEXT) | instid1(VALU_DEP_1)
	v_clz_i32_u32_e32 v45, v45
	v_min_u32_e32 v47, 32, v45
	s_delay_alu instid0(VALU_DEP_1) | instskip(NEXT) | instid1(VALU_DEP_1)
	v_subrev_nc_u32_e32 v45, 28, v47
	v_lshlrev_b64_e32 v[45:46], v45, v[1:2]
	v_sub_nc_u32_e32 v46, 29, v47
	s_delay_alu instid0(VALU_DEP_2)
	v_and_b32_e32 v45, 7, v45
; %bb.724:                              ;   in Loop: Header=BB251_554 Depth=1
	s_wait_alu 0xfffe
	s_or_b32 exec_lo, exec_lo, s26
	v_lshlrev_b32_e32 v47, 8, v10
	v_lshl_add_u32 v46, v46, 10, 0x2000
	v_lshlrev_b32_e32 v45, 7, v45
	s_delay_alu instid0(VALU_DEP_3) | instskip(NEXT) | instid1(VALU_DEP_3)
	v_and_b32_e32 v47, 0x8000, v47
	v_and_b32_e32 v46, 0xfc00, v46
	s_delay_alu instid0(VALU_DEP_1)
	v_or3_b32 v45, v47, v46, v45
.LBB251_725:                            ;   in Loop: Header=BB251_554 Depth=1
	s_wait_alu 0xfffe
	s_or_b32 exec_lo, exec_lo, s19
.LBB251_726:                            ;   in Loop: Header=BB251_554 Depth=1
	s_wait_alu 0xfffe
	s_or_b32 exec_lo, exec_lo, s18
.LBB251_727:                            ;   in Loop: Header=BB251_554 Depth=1
	s_wait_alu 0xfffe
	s_or_b32 exec_lo, exec_lo, s17
	v_lshrrev_b16 v1, 8, v1
	v_mov_b32_e32 v46, 0
	s_mov_b32 s17, exec_lo
	s_delay_alu instid0(VALU_DEP_2)
	v_cmpx_ne_u16_e32 0, v1
	s_cbranch_execz .LBB251_735
; %bb.728:                              ;   in Loop: Header=BB251_554 Depth=1
	v_bfrev_b32_e32 v46, 1
	s_mov_b32 s18, exec_lo
	v_cmpx_ne_u16_e32 0x80, v1
	s_cbranch_execz .LBB251_734
; %bb.729:                              ;   in Loop: Header=BB251_554 Depth=1
	v_and_b32_e32 v47, 0xffff, v1
	v_mov_b32_e32 v46, 0x7c010000
	s_mov_b32 s19, exec_lo
	s_delay_alu instid0(VALU_DEP_2) | instskip(NEXT) | instid1(VALU_DEP_1)
	v_and_b32_e32 v49, 0x7f, v47
	v_cmpx_ne_u32_e32 0x7f, v49
	s_cbranch_execz .LBB251_733
; %bb.730:                              ;   in Loop: Header=BB251_554 Depth=1
	v_and_b32_e32 v46, 7, v47
	v_lshrrev_b32_e32 v48, 3, v49
	s_mov_b32 s26, exec_lo
	v_cmpx_gt_u32_e32 8, v49
; %bb.731:                              ;   in Loop: Header=BB251_554 Depth=1
	s_delay_alu instid0(VALU_DEP_3) | instskip(NEXT) | instid1(VALU_DEP_1)
	v_clz_i32_u32_e32 v46, v46
	v_min_u32_e32 v46, 32, v46
	s_delay_alu instid0(VALU_DEP_1) | instskip(NEXT) | instid1(VALU_DEP_1)
	v_subrev_nc_u32_e32 v48, 28, v46
	v_lshlrev_b64_e32 v[49:50], v48, v[1:2]
	v_sub_nc_u32_e32 v48, 29, v46
	s_delay_alu instid0(VALU_DEP_2)
	v_and_b32_e32 v46, 7, v49
; %bb.732:                              ;   in Loop: Header=BB251_554 Depth=1
	s_wait_alu 0xfffe
	s_or_b32 exec_lo, exec_lo, s26
	v_lshlrev_b32_e32 v1, 8, v47
	v_lshl_add_u32 v47, v48, 10, 0x2000
	v_lshlrev_b32_e32 v46, 23, v46
	s_delay_alu instid0(VALU_DEP_2) | instskip(NEXT) | instid1(VALU_DEP_1)
	v_and_or_b32 v1, 0x8000, v1, v47
	v_lshl_or_b32 v46, v1, 16, v46
.LBB251_733:                            ;   in Loop: Header=BB251_554 Depth=1
	s_wait_alu 0xfffe
	s_or_b32 exec_lo, exec_lo, s19
.LBB251_734:                            ;   in Loop: Header=BB251_554 Depth=1
	s_wait_alu 0xfffe
	s_or_b32 exec_lo, exec_lo, s18
.LBB251_735:                            ;   in Loop: Header=BB251_554 Depth=1
	s_wait_alu 0xfffe
	s_or_b32 exec_lo, exec_lo, s17
	v_lshrrev_b32_e32 v1, 16, v10
	s_mov_b32 s17, exec_lo
	s_delay_alu instid0(VALU_DEP_1) | instskip(NEXT) | instid1(VALU_DEP_1)
	v_and_b32_e32 v47, 0xff, v1
	v_cmpx_ne_u16_e32 0, v47
	s_cbranch_execz .LBB251_743
; %bb.736:                              ;   in Loop: Header=BB251_554 Depth=1
	v_mov_b32_e32 v44, 0x8000
	s_mov_b32 s18, exec_lo
	v_cmpx_ne_u16_e32 0x80, v47
	s_cbranch_execz .LBB251_742
; %bb.737:                              ;   in Loop: Header=BB251_554 Depth=1
	v_bfe_u32 v48, v10, 16, 7
	v_mov_b32_e32 v44, 0x7c01
	s_mov_b32 s19, exec_lo
	s_delay_alu instid0(VALU_DEP_2)
	v_cmpx_ne_u32_e32 0x7f, v48
	s_cbranch_execz .LBB251_741
; %bb.738:                              ;   in Loop: Header=BB251_554 Depth=1
	v_and_b32_e32 v44, 7, v1
	v_lshrrev_b32_e32 v47, 3, v48
	s_mov_b32 s26, exec_lo
	v_cmpx_gt_u32_e32 8, v48
; %bb.739:                              ;   in Loop: Header=BB251_554 Depth=1
	s_delay_alu instid0(VALU_DEP_3) | instskip(NEXT) | instid1(VALU_DEP_1)
	v_clz_i32_u32_e32 v44, v44
	v_min_u32_e32 v44, 32, v44
	s_delay_alu instid0(VALU_DEP_1) | instskip(NEXT) | instid1(VALU_DEP_1)
	v_subrev_nc_u32_e32 v47, 28, v44
	v_lshlrev_b64_e32 v[48:49], v47, v[1:2]
	v_sub_nc_u32_e32 v47, 29, v44
	s_delay_alu instid0(VALU_DEP_2)
	v_and_b32_e32 v44, 7, v48
; %bb.740:                              ;   in Loop: Header=BB251_554 Depth=1
	s_wait_alu 0xfffe
	s_or_b32 exec_lo, exec_lo, s26
	v_lshlrev_b32_e32 v1, 8, v1
	v_lshl_add_u32 v47, v47, 10, 0x2000
	v_lshlrev_b32_e32 v44, 7, v44
	s_delay_alu instid0(VALU_DEP_3) | instskip(NEXT) | instid1(VALU_DEP_3)
	v_and_b32_e32 v1, 0x8000, v1
	v_and_b32_e32 v47, 0xfc00, v47
	s_delay_alu instid0(VALU_DEP_1)
	v_or3_b32 v44, v1, v47, v44
.LBB251_741:                            ;   in Loop: Header=BB251_554 Depth=1
	s_wait_alu 0xfffe
	s_or_b32 exec_lo, exec_lo, s19
.LBB251_742:                            ;   in Loop: Header=BB251_554 Depth=1
	s_wait_alu 0xfffe
	s_or_b32 exec_lo, exec_lo, s18
.LBB251_743:                            ;   in Loop: Header=BB251_554 Depth=1
	s_wait_alu 0xfffe
	s_or_b32 exec_lo, exec_lo, s17
	v_cmp_lt_u64_e64 s0, s[2:3], v[9:10]
	v_mov_b32_e32 v9, 0
	s_and_saveexec_b32 s17, s0
	s_cbranch_execz .LBB251_751
; %bb.744:                              ;   in Loop: Header=BB251_554 Depth=1
	v_lshrrev_b32_e32 v1, 24, v10
	v_bfrev_b32_e32 v9, 1
	s_mov_b32 s18, exec_lo
	s_delay_alu instid0(VALU_DEP_2)
	v_cmpx_ne_u32_e32 0x80, v1
	s_cbranch_execz .LBB251_750
; %bb.745:                              ;   in Loop: Header=BB251_554 Depth=1
	v_and_b32_e32 v47, 0x7f, v1
	v_mov_b32_e32 v9, 0x7c010000
	s_mov_b32 s19, exec_lo
	s_delay_alu instid0(VALU_DEP_2)
	v_cmpx_ne_u32_e32 0x7f, v47
	s_cbranch_execz .LBB251_749
; %bb.746:                              ;   in Loop: Header=BB251_554 Depth=1
	v_and_b32_e32 v9, 7, v1
	v_lshrrev_b32_e32 v10, 3, v47
	s_mov_b32 s26, exec_lo
	v_cmpx_gt_u32_e32 8, v47
; %bb.747:                              ;   in Loop: Header=BB251_554 Depth=1
	s_delay_alu instid0(VALU_DEP_3) | instskip(NEXT) | instid1(VALU_DEP_1)
	v_clz_i32_u32_e32 v9, v9
	v_min_u32_e32 v47, 32, v9
	s_delay_alu instid0(VALU_DEP_1) | instskip(NEXT) | instid1(VALU_DEP_1)
	v_subrev_nc_u32_e32 v9, 28, v47
	v_lshlrev_b64_e32 v[9:10], v9, v[1:2]
	v_sub_nc_u32_e32 v10, 29, v47
	s_delay_alu instid0(VALU_DEP_2)
	v_and_b32_e32 v9, 7, v9
; %bb.748:                              ;   in Loop: Header=BB251_554 Depth=1
	s_wait_alu 0xfffe
	s_or_b32 exec_lo, exec_lo, s26
	v_lshlrev_b32_e32 v1, 8, v1
	v_lshl_add_u32 v10, v10, 10, 0x2000
	v_lshlrev_b32_e32 v9, 23, v9
	s_delay_alu instid0(VALU_DEP_2) | instskip(NEXT) | instid1(VALU_DEP_1)
	v_and_or_b32 v1, 0x8000, v1, v10
	v_lshl_or_b32 v9, v1, 16, v9
.LBB251_749:                            ;   in Loop: Header=BB251_554 Depth=1
	s_wait_alu 0xfffe
	s_or_b32 exec_lo, exec_lo, s19
.LBB251_750:                            ;   in Loop: Header=BB251_554 Depth=1
	s_wait_alu 0xfffe
	s_or_b32 exec_lo, exec_lo, s18
.LBB251_751:                            ;   in Loop: Header=BB251_554 Depth=1
	s_wait_alu 0xfffe
	s_or_b32 exec_lo, exec_lo, s17
	v_or_b32_e32 v1, v42, v43
	s_wait_loadcnt 0x0
	v_fma_mixlo_f16 v10, v39, v42, 0 op_sel:[0,1,0] op_sel_hi:[0,1,0]
	v_or_b32_e32 v42, v40, v41
	v_fma_mixlo_f16 v40, v39, v40, 0 op_sel:[0,1,0] op_sel_hi:[0,1,0]
	v_or_b32_e32 v43, v46, v45
	v_or_b32_e32 v44, v9, v44
	v_fma_mixlo_f16 v45, v39, v1, 0 op_sel_hi:[0,1,0]
	v_fma_mixlo_f16 v9, v39, v9, 0 op_sel:[0,1,0] op_sel_hi:[0,1,0]
	v_lshlrev_b32_e32 v41, 16, v40
	v_fma_mixlo_f16 v40, v39, v42, 0 op_sel_hi:[0,1,0]
	v_fma_mixlo_f16 v42, v39, v46, 0 op_sel:[0,1,0] op_sel_hi:[0,1,0]
	v_fma_mixlo_f16 v43, v39, v43, 0 op_sel_hi:[0,1,0]
	v_fma_mixlo_f16 v44, v39, v44, 0 op_sel_hi:[0,1,0]
	v_lshlrev_b32_e32 v1, 16, v10
	v_and_b32_e32 v10, 0xffff, v45
	v_and_b32_e32 v47, 0xffff, v40
	v_lshlrev_b32_e32 v39, 16, v42
	v_and_b32_e32 v43, 0xffff, v43
	v_lshlrev_b32_e32 v9, 16, v9
	v_and_b32_e32 v40, 0xffff, v44
	v_or_b32_e32 v42, v1, v10
	v_or_b32_e32 v46, v41, v47
	;; [unrolled: 1-line block ×3, first 2 shown]
	s_delay_alu instid0(VALU_DEP_4)
	v_or_b32_e32 v44, v9, v40
	s_and_saveexec_b32 s17, vcc_lo
	s_cbranch_execz .LBB251_753
; %bb.752:                              ;   in Loop: Header=BB251_554 Depth=1
	v_cmp_gt_i32_e64 s0, s21, v12
	s_wait_alu 0xf1ff
	s_delay_alu instid0(VALU_DEP_1) | instskip(SKIP_2) | instid1(VALU_DEP_1)
	v_cndmask_b32_e64 v42, 0, v47, s0
	v_cmp_gt_i32_e64 s0, s21, v31
	s_wait_alu 0xf1ff
	v_cndmask_b32_e64 v41, 0, v41, s0
	v_cmp_gt_i32_e64 s0, s21, v29
	s_delay_alu instid0(VALU_DEP_2) | instskip(SKIP_1) | instid1(VALU_DEP_2)
	v_or_b32_e32 v46, v41, v42
	s_wait_alu 0xf1ff
	v_cndmask_b32_e64 v10, 0, v10, s0
	v_cmp_gt_i32_e64 s0, s21, v28
	s_wait_alu 0xf1ff
	s_delay_alu instid0(VALU_DEP_1) | instskip(SKIP_1) | instid1(VALU_DEP_2)
	v_cndmask_b32_e64 v1, 0, v1, s0
	v_cmp_gt_i32_e64 s0, s21, v27
	v_or_b32_e32 v42, v1, v10
	s_wait_alu 0xf1ff
	s_delay_alu instid0(VALU_DEP_2) | instskip(SKIP_2) | instid1(VALU_DEP_1)
	v_cndmask_b32_e64 v43, 0, v43, s0
	v_cmp_gt_i32_e64 s0, s21, v26
	s_wait_alu 0xf1ff
	v_cndmask_b32_e64 v39, 0, v39, s0
	v_cmp_gt_i32_e64 s0, s21, v25
	s_delay_alu instid0(VALU_DEP_2) | instskip(SKIP_1) | instid1(VALU_DEP_2)
	v_or_b32_e32 v45, v39, v43
	s_wait_alu 0xf1ff
	v_cndmask_b32_e64 v40, 0, v40, s0
	v_cmp_gt_i32_e64 s0, s21, v24
	s_wait_alu 0xf1ff
	s_delay_alu instid0(VALU_DEP_1) | instskip(NEXT) | instid1(VALU_DEP_1)
	v_cndmask_b32_e64 v9, 0, v9, s0
	v_or_b32_e32 v44, v9, v40
.LBB251_753:                            ;   in Loop: Header=BB251_554 Depth=1
	s_wait_alu 0xfffe
	s_or_b32 exec_lo, exec_lo, s17
	;;#ASMSTART
	v_pk_mul_f16 v1, v36, v46;

	;;#ASMEND
	;;#ASMSTART
	v_pk_mul_f16 v9, v35, v42;

	;;#ASMEND
	;; [unrolled: 4-line block ×4, first 2 shown]
	;;#ASMSTART
	v_pk_add_f16 v1, v1, v9;

	;;#ASMEND
	;;#ASMSTART
	v_pk_add_f16 v1, v1, v10;

	;;#ASMEND
	;; [unrolled: 4-line block ×3, first 2 shown]
	v_dual_mov_b32 v42, 0 :: v_dual_and_b32 v9, 0xffff, v1
	v_lshrrev_b32_e32 v1, 16, v1
	;;#ASMSTART
	v_cvt_f32_f16 v39, v9;
	;;#ASMEND
	;;#ASMSTART
	v_cvt_f32_f16 v40, v1;
	;;#ASMEND
	global_load_b64 v[9:10], v[7:8], off offset:768
	global_load_b32 v41, v42, s[10:11]
	v_mov_b32_e32 v43, 0
	s_mov_b32 s17, exec_lo
	s_wait_loadcnt 0x1
	v_and_b32_e32 v1, 0xff, v9
	s_delay_alu instid0(VALU_DEP_1)
	v_cmpx_ne_u16_e32 0, v1
	s_cbranch_execz .LBB251_761
; %bb.754:                              ;   in Loop: Header=BB251_554 Depth=1
	v_mov_b32_e32 v43, 0x8000
	s_mov_b32 s18, exec_lo
	v_cmpx_ne_u16_e32 0x80, v1
	s_cbranch_execz .LBB251_760
; %bb.755:                              ;   in Loop: Header=BB251_554 Depth=1
	v_and_b32_e32 v44, 0x7f, v9
	v_mov_b32_e32 v43, 0x7c01
	s_mov_b32 s19, exec_lo
	s_delay_alu instid0(VALU_DEP_2)
	v_cmpx_ne_u32_e32 0x7f, v44
	s_cbranch_execz .LBB251_759
; %bb.756:                              ;   in Loop: Header=BB251_554 Depth=1
	v_and_b32_e32 v1, 7, v9
	v_lshrrev_b32_e32 v43, 3, v44
	s_mov_b32 s26, exec_lo
	v_cmpx_gt_u32_e32 8, v44
; %bb.757:                              ;   in Loop: Header=BB251_554 Depth=1
	s_delay_alu instid0(VALU_DEP_3) | instskip(NEXT) | instid1(VALU_DEP_1)
	v_clz_i32_u32_e32 v1, v1
	v_min_u32_e32 v1, 32, v1
	s_delay_alu instid0(VALU_DEP_1) | instskip(NEXT) | instid1(VALU_DEP_1)
	v_subrev_nc_u32_e32 v43, 28, v1
	v_lshlrev_b64_e32 v[44:45], v43, v[9:10]
	v_sub_nc_u32_e32 v43, 29, v1
	s_delay_alu instid0(VALU_DEP_2)
	v_and_b32_e32 v1, 7, v44
; %bb.758:                              ;   in Loop: Header=BB251_554 Depth=1
	s_wait_alu 0xfffe
	s_or_b32 exec_lo, exec_lo, s26
	v_lshlrev_b32_e32 v44, 8, v9
	v_lshl_add_u32 v43, v43, 10, 0x2000
	v_lshlrev_b32_e32 v1, 7, v1
	s_delay_alu instid0(VALU_DEP_3) | instskip(NEXT) | instid1(VALU_DEP_3)
	v_and_b32_e32 v44, 0x8000, v44
	v_and_b32_e32 v43, 0xfc00, v43
	s_delay_alu instid0(VALU_DEP_1)
	v_or3_b32 v43, v44, v43, v1
.LBB251_759:                            ;   in Loop: Header=BB251_554 Depth=1
	s_wait_alu 0xfffe
	s_or_b32 exec_lo, exec_lo, s19
.LBB251_760:                            ;   in Loop: Header=BB251_554 Depth=1
	s_wait_alu 0xfffe
	s_or_b32 exec_lo, exec_lo, s18
.LBB251_761:                            ;   in Loop: Header=BB251_554 Depth=1
	s_wait_alu 0xfffe
	s_or_b32 exec_lo, exec_lo, s17
	v_lshrrev_b16 v1, 8, v9
	s_mov_b32 s17, exec_lo
	s_delay_alu instid0(VALU_DEP_1)
	v_cmpx_ne_u16_e32 0, v1
	s_cbranch_execz .LBB251_769
; %bb.762:                              ;   in Loop: Header=BB251_554 Depth=1
	v_bfrev_b32_e32 v42, 1
	s_mov_b32 s18, exec_lo
	v_cmpx_ne_u16_e32 0x80, v1
	s_cbranch_execz .LBB251_768
; %bb.763:                              ;   in Loop: Header=BB251_554 Depth=1
	v_and_b32_e32 v44, 0xffff, v1
	v_mov_b32_e32 v42, 0x7c010000
	s_mov_b32 s19, exec_lo
	s_delay_alu instid0(VALU_DEP_2) | instskip(NEXT) | instid1(VALU_DEP_1)
	v_and_b32_e32 v46, 0x7f, v44
	v_cmpx_ne_u32_e32 0x7f, v46
	s_cbranch_execz .LBB251_767
; %bb.764:                              ;   in Loop: Header=BB251_554 Depth=1
	v_and_b32_e32 v42, 7, v44
	v_lshrrev_b32_e32 v45, 3, v46
	s_mov_b32 s26, exec_lo
	v_cmpx_gt_u32_e32 8, v46
; %bb.765:                              ;   in Loop: Header=BB251_554 Depth=1
	s_delay_alu instid0(VALU_DEP_3) | instskip(NEXT) | instid1(VALU_DEP_1)
	v_clz_i32_u32_e32 v42, v42
	v_min_u32_e32 v42, 32, v42
	s_delay_alu instid0(VALU_DEP_1) | instskip(NEXT) | instid1(VALU_DEP_1)
	v_subrev_nc_u32_e32 v45, 28, v42
	v_lshlrev_b64_e32 v[46:47], v45, v[1:2]
	v_sub_nc_u32_e32 v45, 29, v42
	s_delay_alu instid0(VALU_DEP_2)
	v_and_b32_e32 v42, 7, v46
; %bb.766:                              ;   in Loop: Header=BB251_554 Depth=1
	s_wait_alu 0xfffe
	s_or_b32 exec_lo, exec_lo, s26
	v_lshlrev_b32_e32 v1, 8, v44
	v_lshl_add_u32 v44, v45, 10, 0x2000
	v_lshlrev_b32_e32 v42, 23, v42
	s_delay_alu instid0(VALU_DEP_2) | instskip(NEXT) | instid1(VALU_DEP_1)
	v_and_or_b32 v1, 0x8000, v1, v44
	v_lshl_or_b32 v42, v1, 16, v42
.LBB251_767:                            ;   in Loop: Header=BB251_554 Depth=1
	s_wait_alu 0xfffe
	s_or_b32 exec_lo, exec_lo, s19
.LBB251_768:                            ;   in Loop: Header=BB251_554 Depth=1
	s_wait_alu 0xfffe
	s_or_b32 exec_lo, exec_lo, s18
.LBB251_769:                            ;   in Loop: Header=BB251_554 Depth=1
	s_wait_alu 0xfffe
	s_or_b32 exec_lo, exec_lo, s17
	v_lshrrev_b32_e32 v1, 16, v9
	v_mov_b32_e32 v44, 0
	s_mov_b32 s17, exec_lo
	s_delay_alu instid0(VALU_DEP_2) | instskip(NEXT) | instid1(VALU_DEP_1)
	v_dual_mov_b32 v45, 0 :: v_dual_and_b32 v46, 0xff, v1
	v_cmpx_ne_u16_e32 0, v46
	s_cbranch_execz .LBB251_777
; %bb.770:                              ;   in Loop: Header=BB251_554 Depth=1
	v_mov_b32_e32 v45, 0x8000
	s_mov_b32 s18, exec_lo
	v_cmpx_ne_u16_e32 0x80, v46
	s_cbranch_execz .LBB251_776
; %bb.771:                              ;   in Loop: Header=BB251_554 Depth=1
	v_bfe_u32 v47, v9, 16, 7
	v_mov_b32_e32 v45, 0x7c01
	s_mov_b32 s19, exec_lo
	s_delay_alu instid0(VALU_DEP_2)
	v_cmpx_ne_u32_e32 0x7f, v47
	s_cbranch_execz .LBB251_775
; %bb.772:                              ;   in Loop: Header=BB251_554 Depth=1
	v_and_b32_e32 v45, 7, v1
	v_lshrrev_b32_e32 v46, 3, v47
	s_mov_b32 s26, exec_lo
	v_cmpx_gt_u32_e32 8, v47
; %bb.773:                              ;   in Loop: Header=BB251_554 Depth=1
	s_delay_alu instid0(VALU_DEP_3) | instskip(NEXT) | instid1(VALU_DEP_1)
	v_clz_i32_u32_e32 v45, v45
	v_min_u32_e32 v47, 32, v45
	s_delay_alu instid0(VALU_DEP_1) | instskip(NEXT) | instid1(VALU_DEP_1)
	v_subrev_nc_u32_e32 v45, 28, v47
	v_lshlrev_b64_e32 v[45:46], v45, v[1:2]
	v_sub_nc_u32_e32 v46, 29, v47
	s_delay_alu instid0(VALU_DEP_2)
	v_and_b32_e32 v45, 7, v45
; %bb.774:                              ;   in Loop: Header=BB251_554 Depth=1
	s_wait_alu 0xfffe
	s_or_b32 exec_lo, exec_lo, s26
	v_lshlrev_b32_e32 v1, 8, v1
	v_lshl_add_u32 v46, v46, 10, 0x2000
	v_lshlrev_b32_e32 v45, 7, v45
	s_delay_alu instid0(VALU_DEP_3) | instskip(NEXT) | instid1(VALU_DEP_3)
	v_and_b32_e32 v1, 0x8000, v1
	v_and_b32_e32 v46, 0xfc00, v46
	s_delay_alu instid0(VALU_DEP_1)
	v_or3_b32 v45, v1, v46, v45
.LBB251_775:                            ;   in Loop: Header=BB251_554 Depth=1
	s_wait_alu 0xfffe
	s_or_b32 exec_lo, exec_lo, s19
.LBB251_776:                            ;   in Loop: Header=BB251_554 Depth=1
	s_wait_alu 0xfffe
	s_or_b32 exec_lo, exec_lo, s18
.LBB251_777:                            ;   in Loop: Header=BB251_554 Depth=1
	s_wait_alu 0xfffe
	s_or_b32 exec_lo, exec_lo, s17
	s_delay_alu instid0(SALU_CYCLE_1)
	s_mov_b32 s17, exec_lo
	v_cmpx_lt_u32_e32 0xffffff, v9
	s_cbranch_execz .LBB251_785
; %bb.778:                              ;   in Loop: Header=BB251_554 Depth=1
	v_lshrrev_b32_e32 v1, 24, v9
	v_bfrev_b32_e32 v44, 1
	s_mov_b32 s18, exec_lo
	s_delay_alu instid0(VALU_DEP_2)
	v_cmpx_ne_u32_e32 0x80, v1
	s_cbranch_execz .LBB251_784
; %bb.779:                              ;   in Loop: Header=BB251_554 Depth=1
	v_and_b32_e32 v47, 0x7f, v1
	v_mov_b32_e32 v44, 0x7c010000
	s_mov_b32 s19, exec_lo
	s_delay_alu instid0(VALU_DEP_2)
	v_cmpx_ne_u32_e32 0x7f, v47
	s_cbranch_execz .LBB251_783
; %bb.780:                              ;   in Loop: Header=BB251_554 Depth=1
	v_and_b32_e32 v44, 7, v1
	v_lshrrev_b32_e32 v46, 3, v47
	s_mov_b32 s26, exec_lo
	v_cmpx_gt_u32_e32 8, v47
; %bb.781:                              ;   in Loop: Header=BB251_554 Depth=1
	s_delay_alu instid0(VALU_DEP_3) | instskip(NEXT) | instid1(VALU_DEP_1)
	v_clz_i32_u32_e32 v44, v44
	v_min_u32_e32 v44, 32, v44
	s_delay_alu instid0(VALU_DEP_1) | instskip(NEXT) | instid1(VALU_DEP_1)
	v_subrev_nc_u32_e32 v46, 28, v44
	v_lshlrev_b64_e32 v[47:48], v46, v[1:2]
	v_sub_nc_u32_e32 v46, 29, v44
	s_delay_alu instid0(VALU_DEP_2)
	v_and_b32_e32 v44, 7, v47
; %bb.782:                              ;   in Loop: Header=BB251_554 Depth=1
	s_wait_alu 0xfffe
	s_or_b32 exec_lo, exec_lo, s26
	v_lshlrev_b32_e32 v1, 8, v1
	v_lshl_add_u32 v46, v46, 10, 0x2000
	v_lshlrev_b32_e32 v44, 23, v44
	s_delay_alu instid0(VALU_DEP_2) | instskip(NEXT) | instid1(VALU_DEP_1)
	v_and_or_b32 v1, 0x8000, v1, v46
	v_lshl_or_b32 v44, v1, 16, v44
.LBB251_783:                            ;   in Loop: Header=BB251_554 Depth=1
	s_wait_alu 0xfffe
	s_or_b32 exec_lo, exec_lo, s19
.LBB251_784:                            ;   in Loop: Header=BB251_554 Depth=1
	s_wait_alu 0xfffe
	s_or_b32 exec_lo, exec_lo, s18
.LBB251_785:                            ;   in Loop: Header=BB251_554 Depth=1
	s_wait_alu 0xfffe
	s_or_b32 exec_lo, exec_lo, s17
	v_dual_mov_b32 v1, v10 :: v_dual_and_b32 v48, 0xff, v10
	v_dual_mov_b32 v46, 0 :: v_dual_mov_b32 v47, 0
	s_mov_b32 s17, exec_lo
	s_delay_alu instid0(VALU_DEP_2)
	v_cmpx_ne_u16_e32 0, v48
	s_cbranch_execz .LBB251_793
; %bb.786:                              ;   in Loop: Header=BB251_554 Depth=1
	v_mov_b32_e32 v47, 0x8000
	s_mov_b32 s18, exec_lo
	v_cmpx_ne_u16_e32 0x80, v48
	s_cbranch_execz .LBB251_792
; %bb.787:                              ;   in Loop: Header=BB251_554 Depth=1
	v_and_b32_e32 v49, 0x7f, v10
	v_mov_b32_e32 v47, 0x7c01
	s_mov_b32 s19, exec_lo
	s_delay_alu instid0(VALU_DEP_2)
	v_cmpx_ne_u32_e32 0x7f, v49
	s_cbranch_execz .LBB251_791
; %bb.788:                              ;   in Loop: Header=BB251_554 Depth=1
	v_and_b32_e32 v47, 7, v10
	v_lshrrev_b32_e32 v48, 3, v49
	s_mov_b32 s26, exec_lo
	v_cmpx_gt_u32_e32 8, v49
; %bb.789:                              ;   in Loop: Header=BB251_554 Depth=1
	s_delay_alu instid0(VALU_DEP_3) | instskip(NEXT) | instid1(VALU_DEP_1)
	v_clz_i32_u32_e32 v47, v47
	v_min_u32_e32 v49, 32, v47
	s_delay_alu instid0(VALU_DEP_1) | instskip(NEXT) | instid1(VALU_DEP_1)
	v_subrev_nc_u32_e32 v47, 28, v49
	v_lshlrev_b64_e32 v[47:48], v47, v[1:2]
	v_sub_nc_u32_e32 v48, 29, v49
	s_delay_alu instid0(VALU_DEP_2)
	v_and_b32_e32 v47, 7, v47
; %bb.790:                              ;   in Loop: Header=BB251_554 Depth=1
	s_wait_alu 0xfffe
	s_or_b32 exec_lo, exec_lo, s26
	v_lshlrev_b32_e32 v49, 8, v10
	v_lshl_add_u32 v48, v48, 10, 0x2000
	v_lshlrev_b32_e32 v47, 7, v47
	s_delay_alu instid0(VALU_DEP_3) | instskip(NEXT) | instid1(VALU_DEP_3)
	v_and_b32_e32 v49, 0x8000, v49
	v_and_b32_e32 v48, 0xfc00, v48
	s_delay_alu instid0(VALU_DEP_1)
	v_or3_b32 v47, v49, v48, v47
.LBB251_791:                            ;   in Loop: Header=BB251_554 Depth=1
	s_wait_alu 0xfffe
	s_or_b32 exec_lo, exec_lo, s19
.LBB251_792:                            ;   in Loop: Header=BB251_554 Depth=1
	s_wait_alu 0xfffe
	s_or_b32 exec_lo, exec_lo, s18
.LBB251_793:                            ;   in Loop: Header=BB251_554 Depth=1
	s_wait_alu 0xfffe
	s_or_b32 exec_lo, exec_lo, s17
	v_lshrrev_b16 v1, 8, v1
	v_mov_b32_e32 v48, 0
	s_mov_b32 s17, exec_lo
	s_delay_alu instid0(VALU_DEP_2)
	v_cmpx_ne_u16_e32 0, v1
	s_cbranch_execz .LBB251_801
; %bb.794:                              ;   in Loop: Header=BB251_554 Depth=1
	v_bfrev_b32_e32 v48, 1
	s_mov_b32 s18, exec_lo
	v_cmpx_ne_u16_e32 0x80, v1
	s_cbranch_execz .LBB251_800
; %bb.795:                              ;   in Loop: Header=BB251_554 Depth=1
	v_and_b32_e32 v49, 0xffff, v1
	v_mov_b32_e32 v48, 0x7c010000
	s_mov_b32 s19, exec_lo
	s_delay_alu instid0(VALU_DEP_2) | instskip(NEXT) | instid1(VALU_DEP_1)
	v_and_b32_e32 v51, 0x7f, v49
	v_cmpx_ne_u32_e32 0x7f, v51
	s_cbranch_execz .LBB251_799
; %bb.796:                              ;   in Loop: Header=BB251_554 Depth=1
	v_and_b32_e32 v48, 7, v49
	v_lshrrev_b32_e32 v50, 3, v51
	s_mov_b32 s26, exec_lo
	v_cmpx_gt_u32_e32 8, v51
; %bb.797:                              ;   in Loop: Header=BB251_554 Depth=1
	s_delay_alu instid0(VALU_DEP_3) | instskip(NEXT) | instid1(VALU_DEP_1)
	v_clz_i32_u32_e32 v48, v48
	v_min_u32_e32 v48, 32, v48
	s_delay_alu instid0(VALU_DEP_1) | instskip(NEXT) | instid1(VALU_DEP_1)
	v_subrev_nc_u32_e32 v50, 28, v48
	v_lshlrev_b64_e32 v[51:52], v50, v[1:2]
	v_sub_nc_u32_e32 v50, 29, v48
	s_delay_alu instid0(VALU_DEP_2)
	v_and_b32_e32 v48, 7, v51
; %bb.798:                              ;   in Loop: Header=BB251_554 Depth=1
	s_wait_alu 0xfffe
	s_or_b32 exec_lo, exec_lo, s26
	v_lshlrev_b32_e32 v1, 8, v49
	v_lshl_add_u32 v49, v50, 10, 0x2000
	v_lshlrev_b32_e32 v48, 23, v48
	s_delay_alu instid0(VALU_DEP_2) | instskip(NEXT) | instid1(VALU_DEP_1)
	v_and_or_b32 v1, 0x8000, v1, v49
	v_lshl_or_b32 v48, v1, 16, v48
.LBB251_799:                            ;   in Loop: Header=BB251_554 Depth=1
	s_wait_alu 0xfffe
	s_or_b32 exec_lo, exec_lo, s19
.LBB251_800:                            ;   in Loop: Header=BB251_554 Depth=1
	s_wait_alu 0xfffe
	s_or_b32 exec_lo, exec_lo, s18
.LBB251_801:                            ;   in Loop: Header=BB251_554 Depth=1
	s_wait_alu 0xfffe
	s_or_b32 exec_lo, exec_lo, s17
	v_lshrrev_b32_e32 v1, 16, v10
	s_mov_b32 s17, exec_lo
	s_delay_alu instid0(VALU_DEP_1) | instskip(NEXT) | instid1(VALU_DEP_1)
	v_and_b32_e32 v49, 0xff, v1
	v_cmpx_ne_u16_e32 0, v49
	s_cbranch_execz .LBB251_809
; %bb.802:                              ;   in Loop: Header=BB251_554 Depth=1
	v_mov_b32_e32 v46, 0x8000
	s_mov_b32 s18, exec_lo
	v_cmpx_ne_u16_e32 0x80, v49
	s_cbranch_execz .LBB251_808
; %bb.803:                              ;   in Loop: Header=BB251_554 Depth=1
	v_bfe_u32 v50, v10, 16, 7
	v_mov_b32_e32 v46, 0x7c01
	s_mov_b32 s19, exec_lo
	s_delay_alu instid0(VALU_DEP_2)
	v_cmpx_ne_u32_e32 0x7f, v50
	s_cbranch_execz .LBB251_807
; %bb.804:                              ;   in Loop: Header=BB251_554 Depth=1
	v_and_b32_e32 v46, 7, v1
	v_lshrrev_b32_e32 v49, 3, v50
	s_mov_b32 s26, exec_lo
	v_cmpx_gt_u32_e32 8, v50
; %bb.805:                              ;   in Loop: Header=BB251_554 Depth=1
	s_delay_alu instid0(VALU_DEP_3) | instskip(NEXT) | instid1(VALU_DEP_1)
	v_clz_i32_u32_e32 v46, v46
	v_min_u32_e32 v46, 32, v46
	s_delay_alu instid0(VALU_DEP_1) | instskip(NEXT) | instid1(VALU_DEP_1)
	v_subrev_nc_u32_e32 v49, 28, v46
	v_lshlrev_b64_e32 v[50:51], v49, v[1:2]
	v_sub_nc_u32_e32 v49, 29, v46
	s_delay_alu instid0(VALU_DEP_2)
	v_and_b32_e32 v46, 7, v50
; %bb.806:                              ;   in Loop: Header=BB251_554 Depth=1
	s_wait_alu 0xfffe
	s_or_b32 exec_lo, exec_lo, s26
	v_lshlrev_b32_e32 v1, 8, v1
	v_lshl_add_u32 v49, v49, 10, 0x2000
	v_lshlrev_b32_e32 v46, 7, v46
	s_delay_alu instid0(VALU_DEP_3) | instskip(NEXT) | instid1(VALU_DEP_3)
	v_and_b32_e32 v1, 0x8000, v1
	v_and_b32_e32 v49, 0xfc00, v49
	s_delay_alu instid0(VALU_DEP_1)
	v_or3_b32 v46, v1, v49, v46
.LBB251_807:                            ;   in Loop: Header=BB251_554 Depth=1
	s_wait_alu 0xfffe
	s_or_b32 exec_lo, exec_lo, s19
.LBB251_808:                            ;   in Loop: Header=BB251_554 Depth=1
	s_wait_alu 0xfffe
	s_or_b32 exec_lo, exec_lo, s18
.LBB251_809:                            ;   in Loop: Header=BB251_554 Depth=1
	s_wait_alu 0xfffe
	s_or_b32 exec_lo, exec_lo, s17
	v_cmp_lt_u64_e64 s0, s[2:3], v[9:10]
	v_mov_b32_e32 v9, 0
	s_and_saveexec_b32 s17, s0
	s_cbranch_execz .LBB251_817
; %bb.810:                              ;   in Loop: Header=BB251_554 Depth=1
	v_lshrrev_b32_e32 v1, 24, v10
	v_bfrev_b32_e32 v9, 1
	s_mov_b32 s18, exec_lo
	s_delay_alu instid0(VALU_DEP_2)
	v_cmpx_ne_u32_e32 0x80, v1
	s_cbranch_execz .LBB251_816
; %bb.811:                              ;   in Loop: Header=BB251_554 Depth=1
	v_and_b32_e32 v49, 0x7f, v1
	v_mov_b32_e32 v9, 0x7c010000
	s_mov_b32 s19, exec_lo
	s_delay_alu instid0(VALU_DEP_2)
	v_cmpx_ne_u32_e32 0x7f, v49
	s_cbranch_execz .LBB251_815
; %bb.812:                              ;   in Loop: Header=BB251_554 Depth=1
	v_and_b32_e32 v9, 7, v1
	v_lshrrev_b32_e32 v10, 3, v49
	s_mov_b32 s26, exec_lo
	v_cmpx_gt_u32_e32 8, v49
; %bb.813:                              ;   in Loop: Header=BB251_554 Depth=1
	s_delay_alu instid0(VALU_DEP_3) | instskip(NEXT) | instid1(VALU_DEP_1)
	v_clz_i32_u32_e32 v9, v9
	v_min_u32_e32 v49, 32, v9
	s_delay_alu instid0(VALU_DEP_1) | instskip(NEXT) | instid1(VALU_DEP_1)
	v_subrev_nc_u32_e32 v9, 28, v49
	v_lshlrev_b64_e32 v[9:10], v9, v[1:2]
	v_sub_nc_u32_e32 v10, 29, v49
	s_delay_alu instid0(VALU_DEP_2)
	v_and_b32_e32 v9, 7, v9
; %bb.814:                              ;   in Loop: Header=BB251_554 Depth=1
	s_wait_alu 0xfffe
	s_or_b32 exec_lo, exec_lo, s26
	v_lshlrev_b32_e32 v1, 8, v1
	v_lshl_add_u32 v10, v10, 10, 0x2000
	v_lshlrev_b32_e32 v9, 23, v9
	s_delay_alu instid0(VALU_DEP_2) | instskip(NEXT) | instid1(VALU_DEP_1)
	v_and_or_b32 v1, 0x8000, v1, v10
	v_lshl_or_b32 v9, v1, 16, v9
.LBB251_815:                            ;   in Loop: Header=BB251_554 Depth=1
	s_wait_alu 0xfffe
	s_or_b32 exec_lo, exec_lo, s19
.LBB251_816:                            ;   in Loop: Header=BB251_554 Depth=1
	s_wait_alu 0xfffe
	s_or_b32 exec_lo, exec_lo, s18
.LBB251_817:                            ;   in Loop: Header=BB251_554 Depth=1
	s_wait_alu 0xfffe
	s_or_b32 exec_lo, exec_lo, s17
	v_or_b32_e32 v1, v44, v45
	s_wait_loadcnt 0x0
	v_fma_mixlo_f16 v10, v41, v44, 0 op_sel:[0,1,0] op_sel_hi:[0,1,0]
	v_or_b32_e32 v44, v42, v43
	v_fma_mixlo_f16 v42, v41, v42, 0 op_sel:[0,1,0] op_sel_hi:[0,1,0]
	v_or_b32_e32 v45, v48, v47
	v_or_b32_e32 v46, v9, v46
	v_fma_mixlo_f16 v47, v41, v1, 0 op_sel_hi:[0,1,0]
	v_fma_mixlo_f16 v9, v41, v9, 0 op_sel:[0,1,0] op_sel_hi:[0,1,0]
	v_lshlrev_b32_e32 v43, 16, v42
	v_fma_mixlo_f16 v42, v41, v44, 0 op_sel_hi:[0,1,0]
	v_fma_mixlo_f16 v44, v41, v48, 0 op_sel:[0,1,0] op_sel_hi:[0,1,0]
	v_fma_mixlo_f16 v45, v41, v45, 0 op_sel_hi:[0,1,0]
	v_fma_mixlo_f16 v46, v41, v46, 0 op_sel_hi:[0,1,0]
	v_lshlrev_b32_e32 v1, 16, v10
	v_and_b32_e32 v10, 0xffff, v47
	v_and_b32_e32 v49, 0xffff, v42
	v_lshlrev_b32_e32 v41, 16, v44
	v_and_b32_e32 v45, 0xffff, v45
	v_lshlrev_b32_e32 v9, 16, v9
	v_and_b32_e32 v42, 0xffff, v46
	v_or_b32_e32 v44, v1, v10
	v_or_b32_e32 v48, v43, v49
	;; [unrolled: 1-line block ×3, first 2 shown]
	s_delay_alu instid0(VALU_DEP_4)
	v_or_b32_e32 v46, v9, v42
	s_and_saveexec_b32 s17, vcc_lo
	s_cbranch_execz .LBB251_819
; %bb.818:                              ;   in Loop: Header=BB251_554 Depth=1
	v_cmp_gt_i32_e64 s0, s21, v12
	s_wait_alu 0xf1ff
	s_delay_alu instid0(VALU_DEP_1) | instskip(SKIP_2) | instid1(VALU_DEP_1)
	v_cndmask_b32_e64 v44, 0, v49, s0
	v_cmp_gt_i32_e64 s0, s21, v31
	s_wait_alu 0xf1ff
	v_cndmask_b32_e64 v43, 0, v43, s0
	v_cmp_gt_i32_e64 s0, s21, v29
	s_delay_alu instid0(VALU_DEP_2) | instskip(SKIP_1) | instid1(VALU_DEP_2)
	v_or_b32_e32 v48, v43, v44
	s_wait_alu 0xf1ff
	v_cndmask_b32_e64 v10, 0, v10, s0
	v_cmp_gt_i32_e64 s0, s21, v28
	s_wait_alu 0xf1ff
	s_delay_alu instid0(VALU_DEP_1) | instskip(SKIP_1) | instid1(VALU_DEP_2)
	v_cndmask_b32_e64 v1, 0, v1, s0
	v_cmp_gt_i32_e64 s0, s21, v27
	v_or_b32_e32 v44, v1, v10
	s_wait_alu 0xf1ff
	s_delay_alu instid0(VALU_DEP_2) | instskip(SKIP_2) | instid1(VALU_DEP_1)
	v_cndmask_b32_e64 v45, 0, v45, s0
	v_cmp_gt_i32_e64 s0, s21, v26
	s_wait_alu 0xf1ff
	v_cndmask_b32_e64 v41, 0, v41, s0
	v_cmp_gt_i32_e64 s0, s21, v25
	s_delay_alu instid0(VALU_DEP_2) | instskip(SKIP_1) | instid1(VALU_DEP_2)
	v_or_b32_e32 v47, v41, v45
	s_wait_alu 0xf1ff
	v_cndmask_b32_e64 v42, 0, v42, s0
	v_cmp_gt_i32_e64 s0, s21, v24
	s_wait_alu 0xf1ff
	s_delay_alu instid0(VALU_DEP_1) | instskip(NEXT) | instid1(VALU_DEP_1)
	v_cndmask_b32_e64 v9, 0, v9, s0
	v_or_b32_e32 v46, v9, v42
.LBB251_819:                            ;   in Loop: Header=BB251_554 Depth=1
	s_wait_alu 0xfffe
	s_or_b32 exec_lo, exec_lo, s17
	;;#ASMSTART
	v_pk_mul_f16 v1, v36, v48;

	;;#ASMEND
	;;#ASMSTART
	v_pk_mul_f16 v9, v35, v44;

	;;#ASMEND
	;; [unrolled: 4-line block ×4, first 2 shown]
	;;#ASMSTART
	v_pk_add_f16 v1, v1, v9;

	;;#ASMEND
	;;#ASMSTART
	v_pk_add_f16 v1, v1, v10;

	;;#ASMEND
	;; [unrolled: 4-line block ×3, first 2 shown]
	v_dual_mov_b32 v44, 0 :: v_dual_and_b32 v9, 0xffff, v1
	v_lshrrev_b32_e32 v1, 16, v1
	;;#ASMSTART
	v_cvt_f32_f16 v41, v9;
	;;#ASMEND
	;;#ASMSTART
	v_cvt_f32_f16 v42, v1;
	;;#ASMEND
	global_load_b64 v[9:10], v[7:8], off offset:1024
	global_load_b32 v43, v44, s[10:11]
	v_mov_b32_e32 v45, 0
	s_mov_b32 s17, exec_lo
	s_wait_loadcnt 0x1
	v_and_b32_e32 v1, 0xff, v9
	s_delay_alu instid0(VALU_DEP_1)
	v_cmpx_ne_u16_e32 0, v1
	s_cbranch_execz .LBB251_827
; %bb.820:                              ;   in Loop: Header=BB251_554 Depth=1
	v_mov_b32_e32 v45, 0x8000
	s_mov_b32 s18, exec_lo
	v_cmpx_ne_u16_e32 0x80, v1
	s_cbranch_execz .LBB251_826
; %bb.821:                              ;   in Loop: Header=BB251_554 Depth=1
	v_and_b32_e32 v46, 0x7f, v9
	v_mov_b32_e32 v45, 0x7c01
	s_mov_b32 s19, exec_lo
	s_delay_alu instid0(VALU_DEP_2)
	v_cmpx_ne_u32_e32 0x7f, v46
	s_cbranch_execz .LBB251_825
; %bb.822:                              ;   in Loop: Header=BB251_554 Depth=1
	v_and_b32_e32 v1, 7, v9
	v_lshrrev_b32_e32 v45, 3, v46
	s_mov_b32 s26, exec_lo
	v_cmpx_gt_u32_e32 8, v46
; %bb.823:                              ;   in Loop: Header=BB251_554 Depth=1
	s_delay_alu instid0(VALU_DEP_3) | instskip(NEXT) | instid1(VALU_DEP_1)
	v_clz_i32_u32_e32 v1, v1
	v_min_u32_e32 v1, 32, v1
	s_delay_alu instid0(VALU_DEP_1) | instskip(NEXT) | instid1(VALU_DEP_1)
	v_subrev_nc_u32_e32 v45, 28, v1
	v_lshlrev_b64_e32 v[46:47], v45, v[9:10]
	v_sub_nc_u32_e32 v45, 29, v1
	s_delay_alu instid0(VALU_DEP_2)
	v_and_b32_e32 v1, 7, v46
; %bb.824:                              ;   in Loop: Header=BB251_554 Depth=1
	s_wait_alu 0xfffe
	s_or_b32 exec_lo, exec_lo, s26
	v_lshlrev_b32_e32 v46, 8, v9
	v_lshl_add_u32 v45, v45, 10, 0x2000
	v_lshlrev_b32_e32 v1, 7, v1
	s_delay_alu instid0(VALU_DEP_3) | instskip(NEXT) | instid1(VALU_DEP_3)
	v_and_b32_e32 v46, 0x8000, v46
	v_and_b32_e32 v45, 0xfc00, v45
	s_delay_alu instid0(VALU_DEP_1)
	v_or3_b32 v45, v46, v45, v1
.LBB251_825:                            ;   in Loop: Header=BB251_554 Depth=1
	s_wait_alu 0xfffe
	s_or_b32 exec_lo, exec_lo, s19
.LBB251_826:                            ;   in Loop: Header=BB251_554 Depth=1
	s_wait_alu 0xfffe
	s_or_b32 exec_lo, exec_lo, s18
.LBB251_827:                            ;   in Loop: Header=BB251_554 Depth=1
	s_wait_alu 0xfffe
	s_or_b32 exec_lo, exec_lo, s17
	v_lshrrev_b16 v1, 8, v9
	s_mov_b32 s17, exec_lo
	s_delay_alu instid0(VALU_DEP_1)
	v_cmpx_ne_u16_e32 0, v1
	s_cbranch_execz .LBB251_835
; %bb.828:                              ;   in Loop: Header=BB251_554 Depth=1
	v_bfrev_b32_e32 v44, 1
	s_mov_b32 s18, exec_lo
	v_cmpx_ne_u16_e32 0x80, v1
	s_cbranch_execz .LBB251_834
; %bb.829:                              ;   in Loop: Header=BB251_554 Depth=1
	v_and_b32_e32 v46, 0xffff, v1
	v_mov_b32_e32 v44, 0x7c010000
	s_mov_b32 s19, exec_lo
	s_delay_alu instid0(VALU_DEP_2) | instskip(NEXT) | instid1(VALU_DEP_1)
	v_and_b32_e32 v48, 0x7f, v46
	v_cmpx_ne_u32_e32 0x7f, v48
	s_cbranch_execz .LBB251_833
; %bb.830:                              ;   in Loop: Header=BB251_554 Depth=1
	v_and_b32_e32 v44, 7, v46
	v_lshrrev_b32_e32 v47, 3, v48
	s_mov_b32 s26, exec_lo
	v_cmpx_gt_u32_e32 8, v48
; %bb.831:                              ;   in Loop: Header=BB251_554 Depth=1
	s_delay_alu instid0(VALU_DEP_3) | instskip(NEXT) | instid1(VALU_DEP_1)
	v_clz_i32_u32_e32 v44, v44
	v_min_u32_e32 v44, 32, v44
	s_delay_alu instid0(VALU_DEP_1) | instskip(NEXT) | instid1(VALU_DEP_1)
	v_subrev_nc_u32_e32 v47, 28, v44
	v_lshlrev_b64_e32 v[48:49], v47, v[1:2]
	v_sub_nc_u32_e32 v47, 29, v44
	s_delay_alu instid0(VALU_DEP_2)
	v_and_b32_e32 v44, 7, v48
; %bb.832:                              ;   in Loop: Header=BB251_554 Depth=1
	s_wait_alu 0xfffe
	s_or_b32 exec_lo, exec_lo, s26
	v_lshlrev_b32_e32 v1, 8, v46
	v_lshl_add_u32 v46, v47, 10, 0x2000
	v_lshlrev_b32_e32 v44, 23, v44
	s_delay_alu instid0(VALU_DEP_2) | instskip(NEXT) | instid1(VALU_DEP_1)
	v_and_or_b32 v1, 0x8000, v1, v46
	v_lshl_or_b32 v44, v1, 16, v44
.LBB251_833:                            ;   in Loop: Header=BB251_554 Depth=1
	s_wait_alu 0xfffe
	s_or_b32 exec_lo, exec_lo, s19
.LBB251_834:                            ;   in Loop: Header=BB251_554 Depth=1
	s_wait_alu 0xfffe
	s_or_b32 exec_lo, exec_lo, s18
.LBB251_835:                            ;   in Loop: Header=BB251_554 Depth=1
	s_wait_alu 0xfffe
	s_or_b32 exec_lo, exec_lo, s17
	v_lshrrev_b32_e32 v1, 16, v9
	v_mov_b32_e32 v46, 0
	s_mov_b32 s17, exec_lo
	s_delay_alu instid0(VALU_DEP_2) | instskip(NEXT) | instid1(VALU_DEP_1)
	v_dual_mov_b32 v47, 0 :: v_dual_and_b32 v48, 0xff, v1
	v_cmpx_ne_u16_e32 0, v48
	s_cbranch_execz .LBB251_843
; %bb.836:                              ;   in Loop: Header=BB251_554 Depth=1
	v_mov_b32_e32 v47, 0x8000
	s_mov_b32 s18, exec_lo
	v_cmpx_ne_u16_e32 0x80, v48
	s_cbranch_execz .LBB251_842
; %bb.837:                              ;   in Loop: Header=BB251_554 Depth=1
	v_bfe_u32 v49, v9, 16, 7
	v_mov_b32_e32 v47, 0x7c01
	s_mov_b32 s19, exec_lo
	s_delay_alu instid0(VALU_DEP_2)
	v_cmpx_ne_u32_e32 0x7f, v49
	s_cbranch_execz .LBB251_841
; %bb.838:                              ;   in Loop: Header=BB251_554 Depth=1
	v_and_b32_e32 v47, 7, v1
	v_lshrrev_b32_e32 v48, 3, v49
	s_mov_b32 s26, exec_lo
	v_cmpx_gt_u32_e32 8, v49
; %bb.839:                              ;   in Loop: Header=BB251_554 Depth=1
	s_delay_alu instid0(VALU_DEP_3) | instskip(NEXT) | instid1(VALU_DEP_1)
	v_clz_i32_u32_e32 v47, v47
	v_min_u32_e32 v49, 32, v47
	s_delay_alu instid0(VALU_DEP_1) | instskip(NEXT) | instid1(VALU_DEP_1)
	v_subrev_nc_u32_e32 v47, 28, v49
	v_lshlrev_b64_e32 v[47:48], v47, v[1:2]
	v_sub_nc_u32_e32 v48, 29, v49
	s_delay_alu instid0(VALU_DEP_2)
	v_and_b32_e32 v47, 7, v47
; %bb.840:                              ;   in Loop: Header=BB251_554 Depth=1
	s_wait_alu 0xfffe
	s_or_b32 exec_lo, exec_lo, s26
	v_lshlrev_b32_e32 v1, 8, v1
	v_lshl_add_u32 v48, v48, 10, 0x2000
	v_lshlrev_b32_e32 v47, 7, v47
	s_delay_alu instid0(VALU_DEP_3) | instskip(NEXT) | instid1(VALU_DEP_3)
	v_and_b32_e32 v1, 0x8000, v1
	v_and_b32_e32 v48, 0xfc00, v48
	s_delay_alu instid0(VALU_DEP_1)
	v_or3_b32 v47, v1, v48, v47
.LBB251_841:                            ;   in Loop: Header=BB251_554 Depth=1
	s_wait_alu 0xfffe
	s_or_b32 exec_lo, exec_lo, s19
.LBB251_842:                            ;   in Loop: Header=BB251_554 Depth=1
	s_wait_alu 0xfffe
	s_or_b32 exec_lo, exec_lo, s18
.LBB251_843:                            ;   in Loop: Header=BB251_554 Depth=1
	s_wait_alu 0xfffe
	s_or_b32 exec_lo, exec_lo, s17
	s_delay_alu instid0(SALU_CYCLE_1)
	s_mov_b32 s17, exec_lo
	v_cmpx_lt_u32_e32 0xffffff, v9
	s_cbranch_execz .LBB251_851
; %bb.844:                              ;   in Loop: Header=BB251_554 Depth=1
	v_lshrrev_b32_e32 v1, 24, v9
	v_bfrev_b32_e32 v46, 1
	s_mov_b32 s18, exec_lo
	s_delay_alu instid0(VALU_DEP_2)
	v_cmpx_ne_u32_e32 0x80, v1
	s_cbranch_execz .LBB251_850
; %bb.845:                              ;   in Loop: Header=BB251_554 Depth=1
	v_and_b32_e32 v49, 0x7f, v1
	v_mov_b32_e32 v46, 0x7c010000
	s_mov_b32 s19, exec_lo
	s_delay_alu instid0(VALU_DEP_2)
	v_cmpx_ne_u32_e32 0x7f, v49
	s_cbranch_execz .LBB251_849
; %bb.846:                              ;   in Loop: Header=BB251_554 Depth=1
	v_and_b32_e32 v46, 7, v1
	v_lshrrev_b32_e32 v48, 3, v49
	s_mov_b32 s26, exec_lo
	v_cmpx_gt_u32_e32 8, v49
; %bb.847:                              ;   in Loop: Header=BB251_554 Depth=1
	s_delay_alu instid0(VALU_DEP_3) | instskip(NEXT) | instid1(VALU_DEP_1)
	v_clz_i32_u32_e32 v46, v46
	v_min_u32_e32 v46, 32, v46
	s_delay_alu instid0(VALU_DEP_1) | instskip(NEXT) | instid1(VALU_DEP_1)
	v_subrev_nc_u32_e32 v48, 28, v46
	v_lshlrev_b64_e32 v[49:50], v48, v[1:2]
	v_sub_nc_u32_e32 v48, 29, v46
	s_delay_alu instid0(VALU_DEP_2)
	v_and_b32_e32 v46, 7, v49
; %bb.848:                              ;   in Loop: Header=BB251_554 Depth=1
	s_wait_alu 0xfffe
	s_or_b32 exec_lo, exec_lo, s26
	v_lshlrev_b32_e32 v1, 8, v1
	v_lshl_add_u32 v48, v48, 10, 0x2000
	v_lshlrev_b32_e32 v46, 23, v46
	s_delay_alu instid0(VALU_DEP_2) | instskip(NEXT) | instid1(VALU_DEP_1)
	v_and_or_b32 v1, 0x8000, v1, v48
	v_lshl_or_b32 v46, v1, 16, v46
.LBB251_849:                            ;   in Loop: Header=BB251_554 Depth=1
	s_wait_alu 0xfffe
	s_or_b32 exec_lo, exec_lo, s19
.LBB251_850:                            ;   in Loop: Header=BB251_554 Depth=1
	s_wait_alu 0xfffe
	s_or_b32 exec_lo, exec_lo, s18
.LBB251_851:                            ;   in Loop: Header=BB251_554 Depth=1
	s_wait_alu 0xfffe
	s_or_b32 exec_lo, exec_lo, s17
	v_dual_mov_b32 v1, v10 :: v_dual_and_b32 v50, 0xff, v10
	v_dual_mov_b32 v48, 0 :: v_dual_mov_b32 v49, 0
	s_mov_b32 s17, exec_lo
	s_delay_alu instid0(VALU_DEP_2)
	v_cmpx_ne_u16_e32 0, v50
	s_cbranch_execz .LBB251_859
; %bb.852:                              ;   in Loop: Header=BB251_554 Depth=1
	v_mov_b32_e32 v49, 0x8000
	s_mov_b32 s18, exec_lo
	v_cmpx_ne_u16_e32 0x80, v50
	s_cbranch_execz .LBB251_858
; %bb.853:                              ;   in Loop: Header=BB251_554 Depth=1
	v_and_b32_e32 v51, 0x7f, v10
	v_mov_b32_e32 v49, 0x7c01
	s_mov_b32 s19, exec_lo
	s_delay_alu instid0(VALU_DEP_2)
	v_cmpx_ne_u32_e32 0x7f, v51
	s_cbranch_execz .LBB251_857
; %bb.854:                              ;   in Loop: Header=BB251_554 Depth=1
	v_and_b32_e32 v49, 7, v10
	v_lshrrev_b32_e32 v50, 3, v51
	s_mov_b32 s26, exec_lo
	v_cmpx_gt_u32_e32 8, v51
; %bb.855:                              ;   in Loop: Header=BB251_554 Depth=1
	s_delay_alu instid0(VALU_DEP_3) | instskip(NEXT) | instid1(VALU_DEP_1)
	v_clz_i32_u32_e32 v49, v49
	v_min_u32_e32 v51, 32, v49
	s_delay_alu instid0(VALU_DEP_1) | instskip(NEXT) | instid1(VALU_DEP_1)
	v_subrev_nc_u32_e32 v49, 28, v51
	v_lshlrev_b64_e32 v[49:50], v49, v[1:2]
	v_sub_nc_u32_e32 v50, 29, v51
	s_delay_alu instid0(VALU_DEP_2)
	v_and_b32_e32 v49, 7, v49
; %bb.856:                              ;   in Loop: Header=BB251_554 Depth=1
	s_wait_alu 0xfffe
	s_or_b32 exec_lo, exec_lo, s26
	v_lshlrev_b32_e32 v51, 8, v10
	v_lshl_add_u32 v50, v50, 10, 0x2000
	v_lshlrev_b32_e32 v49, 7, v49
	s_delay_alu instid0(VALU_DEP_3) | instskip(NEXT) | instid1(VALU_DEP_3)
	v_and_b32_e32 v51, 0x8000, v51
	v_and_b32_e32 v50, 0xfc00, v50
	s_delay_alu instid0(VALU_DEP_1)
	v_or3_b32 v49, v51, v50, v49
.LBB251_857:                            ;   in Loop: Header=BB251_554 Depth=1
	s_wait_alu 0xfffe
	s_or_b32 exec_lo, exec_lo, s19
.LBB251_858:                            ;   in Loop: Header=BB251_554 Depth=1
	s_wait_alu 0xfffe
	s_or_b32 exec_lo, exec_lo, s18
.LBB251_859:                            ;   in Loop: Header=BB251_554 Depth=1
	s_wait_alu 0xfffe
	s_or_b32 exec_lo, exec_lo, s17
	v_lshrrev_b16 v1, 8, v1
	v_mov_b32_e32 v50, 0
	s_mov_b32 s17, exec_lo
	s_delay_alu instid0(VALU_DEP_2)
	v_cmpx_ne_u16_e32 0, v1
	s_cbranch_execz .LBB251_867
; %bb.860:                              ;   in Loop: Header=BB251_554 Depth=1
	v_bfrev_b32_e32 v50, 1
	s_mov_b32 s18, exec_lo
	v_cmpx_ne_u16_e32 0x80, v1
	s_cbranch_execz .LBB251_866
; %bb.861:                              ;   in Loop: Header=BB251_554 Depth=1
	v_and_b32_e32 v51, 0xffff, v1
	v_mov_b32_e32 v50, 0x7c010000
	s_mov_b32 s19, exec_lo
	s_delay_alu instid0(VALU_DEP_2) | instskip(NEXT) | instid1(VALU_DEP_1)
	v_and_b32_e32 v53, 0x7f, v51
	v_cmpx_ne_u32_e32 0x7f, v53
	s_cbranch_execz .LBB251_865
; %bb.862:                              ;   in Loop: Header=BB251_554 Depth=1
	v_and_b32_e32 v50, 7, v51
	v_lshrrev_b32_e32 v52, 3, v53
	s_mov_b32 s26, exec_lo
	v_cmpx_gt_u32_e32 8, v53
; %bb.863:                              ;   in Loop: Header=BB251_554 Depth=1
	s_delay_alu instid0(VALU_DEP_3) | instskip(NEXT) | instid1(VALU_DEP_1)
	v_clz_i32_u32_e32 v50, v50
	v_min_u32_e32 v50, 32, v50
	s_delay_alu instid0(VALU_DEP_1) | instskip(NEXT) | instid1(VALU_DEP_1)
	v_subrev_nc_u32_e32 v52, 28, v50
	v_lshlrev_b64_e32 v[53:54], v52, v[1:2]
	v_sub_nc_u32_e32 v52, 29, v50
	s_delay_alu instid0(VALU_DEP_2)
	v_and_b32_e32 v50, 7, v53
; %bb.864:                              ;   in Loop: Header=BB251_554 Depth=1
	s_wait_alu 0xfffe
	s_or_b32 exec_lo, exec_lo, s26
	v_lshlrev_b32_e32 v1, 8, v51
	v_lshl_add_u32 v51, v52, 10, 0x2000
	v_lshlrev_b32_e32 v50, 23, v50
	s_delay_alu instid0(VALU_DEP_2) | instskip(NEXT) | instid1(VALU_DEP_1)
	v_and_or_b32 v1, 0x8000, v1, v51
	v_lshl_or_b32 v50, v1, 16, v50
.LBB251_865:                            ;   in Loop: Header=BB251_554 Depth=1
	s_wait_alu 0xfffe
	s_or_b32 exec_lo, exec_lo, s19
.LBB251_866:                            ;   in Loop: Header=BB251_554 Depth=1
	s_wait_alu 0xfffe
	s_or_b32 exec_lo, exec_lo, s18
.LBB251_867:                            ;   in Loop: Header=BB251_554 Depth=1
	s_wait_alu 0xfffe
	s_or_b32 exec_lo, exec_lo, s17
	v_lshrrev_b32_e32 v1, 16, v10
	s_mov_b32 s17, exec_lo
	s_delay_alu instid0(VALU_DEP_1) | instskip(NEXT) | instid1(VALU_DEP_1)
	v_and_b32_e32 v51, 0xff, v1
	v_cmpx_ne_u16_e32 0, v51
	s_cbranch_execz .LBB251_875
; %bb.868:                              ;   in Loop: Header=BB251_554 Depth=1
	v_mov_b32_e32 v48, 0x8000
	s_mov_b32 s18, exec_lo
	v_cmpx_ne_u16_e32 0x80, v51
	s_cbranch_execz .LBB251_874
; %bb.869:                              ;   in Loop: Header=BB251_554 Depth=1
	v_bfe_u32 v52, v10, 16, 7
	v_mov_b32_e32 v48, 0x7c01
	s_mov_b32 s19, exec_lo
	s_delay_alu instid0(VALU_DEP_2)
	v_cmpx_ne_u32_e32 0x7f, v52
	s_cbranch_execz .LBB251_873
; %bb.870:                              ;   in Loop: Header=BB251_554 Depth=1
	v_and_b32_e32 v48, 7, v1
	v_lshrrev_b32_e32 v51, 3, v52
	s_mov_b32 s26, exec_lo
	v_cmpx_gt_u32_e32 8, v52
; %bb.871:                              ;   in Loop: Header=BB251_554 Depth=1
	s_delay_alu instid0(VALU_DEP_3) | instskip(NEXT) | instid1(VALU_DEP_1)
	v_clz_i32_u32_e32 v48, v48
	v_min_u32_e32 v48, 32, v48
	s_delay_alu instid0(VALU_DEP_1) | instskip(NEXT) | instid1(VALU_DEP_1)
	v_subrev_nc_u32_e32 v51, 28, v48
	v_lshlrev_b64_e32 v[52:53], v51, v[1:2]
	v_sub_nc_u32_e32 v51, 29, v48
	s_delay_alu instid0(VALU_DEP_2)
	v_and_b32_e32 v48, 7, v52
; %bb.872:                              ;   in Loop: Header=BB251_554 Depth=1
	s_wait_alu 0xfffe
	s_or_b32 exec_lo, exec_lo, s26
	v_lshlrev_b32_e32 v1, 8, v1
	v_lshl_add_u32 v51, v51, 10, 0x2000
	v_lshlrev_b32_e32 v48, 7, v48
	s_delay_alu instid0(VALU_DEP_3) | instskip(NEXT) | instid1(VALU_DEP_3)
	v_and_b32_e32 v1, 0x8000, v1
	v_and_b32_e32 v51, 0xfc00, v51
	s_delay_alu instid0(VALU_DEP_1)
	v_or3_b32 v48, v1, v51, v48
.LBB251_873:                            ;   in Loop: Header=BB251_554 Depth=1
	s_wait_alu 0xfffe
	s_or_b32 exec_lo, exec_lo, s19
.LBB251_874:                            ;   in Loop: Header=BB251_554 Depth=1
	s_wait_alu 0xfffe
	s_or_b32 exec_lo, exec_lo, s18
.LBB251_875:                            ;   in Loop: Header=BB251_554 Depth=1
	s_wait_alu 0xfffe
	s_or_b32 exec_lo, exec_lo, s17
	v_cmp_lt_u64_e64 s0, s[2:3], v[9:10]
	v_mov_b32_e32 v9, 0
	s_and_saveexec_b32 s17, s0
	s_cbranch_execz .LBB251_883
; %bb.876:                              ;   in Loop: Header=BB251_554 Depth=1
	v_lshrrev_b32_e32 v1, 24, v10
	v_bfrev_b32_e32 v9, 1
	s_mov_b32 s18, exec_lo
	s_delay_alu instid0(VALU_DEP_2)
	v_cmpx_ne_u32_e32 0x80, v1
	s_cbranch_execz .LBB251_882
; %bb.877:                              ;   in Loop: Header=BB251_554 Depth=1
	v_and_b32_e32 v51, 0x7f, v1
	v_mov_b32_e32 v9, 0x7c010000
	s_mov_b32 s19, exec_lo
	s_delay_alu instid0(VALU_DEP_2)
	v_cmpx_ne_u32_e32 0x7f, v51
	s_cbranch_execz .LBB251_881
; %bb.878:                              ;   in Loop: Header=BB251_554 Depth=1
	v_and_b32_e32 v9, 7, v1
	v_lshrrev_b32_e32 v10, 3, v51
	s_mov_b32 s26, exec_lo
	v_cmpx_gt_u32_e32 8, v51
; %bb.879:                              ;   in Loop: Header=BB251_554 Depth=1
	s_delay_alu instid0(VALU_DEP_3) | instskip(NEXT) | instid1(VALU_DEP_1)
	v_clz_i32_u32_e32 v9, v9
	v_min_u32_e32 v51, 32, v9
	s_delay_alu instid0(VALU_DEP_1) | instskip(NEXT) | instid1(VALU_DEP_1)
	v_subrev_nc_u32_e32 v9, 28, v51
	v_lshlrev_b64_e32 v[9:10], v9, v[1:2]
	v_sub_nc_u32_e32 v10, 29, v51
	s_delay_alu instid0(VALU_DEP_2)
	v_and_b32_e32 v9, 7, v9
; %bb.880:                              ;   in Loop: Header=BB251_554 Depth=1
	s_wait_alu 0xfffe
	s_or_b32 exec_lo, exec_lo, s26
	v_lshlrev_b32_e32 v1, 8, v1
	v_lshl_add_u32 v10, v10, 10, 0x2000
	v_lshlrev_b32_e32 v9, 23, v9
	s_delay_alu instid0(VALU_DEP_2) | instskip(NEXT) | instid1(VALU_DEP_1)
	v_and_or_b32 v1, 0x8000, v1, v10
	v_lshl_or_b32 v9, v1, 16, v9
.LBB251_881:                            ;   in Loop: Header=BB251_554 Depth=1
	s_wait_alu 0xfffe
	s_or_b32 exec_lo, exec_lo, s19
.LBB251_882:                            ;   in Loop: Header=BB251_554 Depth=1
	s_wait_alu 0xfffe
	s_or_b32 exec_lo, exec_lo, s18
.LBB251_883:                            ;   in Loop: Header=BB251_554 Depth=1
	s_wait_alu 0xfffe
	s_or_b32 exec_lo, exec_lo, s17
	v_or_b32_e32 v1, v46, v47
	s_wait_loadcnt 0x0
	v_fma_mixlo_f16 v10, v43, v46, 0 op_sel:[0,1,0] op_sel_hi:[0,1,0]
	v_or_b32_e32 v46, v44, v45
	v_fma_mixlo_f16 v44, v43, v44, 0 op_sel:[0,1,0] op_sel_hi:[0,1,0]
	v_or_b32_e32 v47, v50, v49
	v_or_b32_e32 v48, v9, v48
	v_fma_mixlo_f16 v49, v43, v1, 0 op_sel_hi:[0,1,0]
	v_fma_mixlo_f16 v9, v43, v9, 0 op_sel:[0,1,0] op_sel_hi:[0,1,0]
	v_lshlrev_b32_e32 v45, 16, v44
	v_fma_mixlo_f16 v44, v43, v46, 0 op_sel_hi:[0,1,0]
	v_fma_mixlo_f16 v46, v43, v50, 0 op_sel:[0,1,0] op_sel_hi:[0,1,0]
	v_fma_mixlo_f16 v47, v43, v47, 0 op_sel_hi:[0,1,0]
	v_fma_mixlo_f16 v48, v43, v48, 0 op_sel_hi:[0,1,0]
	v_lshlrev_b32_e32 v1, 16, v10
	v_and_b32_e32 v10, 0xffff, v49
	v_and_b32_e32 v51, 0xffff, v44
	v_lshlrev_b32_e32 v43, 16, v46
	v_and_b32_e32 v47, 0xffff, v47
	v_lshlrev_b32_e32 v9, 16, v9
	v_and_b32_e32 v44, 0xffff, v48
	v_or_b32_e32 v46, v1, v10
	v_or_b32_e32 v50, v45, v51
	;; [unrolled: 1-line block ×3, first 2 shown]
	s_delay_alu instid0(VALU_DEP_4)
	v_or_b32_e32 v48, v9, v44
	s_and_saveexec_b32 s17, vcc_lo
	s_cbranch_execz .LBB251_885
; %bb.884:                              ;   in Loop: Header=BB251_554 Depth=1
	v_cmp_gt_i32_e64 s0, s21, v12
	s_wait_alu 0xf1ff
	s_delay_alu instid0(VALU_DEP_1) | instskip(SKIP_2) | instid1(VALU_DEP_1)
	v_cndmask_b32_e64 v46, 0, v51, s0
	v_cmp_gt_i32_e64 s0, s21, v31
	s_wait_alu 0xf1ff
	v_cndmask_b32_e64 v45, 0, v45, s0
	v_cmp_gt_i32_e64 s0, s21, v29
	s_delay_alu instid0(VALU_DEP_2) | instskip(SKIP_1) | instid1(VALU_DEP_2)
	v_or_b32_e32 v50, v45, v46
	s_wait_alu 0xf1ff
	v_cndmask_b32_e64 v10, 0, v10, s0
	v_cmp_gt_i32_e64 s0, s21, v28
	s_wait_alu 0xf1ff
	s_delay_alu instid0(VALU_DEP_1) | instskip(SKIP_1) | instid1(VALU_DEP_2)
	v_cndmask_b32_e64 v1, 0, v1, s0
	v_cmp_gt_i32_e64 s0, s21, v27
	v_or_b32_e32 v46, v1, v10
	s_wait_alu 0xf1ff
	s_delay_alu instid0(VALU_DEP_2) | instskip(SKIP_2) | instid1(VALU_DEP_1)
	v_cndmask_b32_e64 v47, 0, v47, s0
	v_cmp_gt_i32_e64 s0, s21, v26
	s_wait_alu 0xf1ff
	v_cndmask_b32_e64 v43, 0, v43, s0
	v_cmp_gt_i32_e64 s0, s21, v25
	s_delay_alu instid0(VALU_DEP_2) | instskip(SKIP_1) | instid1(VALU_DEP_2)
	v_or_b32_e32 v49, v43, v47
	s_wait_alu 0xf1ff
	v_cndmask_b32_e64 v44, 0, v44, s0
	v_cmp_gt_i32_e64 s0, s21, v24
	s_wait_alu 0xf1ff
	s_delay_alu instid0(VALU_DEP_1) | instskip(NEXT) | instid1(VALU_DEP_1)
	v_cndmask_b32_e64 v9, 0, v9, s0
	v_or_b32_e32 v48, v9, v44
.LBB251_885:                            ;   in Loop: Header=BB251_554 Depth=1
	s_wait_alu 0xfffe
	s_or_b32 exec_lo, exec_lo, s17
	;;#ASMSTART
	v_pk_mul_f16 v1, v36, v50;

	;;#ASMEND
	;;#ASMSTART
	v_pk_mul_f16 v9, v35, v46;

	;;#ASMEND
	;; [unrolled: 4-line block ×4, first 2 shown]
	;;#ASMSTART
	v_pk_add_f16 v1, v1, v9;

	;;#ASMEND
	;;#ASMSTART
	v_pk_add_f16 v1, v1, v10;

	;;#ASMEND
	;; [unrolled: 4-line block ×3, first 2 shown]
	v_dual_mov_b32 v46, 0 :: v_dual_and_b32 v9, 0xffff, v1
	v_lshrrev_b32_e32 v1, 16, v1
	;;#ASMSTART
	v_cvt_f32_f16 v43, v9;
	;;#ASMEND
	;;#ASMSTART
	v_cvt_f32_f16 v44, v1;
	;;#ASMEND
	global_load_b64 v[9:10], v[7:8], off offset:1280
	global_load_b32 v45, v46, s[10:11]
	v_mov_b32_e32 v47, 0
	s_mov_b32 s17, exec_lo
	s_wait_loadcnt 0x1
	v_and_b32_e32 v1, 0xff, v9
	s_delay_alu instid0(VALU_DEP_1)
	v_cmpx_ne_u16_e32 0, v1
	s_cbranch_execz .LBB251_893
; %bb.886:                              ;   in Loop: Header=BB251_554 Depth=1
	v_mov_b32_e32 v47, 0x8000
	s_mov_b32 s18, exec_lo
	v_cmpx_ne_u16_e32 0x80, v1
	s_cbranch_execz .LBB251_892
; %bb.887:                              ;   in Loop: Header=BB251_554 Depth=1
	v_and_b32_e32 v48, 0x7f, v9
	v_mov_b32_e32 v47, 0x7c01
	s_mov_b32 s19, exec_lo
	s_delay_alu instid0(VALU_DEP_2)
	v_cmpx_ne_u32_e32 0x7f, v48
	s_cbranch_execz .LBB251_891
; %bb.888:                              ;   in Loop: Header=BB251_554 Depth=1
	v_and_b32_e32 v1, 7, v9
	v_lshrrev_b32_e32 v47, 3, v48
	s_mov_b32 s26, exec_lo
	v_cmpx_gt_u32_e32 8, v48
; %bb.889:                              ;   in Loop: Header=BB251_554 Depth=1
	s_delay_alu instid0(VALU_DEP_3) | instskip(NEXT) | instid1(VALU_DEP_1)
	v_clz_i32_u32_e32 v1, v1
	v_min_u32_e32 v1, 32, v1
	s_delay_alu instid0(VALU_DEP_1) | instskip(NEXT) | instid1(VALU_DEP_1)
	v_subrev_nc_u32_e32 v47, 28, v1
	v_lshlrev_b64_e32 v[48:49], v47, v[9:10]
	v_sub_nc_u32_e32 v47, 29, v1
	s_delay_alu instid0(VALU_DEP_2)
	v_and_b32_e32 v1, 7, v48
; %bb.890:                              ;   in Loop: Header=BB251_554 Depth=1
	s_wait_alu 0xfffe
	s_or_b32 exec_lo, exec_lo, s26
	v_lshlrev_b32_e32 v48, 8, v9
	v_lshl_add_u32 v47, v47, 10, 0x2000
	v_lshlrev_b32_e32 v1, 7, v1
	s_delay_alu instid0(VALU_DEP_3) | instskip(NEXT) | instid1(VALU_DEP_3)
	v_and_b32_e32 v48, 0x8000, v48
	v_and_b32_e32 v47, 0xfc00, v47
	s_delay_alu instid0(VALU_DEP_1)
	v_or3_b32 v47, v48, v47, v1
.LBB251_891:                            ;   in Loop: Header=BB251_554 Depth=1
	s_wait_alu 0xfffe
	s_or_b32 exec_lo, exec_lo, s19
.LBB251_892:                            ;   in Loop: Header=BB251_554 Depth=1
	s_wait_alu 0xfffe
	s_or_b32 exec_lo, exec_lo, s18
.LBB251_893:                            ;   in Loop: Header=BB251_554 Depth=1
	s_wait_alu 0xfffe
	s_or_b32 exec_lo, exec_lo, s17
	v_lshrrev_b16 v1, 8, v9
	s_mov_b32 s17, exec_lo
	s_delay_alu instid0(VALU_DEP_1)
	v_cmpx_ne_u16_e32 0, v1
	s_cbranch_execz .LBB251_901
; %bb.894:                              ;   in Loop: Header=BB251_554 Depth=1
	v_bfrev_b32_e32 v46, 1
	s_mov_b32 s18, exec_lo
	v_cmpx_ne_u16_e32 0x80, v1
	s_cbranch_execz .LBB251_900
; %bb.895:                              ;   in Loop: Header=BB251_554 Depth=1
	v_and_b32_e32 v48, 0xffff, v1
	v_mov_b32_e32 v46, 0x7c010000
	s_mov_b32 s19, exec_lo
	s_delay_alu instid0(VALU_DEP_2) | instskip(NEXT) | instid1(VALU_DEP_1)
	v_and_b32_e32 v50, 0x7f, v48
	v_cmpx_ne_u32_e32 0x7f, v50
	s_cbranch_execz .LBB251_899
; %bb.896:                              ;   in Loop: Header=BB251_554 Depth=1
	v_and_b32_e32 v46, 7, v48
	v_lshrrev_b32_e32 v49, 3, v50
	s_mov_b32 s26, exec_lo
	v_cmpx_gt_u32_e32 8, v50
; %bb.897:                              ;   in Loop: Header=BB251_554 Depth=1
	s_delay_alu instid0(VALU_DEP_3) | instskip(NEXT) | instid1(VALU_DEP_1)
	v_clz_i32_u32_e32 v46, v46
	v_min_u32_e32 v46, 32, v46
	s_delay_alu instid0(VALU_DEP_1) | instskip(NEXT) | instid1(VALU_DEP_1)
	v_subrev_nc_u32_e32 v49, 28, v46
	v_lshlrev_b64_e32 v[50:51], v49, v[1:2]
	v_sub_nc_u32_e32 v49, 29, v46
	s_delay_alu instid0(VALU_DEP_2)
	v_and_b32_e32 v46, 7, v50
; %bb.898:                              ;   in Loop: Header=BB251_554 Depth=1
	s_wait_alu 0xfffe
	s_or_b32 exec_lo, exec_lo, s26
	v_lshlrev_b32_e32 v1, 8, v48
	v_lshl_add_u32 v48, v49, 10, 0x2000
	v_lshlrev_b32_e32 v46, 23, v46
	s_delay_alu instid0(VALU_DEP_2) | instskip(NEXT) | instid1(VALU_DEP_1)
	v_and_or_b32 v1, 0x8000, v1, v48
	v_lshl_or_b32 v46, v1, 16, v46
.LBB251_899:                            ;   in Loop: Header=BB251_554 Depth=1
	s_wait_alu 0xfffe
	s_or_b32 exec_lo, exec_lo, s19
.LBB251_900:                            ;   in Loop: Header=BB251_554 Depth=1
	s_wait_alu 0xfffe
	s_or_b32 exec_lo, exec_lo, s18
.LBB251_901:                            ;   in Loop: Header=BB251_554 Depth=1
	s_wait_alu 0xfffe
	s_or_b32 exec_lo, exec_lo, s17
	v_lshrrev_b32_e32 v1, 16, v9
	v_mov_b32_e32 v48, 0
	s_mov_b32 s17, exec_lo
	s_delay_alu instid0(VALU_DEP_2) | instskip(NEXT) | instid1(VALU_DEP_1)
	v_dual_mov_b32 v49, 0 :: v_dual_and_b32 v50, 0xff, v1
	v_cmpx_ne_u16_e32 0, v50
	s_cbranch_execz .LBB251_909
; %bb.902:                              ;   in Loop: Header=BB251_554 Depth=1
	v_mov_b32_e32 v49, 0x8000
	s_mov_b32 s18, exec_lo
	v_cmpx_ne_u16_e32 0x80, v50
	s_cbranch_execz .LBB251_908
; %bb.903:                              ;   in Loop: Header=BB251_554 Depth=1
	v_bfe_u32 v51, v9, 16, 7
	v_mov_b32_e32 v49, 0x7c01
	s_mov_b32 s19, exec_lo
	s_delay_alu instid0(VALU_DEP_2)
	v_cmpx_ne_u32_e32 0x7f, v51
	s_cbranch_execz .LBB251_907
; %bb.904:                              ;   in Loop: Header=BB251_554 Depth=1
	v_and_b32_e32 v49, 7, v1
	v_lshrrev_b32_e32 v50, 3, v51
	s_mov_b32 s26, exec_lo
	v_cmpx_gt_u32_e32 8, v51
; %bb.905:                              ;   in Loop: Header=BB251_554 Depth=1
	s_delay_alu instid0(VALU_DEP_3) | instskip(NEXT) | instid1(VALU_DEP_1)
	v_clz_i32_u32_e32 v49, v49
	v_min_u32_e32 v51, 32, v49
	s_delay_alu instid0(VALU_DEP_1) | instskip(NEXT) | instid1(VALU_DEP_1)
	v_subrev_nc_u32_e32 v49, 28, v51
	v_lshlrev_b64_e32 v[49:50], v49, v[1:2]
	v_sub_nc_u32_e32 v50, 29, v51
	s_delay_alu instid0(VALU_DEP_2)
	v_and_b32_e32 v49, 7, v49
; %bb.906:                              ;   in Loop: Header=BB251_554 Depth=1
	s_wait_alu 0xfffe
	s_or_b32 exec_lo, exec_lo, s26
	v_lshlrev_b32_e32 v1, 8, v1
	v_lshl_add_u32 v50, v50, 10, 0x2000
	v_lshlrev_b32_e32 v49, 7, v49
	s_delay_alu instid0(VALU_DEP_3) | instskip(NEXT) | instid1(VALU_DEP_3)
	v_and_b32_e32 v1, 0x8000, v1
	v_and_b32_e32 v50, 0xfc00, v50
	s_delay_alu instid0(VALU_DEP_1)
	v_or3_b32 v49, v1, v50, v49
.LBB251_907:                            ;   in Loop: Header=BB251_554 Depth=1
	s_wait_alu 0xfffe
	s_or_b32 exec_lo, exec_lo, s19
.LBB251_908:                            ;   in Loop: Header=BB251_554 Depth=1
	s_wait_alu 0xfffe
	s_or_b32 exec_lo, exec_lo, s18
.LBB251_909:                            ;   in Loop: Header=BB251_554 Depth=1
	s_wait_alu 0xfffe
	s_or_b32 exec_lo, exec_lo, s17
	s_delay_alu instid0(SALU_CYCLE_1)
	s_mov_b32 s17, exec_lo
	v_cmpx_lt_u32_e32 0xffffff, v9
	s_cbranch_execz .LBB251_917
; %bb.910:                              ;   in Loop: Header=BB251_554 Depth=1
	v_lshrrev_b32_e32 v1, 24, v9
	v_bfrev_b32_e32 v48, 1
	s_mov_b32 s18, exec_lo
	s_delay_alu instid0(VALU_DEP_2)
	v_cmpx_ne_u32_e32 0x80, v1
	s_cbranch_execz .LBB251_916
; %bb.911:                              ;   in Loop: Header=BB251_554 Depth=1
	v_and_b32_e32 v51, 0x7f, v1
	v_mov_b32_e32 v48, 0x7c010000
	s_mov_b32 s19, exec_lo
	s_delay_alu instid0(VALU_DEP_2)
	v_cmpx_ne_u32_e32 0x7f, v51
	s_cbranch_execz .LBB251_915
; %bb.912:                              ;   in Loop: Header=BB251_554 Depth=1
	v_and_b32_e32 v48, 7, v1
	v_lshrrev_b32_e32 v50, 3, v51
	s_mov_b32 s26, exec_lo
	v_cmpx_gt_u32_e32 8, v51
; %bb.913:                              ;   in Loop: Header=BB251_554 Depth=1
	s_delay_alu instid0(VALU_DEP_3) | instskip(NEXT) | instid1(VALU_DEP_1)
	v_clz_i32_u32_e32 v48, v48
	v_min_u32_e32 v48, 32, v48
	s_delay_alu instid0(VALU_DEP_1) | instskip(NEXT) | instid1(VALU_DEP_1)
	v_subrev_nc_u32_e32 v50, 28, v48
	v_lshlrev_b64_e32 v[51:52], v50, v[1:2]
	v_sub_nc_u32_e32 v50, 29, v48
	s_delay_alu instid0(VALU_DEP_2)
	v_and_b32_e32 v48, 7, v51
; %bb.914:                              ;   in Loop: Header=BB251_554 Depth=1
	s_wait_alu 0xfffe
	s_or_b32 exec_lo, exec_lo, s26
	v_lshlrev_b32_e32 v1, 8, v1
	v_lshl_add_u32 v50, v50, 10, 0x2000
	v_lshlrev_b32_e32 v48, 23, v48
	s_delay_alu instid0(VALU_DEP_2) | instskip(NEXT) | instid1(VALU_DEP_1)
	v_and_or_b32 v1, 0x8000, v1, v50
	v_lshl_or_b32 v48, v1, 16, v48
.LBB251_915:                            ;   in Loop: Header=BB251_554 Depth=1
	s_wait_alu 0xfffe
	s_or_b32 exec_lo, exec_lo, s19
.LBB251_916:                            ;   in Loop: Header=BB251_554 Depth=1
	s_wait_alu 0xfffe
	s_or_b32 exec_lo, exec_lo, s18
.LBB251_917:                            ;   in Loop: Header=BB251_554 Depth=1
	s_wait_alu 0xfffe
	s_or_b32 exec_lo, exec_lo, s17
	v_dual_mov_b32 v1, v10 :: v_dual_and_b32 v52, 0xff, v10
	v_dual_mov_b32 v50, 0 :: v_dual_mov_b32 v51, 0
	s_mov_b32 s17, exec_lo
	s_delay_alu instid0(VALU_DEP_2)
	v_cmpx_ne_u16_e32 0, v52
	s_cbranch_execz .LBB251_925
; %bb.918:                              ;   in Loop: Header=BB251_554 Depth=1
	v_mov_b32_e32 v51, 0x8000
	s_mov_b32 s18, exec_lo
	v_cmpx_ne_u16_e32 0x80, v52
	s_cbranch_execz .LBB251_924
; %bb.919:                              ;   in Loop: Header=BB251_554 Depth=1
	v_and_b32_e32 v53, 0x7f, v10
	v_mov_b32_e32 v51, 0x7c01
	s_mov_b32 s19, exec_lo
	s_delay_alu instid0(VALU_DEP_2)
	v_cmpx_ne_u32_e32 0x7f, v53
	s_cbranch_execz .LBB251_923
; %bb.920:                              ;   in Loop: Header=BB251_554 Depth=1
	v_and_b32_e32 v51, 7, v10
	v_lshrrev_b32_e32 v52, 3, v53
	s_mov_b32 s26, exec_lo
	v_cmpx_gt_u32_e32 8, v53
; %bb.921:                              ;   in Loop: Header=BB251_554 Depth=1
	s_delay_alu instid0(VALU_DEP_3) | instskip(NEXT) | instid1(VALU_DEP_1)
	v_clz_i32_u32_e32 v51, v51
	v_min_u32_e32 v53, 32, v51
	s_delay_alu instid0(VALU_DEP_1) | instskip(NEXT) | instid1(VALU_DEP_1)
	v_subrev_nc_u32_e32 v51, 28, v53
	v_lshlrev_b64_e32 v[51:52], v51, v[1:2]
	v_sub_nc_u32_e32 v52, 29, v53
	s_delay_alu instid0(VALU_DEP_2)
	v_and_b32_e32 v51, 7, v51
; %bb.922:                              ;   in Loop: Header=BB251_554 Depth=1
	s_wait_alu 0xfffe
	s_or_b32 exec_lo, exec_lo, s26
	v_lshlrev_b32_e32 v53, 8, v10
	v_lshl_add_u32 v52, v52, 10, 0x2000
	v_lshlrev_b32_e32 v51, 7, v51
	s_delay_alu instid0(VALU_DEP_3) | instskip(NEXT) | instid1(VALU_DEP_3)
	v_and_b32_e32 v53, 0x8000, v53
	v_and_b32_e32 v52, 0xfc00, v52
	s_delay_alu instid0(VALU_DEP_1)
	v_or3_b32 v51, v53, v52, v51
.LBB251_923:                            ;   in Loop: Header=BB251_554 Depth=1
	s_wait_alu 0xfffe
	s_or_b32 exec_lo, exec_lo, s19
.LBB251_924:                            ;   in Loop: Header=BB251_554 Depth=1
	s_wait_alu 0xfffe
	s_or_b32 exec_lo, exec_lo, s18
.LBB251_925:                            ;   in Loop: Header=BB251_554 Depth=1
	s_wait_alu 0xfffe
	s_or_b32 exec_lo, exec_lo, s17
	v_lshrrev_b16 v1, 8, v1
	v_mov_b32_e32 v52, 0
	s_mov_b32 s17, exec_lo
	s_delay_alu instid0(VALU_DEP_2)
	v_cmpx_ne_u16_e32 0, v1
	s_cbranch_execz .LBB251_933
; %bb.926:                              ;   in Loop: Header=BB251_554 Depth=1
	v_bfrev_b32_e32 v52, 1
	s_mov_b32 s18, exec_lo
	v_cmpx_ne_u16_e32 0x80, v1
	s_cbranch_execz .LBB251_932
; %bb.927:                              ;   in Loop: Header=BB251_554 Depth=1
	v_and_b32_e32 v53, 0xffff, v1
	v_mov_b32_e32 v52, 0x7c010000
	s_mov_b32 s19, exec_lo
	s_delay_alu instid0(VALU_DEP_2) | instskip(NEXT) | instid1(VALU_DEP_1)
	v_and_b32_e32 v55, 0x7f, v53
	v_cmpx_ne_u32_e32 0x7f, v55
	s_cbranch_execz .LBB251_931
; %bb.928:                              ;   in Loop: Header=BB251_554 Depth=1
	v_and_b32_e32 v52, 7, v53
	v_lshrrev_b32_e32 v54, 3, v55
	s_mov_b32 s26, exec_lo
	v_cmpx_gt_u32_e32 8, v55
; %bb.929:                              ;   in Loop: Header=BB251_554 Depth=1
	s_delay_alu instid0(VALU_DEP_3) | instskip(NEXT) | instid1(VALU_DEP_1)
	v_clz_i32_u32_e32 v52, v52
	v_min_u32_e32 v52, 32, v52
	s_delay_alu instid0(VALU_DEP_1) | instskip(NEXT) | instid1(VALU_DEP_1)
	v_subrev_nc_u32_e32 v54, 28, v52
	v_lshlrev_b64_e32 v[55:56], v54, v[1:2]
	v_sub_nc_u32_e32 v54, 29, v52
	s_delay_alu instid0(VALU_DEP_2)
	v_and_b32_e32 v52, 7, v55
; %bb.930:                              ;   in Loop: Header=BB251_554 Depth=1
	s_wait_alu 0xfffe
	s_or_b32 exec_lo, exec_lo, s26
	v_lshlrev_b32_e32 v1, 8, v53
	v_lshl_add_u32 v53, v54, 10, 0x2000
	v_lshlrev_b32_e32 v52, 23, v52
	s_delay_alu instid0(VALU_DEP_2) | instskip(NEXT) | instid1(VALU_DEP_1)
	v_and_or_b32 v1, 0x8000, v1, v53
	v_lshl_or_b32 v52, v1, 16, v52
.LBB251_931:                            ;   in Loop: Header=BB251_554 Depth=1
	s_wait_alu 0xfffe
	s_or_b32 exec_lo, exec_lo, s19
.LBB251_932:                            ;   in Loop: Header=BB251_554 Depth=1
	s_wait_alu 0xfffe
	s_or_b32 exec_lo, exec_lo, s18
.LBB251_933:                            ;   in Loop: Header=BB251_554 Depth=1
	s_wait_alu 0xfffe
	s_or_b32 exec_lo, exec_lo, s17
	v_lshrrev_b32_e32 v1, 16, v10
	s_mov_b32 s17, exec_lo
	s_delay_alu instid0(VALU_DEP_1) | instskip(NEXT) | instid1(VALU_DEP_1)
	v_and_b32_e32 v53, 0xff, v1
	v_cmpx_ne_u16_e32 0, v53
	s_cbranch_execz .LBB251_941
; %bb.934:                              ;   in Loop: Header=BB251_554 Depth=1
	v_mov_b32_e32 v50, 0x8000
	s_mov_b32 s18, exec_lo
	v_cmpx_ne_u16_e32 0x80, v53
	s_cbranch_execz .LBB251_940
; %bb.935:                              ;   in Loop: Header=BB251_554 Depth=1
	v_bfe_u32 v54, v10, 16, 7
	v_mov_b32_e32 v50, 0x7c01
	s_mov_b32 s19, exec_lo
	s_delay_alu instid0(VALU_DEP_2)
	v_cmpx_ne_u32_e32 0x7f, v54
	s_cbranch_execz .LBB251_939
; %bb.936:                              ;   in Loop: Header=BB251_554 Depth=1
	v_and_b32_e32 v50, 7, v1
	v_lshrrev_b32_e32 v53, 3, v54
	s_mov_b32 s26, exec_lo
	v_cmpx_gt_u32_e32 8, v54
; %bb.937:                              ;   in Loop: Header=BB251_554 Depth=1
	s_delay_alu instid0(VALU_DEP_3) | instskip(NEXT) | instid1(VALU_DEP_1)
	v_clz_i32_u32_e32 v50, v50
	v_min_u32_e32 v50, 32, v50
	s_delay_alu instid0(VALU_DEP_1) | instskip(NEXT) | instid1(VALU_DEP_1)
	v_subrev_nc_u32_e32 v53, 28, v50
	v_lshlrev_b64_e32 v[54:55], v53, v[1:2]
	v_sub_nc_u32_e32 v53, 29, v50
	s_delay_alu instid0(VALU_DEP_2)
	v_and_b32_e32 v50, 7, v54
; %bb.938:                              ;   in Loop: Header=BB251_554 Depth=1
	s_wait_alu 0xfffe
	s_or_b32 exec_lo, exec_lo, s26
	v_lshlrev_b32_e32 v1, 8, v1
	v_lshl_add_u32 v53, v53, 10, 0x2000
	v_lshlrev_b32_e32 v50, 7, v50
	s_delay_alu instid0(VALU_DEP_3) | instskip(NEXT) | instid1(VALU_DEP_3)
	v_and_b32_e32 v1, 0x8000, v1
	v_and_b32_e32 v53, 0xfc00, v53
	s_delay_alu instid0(VALU_DEP_1)
	v_or3_b32 v50, v1, v53, v50
.LBB251_939:                            ;   in Loop: Header=BB251_554 Depth=1
	s_wait_alu 0xfffe
	s_or_b32 exec_lo, exec_lo, s19
.LBB251_940:                            ;   in Loop: Header=BB251_554 Depth=1
	s_wait_alu 0xfffe
	s_or_b32 exec_lo, exec_lo, s18
.LBB251_941:                            ;   in Loop: Header=BB251_554 Depth=1
	s_wait_alu 0xfffe
	s_or_b32 exec_lo, exec_lo, s17
	v_cmp_lt_u64_e64 s0, s[2:3], v[9:10]
	v_mov_b32_e32 v9, 0
	s_and_saveexec_b32 s17, s0
	s_cbranch_execz .LBB251_949
; %bb.942:                              ;   in Loop: Header=BB251_554 Depth=1
	v_lshrrev_b32_e32 v1, 24, v10
	v_bfrev_b32_e32 v9, 1
	s_mov_b32 s18, exec_lo
	s_delay_alu instid0(VALU_DEP_2)
	v_cmpx_ne_u32_e32 0x80, v1
	s_cbranch_execz .LBB251_948
; %bb.943:                              ;   in Loop: Header=BB251_554 Depth=1
	v_and_b32_e32 v53, 0x7f, v1
	v_mov_b32_e32 v9, 0x7c010000
	s_mov_b32 s19, exec_lo
	s_delay_alu instid0(VALU_DEP_2)
	v_cmpx_ne_u32_e32 0x7f, v53
	s_cbranch_execz .LBB251_947
; %bb.944:                              ;   in Loop: Header=BB251_554 Depth=1
	v_and_b32_e32 v9, 7, v1
	v_lshrrev_b32_e32 v10, 3, v53
	s_mov_b32 s26, exec_lo
	v_cmpx_gt_u32_e32 8, v53
; %bb.945:                              ;   in Loop: Header=BB251_554 Depth=1
	s_delay_alu instid0(VALU_DEP_3) | instskip(NEXT) | instid1(VALU_DEP_1)
	v_clz_i32_u32_e32 v9, v9
	v_min_u32_e32 v53, 32, v9
	s_delay_alu instid0(VALU_DEP_1) | instskip(NEXT) | instid1(VALU_DEP_1)
	v_subrev_nc_u32_e32 v9, 28, v53
	v_lshlrev_b64_e32 v[9:10], v9, v[1:2]
	v_sub_nc_u32_e32 v10, 29, v53
	s_delay_alu instid0(VALU_DEP_2)
	v_and_b32_e32 v9, 7, v9
; %bb.946:                              ;   in Loop: Header=BB251_554 Depth=1
	s_wait_alu 0xfffe
	s_or_b32 exec_lo, exec_lo, s26
	v_lshlrev_b32_e32 v1, 8, v1
	v_lshl_add_u32 v10, v10, 10, 0x2000
	v_lshlrev_b32_e32 v9, 23, v9
	s_delay_alu instid0(VALU_DEP_2) | instskip(NEXT) | instid1(VALU_DEP_1)
	v_and_or_b32 v1, 0x8000, v1, v10
	v_lshl_or_b32 v9, v1, 16, v9
.LBB251_947:                            ;   in Loop: Header=BB251_554 Depth=1
	s_wait_alu 0xfffe
	s_or_b32 exec_lo, exec_lo, s19
.LBB251_948:                            ;   in Loop: Header=BB251_554 Depth=1
	s_wait_alu 0xfffe
	s_or_b32 exec_lo, exec_lo, s18
.LBB251_949:                            ;   in Loop: Header=BB251_554 Depth=1
	s_wait_alu 0xfffe
	s_or_b32 exec_lo, exec_lo, s17
	v_or_b32_e32 v1, v48, v49
	s_wait_loadcnt 0x0
	v_fma_mixlo_f16 v10, v45, v48, 0 op_sel:[0,1,0] op_sel_hi:[0,1,0]
	v_or_b32_e32 v48, v46, v47
	v_fma_mixlo_f16 v46, v45, v46, 0 op_sel:[0,1,0] op_sel_hi:[0,1,0]
	v_or_b32_e32 v49, v52, v51
	v_or_b32_e32 v50, v9, v50
	v_fma_mixlo_f16 v51, v45, v1, 0 op_sel_hi:[0,1,0]
	v_fma_mixlo_f16 v9, v45, v9, 0 op_sel:[0,1,0] op_sel_hi:[0,1,0]
	v_lshlrev_b32_e32 v47, 16, v46
	v_fma_mixlo_f16 v46, v45, v48, 0 op_sel_hi:[0,1,0]
	v_fma_mixlo_f16 v48, v45, v52, 0 op_sel:[0,1,0] op_sel_hi:[0,1,0]
	v_fma_mixlo_f16 v49, v45, v49, 0 op_sel_hi:[0,1,0]
	v_fma_mixlo_f16 v50, v45, v50, 0 op_sel_hi:[0,1,0]
	v_lshlrev_b32_e32 v1, 16, v10
	v_and_b32_e32 v10, 0xffff, v51
	v_and_b32_e32 v53, 0xffff, v46
	v_lshlrev_b32_e32 v45, 16, v48
	v_and_b32_e32 v49, 0xffff, v49
	v_lshlrev_b32_e32 v9, 16, v9
	v_and_b32_e32 v46, 0xffff, v50
	v_or_b32_e32 v48, v1, v10
	v_or_b32_e32 v52, v47, v53
	;; [unrolled: 1-line block ×3, first 2 shown]
	s_delay_alu instid0(VALU_DEP_4)
	v_or_b32_e32 v50, v9, v46
	s_and_saveexec_b32 s17, vcc_lo
	s_cbranch_execz .LBB251_951
; %bb.950:                              ;   in Loop: Header=BB251_554 Depth=1
	v_cmp_gt_i32_e64 s0, s21, v12
	s_wait_alu 0xf1ff
	s_delay_alu instid0(VALU_DEP_1) | instskip(SKIP_2) | instid1(VALU_DEP_1)
	v_cndmask_b32_e64 v48, 0, v53, s0
	v_cmp_gt_i32_e64 s0, s21, v31
	s_wait_alu 0xf1ff
	v_cndmask_b32_e64 v47, 0, v47, s0
	v_cmp_gt_i32_e64 s0, s21, v29
	s_delay_alu instid0(VALU_DEP_2) | instskip(SKIP_1) | instid1(VALU_DEP_2)
	v_or_b32_e32 v52, v47, v48
	s_wait_alu 0xf1ff
	v_cndmask_b32_e64 v10, 0, v10, s0
	v_cmp_gt_i32_e64 s0, s21, v28
	s_wait_alu 0xf1ff
	s_delay_alu instid0(VALU_DEP_1) | instskip(SKIP_1) | instid1(VALU_DEP_2)
	v_cndmask_b32_e64 v1, 0, v1, s0
	v_cmp_gt_i32_e64 s0, s21, v27
	v_or_b32_e32 v48, v1, v10
	s_wait_alu 0xf1ff
	s_delay_alu instid0(VALU_DEP_2) | instskip(SKIP_2) | instid1(VALU_DEP_1)
	v_cndmask_b32_e64 v49, 0, v49, s0
	v_cmp_gt_i32_e64 s0, s21, v26
	s_wait_alu 0xf1ff
	v_cndmask_b32_e64 v45, 0, v45, s0
	v_cmp_gt_i32_e64 s0, s21, v25
	s_delay_alu instid0(VALU_DEP_2) | instskip(SKIP_1) | instid1(VALU_DEP_2)
	v_or_b32_e32 v51, v45, v49
	s_wait_alu 0xf1ff
	v_cndmask_b32_e64 v46, 0, v46, s0
	v_cmp_gt_i32_e64 s0, s21, v24
	s_wait_alu 0xf1ff
	s_delay_alu instid0(VALU_DEP_1) | instskip(NEXT) | instid1(VALU_DEP_1)
	v_cndmask_b32_e64 v9, 0, v9, s0
	v_or_b32_e32 v50, v9, v46
.LBB251_951:                            ;   in Loop: Header=BB251_554 Depth=1
	s_wait_alu 0xfffe
	s_or_b32 exec_lo, exec_lo, s17
	;;#ASMSTART
	v_pk_mul_f16 v1, v36, v52;

	;;#ASMEND
	;;#ASMSTART
	v_pk_mul_f16 v9, v35, v48;

	;;#ASMEND
	;; [unrolled: 4-line block ×4, first 2 shown]
	;;#ASMSTART
	v_pk_add_f16 v1, v1, v9;

	;;#ASMEND
	;;#ASMSTART
	v_pk_add_f16 v1, v1, v10;

	;;#ASMEND
	;; [unrolled: 4-line block ×3, first 2 shown]
	v_dual_mov_b32 v48, 0 :: v_dual_and_b32 v9, 0xffff, v1
	v_lshrrev_b32_e32 v1, 16, v1
	;;#ASMSTART
	v_cvt_f32_f16 v45, v9;
	;;#ASMEND
	;;#ASMSTART
	v_cvt_f32_f16 v46, v1;
	;;#ASMEND
	global_load_b64 v[9:10], v[7:8], off offset:1536
	global_load_b32 v47, v48, s[10:11]
	v_mov_b32_e32 v49, 0
	s_mov_b32 s17, exec_lo
	s_wait_loadcnt 0x1
	v_and_b32_e32 v1, 0xff, v9
	s_delay_alu instid0(VALU_DEP_1)
	v_cmpx_ne_u16_e32 0, v1
	s_cbranch_execz .LBB251_959
; %bb.952:                              ;   in Loop: Header=BB251_554 Depth=1
	v_mov_b32_e32 v49, 0x8000
	s_mov_b32 s18, exec_lo
	v_cmpx_ne_u16_e32 0x80, v1
	s_cbranch_execz .LBB251_958
; %bb.953:                              ;   in Loop: Header=BB251_554 Depth=1
	v_and_b32_e32 v50, 0x7f, v9
	v_mov_b32_e32 v49, 0x7c01
	s_mov_b32 s19, exec_lo
	s_delay_alu instid0(VALU_DEP_2)
	v_cmpx_ne_u32_e32 0x7f, v50
	s_cbranch_execz .LBB251_957
; %bb.954:                              ;   in Loop: Header=BB251_554 Depth=1
	v_and_b32_e32 v1, 7, v9
	v_lshrrev_b32_e32 v49, 3, v50
	s_mov_b32 s26, exec_lo
	v_cmpx_gt_u32_e32 8, v50
; %bb.955:                              ;   in Loop: Header=BB251_554 Depth=1
	s_delay_alu instid0(VALU_DEP_3) | instskip(NEXT) | instid1(VALU_DEP_1)
	v_clz_i32_u32_e32 v1, v1
	v_min_u32_e32 v1, 32, v1
	s_delay_alu instid0(VALU_DEP_1) | instskip(NEXT) | instid1(VALU_DEP_1)
	v_subrev_nc_u32_e32 v49, 28, v1
	v_lshlrev_b64_e32 v[50:51], v49, v[9:10]
	v_sub_nc_u32_e32 v49, 29, v1
	s_delay_alu instid0(VALU_DEP_2)
	v_and_b32_e32 v1, 7, v50
; %bb.956:                              ;   in Loop: Header=BB251_554 Depth=1
	s_wait_alu 0xfffe
	s_or_b32 exec_lo, exec_lo, s26
	v_lshlrev_b32_e32 v50, 8, v9
	v_lshl_add_u32 v49, v49, 10, 0x2000
	v_lshlrev_b32_e32 v1, 7, v1
	s_delay_alu instid0(VALU_DEP_3) | instskip(NEXT) | instid1(VALU_DEP_3)
	v_and_b32_e32 v50, 0x8000, v50
	v_and_b32_e32 v49, 0xfc00, v49
	s_delay_alu instid0(VALU_DEP_1)
	v_or3_b32 v49, v50, v49, v1
.LBB251_957:                            ;   in Loop: Header=BB251_554 Depth=1
	s_wait_alu 0xfffe
	s_or_b32 exec_lo, exec_lo, s19
.LBB251_958:                            ;   in Loop: Header=BB251_554 Depth=1
	s_wait_alu 0xfffe
	s_or_b32 exec_lo, exec_lo, s18
.LBB251_959:                            ;   in Loop: Header=BB251_554 Depth=1
	s_wait_alu 0xfffe
	s_or_b32 exec_lo, exec_lo, s17
	v_lshrrev_b16 v1, 8, v9
	s_mov_b32 s17, exec_lo
	s_delay_alu instid0(VALU_DEP_1)
	v_cmpx_ne_u16_e32 0, v1
	s_cbranch_execz .LBB251_967
; %bb.960:                              ;   in Loop: Header=BB251_554 Depth=1
	v_bfrev_b32_e32 v48, 1
	s_mov_b32 s18, exec_lo
	v_cmpx_ne_u16_e32 0x80, v1
	s_cbranch_execz .LBB251_966
; %bb.961:                              ;   in Loop: Header=BB251_554 Depth=1
	v_and_b32_e32 v50, 0xffff, v1
	v_mov_b32_e32 v48, 0x7c010000
	s_mov_b32 s19, exec_lo
	s_delay_alu instid0(VALU_DEP_2) | instskip(NEXT) | instid1(VALU_DEP_1)
	v_and_b32_e32 v52, 0x7f, v50
	v_cmpx_ne_u32_e32 0x7f, v52
	s_cbranch_execz .LBB251_965
; %bb.962:                              ;   in Loop: Header=BB251_554 Depth=1
	v_and_b32_e32 v48, 7, v50
	v_lshrrev_b32_e32 v51, 3, v52
	s_mov_b32 s26, exec_lo
	v_cmpx_gt_u32_e32 8, v52
; %bb.963:                              ;   in Loop: Header=BB251_554 Depth=1
	s_delay_alu instid0(VALU_DEP_3) | instskip(NEXT) | instid1(VALU_DEP_1)
	v_clz_i32_u32_e32 v48, v48
	v_min_u32_e32 v48, 32, v48
	s_delay_alu instid0(VALU_DEP_1) | instskip(NEXT) | instid1(VALU_DEP_1)
	v_subrev_nc_u32_e32 v51, 28, v48
	v_lshlrev_b64_e32 v[52:53], v51, v[1:2]
	v_sub_nc_u32_e32 v51, 29, v48
	s_delay_alu instid0(VALU_DEP_2)
	v_and_b32_e32 v48, 7, v52
; %bb.964:                              ;   in Loop: Header=BB251_554 Depth=1
	s_wait_alu 0xfffe
	s_or_b32 exec_lo, exec_lo, s26
	v_lshlrev_b32_e32 v1, 8, v50
	v_lshl_add_u32 v50, v51, 10, 0x2000
	v_lshlrev_b32_e32 v48, 23, v48
	s_delay_alu instid0(VALU_DEP_2) | instskip(NEXT) | instid1(VALU_DEP_1)
	v_and_or_b32 v1, 0x8000, v1, v50
	v_lshl_or_b32 v48, v1, 16, v48
.LBB251_965:                            ;   in Loop: Header=BB251_554 Depth=1
	s_wait_alu 0xfffe
	s_or_b32 exec_lo, exec_lo, s19
.LBB251_966:                            ;   in Loop: Header=BB251_554 Depth=1
	s_wait_alu 0xfffe
	s_or_b32 exec_lo, exec_lo, s18
.LBB251_967:                            ;   in Loop: Header=BB251_554 Depth=1
	s_wait_alu 0xfffe
	s_or_b32 exec_lo, exec_lo, s17
	v_lshrrev_b32_e32 v1, 16, v9
	v_mov_b32_e32 v50, 0
	s_mov_b32 s17, exec_lo
	s_delay_alu instid0(VALU_DEP_2) | instskip(NEXT) | instid1(VALU_DEP_1)
	v_dual_mov_b32 v51, 0 :: v_dual_and_b32 v52, 0xff, v1
	v_cmpx_ne_u16_e32 0, v52
	s_cbranch_execz .LBB251_975
; %bb.968:                              ;   in Loop: Header=BB251_554 Depth=1
	v_mov_b32_e32 v51, 0x8000
	s_mov_b32 s18, exec_lo
	v_cmpx_ne_u16_e32 0x80, v52
	s_cbranch_execz .LBB251_974
; %bb.969:                              ;   in Loop: Header=BB251_554 Depth=1
	v_bfe_u32 v53, v9, 16, 7
	v_mov_b32_e32 v51, 0x7c01
	s_mov_b32 s19, exec_lo
	s_delay_alu instid0(VALU_DEP_2)
	v_cmpx_ne_u32_e32 0x7f, v53
	s_cbranch_execz .LBB251_973
; %bb.970:                              ;   in Loop: Header=BB251_554 Depth=1
	v_and_b32_e32 v51, 7, v1
	v_lshrrev_b32_e32 v52, 3, v53
	s_mov_b32 s26, exec_lo
	v_cmpx_gt_u32_e32 8, v53
; %bb.971:                              ;   in Loop: Header=BB251_554 Depth=1
	s_delay_alu instid0(VALU_DEP_3) | instskip(NEXT) | instid1(VALU_DEP_1)
	v_clz_i32_u32_e32 v51, v51
	v_min_u32_e32 v53, 32, v51
	s_delay_alu instid0(VALU_DEP_1) | instskip(NEXT) | instid1(VALU_DEP_1)
	v_subrev_nc_u32_e32 v51, 28, v53
	v_lshlrev_b64_e32 v[51:52], v51, v[1:2]
	v_sub_nc_u32_e32 v52, 29, v53
	s_delay_alu instid0(VALU_DEP_2)
	v_and_b32_e32 v51, 7, v51
; %bb.972:                              ;   in Loop: Header=BB251_554 Depth=1
	s_wait_alu 0xfffe
	s_or_b32 exec_lo, exec_lo, s26
	v_lshlrev_b32_e32 v1, 8, v1
	v_lshl_add_u32 v52, v52, 10, 0x2000
	v_lshlrev_b32_e32 v51, 7, v51
	s_delay_alu instid0(VALU_DEP_3) | instskip(NEXT) | instid1(VALU_DEP_3)
	v_and_b32_e32 v1, 0x8000, v1
	v_and_b32_e32 v52, 0xfc00, v52
	s_delay_alu instid0(VALU_DEP_1)
	v_or3_b32 v51, v1, v52, v51
.LBB251_973:                            ;   in Loop: Header=BB251_554 Depth=1
	s_wait_alu 0xfffe
	s_or_b32 exec_lo, exec_lo, s19
.LBB251_974:                            ;   in Loop: Header=BB251_554 Depth=1
	s_wait_alu 0xfffe
	s_or_b32 exec_lo, exec_lo, s18
.LBB251_975:                            ;   in Loop: Header=BB251_554 Depth=1
	s_wait_alu 0xfffe
	s_or_b32 exec_lo, exec_lo, s17
	s_delay_alu instid0(SALU_CYCLE_1)
	s_mov_b32 s17, exec_lo
	v_cmpx_lt_u32_e32 0xffffff, v9
	s_cbranch_execz .LBB251_983
; %bb.976:                              ;   in Loop: Header=BB251_554 Depth=1
	v_lshrrev_b32_e32 v1, 24, v9
	v_bfrev_b32_e32 v50, 1
	s_mov_b32 s18, exec_lo
	s_delay_alu instid0(VALU_DEP_2)
	v_cmpx_ne_u32_e32 0x80, v1
	s_cbranch_execz .LBB251_982
; %bb.977:                              ;   in Loop: Header=BB251_554 Depth=1
	v_and_b32_e32 v53, 0x7f, v1
	v_mov_b32_e32 v50, 0x7c010000
	s_mov_b32 s19, exec_lo
	s_delay_alu instid0(VALU_DEP_2)
	v_cmpx_ne_u32_e32 0x7f, v53
	s_cbranch_execz .LBB251_981
; %bb.978:                              ;   in Loop: Header=BB251_554 Depth=1
	v_and_b32_e32 v50, 7, v1
	v_lshrrev_b32_e32 v52, 3, v53
	s_mov_b32 s26, exec_lo
	v_cmpx_gt_u32_e32 8, v53
; %bb.979:                              ;   in Loop: Header=BB251_554 Depth=1
	s_delay_alu instid0(VALU_DEP_3) | instskip(NEXT) | instid1(VALU_DEP_1)
	v_clz_i32_u32_e32 v50, v50
	v_min_u32_e32 v50, 32, v50
	s_delay_alu instid0(VALU_DEP_1) | instskip(NEXT) | instid1(VALU_DEP_1)
	v_subrev_nc_u32_e32 v52, 28, v50
	v_lshlrev_b64_e32 v[53:54], v52, v[1:2]
	v_sub_nc_u32_e32 v52, 29, v50
	s_delay_alu instid0(VALU_DEP_2)
	v_and_b32_e32 v50, 7, v53
; %bb.980:                              ;   in Loop: Header=BB251_554 Depth=1
	s_wait_alu 0xfffe
	s_or_b32 exec_lo, exec_lo, s26
	v_lshlrev_b32_e32 v1, 8, v1
	v_lshl_add_u32 v52, v52, 10, 0x2000
	v_lshlrev_b32_e32 v50, 23, v50
	s_delay_alu instid0(VALU_DEP_2) | instskip(NEXT) | instid1(VALU_DEP_1)
	v_and_or_b32 v1, 0x8000, v1, v52
	v_lshl_or_b32 v50, v1, 16, v50
.LBB251_981:                            ;   in Loop: Header=BB251_554 Depth=1
	s_wait_alu 0xfffe
	s_or_b32 exec_lo, exec_lo, s19
.LBB251_982:                            ;   in Loop: Header=BB251_554 Depth=1
	s_wait_alu 0xfffe
	s_or_b32 exec_lo, exec_lo, s18
.LBB251_983:                            ;   in Loop: Header=BB251_554 Depth=1
	s_wait_alu 0xfffe
	s_or_b32 exec_lo, exec_lo, s17
	v_dual_mov_b32 v1, v10 :: v_dual_and_b32 v54, 0xff, v10
	v_dual_mov_b32 v52, 0 :: v_dual_mov_b32 v53, 0
	s_mov_b32 s17, exec_lo
	s_delay_alu instid0(VALU_DEP_2)
	v_cmpx_ne_u16_e32 0, v54
	s_cbranch_execz .LBB251_991
; %bb.984:                              ;   in Loop: Header=BB251_554 Depth=1
	v_mov_b32_e32 v53, 0x8000
	s_mov_b32 s18, exec_lo
	v_cmpx_ne_u16_e32 0x80, v54
	s_cbranch_execz .LBB251_990
; %bb.985:                              ;   in Loop: Header=BB251_554 Depth=1
	v_and_b32_e32 v55, 0x7f, v10
	v_mov_b32_e32 v53, 0x7c01
	s_mov_b32 s19, exec_lo
	s_delay_alu instid0(VALU_DEP_2)
	v_cmpx_ne_u32_e32 0x7f, v55
	s_cbranch_execz .LBB251_989
; %bb.986:                              ;   in Loop: Header=BB251_554 Depth=1
	v_and_b32_e32 v53, 7, v10
	v_lshrrev_b32_e32 v54, 3, v55
	s_mov_b32 s26, exec_lo
	v_cmpx_gt_u32_e32 8, v55
; %bb.987:                              ;   in Loop: Header=BB251_554 Depth=1
	s_delay_alu instid0(VALU_DEP_3) | instskip(NEXT) | instid1(VALU_DEP_1)
	v_clz_i32_u32_e32 v53, v53
	v_min_u32_e32 v55, 32, v53
	s_delay_alu instid0(VALU_DEP_1) | instskip(NEXT) | instid1(VALU_DEP_1)
	v_subrev_nc_u32_e32 v53, 28, v55
	v_lshlrev_b64_e32 v[53:54], v53, v[1:2]
	v_sub_nc_u32_e32 v54, 29, v55
	s_delay_alu instid0(VALU_DEP_2)
	v_and_b32_e32 v53, 7, v53
; %bb.988:                              ;   in Loop: Header=BB251_554 Depth=1
	s_wait_alu 0xfffe
	s_or_b32 exec_lo, exec_lo, s26
	v_lshlrev_b32_e32 v55, 8, v10
	v_lshl_add_u32 v54, v54, 10, 0x2000
	v_lshlrev_b32_e32 v53, 7, v53
	s_delay_alu instid0(VALU_DEP_3) | instskip(NEXT) | instid1(VALU_DEP_3)
	v_and_b32_e32 v55, 0x8000, v55
	v_and_b32_e32 v54, 0xfc00, v54
	s_delay_alu instid0(VALU_DEP_1)
	v_or3_b32 v53, v55, v54, v53
.LBB251_989:                            ;   in Loop: Header=BB251_554 Depth=1
	s_wait_alu 0xfffe
	s_or_b32 exec_lo, exec_lo, s19
.LBB251_990:                            ;   in Loop: Header=BB251_554 Depth=1
	s_wait_alu 0xfffe
	s_or_b32 exec_lo, exec_lo, s18
.LBB251_991:                            ;   in Loop: Header=BB251_554 Depth=1
	s_wait_alu 0xfffe
	s_or_b32 exec_lo, exec_lo, s17
	v_lshrrev_b16 v1, 8, v1
	v_mov_b32_e32 v54, 0
	s_mov_b32 s17, exec_lo
	s_delay_alu instid0(VALU_DEP_2)
	v_cmpx_ne_u16_e32 0, v1
	s_cbranch_execz .LBB251_999
; %bb.992:                              ;   in Loop: Header=BB251_554 Depth=1
	v_bfrev_b32_e32 v54, 1
	s_mov_b32 s18, exec_lo
	v_cmpx_ne_u16_e32 0x80, v1
	s_cbranch_execz .LBB251_998
; %bb.993:                              ;   in Loop: Header=BB251_554 Depth=1
	v_and_b32_e32 v55, 0xffff, v1
	v_mov_b32_e32 v54, 0x7c010000
	s_mov_b32 s19, exec_lo
	s_delay_alu instid0(VALU_DEP_2) | instskip(NEXT) | instid1(VALU_DEP_1)
	v_and_b32_e32 v57, 0x7f, v55
	v_cmpx_ne_u32_e32 0x7f, v57
	s_cbranch_execz .LBB251_997
; %bb.994:                              ;   in Loop: Header=BB251_554 Depth=1
	v_and_b32_e32 v54, 7, v55
	v_lshrrev_b32_e32 v56, 3, v57
	s_mov_b32 s26, exec_lo
	v_cmpx_gt_u32_e32 8, v57
; %bb.995:                              ;   in Loop: Header=BB251_554 Depth=1
	s_delay_alu instid0(VALU_DEP_3) | instskip(NEXT) | instid1(VALU_DEP_1)
	v_clz_i32_u32_e32 v54, v54
	v_min_u32_e32 v54, 32, v54
	s_delay_alu instid0(VALU_DEP_1) | instskip(NEXT) | instid1(VALU_DEP_1)
	v_subrev_nc_u32_e32 v56, 28, v54
	v_lshlrev_b64_e32 v[57:58], v56, v[1:2]
	v_sub_nc_u32_e32 v56, 29, v54
	s_delay_alu instid0(VALU_DEP_2)
	v_and_b32_e32 v54, 7, v57
; %bb.996:                              ;   in Loop: Header=BB251_554 Depth=1
	s_wait_alu 0xfffe
	s_or_b32 exec_lo, exec_lo, s26
	v_lshlrev_b32_e32 v1, 8, v55
	v_lshl_add_u32 v55, v56, 10, 0x2000
	v_lshlrev_b32_e32 v54, 23, v54
	s_delay_alu instid0(VALU_DEP_2) | instskip(NEXT) | instid1(VALU_DEP_1)
	v_and_or_b32 v1, 0x8000, v1, v55
	v_lshl_or_b32 v54, v1, 16, v54
.LBB251_997:                            ;   in Loop: Header=BB251_554 Depth=1
	s_wait_alu 0xfffe
	s_or_b32 exec_lo, exec_lo, s19
.LBB251_998:                            ;   in Loop: Header=BB251_554 Depth=1
	s_wait_alu 0xfffe
	s_or_b32 exec_lo, exec_lo, s18
.LBB251_999:                            ;   in Loop: Header=BB251_554 Depth=1
	s_wait_alu 0xfffe
	s_or_b32 exec_lo, exec_lo, s17
	v_lshrrev_b32_e32 v1, 16, v10
	s_mov_b32 s17, exec_lo
	s_delay_alu instid0(VALU_DEP_1) | instskip(NEXT) | instid1(VALU_DEP_1)
	v_and_b32_e32 v55, 0xff, v1
	v_cmpx_ne_u16_e32 0, v55
	s_cbranch_execz .LBB251_1007
; %bb.1000:                             ;   in Loop: Header=BB251_554 Depth=1
	v_mov_b32_e32 v52, 0x8000
	s_mov_b32 s18, exec_lo
	v_cmpx_ne_u16_e32 0x80, v55
	s_cbranch_execz .LBB251_1006
; %bb.1001:                             ;   in Loop: Header=BB251_554 Depth=1
	v_bfe_u32 v56, v10, 16, 7
	v_mov_b32_e32 v52, 0x7c01
	s_mov_b32 s19, exec_lo
	s_delay_alu instid0(VALU_DEP_2)
	v_cmpx_ne_u32_e32 0x7f, v56
	s_cbranch_execz .LBB251_1005
; %bb.1002:                             ;   in Loop: Header=BB251_554 Depth=1
	v_and_b32_e32 v52, 7, v1
	v_lshrrev_b32_e32 v55, 3, v56
	s_mov_b32 s26, exec_lo
	v_cmpx_gt_u32_e32 8, v56
; %bb.1003:                             ;   in Loop: Header=BB251_554 Depth=1
	s_delay_alu instid0(VALU_DEP_3) | instskip(NEXT) | instid1(VALU_DEP_1)
	v_clz_i32_u32_e32 v52, v52
	v_min_u32_e32 v52, 32, v52
	s_delay_alu instid0(VALU_DEP_1) | instskip(NEXT) | instid1(VALU_DEP_1)
	v_subrev_nc_u32_e32 v55, 28, v52
	v_lshlrev_b64_e32 v[56:57], v55, v[1:2]
	v_sub_nc_u32_e32 v55, 29, v52
	s_delay_alu instid0(VALU_DEP_2)
	v_and_b32_e32 v52, 7, v56
; %bb.1004:                             ;   in Loop: Header=BB251_554 Depth=1
	s_wait_alu 0xfffe
	s_or_b32 exec_lo, exec_lo, s26
	v_lshlrev_b32_e32 v1, 8, v1
	v_lshl_add_u32 v55, v55, 10, 0x2000
	v_lshlrev_b32_e32 v52, 7, v52
	s_delay_alu instid0(VALU_DEP_3) | instskip(NEXT) | instid1(VALU_DEP_3)
	v_and_b32_e32 v1, 0x8000, v1
	v_and_b32_e32 v55, 0xfc00, v55
	s_delay_alu instid0(VALU_DEP_1)
	v_or3_b32 v52, v1, v55, v52
.LBB251_1005:                           ;   in Loop: Header=BB251_554 Depth=1
	s_wait_alu 0xfffe
	s_or_b32 exec_lo, exec_lo, s19
.LBB251_1006:                           ;   in Loop: Header=BB251_554 Depth=1
	s_wait_alu 0xfffe
	s_or_b32 exec_lo, exec_lo, s18
.LBB251_1007:                           ;   in Loop: Header=BB251_554 Depth=1
	s_wait_alu 0xfffe
	s_or_b32 exec_lo, exec_lo, s17
	v_cmp_lt_u64_e64 s0, s[2:3], v[9:10]
	v_mov_b32_e32 v9, 0
	s_and_saveexec_b32 s17, s0
	s_cbranch_execz .LBB251_1015
; %bb.1008:                             ;   in Loop: Header=BB251_554 Depth=1
	v_lshrrev_b32_e32 v1, 24, v10
	v_bfrev_b32_e32 v9, 1
	s_mov_b32 s18, exec_lo
	s_delay_alu instid0(VALU_DEP_2)
	v_cmpx_ne_u32_e32 0x80, v1
	s_cbranch_execz .LBB251_1014
; %bb.1009:                             ;   in Loop: Header=BB251_554 Depth=1
	v_and_b32_e32 v55, 0x7f, v1
	v_mov_b32_e32 v9, 0x7c010000
	s_mov_b32 s19, exec_lo
	s_delay_alu instid0(VALU_DEP_2)
	v_cmpx_ne_u32_e32 0x7f, v55
	s_cbranch_execz .LBB251_1013
; %bb.1010:                             ;   in Loop: Header=BB251_554 Depth=1
	v_and_b32_e32 v9, 7, v1
	v_lshrrev_b32_e32 v10, 3, v55
	s_mov_b32 s26, exec_lo
	v_cmpx_gt_u32_e32 8, v55
; %bb.1011:                             ;   in Loop: Header=BB251_554 Depth=1
	s_delay_alu instid0(VALU_DEP_3) | instskip(NEXT) | instid1(VALU_DEP_1)
	v_clz_i32_u32_e32 v9, v9
	v_min_u32_e32 v55, 32, v9
	s_delay_alu instid0(VALU_DEP_1) | instskip(NEXT) | instid1(VALU_DEP_1)
	v_subrev_nc_u32_e32 v9, 28, v55
	v_lshlrev_b64_e32 v[9:10], v9, v[1:2]
	v_sub_nc_u32_e32 v10, 29, v55
	s_delay_alu instid0(VALU_DEP_2)
	v_and_b32_e32 v9, 7, v9
; %bb.1012:                             ;   in Loop: Header=BB251_554 Depth=1
	s_wait_alu 0xfffe
	s_or_b32 exec_lo, exec_lo, s26
	v_lshlrev_b32_e32 v1, 8, v1
	v_lshl_add_u32 v10, v10, 10, 0x2000
	v_lshlrev_b32_e32 v9, 23, v9
	s_delay_alu instid0(VALU_DEP_2) | instskip(NEXT) | instid1(VALU_DEP_1)
	v_and_or_b32 v1, 0x8000, v1, v10
	v_lshl_or_b32 v9, v1, 16, v9
.LBB251_1013:                           ;   in Loop: Header=BB251_554 Depth=1
	s_wait_alu 0xfffe
	s_or_b32 exec_lo, exec_lo, s19
.LBB251_1014:                           ;   in Loop: Header=BB251_554 Depth=1
	s_wait_alu 0xfffe
	s_or_b32 exec_lo, exec_lo, s18
.LBB251_1015:                           ;   in Loop: Header=BB251_554 Depth=1
	s_wait_alu 0xfffe
	s_or_b32 exec_lo, exec_lo, s17
	v_or_b32_e32 v1, v50, v51
	s_wait_loadcnt 0x0
	v_fma_mixlo_f16 v10, v47, v50, 0 op_sel:[0,1,0] op_sel_hi:[0,1,0]
	v_or_b32_e32 v50, v48, v49
	v_fma_mixlo_f16 v48, v47, v48, 0 op_sel:[0,1,0] op_sel_hi:[0,1,0]
	v_or_b32_e32 v51, v54, v53
	v_or_b32_e32 v52, v9, v52
	v_fma_mixlo_f16 v53, v47, v1, 0 op_sel_hi:[0,1,0]
	v_fma_mixlo_f16 v9, v47, v9, 0 op_sel:[0,1,0] op_sel_hi:[0,1,0]
	v_lshlrev_b32_e32 v49, 16, v48
	v_fma_mixlo_f16 v48, v47, v50, 0 op_sel_hi:[0,1,0]
	v_fma_mixlo_f16 v50, v47, v54, 0 op_sel:[0,1,0] op_sel_hi:[0,1,0]
	v_fma_mixlo_f16 v51, v47, v51, 0 op_sel_hi:[0,1,0]
	v_fma_mixlo_f16 v52, v47, v52, 0 op_sel_hi:[0,1,0]
	v_lshlrev_b32_e32 v1, 16, v10
	v_and_b32_e32 v10, 0xffff, v53
	v_and_b32_e32 v55, 0xffff, v48
	v_lshlrev_b32_e32 v47, 16, v50
	v_and_b32_e32 v51, 0xffff, v51
	v_lshlrev_b32_e32 v9, 16, v9
	v_and_b32_e32 v48, 0xffff, v52
	v_or_b32_e32 v50, v1, v10
	v_or_b32_e32 v54, v49, v55
	;; [unrolled: 1-line block ×3, first 2 shown]
	s_delay_alu instid0(VALU_DEP_4)
	v_or_b32_e32 v52, v9, v48
	s_and_saveexec_b32 s17, vcc_lo
	s_cbranch_execz .LBB251_1017
; %bb.1016:                             ;   in Loop: Header=BB251_554 Depth=1
	v_cmp_gt_i32_e64 s0, s21, v12
	s_wait_alu 0xf1ff
	s_delay_alu instid0(VALU_DEP_1) | instskip(SKIP_2) | instid1(VALU_DEP_1)
	v_cndmask_b32_e64 v50, 0, v55, s0
	v_cmp_gt_i32_e64 s0, s21, v31
	s_wait_alu 0xf1ff
	v_cndmask_b32_e64 v49, 0, v49, s0
	v_cmp_gt_i32_e64 s0, s21, v29
	s_delay_alu instid0(VALU_DEP_2) | instskip(SKIP_1) | instid1(VALU_DEP_2)
	v_or_b32_e32 v54, v49, v50
	s_wait_alu 0xf1ff
	v_cndmask_b32_e64 v10, 0, v10, s0
	v_cmp_gt_i32_e64 s0, s21, v28
	s_wait_alu 0xf1ff
	s_delay_alu instid0(VALU_DEP_1) | instskip(SKIP_1) | instid1(VALU_DEP_2)
	v_cndmask_b32_e64 v1, 0, v1, s0
	v_cmp_gt_i32_e64 s0, s21, v27
	v_or_b32_e32 v50, v1, v10
	s_wait_alu 0xf1ff
	s_delay_alu instid0(VALU_DEP_2) | instskip(SKIP_2) | instid1(VALU_DEP_1)
	v_cndmask_b32_e64 v51, 0, v51, s0
	v_cmp_gt_i32_e64 s0, s21, v26
	s_wait_alu 0xf1ff
	v_cndmask_b32_e64 v47, 0, v47, s0
	v_cmp_gt_i32_e64 s0, s21, v25
	s_delay_alu instid0(VALU_DEP_2) | instskip(SKIP_1) | instid1(VALU_DEP_2)
	v_or_b32_e32 v53, v47, v51
	s_wait_alu 0xf1ff
	v_cndmask_b32_e64 v48, 0, v48, s0
	v_cmp_gt_i32_e64 s0, s21, v24
	s_wait_alu 0xf1ff
	s_delay_alu instid0(VALU_DEP_1) | instskip(NEXT) | instid1(VALU_DEP_1)
	v_cndmask_b32_e64 v9, 0, v9, s0
	v_or_b32_e32 v52, v9, v48
.LBB251_1017:                           ;   in Loop: Header=BB251_554 Depth=1
	s_wait_alu 0xfffe
	s_or_b32 exec_lo, exec_lo, s17
	;;#ASMSTART
	v_pk_mul_f16 v1, v36, v54;

	;;#ASMEND
	;;#ASMSTART
	v_pk_mul_f16 v9, v35, v50;

	;;#ASMEND
	;; [unrolled: 4-line block ×4, first 2 shown]
	;;#ASMSTART
	v_pk_add_f16 v1, v1, v9;

	;;#ASMEND
	;;#ASMSTART
	v_pk_add_f16 v1, v1, v10;

	;;#ASMEND
	;; [unrolled: 4-line block ×3, first 2 shown]
	v_dual_mov_b32 v48, 0 :: v_dual_and_b32 v9, 0xffff, v1
	v_lshrrev_b32_e32 v1, 16, v1
	;;#ASMSTART
	v_cvt_f32_f16 v9, v9;
	;;#ASMEND
	;;#ASMSTART
	v_cvt_f32_f16 v10, v1;
	;;#ASMEND
	global_load_b64 v[7:8], v[7:8], off offset:1792
	global_load_b32 v47, v48, s[10:11]
	v_mov_b32_e32 v49, 0
	s_mov_b32 s17, exec_lo
	s_wait_loadcnt 0x1
	v_and_b32_e32 v1, 0xff, v7
	s_delay_alu instid0(VALU_DEP_1)
	v_cmpx_ne_u16_e32 0, v1
	s_cbranch_execz .LBB251_1025
; %bb.1018:                             ;   in Loop: Header=BB251_554 Depth=1
	v_mov_b32_e32 v49, 0x8000
	s_mov_b32 s18, exec_lo
	v_cmpx_ne_u16_e32 0x80, v1
	s_cbranch_execz .LBB251_1024
; %bb.1019:                             ;   in Loop: Header=BB251_554 Depth=1
	v_and_b32_e32 v50, 0x7f, v7
	v_mov_b32_e32 v49, 0x7c01
	s_mov_b32 s19, exec_lo
	s_delay_alu instid0(VALU_DEP_2)
	v_cmpx_ne_u32_e32 0x7f, v50
	s_cbranch_execz .LBB251_1023
; %bb.1020:                             ;   in Loop: Header=BB251_554 Depth=1
	v_and_b32_e32 v1, 7, v7
	v_lshrrev_b32_e32 v49, 3, v50
	s_mov_b32 s26, exec_lo
	v_cmpx_gt_u32_e32 8, v50
; %bb.1021:                             ;   in Loop: Header=BB251_554 Depth=1
	s_delay_alu instid0(VALU_DEP_3) | instskip(NEXT) | instid1(VALU_DEP_1)
	v_clz_i32_u32_e32 v1, v1
	v_min_u32_e32 v1, 32, v1
	s_delay_alu instid0(VALU_DEP_1) | instskip(NEXT) | instid1(VALU_DEP_1)
	v_subrev_nc_u32_e32 v49, 28, v1
	v_lshlrev_b64_e32 v[50:51], v49, v[7:8]
	v_sub_nc_u32_e32 v49, 29, v1
	s_delay_alu instid0(VALU_DEP_2)
	v_and_b32_e32 v1, 7, v50
; %bb.1022:                             ;   in Loop: Header=BB251_554 Depth=1
	s_wait_alu 0xfffe
	s_or_b32 exec_lo, exec_lo, s26
	v_lshlrev_b32_e32 v50, 8, v7
	v_lshl_add_u32 v49, v49, 10, 0x2000
	v_lshlrev_b32_e32 v1, 7, v1
	s_delay_alu instid0(VALU_DEP_3) | instskip(NEXT) | instid1(VALU_DEP_3)
	v_and_b32_e32 v50, 0x8000, v50
	v_and_b32_e32 v49, 0xfc00, v49
	s_delay_alu instid0(VALU_DEP_1)
	v_or3_b32 v49, v50, v49, v1
.LBB251_1023:                           ;   in Loop: Header=BB251_554 Depth=1
	s_wait_alu 0xfffe
	s_or_b32 exec_lo, exec_lo, s19
.LBB251_1024:                           ;   in Loop: Header=BB251_554 Depth=1
	s_wait_alu 0xfffe
	s_or_b32 exec_lo, exec_lo, s18
.LBB251_1025:                           ;   in Loop: Header=BB251_554 Depth=1
	s_wait_alu 0xfffe
	s_or_b32 exec_lo, exec_lo, s17
	v_lshrrev_b16 v1, 8, v7
	s_mov_b32 s17, exec_lo
	s_delay_alu instid0(VALU_DEP_1)
	v_cmpx_ne_u16_e32 0, v1
	s_cbranch_execz .LBB251_1033
; %bb.1026:                             ;   in Loop: Header=BB251_554 Depth=1
	v_bfrev_b32_e32 v48, 1
	s_mov_b32 s18, exec_lo
	v_cmpx_ne_u16_e32 0x80, v1
	s_cbranch_execz .LBB251_1032
; %bb.1027:                             ;   in Loop: Header=BB251_554 Depth=1
	v_and_b32_e32 v50, 0xffff, v1
	v_mov_b32_e32 v48, 0x7c010000
	s_mov_b32 s19, exec_lo
	s_delay_alu instid0(VALU_DEP_2) | instskip(NEXT) | instid1(VALU_DEP_1)
	v_and_b32_e32 v52, 0x7f, v50
	v_cmpx_ne_u32_e32 0x7f, v52
	s_cbranch_execz .LBB251_1031
; %bb.1028:                             ;   in Loop: Header=BB251_554 Depth=1
	v_and_b32_e32 v48, 7, v50
	v_lshrrev_b32_e32 v51, 3, v52
	s_mov_b32 s26, exec_lo
	v_cmpx_gt_u32_e32 8, v52
; %bb.1029:                             ;   in Loop: Header=BB251_554 Depth=1
	s_delay_alu instid0(VALU_DEP_3) | instskip(NEXT) | instid1(VALU_DEP_1)
	v_clz_i32_u32_e32 v48, v48
	v_min_u32_e32 v48, 32, v48
	s_delay_alu instid0(VALU_DEP_1) | instskip(NEXT) | instid1(VALU_DEP_1)
	v_subrev_nc_u32_e32 v51, 28, v48
	v_lshlrev_b64_e32 v[52:53], v51, v[1:2]
	v_sub_nc_u32_e32 v51, 29, v48
	s_delay_alu instid0(VALU_DEP_2)
	v_and_b32_e32 v48, 7, v52
; %bb.1030:                             ;   in Loop: Header=BB251_554 Depth=1
	s_wait_alu 0xfffe
	s_or_b32 exec_lo, exec_lo, s26
	v_lshlrev_b32_e32 v1, 8, v50
	v_lshl_add_u32 v50, v51, 10, 0x2000
	v_lshlrev_b32_e32 v48, 23, v48
	s_delay_alu instid0(VALU_DEP_2) | instskip(NEXT) | instid1(VALU_DEP_1)
	v_and_or_b32 v1, 0x8000, v1, v50
	v_lshl_or_b32 v48, v1, 16, v48
.LBB251_1031:                           ;   in Loop: Header=BB251_554 Depth=1
	s_wait_alu 0xfffe
	s_or_b32 exec_lo, exec_lo, s19
.LBB251_1032:                           ;   in Loop: Header=BB251_554 Depth=1
	s_wait_alu 0xfffe
	s_or_b32 exec_lo, exec_lo, s18
.LBB251_1033:                           ;   in Loop: Header=BB251_554 Depth=1
	s_wait_alu 0xfffe
	s_or_b32 exec_lo, exec_lo, s17
	v_lshrrev_b32_e32 v1, 16, v7
	v_mov_b32_e32 v50, 0
	s_mov_b32 s17, exec_lo
	s_delay_alu instid0(VALU_DEP_2) | instskip(NEXT) | instid1(VALU_DEP_1)
	v_dual_mov_b32 v51, 0 :: v_dual_and_b32 v52, 0xff, v1
	v_cmpx_ne_u16_e32 0, v52
	s_cbranch_execz .LBB251_1041
; %bb.1034:                             ;   in Loop: Header=BB251_554 Depth=1
	v_mov_b32_e32 v51, 0x8000
	s_mov_b32 s18, exec_lo
	v_cmpx_ne_u16_e32 0x80, v52
	s_cbranch_execz .LBB251_1040
; %bb.1035:                             ;   in Loop: Header=BB251_554 Depth=1
	v_bfe_u32 v53, v7, 16, 7
	v_mov_b32_e32 v51, 0x7c01
	s_mov_b32 s19, exec_lo
	s_delay_alu instid0(VALU_DEP_2)
	v_cmpx_ne_u32_e32 0x7f, v53
	s_cbranch_execz .LBB251_1039
; %bb.1036:                             ;   in Loop: Header=BB251_554 Depth=1
	v_and_b32_e32 v51, 7, v1
	v_lshrrev_b32_e32 v52, 3, v53
	s_mov_b32 s26, exec_lo
	v_cmpx_gt_u32_e32 8, v53
; %bb.1037:                             ;   in Loop: Header=BB251_554 Depth=1
	s_delay_alu instid0(VALU_DEP_3) | instskip(NEXT) | instid1(VALU_DEP_1)
	v_clz_i32_u32_e32 v51, v51
	v_min_u32_e32 v53, 32, v51
	s_delay_alu instid0(VALU_DEP_1) | instskip(NEXT) | instid1(VALU_DEP_1)
	v_subrev_nc_u32_e32 v51, 28, v53
	v_lshlrev_b64_e32 v[51:52], v51, v[1:2]
	v_sub_nc_u32_e32 v52, 29, v53
	s_delay_alu instid0(VALU_DEP_2)
	v_and_b32_e32 v51, 7, v51
; %bb.1038:                             ;   in Loop: Header=BB251_554 Depth=1
	s_wait_alu 0xfffe
	s_or_b32 exec_lo, exec_lo, s26
	v_lshlrev_b32_e32 v1, 8, v1
	v_lshl_add_u32 v52, v52, 10, 0x2000
	v_lshlrev_b32_e32 v51, 7, v51
	s_delay_alu instid0(VALU_DEP_3) | instskip(NEXT) | instid1(VALU_DEP_3)
	v_and_b32_e32 v1, 0x8000, v1
	v_and_b32_e32 v52, 0xfc00, v52
	s_delay_alu instid0(VALU_DEP_1)
	v_or3_b32 v51, v1, v52, v51
.LBB251_1039:                           ;   in Loop: Header=BB251_554 Depth=1
	s_wait_alu 0xfffe
	s_or_b32 exec_lo, exec_lo, s19
.LBB251_1040:                           ;   in Loop: Header=BB251_554 Depth=1
	s_wait_alu 0xfffe
	s_or_b32 exec_lo, exec_lo, s18
.LBB251_1041:                           ;   in Loop: Header=BB251_554 Depth=1
	s_wait_alu 0xfffe
	s_or_b32 exec_lo, exec_lo, s17
	s_delay_alu instid0(SALU_CYCLE_1)
	s_mov_b32 s17, exec_lo
	v_cmpx_lt_u32_e32 0xffffff, v7
	s_cbranch_execz .LBB251_1049
; %bb.1042:                             ;   in Loop: Header=BB251_554 Depth=1
	v_lshrrev_b32_e32 v1, 24, v7
	v_bfrev_b32_e32 v50, 1
	s_mov_b32 s18, exec_lo
	s_delay_alu instid0(VALU_DEP_2)
	v_cmpx_ne_u32_e32 0x80, v1
	s_cbranch_execz .LBB251_1048
; %bb.1043:                             ;   in Loop: Header=BB251_554 Depth=1
	v_and_b32_e32 v53, 0x7f, v1
	v_mov_b32_e32 v50, 0x7c010000
	s_mov_b32 s19, exec_lo
	s_delay_alu instid0(VALU_DEP_2)
	v_cmpx_ne_u32_e32 0x7f, v53
	s_cbranch_execz .LBB251_1047
; %bb.1044:                             ;   in Loop: Header=BB251_554 Depth=1
	v_and_b32_e32 v50, 7, v1
	v_lshrrev_b32_e32 v52, 3, v53
	s_mov_b32 s26, exec_lo
	v_cmpx_gt_u32_e32 8, v53
; %bb.1045:                             ;   in Loop: Header=BB251_554 Depth=1
	s_delay_alu instid0(VALU_DEP_3) | instskip(NEXT) | instid1(VALU_DEP_1)
	v_clz_i32_u32_e32 v50, v50
	v_min_u32_e32 v50, 32, v50
	s_delay_alu instid0(VALU_DEP_1) | instskip(NEXT) | instid1(VALU_DEP_1)
	v_subrev_nc_u32_e32 v52, 28, v50
	v_lshlrev_b64_e32 v[53:54], v52, v[1:2]
	v_sub_nc_u32_e32 v52, 29, v50
	s_delay_alu instid0(VALU_DEP_2)
	v_and_b32_e32 v50, 7, v53
; %bb.1046:                             ;   in Loop: Header=BB251_554 Depth=1
	s_wait_alu 0xfffe
	s_or_b32 exec_lo, exec_lo, s26
	v_lshlrev_b32_e32 v1, 8, v1
	v_lshl_add_u32 v52, v52, 10, 0x2000
	v_lshlrev_b32_e32 v50, 23, v50
	s_delay_alu instid0(VALU_DEP_2) | instskip(NEXT) | instid1(VALU_DEP_1)
	v_and_or_b32 v1, 0x8000, v1, v52
	v_lshl_or_b32 v50, v1, 16, v50
.LBB251_1047:                           ;   in Loop: Header=BB251_554 Depth=1
	s_wait_alu 0xfffe
	s_or_b32 exec_lo, exec_lo, s19
.LBB251_1048:                           ;   in Loop: Header=BB251_554 Depth=1
	s_wait_alu 0xfffe
	s_or_b32 exec_lo, exec_lo, s18
.LBB251_1049:                           ;   in Loop: Header=BB251_554 Depth=1
	s_wait_alu 0xfffe
	s_or_b32 exec_lo, exec_lo, s17
	v_dual_mov_b32 v1, v8 :: v_dual_and_b32 v54, 0xff, v8
	v_dual_mov_b32 v52, 0 :: v_dual_mov_b32 v53, 0
	s_mov_b32 s17, exec_lo
	s_delay_alu instid0(VALU_DEP_2)
	v_cmpx_ne_u16_e32 0, v54
	s_cbranch_execz .LBB251_1057
; %bb.1050:                             ;   in Loop: Header=BB251_554 Depth=1
	v_mov_b32_e32 v53, 0x8000
	s_mov_b32 s18, exec_lo
	v_cmpx_ne_u16_e32 0x80, v54
	s_cbranch_execz .LBB251_1056
; %bb.1051:                             ;   in Loop: Header=BB251_554 Depth=1
	v_and_b32_e32 v55, 0x7f, v8
	v_mov_b32_e32 v53, 0x7c01
	s_mov_b32 s19, exec_lo
	s_delay_alu instid0(VALU_DEP_2)
	v_cmpx_ne_u32_e32 0x7f, v55
	s_cbranch_execz .LBB251_1055
; %bb.1052:                             ;   in Loop: Header=BB251_554 Depth=1
	v_and_b32_e32 v53, 7, v8
	v_lshrrev_b32_e32 v54, 3, v55
	s_mov_b32 s26, exec_lo
	v_cmpx_gt_u32_e32 8, v55
; %bb.1053:                             ;   in Loop: Header=BB251_554 Depth=1
	s_delay_alu instid0(VALU_DEP_3) | instskip(NEXT) | instid1(VALU_DEP_1)
	v_clz_i32_u32_e32 v53, v53
	v_min_u32_e32 v55, 32, v53
	s_delay_alu instid0(VALU_DEP_1) | instskip(NEXT) | instid1(VALU_DEP_1)
	v_subrev_nc_u32_e32 v53, 28, v55
	v_lshlrev_b64_e32 v[53:54], v53, v[1:2]
	v_sub_nc_u32_e32 v54, 29, v55
	s_delay_alu instid0(VALU_DEP_2)
	v_and_b32_e32 v53, 7, v53
; %bb.1054:                             ;   in Loop: Header=BB251_554 Depth=1
	s_wait_alu 0xfffe
	s_or_b32 exec_lo, exec_lo, s26
	v_lshlrev_b32_e32 v55, 8, v8
	v_lshl_add_u32 v54, v54, 10, 0x2000
	v_lshlrev_b32_e32 v53, 7, v53
	s_delay_alu instid0(VALU_DEP_3) | instskip(NEXT) | instid1(VALU_DEP_3)
	v_and_b32_e32 v55, 0x8000, v55
	v_and_b32_e32 v54, 0xfc00, v54
	s_delay_alu instid0(VALU_DEP_1)
	v_or3_b32 v53, v55, v54, v53
.LBB251_1055:                           ;   in Loop: Header=BB251_554 Depth=1
	s_wait_alu 0xfffe
	s_or_b32 exec_lo, exec_lo, s19
.LBB251_1056:                           ;   in Loop: Header=BB251_554 Depth=1
	s_wait_alu 0xfffe
	s_or_b32 exec_lo, exec_lo, s18
.LBB251_1057:                           ;   in Loop: Header=BB251_554 Depth=1
	s_wait_alu 0xfffe
	s_or_b32 exec_lo, exec_lo, s17
	v_lshrrev_b16 v1, 8, v1
	v_mov_b32_e32 v54, 0
	s_mov_b32 s17, exec_lo
	s_delay_alu instid0(VALU_DEP_2)
	v_cmpx_ne_u16_e32 0, v1
	s_cbranch_execz .LBB251_1065
; %bb.1058:                             ;   in Loop: Header=BB251_554 Depth=1
	v_bfrev_b32_e32 v54, 1
	s_mov_b32 s18, exec_lo
	v_cmpx_ne_u16_e32 0x80, v1
	s_cbranch_execz .LBB251_1064
; %bb.1059:                             ;   in Loop: Header=BB251_554 Depth=1
	v_and_b32_e32 v55, 0xffff, v1
	v_mov_b32_e32 v54, 0x7c010000
	s_mov_b32 s19, exec_lo
	s_delay_alu instid0(VALU_DEP_2) | instskip(NEXT) | instid1(VALU_DEP_1)
	v_and_b32_e32 v57, 0x7f, v55
	v_cmpx_ne_u32_e32 0x7f, v57
	s_cbranch_execz .LBB251_1063
; %bb.1060:                             ;   in Loop: Header=BB251_554 Depth=1
	v_and_b32_e32 v54, 7, v55
	v_lshrrev_b32_e32 v56, 3, v57
	s_mov_b32 s26, exec_lo
	v_cmpx_gt_u32_e32 8, v57
; %bb.1061:                             ;   in Loop: Header=BB251_554 Depth=1
	s_delay_alu instid0(VALU_DEP_3) | instskip(NEXT) | instid1(VALU_DEP_1)
	v_clz_i32_u32_e32 v54, v54
	v_min_u32_e32 v54, 32, v54
	s_delay_alu instid0(VALU_DEP_1) | instskip(NEXT) | instid1(VALU_DEP_1)
	v_subrev_nc_u32_e32 v56, 28, v54
	v_lshlrev_b64_e32 v[57:58], v56, v[1:2]
	v_sub_nc_u32_e32 v56, 29, v54
	s_delay_alu instid0(VALU_DEP_2)
	v_and_b32_e32 v54, 7, v57
; %bb.1062:                             ;   in Loop: Header=BB251_554 Depth=1
	s_wait_alu 0xfffe
	s_or_b32 exec_lo, exec_lo, s26
	v_lshlrev_b32_e32 v1, 8, v55
	v_lshl_add_u32 v55, v56, 10, 0x2000
	v_lshlrev_b32_e32 v54, 23, v54
	s_delay_alu instid0(VALU_DEP_2) | instskip(NEXT) | instid1(VALU_DEP_1)
	v_and_or_b32 v1, 0x8000, v1, v55
	v_lshl_or_b32 v54, v1, 16, v54
.LBB251_1063:                           ;   in Loop: Header=BB251_554 Depth=1
	s_wait_alu 0xfffe
	s_or_b32 exec_lo, exec_lo, s19
.LBB251_1064:                           ;   in Loop: Header=BB251_554 Depth=1
	s_wait_alu 0xfffe
	s_or_b32 exec_lo, exec_lo, s18
.LBB251_1065:                           ;   in Loop: Header=BB251_554 Depth=1
	s_wait_alu 0xfffe
	s_or_b32 exec_lo, exec_lo, s17
	v_lshrrev_b32_e32 v1, 16, v8
	s_mov_b32 s17, exec_lo
	s_delay_alu instid0(VALU_DEP_1) | instskip(NEXT) | instid1(VALU_DEP_1)
	v_and_b32_e32 v55, 0xff, v1
	v_cmpx_ne_u16_e32 0, v55
	s_cbranch_execz .LBB251_1073
; %bb.1066:                             ;   in Loop: Header=BB251_554 Depth=1
	v_mov_b32_e32 v52, 0x8000
	s_mov_b32 s18, exec_lo
	v_cmpx_ne_u16_e32 0x80, v55
	s_cbranch_execz .LBB251_1072
; %bb.1067:                             ;   in Loop: Header=BB251_554 Depth=1
	v_bfe_u32 v56, v8, 16, 7
	v_mov_b32_e32 v52, 0x7c01
	s_mov_b32 s19, exec_lo
	s_delay_alu instid0(VALU_DEP_2)
	v_cmpx_ne_u32_e32 0x7f, v56
	s_cbranch_execz .LBB251_1071
; %bb.1068:                             ;   in Loop: Header=BB251_554 Depth=1
	v_and_b32_e32 v52, 7, v1
	v_lshrrev_b32_e32 v55, 3, v56
	s_mov_b32 s26, exec_lo
	v_cmpx_gt_u32_e32 8, v56
; %bb.1069:                             ;   in Loop: Header=BB251_554 Depth=1
	s_delay_alu instid0(VALU_DEP_3) | instskip(NEXT) | instid1(VALU_DEP_1)
	v_clz_i32_u32_e32 v52, v52
	v_min_u32_e32 v52, 32, v52
	s_delay_alu instid0(VALU_DEP_1) | instskip(NEXT) | instid1(VALU_DEP_1)
	v_subrev_nc_u32_e32 v55, 28, v52
	v_lshlrev_b64_e32 v[56:57], v55, v[1:2]
	v_sub_nc_u32_e32 v55, 29, v52
	s_delay_alu instid0(VALU_DEP_2)
	v_and_b32_e32 v52, 7, v56
; %bb.1070:                             ;   in Loop: Header=BB251_554 Depth=1
	s_wait_alu 0xfffe
	s_or_b32 exec_lo, exec_lo, s26
	v_lshlrev_b32_e32 v1, 8, v1
	v_lshl_add_u32 v55, v55, 10, 0x2000
	v_lshlrev_b32_e32 v52, 7, v52
	s_delay_alu instid0(VALU_DEP_3) | instskip(NEXT) | instid1(VALU_DEP_3)
	v_and_b32_e32 v1, 0x8000, v1
	v_and_b32_e32 v55, 0xfc00, v55
	s_delay_alu instid0(VALU_DEP_1)
	v_or3_b32 v52, v1, v55, v52
.LBB251_1071:                           ;   in Loop: Header=BB251_554 Depth=1
	s_wait_alu 0xfffe
	s_or_b32 exec_lo, exec_lo, s19
.LBB251_1072:                           ;   in Loop: Header=BB251_554 Depth=1
	s_wait_alu 0xfffe
	s_or_b32 exec_lo, exec_lo, s18
.LBB251_1073:                           ;   in Loop: Header=BB251_554 Depth=1
	s_wait_alu 0xfffe
	s_or_b32 exec_lo, exec_lo, s17
	v_cmp_lt_u64_e64 s0, s[2:3], v[7:8]
	v_mov_b32_e32 v7, 0
	s_and_saveexec_b32 s17, s0
	s_cbranch_execz .LBB251_1081
; %bb.1074:                             ;   in Loop: Header=BB251_554 Depth=1
	v_lshrrev_b32_e32 v1, 24, v8
	v_bfrev_b32_e32 v7, 1
	s_mov_b32 s18, exec_lo
	s_delay_alu instid0(VALU_DEP_2)
	v_cmpx_ne_u32_e32 0x80, v1
	s_cbranch_execz .LBB251_1080
; %bb.1075:                             ;   in Loop: Header=BB251_554 Depth=1
	v_and_b32_e32 v55, 0x7f, v1
	v_mov_b32_e32 v7, 0x7c010000
	s_mov_b32 s19, exec_lo
	s_delay_alu instid0(VALU_DEP_2)
	v_cmpx_ne_u32_e32 0x7f, v55
	s_cbranch_execz .LBB251_1079
; %bb.1076:                             ;   in Loop: Header=BB251_554 Depth=1
	v_and_b32_e32 v7, 7, v1
	v_lshrrev_b32_e32 v8, 3, v55
	s_mov_b32 s26, exec_lo
	v_cmpx_gt_u32_e32 8, v55
; %bb.1077:                             ;   in Loop: Header=BB251_554 Depth=1
	s_delay_alu instid0(VALU_DEP_3) | instskip(NEXT) | instid1(VALU_DEP_1)
	v_clz_i32_u32_e32 v7, v7
	v_min_u32_e32 v55, 32, v7
	s_delay_alu instid0(VALU_DEP_1) | instskip(NEXT) | instid1(VALU_DEP_1)
	v_subrev_nc_u32_e32 v7, 28, v55
	v_lshlrev_b64_e32 v[7:8], v7, v[1:2]
	v_sub_nc_u32_e32 v8, 29, v55
	s_delay_alu instid0(VALU_DEP_2)
	v_and_b32_e32 v7, 7, v7
; %bb.1078:                             ;   in Loop: Header=BB251_554 Depth=1
	s_wait_alu 0xfffe
	s_or_b32 exec_lo, exec_lo, s26
	v_lshlrev_b32_e32 v1, 8, v1
	v_lshl_add_u32 v8, v8, 10, 0x2000
	v_lshlrev_b32_e32 v7, 23, v7
	s_delay_alu instid0(VALU_DEP_2) | instskip(NEXT) | instid1(VALU_DEP_1)
	v_and_or_b32 v1, 0x8000, v1, v8
	v_lshl_or_b32 v7, v1, 16, v7
.LBB251_1079:                           ;   in Loop: Header=BB251_554 Depth=1
	s_wait_alu 0xfffe
	s_or_b32 exec_lo, exec_lo, s19
.LBB251_1080:                           ;   in Loop: Header=BB251_554 Depth=1
	s_wait_alu 0xfffe
	s_or_b32 exec_lo, exec_lo, s18
.LBB251_1081:                           ;   in Loop: Header=BB251_554 Depth=1
	s_wait_alu 0xfffe
	s_or_b32 exec_lo, exec_lo, s17
	v_or_b32_e32 v1, v50, v51
	s_wait_loadcnt 0x0
	v_fma_mixlo_f16 v8, v47, v50, 0 op_sel:[0,1,0] op_sel_hi:[0,1,0]
	v_or_b32_e32 v49, v48, v49
	v_fma_mixlo_f16 v50, v47, v48, 0 op_sel:[0,1,0] op_sel_hi:[0,1,0]
	v_or_b32_e32 v51, v54, v53
	v_fma_mixlo_f16 v1, v47, v1, 0 op_sel_hi:[0,1,0]
	v_or_b32_e32 v52, v7, v52
	v_lshlrev_b32_e32 v48, 16, v8
	v_lshlrev_b32_e32 v53, 16, v50
	v_fma_mixlo_f16 v8, v47, v49, 0 op_sel_hi:[0,1,0]
	v_and_b32_e32 v50, 0xffff, v1
	v_fma_mixlo_f16 v1, v47, v54, 0 op_sel:[0,1,0] op_sel_hi:[0,1,0]
	v_fma_mixlo_f16 v49, v47, v51, 0 op_sel_hi:[0,1,0]
	v_fma_mixlo_f16 v7, v47, v7, 0 op_sel:[0,1,0] op_sel_hi:[0,1,0]
	v_fma_mixlo_f16 v47, v47, v52, 0 op_sel_hi:[0,1,0]
	v_and_b32_e32 v55, 0xffff, v8
	v_lshlrev_b32_e32 v51, 16, v1
	v_and_b32_e32 v54, 0xffff, v49
	v_lshlrev_b32_e32 v49, 16, v7
	v_and_b32_e32 v52, 0xffff, v47
	v_or_b32_e32 v8, v48, v50
	v_or_b32_e32 v47, v53, v55
	;; [unrolled: 1-line block ×3, first 2 shown]
	s_delay_alu instid0(VALU_DEP_4)
	v_or_b32_e32 v1, v49, v52
	s_and_saveexec_b32 s0, vcc_lo
	s_cbranch_execz .LBB251_552
; %bb.1082:                             ;   in Loop: Header=BB251_554 Depth=1
	v_cmp_gt_i32_e32 vcc_lo, s21, v12
	s_wait_alu 0xfffd
	v_cndmask_b32_e32 v1, 0, v55, vcc_lo
	v_cmp_gt_i32_e32 vcc_lo, s21, v31
	s_wait_alu 0xfffd
	v_cndmask_b32_e32 v7, 0, v53, vcc_lo
	v_cmp_gt_i32_e32 vcc_lo, s21, v29
	s_wait_alu 0xfffd
	v_cndmask_b32_e32 v8, 0, v50, vcc_lo
	v_cmp_gt_i32_e32 vcc_lo, s21, v28
	s_wait_alu 0xfffd
	v_cndmask_b32_e32 v28, 0, v48, vcc_lo
	v_cmp_gt_i32_e32 vcc_lo, s21, v27
	v_or_b32_e32 v47, v7, v1
	s_delay_alu instid0(VALU_DEP_3)
	v_or_b32_e32 v8, v28, v8
	s_wait_alu 0xfffd
	v_cndmask_b32_e32 v27, 0, v54, vcc_lo
	v_cmp_gt_i32_e32 vcc_lo, s21, v26
	s_wait_alu 0xfffd
	v_cndmask_b32_e32 v26, 0, v51, vcc_lo
	v_cmp_gt_i32_e32 vcc_lo, s21, v25
	s_delay_alu instid0(VALU_DEP_2)
	v_or_b32_e32 v7, v26, v27
	s_wait_alu 0xfffd
	v_cndmask_b32_e32 v25, 0, v52, vcc_lo
	v_cmp_gt_i32_e32 vcc_lo, s21, v24
	s_wait_alu 0xfffd
	v_cndmask_b32_e32 v24, 0, v49, vcc_lo
	s_delay_alu instid0(VALU_DEP_1)
	v_or_b32_e32 v1, v24, v25
	s_branch .LBB251_552
.LBB251_1083:
	s_or_b32 exec_lo, exec_lo, s7
.LBB251_1084:
	s_wait_alu 0xfffe
	s_or_b32 exec_lo, exec_lo, s1
	v_lshl_add_u32 v2, v14, 2, 0x220
	v_and_b32_e32 v3, 0x3c0, v0
	s_mov_b32 s0, exec_lo
	s_wait_loadcnt 0x0
	s_wait_storecnt 0x0
	s_barrier_signal -1
	v_lshl_add_u32 v1, v11, 10, v2
	s_barrier_wait -1
	global_inv scope:SCOPE_SE
	v_cmpx_eq_u32_e32 64, v3
	s_cbranch_execz .LBB251_1086
; %bb.1085:
	v_add_nc_u32_e32 v3, 0xfffff800, v1
	v_add_nc_u32_e32 v4, 0xfffff880, v1
	;; [unrolled: 1-line block ×8, first 2 shown]
	ds_store_b32 v3, v22
	ds_store_b32 v4, v21
	;; [unrolled: 1-line block ×8, first 2 shown]
.LBB251_1086:
	s_wait_alu 0xfffe
	s_or_b32 exec_lo, exec_lo, s0
	s_delay_alu instid0(SALU_CYCLE_1)
	s_mov_b32 s0, exec_lo
	s_wait_loadcnt_dscnt 0x0
	s_barrier_signal -1
	s_barrier_wait -1
	global_inv scope:SCOPE_SE
	v_cmpx_gt_u32_e32 64, v0
	s_cbranch_execz .LBB251_1088
; %bb.1087:
	ds_load_2addr_b32 v[3:4], v1 offset1:32
	ds_load_2addr_b32 v[5:6], v1 offset0:64 offset1:96
	ds_load_2addr_b32 v[7:8], v1 offset0:128 offset1:160
	;; [unrolled: 1-line block ×3, first 2 shown]
	s_wait_dscnt 0x3
	v_dual_add_f32 v22, v22, v3 :: v_dual_add_f32 v21, v21, v4
	s_wait_dscnt 0x2
	v_dual_add_f32 v20, v20, v5 :: v_dual_add_f32 v19, v19, v6
	;; [unrolled: 2-line block ×4, first 2 shown]
.LBB251_1088:
	s_wait_alu 0xfffe
	s_or_b32 exec_lo, exec_lo, s0
	v_and_b32_e32 v3, 0x3e0, v0
	s_mov_b32 s0, exec_lo
	s_wait_loadcnt 0x0
	s_barrier_signal -1
	s_barrier_wait -1
	global_inv scope:SCOPE_SE
	v_cmpx_eq_u32_e32 32, v3
	s_cbranch_execz .LBB251_1090
; %bb.1089:
	ds_store_2addr_b32 v2, v22, v21 offset1:32
	ds_store_2addr_b32 v2, v20, v19 offset0:64 offset1:96
	ds_store_2addr_b32 v2, v18, v17 offset0:128 offset1:160
	;; [unrolled: 1-line block ×3, first 2 shown]
.LBB251_1090:
	s_wait_alu 0xfffe
	s_or_b32 exec_lo, exec_lo, s0
	v_cmp_gt_u32_e32 vcc_lo, 32, v0
	s_wait_loadcnt_dscnt 0x0
	s_barrier_signal -1
	s_barrier_wait -1
	global_inv scope:SCOPE_SE
	s_and_saveexec_b32 s0, vcc_lo
	s_cbranch_execz .LBB251_1092
; %bb.1091:
	ds_load_2addr_b32 v[2:3], v1 offset1:32
	ds_load_2addr_b32 v[4:5], v1 offset0:64 offset1:96
	ds_load_2addr_b32 v[6:7], v1 offset0:128 offset1:160
	;; [unrolled: 1-line block ×3, first 2 shown]
	s_wait_dscnt 0x3
	v_dual_add_f32 v22, v22, v2 :: v_dual_add_f32 v21, v21, v3
	s_wait_dscnt 0x2
	v_dual_add_f32 v20, v20, v4 :: v_dual_add_f32 v19, v19, v5
	;; [unrolled: 2-line block ×4, first 2 shown]
.LBB251_1092:
	s_wait_alu 0xfffe
	s_or_b32 exec_lo, exec_lo, s0
	s_wait_loadcnt 0x0
	s_barrier_signal -1
	s_barrier_wait -1
	global_inv scope:SCOPE_SE
	s_and_saveexec_b32 s0, vcc_lo
	s_cbranch_execz .LBB251_1094
; %bb.1093:
	s_lshl_b32 s0, s30, 8
	s_mul_i32 s2, s12, s22
	s_wait_alu 0xfffe
	s_ashr_i32 s1, s0, 31
	s_ashr_i32 s3, s2, 31
	s_wait_alu 0xfffe
	s_lshl_b64 s[0:1], s[0:1], 1
	s_lshl_b64 s[2:3], s[2:3], 1
	s_wait_kmcnt 0x0
	s_wait_alu 0xfffe
	s_add_nc_u64 s[0:1], s[8:9], s[0:1]
	v_lshlrev_b32_e32 v0, 1, v0
	s_mov_b32 s21, 0
	s_wait_alu 0xfffe
	s_add_nc_u64 s[0:1], s[0:1], s[2:3]
	;;#ASMSTART
	v_cvt_f16_f32 v1, v22;

	;;#ASMEND
	s_wait_alu 0xfffe
	s_add_nc_u64 s[0:1], s[0:1], s[20:21]
	global_store_b16 v0, v1, s[0:1]
	;;#ASMSTART
	v_cvt_f16_f32 v1, v21;

	;;#ASMEND
	global_store_b16 v0, v1, s[0:1] offset:64
	;;#ASMSTART
	v_cvt_f16_f32 v1, v20;

	;;#ASMEND
	global_store_b16 v0, v1, s[0:1] offset:128
	;; [unrolled: 5-line block ×7, first 2 shown]
.LBB251_1094:
	s_nop 0
	s_sendmsg sendmsg(MSG_DEALLOC_VGPRS)
	s_endpgm
	.section	.rodata,"a",@progbits
	.p2align	6, 0x0
	.amdhsa_kernel _ZN4vllm25paged_attention_v2_kernelIthLi256ELi8ELi128ELNS_18Fp8KVCacheDataTypeE1ELb1ELi512EEEvPfS2_PT_PKS3_PKT0_S9_ifPKiSB_iPKfiiiSD_SD_iiiii
		.amdhsa_group_segment_fixed_size 544
		.amdhsa_private_segment_fixed_size 0
		.amdhsa_kernarg_size 400
		.amdhsa_user_sgpr_count 2
		.amdhsa_user_sgpr_dispatch_ptr 0
		.amdhsa_user_sgpr_queue_ptr 0
		.amdhsa_user_sgpr_kernarg_segment_ptr 1
		.amdhsa_user_sgpr_dispatch_id 0
		.amdhsa_user_sgpr_private_segment_size 0
		.amdhsa_wavefront_size32 1
		.amdhsa_uses_dynamic_stack 0
		.amdhsa_enable_private_segment 0
		.amdhsa_system_sgpr_workgroup_id_x 1
		.amdhsa_system_sgpr_workgroup_id_y 1
		.amdhsa_system_sgpr_workgroup_id_z 1
		.amdhsa_system_sgpr_workgroup_info 0
		.amdhsa_system_vgpr_workitem_id 0
		.amdhsa_next_free_vgpr 134
		.amdhsa_next_free_sgpr 46
		.amdhsa_reserve_vcc 1
		.amdhsa_float_round_mode_32 0
		.amdhsa_float_round_mode_16_64 0
		.amdhsa_float_denorm_mode_32 3
		.amdhsa_float_denorm_mode_16_64 3
		.amdhsa_fp16_overflow 0
		.amdhsa_workgroup_processor_mode 1
		.amdhsa_memory_ordered 1
		.amdhsa_forward_progress 1
		.amdhsa_inst_pref_size 255
		.amdhsa_round_robin_scheduling 0
		.amdhsa_exception_fp_ieee_invalid_op 0
		.amdhsa_exception_fp_denorm_src 0
		.amdhsa_exception_fp_ieee_div_zero 0
		.amdhsa_exception_fp_ieee_overflow 0
		.amdhsa_exception_fp_ieee_underflow 0
		.amdhsa_exception_fp_ieee_inexact 0
		.amdhsa_exception_int_div_zero 0
	.end_amdhsa_kernel
	.section	.text._ZN4vllm25paged_attention_v2_kernelIthLi256ELi8ELi128ELNS_18Fp8KVCacheDataTypeE1ELb1ELi512EEEvPfS2_PT_PKS3_PKT0_S9_ifPKiSB_iPKfiiiSD_SD_iiiii,"axG",@progbits,_ZN4vllm25paged_attention_v2_kernelIthLi256ELi8ELi128ELNS_18Fp8KVCacheDataTypeE1ELb1ELi512EEEvPfS2_PT_PKS3_PKT0_S9_ifPKiSB_iPKfiiiSD_SD_iiiii,comdat
.Lfunc_end251:
	.size	_ZN4vllm25paged_attention_v2_kernelIthLi256ELi8ELi128ELNS_18Fp8KVCacheDataTypeE1ELb1ELi512EEEvPfS2_PT_PKS3_PKT0_S9_ifPKiSB_iPKfiiiSD_SD_iiiii, .Lfunc_end251-_ZN4vllm25paged_attention_v2_kernelIthLi256ELi8ELi128ELNS_18Fp8KVCacheDataTypeE1ELb1ELi512EEEvPfS2_PT_PKS3_PKT0_S9_ifPKiSB_iPKfiiiSD_SD_iiiii
                                        ; -- End function
	.set _ZN4vllm25paged_attention_v2_kernelIthLi256ELi8ELi128ELNS_18Fp8KVCacheDataTypeE1ELb1ELi512EEEvPfS2_PT_PKS3_PKT0_S9_ifPKiSB_iPKfiiiSD_SD_iiiii.num_vgpr, 134
	.set _ZN4vllm25paged_attention_v2_kernelIthLi256ELi8ELi128ELNS_18Fp8KVCacheDataTypeE1ELb1ELi512EEEvPfS2_PT_PKS3_PKT0_S9_ifPKiSB_iPKfiiiSD_SD_iiiii.num_agpr, 0
	.set _ZN4vllm25paged_attention_v2_kernelIthLi256ELi8ELi128ELNS_18Fp8KVCacheDataTypeE1ELb1ELi512EEEvPfS2_PT_PKS3_PKT0_S9_ifPKiSB_iPKfiiiSD_SD_iiiii.numbered_sgpr, 46
	.set _ZN4vllm25paged_attention_v2_kernelIthLi256ELi8ELi128ELNS_18Fp8KVCacheDataTypeE1ELb1ELi512EEEvPfS2_PT_PKS3_PKT0_S9_ifPKiSB_iPKfiiiSD_SD_iiiii.num_named_barrier, 0
	.set _ZN4vllm25paged_attention_v2_kernelIthLi256ELi8ELi128ELNS_18Fp8KVCacheDataTypeE1ELb1ELi512EEEvPfS2_PT_PKS3_PKT0_S9_ifPKiSB_iPKfiiiSD_SD_iiiii.private_seg_size, 0
	.set _ZN4vllm25paged_attention_v2_kernelIthLi256ELi8ELi128ELNS_18Fp8KVCacheDataTypeE1ELb1ELi512EEEvPfS2_PT_PKS3_PKT0_S9_ifPKiSB_iPKfiiiSD_SD_iiiii.uses_vcc, 1
	.set _ZN4vllm25paged_attention_v2_kernelIthLi256ELi8ELi128ELNS_18Fp8KVCacheDataTypeE1ELb1ELi512EEEvPfS2_PT_PKS3_PKT0_S9_ifPKiSB_iPKfiiiSD_SD_iiiii.uses_flat_scratch, 0
	.set _ZN4vllm25paged_attention_v2_kernelIthLi256ELi8ELi128ELNS_18Fp8KVCacheDataTypeE1ELb1ELi512EEEvPfS2_PT_PKS3_PKT0_S9_ifPKiSB_iPKfiiiSD_SD_iiiii.has_dyn_sized_stack, 0
	.set _ZN4vllm25paged_attention_v2_kernelIthLi256ELi8ELi128ELNS_18Fp8KVCacheDataTypeE1ELb1ELi512EEEvPfS2_PT_PKS3_PKT0_S9_ifPKiSB_iPKfiiiSD_SD_iiiii.has_recursion, 0
	.set _ZN4vllm25paged_attention_v2_kernelIthLi256ELi8ELi128ELNS_18Fp8KVCacheDataTypeE1ELb1ELi512EEEvPfS2_PT_PKS3_PKT0_S9_ifPKiSB_iPKfiiiSD_SD_iiiii.has_indirect_call, 0
	.section	.AMDGPU.csdata,"",@progbits
; Kernel info:
; codeLenInByte = 39568
; TotalNumSgprs: 48
; NumVgprs: 134
; ScratchSize: 0
; MemoryBound: 0
; FloatMode: 240
; IeeeMode: 1
; LDSByteSize: 544 bytes/workgroup (compile time only)
; SGPRBlocks: 0
; VGPRBlocks: 16
; NumSGPRsForWavesPerEU: 48
; NumVGPRsForWavesPerEU: 134
; Occupancy: 10
; WaveLimiterHint : 1
; COMPUTE_PGM_RSRC2:SCRATCH_EN: 0
; COMPUTE_PGM_RSRC2:USER_SGPR: 2
; COMPUTE_PGM_RSRC2:TRAP_HANDLER: 0
; COMPUTE_PGM_RSRC2:TGID_X_EN: 1
; COMPUTE_PGM_RSRC2:TGID_Y_EN: 1
; COMPUTE_PGM_RSRC2:TGID_Z_EN: 1
; COMPUTE_PGM_RSRC2:TIDIG_COMP_CNT: 0
	.section	.text._ZN4vllm25paged_attention_v2_kernelIthLi32ELi8ELi128ELNS_18Fp8KVCacheDataTypeE1ELb0ELi512EEEvPfS2_PT_PKS3_PKT0_S9_ifPKiSB_iPKfiiiSD_SD_iiiii,"axG",@progbits,_ZN4vllm25paged_attention_v2_kernelIthLi32ELi8ELi128ELNS_18Fp8KVCacheDataTypeE1ELb0ELi512EEEvPfS2_PT_PKS3_PKT0_S9_ifPKiSB_iPKfiiiSD_SD_iiiii,comdat
	.protected	_ZN4vllm25paged_attention_v2_kernelIthLi32ELi8ELi128ELNS_18Fp8KVCacheDataTypeE1ELb0ELi512EEEvPfS2_PT_PKS3_PKT0_S9_ifPKiSB_iPKfiiiSD_SD_iiiii ; -- Begin function _ZN4vllm25paged_attention_v2_kernelIthLi32ELi8ELi128ELNS_18Fp8KVCacheDataTypeE1ELb0ELi512EEEvPfS2_PT_PKS3_PKT0_S9_ifPKiSB_iPKfiiiSD_SD_iiiii
	.globl	_ZN4vllm25paged_attention_v2_kernelIthLi32ELi8ELi128ELNS_18Fp8KVCacheDataTypeE1ELb0ELi512EEEvPfS2_PT_PKS3_PKT0_S9_ifPKiSB_iPKfiiiSD_SD_iiiii
	.p2align	8
	.type	_ZN4vllm25paged_attention_v2_kernelIthLi32ELi8ELi128ELNS_18Fp8KVCacheDataTypeE1ELb0ELi512EEEvPfS2_PT_PKS3_PKT0_S9_ifPKiSB_iPKfiiiSD_SD_iiiii,@function
_ZN4vllm25paged_attention_v2_kernelIthLi32ELi8ELi128ELNS_18Fp8KVCacheDataTypeE1ELb0ELi512EEEvPfS2_PT_PKS3_PKT0_S9_ifPKiSB_iPKfiiiSD_SD_iiiii: ; @_ZN4vllm25paged_attention_v2_kernelIthLi32ELi8ELi128ELNS_18Fp8KVCacheDataTypeE1ELb0ELi512EEEvPfS2_PT_PKS3_PKT0_S9_ifPKiSB_iPKfiiiSD_SD_iiiii
; %bb.0:
	s_load_b64 s[2:3], s[0:1], 0x40
	s_and_b32 s22, ttmp7, 0xffff
	s_lshr_b32 s29, ttmp7, 16
	s_lshl_b32 s4, s22, 2
	s_lshl_b32 s28, s29, 9
	s_wait_kmcnt 0x0
	s_load_b32 s26, s[2:3], s4 offset:0x0
	s_wait_kmcnt 0x0
	s_cmp_ge_i32 s28, s26
	s_cbranch_scc1 .LBB252_174
; %bb.1:
	s_clause 0x1
	s_load_b32 s23, s[0:1], 0x90
	s_load_b64 s[6:7], s[0:1], 0x30
	s_wait_kmcnt 0x0
	s_abs_i32 s5, s23
	s_abs_i32 s2, s6
	s_delay_alu instid0(SALU_CYCLE_1) | instskip(SKIP_1) | instid1(SALU_CYCLE_2)
	s_cvt_f32_u32 s3, s2
	s_sub_co_i32 s4, 0, s2
	v_rcp_iflag_f32_e32 v1, s3
	s_delay_alu instid0(TRANS32_DEP_1) | instskip(SKIP_2) | instid1(SALU_CYCLE_2)
	v_readfirstlane_b32 s3, v1
	s_mul_f32 s3, s3, 0x4f7ffffe
	s_wait_alu 0xfffe
	s_cvt_u32_f32 s3, s3
	s_wait_alu 0xfffe
	s_delay_alu instid0(SALU_CYCLE_2) | instskip(NEXT) | instid1(SALU_CYCLE_1)
	s_mul_i32 s4, s4, s3
	s_mul_hi_u32 s4, s3, s4
	s_delay_alu instid0(SALU_CYCLE_1)
	s_add_co_i32 s3, s3, s4
	s_xor_b32 s4, s23, s6
	s_wait_alu 0xfffe
	s_mul_hi_u32 s3, s5, s3
	s_ashr_i32 s4, s4, 31
	s_wait_alu 0xfffe
	s_mul_i32 s6, s3, s2
	s_delay_alu instid0(SALU_CYCLE_1)
	s_sub_co_i32 s5, s5, s6
	s_add_co_i32 s6, s3, 1
	s_sub_co_i32 s8, s5, s2
	s_cmp_ge_u32 s5, s2
	s_cselect_b32 s3, s6, s3
	s_cselect_b32 s5, s8, s5
	s_wait_alu 0xfffe
	s_add_co_i32 s6, s3, 1
	s_cmp_ge_u32 s5, s2
	s_load_b64 s[8:9], s[0:1], 0x50
	s_cselect_b32 s2, s6, s3
	s_mov_b32 s3, 0
	s_wait_alu 0xfffe
	s_xor_b32 s2, s2, s4
	s_mov_b32 s6, s3
	s_wait_alu 0xfffe
	s_sub_co_i32 s11, s2, s4
	s_delay_alu instid0(SALU_CYCLE_1) | instskip(NEXT) | instid1(SALU_CYCLE_1)
	s_abs_i32 s10, s11
	s_cvt_f32_u32 s2, s10
	s_wait_alu 0xfffe
	s_delay_alu instid0(SALU_CYCLE_2) | instskip(NEXT) | instid1(TRANS32_DEP_1)
	v_rcp_iflag_f32_e32 v1, s2
	v_readfirstlane_b32 s2, v1
	s_mul_f32 s2, s2, 0x4f7ffffe
	s_wait_alu 0xfffe
	s_delay_alu instid0(SALU_CYCLE_2) | instskip(SKIP_2) | instid1(SALU_CYCLE_1)
	s_cvt_u32_f32 s4, s2
	s_sub_co_i32 s2, 0, s10
	s_wait_alu 0xfffe
	s_mul_i32 s2, s2, s4
	s_wait_alu 0xfffe
	s_mul_hi_u32 s5, s4, s2
	s_abs_i32 s2, ttmp9
	s_add_co_i32 s4, s4, s5
	s_mov_b32 s5, s3
	s_wait_kmcnt 0x0
	s_cmp_eq_u64 s[8:9], 0
	s_cbranch_scc1 .LBB252_3
; %bb.2:
	s_mov_b32 s12, ttmp9
	s_ashr_i32 s13, ttmp9, 31
	s_delay_alu instid0(SALU_CYCLE_1) | instskip(NEXT) | instid1(SALU_CYCLE_1)
	s_lshl_b64 s[12:13], s[12:13], 2
	s_add_nc_u64 s[8:9], s[8:9], s[12:13]
	s_load_b32 s6, s[8:9], 0x0
.LBB252_3:
	s_load_b96 s[12:14], s[0:1], 0x58
	v_and_b32_e32 v1, 3, v0
	s_mul_u64 s[4:5], s[2:3], s[4:5]
	s_ashr_i32 s3, ttmp9, 31
	s_ashr_i32 s4, s11, 31
	s_lshl_b32 s16, ttmp9, 5
	s_mov_b32 s8, exec_lo
	v_cmpx_gt_u32_e32 16, v0
	s_cbranch_execz .LBB252_5
; %bb.4:
	s_load_b64 s[18:19], s[0:1], 0x18
	s_wait_kmcnt 0x0
	s_mul_i32 s20, s12, s22
	s_ashr_i32 s17, s16, 31
	s_ashr_i32 s21, s20, 31
	v_lshlrev_b32_e32 v2, 2, v0
	s_lshl_b64 s[20:21], s[20:21], 1
	v_and_b32_e32 v3, 0x3fc, v0
	s_delay_alu instid0(VALU_DEP_1) | instskip(SKIP_2) | instid1(SALU_CYCLE_1)
	v_lshl_add_u32 v3, v1, 4, v3
	s_add_nc_u64 s[18:19], s[18:19], s[20:21]
	s_lshl_b64 s[20:21], s[16:17], 1
	s_add_nc_u64 s[18:19], s[18:19], s[20:21]
	global_load_b32 v2, v2, s[18:19]
	s_wait_loadcnt 0x0
	ds_store_b32 v3, v2
.LBB252_5:
	s_or_b32 exec_lo, exec_lo, s8
	s_add_co_i32 s8, s26, 7
	s_wait_alu 0xfffe
	s_xor_b32 s3, s3, s4
	s_ashr_i32 s9, s8, 31
	s_wait_kmcnt 0x0
	s_lshl_b32 s12, s29, 6
	s_lshr_b32 s4, s9, 29
	s_mul_i32 s9, s5, s10
	s_add_co_i32 s8, s8, s4
	s_add_co_i32 s4, s12, 64
	s_ashr_i32 s30, s8, 3
	s_load_b32 s8, s[0:1], 0x48
	s_sub_co_i32 s2, s2, s9
	s_min_i32 s27, s4, s30
	s_add_co_i32 s4, s5, 1
	s_wait_alu 0xfffe
	s_sub_co_i32 s9, s2, s10
	s_cmp_ge_u32 s2, s10
	v_lshrrev_b32_e32 v9, 5, v0
	s_cselect_b32 s4, s4, s5
	s_cselect_b32 s2, s9, s2
	s_add_co_i32 s5, s4, 1
	s_wait_alu 0xfffe
	s_cmp_ge_u32 s2, s10
	v_or_b32_e32 v10, s12, v9
	s_cselect_b32 s2, s5, s4
	v_mbcnt_lo_u32_b32 v14, -1, 0
	s_wait_alu 0xfffe
	s_xor_b32 s2, s2, s3
	s_mov_b32 s4, exec_lo
	s_wait_alu 0xfffe
	s_sub_co_i32 s3, s2, s3
	v_cmp_gt_i32_e64 s2, s27, v10
	s_wait_dscnt 0x0
	s_barrier_signal -1
	s_wait_kmcnt 0x0
	s_mul_i32 s18, s8, s22
	s_barrier_wait -1
	s_ashr_i32 s19, s18, 31
	global_inv scope:SCOPE_SE
                                        ; implicit-def: $vgpr2
                                        ; implicit-def: $vgpr15
	v_cmpx_le_i32_e64 s27, v10
	s_xor_b32 s4, exec_lo, s4
; %bb.6:
	v_dual_mov_b32 v2, 0 :: v_dual_mov_b32 v15, 32
	v_mbcnt_lo_u32_b32 v14, -1, 0
                                        ; implicit-def: $vgpr1
; %bb.7:
	s_or_saveexec_b32 s24, s4
	s_clause 0x2
	s_load_b32 s17, s[0:1], 0x98
	s_load_b64 s[20:21], s[0:1], 0x38
	s_load_b128 s[8:11], s[0:1], 0x68
	v_dual_mov_b32 v11, 0xff7fffff :: v_dual_lshlrev_b32 v12, 2, v10
	v_lshlrev_b32_e32 v13, 3, v9
	s_mul_i32 s14, s3, s14
	s_xor_b32 exec_lo, exec_lo, s24
	s_cbranch_execz .LBB252_77
; %bb.8:
	s_load_b64 s[4:5], s[0:1], 0x20
	v_bfe_u32 v3, v0, 2, 3
	v_mov_b32_e32 v2, 0
	v_dual_mov_b32 v11, 0xff7fffff :: v_dual_lshlrev_b32 v4, 1, v1
	v_dual_mov_b32 v15, 32 :: v_dual_lshlrev_b32 v16, 4, v1
	v_cmp_eq_u32_e32 vcc_lo, 0, v1
	v_lshlrev_b32_e32 v1, 4, v3
	v_lshlrev_b32_e32 v5, 2, v3
	s_ashr_i32 s15, s14, 31
	s_cmp_neq_f32 s6, 0
	v_add3_u32 v17, s28, v13, v3
	s_mov_b32 s25, s13
	v_lshl_or_b32 v3, v9, 5, v5
	s_cselect_b32 s3, -1, 0
	s_lshl_b64 s[34:35], s[18:19], 2
	v_mov_b32_e32 v19, v10
	s_wait_kmcnt 0x0
	s_add_nc_u64 s[34:35], s[20:21], s[34:35]
	v_add_nc_u32_e32 v18, 0x60, v3
	s_add_nc_u64 s[4:5], s[4:5], s[14:15]
	s_mov_b32 s15, 0
	v_add_co_u32 v1, s4, s4, v1
	s_wait_alu 0xf1ff
	v_add_co_ci_u32_e64 v5, null, s5, 0, s4
	s_sub_co_i32 s31, 1, s26
	v_add_co_u32 v3, s4, v1, v4
	s_wait_alu 0xf1ff
	v_add_co_ci_u32_e64 v4, null, 0, v5, s4
	v_add_co_u32 v5, s4, s34, v12
	s_wait_alu 0xf1ff
	v_add_co_ci_u32_e64 v6, null, s35, 0, s4
	s_branch .LBB252_10
.LBB252_9:                              ;   in Loop: Header=BB252_10 Depth=1
	s_wait_alu 0xfffe
	s_or_b32 exec_lo, exec_lo, s5
	v_add_nc_u32_e32 v19, 4, v19
	v_add_co_u32 v5, s5, v5, 16
	v_add_nc_u32_e32 v17, 32, v17
	v_add_nc_u32_e32 v18, 0x80, v18
	s_delay_alu instid0(VALU_DEP_4) | instskip(SKIP_3) | instid1(SALU_CYCLE_1)
	v_cmp_le_i32_e64 s4, s27, v19
	s_wait_alu 0xf1ff
	v_add_co_ci_u32_e64 v6, null, 0, v6, s5
	s_or_b32 s15, s4, s15
	s_and_not1_b32 exec_lo, exec_lo, s15
	s_cbranch_execz .LBB252_76
.LBB252_10:                             ; =>This Inner Loop Header: Depth=1
	global_load_b32 v1, v[5:6], off
	s_wait_loadcnt_dscnt 0x0
	v_mad_co_i64_i32 v[7:8], null, v1, s25, v[3:4]
	global_load_u16 v1, v[7:8], off
	s_wait_loadcnt 0x0
	v_dual_mov_b32 v21, 0 :: v_dual_and_b32 v22, 0xff, v1
	global_load_b32 v20, v21, s[8:9]
	v_and_b32_e32 v1, 0xffff, v1
	v_cmp_ne_u16_e64 s4, 0, v22
	v_mov_b32_e32 v22, 0
	s_and_saveexec_b32 s5, s4
	s_cbranch_execz .LBB252_18
; %bb.11:                               ;   in Loop: Header=BB252_10 Depth=1
	v_and_b32_e32 v22, 0xff, v1
	s_delay_alu instid0(VALU_DEP_1)
	v_cmp_ne_u16_e64 s4, 0x80, v22
	v_mov_b32_e32 v22, 0x8000
	s_and_saveexec_b32 s33, s4
	s_cbranch_execz .LBB252_17
; %bb.12:                               ;   in Loop: Header=BB252_10 Depth=1
	v_and_b32_e32 v24, 0x7f, v1
	v_mov_b32_e32 v22, 0x7c01
	s_mov_b32 s34, exec_lo
	s_delay_alu instid0(VALU_DEP_2)
	v_cmpx_ne_u32_e32 0x7f, v24
	s_cbranch_execz .LBB252_16
; %bb.13:                               ;   in Loop: Header=BB252_10 Depth=1
	v_and_b32_e32 v22, 7, v1
	v_lshrrev_b32_e32 v23, 3, v24
	s_mov_b32 s35, exec_lo
	v_cmpx_gt_u32_e32 8, v24
; %bb.14:                               ;   in Loop: Header=BB252_10 Depth=1
	s_delay_alu instid0(VALU_DEP_3) | instskip(NEXT) | instid1(VALU_DEP_1)
	v_clz_i32_u32_e32 v22, v22
	v_min_u32_e32 v24, 32, v22
	s_delay_alu instid0(VALU_DEP_1) | instskip(NEXT) | instid1(VALU_DEP_1)
	v_subrev_nc_u32_e32 v22, 28, v24
	v_lshlrev_b64_e32 v[22:23], v22, v[1:2]
	v_sub_nc_u32_e32 v23, 29, v24
	s_delay_alu instid0(VALU_DEP_2)
	v_and_b32_e32 v22, 7, v22
; %bb.15:                               ;   in Loop: Header=BB252_10 Depth=1
	s_wait_alu 0xfffe
	s_or_b32 exec_lo, exec_lo, s35
	v_lshlrev_b32_e32 v24, 8, v1
	v_lshl_add_u32 v23, v23, 10, 0x2000
	v_lshlrev_b32_e32 v22, 7, v22
	s_delay_alu instid0(VALU_DEP_3) | instskip(NEXT) | instid1(VALU_DEP_3)
	v_and_b32_e32 v24, 0x8000, v24
	v_and_b32_e32 v23, 0xfc00, v23
	s_delay_alu instid0(VALU_DEP_1)
	v_or3_b32 v22, v24, v23, v22
.LBB252_16:                             ;   in Loop: Header=BB252_10 Depth=1
	s_wait_alu 0xfffe
	s_or_b32 exec_lo, exec_lo, s34
.LBB252_17:                             ;   in Loop: Header=BB252_10 Depth=1
	s_delay_alu instid0(SALU_CYCLE_1)
	s_or_b32 exec_lo, exec_lo, s33
.LBB252_18:                             ;   in Loop: Header=BB252_10 Depth=1
	s_wait_alu 0xfffe
	s_or_b32 exec_lo, exec_lo, s5
	v_lshrrev_b16 v1, 8, v1
	s_mov_b32 s5, exec_lo
	s_delay_alu instid0(VALU_DEP_1)
	v_cmpx_ne_u16_e32 0, v1
	s_cbranch_execz .LBB252_26
; %bb.19:                               ;   in Loop: Header=BB252_10 Depth=1
	v_bfrev_b32_e32 v21, 1
	s_mov_b32 s33, exec_lo
	v_cmpx_ne_u16_e32 0x80, v1
	s_cbranch_execz .LBB252_25
; %bb.20:                               ;   in Loop: Header=BB252_10 Depth=1
	v_and_b32_e32 v23, 0xffff, v1
	v_mov_b32_e32 v21, 0x7c010000
	s_mov_b32 s34, exec_lo
	s_delay_alu instid0(VALU_DEP_2) | instskip(NEXT) | instid1(VALU_DEP_1)
	v_and_b32_e32 v25, 0x7f, v23
	v_cmpx_ne_u32_e32 0x7f, v25
	s_cbranch_execz .LBB252_24
; %bb.21:                               ;   in Loop: Header=BB252_10 Depth=1
	v_and_b32_e32 v21, 7, v23
	v_lshrrev_b32_e32 v24, 3, v25
	s_mov_b32 s35, exec_lo
	v_cmpx_gt_u32_e32 8, v25
; %bb.22:                               ;   in Loop: Header=BB252_10 Depth=1
	s_delay_alu instid0(VALU_DEP_3) | instskip(NEXT) | instid1(VALU_DEP_1)
	v_clz_i32_u32_e32 v21, v21
	v_min_u32_e32 v21, 32, v21
	s_delay_alu instid0(VALU_DEP_1) | instskip(NEXT) | instid1(VALU_DEP_1)
	v_subrev_nc_u32_e32 v24, 28, v21
	v_lshlrev_b64_e32 v[25:26], v24, v[1:2]
	v_sub_nc_u32_e32 v24, 29, v21
	s_delay_alu instid0(VALU_DEP_2)
	v_and_b32_e32 v21, 7, v25
; %bb.23:                               ;   in Loop: Header=BB252_10 Depth=1
	s_wait_alu 0xfffe
	s_or_b32 exec_lo, exec_lo, s35
	v_lshlrev_b32_e32 v1, 8, v23
	v_lshl_add_u32 v23, v24, 10, 0x2000
	v_lshlrev_b32_e32 v21, 23, v21
	s_delay_alu instid0(VALU_DEP_2) | instskip(NEXT) | instid1(VALU_DEP_1)
	v_and_or_b32 v1, 0x8000, v1, v23
	v_lshl_or_b32 v21, v1, 16, v21
.LBB252_24:                             ;   in Loop: Header=BB252_10 Depth=1
	s_wait_alu 0xfffe
	s_or_b32 exec_lo, exec_lo, s34
.LBB252_25:                             ;   in Loop: Header=BB252_10 Depth=1
	s_delay_alu instid0(SALU_CYCLE_1)
	s_or_b32 exec_lo, exec_lo, s33
.LBB252_26:                             ;   in Loop: Header=BB252_10 Depth=1
	s_wait_alu 0xfffe
	s_or_b32 exec_lo, exec_lo, s5
	global_load_u16 v1, v[7:8], off offset:8
	s_wait_loadcnt 0x0
	v_dual_mov_b32 v23, 0 :: v_dual_and_b32 v24, 0xff, v1
	v_and_b32_e32 v1, 0xffff, v1
	s_delay_alu instid0(VALU_DEP_2)
	v_cmp_ne_u16_e64 s4, 0, v24
	v_mov_b32_e32 v24, 0
	s_and_saveexec_b32 s5, s4
	s_cbranch_execz .LBB252_34
; %bb.27:                               ;   in Loop: Header=BB252_10 Depth=1
	v_and_b32_e32 v24, 0xff, v1
	s_delay_alu instid0(VALU_DEP_1)
	v_cmp_ne_u16_e64 s4, 0x80, v24
	v_mov_b32_e32 v24, 0x8000
	s_and_saveexec_b32 s33, s4
	s_cbranch_execz .LBB252_33
; %bb.28:                               ;   in Loop: Header=BB252_10 Depth=1
	v_and_b32_e32 v26, 0x7f, v1
	v_mov_b32_e32 v24, 0x7c01
	s_mov_b32 s34, exec_lo
	s_delay_alu instid0(VALU_DEP_2)
	v_cmpx_ne_u32_e32 0x7f, v26
	s_cbranch_execz .LBB252_32
; %bb.29:                               ;   in Loop: Header=BB252_10 Depth=1
	v_and_b32_e32 v24, 7, v1
	v_lshrrev_b32_e32 v25, 3, v26
	s_mov_b32 s35, exec_lo
	v_cmpx_gt_u32_e32 8, v26
; %bb.30:                               ;   in Loop: Header=BB252_10 Depth=1
	s_delay_alu instid0(VALU_DEP_3) | instskip(NEXT) | instid1(VALU_DEP_1)
	v_clz_i32_u32_e32 v24, v24
	v_min_u32_e32 v26, 32, v24
	s_delay_alu instid0(VALU_DEP_1) | instskip(NEXT) | instid1(VALU_DEP_1)
	v_subrev_nc_u32_e32 v24, 28, v26
	v_lshlrev_b64_e32 v[24:25], v24, v[1:2]
	v_sub_nc_u32_e32 v25, 29, v26
	s_delay_alu instid0(VALU_DEP_2)
	v_and_b32_e32 v24, 7, v24
; %bb.31:                               ;   in Loop: Header=BB252_10 Depth=1
	s_wait_alu 0xfffe
	s_or_b32 exec_lo, exec_lo, s35
	v_lshlrev_b32_e32 v26, 8, v1
	v_lshl_add_u32 v25, v25, 10, 0x2000
	v_lshlrev_b32_e32 v24, 7, v24
	s_delay_alu instid0(VALU_DEP_3) | instskip(NEXT) | instid1(VALU_DEP_3)
	v_and_b32_e32 v26, 0x8000, v26
	v_and_b32_e32 v25, 0xfc00, v25
	s_delay_alu instid0(VALU_DEP_1)
	v_or3_b32 v24, v26, v25, v24
.LBB252_32:                             ;   in Loop: Header=BB252_10 Depth=1
	s_wait_alu 0xfffe
	s_or_b32 exec_lo, exec_lo, s34
.LBB252_33:                             ;   in Loop: Header=BB252_10 Depth=1
	s_delay_alu instid0(SALU_CYCLE_1)
	s_or_b32 exec_lo, exec_lo, s33
.LBB252_34:                             ;   in Loop: Header=BB252_10 Depth=1
	s_wait_alu 0xfffe
	s_or_b32 exec_lo, exec_lo, s5
	v_lshrrev_b16 v1, 8, v1
	s_mov_b32 s5, exec_lo
	s_delay_alu instid0(VALU_DEP_1)
	v_cmpx_ne_u16_e32 0, v1
	s_cbranch_execz .LBB252_42
; %bb.35:                               ;   in Loop: Header=BB252_10 Depth=1
	v_bfrev_b32_e32 v23, 1
	s_mov_b32 s33, exec_lo
	v_cmpx_ne_u16_e32 0x80, v1
	s_cbranch_execz .LBB252_41
; %bb.36:                               ;   in Loop: Header=BB252_10 Depth=1
	v_and_b32_e32 v25, 0xffff, v1
	v_mov_b32_e32 v23, 0x7c010000
	s_mov_b32 s34, exec_lo
	s_delay_alu instid0(VALU_DEP_2) | instskip(NEXT) | instid1(VALU_DEP_1)
	v_and_b32_e32 v27, 0x7f, v25
	v_cmpx_ne_u32_e32 0x7f, v27
	s_cbranch_execz .LBB252_40
; %bb.37:                               ;   in Loop: Header=BB252_10 Depth=1
	v_and_b32_e32 v23, 7, v25
	v_lshrrev_b32_e32 v26, 3, v27
	s_mov_b32 s35, exec_lo
	v_cmpx_gt_u32_e32 8, v27
; %bb.38:                               ;   in Loop: Header=BB252_10 Depth=1
	s_delay_alu instid0(VALU_DEP_3) | instskip(NEXT) | instid1(VALU_DEP_1)
	v_clz_i32_u32_e32 v23, v23
	v_min_u32_e32 v23, 32, v23
	s_delay_alu instid0(VALU_DEP_1) | instskip(NEXT) | instid1(VALU_DEP_1)
	v_subrev_nc_u32_e32 v26, 28, v23
	v_lshlrev_b64_e32 v[27:28], v26, v[1:2]
	v_sub_nc_u32_e32 v26, 29, v23
	s_delay_alu instid0(VALU_DEP_2)
	v_and_b32_e32 v23, 7, v27
; %bb.39:                               ;   in Loop: Header=BB252_10 Depth=1
	s_wait_alu 0xfffe
	s_or_b32 exec_lo, exec_lo, s35
	v_lshlrev_b32_e32 v1, 8, v25
	v_lshl_add_u32 v25, v26, 10, 0x2000
	v_lshlrev_b32_e32 v23, 23, v23
	s_delay_alu instid0(VALU_DEP_2) | instskip(NEXT) | instid1(VALU_DEP_1)
	v_and_or_b32 v1, 0x8000, v1, v25
	v_lshl_or_b32 v23, v1, 16, v23
.LBB252_40:                             ;   in Loop: Header=BB252_10 Depth=1
	s_wait_alu 0xfffe
	s_or_b32 exec_lo, exec_lo, s34
.LBB252_41:                             ;   in Loop: Header=BB252_10 Depth=1
	s_delay_alu instid0(SALU_CYCLE_1)
	s_or_b32 exec_lo, exec_lo, s33
.LBB252_42:                             ;   in Loop: Header=BB252_10 Depth=1
	s_wait_alu 0xfffe
	s_or_b32 exec_lo, exec_lo, s5
	global_load_u16 v1, v[7:8], off offset:128
	s_wait_loadcnt 0x0
	v_dual_mov_b32 v25, 0 :: v_dual_and_b32 v26, 0xff, v1
	v_and_b32_e32 v1, 0xffff, v1
	s_delay_alu instid0(VALU_DEP_2)
	v_cmp_ne_u16_e64 s4, 0, v26
	v_mov_b32_e32 v26, 0
	s_and_saveexec_b32 s5, s4
	s_cbranch_execz .LBB252_50
; %bb.43:                               ;   in Loop: Header=BB252_10 Depth=1
	v_and_b32_e32 v26, 0xff, v1
	s_delay_alu instid0(VALU_DEP_1)
	v_cmp_ne_u16_e64 s4, 0x80, v26
	v_mov_b32_e32 v26, 0x8000
	s_and_saveexec_b32 s33, s4
	s_cbranch_execz .LBB252_49
; %bb.44:                               ;   in Loop: Header=BB252_10 Depth=1
	v_and_b32_e32 v28, 0x7f, v1
	v_mov_b32_e32 v26, 0x7c01
	s_mov_b32 s34, exec_lo
	s_delay_alu instid0(VALU_DEP_2)
	v_cmpx_ne_u32_e32 0x7f, v28
	s_cbranch_execz .LBB252_48
; %bb.45:                               ;   in Loop: Header=BB252_10 Depth=1
	v_and_b32_e32 v26, 7, v1
	v_lshrrev_b32_e32 v27, 3, v28
	s_mov_b32 s35, exec_lo
	v_cmpx_gt_u32_e32 8, v28
; %bb.46:                               ;   in Loop: Header=BB252_10 Depth=1
	s_delay_alu instid0(VALU_DEP_3) | instskip(NEXT) | instid1(VALU_DEP_1)
	v_clz_i32_u32_e32 v26, v26
	v_min_u32_e32 v28, 32, v26
	s_delay_alu instid0(VALU_DEP_1) | instskip(NEXT) | instid1(VALU_DEP_1)
	v_subrev_nc_u32_e32 v26, 28, v28
	v_lshlrev_b64_e32 v[26:27], v26, v[1:2]
	v_sub_nc_u32_e32 v27, 29, v28
	s_delay_alu instid0(VALU_DEP_2)
	v_and_b32_e32 v26, 7, v26
; %bb.47:                               ;   in Loop: Header=BB252_10 Depth=1
	s_wait_alu 0xfffe
	s_or_b32 exec_lo, exec_lo, s35
	v_lshlrev_b32_e32 v28, 8, v1
	v_lshl_add_u32 v27, v27, 10, 0x2000
	v_lshlrev_b32_e32 v26, 7, v26
	s_delay_alu instid0(VALU_DEP_3) | instskip(NEXT) | instid1(VALU_DEP_3)
	v_and_b32_e32 v28, 0x8000, v28
	v_and_b32_e32 v27, 0xfc00, v27
	s_delay_alu instid0(VALU_DEP_1)
	v_or3_b32 v26, v28, v27, v26
.LBB252_48:                             ;   in Loop: Header=BB252_10 Depth=1
	s_wait_alu 0xfffe
	s_or_b32 exec_lo, exec_lo, s34
.LBB252_49:                             ;   in Loop: Header=BB252_10 Depth=1
	s_delay_alu instid0(SALU_CYCLE_1)
	s_or_b32 exec_lo, exec_lo, s33
.LBB252_50:                             ;   in Loop: Header=BB252_10 Depth=1
	s_wait_alu 0xfffe
	s_or_b32 exec_lo, exec_lo, s5
	v_lshrrev_b16 v1, 8, v1
	s_mov_b32 s5, exec_lo
	s_delay_alu instid0(VALU_DEP_1)
	v_cmpx_ne_u16_e32 0, v1
	s_cbranch_execz .LBB252_58
; %bb.51:                               ;   in Loop: Header=BB252_10 Depth=1
	v_bfrev_b32_e32 v25, 1
	s_mov_b32 s33, exec_lo
	v_cmpx_ne_u16_e32 0x80, v1
	s_cbranch_execz .LBB252_57
; %bb.52:                               ;   in Loop: Header=BB252_10 Depth=1
	v_and_b32_e32 v27, 0xffff, v1
	v_mov_b32_e32 v25, 0x7c010000
	s_mov_b32 s34, exec_lo
	s_delay_alu instid0(VALU_DEP_2) | instskip(NEXT) | instid1(VALU_DEP_1)
	v_and_b32_e32 v29, 0x7f, v27
	v_cmpx_ne_u32_e32 0x7f, v29
	s_cbranch_execz .LBB252_56
; %bb.53:                               ;   in Loop: Header=BB252_10 Depth=1
	v_and_b32_e32 v25, 7, v27
	v_lshrrev_b32_e32 v28, 3, v29
	s_mov_b32 s35, exec_lo
	v_cmpx_gt_u32_e32 8, v29
; %bb.54:                               ;   in Loop: Header=BB252_10 Depth=1
	s_delay_alu instid0(VALU_DEP_3) | instskip(NEXT) | instid1(VALU_DEP_1)
	v_clz_i32_u32_e32 v25, v25
	v_min_u32_e32 v25, 32, v25
	s_delay_alu instid0(VALU_DEP_1) | instskip(NEXT) | instid1(VALU_DEP_1)
	v_subrev_nc_u32_e32 v28, 28, v25
	v_lshlrev_b64_e32 v[29:30], v28, v[1:2]
	v_sub_nc_u32_e32 v28, 29, v25
	s_delay_alu instid0(VALU_DEP_2)
	v_and_b32_e32 v25, 7, v29
; %bb.55:                               ;   in Loop: Header=BB252_10 Depth=1
	s_wait_alu 0xfffe
	s_or_b32 exec_lo, exec_lo, s35
	v_lshlrev_b32_e32 v1, 8, v27
	v_lshl_add_u32 v27, v28, 10, 0x2000
	v_lshlrev_b32_e32 v25, 23, v25
	s_delay_alu instid0(VALU_DEP_2) | instskip(NEXT) | instid1(VALU_DEP_1)
	v_and_or_b32 v1, 0x8000, v1, v27
	v_lshl_or_b32 v25, v1, 16, v25
.LBB252_56:                             ;   in Loop: Header=BB252_10 Depth=1
	s_wait_alu 0xfffe
	s_or_b32 exec_lo, exec_lo, s34
.LBB252_57:                             ;   in Loop: Header=BB252_10 Depth=1
	s_delay_alu instid0(SALU_CYCLE_1)
	s_or_b32 exec_lo, exec_lo, s33
.LBB252_58:                             ;   in Loop: Header=BB252_10 Depth=1
	s_wait_alu 0xfffe
	s_or_b32 exec_lo, exec_lo, s5
	global_load_u16 v1, v[7:8], off offset:136
	s_wait_loadcnt 0x0
	v_dual_mov_b32 v7, 0 :: v_dual_and_b32 v8, 0xff, v1
	v_and_b32_e32 v1, 0xffff, v1
	s_delay_alu instid0(VALU_DEP_2)
	v_cmp_ne_u16_e64 s4, 0, v8
	v_mov_b32_e32 v8, 0
	s_and_saveexec_b32 s5, s4
	s_cbranch_execz .LBB252_66
; %bb.59:                               ;   in Loop: Header=BB252_10 Depth=1
	v_and_b32_e32 v8, 0xff, v1
	s_delay_alu instid0(VALU_DEP_1)
	v_cmp_ne_u16_e64 s4, 0x80, v8
	v_mov_b32_e32 v8, 0x8000
	s_and_saveexec_b32 s33, s4
	s_cbranch_execz .LBB252_65
; %bb.60:                               ;   in Loop: Header=BB252_10 Depth=1
	v_and_b32_e32 v28, 0x7f, v1
	v_mov_b32_e32 v8, 0x7c01
	s_mov_b32 s34, exec_lo
	s_delay_alu instid0(VALU_DEP_2)
	v_cmpx_ne_u32_e32 0x7f, v28
	s_cbranch_execz .LBB252_64
; %bb.61:                               ;   in Loop: Header=BB252_10 Depth=1
	v_and_b32_e32 v8, 7, v1
	v_lshrrev_b32_e32 v27, 3, v28
	s_mov_b32 s35, exec_lo
	v_cmpx_gt_u32_e32 8, v28
; %bb.62:                               ;   in Loop: Header=BB252_10 Depth=1
	s_delay_alu instid0(VALU_DEP_3) | instskip(NEXT) | instid1(VALU_DEP_1)
	v_clz_i32_u32_e32 v8, v8
	v_min_u32_e32 v8, 32, v8
	s_delay_alu instid0(VALU_DEP_1) | instskip(NEXT) | instid1(VALU_DEP_1)
	v_subrev_nc_u32_e32 v27, 28, v8
	v_lshlrev_b64_e32 v[28:29], v27, v[1:2]
	v_sub_nc_u32_e32 v27, 29, v8
	s_delay_alu instid0(VALU_DEP_2)
	v_and_b32_e32 v8, 7, v28
; %bb.63:                               ;   in Loop: Header=BB252_10 Depth=1
	s_wait_alu 0xfffe
	s_or_b32 exec_lo, exec_lo, s35
	v_lshlrev_b32_e32 v28, 8, v1
	v_lshl_add_u32 v27, v27, 10, 0x2000
	v_lshlrev_b32_e32 v8, 7, v8
	s_delay_alu instid0(VALU_DEP_3) | instskip(NEXT) | instid1(VALU_DEP_3)
	v_and_b32_e32 v28, 0x8000, v28
	v_and_b32_e32 v27, 0xfc00, v27
	s_delay_alu instid0(VALU_DEP_1)
	v_or3_b32 v8, v28, v27, v8
.LBB252_64:                             ;   in Loop: Header=BB252_10 Depth=1
	s_wait_alu 0xfffe
	s_or_b32 exec_lo, exec_lo, s34
.LBB252_65:                             ;   in Loop: Header=BB252_10 Depth=1
	s_delay_alu instid0(SALU_CYCLE_1)
	s_or_b32 exec_lo, exec_lo, s33
.LBB252_66:                             ;   in Loop: Header=BB252_10 Depth=1
	s_wait_alu 0xfffe
	s_or_b32 exec_lo, exec_lo, s5
	v_lshrrev_b16 v1, 8, v1
	s_mov_b32 s5, exec_lo
	s_delay_alu instid0(VALU_DEP_1)
	v_cmpx_ne_u16_e32 0, v1
	s_cbranch_execz .LBB252_74
; %bb.67:                               ;   in Loop: Header=BB252_10 Depth=1
	v_bfrev_b32_e32 v7, 1
	s_mov_b32 s33, exec_lo
	v_cmpx_ne_u16_e32 0x80, v1
	s_cbranch_execz .LBB252_73
; %bb.68:                               ;   in Loop: Header=BB252_10 Depth=1
	v_and_b32_e32 v27, 0xffff, v1
	v_mov_b32_e32 v7, 0x7c010000
	s_mov_b32 s34, exec_lo
	s_delay_alu instid0(VALU_DEP_2) | instskip(NEXT) | instid1(VALU_DEP_1)
	v_and_b32_e32 v29, 0x7f, v27
	v_cmpx_ne_u32_e32 0x7f, v29
	s_cbranch_execz .LBB252_72
; %bb.69:                               ;   in Loop: Header=BB252_10 Depth=1
	v_and_b32_e32 v7, 7, v27
	v_lshrrev_b32_e32 v28, 3, v29
	s_mov_b32 s35, exec_lo
	v_cmpx_gt_u32_e32 8, v29
; %bb.70:                               ;   in Loop: Header=BB252_10 Depth=1
	s_delay_alu instid0(VALU_DEP_3) | instskip(NEXT) | instid1(VALU_DEP_1)
	v_clz_i32_u32_e32 v7, v7
	v_min_u32_e32 v7, 32, v7
	s_delay_alu instid0(VALU_DEP_1) | instskip(NEXT) | instid1(VALU_DEP_1)
	v_subrev_nc_u32_e32 v28, 28, v7
	v_lshlrev_b64_e32 v[29:30], v28, v[1:2]
	v_sub_nc_u32_e32 v28, 29, v7
	s_delay_alu instid0(VALU_DEP_2)
	v_and_b32_e32 v7, 7, v29
; %bb.71:                               ;   in Loop: Header=BB252_10 Depth=1
	s_wait_alu 0xfffe
	s_or_b32 exec_lo, exec_lo, s35
	v_lshlrev_b32_e32 v1, 8, v27
	v_lshl_add_u32 v27, v28, 10, 0x2000
	v_lshlrev_b32_e32 v7, 23, v7
	s_delay_alu instid0(VALU_DEP_2) | instskip(NEXT) | instid1(VALU_DEP_1)
	v_and_or_b32 v1, 0x8000, v1, v27
	v_lshl_or_b32 v7, v1, 16, v7
.LBB252_72:                             ;   in Loop: Header=BB252_10 Depth=1
	s_wait_alu 0xfffe
	s_or_b32 exec_lo, exec_lo, s34
.LBB252_73:                             ;   in Loop: Header=BB252_10 Depth=1
	s_delay_alu instid0(SALU_CYCLE_1)
	s_or_b32 exec_lo, exec_lo, s33
.LBB252_74:                             ;   in Loop: Header=BB252_10 Depth=1
	s_wait_alu 0xfffe
	s_or_b32 exec_lo, exec_lo, s5
	ds_load_b32 v1, v16
	v_or_b32_e32 v22, v21, v22
	v_fma_mixlo_f16 v21, v20, v21, 0 op_sel:[0,1,0] op_sel_hi:[0,1,0]
	v_or_b32_e32 v24, v23, v24
	v_fma_mixlo_f16 v23, v20, v23, 0 op_sel:[0,1,0] op_sel_hi:[0,1,0]
	v_or_b32_e32 v26, v25, v26
	v_fma_mixlo_f16 v22, v20, v22, 0 op_sel_hi:[0,1,0]
	v_or_b32_e32 v8, v7, v8
	v_fma_mixlo_f16 v24, v20, v24, 0 op_sel_hi:[0,1,0]
	v_and_b32_e32 v31, 0xffff, v23
	v_fma_mixlo_f16 v26, v20, v26, 0 op_sel_hi:[0,1,0]
	v_and_b32_e32 v22, 0xffff, v22
	v_fma_mixlo_f16 v25, v20, v25, 0 op_sel:[0,1,0] op_sel_hi:[0,1,0]
	v_fma_mixlo_f16 v7, v20, v7, 0 op_sel:[0,1,0] op_sel_hi:[0,1,0]
	v_fma_mixlo_f16 v8, v20, v8, 0 op_sel_hi:[0,1,0]
	s_delay_alu instid0(VALU_DEP_3)
	v_and_b32_e32 v33, 0xffff, v25
	s_wait_dscnt 0x0
	v_and_b32_e32 v27, 0xffff, v1
	v_lshrrev_b32_e32 v28, 16, v1
	;;#ASMSTART
	v_cvt_f32_f16 v1, v27;
	;;#ASMEND
	v_and_b32_e32 v29, 0xffff, v21
	;;#ASMSTART
	v_cvt_f32_f16 v21, v28;
	;;#ASMEND
	;;#ASMSTART
	v_cvt_f32_f16 v22, v22;
	;;#ASMEND
	;; [unrolled: 3-line block ×3, first 2 shown]
	ds_load_b32 v28, v16 offset:4
	v_and_b32_e32 v30, 0xffff, v24
	s_wait_dscnt 0x0
	v_and_b32_e32 v29, 0xffff, v28
	v_lshrrev_b32_e32 v28, 16, v28
	;;#ASMSTART
	v_cvt_f32_f16 v23, v29;
	;;#ASMEND
	;;#ASMSTART
	v_cvt_f32_f16 v24, v28;
	;;#ASMEND
	;; [unrolled: 3-line block ×4, first 2 shown]
	ds_load_b32 v30, v16 offset:8
	v_dual_mul_f32 v20, v23, v28 :: v_dual_mul_f32 v23, v24, v29
	s_delay_alu instid0(VALU_DEP_1) | instskip(NEXT) | instid1(VALU_DEP_2)
	v_fmac_f32_e32 v20, v1, v22
	v_dual_fmac_f32 v23, v21, v27 :: v_dual_and_b32 v32, 0xffff, v26
	v_and_b32_e32 v22, 0xffff, v8
	s_wait_dscnt 0x0
	v_and_b32_e32 v31, 0xffff, v30
	v_lshrrev_b32_e32 v30, 16, v30
	;;#ASMSTART
	v_cvt_f32_f16 v25, v31;
	;;#ASMEND
	;;#ASMSTART
	v_cvt_f32_f16 v26, v30;
	;;#ASMEND
	;; [unrolled: 3-line block ×4, first 2 shown]
	ds_load_b32 v32, v16 offset:12
	v_xor_b32_e32 v33, 2, v14
	v_dual_fmac_f32 v20, v25, v30 :: v_dual_fmac_f32 v23, v26, v31
	s_delay_alu instid0(VALU_DEP_2)
	v_cmp_gt_i32_e64 s4, 32, v33
	s_wait_dscnt 0x0
	v_and_b32_e32 v1, 0xffff, v32
	v_lshrrev_b32_e32 v21, 16, v32
	;;#ASMSTART
	v_cvt_f32_f16 v1, v1;
	;;#ASMEND
	;;#ASMSTART
	v_cvt_f32_f16 v8, v21;
	;;#ASMEND
	v_and_b32_e32 v24, 0xffff, v7
	s_wait_alu 0xf1ff
	v_cndmask_b32_e64 v7, v14, v33, s4
	;;#ASMSTART
	v_cvt_f32_f16 v21, v22;
	;;#ASMEND
	;;#ASMSTART
	v_cvt_f32_f16 v22, v24;
	;;#ASMEND
	v_dual_fmac_f32 v20, v1, v21 :: v_dual_fmac_f32 v23, v8, v22
	s_delay_alu instid0(VALU_DEP_2) | instskip(SKIP_1) | instid1(VALU_DEP_3)
	v_lshlrev_b32_e32 v1, 2, v7
	v_xor_b32_e32 v8, 1, v14
	v_add_f32_e32 v7, v20, v23
	s_delay_alu instid0(VALU_DEP_2)
	v_cmp_gt_i32_e64 s4, 32, v8
	ds_bpermute_b32 v1, v1, v7
	s_wait_alu 0xf1ff
	v_cndmask_b32_e64 v8, v14, v8, s4
	s_wait_dscnt 0x0
	v_add_f32_e32 v1, v7, v1
	s_delay_alu instid0(VALU_DEP_2)
	v_lshlrev_b32_e32 v7, 2, v8
	ds_bpermute_b32 v7, v7, v1
	s_and_saveexec_b32 s5, vcc_lo
	s_cbranch_execz .LBB252_9
; %bb.75:                               ;   in Loop: Header=BB252_10 Depth=1
	s_wait_dscnt 0x0
	v_dual_add_f32 v1, v1, v7 :: v_dual_add_nc_u32 v8, s31, v17
	v_cmp_gt_i32_e64 s4, s26, v17
	s_delay_alu instid0(VALU_DEP_2) | instskip(NEXT) | instid1(VALU_DEP_1)
	v_cvt_f32_i32_e32 v8, v8
	v_mul_f32_e32 v8, s6, v8
	s_delay_alu instid0(VALU_DEP_1) | instskip(NEXT) | instid1(VALU_DEP_1)
	v_cndmask_b32_e64 v7, 0, v8, s3
	v_dual_max_num_f32 v8, v11, v11 :: v_dual_fmac_f32 v7, s7, v1
	s_delay_alu instid0(VALU_DEP_1) | instskip(SKIP_2) | instid1(VALU_DEP_2)
	v_max_num_f32_e32 v1, v8, v7
	s_wait_alu 0xf1ff
	v_cndmask_b32_e64 v7, 0, v7, s4
	v_cndmask_b32_e64 v11, v11, v1, s4
	ds_store_b32 v18, v7
	s_branch .LBB252_9
.LBB252_76:
	s_or_b32 exec_lo, exec_lo, s15
.LBB252_77:
	s_delay_alu instid0(SALU_CYCLE_1)
	s_or_b32 exec_lo, exec_lo, s24
	v_xor_b32_e32 v1, 16, v14
	v_xor_b32_e32 v4, 8, v14
	;; [unrolled: 1-line block ×3, first 2 shown]
	s_load_b128 s[4:7], s[0:1], 0x0
	s_wait_kmcnt 0x0
	s_clause 0x1
	s_load_b64 s[8:9], s[0:1], 0x10
	s_load_b64 s[24:25], s[0:1], 0x28
	v_cmp_lt_i32_e32 vcc_lo, v1, v15
	v_cndmask_b32_e32 v1, v14, v1, vcc_lo
	v_cmp_lt_i32_e32 vcc_lo, v4, v15
	s_wait_alu 0xfffd
	v_dual_max_num_f32 v5, v11, v11 :: v_dual_cndmask_b32 v4, v14, v4
	v_cmp_lt_i32_e32 vcc_lo, v6, v15
	s_delay_alu instid0(VALU_DEP_2)
	v_lshlrev_b32_e32 v4, 2, v4
	s_wait_alu 0xfffd
	v_dual_cndmask_b32 v6, v14, v6 :: v_dual_lshlrev_b32 v3, 2, v1
	ds_bpermute_b32 v1, v3, v11
	s_wait_dscnt 0x1
	v_lshlrev_b32_e32 v7, 2, v6
	v_and_b32_e32 v11, 31, v0
	s_delay_alu instid0(VALU_DEP_1) | instskip(SKIP_2) | instid1(VALU_DEP_1)
	v_cmp_eq_u32_e32 vcc_lo, 0, v11
	s_wait_dscnt 0x0
	v_max_num_f32_e32 v1, v1, v1
	v_max_num_f32_e32 v1, v5, v1
	ds_bpermute_b32 v5, v4, v1
	s_wait_dscnt 0x0
	v_max_num_f32_e32 v5, v5, v5
	s_delay_alu instid0(VALU_DEP_1)
	v_max_num_f32_e32 v1, v1, v5
	v_lshlrev_b32_e32 v5, 2, v9
	ds_bpermute_b32 v6, v7, v1
	s_and_saveexec_b32 s0, vcc_lo
	s_cbranch_execz .LBB252_79
; %bb.78:
	s_wait_dscnt 0x0
	v_dual_max_num_f32 v6, v6, v6 :: v_dual_max_num_f32 v1, v1, v1
	s_delay_alu instid0(VALU_DEP_1)
	v_max_num_f32_e32 v1, v1, v6
	ds_store_b32 v5, v1 offset:64
.LBB252_79:
	s_or_b32 exec_lo, exec_lo, s0
	v_cmp_gt_u32_e64 s0, 4, v11
	s_wait_dscnt 0x0
	v_dual_mov_b32 v1, 0xff7fffff :: v_dual_lshlrev_b32 v6, 2, v11
	s_wait_loadcnt 0x0
	s_barrier_signal -1
	s_barrier_wait -1
	global_inv scope:SCOPE_SE
	s_and_saveexec_b32 s1, s0
; %bb.80:
	ds_load_b32 v1, v6 offset:64
; %bb.81:
	s_or_b32 exec_lo, exec_lo, s1
	v_xor_b32_e32 v8, 2, v14
	v_xor_b32_e32 v17, 1, v14
	v_lshlrev_b32_e32 v2, 2, v2
	s_delay_alu instid0(VALU_DEP_3) | instskip(NEXT) | instid1(VALU_DEP_1)
	v_cmp_lt_i32_e64 s1, v8, v15
	v_cndmask_b32_e64 v8, v14, v8, s1
	s_delay_alu instid0(VALU_DEP_4) | instskip(NEXT) | instid1(VALU_DEP_2)
	v_cmp_lt_i32_e64 s1, v17, v15
	v_lshlrev_b32_e32 v8, 2, v8
	s_wait_alu 0xf1ff
	s_delay_alu instid0(VALU_DEP_2)
	v_cndmask_b32_e64 v15, v14, v17, s1
	s_sub_co_i32 s1, s27, s12
	s_wait_alu 0xfffe
	s_lshl_b32 s1, s1, 3
	s_wait_dscnt 0x0
	ds_bpermute_b32 v16, v8, v1
	v_max_num_f32_e32 v1, v1, v1
	v_lshlrev_b32_e32 v15, 2, v15
	s_wait_alu 0xfffe
	s_add_co_i32 s1, s1, s28
	s_wait_alu 0xfffe
	s_min_i32 s1, s1, s26
	s_wait_alu 0xfffe
	s_sub_co_i32 s15, s1, s28
	s_delay_alu instid0(SALU_CYCLE_1) | instskip(SKIP_2) | instid1(VALU_DEP_1)
	v_cmp_gt_i32_e64 s1, s15, v0
	s_wait_dscnt 0x0
	v_max_num_f32_e32 v16, v16, v16
	v_max_num_f32_e32 v1, v1, v16
	ds_bpermute_b32 v16, v15, v1
	s_wait_dscnt 0x0
	v_max_num_f32_e32 v16, v16, v16
	s_delay_alu instid0(VALU_DEP_1)
	v_dual_max_num_f32 v1, v1, v16 :: v_dual_mov_b32 v16, 0
	ds_bpermute_b32 v1, v2, v1
	v_lshl_add_u32 v2, v0, 2, 0x60
	s_and_saveexec_b32 s31, s1
	s_cbranch_execz .LBB252_85
; %bb.82:
	v_lshl_add_u32 v17, v0, 2, 0x60
	v_mov_b32_e32 v16, 0
	v_mov_b32_e32 v18, v0
	s_mov_b32 s33, 0
.LBB252_83:                             ; =>This Inner Loop Header: Depth=1
	ds_load_b32 v19, v17
	v_add_nc_u32_e32 v18, 0x80, v18
	s_delay_alu instid0(VALU_DEP_1) | instskip(SKIP_3) | instid1(VALU_DEP_1)
	v_cmp_le_i32_e64 s3, s15, v18
	s_or_b32 s33, s3, s33
	s_wait_dscnt 0x0
	v_sub_f32_e32 v19, v19, v1
	v_mul_f32_e32 v19, 0x3fb8aa3b, v19
	s_delay_alu instid0(VALU_DEP_1)
	v_exp_f32_e32 v19, v19
	ds_store_b32 v17, v19
	v_dual_add_f32 v16, v16, v19 :: v_dual_add_nc_u32 v17, 0x200, v17
	s_and_not1_b32 exec_lo, exec_lo, s33
	s_cbranch_execnz .LBB252_83
; %bb.84:
	s_or_b32 exec_lo, exec_lo, s33
.LBB252_85:
	s_wait_alu 0xfffe
	s_or_b32 exec_lo, exec_lo, s31
	ds_bpermute_b32 v3, v3, v16
	s_wait_dscnt 0x0
	v_add_f32_e32 v3, v16, v3
	ds_bpermute_b32 v4, v4, v3
	s_wait_dscnt 0x0
	v_add_f32_e32 v3, v3, v4
	;; [unrolled: 3-line block ×5, first 2 shown]
	s_and_saveexec_b32 s3, vcc_lo
; %bb.86:
	ds_store_b32 v5, v3 offset:80
; %bb.87:
	s_wait_alu 0xfffe
	s_or_b32 exec_lo, exec_lo, s3
	s_wait_loadcnt_dscnt 0x0
	s_barrier_signal -1
	s_barrier_wait -1
	global_inv scope:SCOPE_SE
	s_and_saveexec_b32 s3, s0
; %bb.88:
	ds_load_b32 v3, v6 offset:80
; %bb.89:
	s_wait_alu 0xfffe
	s_or_b32 exec_lo, exec_lo, s3
	s_wait_dscnt 0x0
	ds_bpermute_b32 v4, v8, v3
	v_lshlrev_b32_e32 v5, 2, v14
	s_wait_dscnt 0x0
	v_add_f32_e32 v3, v3, v4
	ds_bpermute_b32 v4, v15, v3
	s_wait_dscnt 0x0
	v_dual_add_f32 v3, v3, v4 :: v_dual_and_b32 v4, 0xffffff80, v5
	ds_bpermute_b32 v3, v4, v3
	s_and_saveexec_b32 s0, s1
	s_cbranch_execz .LBB252_92
; %bb.90:
	s_wait_dscnt 0x0
	v_add_f32_e32 v4, 0x358637bd, v3
	s_mov_b32 s1, 0
	s_delay_alu instid0(VALU_DEP_1) | instskip(SKIP_1) | instid1(VALU_DEP_2)
	v_div_scale_f32 v5, null, v4, v4, 1.0
	v_div_scale_f32 v8, vcc_lo, 1.0, v4, 1.0
	v_rcp_f32_e32 v6, v5
	s_delay_alu instid0(TRANS32_DEP_1) | instskip(NEXT) | instid1(VALU_DEP_1)
	v_fma_f32 v7, -v5, v6, 1.0
	v_fmac_f32_e32 v6, v7, v6
	s_delay_alu instid0(VALU_DEP_1) | instskip(NEXT) | instid1(VALU_DEP_1)
	v_mul_f32_e32 v7, v8, v6
	v_fma_f32 v14, -v5, v7, v8
	s_delay_alu instid0(VALU_DEP_1) | instskip(NEXT) | instid1(VALU_DEP_1)
	v_fmac_f32_e32 v7, v14, v6
	v_fma_f32 v5, -v5, v7, v8
	s_wait_alu 0xfffd
	s_delay_alu instid0(VALU_DEP_1) | instskip(NEXT) | instid1(VALU_DEP_1)
	v_div_fmas_f32 v5, v5, v6, v7
	v_div_fixup_f32 v4, v5, v4, 1.0
	v_mov_b32_e32 v5, v0
.LBB252_91:                             ; =>This Inner Loop Header: Depth=1
	ds_load_b32 v6, v2
	s_wait_dscnt 0x0
	v_dual_mul_f32 v6, v4, v6 :: v_dual_add_nc_u32 v5, 0x80, v5
	s_delay_alu instid0(VALU_DEP_1)
	v_cmp_le_i32_e32 vcc_lo, s15, v5
	ds_store_b32 v2, v6
	v_add_nc_u32_e32 v2, 0x200, v2
	s_wait_alu 0xfffe
	s_or_b32 s1, vcc_lo, s1
	s_wait_alu 0xfffe
	s_and_not1_b32 exec_lo, exec_lo, s1
	s_cbranch_execnz .LBB252_91
.LBB252_92:
	s_wait_alu 0xfffe
	s_or_b32 exec_lo, exec_lo, s0
	s_mul_i32 s0, s17, s22
	s_wait_loadcnt_dscnt 0x0
	s_wait_alu 0xfffe
	s_mul_i32 s22, s0, s23
	s_mov_b32 s0, exec_lo
	s_barrier_signal -1
	s_barrier_wait -1
	global_inv scope:SCOPE_SE
	v_cmpx_eq_u32_e32 0, v0
	s_cbranch_execz .LBB252_94
; %bb.93:
	s_ashr_i32 s23, s22, 31
	s_wait_alu 0xfffe
	s_mul_i32 s34, s17, ttmp9
	s_lshl_b32 s1, s29, 2
	s_lshl_b64 s[36:37], s[22:23], 2
	s_wait_alu 0xfffe
	s_ashr_i32 s35, s34, 31
	v_mov_b32_e32 v2, s1
	s_add_nc_u64 s[6:7], s[6:7], s[36:37]
	s_wait_alu 0xfffe
	s_lshl_b64 s[34:35], s[34:35], 2
	s_add_nc_u64 s[4:5], s[4:5], s[36:37]
	s_wait_alu 0xfffe
	s_add_nc_u64 s[6:7], s[6:7], s[34:35]
	s_add_nc_u64 s[4:5], s[4:5], s[34:35]
	s_clause 0x1
	global_store_b32 v2, v1, s[6:7]
	global_store_b32 v2, v3, s[4:5]
.LBB252_94:
	s_wait_alu 0xfffe
	s_or_b32 exec_lo, exec_lo, s0
	v_mov_b32_e32 v14, 0
	s_and_saveexec_b32 s4, s2
	s_cbranch_execz .LBB252_164
; %bb.95:
	v_dual_mov_b32 v2, 0 :: v_dual_lshlrev_b32 v1, 3, v11
	s_ashr_i32 s15, s14, 31
	v_add3_u32 v13, s28, v13, 7
	s_wait_kmcnt 0x0
	s_wait_alu 0xfffe
	s_add_nc_u64 s[0:1], s[24:25], s[14:15]
	v_lshl_add_u32 v15, v9, 5, 0x60
	s_wait_alu 0xfffe
	v_add_co_u32 v3, s0, s0, v1
	s_wait_alu 0xf1ff
	v_add_co_ci_u32_e64 v4, null, s1, 0, s0
	s_lshl_b64 s[0:1], s[18:19], 2
	v_mov_b32_e32 v14, 0
	s_wait_alu 0xfffe
	s_add_nc_u64 s[0:1], s[20:21], s[0:1]
	s_mov_b32 s2, 0
	s_wait_alu 0xfffe
	v_add_co_u32 v5, s0, s0, v12
	s_wait_alu 0xf1ff
	v_add_co_ci_u32_e64 v6, null, s1, 0, s0
	v_bfrev_b32_e32 v12, 1
	s_mov_b32 s5, s13
	s_add_co_i32 s30, s30, -1
	s_mov_b32 s3, 0x1000000
	s_mov_b32 s6, s2
	s_branch .LBB252_97
.LBB252_96:                             ;   in Loop: Header=BB252_97 Depth=1
	s_wait_alu 0xfffe
	s_or_b32 exec_lo, exec_lo, s0
	v_and_b32_e32 v1, 0xffff, v20
	v_and_b32_e32 v7, 0xffff, v21
	;; [unrolled: 1-line block ×4, first 2 shown]
	v_add_nc_u32_e32 v10, 4, v10
	v_lshl_or_b32 v1, v16, 16, v1
	v_lshl_or_b32 v7, v17, 16, v7
	v_lshl_or_b32 v8, v18, 16, v8
	v_lshl_or_b32 v16, v19, 16, v20
	;;#ASMSTART
	v_pk_mul_f16 v1, v1, v29;

	;;#ASMEND
	;;#ASMSTART
	v_pk_mul_f16 v7, v7, v28;

	;;#ASMEND
	;; [unrolled: 4-line block ×4, first 2 shown]
	;;#ASMSTART
	v_pk_add_f16 v1, v1, v7;

	;;#ASMEND
	;;#ASMSTART
	v_pk_add_f16 v1, v1, v8;

	;;#ASMEND
	;; [unrolled: 4-line block ×3, first 2 shown]
	v_and_b32_e32 v7, 0xffff, v1
	v_lshrrev_b32_e32 v8, 16, v1
	;;#ASMSTART
	v_cvt_f32_f16 v1, v7;
	;;#ASMEND
	;;#ASMSTART
	v_cvt_f32_f16 v7, v8;
	;;#ASMEND
	s_delay_alu instid0(VALU_DEP_2) | instskip(SKIP_3) | instid1(VALU_DEP_4)
	v_add_f32_e32 v1, v1, v7
	v_cmp_le_i32_e32 vcc_lo, s27, v10
	v_add_co_u32 v5, s0, v5, 16
	v_add_nc_u32_e32 v13, 32, v13
	v_dual_add_f32 v14, v14, v1 :: v_dual_add_nc_u32 v15, 0x80, v15
	s_wait_alu 0xf1ff
	v_add_co_ci_u32_e64 v6, null, 0, v6, s0
	s_or_b32 s6, vcc_lo, s6
	s_wait_alu 0xfffe
	s_and_not1_b32 exec_lo, exec_lo, s6
	s_cbranch_execz .LBB252_163
.LBB252_97:                             ; =>This Inner Loop Header: Depth=1
	ds_load_2addr_b64 v[16:19], v15 offset1:1
	ds_load_2addr_b64 v[22:25], v15 offset0:2 offset1:3
	s_mov_b32 s1, 0
	s_mov_b32 s0, exec_lo
	s_wait_dscnt 0x1
	;;#ASMSTART
	v_cvt_f16_f32 v20, v16;

	;;#ASMEND
	;;#ASMSTART
	v_cvt_f16_f32 v16, v17;

	;;#ASMEND
	;; [unrolled: 4-line block ×4, first 2 shown]
	s_wait_dscnt 0x0
	;;#ASMSTART
	v_cvt_f16_f32 v22, v22;

	;;#ASMEND
	;;#ASMSTART
	v_cvt_f16_f32 v18, v23;

	;;#ASMEND
	;; [unrolled: 4-line block ×4, first 2 shown]
	global_load_b32 v1, v[5:6], off
	s_wait_loadcnt 0x0
	s_wait_alu 0xfffe
	v_mad_co_i64_i32 v[7:8], null, v1, s5, v[3:4]
	global_load_b64 v[7:8], v[7:8], off
	global_load_b32 v24, v2, s[10:11]
	s_wait_loadcnt 0x1
	v_and_b32_e32 v1, 0xff, v7
	s_delay_alu instid0(VALU_DEP_1)
	v_cmpx_lt_i16_e32 0x7f, v1
	s_xor_b32 s0, exec_lo, s0
	s_cbranch_execnz .LBB252_100
; %bb.98:                               ;   in Loop: Header=BB252_97 Depth=1
	s_wait_alu 0xfffe
	s_or_saveexec_b32 s0, s0
	v_mov_b32_e32 v25, 0x8000
	s_wait_alu 0xfffe
	s_xor_b32 exec_lo, exec_lo, s0
	s_cbranch_execnz .LBB252_103
.LBB252_99:                             ;   in Loop: Header=BB252_97 Depth=1
	s_or_b32 exec_lo, exec_lo, s0
	s_and_saveexec_b32 s0, s1
	s_cbranch_execnz .LBB252_104
	s_branch .LBB252_107
.LBB252_100:                            ;   in Loop: Header=BB252_97 Depth=1
	s_mov_b32 s1, -1
	s_mov_b32 s7, exec_lo
	v_cmpx_eq_u16_e32 0x80, v1
; %bb.101:                              ;   in Loop: Header=BB252_97 Depth=1
	s_xor_b32 s1, exec_lo, -1
; %bb.102:                              ;   in Loop: Header=BB252_97 Depth=1
	s_wait_alu 0xfffe
	s_or_b32 exec_lo, exec_lo, s7
	s_delay_alu instid0(SALU_CYCLE_1)
	s_and_b32 s1, s1, exec_lo
                                        ; implicit-def: $vgpr1
	s_or_saveexec_b32 s0, s0
	v_mov_b32_e32 v25, 0x8000
	s_wait_alu 0xfffe
	s_xor_b32 exec_lo, exec_lo, s0
	s_cbranch_execz .LBB252_99
.LBB252_103:                            ;   in Loop: Header=BB252_97 Depth=1
	v_cmp_ne_u16_e32 vcc_lo, 0, v1
	v_and_b32_e32 v25, 0xffff, v1
	s_and_not1_b32 s1, s1, exec_lo
	s_and_b32 s7, vcc_lo, exec_lo
	s_wait_alu 0xfffe
	s_or_b32 s1, s1, s7
	s_or_b32 exec_lo, exec_lo, s0
	s_wait_alu 0xfffe
	s_and_saveexec_b32 s0, s1
	s_cbranch_execz .LBB252_107
.LBB252_104:                            ;   in Loop: Header=BB252_97 Depth=1
	v_and_b32_e32 v1, 0x7f, v7
	v_mov_b32_e32 v25, 0x7c01
	s_mov_b32 s1, exec_lo
	s_delay_alu instid0(VALU_DEP_2)
	v_cmpx_ne_u32_e32 0x7f, v1
	s_cbranch_execz .LBB252_106
; %bb.105:                              ;   in Loop: Header=BB252_97 Depth=1
	v_and_b32_e32 v27, 7, v7
	v_cmp_gt_u32_e32 vcc_lo, 8, v1
	s_delay_alu instid0(VALU_DEP_2) | instskip(NEXT) | instid1(VALU_DEP_1)
	v_clz_i32_u32_e32 v25, v27
	v_min_u32_e32 v28, 32, v25
	s_delay_alu instid0(VALU_DEP_1) | instskip(SKIP_1) | instid1(VALU_DEP_2)
	v_subrev_nc_u32_e32 v25, 28, v28
	v_sub_nc_u32_e32 v28, 29, v28
	v_lshlrev_b64_e32 v[25:26], v25, v[7:8]
	v_lshrrev_b32_e32 v26, 3, v1
	s_delay_alu instid0(VALU_DEP_2) | instskip(SKIP_1) | instid1(VALU_DEP_1)
	v_and_b32_e32 v25, 7, v25
	s_wait_alu 0xfffd
	v_cndmask_b32_e32 v1, v27, v25, vcc_lo
	s_delay_alu instid0(VALU_DEP_3) | instskip(NEXT) | instid1(VALU_DEP_1)
	v_dual_cndmask_b32 v25, v26, v28 :: v_dual_lshlrev_b32 v26, 8, v7
	v_lshl_add_u32 v25, v25, 10, 0x2000
	s_delay_alu instid0(VALU_DEP_1) | instskip(NEXT) | instid1(VALU_DEP_1)
	v_and_b32_e32 v25, 0xfc00, v25
	v_and_or_b32 v25, 0x8000, v26, v25
	s_delay_alu instid0(VALU_DEP_1)
	v_lshl_or_b32 v25, v1, 7, v25
.LBB252_106:                            ;   in Loop: Header=BB252_97 Depth=1
	s_wait_alu 0xfffe
	s_or_b32 exec_lo, exec_lo, s1
.LBB252_107:                            ;   in Loop: Header=BB252_97 Depth=1
	s_wait_alu 0xfffe
	s_or_b32 exec_lo, exec_lo, s0
	v_lshrrev_b16 v1, 8, v7
	s_mov_b32 s1, 0
	s_mov_b32 s0, exec_lo
	s_delay_alu instid0(VALU_DEP_1)
	v_cmpx_lt_i16_e32 0x7f, v1
	s_wait_alu 0xfffe
	s_xor_b32 s0, exec_lo, s0
	s_cbranch_execz .LBB252_111
; %bb.108:                              ;   in Loop: Header=BB252_97 Depth=1
	s_mov_b32 s1, -1
	s_mov_b32 s7, exec_lo
	v_cmpx_eq_u16_e32 0x80, v1
; %bb.109:                              ;   in Loop: Header=BB252_97 Depth=1
	s_xor_b32 s1, exec_lo, -1
; %bb.110:                              ;   in Loop: Header=BB252_97 Depth=1
	s_wait_alu 0xfffe
	s_or_b32 exec_lo, exec_lo, s7
	s_delay_alu instid0(SALU_CYCLE_1)
	s_and_b32 s1, s1, exec_lo
.LBB252_111:                            ;   in Loop: Header=BB252_97 Depth=1
	s_wait_alu 0xfffe
	s_or_saveexec_b32 s0, s0
	v_bfrev_b32_e32 v26, 1
	v_and_b32_e32 v27, 0xffff, v1
	s_wait_alu 0xfffe
	s_xor_b32 exec_lo, exec_lo, s0
; %bb.112:                              ;   in Loop: Header=BB252_97 Depth=1
	v_cmp_ne_u16_e32 vcc_lo, 0, v1
	s_delay_alu instid0(VALU_DEP_2)
	v_mov_b32_e32 v26, v27
	s_and_not1_b32 s1, s1, exec_lo
	s_and_b32 s7, vcc_lo, exec_lo
	s_wait_alu 0xfffe
	s_or_b32 s1, s1, s7
; %bb.113:                              ;   in Loop: Header=BB252_97 Depth=1
	s_or_b32 exec_lo, exec_lo, s0
	s_wait_alu 0xfffe
	s_and_saveexec_b32 s0, s1
	s_cbranch_execz .LBB252_117
; %bb.114:                              ;   in Loop: Header=BB252_97 Depth=1
	v_and_b32_e32 v28, 0x7f, v27
	v_mov_b32_e32 v26, 0x7c010000
	s_mov_b32 s1, exec_lo
	s_delay_alu instid0(VALU_DEP_2)
	v_cmpx_ne_u32_e32 0x7f, v28
	s_cbranch_execz .LBB252_116
; %bb.115:                              ;   in Loop: Header=BB252_97 Depth=1
	v_cmp_gt_u32_e32 vcc_lo, 8, v28
	v_and_b32_e32 v26, 7, v27
	v_lshlrev_b32_e32 v27, 8, v27
	s_delay_alu instid0(VALU_DEP_2) | instskip(NEXT) | instid1(VALU_DEP_1)
	v_clz_i32_u32_e32 v29, v26
	v_min_u32_e32 v31, 32, v29
	s_delay_alu instid0(VALU_DEP_1) | instskip(NEXT) | instid1(VALU_DEP_1)
	v_subrev_nc_u32_e32 v29, 28, v31
	v_lshlrev_b64_e32 v[29:30], v29, v[1:2]
	v_lshrrev_b32_e32 v1, 3, v28
	v_sub_nc_u32_e32 v30, 29, v31
	s_delay_alu instid0(VALU_DEP_3) | instskip(SKIP_1) | instid1(VALU_DEP_1)
	v_and_b32_e32 v29, 7, v29
	s_wait_alu 0xfffd
	v_dual_cndmask_b32 v1, v1, v30 :: v_dual_cndmask_b32 v26, v26, v29
	s_delay_alu instid0(VALU_DEP_1) | instskip(NEXT) | instid1(VALU_DEP_1)
	v_lshl_add_u32 v1, v1, 10, 0x2000
	v_and_or_b32 v1, 0x8000, v27, v1
	s_delay_alu instid0(VALU_DEP_1) | instskip(NEXT) | instid1(VALU_DEP_1)
	v_lshlrev_b32_e32 v1, 16, v1
	v_lshl_or_b32 v26, v26, 23, v1
.LBB252_116:                            ;   in Loop: Header=BB252_97 Depth=1
	s_wait_alu 0xfffe
	s_or_b32 exec_lo, exec_lo, s1
.LBB252_117:                            ;   in Loop: Header=BB252_97 Depth=1
	s_wait_alu 0xfffe
	s_or_b32 exec_lo, exec_lo, s0
	v_lshrrev_b32_e32 v1, 16, v7
	s_mov_b32 s1, 0
	s_mov_b32 s0, exec_lo
	s_delay_alu instid0(VALU_DEP_1) | instskip(NEXT) | instid1(VALU_DEP_1)
	v_and_b32_e32 v28, 0xff, v1
	v_cmpx_lt_i16_e32 0x7f, v28
	s_wait_alu 0xfffe
	s_xor_b32 s0, exec_lo, s0
	s_cbranch_execnz .LBB252_120
; %bb.118:                              ;   in Loop: Header=BB252_97 Depth=1
	s_wait_alu 0xfffe
	s_or_saveexec_b32 s0, s0
	v_mov_b32_e32 v27, 0x8000
	s_wait_alu 0xfffe
	s_xor_b32 exec_lo, exec_lo, s0
	s_cbranch_execnz .LBB252_123
.LBB252_119:                            ;   in Loop: Header=BB252_97 Depth=1
	s_or_b32 exec_lo, exec_lo, s0
	s_and_saveexec_b32 s0, s1
	s_cbranch_execnz .LBB252_124
	s_branch .LBB252_127
.LBB252_120:                            ;   in Loop: Header=BB252_97 Depth=1
	s_mov_b32 s1, -1
	s_mov_b32 s7, exec_lo
	v_cmpx_eq_u16_e32 0x80, v28
; %bb.121:                              ;   in Loop: Header=BB252_97 Depth=1
	s_xor_b32 s1, exec_lo, -1
; %bb.122:                              ;   in Loop: Header=BB252_97 Depth=1
	s_wait_alu 0xfffe
	s_or_b32 exec_lo, exec_lo, s7
	s_delay_alu instid0(SALU_CYCLE_1)
	s_and_b32 s1, s1, exec_lo
                                        ; implicit-def: $vgpr28
	s_or_saveexec_b32 s0, s0
	v_mov_b32_e32 v27, 0x8000
	s_wait_alu 0xfffe
	s_xor_b32 exec_lo, exec_lo, s0
	s_cbranch_execz .LBB252_119
.LBB252_123:                            ;   in Loop: Header=BB252_97 Depth=1
	v_cmp_ne_u16_e32 vcc_lo, 0, v28
	v_and_b32_e32 v27, 0xffff, v28
	s_and_not1_b32 s1, s1, exec_lo
	s_and_b32 s7, vcc_lo, exec_lo
	s_wait_alu 0xfffe
	s_or_b32 s1, s1, s7
	s_or_b32 exec_lo, exec_lo, s0
	s_wait_alu 0xfffe
	s_and_saveexec_b32 s0, s1
	s_cbranch_execz .LBB252_127
.LBB252_124:                            ;   in Loop: Header=BB252_97 Depth=1
	v_and_b32_e32 v28, 0x7f, v1
	v_mov_b32_e32 v27, 0x7c01
	s_mov_b32 s1, exec_lo
	s_delay_alu instid0(VALU_DEP_2)
	v_cmpx_ne_u32_e32 0x7f, v28
	s_cbranch_execz .LBB252_126
; %bb.125:                              ;   in Loop: Header=BB252_97 Depth=1
	v_cmp_gt_u32_e32 vcc_lo, 8, v28
	v_and_b32_e32 v27, 7, v1
	s_delay_alu instid0(VALU_DEP_1) | instskip(NEXT) | instid1(VALU_DEP_1)
	v_clz_i32_u32_e32 v29, v27
	v_min_u32_e32 v31, 32, v29
	s_delay_alu instid0(VALU_DEP_1) | instskip(SKIP_1) | instid1(VALU_DEP_2)
	v_subrev_nc_u32_e32 v29, 28, v31
	v_sub_nc_u32_e32 v31, 29, v31
	v_lshlrev_b64_e32 v[29:30], v29, v[1:2]
	v_lshrrev_b32_e32 v30, 3, v28
	s_wait_alu 0xfffd
	s_delay_alu instid0(VALU_DEP_1) | instskip(NEXT) | instid1(VALU_DEP_3)
	v_dual_cndmask_b32 v28, v30, v31 :: v_dual_lshlrev_b32 v1, 8, v1
	v_and_b32_e32 v29, 7, v29
	s_delay_alu instid0(VALU_DEP_2) | instskip(NEXT) | instid1(VALU_DEP_1)
	v_lshl_add_u32 v28, v28, 10, 0x2000
	v_dual_cndmask_b32 v27, v27, v29 :: v_dual_and_b32 v28, 0xfc00, v28
	s_delay_alu instid0(VALU_DEP_1) | instskip(NEXT) | instid1(VALU_DEP_1)
	v_and_or_b32 v1, 0x8000, v1, v28
	v_lshl_or_b32 v27, v27, 7, v1
.LBB252_126:                            ;   in Loop: Header=BB252_97 Depth=1
	s_wait_alu 0xfffe
	s_or_b32 exec_lo, exec_lo, s1
.LBB252_127:                            ;   in Loop: Header=BB252_97 Depth=1
	s_wait_alu 0xfffe
	s_or_b32 exec_lo, exec_lo, s0
	v_lshrrev_b32_e32 v1, 24, v7
	v_bfe_u32 v29, v7, 24, 7
	v_cmp_gt_u32_e64 s1, 0x1000000, v7
	s_delay_alu instid0(VALU_DEP_3) | instskip(NEXT) | instid1(VALU_DEP_3)
	v_cmp_eq_u32_e32 vcc_lo, 0x80, v1
	v_cmp_eq_u32_e64 s0, 0x7f, v29
	s_wait_alu 0xfffd
	v_cndmask_b32_e32 v28, 0x7c010000, v12, vcc_lo
	s_or_b32 s0, vcc_lo, s0
	s_delay_alu instid0(VALU_DEP_1)
	v_cndmask_b32_e64 v28, v28, 0, s1
	s_wait_alu 0xfffe
	s_nor_b32 s1, s1, s0
	s_wait_alu 0xfffe
	s_and_saveexec_b32 s0, s1
	s_cbranch_execz .LBB252_129
; %bb.128:                              ;   in Loop: Header=BB252_97 Depth=1
	v_cmp_gt_u32_e32 vcc_lo, 8, v29
	v_and_b32_e32 v28, 7, v1
	s_delay_alu instid0(VALU_DEP_1) | instskip(NEXT) | instid1(VALU_DEP_1)
	v_clz_i32_u32_e32 v30, v28
	v_min_u32_e32 v32, 32, v30
	s_delay_alu instid0(VALU_DEP_1) | instskip(SKIP_1) | instid1(VALU_DEP_2)
	v_subrev_nc_u32_e32 v30, 28, v32
	v_sub_nc_u32_e32 v32, 29, v32
	v_lshlrev_b64_e32 v[30:31], v30, v[1:2]
	v_lshrrev_b32_e32 v31, 3, v29
	v_lshlrev_b32_e32 v1, 8, v1
	s_wait_alu 0xfffd
	s_delay_alu instid0(VALU_DEP_2) | instskip(NEXT) | instid1(VALU_DEP_1)
	v_dual_cndmask_b32 v29, v31, v32 :: v_dual_and_b32 v30, 7, v30
	v_cndmask_b32_e32 v28, v28, v30, vcc_lo
	s_delay_alu instid0(VALU_DEP_2) | instskip(NEXT) | instid1(VALU_DEP_1)
	v_lshl_add_u32 v29, v29, 10, 0x2000
	v_and_or_b32 v1, 0x8000, v1, v29
	s_delay_alu instid0(VALU_DEP_1) | instskip(NEXT) | instid1(VALU_DEP_1)
	v_lshlrev_b32_e32 v1, 16, v1
	v_lshl_or_b32 v28, v28, 23, v1
.LBB252_129:                            ;   in Loop: Header=BB252_97 Depth=1
	s_wait_alu 0xfffe
	s_or_b32 exec_lo, exec_lo, s0
	v_and_b32_e32 v1, 0xff, v8
	s_mov_b32 s1, 0
	s_mov_b32 s0, exec_lo
	s_delay_alu instid0(VALU_DEP_1)
	v_cmpx_lt_i16_e32 0x7f, v1
	s_wait_alu 0xfffe
	s_xor_b32 s0, exec_lo, s0
	s_cbranch_execnz .LBB252_132
; %bb.130:                              ;   in Loop: Header=BB252_97 Depth=1
	s_wait_alu 0xfffe
	s_or_saveexec_b32 s0, s0
	v_mov_b32_e32 v29, 0x8000
	s_wait_alu 0xfffe
	s_xor_b32 exec_lo, exec_lo, s0
	s_cbranch_execnz .LBB252_135
.LBB252_131:                            ;   in Loop: Header=BB252_97 Depth=1
	s_or_b32 exec_lo, exec_lo, s0
	v_mov_b32_e32 v1, v8
	s_and_saveexec_b32 s0, s1
	s_cbranch_execnz .LBB252_136
	s_branch .LBB252_139
.LBB252_132:                            ;   in Loop: Header=BB252_97 Depth=1
	s_mov_b32 s1, -1
	s_mov_b32 s7, exec_lo
	v_cmpx_eq_u16_e32 0x80, v1
; %bb.133:                              ;   in Loop: Header=BB252_97 Depth=1
	s_xor_b32 s1, exec_lo, -1
; %bb.134:                              ;   in Loop: Header=BB252_97 Depth=1
	s_wait_alu 0xfffe
	s_or_b32 exec_lo, exec_lo, s7
	s_delay_alu instid0(SALU_CYCLE_1)
	s_and_b32 s1, s1, exec_lo
                                        ; implicit-def: $vgpr1
	s_or_saveexec_b32 s0, s0
	v_mov_b32_e32 v29, 0x8000
	s_wait_alu 0xfffe
	s_xor_b32 exec_lo, exec_lo, s0
	s_cbranch_execz .LBB252_131
.LBB252_135:                            ;   in Loop: Header=BB252_97 Depth=1
	v_cmp_ne_u16_e32 vcc_lo, 0, v1
	v_and_b32_e32 v29, 0xffff, v1
	s_and_not1_b32 s1, s1, exec_lo
	s_and_b32 s7, vcc_lo, exec_lo
	s_wait_alu 0xfffe
	s_or_b32 s1, s1, s7
	s_or_b32 exec_lo, exec_lo, s0
	v_mov_b32_e32 v1, v8
	s_wait_alu 0xfffe
	s_and_saveexec_b32 s0, s1
	s_cbranch_execz .LBB252_139
.LBB252_136:                            ;   in Loop: Header=BB252_97 Depth=1
	v_and_b32_e32 v30, 0x7f, v8
	v_mov_b32_e32 v29, 0x7c01
	s_mov_b32 s1, exec_lo
	s_delay_alu instid0(VALU_DEP_2)
	v_cmpx_ne_u32_e32 0x7f, v30
	s_cbranch_execz .LBB252_138
; %bb.137:                              ;   in Loop: Header=BB252_97 Depth=1
	v_cmp_gt_u32_e32 vcc_lo, 8, v30
	v_and_b32_e32 v29, 7, v8
	s_delay_alu instid0(VALU_DEP_1) | instskip(NEXT) | instid1(VALU_DEP_1)
	v_clz_i32_u32_e32 v31, v29
	v_min_u32_e32 v33, 32, v31
	s_delay_alu instid0(VALU_DEP_1) | instskip(SKIP_1) | instid1(VALU_DEP_2)
	v_subrev_nc_u32_e32 v31, 28, v33
	v_sub_nc_u32_e32 v33, 29, v33
	v_lshlrev_b64_e32 v[31:32], v31, v[1:2]
	v_lshrrev_b32_e32 v32, 3, v30
	s_wait_alu 0xfffd
	s_delay_alu instid0(VALU_DEP_1) | instskip(NEXT) | instid1(VALU_DEP_1)
	v_dual_cndmask_b32 v30, v32, v33 :: v_dual_and_b32 v31, 7, v31
	v_lshl_add_u32 v30, v30, 10, 0x2000
	s_delay_alu instid0(VALU_DEP_2) | instskip(SKIP_1) | instid1(VALU_DEP_3)
	v_cndmask_b32_e32 v29, v29, v31, vcc_lo
	v_lshlrev_b32_e32 v31, 8, v8
	v_and_b32_e32 v30, 0xfc00, v30
	s_delay_alu instid0(VALU_DEP_1) | instskip(NEXT) | instid1(VALU_DEP_1)
	v_and_or_b32 v30, 0x8000, v31, v30
	v_lshl_or_b32 v29, v29, 7, v30
.LBB252_138:                            ;   in Loop: Header=BB252_97 Depth=1
	s_wait_alu 0xfffe
	s_or_b32 exec_lo, exec_lo, s1
.LBB252_139:                            ;   in Loop: Header=BB252_97 Depth=1
	s_wait_alu 0xfffe
	s_or_b32 exec_lo, exec_lo, s0
	v_lshrrev_b16 v1, 8, v1
	s_mov_b32 s1, 0
	s_mov_b32 s0, exec_lo
	s_delay_alu instid0(VALU_DEP_1)
	v_cmpx_lt_i16_e32 0x7f, v1
	s_wait_alu 0xfffe
	s_xor_b32 s0, exec_lo, s0
	s_cbranch_execz .LBB252_143
; %bb.140:                              ;   in Loop: Header=BB252_97 Depth=1
	s_mov_b32 s1, -1
	s_mov_b32 s7, exec_lo
	v_cmpx_eq_u16_e32 0x80, v1
; %bb.141:                              ;   in Loop: Header=BB252_97 Depth=1
	s_xor_b32 s1, exec_lo, -1
; %bb.142:                              ;   in Loop: Header=BB252_97 Depth=1
	s_wait_alu 0xfffe
	s_or_b32 exec_lo, exec_lo, s7
	s_delay_alu instid0(SALU_CYCLE_1)
	s_and_b32 s1, s1, exec_lo
.LBB252_143:                            ;   in Loop: Header=BB252_97 Depth=1
	s_wait_alu 0xfffe
	s_or_saveexec_b32 s0, s0
	v_bfrev_b32_e32 v30, 1
	v_and_b32_e32 v31, 0xffff, v1
	s_wait_alu 0xfffe
	s_xor_b32 exec_lo, exec_lo, s0
; %bb.144:                              ;   in Loop: Header=BB252_97 Depth=1
	v_cmp_ne_u16_e32 vcc_lo, 0, v1
	s_delay_alu instid0(VALU_DEP_2)
	v_mov_b32_e32 v30, v31
	s_and_not1_b32 s1, s1, exec_lo
	s_and_b32 s7, vcc_lo, exec_lo
	s_wait_alu 0xfffe
	s_or_b32 s1, s1, s7
; %bb.145:                              ;   in Loop: Header=BB252_97 Depth=1
	s_or_b32 exec_lo, exec_lo, s0
	s_wait_alu 0xfffe
	s_and_saveexec_b32 s0, s1
	s_cbranch_execz .LBB252_149
; %bb.146:                              ;   in Loop: Header=BB252_97 Depth=1
	v_and_b32_e32 v32, 0x7f, v31
	v_mov_b32_e32 v30, 0x7c010000
	s_mov_b32 s1, exec_lo
	s_delay_alu instid0(VALU_DEP_2)
	v_cmpx_ne_u32_e32 0x7f, v32
	s_cbranch_execz .LBB252_148
; %bb.147:                              ;   in Loop: Header=BB252_97 Depth=1
	v_cmp_gt_u32_e32 vcc_lo, 8, v32
	v_and_b32_e32 v30, 7, v31
	v_lshlrev_b32_e32 v31, 8, v31
	s_delay_alu instid0(VALU_DEP_2) | instskip(NEXT) | instid1(VALU_DEP_1)
	v_clz_i32_u32_e32 v33, v30
	v_min_u32_e32 v35, 32, v33
	s_delay_alu instid0(VALU_DEP_1) | instskip(NEXT) | instid1(VALU_DEP_1)
	v_subrev_nc_u32_e32 v33, 28, v35
	v_lshlrev_b64_e32 v[33:34], v33, v[1:2]
	v_lshrrev_b32_e32 v1, 3, v32
	v_sub_nc_u32_e32 v34, 29, v35
	s_delay_alu instid0(VALU_DEP_3) | instskip(SKIP_1) | instid1(VALU_DEP_1)
	v_and_b32_e32 v33, 7, v33
	s_wait_alu 0xfffd
	v_dual_cndmask_b32 v1, v1, v34 :: v_dual_cndmask_b32 v30, v30, v33
	s_delay_alu instid0(VALU_DEP_1) | instskip(NEXT) | instid1(VALU_DEP_1)
	v_lshl_add_u32 v1, v1, 10, 0x2000
	v_and_or_b32 v1, 0x8000, v31, v1
	s_delay_alu instid0(VALU_DEP_1) | instskip(NEXT) | instid1(VALU_DEP_1)
	v_lshlrev_b32_e32 v1, 16, v1
	v_lshl_or_b32 v30, v30, 23, v1
.LBB252_148:                            ;   in Loop: Header=BB252_97 Depth=1
	s_wait_alu 0xfffe
	s_or_b32 exec_lo, exec_lo, s1
.LBB252_149:                            ;   in Loop: Header=BB252_97 Depth=1
	s_wait_alu 0xfffe
	s_or_b32 exec_lo, exec_lo, s0
	v_lshrrev_b32_e32 v1, 16, v8
	s_mov_b32 s1, 0
	s_mov_b32 s0, exec_lo
	s_delay_alu instid0(VALU_DEP_1) | instskip(NEXT) | instid1(VALU_DEP_1)
	v_and_b32_e32 v32, 0xff, v1
	v_cmpx_lt_i16_e32 0x7f, v32
	s_wait_alu 0xfffe
	s_xor_b32 s0, exec_lo, s0
	s_cbranch_execnz .LBB252_152
; %bb.150:                              ;   in Loop: Header=BB252_97 Depth=1
	s_wait_alu 0xfffe
	s_or_saveexec_b32 s0, s0
	v_mov_b32_e32 v31, 0x8000
	s_wait_alu 0xfffe
	s_xor_b32 exec_lo, exec_lo, s0
	s_cbranch_execnz .LBB252_155
.LBB252_151:                            ;   in Loop: Header=BB252_97 Depth=1
	s_or_b32 exec_lo, exec_lo, s0
	s_and_saveexec_b32 s0, s1
	s_cbranch_execnz .LBB252_156
	s_branch .LBB252_159
.LBB252_152:                            ;   in Loop: Header=BB252_97 Depth=1
	s_mov_b32 s1, -1
	s_mov_b32 s7, exec_lo
	v_cmpx_eq_u16_e32 0x80, v32
; %bb.153:                              ;   in Loop: Header=BB252_97 Depth=1
	s_xor_b32 s1, exec_lo, -1
; %bb.154:                              ;   in Loop: Header=BB252_97 Depth=1
	s_wait_alu 0xfffe
	s_or_b32 exec_lo, exec_lo, s7
	s_delay_alu instid0(SALU_CYCLE_1)
	s_and_b32 s1, s1, exec_lo
                                        ; implicit-def: $vgpr32
	s_or_saveexec_b32 s0, s0
	v_mov_b32_e32 v31, 0x8000
	s_wait_alu 0xfffe
	s_xor_b32 exec_lo, exec_lo, s0
	s_cbranch_execz .LBB252_151
.LBB252_155:                            ;   in Loop: Header=BB252_97 Depth=1
	v_cmp_ne_u16_e32 vcc_lo, 0, v32
	v_and_b32_e32 v31, 0xffff, v32
	s_and_not1_b32 s1, s1, exec_lo
	s_and_b32 s7, vcc_lo, exec_lo
	s_wait_alu 0xfffe
	s_or_b32 s1, s1, s7
	s_or_b32 exec_lo, exec_lo, s0
	s_wait_alu 0xfffe
	s_and_saveexec_b32 s0, s1
	s_cbranch_execz .LBB252_159
.LBB252_156:                            ;   in Loop: Header=BB252_97 Depth=1
	v_and_b32_e32 v32, 0x7f, v1
	v_mov_b32_e32 v31, 0x7c01
	s_mov_b32 s1, exec_lo
	s_delay_alu instid0(VALU_DEP_2)
	v_cmpx_ne_u32_e32 0x7f, v32
	s_cbranch_execz .LBB252_158
; %bb.157:                              ;   in Loop: Header=BB252_97 Depth=1
	v_cmp_gt_u32_e32 vcc_lo, 8, v32
	v_and_b32_e32 v31, 7, v1
	s_delay_alu instid0(VALU_DEP_1) | instskip(NEXT) | instid1(VALU_DEP_1)
	v_clz_i32_u32_e32 v33, v31
	v_min_u32_e32 v35, 32, v33
	s_delay_alu instid0(VALU_DEP_1) | instskip(SKIP_1) | instid1(VALU_DEP_2)
	v_subrev_nc_u32_e32 v33, 28, v35
	v_sub_nc_u32_e32 v35, 29, v35
	v_lshlrev_b64_e32 v[33:34], v33, v[1:2]
	v_lshrrev_b32_e32 v34, 3, v32
	s_wait_alu 0xfffd
	s_delay_alu instid0(VALU_DEP_1) | instskip(NEXT) | instid1(VALU_DEP_3)
	v_dual_cndmask_b32 v32, v34, v35 :: v_dual_lshlrev_b32 v1, 8, v1
	v_and_b32_e32 v33, 7, v33
	s_delay_alu instid0(VALU_DEP_2) | instskip(NEXT) | instid1(VALU_DEP_1)
	v_lshl_add_u32 v32, v32, 10, 0x2000
	v_dual_cndmask_b32 v31, v31, v33 :: v_dual_and_b32 v32, 0xfc00, v32
	s_delay_alu instid0(VALU_DEP_1) | instskip(NEXT) | instid1(VALU_DEP_1)
	v_and_or_b32 v1, 0x8000, v1, v32
	v_lshl_or_b32 v31, v31, 7, v1
.LBB252_158:                            ;   in Loop: Header=BB252_97 Depth=1
	s_wait_alu 0xfffe
	s_or_b32 exec_lo, exec_lo, s1
.LBB252_159:                            ;   in Loop: Header=BB252_97 Depth=1
	s_wait_alu 0xfffe
	s_or_b32 exec_lo, exec_lo, s0
	v_lshrrev_b32_e32 v1, 24, v8
	v_bfe_u32 v32, v8, 24, 7
	v_cmp_gt_u64_e64 s1, s[2:3], v[7:8]
	s_delay_alu instid0(VALU_DEP_3) | instskip(NEXT) | instid1(VALU_DEP_3)
	v_cmp_eq_u32_e32 vcc_lo, 0x80, v1
	v_cmp_eq_u32_e64 s0, 0x7f, v32
	s_wait_alu 0xfffd
	v_cndmask_b32_e32 v33, 0x7c010000, v12, vcc_lo
	s_or_b32 s0, vcc_lo, s0
	s_delay_alu instid0(VALU_DEP_1)
	v_cndmask_b32_e64 v7, v33, 0, s1
	s_wait_alu 0xfffe
	s_nor_b32 s1, s1, s0
	s_wait_alu 0xfffe
	s_and_saveexec_b32 s0, s1
	s_cbranch_execz .LBB252_161
; %bb.160:                              ;   in Loop: Header=BB252_97 Depth=1
	v_cmp_gt_u32_e32 vcc_lo, 8, v32
	v_and_b32_e32 v33, 7, v1
	s_delay_alu instid0(VALU_DEP_1) | instskip(NEXT) | instid1(VALU_DEP_1)
	v_clz_i32_u32_e32 v7, v33
	v_min_u32_e32 v34, 32, v7
	s_delay_alu instid0(VALU_DEP_1) | instskip(SKIP_1) | instid1(VALU_DEP_2)
	v_subrev_nc_u32_e32 v7, 28, v34
	v_sub_nc_u32_e32 v34, 29, v34
	v_lshlrev_b64_e32 v[7:8], v7, v[1:2]
	v_lshrrev_b32_e32 v8, 3, v32
	s_wait_alu 0xfffd
	s_delay_alu instid0(VALU_DEP_1) | instskip(NEXT) | instid1(VALU_DEP_3)
	v_dual_cndmask_b32 v8, v8, v34 :: v_dual_lshlrev_b32 v1, 8, v1
	v_and_b32_e32 v7, 7, v7
	s_delay_alu instid0(VALU_DEP_2) | instskip(NEXT) | instid1(VALU_DEP_2)
	v_lshl_add_u32 v8, v8, 10, 0x2000
	v_cndmask_b32_e32 v7, v33, v7, vcc_lo
	s_delay_alu instid0(VALU_DEP_2) | instskip(NEXT) | instid1(VALU_DEP_1)
	v_and_or_b32 v1, 0x8000, v1, v8
	v_lshlrev_b32_e32 v1, 16, v1
	s_delay_alu instid0(VALU_DEP_1)
	v_lshl_or_b32 v7, v7, 23, v1
.LBB252_161:                            ;   in Loop: Header=BB252_97 Depth=1
	s_wait_alu 0xfffe
	s_or_b32 exec_lo, exec_lo, s0
	v_or_b32_e32 v1, v28, v27
	s_wait_loadcnt 0x0
	v_fma_mixlo_f16 v8, v24, v28, 0 op_sel:[0,1,0] op_sel_hi:[0,1,0]
	v_or_b32_e32 v25, v26, v25
	v_or_b32_e32 v28, v30, v29
	;; [unrolled: 1-line block ×3, first 2 shown]
	v_fma_mixlo_f16 v26, v24, v26, 0 op_sel:[0,1,0] op_sel_hi:[0,1,0]
	v_fma_mixlo_f16 v29, v24, v1, 0 op_sel_hi:[0,1,0]
	v_lshlrev_b32_e32 v1, 16, v8
	v_fma_mixlo_f16 v8, v24, v25, 0 op_sel_hi:[0,1,0]
	v_fma_mixlo_f16 v25, v24, v30, 0 op_sel:[0,1,0] op_sel_hi:[0,1,0]
	v_fma_mixlo_f16 v28, v24, v28, 0 op_sel_hi:[0,1,0]
	v_fma_mixlo_f16 v7, v24, v7, 0 op_sel:[0,1,0] op_sel_hi:[0,1,0]
	v_fma_mixlo_f16 v24, v24, v31, 0 op_sel_hi:[0,1,0]
	v_lshlrev_b32_e32 v27, 16, v26
	v_and_b32_e32 v26, 0xffff, v29
	v_and_b32_e32 v32, 0xffff, v8
	v_lshlrev_b32_e32 v8, 16, v25
	v_and_b32_e32 v25, 0xffff, v28
	v_lshlrev_b32_e32 v7, 16, v7
	v_and_b32_e32 v24, 0xffff, v24
	v_or_b32_e32 v28, v1, v26
	v_or_b32_e32 v29, v27, v32
	;; [unrolled: 1-line block ×3, first 2 shown]
	s_mov_b32 s0, exec_lo
	v_or_b32_e32 v31, v7, v24
	v_cmpx_eq_u32_e64 s30, v10
	s_cbranch_execz .LBB252_96
; %bb.162:                              ;   in Loop: Header=BB252_97 Depth=1
	v_add_nc_u32_e32 v28, -7, v13
	v_add_nc_u32_e32 v30, -5, v13
	v_add_nc_u32_e32 v31, -2, v13
	s_delay_alu instid0(VALU_DEP_3) | instskip(SKIP_2) | instid1(VALU_DEP_1)
	v_cmp_gt_i32_e32 vcc_lo, s26, v28
	s_wait_alu 0xfffd
	v_dual_cndmask_b32 v28, 0, v32 :: v_dual_add_nc_u32 v29, -6, v13
	v_cmp_gt_i32_e32 vcc_lo, s26, v29
	s_wait_alu 0xfffd
	v_cndmask_b32_e32 v27, 0, v27, vcc_lo
	v_cmp_gt_i32_e32 vcc_lo, s26, v30
	v_add_nc_u32_e32 v29, -4, v13
	v_add_nc_u32_e32 v30, -3, v13
	s_wait_alu 0xfffd
	v_cndmask_b32_e32 v26, 0, v26, vcc_lo
	s_delay_alu instid0(VALU_DEP_3)
	v_cmp_gt_i32_e32 vcc_lo, s26, v29
	v_add_nc_u32_e32 v29, -1, v13
	s_wait_alu 0xfffd
	v_cndmask_b32_e32 v1, 0, v1, vcc_lo
	v_cmp_gt_i32_e32 vcc_lo, s26, v30
	s_wait_alu 0xfffd
	v_cndmask_b32_e32 v25, 0, v25, vcc_lo
	v_cmp_gt_i32_e32 vcc_lo, s26, v31
	;; [unrolled: 3-line block ×3, first 2 shown]
	v_or_b32_e32 v29, v27, v28
	s_delay_alu instid0(VALU_DEP_3)
	v_or_b32_e32 v30, v8, v25
	s_wait_alu 0xfffd
	v_cndmask_b32_e32 v24, 0, v24, vcc_lo
	v_cmp_gt_i32_e32 vcc_lo, s26, v13
	v_or_b32_e32 v28, v1, v26
	s_wait_alu 0xfffd
	v_cndmask_b32_e32 v7, 0, v7, vcc_lo
	s_delay_alu instid0(VALU_DEP_1)
	v_or_b32_e32 v31, v7, v24
	s_branch .LBB252_96
.LBB252_163:
	s_or_b32 exec_lo, exec_lo, s6
.LBB252_164:
	s_wait_alu 0xfffe
	s_or_b32 exec_lo, exec_lo, s4
	v_and_b32_e32 v1, 0x3c0, v0
	v_lshl_add_u32 v2, v11, 2, 0x60
	s_mov_b32 s0, exec_lo
	s_wait_loadcnt 0x0
	s_wait_storecnt 0x0
	s_barrier_signal -1
	s_barrier_wait -1
	global_inv scope:SCOPE_SE
	v_cmpx_eq_u32_e32 64, v1
; %bb.165:
	v_lshlrev_b32_e32 v1, 7, v9
	s_delay_alu instid0(VALU_DEP_1)
	v_add3_u32 v1, v2, v1, 0xffffff00
	ds_store_b32 v1, v14
; %bb.166:
	s_wait_alu 0xfffe
	s_or_b32 exec_lo, exec_lo, s0
	v_and_b32_e32 v3, 0x3e0, v0
	s_mov_b32 s0, exec_lo
	s_wait_loadcnt_dscnt 0x0
	s_barrier_signal -1
	s_barrier_wait -1
	v_lshl_add_u32 v1, v3, 2, v2
	global_inv scope:SCOPE_SE
	v_cmpx_gt_u32_e32 64, v0
	s_cbranch_execz .LBB252_168
; %bb.167:
	ds_load_b32 v4, v1
	s_wait_dscnt 0x0
	v_add_f32_e32 v14, v14, v4
.LBB252_168:
	s_wait_alu 0xfffe
	s_or_b32 exec_lo, exec_lo, s0
	s_delay_alu instid0(SALU_CYCLE_1)
	s_mov_b32 s0, exec_lo
	s_wait_loadcnt 0x0
	s_barrier_signal -1
	s_barrier_wait -1
	global_inv scope:SCOPE_SE
	v_cmpx_eq_u32_e32 32, v3
; %bb.169:
	ds_store_b32 v2, v14
; %bb.170:
	s_wait_alu 0xfffe
	s_or_b32 exec_lo, exec_lo, s0
	v_cmp_gt_u32_e32 vcc_lo, 32, v0
	s_wait_loadcnt_dscnt 0x0
	s_barrier_signal -1
	s_barrier_wait -1
	global_inv scope:SCOPE_SE
	s_and_saveexec_b32 s0, vcc_lo
	s_cbranch_execz .LBB252_172
; %bb.171:
	ds_load_b32 v0, v1
	s_wait_dscnt 0x0
	v_add_f32_e32 v14, v14, v0
.LBB252_172:
	s_wait_alu 0xfffe
	s_or_b32 exec_lo, exec_lo, s0
	s_wait_loadcnt 0x0
	s_barrier_signal -1
	s_barrier_wait -1
	global_inv scope:SCOPE_SE
	s_and_saveexec_b32 s0, vcc_lo
	s_cbranch_execz .LBB252_174
; %bb.173:
	s_lshl_b32 s0, s22, 5
	s_mul_i32 s2, s17, s16
	s_wait_alu 0xfffe
	s_ashr_i32 s1, s0, 31
	s_ashr_i32 s3, s2, 31
	s_wait_alu 0xfffe
	s_lshl_b64 s[0:1], s[0:1], 1
	s_lshl_b64 s[2:3], s[2:3], 1
	s_wait_kmcnt 0x0
	s_wait_alu 0xfffe
	s_add_nc_u64 s[0:1], s[8:9], s[0:1]
	v_lshlrev_b32_e32 v0, 1, v11
	s_wait_alu 0xfffe
	s_add_nc_u64 s[0:1], s[0:1], s[2:3]
	s_mov_b32 s13, 0
	;;#ASMSTART
	v_cvt_f16_f32 v1, v14;

	;;#ASMEND
	s_wait_alu 0xfffe
	s_add_nc_u64 s[0:1], s[0:1], s[12:13]
	global_store_b16 v0, v1, s[0:1]
.LBB252_174:
	s_endpgm
	.section	.rodata,"a",@progbits
	.p2align	6, 0x0
	.amdhsa_kernel _ZN4vllm25paged_attention_v2_kernelIthLi32ELi8ELi128ELNS_18Fp8KVCacheDataTypeE1ELb0ELi512EEEvPfS2_PT_PKS3_PKT0_S9_ifPKiSB_iPKfiiiSD_SD_iiiii
		.amdhsa_group_segment_fixed_size 96
		.amdhsa_private_segment_fixed_size 0
		.amdhsa_kernarg_size 400
		.amdhsa_user_sgpr_count 2
		.amdhsa_user_sgpr_dispatch_ptr 0
		.amdhsa_user_sgpr_queue_ptr 0
		.amdhsa_user_sgpr_kernarg_segment_ptr 1
		.amdhsa_user_sgpr_dispatch_id 0
		.amdhsa_user_sgpr_private_segment_size 0
		.amdhsa_wavefront_size32 1
		.amdhsa_uses_dynamic_stack 0
		.amdhsa_enable_private_segment 0
		.amdhsa_system_sgpr_workgroup_id_x 1
		.amdhsa_system_sgpr_workgroup_id_y 1
		.amdhsa_system_sgpr_workgroup_id_z 1
		.amdhsa_system_sgpr_workgroup_info 0
		.amdhsa_system_vgpr_workitem_id 0
		.amdhsa_next_free_vgpr 36
		.amdhsa_next_free_sgpr 38
		.amdhsa_reserve_vcc 1
		.amdhsa_float_round_mode_32 0
		.amdhsa_float_round_mode_16_64 0
		.amdhsa_float_denorm_mode_32 3
		.amdhsa_float_denorm_mode_16_64 3
		.amdhsa_fp16_overflow 0
		.amdhsa_workgroup_processor_mode 1
		.amdhsa_memory_ordered 1
		.amdhsa_forward_progress 1
		.amdhsa_inst_pref_size 65
		.amdhsa_round_robin_scheduling 0
		.amdhsa_exception_fp_ieee_invalid_op 0
		.amdhsa_exception_fp_denorm_src 0
		.amdhsa_exception_fp_ieee_div_zero 0
		.amdhsa_exception_fp_ieee_overflow 0
		.amdhsa_exception_fp_ieee_underflow 0
		.amdhsa_exception_fp_ieee_inexact 0
		.amdhsa_exception_int_div_zero 0
	.end_amdhsa_kernel
	.section	.text._ZN4vllm25paged_attention_v2_kernelIthLi32ELi8ELi128ELNS_18Fp8KVCacheDataTypeE1ELb0ELi512EEEvPfS2_PT_PKS3_PKT0_S9_ifPKiSB_iPKfiiiSD_SD_iiiii,"axG",@progbits,_ZN4vllm25paged_attention_v2_kernelIthLi32ELi8ELi128ELNS_18Fp8KVCacheDataTypeE1ELb0ELi512EEEvPfS2_PT_PKS3_PKT0_S9_ifPKiSB_iPKfiiiSD_SD_iiiii,comdat
.Lfunc_end252:
	.size	_ZN4vllm25paged_attention_v2_kernelIthLi32ELi8ELi128ELNS_18Fp8KVCacheDataTypeE1ELb0ELi512EEEvPfS2_PT_PKS3_PKT0_S9_ifPKiSB_iPKfiiiSD_SD_iiiii, .Lfunc_end252-_ZN4vllm25paged_attention_v2_kernelIthLi32ELi8ELi128ELNS_18Fp8KVCacheDataTypeE1ELb0ELi512EEEvPfS2_PT_PKS3_PKT0_S9_ifPKiSB_iPKfiiiSD_SD_iiiii
                                        ; -- End function
	.set _ZN4vllm25paged_attention_v2_kernelIthLi32ELi8ELi128ELNS_18Fp8KVCacheDataTypeE1ELb0ELi512EEEvPfS2_PT_PKS3_PKT0_S9_ifPKiSB_iPKfiiiSD_SD_iiiii.num_vgpr, 36
	.set _ZN4vllm25paged_attention_v2_kernelIthLi32ELi8ELi128ELNS_18Fp8KVCacheDataTypeE1ELb0ELi512EEEvPfS2_PT_PKS3_PKT0_S9_ifPKiSB_iPKfiiiSD_SD_iiiii.num_agpr, 0
	.set _ZN4vllm25paged_attention_v2_kernelIthLi32ELi8ELi128ELNS_18Fp8KVCacheDataTypeE1ELb0ELi512EEEvPfS2_PT_PKS3_PKT0_S9_ifPKiSB_iPKfiiiSD_SD_iiiii.numbered_sgpr, 38
	.set _ZN4vllm25paged_attention_v2_kernelIthLi32ELi8ELi128ELNS_18Fp8KVCacheDataTypeE1ELb0ELi512EEEvPfS2_PT_PKS3_PKT0_S9_ifPKiSB_iPKfiiiSD_SD_iiiii.num_named_barrier, 0
	.set _ZN4vllm25paged_attention_v2_kernelIthLi32ELi8ELi128ELNS_18Fp8KVCacheDataTypeE1ELb0ELi512EEEvPfS2_PT_PKS3_PKT0_S9_ifPKiSB_iPKfiiiSD_SD_iiiii.private_seg_size, 0
	.set _ZN4vllm25paged_attention_v2_kernelIthLi32ELi8ELi128ELNS_18Fp8KVCacheDataTypeE1ELb0ELi512EEEvPfS2_PT_PKS3_PKT0_S9_ifPKiSB_iPKfiiiSD_SD_iiiii.uses_vcc, 1
	.set _ZN4vllm25paged_attention_v2_kernelIthLi32ELi8ELi128ELNS_18Fp8KVCacheDataTypeE1ELb0ELi512EEEvPfS2_PT_PKS3_PKT0_S9_ifPKiSB_iPKfiiiSD_SD_iiiii.uses_flat_scratch, 0
	.set _ZN4vllm25paged_attention_v2_kernelIthLi32ELi8ELi128ELNS_18Fp8KVCacheDataTypeE1ELb0ELi512EEEvPfS2_PT_PKS3_PKT0_S9_ifPKiSB_iPKfiiiSD_SD_iiiii.has_dyn_sized_stack, 0
	.set _ZN4vllm25paged_attention_v2_kernelIthLi32ELi8ELi128ELNS_18Fp8KVCacheDataTypeE1ELb0ELi512EEEvPfS2_PT_PKS3_PKT0_S9_ifPKiSB_iPKfiiiSD_SD_iiiii.has_recursion, 0
	.set _ZN4vllm25paged_attention_v2_kernelIthLi32ELi8ELi128ELNS_18Fp8KVCacheDataTypeE1ELb0ELi512EEEvPfS2_PT_PKS3_PKT0_S9_ifPKiSB_iPKfiiiSD_SD_iiiii.has_indirect_call, 0
	.section	.AMDGPU.csdata,"",@progbits
; Kernel info:
; codeLenInByte = 8212
; TotalNumSgprs: 40
; NumVgprs: 36
; ScratchSize: 0
; MemoryBound: 0
; FloatMode: 240
; IeeeMode: 1
; LDSByteSize: 96 bytes/workgroup (compile time only)
; SGPRBlocks: 0
; VGPRBlocks: 4
; NumSGPRsForWavesPerEU: 40
; NumVGPRsForWavesPerEU: 36
; Occupancy: 16
; WaveLimiterHint : 1
; COMPUTE_PGM_RSRC2:SCRATCH_EN: 0
; COMPUTE_PGM_RSRC2:USER_SGPR: 2
; COMPUTE_PGM_RSRC2:TRAP_HANDLER: 0
; COMPUTE_PGM_RSRC2:TGID_X_EN: 1
; COMPUTE_PGM_RSRC2:TGID_Y_EN: 1
; COMPUTE_PGM_RSRC2:TGID_Z_EN: 1
; COMPUTE_PGM_RSRC2:TIDIG_COMP_CNT: 0
	.section	.text._ZN4vllm25paged_attention_v2_kernelIthLi64ELi8ELi128ELNS_18Fp8KVCacheDataTypeE1ELb0ELi512EEEvPfS2_PT_PKS3_PKT0_S9_ifPKiSB_iPKfiiiSD_SD_iiiii,"axG",@progbits,_ZN4vllm25paged_attention_v2_kernelIthLi64ELi8ELi128ELNS_18Fp8KVCacheDataTypeE1ELb0ELi512EEEvPfS2_PT_PKS3_PKT0_S9_ifPKiSB_iPKfiiiSD_SD_iiiii,comdat
	.protected	_ZN4vllm25paged_attention_v2_kernelIthLi64ELi8ELi128ELNS_18Fp8KVCacheDataTypeE1ELb0ELi512EEEvPfS2_PT_PKS3_PKT0_S9_ifPKiSB_iPKfiiiSD_SD_iiiii ; -- Begin function _ZN4vllm25paged_attention_v2_kernelIthLi64ELi8ELi128ELNS_18Fp8KVCacheDataTypeE1ELb0ELi512EEEvPfS2_PT_PKS3_PKT0_S9_ifPKiSB_iPKfiiiSD_SD_iiiii
	.globl	_ZN4vllm25paged_attention_v2_kernelIthLi64ELi8ELi128ELNS_18Fp8KVCacheDataTypeE1ELb0ELi512EEEvPfS2_PT_PKS3_PKT0_S9_ifPKiSB_iPKfiiiSD_SD_iiiii
	.p2align	8
	.type	_ZN4vllm25paged_attention_v2_kernelIthLi64ELi8ELi128ELNS_18Fp8KVCacheDataTypeE1ELb0ELi512EEEvPfS2_PT_PKS3_PKT0_S9_ifPKiSB_iPKfiiiSD_SD_iiiii,@function
_ZN4vllm25paged_attention_v2_kernelIthLi64ELi8ELi128ELNS_18Fp8KVCacheDataTypeE1ELb0ELi512EEEvPfS2_PT_PKS3_PKT0_S9_ifPKiSB_iPKfiiiSD_SD_iiiii: ; @_ZN4vllm25paged_attention_v2_kernelIthLi64ELi8ELi128ELNS_18Fp8KVCacheDataTypeE1ELb0ELi512EEEvPfS2_PT_PKS3_PKT0_S9_ifPKiSB_iPKfiiiSD_SD_iiiii
; %bb.0:
	s_load_b64 s[2:3], s[0:1], 0x40
	s_and_b32 s30, ttmp7, 0xffff
	s_lshr_b32 s29, ttmp7, 16
	s_lshl_b32 s4, s30, 2
	s_lshl_b32 s28, s29, 9
	s_wait_kmcnt 0x0
	s_load_b32 s26, s[2:3], s4 offset:0x0
	s_wait_kmcnt 0x0
	s_cmp_ge_i32 s28, s26
	s_cbranch_scc1 .LBB253_304
; %bb.1:
	s_clause 0x1
	s_load_b32 s31, s[0:1], 0x90
	s_load_b64 s[6:7], s[0:1], 0x30
	s_wait_kmcnt 0x0
	s_abs_i32 s5, s31
	s_abs_i32 s2, s6
	s_delay_alu instid0(SALU_CYCLE_1) | instskip(SKIP_1) | instid1(SALU_CYCLE_2)
	s_cvt_f32_u32 s3, s2
	s_sub_co_i32 s4, 0, s2
	v_rcp_iflag_f32_e32 v1, s3
	s_delay_alu instid0(TRANS32_DEP_1) | instskip(SKIP_2) | instid1(SALU_CYCLE_2)
	v_readfirstlane_b32 s3, v1
	s_mul_f32 s3, s3, 0x4f7ffffe
	s_wait_alu 0xfffe
	s_cvt_u32_f32 s3, s3
	s_wait_alu 0xfffe
	s_delay_alu instid0(SALU_CYCLE_2) | instskip(NEXT) | instid1(SALU_CYCLE_1)
	s_mul_i32 s4, s4, s3
	s_mul_hi_u32 s4, s3, s4
	s_delay_alu instid0(SALU_CYCLE_1)
	s_add_co_i32 s3, s3, s4
	s_xor_b32 s4, s31, s6
	s_wait_alu 0xfffe
	s_mul_hi_u32 s3, s5, s3
	s_ashr_i32 s4, s4, 31
	s_wait_alu 0xfffe
	s_mul_i32 s6, s3, s2
	s_delay_alu instid0(SALU_CYCLE_1)
	s_sub_co_i32 s5, s5, s6
	s_add_co_i32 s6, s3, 1
	s_sub_co_i32 s8, s5, s2
	s_cmp_ge_u32 s5, s2
	s_cselect_b32 s3, s6, s3
	s_cselect_b32 s5, s8, s5
	s_wait_alu 0xfffe
	s_add_co_i32 s6, s3, 1
	s_cmp_ge_u32 s5, s2
	s_load_b64 s[8:9], s[0:1], 0x50
	s_cselect_b32 s2, s6, s3
	s_mov_b32 s5, 0
	s_wait_alu 0xfffe
	s_xor_b32 s2, s2, s4
	s_mov_b32 s12, s5
	s_wait_alu 0xfffe
	s_sub_co_i32 s10, s2, s4
	s_abs_i32 s4, ttmp9
	s_abs_i32 s6, s10
	s_delay_alu instid0(SALU_CYCLE_1) | instskip(SKIP_2) | instid1(SALU_CYCLE_1)
	s_cvt_f32_u32 s2, s6
	s_sub_co_i32 s3, 0, s6
	s_wait_alu 0xfffe
	v_rcp_iflag_f32_e32 v1, s2
	s_delay_alu instid0(TRANS32_DEP_1) | instskip(SKIP_2) | instid1(SALU_CYCLE_2)
	v_readfirstlane_b32 s2, v1
	s_mul_f32 s2, s2, 0x4f7ffffe
	s_wait_alu 0xfffe
	s_cvt_u32_f32 s2, s2
	s_wait_alu 0xfffe
	s_delay_alu instid0(SALU_CYCLE_2)
	s_mul_i32 s3, s3, s2
	s_wait_alu 0xfffe
	s_mul_hi_u32 s3, s2, s3
	s_wait_alu 0xfffe
	s_add_co_i32 s2, s2, s3
	s_mov_b32 s3, s5
	s_wait_kmcnt 0x0
	s_cmp_eq_u64 s[8:9], 0
	s_cbranch_scc1 .LBB253_3
; %bb.2:
	s_mov_b32 s12, ttmp9
	s_ashr_i32 s13, ttmp9, 31
	s_delay_alu instid0(SALU_CYCLE_1) | instskip(NEXT) | instid1(SALU_CYCLE_1)
	s_lshl_b64 s[12:13], s[12:13], 2
	s_add_nc_u64 s[8:9], s[8:9], s[12:13]
	s_load_b32 s12, s[8:9], 0x0
.LBB253_3:
	s_load_b96 s[16:18], s[0:1], 0x58
	s_mul_u64 s[2:3], s[4:5], s[2:3]
	v_and_b32_e32 v1, 3, v0
	v_cmp_gt_u32_e64 s2, 32, v0
	s_ashr_i32 s5, ttmp9, 31
	s_ashr_i32 s8, s10, 31
	s_lshl_b32 s20, ttmp9, 6
	s_wait_alu 0xfffe
	s_and_saveexec_b32 s9, s2
	s_cbranch_execz .LBB253_5
; %bb.4:
	s_load_b64 s[10:11], s[0:1], 0x18
	s_wait_kmcnt 0x0
	s_mul_i32 s14, s16, s30
	s_ashr_i32 s21, s20, 31
	s_ashr_i32 s15, s14, 31
	v_lshlrev_b32_e32 v2, 2, v0
	s_lshl_b64 s[14:15], s[14:15], 1
	v_and_b32_e32 v3, 0x3fc, v0
	s_delay_alu instid0(VALU_DEP_1) | instskip(SKIP_2) | instid1(SALU_CYCLE_1)
	v_lshl_add_u32 v3, v1, 5, v3
	s_add_nc_u64 s[10:11], s[10:11], s[14:15]
	s_lshl_b64 s[14:15], s[20:21], 1
	s_add_nc_u64 s[10:11], s[10:11], s[14:15]
	global_load_b32 v2, v2, s[10:11]
	s_wait_loadcnt 0x0
	ds_store_b32 v3, v2
.LBB253_5:
	s_or_b32 exec_lo, exec_lo, s9
	s_add_co_i32 s9, s26, 7
	s_xor_b32 s5, s5, s8
	s_ashr_i32 s10, s9, 31
	s_wait_kmcnt 0x0
	s_lshl_b32 s16, s29, 6
	s_lshr_b32 s8, s10, 29
	s_mul_i32 s10, s3, s6
	s_add_co_i32 s9, s9, s8
	s_add_co_i32 s8, s16, 64
	s_ashr_i32 s33, s9, 3
	s_load_b32 s9, s[0:1], 0x48
	s_sub_co_i32 s4, s4, s10
	s_min_i32 s27, s8, s33
	s_add_co_i32 s8, s3, 1
	s_sub_co_i32 s10, s4, s6
	s_cmp_ge_u32 s4, s6
	v_lshrrev_b32_e32 v11, 5, v0
	s_cselect_b32 s3, s8, s3
	s_cselect_b32 s4, s10, s4
	s_wait_alu 0xfffe
	s_add_co_i32 s8, s3, 1
	s_cmp_ge_u32 s4, s6
	v_or_b32_e32 v12, s16, v11
	s_cselect_b32 s3, s8, s3
	v_mbcnt_lo_u32_b32 v13, -1, 0
	s_wait_alu 0xfffe
	s_xor_b32 s3, s3, s5
	s_wait_dscnt 0x0
	s_wait_alu 0xfffe
	s_sub_co_i32 s4, s3, s5
	v_cmp_gt_i32_e64 s3, s27, v12
	s_mov_b32 s5, exec_lo
	s_barrier_signal -1
	s_wait_kmcnt 0x0
	s_mul_i32 s22, s9, s30
	s_barrier_wait -1
	s_ashr_i32 s23, s22, 31
	global_inv scope:SCOPE_SE
                                        ; implicit-def: $vgpr2
                                        ; implicit-def: $vgpr15
	v_cmpx_le_i32_e64 s27, v12
	s_xor_b32 s5, exec_lo, s5
; %bb.6:
	v_dual_mov_b32 v2, 0 :: v_dual_mov_b32 v15, 32
	v_mbcnt_lo_u32_b32 v13, -1, 0
                                        ; implicit-def: $vgpr1
; %bb.7:
	s_or_saveexec_b32 s13, s5
	s_clause 0x2
	s_load_b32 s21, s[0:1], 0x98
	s_load_b64 s[24:25], s[0:1], 0x38
	s_load_b128 s[8:11], s[0:1], 0x68
	v_dual_mov_b32 v14, 0xff7fffff :: v_dual_lshlrev_b32 v9, 2, v12
	v_lshlrev_b32_e32 v10, 3, v11
	s_mul_i32 s18, s4, s18
	s_xor_b32 exec_lo, exec_lo, s13
	s_cbranch_execz .LBB253_141
; %bb.8:
	s_load_b64 s[14:15], s[0:1], 0x20
	v_bfe_u32 v3, v0, 2, 3
	v_mov_b32_e32 v2, 0
	v_dual_mov_b32 v15, 32 :: v_dual_lshlrev_b32 v4, 1, v1
	v_dual_mov_b32 v19, v12 :: v_dual_lshlrev_b32 v16, 5, v1
	v_cmp_eq_u32_e32 vcc_lo, 0, v1
	v_lshlrev_b32_e32 v1, 4, v3
	v_dual_mov_b32 v14, 0xff7fffff :: v_dual_lshlrev_b32 v5, 2, v3
	s_ashr_i32 s19, s18, 31
	s_cmp_neq_f32 s12, 0
	v_add3_u32 v17, s28, v10, v3
	s_delay_alu instid0(VALU_DEP_2)
	v_lshl_or_b32 v3, v11, 5, v5
	s_cselect_b32 s4, -1, 0
	s_lshl_b64 s[34:35], s[22:23], 2
	s_wait_kmcnt 0x0
	s_add_nc_u64 s[34:35], s[24:25], s[34:35]
	s_add_nc_u64 s[14:15], s[14:15], s[18:19]
	v_add_nc_u32_e32 v18, 0xa0, v3
	v_add_co_u32 v1, s5, s14, v1
	s_delay_alu instid0(VALU_DEP_1)
	v_add_co_ci_u32_e64 v5, null, s15, 0, s5
	s_mov_b32 s15, s17
	v_add_co_u32 v3, s5, v1, v4
	s_wait_alu 0xf1ff
	v_add_co_ci_u32_e64 v4, null, 0, v5, s5
	v_add_co_u32 v5, s5, s34, v9
	s_wait_alu 0xf1ff
	v_add_co_ci_u32_e64 v6, null, s35, 0, s5
	s_mov_b32 s14, 0
	s_sub_co_i32 s19, 1, s26
	s_branch .LBB253_10
.LBB253_9:                              ;   in Loop: Header=BB253_10 Depth=1
	s_wait_alu 0xfffe
	s_or_b32 exec_lo, exec_lo, s6
	v_add_nc_u32_e32 v19, 4, v19
	v_add_co_u32 v5, s6, v5, 16
	v_add_nc_u32_e32 v17, 32, v17
	v_add_nc_u32_e32 v18, 0x80, v18
	s_delay_alu instid0(VALU_DEP_4)
	v_cmp_le_i32_e64 s5, s27, v19
	s_wait_alu 0xf1ff
	v_add_co_ci_u32_e64 v6, null, 0, v6, s6
	s_or_b32 s14, s5, s14
	s_wait_alu 0xfffe
	s_and_not1_b32 exec_lo, exec_lo, s14
	s_cbranch_execz .LBB253_140
.LBB253_10:                             ; =>This Inner Loop Header: Depth=1
	global_load_b32 v1, v[5:6], off
	s_wait_loadcnt_dscnt 0x0
	s_wait_alu 0xfffe
	v_mad_co_i64_i32 v[7:8], null, v1, s15, v[3:4]
	global_load_u16 v1, v[7:8], off
	s_wait_loadcnt 0x0
	v_dual_mov_b32 v21, 0 :: v_dual_and_b32 v22, 0xff, v1
	global_load_b32 v20, v21, s[8:9]
	v_and_b32_e32 v1, 0xffff, v1
	v_cmp_ne_u16_e64 s5, 0, v22
	v_mov_b32_e32 v22, 0
	s_and_saveexec_b32 s6, s5
	s_cbranch_execz .LBB253_18
; %bb.11:                               ;   in Loop: Header=BB253_10 Depth=1
	v_and_b32_e32 v22, 0xff, v1
	s_delay_alu instid0(VALU_DEP_1)
	v_cmp_ne_u16_e64 s5, 0x80, v22
	v_mov_b32_e32 v22, 0x8000
	s_and_saveexec_b32 s34, s5
	s_cbranch_execz .LBB253_17
; %bb.12:                               ;   in Loop: Header=BB253_10 Depth=1
	v_and_b32_e32 v24, 0x7f, v1
	v_mov_b32_e32 v22, 0x7c01
	s_mov_b32 s35, exec_lo
	s_delay_alu instid0(VALU_DEP_2)
	v_cmpx_ne_u32_e32 0x7f, v24
	s_cbranch_execz .LBB253_16
; %bb.13:                               ;   in Loop: Header=BB253_10 Depth=1
	v_and_b32_e32 v22, 7, v1
	v_lshrrev_b32_e32 v23, 3, v24
	s_mov_b32 s36, exec_lo
	v_cmpx_gt_u32_e32 8, v24
; %bb.14:                               ;   in Loop: Header=BB253_10 Depth=1
	s_delay_alu instid0(VALU_DEP_3) | instskip(NEXT) | instid1(VALU_DEP_1)
	v_clz_i32_u32_e32 v22, v22
	v_min_u32_e32 v24, 32, v22
	s_delay_alu instid0(VALU_DEP_1) | instskip(NEXT) | instid1(VALU_DEP_1)
	v_subrev_nc_u32_e32 v22, 28, v24
	v_lshlrev_b64_e32 v[22:23], v22, v[1:2]
	v_sub_nc_u32_e32 v23, 29, v24
	s_delay_alu instid0(VALU_DEP_2)
	v_and_b32_e32 v22, 7, v22
; %bb.15:                               ;   in Loop: Header=BB253_10 Depth=1
	s_or_b32 exec_lo, exec_lo, s36
	v_lshlrev_b32_e32 v24, 8, v1
	s_delay_alu instid0(VALU_DEP_3) | instskip(NEXT) | instid1(VALU_DEP_3)
	v_lshl_add_u32 v23, v23, 10, 0x2000
	v_lshlrev_b32_e32 v22, 7, v22
	s_delay_alu instid0(VALU_DEP_3) | instskip(NEXT) | instid1(VALU_DEP_3)
	v_and_b32_e32 v24, 0x8000, v24
	v_and_b32_e32 v23, 0xfc00, v23
	s_delay_alu instid0(VALU_DEP_1)
	v_or3_b32 v22, v24, v23, v22
.LBB253_16:                             ;   in Loop: Header=BB253_10 Depth=1
	s_wait_alu 0xfffe
	s_or_b32 exec_lo, exec_lo, s35
.LBB253_17:                             ;   in Loop: Header=BB253_10 Depth=1
	s_wait_alu 0xfffe
	s_or_b32 exec_lo, exec_lo, s34
.LBB253_18:                             ;   in Loop: Header=BB253_10 Depth=1
	s_wait_alu 0xfffe
	s_or_b32 exec_lo, exec_lo, s6
	v_lshrrev_b16 v1, 8, v1
	s_mov_b32 s6, exec_lo
	s_delay_alu instid0(VALU_DEP_1)
	v_cmpx_ne_u16_e32 0, v1
	s_cbranch_execz .LBB253_26
; %bb.19:                               ;   in Loop: Header=BB253_10 Depth=1
	v_bfrev_b32_e32 v21, 1
	s_mov_b32 s34, exec_lo
	v_cmpx_ne_u16_e32 0x80, v1
	s_cbranch_execz .LBB253_25
; %bb.20:                               ;   in Loop: Header=BB253_10 Depth=1
	v_and_b32_e32 v23, 0xffff, v1
	v_mov_b32_e32 v21, 0x7c010000
	s_mov_b32 s35, exec_lo
	s_delay_alu instid0(VALU_DEP_2) | instskip(NEXT) | instid1(VALU_DEP_1)
	v_and_b32_e32 v25, 0x7f, v23
	v_cmpx_ne_u32_e32 0x7f, v25
	s_cbranch_execz .LBB253_24
; %bb.21:                               ;   in Loop: Header=BB253_10 Depth=1
	v_and_b32_e32 v21, 7, v23
	v_lshrrev_b32_e32 v24, 3, v25
	s_mov_b32 s36, exec_lo
	v_cmpx_gt_u32_e32 8, v25
; %bb.22:                               ;   in Loop: Header=BB253_10 Depth=1
	s_delay_alu instid0(VALU_DEP_3) | instskip(NEXT) | instid1(VALU_DEP_1)
	v_clz_i32_u32_e32 v21, v21
	v_min_u32_e32 v21, 32, v21
	s_delay_alu instid0(VALU_DEP_1) | instskip(NEXT) | instid1(VALU_DEP_1)
	v_subrev_nc_u32_e32 v24, 28, v21
	v_lshlrev_b64_e32 v[25:26], v24, v[1:2]
	v_sub_nc_u32_e32 v24, 29, v21
	s_delay_alu instid0(VALU_DEP_2)
	v_and_b32_e32 v21, 7, v25
; %bb.23:                               ;   in Loop: Header=BB253_10 Depth=1
	s_or_b32 exec_lo, exec_lo, s36
	v_lshlrev_b32_e32 v1, 8, v23
	s_delay_alu instid0(VALU_DEP_3) | instskip(NEXT) | instid1(VALU_DEP_3)
	v_lshl_add_u32 v23, v24, 10, 0x2000
	v_lshlrev_b32_e32 v21, 23, v21
	s_delay_alu instid0(VALU_DEP_2) | instskip(NEXT) | instid1(VALU_DEP_1)
	v_and_or_b32 v1, 0x8000, v1, v23
	v_lshl_or_b32 v21, v1, 16, v21
.LBB253_24:                             ;   in Loop: Header=BB253_10 Depth=1
	s_wait_alu 0xfffe
	s_or_b32 exec_lo, exec_lo, s35
.LBB253_25:                             ;   in Loop: Header=BB253_10 Depth=1
	s_wait_alu 0xfffe
	s_or_b32 exec_lo, exec_lo, s34
.LBB253_26:                             ;   in Loop: Header=BB253_10 Depth=1
	s_wait_alu 0xfffe
	s_or_b32 exec_lo, exec_lo, s6
	global_load_u16 v1, v[7:8], off offset:8
	s_wait_loadcnt 0x0
	v_dual_mov_b32 v23, 0 :: v_dual_and_b32 v24, 0xff, v1
	v_and_b32_e32 v1, 0xffff, v1
	s_delay_alu instid0(VALU_DEP_2)
	v_cmp_ne_u16_e64 s5, 0, v24
	v_mov_b32_e32 v24, 0
	s_and_saveexec_b32 s6, s5
	s_cbranch_execz .LBB253_34
; %bb.27:                               ;   in Loop: Header=BB253_10 Depth=1
	v_and_b32_e32 v24, 0xff, v1
	s_delay_alu instid0(VALU_DEP_1)
	v_cmp_ne_u16_e64 s5, 0x80, v24
	v_mov_b32_e32 v24, 0x8000
	s_and_saveexec_b32 s34, s5
	s_cbranch_execz .LBB253_33
; %bb.28:                               ;   in Loop: Header=BB253_10 Depth=1
	v_and_b32_e32 v26, 0x7f, v1
	v_mov_b32_e32 v24, 0x7c01
	s_mov_b32 s35, exec_lo
	s_delay_alu instid0(VALU_DEP_2)
	v_cmpx_ne_u32_e32 0x7f, v26
	s_cbranch_execz .LBB253_32
; %bb.29:                               ;   in Loop: Header=BB253_10 Depth=1
	v_and_b32_e32 v24, 7, v1
	v_lshrrev_b32_e32 v25, 3, v26
	s_mov_b32 s36, exec_lo
	v_cmpx_gt_u32_e32 8, v26
; %bb.30:                               ;   in Loop: Header=BB253_10 Depth=1
	s_delay_alu instid0(VALU_DEP_3) | instskip(NEXT) | instid1(VALU_DEP_1)
	v_clz_i32_u32_e32 v24, v24
	v_min_u32_e32 v26, 32, v24
	s_delay_alu instid0(VALU_DEP_1) | instskip(NEXT) | instid1(VALU_DEP_1)
	v_subrev_nc_u32_e32 v24, 28, v26
	v_lshlrev_b64_e32 v[24:25], v24, v[1:2]
	v_sub_nc_u32_e32 v25, 29, v26
	s_delay_alu instid0(VALU_DEP_2)
	v_and_b32_e32 v24, 7, v24
; %bb.31:                               ;   in Loop: Header=BB253_10 Depth=1
	s_or_b32 exec_lo, exec_lo, s36
	v_lshlrev_b32_e32 v26, 8, v1
	s_delay_alu instid0(VALU_DEP_3) | instskip(NEXT) | instid1(VALU_DEP_3)
	v_lshl_add_u32 v25, v25, 10, 0x2000
	v_lshlrev_b32_e32 v24, 7, v24
	s_delay_alu instid0(VALU_DEP_3) | instskip(NEXT) | instid1(VALU_DEP_3)
	v_and_b32_e32 v26, 0x8000, v26
	v_and_b32_e32 v25, 0xfc00, v25
	s_delay_alu instid0(VALU_DEP_1)
	v_or3_b32 v24, v26, v25, v24
.LBB253_32:                             ;   in Loop: Header=BB253_10 Depth=1
	s_wait_alu 0xfffe
	s_or_b32 exec_lo, exec_lo, s35
.LBB253_33:                             ;   in Loop: Header=BB253_10 Depth=1
	s_wait_alu 0xfffe
	s_or_b32 exec_lo, exec_lo, s34
.LBB253_34:                             ;   in Loop: Header=BB253_10 Depth=1
	s_wait_alu 0xfffe
	s_or_b32 exec_lo, exec_lo, s6
	v_lshrrev_b16 v1, 8, v1
	s_mov_b32 s6, exec_lo
	s_delay_alu instid0(VALU_DEP_1)
	v_cmpx_ne_u16_e32 0, v1
	s_cbranch_execz .LBB253_42
; %bb.35:                               ;   in Loop: Header=BB253_10 Depth=1
	v_bfrev_b32_e32 v23, 1
	s_mov_b32 s34, exec_lo
	v_cmpx_ne_u16_e32 0x80, v1
	s_cbranch_execz .LBB253_41
; %bb.36:                               ;   in Loop: Header=BB253_10 Depth=1
	v_and_b32_e32 v25, 0xffff, v1
	v_mov_b32_e32 v23, 0x7c010000
	s_mov_b32 s35, exec_lo
	s_delay_alu instid0(VALU_DEP_2) | instskip(NEXT) | instid1(VALU_DEP_1)
	v_and_b32_e32 v27, 0x7f, v25
	v_cmpx_ne_u32_e32 0x7f, v27
	s_cbranch_execz .LBB253_40
; %bb.37:                               ;   in Loop: Header=BB253_10 Depth=1
	v_and_b32_e32 v23, 7, v25
	v_lshrrev_b32_e32 v26, 3, v27
	s_mov_b32 s36, exec_lo
	v_cmpx_gt_u32_e32 8, v27
; %bb.38:                               ;   in Loop: Header=BB253_10 Depth=1
	s_delay_alu instid0(VALU_DEP_3) | instskip(NEXT) | instid1(VALU_DEP_1)
	v_clz_i32_u32_e32 v23, v23
	v_min_u32_e32 v23, 32, v23
	s_delay_alu instid0(VALU_DEP_1) | instskip(NEXT) | instid1(VALU_DEP_1)
	v_subrev_nc_u32_e32 v26, 28, v23
	v_lshlrev_b64_e32 v[27:28], v26, v[1:2]
	v_sub_nc_u32_e32 v26, 29, v23
	s_delay_alu instid0(VALU_DEP_2)
	v_and_b32_e32 v23, 7, v27
; %bb.39:                               ;   in Loop: Header=BB253_10 Depth=1
	s_or_b32 exec_lo, exec_lo, s36
	v_lshlrev_b32_e32 v1, 8, v25
	s_delay_alu instid0(VALU_DEP_3) | instskip(NEXT) | instid1(VALU_DEP_3)
	v_lshl_add_u32 v25, v26, 10, 0x2000
	v_lshlrev_b32_e32 v23, 23, v23
	s_delay_alu instid0(VALU_DEP_2) | instskip(NEXT) | instid1(VALU_DEP_1)
	v_and_or_b32 v1, 0x8000, v1, v25
	v_lshl_or_b32 v23, v1, 16, v23
.LBB253_40:                             ;   in Loop: Header=BB253_10 Depth=1
	s_wait_alu 0xfffe
	s_or_b32 exec_lo, exec_lo, s35
.LBB253_41:                             ;   in Loop: Header=BB253_10 Depth=1
	s_wait_alu 0xfffe
	s_or_b32 exec_lo, exec_lo, s34
.LBB253_42:                             ;   in Loop: Header=BB253_10 Depth=1
	s_wait_alu 0xfffe
	s_or_b32 exec_lo, exec_lo, s6
	global_load_u16 v1, v[7:8], off offset:128
	s_wait_loadcnt 0x0
	v_dual_mov_b32 v25, 0 :: v_dual_and_b32 v26, 0xff, v1
	v_and_b32_e32 v1, 0xffff, v1
	s_delay_alu instid0(VALU_DEP_2)
	v_cmp_ne_u16_e64 s5, 0, v26
	v_mov_b32_e32 v26, 0
	s_and_saveexec_b32 s6, s5
	s_cbranch_execz .LBB253_50
; %bb.43:                               ;   in Loop: Header=BB253_10 Depth=1
	v_and_b32_e32 v26, 0xff, v1
	s_delay_alu instid0(VALU_DEP_1)
	v_cmp_ne_u16_e64 s5, 0x80, v26
	v_mov_b32_e32 v26, 0x8000
	s_and_saveexec_b32 s34, s5
	s_cbranch_execz .LBB253_49
; %bb.44:                               ;   in Loop: Header=BB253_10 Depth=1
	v_and_b32_e32 v28, 0x7f, v1
	v_mov_b32_e32 v26, 0x7c01
	s_mov_b32 s35, exec_lo
	s_delay_alu instid0(VALU_DEP_2)
	v_cmpx_ne_u32_e32 0x7f, v28
	s_cbranch_execz .LBB253_48
; %bb.45:                               ;   in Loop: Header=BB253_10 Depth=1
	v_and_b32_e32 v26, 7, v1
	v_lshrrev_b32_e32 v27, 3, v28
	s_mov_b32 s36, exec_lo
	v_cmpx_gt_u32_e32 8, v28
; %bb.46:                               ;   in Loop: Header=BB253_10 Depth=1
	s_delay_alu instid0(VALU_DEP_3) | instskip(NEXT) | instid1(VALU_DEP_1)
	v_clz_i32_u32_e32 v26, v26
	v_min_u32_e32 v28, 32, v26
	s_delay_alu instid0(VALU_DEP_1) | instskip(NEXT) | instid1(VALU_DEP_1)
	v_subrev_nc_u32_e32 v26, 28, v28
	v_lshlrev_b64_e32 v[26:27], v26, v[1:2]
	v_sub_nc_u32_e32 v27, 29, v28
	s_delay_alu instid0(VALU_DEP_2)
	v_and_b32_e32 v26, 7, v26
; %bb.47:                               ;   in Loop: Header=BB253_10 Depth=1
	s_or_b32 exec_lo, exec_lo, s36
	v_lshlrev_b32_e32 v28, 8, v1
	s_delay_alu instid0(VALU_DEP_3) | instskip(NEXT) | instid1(VALU_DEP_3)
	v_lshl_add_u32 v27, v27, 10, 0x2000
	v_lshlrev_b32_e32 v26, 7, v26
	s_delay_alu instid0(VALU_DEP_3) | instskip(NEXT) | instid1(VALU_DEP_3)
	v_and_b32_e32 v28, 0x8000, v28
	v_and_b32_e32 v27, 0xfc00, v27
	s_delay_alu instid0(VALU_DEP_1)
	v_or3_b32 v26, v28, v27, v26
.LBB253_48:                             ;   in Loop: Header=BB253_10 Depth=1
	s_wait_alu 0xfffe
	s_or_b32 exec_lo, exec_lo, s35
.LBB253_49:                             ;   in Loop: Header=BB253_10 Depth=1
	s_wait_alu 0xfffe
	s_or_b32 exec_lo, exec_lo, s34
.LBB253_50:                             ;   in Loop: Header=BB253_10 Depth=1
	s_wait_alu 0xfffe
	s_or_b32 exec_lo, exec_lo, s6
	v_lshrrev_b16 v1, 8, v1
	s_mov_b32 s6, exec_lo
	s_delay_alu instid0(VALU_DEP_1)
	v_cmpx_ne_u16_e32 0, v1
	s_cbranch_execz .LBB253_58
; %bb.51:                               ;   in Loop: Header=BB253_10 Depth=1
	v_bfrev_b32_e32 v25, 1
	s_mov_b32 s34, exec_lo
	v_cmpx_ne_u16_e32 0x80, v1
	s_cbranch_execz .LBB253_57
; %bb.52:                               ;   in Loop: Header=BB253_10 Depth=1
	v_and_b32_e32 v27, 0xffff, v1
	v_mov_b32_e32 v25, 0x7c010000
	s_mov_b32 s35, exec_lo
	s_delay_alu instid0(VALU_DEP_2) | instskip(NEXT) | instid1(VALU_DEP_1)
	v_and_b32_e32 v29, 0x7f, v27
	v_cmpx_ne_u32_e32 0x7f, v29
	s_cbranch_execz .LBB253_56
; %bb.53:                               ;   in Loop: Header=BB253_10 Depth=1
	v_and_b32_e32 v25, 7, v27
	v_lshrrev_b32_e32 v28, 3, v29
	s_mov_b32 s36, exec_lo
	v_cmpx_gt_u32_e32 8, v29
; %bb.54:                               ;   in Loop: Header=BB253_10 Depth=1
	s_delay_alu instid0(VALU_DEP_3) | instskip(NEXT) | instid1(VALU_DEP_1)
	v_clz_i32_u32_e32 v25, v25
	v_min_u32_e32 v25, 32, v25
	s_delay_alu instid0(VALU_DEP_1) | instskip(NEXT) | instid1(VALU_DEP_1)
	v_subrev_nc_u32_e32 v28, 28, v25
	v_lshlrev_b64_e32 v[29:30], v28, v[1:2]
	v_sub_nc_u32_e32 v28, 29, v25
	s_delay_alu instid0(VALU_DEP_2)
	v_and_b32_e32 v25, 7, v29
; %bb.55:                               ;   in Loop: Header=BB253_10 Depth=1
	s_or_b32 exec_lo, exec_lo, s36
	v_lshlrev_b32_e32 v1, 8, v27
	s_delay_alu instid0(VALU_DEP_3) | instskip(NEXT) | instid1(VALU_DEP_3)
	v_lshl_add_u32 v27, v28, 10, 0x2000
	v_lshlrev_b32_e32 v25, 23, v25
	s_delay_alu instid0(VALU_DEP_2) | instskip(NEXT) | instid1(VALU_DEP_1)
	v_and_or_b32 v1, 0x8000, v1, v27
	v_lshl_or_b32 v25, v1, 16, v25
.LBB253_56:                             ;   in Loop: Header=BB253_10 Depth=1
	s_wait_alu 0xfffe
	s_or_b32 exec_lo, exec_lo, s35
.LBB253_57:                             ;   in Loop: Header=BB253_10 Depth=1
	s_wait_alu 0xfffe
	s_or_b32 exec_lo, exec_lo, s34
.LBB253_58:                             ;   in Loop: Header=BB253_10 Depth=1
	s_wait_alu 0xfffe
	s_or_b32 exec_lo, exec_lo, s6
	global_load_u16 v1, v[7:8], off offset:136
	s_wait_loadcnt 0x0
	v_dual_mov_b32 v27, 0 :: v_dual_and_b32 v28, 0xff, v1
	v_and_b32_e32 v1, 0xffff, v1
	s_delay_alu instid0(VALU_DEP_2)
	v_cmp_ne_u16_e64 s5, 0, v28
	v_mov_b32_e32 v28, 0
	s_and_saveexec_b32 s6, s5
	s_cbranch_execz .LBB253_66
; %bb.59:                               ;   in Loop: Header=BB253_10 Depth=1
	v_and_b32_e32 v28, 0xff, v1
	s_delay_alu instid0(VALU_DEP_1)
	v_cmp_ne_u16_e64 s5, 0x80, v28
	v_mov_b32_e32 v28, 0x8000
	s_and_saveexec_b32 s34, s5
	s_cbranch_execz .LBB253_65
; %bb.60:                               ;   in Loop: Header=BB253_10 Depth=1
	v_and_b32_e32 v30, 0x7f, v1
	v_mov_b32_e32 v28, 0x7c01
	s_mov_b32 s35, exec_lo
	s_delay_alu instid0(VALU_DEP_2)
	v_cmpx_ne_u32_e32 0x7f, v30
	s_cbranch_execz .LBB253_64
; %bb.61:                               ;   in Loop: Header=BB253_10 Depth=1
	v_and_b32_e32 v28, 7, v1
	v_lshrrev_b32_e32 v29, 3, v30
	s_mov_b32 s36, exec_lo
	v_cmpx_gt_u32_e32 8, v30
; %bb.62:                               ;   in Loop: Header=BB253_10 Depth=1
	s_delay_alu instid0(VALU_DEP_3) | instskip(NEXT) | instid1(VALU_DEP_1)
	v_clz_i32_u32_e32 v28, v28
	v_min_u32_e32 v30, 32, v28
	s_delay_alu instid0(VALU_DEP_1) | instskip(NEXT) | instid1(VALU_DEP_1)
	v_subrev_nc_u32_e32 v28, 28, v30
	v_lshlrev_b64_e32 v[28:29], v28, v[1:2]
	v_sub_nc_u32_e32 v29, 29, v30
	s_delay_alu instid0(VALU_DEP_2)
	v_and_b32_e32 v28, 7, v28
; %bb.63:                               ;   in Loop: Header=BB253_10 Depth=1
	s_or_b32 exec_lo, exec_lo, s36
	v_lshlrev_b32_e32 v30, 8, v1
	s_delay_alu instid0(VALU_DEP_3) | instskip(NEXT) | instid1(VALU_DEP_3)
	v_lshl_add_u32 v29, v29, 10, 0x2000
	v_lshlrev_b32_e32 v28, 7, v28
	s_delay_alu instid0(VALU_DEP_3) | instskip(NEXT) | instid1(VALU_DEP_3)
	v_and_b32_e32 v30, 0x8000, v30
	v_and_b32_e32 v29, 0xfc00, v29
	s_delay_alu instid0(VALU_DEP_1)
	v_or3_b32 v28, v30, v29, v28
.LBB253_64:                             ;   in Loop: Header=BB253_10 Depth=1
	s_wait_alu 0xfffe
	s_or_b32 exec_lo, exec_lo, s35
.LBB253_65:                             ;   in Loop: Header=BB253_10 Depth=1
	s_wait_alu 0xfffe
	s_or_b32 exec_lo, exec_lo, s34
.LBB253_66:                             ;   in Loop: Header=BB253_10 Depth=1
	s_wait_alu 0xfffe
	s_or_b32 exec_lo, exec_lo, s6
	v_lshrrev_b16 v1, 8, v1
	s_mov_b32 s6, exec_lo
	s_delay_alu instid0(VALU_DEP_1)
	v_cmpx_ne_u16_e32 0, v1
	s_cbranch_execz .LBB253_74
; %bb.67:                               ;   in Loop: Header=BB253_10 Depth=1
	v_bfrev_b32_e32 v27, 1
	s_mov_b32 s34, exec_lo
	v_cmpx_ne_u16_e32 0x80, v1
	s_cbranch_execz .LBB253_73
; %bb.68:                               ;   in Loop: Header=BB253_10 Depth=1
	v_and_b32_e32 v29, 0xffff, v1
	v_mov_b32_e32 v27, 0x7c010000
	s_mov_b32 s35, exec_lo
	s_delay_alu instid0(VALU_DEP_2) | instskip(NEXT) | instid1(VALU_DEP_1)
	v_and_b32_e32 v31, 0x7f, v29
	v_cmpx_ne_u32_e32 0x7f, v31
	s_cbranch_execz .LBB253_72
; %bb.69:                               ;   in Loop: Header=BB253_10 Depth=1
	v_and_b32_e32 v27, 7, v29
	v_lshrrev_b32_e32 v30, 3, v31
	s_mov_b32 s36, exec_lo
	v_cmpx_gt_u32_e32 8, v31
; %bb.70:                               ;   in Loop: Header=BB253_10 Depth=1
	s_delay_alu instid0(VALU_DEP_3) | instskip(NEXT) | instid1(VALU_DEP_1)
	v_clz_i32_u32_e32 v27, v27
	v_min_u32_e32 v27, 32, v27
	s_delay_alu instid0(VALU_DEP_1) | instskip(NEXT) | instid1(VALU_DEP_1)
	v_subrev_nc_u32_e32 v30, 28, v27
	v_lshlrev_b64_e32 v[31:32], v30, v[1:2]
	v_sub_nc_u32_e32 v30, 29, v27
	s_delay_alu instid0(VALU_DEP_2)
	v_and_b32_e32 v27, 7, v31
; %bb.71:                               ;   in Loop: Header=BB253_10 Depth=1
	s_or_b32 exec_lo, exec_lo, s36
	v_lshlrev_b32_e32 v1, 8, v29
	s_delay_alu instid0(VALU_DEP_3) | instskip(NEXT) | instid1(VALU_DEP_3)
	v_lshl_add_u32 v29, v30, 10, 0x2000
	v_lshlrev_b32_e32 v27, 23, v27
	s_delay_alu instid0(VALU_DEP_2) | instskip(NEXT) | instid1(VALU_DEP_1)
	v_and_or_b32 v1, 0x8000, v1, v29
	v_lshl_or_b32 v27, v1, 16, v27
.LBB253_72:                             ;   in Loop: Header=BB253_10 Depth=1
	s_wait_alu 0xfffe
	s_or_b32 exec_lo, exec_lo, s35
.LBB253_73:                             ;   in Loop: Header=BB253_10 Depth=1
	s_wait_alu 0xfffe
	s_or_b32 exec_lo, exec_lo, s34
.LBB253_74:                             ;   in Loop: Header=BB253_10 Depth=1
	s_wait_alu 0xfffe
	s_or_b32 exec_lo, exec_lo, s6
	global_load_u16 v1, v[7:8], off offset:256
	s_wait_loadcnt 0x0
	v_dual_mov_b32 v29, 0 :: v_dual_and_b32 v30, 0xff, v1
	v_and_b32_e32 v1, 0xffff, v1
	s_delay_alu instid0(VALU_DEP_2)
	v_cmp_ne_u16_e64 s5, 0, v30
	v_mov_b32_e32 v30, 0
	s_and_saveexec_b32 s6, s5
	s_cbranch_execz .LBB253_82
; %bb.75:                               ;   in Loop: Header=BB253_10 Depth=1
	v_and_b32_e32 v30, 0xff, v1
	s_delay_alu instid0(VALU_DEP_1)
	v_cmp_ne_u16_e64 s5, 0x80, v30
	v_mov_b32_e32 v30, 0x8000
	s_and_saveexec_b32 s34, s5
	s_cbranch_execz .LBB253_81
; %bb.76:                               ;   in Loop: Header=BB253_10 Depth=1
	v_and_b32_e32 v32, 0x7f, v1
	v_mov_b32_e32 v30, 0x7c01
	s_mov_b32 s35, exec_lo
	s_delay_alu instid0(VALU_DEP_2)
	v_cmpx_ne_u32_e32 0x7f, v32
	s_cbranch_execz .LBB253_80
; %bb.77:                               ;   in Loop: Header=BB253_10 Depth=1
	v_and_b32_e32 v30, 7, v1
	v_lshrrev_b32_e32 v31, 3, v32
	s_mov_b32 s36, exec_lo
	v_cmpx_gt_u32_e32 8, v32
; %bb.78:                               ;   in Loop: Header=BB253_10 Depth=1
	s_delay_alu instid0(VALU_DEP_3) | instskip(NEXT) | instid1(VALU_DEP_1)
	v_clz_i32_u32_e32 v30, v30
	v_min_u32_e32 v32, 32, v30
	s_delay_alu instid0(VALU_DEP_1) | instskip(NEXT) | instid1(VALU_DEP_1)
	v_subrev_nc_u32_e32 v30, 28, v32
	v_lshlrev_b64_e32 v[30:31], v30, v[1:2]
	v_sub_nc_u32_e32 v31, 29, v32
	s_delay_alu instid0(VALU_DEP_2)
	v_and_b32_e32 v30, 7, v30
; %bb.79:                               ;   in Loop: Header=BB253_10 Depth=1
	s_or_b32 exec_lo, exec_lo, s36
	v_lshlrev_b32_e32 v32, 8, v1
	s_delay_alu instid0(VALU_DEP_3) | instskip(NEXT) | instid1(VALU_DEP_3)
	v_lshl_add_u32 v31, v31, 10, 0x2000
	v_lshlrev_b32_e32 v30, 7, v30
	s_delay_alu instid0(VALU_DEP_3) | instskip(NEXT) | instid1(VALU_DEP_3)
	v_and_b32_e32 v32, 0x8000, v32
	v_and_b32_e32 v31, 0xfc00, v31
	s_delay_alu instid0(VALU_DEP_1)
	v_or3_b32 v30, v32, v31, v30
.LBB253_80:                             ;   in Loop: Header=BB253_10 Depth=1
	s_wait_alu 0xfffe
	s_or_b32 exec_lo, exec_lo, s35
.LBB253_81:                             ;   in Loop: Header=BB253_10 Depth=1
	s_wait_alu 0xfffe
	s_or_b32 exec_lo, exec_lo, s34
.LBB253_82:                             ;   in Loop: Header=BB253_10 Depth=1
	s_wait_alu 0xfffe
	s_or_b32 exec_lo, exec_lo, s6
	v_lshrrev_b16 v1, 8, v1
	s_mov_b32 s6, exec_lo
	s_delay_alu instid0(VALU_DEP_1)
	v_cmpx_ne_u16_e32 0, v1
	s_cbranch_execz .LBB253_90
; %bb.83:                               ;   in Loop: Header=BB253_10 Depth=1
	v_bfrev_b32_e32 v29, 1
	s_mov_b32 s34, exec_lo
	v_cmpx_ne_u16_e32 0x80, v1
	s_cbranch_execz .LBB253_89
; %bb.84:                               ;   in Loop: Header=BB253_10 Depth=1
	v_and_b32_e32 v31, 0xffff, v1
	v_mov_b32_e32 v29, 0x7c010000
	s_mov_b32 s35, exec_lo
	s_delay_alu instid0(VALU_DEP_2) | instskip(NEXT) | instid1(VALU_DEP_1)
	v_and_b32_e32 v33, 0x7f, v31
	v_cmpx_ne_u32_e32 0x7f, v33
	s_cbranch_execz .LBB253_88
; %bb.85:                               ;   in Loop: Header=BB253_10 Depth=1
	v_and_b32_e32 v29, 7, v31
	v_lshrrev_b32_e32 v32, 3, v33
	s_mov_b32 s36, exec_lo
	v_cmpx_gt_u32_e32 8, v33
; %bb.86:                               ;   in Loop: Header=BB253_10 Depth=1
	s_delay_alu instid0(VALU_DEP_3) | instskip(NEXT) | instid1(VALU_DEP_1)
	v_clz_i32_u32_e32 v29, v29
	v_min_u32_e32 v29, 32, v29
	s_delay_alu instid0(VALU_DEP_1) | instskip(NEXT) | instid1(VALU_DEP_1)
	v_subrev_nc_u32_e32 v32, 28, v29
	v_lshlrev_b64_e32 v[33:34], v32, v[1:2]
	v_sub_nc_u32_e32 v32, 29, v29
	s_delay_alu instid0(VALU_DEP_2)
	v_and_b32_e32 v29, 7, v33
; %bb.87:                               ;   in Loop: Header=BB253_10 Depth=1
	s_or_b32 exec_lo, exec_lo, s36
	v_lshlrev_b32_e32 v1, 8, v31
	s_delay_alu instid0(VALU_DEP_3) | instskip(NEXT) | instid1(VALU_DEP_3)
	v_lshl_add_u32 v31, v32, 10, 0x2000
	v_lshlrev_b32_e32 v29, 23, v29
	s_delay_alu instid0(VALU_DEP_2) | instskip(NEXT) | instid1(VALU_DEP_1)
	v_and_or_b32 v1, 0x8000, v1, v31
	v_lshl_or_b32 v29, v1, 16, v29
.LBB253_88:                             ;   in Loop: Header=BB253_10 Depth=1
	s_wait_alu 0xfffe
	s_or_b32 exec_lo, exec_lo, s35
.LBB253_89:                             ;   in Loop: Header=BB253_10 Depth=1
	s_wait_alu 0xfffe
	s_or_b32 exec_lo, exec_lo, s34
.LBB253_90:                             ;   in Loop: Header=BB253_10 Depth=1
	s_wait_alu 0xfffe
	s_or_b32 exec_lo, exec_lo, s6
	global_load_u16 v1, v[7:8], off offset:264
	s_wait_loadcnt 0x0
	v_dual_mov_b32 v31, 0 :: v_dual_and_b32 v32, 0xff, v1
	v_and_b32_e32 v1, 0xffff, v1
	s_delay_alu instid0(VALU_DEP_2)
	v_cmp_ne_u16_e64 s5, 0, v32
	v_mov_b32_e32 v32, 0
	s_and_saveexec_b32 s6, s5
	s_cbranch_execz .LBB253_98
; %bb.91:                               ;   in Loop: Header=BB253_10 Depth=1
	v_and_b32_e32 v32, 0xff, v1
	s_delay_alu instid0(VALU_DEP_1)
	v_cmp_ne_u16_e64 s5, 0x80, v32
	v_mov_b32_e32 v32, 0x8000
	s_and_saveexec_b32 s34, s5
	s_cbranch_execz .LBB253_97
; %bb.92:                               ;   in Loop: Header=BB253_10 Depth=1
	v_and_b32_e32 v34, 0x7f, v1
	v_mov_b32_e32 v32, 0x7c01
	s_mov_b32 s35, exec_lo
	s_delay_alu instid0(VALU_DEP_2)
	v_cmpx_ne_u32_e32 0x7f, v34
	s_cbranch_execz .LBB253_96
; %bb.93:                               ;   in Loop: Header=BB253_10 Depth=1
	v_and_b32_e32 v32, 7, v1
	v_lshrrev_b32_e32 v33, 3, v34
	s_mov_b32 s36, exec_lo
	v_cmpx_gt_u32_e32 8, v34
; %bb.94:                               ;   in Loop: Header=BB253_10 Depth=1
	s_delay_alu instid0(VALU_DEP_3) | instskip(NEXT) | instid1(VALU_DEP_1)
	v_clz_i32_u32_e32 v32, v32
	v_min_u32_e32 v34, 32, v32
	s_delay_alu instid0(VALU_DEP_1) | instskip(NEXT) | instid1(VALU_DEP_1)
	v_subrev_nc_u32_e32 v32, 28, v34
	v_lshlrev_b64_e32 v[32:33], v32, v[1:2]
	v_sub_nc_u32_e32 v33, 29, v34
	s_delay_alu instid0(VALU_DEP_2)
	v_and_b32_e32 v32, 7, v32
; %bb.95:                               ;   in Loop: Header=BB253_10 Depth=1
	s_or_b32 exec_lo, exec_lo, s36
	v_lshlrev_b32_e32 v34, 8, v1
	s_delay_alu instid0(VALU_DEP_3) | instskip(NEXT) | instid1(VALU_DEP_3)
	v_lshl_add_u32 v33, v33, 10, 0x2000
	v_lshlrev_b32_e32 v32, 7, v32
	s_delay_alu instid0(VALU_DEP_3) | instskip(NEXT) | instid1(VALU_DEP_3)
	v_and_b32_e32 v34, 0x8000, v34
	v_and_b32_e32 v33, 0xfc00, v33
	s_delay_alu instid0(VALU_DEP_1)
	v_or3_b32 v32, v34, v33, v32
.LBB253_96:                             ;   in Loop: Header=BB253_10 Depth=1
	s_wait_alu 0xfffe
	s_or_b32 exec_lo, exec_lo, s35
.LBB253_97:                             ;   in Loop: Header=BB253_10 Depth=1
	s_wait_alu 0xfffe
	s_or_b32 exec_lo, exec_lo, s34
.LBB253_98:                             ;   in Loop: Header=BB253_10 Depth=1
	s_wait_alu 0xfffe
	s_or_b32 exec_lo, exec_lo, s6
	v_lshrrev_b16 v1, 8, v1
	s_mov_b32 s6, exec_lo
	s_delay_alu instid0(VALU_DEP_1)
	v_cmpx_ne_u16_e32 0, v1
	s_cbranch_execz .LBB253_106
; %bb.99:                               ;   in Loop: Header=BB253_10 Depth=1
	v_bfrev_b32_e32 v31, 1
	s_mov_b32 s34, exec_lo
	v_cmpx_ne_u16_e32 0x80, v1
	s_cbranch_execz .LBB253_105
; %bb.100:                              ;   in Loop: Header=BB253_10 Depth=1
	v_and_b32_e32 v33, 0xffff, v1
	v_mov_b32_e32 v31, 0x7c010000
	s_mov_b32 s35, exec_lo
	s_delay_alu instid0(VALU_DEP_2) | instskip(NEXT) | instid1(VALU_DEP_1)
	v_and_b32_e32 v35, 0x7f, v33
	v_cmpx_ne_u32_e32 0x7f, v35
	s_cbranch_execz .LBB253_104
; %bb.101:                              ;   in Loop: Header=BB253_10 Depth=1
	v_and_b32_e32 v31, 7, v33
	v_lshrrev_b32_e32 v34, 3, v35
	s_mov_b32 s36, exec_lo
	v_cmpx_gt_u32_e32 8, v35
; %bb.102:                              ;   in Loop: Header=BB253_10 Depth=1
	s_delay_alu instid0(VALU_DEP_3) | instskip(NEXT) | instid1(VALU_DEP_1)
	v_clz_i32_u32_e32 v31, v31
	v_min_u32_e32 v31, 32, v31
	s_delay_alu instid0(VALU_DEP_1) | instskip(NEXT) | instid1(VALU_DEP_1)
	v_subrev_nc_u32_e32 v34, 28, v31
	v_lshlrev_b64_e32 v[35:36], v34, v[1:2]
	v_sub_nc_u32_e32 v34, 29, v31
	s_delay_alu instid0(VALU_DEP_2)
	v_and_b32_e32 v31, 7, v35
; %bb.103:                              ;   in Loop: Header=BB253_10 Depth=1
	s_or_b32 exec_lo, exec_lo, s36
	v_lshlrev_b32_e32 v1, 8, v33
	s_delay_alu instid0(VALU_DEP_3) | instskip(NEXT) | instid1(VALU_DEP_3)
	v_lshl_add_u32 v33, v34, 10, 0x2000
	v_lshlrev_b32_e32 v31, 23, v31
	s_delay_alu instid0(VALU_DEP_2) | instskip(NEXT) | instid1(VALU_DEP_1)
	v_and_or_b32 v1, 0x8000, v1, v33
	v_lshl_or_b32 v31, v1, 16, v31
.LBB253_104:                            ;   in Loop: Header=BB253_10 Depth=1
	s_wait_alu 0xfffe
	s_or_b32 exec_lo, exec_lo, s35
.LBB253_105:                            ;   in Loop: Header=BB253_10 Depth=1
	s_wait_alu 0xfffe
	s_or_b32 exec_lo, exec_lo, s34
.LBB253_106:                            ;   in Loop: Header=BB253_10 Depth=1
	s_wait_alu 0xfffe
	s_or_b32 exec_lo, exec_lo, s6
	global_load_u16 v1, v[7:8], off offset:384
	s_wait_loadcnt 0x0
	v_dual_mov_b32 v33, 0 :: v_dual_and_b32 v34, 0xff, v1
	v_and_b32_e32 v1, 0xffff, v1
	s_delay_alu instid0(VALU_DEP_2)
	v_cmp_ne_u16_e64 s5, 0, v34
	v_mov_b32_e32 v34, 0
	s_and_saveexec_b32 s6, s5
	s_cbranch_execz .LBB253_114
; %bb.107:                              ;   in Loop: Header=BB253_10 Depth=1
	v_and_b32_e32 v34, 0xff, v1
	s_delay_alu instid0(VALU_DEP_1)
	v_cmp_ne_u16_e64 s5, 0x80, v34
	v_mov_b32_e32 v34, 0x8000
	s_and_saveexec_b32 s34, s5
	s_cbranch_execz .LBB253_113
; %bb.108:                              ;   in Loop: Header=BB253_10 Depth=1
	v_and_b32_e32 v36, 0x7f, v1
	v_mov_b32_e32 v34, 0x7c01
	s_mov_b32 s35, exec_lo
	s_delay_alu instid0(VALU_DEP_2)
	v_cmpx_ne_u32_e32 0x7f, v36
	s_cbranch_execz .LBB253_112
; %bb.109:                              ;   in Loop: Header=BB253_10 Depth=1
	v_and_b32_e32 v34, 7, v1
	v_lshrrev_b32_e32 v35, 3, v36
	s_mov_b32 s36, exec_lo
	v_cmpx_gt_u32_e32 8, v36
; %bb.110:                              ;   in Loop: Header=BB253_10 Depth=1
	s_delay_alu instid0(VALU_DEP_3) | instskip(NEXT) | instid1(VALU_DEP_1)
	v_clz_i32_u32_e32 v34, v34
	v_min_u32_e32 v36, 32, v34
	s_delay_alu instid0(VALU_DEP_1) | instskip(NEXT) | instid1(VALU_DEP_1)
	v_subrev_nc_u32_e32 v34, 28, v36
	v_lshlrev_b64_e32 v[34:35], v34, v[1:2]
	v_sub_nc_u32_e32 v35, 29, v36
	s_delay_alu instid0(VALU_DEP_2)
	v_and_b32_e32 v34, 7, v34
; %bb.111:                              ;   in Loop: Header=BB253_10 Depth=1
	s_or_b32 exec_lo, exec_lo, s36
	v_lshlrev_b32_e32 v36, 8, v1
	s_delay_alu instid0(VALU_DEP_3) | instskip(NEXT) | instid1(VALU_DEP_3)
	v_lshl_add_u32 v35, v35, 10, 0x2000
	v_lshlrev_b32_e32 v34, 7, v34
	s_delay_alu instid0(VALU_DEP_3) | instskip(NEXT) | instid1(VALU_DEP_3)
	v_and_b32_e32 v36, 0x8000, v36
	v_and_b32_e32 v35, 0xfc00, v35
	s_delay_alu instid0(VALU_DEP_1)
	v_or3_b32 v34, v36, v35, v34
.LBB253_112:                            ;   in Loop: Header=BB253_10 Depth=1
	s_wait_alu 0xfffe
	s_or_b32 exec_lo, exec_lo, s35
.LBB253_113:                            ;   in Loop: Header=BB253_10 Depth=1
	s_wait_alu 0xfffe
	s_or_b32 exec_lo, exec_lo, s34
.LBB253_114:                            ;   in Loop: Header=BB253_10 Depth=1
	s_wait_alu 0xfffe
	s_or_b32 exec_lo, exec_lo, s6
	v_lshrrev_b16 v1, 8, v1
	s_mov_b32 s6, exec_lo
	s_delay_alu instid0(VALU_DEP_1)
	v_cmpx_ne_u16_e32 0, v1
	s_cbranch_execz .LBB253_122
; %bb.115:                              ;   in Loop: Header=BB253_10 Depth=1
	v_bfrev_b32_e32 v33, 1
	s_mov_b32 s34, exec_lo
	v_cmpx_ne_u16_e32 0x80, v1
	s_cbranch_execz .LBB253_121
; %bb.116:                              ;   in Loop: Header=BB253_10 Depth=1
	v_and_b32_e32 v35, 0xffff, v1
	v_mov_b32_e32 v33, 0x7c010000
	s_mov_b32 s35, exec_lo
	s_delay_alu instid0(VALU_DEP_2) | instskip(NEXT) | instid1(VALU_DEP_1)
	v_and_b32_e32 v37, 0x7f, v35
	v_cmpx_ne_u32_e32 0x7f, v37
	s_cbranch_execz .LBB253_120
; %bb.117:                              ;   in Loop: Header=BB253_10 Depth=1
	v_and_b32_e32 v33, 7, v35
	v_lshrrev_b32_e32 v36, 3, v37
	s_mov_b32 s36, exec_lo
	v_cmpx_gt_u32_e32 8, v37
; %bb.118:                              ;   in Loop: Header=BB253_10 Depth=1
	s_delay_alu instid0(VALU_DEP_3) | instskip(NEXT) | instid1(VALU_DEP_1)
	v_clz_i32_u32_e32 v33, v33
	v_min_u32_e32 v33, 32, v33
	s_delay_alu instid0(VALU_DEP_1) | instskip(NEXT) | instid1(VALU_DEP_1)
	v_subrev_nc_u32_e32 v36, 28, v33
	v_lshlrev_b64_e32 v[37:38], v36, v[1:2]
	v_sub_nc_u32_e32 v36, 29, v33
	s_delay_alu instid0(VALU_DEP_2)
	v_and_b32_e32 v33, 7, v37
; %bb.119:                              ;   in Loop: Header=BB253_10 Depth=1
	s_or_b32 exec_lo, exec_lo, s36
	v_lshlrev_b32_e32 v1, 8, v35
	s_delay_alu instid0(VALU_DEP_3) | instskip(NEXT) | instid1(VALU_DEP_3)
	v_lshl_add_u32 v35, v36, 10, 0x2000
	v_lshlrev_b32_e32 v33, 23, v33
	s_delay_alu instid0(VALU_DEP_2) | instskip(NEXT) | instid1(VALU_DEP_1)
	v_and_or_b32 v1, 0x8000, v1, v35
	v_lshl_or_b32 v33, v1, 16, v33
.LBB253_120:                            ;   in Loop: Header=BB253_10 Depth=1
	s_wait_alu 0xfffe
	s_or_b32 exec_lo, exec_lo, s35
.LBB253_121:                            ;   in Loop: Header=BB253_10 Depth=1
	s_wait_alu 0xfffe
	s_or_b32 exec_lo, exec_lo, s34
.LBB253_122:                            ;   in Loop: Header=BB253_10 Depth=1
	s_wait_alu 0xfffe
	s_or_b32 exec_lo, exec_lo, s6
	global_load_u16 v1, v[7:8], off offset:392
	s_wait_loadcnt 0x0
	v_dual_mov_b32 v7, 0 :: v_dual_and_b32 v8, 0xff, v1
	v_and_b32_e32 v1, 0xffff, v1
	s_delay_alu instid0(VALU_DEP_2)
	v_cmp_ne_u16_e64 s5, 0, v8
	v_mov_b32_e32 v8, 0
	s_and_saveexec_b32 s6, s5
	s_cbranch_execz .LBB253_130
; %bb.123:                              ;   in Loop: Header=BB253_10 Depth=1
	v_and_b32_e32 v8, 0xff, v1
	s_delay_alu instid0(VALU_DEP_1)
	v_cmp_ne_u16_e64 s5, 0x80, v8
	v_mov_b32_e32 v8, 0x8000
	s_and_saveexec_b32 s34, s5
	s_cbranch_execz .LBB253_129
; %bb.124:                              ;   in Loop: Header=BB253_10 Depth=1
	v_and_b32_e32 v36, 0x7f, v1
	v_mov_b32_e32 v8, 0x7c01
	s_mov_b32 s35, exec_lo
	s_delay_alu instid0(VALU_DEP_2)
	v_cmpx_ne_u32_e32 0x7f, v36
	s_cbranch_execz .LBB253_128
; %bb.125:                              ;   in Loop: Header=BB253_10 Depth=1
	v_and_b32_e32 v8, 7, v1
	v_lshrrev_b32_e32 v35, 3, v36
	s_mov_b32 s36, exec_lo
	v_cmpx_gt_u32_e32 8, v36
; %bb.126:                              ;   in Loop: Header=BB253_10 Depth=1
	s_delay_alu instid0(VALU_DEP_3) | instskip(NEXT) | instid1(VALU_DEP_1)
	v_clz_i32_u32_e32 v8, v8
	v_min_u32_e32 v8, 32, v8
	s_delay_alu instid0(VALU_DEP_1) | instskip(NEXT) | instid1(VALU_DEP_1)
	v_subrev_nc_u32_e32 v35, 28, v8
	v_lshlrev_b64_e32 v[36:37], v35, v[1:2]
	v_sub_nc_u32_e32 v35, 29, v8
	s_delay_alu instid0(VALU_DEP_2)
	v_and_b32_e32 v8, 7, v36
; %bb.127:                              ;   in Loop: Header=BB253_10 Depth=1
	s_or_b32 exec_lo, exec_lo, s36
	v_lshlrev_b32_e32 v36, 8, v1
	s_delay_alu instid0(VALU_DEP_3) | instskip(NEXT) | instid1(VALU_DEP_3)
	v_lshl_add_u32 v35, v35, 10, 0x2000
	v_lshlrev_b32_e32 v8, 7, v8
	s_delay_alu instid0(VALU_DEP_3) | instskip(NEXT) | instid1(VALU_DEP_3)
	v_and_b32_e32 v36, 0x8000, v36
	v_and_b32_e32 v35, 0xfc00, v35
	s_delay_alu instid0(VALU_DEP_1)
	v_or3_b32 v8, v36, v35, v8
.LBB253_128:                            ;   in Loop: Header=BB253_10 Depth=1
	s_wait_alu 0xfffe
	s_or_b32 exec_lo, exec_lo, s35
.LBB253_129:                            ;   in Loop: Header=BB253_10 Depth=1
	s_wait_alu 0xfffe
	s_or_b32 exec_lo, exec_lo, s34
.LBB253_130:                            ;   in Loop: Header=BB253_10 Depth=1
	s_wait_alu 0xfffe
	s_or_b32 exec_lo, exec_lo, s6
	v_lshrrev_b16 v1, 8, v1
	s_mov_b32 s6, exec_lo
	s_delay_alu instid0(VALU_DEP_1)
	v_cmpx_ne_u16_e32 0, v1
	s_cbranch_execz .LBB253_138
; %bb.131:                              ;   in Loop: Header=BB253_10 Depth=1
	v_bfrev_b32_e32 v7, 1
	s_mov_b32 s34, exec_lo
	v_cmpx_ne_u16_e32 0x80, v1
	s_cbranch_execz .LBB253_137
; %bb.132:                              ;   in Loop: Header=BB253_10 Depth=1
	v_and_b32_e32 v35, 0xffff, v1
	v_mov_b32_e32 v7, 0x7c010000
	s_mov_b32 s35, exec_lo
	s_delay_alu instid0(VALU_DEP_2) | instskip(NEXT) | instid1(VALU_DEP_1)
	v_and_b32_e32 v37, 0x7f, v35
	v_cmpx_ne_u32_e32 0x7f, v37
	s_cbranch_execz .LBB253_136
; %bb.133:                              ;   in Loop: Header=BB253_10 Depth=1
	v_and_b32_e32 v7, 7, v35
	v_lshrrev_b32_e32 v36, 3, v37
	s_mov_b32 s36, exec_lo
	v_cmpx_gt_u32_e32 8, v37
; %bb.134:                              ;   in Loop: Header=BB253_10 Depth=1
	s_delay_alu instid0(VALU_DEP_3) | instskip(NEXT) | instid1(VALU_DEP_1)
	v_clz_i32_u32_e32 v7, v7
	v_min_u32_e32 v7, 32, v7
	s_delay_alu instid0(VALU_DEP_1) | instskip(NEXT) | instid1(VALU_DEP_1)
	v_subrev_nc_u32_e32 v36, 28, v7
	v_lshlrev_b64_e32 v[37:38], v36, v[1:2]
	v_sub_nc_u32_e32 v36, 29, v7
	s_delay_alu instid0(VALU_DEP_2)
	v_and_b32_e32 v7, 7, v37
; %bb.135:                              ;   in Loop: Header=BB253_10 Depth=1
	s_or_b32 exec_lo, exec_lo, s36
	v_lshlrev_b32_e32 v1, 8, v35
	s_delay_alu instid0(VALU_DEP_3) | instskip(NEXT) | instid1(VALU_DEP_3)
	v_lshl_add_u32 v35, v36, 10, 0x2000
	v_lshlrev_b32_e32 v7, 23, v7
	s_delay_alu instid0(VALU_DEP_2) | instskip(NEXT) | instid1(VALU_DEP_1)
	v_and_or_b32 v1, 0x8000, v1, v35
	v_lshl_or_b32 v7, v1, 16, v7
.LBB253_136:                            ;   in Loop: Header=BB253_10 Depth=1
	s_wait_alu 0xfffe
	s_or_b32 exec_lo, exec_lo, s35
.LBB253_137:                            ;   in Loop: Header=BB253_10 Depth=1
	s_wait_alu 0xfffe
	s_or_b32 exec_lo, exec_lo, s34
.LBB253_138:                            ;   in Loop: Header=BB253_10 Depth=1
	s_wait_alu 0xfffe
	s_or_b32 exec_lo, exec_lo, s6
	ds_load_b32 v1, v16
	v_or_b32_e32 v22, v21, v22
	v_fma_mixlo_f16 v21, v20, v21, 0 op_sel:[0,1,0] op_sel_hi:[0,1,0]
	v_or_b32_e32 v24, v23, v24
	v_fma_mixlo_f16 v23, v20, v23, 0 op_sel:[0,1,0] op_sel_hi:[0,1,0]
	v_or_b32_e32 v26, v25, v26
	v_fma_mixlo_f16 v22, v20, v22, 0 op_sel_hi:[0,1,0]
	v_and_b32_e32 v37, 0xffff, v21
	v_fma_mixlo_f16 v24, v20, v24, 0 op_sel_hi:[0,1,0]
	v_and_b32_e32 v39, 0xffff, v23
	;; [unrolled: 2-line block ×3, first 2 shown]
	v_fma_mixlo_f16 v25, v20, v25, 0 op_sel:[0,1,0] op_sel_hi:[0,1,0]
	v_or_b32_e32 v28, v27, v28
	v_fma_mixlo_f16 v27, v20, v27, 0 op_sel:[0,1,0] op_sel_hi:[0,1,0]
	v_and_b32_e32 v40, 0xffff, v26
	v_or_b32_e32 v30, v29, v30
	v_and_b32_e32 v41, 0xffff, v25
	v_fma_mixlo_f16 v28, v20, v28, 0 op_sel_hi:[0,1,0]
	v_and_b32_e32 v43, 0xffff, v27
	s_wait_dscnt 0x0
	v_and_b32_e32 v35, 0xffff, v1
	v_lshrrev_b32_e32 v36, 16, v1
	;;#ASMSTART
	v_cvt_f32_f16 v1, v35;
	;;#ASMEND
	;;#ASMSTART
	v_cvt_f32_f16 v21, v36;
	;;#ASMEND
	;; [unrolled: 3-line block ×4, first 2 shown]
	ds_load_b32 v36, v16 offset:4
	v_and_b32_e32 v38, 0xffff, v24
	v_fma_mixlo_f16 v30, v20, v30, 0 op_sel_hi:[0,1,0]
	v_fma_mixlo_f16 v29, v20, v29, 0 op_sel:[0,1,0] op_sel_hi:[0,1,0]
	v_or_b32_e32 v32, v31, v32
	v_fma_mixlo_f16 v31, v20, v31, 0 op_sel:[0,1,0] op_sel_hi:[0,1,0]
	v_or_b32_e32 v34, v33, v34
	v_fma_mixlo_f16 v33, v20, v33, 0 op_sel:[0,1,0] op_sel_hi:[0,1,0]
	v_and_b32_e32 v45, 0xffff, v29
	v_fma_mixlo_f16 v32, v20, v32, 0 op_sel_hi:[0,1,0]
	v_and_b32_e32 v47, 0xffff, v31
	v_fma_mixlo_f16 v34, v20, v34, 0 op_sel_hi:[0,1,0]
	v_and_b32_e32 v33, 0xffff, v33
	v_or_b32_e32 v8, v7, v8
	v_fma_mixlo_f16 v7, v20, v7, 0 op_sel:[0,1,0] op_sel_hi:[0,1,0]
	s_delay_alu instid0(VALU_DEP_4) | instskip(NEXT) | instid1(VALU_DEP_3)
	v_and_b32_e32 v34, 0xffff, v34
	v_fma_mixlo_f16 v8, v20, v8, 0 op_sel_hi:[0,1,0]
	s_wait_dscnt 0x0
	v_and_b32_e32 v37, 0xffff, v36
	v_lshrrev_b32_e32 v36, 16, v36
	;;#ASMSTART
	v_cvt_f32_f16 v23, v37;
	;;#ASMEND
	;;#ASMSTART
	v_cvt_f32_f16 v24, v36;
	;;#ASMEND
	;; [unrolled: 3-line block ×4, first 2 shown]
	ds_load_b32 v38, v16 offset:8
	v_dual_mul_f32 v23, v23, v36 :: v_dual_mul_f32 v24, v24, v37
	s_delay_alu instid0(VALU_DEP_1) | instskip(SKIP_1) | instid1(VALU_DEP_2)
	v_fmac_f32_e32 v23, v1, v22
	s_wait_dscnt 0x0
	v_dual_fmac_f32 v24, v21, v35 :: v_dual_and_b32 v39, 0xffff, v38
	v_lshrrev_b32_e32 v38, 16, v38
	;;#ASMSTART
	v_cvt_f32_f16 v25, v39;
	;;#ASMEND
	;;#ASMSTART
	v_cvt_f32_f16 v26, v38;
	;;#ASMEND
	;; [unrolled: 3-line block ×4, first 2 shown]
	ds_load_b32 v40, v16 offset:12
	v_dual_fmac_f32 v23, v25, v38 :: v_dual_and_b32 v42, 0xffff, v28
	v_fmac_f32_e32 v24, v26, v39
	v_xor_b32_e32 v25, 2, v13
	s_delay_alu instid0(VALU_DEP_1)
	v_cmp_gt_i32_e64 s5, 32, v25
	s_wait_dscnt 0x0
	v_and_b32_e32 v41, 0xffff, v40
	v_lshrrev_b32_e32 v40, 16, v40
	;;#ASMSTART
	v_cvt_f32_f16 v27, v41;
	;;#ASMEND
	;;#ASMSTART
	v_cvt_f32_f16 v28, v40;
	;;#ASMEND
	;; [unrolled: 3-line block ×4, first 2 shown]
	ds_load_b32 v42, v16 offset:16
	v_dual_fmac_f32 v23, v27, v40 :: v_dual_and_b32 v44, 0xffff, v30
	v_dual_fmac_f32 v24, v28, v41 :: v_dual_and_b32 v27, 0xffff, v8
	s_wait_dscnt 0x0
	v_and_b32_e32 v43, 0xffff, v42
	v_lshrrev_b32_e32 v42, 16, v42
	;;#ASMSTART
	v_cvt_f32_f16 v29, v43;
	;;#ASMEND
	;;#ASMSTART
	v_cvt_f32_f16 v30, v42;
	;;#ASMEND
	;; [unrolled: 3-line block ×4, first 2 shown]
	ds_load_b32 v44, v16 offset:20
	v_dual_fmac_f32 v23, v29, v42 :: v_dual_and_b32 v46, 0xffff, v32
	s_wait_dscnt 0x0
	v_dual_fmac_f32 v24, v30, v43 :: v_dual_and_b32 v45, 0xffff, v44
	v_lshrrev_b32_e32 v44, 16, v44
	;;#ASMSTART
	v_cvt_f32_f16 v31, v45;
	;;#ASMEND
	;;#ASMSTART
	v_cvt_f32_f16 v32, v44;
	;;#ASMEND
	;; [unrolled: 3-line block ×4, first 2 shown]
	ds_load_b32 v46, v16 offset:24
	v_dual_fmac_f32 v23, v31, v44 :: v_dual_fmac_f32 v24, v32, v45
	s_wait_dscnt 0x0
	v_and_b32_e32 v36, 0xffff, v46
	v_lshrrev_b32_e32 v37, 16, v46
	;;#ASMSTART
	v_cvt_f32_f16 v1, v36;
	;;#ASMEND
	;;#ASMSTART
	v_cvt_f32_f16 v21, v37;
	;;#ASMEND
	;;#ASMSTART
	v_cvt_f32_f16 v22, v34;
	;;#ASMEND
	;;#ASMSTART
	v_cvt_f32_f16 v33, v33;
	;;#ASMEND
	ds_load_b32 v34, v16 offset:28
	v_dual_fmac_f32 v23, v1, v22 :: v_dual_and_b32 v26, 0xffff, v7
	v_fmac_f32_e32 v24, v21, v33
	s_wait_alu 0xf1ff
	v_cndmask_b32_e64 v7, v13, v25, s5
	s_wait_dscnt 0x0
	v_and_b32_e32 v20, 0xffff, v34
	v_lshrrev_b32_e32 v25, 16, v34
	;;#ASMSTART
	v_cvt_f32_f16 v1, v20;
	;;#ASMEND
	;;#ASMSTART
	v_cvt_f32_f16 v8, v25;
	;;#ASMEND
	;; [unrolled: 3-line block ×4, first 2 shown]
	v_dual_fmac_f32 v23, v1, v20 :: v_dual_fmac_f32 v24, v8, v21
	v_lshlrev_b32_e32 v1, 2, v7
	v_xor_b32_e32 v8, 1, v13
	s_delay_alu instid0(VALU_DEP_3) | instskip(NEXT) | instid1(VALU_DEP_2)
	v_add_f32_e32 v7, v23, v24
	v_cmp_gt_i32_e64 s5, 32, v8
	ds_bpermute_b32 v1, v1, v7
	s_wait_alu 0xf1ff
	v_cndmask_b32_e64 v8, v13, v8, s5
	s_wait_dscnt 0x0
	v_add_f32_e32 v1, v7, v1
	s_delay_alu instid0(VALU_DEP_2)
	v_lshlrev_b32_e32 v7, 2, v8
	ds_bpermute_b32 v7, v7, v1
	s_and_saveexec_b32 s6, vcc_lo
	s_cbranch_execz .LBB253_9
; %bb.139:                              ;   in Loop: Header=BB253_10 Depth=1
	s_wait_dscnt 0x0
	v_dual_add_f32 v1, v1, v7 :: v_dual_add_nc_u32 v8, s19, v17
	v_cmp_gt_i32_e64 s5, s26, v17
	s_delay_alu instid0(VALU_DEP_2) | instskip(NEXT) | instid1(VALU_DEP_1)
	v_cvt_f32_i32_e32 v8, v8
	v_mul_f32_e32 v8, s12, v8
	s_delay_alu instid0(VALU_DEP_1) | instskip(NEXT) | instid1(VALU_DEP_1)
	v_cndmask_b32_e64 v7, 0, v8, s4
	v_dual_max_num_f32 v8, v14, v14 :: v_dual_fmac_f32 v7, s7, v1
	s_delay_alu instid0(VALU_DEP_1) | instskip(SKIP_2) | instid1(VALU_DEP_2)
	v_max_num_f32_e32 v1, v8, v7
	s_wait_alu 0xf1ff
	v_cndmask_b32_e64 v7, 0, v7, s5
	v_cndmask_b32_e64 v14, v14, v1, s5
	ds_store_b32 v18, v7
	s_branch .LBB253_9
.LBB253_140:
	s_or_b32 exec_lo, exec_lo, s14
.LBB253_141:
	s_delay_alu instid0(SALU_CYCLE_1)
	s_or_b32 exec_lo, exec_lo, s13
	v_xor_b32_e32 v1, 16, v13
	v_xor_b32_e32 v4, 8, v13
	;; [unrolled: 1-line block ×3, first 2 shown]
	s_clause 0x1
	s_load_b128 s[12:15], s[0:1], 0x0
	s_load_b64 s[6:7], s[0:1], 0x10
	s_wait_kmcnt 0x0
	s_load_b64 s[8:9], s[0:1], 0x28
	v_cmp_lt_i32_e32 vcc_lo, v1, v15
	v_cndmask_b32_e32 v1, v13, v1, vcc_lo
	v_cmp_lt_i32_e32 vcc_lo, v4, v15
	s_wait_alu 0xfffd
	v_dual_max_num_f32 v5, v14, v14 :: v_dual_cndmask_b32 v4, v13, v4
	v_cmp_lt_i32_e32 vcc_lo, v6, v15
	s_delay_alu instid0(VALU_DEP_2)
	v_lshlrev_b32_e32 v4, 2, v4
	s_wait_alu 0xfffd
	v_dual_cndmask_b32 v6, v13, v6 :: v_dual_lshlrev_b32 v3, 2, v1
	ds_bpermute_b32 v1, v3, v14
	s_wait_dscnt 0x1
	v_lshlrev_b32_e32 v7, 2, v6
	v_and_b32_e32 v14, 31, v0
	s_delay_alu instid0(VALU_DEP_1) | instskip(SKIP_2) | instid1(VALU_DEP_1)
	v_cmp_eq_u32_e32 vcc_lo, 0, v14
	s_wait_dscnt 0x0
	v_max_num_f32_e32 v1, v1, v1
	v_max_num_f32_e32 v1, v5, v1
	ds_bpermute_b32 v5, v4, v1
	s_wait_dscnt 0x0
	v_max_num_f32_e32 v5, v5, v5
	s_delay_alu instid0(VALU_DEP_1)
	v_max_num_f32_e32 v1, v1, v5
	v_lshlrev_b32_e32 v5, 2, v11
	ds_bpermute_b32 v6, v7, v1
	s_and_saveexec_b32 s0, vcc_lo
	s_cbranch_execz .LBB253_143
; %bb.142:
	s_wait_dscnt 0x0
	v_dual_max_num_f32 v6, v6, v6 :: v_dual_max_num_f32 v1, v1, v1
	s_delay_alu instid0(VALU_DEP_1)
	v_max_num_f32_e32 v1, v1, v6
	ds_store_b32 v5, v1 offset:128
.LBB253_143:
	s_or_b32 exec_lo, exec_lo, s0
	v_cmp_gt_u32_e64 s0, 4, v14
	s_wait_dscnt 0x0
	v_dual_mov_b32 v1, 0xff7fffff :: v_dual_lshlrev_b32 v6, 2, v14
	s_wait_loadcnt 0x0
	s_barrier_signal -1
	s_barrier_wait -1
	global_inv scope:SCOPE_SE
	s_and_saveexec_b32 s1, s0
; %bb.144:
	ds_load_b32 v1, v6 offset:128
; %bb.145:
	s_or_b32 exec_lo, exec_lo, s1
	v_xor_b32_e32 v8, 2, v13
	v_xor_b32_e32 v17, 1, v13
	v_lshlrev_b32_e32 v2, 2, v2
	s_delay_alu instid0(VALU_DEP_3) | instskip(NEXT) | instid1(VALU_DEP_1)
	v_cmp_lt_i32_e64 s1, v8, v15
	v_cndmask_b32_e64 v8, v13, v8, s1
	s_delay_alu instid0(VALU_DEP_4) | instskip(NEXT) | instid1(VALU_DEP_2)
	v_cmp_lt_i32_e64 s1, v17, v15
	v_lshlrev_b32_e32 v8, 2, v8
	s_wait_alu 0xf1ff
	s_delay_alu instid0(VALU_DEP_2)
	v_cndmask_b32_e64 v15, v13, v17, s1
	s_sub_co_i32 s1, s27, s16
	s_wait_alu 0xfffe
	s_lshl_b32 s1, s1, 3
	s_wait_dscnt 0x0
	ds_bpermute_b32 v16, v8, v1
	v_max_num_f32_e32 v1, v1, v1
	v_lshlrev_b32_e32 v15, 2, v15
	s_wait_alu 0xfffe
	s_add_co_i32 s1, s1, s28
	s_wait_alu 0xfffe
	s_min_i32 s1, s1, s26
	s_wait_alu 0xfffe
	s_sub_co_i32 s5, s1, s28
	s_wait_alu 0xfffe
	v_cmp_gt_i32_e64 s1, s5, v0
	s_wait_dscnt 0x0
	v_max_num_f32_e32 v16, v16, v16
	s_delay_alu instid0(VALU_DEP_1) | instskip(SKIP_3) | instid1(VALU_DEP_1)
	v_max_num_f32_e32 v1, v1, v16
	ds_bpermute_b32 v16, v15, v1
	s_wait_dscnt 0x0
	v_max_num_f32_e32 v16, v16, v16
	v_dual_max_num_f32 v1, v1, v16 :: v_dual_mov_b32 v16, 0
	ds_bpermute_b32 v1, v2, v1
	v_lshl_add_u32 v2, v0, 2, 0xa0
	s_and_saveexec_b32 s19, s1
	s_cbranch_execz .LBB253_149
; %bb.146:
	v_lshl_add_u32 v17, v0, 2, 0xa0
	v_mov_b32_e32 v16, 0
	v_mov_b32_e32 v18, v0
	s_mov_b32 s34, 0
.LBB253_147:                            ; =>This Inner Loop Header: Depth=1
	ds_load_b32 v19, v17
	v_add_nc_u32_e32 v18, 0x80, v18
	s_delay_alu instid0(VALU_DEP_1) | instskip(SKIP_4) | instid1(VALU_DEP_1)
	v_cmp_le_i32_e64 s4, s5, v18
	s_wait_alu 0xfffe
	s_or_b32 s34, s4, s34
	s_wait_dscnt 0x0
	v_sub_f32_e32 v19, v19, v1
	v_mul_f32_e32 v19, 0x3fb8aa3b, v19
	s_delay_alu instid0(VALU_DEP_1)
	v_exp_f32_e32 v19, v19
	ds_store_b32 v17, v19
	v_dual_add_f32 v16, v16, v19 :: v_dual_add_nc_u32 v17, 0x200, v17
	s_wait_alu 0xfffe
	s_and_not1_b32 exec_lo, exec_lo, s34
	s_cbranch_execnz .LBB253_147
; %bb.148:
	s_or_b32 exec_lo, exec_lo, s34
.LBB253_149:
	s_wait_alu 0xfffe
	s_or_b32 exec_lo, exec_lo, s19
	ds_bpermute_b32 v3, v3, v16
	s_wait_dscnt 0x0
	v_add_f32_e32 v3, v16, v3
	ds_bpermute_b32 v4, v4, v3
	s_wait_dscnt 0x0
	v_add_f32_e32 v3, v3, v4
	;; [unrolled: 3-line block ×5, first 2 shown]
	s_and_saveexec_b32 s4, vcc_lo
; %bb.150:
	ds_store_b32 v5, v3 offset:144
; %bb.151:
	s_wait_alu 0xfffe
	s_or_b32 exec_lo, exec_lo, s4
	s_wait_loadcnt_dscnt 0x0
	s_barrier_signal -1
	s_barrier_wait -1
	global_inv scope:SCOPE_SE
	s_and_saveexec_b32 s4, s0
; %bb.152:
	ds_load_b32 v3, v6 offset:144
; %bb.153:
	s_wait_alu 0xfffe
	s_or_b32 exec_lo, exec_lo, s4
	s_wait_dscnt 0x0
	ds_bpermute_b32 v4, v8, v3
	v_lshlrev_b32_e32 v5, 2, v13
	s_wait_dscnt 0x0
	v_add_f32_e32 v3, v3, v4
	ds_bpermute_b32 v4, v15, v3
	s_wait_dscnt 0x0
	v_dual_add_f32 v3, v3, v4 :: v_dual_and_b32 v4, 0xffffff80, v5
	ds_bpermute_b32 v3, v4, v3
	s_and_saveexec_b32 s0, s1
	s_cbranch_execz .LBB253_156
; %bb.154:
	s_wait_dscnt 0x0
	v_add_f32_e32 v4, 0x358637bd, v3
	s_mov_b32 s1, 0
	s_delay_alu instid0(VALU_DEP_1) | instskip(SKIP_1) | instid1(VALU_DEP_2)
	v_div_scale_f32 v5, null, v4, v4, 1.0
	v_div_scale_f32 v8, vcc_lo, 1.0, v4, 1.0
	v_rcp_f32_e32 v6, v5
	s_delay_alu instid0(TRANS32_DEP_1) | instskip(NEXT) | instid1(VALU_DEP_1)
	v_fma_f32 v7, -v5, v6, 1.0
	v_fmac_f32_e32 v6, v7, v6
	s_delay_alu instid0(VALU_DEP_1) | instskip(NEXT) | instid1(VALU_DEP_1)
	v_mul_f32_e32 v7, v8, v6
	v_fma_f32 v13, -v5, v7, v8
	s_delay_alu instid0(VALU_DEP_1) | instskip(NEXT) | instid1(VALU_DEP_1)
	v_fmac_f32_e32 v7, v13, v6
	v_fma_f32 v5, -v5, v7, v8
	s_wait_alu 0xfffd
	s_delay_alu instid0(VALU_DEP_1) | instskip(NEXT) | instid1(VALU_DEP_1)
	v_div_fmas_f32 v5, v5, v6, v7
	v_div_fixup_f32 v4, v5, v4, 1.0
	v_mov_b32_e32 v5, v0
.LBB253_155:                            ; =>This Inner Loop Header: Depth=1
	ds_load_b32 v6, v2
	s_wait_dscnt 0x0
	v_dual_mul_f32 v6, v4, v6 :: v_dual_add_nc_u32 v5, 0x80, v5
	s_delay_alu instid0(VALU_DEP_1)
	v_cmp_le_i32_e32 vcc_lo, s5, v5
	ds_store_b32 v2, v6
	v_add_nc_u32_e32 v2, 0x200, v2
	s_wait_alu 0xfffe
	s_or_b32 s1, vcc_lo, s1
	s_wait_alu 0xfffe
	s_and_not1_b32 exec_lo, exec_lo, s1
	s_cbranch_execnz .LBB253_155
.LBB253_156:
	s_wait_alu 0xfffe
	s_or_b32 exec_lo, exec_lo, s0
	s_mul_i32 s0, s21, s30
	s_wait_loadcnt_dscnt 0x0
	s_wait_alu 0xfffe
	s_mul_i32 s4, s0, s31
	s_mov_b32 s0, exec_lo
	s_barrier_signal -1
	s_barrier_wait -1
	global_inv scope:SCOPE_SE
	v_cmpx_eq_u32_e32 0, v0
	s_cbranch_execz .LBB253_158
; %bb.157:
	s_wait_alu 0xfffe
	s_ashr_i32 s5, s4, 31
	s_mul_i32 s30, s21, ttmp9
	s_lshl_b32 s1, s29, 2
	s_wait_alu 0xfffe
	s_lshl_b64 s[34:35], s[4:5], 2
	s_ashr_i32 s31, s30, 31
	v_mov_b32_e32 v2, s1
	s_wait_alu 0xfffe
	s_add_nc_u64 s[14:15], s[14:15], s[34:35]
	s_lshl_b64 s[30:31], s[30:31], 2
	s_add_nc_u64 s[12:13], s[12:13], s[34:35]
	s_wait_alu 0xfffe
	s_add_nc_u64 s[14:15], s[14:15], s[30:31]
	s_add_nc_u64 s[12:13], s[12:13], s[30:31]
	s_clause 0x1
	global_store_b32 v2, v1, s[14:15]
	global_store_b32 v2, v3, s[12:13]
.LBB253_158:
	s_wait_alu 0xfffe
	s_or_b32 exec_lo, exec_lo, s0
	v_mov_b32_e32 v15, 0
	v_mov_b32_e32 v13, 0
	s_and_saveexec_b32 s1, s3
	s_cbranch_execz .LBB253_294
; %bb.159:
	v_dual_mov_b32 v2, 0 :: v_dual_lshlrev_b32 v1, 3, v14
	s_ashr_i32 s19, s18, 31
	v_add3_u32 v16, s28, v10, 7
	s_wait_kmcnt 0x0
	s_wait_alu 0xfffe
	s_add_nc_u64 s[12:13], s[8:9], s[18:19]
	v_lshl_add_u32 v17, v11, 5, 0xa0
	s_wait_alu 0xfffe
	v_add_co_u32 v3, s0, s12, v1
	s_wait_alu 0xf1ff
	v_add_co_ci_u32_e64 v4, null, s13, 0, s0
	s_lshl_b64 s[12:13], s[22:23], 2
	v_mov_b32_e32 v13, 0
	s_wait_alu 0xfffe
	s_add_nc_u64 s[12:13], s[24:25], s[12:13]
	v_mov_b32_e32 v15, 0
	s_wait_alu 0xfffe
	v_add_co_u32 v5, s0, s12, v9
	s_wait_alu 0xf1ff
	v_add_co_ci_u32_e64 v6, null, s13, 0, s0
	s_mov_b32 s8, -1
	s_mov_b32 s3, s17
	s_mov_b32 s9, 0xffffff
	s_add_co_i32 s33, s33, -1
	s_mov_b32 s5, 0
	s_branch .LBB253_161
.LBB253_160:                            ;   in Loop: Header=BB253_161 Depth=1
	s_wait_alu 0xfffe
	s_or_b32 exec_lo, exec_lo, s0
	;;#ASMSTART
	v_pk_mul_f16 v1, v28, v35;

	;;#ASMEND
	;;#ASMSTART
	v_pk_mul_f16 v7, v25, v31;

	;;#ASMEND
	;; [unrolled: 4-line block ×4, first 2 shown]
	;;#ASMSTART
	v_pk_add_f16 v1, v1, v7;

	;;#ASMEND
	;;#ASMSTART
	v_pk_add_f16 v1, v1, v8;

	;;#ASMEND
	;; [unrolled: 4-line block ×3, first 2 shown]
	v_and_b32_e32 v7, 0xffff, v1
	v_lshrrev_b32_e32 v8, 16, v1
	v_dual_add_f32 v1, v26, v27 :: v_dual_add_nc_u32 v12, 4, v12
	;;#ASMSTART
	v_cvt_f32_f16 v7, v7;
	;;#ASMEND
	;;#ASMSTART
	v_cvt_f32_f16 v8, v8;
	;;#ASMEND
	s_delay_alu instid0(VALU_DEP_2) | instskip(SKIP_3) | instid1(VALU_DEP_4)
	v_add_f32_e32 v7, v7, v8
	v_add_co_u32 v5, s0, v5, 16
	v_cmp_le_i32_e32 vcc_lo, s27, v12
	v_dual_add_f32 v15, v15, v1 :: v_dual_add_nc_u32 v16, 32, v16
	v_add_f32_e32 v13, v13, v7
	v_add_nc_u32_e32 v17, 0x80, v17
	s_wait_alu 0xf1ff
	v_add_co_ci_u32_e64 v6, null, 0, v6, s0
	s_or_b32 s5, vcc_lo, s5
	s_wait_alu 0xfffe
	s_and_not1_b32 exec_lo, exec_lo, s5
	s_cbranch_execz .LBB253_293
.LBB253_161:                            ; =>This Inner Loop Header: Depth=1
	global_load_b32 v1, v[5:6], off
	ds_load_2addr_b64 v[18:21], v17 offset1:1
	ds_load_2addr_b64 v[29:32], v17 offset0:2 offset1:3
	s_mov_b32 s0, exec_lo
	s_wait_dscnt 0x1
	;;#ASMSTART
	v_cvt_f16_f32 v23, v18;

	;;#ASMEND
	;;#ASMSTART
	v_cvt_f16_f32 v24, v19;

	;;#ASMEND
	;; [unrolled: 4-line block ×4, first 2 shown]
	s_wait_dscnt 0x0
	;;#ASMSTART
	v_cvt_f16_f32 v29, v29;

	;;#ASMEND
	;;#ASMSTART
	v_cvt_f16_f32 v26, v30;

	;;#ASMEND
	;; [unrolled: 4-line block ×4, first 2 shown]
	v_mov_b32_e32 v19, 0
	s_wait_loadcnt 0x0
	s_wait_alu 0xfffe
	v_mad_co_i64_i32 v[7:8], null, v1, s3, v[3:4]
	global_load_b64 v[9:10], v[7:8], off
	global_load_b32 v18, v2, s[10:11]
	s_wait_loadcnt 0x1
	v_and_b32_e32 v1, 0xff, v9
	s_delay_alu instid0(VALU_DEP_1)
	v_cmpx_ne_u16_e32 0, v1
	s_cbranch_execz .LBB253_169
; %bb.162:                              ;   in Loop: Header=BB253_161 Depth=1
	v_mov_b32_e32 v19, 0x8000
	s_mov_b32 s12, exec_lo
	v_cmpx_ne_u16_e32 0x80, v1
	s_cbranch_execz .LBB253_168
; %bb.163:                              ;   in Loop: Header=BB253_161 Depth=1
	v_and_b32_e32 v20, 0x7f, v9
	v_mov_b32_e32 v19, 0x7c01
	s_mov_b32 s13, exec_lo
	s_delay_alu instid0(VALU_DEP_2)
	v_cmpx_ne_u32_e32 0x7f, v20
	s_cbranch_execz .LBB253_167
; %bb.164:                              ;   in Loop: Header=BB253_161 Depth=1
	v_and_b32_e32 v1, 7, v9
	v_lshrrev_b32_e32 v19, 3, v20
	s_mov_b32 s14, exec_lo
	v_cmpx_gt_u32_e32 8, v20
; %bb.165:                              ;   in Loop: Header=BB253_161 Depth=1
	s_delay_alu instid0(VALU_DEP_3) | instskip(NEXT) | instid1(VALU_DEP_1)
	v_clz_i32_u32_e32 v1, v1
	v_min_u32_e32 v1, 32, v1
	s_delay_alu instid0(VALU_DEP_1) | instskip(NEXT) | instid1(VALU_DEP_1)
	v_subrev_nc_u32_e32 v19, 28, v1
	v_lshlrev_b64_e32 v[20:21], v19, v[9:10]
	v_sub_nc_u32_e32 v19, 29, v1
	s_delay_alu instid0(VALU_DEP_2)
	v_and_b32_e32 v1, 7, v20
; %bb.166:                              ;   in Loop: Header=BB253_161 Depth=1
	s_wait_alu 0xfffe
	s_or_b32 exec_lo, exec_lo, s14
	v_lshlrev_b32_e32 v20, 8, v9
	v_lshl_add_u32 v19, v19, 10, 0x2000
	v_lshlrev_b32_e32 v1, 7, v1
	s_delay_alu instid0(VALU_DEP_3) | instskip(NEXT) | instid1(VALU_DEP_3)
	v_and_b32_e32 v20, 0x8000, v20
	v_and_b32_e32 v19, 0xfc00, v19
	s_delay_alu instid0(VALU_DEP_1)
	v_or3_b32 v19, v20, v19, v1
.LBB253_167:                            ;   in Loop: Header=BB253_161 Depth=1
	s_wait_alu 0xfffe
	s_or_b32 exec_lo, exec_lo, s13
.LBB253_168:                            ;   in Loop: Header=BB253_161 Depth=1
	s_wait_alu 0xfffe
	s_or_b32 exec_lo, exec_lo, s12
.LBB253_169:                            ;   in Loop: Header=BB253_161 Depth=1
	s_delay_alu instid0(SALU_CYCLE_1) | instskip(SKIP_3) | instid1(VALU_DEP_2)
	s_or_b32 exec_lo, exec_lo, s0
	v_lshrrev_b16 v1, 8, v9
	v_dual_mov_b32 v21, 0 :: v_dual_mov_b32 v20, 0
	s_mov_b32 s0, exec_lo
	v_cmpx_ne_u16_e32 0, v1
	s_cbranch_execz .LBB253_177
; %bb.170:                              ;   in Loop: Header=BB253_161 Depth=1
	v_bfrev_b32_e32 v20, 1
	s_mov_b32 s12, exec_lo
	v_cmpx_ne_u16_e32 0x80, v1
	s_cbranch_execz .LBB253_176
; %bb.171:                              ;   in Loop: Header=BB253_161 Depth=1
	v_and_b32_e32 v22, 0xffff, v1
	v_mov_b32_e32 v20, 0x7c010000
	s_mov_b32 s13, exec_lo
	s_delay_alu instid0(VALU_DEP_2) | instskip(NEXT) | instid1(VALU_DEP_1)
	v_and_b32_e32 v32, 0x7f, v22
	v_cmpx_ne_u32_e32 0x7f, v32
	s_cbranch_execz .LBB253_175
; %bb.172:                              ;   in Loop: Header=BB253_161 Depth=1
	v_and_b32_e32 v20, 7, v22
	v_lshrrev_b32_e32 v31, 3, v32
	s_mov_b32 s14, exec_lo
	v_cmpx_gt_u32_e32 8, v32
; %bb.173:                              ;   in Loop: Header=BB253_161 Depth=1
	s_delay_alu instid0(VALU_DEP_3) | instskip(NEXT) | instid1(VALU_DEP_1)
	v_clz_i32_u32_e32 v20, v20
	v_min_u32_e32 v20, 32, v20
	s_delay_alu instid0(VALU_DEP_1) | instskip(NEXT) | instid1(VALU_DEP_1)
	v_subrev_nc_u32_e32 v31, 28, v20
	v_lshlrev_b64_e32 v[32:33], v31, v[1:2]
	v_sub_nc_u32_e32 v31, 29, v20
	s_delay_alu instid0(VALU_DEP_2)
	v_and_b32_e32 v20, 7, v32
; %bb.174:                              ;   in Loop: Header=BB253_161 Depth=1
	s_wait_alu 0xfffe
	s_or_b32 exec_lo, exec_lo, s14
	v_lshlrev_b32_e32 v1, 8, v22
	v_lshl_add_u32 v22, v31, 10, 0x2000
	v_lshlrev_b32_e32 v20, 23, v20
	s_delay_alu instid0(VALU_DEP_2) | instskip(NEXT) | instid1(VALU_DEP_1)
	v_and_or_b32 v1, 0x8000, v1, v22
	v_lshl_or_b32 v20, v1, 16, v20
.LBB253_175:                            ;   in Loop: Header=BB253_161 Depth=1
	s_wait_alu 0xfffe
	s_or_b32 exec_lo, exec_lo, s13
.LBB253_176:                            ;   in Loop: Header=BB253_161 Depth=1
	s_wait_alu 0xfffe
	s_or_b32 exec_lo, exec_lo, s12
.LBB253_177:                            ;   in Loop: Header=BB253_161 Depth=1
	s_wait_alu 0xfffe
	s_or_b32 exec_lo, exec_lo, s0
	v_lshrrev_b32_e32 v1, 16, v9
	s_mov_b32 s0, exec_lo
	s_delay_alu instid0(VALU_DEP_1) | instskip(NEXT) | instid1(VALU_DEP_1)
	v_and_b32_e32 v22, 0xff, v1
	v_cmpx_ne_u16_e32 0, v22
	s_cbranch_execz .LBB253_185
; %bb.178:                              ;   in Loop: Header=BB253_161 Depth=1
	v_mov_b32_e32 v21, 0x8000
	s_mov_b32 s12, exec_lo
	v_cmpx_ne_u16_e32 0x80, v22
	s_cbranch_execz .LBB253_184
; %bb.179:                              ;   in Loop: Header=BB253_161 Depth=1
	v_bfe_u32 v31, v9, 16, 7
	v_mov_b32_e32 v21, 0x7c01
	s_mov_b32 s13, exec_lo
	s_delay_alu instid0(VALU_DEP_2)
	v_cmpx_ne_u32_e32 0x7f, v31
	s_cbranch_execz .LBB253_183
; %bb.180:                              ;   in Loop: Header=BB253_161 Depth=1
	v_and_b32_e32 v21, 7, v1
	v_lshrrev_b32_e32 v22, 3, v31
	s_mov_b32 s14, exec_lo
	v_cmpx_gt_u32_e32 8, v31
; %bb.181:                              ;   in Loop: Header=BB253_161 Depth=1
	s_delay_alu instid0(VALU_DEP_3) | instskip(NEXT) | instid1(VALU_DEP_1)
	v_clz_i32_u32_e32 v21, v21
	v_min_u32_e32 v31, 32, v21
	s_delay_alu instid0(VALU_DEP_1) | instskip(NEXT) | instid1(VALU_DEP_1)
	v_subrev_nc_u32_e32 v21, 28, v31
	v_lshlrev_b64_e32 v[21:22], v21, v[1:2]
	v_sub_nc_u32_e32 v22, 29, v31
	s_delay_alu instid0(VALU_DEP_2)
	v_and_b32_e32 v21, 7, v21
; %bb.182:                              ;   in Loop: Header=BB253_161 Depth=1
	s_wait_alu 0xfffe
	s_or_b32 exec_lo, exec_lo, s14
	v_lshlrev_b32_e32 v1, 8, v1
	v_lshl_add_u32 v22, v22, 10, 0x2000
	v_lshlrev_b32_e32 v21, 7, v21
	s_delay_alu instid0(VALU_DEP_3) | instskip(NEXT) | instid1(VALU_DEP_3)
	v_and_b32_e32 v1, 0x8000, v1
	v_and_b32_e32 v22, 0xfc00, v22
	s_delay_alu instid0(VALU_DEP_1)
	v_or3_b32 v21, v1, v22, v21
.LBB253_183:                            ;   in Loop: Header=BB253_161 Depth=1
	s_wait_alu 0xfffe
	s_or_b32 exec_lo, exec_lo, s13
.LBB253_184:                            ;   in Loop: Header=BB253_161 Depth=1
	s_wait_alu 0xfffe
	s_or_b32 exec_lo, exec_lo, s12
.LBB253_185:                            ;   in Loop: Header=BB253_161 Depth=1
	s_wait_alu 0xfffe
	s_or_b32 exec_lo, exec_lo, s0
	v_dual_mov_b32 v22, 0 :: v_dual_mov_b32 v31, 0
	s_mov_b32 s0, exec_lo
	v_cmpx_lt_u32_e32 0xffffff, v9
	s_cbranch_execz .LBB253_193
; %bb.186:                              ;   in Loop: Header=BB253_161 Depth=1
	v_lshrrev_b32_e32 v1, 24, v9
	v_bfrev_b32_e32 v31, 1
	s_mov_b32 s12, exec_lo
	s_delay_alu instid0(VALU_DEP_2)
	v_cmpx_ne_u32_e32 0x80, v1
	s_cbranch_execz .LBB253_192
; %bb.187:                              ;   in Loop: Header=BB253_161 Depth=1
	v_and_b32_e32 v33, 0x7f, v1
	v_mov_b32_e32 v31, 0x7c010000
	s_mov_b32 s13, exec_lo
	s_delay_alu instid0(VALU_DEP_2)
	v_cmpx_ne_u32_e32 0x7f, v33
	s_cbranch_execz .LBB253_191
; %bb.188:                              ;   in Loop: Header=BB253_161 Depth=1
	v_and_b32_e32 v31, 7, v1
	v_lshrrev_b32_e32 v32, 3, v33
	s_mov_b32 s14, exec_lo
	v_cmpx_gt_u32_e32 8, v33
; %bb.189:                              ;   in Loop: Header=BB253_161 Depth=1
	s_delay_alu instid0(VALU_DEP_3) | instskip(NEXT) | instid1(VALU_DEP_1)
	v_clz_i32_u32_e32 v31, v31
	v_min_u32_e32 v33, 32, v31
	s_delay_alu instid0(VALU_DEP_1) | instskip(NEXT) | instid1(VALU_DEP_1)
	v_subrev_nc_u32_e32 v31, 28, v33
	v_lshlrev_b64_e32 v[31:32], v31, v[1:2]
	v_sub_nc_u32_e32 v32, 29, v33
	s_delay_alu instid0(VALU_DEP_2)
	v_and_b32_e32 v31, 7, v31
; %bb.190:                              ;   in Loop: Header=BB253_161 Depth=1
	s_wait_alu 0xfffe
	s_or_b32 exec_lo, exec_lo, s14
	v_lshlrev_b32_e32 v1, 8, v1
	v_lshl_add_u32 v32, v32, 10, 0x2000
	v_lshlrev_b32_e32 v31, 23, v31
	s_delay_alu instid0(VALU_DEP_2) | instskip(NEXT) | instid1(VALU_DEP_1)
	v_and_or_b32 v1, 0x8000, v1, v32
	v_lshl_or_b32 v31, v1, 16, v31
.LBB253_191:                            ;   in Loop: Header=BB253_161 Depth=1
	s_wait_alu 0xfffe
	s_or_b32 exec_lo, exec_lo, s13
.LBB253_192:                            ;   in Loop: Header=BB253_161 Depth=1
	s_wait_alu 0xfffe
	s_or_b32 exec_lo, exec_lo, s12
.LBB253_193:                            ;   in Loop: Header=BB253_161 Depth=1
	s_wait_alu 0xfffe
	s_or_b32 exec_lo, exec_lo, s0
	v_dual_mov_b32 v1, v10 :: v_dual_and_b32 v32, 0xff, v10
	s_mov_b32 s0, exec_lo
	s_delay_alu instid0(VALU_DEP_1)
	v_cmpx_ne_u16_e32 0, v32
	s_cbranch_execz .LBB253_201
; %bb.194:                              ;   in Loop: Header=BB253_161 Depth=1
	v_mov_b32_e32 v22, 0x8000
	s_mov_b32 s12, exec_lo
	v_cmpx_ne_u16_e32 0x80, v32
	s_cbranch_execz .LBB253_200
; %bb.195:                              ;   in Loop: Header=BB253_161 Depth=1
	v_and_b32_e32 v33, 0x7f, v10
	v_mov_b32_e32 v22, 0x7c01
	s_mov_b32 s13, exec_lo
	s_delay_alu instid0(VALU_DEP_2)
	v_cmpx_ne_u32_e32 0x7f, v33
	s_cbranch_execz .LBB253_199
; %bb.196:                              ;   in Loop: Header=BB253_161 Depth=1
	v_and_b32_e32 v22, 7, v10
	v_lshrrev_b32_e32 v32, 3, v33
	s_mov_b32 s14, exec_lo
	v_cmpx_gt_u32_e32 8, v33
; %bb.197:                              ;   in Loop: Header=BB253_161 Depth=1
	s_delay_alu instid0(VALU_DEP_3) | instskip(NEXT) | instid1(VALU_DEP_1)
	v_clz_i32_u32_e32 v22, v22
	v_min_u32_e32 v22, 32, v22
	s_delay_alu instid0(VALU_DEP_1) | instskip(NEXT) | instid1(VALU_DEP_1)
	v_subrev_nc_u32_e32 v32, 28, v22
	v_lshlrev_b64_e32 v[33:34], v32, v[1:2]
	v_sub_nc_u32_e32 v32, 29, v22
	s_delay_alu instid0(VALU_DEP_2)
	v_and_b32_e32 v22, 7, v33
; %bb.198:                              ;   in Loop: Header=BB253_161 Depth=1
	s_wait_alu 0xfffe
	s_or_b32 exec_lo, exec_lo, s14
	v_lshlrev_b32_e32 v33, 8, v10
	v_lshl_add_u32 v32, v32, 10, 0x2000
	v_lshlrev_b32_e32 v22, 7, v22
	s_delay_alu instid0(VALU_DEP_3) | instskip(NEXT) | instid1(VALU_DEP_3)
	v_and_b32_e32 v33, 0x8000, v33
	v_and_b32_e32 v32, 0xfc00, v32
	s_delay_alu instid0(VALU_DEP_1)
	v_or3_b32 v22, v33, v32, v22
.LBB253_199:                            ;   in Loop: Header=BB253_161 Depth=1
	s_wait_alu 0xfffe
	s_or_b32 exec_lo, exec_lo, s13
.LBB253_200:                            ;   in Loop: Header=BB253_161 Depth=1
	s_wait_alu 0xfffe
	s_or_b32 exec_lo, exec_lo, s12
.LBB253_201:                            ;   in Loop: Header=BB253_161 Depth=1
	s_wait_alu 0xfffe
	s_or_b32 exec_lo, exec_lo, s0
	v_lshrrev_b16 v1, 8, v1
	v_dual_mov_b32 v33, 0 :: v_dual_mov_b32 v32, 0
	s_mov_b32 s0, exec_lo
	s_delay_alu instid0(VALU_DEP_2)
	v_cmpx_ne_u16_e32 0, v1
	s_cbranch_execz .LBB253_209
; %bb.202:                              ;   in Loop: Header=BB253_161 Depth=1
	v_bfrev_b32_e32 v32, 1
	s_mov_b32 s12, exec_lo
	v_cmpx_ne_u16_e32 0x80, v1
	s_cbranch_execz .LBB253_208
; %bb.203:                              ;   in Loop: Header=BB253_161 Depth=1
	v_and_b32_e32 v34, 0xffff, v1
	v_mov_b32_e32 v32, 0x7c010000
	s_mov_b32 s13, exec_lo
	s_delay_alu instid0(VALU_DEP_2) | instskip(NEXT) | instid1(VALU_DEP_1)
	v_and_b32_e32 v36, 0x7f, v34
	v_cmpx_ne_u32_e32 0x7f, v36
	s_cbranch_execz .LBB253_207
; %bb.204:                              ;   in Loop: Header=BB253_161 Depth=1
	v_and_b32_e32 v32, 7, v34
	v_lshrrev_b32_e32 v35, 3, v36
	s_mov_b32 s14, exec_lo
	v_cmpx_gt_u32_e32 8, v36
; %bb.205:                              ;   in Loop: Header=BB253_161 Depth=1
	s_delay_alu instid0(VALU_DEP_3) | instskip(NEXT) | instid1(VALU_DEP_1)
	v_clz_i32_u32_e32 v32, v32
	v_min_u32_e32 v32, 32, v32
	s_delay_alu instid0(VALU_DEP_1) | instskip(NEXT) | instid1(VALU_DEP_1)
	v_subrev_nc_u32_e32 v35, 28, v32
	v_lshlrev_b64_e32 v[36:37], v35, v[1:2]
	v_sub_nc_u32_e32 v35, 29, v32
	s_delay_alu instid0(VALU_DEP_2)
	v_and_b32_e32 v32, 7, v36
; %bb.206:                              ;   in Loop: Header=BB253_161 Depth=1
	s_wait_alu 0xfffe
	s_or_b32 exec_lo, exec_lo, s14
	v_lshlrev_b32_e32 v1, 8, v34
	v_lshl_add_u32 v34, v35, 10, 0x2000
	v_lshlrev_b32_e32 v32, 23, v32
	s_delay_alu instid0(VALU_DEP_2) | instskip(NEXT) | instid1(VALU_DEP_1)
	v_and_or_b32 v1, 0x8000, v1, v34
	v_lshl_or_b32 v32, v1, 16, v32
.LBB253_207:                            ;   in Loop: Header=BB253_161 Depth=1
	s_wait_alu 0xfffe
	s_or_b32 exec_lo, exec_lo, s13
.LBB253_208:                            ;   in Loop: Header=BB253_161 Depth=1
	s_wait_alu 0xfffe
	s_or_b32 exec_lo, exec_lo, s12
.LBB253_209:                            ;   in Loop: Header=BB253_161 Depth=1
	s_wait_alu 0xfffe
	s_or_b32 exec_lo, exec_lo, s0
	v_lshrrev_b32_e32 v1, 16, v10
	s_mov_b32 s0, exec_lo
	s_delay_alu instid0(VALU_DEP_1) | instskip(NEXT) | instid1(VALU_DEP_1)
	v_and_b32_e32 v34, 0xff, v1
	v_cmpx_ne_u16_e32 0, v34
	s_cbranch_execz .LBB253_217
; %bb.210:                              ;   in Loop: Header=BB253_161 Depth=1
	v_mov_b32_e32 v33, 0x8000
	s_mov_b32 s12, exec_lo
	v_cmpx_ne_u16_e32 0x80, v34
	s_cbranch_execz .LBB253_216
; %bb.211:                              ;   in Loop: Header=BB253_161 Depth=1
	v_bfe_u32 v35, v10, 16, 7
	v_mov_b32_e32 v33, 0x7c01
	s_mov_b32 s13, exec_lo
	s_delay_alu instid0(VALU_DEP_2)
	v_cmpx_ne_u32_e32 0x7f, v35
	s_cbranch_execz .LBB253_215
; %bb.212:                              ;   in Loop: Header=BB253_161 Depth=1
	v_and_b32_e32 v33, 7, v1
	v_lshrrev_b32_e32 v34, 3, v35
	s_mov_b32 s14, exec_lo
	v_cmpx_gt_u32_e32 8, v35
; %bb.213:                              ;   in Loop: Header=BB253_161 Depth=1
	s_delay_alu instid0(VALU_DEP_3) | instskip(NEXT) | instid1(VALU_DEP_1)
	v_clz_i32_u32_e32 v33, v33
	v_min_u32_e32 v35, 32, v33
	s_delay_alu instid0(VALU_DEP_1) | instskip(NEXT) | instid1(VALU_DEP_1)
	v_subrev_nc_u32_e32 v33, 28, v35
	v_lshlrev_b64_e32 v[33:34], v33, v[1:2]
	v_sub_nc_u32_e32 v34, 29, v35
	s_delay_alu instid0(VALU_DEP_2)
	v_and_b32_e32 v33, 7, v33
; %bb.214:                              ;   in Loop: Header=BB253_161 Depth=1
	s_wait_alu 0xfffe
	s_or_b32 exec_lo, exec_lo, s14
	v_lshlrev_b32_e32 v1, 8, v1
	v_lshl_add_u32 v34, v34, 10, 0x2000
	v_lshlrev_b32_e32 v33, 7, v33
	s_delay_alu instid0(VALU_DEP_3) | instskip(NEXT) | instid1(VALU_DEP_3)
	v_and_b32_e32 v1, 0x8000, v1
	v_and_b32_e32 v34, 0xfc00, v34
	s_delay_alu instid0(VALU_DEP_1)
	v_or3_b32 v33, v1, v34, v33
.LBB253_215:                            ;   in Loop: Header=BB253_161 Depth=1
	s_wait_alu 0xfffe
	s_or_b32 exec_lo, exec_lo, s13
.LBB253_216:                            ;   in Loop: Header=BB253_161 Depth=1
	s_wait_alu 0xfffe
	s_or_b32 exec_lo, exec_lo, s12
.LBB253_217:                            ;   in Loop: Header=BB253_161 Depth=1
	s_wait_alu 0xfffe
	s_or_b32 exec_lo, exec_lo, s0
	v_mov_b32_e32 v34, 0
	s_mov_b32 s0, exec_lo
	v_cmpx_lt_u64_e64 s[8:9], v[9:10]
	s_cbranch_execz .LBB253_225
; %bb.218:                              ;   in Loop: Header=BB253_161 Depth=1
	v_lshrrev_b32_e32 v1, 24, v10
	v_bfrev_b32_e32 v34, 1
	s_mov_b32 s12, exec_lo
	s_delay_alu instid0(VALU_DEP_2)
	v_cmpx_ne_u32_e32 0x80, v1
	s_cbranch_execz .LBB253_224
; %bb.219:                              ;   in Loop: Header=BB253_161 Depth=1
	v_and_b32_e32 v35, 0x7f, v1
	v_mov_b32_e32 v34, 0x7c010000
	s_mov_b32 s13, exec_lo
	s_delay_alu instid0(VALU_DEP_2)
	v_cmpx_ne_u32_e32 0x7f, v35
	s_cbranch_execz .LBB253_223
; %bb.220:                              ;   in Loop: Header=BB253_161 Depth=1
	v_and_b32_e32 v9, 7, v1
	v_lshrrev_b32_e32 v10, 3, v35
	s_mov_b32 s14, exec_lo
	v_cmpx_gt_u32_e32 8, v35
; %bb.221:                              ;   in Loop: Header=BB253_161 Depth=1
	s_delay_alu instid0(VALU_DEP_3) | instskip(NEXT) | instid1(VALU_DEP_1)
	v_clz_i32_u32_e32 v9, v9
	v_min_u32_e32 v34, 32, v9
	s_delay_alu instid0(VALU_DEP_1) | instskip(NEXT) | instid1(VALU_DEP_1)
	v_subrev_nc_u32_e32 v9, 28, v34
	v_lshlrev_b64_e32 v[9:10], v9, v[1:2]
	v_sub_nc_u32_e32 v10, 29, v34
	s_delay_alu instid0(VALU_DEP_2)
	v_and_b32_e32 v9, 7, v9
; %bb.222:                              ;   in Loop: Header=BB253_161 Depth=1
	s_wait_alu 0xfffe
	s_or_b32 exec_lo, exec_lo, s14
	v_lshlrev_b32_e32 v1, 8, v1
	v_lshl_add_u32 v10, v10, 10, 0x2000
	v_lshlrev_b32_e32 v9, 23, v9
	s_delay_alu instid0(VALU_DEP_2) | instskip(NEXT) | instid1(VALU_DEP_1)
	v_and_or_b32 v1, 0x8000, v1, v10
	v_lshl_or_b32 v34, v1, 16, v9
.LBB253_223:                            ;   in Loop: Header=BB253_161 Depth=1
	s_wait_alu 0xfffe
	s_or_b32 exec_lo, exec_lo, s13
.LBB253_224:                            ;   in Loop: Header=BB253_161 Depth=1
	s_wait_alu 0xfffe
	s_or_b32 exec_lo, exec_lo, s12
.LBB253_225:                            ;   in Loop: Header=BB253_161 Depth=1
	s_wait_alu 0xfffe
	s_or_b32 exec_lo, exec_lo, s0
	v_or_b32_e32 v1, v31, v21
	s_wait_loadcnt 0x0
	v_fma_mixlo_f16 v10, v18, v31, 0 op_sel:[0,1,0] op_sel_hi:[0,1,0]
	v_or_b32_e32 v19, v20, v19
	v_fma_mixlo_f16 v20, v18, v20, 0 op_sel:[0,1,0] op_sel_hi:[0,1,0]
	v_or_b32_e32 v21, v32, v22
	v_fma_mixlo_f16 v1, v18, v1, 0 op_sel_hi:[0,1,0]
	v_or_b32_e32 v22, v34, v33
	v_lshlrev_b32_e32 v31, 16, v10
	v_lshlrev_b32_e32 v39, 16, v20
	v_fma_mixlo_f16 v10, v18, v32, 0 op_sel:[0,1,0] op_sel_hi:[0,1,0]
	v_and_b32_e32 v36, 0xffff, v1
	v_fma_mixlo_f16 v1, v18, v19, 0 op_sel_hi:[0,1,0]
	v_fma_mixlo_f16 v19, v18, v21, 0 op_sel_hi:[0,1,0]
	v_fma_mixlo_f16 v20, v18, v34, 0 op_sel:[0,1,0] op_sel_hi:[0,1,0]
	v_fma_mixlo_f16 v18, v18, v22, 0 op_sel_hi:[0,1,0]
	v_lshlrev_b32_e32 v37, 16, v10
	v_and_b32_e32 v41, 0xffff, v1
	v_and_b32_e32 v40, 0xffff, v19
	v_lshlrev_b32_e32 v34, 16, v20
	v_and_b32_e32 v38, 0xffff, v18
	v_add_nc_u32_e32 v9, -7, v16
	v_cmp_eq_u32_e32 vcc_lo, s33, v12
	v_or_b32_e32 v1, v31, v36
	v_or_b32_e32 v32, v39, v41
	;; [unrolled: 1-line block ×4, first 2 shown]
	v_add_nc_u32_e32 v22, -6, v16
	v_add_nc_u32_e32 v21, -5, v16
	;; [unrolled: 1-line block ×6, first 2 shown]
	s_and_saveexec_b32 s12, vcc_lo
	s_cbranch_execz .LBB253_227
; %bb.226:                              ;   in Loop: Header=BB253_161 Depth=1
	v_cmp_gt_i32_e64 s0, s26, v9
	s_wait_alu 0xf1ff
	s_delay_alu instid0(VALU_DEP_1) | instskip(SKIP_2) | instid1(VALU_DEP_1)
	v_cndmask_b32_e64 v1, 0, v41, s0
	v_cmp_gt_i32_e64 s0, s26, v22
	s_wait_alu 0xf1ff
	v_cndmask_b32_e64 v32, 0, v39, s0
	v_cmp_gt_i32_e64 s0, s26, v21
	s_delay_alu instid0(VALU_DEP_2) | instskip(SKIP_1) | instid1(VALU_DEP_2)
	v_or_b32_e32 v32, v32, v1
	s_wait_alu 0xf1ff
	v_cndmask_b32_e64 v33, 0, v36, s0
	v_cmp_gt_i32_e64 s0, s26, v20
	s_wait_alu 0xf1ff
	s_delay_alu instid0(VALU_DEP_1) | instskip(SKIP_1) | instid1(VALU_DEP_2)
	v_cndmask_b32_e64 v31, 0, v31, s0
	v_cmp_gt_i32_e64 s0, s26, v19
	v_or_b32_e32 v1, v31, v33
	s_wait_alu 0xf1ff
	s_delay_alu instid0(VALU_DEP_2) | instskip(SKIP_2) | instid1(VALU_DEP_1)
	v_cndmask_b32_e64 v35, 0, v40, s0
	v_cmp_gt_i32_e64 s0, s26, v18
	s_wait_alu 0xf1ff
	v_cndmask_b32_e64 v36, 0, v37, s0
	v_cmp_gt_i32_e64 s0, s26, v10
	s_delay_alu instid0(VALU_DEP_2) | instskip(SKIP_1) | instid1(VALU_DEP_2)
	v_or_b32_e32 v33, v36, v35
	s_wait_alu 0xf1ff
	v_cndmask_b32_e64 v37, 0, v38, s0
	v_cmp_gt_i32_e64 s0, s26, v16
	s_wait_alu 0xf1ff
	s_delay_alu instid0(VALU_DEP_1) | instskip(NEXT) | instid1(VALU_DEP_1)
	v_cndmask_b32_e64 v34, 0, v34, s0
	v_or_b32_e32 v35, v34, v37
.LBB253_227:                            ;   in Loop: Header=BB253_161 Depth=1
	s_wait_alu 0xfffe
	s_or_b32 exec_lo, exec_lo, s12
	v_and_b32_e32 v23, 0xffff, v23
	v_and_b32_e32 v31, 0xffff, v28
	v_and_b32_e32 v29, 0xffff, v29
	v_and_b32_e32 v30, 0xffff, v30
	s_mov_b32 s12, exec_lo
	v_lshl_or_b32 v28, v24, 16, v23
	v_lshl_or_b32 v25, v25, 16, v31
	;; [unrolled: 1-line block ×3, first 2 shown]
	;;#ASMSTART
	v_pk_mul_f16 v26, v28, v32;

	;;#ASMEND
	;;#ASMSTART
	v_pk_mul_f16 v1, v25, v1;

	;;#ASMEND
	v_mov_b32_e32 v31, 0
	v_lshl_or_b32 v23, v27, 16, v30
	;;#ASMSTART
	v_pk_mul_f16 v27, v24, v33;

	;;#ASMEND
	;;#ASMSTART
	v_pk_mul_f16 v29, v23, v35;

	;;#ASMEND
	;;#ASMSTART
	v_pk_add_f16 v1, v26, v1;

	;;#ASMEND
	;;#ASMSTART
	v_pk_add_f16 v1, v1, v27;
	;; [unrolled: 4-line block ×3, first 2 shown]

	;;#ASMEND
	v_and_b32_e32 v26, 0xffff, v1
	v_lshrrev_b32_e32 v1, 16, v1
	;;#ASMSTART
	v_cvt_f32_f16 v26, v26;
	;;#ASMEND
	;;#ASMSTART
	v_cvt_f32_f16 v27, v1;
	;;#ASMEND
	global_load_b64 v[7:8], v[7:8], off offset:256
	v_mov_b32_e32 v30, 0
	global_load_b32 v29, v30, s[10:11]
	s_wait_loadcnt 0x1
	v_and_b32_e32 v1, 0xff, v7
	s_delay_alu instid0(VALU_DEP_1)
	v_cmpx_ne_u16_e32 0, v1
	s_cbranch_execz .LBB253_235
; %bb.228:                              ;   in Loop: Header=BB253_161 Depth=1
	v_mov_b32_e32 v31, 0x8000
	s_mov_b32 s13, exec_lo
	v_cmpx_ne_u16_e32 0x80, v1
	s_cbranch_execz .LBB253_234
; %bb.229:                              ;   in Loop: Header=BB253_161 Depth=1
	v_and_b32_e32 v32, 0x7f, v7
	v_mov_b32_e32 v31, 0x7c01
	s_mov_b32 s14, exec_lo
	s_delay_alu instid0(VALU_DEP_2)
	v_cmpx_ne_u32_e32 0x7f, v32
	s_cbranch_execz .LBB253_233
; %bb.230:                              ;   in Loop: Header=BB253_161 Depth=1
	v_and_b32_e32 v1, 7, v7
	v_lshrrev_b32_e32 v31, 3, v32
	s_mov_b32 s15, exec_lo
	v_cmpx_gt_u32_e32 8, v32
; %bb.231:                              ;   in Loop: Header=BB253_161 Depth=1
	s_delay_alu instid0(VALU_DEP_3) | instskip(NEXT) | instid1(VALU_DEP_1)
	v_clz_i32_u32_e32 v1, v1
	v_min_u32_e32 v1, 32, v1
	s_delay_alu instid0(VALU_DEP_1) | instskip(NEXT) | instid1(VALU_DEP_1)
	v_subrev_nc_u32_e32 v31, 28, v1
	v_lshlrev_b64_e32 v[32:33], v31, v[7:8]
	v_sub_nc_u32_e32 v31, 29, v1
	s_delay_alu instid0(VALU_DEP_2)
	v_and_b32_e32 v1, 7, v32
; %bb.232:                              ;   in Loop: Header=BB253_161 Depth=1
	s_wait_alu 0xfffe
	s_or_b32 exec_lo, exec_lo, s15
	v_lshlrev_b32_e32 v32, 8, v7
	v_lshl_add_u32 v31, v31, 10, 0x2000
	v_lshlrev_b32_e32 v1, 7, v1
	s_delay_alu instid0(VALU_DEP_3) | instskip(NEXT) | instid1(VALU_DEP_3)
	v_and_b32_e32 v32, 0x8000, v32
	v_and_b32_e32 v31, 0xfc00, v31
	s_delay_alu instid0(VALU_DEP_1)
	v_or3_b32 v31, v32, v31, v1
.LBB253_233:                            ;   in Loop: Header=BB253_161 Depth=1
	s_wait_alu 0xfffe
	s_or_b32 exec_lo, exec_lo, s14
.LBB253_234:                            ;   in Loop: Header=BB253_161 Depth=1
	s_wait_alu 0xfffe
	s_or_b32 exec_lo, exec_lo, s13
.LBB253_235:                            ;   in Loop: Header=BB253_161 Depth=1
	s_wait_alu 0xfffe
	s_or_b32 exec_lo, exec_lo, s12
	v_lshrrev_b16 v1, 8, v7
	s_mov_b32 s12, exec_lo
	s_delay_alu instid0(VALU_DEP_1)
	v_cmpx_ne_u16_e32 0, v1
	s_cbranch_execz .LBB253_243
; %bb.236:                              ;   in Loop: Header=BB253_161 Depth=1
	v_bfrev_b32_e32 v30, 1
	s_mov_b32 s13, exec_lo
	v_cmpx_ne_u16_e32 0x80, v1
	s_cbranch_execz .LBB253_242
; %bb.237:                              ;   in Loop: Header=BB253_161 Depth=1
	v_and_b32_e32 v32, 0xffff, v1
	v_mov_b32_e32 v30, 0x7c010000
	s_mov_b32 s14, exec_lo
	s_delay_alu instid0(VALU_DEP_2) | instskip(NEXT) | instid1(VALU_DEP_1)
	v_and_b32_e32 v34, 0x7f, v32
	v_cmpx_ne_u32_e32 0x7f, v34
	s_cbranch_execz .LBB253_241
; %bb.238:                              ;   in Loop: Header=BB253_161 Depth=1
	v_and_b32_e32 v30, 7, v32
	v_lshrrev_b32_e32 v33, 3, v34
	s_mov_b32 s15, exec_lo
	v_cmpx_gt_u32_e32 8, v34
; %bb.239:                              ;   in Loop: Header=BB253_161 Depth=1
	s_delay_alu instid0(VALU_DEP_3) | instskip(NEXT) | instid1(VALU_DEP_1)
	v_clz_i32_u32_e32 v30, v30
	v_min_u32_e32 v30, 32, v30
	s_delay_alu instid0(VALU_DEP_1) | instskip(NEXT) | instid1(VALU_DEP_1)
	v_subrev_nc_u32_e32 v33, 28, v30
	v_lshlrev_b64_e32 v[34:35], v33, v[1:2]
	v_sub_nc_u32_e32 v33, 29, v30
	s_delay_alu instid0(VALU_DEP_2)
	v_and_b32_e32 v30, 7, v34
; %bb.240:                              ;   in Loop: Header=BB253_161 Depth=1
	s_wait_alu 0xfffe
	s_or_b32 exec_lo, exec_lo, s15
	v_lshlrev_b32_e32 v1, 8, v32
	v_lshl_add_u32 v32, v33, 10, 0x2000
	v_lshlrev_b32_e32 v30, 23, v30
	s_delay_alu instid0(VALU_DEP_2) | instskip(NEXT) | instid1(VALU_DEP_1)
	v_and_or_b32 v1, 0x8000, v1, v32
	v_lshl_or_b32 v30, v1, 16, v30
.LBB253_241:                            ;   in Loop: Header=BB253_161 Depth=1
	s_wait_alu 0xfffe
	s_or_b32 exec_lo, exec_lo, s14
.LBB253_242:                            ;   in Loop: Header=BB253_161 Depth=1
	s_wait_alu 0xfffe
	s_or_b32 exec_lo, exec_lo, s13
.LBB253_243:                            ;   in Loop: Header=BB253_161 Depth=1
	s_wait_alu 0xfffe
	s_or_b32 exec_lo, exec_lo, s12
	v_lshrrev_b32_e32 v1, 16, v7
	v_mov_b32_e32 v32, 0
	s_mov_b32 s12, exec_lo
	s_delay_alu instid0(VALU_DEP_2) | instskip(NEXT) | instid1(VALU_DEP_1)
	v_dual_mov_b32 v33, 0 :: v_dual_and_b32 v34, 0xff, v1
	v_cmpx_ne_u16_e32 0, v34
	s_cbranch_execz .LBB253_251
; %bb.244:                              ;   in Loop: Header=BB253_161 Depth=1
	v_mov_b32_e32 v33, 0x8000
	s_mov_b32 s13, exec_lo
	v_cmpx_ne_u16_e32 0x80, v34
	s_cbranch_execz .LBB253_250
; %bb.245:                              ;   in Loop: Header=BB253_161 Depth=1
	v_bfe_u32 v35, v7, 16, 7
	v_mov_b32_e32 v33, 0x7c01
	s_mov_b32 s14, exec_lo
	s_delay_alu instid0(VALU_DEP_2)
	v_cmpx_ne_u32_e32 0x7f, v35
	s_cbranch_execz .LBB253_249
; %bb.246:                              ;   in Loop: Header=BB253_161 Depth=1
	v_and_b32_e32 v33, 7, v1
	v_lshrrev_b32_e32 v34, 3, v35
	s_mov_b32 s15, exec_lo
	v_cmpx_gt_u32_e32 8, v35
; %bb.247:                              ;   in Loop: Header=BB253_161 Depth=1
	s_delay_alu instid0(VALU_DEP_3) | instskip(NEXT) | instid1(VALU_DEP_1)
	v_clz_i32_u32_e32 v33, v33
	v_min_u32_e32 v35, 32, v33
	s_delay_alu instid0(VALU_DEP_1) | instskip(NEXT) | instid1(VALU_DEP_1)
	v_subrev_nc_u32_e32 v33, 28, v35
	v_lshlrev_b64_e32 v[33:34], v33, v[1:2]
	v_sub_nc_u32_e32 v34, 29, v35
	s_delay_alu instid0(VALU_DEP_2)
	v_and_b32_e32 v33, 7, v33
; %bb.248:                              ;   in Loop: Header=BB253_161 Depth=1
	s_wait_alu 0xfffe
	s_or_b32 exec_lo, exec_lo, s15
	v_lshlrev_b32_e32 v1, 8, v1
	v_lshl_add_u32 v34, v34, 10, 0x2000
	v_lshlrev_b32_e32 v33, 7, v33
	s_delay_alu instid0(VALU_DEP_3) | instskip(NEXT) | instid1(VALU_DEP_3)
	v_and_b32_e32 v1, 0x8000, v1
	v_and_b32_e32 v34, 0xfc00, v34
	s_delay_alu instid0(VALU_DEP_1)
	v_or3_b32 v33, v1, v34, v33
.LBB253_249:                            ;   in Loop: Header=BB253_161 Depth=1
	s_wait_alu 0xfffe
	s_or_b32 exec_lo, exec_lo, s14
.LBB253_250:                            ;   in Loop: Header=BB253_161 Depth=1
	s_wait_alu 0xfffe
	s_or_b32 exec_lo, exec_lo, s13
.LBB253_251:                            ;   in Loop: Header=BB253_161 Depth=1
	s_wait_alu 0xfffe
	s_or_b32 exec_lo, exec_lo, s12
	s_delay_alu instid0(SALU_CYCLE_1)
	s_mov_b32 s12, exec_lo
	v_cmpx_lt_u32_e32 0xffffff, v7
	s_cbranch_execz .LBB253_259
; %bb.252:                              ;   in Loop: Header=BB253_161 Depth=1
	v_lshrrev_b32_e32 v1, 24, v7
	v_bfrev_b32_e32 v32, 1
	s_mov_b32 s13, exec_lo
	s_delay_alu instid0(VALU_DEP_2)
	v_cmpx_ne_u32_e32 0x80, v1
	s_cbranch_execz .LBB253_258
; %bb.253:                              ;   in Loop: Header=BB253_161 Depth=1
	v_and_b32_e32 v35, 0x7f, v1
	v_mov_b32_e32 v32, 0x7c010000
	s_mov_b32 s14, exec_lo
	s_delay_alu instid0(VALU_DEP_2)
	v_cmpx_ne_u32_e32 0x7f, v35
	s_cbranch_execz .LBB253_257
; %bb.254:                              ;   in Loop: Header=BB253_161 Depth=1
	v_and_b32_e32 v32, 7, v1
	v_lshrrev_b32_e32 v34, 3, v35
	s_mov_b32 s15, exec_lo
	v_cmpx_gt_u32_e32 8, v35
; %bb.255:                              ;   in Loop: Header=BB253_161 Depth=1
	s_delay_alu instid0(VALU_DEP_3) | instskip(NEXT) | instid1(VALU_DEP_1)
	v_clz_i32_u32_e32 v32, v32
	v_min_u32_e32 v32, 32, v32
	s_delay_alu instid0(VALU_DEP_1) | instskip(NEXT) | instid1(VALU_DEP_1)
	v_subrev_nc_u32_e32 v34, 28, v32
	v_lshlrev_b64_e32 v[35:36], v34, v[1:2]
	v_sub_nc_u32_e32 v34, 29, v32
	s_delay_alu instid0(VALU_DEP_2)
	v_and_b32_e32 v32, 7, v35
; %bb.256:                              ;   in Loop: Header=BB253_161 Depth=1
	s_wait_alu 0xfffe
	s_or_b32 exec_lo, exec_lo, s15
	v_lshlrev_b32_e32 v1, 8, v1
	v_lshl_add_u32 v34, v34, 10, 0x2000
	v_lshlrev_b32_e32 v32, 23, v32
	s_delay_alu instid0(VALU_DEP_2) | instskip(NEXT) | instid1(VALU_DEP_1)
	v_and_or_b32 v1, 0x8000, v1, v34
	v_lshl_or_b32 v32, v1, 16, v32
.LBB253_257:                            ;   in Loop: Header=BB253_161 Depth=1
	s_wait_alu 0xfffe
	s_or_b32 exec_lo, exec_lo, s14
.LBB253_258:                            ;   in Loop: Header=BB253_161 Depth=1
	s_wait_alu 0xfffe
	s_or_b32 exec_lo, exec_lo, s13
.LBB253_259:                            ;   in Loop: Header=BB253_161 Depth=1
	s_wait_alu 0xfffe
	s_or_b32 exec_lo, exec_lo, s12
	v_dual_mov_b32 v1, v8 :: v_dual_and_b32 v36, 0xff, v8
	v_dual_mov_b32 v34, 0 :: v_dual_mov_b32 v35, 0
	s_mov_b32 s12, exec_lo
	s_delay_alu instid0(VALU_DEP_2)
	v_cmpx_ne_u16_e32 0, v36
	s_cbranch_execz .LBB253_267
; %bb.260:                              ;   in Loop: Header=BB253_161 Depth=1
	v_mov_b32_e32 v35, 0x8000
	s_mov_b32 s13, exec_lo
	v_cmpx_ne_u16_e32 0x80, v36
	s_cbranch_execz .LBB253_266
; %bb.261:                              ;   in Loop: Header=BB253_161 Depth=1
	v_and_b32_e32 v37, 0x7f, v8
	v_mov_b32_e32 v35, 0x7c01
	s_mov_b32 s14, exec_lo
	s_delay_alu instid0(VALU_DEP_2)
	v_cmpx_ne_u32_e32 0x7f, v37
	s_cbranch_execz .LBB253_265
; %bb.262:                              ;   in Loop: Header=BB253_161 Depth=1
	v_and_b32_e32 v35, 7, v8
	v_lshrrev_b32_e32 v36, 3, v37
	s_mov_b32 s15, exec_lo
	v_cmpx_gt_u32_e32 8, v37
; %bb.263:                              ;   in Loop: Header=BB253_161 Depth=1
	s_delay_alu instid0(VALU_DEP_3) | instskip(NEXT) | instid1(VALU_DEP_1)
	v_clz_i32_u32_e32 v35, v35
	v_min_u32_e32 v37, 32, v35
	s_delay_alu instid0(VALU_DEP_1) | instskip(NEXT) | instid1(VALU_DEP_1)
	v_subrev_nc_u32_e32 v35, 28, v37
	v_lshlrev_b64_e32 v[35:36], v35, v[1:2]
	v_sub_nc_u32_e32 v36, 29, v37
	s_delay_alu instid0(VALU_DEP_2)
	v_and_b32_e32 v35, 7, v35
; %bb.264:                              ;   in Loop: Header=BB253_161 Depth=1
	s_wait_alu 0xfffe
	s_or_b32 exec_lo, exec_lo, s15
	v_lshlrev_b32_e32 v37, 8, v8
	v_lshl_add_u32 v36, v36, 10, 0x2000
	v_lshlrev_b32_e32 v35, 7, v35
	s_delay_alu instid0(VALU_DEP_3) | instskip(NEXT) | instid1(VALU_DEP_3)
	v_and_b32_e32 v37, 0x8000, v37
	v_and_b32_e32 v36, 0xfc00, v36
	s_delay_alu instid0(VALU_DEP_1)
	v_or3_b32 v35, v37, v36, v35
.LBB253_265:                            ;   in Loop: Header=BB253_161 Depth=1
	s_wait_alu 0xfffe
	s_or_b32 exec_lo, exec_lo, s14
.LBB253_266:                            ;   in Loop: Header=BB253_161 Depth=1
	s_wait_alu 0xfffe
	s_or_b32 exec_lo, exec_lo, s13
.LBB253_267:                            ;   in Loop: Header=BB253_161 Depth=1
	s_wait_alu 0xfffe
	s_or_b32 exec_lo, exec_lo, s12
	v_lshrrev_b16 v1, 8, v1
	v_mov_b32_e32 v36, 0
	s_mov_b32 s12, exec_lo
	s_delay_alu instid0(VALU_DEP_2)
	v_cmpx_ne_u16_e32 0, v1
	s_cbranch_execz .LBB253_275
; %bb.268:                              ;   in Loop: Header=BB253_161 Depth=1
	v_bfrev_b32_e32 v36, 1
	s_mov_b32 s13, exec_lo
	v_cmpx_ne_u16_e32 0x80, v1
	s_cbranch_execz .LBB253_274
; %bb.269:                              ;   in Loop: Header=BB253_161 Depth=1
	v_and_b32_e32 v37, 0xffff, v1
	v_mov_b32_e32 v36, 0x7c010000
	s_mov_b32 s14, exec_lo
	s_delay_alu instid0(VALU_DEP_2) | instskip(NEXT) | instid1(VALU_DEP_1)
	v_and_b32_e32 v39, 0x7f, v37
	v_cmpx_ne_u32_e32 0x7f, v39
	s_cbranch_execz .LBB253_273
; %bb.270:                              ;   in Loop: Header=BB253_161 Depth=1
	v_and_b32_e32 v36, 7, v37
	v_lshrrev_b32_e32 v38, 3, v39
	s_mov_b32 s15, exec_lo
	v_cmpx_gt_u32_e32 8, v39
; %bb.271:                              ;   in Loop: Header=BB253_161 Depth=1
	s_delay_alu instid0(VALU_DEP_3) | instskip(NEXT) | instid1(VALU_DEP_1)
	v_clz_i32_u32_e32 v36, v36
	v_min_u32_e32 v36, 32, v36
	s_delay_alu instid0(VALU_DEP_1) | instskip(NEXT) | instid1(VALU_DEP_1)
	v_subrev_nc_u32_e32 v38, 28, v36
	v_lshlrev_b64_e32 v[39:40], v38, v[1:2]
	v_sub_nc_u32_e32 v38, 29, v36
	s_delay_alu instid0(VALU_DEP_2)
	v_and_b32_e32 v36, 7, v39
; %bb.272:                              ;   in Loop: Header=BB253_161 Depth=1
	s_wait_alu 0xfffe
	s_or_b32 exec_lo, exec_lo, s15
	v_lshlrev_b32_e32 v1, 8, v37
	v_lshl_add_u32 v37, v38, 10, 0x2000
	v_lshlrev_b32_e32 v36, 23, v36
	s_delay_alu instid0(VALU_DEP_2) | instskip(NEXT) | instid1(VALU_DEP_1)
	v_and_or_b32 v1, 0x8000, v1, v37
	v_lshl_or_b32 v36, v1, 16, v36
.LBB253_273:                            ;   in Loop: Header=BB253_161 Depth=1
	s_wait_alu 0xfffe
	s_or_b32 exec_lo, exec_lo, s14
.LBB253_274:                            ;   in Loop: Header=BB253_161 Depth=1
	s_wait_alu 0xfffe
	s_or_b32 exec_lo, exec_lo, s13
.LBB253_275:                            ;   in Loop: Header=BB253_161 Depth=1
	s_wait_alu 0xfffe
	s_or_b32 exec_lo, exec_lo, s12
	v_lshrrev_b32_e32 v1, 16, v8
	s_mov_b32 s12, exec_lo
	s_delay_alu instid0(VALU_DEP_1) | instskip(NEXT) | instid1(VALU_DEP_1)
	v_and_b32_e32 v37, 0xff, v1
	v_cmpx_ne_u16_e32 0, v37
	s_cbranch_execz .LBB253_283
; %bb.276:                              ;   in Loop: Header=BB253_161 Depth=1
	v_mov_b32_e32 v34, 0x8000
	s_mov_b32 s13, exec_lo
	v_cmpx_ne_u16_e32 0x80, v37
	s_cbranch_execz .LBB253_282
; %bb.277:                              ;   in Loop: Header=BB253_161 Depth=1
	v_bfe_u32 v38, v8, 16, 7
	v_mov_b32_e32 v34, 0x7c01
	s_mov_b32 s14, exec_lo
	s_delay_alu instid0(VALU_DEP_2)
	v_cmpx_ne_u32_e32 0x7f, v38
	s_cbranch_execz .LBB253_281
; %bb.278:                              ;   in Loop: Header=BB253_161 Depth=1
	v_and_b32_e32 v34, 7, v1
	v_lshrrev_b32_e32 v37, 3, v38
	s_mov_b32 s15, exec_lo
	v_cmpx_gt_u32_e32 8, v38
; %bb.279:                              ;   in Loop: Header=BB253_161 Depth=1
	s_delay_alu instid0(VALU_DEP_3) | instskip(NEXT) | instid1(VALU_DEP_1)
	v_clz_i32_u32_e32 v34, v34
	v_min_u32_e32 v34, 32, v34
	s_delay_alu instid0(VALU_DEP_1) | instskip(NEXT) | instid1(VALU_DEP_1)
	v_subrev_nc_u32_e32 v37, 28, v34
	v_lshlrev_b64_e32 v[38:39], v37, v[1:2]
	v_sub_nc_u32_e32 v37, 29, v34
	s_delay_alu instid0(VALU_DEP_2)
	v_and_b32_e32 v34, 7, v38
; %bb.280:                              ;   in Loop: Header=BB253_161 Depth=1
	s_wait_alu 0xfffe
	s_or_b32 exec_lo, exec_lo, s15
	v_lshlrev_b32_e32 v1, 8, v1
	v_lshl_add_u32 v37, v37, 10, 0x2000
	v_lshlrev_b32_e32 v34, 7, v34
	s_delay_alu instid0(VALU_DEP_3) | instskip(NEXT) | instid1(VALU_DEP_3)
	v_and_b32_e32 v1, 0x8000, v1
	v_and_b32_e32 v37, 0xfc00, v37
	s_delay_alu instid0(VALU_DEP_1)
	v_or3_b32 v34, v1, v37, v34
.LBB253_281:                            ;   in Loop: Header=BB253_161 Depth=1
	s_wait_alu 0xfffe
	s_or_b32 exec_lo, exec_lo, s14
.LBB253_282:                            ;   in Loop: Header=BB253_161 Depth=1
	s_wait_alu 0xfffe
	s_or_b32 exec_lo, exec_lo, s13
.LBB253_283:                            ;   in Loop: Header=BB253_161 Depth=1
	s_wait_alu 0xfffe
	s_or_b32 exec_lo, exec_lo, s12
	v_cmp_lt_u64_e64 s0, s[8:9], v[7:8]
	v_mov_b32_e32 v7, 0
	s_and_saveexec_b32 s12, s0
	s_cbranch_execz .LBB253_291
; %bb.284:                              ;   in Loop: Header=BB253_161 Depth=1
	v_lshrrev_b32_e32 v1, 24, v8
	v_bfrev_b32_e32 v7, 1
	s_mov_b32 s13, exec_lo
	s_delay_alu instid0(VALU_DEP_2)
	v_cmpx_ne_u32_e32 0x80, v1
	s_cbranch_execz .LBB253_290
; %bb.285:                              ;   in Loop: Header=BB253_161 Depth=1
	v_and_b32_e32 v37, 0x7f, v1
	v_mov_b32_e32 v7, 0x7c010000
	s_mov_b32 s14, exec_lo
	s_delay_alu instid0(VALU_DEP_2)
	v_cmpx_ne_u32_e32 0x7f, v37
	s_cbranch_execz .LBB253_289
; %bb.286:                              ;   in Loop: Header=BB253_161 Depth=1
	v_and_b32_e32 v7, 7, v1
	v_lshrrev_b32_e32 v8, 3, v37
	s_mov_b32 s15, exec_lo
	v_cmpx_gt_u32_e32 8, v37
; %bb.287:                              ;   in Loop: Header=BB253_161 Depth=1
	s_delay_alu instid0(VALU_DEP_3) | instskip(NEXT) | instid1(VALU_DEP_1)
	v_clz_i32_u32_e32 v7, v7
	v_min_u32_e32 v37, 32, v7
	s_delay_alu instid0(VALU_DEP_1) | instskip(NEXT) | instid1(VALU_DEP_1)
	v_subrev_nc_u32_e32 v7, 28, v37
	v_lshlrev_b64_e32 v[7:8], v7, v[1:2]
	v_sub_nc_u32_e32 v8, 29, v37
	s_delay_alu instid0(VALU_DEP_2)
	v_and_b32_e32 v7, 7, v7
; %bb.288:                              ;   in Loop: Header=BB253_161 Depth=1
	s_wait_alu 0xfffe
	s_or_b32 exec_lo, exec_lo, s15
	v_lshlrev_b32_e32 v1, 8, v1
	v_lshl_add_u32 v8, v8, 10, 0x2000
	v_lshlrev_b32_e32 v7, 23, v7
	s_delay_alu instid0(VALU_DEP_2) | instskip(NEXT) | instid1(VALU_DEP_1)
	v_and_or_b32 v1, 0x8000, v1, v8
	v_lshl_or_b32 v7, v1, 16, v7
.LBB253_289:                            ;   in Loop: Header=BB253_161 Depth=1
	s_wait_alu 0xfffe
	s_or_b32 exec_lo, exec_lo, s14
.LBB253_290:                            ;   in Loop: Header=BB253_161 Depth=1
	s_wait_alu 0xfffe
	s_or_b32 exec_lo, exec_lo, s13
.LBB253_291:                            ;   in Loop: Header=BB253_161 Depth=1
	s_wait_alu 0xfffe
	s_or_b32 exec_lo, exec_lo, s12
	v_or_b32_e32 v1, v32, v33
	v_or_b32_e32 v31, v30, v31
	s_wait_loadcnt 0x0
	v_fma_mixlo_f16 v30, v29, v30, 0 op_sel:[0,1,0] op_sel_hi:[0,1,0]
	v_or_b32_e32 v33, v36, v35
	v_or_b32_e32 v34, v7, v34
	v_fma_mixlo_f16 v8, v29, v32, 0 op_sel:[0,1,0] op_sel_hi:[0,1,0]
	v_fma_mixlo_f16 v35, v29, v1, 0 op_sel_hi:[0,1,0]
	v_lshlrev_b32_e32 v32, 16, v30
	v_fma_mixlo_f16 v30, v29, v31, 0 op_sel_hi:[0,1,0]
	v_fma_mixlo_f16 v31, v29, v36, 0 op_sel:[0,1,0] op_sel_hi:[0,1,0]
	v_fma_mixlo_f16 v33, v29, v33, 0 op_sel_hi:[0,1,0]
	v_fma_mixlo_f16 v7, v29, v7, 0 op_sel:[0,1,0] op_sel_hi:[0,1,0]
	v_fma_mixlo_f16 v34, v29, v34, 0 op_sel_hi:[0,1,0]
	v_lshlrev_b32_e32 v1, 16, v8
	v_and_b32_e32 v8, 0xffff, v35
	v_and_b32_e32 v37, 0xffff, v30
	v_lshlrev_b32_e32 v29, 16, v31
	v_and_b32_e32 v36, 0xffff, v33
	v_lshlrev_b32_e32 v7, 16, v7
	v_and_b32_e32 v30, 0xffff, v34
	v_or_b32_e32 v31, v1, v8
	v_or_b32_e32 v35, v32, v37
	v_or_b32_e32 v34, v29, v36
	s_delay_alu instid0(VALU_DEP_4)
	v_or_b32_e32 v33, v7, v30
	s_and_saveexec_b32 s0, vcc_lo
	s_cbranch_execz .LBB253_160
; %bb.292:                              ;   in Loop: Header=BB253_161 Depth=1
	v_cmp_gt_i32_e32 vcc_lo, s26, v9
	s_wait_alu 0xfffd
	v_cndmask_b32_e32 v9, 0, v37, vcc_lo
	v_cmp_gt_i32_e32 vcc_lo, s26, v22
	s_wait_alu 0xfffd
	v_cndmask_b32_e32 v22, 0, v32, vcc_lo
	v_cmp_gt_i32_e32 vcc_lo, s26, v21
	s_delay_alu instid0(VALU_DEP_2)
	v_or_b32_e32 v35, v22, v9
	s_wait_alu 0xfffd
	v_cndmask_b32_e32 v8, 0, v8, vcc_lo
	v_cmp_gt_i32_e32 vcc_lo, s26, v20
	s_wait_alu 0xfffd
	v_cndmask_b32_e32 v1, 0, v1, vcc_lo
	v_cmp_gt_i32_e32 vcc_lo, s26, v19
	s_delay_alu instid0(VALU_DEP_2)
	v_or_b32_e32 v31, v1, v8
	;; [unrolled: 8-line block ×3, first 2 shown]
	s_wait_alu 0xfffd
	v_cndmask_b32_e32 v10, 0, v30, vcc_lo
	v_cmp_gt_i32_e32 vcc_lo, s26, v16
	s_wait_alu 0xfffd
	v_cndmask_b32_e32 v7, 0, v7, vcc_lo
	s_delay_alu instid0(VALU_DEP_1)
	v_or_b32_e32 v33, v7, v10
	s_branch .LBB253_160
.LBB253_293:
	s_or_b32 exec_lo, exec_lo, s5
.LBB253_294:
	s_wait_alu 0xfffe
	s_or_b32 exec_lo, exec_lo, s1
	v_lshl_add_u32 v2, v14, 2, 0xa0
	v_and_b32_e32 v3, 0x3c0, v0
	s_mov_b32 s0, exec_lo
	s_wait_loadcnt 0x0
	s_wait_storecnt 0x0
	s_barrier_signal -1
	v_lshl_add_u32 v1, v11, 8, v2
	s_barrier_wait -1
	global_inv scope:SCOPE_SE
	v_cmpx_eq_u32_e32 64, v3
	s_cbranch_execz .LBB253_296
; %bb.295:
	v_add_nc_u32_e32 v3, 0xfffffe00, v1
	v_add_nc_u32_e32 v4, 0xfffffe80, v1
	ds_store_b32 v3, v15
	ds_store_b32 v4, v13
.LBB253_296:
	s_wait_alu 0xfffe
	s_or_b32 exec_lo, exec_lo, s0
	s_delay_alu instid0(SALU_CYCLE_1)
	s_mov_b32 s0, exec_lo
	s_wait_loadcnt_dscnt 0x0
	s_barrier_signal -1
	s_barrier_wait -1
	global_inv scope:SCOPE_SE
	v_cmpx_gt_u32_e32 64, v0
	s_cbranch_execz .LBB253_298
; %bb.297:
	ds_load_2addr_b32 v[3:4], v1 offset1:32
	s_wait_dscnt 0x0
	v_add_f32_e32 v15, v15, v3
	v_add_f32_e32 v13, v13, v4
.LBB253_298:
	s_wait_alu 0xfffe
	s_or_b32 exec_lo, exec_lo, s0
	v_and_b32_e32 v3, 0x3e0, v0
	s_mov_b32 s0, exec_lo
	s_wait_loadcnt 0x0
	s_barrier_signal -1
	s_barrier_wait -1
	global_inv scope:SCOPE_SE
	v_cmpx_eq_u32_e32 32, v3
; %bb.299:
	ds_store_2addr_b32 v2, v15, v13 offset1:32
; %bb.300:
	s_wait_alu 0xfffe
	s_or_b32 exec_lo, exec_lo, s0
	s_wait_loadcnt_dscnt 0x0
	s_barrier_signal -1
	s_barrier_wait -1
	global_inv scope:SCOPE_SE
	s_and_saveexec_b32 s0, s2
	s_cbranch_execz .LBB253_302
; %bb.301:
	ds_load_2addr_b32 v[1:2], v1 offset1:32
	s_wait_dscnt 0x0
	v_add_f32_e32 v15, v15, v1
	v_add_f32_e32 v13, v13, v2
.LBB253_302:
	s_wait_alu 0xfffe
	s_or_b32 exec_lo, exec_lo, s0
	s_wait_loadcnt 0x0
	s_barrier_signal -1
	s_barrier_wait -1
	global_inv scope:SCOPE_SE
	s_and_saveexec_b32 s0, s2
	s_cbranch_execz .LBB253_304
; %bb.303:
	s_lshl_b32 s0, s4, 6
	s_mul_i32 s2, s21, s20
	s_wait_alu 0xfffe
	s_ashr_i32 s1, s0, 31
	s_ashr_i32 s3, s2, 31
	s_wait_alu 0xfffe
	s_lshl_b64 s[0:1], s[0:1], 1
	s_lshl_b64 s[2:3], s[2:3], 1
	s_wait_alu 0xfffe
	s_add_nc_u64 s[0:1], s[6:7], s[0:1]
	v_lshlrev_b32_e32 v0, 1, v0
	s_lshl_b32 s4, s16, 1
	s_wait_alu 0xfffe
	s_add_nc_u64 s[0:1], s[0:1], s[2:3]
	s_mov_b32 s5, 0
	;;#ASMSTART
	v_cvt_f16_f32 v1, v15;

	;;#ASMEND
	s_wait_alu 0xfffe
	s_add_nc_u64 s[0:1], s[0:1], s[4:5]
	global_store_b16 v0, v1, s[0:1]
	;;#ASMSTART
	v_cvt_f16_f32 v1, v13;

	;;#ASMEND
	global_store_b16 v0, v1, s[0:1] offset:64
.LBB253_304:
	s_endpgm
	.section	.rodata,"a",@progbits
	.p2align	6, 0x0
	.amdhsa_kernel _ZN4vllm25paged_attention_v2_kernelIthLi64ELi8ELi128ELNS_18Fp8KVCacheDataTypeE1ELb0ELi512EEEvPfS2_PT_PKS3_PKT0_S9_ifPKiSB_iPKfiiiSD_SD_iiiii
		.amdhsa_group_segment_fixed_size 160
		.amdhsa_private_segment_fixed_size 0
		.amdhsa_kernarg_size 400
		.amdhsa_user_sgpr_count 2
		.amdhsa_user_sgpr_dispatch_ptr 0
		.amdhsa_user_sgpr_queue_ptr 0
		.amdhsa_user_sgpr_kernarg_segment_ptr 1
		.amdhsa_user_sgpr_dispatch_id 0
		.amdhsa_user_sgpr_private_segment_size 0
		.amdhsa_wavefront_size32 1
		.amdhsa_uses_dynamic_stack 0
		.amdhsa_enable_private_segment 0
		.amdhsa_system_sgpr_workgroup_id_x 1
		.amdhsa_system_sgpr_workgroup_id_y 1
		.amdhsa_system_sgpr_workgroup_id_z 1
		.amdhsa_system_sgpr_workgroup_info 0
		.amdhsa_system_vgpr_workitem_id 0
		.amdhsa_next_free_vgpr 48
		.amdhsa_next_free_sgpr 37
		.amdhsa_reserve_vcc 1
		.amdhsa_float_round_mode_32 0
		.amdhsa_float_round_mode_16_64 0
		.amdhsa_float_denorm_mode_32 3
		.amdhsa_float_denorm_mode_16_64 3
		.amdhsa_fp16_overflow 0
		.amdhsa_workgroup_processor_mode 1
		.amdhsa_memory_ordered 1
		.amdhsa_forward_progress 1
		.amdhsa_inst_pref_size 94
		.amdhsa_round_robin_scheduling 0
		.amdhsa_exception_fp_ieee_invalid_op 0
		.amdhsa_exception_fp_denorm_src 0
		.amdhsa_exception_fp_ieee_div_zero 0
		.amdhsa_exception_fp_ieee_overflow 0
		.amdhsa_exception_fp_ieee_underflow 0
		.amdhsa_exception_fp_ieee_inexact 0
		.amdhsa_exception_int_div_zero 0
	.end_amdhsa_kernel
	.section	.text._ZN4vllm25paged_attention_v2_kernelIthLi64ELi8ELi128ELNS_18Fp8KVCacheDataTypeE1ELb0ELi512EEEvPfS2_PT_PKS3_PKT0_S9_ifPKiSB_iPKfiiiSD_SD_iiiii,"axG",@progbits,_ZN4vllm25paged_attention_v2_kernelIthLi64ELi8ELi128ELNS_18Fp8KVCacheDataTypeE1ELb0ELi512EEEvPfS2_PT_PKS3_PKT0_S9_ifPKiSB_iPKfiiiSD_SD_iiiii,comdat
.Lfunc_end253:
	.size	_ZN4vllm25paged_attention_v2_kernelIthLi64ELi8ELi128ELNS_18Fp8KVCacheDataTypeE1ELb0ELi512EEEvPfS2_PT_PKS3_PKT0_S9_ifPKiSB_iPKfiiiSD_SD_iiiii, .Lfunc_end253-_ZN4vllm25paged_attention_v2_kernelIthLi64ELi8ELi128ELNS_18Fp8KVCacheDataTypeE1ELb0ELi512EEEvPfS2_PT_PKS3_PKT0_S9_ifPKiSB_iPKfiiiSD_SD_iiiii
                                        ; -- End function
	.set _ZN4vllm25paged_attention_v2_kernelIthLi64ELi8ELi128ELNS_18Fp8KVCacheDataTypeE1ELb0ELi512EEEvPfS2_PT_PKS3_PKT0_S9_ifPKiSB_iPKfiiiSD_SD_iiiii.num_vgpr, 48
	.set _ZN4vllm25paged_attention_v2_kernelIthLi64ELi8ELi128ELNS_18Fp8KVCacheDataTypeE1ELb0ELi512EEEvPfS2_PT_PKS3_PKT0_S9_ifPKiSB_iPKfiiiSD_SD_iiiii.num_agpr, 0
	.set _ZN4vllm25paged_attention_v2_kernelIthLi64ELi8ELi128ELNS_18Fp8KVCacheDataTypeE1ELb0ELi512EEEvPfS2_PT_PKS3_PKT0_S9_ifPKiSB_iPKfiiiSD_SD_iiiii.numbered_sgpr, 37
	.set _ZN4vllm25paged_attention_v2_kernelIthLi64ELi8ELi128ELNS_18Fp8KVCacheDataTypeE1ELb0ELi512EEEvPfS2_PT_PKS3_PKT0_S9_ifPKiSB_iPKfiiiSD_SD_iiiii.num_named_barrier, 0
	.set _ZN4vllm25paged_attention_v2_kernelIthLi64ELi8ELi128ELNS_18Fp8KVCacheDataTypeE1ELb0ELi512EEEvPfS2_PT_PKS3_PKT0_S9_ifPKiSB_iPKfiiiSD_SD_iiiii.private_seg_size, 0
	.set _ZN4vllm25paged_attention_v2_kernelIthLi64ELi8ELi128ELNS_18Fp8KVCacheDataTypeE1ELb0ELi512EEEvPfS2_PT_PKS3_PKT0_S9_ifPKiSB_iPKfiiiSD_SD_iiiii.uses_vcc, 1
	.set _ZN4vllm25paged_attention_v2_kernelIthLi64ELi8ELi128ELNS_18Fp8KVCacheDataTypeE1ELb0ELi512EEEvPfS2_PT_PKS3_PKT0_S9_ifPKiSB_iPKfiiiSD_SD_iiiii.uses_flat_scratch, 0
	.set _ZN4vllm25paged_attention_v2_kernelIthLi64ELi8ELi128ELNS_18Fp8KVCacheDataTypeE1ELb0ELi512EEEvPfS2_PT_PKS3_PKT0_S9_ifPKiSB_iPKfiiiSD_SD_iiiii.has_dyn_sized_stack, 0
	.set _ZN4vllm25paged_attention_v2_kernelIthLi64ELi8ELi128ELNS_18Fp8KVCacheDataTypeE1ELb0ELi512EEEvPfS2_PT_PKS3_PKT0_S9_ifPKiSB_iPKfiiiSD_SD_iiiii.has_recursion, 0
	.set _ZN4vllm25paged_attention_v2_kernelIthLi64ELi8ELi128ELNS_18Fp8KVCacheDataTypeE1ELb0ELi512EEEvPfS2_PT_PKS3_PKT0_S9_ifPKiSB_iPKfiiiSD_SD_iiiii.has_indirect_call, 0
	.section	.AMDGPU.csdata,"",@progbits
; Kernel info:
; codeLenInByte = 11976
; TotalNumSgprs: 39
; NumVgprs: 48
; ScratchSize: 0
; MemoryBound: 0
; FloatMode: 240
; IeeeMode: 1
; LDSByteSize: 160 bytes/workgroup (compile time only)
; SGPRBlocks: 0
; VGPRBlocks: 5
; NumSGPRsForWavesPerEU: 39
; NumVGPRsForWavesPerEU: 48
; Occupancy: 16
; WaveLimiterHint : 1
; COMPUTE_PGM_RSRC2:SCRATCH_EN: 0
; COMPUTE_PGM_RSRC2:USER_SGPR: 2
; COMPUTE_PGM_RSRC2:TRAP_HANDLER: 0
; COMPUTE_PGM_RSRC2:TGID_X_EN: 1
; COMPUTE_PGM_RSRC2:TGID_Y_EN: 1
; COMPUTE_PGM_RSRC2:TGID_Z_EN: 1
; COMPUTE_PGM_RSRC2:TIDIG_COMP_CNT: 0
	.section	.text._ZN4vllm25paged_attention_v2_kernelIthLi80ELi8ELi128ELNS_18Fp8KVCacheDataTypeE1ELb0ELi512EEEvPfS2_PT_PKS3_PKT0_S9_ifPKiSB_iPKfiiiSD_SD_iiiii,"axG",@progbits,_ZN4vllm25paged_attention_v2_kernelIthLi80ELi8ELi128ELNS_18Fp8KVCacheDataTypeE1ELb0ELi512EEEvPfS2_PT_PKS3_PKT0_S9_ifPKiSB_iPKfiiiSD_SD_iiiii,comdat
	.protected	_ZN4vllm25paged_attention_v2_kernelIthLi80ELi8ELi128ELNS_18Fp8KVCacheDataTypeE1ELb0ELi512EEEvPfS2_PT_PKS3_PKT0_S9_ifPKiSB_iPKfiiiSD_SD_iiiii ; -- Begin function _ZN4vllm25paged_attention_v2_kernelIthLi80ELi8ELi128ELNS_18Fp8KVCacheDataTypeE1ELb0ELi512EEEvPfS2_PT_PKS3_PKT0_S9_ifPKiSB_iPKfiiiSD_SD_iiiii
	.globl	_ZN4vllm25paged_attention_v2_kernelIthLi80ELi8ELi128ELNS_18Fp8KVCacheDataTypeE1ELb0ELi512EEEvPfS2_PT_PKS3_PKT0_S9_ifPKiSB_iPKfiiiSD_SD_iiiii
	.p2align	8
	.type	_ZN4vllm25paged_attention_v2_kernelIthLi80ELi8ELi128ELNS_18Fp8KVCacheDataTypeE1ELb0ELi512EEEvPfS2_PT_PKS3_PKT0_S9_ifPKiSB_iPKfiiiSD_SD_iiiii,@function
_ZN4vllm25paged_attention_v2_kernelIthLi80ELi8ELi128ELNS_18Fp8KVCacheDataTypeE1ELb0ELi512EEEvPfS2_PT_PKS3_PKT0_S9_ifPKiSB_iPKfiiiSD_SD_iiiii: ; @_ZN4vllm25paged_attention_v2_kernelIthLi80ELi8ELi128ELNS_18Fp8KVCacheDataTypeE1ELb0ELi512EEEvPfS2_PT_PKS3_PKT0_S9_ifPKiSB_iPKfiiiSD_SD_iiiii
; %bb.0:
	s_load_b64 s[2:3], s[0:1], 0x40
	s_and_b32 s15, ttmp7, 0xffff
	s_lshr_b32 s26, ttmp7, 16
	s_lshl_b32 s4, s15, 2
	s_lshl_b32 s28, s26, 9
	s_wait_kmcnt 0x0
	s_load_b32 s27, s[2:3], s4 offset:0x0
	s_wait_kmcnt 0x0
	s_cmp_ge_i32 s28, s27
	s_cbranch_scc1 .LBB254_411
; %bb.1:
	s_clause 0x1
	s_load_b32 s29, s[0:1], 0x90
	s_load_b64 s[6:7], s[0:1], 0x30
	s_wait_kmcnt 0x0
	s_abs_i32 s5, s29
	s_abs_i32 s2, s6
	s_delay_alu instid0(SALU_CYCLE_1) | instskip(SKIP_1) | instid1(SALU_CYCLE_2)
	s_cvt_f32_u32 s3, s2
	s_sub_co_i32 s4, 0, s2
	v_rcp_iflag_f32_e32 v1, s3
	s_delay_alu instid0(TRANS32_DEP_1) | instskip(SKIP_2) | instid1(SALU_CYCLE_2)
	v_readfirstlane_b32 s3, v1
	s_mul_f32 s3, s3, 0x4f7ffffe
	s_wait_alu 0xfffe
	s_cvt_u32_f32 s3, s3
	s_wait_alu 0xfffe
	s_delay_alu instid0(SALU_CYCLE_2) | instskip(NEXT) | instid1(SALU_CYCLE_1)
	s_mul_i32 s4, s4, s3
	s_mul_hi_u32 s4, s3, s4
	s_delay_alu instid0(SALU_CYCLE_1)
	s_add_co_i32 s3, s3, s4
	s_xor_b32 s4, s29, s6
	s_wait_alu 0xfffe
	s_mul_hi_u32 s3, s5, s3
	s_ashr_i32 s4, s4, 31
	s_wait_alu 0xfffe
	s_mul_i32 s6, s3, s2
	s_delay_alu instid0(SALU_CYCLE_1)
	s_sub_co_i32 s5, s5, s6
	s_add_co_i32 s6, s3, 1
	s_sub_co_i32 s8, s5, s2
	s_cmp_ge_u32 s5, s2
	s_cselect_b32 s3, s6, s3
	s_cselect_b32 s5, s8, s5
	s_wait_alu 0xfffe
	s_add_co_i32 s6, s3, 1
	s_cmp_ge_u32 s5, s2
	s_load_b64 s[8:9], s[0:1], 0x50
	s_cselect_b32 s2, s6, s3
	s_mov_b32 s3, 0
	s_wait_alu 0xfffe
	s_xor_b32 s2, s2, s4
	s_mov_b32 s6, s3
	s_wait_alu 0xfffe
	s_sub_co_i32 s11, s2, s4
	s_delay_alu instid0(SALU_CYCLE_1) | instskip(NEXT) | instid1(SALU_CYCLE_1)
	s_abs_i32 s10, s11
	s_cvt_f32_u32 s2, s10
	s_wait_alu 0xfffe
	s_delay_alu instid0(SALU_CYCLE_2) | instskip(NEXT) | instid1(TRANS32_DEP_1)
	v_rcp_iflag_f32_e32 v1, s2
	v_readfirstlane_b32 s2, v1
	s_mul_f32 s2, s2, 0x4f7ffffe
	s_wait_alu 0xfffe
	s_delay_alu instid0(SALU_CYCLE_2) | instskip(SKIP_2) | instid1(SALU_CYCLE_1)
	s_cvt_u32_f32 s4, s2
	s_sub_co_i32 s2, 0, s10
	s_wait_alu 0xfffe
	s_mul_i32 s2, s2, s4
	s_wait_alu 0xfffe
	s_mul_hi_u32 s5, s4, s2
	s_abs_i32 s2, ttmp9
	s_add_co_i32 s4, s4, s5
	s_mov_b32 s5, s3
	s_wait_kmcnt 0x0
	s_cmp_eq_u64 s[8:9], 0
	s_cbranch_scc1 .LBB254_3
; %bb.2:
	s_mov_b32 s12, ttmp9
	s_ashr_i32 s13, ttmp9, 31
	s_delay_alu instid0(SALU_CYCLE_1) | instskip(NEXT) | instid1(SALU_CYCLE_1)
	s_lshl_b64 s[12:13], s[12:13], 2
	s_add_nc_u64 s[8:9], s[8:9], s[12:13]
	s_load_b32 s6, s[8:9], 0x0
.LBB254_3:
	s_load_b96 s[12:14], s[0:1], 0x58
	v_and_b32_e32 v1, 3, v0
	s_mul_u64 s[4:5], s[2:3], s[4:5]
	s_ashr_i32 s3, ttmp9, 31
	s_ashr_i32 s4, s11, 31
	s_mul_i32 s16, ttmp9, 0x50
	s_mov_b32 s8, exec_lo
	v_cmpx_gt_u32_e32 40, v0
	s_cbranch_execz .LBB254_5
; %bb.4:
	s_load_b64 s[18:19], s[0:1], 0x18
	s_wait_kmcnt 0x0
	s_mul_i32 s20, s12, s15
	s_ashr_i32 s17, s16, 31
	s_ashr_i32 s21, s20, 31
	v_lshlrev_b32_e32 v2, 2, v0
	s_lshl_b64 s[20:21], s[20:21], 1
	v_and_b32_e32 v3, 0x3fc, v0
	s_delay_alu instid0(VALU_DEP_1) | instskip(SKIP_2) | instid1(SALU_CYCLE_1)
	v_mad_u32_u24 v3, v1, 40, v3
	s_add_nc_u64 s[18:19], s[18:19], s[20:21]
	s_lshl_b64 s[20:21], s[16:17], 1
	s_add_nc_u64 s[18:19], s[18:19], s[20:21]
	global_load_b32 v2, v2, s[18:19]
	s_wait_loadcnt 0x0
	ds_store_b32 v3, v2
.LBB254_5:
	s_or_b32 exec_lo, exec_lo, s8
	s_add_co_i32 s8, s27, 7
	s_wait_alu 0xfffe
	s_xor_b32 s3, s3, s4
	s_ashr_i32 s9, s8, 31
	s_lshl_b32 s31, s26, 6
	s_lshr_b32 s4, s9, 29
	s_mul_i32 s9, s5, s10
	s_add_co_i32 s8, s8, s4
	s_add_co_i32 s4, s31, 64
	s_ashr_i32 s30, s8, 3
	s_load_b32 s8, s[0:1], 0x48
	s_sub_co_i32 s2, s2, s9
	s_min_i32 s17, s4, s30
	s_add_co_i32 s4, s5, 1
	s_wait_alu 0xfffe
	s_sub_co_i32 s9, s2, s10
	s_cmp_ge_u32 s2, s10
	v_lshrrev_b32_e32 v11, 5, v0
	s_cselect_b32 s4, s4, s5
	s_cselect_b32 s2, s9, s2
	s_add_co_i32 s5, s4, 1
	s_wait_alu 0xfffe
	s_cmp_ge_u32 s2, s10
	v_or_b32_e32 v12, s31, v11
	s_cselect_b32 s2, s5, s4
	v_mbcnt_lo_u32_b32 v15, -1, 0
	s_wait_alu 0xfffe
	s_xor_b32 s2, s2, s3
	s_mov_b32 s4, exec_lo
	s_wait_alu 0xfffe
	s_sub_co_i32 s3, s2, s3
	v_cmp_gt_i32_e64 s2, s17, v12
	s_wait_dscnt 0x0
	s_barrier_signal -1
	s_wait_kmcnt 0x0
	s_mul_i32 s18, s8, s15
	s_barrier_wait -1
	s_ashr_i32 s19, s18, 31
	global_inv scope:SCOPE_SE
                                        ; implicit-def: $vgpr2
                                        ; implicit-def: $vgpr14
	v_cmpx_le_i32_e64 s17, v12
	s_xor_b32 s4, exec_lo, s4
; %bb.6:
	v_mov_b32_e32 v2, 0
	v_mbcnt_lo_u32_b32 v15, -1, 0
	v_mov_b32_e32 v14, 32
                                        ; implicit-def: $vgpr1
; %bb.7:
	s_or_saveexec_b32 s24, s4
	s_clause 0x2
	s_load_b32 s12, s[0:1], 0x98
	s_load_b64 s[20:21], s[0:1], 0x38
	s_load_b128 s[8:11], s[0:1], 0x68
	v_dual_mov_b32 v13, 0xff7fffff :: v_dual_lshlrev_b32 v10, 3, v11
	v_lshlrev_b32_e32 v9, 2, v12
	s_mul_i32 s22, s3, s14
	s_xor_b32 exec_lo, exec_lo, s24
	s_cbranch_execz .LBB254_173
; %bb.8:
	s_load_b64 s[4:5], s[0:1], 0x20
	v_bfe_u32 v3, v0, 2, 3
	v_mov_b32_e32 v2, 0
	v_dual_mov_b32 v13, 0xff7fffff :: v_dual_lshlrev_b32 v4, 1, v1
	v_mul_u32_u24_e32 v16, 40, v1
	v_cmp_eq_u32_e32 vcc_lo, 0, v1
	v_lshlrev_b32_e32 v1, 4, v3
	v_dual_mov_b32 v14, 32 :: v_dual_lshlrev_b32 v5, 2, v3
	s_ashr_i32 s23, s22, 31
	s_cmp_neq_f32 s6, 0
	v_add3_u32 v17, s28, v10, v3
	s_delay_alu instid0(VALU_DEP_2) | instskip(SKIP_3) | instid1(VALU_DEP_1)
	v_lshl_or_b32 v3, v11, 5, v5
	s_mov_b32 s14, 0
	s_cselect_b32 s3, -1, 0
	s_lshl_b64 s[34:35], s[18:19], 2
	v_dual_mov_b32 v19, v12 :: v_dual_add_nc_u32 v18, 0xc0, v3
	s_wait_kmcnt 0x0
	s_add_nc_u64 s[34:35], s[20:21], s[34:35]
	s_add_nc_u64 s[4:5], s[4:5], s[22:23]
	s_mov_b32 s23, s13
	v_add_co_u32 v1, s4, s4, v1
	s_wait_alu 0xf1ff
	v_add_co_ci_u32_e64 v5, null, s5, 0, s4
	s_sub_co_i32 s25, 1, s27
	v_add_co_u32 v3, s4, v1, v4
	s_wait_alu 0xf1ff
	v_add_co_ci_u32_e64 v4, null, 0, v5, s4
	v_add_co_u32 v5, s4, s34, v9
	s_wait_alu 0xf1ff
	v_add_co_ci_u32_e64 v6, null, s35, 0, s4
	s_branch .LBB254_10
.LBB254_9:                              ;   in Loop: Header=BB254_10 Depth=1
	s_wait_alu 0xfffe
	s_or_b32 exec_lo, exec_lo, s5
	v_add_nc_u32_e32 v19, 4, v19
	v_add_co_u32 v5, s5, v5, 16
	v_add_nc_u32_e32 v17, 32, v17
	v_add_nc_u32_e32 v18, 0x80, v18
	s_delay_alu instid0(VALU_DEP_4) | instskip(SKIP_3) | instid1(SALU_CYCLE_1)
	v_cmp_le_i32_e64 s4, s17, v19
	s_wait_alu 0xf1ff
	v_add_co_ci_u32_e64 v6, null, 0, v6, s5
	s_or_b32 s14, s4, s14
	s_and_not1_b32 exec_lo, exec_lo, s14
	s_cbranch_execz .LBB254_172
.LBB254_10:                             ; =>This Inner Loop Header: Depth=1
	global_load_b32 v1, v[5:6], off
	s_wait_loadcnt_dscnt 0x0
	v_mad_co_i64_i32 v[7:8], null, v1, s23, v[3:4]
	global_load_u16 v1, v[7:8], off
	s_wait_loadcnt 0x0
	v_dual_mov_b32 v21, 0 :: v_dual_and_b32 v22, 0xff, v1
	global_load_b32 v20, v21, s[8:9]
	v_and_b32_e32 v1, 0xffff, v1
	v_cmp_ne_u16_e64 s4, 0, v22
	v_mov_b32_e32 v22, 0
	s_and_saveexec_b32 s5, s4
	s_cbranch_execz .LBB254_18
; %bb.11:                               ;   in Loop: Header=BB254_10 Depth=1
	v_and_b32_e32 v22, 0xff, v1
	s_delay_alu instid0(VALU_DEP_1)
	v_cmp_ne_u16_e64 s4, 0x80, v22
	v_mov_b32_e32 v22, 0x8000
	s_and_saveexec_b32 s33, s4
	s_cbranch_execz .LBB254_17
; %bb.12:                               ;   in Loop: Header=BB254_10 Depth=1
	v_and_b32_e32 v24, 0x7f, v1
	v_mov_b32_e32 v22, 0x7c01
	s_mov_b32 s34, exec_lo
	s_delay_alu instid0(VALU_DEP_2)
	v_cmpx_ne_u32_e32 0x7f, v24
	s_cbranch_execz .LBB254_16
; %bb.13:                               ;   in Loop: Header=BB254_10 Depth=1
	v_and_b32_e32 v22, 7, v1
	v_lshrrev_b32_e32 v23, 3, v24
	s_mov_b32 s35, exec_lo
	v_cmpx_gt_u32_e32 8, v24
; %bb.14:                               ;   in Loop: Header=BB254_10 Depth=1
	s_delay_alu instid0(VALU_DEP_3) | instskip(NEXT) | instid1(VALU_DEP_1)
	v_clz_i32_u32_e32 v22, v22
	v_min_u32_e32 v24, 32, v22
	s_delay_alu instid0(VALU_DEP_1) | instskip(NEXT) | instid1(VALU_DEP_1)
	v_subrev_nc_u32_e32 v22, 28, v24
	v_lshlrev_b64_e32 v[22:23], v22, v[1:2]
	v_sub_nc_u32_e32 v23, 29, v24
	s_delay_alu instid0(VALU_DEP_2)
	v_and_b32_e32 v22, 7, v22
; %bb.15:                               ;   in Loop: Header=BB254_10 Depth=1
	s_wait_alu 0xfffe
	s_or_b32 exec_lo, exec_lo, s35
	v_lshlrev_b32_e32 v24, 8, v1
	v_lshl_add_u32 v23, v23, 10, 0x2000
	v_lshlrev_b32_e32 v22, 7, v22
	s_delay_alu instid0(VALU_DEP_3) | instskip(NEXT) | instid1(VALU_DEP_3)
	v_and_b32_e32 v24, 0x8000, v24
	v_and_b32_e32 v23, 0xfc00, v23
	s_delay_alu instid0(VALU_DEP_1)
	v_or3_b32 v22, v24, v23, v22
.LBB254_16:                             ;   in Loop: Header=BB254_10 Depth=1
	s_wait_alu 0xfffe
	s_or_b32 exec_lo, exec_lo, s34
.LBB254_17:                             ;   in Loop: Header=BB254_10 Depth=1
	s_delay_alu instid0(SALU_CYCLE_1)
	s_or_b32 exec_lo, exec_lo, s33
.LBB254_18:                             ;   in Loop: Header=BB254_10 Depth=1
	s_wait_alu 0xfffe
	s_or_b32 exec_lo, exec_lo, s5
	v_lshrrev_b16 v1, 8, v1
	s_mov_b32 s5, exec_lo
	s_delay_alu instid0(VALU_DEP_1)
	v_cmpx_ne_u16_e32 0, v1
	s_cbranch_execz .LBB254_26
; %bb.19:                               ;   in Loop: Header=BB254_10 Depth=1
	v_bfrev_b32_e32 v21, 1
	s_mov_b32 s33, exec_lo
	v_cmpx_ne_u16_e32 0x80, v1
	s_cbranch_execz .LBB254_25
; %bb.20:                               ;   in Loop: Header=BB254_10 Depth=1
	v_and_b32_e32 v23, 0xffff, v1
	v_mov_b32_e32 v21, 0x7c010000
	s_mov_b32 s34, exec_lo
	s_delay_alu instid0(VALU_DEP_2) | instskip(NEXT) | instid1(VALU_DEP_1)
	v_and_b32_e32 v25, 0x7f, v23
	v_cmpx_ne_u32_e32 0x7f, v25
	s_cbranch_execz .LBB254_24
; %bb.21:                               ;   in Loop: Header=BB254_10 Depth=1
	v_and_b32_e32 v21, 7, v23
	v_lshrrev_b32_e32 v24, 3, v25
	s_mov_b32 s35, exec_lo
	v_cmpx_gt_u32_e32 8, v25
; %bb.22:                               ;   in Loop: Header=BB254_10 Depth=1
	s_delay_alu instid0(VALU_DEP_3) | instskip(NEXT) | instid1(VALU_DEP_1)
	v_clz_i32_u32_e32 v21, v21
	v_min_u32_e32 v21, 32, v21
	s_delay_alu instid0(VALU_DEP_1) | instskip(NEXT) | instid1(VALU_DEP_1)
	v_subrev_nc_u32_e32 v24, 28, v21
	v_lshlrev_b64_e32 v[25:26], v24, v[1:2]
	v_sub_nc_u32_e32 v24, 29, v21
	s_delay_alu instid0(VALU_DEP_2)
	v_and_b32_e32 v21, 7, v25
; %bb.23:                               ;   in Loop: Header=BB254_10 Depth=1
	s_wait_alu 0xfffe
	s_or_b32 exec_lo, exec_lo, s35
	v_lshlrev_b32_e32 v1, 8, v23
	v_lshl_add_u32 v23, v24, 10, 0x2000
	v_lshlrev_b32_e32 v21, 23, v21
	s_delay_alu instid0(VALU_DEP_2) | instskip(NEXT) | instid1(VALU_DEP_1)
	v_and_or_b32 v1, 0x8000, v1, v23
	v_lshl_or_b32 v21, v1, 16, v21
.LBB254_24:                             ;   in Loop: Header=BB254_10 Depth=1
	s_wait_alu 0xfffe
	s_or_b32 exec_lo, exec_lo, s34
.LBB254_25:                             ;   in Loop: Header=BB254_10 Depth=1
	s_delay_alu instid0(SALU_CYCLE_1)
	s_or_b32 exec_lo, exec_lo, s33
.LBB254_26:                             ;   in Loop: Header=BB254_10 Depth=1
	s_wait_alu 0xfffe
	s_or_b32 exec_lo, exec_lo, s5
	global_load_u16 v1, v[7:8], off offset:8
	s_wait_loadcnt 0x0
	v_dual_mov_b32 v23, 0 :: v_dual_and_b32 v24, 0xff, v1
	v_and_b32_e32 v1, 0xffff, v1
	s_delay_alu instid0(VALU_DEP_2)
	v_cmp_ne_u16_e64 s4, 0, v24
	v_mov_b32_e32 v24, 0
	s_and_saveexec_b32 s5, s4
	s_cbranch_execz .LBB254_34
; %bb.27:                               ;   in Loop: Header=BB254_10 Depth=1
	v_and_b32_e32 v24, 0xff, v1
	s_delay_alu instid0(VALU_DEP_1)
	v_cmp_ne_u16_e64 s4, 0x80, v24
	v_mov_b32_e32 v24, 0x8000
	s_and_saveexec_b32 s33, s4
	s_cbranch_execz .LBB254_33
; %bb.28:                               ;   in Loop: Header=BB254_10 Depth=1
	v_and_b32_e32 v26, 0x7f, v1
	v_mov_b32_e32 v24, 0x7c01
	s_mov_b32 s34, exec_lo
	s_delay_alu instid0(VALU_DEP_2)
	v_cmpx_ne_u32_e32 0x7f, v26
	s_cbranch_execz .LBB254_32
; %bb.29:                               ;   in Loop: Header=BB254_10 Depth=1
	v_and_b32_e32 v24, 7, v1
	v_lshrrev_b32_e32 v25, 3, v26
	s_mov_b32 s35, exec_lo
	v_cmpx_gt_u32_e32 8, v26
; %bb.30:                               ;   in Loop: Header=BB254_10 Depth=1
	s_delay_alu instid0(VALU_DEP_3) | instskip(NEXT) | instid1(VALU_DEP_1)
	v_clz_i32_u32_e32 v24, v24
	v_min_u32_e32 v26, 32, v24
	s_delay_alu instid0(VALU_DEP_1) | instskip(NEXT) | instid1(VALU_DEP_1)
	v_subrev_nc_u32_e32 v24, 28, v26
	v_lshlrev_b64_e32 v[24:25], v24, v[1:2]
	v_sub_nc_u32_e32 v25, 29, v26
	s_delay_alu instid0(VALU_DEP_2)
	v_and_b32_e32 v24, 7, v24
; %bb.31:                               ;   in Loop: Header=BB254_10 Depth=1
	s_wait_alu 0xfffe
	s_or_b32 exec_lo, exec_lo, s35
	v_lshlrev_b32_e32 v26, 8, v1
	v_lshl_add_u32 v25, v25, 10, 0x2000
	v_lshlrev_b32_e32 v24, 7, v24
	s_delay_alu instid0(VALU_DEP_3) | instskip(NEXT) | instid1(VALU_DEP_3)
	v_and_b32_e32 v26, 0x8000, v26
	v_and_b32_e32 v25, 0xfc00, v25
	s_delay_alu instid0(VALU_DEP_1)
	v_or3_b32 v24, v26, v25, v24
.LBB254_32:                             ;   in Loop: Header=BB254_10 Depth=1
	s_wait_alu 0xfffe
	s_or_b32 exec_lo, exec_lo, s34
.LBB254_33:                             ;   in Loop: Header=BB254_10 Depth=1
	s_delay_alu instid0(SALU_CYCLE_1)
	s_or_b32 exec_lo, exec_lo, s33
.LBB254_34:                             ;   in Loop: Header=BB254_10 Depth=1
	s_wait_alu 0xfffe
	s_or_b32 exec_lo, exec_lo, s5
	v_lshrrev_b16 v1, 8, v1
	s_mov_b32 s5, exec_lo
	s_delay_alu instid0(VALU_DEP_1)
	v_cmpx_ne_u16_e32 0, v1
	s_cbranch_execz .LBB254_42
; %bb.35:                               ;   in Loop: Header=BB254_10 Depth=1
	v_bfrev_b32_e32 v23, 1
	s_mov_b32 s33, exec_lo
	v_cmpx_ne_u16_e32 0x80, v1
	s_cbranch_execz .LBB254_41
; %bb.36:                               ;   in Loop: Header=BB254_10 Depth=1
	v_and_b32_e32 v25, 0xffff, v1
	v_mov_b32_e32 v23, 0x7c010000
	s_mov_b32 s34, exec_lo
	s_delay_alu instid0(VALU_DEP_2) | instskip(NEXT) | instid1(VALU_DEP_1)
	v_and_b32_e32 v27, 0x7f, v25
	v_cmpx_ne_u32_e32 0x7f, v27
	s_cbranch_execz .LBB254_40
; %bb.37:                               ;   in Loop: Header=BB254_10 Depth=1
	v_and_b32_e32 v23, 7, v25
	v_lshrrev_b32_e32 v26, 3, v27
	s_mov_b32 s35, exec_lo
	v_cmpx_gt_u32_e32 8, v27
; %bb.38:                               ;   in Loop: Header=BB254_10 Depth=1
	s_delay_alu instid0(VALU_DEP_3) | instskip(NEXT) | instid1(VALU_DEP_1)
	v_clz_i32_u32_e32 v23, v23
	v_min_u32_e32 v23, 32, v23
	s_delay_alu instid0(VALU_DEP_1) | instskip(NEXT) | instid1(VALU_DEP_1)
	v_subrev_nc_u32_e32 v26, 28, v23
	v_lshlrev_b64_e32 v[27:28], v26, v[1:2]
	v_sub_nc_u32_e32 v26, 29, v23
	s_delay_alu instid0(VALU_DEP_2)
	v_and_b32_e32 v23, 7, v27
; %bb.39:                               ;   in Loop: Header=BB254_10 Depth=1
	s_wait_alu 0xfffe
	s_or_b32 exec_lo, exec_lo, s35
	v_lshlrev_b32_e32 v1, 8, v25
	v_lshl_add_u32 v25, v26, 10, 0x2000
	v_lshlrev_b32_e32 v23, 23, v23
	s_delay_alu instid0(VALU_DEP_2) | instskip(NEXT) | instid1(VALU_DEP_1)
	v_and_or_b32 v1, 0x8000, v1, v25
	v_lshl_or_b32 v23, v1, 16, v23
.LBB254_40:                             ;   in Loop: Header=BB254_10 Depth=1
	s_wait_alu 0xfffe
	s_or_b32 exec_lo, exec_lo, s34
.LBB254_41:                             ;   in Loop: Header=BB254_10 Depth=1
	s_delay_alu instid0(SALU_CYCLE_1)
	s_or_b32 exec_lo, exec_lo, s33
.LBB254_42:                             ;   in Loop: Header=BB254_10 Depth=1
	s_wait_alu 0xfffe
	s_or_b32 exec_lo, exec_lo, s5
	global_load_u16 v1, v[7:8], off offset:128
	s_wait_loadcnt 0x0
	v_dual_mov_b32 v25, 0 :: v_dual_and_b32 v26, 0xff, v1
	v_and_b32_e32 v1, 0xffff, v1
	s_delay_alu instid0(VALU_DEP_2)
	v_cmp_ne_u16_e64 s4, 0, v26
	v_mov_b32_e32 v26, 0
	s_and_saveexec_b32 s5, s4
	s_cbranch_execz .LBB254_50
; %bb.43:                               ;   in Loop: Header=BB254_10 Depth=1
	v_and_b32_e32 v26, 0xff, v1
	s_delay_alu instid0(VALU_DEP_1)
	v_cmp_ne_u16_e64 s4, 0x80, v26
	v_mov_b32_e32 v26, 0x8000
	s_and_saveexec_b32 s33, s4
	s_cbranch_execz .LBB254_49
; %bb.44:                               ;   in Loop: Header=BB254_10 Depth=1
	v_and_b32_e32 v28, 0x7f, v1
	v_mov_b32_e32 v26, 0x7c01
	s_mov_b32 s34, exec_lo
	s_delay_alu instid0(VALU_DEP_2)
	v_cmpx_ne_u32_e32 0x7f, v28
	s_cbranch_execz .LBB254_48
; %bb.45:                               ;   in Loop: Header=BB254_10 Depth=1
	v_and_b32_e32 v26, 7, v1
	v_lshrrev_b32_e32 v27, 3, v28
	s_mov_b32 s35, exec_lo
	v_cmpx_gt_u32_e32 8, v28
; %bb.46:                               ;   in Loop: Header=BB254_10 Depth=1
	s_delay_alu instid0(VALU_DEP_3) | instskip(NEXT) | instid1(VALU_DEP_1)
	v_clz_i32_u32_e32 v26, v26
	v_min_u32_e32 v28, 32, v26
	s_delay_alu instid0(VALU_DEP_1) | instskip(NEXT) | instid1(VALU_DEP_1)
	v_subrev_nc_u32_e32 v26, 28, v28
	v_lshlrev_b64_e32 v[26:27], v26, v[1:2]
	v_sub_nc_u32_e32 v27, 29, v28
	s_delay_alu instid0(VALU_DEP_2)
	v_and_b32_e32 v26, 7, v26
; %bb.47:                               ;   in Loop: Header=BB254_10 Depth=1
	s_wait_alu 0xfffe
	s_or_b32 exec_lo, exec_lo, s35
	v_lshlrev_b32_e32 v28, 8, v1
	v_lshl_add_u32 v27, v27, 10, 0x2000
	v_lshlrev_b32_e32 v26, 7, v26
	s_delay_alu instid0(VALU_DEP_3) | instskip(NEXT) | instid1(VALU_DEP_3)
	v_and_b32_e32 v28, 0x8000, v28
	v_and_b32_e32 v27, 0xfc00, v27
	s_delay_alu instid0(VALU_DEP_1)
	v_or3_b32 v26, v28, v27, v26
.LBB254_48:                             ;   in Loop: Header=BB254_10 Depth=1
	s_wait_alu 0xfffe
	s_or_b32 exec_lo, exec_lo, s34
.LBB254_49:                             ;   in Loop: Header=BB254_10 Depth=1
	s_delay_alu instid0(SALU_CYCLE_1)
	s_or_b32 exec_lo, exec_lo, s33
.LBB254_50:                             ;   in Loop: Header=BB254_10 Depth=1
	s_wait_alu 0xfffe
	s_or_b32 exec_lo, exec_lo, s5
	v_lshrrev_b16 v1, 8, v1
	s_mov_b32 s5, exec_lo
	s_delay_alu instid0(VALU_DEP_1)
	v_cmpx_ne_u16_e32 0, v1
	s_cbranch_execz .LBB254_58
; %bb.51:                               ;   in Loop: Header=BB254_10 Depth=1
	v_bfrev_b32_e32 v25, 1
	s_mov_b32 s33, exec_lo
	v_cmpx_ne_u16_e32 0x80, v1
	s_cbranch_execz .LBB254_57
; %bb.52:                               ;   in Loop: Header=BB254_10 Depth=1
	v_and_b32_e32 v27, 0xffff, v1
	v_mov_b32_e32 v25, 0x7c010000
	s_mov_b32 s34, exec_lo
	s_delay_alu instid0(VALU_DEP_2) | instskip(NEXT) | instid1(VALU_DEP_1)
	v_and_b32_e32 v29, 0x7f, v27
	v_cmpx_ne_u32_e32 0x7f, v29
	s_cbranch_execz .LBB254_56
; %bb.53:                               ;   in Loop: Header=BB254_10 Depth=1
	v_and_b32_e32 v25, 7, v27
	v_lshrrev_b32_e32 v28, 3, v29
	s_mov_b32 s35, exec_lo
	v_cmpx_gt_u32_e32 8, v29
; %bb.54:                               ;   in Loop: Header=BB254_10 Depth=1
	s_delay_alu instid0(VALU_DEP_3) | instskip(NEXT) | instid1(VALU_DEP_1)
	v_clz_i32_u32_e32 v25, v25
	v_min_u32_e32 v25, 32, v25
	s_delay_alu instid0(VALU_DEP_1) | instskip(NEXT) | instid1(VALU_DEP_1)
	v_subrev_nc_u32_e32 v28, 28, v25
	v_lshlrev_b64_e32 v[29:30], v28, v[1:2]
	v_sub_nc_u32_e32 v28, 29, v25
	s_delay_alu instid0(VALU_DEP_2)
	v_and_b32_e32 v25, 7, v29
; %bb.55:                               ;   in Loop: Header=BB254_10 Depth=1
	s_wait_alu 0xfffe
	s_or_b32 exec_lo, exec_lo, s35
	v_lshlrev_b32_e32 v1, 8, v27
	v_lshl_add_u32 v27, v28, 10, 0x2000
	v_lshlrev_b32_e32 v25, 23, v25
	s_delay_alu instid0(VALU_DEP_2) | instskip(NEXT) | instid1(VALU_DEP_1)
	v_and_or_b32 v1, 0x8000, v1, v27
	v_lshl_or_b32 v25, v1, 16, v25
.LBB254_56:                             ;   in Loop: Header=BB254_10 Depth=1
	s_wait_alu 0xfffe
	s_or_b32 exec_lo, exec_lo, s34
.LBB254_57:                             ;   in Loop: Header=BB254_10 Depth=1
	s_delay_alu instid0(SALU_CYCLE_1)
	s_or_b32 exec_lo, exec_lo, s33
.LBB254_58:                             ;   in Loop: Header=BB254_10 Depth=1
	s_wait_alu 0xfffe
	s_or_b32 exec_lo, exec_lo, s5
	global_load_u16 v1, v[7:8], off offset:136
	s_wait_loadcnt 0x0
	v_dual_mov_b32 v27, 0 :: v_dual_and_b32 v28, 0xff, v1
	v_and_b32_e32 v1, 0xffff, v1
	s_delay_alu instid0(VALU_DEP_2)
	v_cmp_ne_u16_e64 s4, 0, v28
	v_mov_b32_e32 v28, 0
	s_and_saveexec_b32 s5, s4
	s_cbranch_execz .LBB254_66
; %bb.59:                               ;   in Loop: Header=BB254_10 Depth=1
	v_and_b32_e32 v28, 0xff, v1
	s_delay_alu instid0(VALU_DEP_1)
	v_cmp_ne_u16_e64 s4, 0x80, v28
	v_mov_b32_e32 v28, 0x8000
	s_and_saveexec_b32 s33, s4
	s_cbranch_execz .LBB254_65
; %bb.60:                               ;   in Loop: Header=BB254_10 Depth=1
	v_and_b32_e32 v30, 0x7f, v1
	v_mov_b32_e32 v28, 0x7c01
	s_mov_b32 s34, exec_lo
	s_delay_alu instid0(VALU_DEP_2)
	v_cmpx_ne_u32_e32 0x7f, v30
	s_cbranch_execz .LBB254_64
; %bb.61:                               ;   in Loop: Header=BB254_10 Depth=1
	v_and_b32_e32 v28, 7, v1
	v_lshrrev_b32_e32 v29, 3, v30
	s_mov_b32 s35, exec_lo
	v_cmpx_gt_u32_e32 8, v30
; %bb.62:                               ;   in Loop: Header=BB254_10 Depth=1
	s_delay_alu instid0(VALU_DEP_3) | instskip(NEXT) | instid1(VALU_DEP_1)
	v_clz_i32_u32_e32 v28, v28
	v_min_u32_e32 v30, 32, v28
	s_delay_alu instid0(VALU_DEP_1) | instskip(NEXT) | instid1(VALU_DEP_1)
	v_subrev_nc_u32_e32 v28, 28, v30
	v_lshlrev_b64_e32 v[28:29], v28, v[1:2]
	v_sub_nc_u32_e32 v29, 29, v30
	s_delay_alu instid0(VALU_DEP_2)
	v_and_b32_e32 v28, 7, v28
; %bb.63:                               ;   in Loop: Header=BB254_10 Depth=1
	s_wait_alu 0xfffe
	s_or_b32 exec_lo, exec_lo, s35
	v_lshlrev_b32_e32 v30, 8, v1
	v_lshl_add_u32 v29, v29, 10, 0x2000
	v_lshlrev_b32_e32 v28, 7, v28
	s_delay_alu instid0(VALU_DEP_3) | instskip(NEXT) | instid1(VALU_DEP_3)
	v_and_b32_e32 v30, 0x8000, v30
	v_and_b32_e32 v29, 0xfc00, v29
	s_delay_alu instid0(VALU_DEP_1)
	v_or3_b32 v28, v30, v29, v28
.LBB254_64:                             ;   in Loop: Header=BB254_10 Depth=1
	s_wait_alu 0xfffe
	s_or_b32 exec_lo, exec_lo, s34
.LBB254_65:                             ;   in Loop: Header=BB254_10 Depth=1
	s_delay_alu instid0(SALU_CYCLE_1)
	s_or_b32 exec_lo, exec_lo, s33
.LBB254_66:                             ;   in Loop: Header=BB254_10 Depth=1
	s_wait_alu 0xfffe
	s_or_b32 exec_lo, exec_lo, s5
	v_lshrrev_b16 v1, 8, v1
	s_mov_b32 s5, exec_lo
	s_delay_alu instid0(VALU_DEP_1)
	v_cmpx_ne_u16_e32 0, v1
	s_cbranch_execz .LBB254_74
; %bb.67:                               ;   in Loop: Header=BB254_10 Depth=1
	v_bfrev_b32_e32 v27, 1
	s_mov_b32 s33, exec_lo
	v_cmpx_ne_u16_e32 0x80, v1
	s_cbranch_execz .LBB254_73
; %bb.68:                               ;   in Loop: Header=BB254_10 Depth=1
	v_and_b32_e32 v29, 0xffff, v1
	v_mov_b32_e32 v27, 0x7c010000
	s_mov_b32 s34, exec_lo
	s_delay_alu instid0(VALU_DEP_2) | instskip(NEXT) | instid1(VALU_DEP_1)
	v_and_b32_e32 v31, 0x7f, v29
	v_cmpx_ne_u32_e32 0x7f, v31
	s_cbranch_execz .LBB254_72
; %bb.69:                               ;   in Loop: Header=BB254_10 Depth=1
	v_and_b32_e32 v27, 7, v29
	v_lshrrev_b32_e32 v30, 3, v31
	s_mov_b32 s35, exec_lo
	v_cmpx_gt_u32_e32 8, v31
; %bb.70:                               ;   in Loop: Header=BB254_10 Depth=1
	s_delay_alu instid0(VALU_DEP_3) | instskip(NEXT) | instid1(VALU_DEP_1)
	v_clz_i32_u32_e32 v27, v27
	v_min_u32_e32 v27, 32, v27
	s_delay_alu instid0(VALU_DEP_1) | instskip(NEXT) | instid1(VALU_DEP_1)
	v_subrev_nc_u32_e32 v30, 28, v27
	v_lshlrev_b64_e32 v[31:32], v30, v[1:2]
	v_sub_nc_u32_e32 v30, 29, v27
	s_delay_alu instid0(VALU_DEP_2)
	v_and_b32_e32 v27, 7, v31
; %bb.71:                               ;   in Loop: Header=BB254_10 Depth=1
	s_wait_alu 0xfffe
	s_or_b32 exec_lo, exec_lo, s35
	v_lshlrev_b32_e32 v1, 8, v29
	v_lshl_add_u32 v29, v30, 10, 0x2000
	v_lshlrev_b32_e32 v27, 23, v27
	s_delay_alu instid0(VALU_DEP_2) | instskip(NEXT) | instid1(VALU_DEP_1)
	v_and_or_b32 v1, 0x8000, v1, v29
	v_lshl_or_b32 v27, v1, 16, v27
.LBB254_72:                             ;   in Loop: Header=BB254_10 Depth=1
	s_wait_alu 0xfffe
	s_or_b32 exec_lo, exec_lo, s34
.LBB254_73:                             ;   in Loop: Header=BB254_10 Depth=1
	s_delay_alu instid0(SALU_CYCLE_1)
	s_or_b32 exec_lo, exec_lo, s33
.LBB254_74:                             ;   in Loop: Header=BB254_10 Depth=1
	s_wait_alu 0xfffe
	s_or_b32 exec_lo, exec_lo, s5
	global_load_u16 v1, v[7:8], off offset:256
	s_wait_loadcnt 0x0
	v_dual_mov_b32 v29, 0 :: v_dual_and_b32 v30, 0xff, v1
	v_and_b32_e32 v1, 0xffff, v1
	s_delay_alu instid0(VALU_DEP_2)
	v_cmp_ne_u16_e64 s4, 0, v30
	v_mov_b32_e32 v30, 0
	s_and_saveexec_b32 s5, s4
	s_cbranch_execz .LBB254_82
; %bb.75:                               ;   in Loop: Header=BB254_10 Depth=1
	v_and_b32_e32 v30, 0xff, v1
	s_delay_alu instid0(VALU_DEP_1)
	v_cmp_ne_u16_e64 s4, 0x80, v30
	v_mov_b32_e32 v30, 0x8000
	s_and_saveexec_b32 s33, s4
	s_cbranch_execz .LBB254_81
; %bb.76:                               ;   in Loop: Header=BB254_10 Depth=1
	v_and_b32_e32 v32, 0x7f, v1
	v_mov_b32_e32 v30, 0x7c01
	s_mov_b32 s34, exec_lo
	s_delay_alu instid0(VALU_DEP_2)
	v_cmpx_ne_u32_e32 0x7f, v32
	s_cbranch_execz .LBB254_80
; %bb.77:                               ;   in Loop: Header=BB254_10 Depth=1
	v_and_b32_e32 v30, 7, v1
	v_lshrrev_b32_e32 v31, 3, v32
	s_mov_b32 s35, exec_lo
	v_cmpx_gt_u32_e32 8, v32
; %bb.78:                               ;   in Loop: Header=BB254_10 Depth=1
	s_delay_alu instid0(VALU_DEP_3) | instskip(NEXT) | instid1(VALU_DEP_1)
	v_clz_i32_u32_e32 v30, v30
	v_min_u32_e32 v32, 32, v30
	s_delay_alu instid0(VALU_DEP_1) | instskip(NEXT) | instid1(VALU_DEP_1)
	v_subrev_nc_u32_e32 v30, 28, v32
	v_lshlrev_b64_e32 v[30:31], v30, v[1:2]
	v_sub_nc_u32_e32 v31, 29, v32
	s_delay_alu instid0(VALU_DEP_2)
	v_and_b32_e32 v30, 7, v30
; %bb.79:                               ;   in Loop: Header=BB254_10 Depth=1
	s_wait_alu 0xfffe
	s_or_b32 exec_lo, exec_lo, s35
	v_lshlrev_b32_e32 v32, 8, v1
	v_lshl_add_u32 v31, v31, 10, 0x2000
	v_lshlrev_b32_e32 v30, 7, v30
	s_delay_alu instid0(VALU_DEP_3) | instskip(NEXT) | instid1(VALU_DEP_3)
	v_and_b32_e32 v32, 0x8000, v32
	v_and_b32_e32 v31, 0xfc00, v31
	s_delay_alu instid0(VALU_DEP_1)
	v_or3_b32 v30, v32, v31, v30
.LBB254_80:                             ;   in Loop: Header=BB254_10 Depth=1
	s_wait_alu 0xfffe
	s_or_b32 exec_lo, exec_lo, s34
.LBB254_81:                             ;   in Loop: Header=BB254_10 Depth=1
	s_delay_alu instid0(SALU_CYCLE_1)
	s_or_b32 exec_lo, exec_lo, s33
.LBB254_82:                             ;   in Loop: Header=BB254_10 Depth=1
	s_wait_alu 0xfffe
	s_or_b32 exec_lo, exec_lo, s5
	v_lshrrev_b16 v1, 8, v1
	s_mov_b32 s5, exec_lo
	s_delay_alu instid0(VALU_DEP_1)
	v_cmpx_ne_u16_e32 0, v1
	s_cbranch_execz .LBB254_90
; %bb.83:                               ;   in Loop: Header=BB254_10 Depth=1
	v_bfrev_b32_e32 v29, 1
	s_mov_b32 s33, exec_lo
	v_cmpx_ne_u16_e32 0x80, v1
	s_cbranch_execz .LBB254_89
; %bb.84:                               ;   in Loop: Header=BB254_10 Depth=1
	v_and_b32_e32 v31, 0xffff, v1
	v_mov_b32_e32 v29, 0x7c010000
	s_mov_b32 s34, exec_lo
	s_delay_alu instid0(VALU_DEP_2) | instskip(NEXT) | instid1(VALU_DEP_1)
	v_and_b32_e32 v33, 0x7f, v31
	v_cmpx_ne_u32_e32 0x7f, v33
	s_cbranch_execz .LBB254_88
; %bb.85:                               ;   in Loop: Header=BB254_10 Depth=1
	v_and_b32_e32 v29, 7, v31
	v_lshrrev_b32_e32 v32, 3, v33
	s_mov_b32 s35, exec_lo
	v_cmpx_gt_u32_e32 8, v33
; %bb.86:                               ;   in Loop: Header=BB254_10 Depth=1
	s_delay_alu instid0(VALU_DEP_3) | instskip(NEXT) | instid1(VALU_DEP_1)
	v_clz_i32_u32_e32 v29, v29
	v_min_u32_e32 v29, 32, v29
	s_delay_alu instid0(VALU_DEP_1) | instskip(NEXT) | instid1(VALU_DEP_1)
	v_subrev_nc_u32_e32 v32, 28, v29
	v_lshlrev_b64_e32 v[33:34], v32, v[1:2]
	v_sub_nc_u32_e32 v32, 29, v29
	s_delay_alu instid0(VALU_DEP_2)
	v_and_b32_e32 v29, 7, v33
; %bb.87:                               ;   in Loop: Header=BB254_10 Depth=1
	s_wait_alu 0xfffe
	s_or_b32 exec_lo, exec_lo, s35
	v_lshlrev_b32_e32 v1, 8, v31
	v_lshl_add_u32 v31, v32, 10, 0x2000
	v_lshlrev_b32_e32 v29, 23, v29
	s_delay_alu instid0(VALU_DEP_2) | instskip(NEXT) | instid1(VALU_DEP_1)
	v_and_or_b32 v1, 0x8000, v1, v31
	v_lshl_or_b32 v29, v1, 16, v29
.LBB254_88:                             ;   in Loop: Header=BB254_10 Depth=1
	s_wait_alu 0xfffe
	s_or_b32 exec_lo, exec_lo, s34
.LBB254_89:                             ;   in Loop: Header=BB254_10 Depth=1
	s_delay_alu instid0(SALU_CYCLE_1)
	s_or_b32 exec_lo, exec_lo, s33
.LBB254_90:                             ;   in Loop: Header=BB254_10 Depth=1
	s_wait_alu 0xfffe
	s_or_b32 exec_lo, exec_lo, s5
	global_load_u16 v1, v[7:8], off offset:264
	s_wait_loadcnt 0x0
	v_dual_mov_b32 v31, 0 :: v_dual_and_b32 v32, 0xff, v1
	v_and_b32_e32 v1, 0xffff, v1
	s_delay_alu instid0(VALU_DEP_2)
	v_cmp_ne_u16_e64 s4, 0, v32
	v_mov_b32_e32 v32, 0
	s_and_saveexec_b32 s5, s4
	s_cbranch_execz .LBB254_98
; %bb.91:                               ;   in Loop: Header=BB254_10 Depth=1
	v_and_b32_e32 v32, 0xff, v1
	s_delay_alu instid0(VALU_DEP_1)
	v_cmp_ne_u16_e64 s4, 0x80, v32
	v_mov_b32_e32 v32, 0x8000
	s_and_saveexec_b32 s33, s4
	s_cbranch_execz .LBB254_97
; %bb.92:                               ;   in Loop: Header=BB254_10 Depth=1
	v_and_b32_e32 v34, 0x7f, v1
	v_mov_b32_e32 v32, 0x7c01
	s_mov_b32 s34, exec_lo
	s_delay_alu instid0(VALU_DEP_2)
	v_cmpx_ne_u32_e32 0x7f, v34
	s_cbranch_execz .LBB254_96
; %bb.93:                               ;   in Loop: Header=BB254_10 Depth=1
	v_and_b32_e32 v32, 7, v1
	v_lshrrev_b32_e32 v33, 3, v34
	s_mov_b32 s35, exec_lo
	v_cmpx_gt_u32_e32 8, v34
; %bb.94:                               ;   in Loop: Header=BB254_10 Depth=1
	s_delay_alu instid0(VALU_DEP_3) | instskip(NEXT) | instid1(VALU_DEP_1)
	v_clz_i32_u32_e32 v32, v32
	v_min_u32_e32 v34, 32, v32
	s_delay_alu instid0(VALU_DEP_1) | instskip(NEXT) | instid1(VALU_DEP_1)
	v_subrev_nc_u32_e32 v32, 28, v34
	v_lshlrev_b64_e32 v[32:33], v32, v[1:2]
	v_sub_nc_u32_e32 v33, 29, v34
	s_delay_alu instid0(VALU_DEP_2)
	v_and_b32_e32 v32, 7, v32
; %bb.95:                               ;   in Loop: Header=BB254_10 Depth=1
	s_wait_alu 0xfffe
	s_or_b32 exec_lo, exec_lo, s35
	v_lshlrev_b32_e32 v34, 8, v1
	v_lshl_add_u32 v33, v33, 10, 0x2000
	v_lshlrev_b32_e32 v32, 7, v32
	s_delay_alu instid0(VALU_DEP_3) | instskip(NEXT) | instid1(VALU_DEP_3)
	v_and_b32_e32 v34, 0x8000, v34
	v_and_b32_e32 v33, 0xfc00, v33
	s_delay_alu instid0(VALU_DEP_1)
	v_or3_b32 v32, v34, v33, v32
.LBB254_96:                             ;   in Loop: Header=BB254_10 Depth=1
	s_wait_alu 0xfffe
	s_or_b32 exec_lo, exec_lo, s34
.LBB254_97:                             ;   in Loop: Header=BB254_10 Depth=1
	s_delay_alu instid0(SALU_CYCLE_1)
	s_or_b32 exec_lo, exec_lo, s33
.LBB254_98:                             ;   in Loop: Header=BB254_10 Depth=1
	s_wait_alu 0xfffe
	s_or_b32 exec_lo, exec_lo, s5
	v_lshrrev_b16 v1, 8, v1
	s_mov_b32 s5, exec_lo
	s_delay_alu instid0(VALU_DEP_1)
	v_cmpx_ne_u16_e32 0, v1
	s_cbranch_execz .LBB254_106
; %bb.99:                               ;   in Loop: Header=BB254_10 Depth=1
	v_bfrev_b32_e32 v31, 1
	s_mov_b32 s33, exec_lo
	v_cmpx_ne_u16_e32 0x80, v1
	s_cbranch_execz .LBB254_105
; %bb.100:                              ;   in Loop: Header=BB254_10 Depth=1
	v_and_b32_e32 v33, 0xffff, v1
	v_mov_b32_e32 v31, 0x7c010000
	s_mov_b32 s34, exec_lo
	s_delay_alu instid0(VALU_DEP_2) | instskip(NEXT) | instid1(VALU_DEP_1)
	v_and_b32_e32 v35, 0x7f, v33
	v_cmpx_ne_u32_e32 0x7f, v35
	s_cbranch_execz .LBB254_104
; %bb.101:                              ;   in Loop: Header=BB254_10 Depth=1
	v_and_b32_e32 v31, 7, v33
	v_lshrrev_b32_e32 v34, 3, v35
	s_mov_b32 s35, exec_lo
	v_cmpx_gt_u32_e32 8, v35
; %bb.102:                              ;   in Loop: Header=BB254_10 Depth=1
	s_delay_alu instid0(VALU_DEP_3) | instskip(NEXT) | instid1(VALU_DEP_1)
	v_clz_i32_u32_e32 v31, v31
	v_min_u32_e32 v31, 32, v31
	s_delay_alu instid0(VALU_DEP_1) | instskip(NEXT) | instid1(VALU_DEP_1)
	v_subrev_nc_u32_e32 v34, 28, v31
	v_lshlrev_b64_e32 v[35:36], v34, v[1:2]
	v_sub_nc_u32_e32 v34, 29, v31
	s_delay_alu instid0(VALU_DEP_2)
	v_and_b32_e32 v31, 7, v35
; %bb.103:                              ;   in Loop: Header=BB254_10 Depth=1
	s_wait_alu 0xfffe
	s_or_b32 exec_lo, exec_lo, s35
	v_lshlrev_b32_e32 v1, 8, v33
	v_lshl_add_u32 v33, v34, 10, 0x2000
	v_lshlrev_b32_e32 v31, 23, v31
	s_delay_alu instid0(VALU_DEP_2) | instskip(NEXT) | instid1(VALU_DEP_1)
	v_and_or_b32 v1, 0x8000, v1, v33
	v_lshl_or_b32 v31, v1, 16, v31
.LBB254_104:                            ;   in Loop: Header=BB254_10 Depth=1
	s_wait_alu 0xfffe
	s_or_b32 exec_lo, exec_lo, s34
.LBB254_105:                            ;   in Loop: Header=BB254_10 Depth=1
	s_delay_alu instid0(SALU_CYCLE_1)
	s_or_b32 exec_lo, exec_lo, s33
.LBB254_106:                            ;   in Loop: Header=BB254_10 Depth=1
	s_wait_alu 0xfffe
	s_or_b32 exec_lo, exec_lo, s5
	global_load_u16 v1, v[7:8], off offset:384
	s_wait_loadcnt 0x0
	v_dual_mov_b32 v33, 0 :: v_dual_and_b32 v34, 0xff, v1
	v_and_b32_e32 v1, 0xffff, v1
	s_delay_alu instid0(VALU_DEP_2)
	v_cmp_ne_u16_e64 s4, 0, v34
	v_mov_b32_e32 v34, 0
	s_and_saveexec_b32 s5, s4
	s_cbranch_execz .LBB254_114
; %bb.107:                              ;   in Loop: Header=BB254_10 Depth=1
	v_and_b32_e32 v34, 0xff, v1
	s_delay_alu instid0(VALU_DEP_1)
	v_cmp_ne_u16_e64 s4, 0x80, v34
	v_mov_b32_e32 v34, 0x8000
	s_and_saveexec_b32 s33, s4
	s_cbranch_execz .LBB254_113
; %bb.108:                              ;   in Loop: Header=BB254_10 Depth=1
	v_and_b32_e32 v36, 0x7f, v1
	v_mov_b32_e32 v34, 0x7c01
	s_mov_b32 s34, exec_lo
	s_delay_alu instid0(VALU_DEP_2)
	v_cmpx_ne_u32_e32 0x7f, v36
	s_cbranch_execz .LBB254_112
; %bb.109:                              ;   in Loop: Header=BB254_10 Depth=1
	v_and_b32_e32 v34, 7, v1
	v_lshrrev_b32_e32 v35, 3, v36
	s_mov_b32 s35, exec_lo
	v_cmpx_gt_u32_e32 8, v36
; %bb.110:                              ;   in Loop: Header=BB254_10 Depth=1
	s_delay_alu instid0(VALU_DEP_3) | instskip(NEXT) | instid1(VALU_DEP_1)
	v_clz_i32_u32_e32 v34, v34
	v_min_u32_e32 v36, 32, v34
	s_delay_alu instid0(VALU_DEP_1) | instskip(NEXT) | instid1(VALU_DEP_1)
	v_subrev_nc_u32_e32 v34, 28, v36
	v_lshlrev_b64_e32 v[34:35], v34, v[1:2]
	v_sub_nc_u32_e32 v35, 29, v36
	s_delay_alu instid0(VALU_DEP_2)
	v_and_b32_e32 v34, 7, v34
; %bb.111:                              ;   in Loop: Header=BB254_10 Depth=1
	s_wait_alu 0xfffe
	s_or_b32 exec_lo, exec_lo, s35
	v_lshlrev_b32_e32 v36, 8, v1
	v_lshl_add_u32 v35, v35, 10, 0x2000
	v_lshlrev_b32_e32 v34, 7, v34
	s_delay_alu instid0(VALU_DEP_3) | instskip(NEXT) | instid1(VALU_DEP_3)
	v_and_b32_e32 v36, 0x8000, v36
	v_and_b32_e32 v35, 0xfc00, v35
	s_delay_alu instid0(VALU_DEP_1)
	v_or3_b32 v34, v36, v35, v34
.LBB254_112:                            ;   in Loop: Header=BB254_10 Depth=1
	s_wait_alu 0xfffe
	s_or_b32 exec_lo, exec_lo, s34
.LBB254_113:                            ;   in Loop: Header=BB254_10 Depth=1
	s_delay_alu instid0(SALU_CYCLE_1)
	s_or_b32 exec_lo, exec_lo, s33
.LBB254_114:                            ;   in Loop: Header=BB254_10 Depth=1
	s_wait_alu 0xfffe
	s_or_b32 exec_lo, exec_lo, s5
	v_lshrrev_b16 v1, 8, v1
	s_mov_b32 s5, exec_lo
	s_delay_alu instid0(VALU_DEP_1)
	v_cmpx_ne_u16_e32 0, v1
	s_cbranch_execz .LBB254_122
; %bb.115:                              ;   in Loop: Header=BB254_10 Depth=1
	v_bfrev_b32_e32 v33, 1
	s_mov_b32 s33, exec_lo
	v_cmpx_ne_u16_e32 0x80, v1
	s_cbranch_execz .LBB254_121
; %bb.116:                              ;   in Loop: Header=BB254_10 Depth=1
	v_and_b32_e32 v35, 0xffff, v1
	v_mov_b32_e32 v33, 0x7c010000
	s_mov_b32 s34, exec_lo
	s_delay_alu instid0(VALU_DEP_2) | instskip(NEXT) | instid1(VALU_DEP_1)
	v_and_b32_e32 v37, 0x7f, v35
	v_cmpx_ne_u32_e32 0x7f, v37
	s_cbranch_execz .LBB254_120
; %bb.117:                              ;   in Loop: Header=BB254_10 Depth=1
	v_and_b32_e32 v33, 7, v35
	v_lshrrev_b32_e32 v36, 3, v37
	s_mov_b32 s35, exec_lo
	v_cmpx_gt_u32_e32 8, v37
; %bb.118:                              ;   in Loop: Header=BB254_10 Depth=1
	s_delay_alu instid0(VALU_DEP_3) | instskip(NEXT) | instid1(VALU_DEP_1)
	v_clz_i32_u32_e32 v33, v33
	v_min_u32_e32 v33, 32, v33
	s_delay_alu instid0(VALU_DEP_1) | instskip(NEXT) | instid1(VALU_DEP_1)
	v_subrev_nc_u32_e32 v36, 28, v33
	v_lshlrev_b64_e32 v[37:38], v36, v[1:2]
	v_sub_nc_u32_e32 v36, 29, v33
	s_delay_alu instid0(VALU_DEP_2)
	v_and_b32_e32 v33, 7, v37
; %bb.119:                              ;   in Loop: Header=BB254_10 Depth=1
	s_wait_alu 0xfffe
	s_or_b32 exec_lo, exec_lo, s35
	v_lshlrev_b32_e32 v1, 8, v35
	v_lshl_add_u32 v35, v36, 10, 0x2000
	v_lshlrev_b32_e32 v33, 23, v33
	s_delay_alu instid0(VALU_DEP_2) | instskip(NEXT) | instid1(VALU_DEP_1)
	v_and_or_b32 v1, 0x8000, v1, v35
	v_lshl_or_b32 v33, v1, 16, v33
.LBB254_120:                            ;   in Loop: Header=BB254_10 Depth=1
	s_wait_alu 0xfffe
	s_or_b32 exec_lo, exec_lo, s34
.LBB254_121:                            ;   in Loop: Header=BB254_10 Depth=1
	s_delay_alu instid0(SALU_CYCLE_1)
	s_or_b32 exec_lo, exec_lo, s33
.LBB254_122:                            ;   in Loop: Header=BB254_10 Depth=1
	s_wait_alu 0xfffe
	s_or_b32 exec_lo, exec_lo, s5
	global_load_u16 v1, v[7:8], off offset:392
	s_wait_loadcnt 0x0
	v_dual_mov_b32 v35, 0 :: v_dual_and_b32 v36, 0xff, v1
	v_and_b32_e32 v1, 0xffff, v1
	s_delay_alu instid0(VALU_DEP_2)
	v_cmp_ne_u16_e64 s4, 0, v36
	v_mov_b32_e32 v36, 0
	s_and_saveexec_b32 s5, s4
	s_cbranch_execz .LBB254_130
; %bb.123:                              ;   in Loop: Header=BB254_10 Depth=1
	v_and_b32_e32 v36, 0xff, v1
	s_delay_alu instid0(VALU_DEP_1)
	v_cmp_ne_u16_e64 s4, 0x80, v36
	v_mov_b32_e32 v36, 0x8000
	s_and_saveexec_b32 s33, s4
	s_cbranch_execz .LBB254_129
; %bb.124:                              ;   in Loop: Header=BB254_10 Depth=1
	v_and_b32_e32 v38, 0x7f, v1
	v_mov_b32_e32 v36, 0x7c01
	s_mov_b32 s34, exec_lo
	s_delay_alu instid0(VALU_DEP_2)
	v_cmpx_ne_u32_e32 0x7f, v38
	s_cbranch_execz .LBB254_128
; %bb.125:                              ;   in Loop: Header=BB254_10 Depth=1
	v_and_b32_e32 v36, 7, v1
	v_lshrrev_b32_e32 v37, 3, v38
	s_mov_b32 s35, exec_lo
	v_cmpx_gt_u32_e32 8, v38
; %bb.126:                              ;   in Loop: Header=BB254_10 Depth=1
	s_delay_alu instid0(VALU_DEP_3) | instskip(NEXT) | instid1(VALU_DEP_1)
	v_clz_i32_u32_e32 v36, v36
	v_min_u32_e32 v38, 32, v36
	s_delay_alu instid0(VALU_DEP_1) | instskip(NEXT) | instid1(VALU_DEP_1)
	v_subrev_nc_u32_e32 v36, 28, v38
	v_lshlrev_b64_e32 v[36:37], v36, v[1:2]
	v_sub_nc_u32_e32 v37, 29, v38
	s_delay_alu instid0(VALU_DEP_2)
	v_and_b32_e32 v36, 7, v36
; %bb.127:                              ;   in Loop: Header=BB254_10 Depth=1
	s_wait_alu 0xfffe
	s_or_b32 exec_lo, exec_lo, s35
	v_lshlrev_b32_e32 v38, 8, v1
	v_lshl_add_u32 v37, v37, 10, 0x2000
	v_lshlrev_b32_e32 v36, 7, v36
	s_delay_alu instid0(VALU_DEP_3) | instskip(NEXT) | instid1(VALU_DEP_3)
	v_and_b32_e32 v38, 0x8000, v38
	v_and_b32_e32 v37, 0xfc00, v37
	s_delay_alu instid0(VALU_DEP_1)
	v_or3_b32 v36, v38, v37, v36
.LBB254_128:                            ;   in Loop: Header=BB254_10 Depth=1
	s_wait_alu 0xfffe
	s_or_b32 exec_lo, exec_lo, s34
.LBB254_129:                            ;   in Loop: Header=BB254_10 Depth=1
	s_delay_alu instid0(SALU_CYCLE_1)
	s_or_b32 exec_lo, exec_lo, s33
.LBB254_130:                            ;   in Loop: Header=BB254_10 Depth=1
	s_wait_alu 0xfffe
	s_or_b32 exec_lo, exec_lo, s5
	v_lshrrev_b16 v1, 8, v1
	s_mov_b32 s5, exec_lo
	s_delay_alu instid0(VALU_DEP_1)
	v_cmpx_ne_u16_e32 0, v1
	s_cbranch_execz .LBB254_138
; %bb.131:                              ;   in Loop: Header=BB254_10 Depth=1
	v_bfrev_b32_e32 v35, 1
	s_mov_b32 s33, exec_lo
	v_cmpx_ne_u16_e32 0x80, v1
	s_cbranch_execz .LBB254_137
; %bb.132:                              ;   in Loop: Header=BB254_10 Depth=1
	v_and_b32_e32 v37, 0xffff, v1
	v_mov_b32_e32 v35, 0x7c010000
	s_mov_b32 s34, exec_lo
	s_delay_alu instid0(VALU_DEP_2) | instskip(NEXT) | instid1(VALU_DEP_1)
	v_and_b32_e32 v39, 0x7f, v37
	v_cmpx_ne_u32_e32 0x7f, v39
	s_cbranch_execz .LBB254_136
; %bb.133:                              ;   in Loop: Header=BB254_10 Depth=1
	v_and_b32_e32 v35, 7, v37
	v_lshrrev_b32_e32 v38, 3, v39
	s_mov_b32 s35, exec_lo
	v_cmpx_gt_u32_e32 8, v39
; %bb.134:                              ;   in Loop: Header=BB254_10 Depth=1
	s_delay_alu instid0(VALU_DEP_3) | instskip(NEXT) | instid1(VALU_DEP_1)
	v_clz_i32_u32_e32 v35, v35
	v_min_u32_e32 v35, 32, v35
	s_delay_alu instid0(VALU_DEP_1) | instskip(NEXT) | instid1(VALU_DEP_1)
	v_subrev_nc_u32_e32 v38, 28, v35
	v_lshlrev_b64_e32 v[39:40], v38, v[1:2]
	v_sub_nc_u32_e32 v38, 29, v35
	s_delay_alu instid0(VALU_DEP_2)
	v_and_b32_e32 v35, 7, v39
; %bb.135:                              ;   in Loop: Header=BB254_10 Depth=1
	s_wait_alu 0xfffe
	s_or_b32 exec_lo, exec_lo, s35
	v_lshlrev_b32_e32 v1, 8, v37
	v_lshl_add_u32 v37, v38, 10, 0x2000
	v_lshlrev_b32_e32 v35, 23, v35
	s_delay_alu instid0(VALU_DEP_2) | instskip(NEXT) | instid1(VALU_DEP_1)
	v_and_or_b32 v1, 0x8000, v1, v37
	v_lshl_or_b32 v35, v1, 16, v35
.LBB254_136:                            ;   in Loop: Header=BB254_10 Depth=1
	s_wait_alu 0xfffe
	s_or_b32 exec_lo, exec_lo, s34
.LBB254_137:                            ;   in Loop: Header=BB254_10 Depth=1
	s_delay_alu instid0(SALU_CYCLE_1)
	s_or_b32 exec_lo, exec_lo, s33
.LBB254_138:                            ;   in Loop: Header=BB254_10 Depth=1
	s_wait_alu 0xfffe
	s_or_b32 exec_lo, exec_lo, s5
	global_load_u16 v1, v[7:8], off offset:512
	s_wait_loadcnt 0x0
	v_dual_mov_b32 v37, 0 :: v_dual_and_b32 v38, 0xff, v1
	v_and_b32_e32 v1, 0xffff, v1
	s_delay_alu instid0(VALU_DEP_2)
	v_cmp_ne_u16_e64 s4, 0, v38
	v_mov_b32_e32 v38, 0
	s_and_saveexec_b32 s5, s4
	s_cbranch_execz .LBB254_146
; %bb.139:                              ;   in Loop: Header=BB254_10 Depth=1
	v_and_b32_e32 v38, 0xff, v1
	s_delay_alu instid0(VALU_DEP_1)
	v_cmp_ne_u16_e64 s4, 0x80, v38
	v_mov_b32_e32 v38, 0x8000
	s_and_saveexec_b32 s33, s4
	s_cbranch_execz .LBB254_145
; %bb.140:                              ;   in Loop: Header=BB254_10 Depth=1
	v_and_b32_e32 v40, 0x7f, v1
	v_mov_b32_e32 v38, 0x7c01
	s_mov_b32 s34, exec_lo
	s_delay_alu instid0(VALU_DEP_2)
	v_cmpx_ne_u32_e32 0x7f, v40
	s_cbranch_execz .LBB254_144
; %bb.141:                              ;   in Loop: Header=BB254_10 Depth=1
	v_and_b32_e32 v38, 7, v1
	v_lshrrev_b32_e32 v39, 3, v40
	s_mov_b32 s35, exec_lo
	v_cmpx_gt_u32_e32 8, v40
; %bb.142:                              ;   in Loop: Header=BB254_10 Depth=1
	s_delay_alu instid0(VALU_DEP_3) | instskip(NEXT) | instid1(VALU_DEP_1)
	v_clz_i32_u32_e32 v38, v38
	v_min_u32_e32 v40, 32, v38
	s_delay_alu instid0(VALU_DEP_1) | instskip(NEXT) | instid1(VALU_DEP_1)
	v_subrev_nc_u32_e32 v38, 28, v40
	v_lshlrev_b64_e32 v[38:39], v38, v[1:2]
	v_sub_nc_u32_e32 v39, 29, v40
	s_delay_alu instid0(VALU_DEP_2)
	v_and_b32_e32 v38, 7, v38
; %bb.143:                              ;   in Loop: Header=BB254_10 Depth=1
	s_wait_alu 0xfffe
	s_or_b32 exec_lo, exec_lo, s35
	v_lshlrev_b32_e32 v40, 8, v1
	v_lshl_add_u32 v39, v39, 10, 0x2000
	v_lshlrev_b32_e32 v38, 7, v38
	s_delay_alu instid0(VALU_DEP_3) | instskip(NEXT) | instid1(VALU_DEP_3)
	v_and_b32_e32 v40, 0x8000, v40
	v_and_b32_e32 v39, 0xfc00, v39
	s_delay_alu instid0(VALU_DEP_1)
	v_or3_b32 v38, v40, v39, v38
.LBB254_144:                            ;   in Loop: Header=BB254_10 Depth=1
	s_wait_alu 0xfffe
	s_or_b32 exec_lo, exec_lo, s34
.LBB254_145:                            ;   in Loop: Header=BB254_10 Depth=1
	s_delay_alu instid0(SALU_CYCLE_1)
	s_or_b32 exec_lo, exec_lo, s33
.LBB254_146:                            ;   in Loop: Header=BB254_10 Depth=1
	s_wait_alu 0xfffe
	s_or_b32 exec_lo, exec_lo, s5
	v_lshrrev_b16 v1, 8, v1
	s_mov_b32 s5, exec_lo
	s_delay_alu instid0(VALU_DEP_1)
	v_cmpx_ne_u16_e32 0, v1
	s_cbranch_execz .LBB254_154
; %bb.147:                              ;   in Loop: Header=BB254_10 Depth=1
	v_bfrev_b32_e32 v37, 1
	s_mov_b32 s33, exec_lo
	v_cmpx_ne_u16_e32 0x80, v1
	s_cbranch_execz .LBB254_153
; %bb.148:                              ;   in Loop: Header=BB254_10 Depth=1
	v_and_b32_e32 v39, 0xffff, v1
	v_mov_b32_e32 v37, 0x7c010000
	s_mov_b32 s34, exec_lo
	s_delay_alu instid0(VALU_DEP_2) | instskip(NEXT) | instid1(VALU_DEP_1)
	v_and_b32_e32 v41, 0x7f, v39
	v_cmpx_ne_u32_e32 0x7f, v41
	s_cbranch_execz .LBB254_152
; %bb.149:                              ;   in Loop: Header=BB254_10 Depth=1
	v_and_b32_e32 v37, 7, v39
	v_lshrrev_b32_e32 v40, 3, v41
	s_mov_b32 s35, exec_lo
	v_cmpx_gt_u32_e32 8, v41
; %bb.150:                              ;   in Loop: Header=BB254_10 Depth=1
	s_delay_alu instid0(VALU_DEP_3) | instskip(NEXT) | instid1(VALU_DEP_1)
	v_clz_i32_u32_e32 v37, v37
	v_min_u32_e32 v37, 32, v37
	s_delay_alu instid0(VALU_DEP_1) | instskip(NEXT) | instid1(VALU_DEP_1)
	v_subrev_nc_u32_e32 v40, 28, v37
	v_lshlrev_b64_e32 v[41:42], v40, v[1:2]
	v_sub_nc_u32_e32 v40, 29, v37
	s_delay_alu instid0(VALU_DEP_2)
	v_and_b32_e32 v37, 7, v41
; %bb.151:                              ;   in Loop: Header=BB254_10 Depth=1
	s_wait_alu 0xfffe
	s_or_b32 exec_lo, exec_lo, s35
	v_lshlrev_b32_e32 v1, 8, v39
	v_lshl_add_u32 v39, v40, 10, 0x2000
	v_lshlrev_b32_e32 v37, 23, v37
	s_delay_alu instid0(VALU_DEP_2) | instskip(NEXT) | instid1(VALU_DEP_1)
	v_and_or_b32 v1, 0x8000, v1, v39
	v_lshl_or_b32 v37, v1, 16, v37
.LBB254_152:                            ;   in Loop: Header=BB254_10 Depth=1
	s_wait_alu 0xfffe
	s_or_b32 exec_lo, exec_lo, s34
.LBB254_153:                            ;   in Loop: Header=BB254_10 Depth=1
	s_delay_alu instid0(SALU_CYCLE_1)
	s_or_b32 exec_lo, exec_lo, s33
.LBB254_154:                            ;   in Loop: Header=BB254_10 Depth=1
	s_wait_alu 0xfffe
	s_or_b32 exec_lo, exec_lo, s5
	global_load_u16 v1, v[7:8], off offset:520
	s_wait_loadcnt 0x0
	v_dual_mov_b32 v7, 0 :: v_dual_and_b32 v8, 0xff, v1
	v_and_b32_e32 v1, 0xffff, v1
	s_delay_alu instid0(VALU_DEP_2)
	v_cmp_ne_u16_e64 s4, 0, v8
	v_mov_b32_e32 v8, 0
	s_and_saveexec_b32 s5, s4
	s_cbranch_execz .LBB254_162
; %bb.155:                              ;   in Loop: Header=BB254_10 Depth=1
	v_and_b32_e32 v8, 0xff, v1
	s_delay_alu instid0(VALU_DEP_1)
	v_cmp_ne_u16_e64 s4, 0x80, v8
	v_mov_b32_e32 v8, 0x8000
	s_and_saveexec_b32 s33, s4
	s_cbranch_execz .LBB254_161
; %bb.156:                              ;   in Loop: Header=BB254_10 Depth=1
	v_and_b32_e32 v40, 0x7f, v1
	v_mov_b32_e32 v8, 0x7c01
	s_mov_b32 s34, exec_lo
	s_delay_alu instid0(VALU_DEP_2)
	v_cmpx_ne_u32_e32 0x7f, v40
	s_cbranch_execz .LBB254_160
; %bb.157:                              ;   in Loop: Header=BB254_10 Depth=1
	v_and_b32_e32 v8, 7, v1
	v_lshrrev_b32_e32 v39, 3, v40
	s_mov_b32 s35, exec_lo
	v_cmpx_gt_u32_e32 8, v40
; %bb.158:                              ;   in Loop: Header=BB254_10 Depth=1
	s_delay_alu instid0(VALU_DEP_3) | instskip(NEXT) | instid1(VALU_DEP_1)
	v_clz_i32_u32_e32 v8, v8
	v_min_u32_e32 v8, 32, v8
	s_delay_alu instid0(VALU_DEP_1) | instskip(NEXT) | instid1(VALU_DEP_1)
	v_subrev_nc_u32_e32 v39, 28, v8
	v_lshlrev_b64_e32 v[40:41], v39, v[1:2]
	v_sub_nc_u32_e32 v39, 29, v8
	s_delay_alu instid0(VALU_DEP_2)
	v_and_b32_e32 v8, 7, v40
; %bb.159:                              ;   in Loop: Header=BB254_10 Depth=1
	s_wait_alu 0xfffe
	s_or_b32 exec_lo, exec_lo, s35
	v_lshlrev_b32_e32 v40, 8, v1
	v_lshl_add_u32 v39, v39, 10, 0x2000
	v_lshlrev_b32_e32 v8, 7, v8
	s_delay_alu instid0(VALU_DEP_3) | instskip(NEXT) | instid1(VALU_DEP_3)
	v_and_b32_e32 v40, 0x8000, v40
	v_and_b32_e32 v39, 0xfc00, v39
	s_delay_alu instid0(VALU_DEP_1)
	v_or3_b32 v8, v40, v39, v8
.LBB254_160:                            ;   in Loop: Header=BB254_10 Depth=1
	s_wait_alu 0xfffe
	s_or_b32 exec_lo, exec_lo, s34
.LBB254_161:                            ;   in Loop: Header=BB254_10 Depth=1
	s_delay_alu instid0(SALU_CYCLE_1)
	s_or_b32 exec_lo, exec_lo, s33
.LBB254_162:                            ;   in Loop: Header=BB254_10 Depth=1
	s_wait_alu 0xfffe
	s_or_b32 exec_lo, exec_lo, s5
	v_lshrrev_b16 v1, 8, v1
	s_mov_b32 s5, exec_lo
	s_delay_alu instid0(VALU_DEP_1)
	v_cmpx_ne_u16_e32 0, v1
	s_cbranch_execz .LBB254_170
; %bb.163:                              ;   in Loop: Header=BB254_10 Depth=1
	v_bfrev_b32_e32 v7, 1
	s_mov_b32 s33, exec_lo
	v_cmpx_ne_u16_e32 0x80, v1
	s_cbranch_execz .LBB254_169
; %bb.164:                              ;   in Loop: Header=BB254_10 Depth=1
	v_and_b32_e32 v39, 0xffff, v1
	v_mov_b32_e32 v7, 0x7c010000
	s_mov_b32 s34, exec_lo
	s_delay_alu instid0(VALU_DEP_2) | instskip(NEXT) | instid1(VALU_DEP_1)
	v_and_b32_e32 v41, 0x7f, v39
	v_cmpx_ne_u32_e32 0x7f, v41
	s_cbranch_execz .LBB254_168
; %bb.165:                              ;   in Loop: Header=BB254_10 Depth=1
	v_and_b32_e32 v7, 7, v39
	v_lshrrev_b32_e32 v40, 3, v41
	s_mov_b32 s35, exec_lo
	v_cmpx_gt_u32_e32 8, v41
; %bb.166:                              ;   in Loop: Header=BB254_10 Depth=1
	s_delay_alu instid0(VALU_DEP_3) | instskip(NEXT) | instid1(VALU_DEP_1)
	v_clz_i32_u32_e32 v7, v7
	v_min_u32_e32 v7, 32, v7
	s_delay_alu instid0(VALU_DEP_1) | instskip(NEXT) | instid1(VALU_DEP_1)
	v_subrev_nc_u32_e32 v40, 28, v7
	v_lshlrev_b64_e32 v[41:42], v40, v[1:2]
	v_sub_nc_u32_e32 v40, 29, v7
	s_delay_alu instid0(VALU_DEP_2)
	v_and_b32_e32 v7, 7, v41
; %bb.167:                              ;   in Loop: Header=BB254_10 Depth=1
	s_wait_alu 0xfffe
	s_or_b32 exec_lo, exec_lo, s35
	v_lshlrev_b32_e32 v1, 8, v39
	v_lshl_add_u32 v39, v40, 10, 0x2000
	v_lshlrev_b32_e32 v7, 23, v7
	s_delay_alu instid0(VALU_DEP_2) | instskip(NEXT) | instid1(VALU_DEP_1)
	v_and_or_b32 v1, 0x8000, v1, v39
	v_lshl_or_b32 v7, v1, 16, v7
.LBB254_168:                            ;   in Loop: Header=BB254_10 Depth=1
	s_wait_alu 0xfffe
	s_or_b32 exec_lo, exec_lo, s34
.LBB254_169:                            ;   in Loop: Header=BB254_10 Depth=1
	s_delay_alu instid0(SALU_CYCLE_1)
	s_or_b32 exec_lo, exec_lo, s33
.LBB254_170:                            ;   in Loop: Header=BB254_10 Depth=1
	s_wait_alu 0xfffe
	s_or_b32 exec_lo, exec_lo, s5
	ds_load_b32 v1, v16
	v_or_b32_e32 v22, v21, v22
	v_fma_mixlo_f16 v21, v20, v21, 0 op_sel:[0,1,0] op_sel_hi:[0,1,0]
	v_or_b32_e32 v24, v23, v24
	v_fma_mixlo_f16 v23, v20, v23, 0 op_sel:[0,1,0] op_sel_hi:[0,1,0]
	v_or_b32_e32 v26, v25, v26
	v_fma_mixlo_f16 v22, v20, v22, 0 op_sel_hi:[0,1,0]
	v_and_b32_e32 v41, 0xffff, v21
	v_fma_mixlo_f16 v24, v20, v24, 0 op_sel_hi:[0,1,0]
	v_and_b32_e32 v43, 0xffff, v23
	;; [unrolled: 2-line block ×3, first 2 shown]
	v_fma_mixlo_f16 v25, v20, v25, 0 op_sel:[0,1,0] op_sel_hi:[0,1,0]
	v_or_b32_e32 v28, v27, v28
	v_fma_mixlo_f16 v27, v20, v27, 0 op_sel:[0,1,0] op_sel_hi:[0,1,0]
	v_and_b32_e32 v44, 0xffff, v26
	v_or_b32_e32 v30, v29, v30
	v_and_b32_e32 v45, 0xffff, v25
	v_fma_mixlo_f16 v28, v20, v28, 0 op_sel_hi:[0,1,0]
	v_and_b32_e32 v47, 0xffff, v27
	s_wait_dscnt 0x0
	v_and_b32_e32 v39, 0xffff, v1
	v_lshrrev_b32_e32 v40, 16, v1
	;;#ASMSTART
	v_cvt_f32_f16 v1, v39;
	;;#ASMEND
	;;#ASMSTART
	v_cvt_f32_f16 v21, v40;
	;;#ASMEND
	;; [unrolled: 3-line block ×4, first 2 shown]
	ds_load_b32 v40, v16 offset:4
	v_and_b32_e32 v42, 0xffff, v24
	v_fma_mixlo_f16 v30, v20, v30, 0 op_sel_hi:[0,1,0]
	v_fma_mixlo_f16 v29, v20, v29, 0 op_sel:[0,1,0] op_sel_hi:[0,1,0]
	v_or_b32_e32 v32, v31, v32
	v_fma_mixlo_f16 v31, v20, v31, 0 op_sel:[0,1,0] op_sel_hi:[0,1,0]
	v_or_b32_e32 v34, v33, v34
	v_fma_mixlo_f16 v33, v20, v33, 0 op_sel:[0,1,0] op_sel_hi:[0,1,0]
	v_and_b32_e32 v49, 0xffff, v29
	v_fma_mixlo_f16 v32, v20, v32, 0 op_sel_hi:[0,1,0]
	v_and_b32_e32 v51, 0xffff, v31
	v_fma_mixlo_f16 v34, v20, v34, 0 op_sel_hi:[0,1,0]
	v_and_b32_e32 v53, 0xffff, v33
	v_or_b32_e32 v36, v35, v36
	v_fma_mixlo_f16 v35, v20, v35, 0 op_sel:[0,1,0] op_sel_hi:[0,1,0]
	v_or_b32_e32 v38, v37, v38
	v_and_b32_e32 v52, 0xffff, v34
	v_fma_mixlo_f16 v37, v20, v37, 0 op_sel:[0,1,0] op_sel_hi:[0,1,0]
	v_fma_mixlo_f16 v36, v20, v36, 0 op_sel_hi:[0,1,0]
	v_and_b32_e32 v55, 0xffff, v35
	s_wait_dscnt 0x0
	v_and_b32_e32 v41, 0xffff, v40
	v_lshrrev_b32_e32 v40, 16, v40
	;;#ASMSTART
	v_cvt_f32_f16 v23, v41;
	;;#ASMEND
	;;#ASMSTART
	v_cvt_f32_f16 v24, v40;
	;;#ASMEND
	;; [unrolled: 3-line block ×4, first 2 shown]
	ds_load_b32 v42, v16 offset:8
	v_dual_mul_f32 v23, v23, v40 :: v_dual_mul_f32 v24, v24, v41
	v_and_b32_e32 v37, 0xffff, v37
	v_or_b32_e32 v8, v7, v8
	v_fma_mixlo_f16 v7, v20, v7, 0 op_sel:[0,1,0] op_sel_hi:[0,1,0]
	s_delay_alu instid0(VALU_DEP_4)
	v_fmac_f32_e32 v23, v1, v22
	v_fmac_f32_e32 v24, v21, v39
	v_fma_mixlo_f16 v1, v20, v38, 0 op_sel_hi:[0,1,0]
	v_fma_mixlo_f16 v8, v20, v8, 0 op_sel_hi:[0,1,0]
	s_wait_dscnt 0x0
	v_and_b32_e32 v43, 0xffff, v42
	v_lshrrev_b32_e32 v42, 16, v42
	;;#ASMSTART
	v_cvt_f32_f16 v25, v43;
	;;#ASMEND
	;;#ASMSTART
	v_cvt_f32_f16 v26, v42;
	;;#ASMEND
	;;#ASMSTART
	v_cvt_f32_f16 v42, v44;
	;;#ASMEND
	;;#ASMSTART
	v_cvt_f32_f16 v43, v45;
	;;#ASMEND
	ds_load_b32 v44, v16 offset:12
	v_dual_fmac_f32 v23, v25, v42 :: v_dual_and_b32 v46, 0xffff, v28
	v_dual_fmac_f32 v24, v26, v43 :: v_dual_and_b32 v25, 0xffff, v1
	s_wait_dscnt 0x0
	v_and_b32_e32 v45, 0xffff, v44
	v_lshrrev_b32_e32 v44, 16, v44
	;;#ASMSTART
	v_cvt_f32_f16 v27, v45;
	;;#ASMEND
	;;#ASMSTART
	v_cvt_f32_f16 v28, v44;
	;;#ASMEND
	;; [unrolled: 3-line block ×4, first 2 shown]
	ds_load_b32 v46, v16 offset:16
	v_dual_fmac_f32 v23, v27, v44 :: v_dual_and_b32 v48, 0xffff, v30
	v_fmac_f32_e32 v24, v28, v45
	v_xor_b32_e32 v27, 2, v15
	s_delay_alu instid0(VALU_DEP_1)
	v_cmp_gt_i32_e64 s4, 32, v27
	s_wait_dscnt 0x0
	v_and_b32_e32 v47, 0xffff, v46
	v_lshrrev_b32_e32 v46, 16, v46
	;;#ASMSTART
	v_cvt_f32_f16 v29, v47;
	;;#ASMEND
	;;#ASMSTART
	v_cvt_f32_f16 v30, v46;
	;;#ASMEND
	;; [unrolled: 3-line block ×4, first 2 shown]
	ds_load_b32 v48, v16 offset:20
	v_dual_fmac_f32 v23, v29, v46 :: v_dual_and_b32 v50, 0xffff, v32
	s_wait_dscnt 0x0
	v_dual_fmac_f32 v24, v30, v47 :: v_dual_and_b32 v49, 0xffff, v48
	v_lshrrev_b32_e32 v48, 16, v48
	;;#ASMSTART
	v_cvt_f32_f16 v31, v49;
	;;#ASMEND
	;;#ASMSTART
	v_cvt_f32_f16 v32, v48;
	;;#ASMEND
	;; [unrolled: 3-line block ×4, first 2 shown]
	ds_load_b32 v50, v16 offset:24
	v_dual_fmac_f32 v23, v31, v48 :: v_dual_fmac_f32 v24, v32, v49
	s_wait_dscnt 0x0
	v_and_b32_e32 v51, 0xffff, v50
	v_lshrrev_b32_e32 v50, 16, v50
	;;#ASMSTART
	v_cvt_f32_f16 v33, v51;
	;;#ASMEND
	;;#ASMSTART
	v_cvt_f32_f16 v34, v50;
	;;#ASMEND
	;; [unrolled: 3-line block ×4, first 2 shown]
	ds_load_b32 v52, v16 offset:28
	v_dual_fmac_f32 v23, v33, v50 :: v_dual_and_b32 v54, 0xffff, v36
	s_wait_dscnt 0x0
	v_dual_fmac_f32 v24, v34, v51 :: v_dual_and_b32 v53, 0xffff, v52
	v_lshrrev_b32_e32 v52, 16, v52
	;;#ASMSTART
	v_cvt_f32_f16 v35, v53;
	;;#ASMEND
	;;#ASMSTART
	v_cvt_f32_f16 v36, v52;
	;;#ASMEND
	;;#ASMSTART
	v_cvt_f32_f16 v52, v54;
	;;#ASMEND
	;;#ASMSTART
	v_cvt_f32_f16 v53, v55;
	;;#ASMEND
	ds_load_b32 v54, v16 offset:32
	v_dual_fmac_f32 v23, v35, v52 :: v_dual_and_b32 v28, 0xffff, v7
	v_fmac_f32_e32 v24, v36, v53
	s_wait_alu 0xf1ff
	v_cndmask_b32_e64 v7, v15, v27, s4
	v_and_b32_e32 v27, 0xffff, v8
	s_wait_dscnt 0x0
	v_and_b32_e32 v21, 0xffff, v54
	v_lshrrev_b32_e32 v22, 16, v54
	;;#ASMSTART
	v_cvt_f32_f16 v1, v21;
	;;#ASMEND
	;;#ASMSTART
	v_cvt_f32_f16 v21, v22;
	;;#ASMEND
	;; [unrolled: 3-line block ×4, first 2 shown]
	ds_load_b32 v26, v16 offset:36
	v_fmac_f32_e32 v23, v1, v22
	v_fmac_f32_e32 v24, v21, v25
	s_wait_dscnt 0x0
	v_and_b32_e32 v20, 0xffff, v26
	v_lshrrev_b32_e32 v26, 16, v26
	;;#ASMSTART
	v_cvt_f32_f16 v1, v20;
	;;#ASMEND
	;;#ASMSTART
	v_cvt_f32_f16 v8, v26;
	;;#ASMEND
	;; [unrolled: 3-line block ×4, first 2 shown]
	v_dual_fmac_f32 v23, v1, v20 :: v_dual_fmac_f32 v24, v8, v21
	v_lshlrev_b32_e32 v1, 2, v7
	v_xor_b32_e32 v8, 1, v15
	s_delay_alu instid0(VALU_DEP_3) | instskip(NEXT) | instid1(VALU_DEP_2)
	v_add_f32_e32 v7, v23, v24
	v_cmp_gt_i32_e64 s4, 32, v8
	ds_bpermute_b32 v1, v1, v7
	s_wait_alu 0xf1ff
	v_cndmask_b32_e64 v8, v15, v8, s4
	s_wait_dscnt 0x0
	v_add_f32_e32 v1, v7, v1
	s_delay_alu instid0(VALU_DEP_2)
	v_lshlrev_b32_e32 v7, 2, v8
	ds_bpermute_b32 v7, v7, v1
	s_and_saveexec_b32 s5, vcc_lo
	s_cbranch_execz .LBB254_9
; %bb.171:                              ;   in Loop: Header=BB254_10 Depth=1
	s_wait_dscnt 0x0
	v_dual_add_f32 v1, v1, v7 :: v_dual_add_nc_u32 v8, s25, v17
	v_cmp_gt_i32_e64 s4, s27, v17
	s_delay_alu instid0(VALU_DEP_2) | instskip(NEXT) | instid1(VALU_DEP_1)
	v_cvt_f32_i32_e32 v8, v8
	v_mul_f32_e32 v8, s6, v8
	s_delay_alu instid0(VALU_DEP_1) | instskip(SKIP_1) | instid1(VALU_DEP_2)
	v_cndmask_b32_e64 v7, 0, v8, s3
	v_max_num_f32_e32 v8, v13, v13
	v_fmac_f32_e32 v7, s7, v1
	s_delay_alu instid0(VALU_DEP_1) | instskip(SKIP_2) | instid1(VALU_DEP_2)
	v_max_num_f32_e32 v1, v8, v7
	s_wait_alu 0xf1ff
	v_cndmask_b32_e64 v7, 0, v7, s4
	v_cndmask_b32_e64 v13, v13, v1, s4
	ds_store_b32 v18, v7
	s_branch .LBB254_9
.LBB254_172:
	s_or_b32 exec_lo, exec_lo, s14
.LBB254_173:
	s_delay_alu instid0(SALU_CYCLE_1)
	s_or_b32 exec_lo, exec_lo, s24
	v_xor_b32_e32 v1, 16, v15
	v_xor_b32_e32 v4, 8, v15
	;; [unrolled: 1-line block ×3, first 2 shown]
	s_load_b128 s[4:7], s[0:1], 0x0
	s_wait_kmcnt 0x0
	s_clause 0x1
	s_load_b64 s[8:9], s[0:1], 0x10
	s_load_b64 s[24:25], s[0:1], 0x28
	v_cmp_lt_i32_e32 vcc_lo, v1, v14
	v_cndmask_b32_e32 v1, v15, v1, vcc_lo
	v_cmp_lt_i32_e32 vcc_lo, v4, v14
	s_wait_alu 0xfffd
	v_dual_max_num_f32 v5, v13, v13 :: v_dual_cndmask_b32 v4, v15, v4
	v_cmp_lt_i32_e32 vcc_lo, v6, v14
	s_delay_alu instid0(VALU_DEP_2)
	v_lshlrev_b32_e32 v4, 2, v4
	s_wait_alu 0xfffd
	v_dual_cndmask_b32 v6, v15, v6 :: v_dual_lshlrev_b32 v3, 2, v1
	ds_bpermute_b32 v1, v3, v13
	s_wait_dscnt 0x1
	v_lshlrev_b32_e32 v7, 2, v6
	v_and_b32_e32 v13, 31, v0
	s_delay_alu instid0(VALU_DEP_1) | instskip(SKIP_2) | instid1(VALU_DEP_1)
	v_cmp_eq_u32_e32 vcc_lo, 0, v13
	s_wait_dscnt 0x0
	v_max_num_f32_e32 v1, v1, v1
	v_max_num_f32_e32 v1, v5, v1
	ds_bpermute_b32 v5, v4, v1
	s_wait_dscnt 0x0
	v_max_num_f32_e32 v5, v5, v5
	s_delay_alu instid0(VALU_DEP_1)
	v_max_num_f32_e32 v1, v1, v5
	v_lshlrev_b32_e32 v5, 2, v11
	ds_bpermute_b32 v6, v7, v1
	s_and_saveexec_b32 s0, vcc_lo
	s_cbranch_execz .LBB254_175
; %bb.174:
	s_wait_dscnt 0x0
	v_dual_max_num_f32 v6, v6, v6 :: v_dual_max_num_f32 v1, v1, v1
	s_delay_alu instid0(VALU_DEP_1)
	v_max_num_f32_e32 v1, v1, v6
	ds_store_b32 v5, v1 offset:160
.LBB254_175:
	s_or_b32 exec_lo, exec_lo, s0
	v_cmp_gt_u32_e64 s0, 4, v13
	s_wait_dscnt 0x0
	v_dual_mov_b32 v1, 0xff7fffff :: v_dual_lshlrev_b32 v6, 2, v13
	s_wait_loadcnt 0x0
	s_barrier_signal -1
	s_barrier_wait -1
	global_inv scope:SCOPE_SE
	s_and_saveexec_b32 s1, s0
; %bb.176:
	ds_load_b32 v1, v6 offset:160
; %bb.177:
	s_or_b32 exec_lo, exec_lo, s1
	v_xor_b32_e32 v8, 2, v15
	v_xor_b32_e32 v17, 1, v15
	v_lshlrev_b32_e32 v2, 2, v2
	s_delay_alu instid0(VALU_DEP_3) | instskip(NEXT) | instid1(VALU_DEP_1)
	v_cmp_lt_i32_e64 s1, v8, v14
	v_cndmask_b32_e64 v8, v15, v8, s1
	s_delay_alu instid0(VALU_DEP_4) | instskip(NEXT) | instid1(VALU_DEP_2)
	v_cmp_lt_i32_e64 s1, v17, v14
	v_lshlrev_b32_e32 v8, 2, v8
	s_wait_alu 0xf1ff
	s_delay_alu instid0(VALU_DEP_2)
	v_cndmask_b32_e64 v14, v15, v17, s1
	s_sub_co_i32 s1, s17, s31
	s_wait_alu 0xfffe
	s_lshl_b32 s1, s1, 3
	s_wait_dscnt 0x0
	ds_bpermute_b32 v16, v8, v1
	v_max_num_f32_e32 v1, v1, v1
	s_wait_alu 0xfffe
	s_add_co_i32 s1, s1, s28
	s_wait_alu 0xfffe
	s_min_i32 s1, s1, s27
	s_wait_alu 0xfffe
	s_sub_co_i32 s14, s1, s28
	s_delay_alu instid0(SALU_CYCLE_1) | instskip(SKIP_2) | instid1(VALU_DEP_1)
	v_cmp_gt_i32_e64 s1, s14, v0
	s_wait_dscnt 0x0
	v_dual_max_num_f32 v17, v16, v16 :: v_dual_lshlrev_b32 v16, 2, v14
	v_max_num_f32_e32 v1, v1, v17
	ds_bpermute_b32 v14, v16, v1
	s_wait_dscnt 0x0
	v_max_num_f32_e32 v14, v14, v14
	s_delay_alu instid0(VALU_DEP_1)
	v_max_num_f32_e32 v1, v1, v14
	v_lshl_add_u32 v14, v0, 2, 0xc0
	ds_bpermute_b32 v1, v2, v1
	v_mov_b32_e32 v2, 0
	s_and_saveexec_b32 s23, s1
	s_cbranch_execz .LBB254_181
; %bb.178:
	v_lshl_add_u32 v17, v0, 2, 0xc0
	v_mov_b32_e32 v2, 0
	v_mov_b32_e32 v18, v0
	s_mov_b32 s31, 0
.LBB254_179:                            ; =>This Inner Loop Header: Depth=1
	ds_load_b32 v19, v17
	v_add_nc_u32_e32 v18, 0x80, v18
	s_delay_alu instid0(VALU_DEP_1) | instskip(SKIP_4) | instid1(VALU_DEP_1)
	v_cmp_le_i32_e64 s3, s14, v18
	s_wait_alu 0xfffe
	s_or_b32 s31, s3, s31
	s_wait_dscnt 0x0
	v_sub_f32_e32 v19, v19, v1
	v_mul_f32_e32 v19, 0x3fb8aa3b, v19
	s_delay_alu instid0(VALU_DEP_1)
	v_exp_f32_e32 v19, v19
	ds_store_b32 v17, v19
	v_dual_add_f32 v2, v2, v19 :: v_dual_add_nc_u32 v17, 0x200, v17
	s_wait_alu 0xfffe
	s_and_not1_b32 exec_lo, exec_lo, s31
	s_cbranch_execnz .LBB254_179
; %bb.180:
	s_or_b32 exec_lo, exec_lo, s31
.LBB254_181:
	s_wait_alu 0xfffe
	s_or_b32 exec_lo, exec_lo, s23
	ds_bpermute_b32 v3, v3, v2
	s_wait_dscnt 0x0
	v_add_f32_e32 v2, v2, v3
	ds_bpermute_b32 v3, v4, v2
	s_wait_dscnt 0x0
	v_add_f32_e32 v2, v2, v3
	;; [unrolled: 3-line block ×5, first 2 shown]
	s_and_saveexec_b32 s3, vcc_lo
; %bb.182:
	ds_store_b32 v5, v2 offset:176
; %bb.183:
	s_wait_alu 0xfffe
	s_or_b32 exec_lo, exec_lo, s3
	s_wait_loadcnt_dscnt 0x0
	s_barrier_signal -1
	s_barrier_wait -1
	global_inv scope:SCOPE_SE
	s_and_saveexec_b32 s3, s0
; %bb.184:
	ds_load_b32 v2, v6 offset:176
; %bb.185:
	s_wait_alu 0xfffe
	s_or_b32 exec_lo, exec_lo, s3
	s_wait_dscnt 0x0
	ds_bpermute_b32 v3, v8, v2
	v_lshlrev_b32_e32 v4, 2, v15
	s_wait_dscnt 0x0
	v_add_f32_e32 v2, v2, v3
	ds_bpermute_b32 v3, v16, v2
	s_wait_dscnt 0x0
	v_dual_add_f32 v2, v2, v3 :: v_dual_and_b32 v3, 0xffffff80, v4
	ds_bpermute_b32 v2, v3, v2
	s_and_saveexec_b32 s0, s1
	s_cbranch_execz .LBB254_188
; %bb.186:
	s_wait_dscnt 0x0
	v_add_f32_e32 v4, 0x358637bd, v2
	s_mov_b32 s1, 0
	s_delay_alu instid0(VALU_DEP_1) | instskip(NEXT) | instid1(VALU_DEP_1)
	v_div_scale_f32 v3, null, v4, v4, 1.0
	v_rcp_f32_e32 v5, v3
	s_delay_alu instid0(TRANS32_DEP_1) | instskip(NEXT) | instid1(VALU_DEP_1)
	v_fma_f32 v6, -v3, v5, 1.0
	v_fmac_f32_e32 v5, v6, v5
	v_div_scale_f32 v7, vcc_lo, 1.0, v4, 1.0
	s_delay_alu instid0(VALU_DEP_1) | instskip(NEXT) | instid1(VALU_DEP_1)
	v_mul_f32_e32 v6, v7, v5
	v_fma_f32 v8, -v3, v6, v7
	s_delay_alu instid0(VALU_DEP_1) | instskip(NEXT) | instid1(VALU_DEP_1)
	v_fmac_f32_e32 v6, v8, v5
	v_fma_f32 v3, -v3, v6, v7
	s_wait_alu 0xfffd
	s_delay_alu instid0(VALU_DEP_1) | instskip(SKIP_1) | instid1(VALU_DEP_2)
	v_div_fmas_f32 v5, v3, v5, v6
	v_mov_b32_e32 v3, v14
	v_div_fixup_f32 v4, v5, v4, 1.0
	v_mov_b32_e32 v5, v0
.LBB254_187:                            ; =>This Inner Loop Header: Depth=1
	ds_load_b32 v6, v3
	s_wait_dscnt 0x0
	v_dual_mul_f32 v6, v4, v6 :: v_dual_add_nc_u32 v5, 0x80, v5
	s_delay_alu instid0(VALU_DEP_1)
	v_cmp_le_i32_e32 vcc_lo, s14, v5
	ds_store_b32 v3, v6
	v_add_nc_u32_e32 v3, 0x200, v3
	s_wait_alu 0xfffe
	s_or_b32 s1, vcc_lo, s1
	s_wait_alu 0xfffe
	s_and_not1_b32 exec_lo, exec_lo, s1
	s_cbranch_execnz .LBB254_187
.LBB254_188:
	s_wait_alu 0xfffe
	s_or_b32 exec_lo, exec_lo, s0
	s_mul_i32 s0, s12, s15
	s_wait_loadcnt_dscnt 0x0
	s_wait_alu 0xfffe
	s_mul_i32 s14, s0, s29
	s_mov_b32 s0, exec_lo
	s_barrier_signal -1
	s_barrier_wait -1
	global_inv scope:SCOPE_SE
	v_cmpx_eq_u32_e32 0, v0
	s_cbranch_execz .LBB254_190
; %bb.189:
	s_wait_alu 0xfffe
	s_ashr_i32 s15, s14, 31
	s_mul_i32 s34, s12, ttmp9
	s_lshl_b32 s1, s26, 2
	s_wait_alu 0xfffe
	s_lshl_b64 s[36:37], s[14:15], 2
	s_ashr_i32 s35, s34, 31
	v_mov_b32_e32 v3, s1
	s_add_nc_u64 s[6:7], s[6:7], s[36:37]
	s_wait_alu 0xfffe
	s_lshl_b64 s[34:35], s[34:35], 2
	s_add_nc_u64 s[4:5], s[4:5], s[36:37]
	s_wait_alu 0xfffe
	s_add_nc_u64 s[6:7], s[6:7], s[34:35]
	s_add_nc_u64 s[4:5], s[4:5], s[34:35]
	s_clause 0x1
	global_store_b32 v3, v1, s[6:7]
	global_store_b32 v3, v2, s[4:5]
.LBB254_190:
	s_wait_alu 0xfffe
	s_or_b32 exec_lo, exec_lo, s0
	v_dual_mov_b32 v17, 0 :: v_dual_mov_b32 v16, 0
	v_or_b32_e32 v18, 64, v13
	v_mov_b32_e32 v15, 0
	s_and_saveexec_b32 s6, s2
	s_cbranch_execz .LBB254_394
; %bb.191:
	s_lshl_b64 s[0:1], s[18:19], 2
	v_dual_mov_b32 v2, 0 :: v_dual_lshlrev_b32 v19, 3, v13
	s_wait_alu 0xfffe
	s_add_nc_u64 s[0:1], s[20:21], s[0:1]
	v_dual_mov_b32 v15, 0 :: v_dual_lshlrev_b32 v20, 3, v18
	s_wait_alu 0xfffe
	v_add_co_u32 v3, s0, s0, v9
	v_add3_u32 v21, s28, v10, 7
	v_lshl_add_u32 v22, v11, 5, 0xc0
	s_wait_alu 0xf1ff
	v_add_co_ci_u32_e64 v4, null, s1, 0, s0
	v_dual_mov_b32 v16, 0 :: v_dual_mov_b32 v17, 0
	s_ashr_i32 s23, s22, 31
	s_mov_b32 s4, -1
	s_mov_b32 s7, s13
	s_wait_kmcnt 0x0
	s_wait_alu 0xfffe
	s_add_nc_u64 s[2:3], s[24:25], s[22:23]
	s_mov_b32 s5, 0xffffff
	s_add_co_i32 s30, s30, -1
	s_mov_b32 s13, 0
	v_cmp_gt_u32_e32 vcc_lo, 0x50, v18
	s_branch .LBB254_194
.LBB254_192:                            ;   in Loop: Header=BB254_194 Depth=1
	s_wait_alu 0xfffe
	s_or_b32 exec_lo, exec_lo, s1
	;;#ASMSTART
	v_pk_mul_f16 v1, v27, v35;

	;;#ASMEND
	;;#ASMSTART
	v_pk_mul_f16 v5, v26, v34;

	;;#ASMEND
	;; [unrolled: 4-line block ×4, first 2 shown]
	;;#ASMSTART
	v_pk_add_f16 v1, v1, v5;

	;;#ASMEND
	;;#ASMSTART
	v_pk_add_f16 v1, v1, v6;

	;;#ASMEND
	;; [unrolled: 4-line block ×3, first 2 shown]
	v_and_b32_e32 v5, 0xffff, v1
	v_lshrrev_b32_e32 v6, 16, v1
	;;#ASMSTART
	v_cvt_f32_f16 v1, v5;
	;;#ASMEND
	;;#ASMSTART
	v_cvt_f32_f16 v5, v6;
	;;#ASMEND
	s_delay_alu instid0(VALU_DEP_2) | instskip(NEXT) | instid1(VALU_DEP_1)
	v_add_f32_e32 v1, v1, v5
	v_add_f32_e32 v15, v15, v1
.LBB254_193:                            ;   in Loop: Header=BB254_194 Depth=1
	s_wait_alu 0xfffe
	s_or_b32 exec_lo, exec_lo, s15
	v_dual_add_f32 v5, v10, v23 :: v_dual_add_nc_u32 v12, 4, v12
	v_dual_add_f32 v1, v7, v8 :: v_dual_add_nc_u32 v22, 0x80, v22
	v_add_co_u32 v3, s1, v3, 16
	s_delay_alu instid0(VALU_DEP_3) | instskip(SKIP_1) | instid1(VALU_DEP_4)
	v_cmp_le_i32_e64 s0, s17, v12
	v_add_nc_u32_e32 v21, 32, v21
	v_add_f32_e32 v16, v16, v1
	v_add_f32_e32 v17, v17, v5
	s_wait_alu 0xf1ff
	v_add_co_ci_u32_e64 v4, null, 0, v4, s1
	s_or_b32 s13, s0, s13
	s_delay_alu instid0(SALU_CYCLE_1)
	s_and_not1_b32 exec_lo, exec_lo, s13
	s_cbranch_execz .LBB254_393
.LBB254_194:                            ; =>This Inner Loop Header: Depth=1
	global_load_b32 v1, v[3:4], off
	ds_load_2addr_b64 v[7:10], v22 offset1:1
	ds_load_2addr_b64 v[29:32], v22 offset0:2 offset1:3
	s_mov_b32 s1, exec_lo
	s_wait_dscnt 0x1
	;;#ASMSTART
	v_cvt_f16_f32 v26, v7;

	;;#ASMEND
	;;#ASMSTART
	v_cvt_f16_f32 v23, v8;

	;;#ASMEND
	;; [unrolled: 4-line block ×4, first 2 shown]
	s_wait_dscnt 0x0
	;;#ASMSTART
	v_cvt_f16_f32 v29, v29;

	;;#ASMEND
	;;#ASMSTART
	v_cvt_f16_f32 v25, v30;

	;;#ASMEND
	;; [unrolled: 4-line block ×4, first 2 shown]
	v_mov_b32_e32 v32, 0
	s_wait_loadcnt 0x0
	s_wait_alu 0xfffe
	v_mad_co_i64_i32 v[5:6], null, v1, s7, s[2:3]
	s_delay_alu instid0(VALU_DEP_1) | instskip(SKIP_1) | instid1(VALU_DEP_2)
	v_add_co_u32 v7, s0, v5, v19
	s_wait_alu 0xf1ff
	v_add_co_ci_u32_e64 v8, null, 0, v6, s0
	global_load_b64 v[9:10], v[7:8], off
	global_load_b32 v31, v2, s[10:11]
	s_wait_loadcnt 0x1
	v_and_b32_e32 v1, 0xff, v9
	s_delay_alu instid0(VALU_DEP_1)
	v_cmpx_ne_u16_e32 0, v1
	s_cbranch_execz .LBB254_202
; %bb.195:                              ;   in Loop: Header=BB254_194 Depth=1
	v_mov_b32_e32 v32, 0x8000
	s_mov_b32 s15, exec_lo
	v_cmpx_ne_u16_e32 0x80, v1
	s_cbranch_execz .LBB254_201
; %bb.196:                              ;   in Loop: Header=BB254_194 Depth=1
	v_and_b32_e32 v33, 0x7f, v9
	v_mov_b32_e32 v32, 0x7c01
	s_mov_b32 s18, exec_lo
	s_delay_alu instid0(VALU_DEP_2)
	v_cmpx_ne_u32_e32 0x7f, v33
	s_cbranch_execz .LBB254_200
; %bb.197:                              ;   in Loop: Header=BB254_194 Depth=1
	v_and_b32_e32 v1, 7, v9
	v_lshrrev_b32_e32 v32, 3, v33
	s_mov_b32 s19, exec_lo
	v_cmpx_gt_u32_e32 8, v33
; %bb.198:                              ;   in Loop: Header=BB254_194 Depth=1
	s_delay_alu instid0(VALU_DEP_3) | instskip(NEXT) | instid1(VALU_DEP_1)
	v_clz_i32_u32_e32 v1, v1
	v_min_u32_e32 v1, 32, v1
	s_delay_alu instid0(VALU_DEP_1) | instskip(NEXT) | instid1(VALU_DEP_1)
	v_subrev_nc_u32_e32 v32, 28, v1
	v_lshlrev_b64_e32 v[33:34], v32, v[9:10]
	v_sub_nc_u32_e32 v32, 29, v1
	s_delay_alu instid0(VALU_DEP_2)
	v_and_b32_e32 v1, 7, v33
; %bb.199:                              ;   in Loop: Header=BB254_194 Depth=1
	s_or_b32 exec_lo, exec_lo, s19
	v_lshlrev_b32_e32 v33, 8, v9
	s_delay_alu instid0(VALU_DEP_3) | instskip(NEXT) | instid1(VALU_DEP_3)
	v_lshl_add_u32 v32, v32, 10, 0x2000
	v_lshlrev_b32_e32 v1, 7, v1
	s_delay_alu instid0(VALU_DEP_3) | instskip(NEXT) | instid1(VALU_DEP_3)
	v_and_b32_e32 v33, 0x8000, v33
	v_and_b32_e32 v32, 0xfc00, v32
	s_delay_alu instid0(VALU_DEP_1)
	v_or3_b32 v32, v33, v32, v1
.LBB254_200:                            ;   in Loop: Header=BB254_194 Depth=1
	s_or_b32 exec_lo, exec_lo, s18
.LBB254_201:                            ;   in Loop: Header=BB254_194 Depth=1
	s_wait_alu 0xfffe
	s_or_b32 exec_lo, exec_lo, s15
.LBB254_202:                            ;   in Loop: Header=BB254_194 Depth=1
	s_delay_alu instid0(SALU_CYCLE_1) | instskip(SKIP_3) | instid1(VALU_DEP_2)
	s_or_b32 exec_lo, exec_lo, s1
	v_lshrrev_b16 v1, 8, v9
	v_dual_mov_b32 v34, 0 :: v_dual_mov_b32 v33, 0
	s_mov_b32 s1, exec_lo
	v_cmpx_ne_u16_e32 0, v1
	s_cbranch_execz .LBB254_210
; %bb.203:                              ;   in Loop: Header=BB254_194 Depth=1
	v_bfrev_b32_e32 v33, 1
	s_mov_b32 s15, exec_lo
	v_cmpx_ne_u16_e32 0x80, v1
	s_cbranch_execz .LBB254_209
; %bb.204:                              ;   in Loop: Header=BB254_194 Depth=1
	v_and_b32_e32 v35, 0xffff, v1
	v_mov_b32_e32 v33, 0x7c010000
	s_mov_b32 s18, exec_lo
	s_delay_alu instid0(VALU_DEP_2) | instskip(NEXT) | instid1(VALU_DEP_1)
	v_and_b32_e32 v37, 0x7f, v35
	v_cmpx_ne_u32_e32 0x7f, v37
	s_cbranch_execz .LBB254_208
; %bb.205:                              ;   in Loop: Header=BB254_194 Depth=1
	v_and_b32_e32 v33, 7, v35
	v_lshrrev_b32_e32 v36, 3, v37
	s_mov_b32 s19, exec_lo
	v_cmpx_gt_u32_e32 8, v37
; %bb.206:                              ;   in Loop: Header=BB254_194 Depth=1
	s_delay_alu instid0(VALU_DEP_3) | instskip(NEXT) | instid1(VALU_DEP_1)
	v_clz_i32_u32_e32 v33, v33
	v_min_u32_e32 v33, 32, v33
	s_delay_alu instid0(VALU_DEP_1) | instskip(NEXT) | instid1(VALU_DEP_1)
	v_subrev_nc_u32_e32 v36, 28, v33
	v_lshlrev_b64_e32 v[37:38], v36, v[1:2]
	v_sub_nc_u32_e32 v36, 29, v33
	s_delay_alu instid0(VALU_DEP_2)
	v_and_b32_e32 v33, 7, v37
; %bb.207:                              ;   in Loop: Header=BB254_194 Depth=1
	s_or_b32 exec_lo, exec_lo, s19
	v_lshlrev_b32_e32 v1, 8, v35
	s_delay_alu instid0(VALU_DEP_3) | instskip(NEXT) | instid1(VALU_DEP_3)
	v_lshl_add_u32 v35, v36, 10, 0x2000
	v_lshlrev_b32_e32 v33, 23, v33
	s_delay_alu instid0(VALU_DEP_2) | instskip(NEXT) | instid1(VALU_DEP_1)
	v_and_or_b32 v1, 0x8000, v1, v35
	v_lshl_or_b32 v33, v1, 16, v33
.LBB254_208:                            ;   in Loop: Header=BB254_194 Depth=1
	s_or_b32 exec_lo, exec_lo, s18
.LBB254_209:                            ;   in Loop: Header=BB254_194 Depth=1
	s_wait_alu 0xfffe
	s_or_b32 exec_lo, exec_lo, s15
.LBB254_210:                            ;   in Loop: Header=BB254_194 Depth=1
	s_wait_alu 0xfffe
	s_or_b32 exec_lo, exec_lo, s1
	v_lshrrev_b32_e32 v1, 16, v9
	s_mov_b32 s1, exec_lo
	s_delay_alu instid0(VALU_DEP_1) | instskip(NEXT) | instid1(VALU_DEP_1)
	v_and_b32_e32 v35, 0xff, v1
	v_cmpx_ne_u16_e32 0, v35
	s_cbranch_execz .LBB254_218
; %bb.211:                              ;   in Loop: Header=BB254_194 Depth=1
	v_mov_b32_e32 v34, 0x8000
	s_mov_b32 s15, exec_lo
	v_cmpx_ne_u16_e32 0x80, v35
	s_cbranch_execz .LBB254_217
; %bb.212:                              ;   in Loop: Header=BB254_194 Depth=1
	v_bfe_u32 v36, v9, 16, 7
	v_mov_b32_e32 v34, 0x7c01
	s_mov_b32 s18, exec_lo
	s_delay_alu instid0(VALU_DEP_2)
	v_cmpx_ne_u32_e32 0x7f, v36
	s_cbranch_execz .LBB254_216
; %bb.213:                              ;   in Loop: Header=BB254_194 Depth=1
	v_and_b32_e32 v34, 7, v1
	v_lshrrev_b32_e32 v35, 3, v36
	s_mov_b32 s19, exec_lo
	v_cmpx_gt_u32_e32 8, v36
; %bb.214:                              ;   in Loop: Header=BB254_194 Depth=1
	s_delay_alu instid0(VALU_DEP_3) | instskip(NEXT) | instid1(VALU_DEP_1)
	v_clz_i32_u32_e32 v34, v34
	v_min_u32_e32 v36, 32, v34
	s_delay_alu instid0(VALU_DEP_1) | instskip(NEXT) | instid1(VALU_DEP_1)
	v_subrev_nc_u32_e32 v34, 28, v36
	v_lshlrev_b64_e32 v[34:35], v34, v[1:2]
	v_sub_nc_u32_e32 v35, 29, v36
	s_delay_alu instid0(VALU_DEP_2)
	v_and_b32_e32 v34, 7, v34
; %bb.215:                              ;   in Loop: Header=BB254_194 Depth=1
	s_or_b32 exec_lo, exec_lo, s19
	v_lshlrev_b32_e32 v1, 8, v1
	s_delay_alu instid0(VALU_DEP_3) | instskip(NEXT) | instid1(VALU_DEP_3)
	v_lshl_add_u32 v35, v35, 10, 0x2000
	v_lshlrev_b32_e32 v34, 7, v34
	s_delay_alu instid0(VALU_DEP_3) | instskip(NEXT) | instid1(VALU_DEP_3)
	v_and_b32_e32 v1, 0x8000, v1
	v_and_b32_e32 v35, 0xfc00, v35
	s_delay_alu instid0(VALU_DEP_1)
	v_or3_b32 v34, v1, v35, v34
.LBB254_216:                            ;   in Loop: Header=BB254_194 Depth=1
	s_or_b32 exec_lo, exec_lo, s18
.LBB254_217:                            ;   in Loop: Header=BB254_194 Depth=1
	s_wait_alu 0xfffe
	s_or_b32 exec_lo, exec_lo, s15
.LBB254_218:                            ;   in Loop: Header=BB254_194 Depth=1
	s_wait_alu 0xfffe
	s_or_b32 exec_lo, exec_lo, s1
	v_dual_mov_b32 v35, 0 :: v_dual_mov_b32 v36, 0
	s_mov_b32 s1, exec_lo
	v_cmpx_lt_u32_e32 0xffffff, v9
	s_cbranch_execz .LBB254_226
; %bb.219:                              ;   in Loop: Header=BB254_194 Depth=1
	v_lshrrev_b32_e32 v1, 24, v9
	v_bfrev_b32_e32 v36, 1
	s_mov_b32 s15, exec_lo
	s_delay_alu instid0(VALU_DEP_2)
	v_cmpx_ne_u32_e32 0x80, v1
	s_cbranch_execz .LBB254_225
; %bb.220:                              ;   in Loop: Header=BB254_194 Depth=1
	v_and_b32_e32 v38, 0x7f, v1
	v_mov_b32_e32 v36, 0x7c010000
	s_mov_b32 s18, exec_lo
	s_delay_alu instid0(VALU_DEP_2)
	v_cmpx_ne_u32_e32 0x7f, v38
	s_cbranch_execz .LBB254_224
; %bb.221:                              ;   in Loop: Header=BB254_194 Depth=1
	v_and_b32_e32 v36, 7, v1
	v_lshrrev_b32_e32 v37, 3, v38
	s_mov_b32 s19, exec_lo
	v_cmpx_gt_u32_e32 8, v38
; %bb.222:                              ;   in Loop: Header=BB254_194 Depth=1
	s_delay_alu instid0(VALU_DEP_3) | instskip(NEXT) | instid1(VALU_DEP_1)
	v_clz_i32_u32_e32 v36, v36
	v_min_u32_e32 v38, 32, v36
	s_delay_alu instid0(VALU_DEP_1) | instskip(NEXT) | instid1(VALU_DEP_1)
	v_subrev_nc_u32_e32 v36, 28, v38
	v_lshlrev_b64_e32 v[36:37], v36, v[1:2]
	v_sub_nc_u32_e32 v37, 29, v38
	s_delay_alu instid0(VALU_DEP_2)
	v_and_b32_e32 v36, 7, v36
; %bb.223:                              ;   in Loop: Header=BB254_194 Depth=1
	s_or_b32 exec_lo, exec_lo, s19
	v_lshlrev_b32_e32 v1, 8, v1
	s_delay_alu instid0(VALU_DEP_3) | instskip(NEXT) | instid1(VALU_DEP_3)
	v_lshl_add_u32 v37, v37, 10, 0x2000
	v_lshlrev_b32_e32 v36, 23, v36
	s_delay_alu instid0(VALU_DEP_2) | instskip(NEXT) | instid1(VALU_DEP_1)
	v_and_or_b32 v1, 0x8000, v1, v37
	v_lshl_or_b32 v36, v1, 16, v36
.LBB254_224:                            ;   in Loop: Header=BB254_194 Depth=1
	s_or_b32 exec_lo, exec_lo, s18
.LBB254_225:                            ;   in Loop: Header=BB254_194 Depth=1
	s_wait_alu 0xfffe
	s_or_b32 exec_lo, exec_lo, s15
.LBB254_226:                            ;   in Loop: Header=BB254_194 Depth=1
	s_wait_alu 0xfffe
	s_or_b32 exec_lo, exec_lo, s1
	v_and_b32_e32 v37, 0xff, v10
	v_mov_b32_e32 v1, v10
	s_mov_b32 s1, exec_lo
	s_delay_alu instid0(VALU_DEP_2)
	v_cmpx_ne_u16_e32 0, v37
	s_cbranch_execz .LBB254_234
; %bb.227:                              ;   in Loop: Header=BB254_194 Depth=1
	v_mov_b32_e32 v35, 0x8000
	s_mov_b32 s15, exec_lo
	v_cmpx_ne_u16_e32 0x80, v37
	s_cbranch_execz .LBB254_233
; %bb.228:                              ;   in Loop: Header=BB254_194 Depth=1
	v_and_b32_e32 v38, 0x7f, v10
	v_mov_b32_e32 v35, 0x7c01
	s_mov_b32 s18, exec_lo
	s_delay_alu instid0(VALU_DEP_2)
	v_cmpx_ne_u32_e32 0x7f, v38
	s_cbranch_execz .LBB254_232
; %bb.229:                              ;   in Loop: Header=BB254_194 Depth=1
	v_and_b32_e32 v35, 7, v10
	v_lshrrev_b32_e32 v37, 3, v38
	s_mov_b32 s19, exec_lo
	v_cmpx_gt_u32_e32 8, v38
; %bb.230:                              ;   in Loop: Header=BB254_194 Depth=1
	s_delay_alu instid0(VALU_DEP_3) | instskip(NEXT) | instid1(VALU_DEP_1)
	v_clz_i32_u32_e32 v35, v35
	v_min_u32_e32 v35, 32, v35
	s_delay_alu instid0(VALU_DEP_1) | instskip(NEXT) | instid1(VALU_DEP_1)
	v_subrev_nc_u32_e32 v37, 28, v35
	v_lshlrev_b64_e32 v[38:39], v37, v[1:2]
	v_sub_nc_u32_e32 v37, 29, v35
	s_delay_alu instid0(VALU_DEP_2)
	v_and_b32_e32 v35, 7, v38
; %bb.231:                              ;   in Loop: Header=BB254_194 Depth=1
	s_or_b32 exec_lo, exec_lo, s19
	v_lshlrev_b32_e32 v38, 8, v10
	s_delay_alu instid0(VALU_DEP_3) | instskip(NEXT) | instid1(VALU_DEP_3)
	v_lshl_add_u32 v37, v37, 10, 0x2000
	v_lshlrev_b32_e32 v35, 7, v35
	s_delay_alu instid0(VALU_DEP_3) | instskip(NEXT) | instid1(VALU_DEP_3)
	v_and_b32_e32 v38, 0x8000, v38
	v_and_b32_e32 v37, 0xfc00, v37
	s_delay_alu instid0(VALU_DEP_1)
	v_or3_b32 v35, v38, v37, v35
.LBB254_232:                            ;   in Loop: Header=BB254_194 Depth=1
	s_or_b32 exec_lo, exec_lo, s18
.LBB254_233:                            ;   in Loop: Header=BB254_194 Depth=1
	s_wait_alu 0xfffe
	s_or_b32 exec_lo, exec_lo, s15
.LBB254_234:                            ;   in Loop: Header=BB254_194 Depth=1
	s_wait_alu 0xfffe
	s_or_b32 exec_lo, exec_lo, s1
	v_lshrrev_b16 v1, 8, v1
	v_dual_mov_b32 v38, 0 :: v_dual_mov_b32 v37, 0
	s_mov_b32 s1, exec_lo
	s_delay_alu instid0(VALU_DEP_2)
	v_cmpx_ne_u16_e32 0, v1
	s_cbranch_execz .LBB254_242
; %bb.235:                              ;   in Loop: Header=BB254_194 Depth=1
	v_bfrev_b32_e32 v37, 1
	s_mov_b32 s15, exec_lo
	v_cmpx_ne_u16_e32 0x80, v1
	s_cbranch_execz .LBB254_241
; %bb.236:                              ;   in Loop: Header=BB254_194 Depth=1
	v_and_b32_e32 v39, 0xffff, v1
	v_mov_b32_e32 v37, 0x7c010000
	s_mov_b32 s18, exec_lo
	s_delay_alu instid0(VALU_DEP_2) | instskip(NEXT) | instid1(VALU_DEP_1)
	v_and_b32_e32 v41, 0x7f, v39
	v_cmpx_ne_u32_e32 0x7f, v41
	s_cbranch_execz .LBB254_240
; %bb.237:                              ;   in Loop: Header=BB254_194 Depth=1
	v_and_b32_e32 v37, 7, v39
	v_lshrrev_b32_e32 v40, 3, v41
	s_mov_b32 s19, exec_lo
	v_cmpx_gt_u32_e32 8, v41
; %bb.238:                              ;   in Loop: Header=BB254_194 Depth=1
	s_delay_alu instid0(VALU_DEP_3) | instskip(NEXT) | instid1(VALU_DEP_1)
	v_clz_i32_u32_e32 v37, v37
	v_min_u32_e32 v37, 32, v37
	s_delay_alu instid0(VALU_DEP_1) | instskip(NEXT) | instid1(VALU_DEP_1)
	v_subrev_nc_u32_e32 v40, 28, v37
	v_lshlrev_b64_e32 v[41:42], v40, v[1:2]
	v_sub_nc_u32_e32 v40, 29, v37
	s_delay_alu instid0(VALU_DEP_2)
	v_and_b32_e32 v37, 7, v41
; %bb.239:                              ;   in Loop: Header=BB254_194 Depth=1
	s_or_b32 exec_lo, exec_lo, s19
	v_lshlrev_b32_e32 v1, 8, v39
	s_delay_alu instid0(VALU_DEP_3) | instskip(NEXT) | instid1(VALU_DEP_3)
	v_lshl_add_u32 v39, v40, 10, 0x2000
	v_lshlrev_b32_e32 v37, 23, v37
	s_delay_alu instid0(VALU_DEP_2) | instskip(NEXT) | instid1(VALU_DEP_1)
	v_and_or_b32 v1, 0x8000, v1, v39
	v_lshl_or_b32 v37, v1, 16, v37
.LBB254_240:                            ;   in Loop: Header=BB254_194 Depth=1
	s_or_b32 exec_lo, exec_lo, s18
.LBB254_241:                            ;   in Loop: Header=BB254_194 Depth=1
	s_wait_alu 0xfffe
	s_or_b32 exec_lo, exec_lo, s15
.LBB254_242:                            ;   in Loop: Header=BB254_194 Depth=1
	s_wait_alu 0xfffe
	s_or_b32 exec_lo, exec_lo, s1
	v_lshrrev_b32_e32 v1, 16, v10
	s_mov_b32 s1, exec_lo
	s_delay_alu instid0(VALU_DEP_1) | instskip(NEXT) | instid1(VALU_DEP_1)
	v_and_b32_e32 v39, 0xff, v1
	v_cmpx_ne_u16_e32 0, v39
	s_cbranch_execz .LBB254_250
; %bb.243:                              ;   in Loop: Header=BB254_194 Depth=1
	v_mov_b32_e32 v38, 0x8000
	s_mov_b32 s15, exec_lo
	v_cmpx_ne_u16_e32 0x80, v39
	s_cbranch_execz .LBB254_249
; %bb.244:                              ;   in Loop: Header=BB254_194 Depth=1
	v_bfe_u32 v40, v10, 16, 7
	v_mov_b32_e32 v38, 0x7c01
	s_mov_b32 s18, exec_lo
	s_delay_alu instid0(VALU_DEP_2)
	v_cmpx_ne_u32_e32 0x7f, v40
	s_cbranch_execz .LBB254_248
; %bb.245:                              ;   in Loop: Header=BB254_194 Depth=1
	v_and_b32_e32 v38, 7, v1
	v_lshrrev_b32_e32 v39, 3, v40
	s_mov_b32 s19, exec_lo
	v_cmpx_gt_u32_e32 8, v40
; %bb.246:                              ;   in Loop: Header=BB254_194 Depth=1
	s_delay_alu instid0(VALU_DEP_3) | instskip(NEXT) | instid1(VALU_DEP_1)
	v_clz_i32_u32_e32 v38, v38
	v_min_u32_e32 v40, 32, v38
	s_delay_alu instid0(VALU_DEP_1) | instskip(NEXT) | instid1(VALU_DEP_1)
	v_subrev_nc_u32_e32 v38, 28, v40
	v_lshlrev_b64_e32 v[38:39], v38, v[1:2]
	v_sub_nc_u32_e32 v39, 29, v40
	s_delay_alu instid0(VALU_DEP_2)
	v_and_b32_e32 v38, 7, v38
; %bb.247:                              ;   in Loop: Header=BB254_194 Depth=1
	s_or_b32 exec_lo, exec_lo, s19
	v_lshlrev_b32_e32 v1, 8, v1
	s_delay_alu instid0(VALU_DEP_3) | instskip(NEXT) | instid1(VALU_DEP_3)
	v_lshl_add_u32 v39, v39, 10, 0x2000
	v_lshlrev_b32_e32 v38, 7, v38
	s_delay_alu instid0(VALU_DEP_3) | instskip(NEXT) | instid1(VALU_DEP_3)
	v_and_b32_e32 v1, 0x8000, v1
	v_and_b32_e32 v39, 0xfc00, v39
	s_delay_alu instid0(VALU_DEP_1)
	v_or3_b32 v38, v1, v39, v38
.LBB254_248:                            ;   in Loop: Header=BB254_194 Depth=1
	s_or_b32 exec_lo, exec_lo, s18
.LBB254_249:                            ;   in Loop: Header=BB254_194 Depth=1
	s_wait_alu 0xfffe
	s_or_b32 exec_lo, exec_lo, s15
.LBB254_250:                            ;   in Loop: Header=BB254_194 Depth=1
	s_wait_alu 0xfffe
	s_or_b32 exec_lo, exec_lo, s1
	v_mov_b32_e32 v39, 0
	s_mov_b32 s1, exec_lo
	v_cmpx_lt_u64_e64 s[4:5], v[9:10]
	s_cbranch_execz .LBB254_258
; %bb.251:                              ;   in Loop: Header=BB254_194 Depth=1
	v_lshrrev_b32_e32 v1, 24, v10
	v_bfrev_b32_e32 v39, 1
	s_mov_b32 s15, exec_lo
	s_delay_alu instid0(VALU_DEP_2)
	v_cmpx_ne_u32_e32 0x80, v1
	s_cbranch_execz .LBB254_257
; %bb.252:                              ;   in Loop: Header=BB254_194 Depth=1
	v_and_b32_e32 v40, 0x7f, v1
	v_mov_b32_e32 v39, 0x7c010000
	s_mov_b32 s18, exec_lo
	s_delay_alu instid0(VALU_DEP_2)
	v_cmpx_ne_u32_e32 0x7f, v40
	s_cbranch_execz .LBB254_256
; %bb.253:                              ;   in Loop: Header=BB254_194 Depth=1
	v_and_b32_e32 v9, 7, v1
	v_lshrrev_b32_e32 v10, 3, v40
	s_mov_b32 s19, exec_lo
	v_cmpx_gt_u32_e32 8, v40
; %bb.254:                              ;   in Loop: Header=BB254_194 Depth=1
	s_delay_alu instid0(VALU_DEP_3) | instskip(NEXT) | instid1(VALU_DEP_1)
	v_clz_i32_u32_e32 v9, v9
	v_min_u32_e32 v39, 32, v9
	s_delay_alu instid0(VALU_DEP_1) | instskip(NEXT) | instid1(VALU_DEP_1)
	v_subrev_nc_u32_e32 v9, 28, v39
	v_lshlrev_b64_e32 v[9:10], v9, v[1:2]
	v_sub_nc_u32_e32 v10, 29, v39
	s_delay_alu instid0(VALU_DEP_2)
	v_and_b32_e32 v9, 7, v9
; %bb.255:                              ;   in Loop: Header=BB254_194 Depth=1
	s_or_b32 exec_lo, exec_lo, s19
	v_lshlrev_b32_e32 v1, 8, v1
	s_delay_alu instid0(VALU_DEP_3) | instskip(NEXT) | instid1(VALU_DEP_3)
	v_lshl_add_u32 v10, v10, 10, 0x2000
	v_lshlrev_b32_e32 v9, 23, v9
	s_delay_alu instid0(VALU_DEP_2) | instskip(NEXT) | instid1(VALU_DEP_1)
	v_and_or_b32 v1, 0x8000, v1, v10
	v_lshl_or_b32 v39, v1, 16, v9
.LBB254_256:                            ;   in Loop: Header=BB254_194 Depth=1
	s_or_b32 exec_lo, exec_lo, s18
.LBB254_257:                            ;   in Loop: Header=BB254_194 Depth=1
	s_wait_alu 0xfffe
	s_or_b32 exec_lo, exec_lo, s15
.LBB254_258:                            ;   in Loop: Header=BB254_194 Depth=1
	s_wait_alu 0xfffe
	s_or_b32 exec_lo, exec_lo, s1
	v_or_b32_e32 v1, v36, v34
	s_wait_loadcnt 0x0
	v_fma_mixlo_f16 v10, v31, v36, 0 op_sel:[0,1,0] op_sel_hi:[0,1,0]
	v_or_b32_e32 v32, v33, v32
	v_fma_mixlo_f16 v33, v31, v33, 0 op_sel:[0,1,0] op_sel_hi:[0,1,0]
	v_or_b32_e32 v36, v37, v35
	v_or_b32_e32 v38, v39, v38
	v_fma_mixlo_f16 v34, v31, v1, 0 op_sel_hi:[0,1,0]
	v_lshlrev_b32_e32 v1, 16, v10
	v_lshlrev_b32_e32 v35, 16, v33
	v_fma_mixlo_f16 v10, v31, v32, 0 op_sel_hi:[0,1,0]
	v_fma_mixlo_f16 v32, v31, v37, 0 op_sel:[0,1,0] op_sel_hi:[0,1,0]
	v_fma_mixlo_f16 v33, v31, v36, 0 op_sel_hi:[0,1,0]
	v_fma_mixlo_f16 v36, v31, v39, 0 op_sel:[0,1,0] op_sel_hi:[0,1,0]
	v_fma_mixlo_f16 v37, v31, v38, 0 op_sel_hi:[0,1,0]
	v_and_b32_e32 v34, 0xffff, v34
	v_and_b32_e32 v40, 0xffff, v10
	v_lshlrev_b32_e32 v31, 16, v32
	v_and_b32_e32 v33, 0xffff, v33
	v_lshlrev_b32_e32 v10, 16, v36
	v_and_b32_e32 v32, 0xffff, v37
	v_add_nc_u32_e32 v9, -7, v21
	v_cmp_eq_u32_e64 s0, s30, v12
	v_or_b32_e32 v36, v1, v34
	v_or_b32_e32 v37, v35, v40
	v_or_b32_e32 v38, v31, v33
	v_or_b32_e32 v39, v10, v32
	s_and_saveexec_b32 s15, s0
	s_cbranch_execz .LBB254_260
; %bb.259:                              ;   in Loop: Header=BB254_194 Depth=1
	v_add_nc_u32_e32 v36, -6, v21
	v_cmp_gt_i32_e64 s1, s27, v9
	v_add_nc_u32_e32 v37, -5, v21
	v_add_nc_u32_e32 v39, -2, v21
	s_wait_alu 0xf1ff
	s_delay_alu instid0(VALU_DEP_3) | instskip(SKIP_3) | instid1(VALU_DEP_2)
	v_cndmask_b32_e64 v38, 0, v40, s1
	v_cmp_gt_i32_e64 s1, s27, v36
	v_add_nc_u32_e32 v36, -4, v21
	s_wait_alu 0xf1ff
	v_cndmask_b32_e64 v35, 0, v35, s1
	v_cmp_gt_i32_e64 s1, s27, v37
	v_add_nc_u32_e32 v37, -3, v21
	s_wait_alu 0xf1ff
	s_delay_alu instid0(VALU_DEP_2) | instskip(SKIP_3) | instid1(VALU_DEP_2)
	v_cndmask_b32_e64 v34, 0, v34, s1
	v_cmp_gt_i32_e64 s1, s27, v36
	v_add_nc_u32_e32 v36, -1, v21
	s_wait_alu 0xf1ff
	v_cndmask_b32_e64 v1, 0, v1, s1
	v_cmp_gt_i32_e64 s1, s27, v37
	v_or_b32_e32 v37, v35, v38
	s_wait_alu 0xf1ff
	s_delay_alu instid0(VALU_DEP_2) | instskip(SKIP_2) | instid1(VALU_DEP_1)
	v_cndmask_b32_e64 v33, 0, v33, s1
	v_cmp_gt_i32_e64 s1, s27, v39
	s_wait_alu 0xf1ff
	v_cndmask_b32_e64 v31, 0, v31, s1
	v_cmp_gt_i32_e64 s1, s27, v36
	v_or_b32_e32 v36, v1, v34
	s_delay_alu instid0(VALU_DEP_3) | instskip(SKIP_1) | instid1(VALU_DEP_3)
	v_or_b32_e32 v38, v31, v33
	s_wait_alu 0xf1ff
	v_cndmask_b32_e64 v32, 0, v32, s1
	v_cmp_gt_i32_e64 s1, s27, v21
	s_wait_alu 0xf1ff
	s_delay_alu instid0(VALU_DEP_1) | instskip(NEXT) | instid1(VALU_DEP_1)
	v_cndmask_b32_e64 v10, 0, v10, s1
	v_or_b32_e32 v39, v10, v32
.LBB254_260:                            ;   in Loop: Header=BB254_194 Depth=1
	s_wait_alu 0xfffe
	s_or_b32 exec_lo, exec_lo, s15
	v_and_b32_e32 v1, 0xffff, v26
	v_and_b32_e32 v10, 0xffff, v27
	;; [unrolled: 1-line block ×4, first 2 shown]
	s_mov_b32 s15, exec_lo
	s_delay_alu instid0(VALU_DEP_2)
	v_lshl_or_b32 v25, v25, 16, v29
	v_mov_b32_e32 v29, 0
	v_lshl_or_b32 v26, v24, 16, v10
	v_lshl_or_b32 v24, v28, 16, v30
	v_mov_b32_e32 v30, 0
	v_lshl_or_b32 v27, v23, 16, v1
	;;#ASMSTART
	v_pk_mul_f16 v1, v27, v37;

	;;#ASMEND
	;;#ASMSTART
	v_pk_mul_f16 v10, v26, v36;

	;;#ASMEND
	;; [unrolled: 4-line block ×4, first 2 shown]
	;;#ASMSTART
	v_pk_add_f16 v1, v1, v10;

	;;#ASMEND
	;;#ASMSTART
	v_pk_add_f16 v1, v1, v23;

	;;#ASMEND
	;;#ASMSTART
	v_pk_add_f16 v1, v1, v28;

	;;#ASMEND
	v_and_b32_e32 v10, 0xffff, v1
	v_lshrrev_b32_e32 v1, 16, v1
	;;#ASMSTART
	v_cvt_f32_f16 v10, v10;
	;;#ASMEND
	;;#ASMSTART
	v_cvt_f32_f16 v23, v1;
	;;#ASMEND
	global_load_b64 v[7:8], v[7:8], off offset:256
	global_load_b32 v28, v29, s[10:11]
	s_wait_loadcnt 0x1
	v_and_b32_e32 v1, 0xff, v7
	s_delay_alu instid0(VALU_DEP_1)
	v_cmpx_ne_u16_e32 0, v1
	s_cbranch_execz .LBB254_268
; %bb.261:                              ;   in Loop: Header=BB254_194 Depth=1
	v_mov_b32_e32 v30, 0x8000
	s_mov_b32 s18, exec_lo
	v_cmpx_ne_u16_e32 0x80, v1
	s_cbranch_execz .LBB254_267
; %bb.262:                              ;   in Loop: Header=BB254_194 Depth=1
	v_and_b32_e32 v31, 0x7f, v7
	v_mov_b32_e32 v30, 0x7c01
	s_mov_b32 s19, exec_lo
	s_delay_alu instid0(VALU_DEP_2)
	v_cmpx_ne_u32_e32 0x7f, v31
	s_cbranch_execz .LBB254_266
; %bb.263:                              ;   in Loop: Header=BB254_194 Depth=1
	v_and_b32_e32 v1, 7, v7
	v_lshrrev_b32_e32 v30, 3, v31
	s_mov_b32 s20, exec_lo
	v_cmpx_gt_u32_e32 8, v31
; %bb.264:                              ;   in Loop: Header=BB254_194 Depth=1
	s_delay_alu instid0(VALU_DEP_3) | instskip(NEXT) | instid1(VALU_DEP_1)
	v_clz_i32_u32_e32 v1, v1
	v_min_u32_e32 v1, 32, v1
	s_delay_alu instid0(VALU_DEP_1) | instskip(NEXT) | instid1(VALU_DEP_1)
	v_subrev_nc_u32_e32 v30, 28, v1
	v_lshlrev_b64_e32 v[31:32], v30, v[7:8]
	v_sub_nc_u32_e32 v30, 29, v1
	s_delay_alu instid0(VALU_DEP_2)
	v_and_b32_e32 v1, 7, v31
; %bb.265:                              ;   in Loop: Header=BB254_194 Depth=1
	s_or_b32 exec_lo, exec_lo, s20
	v_lshlrev_b32_e32 v31, 8, v7
	s_delay_alu instid0(VALU_DEP_3) | instskip(NEXT) | instid1(VALU_DEP_3)
	v_lshl_add_u32 v30, v30, 10, 0x2000
	v_lshlrev_b32_e32 v1, 7, v1
	s_delay_alu instid0(VALU_DEP_3) | instskip(NEXT) | instid1(VALU_DEP_3)
	v_and_b32_e32 v31, 0x8000, v31
	v_and_b32_e32 v30, 0xfc00, v30
	s_delay_alu instid0(VALU_DEP_1)
	v_or3_b32 v30, v31, v30, v1
.LBB254_266:                            ;   in Loop: Header=BB254_194 Depth=1
	s_or_b32 exec_lo, exec_lo, s19
.LBB254_267:                            ;   in Loop: Header=BB254_194 Depth=1
	s_delay_alu instid0(SALU_CYCLE_1)
	s_or_b32 exec_lo, exec_lo, s18
.LBB254_268:                            ;   in Loop: Header=BB254_194 Depth=1
	s_wait_alu 0xfffe
	s_or_b32 exec_lo, exec_lo, s15
	v_lshrrev_b16 v1, 8, v7
	s_mov_b32 s15, exec_lo
	s_delay_alu instid0(VALU_DEP_1)
	v_cmpx_ne_u16_e32 0, v1
	s_cbranch_execz .LBB254_276
; %bb.269:                              ;   in Loop: Header=BB254_194 Depth=1
	v_bfrev_b32_e32 v29, 1
	s_mov_b32 s18, exec_lo
	v_cmpx_ne_u16_e32 0x80, v1
	s_cbranch_execz .LBB254_275
; %bb.270:                              ;   in Loop: Header=BB254_194 Depth=1
	v_and_b32_e32 v31, 0xffff, v1
	v_mov_b32_e32 v29, 0x7c010000
	s_mov_b32 s19, exec_lo
	s_delay_alu instid0(VALU_DEP_2) | instskip(NEXT) | instid1(VALU_DEP_1)
	v_and_b32_e32 v33, 0x7f, v31
	v_cmpx_ne_u32_e32 0x7f, v33
	s_cbranch_execz .LBB254_274
; %bb.271:                              ;   in Loop: Header=BB254_194 Depth=1
	v_and_b32_e32 v29, 7, v31
	v_lshrrev_b32_e32 v32, 3, v33
	s_mov_b32 s20, exec_lo
	v_cmpx_gt_u32_e32 8, v33
; %bb.272:                              ;   in Loop: Header=BB254_194 Depth=1
	s_delay_alu instid0(VALU_DEP_3) | instskip(NEXT) | instid1(VALU_DEP_1)
	v_clz_i32_u32_e32 v29, v29
	v_min_u32_e32 v29, 32, v29
	s_delay_alu instid0(VALU_DEP_1) | instskip(NEXT) | instid1(VALU_DEP_1)
	v_subrev_nc_u32_e32 v32, 28, v29
	v_lshlrev_b64_e32 v[33:34], v32, v[1:2]
	v_sub_nc_u32_e32 v32, 29, v29
	s_delay_alu instid0(VALU_DEP_2)
	v_and_b32_e32 v29, 7, v33
; %bb.273:                              ;   in Loop: Header=BB254_194 Depth=1
	s_or_b32 exec_lo, exec_lo, s20
	v_lshlrev_b32_e32 v1, 8, v31
	s_delay_alu instid0(VALU_DEP_3) | instskip(NEXT) | instid1(VALU_DEP_3)
	v_lshl_add_u32 v31, v32, 10, 0x2000
	v_lshlrev_b32_e32 v29, 23, v29
	s_delay_alu instid0(VALU_DEP_2) | instskip(NEXT) | instid1(VALU_DEP_1)
	v_and_or_b32 v1, 0x8000, v1, v31
	v_lshl_or_b32 v29, v1, 16, v29
.LBB254_274:                            ;   in Loop: Header=BB254_194 Depth=1
	s_or_b32 exec_lo, exec_lo, s19
.LBB254_275:                            ;   in Loop: Header=BB254_194 Depth=1
	s_delay_alu instid0(SALU_CYCLE_1)
	s_or_b32 exec_lo, exec_lo, s18
.LBB254_276:                            ;   in Loop: Header=BB254_194 Depth=1
	s_wait_alu 0xfffe
	s_or_b32 exec_lo, exec_lo, s15
	v_lshrrev_b32_e32 v1, 16, v7
	v_mov_b32_e32 v31, 0
	s_mov_b32 s15, exec_lo
	s_delay_alu instid0(VALU_DEP_2) | instskip(NEXT) | instid1(VALU_DEP_1)
	v_dual_mov_b32 v32, 0 :: v_dual_and_b32 v33, 0xff, v1
	v_cmpx_ne_u16_e32 0, v33
	s_cbranch_execz .LBB254_284
; %bb.277:                              ;   in Loop: Header=BB254_194 Depth=1
	v_mov_b32_e32 v32, 0x8000
	s_mov_b32 s18, exec_lo
	v_cmpx_ne_u16_e32 0x80, v33
	s_cbranch_execz .LBB254_283
; %bb.278:                              ;   in Loop: Header=BB254_194 Depth=1
	v_bfe_u32 v34, v7, 16, 7
	v_mov_b32_e32 v32, 0x7c01
	s_mov_b32 s19, exec_lo
	s_delay_alu instid0(VALU_DEP_2)
	v_cmpx_ne_u32_e32 0x7f, v34
	s_cbranch_execz .LBB254_282
; %bb.279:                              ;   in Loop: Header=BB254_194 Depth=1
	v_and_b32_e32 v32, 7, v1
	v_lshrrev_b32_e32 v33, 3, v34
	s_mov_b32 s20, exec_lo
	v_cmpx_gt_u32_e32 8, v34
; %bb.280:                              ;   in Loop: Header=BB254_194 Depth=1
	s_delay_alu instid0(VALU_DEP_3) | instskip(NEXT) | instid1(VALU_DEP_1)
	v_clz_i32_u32_e32 v32, v32
	v_min_u32_e32 v34, 32, v32
	s_delay_alu instid0(VALU_DEP_1) | instskip(NEXT) | instid1(VALU_DEP_1)
	v_subrev_nc_u32_e32 v32, 28, v34
	v_lshlrev_b64_e32 v[32:33], v32, v[1:2]
	v_sub_nc_u32_e32 v33, 29, v34
	s_delay_alu instid0(VALU_DEP_2)
	v_and_b32_e32 v32, 7, v32
; %bb.281:                              ;   in Loop: Header=BB254_194 Depth=1
	s_or_b32 exec_lo, exec_lo, s20
	v_lshlrev_b32_e32 v1, 8, v1
	s_delay_alu instid0(VALU_DEP_3) | instskip(NEXT) | instid1(VALU_DEP_3)
	v_lshl_add_u32 v33, v33, 10, 0x2000
	v_lshlrev_b32_e32 v32, 7, v32
	s_delay_alu instid0(VALU_DEP_3) | instskip(NEXT) | instid1(VALU_DEP_3)
	v_and_b32_e32 v1, 0x8000, v1
	v_and_b32_e32 v33, 0xfc00, v33
	s_delay_alu instid0(VALU_DEP_1)
	v_or3_b32 v32, v1, v33, v32
.LBB254_282:                            ;   in Loop: Header=BB254_194 Depth=1
	s_or_b32 exec_lo, exec_lo, s19
.LBB254_283:                            ;   in Loop: Header=BB254_194 Depth=1
	s_delay_alu instid0(SALU_CYCLE_1)
	s_or_b32 exec_lo, exec_lo, s18
.LBB254_284:                            ;   in Loop: Header=BB254_194 Depth=1
	s_wait_alu 0xfffe
	s_or_b32 exec_lo, exec_lo, s15
	s_delay_alu instid0(SALU_CYCLE_1)
	s_mov_b32 s15, exec_lo
	v_cmpx_lt_u32_e32 0xffffff, v7
	s_cbranch_execz .LBB254_292
; %bb.285:                              ;   in Loop: Header=BB254_194 Depth=1
	v_lshrrev_b32_e32 v1, 24, v7
	v_bfrev_b32_e32 v31, 1
	s_mov_b32 s18, exec_lo
	s_delay_alu instid0(VALU_DEP_2)
	v_cmpx_ne_u32_e32 0x80, v1
	s_cbranch_execz .LBB254_291
; %bb.286:                              ;   in Loop: Header=BB254_194 Depth=1
	v_and_b32_e32 v34, 0x7f, v1
	v_mov_b32_e32 v31, 0x7c010000
	s_mov_b32 s19, exec_lo
	s_delay_alu instid0(VALU_DEP_2)
	v_cmpx_ne_u32_e32 0x7f, v34
	s_cbranch_execz .LBB254_290
; %bb.287:                              ;   in Loop: Header=BB254_194 Depth=1
	v_and_b32_e32 v31, 7, v1
	v_lshrrev_b32_e32 v33, 3, v34
	s_mov_b32 s20, exec_lo
	v_cmpx_gt_u32_e32 8, v34
; %bb.288:                              ;   in Loop: Header=BB254_194 Depth=1
	s_delay_alu instid0(VALU_DEP_3) | instskip(NEXT) | instid1(VALU_DEP_1)
	v_clz_i32_u32_e32 v31, v31
	v_min_u32_e32 v31, 32, v31
	s_delay_alu instid0(VALU_DEP_1) | instskip(NEXT) | instid1(VALU_DEP_1)
	v_subrev_nc_u32_e32 v33, 28, v31
	v_lshlrev_b64_e32 v[34:35], v33, v[1:2]
	v_sub_nc_u32_e32 v33, 29, v31
	s_delay_alu instid0(VALU_DEP_2)
	v_and_b32_e32 v31, 7, v34
; %bb.289:                              ;   in Loop: Header=BB254_194 Depth=1
	s_or_b32 exec_lo, exec_lo, s20
	v_lshlrev_b32_e32 v1, 8, v1
	s_delay_alu instid0(VALU_DEP_3) | instskip(NEXT) | instid1(VALU_DEP_3)
	v_lshl_add_u32 v33, v33, 10, 0x2000
	v_lshlrev_b32_e32 v31, 23, v31
	s_delay_alu instid0(VALU_DEP_2) | instskip(NEXT) | instid1(VALU_DEP_1)
	v_and_or_b32 v1, 0x8000, v1, v33
	v_lshl_or_b32 v31, v1, 16, v31
.LBB254_290:                            ;   in Loop: Header=BB254_194 Depth=1
	s_or_b32 exec_lo, exec_lo, s19
.LBB254_291:                            ;   in Loop: Header=BB254_194 Depth=1
	s_delay_alu instid0(SALU_CYCLE_1)
	s_or_b32 exec_lo, exec_lo, s18
.LBB254_292:                            ;   in Loop: Header=BB254_194 Depth=1
	s_wait_alu 0xfffe
	s_or_b32 exec_lo, exec_lo, s15
	v_dual_mov_b32 v34, 0 :: v_dual_and_b32 v35, 0xff, v8
	v_mov_b32_e32 v1, v8
	v_mov_b32_e32 v33, 0
	s_mov_b32 s15, exec_lo
	s_delay_alu instid0(VALU_DEP_3)
	v_cmpx_ne_u16_e32 0, v35
	s_cbranch_execz .LBB254_300
; %bb.293:                              ;   in Loop: Header=BB254_194 Depth=1
	v_mov_b32_e32 v34, 0x8000
	s_mov_b32 s18, exec_lo
	v_cmpx_ne_u16_e32 0x80, v35
	s_cbranch_execz .LBB254_299
; %bb.294:                              ;   in Loop: Header=BB254_194 Depth=1
	v_and_b32_e32 v36, 0x7f, v8
	v_mov_b32_e32 v34, 0x7c01
	s_mov_b32 s19, exec_lo
	s_delay_alu instid0(VALU_DEP_2)
	v_cmpx_ne_u32_e32 0x7f, v36
	s_cbranch_execz .LBB254_298
; %bb.295:                              ;   in Loop: Header=BB254_194 Depth=1
	v_and_b32_e32 v34, 7, v8
	v_lshrrev_b32_e32 v35, 3, v36
	s_mov_b32 s20, exec_lo
	v_cmpx_gt_u32_e32 8, v36
; %bb.296:                              ;   in Loop: Header=BB254_194 Depth=1
	s_delay_alu instid0(VALU_DEP_3) | instskip(NEXT) | instid1(VALU_DEP_1)
	v_clz_i32_u32_e32 v34, v34
	v_min_u32_e32 v36, 32, v34
	s_delay_alu instid0(VALU_DEP_1) | instskip(NEXT) | instid1(VALU_DEP_1)
	v_subrev_nc_u32_e32 v34, 28, v36
	v_lshlrev_b64_e32 v[34:35], v34, v[1:2]
	v_sub_nc_u32_e32 v35, 29, v36
	s_delay_alu instid0(VALU_DEP_2)
	v_and_b32_e32 v34, 7, v34
; %bb.297:                              ;   in Loop: Header=BB254_194 Depth=1
	s_or_b32 exec_lo, exec_lo, s20
	v_lshlrev_b32_e32 v36, 8, v8
	s_delay_alu instid0(VALU_DEP_3) | instskip(NEXT) | instid1(VALU_DEP_3)
	v_lshl_add_u32 v35, v35, 10, 0x2000
	v_lshlrev_b32_e32 v34, 7, v34
	s_delay_alu instid0(VALU_DEP_3) | instskip(NEXT) | instid1(VALU_DEP_3)
	v_and_b32_e32 v36, 0x8000, v36
	v_and_b32_e32 v35, 0xfc00, v35
	s_delay_alu instid0(VALU_DEP_1)
	v_or3_b32 v34, v36, v35, v34
.LBB254_298:                            ;   in Loop: Header=BB254_194 Depth=1
	s_or_b32 exec_lo, exec_lo, s19
.LBB254_299:                            ;   in Loop: Header=BB254_194 Depth=1
	s_delay_alu instid0(SALU_CYCLE_1)
	s_or_b32 exec_lo, exec_lo, s18
.LBB254_300:                            ;   in Loop: Header=BB254_194 Depth=1
	s_wait_alu 0xfffe
	s_or_b32 exec_lo, exec_lo, s15
	v_lshrrev_b16 v1, 8, v1
	v_mov_b32_e32 v35, 0
	s_mov_b32 s15, exec_lo
	s_delay_alu instid0(VALU_DEP_2)
	v_cmpx_ne_u16_e32 0, v1
	s_cbranch_execz .LBB254_308
; %bb.301:                              ;   in Loop: Header=BB254_194 Depth=1
	v_bfrev_b32_e32 v35, 1
	s_mov_b32 s18, exec_lo
	v_cmpx_ne_u16_e32 0x80, v1
	s_cbranch_execz .LBB254_307
; %bb.302:                              ;   in Loop: Header=BB254_194 Depth=1
	v_and_b32_e32 v36, 0xffff, v1
	v_mov_b32_e32 v35, 0x7c010000
	s_mov_b32 s19, exec_lo
	s_delay_alu instid0(VALU_DEP_2) | instskip(NEXT) | instid1(VALU_DEP_1)
	v_and_b32_e32 v38, 0x7f, v36
	v_cmpx_ne_u32_e32 0x7f, v38
	s_cbranch_execz .LBB254_306
; %bb.303:                              ;   in Loop: Header=BB254_194 Depth=1
	v_and_b32_e32 v35, 7, v36
	v_lshrrev_b32_e32 v37, 3, v38
	s_mov_b32 s20, exec_lo
	v_cmpx_gt_u32_e32 8, v38
; %bb.304:                              ;   in Loop: Header=BB254_194 Depth=1
	s_delay_alu instid0(VALU_DEP_3) | instskip(NEXT) | instid1(VALU_DEP_1)
	v_clz_i32_u32_e32 v35, v35
	v_min_u32_e32 v35, 32, v35
	s_delay_alu instid0(VALU_DEP_1) | instskip(NEXT) | instid1(VALU_DEP_1)
	v_subrev_nc_u32_e32 v37, 28, v35
	v_lshlrev_b64_e32 v[38:39], v37, v[1:2]
	v_sub_nc_u32_e32 v37, 29, v35
	s_delay_alu instid0(VALU_DEP_2)
	v_and_b32_e32 v35, 7, v38
; %bb.305:                              ;   in Loop: Header=BB254_194 Depth=1
	s_or_b32 exec_lo, exec_lo, s20
	v_lshlrev_b32_e32 v1, 8, v36
	s_delay_alu instid0(VALU_DEP_3) | instskip(NEXT) | instid1(VALU_DEP_3)
	v_lshl_add_u32 v36, v37, 10, 0x2000
	v_lshlrev_b32_e32 v35, 23, v35
	s_delay_alu instid0(VALU_DEP_2) | instskip(NEXT) | instid1(VALU_DEP_1)
	v_and_or_b32 v1, 0x8000, v1, v36
	v_lshl_or_b32 v35, v1, 16, v35
.LBB254_306:                            ;   in Loop: Header=BB254_194 Depth=1
	s_or_b32 exec_lo, exec_lo, s19
.LBB254_307:                            ;   in Loop: Header=BB254_194 Depth=1
	s_delay_alu instid0(SALU_CYCLE_1)
	s_or_b32 exec_lo, exec_lo, s18
.LBB254_308:                            ;   in Loop: Header=BB254_194 Depth=1
	s_wait_alu 0xfffe
	s_or_b32 exec_lo, exec_lo, s15
	v_lshrrev_b32_e32 v1, 16, v8
	s_mov_b32 s15, exec_lo
	s_delay_alu instid0(VALU_DEP_1) | instskip(NEXT) | instid1(VALU_DEP_1)
	v_and_b32_e32 v36, 0xff, v1
	v_cmpx_ne_u16_e32 0, v36
	s_cbranch_execz .LBB254_316
; %bb.309:                              ;   in Loop: Header=BB254_194 Depth=1
	v_mov_b32_e32 v33, 0x8000
	s_mov_b32 s18, exec_lo
	v_cmpx_ne_u16_e32 0x80, v36
	s_cbranch_execz .LBB254_315
; %bb.310:                              ;   in Loop: Header=BB254_194 Depth=1
	v_bfe_u32 v37, v8, 16, 7
	v_mov_b32_e32 v33, 0x7c01
	s_mov_b32 s19, exec_lo
	s_delay_alu instid0(VALU_DEP_2)
	v_cmpx_ne_u32_e32 0x7f, v37
	s_cbranch_execz .LBB254_314
; %bb.311:                              ;   in Loop: Header=BB254_194 Depth=1
	v_and_b32_e32 v33, 7, v1
	v_lshrrev_b32_e32 v36, 3, v37
	s_mov_b32 s20, exec_lo
	v_cmpx_gt_u32_e32 8, v37
; %bb.312:                              ;   in Loop: Header=BB254_194 Depth=1
	s_delay_alu instid0(VALU_DEP_3) | instskip(NEXT) | instid1(VALU_DEP_1)
	v_clz_i32_u32_e32 v33, v33
	v_min_u32_e32 v33, 32, v33
	s_delay_alu instid0(VALU_DEP_1) | instskip(NEXT) | instid1(VALU_DEP_1)
	v_subrev_nc_u32_e32 v36, 28, v33
	v_lshlrev_b64_e32 v[37:38], v36, v[1:2]
	v_sub_nc_u32_e32 v36, 29, v33
	s_delay_alu instid0(VALU_DEP_2)
	v_and_b32_e32 v33, 7, v37
; %bb.313:                              ;   in Loop: Header=BB254_194 Depth=1
	s_or_b32 exec_lo, exec_lo, s20
	v_lshlrev_b32_e32 v1, 8, v1
	s_delay_alu instid0(VALU_DEP_3) | instskip(NEXT) | instid1(VALU_DEP_3)
	v_lshl_add_u32 v36, v36, 10, 0x2000
	v_lshlrev_b32_e32 v33, 7, v33
	s_delay_alu instid0(VALU_DEP_3) | instskip(NEXT) | instid1(VALU_DEP_3)
	v_and_b32_e32 v1, 0x8000, v1
	v_and_b32_e32 v36, 0xfc00, v36
	s_delay_alu instid0(VALU_DEP_1)
	v_or3_b32 v33, v1, v36, v33
.LBB254_314:                            ;   in Loop: Header=BB254_194 Depth=1
	s_or_b32 exec_lo, exec_lo, s19
.LBB254_315:                            ;   in Loop: Header=BB254_194 Depth=1
	s_delay_alu instid0(SALU_CYCLE_1)
	s_or_b32 exec_lo, exec_lo, s18
.LBB254_316:                            ;   in Loop: Header=BB254_194 Depth=1
	s_wait_alu 0xfffe
	s_or_b32 exec_lo, exec_lo, s15
	v_cmp_lt_u64_e64 s1, s[4:5], v[7:8]
	v_mov_b32_e32 v7, 0
	s_and_saveexec_b32 s15, s1
	s_cbranch_execz .LBB254_324
; %bb.317:                              ;   in Loop: Header=BB254_194 Depth=1
	v_lshrrev_b32_e32 v1, 24, v8
	v_bfrev_b32_e32 v7, 1
	s_mov_b32 s18, exec_lo
	s_delay_alu instid0(VALU_DEP_2)
	v_cmpx_ne_u32_e32 0x80, v1
	s_cbranch_execz .LBB254_323
; %bb.318:                              ;   in Loop: Header=BB254_194 Depth=1
	v_and_b32_e32 v36, 0x7f, v1
	v_mov_b32_e32 v7, 0x7c010000
	s_mov_b32 s19, exec_lo
	s_delay_alu instid0(VALU_DEP_2)
	v_cmpx_ne_u32_e32 0x7f, v36
	s_cbranch_execz .LBB254_322
; %bb.319:                              ;   in Loop: Header=BB254_194 Depth=1
	v_and_b32_e32 v7, 7, v1
	v_lshrrev_b32_e32 v8, 3, v36
	s_mov_b32 s20, exec_lo
	v_cmpx_gt_u32_e32 8, v36
; %bb.320:                              ;   in Loop: Header=BB254_194 Depth=1
	s_delay_alu instid0(VALU_DEP_3) | instskip(NEXT) | instid1(VALU_DEP_1)
	v_clz_i32_u32_e32 v7, v7
	v_min_u32_e32 v36, 32, v7
	s_delay_alu instid0(VALU_DEP_1) | instskip(NEXT) | instid1(VALU_DEP_1)
	v_subrev_nc_u32_e32 v7, 28, v36
	v_lshlrev_b64_e32 v[7:8], v7, v[1:2]
	v_sub_nc_u32_e32 v8, 29, v36
	s_delay_alu instid0(VALU_DEP_2)
	v_and_b32_e32 v7, 7, v7
; %bb.321:                              ;   in Loop: Header=BB254_194 Depth=1
	s_or_b32 exec_lo, exec_lo, s20
	v_lshlrev_b32_e32 v1, 8, v1
	s_delay_alu instid0(VALU_DEP_3) | instskip(NEXT) | instid1(VALU_DEP_3)
	v_lshl_add_u32 v8, v8, 10, 0x2000
	v_lshlrev_b32_e32 v7, 23, v7
	s_delay_alu instid0(VALU_DEP_2) | instskip(NEXT) | instid1(VALU_DEP_1)
	v_and_or_b32 v1, 0x8000, v1, v8
	v_lshl_or_b32 v7, v1, 16, v7
.LBB254_322:                            ;   in Loop: Header=BB254_194 Depth=1
	s_or_b32 exec_lo, exec_lo, s19
.LBB254_323:                            ;   in Loop: Header=BB254_194 Depth=1
	s_delay_alu instid0(SALU_CYCLE_1)
	s_or_b32 exec_lo, exec_lo, s18
.LBB254_324:                            ;   in Loop: Header=BB254_194 Depth=1
	s_wait_alu 0xfffe
	s_or_b32 exec_lo, exec_lo, s15
	v_or_b32_e32 v1, v31, v32
	s_wait_loadcnt 0x0
	v_fma_mixlo_f16 v8, v28, v31, 0 op_sel:[0,1,0] op_sel_hi:[0,1,0]
	v_or_b32_e32 v30, v29, v30
	v_fma_mixlo_f16 v29, v28, v29, 0 op_sel:[0,1,0] op_sel_hi:[0,1,0]
	v_or_b32_e32 v32, v35, v34
	v_or_b32_e32 v33, v7, v33
	v_fma_mixlo_f16 v34, v28, v1, 0 op_sel_hi:[0,1,0]
	v_lshlrev_b32_e32 v1, 16, v8
	v_lshlrev_b32_e32 v31, 16, v29
	v_fma_mixlo_f16 v8, v28, v30, 0 op_sel_hi:[0,1,0]
	v_fma_mixlo_f16 v29, v28, v35, 0 op_sel:[0,1,0] op_sel_hi:[0,1,0]
	v_fma_mixlo_f16 v32, v28, v32, 0 op_sel_hi:[0,1,0]
	v_fma_mixlo_f16 v7, v28, v7, 0 op_sel:[0,1,0] op_sel_hi:[0,1,0]
	v_fma_mixlo_f16 v28, v28, v33, 0 op_sel_hi:[0,1,0]
	v_and_b32_e32 v30, 0xffff, v34
	v_and_b32_e32 v35, 0xffff, v8
	v_lshlrev_b32_e32 v8, 16, v29
	v_and_b32_e32 v29, 0xffff, v32
	v_lshlrev_b32_e32 v7, 16, v7
	v_and_b32_e32 v28, 0xffff, v28
	v_or_b32_e32 v32, v1, v30
	v_or_b32_e32 v36, v31, v35
	;; [unrolled: 1-line block ×3, first 2 shown]
	s_delay_alu instid0(VALU_DEP_4)
	v_or_b32_e32 v33, v7, v28
	s_and_saveexec_b32 s15, s0
	s_cbranch_execz .LBB254_326
; %bb.325:                              ;   in Loop: Header=BB254_194 Depth=1
	v_add_nc_u32_e32 v32, -6, v21
	v_cmp_gt_i32_e64 s1, s27, v9
	v_add_nc_u32_e32 v33, -5, v21
	s_wait_alu 0xf1ff
	s_delay_alu instid0(VALU_DEP_2) | instskip(SKIP_4) | instid1(VALU_DEP_3)
	v_cndmask_b32_e64 v34, 0, v35, s1
	v_cmp_gt_i32_e64 s1, s27, v32
	v_add_nc_u32_e32 v32, -4, v21
	v_add_nc_u32_e32 v35, -2, v21
	s_wait_alu 0xf1ff
	v_cndmask_b32_e64 v31, 0, v31, s1
	v_cmp_gt_i32_e64 s1, s27, v33
	v_add_nc_u32_e32 v33, -3, v21
	s_delay_alu instid0(VALU_DEP_3) | instskip(SKIP_1) | instid1(VALU_DEP_3)
	v_or_b32_e32 v36, v31, v34
	s_wait_alu 0xf1ff
	v_cndmask_b32_e64 v30, 0, v30, s1
	v_cmp_gt_i32_e64 s1, s27, v32
	v_add_nc_u32_e32 v32, -1, v21
	s_wait_alu 0xf1ff
	s_delay_alu instid0(VALU_DEP_2) | instskip(SKIP_2) | instid1(VALU_DEP_1)
	v_cndmask_b32_e64 v1, 0, v1, s1
	v_cmp_gt_i32_e64 s1, s27, v33
	s_wait_alu 0xf1ff
	v_cndmask_b32_e64 v29, 0, v29, s1
	v_cmp_gt_i32_e64 s1, s27, v35
	s_wait_alu 0xf1ff
	s_delay_alu instid0(VALU_DEP_1) | instskip(SKIP_2) | instid1(VALU_DEP_3)
	v_cndmask_b32_e64 v8, 0, v8, s1
	v_cmp_gt_i32_e64 s1, s27, v32
	v_or_b32_e32 v32, v1, v30
	v_or_b32_e32 v34, v8, v29
	s_wait_alu 0xf1ff
	s_delay_alu instid0(VALU_DEP_3) | instskip(SKIP_2) | instid1(VALU_DEP_1)
	v_cndmask_b32_e64 v28, 0, v28, s1
	v_cmp_gt_i32_e64 s1, s27, v21
	s_wait_alu 0xf1ff
	v_cndmask_b32_e64 v7, 0, v7, s1
	s_delay_alu instid0(VALU_DEP_1)
	v_or_b32_e32 v33, v7, v28
.LBB254_326:                            ;   in Loop: Header=BB254_194 Depth=1
	s_wait_alu 0xfffe
	s_or_b32 exec_lo, exec_lo, s15
	;;#ASMSTART
	v_pk_mul_f16 v1, v27, v36;

	;;#ASMEND
	;;#ASMSTART
	v_pk_mul_f16 v7, v26, v32;

	;;#ASMEND
	;; [unrolled: 4-line block ×4, first 2 shown]
	;;#ASMSTART
	v_pk_add_f16 v1, v1, v7;

	;;#ASMEND
	;;#ASMSTART
	v_pk_add_f16 v1, v1, v8;

	;;#ASMEND
	;;#ASMSTART
	v_pk_add_f16 v1, v1, v28;

	;;#ASMEND
	v_and_b32_e32 v7, 0xffff, v1
	v_lshrrev_b32_e32 v1, 16, v1
	;;#ASMSTART
	v_cvt_f32_f16 v7, v7;
	;;#ASMEND
	;;#ASMSTART
	v_cvt_f32_f16 v8, v1;
	;;#ASMEND
	s_and_saveexec_b32 s15, vcc_lo
	s_cbranch_execz .LBB254_193
; %bb.327:                              ;   in Loop: Header=BB254_194 Depth=1
	v_add_co_u32 v5, s1, v5, v20
	s_wait_alu 0xf1ff
	v_add_co_ci_u32_e64 v6, null, 0, v6, s1
	v_dual_mov_b32 v29, 0 :: v_dual_mov_b32 v30, 0
	s_mov_b32 s18, exec_lo
	global_load_b64 v[5:6], v[5:6], off
	global_load_b32 v28, v29, s[10:11]
	s_wait_loadcnt 0x1
	v_and_b32_e32 v1, 0xff, v5
	s_delay_alu instid0(VALU_DEP_1)
	v_cmpx_ne_u16_e32 0, v1
	s_cbranch_execz .LBB254_335
; %bb.328:                              ;   in Loop: Header=BB254_194 Depth=1
	v_mov_b32_e32 v30, 0x8000
	s_mov_b32 s19, exec_lo
	v_cmpx_ne_u16_e32 0x80, v1
	s_cbranch_execz .LBB254_334
; %bb.329:                              ;   in Loop: Header=BB254_194 Depth=1
	v_and_b32_e32 v31, 0x7f, v5
	v_mov_b32_e32 v30, 0x7c01
	s_mov_b32 s20, exec_lo
	s_delay_alu instid0(VALU_DEP_2)
	v_cmpx_ne_u32_e32 0x7f, v31
	s_cbranch_execz .LBB254_333
; %bb.330:                              ;   in Loop: Header=BB254_194 Depth=1
	v_and_b32_e32 v1, 7, v5
	v_lshrrev_b32_e32 v30, 3, v31
	s_mov_b32 s21, exec_lo
	v_cmpx_gt_u32_e32 8, v31
; %bb.331:                              ;   in Loop: Header=BB254_194 Depth=1
	s_delay_alu instid0(VALU_DEP_3) | instskip(NEXT) | instid1(VALU_DEP_1)
	v_clz_i32_u32_e32 v1, v1
	v_min_u32_e32 v1, 32, v1
	s_delay_alu instid0(VALU_DEP_1) | instskip(NEXT) | instid1(VALU_DEP_1)
	v_subrev_nc_u32_e32 v30, 28, v1
	v_lshlrev_b64_e32 v[31:32], v30, v[5:6]
	v_sub_nc_u32_e32 v30, 29, v1
	s_delay_alu instid0(VALU_DEP_2)
	v_and_b32_e32 v1, 7, v31
; %bb.332:                              ;   in Loop: Header=BB254_194 Depth=1
	s_or_b32 exec_lo, exec_lo, s21
	v_lshlrev_b32_e32 v31, 8, v5
	s_delay_alu instid0(VALU_DEP_3) | instskip(NEXT) | instid1(VALU_DEP_3)
	v_lshl_add_u32 v30, v30, 10, 0x2000
	v_lshlrev_b32_e32 v1, 7, v1
	s_delay_alu instid0(VALU_DEP_3) | instskip(NEXT) | instid1(VALU_DEP_3)
	v_and_b32_e32 v31, 0x8000, v31
	v_and_b32_e32 v30, 0xfc00, v30
	s_delay_alu instid0(VALU_DEP_1)
	v_or3_b32 v30, v31, v30, v1
.LBB254_333:                            ;   in Loop: Header=BB254_194 Depth=1
	s_or_b32 exec_lo, exec_lo, s20
.LBB254_334:                            ;   in Loop: Header=BB254_194 Depth=1
	s_delay_alu instid0(SALU_CYCLE_1)
	s_or_b32 exec_lo, exec_lo, s19
.LBB254_335:                            ;   in Loop: Header=BB254_194 Depth=1
	s_delay_alu instid0(SALU_CYCLE_1) | instskip(SKIP_2) | instid1(VALU_DEP_1)
	s_or_b32 exec_lo, exec_lo, s18
	v_lshrrev_b16 v1, 8, v5
	s_mov_b32 s18, exec_lo
	v_cmpx_ne_u16_e32 0, v1
	s_cbranch_execz .LBB254_343
; %bb.336:                              ;   in Loop: Header=BB254_194 Depth=1
	v_bfrev_b32_e32 v29, 1
	s_mov_b32 s19, exec_lo
	v_cmpx_ne_u16_e32 0x80, v1
	s_cbranch_execz .LBB254_342
; %bb.337:                              ;   in Loop: Header=BB254_194 Depth=1
	v_and_b32_e32 v31, 0xffff, v1
	v_mov_b32_e32 v29, 0x7c010000
	s_mov_b32 s20, exec_lo
	s_delay_alu instid0(VALU_DEP_2) | instskip(NEXT) | instid1(VALU_DEP_1)
	v_and_b32_e32 v33, 0x7f, v31
	v_cmpx_ne_u32_e32 0x7f, v33
	s_cbranch_execz .LBB254_341
; %bb.338:                              ;   in Loop: Header=BB254_194 Depth=1
	v_and_b32_e32 v29, 7, v31
	v_lshrrev_b32_e32 v32, 3, v33
	s_mov_b32 s21, exec_lo
	v_cmpx_gt_u32_e32 8, v33
; %bb.339:                              ;   in Loop: Header=BB254_194 Depth=1
	s_delay_alu instid0(VALU_DEP_3) | instskip(NEXT) | instid1(VALU_DEP_1)
	v_clz_i32_u32_e32 v29, v29
	v_min_u32_e32 v29, 32, v29
	s_delay_alu instid0(VALU_DEP_1) | instskip(NEXT) | instid1(VALU_DEP_1)
	v_subrev_nc_u32_e32 v32, 28, v29
	v_lshlrev_b64_e32 v[33:34], v32, v[1:2]
	v_sub_nc_u32_e32 v32, 29, v29
	s_delay_alu instid0(VALU_DEP_2)
	v_and_b32_e32 v29, 7, v33
; %bb.340:                              ;   in Loop: Header=BB254_194 Depth=1
	s_or_b32 exec_lo, exec_lo, s21
	v_lshlrev_b32_e32 v1, 8, v31
	s_delay_alu instid0(VALU_DEP_3) | instskip(NEXT) | instid1(VALU_DEP_3)
	v_lshl_add_u32 v31, v32, 10, 0x2000
	v_lshlrev_b32_e32 v29, 23, v29
	s_delay_alu instid0(VALU_DEP_2) | instskip(NEXT) | instid1(VALU_DEP_1)
	v_and_or_b32 v1, 0x8000, v1, v31
	v_lshl_or_b32 v29, v1, 16, v29
.LBB254_341:                            ;   in Loop: Header=BB254_194 Depth=1
	s_or_b32 exec_lo, exec_lo, s20
.LBB254_342:                            ;   in Loop: Header=BB254_194 Depth=1
	s_delay_alu instid0(SALU_CYCLE_1)
	s_or_b32 exec_lo, exec_lo, s19
.LBB254_343:                            ;   in Loop: Header=BB254_194 Depth=1
	s_delay_alu instid0(SALU_CYCLE_1) | instskip(SKIP_3) | instid1(VALU_DEP_2)
	s_or_b32 exec_lo, exec_lo, s18
	v_lshrrev_b32_e32 v1, 16, v5
	v_mov_b32_e32 v31, 0
	s_mov_b32 s18, exec_lo
	v_dual_mov_b32 v32, 0 :: v_dual_and_b32 v33, 0xff, v1
	s_delay_alu instid0(VALU_DEP_1)
	v_cmpx_ne_u16_e32 0, v33
	s_cbranch_execz .LBB254_351
; %bb.344:                              ;   in Loop: Header=BB254_194 Depth=1
	v_mov_b32_e32 v32, 0x8000
	s_mov_b32 s19, exec_lo
	v_cmpx_ne_u16_e32 0x80, v33
	s_cbranch_execz .LBB254_350
; %bb.345:                              ;   in Loop: Header=BB254_194 Depth=1
	v_bfe_u32 v34, v5, 16, 7
	v_mov_b32_e32 v32, 0x7c01
	s_mov_b32 s20, exec_lo
	s_delay_alu instid0(VALU_DEP_2)
	v_cmpx_ne_u32_e32 0x7f, v34
	s_cbranch_execz .LBB254_349
; %bb.346:                              ;   in Loop: Header=BB254_194 Depth=1
	v_and_b32_e32 v32, 7, v1
	v_lshrrev_b32_e32 v33, 3, v34
	s_mov_b32 s21, exec_lo
	v_cmpx_gt_u32_e32 8, v34
; %bb.347:                              ;   in Loop: Header=BB254_194 Depth=1
	s_delay_alu instid0(VALU_DEP_3) | instskip(NEXT) | instid1(VALU_DEP_1)
	v_clz_i32_u32_e32 v32, v32
	v_min_u32_e32 v34, 32, v32
	s_delay_alu instid0(VALU_DEP_1) | instskip(NEXT) | instid1(VALU_DEP_1)
	v_subrev_nc_u32_e32 v32, 28, v34
	v_lshlrev_b64_e32 v[32:33], v32, v[1:2]
	v_sub_nc_u32_e32 v33, 29, v34
	s_delay_alu instid0(VALU_DEP_2)
	v_and_b32_e32 v32, 7, v32
; %bb.348:                              ;   in Loop: Header=BB254_194 Depth=1
	s_or_b32 exec_lo, exec_lo, s21
	v_lshlrev_b32_e32 v1, 8, v1
	s_delay_alu instid0(VALU_DEP_3) | instskip(NEXT) | instid1(VALU_DEP_3)
	v_lshl_add_u32 v33, v33, 10, 0x2000
	v_lshlrev_b32_e32 v32, 7, v32
	s_delay_alu instid0(VALU_DEP_3) | instskip(NEXT) | instid1(VALU_DEP_3)
	v_and_b32_e32 v1, 0x8000, v1
	v_and_b32_e32 v33, 0xfc00, v33
	s_delay_alu instid0(VALU_DEP_1)
	v_or3_b32 v32, v1, v33, v32
.LBB254_349:                            ;   in Loop: Header=BB254_194 Depth=1
	s_or_b32 exec_lo, exec_lo, s20
.LBB254_350:                            ;   in Loop: Header=BB254_194 Depth=1
	s_delay_alu instid0(SALU_CYCLE_1)
	s_or_b32 exec_lo, exec_lo, s19
.LBB254_351:                            ;   in Loop: Header=BB254_194 Depth=1
	s_delay_alu instid0(SALU_CYCLE_1) | instskip(NEXT) | instid1(SALU_CYCLE_1)
	s_or_b32 exec_lo, exec_lo, s18
	s_mov_b32 s18, exec_lo
	v_cmpx_lt_u32_e32 0xffffff, v5
	s_cbranch_execz .LBB254_359
; %bb.352:                              ;   in Loop: Header=BB254_194 Depth=1
	v_lshrrev_b32_e32 v1, 24, v5
	v_bfrev_b32_e32 v31, 1
	s_mov_b32 s19, exec_lo
	s_delay_alu instid0(VALU_DEP_2)
	v_cmpx_ne_u32_e32 0x80, v1
	s_cbranch_execz .LBB254_358
; %bb.353:                              ;   in Loop: Header=BB254_194 Depth=1
	v_and_b32_e32 v34, 0x7f, v1
	v_mov_b32_e32 v31, 0x7c010000
	s_mov_b32 s20, exec_lo
	s_delay_alu instid0(VALU_DEP_2)
	v_cmpx_ne_u32_e32 0x7f, v34
	s_cbranch_execz .LBB254_357
; %bb.354:                              ;   in Loop: Header=BB254_194 Depth=1
	v_and_b32_e32 v31, 7, v1
	v_lshrrev_b32_e32 v33, 3, v34
	s_mov_b32 s21, exec_lo
	v_cmpx_gt_u32_e32 8, v34
; %bb.355:                              ;   in Loop: Header=BB254_194 Depth=1
	s_delay_alu instid0(VALU_DEP_3) | instskip(NEXT) | instid1(VALU_DEP_1)
	v_clz_i32_u32_e32 v31, v31
	v_min_u32_e32 v31, 32, v31
	s_delay_alu instid0(VALU_DEP_1) | instskip(NEXT) | instid1(VALU_DEP_1)
	v_subrev_nc_u32_e32 v33, 28, v31
	v_lshlrev_b64_e32 v[34:35], v33, v[1:2]
	v_sub_nc_u32_e32 v33, 29, v31
	s_delay_alu instid0(VALU_DEP_2)
	v_and_b32_e32 v31, 7, v34
; %bb.356:                              ;   in Loop: Header=BB254_194 Depth=1
	s_or_b32 exec_lo, exec_lo, s21
	v_lshlrev_b32_e32 v1, 8, v1
	s_delay_alu instid0(VALU_DEP_3) | instskip(NEXT) | instid1(VALU_DEP_3)
	v_lshl_add_u32 v33, v33, 10, 0x2000
	v_lshlrev_b32_e32 v31, 23, v31
	s_delay_alu instid0(VALU_DEP_2) | instskip(NEXT) | instid1(VALU_DEP_1)
	v_and_or_b32 v1, 0x8000, v1, v33
	v_lshl_or_b32 v31, v1, 16, v31
.LBB254_357:                            ;   in Loop: Header=BB254_194 Depth=1
	s_or_b32 exec_lo, exec_lo, s20
.LBB254_358:                            ;   in Loop: Header=BB254_194 Depth=1
	s_delay_alu instid0(SALU_CYCLE_1)
	s_or_b32 exec_lo, exec_lo, s19
.LBB254_359:                            ;   in Loop: Header=BB254_194 Depth=1
	s_delay_alu instid0(SALU_CYCLE_1) | instskip(SKIP_4) | instid1(VALU_DEP_3)
	s_or_b32 exec_lo, exec_lo, s18
	v_dual_mov_b32 v34, 0 :: v_dual_and_b32 v35, 0xff, v6
	v_mov_b32_e32 v1, v6
	v_mov_b32_e32 v33, 0
	s_mov_b32 s18, exec_lo
	v_cmpx_ne_u16_e32 0, v35
	s_cbranch_execz .LBB254_367
; %bb.360:                              ;   in Loop: Header=BB254_194 Depth=1
	v_mov_b32_e32 v34, 0x8000
	s_mov_b32 s19, exec_lo
	v_cmpx_ne_u16_e32 0x80, v35
	s_cbranch_execz .LBB254_366
; %bb.361:                              ;   in Loop: Header=BB254_194 Depth=1
	v_and_b32_e32 v36, 0x7f, v6
	v_mov_b32_e32 v34, 0x7c01
	s_mov_b32 s20, exec_lo
	s_delay_alu instid0(VALU_DEP_2)
	v_cmpx_ne_u32_e32 0x7f, v36
	s_cbranch_execz .LBB254_365
; %bb.362:                              ;   in Loop: Header=BB254_194 Depth=1
	v_and_b32_e32 v34, 7, v6
	v_lshrrev_b32_e32 v35, 3, v36
	s_mov_b32 s21, exec_lo
	v_cmpx_gt_u32_e32 8, v36
; %bb.363:                              ;   in Loop: Header=BB254_194 Depth=1
	s_delay_alu instid0(VALU_DEP_3) | instskip(NEXT) | instid1(VALU_DEP_1)
	v_clz_i32_u32_e32 v34, v34
	v_min_u32_e32 v36, 32, v34
	s_delay_alu instid0(VALU_DEP_1) | instskip(NEXT) | instid1(VALU_DEP_1)
	v_subrev_nc_u32_e32 v34, 28, v36
	v_lshlrev_b64_e32 v[34:35], v34, v[1:2]
	v_sub_nc_u32_e32 v35, 29, v36
	s_delay_alu instid0(VALU_DEP_2)
	v_and_b32_e32 v34, 7, v34
; %bb.364:                              ;   in Loop: Header=BB254_194 Depth=1
	s_or_b32 exec_lo, exec_lo, s21
	v_lshlrev_b32_e32 v36, 8, v6
	s_delay_alu instid0(VALU_DEP_3) | instskip(NEXT) | instid1(VALU_DEP_3)
	v_lshl_add_u32 v35, v35, 10, 0x2000
	v_lshlrev_b32_e32 v34, 7, v34
	s_delay_alu instid0(VALU_DEP_3) | instskip(NEXT) | instid1(VALU_DEP_3)
	v_and_b32_e32 v36, 0x8000, v36
	v_and_b32_e32 v35, 0xfc00, v35
	s_delay_alu instid0(VALU_DEP_1)
	v_or3_b32 v34, v36, v35, v34
.LBB254_365:                            ;   in Loop: Header=BB254_194 Depth=1
	s_or_b32 exec_lo, exec_lo, s20
.LBB254_366:                            ;   in Loop: Header=BB254_194 Depth=1
	s_delay_alu instid0(SALU_CYCLE_1)
	s_or_b32 exec_lo, exec_lo, s19
.LBB254_367:                            ;   in Loop: Header=BB254_194 Depth=1
	s_delay_alu instid0(SALU_CYCLE_1) | instskip(SKIP_3) | instid1(VALU_DEP_2)
	s_or_b32 exec_lo, exec_lo, s18
	v_lshrrev_b16 v1, 8, v1
	v_mov_b32_e32 v35, 0
	s_mov_b32 s18, exec_lo
	v_cmpx_ne_u16_e32 0, v1
	s_cbranch_execz .LBB254_375
; %bb.368:                              ;   in Loop: Header=BB254_194 Depth=1
	v_bfrev_b32_e32 v35, 1
	s_mov_b32 s19, exec_lo
	v_cmpx_ne_u16_e32 0x80, v1
	s_cbranch_execz .LBB254_374
; %bb.369:                              ;   in Loop: Header=BB254_194 Depth=1
	v_and_b32_e32 v36, 0xffff, v1
	v_mov_b32_e32 v35, 0x7c010000
	s_mov_b32 s20, exec_lo
	s_delay_alu instid0(VALU_DEP_2) | instskip(NEXT) | instid1(VALU_DEP_1)
	v_and_b32_e32 v38, 0x7f, v36
	v_cmpx_ne_u32_e32 0x7f, v38
	s_cbranch_execz .LBB254_373
; %bb.370:                              ;   in Loop: Header=BB254_194 Depth=1
	v_and_b32_e32 v35, 7, v36
	v_lshrrev_b32_e32 v37, 3, v38
	s_mov_b32 s21, exec_lo
	v_cmpx_gt_u32_e32 8, v38
; %bb.371:                              ;   in Loop: Header=BB254_194 Depth=1
	s_delay_alu instid0(VALU_DEP_3) | instskip(NEXT) | instid1(VALU_DEP_1)
	v_clz_i32_u32_e32 v35, v35
	v_min_u32_e32 v35, 32, v35
	s_delay_alu instid0(VALU_DEP_1) | instskip(NEXT) | instid1(VALU_DEP_1)
	v_subrev_nc_u32_e32 v37, 28, v35
	v_lshlrev_b64_e32 v[38:39], v37, v[1:2]
	v_sub_nc_u32_e32 v37, 29, v35
	s_delay_alu instid0(VALU_DEP_2)
	v_and_b32_e32 v35, 7, v38
; %bb.372:                              ;   in Loop: Header=BB254_194 Depth=1
	s_or_b32 exec_lo, exec_lo, s21
	v_lshlrev_b32_e32 v1, 8, v36
	s_delay_alu instid0(VALU_DEP_3) | instskip(NEXT) | instid1(VALU_DEP_3)
	v_lshl_add_u32 v36, v37, 10, 0x2000
	v_lshlrev_b32_e32 v35, 23, v35
	s_delay_alu instid0(VALU_DEP_2) | instskip(NEXT) | instid1(VALU_DEP_1)
	v_and_or_b32 v1, 0x8000, v1, v36
	v_lshl_or_b32 v35, v1, 16, v35
.LBB254_373:                            ;   in Loop: Header=BB254_194 Depth=1
	s_or_b32 exec_lo, exec_lo, s20
.LBB254_374:                            ;   in Loop: Header=BB254_194 Depth=1
	s_delay_alu instid0(SALU_CYCLE_1)
	s_or_b32 exec_lo, exec_lo, s19
.LBB254_375:                            ;   in Loop: Header=BB254_194 Depth=1
	s_delay_alu instid0(SALU_CYCLE_1) | instskip(SKIP_2) | instid1(VALU_DEP_1)
	s_or_b32 exec_lo, exec_lo, s18
	v_lshrrev_b32_e32 v1, 16, v6
	s_mov_b32 s18, exec_lo
	v_and_b32_e32 v36, 0xff, v1
	s_delay_alu instid0(VALU_DEP_1)
	v_cmpx_ne_u16_e32 0, v36
	s_cbranch_execz .LBB254_383
; %bb.376:                              ;   in Loop: Header=BB254_194 Depth=1
	v_mov_b32_e32 v33, 0x8000
	s_mov_b32 s19, exec_lo
	v_cmpx_ne_u16_e32 0x80, v36
	s_cbranch_execz .LBB254_382
; %bb.377:                              ;   in Loop: Header=BB254_194 Depth=1
	v_bfe_u32 v37, v6, 16, 7
	v_mov_b32_e32 v33, 0x7c01
	s_mov_b32 s20, exec_lo
	s_delay_alu instid0(VALU_DEP_2)
	v_cmpx_ne_u32_e32 0x7f, v37
	s_cbranch_execz .LBB254_381
; %bb.378:                              ;   in Loop: Header=BB254_194 Depth=1
	v_and_b32_e32 v33, 7, v1
	v_lshrrev_b32_e32 v36, 3, v37
	s_mov_b32 s21, exec_lo
	v_cmpx_gt_u32_e32 8, v37
; %bb.379:                              ;   in Loop: Header=BB254_194 Depth=1
	s_delay_alu instid0(VALU_DEP_3) | instskip(NEXT) | instid1(VALU_DEP_1)
	v_clz_i32_u32_e32 v33, v33
	v_min_u32_e32 v33, 32, v33
	s_delay_alu instid0(VALU_DEP_1) | instskip(NEXT) | instid1(VALU_DEP_1)
	v_subrev_nc_u32_e32 v36, 28, v33
	v_lshlrev_b64_e32 v[37:38], v36, v[1:2]
	v_sub_nc_u32_e32 v36, 29, v33
	s_delay_alu instid0(VALU_DEP_2)
	v_and_b32_e32 v33, 7, v37
; %bb.380:                              ;   in Loop: Header=BB254_194 Depth=1
	s_or_b32 exec_lo, exec_lo, s21
	v_lshlrev_b32_e32 v1, 8, v1
	s_delay_alu instid0(VALU_DEP_3) | instskip(NEXT) | instid1(VALU_DEP_3)
	v_lshl_add_u32 v36, v36, 10, 0x2000
	v_lshlrev_b32_e32 v33, 7, v33
	s_delay_alu instid0(VALU_DEP_3) | instskip(NEXT) | instid1(VALU_DEP_3)
	v_and_b32_e32 v1, 0x8000, v1
	v_and_b32_e32 v36, 0xfc00, v36
	s_delay_alu instid0(VALU_DEP_1)
	v_or3_b32 v33, v1, v36, v33
.LBB254_381:                            ;   in Loop: Header=BB254_194 Depth=1
	s_or_b32 exec_lo, exec_lo, s20
.LBB254_382:                            ;   in Loop: Header=BB254_194 Depth=1
	s_delay_alu instid0(SALU_CYCLE_1)
	s_or_b32 exec_lo, exec_lo, s19
.LBB254_383:                            ;   in Loop: Header=BB254_194 Depth=1
	s_delay_alu instid0(SALU_CYCLE_1)
	s_or_b32 exec_lo, exec_lo, s18
	v_cmp_lt_u64_e64 s1, s[4:5], v[5:6]
	v_mov_b32_e32 v5, 0
	s_and_saveexec_b32 s18, s1
	s_cbranch_execz .LBB254_391
; %bb.384:                              ;   in Loop: Header=BB254_194 Depth=1
	v_lshrrev_b32_e32 v1, 24, v6
	v_bfrev_b32_e32 v5, 1
	s_mov_b32 s19, exec_lo
	s_delay_alu instid0(VALU_DEP_2)
	v_cmpx_ne_u32_e32 0x80, v1
	s_cbranch_execz .LBB254_390
; %bb.385:                              ;   in Loop: Header=BB254_194 Depth=1
	v_and_b32_e32 v36, 0x7f, v1
	v_mov_b32_e32 v5, 0x7c010000
	s_mov_b32 s20, exec_lo
	s_delay_alu instid0(VALU_DEP_2)
	v_cmpx_ne_u32_e32 0x7f, v36
	s_cbranch_execz .LBB254_389
; %bb.386:                              ;   in Loop: Header=BB254_194 Depth=1
	v_and_b32_e32 v5, 7, v1
	v_lshrrev_b32_e32 v6, 3, v36
	s_mov_b32 s21, exec_lo
	v_cmpx_gt_u32_e32 8, v36
; %bb.387:                              ;   in Loop: Header=BB254_194 Depth=1
	s_delay_alu instid0(VALU_DEP_3) | instskip(NEXT) | instid1(VALU_DEP_1)
	v_clz_i32_u32_e32 v5, v5
	v_min_u32_e32 v36, 32, v5
	s_delay_alu instid0(VALU_DEP_1) | instskip(NEXT) | instid1(VALU_DEP_1)
	v_subrev_nc_u32_e32 v5, 28, v36
	v_lshlrev_b64_e32 v[5:6], v5, v[1:2]
	v_sub_nc_u32_e32 v6, 29, v36
	s_delay_alu instid0(VALU_DEP_2)
	v_and_b32_e32 v5, 7, v5
; %bb.388:                              ;   in Loop: Header=BB254_194 Depth=1
	s_or_b32 exec_lo, exec_lo, s21
	v_lshlrev_b32_e32 v1, 8, v1
	s_delay_alu instid0(VALU_DEP_3) | instskip(NEXT) | instid1(VALU_DEP_3)
	v_lshl_add_u32 v6, v6, 10, 0x2000
	v_lshlrev_b32_e32 v5, 23, v5
	s_delay_alu instid0(VALU_DEP_2) | instskip(NEXT) | instid1(VALU_DEP_1)
	v_and_or_b32 v1, 0x8000, v1, v6
	v_lshl_or_b32 v5, v1, 16, v5
.LBB254_389:                            ;   in Loop: Header=BB254_194 Depth=1
	s_or_b32 exec_lo, exec_lo, s20
.LBB254_390:                            ;   in Loop: Header=BB254_194 Depth=1
	s_delay_alu instid0(SALU_CYCLE_1)
	s_or_b32 exec_lo, exec_lo, s19
.LBB254_391:                            ;   in Loop: Header=BB254_194 Depth=1
	s_delay_alu instid0(SALU_CYCLE_1)
	s_or_b32 exec_lo, exec_lo, s18
	v_or_b32_e32 v1, v31, v32
	s_wait_loadcnt 0x0
	v_fma_mixlo_f16 v6, v28, v31, 0 op_sel:[0,1,0] op_sel_hi:[0,1,0]
	v_or_b32_e32 v30, v29, v30
	v_fma_mixlo_f16 v29, v28, v29, 0 op_sel:[0,1,0] op_sel_hi:[0,1,0]
	v_or_b32_e32 v32, v35, v34
	v_or_b32_e32 v33, v5, v33
	v_fma_mixlo_f16 v34, v28, v1, 0 op_sel_hi:[0,1,0]
	v_lshlrev_b32_e32 v1, 16, v6
	v_lshlrev_b32_e32 v31, 16, v29
	v_fma_mixlo_f16 v6, v28, v30, 0 op_sel_hi:[0,1,0]
	v_fma_mixlo_f16 v29, v28, v35, 0 op_sel:[0,1,0] op_sel_hi:[0,1,0]
	v_fma_mixlo_f16 v32, v28, v32, 0 op_sel_hi:[0,1,0]
	v_fma_mixlo_f16 v5, v28, v5, 0 op_sel:[0,1,0] op_sel_hi:[0,1,0]
	v_fma_mixlo_f16 v28, v28, v33, 0 op_sel_hi:[0,1,0]
	v_and_b32_e32 v30, 0xffff, v34
	v_and_b32_e32 v36, 0xffff, v6
	v_lshlrev_b32_e32 v6, 16, v29
	v_and_b32_e32 v29, 0xffff, v32
	v_lshlrev_b32_e32 v5, 16, v5
	v_and_b32_e32 v28, 0xffff, v28
	v_or_b32_e32 v34, v1, v30
	v_or_b32_e32 v35, v31, v36
	;; [unrolled: 1-line block ×3, first 2 shown]
	s_delay_alu instid0(VALU_DEP_4)
	v_or_b32_e32 v32, v5, v28
	s_and_saveexec_b32 s1, s0
	s_cbranch_execz .LBB254_192
; %bb.392:                              ;   in Loop: Header=BB254_194 Depth=1
	v_add_nc_u32_e32 v32, -6, v21
	v_cmp_gt_i32_e64 s0, s27, v9
	v_add_nc_u32_e32 v33, -5, v21
	v_add_nc_u32_e32 v34, -2, v21
	s_wait_alu 0xf1ff
	s_delay_alu instid0(VALU_DEP_3) | instskip(SKIP_3) | instid1(VALU_DEP_2)
	v_cndmask_b32_e64 v9, 0, v36, s0
	v_cmp_gt_i32_e64 s0, s27, v32
	v_add_nc_u32_e32 v32, -4, v21
	s_wait_alu 0xf1ff
	v_cndmask_b32_e64 v31, 0, v31, s0
	v_cmp_gt_i32_e64 s0, s27, v33
	v_add_nc_u32_e32 v33, -3, v21
	s_delay_alu instid0(VALU_DEP_3) | instskip(SKIP_1) | instid1(VALU_DEP_3)
	v_or_b32_e32 v35, v31, v9
	s_wait_alu 0xf1ff
	v_cndmask_b32_e64 v30, 0, v30, s0
	v_cmp_gt_i32_e64 s0, s27, v32
	v_add_nc_u32_e32 v32, -1, v21
	s_wait_alu 0xf1ff
	s_delay_alu instid0(VALU_DEP_2) | instskip(SKIP_2) | instid1(VALU_DEP_1)
	v_cndmask_b32_e64 v1, 0, v1, s0
	v_cmp_gt_i32_e64 s0, s27, v33
	s_wait_alu 0xf1ff
	v_cndmask_b32_e64 v29, 0, v29, s0
	v_cmp_gt_i32_e64 s0, s27, v34
	v_or_b32_e32 v34, v1, v30
	s_wait_alu 0xf1ff
	s_delay_alu instid0(VALU_DEP_2) | instskip(SKIP_1) | instid1(VALU_DEP_2)
	v_cndmask_b32_e64 v6, 0, v6, s0
	v_cmp_gt_i32_e64 s0, s27, v32
	v_or_b32_e32 v33, v6, v29
	s_wait_alu 0xf1ff
	s_delay_alu instid0(VALU_DEP_2) | instskip(SKIP_2) | instid1(VALU_DEP_1)
	v_cndmask_b32_e64 v28, 0, v28, s0
	v_cmp_gt_i32_e64 s0, s27, v21
	s_wait_alu 0xf1ff
	v_cndmask_b32_e64 v5, 0, v5, s0
	s_delay_alu instid0(VALU_DEP_1)
	v_or_b32_e32 v32, v5, v28
	s_branch .LBB254_192
.LBB254_393:
	s_or_b32 exec_lo, exec_lo, s13
.LBB254_394:
	s_wait_alu 0xfffe
	s_or_b32 exec_lo, exec_lo, s6
	s_movk_i32 s0, 0x140
	v_and_b32_e32 v2, 0x3c0, v0
	s_wait_alu 0xfffe
	v_mad_u32_u24 v1, v11, s0, 0xc0
	s_mov_b32 s0, exec_lo
	s_wait_loadcnt 0x0
	s_wait_storecnt 0x0
	s_barrier_signal -1
	s_barrier_wait -1
	global_inv scope:SCOPE_SE
	v_cmpx_eq_u32_e32 64, v2
	s_cbranch_execz .LBB254_397
; %bb.395:
	v_add_nc_u32_e32 v2, 0xfffffd80, v1
	v_cmp_gt_u32_e32 vcc_lo, 0x50, v18
	s_delay_alu instid0(VALU_DEP_2)
	v_lshl_add_u32 v3, v13, 2, v2
	ds_store_2addr_b32 v3, v17, v16 offset1:32
	s_and_b32 exec_lo, exec_lo, vcc_lo
; %bb.396:
	v_lshl_add_u32 v2, v18, 2, v2
	ds_store_b32 v2, v15
.LBB254_397:
	s_wait_alu 0xfffe
	s_or_b32 exec_lo, exec_lo, s0
	v_lshl_add_u32 v2, v13, 2, v1
	s_mov_b32 s0, exec_lo
	s_wait_loadcnt_dscnt 0x0
	s_barrier_signal -1
	s_barrier_wait -1
	global_inv scope:SCOPE_SE
	v_cmpx_gt_u32_e32 64, v0
	s_cbranch_execz .LBB254_401
; %bb.398:
	v_lshl_or_b32 v3, v0, 2, 0x80
	s_mov_b32 s1, exec_lo
	s_delay_alu instid0(VALU_DEP_1)
	v_add_nc_u32_e32 v4, v1, v3
	ds_load_b32 v3, v2
	ds_load_b32 v4, v4
	v_cmpx_gt_u32_e32 0x50, v18
	s_cbranch_execz .LBB254_400
; %bb.399:
	ds_load_b32 v5, v2 offset:256
	s_wait_dscnt 0x0
	v_add_f32_e32 v15, v15, v5
.LBB254_400:
	s_wait_alu 0xfffe
	s_or_b32 exec_lo, exec_lo, s1
	s_wait_dscnt 0x0
	v_dual_add_f32 v17, v17, v3 :: v_dual_add_f32 v16, v16, v4
.LBB254_401:
	s_wait_alu 0xfffe
	s_or_b32 exec_lo, exec_lo, s0
	v_and_b32_e32 v3, 0x3e0, v0
	s_mov_b32 s0, exec_lo
	s_wait_loadcnt 0x0
	s_barrier_signal -1
	s_barrier_wait -1
	global_inv scope:SCOPE_SE
	v_cmpx_eq_u32_e32 32, v3
	s_cbranch_execz .LBB254_404
; %bb.402:
	v_lshl_add_u32 v3, v13, 2, 0xc0
	v_cmp_gt_u32_e32 vcc_lo, 0x50, v18
	ds_store_b32 v3, v17
	ds_store_b32 v14, v16
	s_and_b32 exec_lo, exec_lo, vcc_lo
; %bb.403:
	ds_store_b32 v3, v15 offset:256
.LBB254_404:
	s_wait_alu 0xfffe
	s_or_b32 exec_lo, exec_lo, s0
	v_cmp_gt_u32_e32 vcc_lo, 32, v0
	v_or_b32_e32 v3, 64, v0
	s_wait_loadcnt_dscnt 0x0
	s_barrier_signal -1
	s_barrier_wait -1
	global_inv scope:SCOPE_SE
	s_and_saveexec_b32 s1, vcc_lo
	s_cbranch_execz .LBB254_408
; %bb.405:
	v_lshl_add_u32 v4, v0, 2, v1
	s_mov_b32 s2, exec_lo
	ds_load_b32 v1, v2
	ds_load_b32 v2, v4 offset:128
	v_cmpx_gt_u32_e32 0x50, v3
	s_cbranch_execz .LBB254_407
; %bb.406:
	ds_load_b32 v4, v4 offset:256
	s_wait_dscnt 0x0
	v_add_f32_e32 v15, v15, v4
.LBB254_407:
	s_wait_alu 0xfffe
	s_or_b32 exec_lo, exec_lo, s2
	s_wait_dscnt 0x0
	v_dual_add_f32 v17, v17, v1 :: v_dual_add_f32 v16, v16, v2
.LBB254_408:
	s_wait_alu 0xfffe
	s_or_b32 exec_lo, exec_lo, s1
	s_wait_loadcnt 0x0
	s_barrier_signal -1
	s_barrier_wait -1
	global_inv scope:SCOPE_SE
	s_and_saveexec_b32 s0, vcc_lo
	s_cbranch_execz .LBB254_411
; %bb.409:
	s_mul_i32 s0, s14, 0x50
	s_mul_i32 s2, s12, s16
	s_wait_alu 0xfffe
	s_ashr_i32 s1, s0, 31
	s_ashr_i32 s3, s2, 31
	s_wait_alu 0xfffe
	s_lshl_b64 s[0:1], s[0:1], 1
	s_lshl_b64 s[2:3], s[2:3], 1
	s_wait_kmcnt 0x0
	s_wait_alu 0xfffe
	s_add_nc_u64 s[0:1], s[8:9], s[0:1]
	v_lshlrev_b32_e32 v0, 1, v0
	v_cmp_gt_u32_e32 vcc_lo, 0x50, v3
	s_mul_i32 s4, s26, 0xa0
	s_wait_alu 0xfffe
	s_add_nc_u64 s[0:1], s[0:1], s[2:3]
	s_mov_b32 s5, 0
	;;#ASMSTART
	v_cvt_f16_f32 v1, v17;

	;;#ASMEND
	s_wait_alu 0xfffe
	s_add_nc_u64 s[0:1], s[0:1], s[4:5]
	global_store_b16 v0, v1, s[0:1]
	;;#ASMSTART
	v_cvt_f16_f32 v1, v16;

	;;#ASMEND
	global_store_b16 v0, v1, s[0:1] offset:64
	s_and_b32 exec_lo, exec_lo, vcc_lo
	s_cbranch_execz .LBB254_411
; %bb.410:
	s_wait_alu 0xfffe
	v_add_co_u32 v0, s0, s0, v0
	s_wait_alu 0xf1ff
	v_add_co_ci_u32_e64 v1, null, s1, 0, s0
	;;#ASMSTART
	v_cvt_f16_f32 v2, v15;

	;;#ASMEND
	global_store_b16 v[0:1], v2, off offset:128
.LBB254_411:
	s_endpgm
	.section	.rodata,"a",@progbits
	.p2align	6, 0x0
	.amdhsa_kernel _ZN4vllm25paged_attention_v2_kernelIthLi80ELi8ELi128ELNS_18Fp8KVCacheDataTypeE1ELb0ELi512EEEvPfS2_PT_PKS3_PKT0_S9_ifPKiSB_iPKfiiiSD_SD_iiiii
		.amdhsa_group_segment_fixed_size 192
		.amdhsa_private_segment_fixed_size 0
		.amdhsa_kernarg_size 400
		.amdhsa_user_sgpr_count 2
		.amdhsa_user_sgpr_dispatch_ptr 0
		.amdhsa_user_sgpr_queue_ptr 0
		.amdhsa_user_sgpr_kernarg_segment_ptr 1
		.amdhsa_user_sgpr_dispatch_id 0
		.amdhsa_user_sgpr_private_segment_size 0
		.amdhsa_wavefront_size32 1
		.amdhsa_uses_dynamic_stack 0
		.amdhsa_enable_private_segment 0
		.amdhsa_system_sgpr_workgroup_id_x 1
		.amdhsa_system_sgpr_workgroup_id_y 1
		.amdhsa_system_sgpr_workgroup_id_z 1
		.amdhsa_system_sgpr_workgroup_info 0
		.amdhsa_system_vgpr_workitem_id 0
		.amdhsa_next_free_vgpr 56
		.amdhsa_next_free_sgpr 38
		.amdhsa_reserve_vcc 1
		.amdhsa_float_round_mode_32 0
		.amdhsa_float_round_mode_16_64 0
		.amdhsa_float_denorm_mode_32 3
		.amdhsa_float_denorm_mode_16_64 3
		.amdhsa_fp16_overflow 0
		.amdhsa_workgroup_processor_mode 1
		.amdhsa_memory_ordered 1
		.amdhsa_forward_progress 1
		.amdhsa_inst_pref_size 122
		.amdhsa_round_robin_scheduling 0
		.amdhsa_exception_fp_ieee_invalid_op 0
		.amdhsa_exception_fp_denorm_src 0
		.amdhsa_exception_fp_ieee_div_zero 0
		.amdhsa_exception_fp_ieee_overflow 0
		.amdhsa_exception_fp_ieee_underflow 0
		.amdhsa_exception_fp_ieee_inexact 0
		.amdhsa_exception_int_div_zero 0
	.end_amdhsa_kernel
	.section	.text._ZN4vllm25paged_attention_v2_kernelIthLi80ELi8ELi128ELNS_18Fp8KVCacheDataTypeE1ELb0ELi512EEEvPfS2_PT_PKS3_PKT0_S9_ifPKiSB_iPKfiiiSD_SD_iiiii,"axG",@progbits,_ZN4vllm25paged_attention_v2_kernelIthLi80ELi8ELi128ELNS_18Fp8KVCacheDataTypeE1ELb0ELi512EEEvPfS2_PT_PKS3_PKT0_S9_ifPKiSB_iPKfiiiSD_SD_iiiii,comdat
.Lfunc_end254:
	.size	_ZN4vllm25paged_attention_v2_kernelIthLi80ELi8ELi128ELNS_18Fp8KVCacheDataTypeE1ELb0ELi512EEEvPfS2_PT_PKS3_PKT0_S9_ifPKiSB_iPKfiiiSD_SD_iiiii, .Lfunc_end254-_ZN4vllm25paged_attention_v2_kernelIthLi80ELi8ELi128ELNS_18Fp8KVCacheDataTypeE1ELb0ELi512EEEvPfS2_PT_PKS3_PKT0_S9_ifPKiSB_iPKfiiiSD_SD_iiiii
                                        ; -- End function
	.set _ZN4vllm25paged_attention_v2_kernelIthLi80ELi8ELi128ELNS_18Fp8KVCacheDataTypeE1ELb0ELi512EEEvPfS2_PT_PKS3_PKT0_S9_ifPKiSB_iPKfiiiSD_SD_iiiii.num_vgpr, 56
	.set _ZN4vllm25paged_attention_v2_kernelIthLi80ELi8ELi128ELNS_18Fp8KVCacheDataTypeE1ELb0ELi512EEEvPfS2_PT_PKS3_PKT0_S9_ifPKiSB_iPKfiiiSD_SD_iiiii.num_agpr, 0
	.set _ZN4vllm25paged_attention_v2_kernelIthLi80ELi8ELi128ELNS_18Fp8KVCacheDataTypeE1ELb0ELi512EEEvPfS2_PT_PKS3_PKT0_S9_ifPKiSB_iPKfiiiSD_SD_iiiii.numbered_sgpr, 38
	.set _ZN4vllm25paged_attention_v2_kernelIthLi80ELi8ELi128ELNS_18Fp8KVCacheDataTypeE1ELb0ELi512EEEvPfS2_PT_PKS3_PKT0_S9_ifPKiSB_iPKfiiiSD_SD_iiiii.num_named_barrier, 0
	.set _ZN4vllm25paged_attention_v2_kernelIthLi80ELi8ELi128ELNS_18Fp8KVCacheDataTypeE1ELb0ELi512EEEvPfS2_PT_PKS3_PKT0_S9_ifPKiSB_iPKfiiiSD_SD_iiiii.private_seg_size, 0
	.set _ZN4vllm25paged_attention_v2_kernelIthLi80ELi8ELi128ELNS_18Fp8KVCacheDataTypeE1ELb0ELi512EEEvPfS2_PT_PKS3_PKT0_S9_ifPKiSB_iPKfiiiSD_SD_iiiii.uses_vcc, 1
	.set _ZN4vllm25paged_attention_v2_kernelIthLi80ELi8ELi128ELNS_18Fp8KVCacheDataTypeE1ELb0ELi512EEEvPfS2_PT_PKS3_PKT0_S9_ifPKiSB_iPKfiiiSD_SD_iiiii.uses_flat_scratch, 0
	.set _ZN4vllm25paged_attention_v2_kernelIthLi80ELi8ELi128ELNS_18Fp8KVCacheDataTypeE1ELb0ELi512EEEvPfS2_PT_PKS3_PKT0_S9_ifPKiSB_iPKfiiiSD_SD_iiiii.has_dyn_sized_stack, 0
	.set _ZN4vllm25paged_attention_v2_kernelIthLi80ELi8ELi128ELNS_18Fp8KVCacheDataTypeE1ELb0ELi512EEEvPfS2_PT_PKS3_PKT0_S9_ifPKiSB_iPKfiiiSD_SD_iiiii.has_recursion, 0
	.set _ZN4vllm25paged_attention_v2_kernelIthLi80ELi8ELi128ELNS_18Fp8KVCacheDataTypeE1ELb0ELi512EEEvPfS2_PT_PKS3_PKT0_S9_ifPKiSB_iPKfiiiSD_SD_iiiii.has_indirect_call, 0
	.section	.AMDGPU.csdata,"",@progbits
; Kernel info:
; codeLenInByte = 15616
; TotalNumSgprs: 40
; NumVgprs: 56
; ScratchSize: 0
; MemoryBound: 0
; FloatMode: 240
; IeeeMode: 1
; LDSByteSize: 192 bytes/workgroup (compile time only)
; SGPRBlocks: 0
; VGPRBlocks: 6
; NumSGPRsForWavesPerEU: 40
; NumVGPRsForWavesPerEU: 56
; Occupancy: 16
; WaveLimiterHint : 1
; COMPUTE_PGM_RSRC2:SCRATCH_EN: 0
; COMPUTE_PGM_RSRC2:USER_SGPR: 2
; COMPUTE_PGM_RSRC2:TRAP_HANDLER: 0
; COMPUTE_PGM_RSRC2:TGID_X_EN: 1
; COMPUTE_PGM_RSRC2:TGID_Y_EN: 1
; COMPUTE_PGM_RSRC2:TGID_Z_EN: 1
; COMPUTE_PGM_RSRC2:TIDIG_COMP_CNT: 0
	.section	.text._ZN4vllm25paged_attention_v2_kernelIthLi96ELi8ELi128ELNS_18Fp8KVCacheDataTypeE1ELb0ELi512EEEvPfS2_PT_PKS3_PKT0_S9_ifPKiSB_iPKfiiiSD_SD_iiiii,"axG",@progbits,_ZN4vllm25paged_attention_v2_kernelIthLi96ELi8ELi128ELNS_18Fp8KVCacheDataTypeE1ELb0ELi512EEEvPfS2_PT_PKS3_PKT0_S9_ifPKiSB_iPKfiiiSD_SD_iiiii,comdat
	.protected	_ZN4vllm25paged_attention_v2_kernelIthLi96ELi8ELi128ELNS_18Fp8KVCacheDataTypeE1ELb0ELi512EEEvPfS2_PT_PKS3_PKT0_S9_ifPKiSB_iPKfiiiSD_SD_iiiii ; -- Begin function _ZN4vllm25paged_attention_v2_kernelIthLi96ELi8ELi128ELNS_18Fp8KVCacheDataTypeE1ELb0ELi512EEEvPfS2_PT_PKS3_PKT0_S9_ifPKiSB_iPKfiiiSD_SD_iiiii
	.globl	_ZN4vllm25paged_attention_v2_kernelIthLi96ELi8ELi128ELNS_18Fp8KVCacheDataTypeE1ELb0ELi512EEEvPfS2_PT_PKS3_PKT0_S9_ifPKiSB_iPKfiiiSD_SD_iiiii
	.p2align	8
	.type	_ZN4vllm25paged_attention_v2_kernelIthLi96ELi8ELi128ELNS_18Fp8KVCacheDataTypeE1ELb0ELi512EEEvPfS2_PT_PKS3_PKT0_S9_ifPKiSB_iPKfiiiSD_SD_iiiii,@function
_ZN4vllm25paged_attention_v2_kernelIthLi96ELi8ELi128ELNS_18Fp8KVCacheDataTypeE1ELb0ELi512EEEvPfS2_PT_PKS3_PKT0_S9_ifPKiSB_iPKfiiiSD_SD_iiiii: ; @_ZN4vllm25paged_attention_v2_kernelIthLi96ELi8ELi128ELNS_18Fp8KVCacheDataTypeE1ELb0ELi512EEEvPfS2_PT_PKS3_PKT0_S9_ifPKiSB_iPKfiiiSD_SD_iiiii
; %bb.0:
	s_load_b64 s[2:3], s[0:1], 0x40
	s_and_b32 s22, ttmp7, 0xffff
	s_lshr_b32 s26, ttmp7, 16
	s_lshl_b32 s4, s22, 2
	s_lshl_b32 s28, s26, 9
	s_wait_kmcnt 0x0
	s_load_b32 s27, s[2:3], s4 offset:0x0
	s_wait_kmcnt 0x0
	s_cmp_ge_i32 s28, s27
	s_cbranch_scc1 .LBB255_434
; %bb.1:
	s_clause 0x1
	s_load_b32 s23, s[0:1], 0x90
	s_load_b64 s[6:7], s[0:1], 0x30
	s_wait_kmcnt 0x0
	s_abs_i32 s5, s23
	s_abs_i32 s2, s6
	s_delay_alu instid0(SALU_CYCLE_1) | instskip(SKIP_1) | instid1(SALU_CYCLE_2)
	s_cvt_f32_u32 s3, s2
	s_sub_co_i32 s4, 0, s2
	v_rcp_iflag_f32_e32 v1, s3
	s_delay_alu instid0(TRANS32_DEP_1) | instskip(SKIP_2) | instid1(SALU_CYCLE_2)
	v_readfirstlane_b32 s3, v1
	s_mul_f32 s3, s3, 0x4f7ffffe
	s_wait_alu 0xfffe
	s_cvt_u32_f32 s3, s3
	s_wait_alu 0xfffe
	s_delay_alu instid0(SALU_CYCLE_2) | instskip(NEXT) | instid1(SALU_CYCLE_1)
	s_mul_i32 s4, s4, s3
	s_mul_hi_u32 s4, s3, s4
	s_delay_alu instid0(SALU_CYCLE_1)
	s_add_co_i32 s3, s3, s4
	s_xor_b32 s4, s23, s6
	s_wait_alu 0xfffe
	s_mul_hi_u32 s3, s5, s3
	s_ashr_i32 s4, s4, 31
	s_wait_alu 0xfffe
	s_mul_i32 s6, s3, s2
	s_delay_alu instid0(SALU_CYCLE_1)
	s_sub_co_i32 s5, s5, s6
	s_add_co_i32 s6, s3, 1
	s_sub_co_i32 s8, s5, s2
	s_cmp_ge_u32 s5, s2
	s_cselect_b32 s3, s6, s3
	s_cselect_b32 s5, s8, s5
	s_wait_alu 0xfffe
	s_add_co_i32 s6, s3, 1
	s_cmp_ge_u32 s5, s2
	s_load_b64 s[8:9], s[0:1], 0x50
	s_cselect_b32 s2, s6, s3
	s_mov_b32 s3, 0
	s_wait_alu 0xfffe
	s_xor_b32 s2, s2, s4
	s_mov_b32 s6, s3
	s_wait_alu 0xfffe
	s_sub_co_i32 s11, s2, s4
	s_delay_alu instid0(SALU_CYCLE_1) | instskip(NEXT) | instid1(SALU_CYCLE_1)
	s_abs_i32 s10, s11
	s_cvt_f32_u32 s2, s10
	s_wait_alu 0xfffe
	s_delay_alu instid0(SALU_CYCLE_2) | instskip(NEXT) | instid1(TRANS32_DEP_1)
	v_rcp_iflag_f32_e32 v1, s2
	v_readfirstlane_b32 s2, v1
	s_mul_f32 s2, s2, 0x4f7ffffe
	s_wait_alu 0xfffe
	s_delay_alu instid0(SALU_CYCLE_2) | instskip(SKIP_2) | instid1(SALU_CYCLE_1)
	s_cvt_u32_f32 s4, s2
	s_sub_co_i32 s2, 0, s10
	s_wait_alu 0xfffe
	s_mul_i32 s2, s2, s4
	s_wait_alu 0xfffe
	s_mul_hi_u32 s5, s4, s2
	s_abs_i32 s2, ttmp9
	s_add_co_i32 s4, s4, s5
	s_mov_b32 s5, s3
	s_wait_kmcnt 0x0
	s_cmp_eq_u64 s[8:9], 0
	s_cbranch_scc1 .LBB255_3
; %bb.2:
	s_mov_b32 s12, ttmp9
	s_ashr_i32 s13, ttmp9, 31
	s_delay_alu instid0(SALU_CYCLE_1) | instskip(NEXT) | instid1(SALU_CYCLE_1)
	s_lshl_b64 s[12:13], s[12:13], 2
	s_add_nc_u64 s[8:9], s[8:9], s[12:13]
	s_load_b32 s6, s[8:9], 0x0
.LBB255_3:
	s_load_b96 s[12:14], s[0:1], 0x58
	v_and_b32_e32 v1, 3, v0
	s_mul_u64 s[4:5], s[2:3], s[4:5]
	s_ashr_i32 s3, ttmp9, 31
	s_ashr_i32 s4, s11, 31
	s_mul_i32 s16, ttmp9, 0x60
	s_mov_b32 s8, exec_lo
	v_cmpx_gt_u32_e32 48, v0
	s_cbranch_execz .LBB255_5
; %bb.4:
	s_load_b64 s[18:19], s[0:1], 0x18
	s_wait_kmcnt 0x0
	s_mul_i32 s20, s12, s22
	s_ashr_i32 s17, s16, 31
	s_ashr_i32 s21, s20, 31
	v_lshlrev_b32_e32 v2, 2, v0
	s_lshl_b64 s[20:21], s[20:21], 1
	v_and_b32_e32 v3, 0x3fc, v0
	s_delay_alu instid0(VALU_DEP_1) | instskip(SKIP_2) | instid1(SALU_CYCLE_1)
	v_mad_u32_u24 v3, v1, 48, v3
	s_add_nc_u64 s[18:19], s[18:19], s[20:21]
	s_lshl_b64 s[20:21], s[16:17], 1
	s_add_nc_u64 s[18:19], s[18:19], s[20:21]
	global_load_b32 v2, v2, s[18:19]
	s_wait_loadcnt 0x0
	ds_store_b32 v3, v2
.LBB255_5:
	s_or_b32 exec_lo, exec_lo, s8
	s_add_co_i32 s8, s27, 7
	s_wait_alu 0xfffe
	s_xor_b32 s3, s3, s4
	s_ashr_i32 s9, s8, 31
	s_lshl_b32 s30, s26, 6
	s_lshr_b32 s4, s9, 29
	s_mul_i32 s9, s5, s10
	s_add_co_i32 s8, s8, s4
	s_add_co_i32 s4, s30, 64
	s_ashr_i32 s29, s8, 3
	s_load_b32 s8, s[0:1], 0x48
	s_sub_co_i32 s2, s2, s9
	s_min_i32 s17, s4, s29
	s_add_co_i32 s4, s5, 1
	s_wait_alu 0xfffe
	s_sub_co_i32 s9, s2, s10
	s_cmp_ge_u32 s2, s10
	v_lshrrev_b32_e32 v11, 5, v0
	s_cselect_b32 s4, s4, s5
	s_cselect_b32 s2, s9, s2
	s_add_co_i32 s5, s4, 1
	s_wait_alu 0xfffe
	s_cmp_ge_u32 s2, s10
	v_or_b32_e32 v12, s30, v11
	s_cselect_b32 s2, s5, s4
	v_mbcnt_lo_u32_b32 v13, -1, 0
	s_wait_alu 0xfffe
	s_xor_b32 s2, s2, s3
	s_mov_b32 s4, exec_lo
	s_wait_alu 0xfffe
	s_sub_co_i32 s3, s2, s3
	v_cmp_gt_i32_e64 s2, s17, v12
	s_wait_dscnt 0x0
	s_barrier_signal -1
	s_wait_kmcnt 0x0
	s_mul_i32 s18, s8, s22
	s_barrier_wait -1
	s_ashr_i32 s19, s18, 31
	global_inv scope:SCOPE_SE
                                        ; implicit-def: $vgpr2
                                        ; implicit-def: $vgpr15
	v_cmpx_le_i32_e64 s17, v12
	s_xor_b32 s4, exec_lo, s4
; %bb.6:
	v_dual_mov_b32 v2, 0 :: v_dual_mov_b32 v15, 32
	v_mbcnt_lo_u32_b32 v13, -1, 0
                                        ; implicit-def: $vgpr1
; %bb.7:
	s_or_saveexec_b32 s24, s4
	s_clause 0x2
	s_load_b32 s12, s[0:1], 0x98
	s_load_b64 s[20:21], s[0:1], 0x38
	s_load_b128 s[8:11], s[0:1], 0x68
	v_dual_mov_b32 v14, 0xff7fffff :: v_dual_lshlrev_b32 v9, 2, v12
	v_lshlrev_b32_e32 v10, 3, v11
	s_mul_i32 s14, s3, s14
	s_xor_b32 exec_lo, exec_lo, s24
	s_cbranch_execz .LBB255_205
; %bb.8:
	s_load_b64 s[4:5], s[0:1], 0x20
	v_bfe_u32 v3, v0, 2, 3
	v_mov_b32_e32 v2, 0
	v_dual_mov_b32 v15, 32 :: v_dual_lshlrev_b32 v4, 1, v1
	v_mul_u32_u24_e32 v16, 48, v1
	v_cmp_eq_u32_e32 vcc_lo, 0, v1
	v_lshlrev_b32_e32 v1, 4, v3
	v_dual_mov_b32 v14, 0xff7fffff :: v_dual_lshlrev_b32 v5, 2, v3
	s_ashr_i32 s15, s14, 31
	s_cmp_neq_f32 s6, 0
	v_add3_u32 v17, s28, v10, v3
	s_delay_alu instid0(VALU_DEP_2) | instskip(SKIP_3) | instid1(VALU_DEP_1)
	v_lshl_or_b32 v3, v11, 5, v5
	s_mov_b32 s25, s13
	s_cselect_b32 s3, -1, 0
	s_lshl_b64 s[34:35], s[18:19], 2
	v_dual_mov_b32 v19, v12 :: v_dual_add_nc_u32 v18, 0xe0, v3
	s_wait_kmcnt 0x0
	s_add_nc_u64 s[34:35], s[20:21], s[34:35]
	s_add_nc_u64 s[4:5], s[4:5], s[14:15]
	s_mov_b32 s15, 0
	v_add_co_u32 v1, s4, s4, v1
	s_wait_alu 0xf1ff
	v_add_co_ci_u32_e64 v5, null, s5, 0, s4
	s_sub_co_i32 s31, 1, s27
	v_add_co_u32 v3, s4, v1, v4
	s_wait_alu 0xf1ff
	v_add_co_ci_u32_e64 v4, null, 0, v5, s4
	v_add_co_u32 v5, s4, s34, v9
	s_wait_alu 0xf1ff
	v_add_co_ci_u32_e64 v6, null, s35, 0, s4
	s_branch .LBB255_10
.LBB255_9:                              ;   in Loop: Header=BB255_10 Depth=1
	s_wait_alu 0xfffe
	s_or_b32 exec_lo, exec_lo, s5
	v_add_nc_u32_e32 v19, 4, v19
	v_add_co_u32 v5, s5, v5, 16
	v_add_nc_u32_e32 v17, 32, v17
	v_add_nc_u32_e32 v18, 0x80, v18
	s_delay_alu instid0(VALU_DEP_4) | instskip(SKIP_3) | instid1(SALU_CYCLE_1)
	v_cmp_le_i32_e64 s4, s17, v19
	s_wait_alu 0xf1ff
	v_add_co_ci_u32_e64 v6, null, 0, v6, s5
	s_or_b32 s15, s4, s15
	s_and_not1_b32 exec_lo, exec_lo, s15
	s_cbranch_execz .LBB255_204
.LBB255_10:                             ; =>This Inner Loop Header: Depth=1
	global_load_b32 v1, v[5:6], off
	s_wait_loadcnt_dscnt 0x0
	v_mad_co_i64_i32 v[7:8], null, v1, s25, v[3:4]
	global_load_u16 v1, v[7:8], off
	s_wait_loadcnt 0x0
	v_dual_mov_b32 v21, 0 :: v_dual_and_b32 v22, 0xff, v1
	global_load_b32 v20, v21, s[8:9]
	v_and_b32_e32 v1, 0xffff, v1
	v_cmp_ne_u16_e64 s4, 0, v22
	v_mov_b32_e32 v22, 0
	s_and_saveexec_b32 s5, s4
	s_cbranch_execz .LBB255_18
; %bb.11:                               ;   in Loop: Header=BB255_10 Depth=1
	v_and_b32_e32 v22, 0xff, v1
	s_delay_alu instid0(VALU_DEP_1)
	v_cmp_ne_u16_e64 s4, 0x80, v22
	v_mov_b32_e32 v22, 0x8000
	s_and_saveexec_b32 s33, s4
	s_cbranch_execz .LBB255_17
; %bb.12:                               ;   in Loop: Header=BB255_10 Depth=1
	v_and_b32_e32 v24, 0x7f, v1
	v_mov_b32_e32 v22, 0x7c01
	s_mov_b32 s34, exec_lo
	s_delay_alu instid0(VALU_DEP_2)
	v_cmpx_ne_u32_e32 0x7f, v24
	s_cbranch_execz .LBB255_16
; %bb.13:                               ;   in Loop: Header=BB255_10 Depth=1
	v_and_b32_e32 v22, 7, v1
	v_lshrrev_b32_e32 v23, 3, v24
	s_mov_b32 s35, exec_lo
	v_cmpx_gt_u32_e32 8, v24
; %bb.14:                               ;   in Loop: Header=BB255_10 Depth=1
	s_delay_alu instid0(VALU_DEP_3) | instskip(NEXT) | instid1(VALU_DEP_1)
	v_clz_i32_u32_e32 v22, v22
	v_min_u32_e32 v24, 32, v22
	s_delay_alu instid0(VALU_DEP_1) | instskip(NEXT) | instid1(VALU_DEP_1)
	v_subrev_nc_u32_e32 v22, 28, v24
	v_lshlrev_b64_e32 v[22:23], v22, v[1:2]
	v_sub_nc_u32_e32 v23, 29, v24
	s_delay_alu instid0(VALU_DEP_2)
	v_and_b32_e32 v22, 7, v22
; %bb.15:                               ;   in Loop: Header=BB255_10 Depth=1
	s_wait_alu 0xfffe
	s_or_b32 exec_lo, exec_lo, s35
	v_lshlrev_b32_e32 v24, 8, v1
	v_lshl_add_u32 v23, v23, 10, 0x2000
	v_lshlrev_b32_e32 v22, 7, v22
	s_delay_alu instid0(VALU_DEP_3) | instskip(NEXT) | instid1(VALU_DEP_3)
	v_and_b32_e32 v24, 0x8000, v24
	v_and_b32_e32 v23, 0xfc00, v23
	s_delay_alu instid0(VALU_DEP_1)
	v_or3_b32 v22, v24, v23, v22
.LBB255_16:                             ;   in Loop: Header=BB255_10 Depth=1
	s_wait_alu 0xfffe
	s_or_b32 exec_lo, exec_lo, s34
.LBB255_17:                             ;   in Loop: Header=BB255_10 Depth=1
	s_delay_alu instid0(SALU_CYCLE_1)
	s_or_b32 exec_lo, exec_lo, s33
.LBB255_18:                             ;   in Loop: Header=BB255_10 Depth=1
	s_wait_alu 0xfffe
	s_or_b32 exec_lo, exec_lo, s5
	v_lshrrev_b16 v1, 8, v1
	s_mov_b32 s5, exec_lo
	s_delay_alu instid0(VALU_DEP_1)
	v_cmpx_ne_u16_e32 0, v1
	s_cbranch_execz .LBB255_26
; %bb.19:                               ;   in Loop: Header=BB255_10 Depth=1
	v_bfrev_b32_e32 v21, 1
	s_mov_b32 s33, exec_lo
	v_cmpx_ne_u16_e32 0x80, v1
	s_cbranch_execz .LBB255_25
; %bb.20:                               ;   in Loop: Header=BB255_10 Depth=1
	v_and_b32_e32 v23, 0xffff, v1
	v_mov_b32_e32 v21, 0x7c010000
	s_mov_b32 s34, exec_lo
	s_delay_alu instid0(VALU_DEP_2) | instskip(NEXT) | instid1(VALU_DEP_1)
	v_and_b32_e32 v25, 0x7f, v23
	v_cmpx_ne_u32_e32 0x7f, v25
	s_cbranch_execz .LBB255_24
; %bb.21:                               ;   in Loop: Header=BB255_10 Depth=1
	v_and_b32_e32 v21, 7, v23
	v_lshrrev_b32_e32 v24, 3, v25
	s_mov_b32 s35, exec_lo
	v_cmpx_gt_u32_e32 8, v25
; %bb.22:                               ;   in Loop: Header=BB255_10 Depth=1
	s_delay_alu instid0(VALU_DEP_3) | instskip(NEXT) | instid1(VALU_DEP_1)
	v_clz_i32_u32_e32 v21, v21
	v_min_u32_e32 v21, 32, v21
	s_delay_alu instid0(VALU_DEP_1) | instskip(NEXT) | instid1(VALU_DEP_1)
	v_subrev_nc_u32_e32 v24, 28, v21
	v_lshlrev_b64_e32 v[25:26], v24, v[1:2]
	v_sub_nc_u32_e32 v24, 29, v21
	s_delay_alu instid0(VALU_DEP_2)
	v_and_b32_e32 v21, 7, v25
; %bb.23:                               ;   in Loop: Header=BB255_10 Depth=1
	s_wait_alu 0xfffe
	s_or_b32 exec_lo, exec_lo, s35
	v_lshlrev_b32_e32 v1, 8, v23
	v_lshl_add_u32 v23, v24, 10, 0x2000
	v_lshlrev_b32_e32 v21, 23, v21
	s_delay_alu instid0(VALU_DEP_2) | instskip(NEXT) | instid1(VALU_DEP_1)
	v_and_or_b32 v1, 0x8000, v1, v23
	v_lshl_or_b32 v21, v1, 16, v21
.LBB255_24:                             ;   in Loop: Header=BB255_10 Depth=1
	s_wait_alu 0xfffe
	s_or_b32 exec_lo, exec_lo, s34
.LBB255_25:                             ;   in Loop: Header=BB255_10 Depth=1
	s_delay_alu instid0(SALU_CYCLE_1)
	s_or_b32 exec_lo, exec_lo, s33
.LBB255_26:                             ;   in Loop: Header=BB255_10 Depth=1
	s_wait_alu 0xfffe
	s_or_b32 exec_lo, exec_lo, s5
	global_load_u16 v1, v[7:8], off offset:8
	s_wait_loadcnt 0x0
	v_dual_mov_b32 v23, 0 :: v_dual_and_b32 v24, 0xff, v1
	v_and_b32_e32 v1, 0xffff, v1
	s_delay_alu instid0(VALU_DEP_2)
	v_cmp_ne_u16_e64 s4, 0, v24
	v_mov_b32_e32 v24, 0
	s_and_saveexec_b32 s5, s4
	s_cbranch_execz .LBB255_34
; %bb.27:                               ;   in Loop: Header=BB255_10 Depth=1
	v_and_b32_e32 v24, 0xff, v1
	s_delay_alu instid0(VALU_DEP_1)
	v_cmp_ne_u16_e64 s4, 0x80, v24
	v_mov_b32_e32 v24, 0x8000
	s_and_saveexec_b32 s33, s4
	s_cbranch_execz .LBB255_33
; %bb.28:                               ;   in Loop: Header=BB255_10 Depth=1
	v_and_b32_e32 v26, 0x7f, v1
	v_mov_b32_e32 v24, 0x7c01
	s_mov_b32 s34, exec_lo
	s_delay_alu instid0(VALU_DEP_2)
	v_cmpx_ne_u32_e32 0x7f, v26
	s_cbranch_execz .LBB255_32
; %bb.29:                               ;   in Loop: Header=BB255_10 Depth=1
	v_and_b32_e32 v24, 7, v1
	v_lshrrev_b32_e32 v25, 3, v26
	s_mov_b32 s35, exec_lo
	v_cmpx_gt_u32_e32 8, v26
; %bb.30:                               ;   in Loop: Header=BB255_10 Depth=1
	s_delay_alu instid0(VALU_DEP_3) | instskip(NEXT) | instid1(VALU_DEP_1)
	v_clz_i32_u32_e32 v24, v24
	v_min_u32_e32 v26, 32, v24
	s_delay_alu instid0(VALU_DEP_1) | instskip(NEXT) | instid1(VALU_DEP_1)
	v_subrev_nc_u32_e32 v24, 28, v26
	v_lshlrev_b64_e32 v[24:25], v24, v[1:2]
	v_sub_nc_u32_e32 v25, 29, v26
	s_delay_alu instid0(VALU_DEP_2)
	v_and_b32_e32 v24, 7, v24
; %bb.31:                               ;   in Loop: Header=BB255_10 Depth=1
	s_wait_alu 0xfffe
	s_or_b32 exec_lo, exec_lo, s35
	v_lshlrev_b32_e32 v26, 8, v1
	v_lshl_add_u32 v25, v25, 10, 0x2000
	v_lshlrev_b32_e32 v24, 7, v24
	s_delay_alu instid0(VALU_DEP_3) | instskip(NEXT) | instid1(VALU_DEP_3)
	v_and_b32_e32 v26, 0x8000, v26
	v_and_b32_e32 v25, 0xfc00, v25
	s_delay_alu instid0(VALU_DEP_1)
	v_or3_b32 v24, v26, v25, v24
.LBB255_32:                             ;   in Loop: Header=BB255_10 Depth=1
	s_wait_alu 0xfffe
	s_or_b32 exec_lo, exec_lo, s34
.LBB255_33:                             ;   in Loop: Header=BB255_10 Depth=1
	s_delay_alu instid0(SALU_CYCLE_1)
	s_or_b32 exec_lo, exec_lo, s33
.LBB255_34:                             ;   in Loop: Header=BB255_10 Depth=1
	s_wait_alu 0xfffe
	s_or_b32 exec_lo, exec_lo, s5
	v_lshrrev_b16 v1, 8, v1
	s_mov_b32 s5, exec_lo
	s_delay_alu instid0(VALU_DEP_1)
	v_cmpx_ne_u16_e32 0, v1
	s_cbranch_execz .LBB255_42
; %bb.35:                               ;   in Loop: Header=BB255_10 Depth=1
	v_bfrev_b32_e32 v23, 1
	s_mov_b32 s33, exec_lo
	v_cmpx_ne_u16_e32 0x80, v1
	s_cbranch_execz .LBB255_41
; %bb.36:                               ;   in Loop: Header=BB255_10 Depth=1
	v_and_b32_e32 v25, 0xffff, v1
	v_mov_b32_e32 v23, 0x7c010000
	s_mov_b32 s34, exec_lo
	s_delay_alu instid0(VALU_DEP_2) | instskip(NEXT) | instid1(VALU_DEP_1)
	v_and_b32_e32 v27, 0x7f, v25
	v_cmpx_ne_u32_e32 0x7f, v27
	s_cbranch_execz .LBB255_40
; %bb.37:                               ;   in Loop: Header=BB255_10 Depth=1
	v_and_b32_e32 v23, 7, v25
	v_lshrrev_b32_e32 v26, 3, v27
	s_mov_b32 s35, exec_lo
	v_cmpx_gt_u32_e32 8, v27
; %bb.38:                               ;   in Loop: Header=BB255_10 Depth=1
	s_delay_alu instid0(VALU_DEP_3) | instskip(NEXT) | instid1(VALU_DEP_1)
	v_clz_i32_u32_e32 v23, v23
	v_min_u32_e32 v23, 32, v23
	s_delay_alu instid0(VALU_DEP_1) | instskip(NEXT) | instid1(VALU_DEP_1)
	v_subrev_nc_u32_e32 v26, 28, v23
	v_lshlrev_b64_e32 v[27:28], v26, v[1:2]
	v_sub_nc_u32_e32 v26, 29, v23
	s_delay_alu instid0(VALU_DEP_2)
	v_and_b32_e32 v23, 7, v27
; %bb.39:                               ;   in Loop: Header=BB255_10 Depth=1
	s_wait_alu 0xfffe
	s_or_b32 exec_lo, exec_lo, s35
	v_lshlrev_b32_e32 v1, 8, v25
	v_lshl_add_u32 v25, v26, 10, 0x2000
	v_lshlrev_b32_e32 v23, 23, v23
	s_delay_alu instid0(VALU_DEP_2) | instskip(NEXT) | instid1(VALU_DEP_1)
	v_and_or_b32 v1, 0x8000, v1, v25
	v_lshl_or_b32 v23, v1, 16, v23
.LBB255_40:                             ;   in Loop: Header=BB255_10 Depth=1
	s_wait_alu 0xfffe
	s_or_b32 exec_lo, exec_lo, s34
.LBB255_41:                             ;   in Loop: Header=BB255_10 Depth=1
	s_delay_alu instid0(SALU_CYCLE_1)
	s_or_b32 exec_lo, exec_lo, s33
.LBB255_42:                             ;   in Loop: Header=BB255_10 Depth=1
	s_wait_alu 0xfffe
	s_or_b32 exec_lo, exec_lo, s5
	global_load_u16 v1, v[7:8], off offset:128
	s_wait_loadcnt 0x0
	v_dual_mov_b32 v25, 0 :: v_dual_and_b32 v26, 0xff, v1
	v_and_b32_e32 v1, 0xffff, v1
	s_delay_alu instid0(VALU_DEP_2)
	v_cmp_ne_u16_e64 s4, 0, v26
	v_mov_b32_e32 v26, 0
	s_and_saveexec_b32 s5, s4
	s_cbranch_execz .LBB255_50
; %bb.43:                               ;   in Loop: Header=BB255_10 Depth=1
	v_and_b32_e32 v26, 0xff, v1
	s_delay_alu instid0(VALU_DEP_1)
	v_cmp_ne_u16_e64 s4, 0x80, v26
	v_mov_b32_e32 v26, 0x8000
	s_and_saveexec_b32 s33, s4
	s_cbranch_execz .LBB255_49
; %bb.44:                               ;   in Loop: Header=BB255_10 Depth=1
	v_and_b32_e32 v28, 0x7f, v1
	v_mov_b32_e32 v26, 0x7c01
	s_mov_b32 s34, exec_lo
	s_delay_alu instid0(VALU_DEP_2)
	v_cmpx_ne_u32_e32 0x7f, v28
	s_cbranch_execz .LBB255_48
; %bb.45:                               ;   in Loop: Header=BB255_10 Depth=1
	v_and_b32_e32 v26, 7, v1
	v_lshrrev_b32_e32 v27, 3, v28
	s_mov_b32 s35, exec_lo
	v_cmpx_gt_u32_e32 8, v28
; %bb.46:                               ;   in Loop: Header=BB255_10 Depth=1
	s_delay_alu instid0(VALU_DEP_3) | instskip(NEXT) | instid1(VALU_DEP_1)
	v_clz_i32_u32_e32 v26, v26
	v_min_u32_e32 v28, 32, v26
	s_delay_alu instid0(VALU_DEP_1) | instskip(NEXT) | instid1(VALU_DEP_1)
	v_subrev_nc_u32_e32 v26, 28, v28
	v_lshlrev_b64_e32 v[26:27], v26, v[1:2]
	v_sub_nc_u32_e32 v27, 29, v28
	s_delay_alu instid0(VALU_DEP_2)
	v_and_b32_e32 v26, 7, v26
; %bb.47:                               ;   in Loop: Header=BB255_10 Depth=1
	s_wait_alu 0xfffe
	s_or_b32 exec_lo, exec_lo, s35
	v_lshlrev_b32_e32 v28, 8, v1
	v_lshl_add_u32 v27, v27, 10, 0x2000
	v_lshlrev_b32_e32 v26, 7, v26
	s_delay_alu instid0(VALU_DEP_3) | instskip(NEXT) | instid1(VALU_DEP_3)
	v_and_b32_e32 v28, 0x8000, v28
	v_and_b32_e32 v27, 0xfc00, v27
	s_delay_alu instid0(VALU_DEP_1)
	v_or3_b32 v26, v28, v27, v26
.LBB255_48:                             ;   in Loop: Header=BB255_10 Depth=1
	s_wait_alu 0xfffe
	s_or_b32 exec_lo, exec_lo, s34
.LBB255_49:                             ;   in Loop: Header=BB255_10 Depth=1
	s_delay_alu instid0(SALU_CYCLE_1)
	s_or_b32 exec_lo, exec_lo, s33
.LBB255_50:                             ;   in Loop: Header=BB255_10 Depth=1
	s_wait_alu 0xfffe
	s_or_b32 exec_lo, exec_lo, s5
	v_lshrrev_b16 v1, 8, v1
	s_mov_b32 s5, exec_lo
	s_delay_alu instid0(VALU_DEP_1)
	v_cmpx_ne_u16_e32 0, v1
	s_cbranch_execz .LBB255_58
; %bb.51:                               ;   in Loop: Header=BB255_10 Depth=1
	v_bfrev_b32_e32 v25, 1
	s_mov_b32 s33, exec_lo
	v_cmpx_ne_u16_e32 0x80, v1
	s_cbranch_execz .LBB255_57
; %bb.52:                               ;   in Loop: Header=BB255_10 Depth=1
	v_and_b32_e32 v27, 0xffff, v1
	v_mov_b32_e32 v25, 0x7c010000
	s_mov_b32 s34, exec_lo
	s_delay_alu instid0(VALU_DEP_2) | instskip(NEXT) | instid1(VALU_DEP_1)
	v_and_b32_e32 v29, 0x7f, v27
	v_cmpx_ne_u32_e32 0x7f, v29
	s_cbranch_execz .LBB255_56
; %bb.53:                               ;   in Loop: Header=BB255_10 Depth=1
	v_and_b32_e32 v25, 7, v27
	v_lshrrev_b32_e32 v28, 3, v29
	s_mov_b32 s35, exec_lo
	v_cmpx_gt_u32_e32 8, v29
; %bb.54:                               ;   in Loop: Header=BB255_10 Depth=1
	s_delay_alu instid0(VALU_DEP_3) | instskip(NEXT) | instid1(VALU_DEP_1)
	v_clz_i32_u32_e32 v25, v25
	v_min_u32_e32 v25, 32, v25
	s_delay_alu instid0(VALU_DEP_1) | instskip(NEXT) | instid1(VALU_DEP_1)
	v_subrev_nc_u32_e32 v28, 28, v25
	v_lshlrev_b64_e32 v[29:30], v28, v[1:2]
	v_sub_nc_u32_e32 v28, 29, v25
	s_delay_alu instid0(VALU_DEP_2)
	v_and_b32_e32 v25, 7, v29
; %bb.55:                               ;   in Loop: Header=BB255_10 Depth=1
	s_wait_alu 0xfffe
	s_or_b32 exec_lo, exec_lo, s35
	v_lshlrev_b32_e32 v1, 8, v27
	v_lshl_add_u32 v27, v28, 10, 0x2000
	v_lshlrev_b32_e32 v25, 23, v25
	s_delay_alu instid0(VALU_DEP_2) | instskip(NEXT) | instid1(VALU_DEP_1)
	v_and_or_b32 v1, 0x8000, v1, v27
	v_lshl_or_b32 v25, v1, 16, v25
.LBB255_56:                             ;   in Loop: Header=BB255_10 Depth=1
	s_wait_alu 0xfffe
	s_or_b32 exec_lo, exec_lo, s34
.LBB255_57:                             ;   in Loop: Header=BB255_10 Depth=1
	s_delay_alu instid0(SALU_CYCLE_1)
	s_or_b32 exec_lo, exec_lo, s33
.LBB255_58:                             ;   in Loop: Header=BB255_10 Depth=1
	s_wait_alu 0xfffe
	s_or_b32 exec_lo, exec_lo, s5
	global_load_u16 v1, v[7:8], off offset:136
	s_wait_loadcnt 0x0
	v_dual_mov_b32 v27, 0 :: v_dual_and_b32 v28, 0xff, v1
	v_and_b32_e32 v1, 0xffff, v1
	s_delay_alu instid0(VALU_DEP_2)
	v_cmp_ne_u16_e64 s4, 0, v28
	v_mov_b32_e32 v28, 0
	s_and_saveexec_b32 s5, s4
	s_cbranch_execz .LBB255_66
; %bb.59:                               ;   in Loop: Header=BB255_10 Depth=1
	v_and_b32_e32 v28, 0xff, v1
	s_delay_alu instid0(VALU_DEP_1)
	v_cmp_ne_u16_e64 s4, 0x80, v28
	v_mov_b32_e32 v28, 0x8000
	s_and_saveexec_b32 s33, s4
	s_cbranch_execz .LBB255_65
; %bb.60:                               ;   in Loop: Header=BB255_10 Depth=1
	v_and_b32_e32 v30, 0x7f, v1
	v_mov_b32_e32 v28, 0x7c01
	s_mov_b32 s34, exec_lo
	s_delay_alu instid0(VALU_DEP_2)
	v_cmpx_ne_u32_e32 0x7f, v30
	s_cbranch_execz .LBB255_64
; %bb.61:                               ;   in Loop: Header=BB255_10 Depth=1
	v_and_b32_e32 v28, 7, v1
	v_lshrrev_b32_e32 v29, 3, v30
	s_mov_b32 s35, exec_lo
	v_cmpx_gt_u32_e32 8, v30
; %bb.62:                               ;   in Loop: Header=BB255_10 Depth=1
	s_delay_alu instid0(VALU_DEP_3) | instskip(NEXT) | instid1(VALU_DEP_1)
	v_clz_i32_u32_e32 v28, v28
	v_min_u32_e32 v30, 32, v28
	s_delay_alu instid0(VALU_DEP_1) | instskip(NEXT) | instid1(VALU_DEP_1)
	v_subrev_nc_u32_e32 v28, 28, v30
	v_lshlrev_b64_e32 v[28:29], v28, v[1:2]
	v_sub_nc_u32_e32 v29, 29, v30
	s_delay_alu instid0(VALU_DEP_2)
	v_and_b32_e32 v28, 7, v28
; %bb.63:                               ;   in Loop: Header=BB255_10 Depth=1
	s_wait_alu 0xfffe
	s_or_b32 exec_lo, exec_lo, s35
	v_lshlrev_b32_e32 v30, 8, v1
	v_lshl_add_u32 v29, v29, 10, 0x2000
	v_lshlrev_b32_e32 v28, 7, v28
	s_delay_alu instid0(VALU_DEP_3) | instskip(NEXT) | instid1(VALU_DEP_3)
	v_and_b32_e32 v30, 0x8000, v30
	v_and_b32_e32 v29, 0xfc00, v29
	s_delay_alu instid0(VALU_DEP_1)
	v_or3_b32 v28, v30, v29, v28
.LBB255_64:                             ;   in Loop: Header=BB255_10 Depth=1
	s_wait_alu 0xfffe
	s_or_b32 exec_lo, exec_lo, s34
.LBB255_65:                             ;   in Loop: Header=BB255_10 Depth=1
	s_delay_alu instid0(SALU_CYCLE_1)
	s_or_b32 exec_lo, exec_lo, s33
.LBB255_66:                             ;   in Loop: Header=BB255_10 Depth=1
	s_wait_alu 0xfffe
	s_or_b32 exec_lo, exec_lo, s5
	v_lshrrev_b16 v1, 8, v1
	s_mov_b32 s5, exec_lo
	s_delay_alu instid0(VALU_DEP_1)
	v_cmpx_ne_u16_e32 0, v1
	s_cbranch_execz .LBB255_74
; %bb.67:                               ;   in Loop: Header=BB255_10 Depth=1
	v_bfrev_b32_e32 v27, 1
	s_mov_b32 s33, exec_lo
	v_cmpx_ne_u16_e32 0x80, v1
	s_cbranch_execz .LBB255_73
; %bb.68:                               ;   in Loop: Header=BB255_10 Depth=1
	v_and_b32_e32 v29, 0xffff, v1
	v_mov_b32_e32 v27, 0x7c010000
	s_mov_b32 s34, exec_lo
	s_delay_alu instid0(VALU_DEP_2) | instskip(NEXT) | instid1(VALU_DEP_1)
	v_and_b32_e32 v31, 0x7f, v29
	v_cmpx_ne_u32_e32 0x7f, v31
	s_cbranch_execz .LBB255_72
; %bb.69:                               ;   in Loop: Header=BB255_10 Depth=1
	v_and_b32_e32 v27, 7, v29
	v_lshrrev_b32_e32 v30, 3, v31
	s_mov_b32 s35, exec_lo
	v_cmpx_gt_u32_e32 8, v31
; %bb.70:                               ;   in Loop: Header=BB255_10 Depth=1
	s_delay_alu instid0(VALU_DEP_3) | instskip(NEXT) | instid1(VALU_DEP_1)
	v_clz_i32_u32_e32 v27, v27
	v_min_u32_e32 v27, 32, v27
	s_delay_alu instid0(VALU_DEP_1) | instskip(NEXT) | instid1(VALU_DEP_1)
	v_subrev_nc_u32_e32 v30, 28, v27
	v_lshlrev_b64_e32 v[31:32], v30, v[1:2]
	v_sub_nc_u32_e32 v30, 29, v27
	s_delay_alu instid0(VALU_DEP_2)
	v_and_b32_e32 v27, 7, v31
; %bb.71:                               ;   in Loop: Header=BB255_10 Depth=1
	s_wait_alu 0xfffe
	s_or_b32 exec_lo, exec_lo, s35
	v_lshlrev_b32_e32 v1, 8, v29
	v_lshl_add_u32 v29, v30, 10, 0x2000
	v_lshlrev_b32_e32 v27, 23, v27
	s_delay_alu instid0(VALU_DEP_2) | instskip(NEXT) | instid1(VALU_DEP_1)
	v_and_or_b32 v1, 0x8000, v1, v29
	v_lshl_or_b32 v27, v1, 16, v27
.LBB255_72:                             ;   in Loop: Header=BB255_10 Depth=1
	s_wait_alu 0xfffe
	s_or_b32 exec_lo, exec_lo, s34
.LBB255_73:                             ;   in Loop: Header=BB255_10 Depth=1
	s_delay_alu instid0(SALU_CYCLE_1)
	s_or_b32 exec_lo, exec_lo, s33
.LBB255_74:                             ;   in Loop: Header=BB255_10 Depth=1
	s_wait_alu 0xfffe
	s_or_b32 exec_lo, exec_lo, s5
	global_load_u16 v1, v[7:8], off offset:256
	s_wait_loadcnt 0x0
	v_dual_mov_b32 v29, 0 :: v_dual_and_b32 v30, 0xff, v1
	v_and_b32_e32 v1, 0xffff, v1
	s_delay_alu instid0(VALU_DEP_2)
	v_cmp_ne_u16_e64 s4, 0, v30
	v_mov_b32_e32 v30, 0
	s_and_saveexec_b32 s5, s4
	s_cbranch_execz .LBB255_82
; %bb.75:                               ;   in Loop: Header=BB255_10 Depth=1
	v_and_b32_e32 v30, 0xff, v1
	s_delay_alu instid0(VALU_DEP_1)
	v_cmp_ne_u16_e64 s4, 0x80, v30
	v_mov_b32_e32 v30, 0x8000
	s_and_saveexec_b32 s33, s4
	s_cbranch_execz .LBB255_81
; %bb.76:                               ;   in Loop: Header=BB255_10 Depth=1
	v_and_b32_e32 v32, 0x7f, v1
	v_mov_b32_e32 v30, 0x7c01
	s_mov_b32 s34, exec_lo
	s_delay_alu instid0(VALU_DEP_2)
	v_cmpx_ne_u32_e32 0x7f, v32
	s_cbranch_execz .LBB255_80
; %bb.77:                               ;   in Loop: Header=BB255_10 Depth=1
	v_and_b32_e32 v30, 7, v1
	v_lshrrev_b32_e32 v31, 3, v32
	s_mov_b32 s35, exec_lo
	v_cmpx_gt_u32_e32 8, v32
; %bb.78:                               ;   in Loop: Header=BB255_10 Depth=1
	s_delay_alu instid0(VALU_DEP_3) | instskip(NEXT) | instid1(VALU_DEP_1)
	v_clz_i32_u32_e32 v30, v30
	v_min_u32_e32 v32, 32, v30
	s_delay_alu instid0(VALU_DEP_1) | instskip(NEXT) | instid1(VALU_DEP_1)
	v_subrev_nc_u32_e32 v30, 28, v32
	v_lshlrev_b64_e32 v[30:31], v30, v[1:2]
	v_sub_nc_u32_e32 v31, 29, v32
	s_delay_alu instid0(VALU_DEP_2)
	v_and_b32_e32 v30, 7, v30
; %bb.79:                               ;   in Loop: Header=BB255_10 Depth=1
	s_wait_alu 0xfffe
	s_or_b32 exec_lo, exec_lo, s35
	v_lshlrev_b32_e32 v32, 8, v1
	v_lshl_add_u32 v31, v31, 10, 0x2000
	v_lshlrev_b32_e32 v30, 7, v30
	s_delay_alu instid0(VALU_DEP_3) | instskip(NEXT) | instid1(VALU_DEP_3)
	v_and_b32_e32 v32, 0x8000, v32
	v_and_b32_e32 v31, 0xfc00, v31
	s_delay_alu instid0(VALU_DEP_1)
	v_or3_b32 v30, v32, v31, v30
.LBB255_80:                             ;   in Loop: Header=BB255_10 Depth=1
	s_wait_alu 0xfffe
	s_or_b32 exec_lo, exec_lo, s34
.LBB255_81:                             ;   in Loop: Header=BB255_10 Depth=1
	s_delay_alu instid0(SALU_CYCLE_1)
	s_or_b32 exec_lo, exec_lo, s33
.LBB255_82:                             ;   in Loop: Header=BB255_10 Depth=1
	s_wait_alu 0xfffe
	s_or_b32 exec_lo, exec_lo, s5
	v_lshrrev_b16 v1, 8, v1
	s_mov_b32 s5, exec_lo
	s_delay_alu instid0(VALU_DEP_1)
	v_cmpx_ne_u16_e32 0, v1
	s_cbranch_execz .LBB255_90
; %bb.83:                               ;   in Loop: Header=BB255_10 Depth=1
	v_bfrev_b32_e32 v29, 1
	s_mov_b32 s33, exec_lo
	v_cmpx_ne_u16_e32 0x80, v1
	s_cbranch_execz .LBB255_89
; %bb.84:                               ;   in Loop: Header=BB255_10 Depth=1
	v_and_b32_e32 v31, 0xffff, v1
	v_mov_b32_e32 v29, 0x7c010000
	s_mov_b32 s34, exec_lo
	s_delay_alu instid0(VALU_DEP_2) | instskip(NEXT) | instid1(VALU_DEP_1)
	v_and_b32_e32 v33, 0x7f, v31
	v_cmpx_ne_u32_e32 0x7f, v33
	s_cbranch_execz .LBB255_88
; %bb.85:                               ;   in Loop: Header=BB255_10 Depth=1
	v_and_b32_e32 v29, 7, v31
	v_lshrrev_b32_e32 v32, 3, v33
	s_mov_b32 s35, exec_lo
	v_cmpx_gt_u32_e32 8, v33
; %bb.86:                               ;   in Loop: Header=BB255_10 Depth=1
	s_delay_alu instid0(VALU_DEP_3) | instskip(NEXT) | instid1(VALU_DEP_1)
	v_clz_i32_u32_e32 v29, v29
	v_min_u32_e32 v29, 32, v29
	s_delay_alu instid0(VALU_DEP_1) | instskip(NEXT) | instid1(VALU_DEP_1)
	v_subrev_nc_u32_e32 v32, 28, v29
	v_lshlrev_b64_e32 v[33:34], v32, v[1:2]
	v_sub_nc_u32_e32 v32, 29, v29
	s_delay_alu instid0(VALU_DEP_2)
	v_and_b32_e32 v29, 7, v33
; %bb.87:                               ;   in Loop: Header=BB255_10 Depth=1
	s_wait_alu 0xfffe
	s_or_b32 exec_lo, exec_lo, s35
	v_lshlrev_b32_e32 v1, 8, v31
	v_lshl_add_u32 v31, v32, 10, 0x2000
	v_lshlrev_b32_e32 v29, 23, v29
	s_delay_alu instid0(VALU_DEP_2) | instskip(NEXT) | instid1(VALU_DEP_1)
	v_and_or_b32 v1, 0x8000, v1, v31
	v_lshl_or_b32 v29, v1, 16, v29
.LBB255_88:                             ;   in Loop: Header=BB255_10 Depth=1
	s_wait_alu 0xfffe
	s_or_b32 exec_lo, exec_lo, s34
.LBB255_89:                             ;   in Loop: Header=BB255_10 Depth=1
	s_delay_alu instid0(SALU_CYCLE_1)
	s_or_b32 exec_lo, exec_lo, s33
.LBB255_90:                             ;   in Loop: Header=BB255_10 Depth=1
	s_wait_alu 0xfffe
	s_or_b32 exec_lo, exec_lo, s5
	global_load_u16 v1, v[7:8], off offset:264
	s_wait_loadcnt 0x0
	v_dual_mov_b32 v31, 0 :: v_dual_and_b32 v32, 0xff, v1
	v_and_b32_e32 v1, 0xffff, v1
	s_delay_alu instid0(VALU_DEP_2)
	v_cmp_ne_u16_e64 s4, 0, v32
	v_mov_b32_e32 v32, 0
	s_and_saveexec_b32 s5, s4
	s_cbranch_execz .LBB255_98
; %bb.91:                               ;   in Loop: Header=BB255_10 Depth=1
	v_and_b32_e32 v32, 0xff, v1
	s_delay_alu instid0(VALU_DEP_1)
	v_cmp_ne_u16_e64 s4, 0x80, v32
	v_mov_b32_e32 v32, 0x8000
	s_and_saveexec_b32 s33, s4
	s_cbranch_execz .LBB255_97
; %bb.92:                               ;   in Loop: Header=BB255_10 Depth=1
	v_and_b32_e32 v34, 0x7f, v1
	v_mov_b32_e32 v32, 0x7c01
	s_mov_b32 s34, exec_lo
	s_delay_alu instid0(VALU_DEP_2)
	v_cmpx_ne_u32_e32 0x7f, v34
	s_cbranch_execz .LBB255_96
; %bb.93:                               ;   in Loop: Header=BB255_10 Depth=1
	v_and_b32_e32 v32, 7, v1
	v_lshrrev_b32_e32 v33, 3, v34
	s_mov_b32 s35, exec_lo
	v_cmpx_gt_u32_e32 8, v34
; %bb.94:                               ;   in Loop: Header=BB255_10 Depth=1
	s_delay_alu instid0(VALU_DEP_3) | instskip(NEXT) | instid1(VALU_DEP_1)
	v_clz_i32_u32_e32 v32, v32
	v_min_u32_e32 v34, 32, v32
	s_delay_alu instid0(VALU_DEP_1) | instskip(NEXT) | instid1(VALU_DEP_1)
	v_subrev_nc_u32_e32 v32, 28, v34
	v_lshlrev_b64_e32 v[32:33], v32, v[1:2]
	v_sub_nc_u32_e32 v33, 29, v34
	s_delay_alu instid0(VALU_DEP_2)
	v_and_b32_e32 v32, 7, v32
; %bb.95:                               ;   in Loop: Header=BB255_10 Depth=1
	s_wait_alu 0xfffe
	s_or_b32 exec_lo, exec_lo, s35
	v_lshlrev_b32_e32 v34, 8, v1
	v_lshl_add_u32 v33, v33, 10, 0x2000
	v_lshlrev_b32_e32 v32, 7, v32
	s_delay_alu instid0(VALU_DEP_3) | instskip(NEXT) | instid1(VALU_DEP_3)
	v_and_b32_e32 v34, 0x8000, v34
	v_and_b32_e32 v33, 0xfc00, v33
	s_delay_alu instid0(VALU_DEP_1)
	v_or3_b32 v32, v34, v33, v32
.LBB255_96:                             ;   in Loop: Header=BB255_10 Depth=1
	s_wait_alu 0xfffe
	s_or_b32 exec_lo, exec_lo, s34
.LBB255_97:                             ;   in Loop: Header=BB255_10 Depth=1
	s_delay_alu instid0(SALU_CYCLE_1)
	s_or_b32 exec_lo, exec_lo, s33
.LBB255_98:                             ;   in Loop: Header=BB255_10 Depth=1
	s_wait_alu 0xfffe
	s_or_b32 exec_lo, exec_lo, s5
	v_lshrrev_b16 v1, 8, v1
	s_mov_b32 s5, exec_lo
	s_delay_alu instid0(VALU_DEP_1)
	v_cmpx_ne_u16_e32 0, v1
	s_cbranch_execz .LBB255_106
; %bb.99:                               ;   in Loop: Header=BB255_10 Depth=1
	v_bfrev_b32_e32 v31, 1
	s_mov_b32 s33, exec_lo
	v_cmpx_ne_u16_e32 0x80, v1
	s_cbranch_execz .LBB255_105
; %bb.100:                              ;   in Loop: Header=BB255_10 Depth=1
	v_and_b32_e32 v33, 0xffff, v1
	v_mov_b32_e32 v31, 0x7c010000
	s_mov_b32 s34, exec_lo
	s_delay_alu instid0(VALU_DEP_2) | instskip(NEXT) | instid1(VALU_DEP_1)
	v_and_b32_e32 v35, 0x7f, v33
	v_cmpx_ne_u32_e32 0x7f, v35
	s_cbranch_execz .LBB255_104
; %bb.101:                              ;   in Loop: Header=BB255_10 Depth=1
	v_and_b32_e32 v31, 7, v33
	v_lshrrev_b32_e32 v34, 3, v35
	s_mov_b32 s35, exec_lo
	v_cmpx_gt_u32_e32 8, v35
; %bb.102:                              ;   in Loop: Header=BB255_10 Depth=1
	s_delay_alu instid0(VALU_DEP_3) | instskip(NEXT) | instid1(VALU_DEP_1)
	v_clz_i32_u32_e32 v31, v31
	v_min_u32_e32 v31, 32, v31
	s_delay_alu instid0(VALU_DEP_1) | instskip(NEXT) | instid1(VALU_DEP_1)
	v_subrev_nc_u32_e32 v34, 28, v31
	v_lshlrev_b64_e32 v[35:36], v34, v[1:2]
	v_sub_nc_u32_e32 v34, 29, v31
	s_delay_alu instid0(VALU_DEP_2)
	v_and_b32_e32 v31, 7, v35
; %bb.103:                              ;   in Loop: Header=BB255_10 Depth=1
	s_wait_alu 0xfffe
	s_or_b32 exec_lo, exec_lo, s35
	v_lshlrev_b32_e32 v1, 8, v33
	v_lshl_add_u32 v33, v34, 10, 0x2000
	v_lshlrev_b32_e32 v31, 23, v31
	s_delay_alu instid0(VALU_DEP_2) | instskip(NEXT) | instid1(VALU_DEP_1)
	v_and_or_b32 v1, 0x8000, v1, v33
	v_lshl_or_b32 v31, v1, 16, v31
.LBB255_104:                            ;   in Loop: Header=BB255_10 Depth=1
	s_wait_alu 0xfffe
	s_or_b32 exec_lo, exec_lo, s34
.LBB255_105:                            ;   in Loop: Header=BB255_10 Depth=1
	s_delay_alu instid0(SALU_CYCLE_1)
	s_or_b32 exec_lo, exec_lo, s33
.LBB255_106:                            ;   in Loop: Header=BB255_10 Depth=1
	s_wait_alu 0xfffe
	s_or_b32 exec_lo, exec_lo, s5
	global_load_u16 v1, v[7:8], off offset:384
	s_wait_loadcnt 0x0
	v_dual_mov_b32 v33, 0 :: v_dual_and_b32 v34, 0xff, v1
	v_and_b32_e32 v1, 0xffff, v1
	s_delay_alu instid0(VALU_DEP_2)
	v_cmp_ne_u16_e64 s4, 0, v34
	v_mov_b32_e32 v34, 0
	s_and_saveexec_b32 s5, s4
	s_cbranch_execz .LBB255_114
; %bb.107:                              ;   in Loop: Header=BB255_10 Depth=1
	v_and_b32_e32 v34, 0xff, v1
	s_delay_alu instid0(VALU_DEP_1)
	v_cmp_ne_u16_e64 s4, 0x80, v34
	v_mov_b32_e32 v34, 0x8000
	s_and_saveexec_b32 s33, s4
	s_cbranch_execz .LBB255_113
; %bb.108:                              ;   in Loop: Header=BB255_10 Depth=1
	v_and_b32_e32 v36, 0x7f, v1
	v_mov_b32_e32 v34, 0x7c01
	s_mov_b32 s34, exec_lo
	s_delay_alu instid0(VALU_DEP_2)
	v_cmpx_ne_u32_e32 0x7f, v36
	s_cbranch_execz .LBB255_112
; %bb.109:                              ;   in Loop: Header=BB255_10 Depth=1
	v_and_b32_e32 v34, 7, v1
	v_lshrrev_b32_e32 v35, 3, v36
	s_mov_b32 s35, exec_lo
	v_cmpx_gt_u32_e32 8, v36
; %bb.110:                              ;   in Loop: Header=BB255_10 Depth=1
	s_delay_alu instid0(VALU_DEP_3) | instskip(NEXT) | instid1(VALU_DEP_1)
	v_clz_i32_u32_e32 v34, v34
	v_min_u32_e32 v36, 32, v34
	s_delay_alu instid0(VALU_DEP_1) | instskip(NEXT) | instid1(VALU_DEP_1)
	v_subrev_nc_u32_e32 v34, 28, v36
	v_lshlrev_b64_e32 v[34:35], v34, v[1:2]
	v_sub_nc_u32_e32 v35, 29, v36
	s_delay_alu instid0(VALU_DEP_2)
	v_and_b32_e32 v34, 7, v34
; %bb.111:                              ;   in Loop: Header=BB255_10 Depth=1
	s_wait_alu 0xfffe
	s_or_b32 exec_lo, exec_lo, s35
	v_lshlrev_b32_e32 v36, 8, v1
	v_lshl_add_u32 v35, v35, 10, 0x2000
	v_lshlrev_b32_e32 v34, 7, v34
	s_delay_alu instid0(VALU_DEP_3) | instskip(NEXT) | instid1(VALU_DEP_3)
	v_and_b32_e32 v36, 0x8000, v36
	v_and_b32_e32 v35, 0xfc00, v35
	s_delay_alu instid0(VALU_DEP_1)
	v_or3_b32 v34, v36, v35, v34
.LBB255_112:                            ;   in Loop: Header=BB255_10 Depth=1
	s_wait_alu 0xfffe
	s_or_b32 exec_lo, exec_lo, s34
.LBB255_113:                            ;   in Loop: Header=BB255_10 Depth=1
	s_delay_alu instid0(SALU_CYCLE_1)
	s_or_b32 exec_lo, exec_lo, s33
.LBB255_114:                            ;   in Loop: Header=BB255_10 Depth=1
	s_wait_alu 0xfffe
	s_or_b32 exec_lo, exec_lo, s5
	v_lshrrev_b16 v1, 8, v1
	s_mov_b32 s5, exec_lo
	s_delay_alu instid0(VALU_DEP_1)
	v_cmpx_ne_u16_e32 0, v1
	s_cbranch_execz .LBB255_122
; %bb.115:                              ;   in Loop: Header=BB255_10 Depth=1
	v_bfrev_b32_e32 v33, 1
	s_mov_b32 s33, exec_lo
	v_cmpx_ne_u16_e32 0x80, v1
	s_cbranch_execz .LBB255_121
; %bb.116:                              ;   in Loop: Header=BB255_10 Depth=1
	v_and_b32_e32 v35, 0xffff, v1
	v_mov_b32_e32 v33, 0x7c010000
	s_mov_b32 s34, exec_lo
	s_delay_alu instid0(VALU_DEP_2) | instskip(NEXT) | instid1(VALU_DEP_1)
	v_and_b32_e32 v37, 0x7f, v35
	v_cmpx_ne_u32_e32 0x7f, v37
	s_cbranch_execz .LBB255_120
; %bb.117:                              ;   in Loop: Header=BB255_10 Depth=1
	v_and_b32_e32 v33, 7, v35
	v_lshrrev_b32_e32 v36, 3, v37
	s_mov_b32 s35, exec_lo
	v_cmpx_gt_u32_e32 8, v37
; %bb.118:                              ;   in Loop: Header=BB255_10 Depth=1
	s_delay_alu instid0(VALU_DEP_3) | instskip(NEXT) | instid1(VALU_DEP_1)
	v_clz_i32_u32_e32 v33, v33
	v_min_u32_e32 v33, 32, v33
	s_delay_alu instid0(VALU_DEP_1) | instskip(NEXT) | instid1(VALU_DEP_1)
	v_subrev_nc_u32_e32 v36, 28, v33
	v_lshlrev_b64_e32 v[37:38], v36, v[1:2]
	v_sub_nc_u32_e32 v36, 29, v33
	s_delay_alu instid0(VALU_DEP_2)
	v_and_b32_e32 v33, 7, v37
; %bb.119:                              ;   in Loop: Header=BB255_10 Depth=1
	s_wait_alu 0xfffe
	s_or_b32 exec_lo, exec_lo, s35
	v_lshlrev_b32_e32 v1, 8, v35
	v_lshl_add_u32 v35, v36, 10, 0x2000
	v_lshlrev_b32_e32 v33, 23, v33
	s_delay_alu instid0(VALU_DEP_2) | instskip(NEXT) | instid1(VALU_DEP_1)
	v_and_or_b32 v1, 0x8000, v1, v35
	v_lshl_or_b32 v33, v1, 16, v33
.LBB255_120:                            ;   in Loop: Header=BB255_10 Depth=1
	s_wait_alu 0xfffe
	s_or_b32 exec_lo, exec_lo, s34
.LBB255_121:                            ;   in Loop: Header=BB255_10 Depth=1
	s_delay_alu instid0(SALU_CYCLE_1)
	s_or_b32 exec_lo, exec_lo, s33
.LBB255_122:                            ;   in Loop: Header=BB255_10 Depth=1
	s_wait_alu 0xfffe
	s_or_b32 exec_lo, exec_lo, s5
	global_load_u16 v1, v[7:8], off offset:392
	s_wait_loadcnt 0x0
	v_dual_mov_b32 v35, 0 :: v_dual_and_b32 v36, 0xff, v1
	v_and_b32_e32 v1, 0xffff, v1
	s_delay_alu instid0(VALU_DEP_2)
	v_cmp_ne_u16_e64 s4, 0, v36
	v_mov_b32_e32 v36, 0
	s_and_saveexec_b32 s5, s4
	s_cbranch_execz .LBB255_130
; %bb.123:                              ;   in Loop: Header=BB255_10 Depth=1
	v_and_b32_e32 v36, 0xff, v1
	s_delay_alu instid0(VALU_DEP_1)
	v_cmp_ne_u16_e64 s4, 0x80, v36
	v_mov_b32_e32 v36, 0x8000
	s_and_saveexec_b32 s33, s4
	s_cbranch_execz .LBB255_129
; %bb.124:                              ;   in Loop: Header=BB255_10 Depth=1
	v_and_b32_e32 v38, 0x7f, v1
	v_mov_b32_e32 v36, 0x7c01
	s_mov_b32 s34, exec_lo
	s_delay_alu instid0(VALU_DEP_2)
	v_cmpx_ne_u32_e32 0x7f, v38
	s_cbranch_execz .LBB255_128
; %bb.125:                              ;   in Loop: Header=BB255_10 Depth=1
	v_and_b32_e32 v36, 7, v1
	v_lshrrev_b32_e32 v37, 3, v38
	s_mov_b32 s35, exec_lo
	v_cmpx_gt_u32_e32 8, v38
; %bb.126:                              ;   in Loop: Header=BB255_10 Depth=1
	s_delay_alu instid0(VALU_DEP_3) | instskip(NEXT) | instid1(VALU_DEP_1)
	v_clz_i32_u32_e32 v36, v36
	v_min_u32_e32 v38, 32, v36
	s_delay_alu instid0(VALU_DEP_1) | instskip(NEXT) | instid1(VALU_DEP_1)
	v_subrev_nc_u32_e32 v36, 28, v38
	v_lshlrev_b64_e32 v[36:37], v36, v[1:2]
	v_sub_nc_u32_e32 v37, 29, v38
	s_delay_alu instid0(VALU_DEP_2)
	v_and_b32_e32 v36, 7, v36
; %bb.127:                              ;   in Loop: Header=BB255_10 Depth=1
	s_wait_alu 0xfffe
	s_or_b32 exec_lo, exec_lo, s35
	v_lshlrev_b32_e32 v38, 8, v1
	v_lshl_add_u32 v37, v37, 10, 0x2000
	v_lshlrev_b32_e32 v36, 7, v36
	s_delay_alu instid0(VALU_DEP_3) | instskip(NEXT) | instid1(VALU_DEP_3)
	v_and_b32_e32 v38, 0x8000, v38
	v_and_b32_e32 v37, 0xfc00, v37
	s_delay_alu instid0(VALU_DEP_1)
	v_or3_b32 v36, v38, v37, v36
.LBB255_128:                            ;   in Loop: Header=BB255_10 Depth=1
	s_wait_alu 0xfffe
	s_or_b32 exec_lo, exec_lo, s34
.LBB255_129:                            ;   in Loop: Header=BB255_10 Depth=1
	s_delay_alu instid0(SALU_CYCLE_1)
	s_or_b32 exec_lo, exec_lo, s33
.LBB255_130:                            ;   in Loop: Header=BB255_10 Depth=1
	s_wait_alu 0xfffe
	s_or_b32 exec_lo, exec_lo, s5
	v_lshrrev_b16 v1, 8, v1
	s_mov_b32 s5, exec_lo
	s_delay_alu instid0(VALU_DEP_1)
	v_cmpx_ne_u16_e32 0, v1
	s_cbranch_execz .LBB255_138
; %bb.131:                              ;   in Loop: Header=BB255_10 Depth=1
	v_bfrev_b32_e32 v35, 1
	s_mov_b32 s33, exec_lo
	v_cmpx_ne_u16_e32 0x80, v1
	s_cbranch_execz .LBB255_137
; %bb.132:                              ;   in Loop: Header=BB255_10 Depth=1
	v_and_b32_e32 v37, 0xffff, v1
	v_mov_b32_e32 v35, 0x7c010000
	s_mov_b32 s34, exec_lo
	s_delay_alu instid0(VALU_DEP_2) | instskip(NEXT) | instid1(VALU_DEP_1)
	v_and_b32_e32 v39, 0x7f, v37
	v_cmpx_ne_u32_e32 0x7f, v39
	s_cbranch_execz .LBB255_136
; %bb.133:                              ;   in Loop: Header=BB255_10 Depth=1
	v_and_b32_e32 v35, 7, v37
	v_lshrrev_b32_e32 v38, 3, v39
	s_mov_b32 s35, exec_lo
	v_cmpx_gt_u32_e32 8, v39
; %bb.134:                              ;   in Loop: Header=BB255_10 Depth=1
	s_delay_alu instid0(VALU_DEP_3) | instskip(NEXT) | instid1(VALU_DEP_1)
	v_clz_i32_u32_e32 v35, v35
	v_min_u32_e32 v35, 32, v35
	s_delay_alu instid0(VALU_DEP_1) | instskip(NEXT) | instid1(VALU_DEP_1)
	v_subrev_nc_u32_e32 v38, 28, v35
	v_lshlrev_b64_e32 v[39:40], v38, v[1:2]
	v_sub_nc_u32_e32 v38, 29, v35
	s_delay_alu instid0(VALU_DEP_2)
	v_and_b32_e32 v35, 7, v39
; %bb.135:                              ;   in Loop: Header=BB255_10 Depth=1
	s_wait_alu 0xfffe
	s_or_b32 exec_lo, exec_lo, s35
	v_lshlrev_b32_e32 v1, 8, v37
	v_lshl_add_u32 v37, v38, 10, 0x2000
	v_lshlrev_b32_e32 v35, 23, v35
	s_delay_alu instid0(VALU_DEP_2) | instskip(NEXT) | instid1(VALU_DEP_1)
	v_and_or_b32 v1, 0x8000, v1, v37
	v_lshl_or_b32 v35, v1, 16, v35
.LBB255_136:                            ;   in Loop: Header=BB255_10 Depth=1
	s_wait_alu 0xfffe
	s_or_b32 exec_lo, exec_lo, s34
.LBB255_137:                            ;   in Loop: Header=BB255_10 Depth=1
	s_delay_alu instid0(SALU_CYCLE_1)
	s_or_b32 exec_lo, exec_lo, s33
.LBB255_138:                            ;   in Loop: Header=BB255_10 Depth=1
	s_wait_alu 0xfffe
	s_or_b32 exec_lo, exec_lo, s5
	global_load_u16 v1, v[7:8], off offset:512
	s_wait_loadcnt 0x0
	v_dual_mov_b32 v37, 0 :: v_dual_and_b32 v38, 0xff, v1
	v_and_b32_e32 v1, 0xffff, v1
	s_delay_alu instid0(VALU_DEP_2)
	v_cmp_ne_u16_e64 s4, 0, v38
	v_mov_b32_e32 v38, 0
	s_and_saveexec_b32 s5, s4
	s_cbranch_execz .LBB255_146
; %bb.139:                              ;   in Loop: Header=BB255_10 Depth=1
	v_and_b32_e32 v38, 0xff, v1
	s_delay_alu instid0(VALU_DEP_1)
	v_cmp_ne_u16_e64 s4, 0x80, v38
	v_mov_b32_e32 v38, 0x8000
	s_and_saveexec_b32 s33, s4
	s_cbranch_execz .LBB255_145
; %bb.140:                              ;   in Loop: Header=BB255_10 Depth=1
	v_and_b32_e32 v40, 0x7f, v1
	v_mov_b32_e32 v38, 0x7c01
	s_mov_b32 s34, exec_lo
	s_delay_alu instid0(VALU_DEP_2)
	v_cmpx_ne_u32_e32 0x7f, v40
	s_cbranch_execz .LBB255_144
; %bb.141:                              ;   in Loop: Header=BB255_10 Depth=1
	v_and_b32_e32 v38, 7, v1
	v_lshrrev_b32_e32 v39, 3, v40
	s_mov_b32 s35, exec_lo
	v_cmpx_gt_u32_e32 8, v40
; %bb.142:                              ;   in Loop: Header=BB255_10 Depth=1
	s_delay_alu instid0(VALU_DEP_3) | instskip(NEXT) | instid1(VALU_DEP_1)
	v_clz_i32_u32_e32 v38, v38
	v_min_u32_e32 v40, 32, v38
	s_delay_alu instid0(VALU_DEP_1) | instskip(NEXT) | instid1(VALU_DEP_1)
	v_subrev_nc_u32_e32 v38, 28, v40
	v_lshlrev_b64_e32 v[38:39], v38, v[1:2]
	v_sub_nc_u32_e32 v39, 29, v40
	s_delay_alu instid0(VALU_DEP_2)
	v_and_b32_e32 v38, 7, v38
; %bb.143:                              ;   in Loop: Header=BB255_10 Depth=1
	s_wait_alu 0xfffe
	s_or_b32 exec_lo, exec_lo, s35
	v_lshlrev_b32_e32 v40, 8, v1
	v_lshl_add_u32 v39, v39, 10, 0x2000
	v_lshlrev_b32_e32 v38, 7, v38
	s_delay_alu instid0(VALU_DEP_3) | instskip(NEXT) | instid1(VALU_DEP_3)
	v_and_b32_e32 v40, 0x8000, v40
	v_and_b32_e32 v39, 0xfc00, v39
	s_delay_alu instid0(VALU_DEP_1)
	v_or3_b32 v38, v40, v39, v38
.LBB255_144:                            ;   in Loop: Header=BB255_10 Depth=1
	s_wait_alu 0xfffe
	s_or_b32 exec_lo, exec_lo, s34
.LBB255_145:                            ;   in Loop: Header=BB255_10 Depth=1
	s_delay_alu instid0(SALU_CYCLE_1)
	s_or_b32 exec_lo, exec_lo, s33
.LBB255_146:                            ;   in Loop: Header=BB255_10 Depth=1
	s_wait_alu 0xfffe
	s_or_b32 exec_lo, exec_lo, s5
	v_lshrrev_b16 v1, 8, v1
	s_mov_b32 s5, exec_lo
	s_delay_alu instid0(VALU_DEP_1)
	v_cmpx_ne_u16_e32 0, v1
	s_cbranch_execz .LBB255_154
; %bb.147:                              ;   in Loop: Header=BB255_10 Depth=1
	v_bfrev_b32_e32 v37, 1
	s_mov_b32 s33, exec_lo
	v_cmpx_ne_u16_e32 0x80, v1
	s_cbranch_execz .LBB255_153
; %bb.148:                              ;   in Loop: Header=BB255_10 Depth=1
	v_and_b32_e32 v39, 0xffff, v1
	v_mov_b32_e32 v37, 0x7c010000
	s_mov_b32 s34, exec_lo
	s_delay_alu instid0(VALU_DEP_2) | instskip(NEXT) | instid1(VALU_DEP_1)
	v_and_b32_e32 v41, 0x7f, v39
	v_cmpx_ne_u32_e32 0x7f, v41
	s_cbranch_execz .LBB255_152
; %bb.149:                              ;   in Loop: Header=BB255_10 Depth=1
	v_and_b32_e32 v37, 7, v39
	v_lshrrev_b32_e32 v40, 3, v41
	s_mov_b32 s35, exec_lo
	v_cmpx_gt_u32_e32 8, v41
; %bb.150:                              ;   in Loop: Header=BB255_10 Depth=1
	s_delay_alu instid0(VALU_DEP_3) | instskip(NEXT) | instid1(VALU_DEP_1)
	v_clz_i32_u32_e32 v37, v37
	v_min_u32_e32 v37, 32, v37
	s_delay_alu instid0(VALU_DEP_1) | instskip(NEXT) | instid1(VALU_DEP_1)
	v_subrev_nc_u32_e32 v40, 28, v37
	v_lshlrev_b64_e32 v[41:42], v40, v[1:2]
	v_sub_nc_u32_e32 v40, 29, v37
	s_delay_alu instid0(VALU_DEP_2)
	v_and_b32_e32 v37, 7, v41
; %bb.151:                              ;   in Loop: Header=BB255_10 Depth=1
	s_wait_alu 0xfffe
	s_or_b32 exec_lo, exec_lo, s35
	v_lshlrev_b32_e32 v1, 8, v39
	v_lshl_add_u32 v39, v40, 10, 0x2000
	v_lshlrev_b32_e32 v37, 23, v37
	s_delay_alu instid0(VALU_DEP_2) | instskip(NEXT) | instid1(VALU_DEP_1)
	v_and_or_b32 v1, 0x8000, v1, v39
	v_lshl_or_b32 v37, v1, 16, v37
.LBB255_152:                            ;   in Loop: Header=BB255_10 Depth=1
	s_wait_alu 0xfffe
	s_or_b32 exec_lo, exec_lo, s34
.LBB255_153:                            ;   in Loop: Header=BB255_10 Depth=1
	s_delay_alu instid0(SALU_CYCLE_1)
	s_or_b32 exec_lo, exec_lo, s33
.LBB255_154:                            ;   in Loop: Header=BB255_10 Depth=1
	s_wait_alu 0xfffe
	s_or_b32 exec_lo, exec_lo, s5
	global_load_u16 v1, v[7:8], off offset:520
	s_wait_loadcnt 0x0
	v_dual_mov_b32 v39, 0 :: v_dual_and_b32 v40, 0xff, v1
	v_and_b32_e32 v1, 0xffff, v1
	s_delay_alu instid0(VALU_DEP_2)
	v_cmp_ne_u16_e64 s4, 0, v40
	v_mov_b32_e32 v40, 0
	s_and_saveexec_b32 s5, s4
	s_cbranch_execz .LBB255_162
; %bb.155:                              ;   in Loop: Header=BB255_10 Depth=1
	v_and_b32_e32 v40, 0xff, v1
	s_delay_alu instid0(VALU_DEP_1)
	v_cmp_ne_u16_e64 s4, 0x80, v40
	v_mov_b32_e32 v40, 0x8000
	s_and_saveexec_b32 s33, s4
	s_cbranch_execz .LBB255_161
; %bb.156:                              ;   in Loop: Header=BB255_10 Depth=1
	v_and_b32_e32 v42, 0x7f, v1
	v_mov_b32_e32 v40, 0x7c01
	s_mov_b32 s34, exec_lo
	s_delay_alu instid0(VALU_DEP_2)
	v_cmpx_ne_u32_e32 0x7f, v42
	s_cbranch_execz .LBB255_160
; %bb.157:                              ;   in Loop: Header=BB255_10 Depth=1
	v_and_b32_e32 v40, 7, v1
	v_lshrrev_b32_e32 v41, 3, v42
	s_mov_b32 s35, exec_lo
	v_cmpx_gt_u32_e32 8, v42
; %bb.158:                              ;   in Loop: Header=BB255_10 Depth=1
	s_delay_alu instid0(VALU_DEP_3) | instskip(NEXT) | instid1(VALU_DEP_1)
	v_clz_i32_u32_e32 v40, v40
	v_min_u32_e32 v42, 32, v40
	s_delay_alu instid0(VALU_DEP_1) | instskip(NEXT) | instid1(VALU_DEP_1)
	v_subrev_nc_u32_e32 v40, 28, v42
	v_lshlrev_b64_e32 v[40:41], v40, v[1:2]
	v_sub_nc_u32_e32 v41, 29, v42
	s_delay_alu instid0(VALU_DEP_2)
	v_and_b32_e32 v40, 7, v40
; %bb.159:                              ;   in Loop: Header=BB255_10 Depth=1
	s_wait_alu 0xfffe
	s_or_b32 exec_lo, exec_lo, s35
	v_lshlrev_b32_e32 v42, 8, v1
	v_lshl_add_u32 v41, v41, 10, 0x2000
	v_lshlrev_b32_e32 v40, 7, v40
	s_delay_alu instid0(VALU_DEP_3) | instskip(NEXT) | instid1(VALU_DEP_3)
	v_and_b32_e32 v42, 0x8000, v42
	v_and_b32_e32 v41, 0xfc00, v41
	s_delay_alu instid0(VALU_DEP_1)
	v_or3_b32 v40, v42, v41, v40
.LBB255_160:                            ;   in Loop: Header=BB255_10 Depth=1
	s_wait_alu 0xfffe
	s_or_b32 exec_lo, exec_lo, s34
.LBB255_161:                            ;   in Loop: Header=BB255_10 Depth=1
	s_delay_alu instid0(SALU_CYCLE_1)
	s_or_b32 exec_lo, exec_lo, s33
.LBB255_162:                            ;   in Loop: Header=BB255_10 Depth=1
	s_wait_alu 0xfffe
	s_or_b32 exec_lo, exec_lo, s5
	v_lshrrev_b16 v1, 8, v1
	s_mov_b32 s5, exec_lo
	s_delay_alu instid0(VALU_DEP_1)
	v_cmpx_ne_u16_e32 0, v1
	s_cbranch_execz .LBB255_170
; %bb.163:                              ;   in Loop: Header=BB255_10 Depth=1
	v_bfrev_b32_e32 v39, 1
	s_mov_b32 s33, exec_lo
	v_cmpx_ne_u16_e32 0x80, v1
	s_cbranch_execz .LBB255_169
; %bb.164:                              ;   in Loop: Header=BB255_10 Depth=1
	v_and_b32_e32 v41, 0xffff, v1
	v_mov_b32_e32 v39, 0x7c010000
	s_mov_b32 s34, exec_lo
	s_delay_alu instid0(VALU_DEP_2) | instskip(NEXT) | instid1(VALU_DEP_1)
	v_and_b32_e32 v43, 0x7f, v41
	v_cmpx_ne_u32_e32 0x7f, v43
	s_cbranch_execz .LBB255_168
; %bb.165:                              ;   in Loop: Header=BB255_10 Depth=1
	v_and_b32_e32 v39, 7, v41
	v_lshrrev_b32_e32 v42, 3, v43
	s_mov_b32 s35, exec_lo
	v_cmpx_gt_u32_e32 8, v43
; %bb.166:                              ;   in Loop: Header=BB255_10 Depth=1
	s_delay_alu instid0(VALU_DEP_3) | instskip(NEXT) | instid1(VALU_DEP_1)
	v_clz_i32_u32_e32 v39, v39
	v_min_u32_e32 v39, 32, v39
	s_delay_alu instid0(VALU_DEP_1) | instskip(NEXT) | instid1(VALU_DEP_1)
	v_subrev_nc_u32_e32 v42, 28, v39
	v_lshlrev_b64_e32 v[43:44], v42, v[1:2]
	v_sub_nc_u32_e32 v42, 29, v39
	s_delay_alu instid0(VALU_DEP_2)
	v_and_b32_e32 v39, 7, v43
; %bb.167:                              ;   in Loop: Header=BB255_10 Depth=1
	s_wait_alu 0xfffe
	s_or_b32 exec_lo, exec_lo, s35
	v_lshlrev_b32_e32 v1, 8, v41
	v_lshl_add_u32 v41, v42, 10, 0x2000
	v_lshlrev_b32_e32 v39, 23, v39
	s_delay_alu instid0(VALU_DEP_2) | instskip(NEXT) | instid1(VALU_DEP_1)
	v_and_or_b32 v1, 0x8000, v1, v41
	v_lshl_or_b32 v39, v1, 16, v39
.LBB255_168:                            ;   in Loop: Header=BB255_10 Depth=1
	s_wait_alu 0xfffe
	s_or_b32 exec_lo, exec_lo, s34
.LBB255_169:                            ;   in Loop: Header=BB255_10 Depth=1
	s_delay_alu instid0(SALU_CYCLE_1)
	s_or_b32 exec_lo, exec_lo, s33
.LBB255_170:                            ;   in Loop: Header=BB255_10 Depth=1
	s_wait_alu 0xfffe
	s_or_b32 exec_lo, exec_lo, s5
	global_load_u16 v1, v[7:8], off offset:640
	s_wait_loadcnt 0x0
	v_dual_mov_b32 v41, 0 :: v_dual_and_b32 v42, 0xff, v1
	v_and_b32_e32 v1, 0xffff, v1
	s_delay_alu instid0(VALU_DEP_2)
	v_cmp_ne_u16_e64 s4, 0, v42
	v_mov_b32_e32 v42, 0
	s_and_saveexec_b32 s5, s4
	s_cbranch_execz .LBB255_178
; %bb.171:                              ;   in Loop: Header=BB255_10 Depth=1
	v_and_b32_e32 v42, 0xff, v1
	s_delay_alu instid0(VALU_DEP_1)
	v_cmp_ne_u16_e64 s4, 0x80, v42
	v_mov_b32_e32 v42, 0x8000
	s_and_saveexec_b32 s33, s4
	s_cbranch_execz .LBB255_177
; %bb.172:                              ;   in Loop: Header=BB255_10 Depth=1
	v_and_b32_e32 v44, 0x7f, v1
	v_mov_b32_e32 v42, 0x7c01
	s_mov_b32 s34, exec_lo
	s_delay_alu instid0(VALU_DEP_2)
	v_cmpx_ne_u32_e32 0x7f, v44
	s_cbranch_execz .LBB255_176
; %bb.173:                              ;   in Loop: Header=BB255_10 Depth=1
	v_and_b32_e32 v42, 7, v1
	v_lshrrev_b32_e32 v43, 3, v44
	s_mov_b32 s35, exec_lo
	v_cmpx_gt_u32_e32 8, v44
; %bb.174:                              ;   in Loop: Header=BB255_10 Depth=1
	s_delay_alu instid0(VALU_DEP_3) | instskip(NEXT) | instid1(VALU_DEP_1)
	v_clz_i32_u32_e32 v42, v42
	v_min_u32_e32 v44, 32, v42
	s_delay_alu instid0(VALU_DEP_1) | instskip(NEXT) | instid1(VALU_DEP_1)
	v_subrev_nc_u32_e32 v42, 28, v44
	v_lshlrev_b64_e32 v[42:43], v42, v[1:2]
	v_sub_nc_u32_e32 v43, 29, v44
	s_delay_alu instid0(VALU_DEP_2)
	v_and_b32_e32 v42, 7, v42
; %bb.175:                              ;   in Loop: Header=BB255_10 Depth=1
	s_wait_alu 0xfffe
	s_or_b32 exec_lo, exec_lo, s35
	v_lshlrev_b32_e32 v44, 8, v1
	v_lshl_add_u32 v43, v43, 10, 0x2000
	v_lshlrev_b32_e32 v42, 7, v42
	s_delay_alu instid0(VALU_DEP_3) | instskip(NEXT) | instid1(VALU_DEP_3)
	v_and_b32_e32 v44, 0x8000, v44
	v_and_b32_e32 v43, 0xfc00, v43
	s_delay_alu instid0(VALU_DEP_1)
	v_or3_b32 v42, v44, v43, v42
.LBB255_176:                            ;   in Loop: Header=BB255_10 Depth=1
	s_wait_alu 0xfffe
	s_or_b32 exec_lo, exec_lo, s34
.LBB255_177:                            ;   in Loop: Header=BB255_10 Depth=1
	s_delay_alu instid0(SALU_CYCLE_1)
	s_or_b32 exec_lo, exec_lo, s33
.LBB255_178:                            ;   in Loop: Header=BB255_10 Depth=1
	s_wait_alu 0xfffe
	s_or_b32 exec_lo, exec_lo, s5
	v_lshrrev_b16 v1, 8, v1
	s_mov_b32 s5, exec_lo
	s_delay_alu instid0(VALU_DEP_1)
	v_cmpx_ne_u16_e32 0, v1
	s_cbranch_execz .LBB255_186
; %bb.179:                              ;   in Loop: Header=BB255_10 Depth=1
	v_bfrev_b32_e32 v41, 1
	s_mov_b32 s33, exec_lo
	v_cmpx_ne_u16_e32 0x80, v1
	s_cbranch_execz .LBB255_185
; %bb.180:                              ;   in Loop: Header=BB255_10 Depth=1
	v_and_b32_e32 v43, 0xffff, v1
	v_mov_b32_e32 v41, 0x7c010000
	s_mov_b32 s34, exec_lo
	s_delay_alu instid0(VALU_DEP_2) | instskip(NEXT) | instid1(VALU_DEP_1)
	v_and_b32_e32 v45, 0x7f, v43
	v_cmpx_ne_u32_e32 0x7f, v45
	s_cbranch_execz .LBB255_184
; %bb.181:                              ;   in Loop: Header=BB255_10 Depth=1
	v_and_b32_e32 v41, 7, v43
	v_lshrrev_b32_e32 v44, 3, v45
	s_mov_b32 s35, exec_lo
	v_cmpx_gt_u32_e32 8, v45
; %bb.182:                              ;   in Loop: Header=BB255_10 Depth=1
	s_delay_alu instid0(VALU_DEP_3) | instskip(NEXT) | instid1(VALU_DEP_1)
	v_clz_i32_u32_e32 v41, v41
	v_min_u32_e32 v41, 32, v41
	s_delay_alu instid0(VALU_DEP_1) | instskip(NEXT) | instid1(VALU_DEP_1)
	v_subrev_nc_u32_e32 v44, 28, v41
	v_lshlrev_b64_e32 v[45:46], v44, v[1:2]
	v_sub_nc_u32_e32 v44, 29, v41
	s_delay_alu instid0(VALU_DEP_2)
	v_and_b32_e32 v41, 7, v45
; %bb.183:                              ;   in Loop: Header=BB255_10 Depth=1
	s_wait_alu 0xfffe
	s_or_b32 exec_lo, exec_lo, s35
	v_lshlrev_b32_e32 v1, 8, v43
	v_lshl_add_u32 v43, v44, 10, 0x2000
	v_lshlrev_b32_e32 v41, 23, v41
	s_delay_alu instid0(VALU_DEP_2) | instskip(NEXT) | instid1(VALU_DEP_1)
	v_and_or_b32 v1, 0x8000, v1, v43
	v_lshl_or_b32 v41, v1, 16, v41
.LBB255_184:                            ;   in Loop: Header=BB255_10 Depth=1
	s_wait_alu 0xfffe
	s_or_b32 exec_lo, exec_lo, s34
.LBB255_185:                            ;   in Loop: Header=BB255_10 Depth=1
	s_delay_alu instid0(SALU_CYCLE_1)
	s_or_b32 exec_lo, exec_lo, s33
.LBB255_186:                            ;   in Loop: Header=BB255_10 Depth=1
	s_wait_alu 0xfffe
	s_or_b32 exec_lo, exec_lo, s5
	global_load_u16 v1, v[7:8], off offset:648
	s_wait_loadcnt 0x0
	v_dual_mov_b32 v7, 0 :: v_dual_and_b32 v8, 0xff, v1
	v_and_b32_e32 v1, 0xffff, v1
	s_delay_alu instid0(VALU_DEP_2)
	v_cmp_ne_u16_e64 s4, 0, v8
	v_mov_b32_e32 v8, 0
	s_and_saveexec_b32 s5, s4
	s_cbranch_execz .LBB255_194
; %bb.187:                              ;   in Loop: Header=BB255_10 Depth=1
	v_and_b32_e32 v8, 0xff, v1
	s_delay_alu instid0(VALU_DEP_1)
	v_cmp_ne_u16_e64 s4, 0x80, v8
	v_mov_b32_e32 v8, 0x8000
	s_and_saveexec_b32 s33, s4
	s_cbranch_execz .LBB255_193
; %bb.188:                              ;   in Loop: Header=BB255_10 Depth=1
	v_and_b32_e32 v44, 0x7f, v1
	v_mov_b32_e32 v8, 0x7c01
	s_mov_b32 s34, exec_lo
	s_delay_alu instid0(VALU_DEP_2)
	v_cmpx_ne_u32_e32 0x7f, v44
	s_cbranch_execz .LBB255_192
; %bb.189:                              ;   in Loop: Header=BB255_10 Depth=1
	v_and_b32_e32 v8, 7, v1
	v_lshrrev_b32_e32 v43, 3, v44
	s_mov_b32 s35, exec_lo
	v_cmpx_gt_u32_e32 8, v44
; %bb.190:                              ;   in Loop: Header=BB255_10 Depth=1
	s_delay_alu instid0(VALU_DEP_3) | instskip(NEXT) | instid1(VALU_DEP_1)
	v_clz_i32_u32_e32 v8, v8
	v_min_u32_e32 v8, 32, v8
	s_delay_alu instid0(VALU_DEP_1) | instskip(NEXT) | instid1(VALU_DEP_1)
	v_subrev_nc_u32_e32 v43, 28, v8
	v_lshlrev_b64_e32 v[44:45], v43, v[1:2]
	v_sub_nc_u32_e32 v43, 29, v8
	s_delay_alu instid0(VALU_DEP_2)
	v_and_b32_e32 v8, 7, v44
; %bb.191:                              ;   in Loop: Header=BB255_10 Depth=1
	s_wait_alu 0xfffe
	s_or_b32 exec_lo, exec_lo, s35
	v_lshlrev_b32_e32 v44, 8, v1
	v_lshl_add_u32 v43, v43, 10, 0x2000
	v_lshlrev_b32_e32 v8, 7, v8
	s_delay_alu instid0(VALU_DEP_3) | instskip(NEXT) | instid1(VALU_DEP_3)
	v_and_b32_e32 v44, 0x8000, v44
	v_and_b32_e32 v43, 0xfc00, v43
	s_delay_alu instid0(VALU_DEP_1)
	v_or3_b32 v8, v44, v43, v8
.LBB255_192:                            ;   in Loop: Header=BB255_10 Depth=1
	s_wait_alu 0xfffe
	s_or_b32 exec_lo, exec_lo, s34
.LBB255_193:                            ;   in Loop: Header=BB255_10 Depth=1
	s_delay_alu instid0(SALU_CYCLE_1)
	s_or_b32 exec_lo, exec_lo, s33
.LBB255_194:                            ;   in Loop: Header=BB255_10 Depth=1
	s_wait_alu 0xfffe
	s_or_b32 exec_lo, exec_lo, s5
	v_lshrrev_b16 v1, 8, v1
	s_mov_b32 s5, exec_lo
	s_delay_alu instid0(VALU_DEP_1)
	v_cmpx_ne_u16_e32 0, v1
	s_cbranch_execz .LBB255_202
; %bb.195:                              ;   in Loop: Header=BB255_10 Depth=1
	v_bfrev_b32_e32 v7, 1
	s_mov_b32 s33, exec_lo
	v_cmpx_ne_u16_e32 0x80, v1
	s_cbranch_execz .LBB255_201
; %bb.196:                              ;   in Loop: Header=BB255_10 Depth=1
	v_and_b32_e32 v43, 0xffff, v1
	v_mov_b32_e32 v7, 0x7c010000
	s_mov_b32 s34, exec_lo
	s_delay_alu instid0(VALU_DEP_2) | instskip(NEXT) | instid1(VALU_DEP_1)
	v_and_b32_e32 v45, 0x7f, v43
	v_cmpx_ne_u32_e32 0x7f, v45
	s_cbranch_execz .LBB255_200
; %bb.197:                              ;   in Loop: Header=BB255_10 Depth=1
	v_and_b32_e32 v7, 7, v43
	v_lshrrev_b32_e32 v44, 3, v45
	s_mov_b32 s35, exec_lo
	v_cmpx_gt_u32_e32 8, v45
; %bb.198:                              ;   in Loop: Header=BB255_10 Depth=1
	s_delay_alu instid0(VALU_DEP_3) | instskip(NEXT) | instid1(VALU_DEP_1)
	v_clz_i32_u32_e32 v7, v7
	v_min_u32_e32 v7, 32, v7
	s_delay_alu instid0(VALU_DEP_1) | instskip(NEXT) | instid1(VALU_DEP_1)
	v_subrev_nc_u32_e32 v44, 28, v7
	v_lshlrev_b64_e32 v[45:46], v44, v[1:2]
	v_sub_nc_u32_e32 v44, 29, v7
	s_delay_alu instid0(VALU_DEP_2)
	v_and_b32_e32 v7, 7, v45
; %bb.199:                              ;   in Loop: Header=BB255_10 Depth=1
	s_wait_alu 0xfffe
	s_or_b32 exec_lo, exec_lo, s35
	v_lshlrev_b32_e32 v1, 8, v43
	v_lshl_add_u32 v43, v44, 10, 0x2000
	v_lshlrev_b32_e32 v7, 23, v7
	s_delay_alu instid0(VALU_DEP_2) | instskip(NEXT) | instid1(VALU_DEP_1)
	v_and_or_b32 v1, 0x8000, v1, v43
	v_lshl_or_b32 v7, v1, 16, v7
.LBB255_200:                            ;   in Loop: Header=BB255_10 Depth=1
	s_wait_alu 0xfffe
	s_or_b32 exec_lo, exec_lo, s34
.LBB255_201:                            ;   in Loop: Header=BB255_10 Depth=1
	s_delay_alu instid0(SALU_CYCLE_1)
	s_or_b32 exec_lo, exec_lo, s33
.LBB255_202:                            ;   in Loop: Header=BB255_10 Depth=1
	s_wait_alu 0xfffe
	s_or_b32 exec_lo, exec_lo, s5
	ds_load_b32 v1, v16
	v_or_b32_e32 v22, v21, v22
	v_fma_mixlo_f16 v21, v20, v21, 0 op_sel:[0,1,0] op_sel_hi:[0,1,0]
	v_or_b32_e32 v24, v23, v24
	v_fma_mixlo_f16 v23, v20, v23, 0 op_sel:[0,1,0] op_sel_hi:[0,1,0]
	v_or_b32_e32 v26, v25, v26
	v_fma_mixlo_f16 v22, v20, v22, 0 op_sel_hi:[0,1,0]
	v_and_b32_e32 v45, 0xffff, v21
	v_fma_mixlo_f16 v24, v20, v24, 0 op_sel_hi:[0,1,0]
	v_and_b32_e32 v47, 0xffff, v23
	;; [unrolled: 2-line block ×3, first 2 shown]
	v_fma_mixlo_f16 v25, v20, v25, 0 op_sel:[0,1,0] op_sel_hi:[0,1,0]
	v_or_b32_e32 v28, v27, v28
	v_fma_mixlo_f16 v27, v20, v27, 0 op_sel:[0,1,0] op_sel_hi:[0,1,0]
	v_and_b32_e32 v48, 0xffff, v26
	v_or_b32_e32 v30, v29, v30
	v_and_b32_e32 v49, 0xffff, v25
	v_fma_mixlo_f16 v28, v20, v28, 0 op_sel_hi:[0,1,0]
	v_and_b32_e32 v51, 0xffff, v27
	s_wait_dscnt 0x0
	v_and_b32_e32 v43, 0xffff, v1
	v_lshrrev_b32_e32 v44, 16, v1
	;;#ASMSTART
	v_cvt_f32_f16 v1, v43;
	;;#ASMEND
	;;#ASMSTART
	v_cvt_f32_f16 v21, v44;
	;;#ASMEND
	;; [unrolled: 3-line block ×4, first 2 shown]
	ds_load_b32 v44, v16 offset:4
	v_and_b32_e32 v46, 0xffff, v24
	v_fma_mixlo_f16 v30, v20, v30, 0 op_sel_hi:[0,1,0]
	v_fma_mixlo_f16 v29, v20, v29, 0 op_sel:[0,1,0] op_sel_hi:[0,1,0]
	v_or_b32_e32 v32, v31, v32
	v_fma_mixlo_f16 v31, v20, v31, 0 op_sel:[0,1,0] op_sel_hi:[0,1,0]
	v_or_b32_e32 v34, v33, v34
	v_fma_mixlo_f16 v33, v20, v33, 0 op_sel:[0,1,0] op_sel_hi:[0,1,0]
	v_and_b32_e32 v53, 0xffff, v29
	v_fma_mixlo_f16 v32, v20, v32, 0 op_sel_hi:[0,1,0]
	v_and_b32_e32 v55, 0xffff, v31
	v_fma_mixlo_f16 v34, v20, v34, 0 op_sel_hi:[0,1,0]
	v_and_b32_e32 v57, 0xffff, v33
	v_or_b32_e32 v36, v35, v36
	v_fma_mixlo_f16 v35, v20, v35, 0 op_sel:[0,1,0] op_sel_hi:[0,1,0]
	v_or_b32_e32 v38, v37, v38
	v_and_b32_e32 v56, 0xffff, v34
	v_fma_mixlo_f16 v37, v20, v37, 0 op_sel:[0,1,0] op_sel_hi:[0,1,0]
	v_fma_mixlo_f16 v36, v20, v36, 0 op_sel_hi:[0,1,0]
	v_and_b32_e32 v59, 0xffff, v35
	s_wait_dscnt 0x0
	v_and_b32_e32 v45, 0xffff, v44
	v_lshrrev_b32_e32 v44, 16, v44
	;;#ASMSTART
	v_cvt_f32_f16 v23, v45;
	;;#ASMEND
	;;#ASMSTART
	v_cvt_f32_f16 v24, v44;
	;;#ASMEND
	;; [unrolled: 3-line block ×4, first 2 shown]
	ds_load_b32 v46, v16 offset:8
	v_mul_f32_e32 v23, v23, v44
	v_fma_mixlo_f16 v38, v20, v38, 0 op_sel_hi:[0,1,0]
	v_and_b32_e32 v61, 0xffff, v37
	v_mul_f32_e32 v24, v24, v45
	v_or_b32_e32 v40, v39, v40
	v_fmac_f32_e32 v23, v1, v22
	v_fma_mixlo_f16 v39, v20, v39, 0 op_sel:[0,1,0] op_sel_hi:[0,1,0]
	v_or_b32_e32 v1, v41, v42
	v_fmac_f32_e32 v24, v21, v43
	v_fma_mixlo_f16 v40, v20, v40, 0 op_sel_hi:[0,1,0]
	v_fma_mixlo_f16 v21, v20, v41, 0 op_sel:[0,1,0] op_sel_hi:[0,1,0]
	v_or_b32_e32 v8, v7, v8
	v_fma_mixlo_f16 v1, v20, v1, 0 op_sel_hi:[0,1,0]
	v_fma_mixlo_f16 v7, v20, v7, 0 op_sel:[0,1,0] op_sel_hi:[0,1,0]
	s_delay_alu instid0(VALU_DEP_3)
	v_fma_mixlo_f16 v8, v20, v8, 0 op_sel_hi:[0,1,0]
	s_wait_dscnt 0x0
	v_and_b32_e32 v47, 0xffff, v46
	v_lshrrev_b32_e32 v46, 16, v46
	;;#ASMSTART
	v_cvt_f32_f16 v25, v47;
	;;#ASMEND
	;;#ASMSTART
	v_cvt_f32_f16 v26, v46;
	;;#ASMEND
	;; [unrolled: 3-line block ×4, first 2 shown]
	ds_load_b32 v48, v16 offset:12
	v_dual_fmac_f32 v23, v25, v46 :: v_dual_and_b32 v50, 0xffff, v28
	v_dual_fmac_f32 v24, v26, v47 :: v_dual_and_b32 v25, 0xffff, v21
	s_wait_dscnt 0x0
	v_and_b32_e32 v49, 0xffff, v48
	v_lshrrev_b32_e32 v48, 16, v48
	;;#ASMSTART
	v_cvt_f32_f16 v27, v49;
	;;#ASMEND
	;;#ASMSTART
	v_cvt_f32_f16 v28, v48;
	;;#ASMEND
	;; [unrolled: 3-line block ×4, first 2 shown]
	ds_load_b32 v50, v16 offset:16
	v_dual_fmac_f32 v23, v27, v48 :: v_dual_and_b32 v52, 0xffff, v30
	v_fmac_f32_e32 v24, v28, v49
	v_xor_b32_e32 v27, 2, v13
	s_delay_alu instid0(VALU_DEP_1)
	v_cmp_gt_i32_e64 s4, 32, v27
	s_wait_dscnt 0x0
	v_and_b32_e32 v51, 0xffff, v50
	v_lshrrev_b32_e32 v50, 16, v50
	;;#ASMSTART
	v_cvt_f32_f16 v29, v51;
	;;#ASMEND
	;;#ASMSTART
	v_cvt_f32_f16 v30, v50;
	;;#ASMEND
	;; [unrolled: 3-line block ×4, first 2 shown]
	ds_load_b32 v52, v16 offset:20
	v_dual_fmac_f32 v23, v29, v50 :: v_dual_and_b32 v54, 0xffff, v32
	s_wait_dscnt 0x0
	v_dual_fmac_f32 v24, v30, v51 :: v_dual_and_b32 v53, 0xffff, v52
	v_lshrrev_b32_e32 v52, 16, v52
	;;#ASMSTART
	v_cvt_f32_f16 v31, v53;
	;;#ASMEND
	;;#ASMSTART
	v_cvt_f32_f16 v32, v52;
	;;#ASMEND
	;; [unrolled: 3-line block ×4, first 2 shown]
	ds_load_b32 v54, v16 offset:24
	v_dual_fmac_f32 v23, v31, v52 :: v_dual_fmac_f32 v24, v32, v53
	s_wait_dscnt 0x0
	v_and_b32_e32 v55, 0xffff, v54
	v_lshrrev_b32_e32 v54, 16, v54
	;;#ASMSTART
	v_cvt_f32_f16 v33, v55;
	;;#ASMEND
	;;#ASMSTART
	v_cvt_f32_f16 v34, v54;
	;;#ASMEND
	;; [unrolled: 3-line block ×4, first 2 shown]
	ds_load_b32 v56, v16 offset:28
	v_dual_fmac_f32 v23, v33, v54 :: v_dual_and_b32 v58, 0xffff, v36
	s_wait_dscnt 0x0
	v_dual_fmac_f32 v24, v34, v55 :: v_dual_and_b32 v57, 0xffff, v56
	v_lshrrev_b32_e32 v56, 16, v56
	;;#ASMSTART
	v_cvt_f32_f16 v35, v57;
	;;#ASMEND
	;;#ASMSTART
	v_cvt_f32_f16 v36, v56;
	;;#ASMEND
	;; [unrolled: 3-line block ×4, first 2 shown]
	ds_load_b32 v58, v16 offset:32
	v_dual_fmac_f32 v23, v35, v56 :: v_dual_and_b32 v60, 0xffff, v38
	s_wait_dscnt 0x0
	v_dual_fmac_f32 v24, v36, v57 :: v_dual_and_b32 v59, 0xffff, v58
	v_lshrrev_b32_e32 v58, 16, v58
	;;#ASMSTART
	v_cvt_f32_f16 v37, v59;
	;;#ASMEND
	;;#ASMSTART
	v_cvt_f32_f16 v38, v58;
	;;#ASMEND
	;; [unrolled: 3-line block ×4, first 2 shown]
	ds_load_b32 v60, v16 offset:36
	v_and_b32_e32 v61, 0xffff, v39
	v_dual_fmac_f32 v23, v37, v58 :: v_dual_and_b32 v62, 0xffff, v40
	s_wait_dscnt 0x0
	v_dual_fmac_f32 v24, v38, v59 :: v_dual_and_b32 v39, 0xffff, v60
	v_lshrrev_b32_e32 v60, 16, v60
	;;#ASMSTART
	v_cvt_f32_f16 v39, v39;
	;;#ASMEND
	;;#ASMSTART
	v_cvt_f32_f16 v40, v60;
	;;#ASMEND
	;; [unrolled: 3-line block ×4, first 2 shown]
	ds_load_b32 v60, v16 offset:40
	v_dual_fmac_f32 v23, v39, v44 :: v_dual_and_b32 v26, 0xffff, v1
	s_wait_dscnt 0x0
	v_dual_fmac_f32 v24, v40, v45 :: v_dual_and_b32 v21, 0xffff, v60
	v_lshrrev_b32_e32 v22, 16, v60
	;;#ASMSTART
	v_cvt_f32_f16 v1, v21;
	;;#ASMEND
	;;#ASMSTART
	v_cvt_f32_f16 v21, v22;
	;;#ASMEND
	;; [unrolled: 3-line block ×4, first 2 shown]
	ds_load_b32 v26, v16 offset:44
	v_fmac_f32_e32 v23, v1, v22
	v_fmac_f32_e32 v24, v21, v25
	s_wait_dscnt 0x0
	v_and_b32_e32 v20, 0xffff, v26
	v_lshrrev_b32_e32 v26, 16, v26
	;;#ASMSTART
	v_cvt_f32_f16 v1, v20;
	;;#ASMEND
	v_and_b32_e32 v28, 0xffff, v7
	s_wait_alu 0xf1ff
	v_cndmask_b32_e64 v7, v13, v27, s4
	v_and_b32_e32 v27, 0xffff, v8
	;;#ASMSTART
	v_cvt_f32_f16 v8, v26;
	;;#ASMEND
	;;#ASMSTART
	v_cvt_f32_f16 v20, v27;
	;;#ASMEND
	v_fmac_f32_e32 v23, v1, v20
	;;#ASMSTART
	v_cvt_f32_f16 v21, v28;
	;;#ASMEND
	v_dual_fmac_f32 v24, v8, v21 :: v_dual_lshlrev_b32 v1, 2, v7
	v_xor_b32_e32 v8, 1, v13
	s_delay_alu instid0(VALU_DEP_2) | instskip(NEXT) | instid1(VALU_DEP_2)
	v_add_f32_e32 v7, v23, v24
	v_cmp_gt_i32_e64 s4, 32, v8
	ds_bpermute_b32 v1, v1, v7
	s_wait_alu 0xf1ff
	v_cndmask_b32_e64 v8, v13, v8, s4
	s_wait_dscnt 0x0
	v_add_f32_e32 v1, v7, v1
	s_delay_alu instid0(VALU_DEP_2)
	v_lshlrev_b32_e32 v7, 2, v8
	ds_bpermute_b32 v7, v7, v1
	s_and_saveexec_b32 s5, vcc_lo
	s_cbranch_execz .LBB255_9
; %bb.203:                              ;   in Loop: Header=BB255_10 Depth=1
	s_wait_dscnt 0x0
	v_dual_add_f32 v1, v1, v7 :: v_dual_add_nc_u32 v8, s31, v17
	v_cmp_gt_i32_e64 s4, s27, v17
	s_delay_alu instid0(VALU_DEP_2) | instskip(NEXT) | instid1(VALU_DEP_1)
	v_cvt_f32_i32_e32 v8, v8
	v_mul_f32_e32 v8, s6, v8
	s_delay_alu instid0(VALU_DEP_1) | instskip(NEXT) | instid1(VALU_DEP_1)
	v_cndmask_b32_e64 v7, 0, v8, s3
	v_dual_max_num_f32 v8, v14, v14 :: v_dual_fmac_f32 v7, s7, v1
	s_delay_alu instid0(VALU_DEP_1) | instskip(SKIP_2) | instid1(VALU_DEP_2)
	v_max_num_f32_e32 v1, v8, v7
	s_wait_alu 0xf1ff
	v_cndmask_b32_e64 v7, 0, v7, s4
	v_cndmask_b32_e64 v14, v14, v1, s4
	ds_store_b32 v18, v7
	s_branch .LBB255_9
.LBB255_204:
	s_or_b32 exec_lo, exec_lo, s15
.LBB255_205:
	s_delay_alu instid0(SALU_CYCLE_1)
	s_or_b32 exec_lo, exec_lo, s24
	v_xor_b32_e32 v1, 16, v13
	v_xor_b32_e32 v4, 8, v13
	;; [unrolled: 1-line block ×3, first 2 shown]
	s_load_b128 s[4:7], s[0:1], 0x0
	s_wait_kmcnt 0x0
	s_clause 0x1
	s_load_b64 s[8:9], s[0:1], 0x10
	s_load_b64 s[24:25], s[0:1], 0x28
	v_cmp_lt_i32_e32 vcc_lo, v1, v15
	v_cndmask_b32_e32 v1, v13, v1, vcc_lo
	v_cmp_lt_i32_e32 vcc_lo, v4, v15
	s_wait_alu 0xfffd
	v_dual_max_num_f32 v5, v14, v14 :: v_dual_cndmask_b32 v4, v13, v4
	v_cmp_lt_i32_e32 vcc_lo, v6, v15
	s_delay_alu instid0(VALU_DEP_2)
	v_lshlrev_b32_e32 v4, 2, v4
	s_wait_alu 0xfffd
	v_dual_cndmask_b32 v6, v13, v6 :: v_dual_lshlrev_b32 v3, 2, v1
	ds_bpermute_b32 v1, v3, v14
	s_wait_dscnt 0x1
	v_lshlrev_b32_e32 v7, 2, v6
	v_and_b32_e32 v14, 31, v0
	s_delay_alu instid0(VALU_DEP_1) | instskip(SKIP_2) | instid1(VALU_DEP_1)
	v_cmp_eq_u32_e32 vcc_lo, 0, v14
	s_wait_dscnt 0x0
	v_max_num_f32_e32 v1, v1, v1
	v_max_num_f32_e32 v1, v5, v1
	ds_bpermute_b32 v5, v4, v1
	s_wait_dscnt 0x0
	v_max_num_f32_e32 v5, v5, v5
	s_delay_alu instid0(VALU_DEP_1)
	v_max_num_f32_e32 v1, v1, v5
	v_lshlrev_b32_e32 v5, 2, v11
	ds_bpermute_b32 v6, v7, v1
	s_and_saveexec_b32 s0, vcc_lo
	s_cbranch_execz .LBB255_207
; %bb.206:
	s_wait_dscnt 0x0
	v_dual_max_num_f32 v6, v6, v6 :: v_dual_max_num_f32 v1, v1, v1
	s_delay_alu instid0(VALU_DEP_1)
	v_max_num_f32_e32 v1, v1, v6
	ds_store_b32 v5, v1 offset:192
.LBB255_207:
	s_or_b32 exec_lo, exec_lo, s0
	v_cmp_gt_u32_e64 s0, 4, v14
	s_wait_dscnt 0x0
	v_dual_mov_b32 v1, 0xff7fffff :: v_dual_lshlrev_b32 v6, 2, v14
	s_wait_loadcnt 0x0
	s_barrier_signal -1
	s_barrier_wait -1
	global_inv scope:SCOPE_SE
	s_and_saveexec_b32 s1, s0
; %bb.208:
	ds_load_b32 v1, v6 offset:192
; %bb.209:
	s_or_b32 exec_lo, exec_lo, s1
	v_xor_b32_e32 v8, 2, v13
	v_xor_b32_e32 v17, 1, v13
	v_lshlrev_b32_e32 v2, 2, v2
	s_delay_alu instid0(VALU_DEP_3) | instskip(NEXT) | instid1(VALU_DEP_1)
	v_cmp_lt_i32_e64 s1, v8, v15
	v_cndmask_b32_e64 v8, v13, v8, s1
	s_delay_alu instid0(VALU_DEP_4) | instskip(NEXT) | instid1(VALU_DEP_2)
	v_cmp_lt_i32_e64 s1, v17, v15
	v_lshlrev_b32_e32 v8, 2, v8
	s_wait_alu 0xf1ff
	s_delay_alu instid0(VALU_DEP_2)
	v_cndmask_b32_e64 v15, v13, v17, s1
	s_sub_co_i32 s1, s17, s30
	s_wait_alu 0xfffe
	s_lshl_b32 s1, s1, 3
	s_wait_dscnt 0x0
	ds_bpermute_b32 v16, v8, v1
	v_max_num_f32_e32 v1, v1, v1
	v_lshlrev_b32_e32 v15, 2, v15
	s_wait_alu 0xfffe
	s_add_co_i32 s1, s1, s28
	s_wait_alu 0xfffe
	s_min_i32 s1, s1, s27
	s_wait_alu 0xfffe
	s_sub_co_i32 s15, s1, s28
	s_delay_alu instid0(SALU_CYCLE_1) | instskip(SKIP_2) | instid1(VALU_DEP_1)
	v_cmp_gt_i32_e64 s1, s15, v0
	s_wait_dscnt 0x0
	v_max_num_f32_e32 v16, v16, v16
	v_max_num_f32_e32 v1, v1, v16
	ds_bpermute_b32 v16, v15, v1
	s_wait_dscnt 0x0
	v_max_num_f32_e32 v16, v16, v16
	s_delay_alu instid0(VALU_DEP_1)
	v_dual_max_num_f32 v1, v1, v16 :: v_dual_mov_b32 v16, 0
	ds_bpermute_b32 v1, v2, v1
	v_lshl_add_u32 v2, v0, 2, 0xe0
	s_and_saveexec_b32 s30, s1
	s_cbranch_execz .LBB255_213
; %bb.210:
	v_lshl_add_u32 v17, v0, 2, 0xe0
	v_mov_b32_e32 v16, 0
	v_mov_b32_e32 v18, v0
	s_mov_b32 s31, 0
.LBB255_211:                            ; =>This Inner Loop Header: Depth=1
	ds_load_b32 v19, v17
	v_add_nc_u32_e32 v18, 0x80, v18
	s_delay_alu instid0(VALU_DEP_1) | instskip(SKIP_4) | instid1(VALU_DEP_1)
	v_cmp_le_i32_e64 s3, s15, v18
	s_wait_alu 0xfffe
	s_or_b32 s31, s3, s31
	s_wait_dscnt 0x0
	v_sub_f32_e32 v19, v19, v1
	v_mul_f32_e32 v19, 0x3fb8aa3b, v19
	s_delay_alu instid0(VALU_DEP_1)
	v_exp_f32_e32 v19, v19
	ds_store_b32 v17, v19
	v_dual_add_f32 v16, v16, v19 :: v_dual_add_nc_u32 v17, 0x200, v17
	s_wait_alu 0xfffe
	s_and_not1_b32 exec_lo, exec_lo, s31
	s_cbranch_execnz .LBB255_211
; %bb.212:
	s_or_b32 exec_lo, exec_lo, s31
.LBB255_213:
	s_wait_alu 0xfffe
	s_or_b32 exec_lo, exec_lo, s30
	ds_bpermute_b32 v3, v3, v16
	s_wait_dscnt 0x0
	v_add_f32_e32 v3, v16, v3
	ds_bpermute_b32 v4, v4, v3
	s_wait_dscnt 0x0
	v_add_f32_e32 v3, v3, v4
	;; [unrolled: 3-line block ×5, first 2 shown]
	s_and_saveexec_b32 s3, vcc_lo
; %bb.214:
	ds_store_b32 v5, v3 offset:208
; %bb.215:
	s_wait_alu 0xfffe
	s_or_b32 exec_lo, exec_lo, s3
	s_wait_loadcnt_dscnt 0x0
	s_barrier_signal -1
	s_barrier_wait -1
	global_inv scope:SCOPE_SE
	s_and_saveexec_b32 s3, s0
; %bb.216:
	ds_load_b32 v3, v6 offset:208
; %bb.217:
	s_wait_alu 0xfffe
	s_or_b32 exec_lo, exec_lo, s3
	s_wait_dscnt 0x0
	ds_bpermute_b32 v4, v8, v3
	v_lshlrev_b32_e32 v5, 2, v13
	s_wait_dscnt 0x0
	v_add_f32_e32 v3, v3, v4
	ds_bpermute_b32 v4, v15, v3
	s_wait_dscnt 0x0
	v_dual_add_f32 v3, v3, v4 :: v_dual_and_b32 v4, 0xffffff80, v5
	ds_bpermute_b32 v3, v4, v3
	s_and_saveexec_b32 s0, s1
	s_cbranch_execz .LBB255_220
; %bb.218:
	s_wait_dscnt 0x0
	v_add_f32_e32 v4, 0x358637bd, v3
	s_mov_b32 s1, 0
	s_delay_alu instid0(VALU_DEP_1) | instskip(SKIP_1) | instid1(VALU_DEP_2)
	v_div_scale_f32 v5, null, v4, v4, 1.0
	v_div_scale_f32 v8, vcc_lo, 1.0, v4, 1.0
	v_rcp_f32_e32 v6, v5
	s_delay_alu instid0(TRANS32_DEP_1) | instskip(NEXT) | instid1(VALU_DEP_1)
	v_fma_f32 v7, -v5, v6, 1.0
	v_fmac_f32_e32 v6, v7, v6
	s_delay_alu instid0(VALU_DEP_1) | instskip(NEXT) | instid1(VALU_DEP_1)
	v_mul_f32_e32 v7, v8, v6
	v_fma_f32 v13, -v5, v7, v8
	s_delay_alu instid0(VALU_DEP_1) | instskip(NEXT) | instid1(VALU_DEP_1)
	v_fmac_f32_e32 v7, v13, v6
	v_fma_f32 v5, -v5, v7, v8
	s_wait_alu 0xfffd
	s_delay_alu instid0(VALU_DEP_1) | instskip(NEXT) | instid1(VALU_DEP_1)
	v_div_fmas_f32 v5, v5, v6, v7
	v_div_fixup_f32 v4, v5, v4, 1.0
	v_mov_b32_e32 v5, v0
.LBB255_219:                            ; =>This Inner Loop Header: Depth=1
	ds_load_b32 v6, v2
	s_wait_dscnt 0x0
	v_dual_mul_f32 v6, v4, v6 :: v_dual_add_nc_u32 v5, 0x80, v5
	s_delay_alu instid0(VALU_DEP_1)
	v_cmp_le_i32_e32 vcc_lo, s15, v5
	ds_store_b32 v2, v6
	v_add_nc_u32_e32 v2, 0x200, v2
	s_wait_alu 0xfffe
	s_or_b32 s1, vcc_lo, s1
	s_wait_alu 0xfffe
	s_and_not1_b32 exec_lo, exec_lo, s1
	s_cbranch_execnz .LBB255_219
.LBB255_220:
	s_wait_alu 0xfffe
	s_or_b32 exec_lo, exec_lo, s0
	s_mul_i32 s0, s12, s22
	s_wait_loadcnt_dscnt 0x0
	s_wait_alu 0xfffe
	s_mul_i32 s22, s0, s23
	s_mov_b32 s0, exec_lo
	s_barrier_signal -1
	s_barrier_wait -1
	global_inv scope:SCOPE_SE
	v_cmpx_eq_u32_e32 0, v0
	s_cbranch_execz .LBB255_222
; %bb.221:
	s_ashr_i32 s23, s22, 31
	s_wait_alu 0xfffe
	s_mul_i32 s30, s12, ttmp9
	s_lshl_b32 s1, s26, 2
	s_lshl_b64 s[34:35], s[22:23], 2
	s_wait_alu 0xfffe
	s_ashr_i32 s31, s30, 31
	v_mov_b32_e32 v2, s1
	s_add_nc_u64 s[6:7], s[6:7], s[34:35]
	s_wait_alu 0xfffe
	s_lshl_b64 s[30:31], s[30:31], 2
	s_add_nc_u64 s[4:5], s[4:5], s[34:35]
	s_wait_alu 0xfffe
	s_add_nc_u64 s[6:7], s[6:7], s[30:31]
	s_add_nc_u64 s[4:5], s[4:5], s[30:31]
	s_clause 0x1
	global_store_b32 v2, v1, s[6:7]
	global_store_b32 v2, v3, s[4:5]
.LBB255_222:
	s_wait_alu 0xfffe
	s_or_b32 exec_lo, exec_lo, s0
	v_dual_mov_b32 v16, 0 :: v_dual_mov_b32 v15, 0
	v_mov_b32_e32 v13, 0
	s_and_saveexec_b32 s1, s2
	s_cbranch_execz .LBB255_424
; %bb.223:
	v_dual_mov_b32 v2, 0 :: v_dual_lshlrev_b32 v1, 3, v14
	s_ashr_i32 s15, s14, 31
	v_add3_u32 v17, s28, v10, 7
	s_wait_kmcnt 0x0
	s_wait_alu 0xfffe
	s_add_nc_u64 s[6:7], s[24:25], s[14:15]
	v_lshl_add_u32 v18, v11, 5, 0xe0
	s_wait_alu 0xfffe
	v_add_co_u32 v3, s0, s6, v1
	s_wait_alu 0xf1ff
	v_add_co_ci_u32_e64 v4, null, s7, 0, s0
	s_lshl_b64 s[6:7], s[18:19], 2
	v_dual_mov_b32 v13, 0 :: v_dual_mov_b32 v16, 0
	s_wait_alu 0xfffe
	s_add_nc_u64 s[6:7], s[20:21], s[6:7]
	v_mov_b32_e32 v15, 0
	s_wait_alu 0xfffe
	v_add_co_u32 v5, s0, s6, v9
	s_wait_alu 0xf1ff
	v_add_co_ci_u32_e64 v6, null, s7, 0, s0
	s_mov_b32 s2, -1
	s_mov_b32 s4, s13
	s_mov_b32 s3, 0xffffff
	s_add_co_i32 s29, s29, -1
	s_mov_b32 s5, 0
	s_branch .LBB255_225
.LBB255_224:                            ;   in Loop: Header=BB255_225 Depth=1
	s_wait_alu 0xfffe
	s_or_b32 exec_lo, exec_lo, s0
	;;#ASMSTART
	v_pk_mul_f16 v1, v29, v37;

	;;#ASMEND
	;;#ASMSTART
	v_pk_mul_f16 v7, v28, v8;

	;;#ASMEND
	;; [unrolled: 4-line block ×4, first 2 shown]
	;;#ASMSTART
	v_pk_add_f16 v1, v1, v7;

	;;#ASMEND
	;;#ASMSTART
	v_pk_add_f16 v1, v1, v8;

	;;#ASMEND
	;; [unrolled: 4-line block ×3, first 2 shown]
	v_and_b32_e32 v8, 0xffff, v1
	v_lshrrev_b32_e32 v19, 16, v1
	v_dual_add_f32 v1, v9, v10 :: v_dual_add_nc_u32 v12, 4, v12
	;;#ASMSTART
	v_cvt_f32_f16 v8, v8;
	;;#ASMEND
	;;#ASMSTART
	v_cvt_f32_f16 v9, v19;
	;;#ASMEND
	v_dual_add_f32 v7, v30, v31 :: v_dual_add_f32 v8, v8, v9
	s_delay_alu instid0(VALU_DEP_2) | instskip(SKIP_2) | instid1(VALU_DEP_4)
	v_add_f32_e32 v15, v15, v1
	v_cmp_le_i32_e32 vcc_lo, s17, v12
	v_add_co_u32 v5, s0, v5, 16
	v_dual_add_f32 v16, v16, v7 :: v_dual_add_f32 v13, v13, v8
	v_add_nc_u32_e32 v17, 32, v17
	v_add_nc_u32_e32 v18, 0x80, v18
	s_wait_alu 0xf1ff
	v_add_co_ci_u32_e64 v6, null, 0, v6, s0
	s_or_b32 s5, vcc_lo, s5
	s_wait_alu 0xfffe
	s_and_not1_b32 exec_lo, exec_lo, s5
	s_cbranch_execz .LBB255_423
.LBB255_225:                            ; =>This Inner Loop Header: Depth=1
	global_load_b32 v1, v[5:6], off
	ds_load_2addr_b64 v[19:22], v18 offset1:1
	ds_load_2addr_b64 v[32:35], v18 offset0:2 offset1:3
	s_mov_b32 s0, exec_lo
	s_wait_dscnt 0x1
	;;#ASMSTART
	v_cvt_f16_f32 v26, v19;

	;;#ASMEND
	;;#ASMSTART
	v_cvt_f16_f32 v27, v20;

	;;#ASMEND
	;; [unrolled: 4-line block ×4, first 2 shown]
	s_wait_dscnt 0x0
	;;#ASMSTART
	v_cvt_f16_f32 v32, v32;

	;;#ASMEND
	;;#ASMSTART
	v_cvt_f16_f32 v30, v33;

	;;#ASMEND
	;; [unrolled: 4-line block ×4, first 2 shown]
	v_mov_b32_e32 v21, 0
	s_wait_loadcnt 0x0
	s_wait_alu 0xfffe
	v_mad_co_i64_i32 v[7:8], null, v1, s4, v[3:4]
	global_load_b64 v[9:10], v[7:8], off
	global_load_b32 v20, v2, s[10:11]
	s_wait_loadcnt 0x1
	v_and_b32_e32 v1, 0xff, v9
	s_delay_alu instid0(VALU_DEP_1)
	v_cmpx_ne_u16_e32 0, v1
	s_cbranch_execz .LBB255_233
; %bb.226:                              ;   in Loop: Header=BB255_225 Depth=1
	v_mov_b32_e32 v21, 0x8000
	s_mov_b32 s6, exec_lo
	v_cmpx_ne_u16_e32 0x80, v1
	s_cbranch_execz .LBB255_232
; %bb.227:                              ;   in Loop: Header=BB255_225 Depth=1
	v_and_b32_e32 v22, 0x7f, v9
	v_mov_b32_e32 v21, 0x7c01
	s_mov_b32 s7, exec_lo
	s_delay_alu instid0(VALU_DEP_2)
	v_cmpx_ne_u32_e32 0x7f, v22
	s_cbranch_execz .LBB255_231
; %bb.228:                              ;   in Loop: Header=BB255_225 Depth=1
	v_and_b32_e32 v1, 7, v9
	v_lshrrev_b32_e32 v19, 3, v22
	s_mov_b32 s13, exec_lo
	v_cmpx_gt_u32_e32 8, v22
; %bb.229:                              ;   in Loop: Header=BB255_225 Depth=1
	s_delay_alu instid0(VALU_DEP_3) | instskip(NEXT) | instid1(VALU_DEP_1)
	v_clz_i32_u32_e32 v1, v1
	v_min_u32_e32 v1, 32, v1
	s_delay_alu instid0(VALU_DEP_1) | instskip(NEXT) | instid1(VALU_DEP_1)
	v_subrev_nc_u32_e32 v19, 28, v1
	v_lshlrev_b64_e32 v[21:22], v19, v[9:10]
	v_sub_nc_u32_e32 v19, 29, v1
	s_delay_alu instid0(VALU_DEP_2)
	v_and_b32_e32 v1, 7, v21
; %bb.230:                              ;   in Loop: Header=BB255_225 Depth=1
	s_or_b32 exec_lo, exec_lo, s13
	v_lshlrev_b32_e32 v21, 8, v9
	s_delay_alu instid0(VALU_DEP_3) | instskip(NEXT) | instid1(VALU_DEP_3)
	v_lshl_add_u32 v19, v19, 10, 0x2000
	v_lshlrev_b32_e32 v1, 7, v1
	s_delay_alu instid0(VALU_DEP_3) | instskip(NEXT) | instid1(VALU_DEP_3)
	v_and_b32_e32 v21, 0x8000, v21
	v_and_b32_e32 v19, 0xfc00, v19
	s_delay_alu instid0(VALU_DEP_1)
	v_or3_b32 v21, v21, v19, v1
.LBB255_231:                            ;   in Loop: Header=BB255_225 Depth=1
	s_wait_alu 0xfffe
	s_or_b32 exec_lo, exec_lo, s7
.LBB255_232:                            ;   in Loop: Header=BB255_225 Depth=1
	s_wait_alu 0xfffe
	s_or_b32 exec_lo, exec_lo, s6
.LBB255_233:                            ;   in Loop: Header=BB255_225 Depth=1
	s_delay_alu instid0(SALU_CYCLE_1) | instskip(SKIP_3) | instid1(VALU_DEP_2)
	s_or_b32 exec_lo, exec_lo, s0
	v_lshrrev_b16 v1, 8, v9
	v_dual_mov_b32 v19, 0 :: v_dual_mov_b32 v22, 0
	s_mov_b32 s0, exec_lo
	v_cmpx_ne_u16_e32 0, v1
	s_cbranch_execz .LBB255_241
; %bb.234:                              ;   in Loop: Header=BB255_225 Depth=1
	v_bfrev_b32_e32 v22, 1
	s_mov_b32 s6, exec_lo
	v_cmpx_ne_u16_e32 0x80, v1
	s_cbranch_execz .LBB255_240
; %bb.235:                              ;   in Loop: Header=BB255_225 Depth=1
	v_and_b32_e32 v23, 0xffff, v1
	v_mov_b32_e32 v22, 0x7c010000
	s_mov_b32 s7, exec_lo
	s_delay_alu instid0(VALU_DEP_2) | instskip(NEXT) | instid1(VALU_DEP_1)
	v_and_b32_e32 v25, 0x7f, v23
	v_cmpx_ne_u32_e32 0x7f, v25
	s_cbranch_execz .LBB255_239
; %bb.236:                              ;   in Loop: Header=BB255_225 Depth=1
	v_and_b32_e32 v22, 7, v23
	v_lshrrev_b32_e32 v24, 3, v25
	s_mov_b32 s13, exec_lo
	v_cmpx_gt_u32_e32 8, v25
; %bb.237:                              ;   in Loop: Header=BB255_225 Depth=1
	s_delay_alu instid0(VALU_DEP_3) | instskip(NEXT) | instid1(VALU_DEP_1)
	v_clz_i32_u32_e32 v22, v22
	v_min_u32_e32 v22, 32, v22
	s_delay_alu instid0(VALU_DEP_1) | instskip(NEXT) | instid1(VALU_DEP_1)
	v_subrev_nc_u32_e32 v24, 28, v22
	v_lshlrev_b64_e32 v[34:35], v24, v[1:2]
	v_sub_nc_u32_e32 v24, 29, v22
	s_delay_alu instid0(VALU_DEP_2)
	v_and_b32_e32 v22, 7, v34
; %bb.238:                              ;   in Loop: Header=BB255_225 Depth=1
	s_or_b32 exec_lo, exec_lo, s13
	v_lshlrev_b32_e32 v1, 8, v23
	s_delay_alu instid0(VALU_DEP_3) | instskip(NEXT) | instid1(VALU_DEP_3)
	v_lshl_add_u32 v23, v24, 10, 0x2000
	v_lshlrev_b32_e32 v22, 23, v22
	s_delay_alu instid0(VALU_DEP_2) | instskip(NEXT) | instid1(VALU_DEP_1)
	v_and_or_b32 v1, 0x8000, v1, v23
	v_lshl_or_b32 v22, v1, 16, v22
.LBB255_239:                            ;   in Loop: Header=BB255_225 Depth=1
	s_wait_alu 0xfffe
	s_or_b32 exec_lo, exec_lo, s7
.LBB255_240:                            ;   in Loop: Header=BB255_225 Depth=1
	s_wait_alu 0xfffe
	s_or_b32 exec_lo, exec_lo, s6
.LBB255_241:                            ;   in Loop: Header=BB255_225 Depth=1
	s_wait_alu 0xfffe
	s_or_b32 exec_lo, exec_lo, s0
	v_lshrrev_b32_e32 v1, 16, v9
	s_mov_b32 s0, exec_lo
	s_delay_alu instid0(VALU_DEP_1) | instskip(NEXT) | instid1(VALU_DEP_1)
	v_and_b32_e32 v23, 0xff, v1
	v_cmpx_ne_u16_e32 0, v23
	s_cbranch_execz .LBB255_249
; %bb.242:                              ;   in Loop: Header=BB255_225 Depth=1
	v_mov_b32_e32 v19, 0x8000
	s_mov_b32 s6, exec_lo
	v_cmpx_ne_u16_e32 0x80, v23
	s_cbranch_execz .LBB255_248
; %bb.243:                              ;   in Loop: Header=BB255_225 Depth=1
	v_bfe_u32 v24, v9, 16, 7
	v_mov_b32_e32 v19, 0x7c01
	s_mov_b32 s7, exec_lo
	s_delay_alu instid0(VALU_DEP_2)
	v_cmpx_ne_u32_e32 0x7f, v24
	s_cbranch_execz .LBB255_247
; %bb.244:                              ;   in Loop: Header=BB255_225 Depth=1
	v_and_b32_e32 v19, 7, v1
	v_lshrrev_b32_e32 v23, 3, v24
	s_mov_b32 s13, exec_lo
	v_cmpx_gt_u32_e32 8, v24
; %bb.245:                              ;   in Loop: Header=BB255_225 Depth=1
	s_delay_alu instid0(VALU_DEP_3) | instskip(NEXT) | instid1(VALU_DEP_1)
	v_clz_i32_u32_e32 v19, v19
	v_min_u32_e32 v19, 32, v19
	s_delay_alu instid0(VALU_DEP_1) | instskip(NEXT) | instid1(VALU_DEP_1)
	v_subrev_nc_u32_e32 v23, 28, v19
	v_lshlrev_b64_e32 v[24:25], v23, v[1:2]
	v_sub_nc_u32_e32 v23, 29, v19
	s_delay_alu instid0(VALU_DEP_2)
	v_and_b32_e32 v19, 7, v24
; %bb.246:                              ;   in Loop: Header=BB255_225 Depth=1
	s_or_b32 exec_lo, exec_lo, s13
	v_lshlrev_b32_e32 v1, 8, v1
	s_delay_alu instid0(VALU_DEP_3) | instskip(NEXT) | instid1(VALU_DEP_3)
	v_lshl_add_u32 v23, v23, 10, 0x2000
	v_lshlrev_b32_e32 v19, 7, v19
	s_delay_alu instid0(VALU_DEP_3) | instskip(NEXT) | instid1(VALU_DEP_3)
	v_and_b32_e32 v1, 0x8000, v1
	v_and_b32_e32 v23, 0xfc00, v23
	s_delay_alu instid0(VALU_DEP_1)
	v_or3_b32 v19, v1, v23, v19
.LBB255_247:                            ;   in Loop: Header=BB255_225 Depth=1
	s_wait_alu 0xfffe
	s_or_b32 exec_lo, exec_lo, s7
.LBB255_248:                            ;   in Loop: Header=BB255_225 Depth=1
	s_wait_alu 0xfffe
	s_or_b32 exec_lo, exec_lo, s6
.LBB255_249:                            ;   in Loop: Header=BB255_225 Depth=1
	s_wait_alu 0xfffe
	s_or_b32 exec_lo, exec_lo, s0
	v_dual_mov_b32 v23, 0 :: v_dual_mov_b32 v24, 0
	s_mov_b32 s0, exec_lo
	v_cmpx_lt_u32_e32 0xffffff, v9
	s_cbranch_execz .LBB255_257
; %bb.250:                              ;   in Loop: Header=BB255_225 Depth=1
	v_lshrrev_b32_e32 v1, 24, v9
	v_bfrev_b32_e32 v24, 1
	s_mov_b32 s6, exec_lo
	s_delay_alu instid0(VALU_DEP_2)
	v_cmpx_ne_u32_e32 0x80, v1
	s_cbranch_execz .LBB255_256
; %bb.251:                              ;   in Loop: Header=BB255_225 Depth=1
	v_and_b32_e32 v34, 0x7f, v1
	v_mov_b32_e32 v24, 0x7c010000
	s_mov_b32 s7, exec_lo
	s_delay_alu instid0(VALU_DEP_2)
	v_cmpx_ne_u32_e32 0x7f, v34
	s_cbranch_execz .LBB255_255
; %bb.252:                              ;   in Loop: Header=BB255_225 Depth=1
	v_and_b32_e32 v24, 7, v1
	v_lshrrev_b32_e32 v25, 3, v34
	s_mov_b32 s13, exec_lo
	v_cmpx_gt_u32_e32 8, v34
; %bb.253:                              ;   in Loop: Header=BB255_225 Depth=1
	s_delay_alu instid0(VALU_DEP_3) | instskip(NEXT) | instid1(VALU_DEP_1)
	v_clz_i32_u32_e32 v24, v24
	v_min_u32_e32 v34, 32, v24
	s_delay_alu instid0(VALU_DEP_1) | instskip(NEXT) | instid1(VALU_DEP_1)
	v_subrev_nc_u32_e32 v24, 28, v34
	v_lshlrev_b64_e32 v[24:25], v24, v[1:2]
	v_sub_nc_u32_e32 v25, 29, v34
	s_delay_alu instid0(VALU_DEP_2)
	v_and_b32_e32 v24, 7, v24
; %bb.254:                              ;   in Loop: Header=BB255_225 Depth=1
	s_or_b32 exec_lo, exec_lo, s13
	v_lshlrev_b32_e32 v1, 8, v1
	s_delay_alu instid0(VALU_DEP_3) | instskip(NEXT) | instid1(VALU_DEP_3)
	v_lshl_add_u32 v25, v25, 10, 0x2000
	v_lshlrev_b32_e32 v24, 23, v24
	s_delay_alu instid0(VALU_DEP_2) | instskip(NEXT) | instid1(VALU_DEP_1)
	v_and_or_b32 v1, 0x8000, v1, v25
	v_lshl_or_b32 v24, v1, 16, v24
.LBB255_255:                            ;   in Loop: Header=BB255_225 Depth=1
	s_wait_alu 0xfffe
	s_or_b32 exec_lo, exec_lo, s7
.LBB255_256:                            ;   in Loop: Header=BB255_225 Depth=1
	s_wait_alu 0xfffe
	s_or_b32 exec_lo, exec_lo, s6
.LBB255_257:                            ;   in Loop: Header=BB255_225 Depth=1
	s_wait_alu 0xfffe
	s_or_b32 exec_lo, exec_lo, s0
	v_and_b32_e32 v25, 0xff, v10
	v_mov_b32_e32 v1, v10
	s_mov_b32 s0, exec_lo
	s_delay_alu instid0(VALU_DEP_2)
	v_cmpx_ne_u16_e32 0, v25
	s_cbranch_execz .LBB255_265
; %bb.258:                              ;   in Loop: Header=BB255_225 Depth=1
	v_mov_b32_e32 v23, 0x8000
	s_mov_b32 s6, exec_lo
	v_cmpx_ne_u16_e32 0x80, v25
	s_cbranch_execz .LBB255_264
; %bb.259:                              ;   in Loop: Header=BB255_225 Depth=1
	v_and_b32_e32 v34, 0x7f, v10
	v_mov_b32_e32 v23, 0x7c01
	s_mov_b32 s7, exec_lo
	s_delay_alu instid0(VALU_DEP_2)
	v_cmpx_ne_u32_e32 0x7f, v34
	s_cbranch_execz .LBB255_263
; %bb.260:                              ;   in Loop: Header=BB255_225 Depth=1
	v_and_b32_e32 v23, 7, v10
	v_lshrrev_b32_e32 v25, 3, v34
	s_mov_b32 s13, exec_lo
	v_cmpx_gt_u32_e32 8, v34
; %bb.261:                              ;   in Loop: Header=BB255_225 Depth=1
	s_delay_alu instid0(VALU_DEP_3) | instskip(NEXT) | instid1(VALU_DEP_1)
	v_clz_i32_u32_e32 v23, v23
	v_min_u32_e32 v23, 32, v23
	s_delay_alu instid0(VALU_DEP_1) | instskip(NEXT) | instid1(VALU_DEP_1)
	v_subrev_nc_u32_e32 v25, 28, v23
	v_lshlrev_b64_e32 v[34:35], v25, v[1:2]
	v_sub_nc_u32_e32 v25, 29, v23
	s_delay_alu instid0(VALU_DEP_2)
	v_and_b32_e32 v23, 7, v34
; %bb.262:                              ;   in Loop: Header=BB255_225 Depth=1
	s_or_b32 exec_lo, exec_lo, s13
	v_lshlrev_b32_e32 v34, 8, v10
	s_delay_alu instid0(VALU_DEP_3) | instskip(NEXT) | instid1(VALU_DEP_3)
	v_lshl_add_u32 v25, v25, 10, 0x2000
	v_lshlrev_b32_e32 v23, 7, v23
	s_delay_alu instid0(VALU_DEP_3) | instskip(NEXT) | instid1(VALU_DEP_3)
	v_and_b32_e32 v34, 0x8000, v34
	v_and_b32_e32 v25, 0xfc00, v25
	s_delay_alu instid0(VALU_DEP_1)
	v_or3_b32 v23, v34, v25, v23
.LBB255_263:                            ;   in Loop: Header=BB255_225 Depth=1
	s_wait_alu 0xfffe
	s_or_b32 exec_lo, exec_lo, s7
.LBB255_264:                            ;   in Loop: Header=BB255_225 Depth=1
	s_wait_alu 0xfffe
	s_or_b32 exec_lo, exec_lo, s6
.LBB255_265:                            ;   in Loop: Header=BB255_225 Depth=1
	s_wait_alu 0xfffe
	s_or_b32 exec_lo, exec_lo, s0
	v_lshrrev_b16 v1, 8, v1
	v_dual_mov_b32 v34, 0 :: v_dual_mov_b32 v25, 0
	s_mov_b32 s0, exec_lo
	s_delay_alu instid0(VALU_DEP_2)
	v_cmpx_ne_u16_e32 0, v1
	s_cbranch_execz .LBB255_273
; %bb.266:                              ;   in Loop: Header=BB255_225 Depth=1
	v_bfrev_b32_e32 v25, 1
	s_mov_b32 s6, exec_lo
	v_cmpx_ne_u16_e32 0x80, v1
	s_cbranch_execz .LBB255_272
; %bb.267:                              ;   in Loop: Header=BB255_225 Depth=1
	v_and_b32_e32 v35, 0xffff, v1
	v_mov_b32_e32 v25, 0x7c010000
	s_mov_b32 s7, exec_lo
	s_delay_alu instid0(VALU_DEP_2) | instskip(NEXT) | instid1(VALU_DEP_1)
	v_and_b32_e32 v37, 0x7f, v35
	v_cmpx_ne_u32_e32 0x7f, v37
	s_cbranch_execz .LBB255_271
; %bb.268:                              ;   in Loop: Header=BB255_225 Depth=1
	v_and_b32_e32 v25, 7, v35
	v_lshrrev_b32_e32 v36, 3, v37
	s_mov_b32 s13, exec_lo
	v_cmpx_gt_u32_e32 8, v37
; %bb.269:                              ;   in Loop: Header=BB255_225 Depth=1
	s_delay_alu instid0(VALU_DEP_3) | instskip(NEXT) | instid1(VALU_DEP_1)
	v_clz_i32_u32_e32 v25, v25
	v_min_u32_e32 v25, 32, v25
	s_delay_alu instid0(VALU_DEP_1) | instskip(NEXT) | instid1(VALU_DEP_1)
	v_subrev_nc_u32_e32 v36, 28, v25
	v_lshlrev_b64_e32 v[37:38], v36, v[1:2]
	v_sub_nc_u32_e32 v36, 29, v25
	s_delay_alu instid0(VALU_DEP_2)
	v_and_b32_e32 v25, 7, v37
; %bb.270:                              ;   in Loop: Header=BB255_225 Depth=1
	s_or_b32 exec_lo, exec_lo, s13
	v_lshlrev_b32_e32 v1, 8, v35
	s_delay_alu instid0(VALU_DEP_3) | instskip(NEXT) | instid1(VALU_DEP_3)
	v_lshl_add_u32 v35, v36, 10, 0x2000
	v_lshlrev_b32_e32 v25, 23, v25
	s_delay_alu instid0(VALU_DEP_2) | instskip(NEXT) | instid1(VALU_DEP_1)
	v_and_or_b32 v1, 0x8000, v1, v35
	v_lshl_or_b32 v25, v1, 16, v25
.LBB255_271:                            ;   in Loop: Header=BB255_225 Depth=1
	s_wait_alu 0xfffe
	s_or_b32 exec_lo, exec_lo, s7
.LBB255_272:                            ;   in Loop: Header=BB255_225 Depth=1
	s_wait_alu 0xfffe
	s_or_b32 exec_lo, exec_lo, s6
.LBB255_273:                            ;   in Loop: Header=BB255_225 Depth=1
	s_wait_alu 0xfffe
	s_or_b32 exec_lo, exec_lo, s0
	v_lshrrev_b32_e32 v1, 16, v10
	s_mov_b32 s0, exec_lo
	s_delay_alu instid0(VALU_DEP_1) | instskip(NEXT) | instid1(VALU_DEP_1)
	v_and_b32_e32 v35, 0xff, v1
	v_cmpx_ne_u16_e32 0, v35
	s_cbranch_execz .LBB255_281
; %bb.274:                              ;   in Loop: Header=BB255_225 Depth=1
	v_mov_b32_e32 v34, 0x8000
	s_mov_b32 s6, exec_lo
	v_cmpx_ne_u16_e32 0x80, v35
	s_cbranch_execz .LBB255_280
; %bb.275:                              ;   in Loop: Header=BB255_225 Depth=1
	v_bfe_u32 v36, v10, 16, 7
	v_mov_b32_e32 v34, 0x7c01
	s_mov_b32 s7, exec_lo
	s_delay_alu instid0(VALU_DEP_2)
	v_cmpx_ne_u32_e32 0x7f, v36
	s_cbranch_execz .LBB255_279
; %bb.276:                              ;   in Loop: Header=BB255_225 Depth=1
	v_and_b32_e32 v34, 7, v1
	v_lshrrev_b32_e32 v35, 3, v36
	s_mov_b32 s13, exec_lo
	v_cmpx_gt_u32_e32 8, v36
; %bb.277:                              ;   in Loop: Header=BB255_225 Depth=1
	s_delay_alu instid0(VALU_DEP_3) | instskip(NEXT) | instid1(VALU_DEP_1)
	v_clz_i32_u32_e32 v34, v34
	v_min_u32_e32 v36, 32, v34
	s_delay_alu instid0(VALU_DEP_1) | instskip(NEXT) | instid1(VALU_DEP_1)
	v_subrev_nc_u32_e32 v34, 28, v36
	v_lshlrev_b64_e32 v[34:35], v34, v[1:2]
	v_sub_nc_u32_e32 v35, 29, v36
	s_delay_alu instid0(VALU_DEP_2)
	v_and_b32_e32 v34, 7, v34
; %bb.278:                              ;   in Loop: Header=BB255_225 Depth=1
	s_or_b32 exec_lo, exec_lo, s13
	v_lshlrev_b32_e32 v1, 8, v1
	s_delay_alu instid0(VALU_DEP_3) | instskip(NEXT) | instid1(VALU_DEP_3)
	v_lshl_add_u32 v35, v35, 10, 0x2000
	v_lshlrev_b32_e32 v34, 7, v34
	s_delay_alu instid0(VALU_DEP_3) | instskip(NEXT) | instid1(VALU_DEP_3)
	v_and_b32_e32 v1, 0x8000, v1
	v_and_b32_e32 v35, 0xfc00, v35
	s_delay_alu instid0(VALU_DEP_1)
	v_or3_b32 v34, v1, v35, v34
.LBB255_279:                            ;   in Loop: Header=BB255_225 Depth=1
	s_wait_alu 0xfffe
	s_or_b32 exec_lo, exec_lo, s7
.LBB255_280:                            ;   in Loop: Header=BB255_225 Depth=1
	s_wait_alu 0xfffe
	s_or_b32 exec_lo, exec_lo, s6
.LBB255_281:                            ;   in Loop: Header=BB255_225 Depth=1
	s_wait_alu 0xfffe
	s_or_b32 exec_lo, exec_lo, s0
	v_cmp_lt_u64_e32 vcc_lo, s[2:3], v[9:10]
	v_mov_b32_e32 v9, 0
	s_and_saveexec_b32 s0, vcc_lo
	s_cbranch_execz .LBB255_289
; %bb.282:                              ;   in Loop: Header=BB255_225 Depth=1
	v_lshrrev_b32_e32 v1, 24, v10
	v_bfrev_b32_e32 v9, 1
	s_mov_b32 s6, exec_lo
	s_delay_alu instid0(VALU_DEP_2)
	v_cmpx_ne_u32_e32 0x80, v1
	s_cbranch_execz .LBB255_288
; %bb.283:                              ;   in Loop: Header=BB255_225 Depth=1
	v_and_b32_e32 v35, 0x7f, v1
	v_mov_b32_e32 v9, 0x7c010000
	s_mov_b32 s7, exec_lo
	s_delay_alu instid0(VALU_DEP_2)
	v_cmpx_ne_u32_e32 0x7f, v35
	s_cbranch_execz .LBB255_287
; %bb.284:                              ;   in Loop: Header=BB255_225 Depth=1
	v_and_b32_e32 v9, 7, v1
	v_lshrrev_b32_e32 v10, 3, v35
	s_mov_b32 s13, exec_lo
	v_cmpx_gt_u32_e32 8, v35
; %bb.285:                              ;   in Loop: Header=BB255_225 Depth=1
	s_delay_alu instid0(VALU_DEP_3) | instskip(NEXT) | instid1(VALU_DEP_1)
	v_clz_i32_u32_e32 v9, v9
	v_min_u32_e32 v35, 32, v9
	s_delay_alu instid0(VALU_DEP_1) | instskip(NEXT) | instid1(VALU_DEP_1)
	v_subrev_nc_u32_e32 v9, 28, v35
	v_lshlrev_b64_e32 v[9:10], v9, v[1:2]
	v_sub_nc_u32_e32 v10, 29, v35
	s_delay_alu instid0(VALU_DEP_2)
	v_and_b32_e32 v9, 7, v9
; %bb.286:                              ;   in Loop: Header=BB255_225 Depth=1
	s_or_b32 exec_lo, exec_lo, s13
	v_lshlrev_b32_e32 v1, 8, v1
	s_delay_alu instid0(VALU_DEP_3) | instskip(NEXT) | instid1(VALU_DEP_3)
	v_lshl_add_u32 v10, v10, 10, 0x2000
	v_lshlrev_b32_e32 v9, 23, v9
	s_delay_alu instid0(VALU_DEP_2) | instskip(NEXT) | instid1(VALU_DEP_1)
	v_and_or_b32 v1, 0x8000, v1, v10
	v_lshl_or_b32 v9, v1, 16, v9
.LBB255_287:                            ;   in Loop: Header=BB255_225 Depth=1
	s_wait_alu 0xfffe
	s_or_b32 exec_lo, exec_lo, s7
.LBB255_288:                            ;   in Loop: Header=BB255_225 Depth=1
	s_wait_alu 0xfffe
	s_or_b32 exec_lo, exec_lo, s6
.LBB255_289:                            ;   in Loop: Header=BB255_225 Depth=1
	s_wait_alu 0xfffe
	s_or_b32 exec_lo, exec_lo, s0
	v_or_b32_e32 v1, v24, v19
	s_wait_loadcnt 0x0
	v_fma_mixlo_f16 v10, v20, v24, 0 op_sel:[0,1,0] op_sel_hi:[0,1,0]
	v_or_b32_e32 v21, v22, v21
	v_fma_mixlo_f16 v22, v20, v22, 0 op_sel:[0,1,0] op_sel_hi:[0,1,0]
	v_or_b32_e32 v23, v25, v23
	v_fma_mixlo_f16 v1, v20, v1, 0 op_sel_hi:[0,1,0]
	v_or_b32_e32 v24, v9, v34
	v_fma_mixlo_f16 v9, v20, v9, 0 op_sel:[0,1,0] op_sel_hi:[0,1,0]
	v_lshlrev_b32_e32 v40, 16, v22
	v_fma_mixlo_f16 v22, v20, v23, 0 op_sel_hi:[0,1,0]
	v_and_b32_e32 v37, 0xffff, v1
	v_fma_mixlo_f16 v1, v20, v21, 0 op_sel_hi:[0,1,0]
	v_fma_mixlo_f16 v21, v20, v25, 0 op_sel:[0,1,0] op_sel_hi:[0,1,0]
	v_fma_mixlo_f16 v20, v20, v24, 0 op_sel_hi:[0,1,0]
	v_lshlrev_b32_e32 v10, 16, v10
	v_and_b32_e32 v41, 0xffff, v22
	v_and_b32_e32 v42, 0xffff, v1
	v_lshlrev_b32_e32 v38, 16, v21
	v_lshlrev_b32_e32 v35, 16, v9
	v_and_b32_e32 v39, 0xffff, v20
	v_add_nc_u32_e32 v19, -7, v17
	v_cmp_eq_u32_e32 vcc_lo, s29, v12
	v_or_b32_e32 v1, v10, v37
	v_or_b32_e32 v9, v40, v42
	;; [unrolled: 1-line block ×4, first 2 shown]
	v_add_nc_u32_e32 v25, -6, v17
	v_add_nc_u32_e32 v24, -5, v17
	;; [unrolled: 1-line block ×6, first 2 shown]
	s_and_saveexec_b32 s6, vcc_lo
	s_cbranch_execz .LBB255_291
; %bb.290:                              ;   in Loop: Header=BB255_225 Depth=1
	v_cmp_gt_i32_e64 s0, s27, v19
	s_wait_alu 0xf1ff
	s_delay_alu instid0(VALU_DEP_1) | instskip(SKIP_2) | instid1(VALU_DEP_1)
	v_cndmask_b32_e64 v1, 0, v42, s0
	v_cmp_gt_i32_e64 s0, s27, v25
	s_wait_alu 0xf1ff
	v_cndmask_b32_e64 v9, 0, v40, s0
	v_cmp_gt_i32_e64 s0, s27, v24
	s_delay_alu instid0(VALU_DEP_2) | instskip(SKIP_1) | instid1(VALU_DEP_2)
	v_or_b32_e32 v9, v9, v1
	s_wait_alu 0xf1ff
	v_cndmask_b32_e64 v34, 0, v37, s0
	v_cmp_gt_i32_e64 s0, s27, v23
	s_wait_alu 0xf1ff
	s_delay_alu instid0(VALU_DEP_1) | instskip(SKIP_1) | instid1(VALU_DEP_2)
	v_cndmask_b32_e64 v10, 0, v10, s0
	v_cmp_gt_i32_e64 s0, s27, v22
	v_or_b32_e32 v1, v10, v34
	s_wait_alu 0xf1ff
	s_delay_alu instid0(VALU_DEP_2) | instskip(SKIP_2) | instid1(VALU_DEP_1)
	v_cndmask_b32_e64 v36, 0, v41, s0
	v_cmp_gt_i32_e64 s0, s27, v21
	s_wait_alu 0xf1ff
	v_cndmask_b32_e64 v37, 0, v38, s0
	v_cmp_gt_i32_e64 s0, s27, v20
	s_delay_alu instid0(VALU_DEP_2) | instskip(SKIP_1) | instid1(VALU_DEP_2)
	v_or_b32_e32 v34, v37, v36
	s_wait_alu 0xf1ff
	v_cndmask_b32_e64 v38, 0, v39, s0
	v_cmp_gt_i32_e64 s0, s27, v17
	s_wait_alu 0xf1ff
	s_delay_alu instid0(VALU_DEP_1) | instskip(NEXT) | instid1(VALU_DEP_1)
	v_cndmask_b32_e64 v35, 0, v35, s0
	v_or_b32_e32 v36, v35, v38
.LBB255_291:                            ;   in Loop: Header=BB255_225 Depth=1
	s_wait_alu 0xfffe
	s_or_b32 exec_lo, exec_lo, s6
	v_and_b32_e32 v10, 0xffff, v26
	v_and_b32_e32 v26, 0xffff, v29
	;; [unrolled: 1-line block ×4, first 2 shown]
	s_mov_b32 s6, exec_lo
	s_delay_alu instid0(VALU_DEP_3) | instskip(NEXT) | instid1(VALU_DEP_3)
	v_lshl_or_b32 v28, v28, 16, v26
	v_lshl_or_b32 v26, v31, 16, v33
	v_mov_b32_e32 v33, 0
	v_lshl_or_b32 v29, v27, 16, v10
	;;#ASMSTART
	v_pk_mul_f16 v9, v29, v9;

	;;#ASMEND
	;;#ASMSTART
	v_pk_mul_f16 v1, v28, v1;

	;;#ASMEND
	v_lshl_or_b32 v27, v30, 16, v32
	;;#ASMSTART
	v_pk_mul_f16 v10, v27, v34;

	;;#ASMEND
	;;#ASMSTART
	v_pk_mul_f16 v30, v26, v36;

	;;#ASMEND
	;;#ASMSTART
	v_pk_add_f16 v1, v9, v1;

	;;#ASMEND
	;;#ASMSTART
	v_pk_add_f16 v1, v1, v10;
	;; [unrolled: 4-line block ×3, first 2 shown]

	;;#ASMEND
	v_and_b32_e32 v9, 0xffff, v1
	v_lshrrev_b32_e32 v1, 16, v1
	;;#ASMSTART
	v_cvt_f32_f16 v30, v9;
	;;#ASMEND
	;;#ASMSTART
	v_cvt_f32_f16 v31, v1;
	;;#ASMEND
	global_load_b64 v[9:10], v[7:8], off offset:256
	global_load_b32 v32, v33, s[10:11]
	s_wait_loadcnt 0x1
	v_dual_mov_b32 v34, 0 :: v_dual_and_b32 v1, 0xff, v9
	s_delay_alu instid0(VALU_DEP_1)
	v_cmpx_ne_u16_e32 0, v1
	s_cbranch_execz .LBB255_299
; %bb.292:                              ;   in Loop: Header=BB255_225 Depth=1
	v_mov_b32_e32 v34, 0x8000
	s_mov_b32 s7, exec_lo
	v_cmpx_ne_u16_e32 0x80, v1
	s_cbranch_execz .LBB255_298
; %bb.293:                              ;   in Loop: Header=BB255_225 Depth=1
	v_and_b32_e32 v35, 0x7f, v9
	v_mov_b32_e32 v34, 0x7c01
	s_mov_b32 s13, exec_lo
	s_delay_alu instid0(VALU_DEP_2)
	v_cmpx_ne_u32_e32 0x7f, v35
	s_cbranch_execz .LBB255_297
; %bb.294:                              ;   in Loop: Header=BB255_225 Depth=1
	v_and_b32_e32 v1, 7, v9
	v_lshrrev_b32_e32 v34, 3, v35
	s_mov_b32 s14, exec_lo
	v_cmpx_gt_u32_e32 8, v35
; %bb.295:                              ;   in Loop: Header=BB255_225 Depth=1
	s_delay_alu instid0(VALU_DEP_3) | instskip(NEXT) | instid1(VALU_DEP_1)
	v_clz_i32_u32_e32 v1, v1
	v_min_u32_e32 v1, 32, v1
	s_delay_alu instid0(VALU_DEP_1) | instskip(NEXT) | instid1(VALU_DEP_1)
	v_subrev_nc_u32_e32 v34, 28, v1
	v_lshlrev_b64_e32 v[35:36], v34, v[9:10]
	v_sub_nc_u32_e32 v34, 29, v1
	s_delay_alu instid0(VALU_DEP_2)
	v_and_b32_e32 v1, 7, v35
; %bb.296:                              ;   in Loop: Header=BB255_225 Depth=1
	s_wait_alu 0xfffe
	s_or_b32 exec_lo, exec_lo, s14
	v_lshlrev_b32_e32 v35, 8, v9
	v_lshl_add_u32 v34, v34, 10, 0x2000
	v_lshlrev_b32_e32 v1, 7, v1
	s_delay_alu instid0(VALU_DEP_3) | instskip(NEXT) | instid1(VALU_DEP_3)
	v_and_b32_e32 v35, 0x8000, v35
	v_and_b32_e32 v34, 0xfc00, v34
	s_delay_alu instid0(VALU_DEP_1)
	v_or3_b32 v34, v35, v34, v1
.LBB255_297:                            ;   in Loop: Header=BB255_225 Depth=1
	s_or_b32 exec_lo, exec_lo, s13
.LBB255_298:                            ;   in Loop: Header=BB255_225 Depth=1
	s_wait_alu 0xfffe
	s_or_b32 exec_lo, exec_lo, s7
.LBB255_299:                            ;   in Loop: Header=BB255_225 Depth=1
	s_wait_alu 0xfffe
	s_or_b32 exec_lo, exec_lo, s6
	v_lshrrev_b16 v1, 8, v9
	s_mov_b32 s6, exec_lo
	s_delay_alu instid0(VALU_DEP_1)
	v_cmpx_ne_u16_e32 0, v1
	s_cbranch_execz .LBB255_307
; %bb.300:                              ;   in Loop: Header=BB255_225 Depth=1
	v_bfrev_b32_e32 v33, 1
	s_mov_b32 s7, exec_lo
	v_cmpx_ne_u16_e32 0x80, v1
	s_cbranch_execz .LBB255_306
; %bb.301:                              ;   in Loop: Header=BB255_225 Depth=1
	v_and_b32_e32 v35, 0xffff, v1
	v_mov_b32_e32 v33, 0x7c010000
	s_mov_b32 s13, exec_lo
	s_delay_alu instid0(VALU_DEP_2) | instskip(NEXT) | instid1(VALU_DEP_1)
	v_and_b32_e32 v37, 0x7f, v35
	v_cmpx_ne_u32_e32 0x7f, v37
	s_cbranch_execz .LBB255_305
; %bb.302:                              ;   in Loop: Header=BB255_225 Depth=1
	v_and_b32_e32 v33, 7, v35
	v_lshrrev_b32_e32 v36, 3, v37
	s_mov_b32 s14, exec_lo
	v_cmpx_gt_u32_e32 8, v37
; %bb.303:                              ;   in Loop: Header=BB255_225 Depth=1
	s_delay_alu instid0(VALU_DEP_3) | instskip(NEXT) | instid1(VALU_DEP_1)
	v_clz_i32_u32_e32 v33, v33
	v_min_u32_e32 v33, 32, v33
	s_delay_alu instid0(VALU_DEP_1) | instskip(NEXT) | instid1(VALU_DEP_1)
	v_subrev_nc_u32_e32 v36, 28, v33
	v_lshlrev_b64_e32 v[37:38], v36, v[1:2]
	v_sub_nc_u32_e32 v36, 29, v33
	s_delay_alu instid0(VALU_DEP_2)
	v_and_b32_e32 v33, 7, v37
; %bb.304:                              ;   in Loop: Header=BB255_225 Depth=1
	s_wait_alu 0xfffe
	s_or_b32 exec_lo, exec_lo, s14
	v_lshlrev_b32_e32 v1, 8, v35
	v_lshl_add_u32 v35, v36, 10, 0x2000
	v_lshlrev_b32_e32 v33, 23, v33
	s_delay_alu instid0(VALU_DEP_2) | instskip(NEXT) | instid1(VALU_DEP_1)
	v_and_or_b32 v1, 0x8000, v1, v35
	v_lshl_or_b32 v33, v1, 16, v33
.LBB255_305:                            ;   in Loop: Header=BB255_225 Depth=1
	s_or_b32 exec_lo, exec_lo, s13
.LBB255_306:                            ;   in Loop: Header=BB255_225 Depth=1
	s_wait_alu 0xfffe
	s_or_b32 exec_lo, exec_lo, s7
.LBB255_307:                            ;   in Loop: Header=BB255_225 Depth=1
	s_wait_alu 0xfffe
	s_or_b32 exec_lo, exec_lo, s6
	v_lshrrev_b32_e32 v1, 16, v9
	v_mov_b32_e32 v35, 0
	s_mov_b32 s6, exec_lo
	s_delay_alu instid0(VALU_DEP_2) | instskip(NEXT) | instid1(VALU_DEP_1)
	v_dual_mov_b32 v36, 0 :: v_dual_and_b32 v37, 0xff, v1
	v_cmpx_ne_u16_e32 0, v37
	s_cbranch_execz .LBB255_315
; %bb.308:                              ;   in Loop: Header=BB255_225 Depth=1
	v_mov_b32_e32 v36, 0x8000
	s_mov_b32 s7, exec_lo
	v_cmpx_ne_u16_e32 0x80, v37
	s_cbranch_execz .LBB255_314
; %bb.309:                              ;   in Loop: Header=BB255_225 Depth=1
	v_bfe_u32 v38, v9, 16, 7
	v_mov_b32_e32 v36, 0x7c01
	s_mov_b32 s13, exec_lo
	s_delay_alu instid0(VALU_DEP_2)
	v_cmpx_ne_u32_e32 0x7f, v38
	s_cbranch_execz .LBB255_313
; %bb.310:                              ;   in Loop: Header=BB255_225 Depth=1
	v_and_b32_e32 v36, 7, v1
	v_lshrrev_b32_e32 v37, 3, v38
	s_mov_b32 s14, exec_lo
	v_cmpx_gt_u32_e32 8, v38
; %bb.311:                              ;   in Loop: Header=BB255_225 Depth=1
	s_delay_alu instid0(VALU_DEP_3) | instskip(NEXT) | instid1(VALU_DEP_1)
	v_clz_i32_u32_e32 v36, v36
	v_min_u32_e32 v38, 32, v36
	s_delay_alu instid0(VALU_DEP_1) | instskip(NEXT) | instid1(VALU_DEP_1)
	v_subrev_nc_u32_e32 v36, 28, v38
	v_lshlrev_b64_e32 v[36:37], v36, v[1:2]
	v_sub_nc_u32_e32 v37, 29, v38
	s_delay_alu instid0(VALU_DEP_2)
	v_and_b32_e32 v36, 7, v36
; %bb.312:                              ;   in Loop: Header=BB255_225 Depth=1
	s_wait_alu 0xfffe
	s_or_b32 exec_lo, exec_lo, s14
	v_lshlrev_b32_e32 v1, 8, v1
	v_lshl_add_u32 v37, v37, 10, 0x2000
	v_lshlrev_b32_e32 v36, 7, v36
	s_delay_alu instid0(VALU_DEP_3) | instskip(NEXT) | instid1(VALU_DEP_3)
	v_and_b32_e32 v1, 0x8000, v1
	v_and_b32_e32 v37, 0xfc00, v37
	s_delay_alu instid0(VALU_DEP_1)
	v_or3_b32 v36, v1, v37, v36
.LBB255_313:                            ;   in Loop: Header=BB255_225 Depth=1
	s_or_b32 exec_lo, exec_lo, s13
.LBB255_314:                            ;   in Loop: Header=BB255_225 Depth=1
	s_wait_alu 0xfffe
	s_or_b32 exec_lo, exec_lo, s7
.LBB255_315:                            ;   in Loop: Header=BB255_225 Depth=1
	s_wait_alu 0xfffe
	s_or_b32 exec_lo, exec_lo, s6
	s_delay_alu instid0(SALU_CYCLE_1)
	s_mov_b32 s6, exec_lo
	v_cmpx_lt_u32_e32 0xffffff, v9
	s_cbranch_execz .LBB255_323
; %bb.316:                              ;   in Loop: Header=BB255_225 Depth=1
	v_lshrrev_b32_e32 v1, 24, v9
	v_bfrev_b32_e32 v35, 1
	s_mov_b32 s7, exec_lo
	s_delay_alu instid0(VALU_DEP_2)
	v_cmpx_ne_u32_e32 0x80, v1
	s_cbranch_execz .LBB255_322
; %bb.317:                              ;   in Loop: Header=BB255_225 Depth=1
	v_and_b32_e32 v38, 0x7f, v1
	v_mov_b32_e32 v35, 0x7c010000
	s_mov_b32 s13, exec_lo
	s_delay_alu instid0(VALU_DEP_2)
	v_cmpx_ne_u32_e32 0x7f, v38
	s_cbranch_execz .LBB255_321
; %bb.318:                              ;   in Loop: Header=BB255_225 Depth=1
	v_and_b32_e32 v35, 7, v1
	v_lshrrev_b32_e32 v37, 3, v38
	s_mov_b32 s14, exec_lo
	v_cmpx_gt_u32_e32 8, v38
; %bb.319:                              ;   in Loop: Header=BB255_225 Depth=1
	s_delay_alu instid0(VALU_DEP_3) | instskip(NEXT) | instid1(VALU_DEP_1)
	v_clz_i32_u32_e32 v35, v35
	v_min_u32_e32 v35, 32, v35
	s_delay_alu instid0(VALU_DEP_1) | instskip(NEXT) | instid1(VALU_DEP_1)
	v_subrev_nc_u32_e32 v37, 28, v35
	v_lshlrev_b64_e32 v[38:39], v37, v[1:2]
	v_sub_nc_u32_e32 v37, 29, v35
	s_delay_alu instid0(VALU_DEP_2)
	v_and_b32_e32 v35, 7, v38
; %bb.320:                              ;   in Loop: Header=BB255_225 Depth=1
	s_wait_alu 0xfffe
	s_or_b32 exec_lo, exec_lo, s14
	v_lshlrev_b32_e32 v1, 8, v1
	v_lshl_add_u32 v37, v37, 10, 0x2000
	v_lshlrev_b32_e32 v35, 23, v35
	s_delay_alu instid0(VALU_DEP_2) | instskip(NEXT) | instid1(VALU_DEP_1)
	v_and_or_b32 v1, 0x8000, v1, v37
	v_lshl_or_b32 v35, v1, 16, v35
.LBB255_321:                            ;   in Loop: Header=BB255_225 Depth=1
	s_or_b32 exec_lo, exec_lo, s13
.LBB255_322:                            ;   in Loop: Header=BB255_225 Depth=1
	s_wait_alu 0xfffe
	s_or_b32 exec_lo, exec_lo, s7
.LBB255_323:                            ;   in Loop: Header=BB255_225 Depth=1
	s_wait_alu 0xfffe
	s_or_b32 exec_lo, exec_lo, s6
	v_dual_mov_b32 v38, 0 :: v_dual_and_b32 v39, 0xff, v10
	v_mov_b32_e32 v1, v10
	v_mov_b32_e32 v37, 0
	s_mov_b32 s6, exec_lo
	s_delay_alu instid0(VALU_DEP_3)
	v_cmpx_ne_u16_e32 0, v39
	s_cbranch_execz .LBB255_331
; %bb.324:                              ;   in Loop: Header=BB255_225 Depth=1
	v_mov_b32_e32 v38, 0x8000
	s_mov_b32 s7, exec_lo
	v_cmpx_ne_u16_e32 0x80, v39
	s_cbranch_execz .LBB255_330
; %bb.325:                              ;   in Loop: Header=BB255_225 Depth=1
	v_and_b32_e32 v40, 0x7f, v10
	v_mov_b32_e32 v38, 0x7c01
	s_mov_b32 s13, exec_lo
	s_delay_alu instid0(VALU_DEP_2)
	v_cmpx_ne_u32_e32 0x7f, v40
	s_cbranch_execz .LBB255_329
; %bb.326:                              ;   in Loop: Header=BB255_225 Depth=1
	v_and_b32_e32 v38, 7, v10
	v_lshrrev_b32_e32 v39, 3, v40
	s_mov_b32 s14, exec_lo
	v_cmpx_gt_u32_e32 8, v40
; %bb.327:                              ;   in Loop: Header=BB255_225 Depth=1
	s_delay_alu instid0(VALU_DEP_3) | instskip(NEXT) | instid1(VALU_DEP_1)
	v_clz_i32_u32_e32 v38, v38
	v_min_u32_e32 v40, 32, v38
	s_delay_alu instid0(VALU_DEP_1) | instskip(NEXT) | instid1(VALU_DEP_1)
	v_subrev_nc_u32_e32 v38, 28, v40
	v_lshlrev_b64_e32 v[38:39], v38, v[1:2]
	v_sub_nc_u32_e32 v39, 29, v40
	s_delay_alu instid0(VALU_DEP_2)
	v_and_b32_e32 v38, 7, v38
; %bb.328:                              ;   in Loop: Header=BB255_225 Depth=1
	s_wait_alu 0xfffe
	s_or_b32 exec_lo, exec_lo, s14
	v_lshlrev_b32_e32 v40, 8, v10
	v_lshl_add_u32 v39, v39, 10, 0x2000
	v_lshlrev_b32_e32 v38, 7, v38
	s_delay_alu instid0(VALU_DEP_3) | instskip(NEXT) | instid1(VALU_DEP_3)
	v_and_b32_e32 v40, 0x8000, v40
	v_and_b32_e32 v39, 0xfc00, v39
	s_delay_alu instid0(VALU_DEP_1)
	v_or3_b32 v38, v40, v39, v38
.LBB255_329:                            ;   in Loop: Header=BB255_225 Depth=1
	s_or_b32 exec_lo, exec_lo, s13
.LBB255_330:                            ;   in Loop: Header=BB255_225 Depth=1
	s_wait_alu 0xfffe
	s_or_b32 exec_lo, exec_lo, s7
.LBB255_331:                            ;   in Loop: Header=BB255_225 Depth=1
	s_wait_alu 0xfffe
	s_or_b32 exec_lo, exec_lo, s6
	v_lshrrev_b16 v1, 8, v1
	v_mov_b32_e32 v39, 0
	s_mov_b32 s6, exec_lo
	s_delay_alu instid0(VALU_DEP_2)
	v_cmpx_ne_u16_e32 0, v1
	s_cbranch_execz .LBB255_339
; %bb.332:                              ;   in Loop: Header=BB255_225 Depth=1
	v_bfrev_b32_e32 v39, 1
	s_mov_b32 s7, exec_lo
	v_cmpx_ne_u16_e32 0x80, v1
	s_cbranch_execz .LBB255_338
; %bb.333:                              ;   in Loop: Header=BB255_225 Depth=1
	v_and_b32_e32 v40, 0xffff, v1
	v_mov_b32_e32 v39, 0x7c010000
	s_mov_b32 s13, exec_lo
	s_delay_alu instid0(VALU_DEP_2) | instskip(NEXT) | instid1(VALU_DEP_1)
	v_and_b32_e32 v42, 0x7f, v40
	v_cmpx_ne_u32_e32 0x7f, v42
	s_cbranch_execz .LBB255_337
; %bb.334:                              ;   in Loop: Header=BB255_225 Depth=1
	v_and_b32_e32 v39, 7, v40
	v_lshrrev_b32_e32 v41, 3, v42
	s_mov_b32 s14, exec_lo
	v_cmpx_gt_u32_e32 8, v42
; %bb.335:                              ;   in Loop: Header=BB255_225 Depth=1
	s_delay_alu instid0(VALU_DEP_3) | instskip(NEXT) | instid1(VALU_DEP_1)
	v_clz_i32_u32_e32 v39, v39
	v_min_u32_e32 v39, 32, v39
	s_delay_alu instid0(VALU_DEP_1) | instskip(NEXT) | instid1(VALU_DEP_1)
	v_subrev_nc_u32_e32 v41, 28, v39
	v_lshlrev_b64_e32 v[42:43], v41, v[1:2]
	v_sub_nc_u32_e32 v41, 29, v39
	s_delay_alu instid0(VALU_DEP_2)
	v_and_b32_e32 v39, 7, v42
; %bb.336:                              ;   in Loop: Header=BB255_225 Depth=1
	s_wait_alu 0xfffe
	s_or_b32 exec_lo, exec_lo, s14
	v_lshlrev_b32_e32 v1, 8, v40
	v_lshl_add_u32 v40, v41, 10, 0x2000
	v_lshlrev_b32_e32 v39, 23, v39
	s_delay_alu instid0(VALU_DEP_2) | instskip(NEXT) | instid1(VALU_DEP_1)
	v_and_or_b32 v1, 0x8000, v1, v40
	v_lshl_or_b32 v39, v1, 16, v39
.LBB255_337:                            ;   in Loop: Header=BB255_225 Depth=1
	s_or_b32 exec_lo, exec_lo, s13
.LBB255_338:                            ;   in Loop: Header=BB255_225 Depth=1
	s_wait_alu 0xfffe
	s_or_b32 exec_lo, exec_lo, s7
.LBB255_339:                            ;   in Loop: Header=BB255_225 Depth=1
	s_wait_alu 0xfffe
	s_or_b32 exec_lo, exec_lo, s6
	v_lshrrev_b32_e32 v1, 16, v10
	s_mov_b32 s6, exec_lo
	s_delay_alu instid0(VALU_DEP_1) | instskip(NEXT) | instid1(VALU_DEP_1)
	v_and_b32_e32 v40, 0xff, v1
	v_cmpx_ne_u16_e32 0, v40
	s_cbranch_execz .LBB255_347
; %bb.340:                              ;   in Loop: Header=BB255_225 Depth=1
	v_mov_b32_e32 v37, 0x8000
	s_mov_b32 s7, exec_lo
	v_cmpx_ne_u16_e32 0x80, v40
	s_cbranch_execz .LBB255_346
; %bb.341:                              ;   in Loop: Header=BB255_225 Depth=1
	v_bfe_u32 v41, v10, 16, 7
	v_mov_b32_e32 v37, 0x7c01
	s_mov_b32 s13, exec_lo
	s_delay_alu instid0(VALU_DEP_2)
	v_cmpx_ne_u32_e32 0x7f, v41
	s_cbranch_execz .LBB255_345
; %bb.342:                              ;   in Loop: Header=BB255_225 Depth=1
	v_and_b32_e32 v37, 7, v1
	v_lshrrev_b32_e32 v40, 3, v41
	s_mov_b32 s14, exec_lo
	v_cmpx_gt_u32_e32 8, v41
; %bb.343:                              ;   in Loop: Header=BB255_225 Depth=1
	s_delay_alu instid0(VALU_DEP_3) | instskip(NEXT) | instid1(VALU_DEP_1)
	v_clz_i32_u32_e32 v37, v37
	v_min_u32_e32 v37, 32, v37
	s_delay_alu instid0(VALU_DEP_1) | instskip(NEXT) | instid1(VALU_DEP_1)
	v_subrev_nc_u32_e32 v40, 28, v37
	v_lshlrev_b64_e32 v[41:42], v40, v[1:2]
	v_sub_nc_u32_e32 v40, 29, v37
	s_delay_alu instid0(VALU_DEP_2)
	v_and_b32_e32 v37, 7, v41
; %bb.344:                              ;   in Loop: Header=BB255_225 Depth=1
	s_wait_alu 0xfffe
	s_or_b32 exec_lo, exec_lo, s14
	v_lshlrev_b32_e32 v1, 8, v1
	v_lshl_add_u32 v40, v40, 10, 0x2000
	v_lshlrev_b32_e32 v37, 7, v37
	s_delay_alu instid0(VALU_DEP_3) | instskip(NEXT) | instid1(VALU_DEP_3)
	v_and_b32_e32 v1, 0x8000, v1
	v_and_b32_e32 v40, 0xfc00, v40
	s_delay_alu instid0(VALU_DEP_1)
	v_or3_b32 v37, v1, v40, v37
.LBB255_345:                            ;   in Loop: Header=BB255_225 Depth=1
	s_or_b32 exec_lo, exec_lo, s13
.LBB255_346:                            ;   in Loop: Header=BB255_225 Depth=1
	s_wait_alu 0xfffe
	s_or_b32 exec_lo, exec_lo, s7
.LBB255_347:                            ;   in Loop: Header=BB255_225 Depth=1
	s_wait_alu 0xfffe
	s_or_b32 exec_lo, exec_lo, s6
	v_cmp_lt_u64_e64 s0, s[2:3], v[9:10]
	v_mov_b32_e32 v9, 0
	s_and_saveexec_b32 s6, s0
	s_cbranch_execz .LBB255_355
; %bb.348:                              ;   in Loop: Header=BB255_225 Depth=1
	v_lshrrev_b32_e32 v1, 24, v10
	v_bfrev_b32_e32 v9, 1
	s_mov_b32 s7, exec_lo
	s_delay_alu instid0(VALU_DEP_2)
	v_cmpx_ne_u32_e32 0x80, v1
	s_cbranch_execz .LBB255_354
; %bb.349:                              ;   in Loop: Header=BB255_225 Depth=1
	v_and_b32_e32 v40, 0x7f, v1
	v_mov_b32_e32 v9, 0x7c010000
	s_mov_b32 s13, exec_lo
	s_delay_alu instid0(VALU_DEP_2)
	v_cmpx_ne_u32_e32 0x7f, v40
	s_cbranch_execz .LBB255_353
; %bb.350:                              ;   in Loop: Header=BB255_225 Depth=1
	v_and_b32_e32 v9, 7, v1
	v_lshrrev_b32_e32 v10, 3, v40
	s_mov_b32 s14, exec_lo
	v_cmpx_gt_u32_e32 8, v40
; %bb.351:                              ;   in Loop: Header=BB255_225 Depth=1
	s_delay_alu instid0(VALU_DEP_3) | instskip(NEXT) | instid1(VALU_DEP_1)
	v_clz_i32_u32_e32 v9, v9
	v_min_u32_e32 v40, 32, v9
	s_delay_alu instid0(VALU_DEP_1) | instskip(NEXT) | instid1(VALU_DEP_1)
	v_subrev_nc_u32_e32 v9, 28, v40
	v_lshlrev_b64_e32 v[9:10], v9, v[1:2]
	v_sub_nc_u32_e32 v10, 29, v40
	s_delay_alu instid0(VALU_DEP_2)
	v_and_b32_e32 v9, 7, v9
; %bb.352:                              ;   in Loop: Header=BB255_225 Depth=1
	s_wait_alu 0xfffe
	s_or_b32 exec_lo, exec_lo, s14
	v_lshlrev_b32_e32 v1, 8, v1
	v_lshl_add_u32 v10, v10, 10, 0x2000
	v_lshlrev_b32_e32 v9, 23, v9
	s_delay_alu instid0(VALU_DEP_2) | instskip(NEXT) | instid1(VALU_DEP_1)
	v_and_or_b32 v1, 0x8000, v1, v10
	v_lshl_or_b32 v9, v1, 16, v9
.LBB255_353:                            ;   in Loop: Header=BB255_225 Depth=1
	s_or_b32 exec_lo, exec_lo, s13
.LBB255_354:                            ;   in Loop: Header=BB255_225 Depth=1
	s_wait_alu 0xfffe
	s_or_b32 exec_lo, exec_lo, s7
.LBB255_355:                            ;   in Loop: Header=BB255_225 Depth=1
	s_wait_alu 0xfffe
	s_or_b32 exec_lo, exec_lo, s6
	v_or_b32_e32 v1, v35, v36
	s_wait_loadcnt 0x0
	v_fma_mixlo_f16 v10, v32, v35, 0 op_sel:[0,1,0] op_sel_hi:[0,1,0]
	v_or_b32_e32 v35, v33, v34
	v_fma_mixlo_f16 v33, v32, v33, 0 op_sel:[0,1,0] op_sel_hi:[0,1,0]
	v_or_b32_e32 v36, v39, v38
	v_or_b32_e32 v37, v9, v37
	v_fma_mixlo_f16 v38, v32, v1, 0 op_sel_hi:[0,1,0]
	v_fma_mixlo_f16 v9, v32, v9, 0 op_sel:[0,1,0] op_sel_hi:[0,1,0]
	v_lshlrev_b32_e32 v34, 16, v33
	v_fma_mixlo_f16 v33, v32, v35, 0 op_sel_hi:[0,1,0]
	v_fma_mixlo_f16 v35, v32, v39, 0 op_sel:[0,1,0] op_sel_hi:[0,1,0]
	v_fma_mixlo_f16 v36, v32, v36, 0 op_sel_hi:[0,1,0]
	v_fma_mixlo_f16 v37, v32, v37, 0 op_sel_hi:[0,1,0]
	v_lshlrev_b32_e32 v1, 16, v10
	v_and_b32_e32 v10, 0xffff, v38
	v_and_b32_e32 v40, 0xffff, v33
	v_lshlrev_b32_e32 v32, 16, v35
	v_and_b32_e32 v36, 0xffff, v36
	v_lshlrev_b32_e32 v9, 16, v9
	v_and_b32_e32 v33, 0xffff, v37
	v_or_b32_e32 v35, v1, v10
	v_or_b32_e32 v39, v34, v40
	;; [unrolled: 1-line block ×3, first 2 shown]
	s_delay_alu instid0(VALU_DEP_4)
	v_or_b32_e32 v37, v9, v33
	s_and_saveexec_b32 s6, vcc_lo
	s_cbranch_execz .LBB255_357
; %bb.356:                              ;   in Loop: Header=BB255_225 Depth=1
	v_cmp_gt_i32_e64 s0, s27, v19
	s_wait_alu 0xf1ff
	s_delay_alu instid0(VALU_DEP_1) | instskip(SKIP_2) | instid1(VALU_DEP_1)
	v_cndmask_b32_e64 v35, 0, v40, s0
	v_cmp_gt_i32_e64 s0, s27, v25
	s_wait_alu 0xf1ff
	v_cndmask_b32_e64 v34, 0, v34, s0
	v_cmp_gt_i32_e64 s0, s27, v24
	s_delay_alu instid0(VALU_DEP_2) | instskip(SKIP_1) | instid1(VALU_DEP_2)
	v_or_b32_e32 v39, v34, v35
	s_wait_alu 0xf1ff
	v_cndmask_b32_e64 v10, 0, v10, s0
	v_cmp_gt_i32_e64 s0, s27, v23
	s_wait_alu 0xf1ff
	s_delay_alu instid0(VALU_DEP_1) | instskip(SKIP_1) | instid1(VALU_DEP_2)
	v_cndmask_b32_e64 v1, 0, v1, s0
	v_cmp_gt_i32_e64 s0, s27, v22
	v_or_b32_e32 v35, v1, v10
	s_wait_alu 0xf1ff
	s_delay_alu instid0(VALU_DEP_2) | instskip(SKIP_2) | instid1(VALU_DEP_1)
	v_cndmask_b32_e64 v36, 0, v36, s0
	v_cmp_gt_i32_e64 s0, s27, v21
	s_wait_alu 0xf1ff
	v_cndmask_b32_e64 v32, 0, v32, s0
	v_cmp_gt_i32_e64 s0, s27, v20
	s_delay_alu instid0(VALU_DEP_2) | instskip(SKIP_1) | instid1(VALU_DEP_2)
	v_or_b32_e32 v38, v32, v36
	s_wait_alu 0xf1ff
	v_cndmask_b32_e64 v33, 0, v33, s0
	v_cmp_gt_i32_e64 s0, s27, v17
	s_wait_alu 0xf1ff
	s_delay_alu instid0(VALU_DEP_1) | instskip(NEXT) | instid1(VALU_DEP_1)
	v_cndmask_b32_e64 v9, 0, v9, s0
	v_or_b32_e32 v37, v9, v33
.LBB255_357:                            ;   in Loop: Header=BB255_225 Depth=1
	s_wait_alu 0xfffe
	s_or_b32 exec_lo, exec_lo, s6
	;;#ASMSTART
	v_pk_mul_f16 v1, v29, v39;

	;;#ASMEND
	;;#ASMSTART
	v_pk_mul_f16 v9, v28, v35;

	;;#ASMEND
	;; [unrolled: 4-line block ×4, first 2 shown]
	;;#ASMSTART
	v_pk_add_f16 v1, v1, v9;

	;;#ASMEND
	;;#ASMSTART
	v_pk_add_f16 v1, v1, v10;

	;;#ASMEND
	;; [unrolled: 4-line block ×3, first 2 shown]
	v_dual_mov_b32 v34, 0 :: v_dual_and_b32 v9, 0xffff, v1
	v_lshrrev_b32_e32 v1, 16, v1
	;;#ASMSTART
	v_cvt_f32_f16 v9, v9;
	;;#ASMEND
	;;#ASMSTART
	v_cvt_f32_f16 v10, v1;
	;;#ASMEND
	global_load_b64 v[7:8], v[7:8], off offset:512
	v_mov_b32_e32 v33, 0
	s_mov_b32 s6, exec_lo
	global_load_b32 v32, v33, s[10:11]
	s_wait_loadcnt 0x1
	v_and_b32_e32 v1, 0xff, v7
	s_delay_alu instid0(VALU_DEP_1)
	v_cmpx_ne_u16_e32 0, v1
	s_cbranch_execz .LBB255_365
; %bb.358:                              ;   in Loop: Header=BB255_225 Depth=1
	v_mov_b32_e32 v34, 0x8000
	s_mov_b32 s7, exec_lo
	v_cmpx_ne_u16_e32 0x80, v1
	s_cbranch_execz .LBB255_364
; %bb.359:                              ;   in Loop: Header=BB255_225 Depth=1
	v_and_b32_e32 v35, 0x7f, v7
	v_mov_b32_e32 v34, 0x7c01
	s_mov_b32 s13, exec_lo
	s_delay_alu instid0(VALU_DEP_2)
	v_cmpx_ne_u32_e32 0x7f, v35
	s_cbranch_execz .LBB255_363
; %bb.360:                              ;   in Loop: Header=BB255_225 Depth=1
	v_and_b32_e32 v1, 7, v7
	v_lshrrev_b32_e32 v34, 3, v35
	s_mov_b32 s14, exec_lo
	v_cmpx_gt_u32_e32 8, v35
; %bb.361:                              ;   in Loop: Header=BB255_225 Depth=1
	s_delay_alu instid0(VALU_DEP_3) | instskip(NEXT) | instid1(VALU_DEP_1)
	v_clz_i32_u32_e32 v1, v1
	v_min_u32_e32 v1, 32, v1
	s_delay_alu instid0(VALU_DEP_1) | instskip(NEXT) | instid1(VALU_DEP_1)
	v_subrev_nc_u32_e32 v34, 28, v1
	v_lshlrev_b64_e32 v[35:36], v34, v[7:8]
	v_sub_nc_u32_e32 v34, 29, v1
	s_delay_alu instid0(VALU_DEP_2)
	v_and_b32_e32 v1, 7, v35
; %bb.362:                              ;   in Loop: Header=BB255_225 Depth=1
	s_wait_alu 0xfffe
	s_or_b32 exec_lo, exec_lo, s14
	v_lshlrev_b32_e32 v35, 8, v7
	v_lshl_add_u32 v34, v34, 10, 0x2000
	v_lshlrev_b32_e32 v1, 7, v1
	s_delay_alu instid0(VALU_DEP_3) | instskip(NEXT) | instid1(VALU_DEP_3)
	v_and_b32_e32 v35, 0x8000, v35
	v_and_b32_e32 v34, 0xfc00, v34
	s_delay_alu instid0(VALU_DEP_1)
	v_or3_b32 v34, v35, v34, v1
.LBB255_363:                            ;   in Loop: Header=BB255_225 Depth=1
	s_or_b32 exec_lo, exec_lo, s13
.LBB255_364:                            ;   in Loop: Header=BB255_225 Depth=1
	s_wait_alu 0xfffe
	s_or_b32 exec_lo, exec_lo, s7
.LBB255_365:                            ;   in Loop: Header=BB255_225 Depth=1
	s_wait_alu 0xfffe
	s_or_b32 exec_lo, exec_lo, s6
	v_lshrrev_b16 v1, 8, v7
	s_mov_b32 s6, exec_lo
	s_delay_alu instid0(VALU_DEP_1)
	v_cmpx_ne_u16_e32 0, v1
	s_cbranch_execz .LBB255_373
; %bb.366:                              ;   in Loop: Header=BB255_225 Depth=1
	v_bfrev_b32_e32 v33, 1
	s_mov_b32 s7, exec_lo
	v_cmpx_ne_u16_e32 0x80, v1
	s_cbranch_execz .LBB255_372
; %bb.367:                              ;   in Loop: Header=BB255_225 Depth=1
	v_and_b32_e32 v35, 0xffff, v1
	v_mov_b32_e32 v33, 0x7c010000
	s_mov_b32 s13, exec_lo
	s_delay_alu instid0(VALU_DEP_2) | instskip(NEXT) | instid1(VALU_DEP_1)
	v_and_b32_e32 v37, 0x7f, v35
	v_cmpx_ne_u32_e32 0x7f, v37
	s_cbranch_execz .LBB255_371
; %bb.368:                              ;   in Loop: Header=BB255_225 Depth=1
	v_and_b32_e32 v33, 7, v35
	v_lshrrev_b32_e32 v36, 3, v37
	s_mov_b32 s14, exec_lo
	v_cmpx_gt_u32_e32 8, v37
; %bb.369:                              ;   in Loop: Header=BB255_225 Depth=1
	s_delay_alu instid0(VALU_DEP_3) | instskip(NEXT) | instid1(VALU_DEP_1)
	v_clz_i32_u32_e32 v33, v33
	v_min_u32_e32 v33, 32, v33
	s_delay_alu instid0(VALU_DEP_1) | instskip(NEXT) | instid1(VALU_DEP_1)
	v_subrev_nc_u32_e32 v36, 28, v33
	v_lshlrev_b64_e32 v[37:38], v36, v[1:2]
	v_sub_nc_u32_e32 v36, 29, v33
	s_delay_alu instid0(VALU_DEP_2)
	v_and_b32_e32 v33, 7, v37
; %bb.370:                              ;   in Loop: Header=BB255_225 Depth=1
	s_wait_alu 0xfffe
	s_or_b32 exec_lo, exec_lo, s14
	v_lshlrev_b32_e32 v1, 8, v35
	v_lshl_add_u32 v35, v36, 10, 0x2000
	v_lshlrev_b32_e32 v33, 23, v33
	s_delay_alu instid0(VALU_DEP_2) | instskip(NEXT) | instid1(VALU_DEP_1)
	v_and_or_b32 v1, 0x8000, v1, v35
	v_lshl_or_b32 v33, v1, 16, v33
.LBB255_371:                            ;   in Loop: Header=BB255_225 Depth=1
	s_or_b32 exec_lo, exec_lo, s13
.LBB255_372:                            ;   in Loop: Header=BB255_225 Depth=1
	s_wait_alu 0xfffe
	s_or_b32 exec_lo, exec_lo, s7
.LBB255_373:                            ;   in Loop: Header=BB255_225 Depth=1
	s_wait_alu 0xfffe
	s_or_b32 exec_lo, exec_lo, s6
	v_lshrrev_b32_e32 v1, 16, v7
	v_mov_b32_e32 v35, 0
	s_mov_b32 s6, exec_lo
	s_delay_alu instid0(VALU_DEP_2) | instskip(NEXT) | instid1(VALU_DEP_1)
	v_dual_mov_b32 v36, 0 :: v_dual_and_b32 v37, 0xff, v1
	v_cmpx_ne_u16_e32 0, v37
	s_cbranch_execz .LBB255_381
; %bb.374:                              ;   in Loop: Header=BB255_225 Depth=1
	v_mov_b32_e32 v36, 0x8000
	s_mov_b32 s7, exec_lo
	v_cmpx_ne_u16_e32 0x80, v37
	s_cbranch_execz .LBB255_380
; %bb.375:                              ;   in Loop: Header=BB255_225 Depth=1
	v_bfe_u32 v38, v7, 16, 7
	v_mov_b32_e32 v36, 0x7c01
	s_mov_b32 s13, exec_lo
	s_delay_alu instid0(VALU_DEP_2)
	v_cmpx_ne_u32_e32 0x7f, v38
	s_cbranch_execz .LBB255_379
; %bb.376:                              ;   in Loop: Header=BB255_225 Depth=1
	v_and_b32_e32 v36, 7, v1
	v_lshrrev_b32_e32 v37, 3, v38
	s_mov_b32 s14, exec_lo
	v_cmpx_gt_u32_e32 8, v38
; %bb.377:                              ;   in Loop: Header=BB255_225 Depth=1
	s_delay_alu instid0(VALU_DEP_3) | instskip(NEXT) | instid1(VALU_DEP_1)
	v_clz_i32_u32_e32 v36, v36
	v_min_u32_e32 v38, 32, v36
	s_delay_alu instid0(VALU_DEP_1) | instskip(NEXT) | instid1(VALU_DEP_1)
	v_subrev_nc_u32_e32 v36, 28, v38
	v_lshlrev_b64_e32 v[36:37], v36, v[1:2]
	v_sub_nc_u32_e32 v37, 29, v38
	s_delay_alu instid0(VALU_DEP_2)
	v_and_b32_e32 v36, 7, v36
; %bb.378:                              ;   in Loop: Header=BB255_225 Depth=1
	s_wait_alu 0xfffe
	s_or_b32 exec_lo, exec_lo, s14
	v_lshlrev_b32_e32 v1, 8, v1
	v_lshl_add_u32 v37, v37, 10, 0x2000
	v_lshlrev_b32_e32 v36, 7, v36
	s_delay_alu instid0(VALU_DEP_3) | instskip(NEXT) | instid1(VALU_DEP_3)
	v_and_b32_e32 v1, 0x8000, v1
	v_and_b32_e32 v37, 0xfc00, v37
	s_delay_alu instid0(VALU_DEP_1)
	v_or3_b32 v36, v1, v37, v36
.LBB255_379:                            ;   in Loop: Header=BB255_225 Depth=1
	s_or_b32 exec_lo, exec_lo, s13
.LBB255_380:                            ;   in Loop: Header=BB255_225 Depth=1
	s_wait_alu 0xfffe
	s_or_b32 exec_lo, exec_lo, s7
.LBB255_381:                            ;   in Loop: Header=BB255_225 Depth=1
	s_wait_alu 0xfffe
	s_or_b32 exec_lo, exec_lo, s6
	s_delay_alu instid0(SALU_CYCLE_1)
	s_mov_b32 s6, exec_lo
	v_cmpx_lt_u32_e32 0xffffff, v7
	s_cbranch_execz .LBB255_389
; %bb.382:                              ;   in Loop: Header=BB255_225 Depth=1
	v_lshrrev_b32_e32 v1, 24, v7
	v_bfrev_b32_e32 v35, 1
	s_mov_b32 s7, exec_lo
	s_delay_alu instid0(VALU_DEP_2)
	v_cmpx_ne_u32_e32 0x80, v1
	s_cbranch_execz .LBB255_388
; %bb.383:                              ;   in Loop: Header=BB255_225 Depth=1
	v_and_b32_e32 v38, 0x7f, v1
	v_mov_b32_e32 v35, 0x7c010000
	s_mov_b32 s13, exec_lo
	s_delay_alu instid0(VALU_DEP_2)
	v_cmpx_ne_u32_e32 0x7f, v38
	s_cbranch_execz .LBB255_387
; %bb.384:                              ;   in Loop: Header=BB255_225 Depth=1
	v_and_b32_e32 v35, 7, v1
	v_lshrrev_b32_e32 v37, 3, v38
	s_mov_b32 s14, exec_lo
	v_cmpx_gt_u32_e32 8, v38
; %bb.385:                              ;   in Loop: Header=BB255_225 Depth=1
	s_delay_alu instid0(VALU_DEP_3) | instskip(NEXT) | instid1(VALU_DEP_1)
	v_clz_i32_u32_e32 v35, v35
	v_min_u32_e32 v35, 32, v35
	s_delay_alu instid0(VALU_DEP_1) | instskip(NEXT) | instid1(VALU_DEP_1)
	v_subrev_nc_u32_e32 v37, 28, v35
	v_lshlrev_b64_e32 v[38:39], v37, v[1:2]
	v_sub_nc_u32_e32 v37, 29, v35
	s_delay_alu instid0(VALU_DEP_2)
	v_and_b32_e32 v35, 7, v38
; %bb.386:                              ;   in Loop: Header=BB255_225 Depth=1
	s_wait_alu 0xfffe
	s_or_b32 exec_lo, exec_lo, s14
	v_lshlrev_b32_e32 v1, 8, v1
	v_lshl_add_u32 v37, v37, 10, 0x2000
	v_lshlrev_b32_e32 v35, 23, v35
	s_delay_alu instid0(VALU_DEP_2) | instskip(NEXT) | instid1(VALU_DEP_1)
	v_and_or_b32 v1, 0x8000, v1, v37
	v_lshl_or_b32 v35, v1, 16, v35
.LBB255_387:                            ;   in Loop: Header=BB255_225 Depth=1
	s_or_b32 exec_lo, exec_lo, s13
.LBB255_388:                            ;   in Loop: Header=BB255_225 Depth=1
	s_wait_alu 0xfffe
	s_or_b32 exec_lo, exec_lo, s7
.LBB255_389:                            ;   in Loop: Header=BB255_225 Depth=1
	s_wait_alu 0xfffe
	s_or_b32 exec_lo, exec_lo, s6
	v_dual_mov_b32 v38, 0 :: v_dual_and_b32 v39, 0xff, v8
	v_mov_b32_e32 v1, v8
	v_mov_b32_e32 v37, 0
	s_mov_b32 s6, exec_lo
	s_delay_alu instid0(VALU_DEP_3)
	v_cmpx_ne_u16_e32 0, v39
	s_cbranch_execz .LBB255_397
; %bb.390:                              ;   in Loop: Header=BB255_225 Depth=1
	v_mov_b32_e32 v38, 0x8000
	s_mov_b32 s7, exec_lo
	v_cmpx_ne_u16_e32 0x80, v39
	s_cbranch_execz .LBB255_396
; %bb.391:                              ;   in Loop: Header=BB255_225 Depth=1
	v_and_b32_e32 v40, 0x7f, v8
	v_mov_b32_e32 v38, 0x7c01
	s_mov_b32 s13, exec_lo
	s_delay_alu instid0(VALU_DEP_2)
	v_cmpx_ne_u32_e32 0x7f, v40
	s_cbranch_execz .LBB255_395
; %bb.392:                              ;   in Loop: Header=BB255_225 Depth=1
	v_and_b32_e32 v38, 7, v8
	v_lshrrev_b32_e32 v39, 3, v40
	s_mov_b32 s14, exec_lo
	v_cmpx_gt_u32_e32 8, v40
; %bb.393:                              ;   in Loop: Header=BB255_225 Depth=1
	s_delay_alu instid0(VALU_DEP_3) | instskip(NEXT) | instid1(VALU_DEP_1)
	v_clz_i32_u32_e32 v38, v38
	v_min_u32_e32 v40, 32, v38
	s_delay_alu instid0(VALU_DEP_1) | instskip(NEXT) | instid1(VALU_DEP_1)
	v_subrev_nc_u32_e32 v38, 28, v40
	v_lshlrev_b64_e32 v[38:39], v38, v[1:2]
	v_sub_nc_u32_e32 v39, 29, v40
	s_delay_alu instid0(VALU_DEP_2)
	v_and_b32_e32 v38, 7, v38
; %bb.394:                              ;   in Loop: Header=BB255_225 Depth=1
	s_wait_alu 0xfffe
	s_or_b32 exec_lo, exec_lo, s14
	v_lshlrev_b32_e32 v40, 8, v8
	v_lshl_add_u32 v39, v39, 10, 0x2000
	v_lshlrev_b32_e32 v38, 7, v38
	s_delay_alu instid0(VALU_DEP_3) | instskip(NEXT) | instid1(VALU_DEP_3)
	v_and_b32_e32 v40, 0x8000, v40
	v_and_b32_e32 v39, 0xfc00, v39
	s_delay_alu instid0(VALU_DEP_1)
	v_or3_b32 v38, v40, v39, v38
.LBB255_395:                            ;   in Loop: Header=BB255_225 Depth=1
	s_or_b32 exec_lo, exec_lo, s13
.LBB255_396:                            ;   in Loop: Header=BB255_225 Depth=1
	s_wait_alu 0xfffe
	s_or_b32 exec_lo, exec_lo, s7
.LBB255_397:                            ;   in Loop: Header=BB255_225 Depth=1
	s_wait_alu 0xfffe
	s_or_b32 exec_lo, exec_lo, s6
	v_lshrrev_b16 v1, 8, v1
	v_mov_b32_e32 v39, 0
	s_mov_b32 s6, exec_lo
	s_delay_alu instid0(VALU_DEP_2)
	v_cmpx_ne_u16_e32 0, v1
	s_cbranch_execz .LBB255_405
; %bb.398:                              ;   in Loop: Header=BB255_225 Depth=1
	v_bfrev_b32_e32 v39, 1
	s_mov_b32 s7, exec_lo
	v_cmpx_ne_u16_e32 0x80, v1
	s_cbranch_execz .LBB255_404
; %bb.399:                              ;   in Loop: Header=BB255_225 Depth=1
	v_and_b32_e32 v40, 0xffff, v1
	v_mov_b32_e32 v39, 0x7c010000
	s_mov_b32 s13, exec_lo
	s_delay_alu instid0(VALU_DEP_2) | instskip(NEXT) | instid1(VALU_DEP_1)
	v_and_b32_e32 v42, 0x7f, v40
	v_cmpx_ne_u32_e32 0x7f, v42
	s_cbranch_execz .LBB255_403
; %bb.400:                              ;   in Loop: Header=BB255_225 Depth=1
	v_and_b32_e32 v39, 7, v40
	v_lshrrev_b32_e32 v41, 3, v42
	s_mov_b32 s14, exec_lo
	v_cmpx_gt_u32_e32 8, v42
; %bb.401:                              ;   in Loop: Header=BB255_225 Depth=1
	s_delay_alu instid0(VALU_DEP_3) | instskip(NEXT) | instid1(VALU_DEP_1)
	v_clz_i32_u32_e32 v39, v39
	v_min_u32_e32 v39, 32, v39
	s_delay_alu instid0(VALU_DEP_1) | instskip(NEXT) | instid1(VALU_DEP_1)
	v_subrev_nc_u32_e32 v41, 28, v39
	v_lshlrev_b64_e32 v[42:43], v41, v[1:2]
	v_sub_nc_u32_e32 v41, 29, v39
	s_delay_alu instid0(VALU_DEP_2)
	v_and_b32_e32 v39, 7, v42
; %bb.402:                              ;   in Loop: Header=BB255_225 Depth=1
	s_wait_alu 0xfffe
	s_or_b32 exec_lo, exec_lo, s14
	v_lshlrev_b32_e32 v1, 8, v40
	v_lshl_add_u32 v40, v41, 10, 0x2000
	v_lshlrev_b32_e32 v39, 23, v39
	s_delay_alu instid0(VALU_DEP_2) | instskip(NEXT) | instid1(VALU_DEP_1)
	v_and_or_b32 v1, 0x8000, v1, v40
	v_lshl_or_b32 v39, v1, 16, v39
.LBB255_403:                            ;   in Loop: Header=BB255_225 Depth=1
	s_or_b32 exec_lo, exec_lo, s13
.LBB255_404:                            ;   in Loop: Header=BB255_225 Depth=1
	s_wait_alu 0xfffe
	s_or_b32 exec_lo, exec_lo, s7
.LBB255_405:                            ;   in Loop: Header=BB255_225 Depth=1
	s_wait_alu 0xfffe
	s_or_b32 exec_lo, exec_lo, s6
	v_lshrrev_b32_e32 v1, 16, v8
	s_mov_b32 s6, exec_lo
	s_delay_alu instid0(VALU_DEP_1) | instskip(NEXT) | instid1(VALU_DEP_1)
	v_and_b32_e32 v40, 0xff, v1
	v_cmpx_ne_u16_e32 0, v40
	s_cbranch_execz .LBB255_413
; %bb.406:                              ;   in Loop: Header=BB255_225 Depth=1
	v_mov_b32_e32 v37, 0x8000
	s_mov_b32 s7, exec_lo
	v_cmpx_ne_u16_e32 0x80, v40
	s_cbranch_execz .LBB255_412
; %bb.407:                              ;   in Loop: Header=BB255_225 Depth=1
	v_bfe_u32 v41, v8, 16, 7
	v_mov_b32_e32 v37, 0x7c01
	s_mov_b32 s13, exec_lo
	s_delay_alu instid0(VALU_DEP_2)
	v_cmpx_ne_u32_e32 0x7f, v41
	s_cbranch_execz .LBB255_411
; %bb.408:                              ;   in Loop: Header=BB255_225 Depth=1
	v_and_b32_e32 v37, 7, v1
	v_lshrrev_b32_e32 v40, 3, v41
	s_mov_b32 s14, exec_lo
	v_cmpx_gt_u32_e32 8, v41
; %bb.409:                              ;   in Loop: Header=BB255_225 Depth=1
	s_delay_alu instid0(VALU_DEP_3) | instskip(NEXT) | instid1(VALU_DEP_1)
	v_clz_i32_u32_e32 v37, v37
	v_min_u32_e32 v37, 32, v37
	s_delay_alu instid0(VALU_DEP_1) | instskip(NEXT) | instid1(VALU_DEP_1)
	v_subrev_nc_u32_e32 v40, 28, v37
	v_lshlrev_b64_e32 v[41:42], v40, v[1:2]
	v_sub_nc_u32_e32 v40, 29, v37
	s_delay_alu instid0(VALU_DEP_2)
	v_and_b32_e32 v37, 7, v41
; %bb.410:                              ;   in Loop: Header=BB255_225 Depth=1
	s_wait_alu 0xfffe
	s_or_b32 exec_lo, exec_lo, s14
	v_lshlrev_b32_e32 v1, 8, v1
	v_lshl_add_u32 v40, v40, 10, 0x2000
	v_lshlrev_b32_e32 v37, 7, v37
	s_delay_alu instid0(VALU_DEP_3) | instskip(NEXT) | instid1(VALU_DEP_3)
	v_and_b32_e32 v1, 0x8000, v1
	v_and_b32_e32 v40, 0xfc00, v40
	s_delay_alu instid0(VALU_DEP_1)
	v_or3_b32 v37, v1, v40, v37
.LBB255_411:                            ;   in Loop: Header=BB255_225 Depth=1
	s_or_b32 exec_lo, exec_lo, s13
.LBB255_412:                            ;   in Loop: Header=BB255_225 Depth=1
	s_wait_alu 0xfffe
	s_or_b32 exec_lo, exec_lo, s7
.LBB255_413:                            ;   in Loop: Header=BB255_225 Depth=1
	s_wait_alu 0xfffe
	s_or_b32 exec_lo, exec_lo, s6
	v_cmp_lt_u64_e64 s0, s[2:3], v[7:8]
	v_mov_b32_e32 v7, 0
	s_and_saveexec_b32 s6, s0
	s_cbranch_execz .LBB255_421
; %bb.414:                              ;   in Loop: Header=BB255_225 Depth=1
	v_lshrrev_b32_e32 v1, 24, v8
	v_bfrev_b32_e32 v7, 1
	s_mov_b32 s7, exec_lo
	s_delay_alu instid0(VALU_DEP_2)
	v_cmpx_ne_u32_e32 0x80, v1
	s_cbranch_execz .LBB255_420
; %bb.415:                              ;   in Loop: Header=BB255_225 Depth=1
	v_and_b32_e32 v40, 0x7f, v1
	v_mov_b32_e32 v7, 0x7c010000
	s_mov_b32 s13, exec_lo
	s_delay_alu instid0(VALU_DEP_2)
	v_cmpx_ne_u32_e32 0x7f, v40
	s_cbranch_execz .LBB255_419
; %bb.416:                              ;   in Loop: Header=BB255_225 Depth=1
	v_and_b32_e32 v7, 7, v1
	v_lshrrev_b32_e32 v8, 3, v40
	s_mov_b32 s14, exec_lo
	v_cmpx_gt_u32_e32 8, v40
; %bb.417:                              ;   in Loop: Header=BB255_225 Depth=1
	s_delay_alu instid0(VALU_DEP_3) | instskip(NEXT) | instid1(VALU_DEP_1)
	v_clz_i32_u32_e32 v7, v7
	v_min_u32_e32 v40, 32, v7
	s_delay_alu instid0(VALU_DEP_1) | instskip(NEXT) | instid1(VALU_DEP_1)
	v_subrev_nc_u32_e32 v7, 28, v40
	v_lshlrev_b64_e32 v[7:8], v7, v[1:2]
	v_sub_nc_u32_e32 v8, 29, v40
	s_delay_alu instid0(VALU_DEP_2)
	v_and_b32_e32 v7, 7, v7
; %bb.418:                              ;   in Loop: Header=BB255_225 Depth=1
	s_wait_alu 0xfffe
	s_or_b32 exec_lo, exec_lo, s14
	v_lshlrev_b32_e32 v1, 8, v1
	v_lshl_add_u32 v8, v8, 10, 0x2000
	v_lshlrev_b32_e32 v7, 23, v7
	s_delay_alu instid0(VALU_DEP_2) | instskip(NEXT) | instid1(VALU_DEP_1)
	v_and_or_b32 v1, 0x8000, v1, v8
	v_lshl_or_b32 v7, v1, 16, v7
.LBB255_419:                            ;   in Loop: Header=BB255_225 Depth=1
	s_or_b32 exec_lo, exec_lo, s13
.LBB255_420:                            ;   in Loop: Header=BB255_225 Depth=1
	s_wait_alu 0xfffe
	s_or_b32 exec_lo, exec_lo, s7
.LBB255_421:                            ;   in Loop: Header=BB255_225 Depth=1
	s_wait_alu 0xfffe
	s_or_b32 exec_lo, exec_lo, s6
	v_or_b32_e32 v1, v35, v36
	s_wait_loadcnt 0x0
	v_fma_mixlo_f16 v8, v32, v35, 0 op_sel:[0,1,0] op_sel_hi:[0,1,0]
	v_or_b32_e32 v34, v33, v34
	v_fma_mixlo_f16 v33, v32, v33, 0 op_sel:[0,1,0] op_sel_hi:[0,1,0]
	v_or_b32_e32 v35, v39, v38
	v_fma_mixlo_f16 v36, v32, v1, 0 op_sel_hi:[0,1,0]
	v_or_b32_e32 v37, v7, v37
	v_lshlrev_b32_e32 v1, 16, v8
	v_lshlrev_b32_e32 v38, 16, v33
	v_fma_mixlo_f16 v8, v32, v34, 0 op_sel_hi:[0,1,0]
	v_and_b32_e32 v34, 0xffff, v36
	v_fma_mixlo_f16 v33, v32, v39, 0 op_sel:[0,1,0] op_sel_hi:[0,1,0]
	v_fma_mixlo_f16 v36, v32, v35, 0 op_sel_hi:[0,1,0]
	v_fma_mixlo_f16 v7, v32, v7, 0 op_sel:[0,1,0] op_sel_hi:[0,1,0]
	v_fma_mixlo_f16 v32, v32, v37, 0 op_sel_hi:[0,1,0]
	v_and_b32_e32 v40, 0xffff, v8
	v_lshlrev_b32_e32 v35, 16, v33
	v_and_b32_e32 v39, 0xffff, v36
	v_lshlrev_b32_e32 v7, 16, v7
	v_and_b32_e32 v36, 0xffff, v32
	v_or_b32_e32 v8, v1, v34
	v_or_b32_e32 v37, v38, v40
	;; [unrolled: 1-line block ×3, first 2 shown]
	s_delay_alu instid0(VALU_DEP_4)
	v_or_b32_e32 v32, v7, v36
	s_and_saveexec_b32 s0, vcc_lo
	s_cbranch_execz .LBB255_224
; %bb.422:                              ;   in Loop: Header=BB255_225 Depth=1
	v_cmp_gt_i32_e32 vcc_lo, s27, v19
	s_wait_alu 0xfffd
	v_cndmask_b32_e32 v8, 0, v40, vcc_lo
	v_cmp_gt_i32_e32 vcc_lo, s27, v25
	s_wait_alu 0xfffd
	v_cndmask_b32_e32 v19, 0, v38, vcc_lo
	v_cmp_gt_i32_e32 vcc_lo, s27, v24
	s_delay_alu instid0(VALU_DEP_2)
	v_or_b32_e32 v37, v19, v8
	s_wait_alu 0xfffd
	v_cndmask_b32_e32 v24, 0, v34, vcc_lo
	v_cmp_gt_i32_e32 vcc_lo, s27, v23
	s_wait_alu 0xfffd
	v_cndmask_b32_e32 v1, 0, v1, vcc_lo
	v_cmp_gt_i32_e32 vcc_lo, s27, v22
	s_delay_alu instid0(VALU_DEP_2)
	v_or_b32_e32 v8, v1, v24
	s_wait_alu 0xfffd
	v_cndmask_b32_e32 v22, 0, v39, vcc_lo
	v_cmp_gt_i32_e32 vcc_lo, s27, v21
	s_wait_alu 0xfffd
	v_cndmask_b32_e32 v21, 0, v35, vcc_lo
	v_cmp_gt_i32_e32 vcc_lo, s27, v20
	;; [unrolled: 3-line block ×3, first 2 shown]
	v_or_b32_e32 v33, v21, v22
	s_wait_alu 0xfffd
	v_cndmask_b32_e32 v7, 0, v7, vcc_lo
	s_delay_alu instid0(VALU_DEP_1)
	v_or_b32_e32 v32, v7, v20
	s_branch .LBB255_224
.LBB255_423:
	s_or_b32 exec_lo, exec_lo, s5
.LBB255_424:
	s_wait_alu 0xfffe
	s_or_b32 exec_lo, exec_lo, s1
	v_lshl_add_u32 v2, v14, 2, 0xe0
	v_and_b32_e32 v3, 0x3c0, v0
	s_mov_b32 s0, exec_lo
	s_wait_loadcnt 0x0
	s_wait_storecnt 0x0
	s_barrier_signal -1
	v_mad_u32_u24 v1, 0x180, v11, v2
	s_barrier_wait -1
	global_inv scope:SCOPE_SE
	v_cmpx_eq_u32_e32 64, v3
	s_cbranch_execz .LBB255_426
; %bb.425:
	v_add_nc_u32_e32 v3, 0xfffffd00, v1
	v_add_nc_u32_e32 v4, 0xfffffd80, v1
	;; [unrolled: 1-line block ×3, first 2 shown]
	ds_store_b32 v3, v16
	ds_store_b32 v4, v15
	;; [unrolled: 1-line block ×3, first 2 shown]
.LBB255_426:
	s_wait_alu 0xfffe
	s_or_b32 exec_lo, exec_lo, s0
	s_delay_alu instid0(SALU_CYCLE_1)
	s_mov_b32 s0, exec_lo
	s_wait_loadcnt_dscnt 0x0
	s_barrier_signal -1
	s_barrier_wait -1
	global_inv scope:SCOPE_SE
	v_cmpx_gt_u32_e32 64, v0
	s_cbranch_execz .LBB255_428
; %bb.427:
	ds_load_2addr_b32 v[3:4], v1 offset1:32
	ds_load_b32 v5, v1 offset:256
	s_wait_dscnt 0x1
	v_dual_add_f32 v16, v16, v3 :: v_dual_add_f32 v15, v15, v4
	s_wait_dscnt 0x0
	v_add_f32_e32 v13, v13, v5
.LBB255_428:
	s_wait_alu 0xfffe
	s_or_b32 exec_lo, exec_lo, s0
	v_and_b32_e32 v3, 0x3e0, v0
	s_mov_b32 s0, exec_lo
	s_wait_loadcnt 0x0
	s_barrier_signal -1
	s_barrier_wait -1
	global_inv scope:SCOPE_SE
	v_cmpx_eq_u32_e32 32, v3
	s_cbranch_execz .LBB255_430
; %bb.429:
	ds_store_2addr_b32 v2, v16, v15 offset1:32
	ds_store_b32 v2, v13 offset:256
.LBB255_430:
	s_wait_alu 0xfffe
	s_or_b32 exec_lo, exec_lo, s0
	v_cmp_gt_u32_e32 vcc_lo, 32, v0
	s_wait_loadcnt_dscnt 0x0
	s_barrier_signal -1
	s_barrier_wait -1
	global_inv scope:SCOPE_SE
	s_and_saveexec_b32 s0, vcc_lo
	s_cbranch_execz .LBB255_432
; %bb.431:
	ds_load_2addr_b32 v[2:3], v1 offset1:32
	ds_load_b32 v1, v1 offset:256
	s_wait_dscnt 0x1
	v_dual_add_f32 v16, v16, v2 :: v_dual_add_f32 v15, v15, v3
	s_wait_dscnt 0x0
	v_add_f32_e32 v13, v13, v1
.LBB255_432:
	s_wait_alu 0xfffe
	s_or_b32 exec_lo, exec_lo, s0
	s_wait_loadcnt 0x0
	s_barrier_signal -1
	s_barrier_wait -1
	global_inv scope:SCOPE_SE
	s_and_saveexec_b32 s0, vcc_lo
	s_cbranch_execz .LBB255_434
; %bb.433:
	s_mul_i32 s0, s22, 0x60
	s_mul_i32 s2, s12, s16
	s_wait_alu 0xfffe
	s_ashr_i32 s1, s0, 31
	s_ashr_i32 s3, s2, 31
	s_wait_alu 0xfffe
	s_lshl_b64 s[0:1], s[0:1], 1
	s_lshl_b64 s[2:3], s[2:3], 1
	s_wait_kmcnt 0x0
	s_wait_alu 0xfffe
	s_add_nc_u64 s[0:1], s[8:9], s[0:1]
	v_lshlrev_b32_e32 v0, 1, v0
	s_mul_i32 s4, s26, 0xc0
	s_wait_alu 0xfffe
	s_add_nc_u64 s[0:1], s[0:1], s[2:3]
	s_mov_b32 s5, 0
	;;#ASMSTART
	v_cvt_f16_f32 v1, v16;

	;;#ASMEND
	s_wait_alu 0xfffe
	s_add_nc_u64 s[0:1], s[0:1], s[4:5]
	global_store_b16 v0, v1, s[0:1]
	;;#ASMSTART
	v_cvt_f16_f32 v1, v15;

	;;#ASMEND
	global_store_b16 v0, v1, s[0:1] offset:64
	;;#ASMSTART
	v_cvt_f16_f32 v1, v13;

	;;#ASMEND
	global_store_b16 v0, v1, s[0:1] offset:128
.LBB255_434:
	s_endpgm
	.section	.rodata,"a",@progbits
	.p2align	6, 0x0
	.amdhsa_kernel _ZN4vllm25paged_attention_v2_kernelIthLi96ELi8ELi128ELNS_18Fp8KVCacheDataTypeE1ELb0ELi512EEEvPfS2_PT_PKS3_PKT0_S9_ifPKiSB_iPKfiiiSD_SD_iiiii
		.amdhsa_group_segment_fixed_size 224
		.amdhsa_private_segment_fixed_size 0
		.amdhsa_kernarg_size 400
		.amdhsa_user_sgpr_count 2
		.amdhsa_user_sgpr_dispatch_ptr 0
		.amdhsa_user_sgpr_queue_ptr 0
		.amdhsa_user_sgpr_kernarg_segment_ptr 1
		.amdhsa_user_sgpr_dispatch_id 0
		.amdhsa_user_sgpr_private_segment_size 0
		.amdhsa_wavefront_size32 1
		.amdhsa_uses_dynamic_stack 0
		.amdhsa_enable_private_segment 0
		.amdhsa_system_sgpr_workgroup_id_x 1
		.amdhsa_system_sgpr_workgroup_id_y 1
		.amdhsa_system_sgpr_workgroup_id_z 1
		.amdhsa_system_sgpr_workgroup_info 0
		.amdhsa_system_vgpr_workitem_id 0
		.amdhsa_next_free_vgpr 63
		.amdhsa_next_free_sgpr 36
		.amdhsa_reserve_vcc 1
		.amdhsa_float_round_mode_32 0
		.amdhsa_float_round_mode_16_64 0
		.amdhsa_float_denorm_mode_32 3
		.amdhsa_float_denorm_mode_16_64 3
		.amdhsa_fp16_overflow 0
		.amdhsa_workgroup_processor_mode 1
		.amdhsa_memory_ordered 1
		.amdhsa_forward_progress 1
		.amdhsa_inst_pref_size 129
		.amdhsa_round_robin_scheduling 0
		.amdhsa_exception_fp_ieee_invalid_op 0
		.amdhsa_exception_fp_denorm_src 0
		.amdhsa_exception_fp_ieee_div_zero 0
		.amdhsa_exception_fp_ieee_overflow 0
		.amdhsa_exception_fp_ieee_underflow 0
		.amdhsa_exception_fp_ieee_inexact 0
		.amdhsa_exception_int_div_zero 0
	.end_amdhsa_kernel
	.section	.text._ZN4vllm25paged_attention_v2_kernelIthLi96ELi8ELi128ELNS_18Fp8KVCacheDataTypeE1ELb0ELi512EEEvPfS2_PT_PKS3_PKT0_S9_ifPKiSB_iPKfiiiSD_SD_iiiii,"axG",@progbits,_ZN4vllm25paged_attention_v2_kernelIthLi96ELi8ELi128ELNS_18Fp8KVCacheDataTypeE1ELb0ELi512EEEvPfS2_PT_PKS3_PKT0_S9_ifPKiSB_iPKfiiiSD_SD_iiiii,comdat
.Lfunc_end255:
	.size	_ZN4vllm25paged_attention_v2_kernelIthLi96ELi8ELi128ELNS_18Fp8KVCacheDataTypeE1ELb0ELi512EEEvPfS2_PT_PKS3_PKT0_S9_ifPKiSB_iPKfiiiSD_SD_iiiii, .Lfunc_end255-_ZN4vllm25paged_attention_v2_kernelIthLi96ELi8ELi128ELNS_18Fp8KVCacheDataTypeE1ELb0ELi512EEEvPfS2_PT_PKS3_PKT0_S9_ifPKiSB_iPKfiiiSD_SD_iiiii
                                        ; -- End function
	.set _ZN4vllm25paged_attention_v2_kernelIthLi96ELi8ELi128ELNS_18Fp8KVCacheDataTypeE1ELb0ELi512EEEvPfS2_PT_PKS3_PKT0_S9_ifPKiSB_iPKfiiiSD_SD_iiiii.num_vgpr, 63
	.set _ZN4vllm25paged_attention_v2_kernelIthLi96ELi8ELi128ELNS_18Fp8KVCacheDataTypeE1ELb0ELi512EEEvPfS2_PT_PKS3_PKT0_S9_ifPKiSB_iPKfiiiSD_SD_iiiii.num_agpr, 0
	.set _ZN4vllm25paged_attention_v2_kernelIthLi96ELi8ELi128ELNS_18Fp8KVCacheDataTypeE1ELb0ELi512EEEvPfS2_PT_PKS3_PKT0_S9_ifPKiSB_iPKfiiiSD_SD_iiiii.numbered_sgpr, 36
	.set _ZN4vllm25paged_attention_v2_kernelIthLi96ELi8ELi128ELNS_18Fp8KVCacheDataTypeE1ELb0ELi512EEEvPfS2_PT_PKS3_PKT0_S9_ifPKiSB_iPKfiiiSD_SD_iiiii.num_named_barrier, 0
	.set _ZN4vllm25paged_attention_v2_kernelIthLi96ELi8ELi128ELNS_18Fp8KVCacheDataTypeE1ELb0ELi512EEEvPfS2_PT_PKS3_PKT0_S9_ifPKiSB_iPKfiiiSD_SD_iiiii.private_seg_size, 0
	.set _ZN4vllm25paged_attention_v2_kernelIthLi96ELi8ELi128ELNS_18Fp8KVCacheDataTypeE1ELb0ELi512EEEvPfS2_PT_PKS3_PKT0_S9_ifPKiSB_iPKfiiiSD_SD_iiiii.uses_vcc, 1
	.set _ZN4vllm25paged_attention_v2_kernelIthLi96ELi8ELi128ELNS_18Fp8KVCacheDataTypeE1ELb0ELi512EEEvPfS2_PT_PKS3_PKT0_S9_ifPKiSB_iPKfiiiSD_SD_iiiii.uses_flat_scratch, 0
	.set _ZN4vllm25paged_attention_v2_kernelIthLi96ELi8ELi128ELNS_18Fp8KVCacheDataTypeE1ELb0ELi512EEEvPfS2_PT_PKS3_PKT0_S9_ifPKiSB_iPKfiiiSD_SD_iiiii.has_dyn_sized_stack, 0
	.set _ZN4vllm25paged_attention_v2_kernelIthLi96ELi8ELi128ELNS_18Fp8KVCacheDataTypeE1ELb0ELi512EEEvPfS2_PT_PKS3_PKT0_S9_ifPKiSB_iPKfiiiSD_SD_iiiii.has_recursion, 0
	.set _ZN4vllm25paged_attention_v2_kernelIthLi96ELi8ELi128ELNS_18Fp8KVCacheDataTypeE1ELb0ELi512EEEvPfS2_PT_PKS3_PKT0_S9_ifPKiSB_iPKfiiiSD_SD_iiiii.has_indirect_call, 0
	.section	.AMDGPU.csdata,"",@progbits
; Kernel info:
; codeLenInByte = 16408
; TotalNumSgprs: 38
; NumVgprs: 63
; ScratchSize: 0
; MemoryBound: 0
; FloatMode: 240
; IeeeMode: 1
; LDSByteSize: 224 bytes/workgroup (compile time only)
; SGPRBlocks: 0
; VGPRBlocks: 7
; NumSGPRsForWavesPerEU: 38
; NumVGPRsForWavesPerEU: 63
; Occupancy: 16
; WaveLimiterHint : 1
; COMPUTE_PGM_RSRC2:SCRATCH_EN: 0
; COMPUTE_PGM_RSRC2:USER_SGPR: 2
; COMPUTE_PGM_RSRC2:TRAP_HANDLER: 0
; COMPUTE_PGM_RSRC2:TGID_X_EN: 1
; COMPUTE_PGM_RSRC2:TGID_Y_EN: 1
; COMPUTE_PGM_RSRC2:TGID_Z_EN: 1
; COMPUTE_PGM_RSRC2:TIDIG_COMP_CNT: 0
	.section	.text._ZN4vllm25paged_attention_v2_kernelIthLi112ELi8ELi128ELNS_18Fp8KVCacheDataTypeE1ELb0ELi512EEEvPfS2_PT_PKS3_PKT0_S9_ifPKiSB_iPKfiiiSD_SD_iiiii,"axG",@progbits,_ZN4vllm25paged_attention_v2_kernelIthLi112ELi8ELi128ELNS_18Fp8KVCacheDataTypeE1ELb0ELi512EEEvPfS2_PT_PKS3_PKT0_S9_ifPKiSB_iPKfiiiSD_SD_iiiii,comdat
	.protected	_ZN4vllm25paged_attention_v2_kernelIthLi112ELi8ELi128ELNS_18Fp8KVCacheDataTypeE1ELb0ELi512EEEvPfS2_PT_PKS3_PKT0_S9_ifPKiSB_iPKfiiiSD_SD_iiiii ; -- Begin function _ZN4vllm25paged_attention_v2_kernelIthLi112ELi8ELi128ELNS_18Fp8KVCacheDataTypeE1ELb0ELi512EEEvPfS2_PT_PKS3_PKT0_S9_ifPKiSB_iPKfiiiSD_SD_iiiii
	.globl	_ZN4vllm25paged_attention_v2_kernelIthLi112ELi8ELi128ELNS_18Fp8KVCacheDataTypeE1ELb0ELi512EEEvPfS2_PT_PKS3_PKT0_S9_ifPKiSB_iPKfiiiSD_SD_iiiii
	.p2align	8
	.type	_ZN4vllm25paged_attention_v2_kernelIthLi112ELi8ELi128ELNS_18Fp8KVCacheDataTypeE1ELb0ELi512EEEvPfS2_PT_PKS3_PKT0_S9_ifPKiSB_iPKfiiiSD_SD_iiiii,@function
_ZN4vllm25paged_attention_v2_kernelIthLi112ELi8ELi128ELNS_18Fp8KVCacheDataTypeE1ELb0ELi512EEEvPfS2_PT_PKS3_PKT0_S9_ifPKiSB_iPKfiiiSD_SD_iiiii: ; @_ZN4vllm25paged_attention_v2_kernelIthLi112ELi8ELi128ELNS_18Fp8KVCacheDataTypeE1ELb0ELi512EEEvPfS2_PT_PKS3_PKT0_S9_ifPKiSB_iPKfiiiSD_SD_iiiii
; %bb.0:
	s_load_b64 s[2:3], s[0:1], 0x40
	s_and_b32 s15, ttmp7, 0xffff
	s_lshr_b32 s26, ttmp7, 16
	s_lshl_b32 s4, s15, 2
	s_lshl_b32 s28, s26, 9
	s_wait_kmcnt 0x0
	s_load_b32 s27, s[2:3], s4 offset:0x0
	s_wait_kmcnt 0x0
	s_cmp_ge_i32 s28, s27
	s_cbranch_scc1 .LBB256_541
; %bb.1:
	s_clause 0x1
	s_load_b32 s29, s[0:1], 0x90
	s_load_b64 s[6:7], s[0:1], 0x30
	s_wait_kmcnt 0x0
	s_abs_i32 s5, s29
	s_abs_i32 s2, s6
	s_delay_alu instid0(SALU_CYCLE_1) | instskip(SKIP_1) | instid1(SALU_CYCLE_2)
	s_cvt_f32_u32 s3, s2
	s_sub_co_i32 s4, 0, s2
	v_rcp_iflag_f32_e32 v1, s3
	s_delay_alu instid0(TRANS32_DEP_1) | instskip(SKIP_2) | instid1(SALU_CYCLE_2)
	v_readfirstlane_b32 s3, v1
	s_mul_f32 s3, s3, 0x4f7ffffe
	s_wait_alu 0xfffe
	s_cvt_u32_f32 s3, s3
	s_wait_alu 0xfffe
	s_delay_alu instid0(SALU_CYCLE_2) | instskip(NEXT) | instid1(SALU_CYCLE_1)
	s_mul_i32 s4, s4, s3
	s_mul_hi_u32 s4, s3, s4
	s_delay_alu instid0(SALU_CYCLE_1)
	s_add_co_i32 s3, s3, s4
	s_xor_b32 s4, s29, s6
	s_wait_alu 0xfffe
	s_mul_hi_u32 s3, s5, s3
	s_ashr_i32 s4, s4, 31
	s_wait_alu 0xfffe
	s_mul_i32 s6, s3, s2
	s_delay_alu instid0(SALU_CYCLE_1)
	s_sub_co_i32 s5, s5, s6
	s_add_co_i32 s6, s3, 1
	s_sub_co_i32 s8, s5, s2
	s_cmp_ge_u32 s5, s2
	s_cselect_b32 s3, s6, s3
	s_cselect_b32 s5, s8, s5
	s_wait_alu 0xfffe
	s_add_co_i32 s6, s3, 1
	s_cmp_ge_u32 s5, s2
	s_load_b64 s[8:9], s[0:1], 0x50
	s_cselect_b32 s2, s6, s3
	s_mov_b32 s3, 0
	s_wait_alu 0xfffe
	s_xor_b32 s2, s2, s4
	s_mov_b32 s6, s3
	s_wait_alu 0xfffe
	s_sub_co_i32 s11, s2, s4
	s_delay_alu instid0(SALU_CYCLE_1) | instskip(NEXT) | instid1(SALU_CYCLE_1)
	s_abs_i32 s10, s11
	s_cvt_f32_u32 s2, s10
	s_wait_alu 0xfffe
	s_delay_alu instid0(SALU_CYCLE_2) | instskip(NEXT) | instid1(TRANS32_DEP_1)
	v_rcp_iflag_f32_e32 v1, s2
	v_readfirstlane_b32 s2, v1
	s_mul_f32 s2, s2, 0x4f7ffffe
	s_wait_alu 0xfffe
	s_delay_alu instid0(SALU_CYCLE_2) | instskip(SKIP_2) | instid1(SALU_CYCLE_1)
	s_cvt_u32_f32 s4, s2
	s_sub_co_i32 s2, 0, s10
	s_wait_alu 0xfffe
	s_mul_i32 s2, s2, s4
	s_wait_alu 0xfffe
	s_mul_hi_u32 s5, s4, s2
	s_abs_i32 s2, ttmp9
	s_add_co_i32 s4, s4, s5
	s_mov_b32 s5, s3
	s_wait_kmcnt 0x0
	s_cmp_eq_u64 s[8:9], 0
	s_cbranch_scc1 .LBB256_3
; %bb.2:
	s_mov_b32 s12, ttmp9
	s_ashr_i32 s13, ttmp9, 31
	s_delay_alu instid0(SALU_CYCLE_1) | instskip(NEXT) | instid1(SALU_CYCLE_1)
	s_lshl_b64 s[12:13], s[12:13], 2
	s_add_nc_u64 s[8:9], s[8:9], s[12:13]
	s_load_b32 s6, s[8:9], 0x0
.LBB256_3:
	s_load_b96 s[12:14], s[0:1], 0x58
	v_and_b32_e32 v1, 3, v0
	s_mul_u64 s[4:5], s[2:3], s[4:5]
	s_ashr_i32 s3, ttmp9, 31
	s_ashr_i32 s4, s11, 31
	s_mul_i32 s16, ttmp9, 0x70
	s_mov_b32 s8, exec_lo
	v_cmpx_gt_u32_e32 56, v0
	s_cbranch_execz .LBB256_5
; %bb.4:
	s_load_b64 s[18:19], s[0:1], 0x18
	s_wait_kmcnt 0x0
	s_mul_i32 s20, s12, s15
	s_ashr_i32 s17, s16, 31
	s_ashr_i32 s21, s20, 31
	v_lshlrev_b32_e32 v2, 2, v0
	s_lshl_b64 s[20:21], s[20:21], 1
	v_and_b32_e32 v3, 0x3fc, v0
	s_delay_alu instid0(VALU_DEP_1) | instskip(SKIP_2) | instid1(SALU_CYCLE_1)
	v_mad_u32_u24 v3, v1, 56, v3
	s_add_nc_u64 s[18:19], s[18:19], s[20:21]
	s_lshl_b64 s[20:21], s[16:17], 1
	s_add_nc_u64 s[18:19], s[18:19], s[20:21]
	global_load_b32 v2, v2, s[18:19]
	s_wait_loadcnt 0x0
	ds_store_b32 v3, v2
.LBB256_5:
	s_or_b32 exec_lo, exec_lo, s8
	s_add_co_i32 s8, s27, 7
	s_wait_alu 0xfffe
	s_xor_b32 s3, s3, s4
	s_ashr_i32 s9, s8, 31
	s_lshl_b32 s31, s26, 6
	s_lshr_b32 s4, s9, 29
	s_mul_i32 s9, s5, s10
	s_add_co_i32 s8, s8, s4
	s_add_co_i32 s4, s31, 64
	s_ashr_i32 s30, s8, 3
	s_load_b32 s8, s[0:1], 0x48
	s_sub_co_i32 s2, s2, s9
	s_min_i32 s17, s4, s30
	s_add_co_i32 s4, s5, 1
	s_wait_alu 0xfffe
	s_sub_co_i32 s9, s2, s10
	s_cmp_ge_u32 s2, s10
	v_lshrrev_b32_e32 v11, 5, v0
	s_cselect_b32 s4, s4, s5
	s_cselect_b32 s2, s9, s2
	s_add_co_i32 s5, s4, 1
	s_wait_alu 0xfffe
	s_cmp_ge_u32 s2, s10
	v_or_b32_e32 v12, s31, v11
	s_cselect_b32 s2, s5, s4
	v_mbcnt_lo_u32_b32 v15, -1, 0
	s_wait_alu 0xfffe
	s_xor_b32 s2, s2, s3
	s_mov_b32 s4, exec_lo
	s_wait_alu 0xfffe
	s_sub_co_i32 s3, s2, s3
	v_cmp_gt_i32_e64 s2, s17, v12
	s_wait_dscnt 0x0
	s_barrier_signal -1
	s_wait_kmcnt 0x0
	s_mul_i32 s18, s8, s15
	s_barrier_wait -1
	s_ashr_i32 s19, s18, 31
	global_inv scope:SCOPE_SE
                                        ; implicit-def: $vgpr2
                                        ; implicit-def: $vgpr14
	v_cmpx_le_i32_e64 s17, v12
	s_xor_b32 s4, exec_lo, s4
; %bb.6:
	v_mov_b32_e32 v2, 0
	v_mbcnt_lo_u32_b32 v15, -1, 0
	v_mov_b32_e32 v14, 32
                                        ; implicit-def: $vgpr1
; %bb.7:
	s_or_saveexec_b32 s24, s4
	s_clause 0x2
	s_load_b32 s12, s[0:1], 0x98
	s_load_b64 s[20:21], s[0:1], 0x38
	s_load_b128 s[8:11], s[0:1], 0x68
	v_dual_mov_b32 v13, 0xff7fffff :: v_dual_lshlrev_b32 v10, 3, v11
	v_lshlrev_b32_e32 v9, 2, v12
	s_mul_i32 s22, s3, s14
	s_xor_b32 exec_lo, exec_lo, s24
	s_cbranch_execz .LBB256_237
; %bb.8:
	s_load_b64 s[4:5], s[0:1], 0x20
	v_bfe_u32 v3, v0, 2, 3
	v_mov_b32_e32 v2, 0
	v_dual_mov_b32 v13, 0xff7fffff :: v_dual_lshlrev_b32 v4, 1, v1
	v_mul_u32_u24_e32 v16, 56, v1
	v_cmp_eq_u32_e32 vcc_lo, 0, v1
	v_lshlrev_b32_e32 v1, 4, v3
	v_dual_mov_b32 v14, 32 :: v_dual_lshlrev_b32 v5, 2, v3
	s_ashr_i32 s23, s22, 31
	s_cmp_neq_f32 s6, 0
	v_add3_u32 v17, s28, v10, v3
	s_delay_alu instid0(VALU_DEP_2) | instskip(SKIP_3) | instid1(VALU_DEP_1)
	v_lshl_or_b32 v3, v11, 5, v5
	s_mov_b32 s14, 0
	s_cselect_b32 s3, -1, 0
	s_lshl_b64 s[34:35], s[18:19], 2
	v_dual_mov_b32 v19, v12 :: v_dual_add_nc_u32 v18, 0x100, v3
	s_wait_kmcnt 0x0
	s_add_nc_u64 s[34:35], s[20:21], s[34:35]
	s_add_nc_u64 s[4:5], s[4:5], s[22:23]
	s_mov_b32 s23, s13
	v_add_co_u32 v1, s4, s4, v1
	s_wait_alu 0xf1ff
	v_add_co_ci_u32_e64 v5, null, s5, 0, s4
	s_sub_co_i32 s25, 1, s27
	v_add_co_u32 v3, s4, v1, v4
	s_wait_alu 0xf1ff
	v_add_co_ci_u32_e64 v4, null, 0, v5, s4
	v_add_co_u32 v5, s4, s34, v9
	s_wait_alu 0xf1ff
	v_add_co_ci_u32_e64 v6, null, s35, 0, s4
	s_branch .LBB256_10
.LBB256_9:                              ;   in Loop: Header=BB256_10 Depth=1
	s_wait_alu 0xfffe
	s_or_b32 exec_lo, exec_lo, s5
	v_add_nc_u32_e32 v19, 4, v19
	v_add_co_u32 v5, s5, v5, 16
	v_add_nc_u32_e32 v17, 32, v17
	v_add_nc_u32_e32 v18, 0x80, v18
	s_delay_alu instid0(VALU_DEP_4) | instskip(SKIP_3) | instid1(SALU_CYCLE_1)
	v_cmp_le_i32_e64 s4, s17, v19
	s_wait_alu 0xf1ff
	v_add_co_ci_u32_e64 v6, null, 0, v6, s5
	s_or_b32 s14, s4, s14
	s_and_not1_b32 exec_lo, exec_lo, s14
	s_cbranch_execz .LBB256_236
.LBB256_10:                             ; =>This Inner Loop Header: Depth=1
	global_load_b32 v1, v[5:6], off
	s_wait_loadcnt_dscnt 0x0
	v_mad_co_i64_i32 v[7:8], null, v1, s23, v[3:4]
	global_load_u16 v1, v[7:8], off
	s_wait_loadcnt 0x0
	v_dual_mov_b32 v21, 0 :: v_dual_and_b32 v22, 0xff, v1
	global_load_b32 v20, v21, s[8:9]
	v_and_b32_e32 v1, 0xffff, v1
	v_cmp_ne_u16_e64 s4, 0, v22
	v_mov_b32_e32 v22, 0
	s_and_saveexec_b32 s5, s4
	s_cbranch_execz .LBB256_18
; %bb.11:                               ;   in Loop: Header=BB256_10 Depth=1
	v_and_b32_e32 v22, 0xff, v1
	s_delay_alu instid0(VALU_DEP_1)
	v_cmp_ne_u16_e64 s4, 0x80, v22
	v_mov_b32_e32 v22, 0x8000
	s_and_saveexec_b32 s33, s4
	s_cbranch_execz .LBB256_17
; %bb.12:                               ;   in Loop: Header=BB256_10 Depth=1
	v_and_b32_e32 v24, 0x7f, v1
	v_mov_b32_e32 v22, 0x7c01
	s_mov_b32 s34, exec_lo
	s_delay_alu instid0(VALU_DEP_2)
	v_cmpx_ne_u32_e32 0x7f, v24
	s_cbranch_execz .LBB256_16
; %bb.13:                               ;   in Loop: Header=BB256_10 Depth=1
	v_and_b32_e32 v22, 7, v1
	v_lshrrev_b32_e32 v23, 3, v24
	s_mov_b32 s35, exec_lo
	v_cmpx_gt_u32_e32 8, v24
; %bb.14:                               ;   in Loop: Header=BB256_10 Depth=1
	s_delay_alu instid0(VALU_DEP_3) | instskip(NEXT) | instid1(VALU_DEP_1)
	v_clz_i32_u32_e32 v22, v22
	v_min_u32_e32 v24, 32, v22
	s_delay_alu instid0(VALU_DEP_1) | instskip(NEXT) | instid1(VALU_DEP_1)
	v_subrev_nc_u32_e32 v22, 28, v24
	v_lshlrev_b64_e32 v[22:23], v22, v[1:2]
	v_sub_nc_u32_e32 v23, 29, v24
	s_delay_alu instid0(VALU_DEP_2)
	v_and_b32_e32 v22, 7, v22
; %bb.15:                               ;   in Loop: Header=BB256_10 Depth=1
	s_wait_alu 0xfffe
	s_or_b32 exec_lo, exec_lo, s35
	v_lshlrev_b32_e32 v24, 8, v1
	v_lshl_add_u32 v23, v23, 10, 0x2000
	v_lshlrev_b32_e32 v22, 7, v22
	s_delay_alu instid0(VALU_DEP_3) | instskip(NEXT) | instid1(VALU_DEP_3)
	v_and_b32_e32 v24, 0x8000, v24
	v_and_b32_e32 v23, 0xfc00, v23
	s_delay_alu instid0(VALU_DEP_1)
	v_or3_b32 v22, v24, v23, v22
.LBB256_16:                             ;   in Loop: Header=BB256_10 Depth=1
	s_wait_alu 0xfffe
	s_or_b32 exec_lo, exec_lo, s34
.LBB256_17:                             ;   in Loop: Header=BB256_10 Depth=1
	s_delay_alu instid0(SALU_CYCLE_1)
	s_or_b32 exec_lo, exec_lo, s33
.LBB256_18:                             ;   in Loop: Header=BB256_10 Depth=1
	s_wait_alu 0xfffe
	s_or_b32 exec_lo, exec_lo, s5
	v_lshrrev_b16 v1, 8, v1
	s_mov_b32 s5, exec_lo
	s_delay_alu instid0(VALU_DEP_1)
	v_cmpx_ne_u16_e32 0, v1
	s_cbranch_execz .LBB256_26
; %bb.19:                               ;   in Loop: Header=BB256_10 Depth=1
	v_bfrev_b32_e32 v21, 1
	s_mov_b32 s33, exec_lo
	v_cmpx_ne_u16_e32 0x80, v1
	s_cbranch_execz .LBB256_25
; %bb.20:                               ;   in Loop: Header=BB256_10 Depth=1
	v_and_b32_e32 v23, 0xffff, v1
	v_mov_b32_e32 v21, 0x7c010000
	s_mov_b32 s34, exec_lo
	s_delay_alu instid0(VALU_DEP_2) | instskip(NEXT) | instid1(VALU_DEP_1)
	v_and_b32_e32 v25, 0x7f, v23
	v_cmpx_ne_u32_e32 0x7f, v25
	s_cbranch_execz .LBB256_24
; %bb.21:                               ;   in Loop: Header=BB256_10 Depth=1
	v_and_b32_e32 v21, 7, v23
	v_lshrrev_b32_e32 v24, 3, v25
	s_mov_b32 s35, exec_lo
	v_cmpx_gt_u32_e32 8, v25
; %bb.22:                               ;   in Loop: Header=BB256_10 Depth=1
	s_delay_alu instid0(VALU_DEP_3) | instskip(NEXT) | instid1(VALU_DEP_1)
	v_clz_i32_u32_e32 v21, v21
	v_min_u32_e32 v21, 32, v21
	s_delay_alu instid0(VALU_DEP_1) | instskip(NEXT) | instid1(VALU_DEP_1)
	v_subrev_nc_u32_e32 v24, 28, v21
	v_lshlrev_b64_e32 v[25:26], v24, v[1:2]
	v_sub_nc_u32_e32 v24, 29, v21
	s_delay_alu instid0(VALU_DEP_2)
	v_and_b32_e32 v21, 7, v25
; %bb.23:                               ;   in Loop: Header=BB256_10 Depth=1
	s_wait_alu 0xfffe
	s_or_b32 exec_lo, exec_lo, s35
	v_lshlrev_b32_e32 v1, 8, v23
	v_lshl_add_u32 v23, v24, 10, 0x2000
	v_lshlrev_b32_e32 v21, 23, v21
	s_delay_alu instid0(VALU_DEP_2) | instskip(NEXT) | instid1(VALU_DEP_1)
	v_and_or_b32 v1, 0x8000, v1, v23
	v_lshl_or_b32 v21, v1, 16, v21
.LBB256_24:                             ;   in Loop: Header=BB256_10 Depth=1
	s_wait_alu 0xfffe
	s_or_b32 exec_lo, exec_lo, s34
.LBB256_25:                             ;   in Loop: Header=BB256_10 Depth=1
	s_delay_alu instid0(SALU_CYCLE_1)
	s_or_b32 exec_lo, exec_lo, s33
.LBB256_26:                             ;   in Loop: Header=BB256_10 Depth=1
	s_wait_alu 0xfffe
	s_or_b32 exec_lo, exec_lo, s5
	global_load_u16 v1, v[7:8], off offset:8
	s_wait_loadcnt 0x0
	v_dual_mov_b32 v23, 0 :: v_dual_and_b32 v24, 0xff, v1
	v_and_b32_e32 v1, 0xffff, v1
	s_delay_alu instid0(VALU_DEP_2)
	v_cmp_ne_u16_e64 s4, 0, v24
	v_mov_b32_e32 v24, 0
	s_and_saveexec_b32 s5, s4
	s_cbranch_execz .LBB256_34
; %bb.27:                               ;   in Loop: Header=BB256_10 Depth=1
	v_and_b32_e32 v24, 0xff, v1
	s_delay_alu instid0(VALU_DEP_1)
	v_cmp_ne_u16_e64 s4, 0x80, v24
	v_mov_b32_e32 v24, 0x8000
	s_and_saveexec_b32 s33, s4
	s_cbranch_execz .LBB256_33
; %bb.28:                               ;   in Loop: Header=BB256_10 Depth=1
	v_and_b32_e32 v26, 0x7f, v1
	v_mov_b32_e32 v24, 0x7c01
	s_mov_b32 s34, exec_lo
	s_delay_alu instid0(VALU_DEP_2)
	v_cmpx_ne_u32_e32 0x7f, v26
	s_cbranch_execz .LBB256_32
; %bb.29:                               ;   in Loop: Header=BB256_10 Depth=1
	v_and_b32_e32 v24, 7, v1
	v_lshrrev_b32_e32 v25, 3, v26
	s_mov_b32 s35, exec_lo
	v_cmpx_gt_u32_e32 8, v26
; %bb.30:                               ;   in Loop: Header=BB256_10 Depth=1
	s_delay_alu instid0(VALU_DEP_3) | instskip(NEXT) | instid1(VALU_DEP_1)
	v_clz_i32_u32_e32 v24, v24
	v_min_u32_e32 v26, 32, v24
	s_delay_alu instid0(VALU_DEP_1) | instskip(NEXT) | instid1(VALU_DEP_1)
	v_subrev_nc_u32_e32 v24, 28, v26
	v_lshlrev_b64_e32 v[24:25], v24, v[1:2]
	v_sub_nc_u32_e32 v25, 29, v26
	s_delay_alu instid0(VALU_DEP_2)
	v_and_b32_e32 v24, 7, v24
; %bb.31:                               ;   in Loop: Header=BB256_10 Depth=1
	s_wait_alu 0xfffe
	s_or_b32 exec_lo, exec_lo, s35
	v_lshlrev_b32_e32 v26, 8, v1
	v_lshl_add_u32 v25, v25, 10, 0x2000
	v_lshlrev_b32_e32 v24, 7, v24
	s_delay_alu instid0(VALU_DEP_3) | instskip(NEXT) | instid1(VALU_DEP_3)
	v_and_b32_e32 v26, 0x8000, v26
	v_and_b32_e32 v25, 0xfc00, v25
	s_delay_alu instid0(VALU_DEP_1)
	v_or3_b32 v24, v26, v25, v24
.LBB256_32:                             ;   in Loop: Header=BB256_10 Depth=1
	s_wait_alu 0xfffe
	s_or_b32 exec_lo, exec_lo, s34
.LBB256_33:                             ;   in Loop: Header=BB256_10 Depth=1
	s_delay_alu instid0(SALU_CYCLE_1)
	s_or_b32 exec_lo, exec_lo, s33
.LBB256_34:                             ;   in Loop: Header=BB256_10 Depth=1
	s_wait_alu 0xfffe
	s_or_b32 exec_lo, exec_lo, s5
	v_lshrrev_b16 v1, 8, v1
	s_mov_b32 s5, exec_lo
	s_delay_alu instid0(VALU_DEP_1)
	v_cmpx_ne_u16_e32 0, v1
	s_cbranch_execz .LBB256_42
; %bb.35:                               ;   in Loop: Header=BB256_10 Depth=1
	v_bfrev_b32_e32 v23, 1
	s_mov_b32 s33, exec_lo
	v_cmpx_ne_u16_e32 0x80, v1
	s_cbranch_execz .LBB256_41
; %bb.36:                               ;   in Loop: Header=BB256_10 Depth=1
	v_and_b32_e32 v25, 0xffff, v1
	v_mov_b32_e32 v23, 0x7c010000
	s_mov_b32 s34, exec_lo
	s_delay_alu instid0(VALU_DEP_2) | instskip(NEXT) | instid1(VALU_DEP_1)
	v_and_b32_e32 v27, 0x7f, v25
	v_cmpx_ne_u32_e32 0x7f, v27
	s_cbranch_execz .LBB256_40
; %bb.37:                               ;   in Loop: Header=BB256_10 Depth=1
	v_and_b32_e32 v23, 7, v25
	v_lshrrev_b32_e32 v26, 3, v27
	s_mov_b32 s35, exec_lo
	v_cmpx_gt_u32_e32 8, v27
; %bb.38:                               ;   in Loop: Header=BB256_10 Depth=1
	s_delay_alu instid0(VALU_DEP_3) | instskip(NEXT) | instid1(VALU_DEP_1)
	v_clz_i32_u32_e32 v23, v23
	v_min_u32_e32 v23, 32, v23
	s_delay_alu instid0(VALU_DEP_1) | instskip(NEXT) | instid1(VALU_DEP_1)
	v_subrev_nc_u32_e32 v26, 28, v23
	v_lshlrev_b64_e32 v[27:28], v26, v[1:2]
	v_sub_nc_u32_e32 v26, 29, v23
	s_delay_alu instid0(VALU_DEP_2)
	v_and_b32_e32 v23, 7, v27
; %bb.39:                               ;   in Loop: Header=BB256_10 Depth=1
	s_wait_alu 0xfffe
	s_or_b32 exec_lo, exec_lo, s35
	v_lshlrev_b32_e32 v1, 8, v25
	v_lshl_add_u32 v25, v26, 10, 0x2000
	v_lshlrev_b32_e32 v23, 23, v23
	s_delay_alu instid0(VALU_DEP_2) | instskip(NEXT) | instid1(VALU_DEP_1)
	v_and_or_b32 v1, 0x8000, v1, v25
	v_lshl_or_b32 v23, v1, 16, v23
.LBB256_40:                             ;   in Loop: Header=BB256_10 Depth=1
	s_wait_alu 0xfffe
	s_or_b32 exec_lo, exec_lo, s34
.LBB256_41:                             ;   in Loop: Header=BB256_10 Depth=1
	s_delay_alu instid0(SALU_CYCLE_1)
	s_or_b32 exec_lo, exec_lo, s33
.LBB256_42:                             ;   in Loop: Header=BB256_10 Depth=1
	s_wait_alu 0xfffe
	s_or_b32 exec_lo, exec_lo, s5
	global_load_u16 v1, v[7:8], off offset:128
	s_wait_loadcnt 0x0
	v_dual_mov_b32 v25, 0 :: v_dual_and_b32 v26, 0xff, v1
	v_and_b32_e32 v1, 0xffff, v1
	s_delay_alu instid0(VALU_DEP_2)
	v_cmp_ne_u16_e64 s4, 0, v26
	v_mov_b32_e32 v26, 0
	s_and_saveexec_b32 s5, s4
	s_cbranch_execz .LBB256_50
; %bb.43:                               ;   in Loop: Header=BB256_10 Depth=1
	v_and_b32_e32 v26, 0xff, v1
	s_delay_alu instid0(VALU_DEP_1)
	v_cmp_ne_u16_e64 s4, 0x80, v26
	v_mov_b32_e32 v26, 0x8000
	s_and_saveexec_b32 s33, s4
	s_cbranch_execz .LBB256_49
; %bb.44:                               ;   in Loop: Header=BB256_10 Depth=1
	v_and_b32_e32 v28, 0x7f, v1
	v_mov_b32_e32 v26, 0x7c01
	s_mov_b32 s34, exec_lo
	s_delay_alu instid0(VALU_DEP_2)
	v_cmpx_ne_u32_e32 0x7f, v28
	s_cbranch_execz .LBB256_48
; %bb.45:                               ;   in Loop: Header=BB256_10 Depth=1
	v_and_b32_e32 v26, 7, v1
	v_lshrrev_b32_e32 v27, 3, v28
	s_mov_b32 s35, exec_lo
	v_cmpx_gt_u32_e32 8, v28
; %bb.46:                               ;   in Loop: Header=BB256_10 Depth=1
	s_delay_alu instid0(VALU_DEP_3) | instskip(NEXT) | instid1(VALU_DEP_1)
	v_clz_i32_u32_e32 v26, v26
	v_min_u32_e32 v28, 32, v26
	s_delay_alu instid0(VALU_DEP_1) | instskip(NEXT) | instid1(VALU_DEP_1)
	v_subrev_nc_u32_e32 v26, 28, v28
	v_lshlrev_b64_e32 v[26:27], v26, v[1:2]
	v_sub_nc_u32_e32 v27, 29, v28
	s_delay_alu instid0(VALU_DEP_2)
	v_and_b32_e32 v26, 7, v26
; %bb.47:                               ;   in Loop: Header=BB256_10 Depth=1
	s_wait_alu 0xfffe
	s_or_b32 exec_lo, exec_lo, s35
	v_lshlrev_b32_e32 v28, 8, v1
	v_lshl_add_u32 v27, v27, 10, 0x2000
	v_lshlrev_b32_e32 v26, 7, v26
	s_delay_alu instid0(VALU_DEP_3) | instskip(NEXT) | instid1(VALU_DEP_3)
	v_and_b32_e32 v28, 0x8000, v28
	v_and_b32_e32 v27, 0xfc00, v27
	s_delay_alu instid0(VALU_DEP_1)
	v_or3_b32 v26, v28, v27, v26
.LBB256_48:                             ;   in Loop: Header=BB256_10 Depth=1
	s_wait_alu 0xfffe
	s_or_b32 exec_lo, exec_lo, s34
.LBB256_49:                             ;   in Loop: Header=BB256_10 Depth=1
	s_delay_alu instid0(SALU_CYCLE_1)
	s_or_b32 exec_lo, exec_lo, s33
.LBB256_50:                             ;   in Loop: Header=BB256_10 Depth=1
	s_wait_alu 0xfffe
	s_or_b32 exec_lo, exec_lo, s5
	v_lshrrev_b16 v1, 8, v1
	s_mov_b32 s5, exec_lo
	s_delay_alu instid0(VALU_DEP_1)
	v_cmpx_ne_u16_e32 0, v1
	s_cbranch_execz .LBB256_58
; %bb.51:                               ;   in Loop: Header=BB256_10 Depth=1
	v_bfrev_b32_e32 v25, 1
	s_mov_b32 s33, exec_lo
	v_cmpx_ne_u16_e32 0x80, v1
	s_cbranch_execz .LBB256_57
; %bb.52:                               ;   in Loop: Header=BB256_10 Depth=1
	v_and_b32_e32 v27, 0xffff, v1
	v_mov_b32_e32 v25, 0x7c010000
	s_mov_b32 s34, exec_lo
	s_delay_alu instid0(VALU_DEP_2) | instskip(NEXT) | instid1(VALU_DEP_1)
	v_and_b32_e32 v29, 0x7f, v27
	v_cmpx_ne_u32_e32 0x7f, v29
	s_cbranch_execz .LBB256_56
; %bb.53:                               ;   in Loop: Header=BB256_10 Depth=1
	v_and_b32_e32 v25, 7, v27
	v_lshrrev_b32_e32 v28, 3, v29
	s_mov_b32 s35, exec_lo
	v_cmpx_gt_u32_e32 8, v29
; %bb.54:                               ;   in Loop: Header=BB256_10 Depth=1
	s_delay_alu instid0(VALU_DEP_3) | instskip(NEXT) | instid1(VALU_DEP_1)
	v_clz_i32_u32_e32 v25, v25
	v_min_u32_e32 v25, 32, v25
	s_delay_alu instid0(VALU_DEP_1) | instskip(NEXT) | instid1(VALU_DEP_1)
	v_subrev_nc_u32_e32 v28, 28, v25
	v_lshlrev_b64_e32 v[29:30], v28, v[1:2]
	v_sub_nc_u32_e32 v28, 29, v25
	s_delay_alu instid0(VALU_DEP_2)
	v_and_b32_e32 v25, 7, v29
; %bb.55:                               ;   in Loop: Header=BB256_10 Depth=1
	s_wait_alu 0xfffe
	s_or_b32 exec_lo, exec_lo, s35
	v_lshlrev_b32_e32 v1, 8, v27
	v_lshl_add_u32 v27, v28, 10, 0x2000
	v_lshlrev_b32_e32 v25, 23, v25
	s_delay_alu instid0(VALU_DEP_2) | instskip(NEXT) | instid1(VALU_DEP_1)
	v_and_or_b32 v1, 0x8000, v1, v27
	v_lshl_or_b32 v25, v1, 16, v25
.LBB256_56:                             ;   in Loop: Header=BB256_10 Depth=1
	s_wait_alu 0xfffe
	s_or_b32 exec_lo, exec_lo, s34
.LBB256_57:                             ;   in Loop: Header=BB256_10 Depth=1
	s_delay_alu instid0(SALU_CYCLE_1)
	s_or_b32 exec_lo, exec_lo, s33
.LBB256_58:                             ;   in Loop: Header=BB256_10 Depth=1
	s_wait_alu 0xfffe
	s_or_b32 exec_lo, exec_lo, s5
	global_load_u16 v1, v[7:8], off offset:136
	s_wait_loadcnt 0x0
	v_dual_mov_b32 v27, 0 :: v_dual_and_b32 v28, 0xff, v1
	v_and_b32_e32 v1, 0xffff, v1
	s_delay_alu instid0(VALU_DEP_2)
	v_cmp_ne_u16_e64 s4, 0, v28
	v_mov_b32_e32 v28, 0
	s_and_saveexec_b32 s5, s4
	s_cbranch_execz .LBB256_66
; %bb.59:                               ;   in Loop: Header=BB256_10 Depth=1
	v_and_b32_e32 v28, 0xff, v1
	s_delay_alu instid0(VALU_DEP_1)
	v_cmp_ne_u16_e64 s4, 0x80, v28
	v_mov_b32_e32 v28, 0x8000
	s_and_saveexec_b32 s33, s4
	s_cbranch_execz .LBB256_65
; %bb.60:                               ;   in Loop: Header=BB256_10 Depth=1
	v_and_b32_e32 v30, 0x7f, v1
	v_mov_b32_e32 v28, 0x7c01
	s_mov_b32 s34, exec_lo
	s_delay_alu instid0(VALU_DEP_2)
	v_cmpx_ne_u32_e32 0x7f, v30
	s_cbranch_execz .LBB256_64
; %bb.61:                               ;   in Loop: Header=BB256_10 Depth=1
	v_and_b32_e32 v28, 7, v1
	v_lshrrev_b32_e32 v29, 3, v30
	s_mov_b32 s35, exec_lo
	v_cmpx_gt_u32_e32 8, v30
; %bb.62:                               ;   in Loop: Header=BB256_10 Depth=1
	s_delay_alu instid0(VALU_DEP_3) | instskip(NEXT) | instid1(VALU_DEP_1)
	v_clz_i32_u32_e32 v28, v28
	v_min_u32_e32 v30, 32, v28
	s_delay_alu instid0(VALU_DEP_1) | instskip(NEXT) | instid1(VALU_DEP_1)
	v_subrev_nc_u32_e32 v28, 28, v30
	v_lshlrev_b64_e32 v[28:29], v28, v[1:2]
	v_sub_nc_u32_e32 v29, 29, v30
	s_delay_alu instid0(VALU_DEP_2)
	v_and_b32_e32 v28, 7, v28
; %bb.63:                               ;   in Loop: Header=BB256_10 Depth=1
	s_wait_alu 0xfffe
	s_or_b32 exec_lo, exec_lo, s35
	v_lshlrev_b32_e32 v30, 8, v1
	v_lshl_add_u32 v29, v29, 10, 0x2000
	v_lshlrev_b32_e32 v28, 7, v28
	s_delay_alu instid0(VALU_DEP_3) | instskip(NEXT) | instid1(VALU_DEP_3)
	v_and_b32_e32 v30, 0x8000, v30
	v_and_b32_e32 v29, 0xfc00, v29
	s_delay_alu instid0(VALU_DEP_1)
	v_or3_b32 v28, v30, v29, v28
.LBB256_64:                             ;   in Loop: Header=BB256_10 Depth=1
	s_wait_alu 0xfffe
	s_or_b32 exec_lo, exec_lo, s34
.LBB256_65:                             ;   in Loop: Header=BB256_10 Depth=1
	s_delay_alu instid0(SALU_CYCLE_1)
	s_or_b32 exec_lo, exec_lo, s33
.LBB256_66:                             ;   in Loop: Header=BB256_10 Depth=1
	s_wait_alu 0xfffe
	s_or_b32 exec_lo, exec_lo, s5
	v_lshrrev_b16 v1, 8, v1
	s_mov_b32 s5, exec_lo
	s_delay_alu instid0(VALU_DEP_1)
	v_cmpx_ne_u16_e32 0, v1
	s_cbranch_execz .LBB256_74
; %bb.67:                               ;   in Loop: Header=BB256_10 Depth=1
	v_bfrev_b32_e32 v27, 1
	s_mov_b32 s33, exec_lo
	v_cmpx_ne_u16_e32 0x80, v1
	s_cbranch_execz .LBB256_73
; %bb.68:                               ;   in Loop: Header=BB256_10 Depth=1
	v_and_b32_e32 v29, 0xffff, v1
	v_mov_b32_e32 v27, 0x7c010000
	s_mov_b32 s34, exec_lo
	s_delay_alu instid0(VALU_DEP_2) | instskip(NEXT) | instid1(VALU_DEP_1)
	v_and_b32_e32 v31, 0x7f, v29
	v_cmpx_ne_u32_e32 0x7f, v31
	s_cbranch_execz .LBB256_72
; %bb.69:                               ;   in Loop: Header=BB256_10 Depth=1
	v_and_b32_e32 v27, 7, v29
	v_lshrrev_b32_e32 v30, 3, v31
	s_mov_b32 s35, exec_lo
	v_cmpx_gt_u32_e32 8, v31
; %bb.70:                               ;   in Loop: Header=BB256_10 Depth=1
	s_delay_alu instid0(VALU_DEP_3) | instskip(NEXT) | instid1(VALU_DEP_1)
	v_clz_i32_u32_e32 v27, v27
	v_min_u32_e32 v27, 32, v27
	s_delay_alu instid0(VALU_DEP_1) | instskip(NEXT) | instid1(VALU_DEP_1)
	v_subrev_nc_u32_e32 v30, 28, v27
	v_lshlrev_b64_e32 v[31:32], v30, v[1:2]
	v_sub_nc_u32_e32 v30, 29, v27
	s_delay_alu instid0(VALU_DEP_2)
	v_and_b32_e32 v27, 7, v31
; %bb.71:                               ;   in Loop: Header=BB256_10 Depth=1
	s_wait_alu 0xfffe
	s_or_b32 exec_lo, exec_lo, s35
	v_lshlrev_b32_e32 v1, 8, v29
	v_lshl_add_u32 v29, v30, 10, 0x2000
	v_lshlrev_b32_e32 v27, 23, v27
	s_delay_alu instid0(VALU_DEP_2) | instskip(NEXT) | instid1(VALU_DEP_1)
	v_and_or_b32 v1, 0x8000, v1, v29
	v_lshl_or_b32 v27, v1, 16, v27
.LBB256_72:                             ;   in Loop: Header=BB256_10 Depth=1
	s_wait_alu 0xfffe
	s_or_b32 exec_lo, exec_lo, s34
.LBB256_73:                             ;   in Loop: Header=BB256_10 Depth=1
	s_delay_alu instid0(SALU_CYCLE_1)
	s_or_b32 exec_lo, exec_lo, s33
.LBB256_74:                             ;   in Loop: Header=BB256_10 Depth=1
	s_wait_alu 0xfffe
	s_or_b32 exec_lo, exec_lo, s5
	global_load_u16 v1, v[7:8], off offset:256
	s_wait_loadcnt 0x0
	v_dual_mov_b32 v29, 0 :: v_dual_and_b32 v30, 0xff, v1
	v_and_b32_e32 v1, 0xffff, v1
	s_delay_alu instid0(VALU_DEP_2)
	v_cmp_ne_u16_e64 s4, 0, v30
	v_mov_b32_e32 v30, 0
	s_and_saveexec_b32 s5, s4
	s_cbranch_execz .LBB256_82
; %bb.75:                               ;   in Loop: Header=BB256_10 Depth=1
	v_and_b32_e32 v30, 0xff, v1
	s_delay_alu instid0(VALU_DEP_1)
	v_cmp_ne_u16_e64 s4, 0x80, v30
	v_mov_b32_e32 v30, 0x8000
	s_and_saveexec_b32 s33, s4
	s_cbranch_execz .LBB256_81
; %bb.76:                               ;   in Loop: Header=BB256_10 Depth=1
	v_and_b32_e32 v32, 0x7f, v1
	v_mov_b32_e32 v30, 0x7c01
	s_mov_b32 s34, exec_lo
	s_delay_alu instid0(VALU_DEP_2)
	v_cmpx_ne_u32_e32 0x7f, v32
	s_cbranch_execz .LBB256_80
; %bb.77:                               ;   in Loop: Header=BB256_10 Depth=1
	v_and_b32_e32 v30, 7, v1
	v_lshrrev_b32_e32 v31, 3, v32
	s_mov_b32 s35, exec_lo
	v_cmpx_gt_u32_e32 8, v32
; %bb.78:                               ;   in Loop: Header=BB256_10 Depth=1
	s_delay_alu instid0(VALU_DEP_3) | instskip(NEXT) | instid1(VALU_DEP_1)
	v_clz_i32_u32_e32 v30, v30
	v_min_u32_e32 v32, 32, v30
	s_delay_alu instid0(VALU_DEP_1) | instskip(NEXT) | instid1(VALU_DEP_1)
	v_subrev_nc_u32_e32 v30, 28, v32
	v_lshlrev_b64_e32 v[30:31], v30, v[1:2]
	v_sub_nc_u32_e32 v31, 29, v32
	s_delay_alu instid0(VALU_DEP_2)
	v_and_b32_e32 v30, 7, v30
; %bb.79:                               ;   in Loop: Header=BB256_10 Depth=1
	s_wait_alu 0xfffe
	s_or_b32 exec_lo, exec_lo, s35
	v_lshlrev_b32_e32 v32, 8, v1
	v_lshl_add_u32 v31, v31, 10, 0x2000
	v_lshlrev_b32_e32 v30, 7, v30
	s_delay_alu instid0(VALU_DEP_3) | instskip(NEXT) | instid1(VALU_DEP_3)
	v_and_b32_e32 v32, 0x8000, v32
	v_and_b32_e32 v31, 0xfc00, v31
	s_delay_alu instid0(VALU_DEP_1)
	v_or3_b32 v30, v32, v31, v30
.LBB256_80:                             ;   in Loop: Header=BB256_10 Depth=1
	s_wait_alu 0xfffe
	s_or_b32 exec_lo, exec_lo, s34
.LBB256_81:                             ;   in Loop: Header=BB256_10 Depth=1
	s_delay_alu instid0(SALU_CYCLE_1)
	s_or_b32 exec_lo, exec_lo, s33
.LBB256_82:                             ;   in Loop: Header=BB256_10 Depth=1
	s_wait_alu 0xfffe
	s_or_b32 exec_lo, exec_lo, s5
	v_lshrrev_b16 v1, 8, v1
	s_mov_b32 s5, exec_lo
	s_delay_alu instid0(VALU_DEP_1)
	v_cmpx_ne_u16_e32 0, v1
	s_cbranch_execz .LBB256_90
; %bb.83:                               ;   in Loop: Header=BB256_10 Depth=1
	v_bfrev_b32_e32 v29, 1
	s_mov_b32 s33, exec_lo
	v_cmpx_ne_u16_e32 0x80, v1
	s_cbranch_execz .LBB256_89
; %bb.84:                               ;   in Loop: Header=BB256_10 Depth=1
	v_and_b32_e32 v31, 0xffff, v1
	v_mov_b32_e32 v29, 0x7c010000
	s_mov_b32 s34, exec_lo
	s_delay_alu instid0(VALU_DEP_2) | instskip(NEXT) | instid1(VALU_DEP_1)
	v_and_b32_e32 v33, 0x7f, v31
	v_cmpx_ne_u32_e32 0x7f, v33
	s_cbranch_execz .LBB256_88
; %bb.85:                               ;   in Loop: Header=BB256_10 Depth=1
	v_and_b32_e32 v29, 7, v31
	v_lshrrev_b32_e32 v32, 3, v33
	s_mov_b32 s35, exec_lo
	v_cmpx_gt_u32_e32 8, v33
; %bb.86:                               ;   in Loop: Header=BB256_10 Depth=1
	s_delay_alu instid0(VALU_DEP_3) | instskip(NEXT) | instid1(VALU_DEP_1)
	v_clz_i32_u32_e32 v29, v29
	v_min_u32_e32 v29, 32, v29
	s_delay_alu instid0(VALU_DEP_1) | instskip(NEXT) | instid1(VALU_DEP_1)
	v_subrev_nc_u32_e32 v32, 28, v29
	v_lshlrev_b64_e32 v[33:34], v32, v[1:2]
	v_sub_nc_u32_e32 v32, 29, v29
	s_delay_alu instid0(VALU_DEP_2)
	v_and_b32_e32 v29, 7, v33
; %bb.87:                               ;   in Loop: Header=BB256_10 Depth=1
	s_wait_alu 0xfffe
	s_or_b32 exec_lo, exec_lo, s35
	v_lshlrev_b32_e32 v1, 8, v31
	v_lshl_add_u32 v31, v32, 10, 0x2000
	v_lshlrev_b32_e32 v29, 23, v29
	s_delay_alu instid0(VALU_DEP_2) | instskip(NEXT) | instid1(VALU_DEP_1)
	v_and_or_b32 v1, 0x8000, v1, v31
	v_lshl_or_b32 v29, v1, 16, v29
.LBB256_88:                             ;   in Loop: Header=BB256_10 Depth=1
	s_wait_alu 0xfffe
	s_or_b32 exec_lo, exec_lo, s34
.LBB256_89:                             ;   in Loop: Header=BB256_10 Depth=1
	s_delay_alu instid0(SALU_CYCLE_1)
	s_or_b32 exec_lo, exec_lo, s33
.LBB256_90:                             ;   in Loop: Header=BB256_10 Depth=1
	s_wait_alu 0xfffe
	s_or_b32 exec_lo, exec_lo, s5
	global_load_u16 v1, v[7:8], off offset:264
	s_wait_loadcnt 0x0
	v_dual_mov_b32 v31, 0 :: v_dual_and_b32 v32, 0xff, v1
	v_and_b32_e32 v1, 0xffff, v1
	s_delay_alu instid0(VALU_DEP_2)
	v_cmp_ne_u16_e64 s4, 0, v32
	v_mov_b32_e32 v32, 0
	s_and_saveexec_b32 s5, s4
	s_cbranch_execz .LBB256_98
; %bb.91:                               ;   in Loop: Header=BB256_10 Depth=1
	v_and_b32_e32 v32, 0xff, v1
	s_delay_alu instid0(VALU_DEP_1)
	v_cmp_ne_u16_e64 s4, 0x80, v32
	v_mov_b32_e32 v32, 0x8000
	s_and_saveexec_b32 s33, s4
	s_cbranch_execz .LBB256_97
; %bb.92:                               ;   in Loop: Header=BB256_10 Depth=1
	v_and_b32_e32 v34, 0x7f, v1
	v_mov_b32_e32 v32, 0x7c01
	s_mov_b32 s34, exec_lo
	s_delay_alu instid0(VALU_DEP_2)
	v_cmpx_ne_u32_e32 0x7f, v34
	s_cbranch_execz .LBB256_96
; %bb.93:                               ;   in Loop: Header=BB256_10 Depth=1
	v_and_b32_e32 v32, 7, v1
	v_lshrrev_b32_e32 v33, 3, v34
	s_mov_b32 s35, exec_lo
	v_cmpx_gt_u32_e32 8, v34
; %bb.94:                               ;   in Loop: Header=BB256_10 Depth=1
	s_delay_alu instid0(VALU_DEP_3) | instskip(NEXT) | instid1(VALU_DEP_1)
	v_clz_i32_u32_e32 v32, v32
	v_min_u32_e32 v34, 32, v32
	s_delay_alu instid0(VALU_DEP_1) | instskip(NEXT) | instid1(VALU_DEP_1)
	v_subrev_nc_u32_e32 v32, 28, v34
	v_lshlrev_b64_e32 v[32:33], v32, v[1:2]
	v_sub_nc_u32_e32 v33, 29, v34
	s_delay_alu instid0(VALU_DEP_2)
	v_and_b32_e32 v32, 7, v32
; %bb.95:                               ;   in Loop: Header=BB256_10 Depth=1
	s_wait_alu 0xfffe
	s_or_b32 exec_lo, exec_lo, s35
	v_lshlrev_b32_e32 v34, 8, v1
	v_lshl_add_u32 v33, v33, 10, 0x2000
	v_lshlrev_b32_e32 v32, 7, v32
	s_delay_alu instid0(VALU_DEP_3) | instskip(NEXT) | instid1(VALU_DEP_3)
	v_and_b32_e32 v34, 0x8000, v34
	v_and_b32_e32 v33, 0xfc00, v33
	s_delay_alu instid0(VALU_DEP_1)
	v_or3_b32 v32, v34, v33, v32
.LBB256_96:                             ;   in Loop: Header=BB256_10 Depth=1
	s_wait_alu 0xfffe
	s_or_b32 exec_lo, exec_lo, s34
.LBB256_97:                             ;   in Loop: Header=BB256_10 Depth=1
	s_delay_alu instid0(SALU_CYCLE_1)
	s_or_b32 exec_lo, exec_lo, s33
.LBB256_98:                             ;   in Loop: Header=BB256_10 Depth=1
	s_wait_alu 0xfffe
	s_or_b32 exec_lo, exec_lo, s5
	v_lshrrev_b16 v1, 8, v1
	s_mov_b32 s5, exec_lo
	s_delay_alu instid0(VALU_DEP_1)
	v_cmpx_ne_u16_e32 0, v1
	s_cbranch_execz .LBB256_106
; %bb.99:                               ;   in Loop: Header=BB256_10 Depth=1
	v_bfrev_b32_e32 v31, 1
	s_mov_b32 s33, exec_lo
	v_cmpx_ne_u16_e32 0x80, v1
	s_cbranch_execz .LBB256_105
; %bb.100:                              ;   in Loop: Header=BB256_10 Depth=1
	v_and_b32_e32 v33, 0xffff, v1
	v_mov_b32_e32 v31, 0x7c010000
	s_mov_b32 s34, exec_lo
	s_delay_alu instid0(VALU_DEP_2) | instskip(NEXT) | instid1(VALU_DEP_1)
	v_and_b32_e32 v35, 0x7f, v33
	v_cmpx_ne_u32_e32 0x7f, v35
	s_cbranch_execz .LBB256_104
; %bb.101:                              ;   in Loop: Header=BB256_10 Depth=1
	v_and_b32_e32 v31, 7, v33
	v_lshrrev_b32_e32 v34, 3, v35
	s_mov_b32 s35, exec_lo
	v_cmpx_gt_u32_e32 8, v35
; %bb.102:                              ;   in Loop: Header=BB256_10 Depth=1
	s_delay_alu instid0(VALU_DEP_3) | instskip(NEXT) | instid1(VALU_DEP_1)
	v_clz_i32_u32_e32 v31, v31
	v_min_u32_e32 v31, 32, v31
	s_delay_alu instid0(VALU_DEP_1) | instskip(NEXT) | instid1(VALU_DEP_1)
	v_subrev_nc_u32_e32 v34, 28, v31
	v_lshlrev_b64_e32 v[35:36], v34, v[1:2]
	v_sub_nc_u32_e32 v34, 29, v31
	s_delay_alu instid0(VALU_DEP_2)
	v_and_b32_e32 v31, 7, v35
; %bb.103:                              ;   in Loop: Header=BB256_10 Depth=1
	s_wait_alu 0xfffe
	s_or_b32 exec_lo, exec_lo, s35
	v_lshlrev_b32_e32 v1, 8, v33
	v_lshl_add_u32 v33, v34, 10, 0x2000
	v_lshlrev_b32_e32 v31, 23, v31
	s_delay_alu instid0(VALU_DEP_2) | instskip(NEXT) | instid1(VALU_DEP_1)
	v_and_or_b32 v1, 0x8000, v1, v33
	v_lshl_or_b32 v31, v1, 16, v31
.LBB256_104:                            ;   in Loop: Header=BB256_10 Depth=1
	s_wait_alu 0xfffe
	s_or_b32 exec_lo, exec_lo, s34
.LBB256_105:                            ;   in Loop: Header=BB256_10 Depth=1
	s_delay_alu instid0(SALU_CYCLE_1)
	s_or_b32 exec_lo, exec_lo, s33
.LBB256_106:                            ;   in Loop: Header=BB256_10 Depth=1
	s_wait_alu 0xfffe
	s_or_b32 exec_lo, exec_lo, s5
	global_load_u16 v1, v[7:8], off offset:384
	s_wait_loadcnt 0x0
	v_dual_mov_b32 v33, 0 :: v_dual_and_b32 v34, 0xff, v1
	v_and_b32_e32 v1, 0xffff, v1
	s_delay_alu instid0(VALU_DEP_2)
	v_cmp_ne_u16_e64 s4, 0, v34
	v_mov_b32_e32 v34, 0
	s_and_saveexec_b32 s5, s4
	s_cbranch_execz .LBB256_114
; %bb.107:                              ;   in Loop: Header=BB256_10 Depth=1
	v_and_b32_e32 v34, 0xff, v1
	s_delay_alu instid0(VALU_DEP_1)
	v_cmp_ne_u16_e64 s4, 0x80, v34
	v_mov_b32_e32 v34, 0x8000
	s_and_saveexec_b32 s33, s4
	s_cbranch_execz .LBB256_113
; %bb.108:                              ;   in Loop: Header=BB256_10 Depth=1
	v_and_b32_e32 v36, 0x7f, v1
	v_mov_b32_e32 v34, 0x7c01
	s_mov_b32 s34, exec_lo
	s_delay_alu instid0(VALU_DEP_2)
	v_cmpx_ne_u32_e32 0x7f, v36
	s_cbranch_execz .LBB256_112
; %bb.109:                              ;   in Loop: Header=BB256_10 Depth=1
	v_and_b32_e32 v34, 7, v1
	v_lshrrev_b32_e32 v35, 3, v36
	s_mov_b32 s35, exec_lo
	v_cmpx_gt_u32_e32 8, v36
; %bb.110:                              ;   in Loop: Header=BB256_10 Depth=1
	s_delay_alu instid0(VALU_DEP_3) | instskip(NEXT) | instid1(VALU_DEP_1)
	v_clz_i32_u32_e32 v34, v34
	v_min_u32_e32 v36, 32, v34
	s_delay_alu instid0(VALU_DEP_1) | instskip(NEXT) | instid1(VALU_DEP_1)
	v_subrev_nc_u32_e32 v34, 28, v36
	v_lshlrev_b64_e32 v[34:35], v34, v[1:2]
	v_sub_nc_u32_e32 v35, 29, v36
	s_delay_alu instid0(VALU_DEP_2)
	v_and_b32_e32 v34, 7, v34
; %bb.111:                              ;   in Loop: Header=BB256_10 Depth=1
	s_wait_alu 0xfffe
	s_or_b32 exec_lo, exec_lo, s35
	v_lshlrev_b32_e32 v36, 8, v1
	v_lshl_add_u32 v35, v35, 10, 0x2000
	v_lshlrev_b32_e32 v34, 7, v34
	s_delay_alu instid0(VALU_DEP_3) | instskip(NEXT) | instid1(VALU_DEP_3)
	v_and_b32_e32 v36, 0x8000, v36
	v_and_b32_e32 v35, 0xfc00, v35
	s_delay_alu instid0(VALU_DEP_1)
	v_or3_b32 v34, v36, v35, v34
.LBB256_112:                            ;   in Loop: Header=BB256_10 Depth=1
	s_wait_alu 0xfffe
	s_or_b32 exec_lo, exec_lo, s34
.LBB256_113:                            ;   in Loop: Header=BB256_10 Depth=1
	s_delay_alu instid0(SALU_CYCLE_1)
	s_or_b32 exec_lo, exec_lo, s33
.LBB256_114:                            ;   in Loop: Header=BB256_10 Depth=1
	s_wait_alu 0xfffe
	s_or_b32 exec_lo, exec_lo, s5
	v_lshrrev_b16 v1, 8, v1
	s_mov_b32 s5, exec_lo
	s_delay_alu instid0(VALU_DEP_1)
	v_cmpx_ne_u16_e32 0, v1
	s_cbranch_execz .LBB256_122
; %bb.115:                              ;   in Loop: Header=BB256_10 Depth=1
	v_bfrev_b32_e32 v33, 1
	s_mov_b32 s33, exec_lo
	v_cmpx_ne_u16_e32 0x80, v1
	s_cbranch_execz .LBB256_121
; %bb.116:                              ;   in Loop: Header=BB256_10 Depth=1
	v_and_b32_e32 v35, 0xffff, v1
	v_mov_b32_e32 v33, 0x7c010000
	s_mov_b32 s34, exec_lo
	s_delay_alu instid0(VALU_DEP_2) | instskip(NEXT) | instid1(VALU_DEP_1)
	v_and_b32_e32 v37, 0x7f, v35
	v_cmpx_ne_u32_e32 0x7f, v37
	s_cbranch_execz .LBB256_120
; %bb.117:                              ;   in Loop: Header=BB256_10 Depth=1
	v_and_b32_e32 v33, 7, v35
	v_lshrrev_b32_e32 v36, 3, v37
	s_mov_b32 s35, exec_lo
	v_cmpx_gt_u32_e32 8, v37
; %bb.118:                              ;   in Loop: Header=BB256_10 Depth=1
	s_delay_alu instid0(VALU_DEP_3) | instskip(NEXT) | instid1(VALU_DEP_1)
	v_clz_i32_u32_e32 v33, v33
	v_min_u32_e32 v33, 32, v33
	s_delay_alu instid0(VALU_DEP_1) | instskip(NEXT) | instid1(VALU_DEP_1)
	v_subrev_nc_u32_e32 v36, 28, v33
	v_lshlrev_b64_e32 v[37:38], v36, v[1:2]
	v_sub_nc_u32_e32 v36, 29, v33
	s_delay_alu instid0(VALU_DEP_2)
	v_and_b32_e32 v33, 7, v37
; %bb.119:                              ;   in Loop: Header=BB256_10 Depth=1
	s_wait_alu 0xfffe
	s_or_b32 exec_lo, exec_lo, s35
	v_lshlrev_b32_e32 v1, 8, v35
	v_lshl_add_u32 v35, v36, 10, 0x2000
	v_lshlrev_b32_e32 v33, 23, v33
	s_delay_alu instid0(VALU_DEP_2) | instskip(NEXT) | instid1(VALU_DEP_1)
	v_and_or_b32 v1, 0x8000, v1, v35
	v_lshl_or_b32 v33, v1, 16, v33
.LBB256_120:                            ;   in Loop: Header=BB256_10 Depth=1
	s_wait_alu 0xfffe
	s_or_b32 exec_lo, exec_lo, s34
.LBB256_121:                            ;   in Loop: Header=BB256_10 Depth=1
	s_delay_alu instid0(SALU_CYCLE_1)
	s_or_b32 exec_lo, exec_lo, s33
.LBB256_122:                            ;   in Loop: Header=BB256_10 Depth=1
	s_wait_alu 0xfffe
	s_or_b32 exec_lo, exec_lo, s5
	global_load_u16 v1, v[7:8], off offset:392
	s_wait_loadcnt 0x0
	v_dual_mov_b32 v35, 0 :: v_dual_and_b32 v36, 0xff, v1
	v_and_b32_e32 v1, 0xffff, v1
	s_delay_alu instid0(VALU_DEP_2)
	v_cmp_ne_u16_e64 s4, 0, v36
	v_mov_b32_e32 v36, 0
	s_and_saveexec_b32 s5, s4
	s_cbranch_execz .LBB256_130
; %bb.123:                              ;   in Loop: Header=BB256_10 Depth=1
	v_and_b32_e32 v36, 0xff, v1
	s_delay_alu instid0(VALU_DEP_1)
	v_cmp_ne_u16_e64 s4, 0x80, v36
	v_mov_b32_e32 v36, 0x8000
	s_and_saveexec_b32 s33, s4
	s_cbranch_execz .LBB256_129
; %bb.124:                              ;   in Loop: Header=BB256_10 Depth=1
	v_and_b32_e32 v38, 0x7f, v1
	v_mov_b32_e32 v36, 0x7c01
	s_mov_b32 s34, exec_lo
	s_delay_alu instid0(VALU_DEP_2)
	v_cmpx_ne_u32_e32 0x7f, v38
	s_cbranch_execz .LBB256_128
; %bb.125:                              ;   in Loop: Header=BB256_10 Depth=1
	v_and_b32_e32 v36, 7, v1
	v_lshrrev_b32_e32 v37, 3, v38
	s_mov_b32 s35, exec_lo
	v_cmpx_gt_u32_e32 8, v38
; %bb.126:                              ;   in Loop: Header=BB256_10 Depth=1
	s_delay_alu instid0(VALU_DEP_3) | instskip(NEXT) | instid1(VALU_DEP_1)
	v_clz_i32_u32_e32 v36, v36
	v_min_u32_e32 v38, 32, v36
	s_delay_alu instid0(VALU_DEP_1) | instskip(NEXT) | instid1(VALU_DEP_1)
	v_subrev_nc_u32_e32 v36, 28, v38
	v_lshlrev_b64_e32 v[36:37], v36, v[1:2]
	v_sub_nc_u32_e32 v37, 29, v38
	s_delay_alu instid0(VALU_DEP_2)
	v_and_b32_e32 v36, 7, v36
; %bb.127:                              ;   in Loop: Header=BB256_10 Depth=1
	s_wait_alu 0xfffe
	s_or_b32 exec_lo, exec_lo, s35
	v_lshlrev_b32_e32 v38, 8, v1
	v_lshl_add_u32 v37, v37, 10, 0x2000
	v_lshlrev_b32_e32 v36, 7, v36
	s_delay_alu instid0(VALU_DEP_3) | instskip(NEXT) | instid1(VALU_DEP_3)
	v_and_b32_e32 v38, 0x8000, v38
	v_and_b32_e32 v37, 0xfc00, v37
	s_delay_alu instid0(VALU_DEP_1)
	v_or3_b32 v36, v38, v37, v36
.LBB256_128:                            ;   in Loop: Header=BB256_10 Depth=1
	s_wait_alu 0xfffe
	s_or_b32 exec_lo, exec_lo, s34
.LBB256_129:                            ;   in Loop: Header=BB256_10 Depth=1
	s_delay_alu instid0(SALU_CYCLE_1)
	s_or_b32 exec_lo, exec_lo, s33
.LBB256_130:                            ;   in Loop: Header=BB256_10 Depth=1
	s_wait_alu 0xfffe
	s_or_b32 exec_lo, exec_lo, s5
	v_lshrrev_b16 v1, 8, v1
	s_mov_b32 s5, exec_lo
	s_delay_alu instid0(VALU_DEP_1)
	v_cmpx_ne_u16_e32 0, v1
	s_cbranch_execz .LBB256_138
; %bb.131:                              ;   in Loop: Header=BB256_10 Depth=1
	v_bfrev_b32_e32 v35, 1
	s_mov_b32 s33, exec_lo
	v_cmpx_ne_u16_e32 0x80, v1
	s_cbranch_execz .LBB256_137
; %bb.132:                              ;   in Loop: Header=BB256_10 Depth=1
	v_and_b32_e32 v37, 0xffff, v1
	v_mov_b32_e32 v35, 0x7c010000
	s_mov_b32 s34, exec_lo
	s_delay_alu instid0(VALU_DEP_2) | instskip(NEXT) | instid1(VALU_DEP_1)
	v_and_b32_e32 v39, 0x7f, v37
	v_cmpx_ne_u32_e32 0x7f, v39
	s_cbranch_execz .LBB256_136
; %bb.133:                              ;   in Loop: Header=BB256_10 Depth=1
	v_and_b32_e32 v35, 7, v37
	v_lshrrev_b32_e32 v38, 3, v39
	s_mov_b32 s35, exec_lo
	v_cmpx_gt_u32_e32 8, v39
; %bb.134:                              ;   in Loop: Header=BB256_10 Depth=1
	s_delay_alu instid0(VALU_DEP_3) | instskip(NEXT) | instid1(VALU_DEP_1)
	v_clz_i32_u32_e32 v35, v35
	v_min_u32_e32 v35, 32, v35
	s_delay_alu instid0(VALU_DEP_1) | instskip(NEXT) | instid1(VALU_DEP_1)
	v_subrev_nc_u32_e32 v38, 28, v35
	v_lshlrev_b64_e32 v[39:40], v38, v[1:2]
	v_sub_nc_u32_e32 v38, 29, v35
	s_delay_alu instid0(VALU_DEP_2)
	v_and_b32_e32 v35, 7, v39
; %bb.135:                              ;   in Loop: Header=BB256_10 Depth=1
	s_wait_alu 0xfffe
	s_or_b32 exec_lo, exec_lo, s35
	v_lshlrev_b32_e32 v1, 8, v37
	v_lshl_add_u32 v37, v38, 10, 0x2000
	v_lshlrev_b32_e32 v35, 23, v35
	s_delay_alu instid0(VALU_DEP_2) | instskip(NEXT) | instid1(VALU_DEP_1)
	v_and_or_b32 v1, 0x8000, v1, v37
	v_lshl_or_b32 v35, v1, 16, v35
.LBB256_136:                            ;   in Loop: Header=BB256_10 Depth=1
	s_wait_alu 0xfffe
	s_or_b32 exec_lo, exec_lo, s34
.LBB256_137:                            ;   in Loop: Header=BB256_10 Depth=1
	s_delay_alu instid0(SALU_CYCLE_1)
	s_or_b32 exec_lo, exec_lo, s33
.LBB256_138:                            ;   in Loop: Header=BB256_10 Depth=1
	s_wait_alu 0xfffe
	s_or_b32 exec_lo, exec_lo, s5
	global_load_u16 v1, v[7:8], off offset:512
	s_wait_loadcnt 0x0
	v_dual_mov_b32 v37, 0 :: v_dual_and_b32 v38, 0xff, v1
	v_and_b32_e32 v1, 0xffff, v1
	s_delay_alu instid0(VALU_DEP_2)
	v_cmp_ne_u16_e64 s4, 0, v38
	v_mov_b32_e32 v38, 0
	s_and_saveexec_b32 s5, s4
	s_cbranch_execz .LBB256_146
; %bb.139:                              ;   in Loop: Header=BB256_10 Depth=1
	v_and_b32_e32 v38, 0xff, v1
	s_delay_alu instid0(VALU_DEP_1)
	v_cmp_ne_u16_e64 s4, 0x80, v38
	v_mov_b32_e32 v38, 0x8000
	s_and_saveexec_b32 s33, s4
	s_cbranch_execz .LBB256_145
; %bb.140:                              ;   in Loop: Header=BB256_10 Depth=1
	v_and_b32_e32 v40, 0x7f, v1
	v_mov_b32_e32 v38, 0x7c01
	s_mov_b32 s34, exec_lo
	s_delay_alu instid0(VALU_DEP_2)
	v_cmpx_ne_u32_e32 0x7f, v40
	s_cbranch_execz .LBB256_144
; %bb.141:                              ;   in Loop: Header=BB256_10 Depth=1
	v_and_b32_e32 v38, 7, v1
	v_lshrrev_b32_e32 v39, 3, v40
	s_mov_b32 s35, exec_lo
	v_cmpx_gt_u32_e32 8, v40
; %bb.142:                              ;   in Loop: Header=BB256_10 Depth=1
	s_delay_alu instid0(VALU_DEP_3) | instskip(NEXT) | instid1(VALU_DEP_1)
	v_clz_i32_u32_e32 v38, v38
	v_min_u32_e32 v40, 32, v38
	s_delay_alu instid0(VALU_DEP_1) | instskip(NEXT) | instid1(VALU_DEP_1)
	v_subrev_nc_u32_e32 v38, 28, v40
	v_lshlrev_b64_e32 v[38:39], v38, v[1:2]
	v_sub_nc_u32_e32 v39, 29, v40
	s_delay_alu instid0(VALU_DEP_2)
	v_and_b32_e32 v38, 7, v38
; %bb.143:                              ;   in Loop: Header=BB256_10 Depth=1
	s_wait_alu 0xfffe
	s_or_b32 exec_lo, exec_lo, s35
	v_lshlrev_b32_e32 v40, 8, v1
	v_lshl_add_u32 v39, v39, 10, 0x2000
	v_lshlrev_b32_e32 v38, 7, v38
	s_delay_alu instid0(VALU_DEP_3) | instskip(NEXT) | instid1(VALU_DEP_3)
	v_and_b32_e32 v40, 0x8000, v40
	v_and_b32_e32 v39, 0xfc00, v39
	s_delay_alu instid0(VALU_DEP_1)
	v_or3_b32 v38, v40, v39, v38
.LBB256_144:                            ;   in Loop: Header=BB256_10 Depth=1
	s_wait_alu 0xfffe
	s_or_b32 exec_lo, exec_lo, s34
.LBB256_145:                            ;   in Loop: Header=BB256_10 Depth=1
	s_delay_alu instid0(SALU_CYCLE_1)
	s_or_b32 exec_lo, exec_lo, s33
.LBB256_146:                            ;   in Loop: Header=BB256_10 Depth=1
	s_wait_alu 0xfffe
	s_or_b32 exec_lo, exec_lo, s5
	v_lshrrev_b16 v1, 8, v1
	s_mov_b32 s5, exec_lo
	s_delay_alu instid0(VALU_DEP_1)
	v_cmpx_ne_u16_e32 0, v1
	s_cbranch_execz .LBB256_154
; %bb.147:                              ;   in Loop: Header=BB256_10 Depth=1
	v_bfrev_b32_e32 v37, 1
	s_mov_b32 s33, exec_lo
	v_cmpx_ne_u16_e32 0x80, v1
	s_cbranch_execz .LBB256_153
; %bb.148:                              ;   in Loop: Header=BB256_10 Depth=1
	v_and_b32_e32 v39, 0xffff, v1
	v_mov_b32_e32 v37, 0x7c010000
	s_mov_b32 s34, exec_lo
	s_delay_alu instid0(VALU_DEP_2) | instskip(NEXT) | instid1(VALU_DEP_1)
	v_and_b32_e32 v41, 0x7f, v39
	v_cmpx_ne_u32_e32 0x7f, v41
	s_cbranch_execz .LBB256_152
; %bb.149:                              ;   in Loop: Header=BB256_10 Depth=1
	v_and_b32_e32 v37, 7, v39
	v_lshrrev_b32_e32 v40, 3, v41
	s_mov_b32 s35, exec_lo
	v_cmpx_gt_u32_e32 8, v41
; %bb.150:                              ;   in Loop: Header=BB256_10 Depth=1
	s_delay_alu instid0(VALU_DEP_3) | instskip(NEXT) | instid1(VALU_DEP_1)
	v_clz_i32_u32_e32 v37, v37
	v_min_u32_e32 v37, 32, v37
	s_delay_alu instid0(VALU_DEP_1) | instskip(NEXT) | instid1(VALU_DEP_1)
	v_subrev_nc_u32_e32 v40, 28, v37
	v_lshlrev_b64_e32 v[41:42], v40, v[1:2]
	v_sub_nc_u32_e32 v40, 29, v37
	s_delay_alu instid0(VALU_DEP_2)
	v_and_b32_e32 v37, 7, v41
; %bb.151:                              ;   in Loop: Header=BB256_10 Depth=1
	s_wait_alu 0xfffe
	s_or_b32 exec_lo, exec_lo, s35
	v_lshlrev_b32_e32 v1, 8, v39
	v_lshl_add_u32 v39, v40, 10, 0x2000
	v_lshlrev_b32_e32 v37, 23, v37
	s_delay_alu instid0(VALU_DEP_2) | instskip(NEXT) | instid1(VALU_DEP_1)
	v_and_or_b32 v1, 0x8000, v1, v39
	v_lshl_or_b32 v37, v1, 16, v37
.LBB256_152:                            ;   in Loop: Header=BB256_10 Depth=1
	s_wait_alu 0xfffe
	s_or_b32 exec_lo, exec_lo, s34
.LBB256_153:                            ;   in Loop: Header=BB256_10 Depth=1
	s_delay_alu instid0(SALU_CYCLE_1)
	s_or_b32 exec_lo, exec_lo, s33
.LBB256_154:                            ;   in Loop: Header=BB256_10 Depth=1
	s_wait_alu 0xfffe
	s_or_b32 exec_lo, exec_lo, s5
	global_load_u16 v1, v[7:8], off offset:520
	s_wait_loadcnt 0x0
	v_dual_mov_b32 v39, 0 :: v_dual_and_b32 v40, 0xff, v1
	v_and_b32_e32 v1, 0xffff, v1
	s_delay_alu instid0(VALU_DEP_2)
	v_cmp_ne_u16_e64 s4, 0, v40
	v_mov_b32_e32 v40, 0
	s_and_saveexec_b32 s5, s4
	s_cbranch_execz .LBB256_162
; %bb.155:                              ;   in Loop: Header=BB256_10 Depth=1
	v_and_b32_e32 v40, 0xff, v1
	s_delay_alu instid0(VALU_DEP_1)
	v_cmp_ne_u16_e64 s4, 0x80, v40
	v_mov_b32_e32 v40, 0x8000
	s_and_saveexec_b32 s33, s4
	s_cbranch_execz .LBB256_161
; %bb.156:                              ;   in Loop: Header=BB256_10 Depth=1
	v_and_b32_e32 v42, 0x7f, v1
	v_mov_b32_e32 v40, 0x7c01
	s_mov_b32 s34, exec_lo
	s_delay_alu instid0(VALU_DEP_2)
	v_cmpx_ne_u32_e32 0x7f, v42
	s_cbranch_execz .LBB256_160
; %bb.157:                              ;   in Loop: Header=BB256_10 Depth=1
	v_and_b32_e32 v40, 7, v1
	v_lshrrev_b32_e32 v41, 3, v42
	s_mov_b32 s35, exec_lo
	v_cmpx_gt_u32_e32 8, v42
; %bb.158:                              ;   in Loop: Header=BB256_10 Depth=1
	s_delay_alu instid0(VALU_DEP_3) | instskip(NEXT) | instid1(VALU_DEP_1)
	v_clz_i32_u32_e32 v40, v40
	v_min_u32_e32 v42, 32, v40
	s_delay_alu instid0(VALU_DEP_1) | instskip(NEXT) | instid1(VALU_DEP_1)
	v_subrev_nc_u32_e32 v40, 28, v42
	v_lshlrev_b64_e32 v[40:41], v40, v[1:2]
	v_sub_nc_u32_e32 v41, 29, v42
	s_delay_alu instid0(VALU_DEP_2)
	v_and_b32_e32 v40, 7, v40
; %bb.159:                              ;   in Loop: Header=BB256_10 Depth=1
	s_wait_alu 0xfffe
	s_or_b32 exec_lo, exec_lo, s35
	v_lshlrev_b32_e32 v42, 8, v1
	v_lshl_add_u32 v41, v41, 10, 0x2000
	v_lshlrev_b32_e32 v40, 7, v40
	s_delay_alu instid0(VALU_DEP_3) | instskip(NEXT) | instid1(VALU_DEP_3)
	v_and_b32_e32 v42, 0x8000, v42
	v_and_b32_e32 v41, 0xfc00, v41
	s_delay_alu instid0(VALU_DEP_1)
	v_or3_b32 v40, v42, v41, v40
.LBB256_160:                            ;   in Loop: Header=BB256_10 Depth=1
	s_wait_alu 0xfffe
	s_or_b32 exec_lo, exec_lo, s34
.LBB256_161:                            ;   in Loop: Header=BB256_10 Depth=1
	s_delay_alu instid0(SALU_CYCLE_1)
	s_or_b32 exec_lo, exec_lo, s33
.LBB256_162:                            ;   in Loop: Header=BB256_10 Depth=1
	s_wait_alu 0xfffe
	s_or_b32 exec_lo, exec_lo, s5
	v_lshrrev_b16 v1, 8, v1
	s_mov_b32 s5, exec_lo
	s_delay_alu instid0(VALU_DEP_1)
	v_cmpx_ne_u16_e32 0, v1
	s_cbranch_execz .LBB256_170
; %bb.163:                              ;   in Loop: Header=BB256_10 Depth=1
	v_bfrev_b32_e32 v39, 1
	s_mov_b32 s33, exec_lo
	v_cmpx_ne_u16_e32 0x80, v1
	s_cbranch_execz .LBB256_169
; %bb.164:                              ;   in Loop: Header=BB256_10 Depth=1
	v_and_b32_e32 v41, 0xffff, v1
	v_mov_b32_e32 v39, 0x7c010000
	s_mov_b32 s34, exec_lo
	s_delay_alu instid0(VALU_DEP_2) | instskip(NEXT) | instid1(VALU_DEP_1)
	v_and_b32_e32 v43, 0x7f, v41
	v_cmpx_ne_u32_e32 0x7f, v43
	s_cbranch_execz .LBB256_168
; %bb.165:                              ;   in Loop: Header=BB256_10 Depth=1
	v_and_b32_e32 v39, 7, v41
	v_lshrrev_b32_e32 v42, 3, v43
	s_mov_b32 s35, exec_lo
	v_cmpx_gt_u32_e32 8, v43
; %bb.166:                              ;   in Loop: Header=BB256_10 Depth=1
	s_delay_alu instid0(VALU_DEP_3) | instskip(NEXT) | instid1(VALU_DEP_1)
	v_clz_i32_u32_e32 v39, v39
	v_min_u32_e32 v39, 32, v39
	s_delay_alu instid0(VALU_DEP_1) | instskip(NEXT) | instid1(VALU_DEP_1)
	v_subrev_nc_u32_e32 v42, 28, v39
	v_lshlrev_b64_e32 v[43:44], v42, v[1:2]
	v_sub_nc_u32_e32 v42, 29, v39
	s_delay_alu instid0(VALU_DEP_2)
	v_and_b32_e32 v39, 7, v43
; %bb.167:                              ;   in Loop: Header=BB256_10 Depth=1
	s_wait_alu 0xfffe
	s_or_b32 exec_lo, exec_lo, s35
	v_lshlrev_b32_e32 v1, 8, v41
	v_lshl_add_u32 v41, v42, 10, 0x2000
	v_lshlrev_b32_e32 v39, 23, v39
	s_delay_alu instid0(VALU_DEP_2) | instskip(NEXT) | instid1(VALU_DEP_1)
	v_and_or_b32 v1, 0x8000, v1, v41
	v_lshl_or_b32 v39, v1, 16, v39
.LBB256_168:                            ;   in Loop: Header=BB256_10 Depth=1
	s_wait_alu 0xfffe
	s_or_b32 exec_lo, exec_lo, s34
.LBB256_169:                            ;   in Loop: Header=BB256_10 Depth=1
	s_delay_alu instid0(SALU_CYCLE_1)
	s_or_b32 exec_lo, exec_lo, s33
.LBB256_170:                            ;   in Loop: Header=BB256_10 Depth=1
	s_wait_alu 0xfffe
	s_or_b32 exec_lo, exec_lo, s5
	global_load_u16 v1, v[7:8], off offset:640
	s_wait_loadcnt 0x0
	v_dual_mov_b32 v41, 0 :: v_dual_and_b32 v42, 0xff, v1
	v_and_b32_e32 v1, 0xffff, v1
	s_delay_alu instid0(VALU_DEP_2)
	v_cmp_ne_u16_e64 s4, 0, v42
	v_mov_b32_e32 v42, 0
	s_and_saveexec_b32 s5, s4
	s_cbranch_execz .LBB256_178
; %bb.171:                              ;   in Loop: Header=BB256_10 Depth=1
	v_and_b32_e32 v42, 0xff, v1
	s_delay_alu instid0(VALU_DEP_1)
	v_cmp_ne_u16_e64 s4, 0x80, v42
	v_mov_b32_e32 v42, 0x8000
	s_and_saveexec_b32 s33, s4
	s_cbranch_execz .LBB256_177
; %bb.172:                              ;   in Loop: Header=BB256_10 Depth=1
	v_and_b32_e32 v44, 0x7f, v1
	v_mov_b32_e32 v42, 0x7c01
	s_mov_b32 s34, exec_lo
	s_delay_alu instid0(VALU_DEP_2)
	v_cmpx_ne_u32_e32 0x7f, v44
	s_cbranch_execz .LBB256_176
; %bb.173:                              ;   in Loop: Header=BB256_10 Depth=1
	v_and_b32_e32 v42, 7, v1
	v_lshrrev_b32_e32 v43, 3, v44
	s_mov_b32 s35, exec_lo
	v_cmpx_gt_u32_e32 8, v44
; %bb.174:                              ;   in Loop: Header=BB256_10 Depth=1
	s_delay_alu instid0(VALU_DEP_3) | instskip(NEXT) | instid1(VALU_DEP_1)
	v_clz_i32_u32_e32 v42, v42
	v_min_u32_e32 v44, 32, v42
	s_delay_alu instid0(VALU_DEP_1) | instskip(NEXT) | instid1(VALU_DEP_1)
	v_subrev_nc_u32_e32 v42, 28, v44
	v_lshlrev_b64_e32 v[42:43], v42, v[1:2]
	v_sub_nc_u32_e32 v43, 29, v44
	s_delay_alu instid0(VALU_DEP_2)
	v_and_b32_e32 v42, 7, v42
; %bb.175:                              ;   in Loop: Header=BB256_10 Depth=1
	s_wait_alu 0xfffe
	s_or_b32 exec_lo, exec_lo, s35
	v_lshlrev_b32_e32 v44, 8, v1
	v_lshl_add_u32 v43, v43, 10, 0x2000
	v_lshlrev_b32_e32 v42, 7, v42
	s_delay_alu instid0(VALU_DEP_3) | instskip(NEXT) | instid1(VALU_DEP_3)
	v_and_b32_e32 v44, 0x8000, v44
	v_and_b32_e32 v43, 0xfc00, v43
	s_delay_alu instid0(VALU_DEP_1)
	v_or3_b32 v42, v44, v43, v42
.LBB256_176:                            ;   in Loop: Header=BB256_10 Depth=1
	s_wait_alu 0xfffe
	s_or_b32 exec_lo, exec_lo, s34
.LBB256_177:                            ;   in Loop: Header=BB256_10 Depth=1
	s_delay_alu instid0(SALU_CYCLE_1)
	s_or_b32 exec_lo, exec_lo, s33
.LBB256_178:                            ;   in Loop: Header=BB256_10 Depth=1
	s_wait_alu 0xfffe
	s_or_b32 exec_lo, exec_lo, s5
	v_lshrrev_b16 v1, 8, v1
	s_mov_b32 s5, exec_lo
	s_delay_alu instid0(VALU_DEP_1)
	v_cmpx_ne_u16_e32 0, v1
	s_cbranch_execz .LBB256_186
; %bb.179:                              ;   in Loop: Header=BB256_10 Depth=1
	v_bfrev_b32_e32 v41, 1
	s_mov_b32 s33, exec_lo
	v_cmpx_ne_u16_e32 0x80, v1
	s_cbranch_execz .LBB256_185
; %bb.180:                              ;   in Loop: Header=BB256_10 Depth=1
	v_and_b32_e32 v43, 0xffff, v1
	v_mov_b32_e32 v41, 0x7c010000
	s_mov_b32 s34, exec_lo
	s_delay_alu instid0(VALU_DEP_2) | instskip(NEXT) | instid1(VALU_DEP_1)
	v_and_b32_e32 v45, 0x7f, v43
	v_cmpx_ne_u32_e32 0x7f, v45
	s_cbranch_execz .LBB256_184
; %bb.181:                              ;   in Loop: Header=BB256_10 Depth=1
	v_and_b32_e32 v41, 7, v43
	v_lshrrev_b32_e32 v44, 3, v45
	s_mov_b32 s35, exec_lo
	v_cmpx_gt_u32_e32 8, v45
; %bb.182:                              ;   in Loop: Header=BB256_10 Depth=1
	s_delay_alu instid0(VALU_DEP_3) | instskip(NEXT) | instid1(VALU_DEP_1)
	v_clz_i32_u32_e32 v41, v41
	v_min_u32_e32 v41, 32, v41
	s_delay_alu instid0(VALU_DEP_1) | instskip(NEXT) | instid1(VALU_DEP_1)
	v_subrev_nc_u32_e32 v44, 28, v41
	v_lshlrev_b64_e32 v[45:46], v44, v[1:2]
	v_sub_nc_u32_e32 v44, 29, v41
	s_delay_alu instid0(VALU_DEP_2)
	v_and_b32_e32 v41, 7, v45
; %bb.183:                              ;   in Loop: Header=BB256_10 Depth=1
	s_wait_alu 0xfffe
	s_or_b32 exec_lo, exec_lo, s35
	v_lshlrev_b32_e32 v1, 8, v43
	v_lshl_add_u32 v43, v44, 10, 0x2000
	v_lshlrev_b32_e32 v41, 23, v41
	s_delay_alu instid0(VALU_DEP_2) | instskip(NEXT) | instid1(VALU_DEP_1)
	v_and_or_b32 v1, 0x8000, v1, v43
	v_lshl_or_b32 v41, v1, 16, v41
.LBB256_184:                            ;   in Loop: Header=BB256_10 Depth=1
	s_wait_alu 0xfffe
	s_or_b32 exec_lo, exec_lo, s34
.LBB256_185:                            ;   in Loop: Header=BB256_10 Depth=1
	s_delay_alu instid0(SALU_CYCLE_1)
	s_or_b32 exec_lo, exec_lo, s33
.LBB256_186:                            ;   in Loop: Header=BB256_10 Depth=1
	s_wait_alu 0xfffe
	s_or_b32 exec_lo, exec_lo, s5
	global_load_u16 v1, v[7:8], off offset:648
	s_wait_loadcnt 0x0
	v_dual_mov_b32 v43, 0 :: v_dual_and_b32 v44, 0xff, v1
	v_and_b32_e32 v1, 0xffff, v1
	s_delay_alu instid0(VALU_DEP_2)
	v_cmp_ne_u16_e64 s4, 0, v44
	v_mov_b32_e32 v44, 0
	s_and_saveexec_b32 s5, s4
	s_cbranch_execz .LBB256_194
; %bb.187:                              ;   in Loop: Header=BB256_10 Depth=1
	v_and_b32_e32 v44, 0xff, v1
	s_delay_alu instid0(VALU_DEP_1)
	v_cmp_ne_u16_e64 s4, 0x80, v44
	v_mov_b32_e32 v44, 0x8000
	s_and_saveexec_b32 s33, s4
	s_cbranch_execz .LBB256_193
; %bb.188:                              ;   in Loop: Header=BB256_10 Depth=1
	v_and_b32_e32 v46, 0x7f, v1
	v_mov_b32_e32 v44, 0x7c01
	s_mov_b32 s34, exec_lo
	s_delay_alu instid0(VALU_DEP_2)
	v_cmpx_ne_u32_e32 0x7f, v46
	s_cbranch_execz .LBB256_192
; %bb.189:                              ;   in Loop: Header=BB256_10 Depth=1
	v_and_b32_e32 v44, 7, v1
	v_lshrrev_b32_e32 v45, 3, v46
	s_mov_b32 s35, exec_lo
	v_cmpx_gt_u32_e32 8, v46
; %bb.190:                              ;   in Loop: Header=BB256_10 Depth=1
	s_delay_alu instid0(VALU_DEP_3) | instskip(NEXT) | instid1(VALU_DEP_1)
	v_clz_i32_u32_e32 v44, v44
	v_min_u32_e32 v46, 32, v44
	s_delay_alu instid0(VALU_DEP_1) | instskip(NEXT) | instid1(VALU_DEP_1)
	v_subrev_nc_u32_e32 v44, 28, v46
	v_lshlrev_b64_e32 v[44:45], v44, v[1:2]
	v_sub_nc_u32_e32 v45, 29, v46
	s_delay_alu instid0(VALU_DEP_2)
	v_and_b32_e32 v44, 7, v44
; %bb.191:                              ;   in Loop: Header=BB256_10 Depth=1
	s_wait_alu 0xfffe
	s_or_b32 exec_lo, exec_lo, s35
	v_lshlrev_b32_e32 v46, 8, v1
	v_lshl_add_u32 v45, v45, 10, 0x2000
	v_lshlrev_b32_e32 v44, 7, v44
	s_delay_alu instid0(VALU_DEP_3) | instskip(NEXT) | instid1(VALU_DEP_3)
	v_and_b32_e32 v46, 0x8000, v46
	v_and_b32_e32 v45, 0xfc00, v45
	s_delay_alu instid0(VALU_DEP_1)
	v_or3_b32 v44, v46, v45, v44
.LBB256_192:                            ;   in Loop: Header=BB256_10 Depth=1
	s_wait_alu 0xfffe
	s_or_b32 exec_lo, exec_lo, s34
.LBB256_193:                            ;   in Loop: Header=BB256_10 Depth=1
	s_delay_alu instid0(SALU_CYCLE_1)
	s_or_b32 exec_lo, exec_lo, s33
.LBB256_194:                            ;   in Loop: Header=BB256_10 Depth=1
	s_wait_alu 0xfffe
	s_or_b32 exec_lo, exec_lo, s5
	v_lshrrev_b16 v1, 8, v1
	s_mov_b32 s5, exec_lo
	s_delay_alu instid0(VALU_DEP_1)
	v_cmpx_ne_u16_e32 0, v1
	s_cbranch_execz .LBB256_202
; %bb.195:                              ;   in Loop: Header=BB256_10 Depth=1
	v_bfrev_b32_e32 v43, 1
	s_mov_b32 s33, exec_lo
	v_cmpx_ne_u16_e32 0x80, v1
	s_cbranch_execz .LBB256_201
; %bb.196:                              ;   in Loop: Header=BB256_10 Depth=1
	v_and_b32_e32 v45, 0xffff, v1
	v_mov_b32_e32 v43, 0x7c010000
	s_mov_b32 s34, exec_lo
	s_delay_alu instid0(VALU_DEP_2) | instskip(NEXT) | instid1(VALU_DEP_1)
	v_and_b32_e32 v47, 0x7f, v45
	v_cmpx_ne_u32_e32 0x7f, v47
	s_cbranch_execz .LBB256_200
; %bb.197:                              ;   in Loop: Header=BB256_10 Depth=1
	v_and_b32_e32 v43, 7, v45
	v_lshrrev_b32_e32 v46, 3, v47
	s_mov_b32 s35, exec_lo
	v_cmpx_gt_u32_e32 8, v47
; %bb.198:                              ;   in Loop: Header=BB256_10 Depth=1
	s_delay_alu instid0(VALU_DEP_3) | instskip(NEXT) | instid1(VALU_DEP_1)
	v_clz_i32_u32_e32 v43, v43
	v_min_u32_e32 v43, 32, v43
	s_delay_alu instid0(VALU_DEP_1) | instskip(NEXT) | instid1(VALU_DEP_1)
	v_subrev_nc_u32_e32 v46, 28, v43
	v_lshlrev_b64_e32 v[47:48], v46, v[1:2]
	v_sub_nc_u32_e32 v46, 29, v43
	s_delay_alu instid0(VALU_DEP_2)
	v_and_b32_e32 v43, 7, v47
; %bb.199:                              ;   in Loop: Header=BB256_10 Depth=1
	s_wait_alu 0xfffe
	s_or_b32 exec_lo, exec_lo, s35
	v_lshlrev_b32_e32 v1, 8, v45
	v_lshl_add_u32 v45, v46, 10, 0x2000
	v_lshlrev_b32_e32 v43, 23, v43
	s_delay_alu instid0(VALU_DEP_2) | instskip(NEXT) | instid1(VALU_DEP_1)
	v_and_or_b32 v1, 0x8000, v1, v45
	v_lshl_or_b32 v43, v1, 16, v43
.LBB256_200:                            ;   in Loop: Header=BB256_10 Depth=1
	s_wait_alu 0xfffe
	s_or_b32 exec_lo, exec_lo, s34
.LBB256_201:                            ;   in Loop: Header=BB256_10 Depth=1
	s_delay_alu instid0(SALU_CYCLE_1)
	s_or_b32 exec_lo, exec_lo, s33
.LBB256_202:                            ;   in Loop: Header=BB256_10 Depth=1
	s_wait_alu 0xfffe
	s_or_b32 exec_lo, exec_lo, s5
	global_load_u16 v1, v[7:8], off offset:768
	s_wait_loadcnt 0x0
	v_dual_mov_b32 v45, 0 :: v_dual_and_b32 v46, 0xff, v1
	v_and_b32_e32 v1, 0xffff, v1
	s_delay_alu instid0(VALU_DEP_2)
	v_cmp_ne_u16_e64 s4, 0, v46
	v_mov_b32_e32 v46, 0
	s_and_saveexec_b32 s5, s4
	s_cbranch_execz .LBB256_210
; %bb.203:                              ;   in Loop: Header=BB256_10 Depth=1
	v_and_b32_e32 v46, 0xff, v1
	s_delay_alu instid0(VALU_DEP_1)
	v_cmp_ne_u16_e64 s4, 0x80, v46
	v_mov_b32_e32 v46, 0x8000
	s_and_saveexec_b32 s33, s4
	s_cbranch_execz .LBB256_209
; %bb.204:                              ;   in Loop: Header=BB256_10 Depth=1
	v_and_b32_e32 v48, 0x7f, v1
	v_mov_b32_e32 v46, 0x7c01
	s_mov_b32 s34, exec_lo
	s_delay_alu instid0(VALU_DEP_2)
	v_cmpx_ne_u32_e32 0x7f, v48
	s_cbranch_execz .LBB256_208
; %bb.205:                              ;   in Loop: Header=BB256_10 Depth=1
	v_and_b32_e32 v46, 7, v1
	v_lshrrev_b32_e32 v47, 3, v48
	s_mov_b32 s35, exec_lo
	v_cmpx_gt_u32_e32 8, v48
; %bb.206:                              ;   in Loop: Header=BB256_10 Depth=1
	s_delay_alu instid0(VALU_DEP_3) | instskip(NEXT) | instid1(VALU_DEP_1)
	v_clz_i32_u32_e32 v46, v46
	v_min_u32_e32 v48, 32, v46
	s_delay_alu instid0(VALU_DEP_1) | instskip(NEXT) | instid1(VALU_DEP_1)
	v_subrev_nc_u32_e32 v46, 28, v48
	v_lshlrev_b64_e32 v[46:47], v46, v[1:2]
	v_sub_nc_u32_e32 v47, 29, v48
	s_delay_alu instid0(VALU_DEP_2)
	v_and_b32_e32 v46, 7, v46
; %bb.207:                              ;   in Loop: Header=BB256_10 Depth=1
	s_wait_alu 0xfffe
	s_or_b32 exec_lo, exec_lo, s35
	v_lshlrev_b32_e32 v48, 8, v1
	v_lshl_add_u32 v47, v47, 10, 0x2000
	v_lshlrev_b32_e32 v46, 7, v46
	s_delay_alu instid0(VALU_DEP_3) | instskip(NEXT) | instid1(VALU_DEP_3)
	v_and_b32_e32 v48, 0x8000, v48
	v_and_b32_e32 v47, 0xfc00, v47
	s_delay_alu instid0(VALU_DEP_1)
	v_or3_b32 v46, v48, v47, v46
.LBB256_208:                            ;   in Loop: Header=BB256_10 Depth=1
	s_wait_alu 0xfffe
	s_or_b32 exec_lo, exec_lo, s34
.LBB256_209:                            ;   in Loop: Header=BB256_10 Depth=1
	s_delay_alu instid0(SALU_CYCLE_1)
	s_or_b32 exec_lo, exec_lo, s33
.LBB256_210:                            ;   in Loop: Header=BB256_10 Depth=1
	s_wait_alu 0xfffe
	s_or_b32 exec_lo, exec_lo, s5
	v_lshrrev_b16 v1, 8, v1
	s_mov_b32 s5, exec_lo
	s_delay_alu instid0(VALU_DEP_1)
	v_cmpx_ne_u16_e32 0, v1
	s_cbranch_execz .LBB256_218
; %bb.211:                              ;   in Loop: Header=BB256_10 Depth=1
	v_bfrev_b32_e32 v45, 1
	s_mov_b32 s33, exec_lo
	v_cmpx_ne_u16_e32 0x80, v1
	s_cbranch_execz .LBB256_217
; %bb.212:                              ;   in Loop: Header=BB256_10 Depth=1
	v_and_b32_e32 v47, 0xffff, v1
	v_mov_b32_e32 v45, 0x7c010000
	s_mov_b32 s34, exec_lo
	s_delay_alu instid0(VALU_DEP_2) | instskip(NEXT) | instid1(VALU_DEP_1)
	v_and_b32_e32 v49, 0x7f, v47
	v_cmpx_ne_u32_e32 0x7f, v49
	s_cbranch_execz .LBB256_216
; %bb.213:                              ;   in Loop: Header=BB256_10 Depth=1
	v_and_b32_e32 v45, 7, v47
	v_lshrrev_b32_e32 v48, 3, v49
	s_mov_b32 s35, exec_lo
	v_cmpx_gt_u32_e32 8, v49
; %bb.214:                              ;   in Loop: Header=BB256_10 Depth=1
	s_delay_alu instid0(VALU_DEP_3) | instskip(NEXT) | instid1(VALU_DEP_1)
	v_clz_i32_u32_e32 v45, v45
	v_min_u32_e32 v45, 32, v45
	s_delay_alu instid0(VALU_DEP_1) | instskip(NEXT) | instid1(VALU_DEP_1)
	v_subrev_nc_u32_e32 v48, 28, v45
	v_lshlrev_b64_e32 v[49:50], v48, v[1:2]
	v_sub_nc_u32_e32 v48, 29, v45
	s_delay_alu instid0(VALU_DEP_2)
	v_and_b32_e32 v45, 7, v49
; %bb.215:                              ;   in Loop: Header=BB256_10 Depth=1
	s_wait_alu 0xfffe
	s_or_b32 exec_lo, exec_lo, s35
	v_lshlrev_b32_e32 v1, 8, v47
	v_lshl_add_u32 v47, v48, 10, 0x2000
	v_lshlrev_b32_e32 v45, 23, v45
	s_delay_alu instid0(VALU_DEP_2) | instskip(NEXT) | instid1(VALU_DEP_1)
	v_and_or_b32 v1, 0x8000, v1, v47
	v_lshl_or_b32 v45, v1, 16, v45
.LBB256_216:                            ;   in Loop: Header=BB256_10 Depth=1
	s_wait_alu 0xfffe
	s_or_b32 exec_lo, exec_lo, s34
.LBB256_217:                            ;   in Loop: Header=BB256_10 Depth=1
	s_delay_alu instid0(SALU_CYCLE_1)
	s_or_b32 exec_lo, exec_lo, s33
.LBB256_218:                            ;   in Loop: Header=BB256_10 Depth=1
	s_wait_alu 0xfffe
	s_or_b32 exec_lo, exec_lo, s5
	global_load_u16 v1, v[7:8], off offset:776
	s_wait_loadcnt 0x0
	v_dual_mov_b32 v7, 0 :: v_dual_and_b32 v8, 0xff, v1
	v_and_b32_e32 v1, 0xffff, v1
	s_delay_alu instid0(VALU_DEP_2)
	v_cmp_ne_u16_e64 s4, 0, v8
	v_mov_b32_e32 v8, 0
	s_and_saveexec_b32 s5, s4
	s_cbranch_execz .LBB256_226
; %bb.219:                              ;   in Loop: Header=BB256_10 Depth=1
	v_and_b32_e32 v8, 0xff, v1
	s_delay_alu instid0(VALU_DEP_1)
	v_cmp_ne_u16_e64 s4, 0x80, v8
	v_mov_b32_e32 v8, 0x8000
	s_and_saveexec_b32 s33, s4
	s_cbranch_execz .LBB256_225
; %bb.220:                              ;   in Loop: Header=BB256_10 Depth=1
	v_and_b32_e32 v48, 0x7f, v1
	v_mov_b32_e32 v8, 0x7c01
	s_mov_b32 s34, exec_lo
	s_delay_alu instid0(VALU_DEP_2)
	v_cmpx_ne_u32_e32 0x7f, v48
	s_cbranch_execz .LBB256_224
; %bb.221:                              ;   in Loop: Header=BB256_10 Depth=1
	v_and_b32_e32 v8, 7, v1
	v_lshrrev_b32_e32 v47, 3, v48
	s_mov_b32 s35, exec_lo
	v_cmpx_gt_u32_e32 8, v48
; %bb.222:                              ;   in Loop: Header=BB256_10 Depth=1
	s_delay_alu instid0(VALU_DEP_3) | instskip(NEXT) | instid1(VALU_DEP_1)
	v_clz_i32_u32_e32 v8, v8
	v_min_u32_e32 v8, 32, v8
	s_delay_alu instid0(VALU_DEP_1) | instskip(NEXT) | instid1(VALU_DEP_1)
	v_subrev_nc_u32_e32 v47, 28, v8
	v_lshlrev_b64_e32 v[48:49], v47, v[1:2]
	v_sub_nc_u32_e32 v47, 29, v8
	s_delay_alu instid0(VALU_DEP_2)
	v_and_b32_e32 v8, 7, v48
; %bb.223:                              ;   in Loop: Header=BB256_10 Depth=1
	s_wait_alu 0xfffe
	s_or_b32 exec_lo, exec_lo, s35
	v_lshlrev_b32_e32 v48, 8, v1
	v_lshl_add_u32 v47, v47, 10, 0x2000
	v_lshlrev_b32_e32 v8, 7, v8
	s_delay_alu instid0(VALU_DEP_3) | instskip(NEXT) | instid1(VALU_DEP_3)
	v_and_b32_e32 v48, 0x8000, v48
	v_and_b32_e32 v47, 0xfc00, v47
	s_delay_alu instid0(VALU_DEP_1)
	v_or3_b32 v8, v48, v47, v8
.LBB256_224:                            ;   in Loop: Header=BB256_10 Depth=1
	s_wait_alu 0xfffe
	s_or_b32 exec_lo, exec_lo, s34
.LBB256_225:                            ;   in Loop: Header=BB256_10 Depth=1
	s_delay_alu instid0(SALU_CYCLE_1)
	s_or_b32 exec_lo, exec_lo, s33
.LBB256_226:                            ;   in Loop: Header=BB256_10 Depth=1
	s_wait_alu 0xfffe
	s_or_b32 exec_lo, exec_lo, s5
	v_lshrrev_b16 v1, 8, v1
	s_mov_b32 s5, exec_lo
	s_delay_alu instid0(VALU_DEP_1)
	v_cmpx_ne_u16_e32 0, v1
	s_cbranch_execz .LBB256_234
; %bb.227:                              ;   in Loop: Header=BB256_10 Depth=1
	v_bfrev_b32_e32 v7, 1
	s_mov_b32 s33, exec_lo
	v_cmpx_ne_u16_e32 0x80, v1
	s_cbranch_execz .LBB256_233
; %bb.228:                              ;   in Loop: Header=BB256_10 Depth=1
	v_and_b32_e32 v47, 0xffff, v1
	v_mov_b32_e32 v7, 0x7c010000
	s_mov_b32 s34, exec_lo
	s_delay_alu instid0(VALU_DEP_2) | instskip(NEXT) | instid1(VALU_DEP_1)
	v_and_b32_e32 v49, 0x7f, v47
	v_cmpx_ne_u32_e32 0x7f, v49
	s_cbranch_execz .LBB256_232
; %bb.229:                              ;   in Loop: Header=BB256_10 Depth=1
	v_and_b32_e32 v7, 7, v47
	v_lshrrev_b32_e32 v48, 3, v49
	s_mov_b32 s35, exec_lo
	v_cmpx_gt_u32_e32 8, v49
; %bb.230:                              ;   in Loop: Header=BB256_10 Depth=1
	s_delay_alu instid0(VALU_DEP_3) | instskip(NEXT) | instid1(VALU_DEP_1)
	v_clz_i32_u32_e32 v7, v7
	v_min_u32_e32 v7, 32, v7
	s_delay_alu instid0(VALU_DEP_1) | instskip(NEXT) | instid1(VALU_DEP_1)
	v_subrev_nc_u32_e32 v48, 28, v7
	v_lshlrev_b64_e32 v[49:50], v48, v[1:2]
	v_sub_nc_u32_e32 v48, 29, v7
	s_delay_alu instid0(VALU_DEP_2)
	v_and_b32_e32 v7, 7, v49
; %bb.231:                              ;   in Loop: Header=BB256_10 Depth=1
	s_wait_alu 0xfffe
	s_or_b32 exec_lo, exec_lo, s35
	v_lshlrev_b32_e32 v1, 8, v47
	v_lshl_add_u32 v47, v48, 10, 0x2000
	v_lshlrev_b32_e32 v7, 23, v7
	s_delay_alu instid0(VALU_DEP_2) | instskip(NEXT) | instid1(VALU_DEP_1)
	v_and_or_b32 v1, 0x8000, v1, v47
	v_lshl_or_b32 v7, v1, 16, v7
.LBB256_232:                            ;   in Loop: Header=BB256_10 Depth=1
	s_wait_alu 0xfffe
	s_or_b32 exec_lo, exec_lo, s34
.LBB256_233:                            ;   in Loop: Header=BB256_10 Depth=1
	s_delay_alu instid0(SALU_CYCLE_1)
	s_or_b32 exec_lo, exec_lo, s33
.LBB256_234:                            ;   in Loop: Header=BB256_10 Depth=1
	s_wait_alu 0xfffe
	s_or_b32 exec_lo, exec_lo, s5
	ds_load_b32 v1, v16
	v_or_b32_e32 v22, v21, v22
	v_fma_mixlo_f16 v21, v20, v21, 0 op_sel:[0,1,0] op_sel_hi:[0,1,0]
	v_or_b32_e32 v24, v23, v24
	v_fma_mixlo_f16 v23, v20, v23, 0 op_sel:[0,1,0] op_sel_hi:[0,1,0]
	v_or_b32_e32 v26, v25, v26
	v_fma_mixlo_f16 v22, v20, v22, 0 op_sel_hi:[0,1,0]
	v_and_b32_e32 v49, 0xffff, v21
	v_fma_mixlo_f16 v24, v20, v24, 0 op_sel_hi:[0,1,0]
	v_and_b32_e32 v51, 0xffff, v23
	;; [unrolled: 2-line block ×3, first 2 shown]
	v_fma_mixlo_f16 v25, v20, v25, 0 op_sel:[0,1,0] op_sel_hi:[0,1,0]
	v_or_b32_e32 v28, v27, v28
	v_fma_mixlo_f16 v27, v20, v27, 0 op_sel:[0,1,0] op_sel_hi:[0,1,0]
	v_and_b32_e32 v52, 0xffff, v26
	v_or_b32_e32 v30, v29, v30
	v_and_b32_e32 v53, 0xffff, v25
	v_fma_mixlo_f16 v28, v20, v28, 0 op_sel_hi:[0,1,0]
	v_and_b32_e32 v55, 0xffff, v27
	s_wait_dscnt 0x0
	v_and_b32_e32 v47, 0xffff, v1
	v_lshrrev_b32_e32 v48, 16, v1
	;;#ASMSTART
	v_cvt_f32_f16 v1, v47;
	;;#ASMEND
	;;#ASMSTART
	v_cvt_f32_f16 v21, v48;
	;;#ASMEND
	;; [unrolled: 3-line block ×4, first 2 shown]
	ds_load_b32 v48, v16 offset:4
	v_and_b32_e32 v50, 0xffff, v24
	v_fma_mixlo_f16 v30, v20, v30, 0 op_sel_hi:[0,1,0]
	v_fma_mixlo_f16 v29, v20, v29, 0 op_sel:[0,1,0] op_sel_hi:[0,1,0]
	v_or_b32_e32 v32, v31, v32
	v_fma_mixlo_f16 v31, v20, v31, 0 op_sel:[0,1,0] op_sel_hi:[0,1,0]
	v_or_b32_e32 v34, v33, v34
	v_fma_mixlo_f16 v33, v20, v33, 0 op_sel:[0,1,0] op_sel_hi:[0,1,0]
	v_and_b32_e32 v57, 0xffff, v29
	v_fma_mixlo_f16 v32, v20, v32, 0 op_sel_hi:[0,1,0]
	v_and_b32_e32 v59, 0xffff, v31
	v_fma_mixlo_f16 v34, v20, v34, 0 op_sel_hi:[0,1,0]
	v_and_b32_e32 v61, 0xffff, v33
	v_or_b32_e32 v36, v35, v36
	v_fma_mixlo_f16 v35, v20, v35, 0 op_sel:[0,1,0] op_sel_hi:[0,1,0]
	v_or_b32_e32 v38, v37, v38
	v_and_b32_e32 v60, 0xffff, v34
	v_fma_mixlo_f16 v37, v20, v37, 0 op_sel:[0,1,0] op_sel_hi:[0,1,0]
	v_fma_mixlo_f16 v36, v20, v36, 0 op_sel_hi:[0,1,0]
	v_and_b32_e32 v63, 0xffff, v35
	s_wait_dscnt 0x0
	v_and_b32_e32 v49, 0xffff, v48
	v_lshrrev_b32_e32 v48, 16, v48
	;;#ASMSTART
	v_cvt_f32_f16 v23, v49;
	;;#ASMEND
	;;#ASMSTART
	v_cvt_f32_f16 v24, v48;
	;;#ASMEND
	;; [unrolled: 3-line block ×4, first 2 shown]
	ds_load_b32 v50, v16 offset:8
	v_mul_f32_e32 v23, v23, v48
	v_fma_mixlo_f16 v38, v20, v38, 0 op_sel_hi:[0,1,0]
	v_and_b32_e32 v65, 0xffff, v37
	v_or_b32_e32 v40, v39, v40
	v_fma_mixlo_f16 v39, v20, v39, 0 op_sel:[0,1,0] op_sel_hi:[0,1,0]
	v_fmac_f32_e32 v23, v1, v22
	v_or_b32_e32 v42, v41, v42
	v_fma_mixlo_f16 v41, v20, v41, 0 op_sel:[0,1,0] op_sel_hi:[0,1,0]
	v_fma_mixlo_f16 v40, v20, v40, 0 op_sel_hi:[0,1,0]
	v_dual_mul_f32 v24, v24, v49 :: v_dual_and_b32 v67, 0xffff, v39
	s_delay_alu instid0(VALU_DEP_4) | instskip(NEXT) | instid1(VALU_DEP_4)
	v_fma_mixlo_f16 v42, v20, v42, 0 op_sel_hi:[0,1,0]
	v_and_b32_e32 v69, 0xffff, v41
	v_or_b32_e32 v44, v43, v44
	v_fma_mixlo_f16 v43, v20, v43, 0 op_sel:[0,1,0] op_sel_hi:[0,1,0]
	v_fmac_f32_e32 v24, v21, v47
	v_and_b32_e32 v68, 0xffff, v42
	v_or_b32_e32 v8, v7, v8
	v_fma_mixlo_f16 v44, v20, v44, 0 op_sel_hi:[0,1,0]
	s_wait_dscnt 0x0
	v_and_b32_e32 v51, 0xffff, v50
	v_lshrrev_b32_e32 v50, 16, v50
	;;#ASMSTART
	v_cvt_f32_f16 v25, v51;
	;;#ASMEND
	;;#ASMSTART
	v_cvt_f32_f16 v26, v50;
	;;#ASMEND
	;; [unrolled: 3-line block ×4, first 2 shown]
	ds_load_b32 v52, v16 offset:12
	v_dual_fmac_f32 v23, v25, v50 :: v_dual_and_b32 v54, 0xffff, v28
	v_fmac_f32_e32 v24, v26, v51
	v_and_b32_e32 v43, 0xffff, v43
	v_fma_mixlo_f16 v7, v20, v7, 0 op_sel:[0,1,0] op_sel_hi:[0,1,0]
	v_fma_mixlo_f16 v8, v20, v8, 0 op_sel_hi:[0,1,0]
	s_wait_dscnt 0x0
	v_and_b32_e32 v53, 0xffff, v52
	v_lshrrev_b32_e32 v52, 16, v52
	;;#ASMSTART
	v_cvt_f32_f16 v27, v53;
	;;#ASMEND
	;;#ASMSTART
	v_cvt_f32_f16 v28, v52;
	;;#ASMEND
	;; [unrolled: 3-line block ×4, first 2 shown]
	ds_load_b32 v54, v16 offset:16
	v_dual_fmac_f32 v23, v27, v52 :: v_dual_and_b32 v56, 0xffff, v30
	v_fmac_f32_e32 v24, v28, v53
	v_or_b32_e32 v27, v45, v46
	v_fma_mixlo_f16 v28, v20, v45, 0 op_sel:[0,1,0] op_sel_hi:[0,1,0]
	s_delay_alu instid0(VALU_DEP_2)
	v_fma_mixlo_f16 v27, v20, v27, 0 op_sel_hi:[0,1,0]
	s_wait_dscnt 0x0
	v_and_b32_e32 v55, 0xffff, v54
	v_lshrrev_b32_e32 v54, 16, v54
	;;#ASMSTART
	v_cvt_f32_f16 v29, v55;
	;;#ASMEND
	;;#ASMSTART
	v_cvt_f32_f16 v30, v54;
	;;#ASMEND
	;; [unrolled: 3-line block ×4, first 2 shown]
	ds_load_b32 v56, v16 offset:20
	v_dual_fmac_f32 v23, v29, v54 :: v_dual_and_b32 v58, 0xffff, v32
	v_dual_fmac_f32 v24, v30, v55 :: v_dual_and_b32 v29, 0xffff, v28
	s_wait_dscnt 0x0
	v_and_b32_e32 v57, 0xffff, v56
	v_lshrrev_b32_e32 v56, 16, v56
	;;#ASMSTART
	v_cvt_f32_f16 v31, v57;
	;;#ASMEND
	;;#ASMSTART
	v_cvt_f32_f16 v32, v56;
	;;#ASMEND
	;; [unrolled: 3-line block ×4, first 2 shown]
	ds_load_b32 v58, v16 offset:24
	v_dual_fmac_f32 v23, v31, v56 :: v_dual_fmac_f32 v24, v32, v57
	v_and_b32_e32 v31, 0xffff, v27
	s_wait_dscnt 0x0
	v_and_b32_e32 v59, 0xffff, v58
	v_lshrrev_b32_e32 v58, 16, v58
	;;#ASMSTART
	v_cvt_f32_f16 v33, v59;
	;;#ASMEND
	;;#ASMSTART
	v_cvt_f32_f16 v34, v58;
	;;#ASMEND
	;;#ASMSTART
	v_cvt_f32_f16 v58, v60;
	;;#ASMEND
	;;#ASMSTART
	v_cvt_f32_f16 v59, v61;
	;;#ASMEND
	ds_load_b32 v60, v16 offset:28
	v_dual_fmac_f32 v23, v33, v58 :: v_dual_and_b32 v62, 0xffff, v36
	s_wait_dscnt 0x0
	v_dual_fmac_f32 v24, v34, v59 :: v_dual_and_b32 v61, 0xffff, v60
	v_lshrrev_b32_e32 v60, 16, v60
	;;#ASMSTART
	v_cvt_f32_f16 v35, v61;
	;;#ASMEND
	;;#ASMSTART
	v_cvt_f32_f16 v36, v60;
	;;#ASMEND
	;;#ASMSTART
	v_cvt_f32_f16 v60, v62;
	;;#ASMEND
	;;#ASMSTART
	v_cvt_f32_f16 v61, v63;
	;;#ASMEND
	ds_load_b32 v62, v16 offset:32
	v_dual_fmac_f32 v23, v35, v60 :: v_dual_and_b32 v64, 0xffff, v38
	s_wait_dscnt 0x0
	v_dual_fmac_f32 v24, v36, v61 :: v_dual_and_b32 v63, 0xffff, v62
	;; [unrolled: 17-line block ×3, first 2 shown]
	v_lshrrev_b32_e32 v64, 16, v64
	;;#ASMSTART
	v_cvt_f32_f16 v39, v65;
	;;#ASMEND
	;;#ASMSTART
	v_cvt_f32_f16 v40, v64;
	;;#ASMEND
	;; [unrolled: 3-line block ×4, first 2 shown]
	ds_load_b32 v66, v16 offset:40
	v_dual_fmac_f32 v23, v39, v64 :: v_dual_fmac_f32 v24, v40, v65
	s_wait_dscnt 0x0
	v_and_b32_e32 v67, 0xffff, v66
	v_lshrrev_b32_e32 v66, 16, v66
	;;#ASMSTART
	v_cvt_f32_f16 v41, v67;
	;;#ASMEND
	;;#ASMSTART
	v_cvt_f32_f16 v42, v66;
	;;#ASMEND
	;; [unrolled: 3-line block ×4, first 2 shown]
	ds_load_b32 v68, v16 offset:44
	v_dual_fmac_f32 v23, v41, v66 :: v_dual_and_b32 v22, 0xffff, v44
	s_wait_dscnt 0x0
	v_dual_fmac_f32 v24, v42, v67 :: v_dual_and_b32 v1, 0xffff, v68
	v_lshrrev_b32_e32 v21, 16, v68
	;;#ASMSTART
	v_cvt_f32_f16 v1, v1;
	;;#ASMEND
	;;#ASMSTART
	v_cvt_f32_f16 v21, v21;
	;;#ASMEND
	;; [unrolled: 3-line block ×4, first 2 shown]
	ds_load_b32 v26, v16 offset:48
	v_dual_fmac_f32 v23, v1, v22 :: v_dual_and_b32 v32, 0xffff, v7
	v_dual_fmac_f32 v24, v21, v25 :: v_dual_and_b32 v21, 0xffff, v8
	s_wait_dscnt 0x0
	v_and_b32_e32 v28, 0xffff, v26
	v_lshrrev_b32_e32 v30, 16, v26
	;;#ASMSTART
	v_cvt_f32_f16 v26, v28;
	;;#ASMEND
	;;#ASMSTART
	v_cvt_f32_f16 v27, v30;
	;;#ASMEND
	;; [unrolled: 3-line block ×4, first 2 shown]
	ds_load_b32 v30, v16 offset:52
	v_xor_b32_e32 v31, 2, v15
	v_dual_fmac_f32 v23, v26, v28 :: v_dual_fmac_f32 v24, v27, v29
	s_delay_alu instid0(VALU_DEP_2) | instskip(SKIP_1) | instid1(VALU_DEP_1)
	v_cmp_gt_i32_e64 s4, 32, v31
	s_wait_alu 0xf1ff
	v_cndmask_b32_e64 v7, v15, v31, s4
	s_wait_dscnt 0x0
	v_and_b32_e32 v1, 0xffff, v30
	v_lshrrev_b32_e32 v20, 16, v30
	;;#ASMSTART
	v_cvt_f32_f16 v1, v1;
	;;#ASMEND
	;;#ASMSTART
	v_cvt_f32_f16 v8, v20;
	;;#ASMEND
	;; [unrolled: 3-line block ×4, first 2 shown]
	v_dual_fmac_f32 v23, v1, v20 :: v_dual_fmac_f32 v24, v8, v21
	v_lshlrev_b32_e32 v1, 2, v7
	v_xor_b32_e32 v8, 1, v15
	s_delay_alu instid0(VALU_DEP_3) | instskip(NEXT) | instid1(VALU_DEP_2)
	v_add_f32_e32 v7, v23, v24
	v_cmp_gt_i32_e64 s4, 32, v8
	ds_bpermute_b32 v1, v1, v7
	s_wait_alu 0xf1ff
	v_cndmask_b32_e64 v8, v15, v8, s4
	s_wait_dscnt 0x0
	v_add_f32_e32 v1, v7, v1
	s_delay_alu instid0(VALU_DEP_2)
	v_lshlrev_b32_e32 v7, 2, v8
	ds_bpermute_b32 v7, v7, v1
	s_and_saveexec_b32 s5, vcc_lo
	s_cbranch_execz .LBB256_9
; %bb.235:                              ;   in Loop: Header=BB256_10 Depth=1
	s_wait_dscnt 0x0
	v_dual_add_f32 v1, v1, v7 :: v_dual_add_nc_u32 v8, s25, v17
	v_cmp_gt_i32_e64 s4, s27, v17
	s_delay_alu instid0(VALU_DEP_2) | instskip(NEXT) | instid1(VALU_DEP_1)
	v_cvt_f32_i32_e32 v8, v8
	v_mul_f32_e32 v8, s6, v8
	s_delay_alu instid0(VALU_DEP_1) | instskip(SKIP_1) | instid1(VALU_DEP_2)
	v_cndmask_b32_e64 v7, 0, v8, s3
	v_max_num_f32_e32 v8, v13, v13
	v_fmac_f32_e32 v7, s7, v1
	s_delay_alu instid0(VALU_DEP_1) | instskip(SKIP_2) | instid1(VALU_DEP_2)
	v_max_num_f32_e32 v1, v8, v7
	s_wait_alu 0xf1ff
	v_cndmask_b32_e64 v7, 0, v7, s4
	v_cndmask_b32_e64 v13, v13, v1, s4
	ds_store_b32 v18, v7
	s_branch .LBB256_9
.LBB256_236:
	s_or_b32 exec_lo, exec_lo, s14
.LBB256_237:
	s_delay_alu instid0(SALU_CYCLE_1)
	s_or_b32 exec_lo, exec_lo, s24
	v_xor_b32_e32 v1, 16, v15
	v_xor_b32_e32 v4, 8, v15
	;; [unrolled: 1-line block ×3, first 2 shown]
	s_load_b128 s[4:7], s[0:1], 0x0
	s_wait_kmcnt 0x0
	s_clause 0x1
	s_load_b64 s[8:9], s[0:1], 0x10
	s_load_b64 s[24:25], s[0:1], 0x28
	v_cmp_lt_i32_e32 vcc_lo, v1, v14
	v_cndmask_b32_e32 v1, v15, v1, vcc_lo
	v_cmp_lt_i32_e32 vcc_lo, v4, v14
	s_wait_alu 0xfffd
	v_dual_max_num_f32 v5, v13, v13 :: v_dual_cndmask_b32 v4, v15, v4
	v_cmp_lt_i32_e32 vcc_lo, v6, v14
	s_delay_alu instid0(VALU_DEP_2)
	v_lshlrev_b32_e32 v4, 2, v4
	s_wait_alu 0xfffd
	v_dual_cndmask_b32 v6, v15, v6 :: v_dual_lshlrev_b32 v3, 2, v1
	ds_bpermute_b32 v1, v3, v13
	s_wait_dscnt 0x1
	v_lshlrev_b32_e32 v7, 2, v6
	v_and_b32_e32 v13, 31, v0
	s_delay_alu instid0(VALU_DEP_1) | instskip(SKIP_2) | instid1(VALU_DEP_1)
	v_cmp_eq_u32_e32 vcc_lo, 0, v13
	s_wait_dscnt 0x0
	v_max_num_f32_e32 v1, v1, v1
	v_max_num_f32_e32 v1, v5, v1
	ds_bpermute_b32 v5, v4, v1
	s_wait_dscnt 0x0
	v_max_num_f32_e32 v5, v5, v5
	s_delay_alu instid0(VALU_DEP_1)
	v_max_num_f32_e32 v1, v1, v5
	v_lshlrev_b32_e32 v5, 2, v11
	ds_bpermute_b32 v6, v7, v1
	s_and_saveexec_b32 s0, vcc_lo
	s_cbranch_execz .LBB256_239
; %bb.238:
	s_wait_dscnt 0x0
	v_dual_max_num_f32 v6, v6, v6 :: v_dual_max_num_f32 v1, v1, v1
	s_delay_alu instid0(VALU_DEP_1)
	v_max_num_f32_e32 v1, v1, v6
	ds_store_b32 v5, v1 offset:224
.LBB256_239:
	s_or_b32 exec_lo, exec_lo, s0
	v_cmp_gt_u32_e64 s0, 4, v13
	s_wait_dscnt 0x0
	v_dual_mov_b32 v1, 0xff7fffff :: v_dual_lshlrev_b32 v6, 2, v13
	s_wait_loadcnt 0x0
	s_barrier_signal -1
	s_barrier_wait -1
	global_inv scope:SCOPE_SE
	s_and_saveexec_b32 s1, s0
; %bb.240:
	ds_load_b32 v1, v6 offset:224
; %bb.241:
	s_or_b32 exec_lo, exec_lo, s1
	v_xor_b32_e32 v8, 2, v15
	v_xor_b32_e32 v17, 1, v15
	v_lshlrev_b32_e32 v2, 2, v2
	s_delay_alu instid0(VALU_DEP_3) | instskip(NEXT) | instid1(VALU_DEP_1)
	v_cmp_lt_i32_e64 s1, v8, v14
	v_cndmask_b32_e64 v8, v15, v8, s1
	s_delay_alu instid0(VALU_DEP_4) | instskip(NEXT) | instid1(VALU_DEP_2)
	v_cmp_lt_i32_e64 s1, v17, v14
	v_lshlrev_b32_e32 v8, 2, v8
	s_wait_alu 0xf1ff
	s_delay_alu instid0(VALU_DEP_2)
	v_cndmask_b32_e64 v14, v15, v17, s1
	s_sub_co_i32 s1, s17, s31
	s_wait_alu 0xfffe
	s_lshl_b32 s1, s1, 3
	s_wait_dscnt 0x0
	ds_bpermute_b32 v16, v8, v1
	v_max_num_f32_e32 v1, v1, v1
	s_wait_alu 0xfffe
	s_add_co_i32 s1, s1, s28
	s_wait_alu 0xfffe
	s_min_i32 s1, s1, s27
	s_wait_alu 0xfffe
	s_sub_co_i32 s14, s1, s28
	s_delay_alu instid0(SALU_CYCLE_1) | instskip(SKIP_2) | instid1(VALU_DEP_1)
	v_cmp_gt_i32_e64 s1, s14, v0
	s_wait_dscnt 0x0
	v_dual_max_num_f32 v17, v16, v16 :: v_dual_lshlrev_b32 v16, 2, v14
	v_max_num_f32_e32 v1, v1, v17
	ds_bpermute_b32 v14, v16, v1
	s_wait_dscnt 0x0
	v_max_num_f32_e32 v14, v14, v14
	s_delay_alu instid0(VALU_DEP_1)
	v_max_num_f32_e32 v1, v1, v14
	v_lshl_add_u32 v14, v0, 2, 0x100
	ds_bpermute_b32 v1, v2, v1
	v_mov_b32_e32 v2, 0
	s_and_saveexec_b32 s23, s1
	s_cbranch_execz .LBB256_245
; %bb.242:
	v_lshl_add_u32 v17, v0, 2, 0x100
	v_mov_b32_e32 v2, 0
	v_mov_b32_e32 v18, v0
	s_mov_b32 s31, 0
.LBB256_243:                            ; =>This Inner Loop Header: Depth=1
	ds_load_b32 v19, v17
	v_add_nc_u32_e32 v18, 0x80, v18
	s_delay_alu instid0(VALU_DEP_1) | instskip(SKIP_4) | instid1(VALU_DEP_1)
	v_cmp_le_i32_e64 s3, s14, v18
	s_wait_alu 0xfffe
	s_or_b32 s31, s3, s31
	s_wait_dscnt 0x0
	v_sub_f32_e32 v19, v19, v1
	v_mul_f32_e32 v19, 0x3fb8aa3b, v19
	s_delay_alu instid0(VALU_DEP_1)
	v_exp_f32_e32 v19, v19
	ds_store_b32 v17, v19
	v_dual_add_f32 v2, v2, v19 :: v_dual_add_nc_u32 v17, 0x200, v17
	s_wait_alu 0xfffe
	s_and_not1_b32 exec_lo, exec_lo, s31
	s_cbranch_execnz .LBB256_243
; %bb.244:
	s_or_b32 exec_lo, exec_lo, s31
.LBB256_245:
	s_wait_alu 0xfffe
	s_or_b32 exec_lo, exec_lo, s23
	ds_bpermute_b32 v3, v3, v2
	s_wait_dscnt 0x0
	v_add_f32_e32 v2, v2, v3
	ds_bpermute_b32 v3, v4, v2
	s_wait_dscnt 0x0
	v_add_f32_e32 v2, v2, v3
	;; [unrolled: 3-line block ×5, first 2 shown]
	s_and_saveexec_b32 s3, vcc_lo
; %bb.246:
	ds_store_b32 v5, v2 offset:240
; %bb.247:
	s_wait_alu 0xfffe
	s_or_b32 exec_lo, exec_lo, s3
	s_wait_loadcnt_dscnt 0x0
	s_barrier_signal -1
	s_barrier_wait -1
	global_inv scope:SCOPE_SE
	s_and_saveexec_b32 s3, s0
; %bb.248:
	ds_load_b32 v2, v6 offset:240
; %bb.249:
	s_wait_alu 0xfffe
	s_or_b32 exec_lo, exec_lo, s3
	s_wait_dscnt 0x0
	ds_bpermute_b32 v3, v8, v2
	v_lshlrev_b32_e32 v4, 2, v15
	s_wait_dscnt 0x0
	v_add_f32_e32 v2, v2, v3
	ds_bpermute_b32 v3, v16, v2
	s_wait_dscnt 0x0
	v_dual_add_f32 v2, v2, v3 :: v_dual_and_b32 v3, 0xffffff80, v4
	ds_bpermute_b32 v2, v3, v2
	s_and_saveexec_b32 s0, s1
	s_cbranch_execz .LBB256_252
; %bb.250:
	s_wait_dscnt 0x0
	v_add_f32_e32 v4, 0x358637bd, v2
	s_mov_b32 s1, 0
	s_delay_alu instid0(VALU_DEP_1) | instskip(NEXT) | instid1(VALU_DEP_1)
	v_div_scale_f32 v3, null, v4, v4, 1.0
	v_rcp_f32_e32 v5, v3
	s_delay_alu instid0(TRANS32_DEP_1) | instskip(NEXT) | instid1(VALU_DEP_1)
	v_fma_f32 v6, -v3, v5, 1.0
	v_fmac_f32_e32 v5, v6, v5
	v_div_scale_f32 v7, vcc_lo, 1.0, v4, 1.0
	s_delay_alu instid0(VALU_DEP_1) | instskip(NEXT) | instid1(VALU_DEP_1)
	v_mul_f32_e32 v6, v7, v5
	v_fma_f32 v8, -v3, v6, v7
	s_delay_alu instid0(VALU_DEP_1) | instskip(NEXT) | instid1(VALU_DEP_1)
	v_fmac_f32_e32 v6, v8, v5
	v_fma_f32 v3, -v3, v6, v7
	s_wait_alu 0xfffd
	s_delay_alu instid0(VALU_DEP_1) | instskip(SKIP_1) | instid1(VALU_DEP_2)
	v_div_fmas_f32 v5, v3, v5, v6
	v_mov_b32_e32 v3, v14
	v_div_fixup_f32 v4, v5, v4, 1.0
	v_mov_b32_e32 v5, v0
.LBB256_251:                            ; =>This Inner Loop Header: Depth=1
	ds_load_b32 v6, v3
	s_wait_dscnt 0x0
	v_dual_mul_f32 v6, v4, v6 :: v_dual_add_nc_u32 v5, 0x80, v5
	s_delay_alu instid0(VALU_DEP_1)
	v_cmp_le_i32_e32 vcc_lo, s14, v5
	ds_store_b32 v3, v6
	v_add_nc_u32_e32 v3, 0x200, v3
	s_wait_alu 0xfffe
	s_or_b32 s1, vcc_lo, s1
	s_wait_alu 0xfffe
	s_and_not1_b32 exec_lo, exec_lo, s1
	s_cbranch_execnz .LBB256_251
.LBB256_252:
	s_wait_alu 0xfffe
	s_or_b32 exec_lo, exec_lo, s0
	s_mul_i32 s0, s12, s15
	s_wait_loadcnt_dscnt 0x0
	s_wait_alu 0xfffe
	s_mul_i32 s14, s0, s29
	s_mov_b32 s0, exec_lo
	s_barrier_signal -1
	s_barrier_wait -1
	global_inv scope:SCOPE_SE
	v_cmpx_eq_u32_e32 0, v0
	s_cbranch_execz .LBB256_254
; %bb.253:
	s_wait_alu 0xfffe
	s_ashr_i32 s15, s14, 31
	s_mul_i32 s34, s12, ttmp9
	s_lshl_b32 s1, s26, 2
	s_wait_alu 0xfffe
	s_lshl_b64 s[36:37], s[14:15], 2
	s_ashr_i32 s35, s34, 31
	v_mov_b32_e32 v3, s1
	s_add_nc_u64 s[6:7], s[6:7], s[36:37]
	s_wait_alu 0xfffe
	s_lshl_b64 s[34:35], s[34:35], 2
	s_add_nc_u64 s[4:5], s[4:5], s[36:37]
	s_wait_alu 0xfffe
	s_add_nc_u64 s[6:7], s[6:7], s[34:35]
	s_add_nc_u64 s[4:5], s[4:5], s[34:35]
	s_clause 0x1
	global_store_b32 v3, v1, s[6:7]
	global_store_b32 v3, v2, s[4:5]
.LBB256_254:
	s_wait_alu 0xfffe
	s_or_b32 exec_lo, exec_lo, s0
	v_dual_mov_b32 v18, 0 :: v_dual_mov_b32 v17, 0
	v_dual_mov_b32 v16, 0 :: v_dual_mov_b32 v15, 0
	s_and_saveexec_b32 s6, s2
	s_cbranch_execz .LBB256_524
; %bb.255:
	s_lshl_b64 s[0:1], s[18:19], 2
	v_or_b32_e32 v1, 0x60, v13
	s_wait_alu 0xfffe
	s_add_nc_u64 s[0:1], s[20:21], s[0:1]
	v_dual_mov_b32 v2, 0 :: v_dual_lshlrev_b32 v19, 3, v13
	s_wait_alu 0xfffe
	v_add_co_u32 v3, s0, s0, v9
	v_dual_mov_b32 v15, 0 :: v_dual_lshlrev_b32 v20, 3, v1
	v_add3_u32 v21, s28, v10, 7
	v_lshl_add_u32 v22, v11, 5, 0x100
	s_wait_alu 0xf1ff
	v_add_co_ci_u32_e64 v4, null, s1, 0, s0
	v_dual_mov_b32 v16, 0 :: v_dual_mov_b32 v17, 0
	v_mov_b32_e32 v18, 0
	s_ashr_i32 s23, s22, 31
	s_mov_b32 s4, -1
	s_mov_b32 s7, s13
	s_wait_kmcnt 0x0
	s_wait_alu 0xfffe
	s_add_nc_u64 s[2:3], s[24:25], s[22:23]
	s_mov_b32 s5, 0xffffff
	s_add_co_i32 s30, s30, -1
	s_mov_b32 s13, 0
	v_cmp_gt_u32_e32 vcc_lo, 0x70, v1
	s_branch .LBB256_258
.LBB256_256:                            ;   in Loop: Header=BB256_258 Depth=1
	s_wait_alu 0xfffe
	s_or_b32 exec_lo, exec_lo, s1
	;;#ASMSTART
	v_pk_mul_f16 v1, v29, v37;

	;;#ASMEND
	;;#ASMSTART
	v_pk_mul_f16 v5, v28, v36;

	;;#ASMEND
	;; [unrolled: 4-line block ×4, first 2 shown]
	;;#ASMSTART
	v_pk_add_f16 v1, v1, v5;

	;;#ASMEND
	;;#ASMSTART
	v_pk_add_f16 v1, v1, v6;

	;;#ASMEND
	;; [unrolled: 4-line block ×3, first 2 shown]
	v_and_b32_e32 v5, 0xffff, v1
	v_lshrrev_b32_e32 v6, 16, v1
	;;#ASMSTART
	v_cvt_f32_f16 v1, v5;
	;;#ASMEND
	;;#ASMSTART
	v_cvt_f32_f16 v5, v6;
	;;#ASMEND
	s_delay_alu instid0(VALU_DEP_2) | instskip(NEXT) | instid1(VALU_DEP_1)
	v_add_f32_e32 v1, v1, v5
	v_add_f32_e32 v15, v15, v1
.LBB256_257:                            ;   in Loop: Header=BB256_258 Depth=1
	s_wait_alu 0xfffe
	s_or_b32 exec_lo, exec_lo, s15
	v_dual_add_f32 v5, v9, v10 :: v_dual_add_nc_u32 v12, 4, v12
	v_dual_add_f32 v1, v7, v8 :: v_dual_add_f32 v6, v24, v25
	v_add_co_u32 v3, s1, v3, 16
	s_delay_alu instid0(VALU_DEP_3) | instskip(NEXT) | instid1(VALU_DEP_3)
	v_cmp_le_i32_e64 s0, s17, v12
	v_add_f32_e32 v16, v16, v1
	s_delay_alu instid0(VALU_DEP_4)
	v_dual_add_f32 v17, v17, v5 :: v_dual_add_f32 v18, v18, v6
	v_add_nc_u32_e32 v21, 32, v21
	v_add_nc_u32_e32 v22, 0x80, v22
	s_wait_alu 0xf1ff
	v_add_co_ci_u32_e64 v4, null, 0, v4, s1
	s_or_b32 s13, s0, s13
	s_delay_alu instid0(SALU_CYCLE_1)
	s_and_not1_b32 exec_lo, exec_lo, s13
	s_cbranch_execz .LBB256_523
.LBB256_258:                            ; =>This Inner Loop Header: Depth=1
	global_load_b32 v1, v[3:4], off
	ds_load_2addr_b64 v[7:10], v22 offset1:1
	ds_load_2addr_b64 v[29:32], v22 offset0:2 offset1:3
	v_mov_b32_e32 v33, 0
	s_mov_b32 s1, exec_lo
	s_wait_dscnt 0x1
	;;#ASMSTART
	v_cvt_f16_f32 v27, v7;

	;;#ASMEND
	;;#ASMSTART
	v_cvt_f16_f32 v24, v8;

	;;#ASMEND
	;; [unrolled: 4-line block ×4, first 2 shown]
	s_wait_dscnt 0x0
	;;#ASMSTART
	v_cvt_f16_f32 v29, v29;

	;;#ASMEND
	;;#ASMSTART
	v_cvt_f16_f32 v26, v30;

	;;#ASMEND
	;; [unrolled: 4-line block ×4, first 2 shown]
	s_wait_loadcnt 0x0
	s_wait_alu 0xfffe
	v_mad_co_i64_i32 v[5:6], null, v1, s7, s[2:3]
	s_delay_alu instid0(VALU_DEP_1) | instskip(SKIP_1) | instid1(VALU_DEP_2)
	v_add_co_u32 v7, s0, v5, v19
	s_wait_alu 0xf1ff
	v_add_co_ci_u32_e64 v8, null, 0, v6, s0
	global_load_b64 v[9:10], v[7:8], off
	global_load_b32 v32, v2, s[10:11]
	s_wait_loadcnt 0x1
	v_and_b32_e32 v1, 0xff, v9
	s_delay_alu instid0(VALU_DEP_1)
	v_cmpx_ne_u16_e32 0, v1
	s_cbranch_execz .LBB256_266
; %bb.259:                              ;   in Loop: Header=BB256_258 Depth=1
	v_mov_b32_e32 v33, 0x8000
	s_mov_b32 s15, exec_lo
	v_cmpx_ne_u16_e32 0x80, v1
	s_cbranch_execz .LBB256_265
; %bb.260:                              ;   in Loop: Header=BB256_258 Depth=1
	v_and_b32_e32 v34, 0x7f, v9
	v_mov_b32_e32 v33, 0x7c01
	s_mov_b32 s18, exec_lo
	s_delay_alu instid0(VALU_DEP_2)
	v_cmpx_ne_u32_e32 0x7f, v34
	s_cbranch_execz .LBB256_264
; %bb.261:                              ;   in Loop: Header=BB256_258 Depth=1
	v_and_b32_e32 v1, 7, v9
	v_lshrrev_b32_e32 v23, 3, v34
	s_mov_b32 s19, exec_lo
	v_cmpx_gt_u32_e32 8, v34
; %bb.262:                              ;   in Loop: Header=BB256_258 Depth=1
	s_delay_alu instid0(VALU_DEP_3) | instskip(NEXT) | instid1(VALU_DEP_1)
	v_clz_i32_u32_e32 v1, v1
	v_min_u32_e32 v1, 32, v1
	s_delay_alu instid0(VALU_DEP_1) | instskip(NEXT) | instid1(VALU_DEP_1)
	v_subrev_nc_u32_e32 v23, 28, v1
	v_lshlrev_b64_e32 v[33:34], v23, v[9:10]
	v_sub_nc_u32_e32 v23, 29, v1
	s_delay_alu instid0(VALU_DEP_2)
	v_and_b32_e32 v1, 7, v33
; %bb.263:                              ;   in Loop: Header=BB256_258 Depth=1
	s_or_b32 exec_lo, exec_lo, s19
	v_lshlrev_b32_e32 v33, 8, v9
	s_delay_alu instid0(VALU_DEP_3) | instskip(NEXT) | instid1(VALU_DEP_3)
	v_lshl_add_u32 v23, v23, 10, 0x2000
	v_lshlrev_b32_e32 v1, 7, v1
	s_delay_alu instid0(VALU_DEP_3) | instskip(NEXT) | instid1(VALU_DEP_3)
	v_and_b32_e32 v33, 0x8000, v33
	v_and_b32_e32 v23, 0xfc00, v23
	s_delay_alu instid0(VALU_DEP_1)
	v_or3_b32 v33, v33, v23, v1
.LBB256_264:                            ;   in Loop: Header=BB256_258 Depth=1
	s_or_b32 exec_lo, exec_lo, s18
.LBB256_265:                            ;   in Loop: Header=BB256_258 Depth=1
	s_wait_alu 0xfffe
	s_or_b32 exec_lo, exec_lo, s15
.LBB256_266:                            ;   in Loop: Header=BB256_258 Depth=1
	s_delay_alu instid0(SALU_CYCLE_1) | instskip(SKIP_3) | instid1(VALU_DEP_2)
	s_or_b32 exec_lo, exec_lo, s1
	v_lshrrev_b16 v1, 8, v9
	v_dual_mov_b32 v23, 0 :: v_dual_mov_b32 v34, 0
	s_mov_b32 s1, exec_lo
	v_cmpx_ne_u16_e32 0, v1
	s_cbranch_execz .LBB256_274
; %bb.267:                              ;   in Loop: Header=BB256_258 Depth=1
	v_bfrev_b32_e32 v34, 1
	s_mov_b32 s15, exec_lo
	v_cmpx_ne_u16_e32 0x80, v1
	s_cbranch_execz .LBB256_273
; %bb.268:                              ;   in Loop: Header=BB256_258 Depth=1
	v_and_b32_e32 v35, 0xffff, v1
	v_mov_b32_e32 v34, 0x7c010000
	s_mov_b32 s18, exec_lo
	s_delay_alu instid0(VALU_DEP_2) | instskip(NEXT) | instid1(VALU_DEP_1)
	v_and_b32_e32 v37, 0x7f, v35
	v_cmpx_ne_u32_e32 0x7f, v37
	s_cbranch_execz .LBB256_272
; %bb.269:                              ;   in Loop: Header=BB256_258 Depth=1
	v_and_b32_e32 v34, 7, v35
	v_lshrrev_b32_e32 v36, 3, v37
	s_mov_b32 s19, exec_lo
	v_cmpx_gt_u32_e32 8, v37
; %bb.270:                              ;   in Loop: Header=BB256_258 Depth=1
	s_delay_alu instid0(VALU_DEP_3) | instskip(NEXT) | instid1(VALU_DEP_1)
	v_clz_i32_u32_e32 v34, v34
	v_min_u32_e32 v34, 32, v34
	s_delay_alu instid0(VALU_DEP_1) | instskip(NEXT) | instid1(VALU_DEP_1)
	v_subrev_nc_u32_e32 v36, 28, v34
	v_lshlrev_b64_e32 v[37:38], v36, v[1:2]
	v_sub_nc_u32_e32 v36, 29, v34
	s_delay_alu instid0(VALU_DEP_2)
	v_and_b32_e32 v34, 7, v37
; %bb.271:                              ;   in Loop: Header=BB256_258 Depth=1
	s_or_b32 exec_lo, exec_lo, s19
	v_lshlrev_b32_e32 v1, 8, v35
	s_delay_alu instid0(VALU_DEP_3) | instskip(NEXT) | instid1(VALU_DEP_3)
	v_lshl_add_u32 v35, v36, 10, 0x2000
	v_lshlrev_b32_e32 v34, 23, v34
	s_delay_alu instid0(VALU_DEP_2) | instskip(NEXT) | instid1(VALU_DEP_1)
	v_and_or_b32 v1, 0x8000, v1, v35
	v_lshl_or_b32 v34, v1, 16, v34
.LBB256_272:                            ;   in Loop: Header=BB256_258 Depth=1
	s_or_b32 exec_lo, exec_lo, s18
.LBB256_273:                            ;   in Loop: Header=BB256_258 Depth=1
	s_wait_alu 0xfffe
	s_or_b32 exec_lo, exec_lo, s15
.LBB256_274:                            ;   in Loop: Header=BB256_258 Depth=1
	s_wait_alu 0xfffe
	s_or_b32 exec_lo, exec_lo, s1
	v_lshrrev_b32_e32 v1, 16, v9
	s_mov_b32 s1, exec_lo
	s_delay_alu instid0(VALU_DEP_1) | instskip(NEXT) | instid1(VALU_DEP_1)
	v_and_b32_e32 v35, 0xff, v1
	v_cmpx_ne_u16_e32 0, v35
	s_cbranch_execz .LBB256_282
; %bb.275:                              ;   in Loop: Header=BB256_258 Depth=1
	v_mov_b32_e32 v23, 0x8000
	s_mov_b32 s15, exec_lo
	v_cmpx_ne_u16_e32 0x80, v35
	s_cbranch_execz .LBB256_281
; %bb.276:                              ;   in Loop: Header=BB256_258 Depth=1
	v_bfe_u32 v36, v9, 16, 7
	v_mov_b32_e32 v23, 0x7c01
	s_mov_b32 s18, exec_lo
	s_delay_alu instid0(VALU_DEP_2)
	v_cmpx_ne_u32_e32 0x7f, v36
	s_cbranch_execz .LBB256_280
; %bb.277:                              ;   in Loop: Header=BB256_258 Depth=1
	v_and_b32_e32 v23, 7, v1
	v_lshrrev_b32_e32 v35, 3, v36
	s_mov_b32 s19, exec_lo
	v_cmpx_gt_u32_e32 8, v36
; %bb.278:                              ;   in Loop: Header=BB256_258 Depth=1
	s_delay_alu instid0(VALU_DEP_3) | instskip(NEXT) | instid1(VALU_DEP_1)
	v_clz_i32_u32_e32 v23, v23
	v_min_u32_e32 v23, 32, v23
	s_delay_alu instid0(VALU_DEP_1) | instskip(NEXT) | instid1(VALU_DEP_1)
	v_subrev_nc_u32_e32 v35, 28, v23
	v_lshlrev_b64_e32 v[36:37], v35, v[1:2]
	v_sub_nc_u32_e32 v35, 29, v23
	s_delay_alu instid0(VALU_DEP_2)
	v_and_b32_e32 v23, 7, v36
; %bb.279:                              ;   in Loop: Header=BB256_258 Depth=1
	s_or_b32 exec_lo, exec_lo, s19
	v_lshlrev_b32_e32 v1, 8, v1
	s_delay_alu instid0(VALU_DEP_3) | instskip(NEXT) | instid1(VALU_DEP_3)
	v_lshl_add_u32 v35, v35, 10, 0x2000
	v_lshlrev_b32_e32 v23, 7, v23
	s_delay_alu instid0(VALU_DEP_3) | instskip(NEXT) | instid1(VALU_DEP_3)
	v_and_b32_e32 v1, 0x8000, v1
	v_and_b32_e32 v35, 0xfc00, v35
	s_delay_alu instid0(VALU_DEP_1)
	v_or3_b32 v23, v1, v35, v23
.LBB256_280:                            ;   in Loop: Header=BB256_258 Depth=1
	s_or_b32 exec_lo, exec_lo, s18
.LBB256_281:                            ;   in Loop: Header=BB256_258 Depth=1
	s_wait_alu 0xfffe
	s_or_b32 exec_lo, exec_lo, s15
.LBB256_282:                            ;   in Loop: Header=BB256_258 Depth=1
	s_wait_alu 0xfffe
	s_or_b32 exec_lo, exec_lo, s1
	v_dual_mov_b32 v35, 0 :: v_dual_mov_b32 v36, 0
	s_mov_b32 s1, exec_lo
	v_cmpx_lt_u32_e32 0xffffff, v9
	s_cbranch_execz .LBB256_290
; %bb.283:                              ;   in Loop: Header=BB256_258 Depth=1
	v_lshrrev_b32_e32 v1, 24, v9
	v_bfrev_b32_e32 v36, 1
	s_mov_b32 s15, exec_lo
	s_delay_alu instid0(VALU_DEP_2)
	v_cmpx_ne_u32_e32 0x80, v1
	s_cbranch_execz .LBB256_289
; %bb.284:                              ;   in Loop: Header=BB256_258 Depth=1
	v_and_b32_e32 v38, 0x7f, v1
	v_mov_b32_e32 v36, 0x7c010000
	s_mov_b32 s18, exec_lo
	s_delay_alu instid0(VALU_DEP_2)
	v_cmpx_ne_u32_e32 0x7f, v38
	s_cbranch_execz .LBB256_288
; %bb.285:                              ;   in Loop: Header=BB256_258 Depth=1
	v_and_b32_e32 v36, 7, v1
	v_lshrrev_b32_e32 v37, 3, v38
	s_mov_b32 s19, exec_lo
	v_cmpx_gt_u32_e32 8, v38
; %bb.286:                              ;   in Loop: Header=BB256_258 Depth=1
	s_delay_alu instid0(VALU_DEP_3) | instskip(NEXT) | instid1(VALU_DEP_1)
	v_clz_i32_u32_e32 v36, v36
	v_min_u32_e32 v38, 32, v36
	s_delay_alu instid0(VALU_DEP_1) | instskip(NEXT) | instid1(VALU_DEP_1)
	v_subrev_nc_u32_e32 v36, 28, v38
	v_lshlrev_b64_e32 v[36:37], v36, v[1:2]
	v_sub_nc_u32_e32 v37, 29, v38
	s_delay_alu instid0(VALU_DEP_2)
	v_and_b32_e32 v36, 7, v36
; %bb.287:                              ;   in Loop: Header=BB256_258 Depth=1
	s_or_b32 exec_lo, exec_lo, s19
	v_lshlrev_b32_e32 v1, 8, v1
	s_delay_alu instid0(VALU_DEP_3) | instskip(NEXT) | instid1(VALU_DEP_3)
	v_lshl_add_u32 v37, v37, 10, 0x2000
	v_lshlrev_b32_e32 v36, 23, v36
	s_delay_alu instid0(VALU_DEP_2) | instskip(NEXT) | instid1(VALU_DEP_1)
	v_and_or_b32 v1, 0x8000, v1, v37
	v_lshl_or_b32 v36, v1, 16, v36
.LBB256_288:                            ;   in Loop: Header=BB256_258 Depth=1
	s_or_b32 exec_lo, exec_lo, s18
.LBB256_289:                            ;   in Loop: Header=BB256_258 Depth=1
	s_wait_alu 0xfffe
	s_or_b32 exec_lo, exec_lo, s15
.LBB256_290:                            ;   in Loop: Header=BB256_258 Depth=1
	s_wait_alu 0xfffe
	s_or_b32 exec_lo, exec_lo, s1
	v_and_b32_e32 v37, 0xff, v10
	v_mov_b32_e32 v1, v10
	s_mov_b32 s1, exec_lo
	s_delay_alu instid0(VALU_DEP_2)
	v_cmpx_ne_u16_e32 0, v37
	s_cbranch_execz .LBB256_298
; %bb.291:                              ;   in Loop: Header=BB256_258 Depth=1
	v_mov_b32_e32 v35, 0x8000
	s_mov_b32 s15, exec_lo
	v_cmpx_ne_u16_e32 0x80, v37
	s_cbranch_execz .LBB256_297
; %bb.292:                              ;   in Loop: Header=BB256_258 Depth=1
	v_and_b32_e32 v38, 0x7f, v10
	v_mov_b32_e32 v35, 0x7c01
	s_mov_b32 s18, exec_lo
	s_delay_alu instid0(VALU_DEP_2)
	v_cmpx_ne_u32_e32 0x7f, v38
	s_cbranch_execz .LBB256_296
; %bb.293:                              ;   in Loop: Header=BB256_258 Depth=1
	v_and_b32_e32 v35, 7, v10
	v_lshrrev_b32_e32 v37, 3, v38
	s_mov_b32 s19, exec_lo
	v_cmpx_gt_u32_e32 8, v38
; %bb.294:                              ;   in Loop: Header=BB256_258 Depth=1
	s_delay_alu instid0(VALU_DEP_3) | instskip(NEXT) | instid1(VALU_DEP_1)
	v_clz_i32_u32_e32 v35, v35
	v_min_u32_e32 v35, 32, v35
	s_delay_alu instid0(VALU_DEP_1) | instskip(NEXT) | instid1(VALU_DEP_1)
	v_subrev_nc_u32_e32 v37, 28, v35
	v_lshlrev_b64_e32 v[38:39], v37, v[1:2]
	v_sub_nc_u32_e32 v37, 29, v35
	s_delay_alu instid0(VALU_DEP_2)
	v_and_b32_e32 v35, 7, v38
; %bb.295:                              ;   in Loop: Header=BB256_258 Depth=1
	s_or_b32 exec_lo, exec_lo, s19
	v_lshlrev_b32_e32 v38, 8, v10
	s_delay_alu instid0(VALU_DEP_3) | instskip(NEXT) | instid1(VALU_DEP_3)
	v_lshl_add_u32 v37, v37, 10, 0x2000
	v_lshlrev_b32_e32 v35, 7, v35
	s_delay_alu instid0(VALU_DEP_3) | instskip(NEXT) | instid1(VALU_DEP_3)
	v_and_b32_e32 v38, 0x8000, v38
	v_and_b32_e32 v37, 0xfc00, v37
	s_delay_alu instid0(VALU_DEP_1)
	v_or3_b32 v35, v38, v37, v35
.LBB256_296:                            ;   in Loop: Header=BB256_258 Depth=1
	s_or_b32 exec_lo, exec_lo, s18
.LBB256_297:                            ;   in Loop: Header=BB256_258 Depth=1
	s_wait_alu 0xfffe
	s_or_b32 exec_lo, exec_lo, s15
.LBB256_298:                            ;   in Loop: Header=BB256_258 Depth=1
	s_wait_alu 0xfffe
	s_or_b32 exec_lo, exec_lo, s1
	v_lshrrev_b16 v1, 8, v1
	v_dual_mov_b32 v38, 0 :: v_dual_mov_b32 v37, 0
	s_mov_b32 s1, exec_lo
	s_delay_alu instid0(VALU_DEP_2)
	v_cmpx_ne_u16_e32 0, v1
	s_cbranch_execz .LBB256_306
; %bb.299:                              ;   in Loop: Header=BB256_258 Depth=1
	v_bfrev_b32_e32 v37, 1
	s_mov_b32 s15, exec_lo
	v_cmpx_ne_u16_e32 0x80, v1
	s_cbranch_execz .LBB256_305
; %bb.300:                              ;   in Loop: Header=BB256_258 Depth=1
	v_and_b32_e32 v39, 0xffff, v1
	v_mov_b32_e32 v37, 0x7c010000
	s_mov_b32 s18, exec_lo
	s_delay_alu instid0(VALU_DEP_2) | instskip(NEXT) | instid1(VALU_DEP_1)
	v_and_b32_e32 v41, 0x7f, v39
	v_cmpx_ne_u32_e32 0x7f, v41
	s_cbranch_execz .LBB256_304
; %bb.301:                              ;   in Loop: Header=BB256_258 Depth=1
	v_and_b32_e32 v37, 7, v39
	v_lshrrev_b32_e32 v40, 3, v41
	s_mov_b32 s19, exec_lo
	v_cmpx_gt_u32_e32 8, v41
; %bb.302:                              ;   in Loop: Header=BB256_258 Depth=1
	s_delay_alu instid0(VALU_DEP_3) | instskip(NEXT) | instid1(VALU_DEP_1)
	v_clz_i32_u32_e32 v37, v37
	v_min_u32_e32 v37, 32, v37
	s_delay_alu instid0(VALU_DEP_1) | instskip(NEXT) | instid1(VALU_DEP_1)
	v_subrev_nc_u32_e32 v40, 28, v37
	v_lshlrev_b64_e32 v[41:42], v40, v[1:2]
	v_sub_nc_u32_e32 v40, 29, v37
	s_delay_alu instid0(VALU_DEP_2)
	v_and_b32_e32 v37, 7, v41
; %bb.303:                              ;   in Loop: Header=BB256_258 Depth=1
	s_or_b32 exec_lo, exec_lo, s19
	v_lshlrev_b32_e32 v1, 8, v39
	s_delay_alu instid0(VALU_DEP_3) | instskip(NEXT) | instid1(VALU_DEP_3)
	v_lshl_add_u32 v39, v40, 10, 0x2000
	v_lshlrev_b32_e32 v37, 23, v37
	s_delay_alu instid0(VALU_DEP_2) | instskip(NEXT) | instid1(VALU_DEP_1)
	v_and_or_b32 v1, 0x8000, v1, v39
	v_lshl_or_b32 v37, v1, 16, v37
.LBB256_304:                            ;   in Loop: Header=BB256_258 Depth=1
	s_or_b32 exec_lo, exec_lo, s18
.LBB256_305:                            ;   in Loop: Header=BB256_258 Depth=1
	s_wait_alu 0xfffe
	s_or_b32 exec_lo, exec_lo, s15
.LBB256_306:                            ;   in Loop: Header=BB256_258 Depth=1
	s_wait_alu 0xfffe
	s_or_b32 exec_lo, exec_lo, s1
	v_lshrrev_b32_e32 v1, 16, v10
	s_mov_b32 s1, exec_lo
	s_delay_alu instid0(VALU_DEP_1) | instskip(NEXT) | instid1(VALU_DEP_1)
	v_and_b32_e32 v39, 0xff, v1
	v_cmpx_ne_u16_e32 0, v39
	s_cbranch_execz .LBB256_314
; %bb.307:                              ;   in Loop: Header=BB256_258 Depth=1
	v_mov_b32_e32 v38, 0x8000
	s_mov_b32 s15, exec_lo
	v_cmpx_ne_u16_e32 0x80, v39
	s_cbranch_execz .LBB256_313
; %bb.308:                              ;   in Loop: Header=BB256_258 Depth=1
	v_bfe_u32 v40, v10, 16, 7
	v_mov_b32_e32 v38, 0x7c01
	s_mov_b32 s18, exec_lo
	s_delay_alu instid0(VALU_DEP_2)
	v_cmpx_ne_u32_e32 0x7f, v40
	s_cbranch_execz .LBB256_312
; %bb.309:                              ;   in Loop: Header=BB256_258 Depth=1
	v_and_b32_e32 v38, 7, v1
	v_lshrrev_b32_e32 v39, 3, v40
	s_mov_b32 s19, exec_lo
	v_cmpx_gt_u32_e32 8, v40
; %bb.310:                              ;   in Loop: Header=BB256_258 Depth=1
	s_delay_alu instid0(VALU_DEP_3) | instskip(NEXT) | instid1(VALU_DEP_1)
	v_clz_i32_u32_e32 v38, v38
	v_min_u32_e32 v40, 32, v38
	s_delay_alu instid0(VALU_DEP_1) | instskip(NEXT) | instid1(VALU_DEP_1)
	v_subrev_nc_u32_e32 v38, 28, v40
	v_lshlrev_b64_e32 v[38:39], v38, v[1:2]
	v_sub_nc_u32_e32 v39, 29, v40
	s_delay_alu instid0(VALU_DEP_2)
	v_and_b32_e32 v38, 7, v38
; %bb.311:                              ;   in Loop: Header=BB256_258 Depth=1
	s_or_b32 exec_lo, exec_lo, s19
	v_lshlrev_b32_e32 v1, 8, v1
	s_delay_alu instid0(VALU_DEP_3) | instskip(NEXT) | instid1(VALU_DEP_3)
	v_lshl_add_u32 v39, v39, 10, 0x2000
	v_lshlrev_b32_e32 v38, 7, v38
	s_delay_alu instid0(VALU_DEP_3) | instskip(NEXT) | instid1(VALU_DEP_3)
	v_and_b32_e32 v1, 0x8000, v1
	v_and_b32_e32 v39, 0xfc00, v39
	s_delay_alu instid0(VALU_DEP_1)
	v_or3_b32 v38, v1, v39, v38
.LBB256_312:                            ;   in Loop: Header=BB256_258 Depth=1
	s_or_b32 exec_lo, exec_lo, s18
.LBB256_313:                            ;   in Loop: Header=BB256_258 Depth=1
	s_wait_alu 0xfffe
	s_or_b32 exec_lo, exec_lo, s15
.LBB256_314:                            ;   in Loop: Header=BB256_258 Depth=1
	s_wait_alu 0xfffe
	s_or_b32 exec_lo, exec_lo, s1
	v_cmp_lt_u64_e64 s0, s[4:5], v[9:10]
	v_mov_b32_e32 v9, 0
	s_and_saveexec_b32 s1, s0
	s_cbranch_execz .LBB256_322
; %bb.315:                              ;   in Loop: Header=BB256_258 Depth=1
	v_lshrrev_b32_e32 v1, 24, v10
	v_bfrev_b32_e32 v9, 1
	s_mov_b32 s15, exec_lo
	s_delay_alu instid0(VALU_DEP_2)
	v_cmpx_ne_u32_e32 0x80, v1
	s_cbranch_execz .LBB256_321
; %bb.316:                              ;   in Loop: Header=BB256_258 Depth=1
	v_and_b32_e32 v39, 0x7f, v1
	v_mov_b32_e32 v9, 0x7c010000
	s_mov_b32 s18, exec_lo
	s_delay_alu instid0(VALU_DEP_2)
	v_cmpx_ne_u32_e32 0x7f, v39
	s_cbranch_execz .LBB256_320
; %bb.317:                              ;   in Loop: Header=BB256_258 Depth=1
	v_and_b32_e32 v9, 7, v1
	v_lshrrev_b32_e32 v10, 3, v39
	s_mov_b32 s19, exec_lo
	v_cmpx_gt_u32_e32 8, v39
; %bb.318:                              ;   in Loop: Header=BB256_258 Depth=1
	s_delay_alu instid0(VALU_DEP_3) | instskip(NEXT) | instid1(VALU_DEP_1)
	v_clz_i32_u32_e32 v9, v9
	v_min_u32_e32 v39, 32, v9
	s_delay_alu instid0(VALU_DEP_1) | instskip(NEXT) | instid1(VALU_DEP_1)
	v_subrev_nc_u32_e32 v9, 28, v39
	v_lshlrev_b64_e32 v[9:10], v9, v[1:2]
	v_sub_nc_u32_e32 v10, 29, v39
	s_delay_alu instid0(VALU_DEP_2)
	v_and_b32_e32 v9, 7, v9
; %bb.319:                              ;   in Loop: Header=BB256_258 Depth=1
	s_or_b32 exec_lo, exec_lo, s19
	v_lshlrev_b32_e32 v1, 8, v1
	s_delay_alu instid0(VALU_DEP_3) | instskip(NEXT) | instid1(VALU_DEP_3)
	v_lshl_add_u32 v10, v10, 10, 0x2000
	v_lshlrev_b32_e32 v9, 23, v9
	s_delay_alu instid0(VALU_DEP_2) | instskip(NEXT) | instid1(VALU_DEP_1)
	v_and_or_b32 v1, 0x8000, v1, v10
	v_lshl_or_b32 v9, v1, 16, v9
.LBB256_320:                            ;   in Loop: Header=BB256_258 Depth=1
	s_or_b32 exec_lo, exec_lo, s18
.LBB256_321:                            ;   in Loop: Header=BB256_258 Depth=1
	s_wait_alu 0xfffe
	s_or_b32 exec_lo, exec_lo, s15
.LBB256_322:                            ;   in Loop: Header=BB256_258 Depth=1
	s_wait_alu 0xfffe
	s_or_b32 exec_lo, exec_lo, s1
	v_or_b32_e32 v1, v36, v23
	s_wait_loadcnt 0x0
	v_fma_mixlo_f16 v10, v32, v36, 0 op_sel:[0,1,0] op_sel_hi:[0,1,0]
	v_or_b32_e32 v33, v34, v33
	v_fma_mixlo_f16 v34, v32, v34, 0 op_sel:[0,1,0] op_sel_hi:[0,1,0]
	v_or_b32_e32 v39, v37, v35
	v_fma_mixlo_f16 v36, v32, v1, 0 op_sel_hi:[0,1,0]
	v_or_b32_e32 v38, v9, v38
	v_lshlrev_b32_e32 v1, 16, v10
	v_lshlrev_b32_e32 v35, 16, v34
	v_fma_mixlo_f16 v10, v32, v33, 0 op_sel_hi:[0,1,0]
	v_and_b32_e32 v34, 0xffff, v36
	v_fma_mixlo_f16 v33, v32, v37, 0 op_sel:[0,1,0] op_sel_hi:[0,1,0]
	v_fma_mixlo_f16 v36, v32, v39, 0 op_sel_hi:[0,1,0]
	v_fma_mixlo_f16 v9, v32, v9, 0 op_sel:[0,1,0] op_sel_hi:[0,1,0]
	v_fma_mixlo_f16 v32, v32, v38, 0 op_sel_hi:[0,1,0]
	v_and_b32_e32 v40, 0xffff, v10
	v_lshlrev_b32_e32 v10, 16, v33
	v_and_b32_e32 v33, 0xffff, v36
	v_lshlrev_b32_e32 v9, 16, v9
	v_and_b32_e32 v32, 0xffff, v32
	v_add_nc_u32_e32 v23, -7, v21
	v_cmp_eq_u32_e64 s0, s30, v12
	v_or_b32_e32 v36, v1, v34
	v_or_b32_e32 v37, v35, v40
	;; [unrolled: 1-line block ×4, first 2 shown]
	s_and_saveexec_b32 s15, s0
	s_cbranch_execz .LBB256_324
; %bb.323:                              ;   in Loop: Header=BB256_258 Depth=1
	v_add_nc_u32_e32 v36, -6, v21
	v_cmp_gt_i32_e64 s1, s27, v23
	v_add_nc_u32_e32 v37, -5, v21
	v_add_nc_u32_e32 v39, -2, v21
	s_wait_alu 0xf1ff
	s_delay_alu instid0(VALU_DEP_3) | instskip(SKIP_3) | instid1(VALU_DEP_2)
	v_cndmask_b32_e64 v38, 0, v40, s1
	v_cmp_gt_i32_e64 s1, s27, v36
	v_add_nc_u32_e32 v36, -4, v21
	s_wait_alu 0xf1ff
	v_cndmask_b32_e64 v35, 0, v35, s1
	v_cmp_gt_i32_e64 s1, s27, v37
	v_add_nc_u32_e32 v37, -3, v21
	s_wait_alu 0xf1ff
	s_delay_alu instid0(VALU_DEP_2) | instskip(SKIP_3) | instid1(VALU_DEP_2)
	v_cndmask_b32_e64 v34, 0, v34, s1
	v_cmp_gt_i32_e64 s1, s27, v36
	v_add_nc_u32_e32 v36, -1, v21
	s_wait_alu 0xf1ff
	v_cndmask_b32_e64 v1, 0, v1, s1
	v_cmp_gt_i32_e64 s1, s27, v37
	v_or_b32_e32 v37, v35, v38
	s_wait_alu 0xf1ff
	s_delay_alu instid0(VALU_DEP_2) | instskip(SKIP_2) | instid1(VALU_DEP_1)
	v_cndmask_b32_e64 v33, 0, v33, s1
	v_cmp_gt_i32_e64 s1, s27, v39
	s_wait_alu 0xf1ff
	v_cndmask_b32_e64 v10, 0, v10, s1
	v_cmp_gt_i32_e64 s1, s27, v36
	v_or_b32_e32 v36, v1, v34
	s_delay_alu instid0(VALU_DEP_3) | instskip(SKIP_1) | instid1(VALU_DEP_3)
	v_or_b32_e32 v38, v10, v33
	s_wait_alu 0xf1ff
	v_cndmask_b32_e64 v32, 0, v32, s1
	v_cmp_gt_i32_e64 s1, s27, v21
	s_wait_alu 0xf1ff
	s_delay_alu instid0(VALU_DEP_1) | instskip(NEXT) | instid1(VALU_DEP_1)
	v_cndmask_b32_e64 v9, 0, v9, s1
	v_or_b32_e32 v39, v9, v32
.LBB256_324:                            ;   in Loop: Header=BB256_258 Depth=1
	s_wait_alu 0xfffe
	s_or_b32 exec_lo, exec_lo, s15
	v_dual_mov_b32 v32, 0 :: v_dual_and_b32 v1, 0xffff, v27
	v_and_b32_e32 v9, 0xffff, v28
	v_and_b32_e32 v10, 0xffff, v29
	;; [unrolled: 1-line block ×3, first 2 shown]
	s_delay_alu instid0(VALU_DEP_4)
	v_lshl_or_b32 v29, v24, 16, v1
	;;#ASMSTART
	v_pk_mul_f16 v1, v29, v37;

	;;#ASMEND
	v_lshl_or_b32 v28, v25, 16, v9
	v_lshl_or_b32 v27, v26, 16, v10
	;; [unrolled: 1-line block ×3, first 2 shown]
	;;#ASMSTART
	v_pk_mul_f16 v9, v28, v36;

	;;#ASMEND
	;;#ASMSTART
	v_pk_mul_f16 v10, v27, v38;

	;;#ASMEND
	;; [unrolled: 4-line block ×3, first 2 shown]
	;;#ASMSTART
	v_pk_add_f16 v1, v1, v9;

	;;#ASMEND
	;;#ASMSTART
	v_pk_add_f16 v1, v1, v10;

	;;#ASMEND
	;; [unrolled: 4-line block ×3, first 2 shown]
	v_and_b32_e32 v9, 0xffff, v1
	v_lshrrev_b32_e32 v1, 16, v1
	;;#ASMSTART
	v_cvt_f32_f16 v24, v9;
	;;#ASMEND
	;;#ASMSTART
	v_cvt_f32_f16 v25, v1;
	;;#ASMEND
	global_load_b64 v[9:10], v[7:8], off offset:256
	v_mov_b32_e32 v31, 0
	s_mov_b32 s15, exec_lo
	global_load_b32 v30, v31, s[10:11]
	s_wait_loadcnt 0x1
	v_and_b32_e32 v1, 0xff, v9
	s_delay_alu instid0(VALU_DEP_1)
	v_cmpx_ne_u16_e32 0, v1
	s_cbranch_execz .LBB256_332
; %bb.325:                              ;   in Loop: Header=BB256_258 Depth=1
	v_mov_b32_e32 v32, 0x8000
	s_mov_b32 s18, exec_lo
	v_cmpx_ne_u16_e32 0x80, v1
	s_cbranch_execz .LBB256_331
; %bb.326:                              ;   in Loop: Header=BB256_258 Depth=1
	v_and_b32_e32 v33, 0x7f, v9
	v_mov_b32_e32 v32, 0x7c01
	s_mov_b32 s19, exec_lo
	s_delay_alu instid0(VALU_DEP_2)
	v_cmpx_ne_u32_e32 0x7f, v33
	s_cbranch_execz .LBB256_330
; %bb.327:                              ;   in Loop: Header=BB256_258 Depth=1
	v_and_b32_e32 v1, 7, v9
	v_lshrrev_b32_e32 v32, 3, v33
	s_mov_b32 s20, exec_lo
	v_cmpx_gt_u32_e32 8, v33
; %bb.328:                              ;   in Loop: Header=BB256_258 Depth=1
	s_delay_alu instid0(VALU_DEP_3) | instskip(NEXT) | instid1(VALU_DEP_1)
	v_clz_i32_u32_e32 v1, v1
	v_min_u32_e32 v1, 32, v1
	s_delay_alu instid0(VALU_DEP_1) | instskip(NEXT) | instid1(VALU_DEP_1)
	v_subrev_nc_u32_e32 v32, 28, v1
	v_lshlrev_b64_e32 v[33:34], v32, v[9:10]
	v_sub_nc_u32_e32 v32, 29, v1
	s_delay_alu instid0(VALU_DEP_2)
	v_and_b32_e32 v1, 7, v33
; %bb.329:                              ;   in Loop: Header=BB256_258 Depth=1
	s_or_b32 exec_lo, exec_lo, s20
	v_lshlrev_b32_e32 v33, 8, v9
	s_delay_alu instid0(VALU_DEP_3) | instskip(NEXT) | instid1(VALU_DEP_3)
	v_lshl_add_u32 v32, v32, 10, 0x2000
	v_lshlrev_b32_e32 v1, 7, v1
	s_delay_alu instid0(VALU_DEP_3) | instskip(NEXT) | instid1(VALU_DEP_3)
	v_and_b32_e32 v33, 0x8000, v33
	v_and_b32_e32 v32, 0xfc00, v32
	s_delay_alu instid0(VALU_DEP_1)
	v_or3_b32 v32, v33, v32, v1
.LBB256_330:                            ;   in Loop: Header=BB256_258 Depth=1
	s_or_b32 exec_lo, exec_lo, s19
.LBB256_331:                            ;   in Loop: Header=BB256_258 Depth=1
	s_delay_alu instid0(SALU_CYCLE_1)
	s_or_b32 exec_lo, exec_lo, s18
.LBB256_332:                            ;   in Loop: Header=BB256_258 Depth=1
	s_wait_alu 0xfffe
	s_or_b32 exec_lo, exec_lo, s15
	v_lshrrev_b16 v1, 8, v9
	s_mov_b32 s15, exec_lo
	s_delay_alu instid0(VALU_DEP_1)
	v_cmpx_ne_u16_e32 0, v1
	s_cbranch_execz .LBB256_340
; %bb.333:                              ;   in Loop: Header=BB256_258 Depth=1
	v_bfrev_b32_e32 v31, 1
	s_mov_b32 s18, exec_lo
	v_cmpx_ne_u16_e32 0x80, v1
	s_cbranch_execz .LBB256_339
; %bb.334:                              ;   in Loop: Header=BB256_258 Depth=1
	v_and_b32_e32 v33, 0xffff, v1
	v_mov_b32_e32 v31, 0x7c010000
	s_mov_b32 s19, exec_lo
	s_delay_alu instid0(VALU_DEP_2) | instskip(NEXT) | instid1(VALU_DEP_1)
	v_and_b32_e32 v35, 0x7f, v33
	v_cmpx_ne_u32_e32 0x7f, v35
	s_cbranch_execz .LBB256_338
; %bb.335:                              ;   in Loop: Header=BB256_258 Depth=1
	v_and_b32_e32 v31, 7, v33
	v_lshrrev_b32_e32 v34, 3, v35
	s_mov_b32 s20, exec_lo
	v_cmpx_gt_u32_e32 8, v35
; %bb.336:                              ;   in Loop: Header=BB256_258 Depth=1
	s_delay_alu instid0(VALU_DEP_3) | instskip(NEXT) | instid1(VALU_DEP_1)
	v_clz_i32_u32_e32 v31, v31
	v_min_u32_e32 v31, 32, v31
	s_delay_alu instid0(VALU_DEP_1) | instskip(NEXT) | instid1(VALU_DEP_1)
	v_subrev_nc_u32_e32 v34, 28, v31
	v_lshlrev_b64_e32 v[35:36], v34, v[1:2]
	v_sub_nc_u32_e32 v34, 29, v31
	s_delay_alu instid0(VALU_DEP_2)
	v_and_b32_e32 v31, 7, v35
; %bb.337:                              ;   in Loop: Header=BB256_258 Depth=1
	s_or_b32 exec_lo, exec_lo, s20
	v_lshlrev_b32_e32 v1, 8, v33
	s_delay_alu instid0(VALU_DEP_3) | instskip(NEXT) | instid1(VALU_DEP_3)
	v_lshl_add_u32 v33, v34, 10, 0x2000
	v_lshlrev_b32_e32 v31, 23, v31
	s_delay_alu instid0(VALU_DEP_2) | instskip(NEXT) | instid1(VALU_DEP_1)
	v_and_or_b32 v1, 0x8000, v1, v33
	v_lshl_or_b32 v31, v1, 16, v31
.LBB256_338:                            ;   in Loop: Header=BB256_258 Depth=1
	s_or_b32 exec_lo, exec_lo, s19
.LBB256_339:                            ;   in Loop: Header=BB256_258 Depth=1
	s_delay_alu instid0(SALU_CYCLE_1)
	s_or_b32 exec_lo, exec_lo, s18
.LBB256_340:                            ;   in Loop: Header=BB256_258 Depth=1
	s_wait_alu 0xfffe
	s_or_b32 exec_lo, exec_lo, s15
	v_lshrrev_b32_e32 v1, 16, v9
	v_mov_b32_e32 v33, 0
	s_mov_b32 s15, exec_lo
	s_delay_alu instid0(VALU_DEP_2) | instskip(NEXT) | instid1(VALU_DEP_1)
	v_dual_mov_b32 v34, 0 :: v_dual_and_b32 v35, 0xff, v1
	v_cmpx_ne_u16_e32 0, v35
	s_cbranch_execz .LBB256_348
; %bb.341:                              ;   in Loop: Header=BB256_258 Depth=1
	v_mov_b32_e32 v34, 0x8000
	s_mov_b32 s18, exec_lo
	v_cmpx_ne_u16_e32 0x80, v35
	s_cbranch_execz .LBB256_347
; %bb.342:                              ;   in Loop: Header=BB256_258 Depth=1
	v_bfe_u32 v36, v9, 16, 7
	v_mov_b32_e32 v34, 0x7c01
	s_mov_b32 s19, exec_lo
	s_delay_alu instid0(VALU_DEP_2)
	v_cmpx_ne_u32_e32 0x7f, v36
	s_cbranch_execz .LBB256_346
; %bb.343:                              ;   in Loop: Header=BB256_258 Depth=1
	v_and_b32_e32 v34, 7, v1
	v_lshrrev_b32_e32 v35, 3, v36
	s_mov_b32 s20, exec_lo
	v_cmpx_gt_u32_e32 8, v36
; %bb.344:                              ;   in Loop: Header=BB256_258 Depth=1
	s_delay_alu instid0(VALU_DEP_3) | instskip(NEXT) | instid1(VALU_DEP_1)
	v_clz_i32_u32_e32 v34, v34
	v_min_u32_e32 v36, 32, v34
	s_delay_alu instid0(VALU_DEP_1) | instskip(NEXT) | instid1(VALU_DEP_1)
	v_subrev_nc_u32_e32 v34, 28, v36
	v_lshlrev_b64_e32 v[34:35], v34, v[1:2]
	v_sub_nc_u32_e32 v35, 29, v36
	s_delay_alu instid0(VALU_DEP_2)
	v_and_b32_e32 v34, 7, v34
; %bb.345:                              ;   in Loop: Header=BB256_258 Depth=1
	s_or_b32 exec_lo, exec_lo, s20
	v_lshlrev_b32_e32 v1, 8, v1
	s_delay_alu instid0(VALU_DEP_3) | instskip(NEXT) | instid1(VALU_DEP_3)
	v_lshl_add_u32 v35, v35, 10, 0x2000
	v_lshlrev_b32_e32 v34, 7, v34
	s_delay_alu instid0(VALU_DEP_3) | instskip(NEXT) | instid1(VALU_DEP_3)
	v_and_b32_e32 v1, 0x8000, v1
	v_and_b32_e32 v35, 0xfc00, v35
	s_delay_alu instid0(VALU_DEP_1)
	v_or3_b32 v34, v1, v35, v34
.LBB256_346:                            ;   in Loop: Header=BB256_258 Depth=1
	s_or_b32 exec_lo, exec_lo, s19
.LBB256_347:                            ;   in Loop: Header=BB256_258 Depth=1
	s_delay_alu instid0(SALU_CYCLE_1)
	s_or_b32 exec_lo, exec_lo, s18
.LBB256_348:                            ;   in Loop: Header=BB256_258 Depth=1
	s_wait_alu 0xfffe
	s_or_b32 exec_lo, exec_lo, s15
	s_delay_alu instid0(SALU_CYCLE_1)
	s_mov_b32 s15, exec_lo
	v_cmpx_lt_u32_e32 0xffffff, v9
	s_cbranch_execz .LBB256_356
; %bb.349:                              ;   in Loop: Header=BB256_258 Depth=1
	v_lshrrev_b32_e32 v1, 24, v9
	v_bfrev_b32_e32 v33, 1
	s_mov_b32 s18, exec_lo
	s_delay_alu instid0(VALU_DEP_2)
	v_cmpx_ne_u32_e32 0x80, v1
	s_cbranch_execz .LBB256_355
; %bb.350:                              ;   in Loop: Header=BB256_258 Depth=1
	v_and_b32_e32 v36, 0x7f, v1
	v_mov_b32_e32 v33, 0x7c010000
	s_mov_b32 s19, exec_lo
	s_delay_alu instid0(VALU_DEP_2)
	v_cmpx_ne_u32_e32 0x7f, v36
	s_cbranch_execz .LBB256_354
; %bb.351:                              ;   in Loop: Header=BB256_258 Depth=1
	v_and_b32_e32 v33, 7, v1
	v_lshrrev_b32_e32 v35, 3, v36
	s_mov_b32 s20, exec_lo
	v_cmpx_gt_u32_e32 8, v36
; %bb.352:                              ;   in Loop: Header=BB256_258 Depth=1
	s_delay_alu instid0(VALU_DEP_3) | instskip(NEXT) | instid1(VALU_DEP_1)
	v_clz_i32_u32_e32 v33, v33
	v_min_u32_e32 v33, 32, v33
	s_delay_alu instid0(VALU_DEP_1) | instskip(NEXT) | instid1(VALU_DEP_1)
	v_subrev_nc_u32_e32 v35, 28, v33
	v_lshlrev_b64_e32 v[36:37], v35, v[1:2]
	v_sub_nc_u32_e32 v35, 29, v33
	s_delay_alu instid0(VALU_DEP_2)
	v_and_b32_e32 v33, 7, v36
; %bb.353:                              ;   in Loop: Header=BB256_258 Depth=1
	s_or_b32 exec_lo, exec_lo, s20
	v_lshlrev_b32_e32 v1, 8, v1
	s_delay_alu instid0(VALU_DEP_3) | instskip(NEXT) | instid1(VALU_DEP_3)
	v_lshl_add_u32 v35, v35, 10, 0x2000
	v_lshlrev_b32_e32 v33, 23, v33
	s_delay_alu instid0(VALU_DEP_2) | instskip(NEXT) | instid1(VALU_DEP_1)
	v_and_or_b32 v1, 0x8000, v1, v35
	v_lshl_or_b32 v33, v1, 16, v33
.LBB256_354:                            ;   in Loop: Header=BB256_258 Depth=1
	s_or_b32 exec_lo, exec_lo, s19
.LBB256_355:                            ;   in Loop: Header=BB256_258 Depth=1
	s_delay_alu instid0(SALU_CYCLE_1)
	s_or_b32 exec_lo, exec_lo, s18
.LBB256_356:                            ;   in Loop: Header=BB256_258 Depth=1
	s_wait_alu 0xfffe
	s_or_b32 exec_lo, exec_lo, s15
	v_dual_mov_b32 v36, 0 :: v_dual_and_b32 v37, 0xff, v10
	v_mov_b32_e32 v1, v10
	v_mov_b32_e32 v35, 0
	s_mov_b32 s15, exec_lo
	s_delay_alu instid0(VALU_DEP_3)
	v_cmpx_ne_u16_e32 0, v37
	s_cbranch_execz .LBB256_364
; %bb.357:                              ;   in Loop: Header=BB256_258 Depth=1
	v_mov_b32_e32 v36, 0x8000
	s_mov_b32 s18, exec_lo
	v_cmpx_ne_u16_e32 0x80, v37
	s_cbranch_execz .LBB256_363
; %bb.358:                              ;   in Loop: Header=BB256_258 Depth=1
	v_and_b32_e32 v38, 0x7f, v10
	v_mov_b32_e32 v36, 0x7c01
	s_mov_b32 s19, exec_lo
	s_delay_alu instid0(VALU_DEP_2)
	v_cmpx_ne_u32_e32 0x7f, v38
	s_cbranch_execz .LBB256_362
; %bb.359:                              ;   in Loop: Header=BB256_258 Depth=1
	v_and_b32_e32 v36, 7, v10
	v_lshrrev_b32_e32 v37, 3, v38
	s_mov_b32 s20, exec_lo
	v_cmpx_gt_u32_e32 8, v38
; %bb.360:                              ;   in Loop: Header=BB256_258 Depth=1
	s_delay_alu instid0(VALU_DEP_3) | instskip(NEXT) | instid1(VALU_DEP_1)
	v_clz_i32_u32_e32 v36, v36
	v_min_u32_e32 v38, 32, v36
	s_delay_alu instid0(VALU_DEP_1) | instskip(NEXT) | instid1(VALU_DEP_1)
	v_subrev_nc_u32_e32 v36, 28, v38
	v_lshlrev_b64_e32 v[36:37], v36, v[1:2]
	v_sub_nc_u32_e32 v37, 29, v38
	s_delay_alu instid0(VALU_DEP_2)
	v_and_b32_e32 v36, 7, v36
; %bb.361:                              ;   in Loop: Header=BB256_258 Depth=1
	s_or_b32 exec_lo, exec_lo, s20
	v_lshlrev_b32_e32 v38, 8, v10
	s_delay_alu instid0(VALU_DEP_3) | instskip(NEXT) | instid1(VALU_DEP_3)
	v_lshl_add_u32 v37, v37, 10, 0x2000
	v_lshlrev_b32_e32 v36, 7, v36
	s_delay_alu instid0(VALU_DEP_3) | instskip(NEXT) | instid1(VALU_DEP_3)
	v_and_b32_e32 v38, 0x8000, v38
	v_and_b32_e32 v37, 0xfc00, v37
	s_delay_alu instid0(VALU_DEP_1)
	v_or3_b32 v36, v38, v37, v36
.LBB256_362:                            ;   in Loop: Header=BB256_258 Depth=1
	s_or_b32 exec_lo, exec_lo, s19
.LBB256_363:                            ;   in Loop: Header=BB256_258 Depth=1
	s_delay_alu instid0(SALU_CYCLE_1)
	s_or_b32 exec_lo, exec_lo, s18
.LBB256_364:                            ;   in Loop: Header=BB256_258 Depth=1
	s_wait_alu 0xfffe
	s_or_b32 exec_lo, exec_lo, s15
	v_lshrrev_b16 v1, 8, v1
	v_mov_b32_e32 v37, 0
	s_mov_b32 s15, exec_lo
	s_delay_alu instid0(VALU_DEP_2)
	v_cmpx_ne_u16_e32 0, v1
	s_cbranch_execz .LBB256_372
; %bb.365:                              ;   in Loop: Header=BB256_258 Depth=1
	v_bfrev_b32_e32 v37, 1
	s_mov_b32 s18, exec_lo
	v_cmpx_ne_u16_e32 0x80, v1
	s_cbranch_execz .LBB256_371
; %bb.366:                              ;   in Loop: Header=BB256_258 Depth=1
	v_and_b32_e32 v38, 0xffff, v1
	v_mov_b32_e32 v37, 0x7c010000
	s_mov_b32 s19, exec_lo
	s_delay_alu instid0(VALU_DEP_2) | instskip(NEXT) | instid1(VALU_DEP_1)
	v_and_b32_e32 v40, 0x7f, v38
	v_cmpx_ne_u32_e32 0x7f, v40
	s_cbranch_execz .LBB256_370
; %bb.367:                              ;   in Loop: Header=BB256_258 Depth=1
	v_and_b32_e32 v37, 7, v38
	v_lshrrev_b32_e32 v39, 3, v40
	s_mov_b32 s20, exec_lo
	v_cmpx_gt_u32_e32 8, v40
; %bb.368:                              ;   in Loop: Header=BB256_258 Depth=1
	s_delay_alu instid0(VALU_DEP_3) | instskip(NEXT) | instid1(VALU_DEP_1)
	v_clz_i32_u32_e32 v37, v37
	v_min_u32_e32 v37, 32, v37
	s_delay_alu instid0(VALU_DEP_1) | instskip(NEXT) | instid1(VALU_DEP_1)
	v_subrev_nc_u32_e32 v39, 28, v37
	v_lshlrev_b64_e32 v[40:41], v39, v[1:2]
	v_sub_nc_u32_e32 v39, 29, v37
	s_delay_alu instid0(VALU_DEP_2)
	v_and_b32_e32 v37, 7, v40
; %bb.369:                              ;   in Loop: Header=BB256_258 Depth=1
	s_or_b32 exec_lo, exec_lo, s20
	v_lshlrev_b32_e32 v1, 8, v38
	s_delay_alu instid0(VALU_DEP_3) | instskip(NEXT) | instid1(VALU_DEP_3)
	v_lshl_add_u32 v38, v39, 10, 0x2000
	v_lshlrev_b32_e32 v37, 23, v37
	s_delay_alu instid0(VALU_DEP_2) | instskip(NEXT) | instid1(VALU_DEP_1)
	v_and_or_b32 v1, 0x8000, v1, v38
	v_lshl_or_b32 v37, v1, 16, v37
.LBB256_370:                            ;   in Loop: Header=BB256_258 Depth=1
	s_or_b32 exec_lo, exec_lo, s19
.LBB256_371:                            ;   in Loop: Header=BB256_258 Depth=1
	s_delay_alu instid0(SALU_CYCLE_1)
	s_or_b32 exec_lo, exec_lo, s18
.LBB256_372:                            ;   in Loop: Header=BB256_258 Depth=1
	s_wait_alu 0xfffe
	s_or_b32 exec_lo, exec_lo, s15
	v_lshrrev_b32_e32 v1, 16, v10
	s_mov_b32 s15, exec_lo
	s_delay_alu instid0(VALU_DEP_1) | instskip(NEXT) | instid1(VALU_DEP_1)
	v_and_b32_e32 v38, 0xff, v1
	v_cmpx_ne_u16_e32 0, v38
	s_cbranch_execz .LBB256_380
; %bb.373:                              ;   in Loop: Header=BB256_258 Depth=1
	v_mov_b32_e32 v35, 0x8000
	s_mov_b32 s18, exec_lo
	v_cmpx_ne_u16_e32 0x80, v38
	s_cbranch_execz .LBB256_379
; %bb.374:                              ;   in Loop: Header=BB256_258 Depth=1
	v_bfe_u32 v39, v10, 16, 7
	v_mov_b32_e32 v35, 0x7c01
	s_mov_b32 s19, exec_lo
	s_delay_alu instid0(VALU_DEP_2)
	v_cmpx_ne_u32_e32 0x7f, v39
	s_cbranch_execz .LBB256_378
; %bb.375:                              ;   in Loop: Header=BB256_258 Depth=1
	v_and_b32_e32 v35, 7, v1
	v_lshrrev_b32_e32 v38, 3, v39
	s_mov_b32 s20, exec_lo
	v_cmpx_gt_u32_e32 8, v39
; %bb.376:                              ;   in Loop: Header=BB256_258 Depth=1
	s_delay_alu instid0(VALU_DEP_3) | instskip(NEXT) | instid1(VALU_DEP_1)
	v_clz_i32_u32_e32 v35, v35
	v_min_u32_e32 v35, 32, v35
	s_delay_alu instid0(VALU_DEP_1) | instskip(NEXT) | instid1(VALU_DEP_1)
	v_subrev_nc_u32_e32 v38, 28, v35
	v_lshlrev_b64_e32 v[39:40], v38, v[1:2]
	v_sub_nc_u32_e32 v38, 29, v35
	s_delay_alu instid0(VALU_DEP_2)
	v_and_b32_e32 v35, 7, v39
; %bb.377:                              ;   in Loop: Header=BB256_258 Depth=1
	s_or_b32 exec_lo, exec_lo, s20
	v_lshlrev_b32_e32 v1, 8, v1
	s_delay_alu instid0(VALU_DEP_3) | instskip(NEXT) | instid1(VALU_DEP_3)
	v_lshl_add_u32 v38, v38, 10, 0x2000
	v_lshlrev_b32_e32 v35, 7, v35
	s_delay_alu instid0(VALU_DEP_3) | instskip(NEXT) | instid1(VALU_DEP_3)
	v_and_b32_e32 v1, 0x8000, v1
	v_and_b32_e32 v38, 0xfc00, v38
	s_delay_alu instid0(VALU_DEP_1)
	v_or3_b32 v35, v1, v38, v35
.LBB256_378:                            ;   in Loop: Header=BB256_258 Depth=1
	s_or_b32 exec_lo, exec_lo, s19
.LBB256_379:                            ;   in Loop: Header=BB256_258 Depth=1
	s_delay_alu instid0(SALU_CYCLE_1)
	s_or_b32 exec_lo, exec_lo, s18
.LBB256_380:                            ;   in Loop: Header=BB256_258 Depth=1
	s_wait_alu 0xfffe
	s_or_b32 exec_lo, exec_lo, s15
	v_cmp_lt_u64_e64 s1, s[4:5], v[9:10]
	v_mov_b32_e32 v9, 0
	s_and_saveexec_b32 s15, s1
	s_cbranch_execz .LBB256_388
; %bb.381:                              ;   in Loop: Header=BB256_258 Depth=1
	v_lshrrev_b32_e32 v1, 24, v10
	v_bfrev_b32_e32 v9, 1
	s_mov_b32 s18, exec_lo
	s_delay_alu instid0(VALU_DEP_2)
	v_cmpx_ne_u32_e32 0x80, v1
	s_cbranch_execz .LBB256_387
; %bb.382:                              ;   in Loop: Header=BB256_258 Depth=1
	v_and_b32_e32 v38, 0x7f, v1
	v_mov_b32_e32 v9, 0x7c010000
	s_mov_b32 s19, exec_lo
	s_delay_alu instid0(VALU_DEP_2)
	v_cmpx_ne_u32_e32 0x7f, v38
	s_cbranch_execz .LBB256_386
; %bb.383:                              ;   in Loop: Header=BB256_258 Depth=1
	v_and_b32_e32 v9, 7, v1
	v_lshrrev_b32_e32 v10, 3, v38
	s_mov_b32 s20, exec_lo
	v_cmpx_gt_u32_e32 8, v38
; %bb.384:                              ;   in Loop: Header=BB256_258 Depth=1
	s_delay_alu instid0(VALU_DEP_3) | instskip(NEXT) | instid1(VALU_DEP_1)
	v_clz_i32_u32_e32 v9, v9
	v_min_u32_e32 v38, 32, v9
	s_delay_alu instid0(VALU_DEP_1) | instskip(NEXT) | instid1(VALU_DEP_1)
	v_subrev_nc_u32_e32 v9, 28, v38
	v_lshlrev_b64_e32 v[9:10], v9, v[1:2]
	v_sub_nc_u32_e32 v10, 29, v38
	s_delay_alu instid0(VALU_DEP_2)
	v_and_b32_e32 v9, 7, v9
; %bb.385:                              ;   in Loop: Header=BB256_258 Depth=1
	s_or_b32 exec_lo, exec_lo, s20
	v_lshlrev_b32_e32 v1, 8, v1
	s_delay_alu instid0(VALU_DEP_3) | instskip(NEXT) | instid1(VALU_DEP_3)
	v_lshl_add_u32 v10, v10, 10, 0x2000
	v_lshlrev_b32_e32 v9, 23, v9
	s_delay_alu instid0(VALU_DEP_2) | instskip(NEXT) | instid1(VALU_DEP_1)
	v_and_or_b32 v1, 0x8000, v1, v10
	v_lshl_or_b32 v9, v1, 16, v9
.LBB256_386:                            ;   in Loop: Header=BB256_258 Depth=1
	s_or_b32 exec_lo, exec_lo, s19
.LBB256_387:                            ;   in Loop: Header=BB256_258 Depth=1
	s_delay_alu instid0(SALU_CYCLE_1)
	s_or_b32 exec_lo, exec_lo, s18
.LBB256_388:                            ;   in Loop: Header=BB256_258 Depth=1
	s_wait_alu 0xfffe
	s_or_b32 exec_lo, exec_lo, s15
	v_or_b32_e32 v1, v33, v34
	s_wait_loadcnt 0x0
	v_fma_mixlo_f16 v10, v30, v33, 0 op_sel:[0,1,0] op_sel_hi:[0,1,0]
	v_or_b32_e32 v32, v31, v32
	v_fma_mixlo_f16 v31, v30, v31, 0 op_sel:[0,1,0] op_sel_hi:[0,1,0]
	v_or_b32_e32 v34, v37, v36
	v_or_b32_e32 v35, v9, v35
	v_fma_mixlo_f16 v36, v30, v1, 0 op_sel_hi:[0,1,0]
	v_lshlrev_b32_e32 v1, 16, v10
	v_lshlrev_b32_e32 v33, 16, v31
	v_fma_mixlo_f16 v10, v30, v32, 0 op_sel_hi:[0,1,0]
	v_fma_mixlo_f16 v31, v30, v37, 0 op_sel:[0,1,0] op_sel_hi:[0,1,0]
	v_fma_mixlo_f16 v34, v30, v34, 0 op_sel_hi:[0,1,0]
	v_fma_mixlo_f16 v9, v30, v9, 0 op_sel:[0,1,0] op_sel_hi:[0,1,0]
	v_fma_mixlo_f16 v30, v30, v35, 0 op_sel_hi:[0,1,0]
	v_and_b32_e32 v32, 0xffff, v36
	v_and_b32_e32 v37, 0xffff, v10
	v_lshlrev_b32_e32 v10, 16, v31
	v_and_b32_e32 v31, 0xffff, v34
	v_lshlrev_b32_e32 v9, 16, v9
	v_and_b32_e32 v30, 0xffff, v30
	v_or_b32_e32 v34, v1, v32
	v_or_b32_e32 v38, v33, v37
	;; [unrolled: 1-line block ×3, first 2 shown]
	s_delay_alu instid0(VALU_DEP_4)
	v_or_b32_e32 v35, v9, v30
	s_and_saveexec_b32 s15, s0
	s_cbranch_execz .LBB256_390
; %bb.389:                              ;   in Loop: Header=BB256_258 Depth=1
	v_add_nc_u32_e32 v34, -6, v21
	v_cmp_gt_i32_e64 s1, s27, v23
	v_add_nc_u32_e32 v35, -5, v21
	s_wait_alu 0xf1ff
	s_delay_alu instid0(VALU_DEP_2) | instskip(SKIP_4) | instid1(VALU_DEP_3)
	v_cndmask_b32_e64 v36, 0, v37, s1
	v_cmp_gt_i32_e64 s1, s27, v34
	v_add_nc_u32_e32 v34, -4, v21
	v_add_nc_u32_e32 v37, -2, v21
	s_wait_alu 0xf1ff
	v_cndmask_b32_e64 v33, 0, v33, s1
	v_cmp_gt_i32_e64 s1, s27, v35
	v_add_nc_u32_e32 v35, -3, v21
	s_delay_alu instid0(VALU_DEP_3) | instskip(SKIP_1) | instid1(VALU_DEP_3)
	v_or_b32_e32 v38, v33, v36
	s_wait_alu 0xf1ff
	v_cndmask_b32_e64 v32, 0, v32, s1
	v_cmp_gt_i32_e64 s1, s27, v34
	v_add_nc_u32_e32 v34, -1, v21
	s_wait_alu 0xf1ff
	s_delay_alu instid0(VALU_DEP_2) | instskip(SKIP_2) | instid1(VALU_DEP_1)
	v_cndmask_b32_e64 v1, 0, v1, s1
	v_cmp_gt_i32_e64 s1, s27, v35
	s_wait_alu 0xf1ff
	v_cndmask_b32_e64 v31, 0, v31, s1
	v_cmp_gt_i32_e64 s1, s27, v37
	s_wait_alu 0xf1ff
	s_delay_alu instid0(VALU_DEP_1) | instskip(SKIP_2) | instid1(VALU_DEP_3)
	v_cndmask_b32_e64 v10, 0, v10, s1
	v_cmp_gt_i32_e64 s1, s27, v34
	v_or_b32_e32 v34, v1, v32
	v_or_b32_e32 v36, v10, v31
	s_wait_alu 0xf1ff
	s_delay_alu instid0(VALU_DEP_3) | instskip(SKIP_2) | instid1(VALU_DEP_1)
	v_cndmask_b32_e64 v30, 0, v30, s1
	v_cmp_gt_i32_e64 s1, s27, v21
	s_wait_alu 0xf1ff
	v_cndmask_b32_e64 v9, 0, v9, s1
	s_delay_alu instid0(VALU_DEP_1)
	v_or_b32_e32 v35, v9, v30
.LBB256_390:                            ;   in Loop: Header=BB256_258 Depth=1
	s_wait_alu 0xfffe
	s_or_b32 exec_lo, exec_lo, s15
	;;#ASMSTART
	v_pk_mul_f16 v1, v29, v38;

	;;#ASMEND
	;;#ASMSTART
	v_pk_mul_f16 v9, v28, v34;

	;;#ASMEND
	;; [unrolled: 4-line block ×4, first 2 shown]
	;;#ASMSTART
	v_pk_add_f16 v1, v1, v9;

	;;#ASMEND
	;;#ASMSTART
	v_pk_add_f16 v1, v1, v10;

	;;#ASMEND
	;; [unrolled: 4-line block ×3, first 2 shown]
	v_dual_mov_b32 v32, 0 :: v_dual_and_b32 v9, 0xffff, v1
	v_lshrrev_b32_e32 v1, 16, v1
	;;#ASMSTART
	v_cvt_f32_f16 v9, v9;
	;;#ASMEND
	;;#ASMSTART
	v_cvt_f32_f16 v10, v1;
	;;#ASMEND
	global_load_b64 v[7:8], v[7:8], off offset:512
	v_mov_b32_e32 v31, 0
	s_mov_b32 s15, exec_lo
	global_load_b32 v30, v31, s[10:11]
	s_wait_loadcnt 0x1
	v_and_b32_e32 v1, 0xff, v7
	s_delay_alu instid0(VALU_DEP_1)
	v_cmpx_ne_u16_e32 0, v1
	s_cbranch_execz .LBB256_398
; %bb.391:                              ;   in Loop: Header=BB256_258 Depth=1
	v_mov_b32_e32 v32, 0x8000
	s_mov_b32 s18, exec_lo
	v_cmpx_ne_u16_e32 0x80, v1
	s_cbranch_execz .LBB256_397
; %bb.392:                              ;   in Loop: Header=BB256_258 Depth=1
	v_and_b32_e32 v33, 0x7f, v7
	v_mov_b32_e32 v32, 0x7c01
	s_mov_b32 s19, exec_lo
	s_delay_alu instid0(VALU_DEP_2)
	v_cmpx_ne_u32_e32 0x7f, v33
	s_cbranch_execz .LBB256_396
; %bb.393:                              ;   in Loop: Header=BB256_258 Depth=1
	v_and_b32_e32 v1, 7, v7
	v_lshrrev_b32_e32 v32, 3, v33
	s_mov_b32 s20, exec_lo
	v_cmpx_gt_u32_e32 8, v33
; %bb.394:                              ;   in Loop: Header=BB256_258 Depth=1
	s_delay_alu instid0(VALU_DEP_3) | instskip(NEXT) | instid1(VALU_DEP_1)
	v_clz_i32_u32_e32 v1, v1
	v_min_u32_e32 v1, 32, v1
	s_delay_alu instid0(VALU_DEP_1) | instskip(NEXT) | instid1(VALU_DEP_1)
	v_subrev_nc_u32_e32 v32, 28, v1
	v_lshlrev_b64_e32 v[33:34], v32, v[7:8]
	v_sub_nc_u32_e32 v32, 29, v1
	s_delay_alu instid0(VALU_DEP_2)
	v_and_b32_e32 v1, 7, v33
; %bb.395:                              ;   in Loop: Header=BB256_258 Depth=1
	s_or_b32 exec_lo, exec_lo, s20
	v_lshlrev_b32_e32 v33, 8, v7
	s_delay_alu instid0(VALU_DEP_3) | instskip(NEXT) | instid1(VALU_DEP_3)
	v_lshl_add_u32 v32, v32, 10, 0x2000
	v_lshlrev_b32_e32 v1, 7, v1
	s_delay_alu instid0(VALU_DEP_3) | instskip(NEXT) | instid1(VALU_DEP_3)
	v_and_b32_e32 v33, 0x8000, v33
	v_and_b32_e32 v32, 0xfc00, v32
	s_delay_alu instid0(VALU_DEP_1)
	v_or3_b32 v32, v33, v32, v1
.LBB256_396:                            ;   in Loop: Header=BB256_258 Depth=1
	s_or_b32 exec_lo, exec_lo, s19
.LBB256_397:                            ;   in Loop: Header=BB256_258 Depth=1
	s_delay_alu instid0(SALU_CYCLE_1)
	s_or_b32 exec_lo, exec_lo, s18
.LBB256_398:                            ;   in Loop: Header=BB256_258 Depth=1
	s_wait_alu 0xfffe
	s_or_b32 exec_lo, exec_lo, s15
	v_lshrrev_b16 v1, 8, v7
	s_mov_b32 s15, exec_lo
	s_delay_alu instid0(VALU_DEP_1)
	v_cmpx_ne_u16_e32 0, v1
	s_cbranch_execz .LBB256_406
; %bb.399:                              ;   in Loop: Header=BB256_258 Depth=1
	v_bfrev_b32_e32 v31, 1
	s_mov_b32 s18, exec_lo
	v_cmpx_ne_u16_e32 0x80, v1
	s_cbranch_execz .LBB256_405
; %bb.400:                              ;   in Loop: Header=BB256_258 Depth=1
	v_and_b32_e32 v33, 0xffff, v1
	v_mov_b32_e32 v31, 0x7c010000
	s_mov_b32 s19, exec_lo
	s_delay_alu instid0(VALU_DEP_2) | instskip(NEXT) | instid1(VALU_DEP_1)
	v_and_b32_e32 v35, 0x7f, v33
	v_cmpx_ne_u32_e32 0x7f, v35
	s_cbranch_execz .LBB256_404
; %bb.401:                              ;   in Loop: Header=BB256_258 Depth=1
	v_and_b32_e32 v31, 7, v33
	v_lshrrev_b32_e32 v34, 3, v35
	s_mov_b32 s20, exec_lo
	v_cmpx_gt_u32_e32 8, v35
; %bb.402:                              ;   in Loop: Header=BB256_258 Depth=1
	s_delay_alu instid0(VALU_DEP_3) | instskip(NEXT) | instid1(VALU_DEP_1)
	v_clz_i32_u32_e32 v31, v31
	v_min_u32_e32 v31, 32, v31
	s_delay_alu instid0(VALU_DEP_1) | instskip(NEXT) | instid1(VALU_DEP_1)
	v_subrev_nc_u32_e32 v34, 28, v31
	v_lshlrev_b64_e32 v[35:36], v34, v[1:2]
	v_sub_nc_u32_e32 v34, 29, v31
	s_delay_alu instid0(VALU_DEP_2)
	v_and_b32_e32 v31, 7, v35
; %bb.403:                              ;   in Loop: Header=BB256_258 Depth=1
	s_or_b32 exec_lo, exec_lo, s20
	v_lshlrev_b32_e32 v1, 8, v33
	s_delay_alu instid0(VALU_DEP_3) | instskip(NEXT) | instid1(VALU_DEP_3)
	v_lshl_add_u32 v33, v34, 10, 0x2000
	v_lshlrev_b32_e32 v31, 23, v31
	s_delay_alu instid0(VALU_DEP_2) | instskip(NEXT) | instid1(VALU_DEP_1)
	v_and_or_b32 v1, 0x8000, v1, v33
	v_lshl_or_b32 v31, v1, 16, v31
.LBB256_404:                            ;   in Loop: Header=BB256_258 Depth=1
	s_or_b32 exec_lo, exec_lo, s19
.LBB256_405:                            ;   in Loop: Header=BB256_258 Depth=1
	s_delay_alu instid0(SALU_CYCLE_1)
	s_or_b32 exec_lo, exec_lo, s18
.LBB256_406:                            ;   in Loop: Header=BB256_258 Depth=1
	s_wait_alu 0xfffe
	s_or_b32 exec_lo, exec_lo, s15
	v_lshrrev_b32_e32 v1, 16, v7
	v_mov_b32_e32 v33, 0
	s_mov_b32 s15, exec_lo
	s_delay_alu instid0(VALU_DEP_2) | instskip(NEXT) | instid1(VALU_DEP_1)
	v_dual_mov_b32 v34, 0 :: v_dual_and_b32 v35, 0xff, v1
	v_cmpx_ne_u16_e32 0, v35
	s_cbranch_execz .LBB256_414
; %bb.407:                              ;   in Loop: Header=BB256_258 Depth=1
	v_mov_b32_e32 v34, 0x8000
	s_mov_b32 s18, exec_lo
	v_cmpx_ne_u16_e32 0x80, v35
	s_cbranch_execz .LBB256_413
; %bb.408:                              ;   in Loop: Header=BB256_258 Depth=1
	v_bfe_u32 v36, v7, 16, 7
	v_mov_b32_e32 v34, 0x7c01
	s_mov_b32 s19, exec_lo
	s_delay_alu instid0(VALU_DEP_2)
	v_cmpx_ne_u32_e32 0x7f, v36
	s_cbranch_execz .LBB256_412
; %bb.409:                              ;   in Loop: Header=BB256_258 Depth=1
	v_and_b32_e32 v34, 7, v1
	v_lshrrev_b32_e32 v35, 3, v36
	s_mov_b32 s20, exec_lo
	v_cmpx_gt_u32_e32 8, v36
; %bb.410:                              ;   in Loop: Header=BB256_258 Depth=1
	s_delay_alu instid0(VALU_DEP_3) | instskip(NEXT) | instid1(VALU_DEP_1)
	v_clz_i32_u32_e32 v34, v34
	v_min_u32_e32 v36, 32, v34
	s_delay_alu instid0(VALU_DEP_1) | instskip(NEXT) | instid1(VALU_DEP_1)
	v_subrev_nc_u32_e32 v34, 28, v36
	v_lshlrev_b64_e32 v[34:35], v34, v[1:2]
	v_sub_nc_u32_e32 v35, 29, v36
	s_delay_alu instid0(VALU_DEP_2)
	v_and_b32_e32 v34, 7, v34
; %bb.411:                              ;   in Loop: Header=BB256_258 Depth=1
	s_or_b32 exec_lo, exec_lo, s20
	v_lshlrev_b32_e32 v1, 8, v1
	s_delay_alu instid0(VALU_DEP_3) | instskip(NEXT) | instid1(VALU_DEP_3)
	v_lshl_add_u32 v35, v35, 10, 0x2000
	v_lshlrev_b32_e32 v34, 7, v34
	s_delay_alu instid0(VALU_DEP_3) | instskip(NEXT) | instid1(VALU_DEP_3)
	v_and_b32_e32 v1, 0x8000, v1
	v_and_b32_e32 v35, 0xfc00, v35
	s_delay_alu instid0(VALU_DEP_1)
	v_or3_b32 v34, v1, v35, v34
.LBB256_412:                            ;   in Loop: Header=BB256_258 Depth=1
	s_or_b32 exec_lo, exec_lo, s19
.LBB256_413:                            ;   in Loop: Header=BB256_258 Depth=1
	s_delay_alu instid0(SALU_CYCLE_1)
	s_or_b32 exec_lo, exec_lo, s18
.LBB256_414:                            ;   in Loop: Header=BB256_258 Depth=1
	s_wait_alu 0xfffe
	s_or_b32 exec_lo, exec_lo, s15
	s_delay_alu instid0(SALU_CYCLE_1)
	s_mov_b32 s15, exec_lo
	v_cmpx_lt_u32_e32 0xffffff, v7
	s_cbranch_execz .LBB256_422
; %bb.415:                              ;   in Loop: Header=BB256_258 Depth=1
	v_lshrrev_b32_e32 v1, 24, v7
	v_bfrev_b32_e32 v33, 1
	s_mov_b32 s18, exec_lo
	s_delay_alu instid0(VALU_DEP_2)
	v_cmpx_ne_u32_e32 0x80, v1
	s_cbranch_execz .LBB256_421
; %bb.416:                              ;   in Loop: Header=BB256_258 Depth=1
	v_and_b32_e32 v36, 0x7f, v1
	v_mov_b32_e32 v33, 0x7c010000
	s_mov_b32 s19, exec_lo
	s_delay_alu instid0(VALU_DEP_2)
	v_cmpx_ne_u32_e32 0x7f, v36
	s_cbranch_execz .LBB256_420
; %bb.417:                              ;   in Loop: Header=BB256_258 Depth=1
	v_and_b32_e32 v33, 7, v1
	v_lshrrev_b32_e32 v35, 3, v36
	s_mov_b32 s20, exec_lo
	v_cmpx_gt_u32_e32 8, v36
; %bb.418:                              ;   in Loop: Header=BB256_258 Depth=1
	s_delay_alu instid0(VALU_DEP_3) | instskip(NEXT) | instid1(VALU_DEP_1)
	v_clz_i32_u32_e32 v33, v33
	v_min_u32_e32 v33, 32, v33
	s_delay_alu instid0(VALU_DEP_1) | instskip(NEXT) | instid1(VALU_DEP_1)
	v_subrev_nc_u32_e32 v35, 28, v33
	v_lshlrev_b64_e32 v[36:37], v35, v[1:2]
	v_sub_nc_u32_e32 v35, 29, v33
	s_delay_alu instid0(VALU_DEP_2)
	v_and_b32_e32 v33, 7, v36
; %bb.419:                              ;   in Loop: Header=BB256_258 Depth=1
	s_or_b32 exec_lo, exec_lo, s20
	v_lshlrev_b32_e32 v1, 8, v1
	s_delay_alu instid0(VALU_DEP_3) | instskip(NEXT) | instid1(VALU_DEP_3)
	v_lshl_add_u32 v35, v35, 10, 0x2000
	v_lshlrev_b32_e32 v33, 23, v33
	s_delay_alu instid0(VALU_DEP_2) | instskip(NEXT) | instid1(VALU_DEP_1)
	v_and_or_b32 v1, 0x8000, v1, v35
	v_lshl_or_b32 v33, v1, 16, v33
.LBB256_420:                            ;   in Loop: Header=BB256_258 Depth=1
	s_or_b32 exec_lo, exec_lo, s19
.LBB256_421:                            ;   in Loop: Header=BB256_258 Depth=1
	s_delay_alu instid0(SALU_CYCLE_1)
	s_or_b32 exec_lo, exec_lo, s18
.LBB256_422:                            ;   in Loop: Header=BB256_258 Depth=1
	s_wait_alu 0xfffe
	s_or_b32 exec_lo, exec_lo, s15
	v_dual_mov_b32 v36, 0 :: v_dual_and_b32 v37, 0xff, v8
	v_mov_b32_e32 v1, v8
	v_mov_b32_e32 v35, 0
	s_mov_b32 s15, exec_lo
	s_delay_alu instid0(VALU_DEP_3)
	v_cmpx_ne_u16_e32 0, v37
	s_cbranch_execz .LBB256_430
; %bb.423:                              ;   in Loop: Header=BB256_258 Depth=1
	v_mov_b32_e32 v36, 0x8000
	s_mov_b32 s18, exec_lo
	v_cmpx_ne_u16_e32 0x80, v37
	s_cbranch_execz .LBB256_429
; %bb.424:                              ;   in Loop: Header=BB256_258 Depth=1
	v_and_b32_e32 v38, 0x7f, v8
	v_mov_b32_e32 v36, 0x7c01
	s_mov_b32 s19, exec_lo
	s_delay_alu instid0(VALU_DEP_2)
	v_cmpx_ne_u32_e32 0x7f, v38
	s_cbranch_execz .LBB256_428
; %bb.425:                              ;   in Loop: Header=BB256_258 Depth=1
	v_and_b32_e32 v36, 7, v8
	v_lshrrev_b32_e32 v37, 3, v38
	s_mov_b32 s20, exec_lo
	v_cmpx_gt_u32_e32 8, v38
; %bb.426:                              ;   in Loop: Header=BB256_258 Depth=1
	s_delay_alu instid0(VALU_DEP_3) | instskip(NEXT) | instid1(VALU_DEP_1)
	v_clz_i32_u32_e32 v36, v36
	v_min_u32_e32 v38, 32, v36
	s_delay_alu instid0(VALU_DEP_1) | instskip(NEXT) | instid1(VALU_DEP_1)
	v_subrev_nc_u32_e32 v36, 28, v38
	v_lshlrev_b64_e32 v[36:37], v36, v[1:2]
	v_sub_nc_u32_e32 v37, 29, v38
	s_delay_alu instid0(VALU_DEP_2)
	v_and_b32_e32 v36, 7, v36
; %bb.427:                              ;   in Loop: Header=BB256_258 Depth=1
	s_or_b32 exec_lo, exec_lo, s20
	v_lshlrev_b32_e32 v38, 8, v8
	s_delay_alu instid0(VALU_DEP_3) | instskip(NEXT) | instid1(VALU_DEP_3)
	v_lshl_add_u32 v37, v37, 10, 0x2000
	v_lshlrev_b32_e32 v36, 7, v36
	s_delay_alu instid0(VALU_DEP_3) | instskip(NEXT) | instid1(VALU_DEP_3)
	v_and_b32_e32 v38, 0x8000, v38
	v_and_b32_e32 v37, 0xfc00, v37
	s_delay_alu instid0(VALU_DEP_1)
	v_or3_b32 v36, v38, v37, v36
.LBB256_428:                            ;   in Loop: Header=BB256_258 Depth=1
	s_or_b32 exec_lo, exec_lo, s19
.LBB256_429:                            ;   in Loop: Header=BB256_258 Depth=1
	s_delay_alu instid0(SALU_CYCLE_1)
	s_or_b32 exec_lo, exec_lo, s18
.LBB256_430:                            ;   in Loop: Header=BB256_258 Depth=1
	s_wait_alu 0xfffe
	s_or_b32 exec_lo, exec_lo, s15
	v_lshrrev_b16 v1, 8, v1
	v_mov_b32_e32 v37, 0
	s_mov_b32 s15, exec_lo
	s_delay_alu instid0(VALU_DEP_2)
	v_cmpx_ne_u16_e32 0, v1
	s_cbranch_execz .LBB256_438
; %bb.431:                              ;   in Loop: Header=BB256_258 Depth=1
	v_bfrev_b32_e32 v37, 1
	s_mov_b32 s18, exec_lo
	v_cmpx_ne_u16_e32 0x80, v1
	s_cbranch_execz .LBB256_437
; %bb.432:                              ;   in Loop: Header=BB256_258 Depth=1
	v_and_b32_e32 v38, 0xffff, v1
	v_mov_b32_e32 v37, 0x7c010000
	s_mov_b32 s19, exec_lo
	s_delay_alu instid0(VALU_DEP_2) | instskip(NEXT) | instid1(VALU_DEP_1)
	v_and_b32_e32 v40, 0x7f, v38
	v_cmpx_ne_u32_e32 0x7f, v40
	s_cbranch_execz .LBB256_436
; %bb.433:                              ;   in Loop: Header=BB256_258 Depth=1
	v_and_b32_e32 v37, 7, v38
	v_lshrrev_b32_e32 v39, 3, v40
	s_mov_b32 s20, exec_lo
	v_cmpx_gt_u32_e32 8, v40
; %bb.434:                              ;   in Loop: Header=BB256_258 Depth=1
	s_delay_alu instid0(VALU_DEP_3) | instskip(NEXT) | instid1(VALU_DEP_1)
	v_clz_i32_u32_e32 v37, v37
	v_min_u32_e32 v37, 32, v37
	s_delay_alu instid0(VALU_DEP_1) | instskip(NEXT) | instid1(VALU_DEP_1)
	v_subrev_nc_u32_e32 v39, 28, v37
	v_lshlrev_b64_e32 v[40:41], v39, v[1:2]
	v_sub_nc_u32_e32 v39, 29, v37
	s_delay_alu instid0(VALU_DEP_2)
	v_and_b32_e32 v37, 7, v40
; %bb.435:                              ;   in Loop: Header=BB256_258 Depth=1
	s_or_b32 exec_lo, exec_lo, s20
	v_lshlrev_b32_e32 v1, 8, v38
	s_delay_alu instid0(VALU_DEP_3) | instskip(NEXT) | instid1(VALU_DEP_3)
	v_lshl_add_u32 v38, v39, 10, 0x2000
	v_lshlrev_b32_e32 v37, 23, v37
	s_delay_alu instid0(VALU_DEP_2) | instskip(NEXT) | instid1(VALU_DEP_1)
	v_and_or_b32 v1, 0x8000, v1, v38
	v_lshl_or_b32 v37, v1, 16, v37
.LBB256_436:                            ;   in Loop: Header=BB256_258 Depth=1
	s_or_b32 exec_lo, exec_lo, s19
.LBB256_437:                            ;   in Loop: Header=BB256_258 Depth=1
	s_delay_alu instid0(SALU_CYCLE_1)
	s_or_b32 exec_lo, exec_lo, s18
.LBB256_438:                            ;   in Loop: Header=BB256_258 Depth=1
	s_wait_alu 0xfffe
	s_or_b32 exec_lo, exec_lo, s15
	v_lshrrev_b32_e32 v1, 16, v8
	s_mov_b32 s15, exec_lo
	s_delay_alu instid0(VALU_DEP_1) | instskip(NEXT) | instid1(VALU_DEP_1)
	v_and_b32_e32 v38, 0xff, v1
	v_cmpx_ne_u16_e32 0, v38
	s_cbranch_execz .LBB256_446
; %bb.439:                              ;   in Loop: Header=BB256_258 Depth=1
	v_mov_b32_e32 v35, 0x8000
	s_mov_b32 s18, exec_lo
	v_cmpx_ne_u16_e32 0x80, v38
	s_cbranch_execz .LBB256_445
; %bb.440:                              ;   in Loop: Header=BB256_258 Depth=1
	v_bfe_u32 v39, v8, 16, 7
	v_mov_b32_e32 v35, 0x7c01
	s_mov_b32 s19, exec_lo
	s_delay_alu instid0(VALU_DEP_2)
	v_cmpx_ne_u32_e32 0x7f, v39
	s_cbranch_execz .LBB256_444
; %bb.441:                              ;   in Loop: Header=BB256_258 Depth=1
	v_and_b32_e32 v35, 7, v1
	v_lshrrev_b32_e32 v38, 3, v39
	s_mov_b32 s20, exec_lo
	v_cmpx_gt_u32_e32 8, v39
; %bb.442:                              ;   in Loop: Header=BB256_258 Depth=1
	s_delay_alu instid0(VALU_DEP_3) | instskip(NEXT) | instid1(VALU_DEP_1)
	v_clz_i32_u32_e32 v35, v35
	v_min_u32_e32 v35, 32, v35
	s_delay_alu instid0(VALU_DEP_1) | instskip(NEXT) | instid1(VALU_DEP_1)
	v_subrev_nc_u32_e32 v38, 28, v35
	v_lshlrev_b64_e32 v[39:40], v38, v[1:2]
	v_sub_nc_u32_e32 v38, 29, v35
	s_delay_alu instid0(VALU_DEP_2)
	v_and_b32_e32 v35, 7, v39
; %bb.443:                              ;   in Loop: Header=BB256_258 Depth=1
	s_or_b32 exec_lo, exec_lo, s20
	v_lshlrev_b32_e32 v1, 8, v1
	s_delay_alu instid0(VALU_DEP_3) | instskip(NEXT) | instid1(VALU_DEP_3)
	v_lshl_add_u32 v38, v38, 10, 0x2000
	v_lshlrev_b32_e32 v35, 7, v35
	s_delay_alu instid0(VALU_DEP_3) | instskip(NEXT) | instid1(VALU_DEP_3)
	v_and_b32_e32 v1, 0x8000, v1
	v_and_b32_e32 v38, 0xfc00, v38
	s_delay_alu instid0(VALU_DEP_1)
	v_or3_b32 v35, v1, v38, v35
.LBB256_444:                            ;   in Loop: Header=BB256_258 Depth=1
	s_or_b32 exec_lo, exec_lo, s19
.LBB256_445:                            ;   in Loop: Header=BB256_258 Depth=1
	s_delay_alu instid0(SALU_CYCLE_1)
	s_or_b32 exec_lo, exec_lo, s18
.LBB256_446:                            ;   in Loop: Header=BB256_258 Depth=1
	s_wait_alu 0xfffe
	s_or_b32 exec_lo, exec_lo, s15
	v_cmp_lt_u64_e64 s1, s[4:5], v[7:8]
	v_mov_b32_e32 v7, 0
	s_and_saveexec_b32 s15, s1
	s_cbranch_execz .LBB256_454
; %bb.447:                              ;   in Loop: Header=BB256_258 Depth=1
	v_lshrrev_b32_e32 v1, 24, v8
	v_bfrev_b32_e32 v7, 1
	s_mov_b32 s18, exec_lo
	s_delay_alu instid0(VALU_DEP_2)
	v_cmpx_ne_u32_e32 0x80, v1
	s_cbranch_execz .LBB256_453
; %bb.448:                              ;   in Loop: Header=BB256_258 Depth=1
	v_and_b32_e32 v38, 0x7f, v1
	v_mov_b32_e32 v7, 0x7c010000
	s_mov_b32 s19, exec_lo
	s_delay_alu instid0(VALU_DEP_2)
	v_cmpx_ne_u32_e32 0x7f, v38
	s_cbranch_execz .LBB256_452
; %bb.449:                              ;   in Loop: Header=BB256_258 Depth=1
	v_and_b32_e32 v7, 7, v1
	v_lshrrev_b32_e32 v8, 3, v38
	s_mov_b32 s20, exec_lo
	v_cmpx_gt_u32_e32 8, v38
; %bb.450:                              ;   in Loop: Header=BB256_258 Depth=1
	s_delay_alu instid0(VALU_DEP_3) | instskip(NEXT) | instid1(VALU_DEP_1)
	v_clz_i32_u32_e32 v7, v7
	v_min_u32_e32 v38, 32, v7
	s_delay_alu instid0(VALU_DEP_1) | instskip(NEXT) | instid1(VALU_DEP_1)
	v_subrev_nc_u32_e32 v7, 28, v38
	v_lshlrev_b64_e32 v[7:8], v7, v[1:2]
	v_sub_nc_u32_e32 v8, 29, v38
	s_delay_alu instid0(VALU_DEP_2)
	v_and_b32_e32 v7, 7, v7
; %bb.451:                              ;   in Loop: Header=BB256_258 Depth=1
	s_or_b32 exec_lo, exec_lo, s20
	v_lshlrev_b32_e32 v1, 8, v1
	s_delay_alu instid0(VALU_DEP_3) | instskip(NEXT) | instid1(VALU_DEP_3)
	v_lshl_add_u32 v8, v8, 10, 0x2000
	v_lshlrev_b32_e32 v7, 23, v7
	s_delay_alu instid0(VALU_DEP_2) | instskip(NEXT) | instid1(VALU_DEP_1)
	v_and_or_b32 v1, 0x8000, v1, v8
	v_lshl_or_b32 v7, v1, 16, v7
.LBB256_452:                            ;   in Loop: Header=BB256_258 Depth=1
	s_or_b32 exec_lo, exec_lo, s19
.LBB256_453:                            ;   in Loop: Header=BB256_258 Depth=1
	s_delay_alu instid0(SALU_CYCLE_1)
	s_or_b32 exec_lo, exec_lo, s18
.LBB256_454:                            ;   in Loop: Header=BB256_258 Depth=1
	s_wait_alu 0xfffe
	s_or_b32 exec_lo, exec_lo, s15
	v_or_b32_e32 v1, v33, v34
	s_wait_loadcnt 0x0
	v_fma_mixlo_f16 v8, v30, v33, 0 op_sel:[0,1,0] op_sel_hi:[0,1,0]
	v_or_b32_e32 v32, v31, v32
	v_fma_mixlo_f16 v31, v30, v31, 0 op_sel:[0,1,0] op_sel_hi:[0,1,0]
	v_or_b32_e32 v34, v37, v36
	v_or_b32_e32 v35, v7, v35
	v_fma_mixlo_f16 v36, v30, v1, 0 op_sel_hi:[0,1,0]
	v_lshlrev_b32_e32 v1, 16, v8
	v_lshlrev_b32_e32 v33, 16, v31
	v_fma_mixlo_f16 v8, v30, v32, 0 op_sel_hi:[0,1,0]
	v_fma_mixlo_f16 v31, v30, v37, 0 op_sel:[0,1,0] op_sel_hi:[0,1,0]
	v_fma_mixlo_f16 v34, v30, v34, 0 op_sel_hi:[0,1,0]
	v_fma_mixlo_f16 v7, v30, v7, 0 op_sel:[0,1,0] op_sel_hi:[0,1,0]
	v_fma_mixlo_f16 v30, v30, v35, 0 op_sel_hi:[0,1,0]
	v_and_b32_e32 v32, 0xffff, v36
	v_and_b32_e32 v37, 0xffff, v8
	v_lshlrev_b32_e32 v8, 16, v31
	v_and_b32_e32 v31, 0xffff, v34
	v_lshlrev_b32_e32 v7, 16, v7
	v_and_b32_e32 v30, 0xffff, v30
	v_or_b32_e32 v34, v1, v32
	v_or_b32_e32 v38, v33, v37
	v_or_b32_e32 v36, v8, v31
	s_delay_alu instid0(VALU_DEP_4)
	v_or_b32_e32 v35, v7, v30
	s_and_saveexec_b32 s15, s0
	s_cbranch_execz .LBB256_456
; %bb.455:                              ;   in Loop: Header=BB256_258 Depth=1
	v_add_nc_u32_e32 v34, -6, v21
	v_cmp_gt_i32_e64 s1, s27, v23
	v_add_nc_u32_e32 v35, -5, v21
	s_wait_alu 0xf1ff
	s_delay_alu instid0(VALU_DEP_2) | instskip(SKIP_4) | instid1(VALU_DEP_3)
	v_cndmask_b32_e64 v36, 0, v37, s1
	v_cmp_gt_i32_e64 s1, s27, v34
	v_add_nc_u32_e32 v34, -4, v21
	v_add_nc_u32_e32 v37, -2, v21
	s_wait_alu 0xf1ff
	v_cndmask_b32_e64 v33, 0, v33, s1
	v_cmp_gt_i32_e64 s1, s27, v35
	v_add_nc_u32_e32 v35, -3, v21
	s_delay_alu instid0(VALU_DEP_3) | instskip(SKIP_1) | instid1(VALU_DEP_3)
	v_or_b32_e32 v38, v33, v36
	s_wait_alu 0xf1ff
	v_cndmask_b32_e64 v32, 0, v32, s1
	v_cmp_gt_i32_e64 s1, s27, v34
	v_add_nc_u32_e32 v34, -1, v21
	s_wait_alu 0xf1ff
	s_delay_alu instid0(VALU_DEP_2) | instskip(SKIP_2) | instid1(VALU_DEP_1)
	v_cndmask_b32_e64 v1, 0, v1, s1
	v_cmp_gt_i32_e64 s1, s27, v35
	s_wait_alu 0xf1ff
	v_cndmask_b32_e64 v31, 0, v31, s1
	v_cmp_gt_i32_e64 s1, s27, v37
	s_wait_alu 0xf1ff
	s_delay_alu instid0(VALU_DEP_1) | instskip(SKIP_2) | instid1(VALU_DEP_3)
	v_cndmask_b32_e64 v8, 0, v8, s1
	v_cmp_gt_i32_e64 s1, s27, v34
	v_or_b32_e32 v34, v1, v32
	v_or_b32_e32 v36, v8, v31
	s_wait_alu 0xf1ff
	s_delay_alu instid0(VALU_DEP_3) | instskip(SKIP_2) | instid1(VALU_DEP_1)
	v_cndmask_b32_e64 v30, 0, v30, s1
	v_cmp_gt_i32_e64 s1, s27, v21
	s_wait_alu 0xf1ff
	v_cndmask_b32_e64 v7, 0, v7, s1
	s_delay_alu instid0(VALU_DEP_1)
	v_or_b32_e32 v35, v7, v30
.LBB256_456:                            ;   in Loop: Header=BB256_258 Depth=1
	s_wait_alu 0xfffe
	s_or_b32 exec_lo, exec_lo, s15
	;;#ASMSTART
	v_pk_mul_f16 v1, v29, v38;

	;;#ASMEND
	;;#ASMSTART
	v_pk_mul_f16 v7, v28, v34;

	;;#ASMEND
	;; [unrolled: 4-line block ×4, first 2 shown]
	;;#ASMSTART
	v_pk_add_f16 v1, v1, v7;

	;;#ASMEND
	;;#ASMSTART
	v_pk_add_f16 v1, v1, v8;

	;;#ASMEND
	;; [unrolled: 4-line block ×3, first 2 shown]
	v_and_b32_e32 v7, 0xffff, v1
	v_lshrrev_b32_e32 v1, 16, v1
	;;#ASMSTART
	v_cvt_f32_f16 v7, v7;
	;;#ASMEND
	;;#ASMSTART
	v_cvt_f32_f16 v8, v1;
	;;#ASMEND
	s_and_saveexec_b32 s15, vcc_lo
	s_cbranch_execz .LBB256_257
; %bb.457:                              ;   in Loop: Header=BB256_258 Depth=1
	v_add_co_u32 v5, s1, v5, v20
	s_wait_alu 0xf1ff
	v_add_co_ci_u32_e64 v6, null, 0, v6, s1
	v_dual_mov_b32 v31, 0 :: v_dual_mov_b32 v32, 0
	s_mov_b32 s18, exec_lo
	global_load_b64 v[5:6], v[5:6], off
	global_load_b32 v30, v31, s[10:11]
	s_wait_loadcnt 0x1
	v_and_b32_e32 v1, 0xff, v5
	s_delay_alu instid0(VALU_DEP_1)
	v_cmpx_ne_u16_e32 0, v1
	s_cbranch_execz .LBB256_465
; %bb.458:                              ;   in Loop: Header=BB256_258 Depth=1
	v_mov_b32_e32 v32, 0x8000
	s_mov_b32 s19, exec_lo
	v_cmpx_ne_u16_e32 0x80, v1
	s_cbranch_execz .LBB256_464
; %bb.459:                              ;   in Loop: Header=BB256_258 Depth=1
	v_and_b32_e32 v33, 0x7f, v5
	v_mov_b32_e32 v32, 0x7c01
	s_mov_b32 s20, exec_lo
	s_delay_alu instid0(VALU_DEP_2)
	v_cmpx_ne_u32_e32 0x7f, v33
	s_cbranch_execz .LBB256_463
; %bb.460:                              ;   in Loop: Header=BB256_258 Depth=1
	v_and_b32_e32 v1, 7, v5
	v_lshrrev_b32_e32 v32, 3, v33
	s_mov_b32 s21, exec_lo
	v_cmpx_gt_u32_e32 8, v33
; %bb.461:                              ;   in Loop: Header=BB256_258 Depth=1
	s_delay_alu instid0(VALU_DEP_3) | instskip(NEXT) | instid1(VALU_DEP_1)
	v_clz_i32_u32_e32 v1, v1
	v_min_u32_e32 v1, 32, v1
	s_delay_alu instid0(VALU_DEP_1) | instskip(NEXT) | instid1(VALU_DEP_1)
	v_subrev_nc_u32_e32 v32, 28, v1
	v_lshlrev_b64_e32 v[33:34], v32, v[5:6]
	v_sub_nc_u32_e32 v32, 29, v1
	s_delay_alu instid0(VALU_DEP_2)
	v_and_b32_e32 v1, 7, v33
; %bb.462:                              ;   in Loop: Header=BB256_258 Depth=1
	s_or_b32 exec_lo, exec_lo, s21
	v_lshlrev_b32_e32 v33, 8, v5
	s_delay_alu instid0(VALU_DEP_3) | instskip(NEXT) | instid1(VALU_DEP_3)
	v_lshl_add_u32 v32, v32, 10, 0x2000
	v_lshlrev_b32_e32 v1, 7, v1
	s_delay_alu instid0(VALU_DEP_3) | instskip(NEXT) | instid1(VALU_DEP_3)
	v_and_b32_e32 v33, 0x8000, v33
	v_and_b32_e32 v32, 0xfc00, v32
	s_delay_alu instid0(VALU_DEP_1)
	v_or3_b32 v32, v33, v32, v1
.LBB256_463:                            ;   in Loop: Header=BB256_258 Depth=1
	s_or_b32 exec_lo, exec_lo, s20
.LBB256_464:                            ;   in Loop: Header=BB256_258 Depth=1
	s_delay_alu instid0(SALU_CYCLE_1)
	s_or_b32 exec_lo, exec_lo, s19
.LBB256_465:                            ;   in Loop: Header=BB256_258 Depth=1
	s_delay_alu instid0(SALU_CYCLE_1) | instskip(SKIP_2) | instid1(VALU_DEP_1)
	s_or_b32 exec_lo, exec_lo, s18
	v_lshrrev_b16 v1, 8, v5
	s_mov_b32 s18, exec_lo
	v_cmpx_ne_u16_e32 0, v1
	s_cbranch_execz .LBB256_473
; %bb.466:                              ;   in Loop: Header=BB256_258 Depth=1
	v_bfrev_b32_e32 v31, 1
	s_mov_b32 s19, exec_lo
	v_cmpx_ne_u16_e32 0x80, v1
	s_cbranch_execz .LBB256_472
; %bb.467:                              ;   in Loop: Header=BB256_258 Depth=1
	v_and_b32_e32 v33, 0xffff, v1
	v_mov_b32_e32 v31, 0x7c010000
	s_mov_b32 s20, exec_lo
	s_delay_alu instid0(VALU_DEP_2) | instskip(NEXT) | instid1(VALU_DEP_1)
	v_and_b32_e32 v35, 0x7f, v33
	v_cmpx_ne_u32_e32 0x7f, v35
	s_cbranch_execz .LBB256_471
; %bb.468:                              ;   in Loop: Header=BB256_258 Depth=1
	v_and_b32_e32 v31, 7, v33
	v_lshrrev_b32_e32 v34, 3, v35
	s_mov_b32 s21, exec_lo
	v_cmpx_gt_u32_e32 8, v35
; %bb.469:                              ;   in Loop: Header=BB256_258 Depth=1
	s_delay_alu instid0(VALU_DEP_3) | instskip(NEXT) | instid1(VALU_DEP_1)
	v_clz_i32_u32_e32 v31, v31
	v_min_u32_e32 v31, 32, v31
	s_delay_alu instid0(VALU_DEP_1) | instskip(NEXT) | instid1(VALU_DEP_1)
	v_subrev_nc_u32_e32 v34, 28, v31
	v_lshlrev_b64_e32 v[35:36], v34, v[1:2]
	v_sub_nc_u32_e32 v34, 29, v31
	s_delay_alu instid0(VALU_DEP_2)
	v_and_b32_e32 v31, 7, v35
; %bb.470:                              ;   in Loop: Header=BB256_258 Depth=1
	s_or_b32 exec_lo, exec_lo, s21
	v_lshlrev_b32_e32 v1, 8, v33
	s_delay_alu instid0(VALU_DEP_3) | instskip(NEXT) | instid1(VALU_DEP_3)
	v_lshl_add_u32 v33, v34, 10, 0x2000
	v_lshlrev_b32_e32 v31, 23, v31
	s_delay_alu instid0(VALU_DEP_2) | instskip(NEXT) | instid1(VALU_DEP_1)
	v_and_or_b32 v1, 0x8000, v1, v33
	v_lshl_or_b32 v31, v1, 16, v31
.LBB256_471:                            ;   in Loop: Header=BB256_258 Depth=1
	s_or_b32 exec_lo, exec_lo, s20
.LBB256_472:                            ;   in Loop: Header=BB256_258 Depth=1
	s_delay_alu instid0(SALU_CYCLE_1)
	s_or_b32 exec_lo, exec_lo, s19
.LBB256_473:                            ;   in Loop: Header=BB256_258 Depth=1
	s_delay_alu instid0(SALU_CYCLE_1) | instskip(SKIP_3) | instid1(VALU_DEP_2)
	s_or_b32 exec_lo, exec_lo, s18
	v_lshrrev_b32_e32 v1, 16, v5
	v_mov_b32_e32 v33, 0
	s_mov_b32 s18, exec_lo
	v_dual_mov_b32 v34, 0 :: v_dual_and_b32 v35, 0xff, v1
	s_delay_alu instid0(VALU_DEP_1)
	v_cmpx_ne_u16_e32 0, v35
	s_cbranch_execz .LBB256_481
; %bb.474:                              ;   in Loop: Header=BB256_258 Depth=1
	v_mov_b32_e32 v34, 0x8000
	s_mov_b32 s19, exec_lo
	v_cmpx_ne_u16_e32 0x80, v35
	s_cbranch_execz .LBB256_480
; %bb.475:                              ;   in Loop: Header=BB256_258 Depth=1
	v_bfe_u32 v36, v5, 16, 7
	v_mov_b32_e32 v34, 0x7c01
	s_mov_b32 s20, exec_lo
	s_delay_alu instid0(VALU_DEP_2)
	v_cmpx_ne_u32_e32 0x7f, v36
	s_cbranch_execz .LBB256_479
; %bb.476:                              ;   in Loop: Header=BB256_258 Depth=1
	v_and_b32_e32 v34, 7, v1
	v_lshrrev_b32_e32 v35, 3, v36
	s_mov_b32 s21, exec_lo
	v_cmpx_gt_u32_e32 8, v36
; %bb.477:                              ;   in Loop: Header=BB256_258 Depth=1
	s_delay_alu instid0(VALU_DEP_3) | instskip(NEXT) | instid1(VALU_DEP_1)
	v_clz_i32_u32_e32 v34, v34
	v_min_u32_e32 v36, 32, v34
	s_delay_alu instid0(VALU_DEP_1) | instskip(NEXT) | instid1(VALU_DEP_1)
	v_subrev_nc_u32_e32 v34, 28, v36
	v_lshlrev_b64_e32 v[34:35], v34, v[1:2]
	v_sub_nc_u32_e32 v35, 29, v36
	s_delay_alu instid0(VALU_DEP_2)
	v_and_b32_e32 v34, 7, v34
; %bb.478:                              ;   in Loop: Header=BB256_258 Depth=1
	s_or_b32 exec_lo, exec_lo, s21
	v_lshlrev_b32_e32 v1, 8, v1
	s_delay_alu instid0(VALU_DEP_3) | instskip(NEXT) | instid1(VALU_DEP_3)
	v_lshl_add_u32 v35, v35, 10, 0x2000
	v_lshlrev_b32_e32 v34, 7, v34
	s_delay_alu instid0(VALU_DEP_3) | instskip(NEXT) | instid1(VALU_DEP_3)
	v_and_b32_e32 v1, 0x8000, v1
	v_and_b32_e32 v35, 0xfc00, v35
	s_delay_alu instid0(VALU_DEP_1)
	v_or3_b32 v34, v1, v35, v34
.LBB256_479:                            ;   in Loop: Header=BB256_258 Depth=1
	s_or_b32 exec_lo, exec_lo, s20
.LBB256_480:                            ;   in Loop: Header=BB256_258 Depth=1
	s_delay_alu instid0(SALU_CYCLE_1)
	s_or_b32 exec_lo, exec_lo, s19
.LBB256_481:                            ;   in Loop: Header=BB256_258 Depth=1
	s_delay_alu instid0(SALU_CYCLE_1) | instskip(NEXT) | instid1(SALU_CYCLE_1)
	s_or_b32 exec_lo, exec_lo, s18
	s_mov_b32 s18, exec_lo
	v_cmpx_lt_u32_e32 0xffffff, v5
	s_cbranch_execz .LBB256_489
; %bb.482:                              ;   in Loop: Header=BB256_258 Depth=1
	v_lshrrev_b32_e32 v1, 24, v5
	v_bfrev_b32_e32 v33, 1
	s_mov_b32 s19, exec_lo
	s_delay_alu instid0(VALU_DEP_2)
	v_cmpx_ne_u32_e32 0x80, v1
	s_cbranch_execz .LBB256_488
; %bb.483:                              ;   in Loop: Header=BB256_258 Depth=1
	v_and_b32_e32 v36, 0x7f, v1
	v_mov_b32_e32 v33, 0x7c010000
	s_mov_b32 s20, exec_lo
	s_delay_alu instid0(VALU_DEP_2)
	v_cmpx_ne_u32_e32 0x7f, v36
	s_cbranch_execz .LBB256_487
; %bb.484:                              ;   in Loop: Header=BB256_258 Depth=1
	v_and_b32_e32 v33, 7, v1
	v_lshrrev_b32_e32 v35, 3, v36
	s_mov_b32 s21, exec_lo
	v_cmpx_gt_u32_e32 8, v36
; %bb.485:                              ;   in Loop: Header=BB256_258 Depth=1
	s_delay_alu instid0(VALU_DEP_3) | instskip(NEXT) | instid1(VALU_DEP_1)
	v_clz_i32_u32_e32 v33, v33
	v_min_u32_e32 v33, 32, v33
	s_delay_alu instid0(VALU_DEP_1) | instskip(NEXT) | instid1(VALU_DEP_1)
	v_subrev_nc_u32_e32 v35, 28, v33
	v_lshlrev_b64_e32 v[36:37], v35, v[1:2]
	v_sub_nc_u32_e32 v35, 29, v33
	s_delay_alu instid0(VALU_DEP_2)
	v_and_b32_e32 v33, 7, v36
; %bb.486:                              ;   in Loop: Header=BB256_258 Depth=1
	s_or_b32 exec_lo, exec_lo, s21
	v_lshlrev_b32_e32 v1, 8, v1
	s_delay_alu instid0(VALU_DEP_3) | instskip(NEXT) | instid1(VALU_DEP_3)
	v_lshl_add_u32 v35, v35, 10, 0x2000
	v_lshlrev_b32_e32 v33, 23, v33
	s_delay_alu instid0(VALU_DEP_2) | instskip(NEXT) | instid1(VALU_DEP_1)
	v_and_or_b32 v1, 0x8000, v1, v35
	v_lshl_or_b32 v33, v1, 16, v33
.LBB256_487:                            ;   in Loop: Header=BB256_258 Depth=1
	s_or_b32 exec_lo, exec_lo, s20
.LBB256_488:                            ;   in Loop: Header=BB256_258 Depth=1
	s_delay_alu instid0(SALU_CYCLE_1)
	s_or_b32 exec_lo, exec_lo, s19
.LBB256_489:                            ;   in Loop: Header=BB256_258 Depth=1
	s_delay_alu instid0(SALU_CYCLE_1) | instskip(SKIP_4) | instid1(VALU_DEP_3)
	s_or_b32 exec_lo, exec_lo, s18
	v_dual_mov_b32 v36, 0 :: v_dual_and_b32 v37, 0xff, v6
	v_mov_b32_e32 v1, v6
	v_mov_b32_e32 v35, 0
	s_mov_b32 s18, exec_lo
	v_cmpx_ne_u16_e32 0, v37
	s_cbranch_execz .LBB256_497
; %bb.490:                              ;   in Loop: Header=BB256_258 Depth=1
	v_mov_b32_e32 v36, 0x8000
	s_mov_b32 s19, exec_lo
	v_cmpx_ne_u16_e32 0x80, v37
	s_cbranch_execz .LBB256_496
; %bb.491:                              ;   in Loop: Header=BB256_258 Depth=1
	v_and_b32_e32 v38, 0x7f, v6
	v_mov_b32_e32 v36, 0x7c01
	s_mov_b32 s20, exec_lo
	s_delay_alu instid0(VALU_DEP_2)
	v_cmpx_ne_u32_e32 0x7f, v38
	s_cbranch_execz .LBB256_495
; %bb.492:                              ;   in Loop: Header=BB256_258 Depth=1
	v_and_b32_e32 v36, 7, v6
	v_lshrrev_b32_e32 v37, 3, v38
	s_mov_b32 s21, exec_lo
	v_cmpx_gt_u32_e32 8, v38
; %bb.493:                              ;   in Loop: Header=BB256_258 Depth=1
	s_delay_alu instid0(VALU_DEP_3) | instskip(NEXT) | instid1(VALU_DEP_1)
	v_clz_i32_u32_e32 v36, v36
	v_min_u32_e32 v38, 32, v36
	s_delay_alu instid0(VALU_DEP_1) | instskip(NEXT) | instid1(VALU_DEP_1)
	v_subrev_nc_u32_e32 v36, 28, v38
	v_lshlrev_b64_e32 v[36:37], v36, v[1:2]
	v_sub_nc_u32_e32 v37, 29, v38
	s_delay_alu instid0(VALU_DEP_2)
	v_and_b32_e32 v36, 7, v36
; %bb.494:                              ;   in Loop: Header=BB256_258 Depth=1
	s_or_b32 exec_lo, exec_lo, s21
	v_lshlrev_b32_e32 v38, 8, v6
	s_delay_alu instid0(VALU_DEP_3) | instskip(NEXT) | instid1(VALU_DEP_3)
	v_lshl_add_u32 v37, v37, 10, 0x2000
	v_lshlrev_b32_e32 v36, 7, v36
	s_delay_alu instid0(VALU_DEP_3) | instskip(NEXT) | instid1(VALU_DEP_3)
	v_and_b32_e32 v38, 0x8000, v38
	v_and_b32_e32 v37, 0xfc00, v37
	s_delay_alu instid0(VALU_DEP_1)
	v_or3_b32 v36, v38, v37, v36
.LBB256_495:                            ;   in Loop: Header=BB256_258 Depth=1
	s_or_b32 exec_lo, exec_lo, s20
.LBB256_496:                            ;   in Loop: Header=BB256_258 Depth=1
	s_delay_alu instid0(SALU_CYCLE_1)
	s_or_b32 exec_lo, exec_lo, s19
.LBB256_497:                            ;   in Loop: Header=BB256_258 Depth=1
	s_delay_alu instid0(SALU_CYCLE_1) | instskip(SKIP_3) | instid1(VALU_DEP_2)
	s_or_b32 exec_lo, exec_lo, s18
	v_lshrrev_b16 v1, 8, v1
	v_mov_b32_e32 v37, 0
	s_mov_b32 s18, exec_lo
	v_cmpx_ne_u16_e32 0, v1
	s_cbranch_execz .LBB256_505
; %bb.498:                              ;   in Loop: Header=BB256_258 Depth=1
	v_bfrev_b32_e32 v37, 1
	s_mov_b32 s19, exec_lo
	v_cmpx_ne_u16_e32 0x80, v1
	s_cbranch_execz .LBB256_504
; %bb.499:                              ;   in Loop: Header=BB256_258 Depth=1
	v_and_b32_e32 v38, 0xffff, v1
	v_mov_b32_e32 v37, 0x7c010000
	s_mov_b32 s20, exec_lo
	s_delay_alu instid0(VALU_DEP_2) | instskip(NEXT) | instid1(VALU_DEP_1)
	v_and_b32_e32 v40, 0x7f, v38
	v_cmpx_ne_u32_e32 0x7f, v40
	s_cbranch_execz .LBB256_503
; %bb.500:                              ;   in Loop: Header=BB256_258 Depth=1
	v_and_b32_e32 v37, 7, v38
	v_lshrrev_b32_e32 v39, 3, v40
	s_mov_b32 s21, exec_lo
	v_cmpx_gt_u32_e32 8, v40
; %bb.501:                              ;   in Loop: Header=BB256_258 Depth=1
	s_delay_alu instid0(VALU_DEP_3) | instskip(NEXT) | instid1(VALU_DEP_1)
	v_clz_i32_u32_e32 v37, v37
	v_min_u32_e32 v37, 32, v37
	s_delay_alu instid0(VALU_DEP_1) | instskip(NEXT) | instid1(VALU_DEP_1)
	v_subrev_nc_u32_e32 v39, 28, v37
	v_lshlrev_b64_e32 v[40:41], v39, v[1:2]
	v_sub_nc_u32_e32 v39, 29, v37
	s_delay_alu instid0(VALU_DEP_2)
	v_and_b32_e32 v37, 7, v40
; %bb.502:                              ;   in Loop: Header=BB256_258 Depth=1
	s_or_b32 exec_lo, exec_lo, s21
	v_lshlrev_b32_e32 v1, 8, v38
	s_delay_alu instid0(VALU_DEP_3) | instskip(NEXT) | instid1(VALU_DEP_3)
	v_lshl_add_u32 v38, v39, 10, 0x2000
	v_lshlrev_b32_e32 v37, 23, v37
	s_delay_alu instid0(VALU_DEP_2) | instskip(NEXT) | instid1(VALU_DEP_1)
	v_and_or_b32 v1, 0x8000, v1, v38
	v_lshl_or_b32 v37, v1, 16, v37
.LBB256_503:                            ;   in Loop: Header=BB256_258 Depth=1
	s_or_b32 exec_lo, exec_lo, s20
.LBB256_504:                            ;   in Loop: Header=BB256_258 Depth=1
	s_delay_alu instid0(SALU_CYCLE_1)
	s_or_b32 exec_lo, exec_lo, s19
.LBB256_505:                            ;   in Loop: Header=BB256_258 Depth=1
	s_delay_alu instid0(SALU_CYCLE_1) | instskip(SKIP_2) | instid1(VALU_DEP_1)
	s_or_b32 exec_lo, exec_lo, s18
	v_lshrrev_b32_e32 v1, 16, v6
	s_mov_b32 s18, exec_lo
	v_and_b32_e32 v38, 0xff, v1
	s_delay_alu instid0(VALU_DEP_1)
	v_cmpx_ne_u16_e32 0, v38
	s_cbranch_execz .LBB256_513
; %bb.506:                              ;   in Loop: Header=BB256_258 Depth=1
	v_mov_b32_e32 v35, 0x8000
	s_mov_b32 s19, exec_lo
	v_cmpx_ne_u16_e32 0x80, v38
	s_cbranch_execz .LBB256_512
; %bb.507:                              ;   in Loop: Header=BB256_258 Depth=1
	v_bfe_u32 v39, v6, 16, 7
	v_mov_b32_e32 v35, 0x7c01
	s_mov_b32 s20, exec_lo
	s_delay_alu instid0(VALU_DEP_2)
	v_cmpx_ne_u32_e32 0x7f, v39
	s_cbranch_execz .LBB256_511
; %bb.508:                              ;   in Loop: Header=BB256_258 Depth=1
	v_and_b32_e32 v35, 7, v1
	v_lshrrev_b32_e32 v38, 3, v39
	s_mov_b32 s21, exec_lo
	v_cmpx_gt_u32_e32 8, v39
; %bb.509:                              ;   in Loop: Header=BB256_258 Depth=1
	s_delay_alu instid0(VALU_DEP_3) | instskip(NEXT) | instid1(VALU_DEP_1)
	v_clz_i32_u32_e32 v35, v35
	v_min_u32_e32 v35, 32, v35
	s_delay_alu instid0(VALU_DEP_1) | instskip(NEXT) | instid1(VALU_DEP_1)
	v_subrev_nc_u32_e32 v38, 28, v35
	v_lshlrev_b64_e32 v[39:40], v38, v[1:2]
	v_sub_nc_u32_e32 v38, 29, v35
	s_delay_alu instid0(VALU_DEP_2)
	v_and_b32_e32 v35, 7, v39
; %bb.510:                              ;   in Loop: Header=BB256_258 Depth=1
	s_or_b32 exec_lo, exec_lo, s21
	v_lshlrev_b32_e32 v1, 8, v1
	s_delay_alu instid0(VALU_DEP_3) | instskip(NEXT) | instid1(VALU_DEP_3)
	v_lshl_add_u32 v38, v38, 10, 0x2000
	v_lshlrev_b32_e32 v35, 7, v35
	s_delay_alu instid0(VALU_DEP_3) | instskip(NEXT) | instid1(VALU_DEP_3)
	v_and_b32_e32 v1, 0x8000, v1
	v_and_b32_e32 v38, 0xfc00, v38
	s_delay_alu instid0(VALU_DEP_1)
	v_or3_b32 v35, v1, v38, v35
.LBB256_511:                            ;   in Loop: Header=BB256_258 Depth=1
	s_or_b32 exec_lo, exec_lo, s20
.LBB256_512:                            ;   in Loop: Header=BB256_258 Depth=1
	s_delay_alu instid0(SALU_CYCLE_1)
	s_or_b32 exec_lo, exec_lo, s19
.LBB256_513:                            ;   in Loop: Header=BB256_258 Depth=1
	s_delay_alu instid0(SALU_CYCLE_1)
	s_or_b32 exec_lo, exec_lo, s18
	v_cmp_lt_u64_e64 s1, s[4:5], v[5:6]
	v_mov_b32_e32 v5, 0
	s_and_saveexec_b32 s18, s1
	s_cbranch_execz .LBB256_521
; %bb.514:                              ;   in Loop: Header=BB256_258 Depth=1
	v_lshrrev_b32_e32 v1, 24, v6
	v_bfrev_b32_e32 v5, 1
	s_mov_b32 s19, exec_lo
	s_delay_alu instid0(VALU_DEP_2)
	v_cmpx_ne_u32_e32 0x80, v1
	s_cbranch_execz .LBB256_520
; %bb.515:                              ;   in Loop: Header=BB256_258 Depth=1
	v_and_b32_e32 v38, 0x7f, v1
	v_mov_b32_e32 v5, 0x7c010000
	s_mov_b32 s20, exec_lo
	s_delay_alu instid0(VALU_DEP_2)
	v_cmpx_ne_u32_e32 0x7f, v38
	s_cbranch_execz .LBB256_519
; %bb.516:                              ;   in Loop: Header=BB256_258 Depth=1
	v_and_b32_e32 v5, 7, v1
	v_lshrrev_b32_e32 v6, 3, v38
	s_mov_b32 s21, exec_lo
	v_cmpx_gt_u32_e32 8, v38
; %bb.517:                              ;   in Loop: Header=BB256_258 Depth=1
	s_delay_alu instid0(VALU_DEP_3) | instskip(NEXT) | instid1(VALU_DEP_1)
	v_clz_i32_u32_e32 v5, v5
	v_min_u32_e32 v38, 32, v5
	s_delay_alu instid0(VALU_DEP_1) | instskip(NEXT) | instid1(VALU_DEP_1)
	v_subrev_nc_u32_e32 v5, 28, v38
	v_lshlrev_b64_e32 v[5:6], v5, v[1:2]
	v_sub_nc_u32_e32 v6, 29, v38
	s_delay_alu instid0(VALU_DEP_2)
	v_and_b32_e32 v5, 7, v5
; %bb.518:                              ;   in Loop: Header=BB256_258 Depth=1
	s_or_b32 exec_lo, exec_lo, s21
	v_lshlrev_b32_e32 v1, 8, v1
	s_delay_alu instid0(VALU_DEP_3) | instskip(NEXT) | instid1(VALU_DEP_3)
	v_lshl_add_u32 v6, v6, 10, 0x2000
	v_lshlrev_b32_e32 v5, 23, v5
	s_delay_alu instid0(VALU_DEP_2) | instskip(NEXT) | instid1(VALU_DEP_1)
	v_and_or_b32 v1, 0x8000, v1, v6
	v_lshl_or_b32 v5, v1, 16, v5
.LBB256_519:                            ;   in Loop: Header=BB256_258 Depth=1
	s_or_b32 exec_lo, exec_lo, s20
.LBB256_520:                            ;   in Loop: Header=BB256_258 Depth=1
	s_delay_alu instid0(SALU_CYCLE_1)
	s_or_b32 exec_lo, exec_lo, s19
.LBB256_521:                            ;   in Loop: Header=BB256_258 Depth=1
	s_delay_alu instid0(SALU_CYCLE_1)
	s_or_b32 exec_lo, exec_lo, s18
	v_or_b32_e32 v1, v33, v34
	s_wait_loadcnt 0x0
	v_fma_mixlo_f16 v6, v30, v33, 0 op_sel:[0,1,0] op_sel_hi:[0,1,0]
	v_or_b32_e32 v32, v31, v32
	v_fma_mixlo_f16 v31, v30, v31, 0 op_sel:[0,1,0] op_sel_hi:[0,1,0]
	v_or_b32_e32 v34, v37, v36
	v_or_b32_e32 v35, v5, v35
	v_fma_mixlo_f16 v36, v30, v1, 0 op_sel_hi:[0,1,0]
	v_lshlrev_b32_e32 v1, 16, v6
	v_lshlrev_b32_e32 v33, 16, v31
	v_fma_mixlo_f16 v6, v30, v32, 0 op_sel_hi:[0,1,0]
	v_fma_mixlo_f16 v31, v30, v37, 0 op_sel:[0,1,0] op_sel_hi:[0,1,0]
	v_fma_mixlo_f16 v34, v30, v34, 0 op_sel_hi:[0,1,0]
	v_fma_mixlo_f16 v5, v30, v5, 0 op_sel:[0,1,0] op_sel_hi:[0,1,0]
	v_fma_mixlo_f16 v30, v30, v35, 0 op_sel_hi:[0,1,0]
	v_and_b32_e32 v32, 0xffff, v36
	v_and_b32_e32 v38, 0xffff, v6
	v_lshlrev_b32_e32 v6, 16, v31
	v_and_b32_e32 v31, 0xffff, v34
	v_lshlrev_b32_e32 v5, 16, v5
	v_and_b32_e32 v30, 0xffff, v30
	v_or_b32_e32 v36, v1, v32
	v_or_b32_e32 v37, v33, v38
	;; [unrolled: 1-line block ×3, first 2 shown]
	s_delay_alu instid0(VALU_DEP_4)
	v_or_b32_e32 v34, v5, v30
	s_and_saveexec_b32 s1, s0
	s_cbranch_execz .LBB256_256
; %bb.522:                              ;   in Loop: Header=BB256_258 Depth=1
	v_add_nc_u32_e32 v34, -6, v21
	v_cmp_gt_i32_e64 s0, s27, v23
	v_add_nc_u32_e32 v35, -5, v21
	v_add_nc_u32_e32 v36, -2, v21
	s_wait_alu 0xf1ff
	s_delay_alu instid0(VALU_DEP_3) | instskip(SKIP_3) | instid1(VALU_DEP_2)
	v_cndmask_b32_e64 v23, 0, v38, s0
	v_cmp_gt_i32_e64 s0, s27, v34
	v_add_nc_u32_e32 v34, -4, v21
	s_wait_alu 0xf1ff
	v_cndmask_b32_e64 v33, 0, v33, s0
	v_cmp_gt_i32_e64 s0, s27, v35
	v_add_nc_u32_e32 v35, -3, v21
	s_delay_alu instid0(VALU_DEP_3) | instskip(SKIP_1) | instid1(VALU_DEP_3)
	v_or_b32_e32 v37, v33, v23
	s_wait_alu 0xf1ff
	v_cndmask_b32_e64 v32, 0, v32, s0
	v_cmp_gt_i32_e64 s0, s27, v34
	v_add_nc_u32_e32 v34, -1, v21
	s_wait_alu 0xf1ff
	s_delay_alu instid0(VALU_DEP_2) | instskip(SKIP_2) | instid1(VALU_DEP_1)
	v_cndmask_b32_e64 v1, 0, v1, s0
	v_cmp_gt_i32_e64 s0, s27, v35
	s_wait_alu 0xf1ff
	v_cndmask_b32_e64 v31, 0, v31, s0
	v_cmp_gt_i32_e64 s0, s27, v36
	v_or_b32_e32 v36, v1, v32
	s_wait_alu 0xf1ff
	s_delay_alu instid0(VALU_DEP_2) | instskip(SKIP_1) | instid1(VALU_DEP_2)
	v_cndmask_b32_e64 v6, 0, v6, s0
	v_cmp_gt_i32_e64 s0, s27, v34
	v_or_b32_e32 v35, v6, v31
	s_wait_alu 0xf1ff
	s_delay_alu instid0(VALU_DEP_2) | instskip(SKIP_2) | instid1(VALU_DEP_1)
	v_cndmask_b32_e64 v30, 0, v30, s0
	v_cmp_gt_i32_e64 s0, s27, v21
	s_wait_alu 0xf1ff
	v_cndmask_b32_e64 v5, 0, v5, s0
	s_delay_alu instid0(VALU_DEP_1)
	v_or_b32_e32 v34, v5, v30
	s_branch .LBB256_256
.LBB256_523:
	s_or_b32 exec_lo, exec_lo, s13
.LBB256_524:
	s_wait_alu 0xfffe
	s_or_b32 exec_lo, exec_lo, s6
	s_movk_i32 s0, 0x1c0
	v_and_b32_e32 v1, 0x3c0, v0
	s_wait_alu 0xfffe
	v_mad_u32_u24 v4, v11, s0, 0x100
	v_or_b32_e32 v3, 0x60, v0
	s_mov_b32 s0, exec_lo
	s_wait_loadcnt 0x0
	s_wait_storecnt 0x0
	s_barrier_signal -1
	s_barrier_wait -1
	global_inv scope:SCOPE_SE
	v_cmpx_eq_u32_e32 64, v1
	s_cbranch_execz .LBB256_527
; %bb.525:
	v_add_nc_u32_e32 v1, 0xfffffc80, v4
	v_cmp_gt_u32_e32 vcc_lo, 0x70, v3
	s_delay_alu instid0(VALU_DEP_2)
	v_lshl_add_u32 v2, v13, 2, v1
	ds_store_2addr_b32 v2, v18, v17 offset1:32
	ds_store_b32 v2, v16 offset:256
	s_and_b32 exec_lo, exec_lo, vcc_lo
; %bb.526:
	v_lshl_add_u32 v1, v3, 2, v1
	ds_store_b32 v1, v15
.LBB256_527:
	s_wait_alu 0xfffe
	s_or_b32 exec_lo, exec_lo, s0
	v_lshl_add_u32 v5, v13, 2, v4
	s_mov_b32 s0, exec_lo
	s_wait_loadcnt_dscnt 0x0
	s_barrier_signal -1
	s_barrier_wait -1
	global_inv scope:SCOPE_SE
	v_cmpx_gt_u32_e32 64, v0
	s_cbranch_execz .LBB256_531
; %bb.528:
	v_lshl_or_b32 v1, v0, 2, 0x80
	s_mov_b32 s1, exec_lo
	s_delay_alu instid0(VALU_DEP_1)
	v_add_nc_u32_e32 v6, v4, v1
	ds_load_2addr_stride64_b32 v[1:2], v5 offset1:1
	ds_load_b32 v6, v6
	v_cmpx_gt_u32_e32 0x70, v3
	s_cbranch_execz .LBB256_530
; %bb.529:
	v_lshl_add_u32 v7, v3, 2, v4
	ds_load_b32 v7, v7
	s_wait_dscnt 0x0
	v_add_f32_e32 v15, v15, v7
.LBB256_530:
	s_wait_alu 0xfffe
	s_or_b32 exec_lo, exec_lo, s1
	s_wait_dscnt 0x0
	v_dual_add_f32 v18, v18, v1 :: v_dual_add_f32 v17, v17, v6
	v_add_f32_e32 v16, v16, v2
.LBB256_531:
	s_wait_alu 0xfffe
	s_or_b32 exec_lo, exec_lo, s0
	v_and_b32_e32 v1, 0x3e0, v0
	s_mov_b32 s0, exec_lo
	s_wait_loadcnt 0x0
	s_barrier_signal -1
	s_barrier_wait -1
	global_inv scope:SCOPE_SE
	v_cmpx_eq_u32_e32 32, v1
	s_cbranch_execz .LBB256_534
; %bb.532:
	v_lshl_add_u32 v1, v13, 2, 0x100
	v_cmp_gt_u32_e32 vcc_lo, 0x70, v3
	ds_store_b32 v1, v18
	ds_store_b32 v14, v17
	ds_store_b32 v1, v16 offset:256
	s_and_b32 exec_lo, exec_lo, vcc_lo
; %bb.533:
	v_lshl_add_u32 v1, v3, 2, 0x100
	ds_store_b32 v1, v15
.LBB256_534:
	s_wait_alu 0xfffe
	s_or_b32 exec_lo, exec_lo, s0
	v_cmp_gt_u32_e32 vcc_lo, 32, v0
	s_wait_loadcnt_dscnt 0x0
	s_barrier_signal -1
	s_barrier_wait -1
	global_inv scope:SCOPE_SE
	s_and_saveexec_b32 s1, vcc_lo
	s_cbranch_execz .LBB256_538
; %bb.535:
	v_lshl_add_u32 v6, v0, 2, v4
	s_mov_b32 s2, exec_lo
	ds_load_b32 v4, v5
	ds_load_2addr_b32 v[1:2], v6 offset0:32 offset1:64
	v_cmpx_gt_u32_e32 0x70, v3
	s_cbranch_execz .LBB256_537
; %bb.536:
	ds_load_b32 v5, v6 offset:384
	s_wait_dscnt 0x0
	v_add_f32_e32 v15, v15, v5
.LBB256_537:
	s_wait_alu 0xfffe
	s_or_b32 exec_lo, exec_lo, s2
	s_wait_dscnt 0x0
	v_dual_add_f32 v18, v18, v4 :: v_dual_add_f32 v17, v17, v1
	v_add_f32_e32 v16, v16, v2
.LBB256_538:
	s_wait_alu 0xfffe
	s_or_b32 exec_lo, exec_lo, s1
	s_wait_loadcnt 0x0
	s_barrier_signal -1
	s_barrier_wait -1
	global_inv scope:SCOPE_SE
	s_and_saveexec_b32 s0, vcc_lo
	s_cbranch_execz .LBB256_541
; %bb.539:
	s_mul_i32 s0, s14, 0x70
	s_mul_i32 s2, s12, s16
	s_wait_alu 0xfffe
	s_ashr_i32 s1, s0, 31
	s_ashr_i32 s3, s2, 31
	s_wait_alu 0xfffe
	s_lshl_b64 s[0:1], s[0:1], 1
	s_lshl_b64 s[2:3], s[2:3], 1
	s_wait_kmcnt 0x0
	s_wait_alu 0xfffe
	s_add_nc_u64 s[0:1], s[8:9], s[0:1]
	v_lshlrev_b32_e32 v0, 1, v0
	s_mul_i32 s4, s26, 0xe0
	s_wait_alu 0xfffe
	s_add_nc_u64 s[0:1], s[0:1], s[2:3]
	s_mov_b32 s5, 0
	v_cmp_gt_u32_e32 vcc_lo, 0x70, v3
	s_wait_alu 0xfffe
	s_add_nc_u64 s[0:1], s[0:1], s[4:5]
	;;#ASMSTART
	v_cvt_f16_f32 v1, v18;

	;;#ASMEND
	global_store_b16 v0, v1, s[0:1]
	;;#ASMSTART
	v_cvt_f16_f32 v1, v17;

	;;#ASMEND
	global_store_b16 v0, v1, s[0:1] offset:64
	;;#ASMSTART
	v_cvt_f16_f32 v1, v16;

	;;#ASMEND
	global_store_b16 v0, v1, s[0:1] offset:128
	s_and_b32 exec_lo, exec_lo, vcc_lo
	s_cbranch_execz .LBB256_541
; %bb.540:
	s_wait_alu 0xfffe
	v_add_co_u32 v0, s0, s0, v0
	s_wait_alu 0xf1ff
	v_add_co_ci_u32_e64 v1, null, s1, 0, s0
	;;#ASMSTART
	v_cvt_f16_f32 v2, v15;

	;;#ASMEND
	global_store_b16 v[0:1], v2, off offset:192
.LBB256_541:
	s_endpgm
	.section	.rodata,"a",@progbits
	.p2align	6, 0x0
	.amdhsa_kernel _ZN4vllm25paged_attention_v2_kernelIthLi112ELi8ELi128ELNS_18Fp8KVCacheDataTypeE1ELb0ELi512EEEvPfS2_PT_PKS3_PKT0_S9_ifPKiSB_iPKfiiiSD_SD_iiiii
		.amdhsa_group_segment_fixed_size 256
		.amdhsa_private_segment_fixed_size 0
		.amdhsa_kernarg_size 400
		.amdhsa_user_sgpr_count 2
		.amdhsa_user_sgpr_dispatch_ptr 0
		.amdhsa_user_sgpr_queue_ptr 0
		.amdhsa_user_sgpr_kernarg_segment_ptr 1
		.amdhsa_user_sgpr_dispatch_id 0
		.amdhsa_user_sgpr_private_segment_size 0
		.amdhsa_wavefront_size32 1
		.amdhsa_uses_dynamic_stack 0
		.amdhsa_enable_private_segment 0
		.amdhsa_system_sgpr_workgroup_id_x 1
		.amdhsa_system_sgpr_workgroup_id_y 1
		.amdhsa_system_sgpr_workgroup_id_z 1
		.amdhsa_system_sgpr_workgroup_info 0
		.amdhsa_system_vgpr_workitem_id 0
		.amdhsa_next_free_vgpr 70
		.amdhsa_next_free_sgpr 38
		.amdhsa_reserve_vcc 1
		.amdhsa_float_round_mode_32 0
		.amdhsa_float_round_mode_16_64 0
		.amdhsa_float_denorm_mode_32 3
		.amdhsa_float_denorm_mode_16_64 3
		.amdhsa_fp16_overflow 0
		.amdhsa_workgroup_processor_mode 1
		.amdhsa_memory_ordered 1
		.amdhsa_forward_progress 1
		.amdhsa_inst_pref_size 158
		.amdhsa_round_robin_scheduling 0
		.amdhsa_exception_fp_ieee_invalid_op 0
		.amdhsa_exception_fp_denorm_src 0
		.amdhsa_exception_fp_ieee_div_zero 0
		.amdhsa_exception_fp_ieee_overflow 0
		.amdhsa_exception_fp_ieee_underflow 0
		.amdhsa_exception_fp_ieee_inexact 0
		.amdhsa_exception_int_div_zero 0
	.end_amdhsa_kernel
	.section	.text._ZN4vllm25paged_attention_v2_kernelIthLi112ELi8ELi128ELNS_18Fp8KVCacheDataTypeE1ELb0ELi512EEEvPfS2_PT_PKS3_PKT0_S9_ifPKiSB_iPKfiiiSD_SD_iiiii,"axG",@progbits,_ZN4vllm25paged_attention_v2_kernelIthLi112ELi8ELi128ELNS_18Fp8KVCacheDataTypeE1ELb0ELi512EEEvPfS2_PT_PKS3_PKT0_S9_ifPKiSB_iPKfiiiSD_SD_iiiii,comdat
.Lfunc_end256:
	.size	_ZN4vllm25paged_attention_v2_kernelIthLi112ELi8ELi128ELNS_18Fp8KVCacheDataTypeE1ELb0ELi512EEEvPfS2_PT_PKS3_PKT0_S9_ifPKiSB_iPKfiiiSD_SD_iiiii, .Lfunc_end256-_ZN4vllm25paged_attention_v2_kernelIthLi112ELi8ELi128ELNS_18Fp8KVCacheDataTypeE1ELb0ELi512EEEvPfS2_PT_PKS3_PKT0_S9_ifPKiSB_iPKfiiiSD_SD_iiiii
                                        ; -- End function
	.set _ZN4vllm25paged_attention_v2_kernelIthLi112ELi8ELi128ELNS_18Fp8KVCacheDataTypeE1ELb0ELi512EEEvPfS2_PT_PKS3_PKT0_S9_ifPKiSB_iPKfiiiSD_SD_iiiii.num_vgpr, 70
	.set _ZN4vllm25paged_attention_v2_kernelIthLi112ELi8ELi128ELNS_18Fp8KVCacheDataTypeE1ELb0ELi512EEEvPfS2_PT_PKS3_PKT0_S9_ifPKiSB_iPKfiiiSD_SD_iiiii.num_agpr, 0
	.set _ZN4vllm25paged_attention_v2_kernelIthLi112ELi8ELi128ELNS_18Fp8KVCacheDataTypeE1ELb0ELi512EEEvPfS2_PT_PKS3_PKT0_S9_ifPKiSB_iPKfiiiSD_SD_iiiii.numbered_sgpr, 38
	.set _ZN4vllm25paged_attention_v2_kernelIthLi112ELi8ELi128ELNS_18Fp8KVCacheDataTypeE1ELb0ELi512EEEvPfS2_PT_PKS3_PKT0_S9_ifPKiSB_iPKfiiiSD_SD_iiiii.num_named_barrier, 0
	.set _ZN4vllm25paged_attention_v2_kernelIthLi112ELi8ELi128ELNS_18Fp8KVCacheDataTypeE1ELb0ELi512EEEvPfS2_PT_PKS3_PKT0_S9_ifPKiSB_iPKfiiiSD_SD_iiiii.private_seg_size, 0
	.set _ZN4vllm25paged_attention_v2_kernelIthLi112ELi8ELi128ELNS_18Fp8KVCacheDataTypeE1ELb0ELi512EEEvPfS2_PT_PKS3_PKT0_S9_ifPKiSB_iPKfiiiSD_SD_iiiii.uses_vcc, 1
	.set _ZN4vllm25paged_attention_v2_kernelIthLi112ELi8ELi128ELNS_18Fp8KVCacheDataTypeE1ELb0ELi512EEEvPfS2_PT_PKS3_PKT0_S9_ifPKiSB_iPKfiiiSD_SD_iiiii.uses_flat_scratch, 0
	.set _ZN4vllm25paged_attention_v2_kernelIthLi112ELi8ELi128ELNS_18Fp8KVCacheDataTypeE1ELb0ELi512EEEvPfS2_PT_PKS3_PKT0_S9_ifPKiSB_iPKfiiiSD_SD_iiiii.has_dyn_sized_stack, 0
	.set _ZN4vllm25paged_attention_v2_kernelIthLi112ELi8ELi128ELNS_18Fp8KVCacheDataTypeE1ELb0ELi512EEEvPfS2_PT_PKS3_PKT0_S9_ifPKiSB_iPKfiiiSD_SD_iiiii.has_recursion, 0
	.set _ZN4vllm25paged_attention_v2_kernelIthLi112ELi8ELi128ELNS_18Fp8KVCacheDataTypeE1ELb0ELi512EEEvPfS2_PT_PKS3_PKT0_S9_ifPKiSB_iPKfiiiSD_SD_iiiii.has_indirect_call, 0
	.section	.AMDGPU.csdata,"",@progbits
; Kernel info:
; codeLenInByte = 20104
; TotalNumSgprs: 40
; NumVgprs: 70
; ScratchSize: 0
; MemoryBound: 0
; FloatMode: 240
; IeeeMode: 1
; LDSByteSize: 256 bytes/workgroup (compile time only)
; SGPRBlocks: 0
; VGPRBlocks: 8
; NumSGPRsForWavesPerEU: 40
; NumVGPRsForWavesPerEU: 70
; Occupancy: 16
; WaveLimiterHint : 1
; COMPUTE_PGM_RSRC2:SCRATCH_EN: 0
; COMPUTE_PGM_RSRC2:USER_SGPR: 2
; COMPUTE_PGM_RSRC2:TRAP_HANDLER: 0
; COMPUTE_PGM_RSRC2:TGID_X_EN: 1
; COMPUTE_PGM_RSRC2:TGID_Y_EN: 1
; COMPUTE_PGM_RSRC2:TGID_Z_EN: 1
; COMPUTE_PGM_RSRC2:TIDIG_COMP_CNT: 0
	.section	.text._ZN4vllm25paged_attention_v2_kernelIthLi120ELi8ELi128ELNS_18Fp8KVCacheDataTypeE1ELb0ELi512EEEvPfS2_PT_PKS3_PKT0_S9_ifPKiSB_iPKfiiiSD_SD_iiiii,"axG",@progbits,_ZN4vllm25paged_attention_v2_kernelIthLi120ELi8ELi128ELNS_18Fp8KVCacheDataTypeE1ELb0ELi512EEEvPfS2_PT_PKS3_PKT0_S9_ifPKiSB_iPKfiiiSD_SD_iiiii,comdat
	.protected	_ZN4vllm25paged_attention_v2_kernelIthLi120ELi8ELi128ELNS_18Fp8KVCacheDataTypeE1ELb0ELi512EEEvPfS2_PT_PKS3_PKT0_S9_ifPKiSB_iPKfiiiSD_SD_iiiii ; -- Begin function _ZN4vllm25paged_attention_v2_kernelIthLi120ELi8ELi128ELNS_18Fp8KVCacheDataTypeE1ELb0ELi512EEEvPfS2_PT_PKS3_PKT0_S9_ifPKiSB_iPKfiiiSD_SD_iiiii
	.globl	_ZN4vllm25paged_attention_v2_kernelIthLi120ELi8ELi128ELNS_18Fp8KVCacheDataTypeE1ELb0ELi512EEEvPfS2_PT_PKS3_PKT0_S9_ifPKiSB_iPKfiiiSD_SD_iiiii
	.p2align	8
	.type	_ZN4vllm25paged_attention_v2_kernelIthLi120ELi8ELi128ELNS_18Fp8KVCacheDataTypeE1ELb0ELi512EEEvPfS2_PT_PKS3_PKT0_S9_ifPKiSB_iPKfiiiSD_SD_iiiii,@function
_ZN4vllm25paged_attention_v2_kernelIthLi120ELi8ELi128ELNS_18Fp8KVCacheDataTypeE1ELb0ELi512EEEvPfS2_PT_PKS3_PKT0_S9_ifPKiSB_iPKfiiiSD_SD_iiiii: ; @_ZN4vllm25paged_attention_v2_kernelIthLi120ELi8ELi128ELNS_18Fp8KVCacheDataTypeE1ELb0ELi512EEEvPfS2_PT_PKS3_PKT0_S9_ifPKiSB_iPKfiiiSD_SD_iiiii
; %bb.0:
	s_load_b64 s[2:3], s[0:1], 0x40
	s_and_b32 s15, ttmp7, 0xffff
	s_lshr_b32 s26, ttmp7, 16
	s_lshl_b32 s4, s15, 2
	s_lshl_b32 s28, s26, 9
	s_wait_kmcnt 0x0
	s_load_b32 s27, s[2:3], s4 offset:0x0
	s_wait_kmcnt 0x0
	s_cmp_ge_i32 s28, s27
	s_cbranch_scc1 .LBB257_557
; %bb.1:
	s_clause 0x1
	s_load_b32 s29, s[0:1], 0x90
	s_load_b64 s[6:7], s[0:1], 0x30
	s_wait_kmcnt 0x0
	s_abs_i32 s5, s29
	s_abs_i32 s2, s6
	s_delay_alu instid0(SALU_CYCLE_1) | instskip(SKIP_1) | instid1(SALU_CYCLE_2)
	s_cvt_f32_u32 s3, s2
	s_sub_co_i32 s4, 0, s2
	v_rcp_iflag_f32_e32 v1, s3
	s_delay_alu instid0(TRANS32_DEP_1) | instskip(SKIP_2) | instid1(SALU_CYCLE_2)
	v_readfirstlane_b32 s3, v1
	s_mul_f32 s3, s3, 0x4f7ffffe
	s_wait_alu 0xfffe
	s_cvt_u32_f32 s3, s3
	s_wait_alu 0xfffe
	s_delay_alu instid0(SALU_CYCLE_2) | instskip(NEXT) | instid1(SALU_CYCLE_1)
	s_mul_i32 s4, s4, s3
	s_mul_hi_u32 s4, s3, s4
	s_delay_alu instid0(SALU_CYCLE_1)
	s_add_co_i32 s3, s3, s4
	s_xor_b32 s4, s29, s6
	s_wait_alu 0xfffe
	s_mul_hi_u32 s3, s5, s3
	s_ashr_i32 s4, s4, 31
	s_wait_alu 0xfffe
	s_mul_i32 s6, s3, s2
	s_delay_alu instid0(SALU_CYCLE_1)
	s_sub_co_i32 s5, s5, s6
	s_add_co_i32 s6, s3, 1
	s_sub_co_i32 s8, s5, s2
	s_cmp_ge_u32 s5, s2
	s_cselect_b32 s3, s6, s3
	s_cselect_b32 s5, s8, s5
	s_wait_alu 0xfffe
	s_add_co_i32 s6, s3, 1
	s_cmp_ge_u32 s5, s2
	s_load_b64 s[8:9], s[0:1], 0x50
	s_cselect_b32 s2, s6, s3
	s_mov_b32 s3, 0
	s_wait_alu 0xfffe
	s_xor_b32 s2, s2, s4
	s_mov_b32 s6, s3
	s_wait_alu 0xfffe
	s_sub_co_i32 s11, s2, s4
	s_delay_alu instid0(SALU_CYCLE_1) | instskip(NEXT) | instid1(SALU_CYCLE_1)
	s_abs_i32 s10, s11
	s_cvt_f32_u32 s2, s10
	s_wait_alu 0xfffe
	s_delay_alu instid0(SALU_CYCLE_2) | instskip(NEXT) | instid1(TRANS32_DEP_1)
	v_rcp_iflag_f32_e32 v1, s2
	v_readfirstlane_b32 s2, v1
	s_mul_f32 s2, s2, 0x4f7ffffe
	s_wait_alu 0xfffe
	s_delay_alu instid0(SALU_CYCLE_2) | instskip(SKIP_2) | instid1(SALU_CYCLE_1)
	s_cvt_u32_f32 s4, s2
	s_sub_co_i32 s2, 0, s10
	s_wait_alu 0xfffe
	s_mul_i32 s2, s2, s4
	s_wait_alu 0xfffe
	s_mul_hi_u32 s5, s4, s2
	s_abs_i32 s2, ttmp9
	s_add_co_i32 s4, s4, s5
	s_mov_b32 s5, s3
	s_wait_kmcnt 0x0
	s_cmp_eq_u64 s[8:9], 0
	s_cbranch_scc1 .LBB257_3
; %bb.2:
	s_mov_b32 s12, ttmp9
	s_ashr_i32 s13, ttmp9, 31
	s_delay_alu instid0(SALU_CYCLE_1) | instskip(NEXT) | instid1(SALU_CYCLE_1)
	s_lshl_b64 s[12:13], s[12:13], 2
	s_add_nc_u64 s[8:9], s[8:9], s[12:13]
	s_load_b32 s6, s[8:9], 0x0
.LBB257_3:
	s_load_b96 s[12:14], s[0:1], 0x58
	v_and_b32_e32 v1, 3, v0
	s_mul_u64 s[4:5], s[2:3], s[4:5]
	s_ashr_i32 s3, ttmp9, 31
	s_ashr_i32 s4, s11, 31
	s_mul_i32 s16, ttmp9, 0x78
	s_mov_b32 s8, exec_lo
	v_cmpx_gt_u32_e32 60, v0
	s_cbranch_execz .LBB257_5
; %bb.4:
	s_load_b64 s[18:19], s[0:1], 0x18
	s_wait_kmcnt 0x0
	s_mul_i32 s20, s12, s15
	s_ashr_i32 s17, s16, 31
	s_ashr_i32 s21, s20, 31
	v_lshlrev_b32_e32 v2, 2, v0
	s_lshl_b64 s[20:21], s[20:21], 1
	v_and_b32_e32 v3, 0x3fc, v0
	s_delay_alu instid0(VALU_DEP_1) | instskip(SKIP_2) | instid1(SALU_CYCLE_1)
	v_mad_u32_u24 v3, v1, 60, v3
	s_add_nc_u64 s[18:19], s[18:19], s[20:21]
	s_lshl_b64 s[20:21], s[16:17], 1
	s_add_nc_u64 s[18:19], s[18:19], s[20:21]
	global_load_b32 v2, v2, s[18:19]
	s_wait_loadcnt 0x0
	ds_store_b32 v3, v2
.LBB257_5:
	s_or_b32 exec_lo, exec_lo, s8
	s_add_co_i32 s8, s27, 7
	s_wait_alu 0xfffe
	s_xor_b32 s3, s3, s4
	s_ashr_i32 s9, s8, 31
	s_lshl_b32 s31, s26, 6
	s_lshr_b32 s4, s9, 29
	s_mul_i32 s9, s5, s10
	s_add_co_i32 s8, s8, s4
	s_add_co_i32 s4, s31, 64
	s_ashr_i32 s30, s8, 3
	s_load_b32 s8, s[0:1], 0x48
	s_sub_co_i32 s2, s2, s9
	s_min_i32 s17, s4, s30
	s_add_co_i32 s4, s5, 1
	s_wait_alu 0xfffe
	s_sub_co_i32 s9, s2, s10
	s_cmp_ge_u32 s2, s10
	v_lshrrev_b32_e32 v11, 5, v0
	s_cselect_b32 s4, s4, s5
	s_cselect_b32 s2, s9, s2
	s_add_co_i32 s5, s4, 1
	s_wait_alu 0xfffe
	s_cmp_ge_u32 s2, s10
	v_or_b32_e32 v12, s31, v11
	s_cselect_b32 s2, s5, s4
	v_mbcnt_lo_u32_b32 v15, -1, 0
	s_wait_alu 0xfffe
	s_xor_b32 s2, s2, s3
	s_mov_b32 s4, exec_lo
	s_wait_alu 0xfffe
	s_sub_co_i32 s3, s2, s3
	v_cmp_gt_i32_e64 s2, s17, v12
	s_wait_dscnt 0x0
	s_barrier_signal -1
	s_wait_kmcnt 0x0
	s_mul_i32 s18, s8, s15
	s_barrier_wait -1
	s_ashr_i32 s19, s18, 31
	global_inv scope:SCOPE_SE
                                        ; implicit-def: $vgpr2
                                        ; implicit-def: $vgpr14
	v_cmpx_le_i32_e64 s17, v12
	s_xor_b32 s4, exec_lo, s4
; %bb.6:
	v_mov_b32_e32 v2, 0
	v_mbcnt_lo_u32_b32 v15, -1, 0
	v_mov_b32_e32 v14, 32
                                        ; implicit-def: $vgpr1
; %bb.7:
	s_or_saveexec_b32 s24, s4
	s_clause 0x2
	s_load_b32 s12, s[0:1], 0x98
	s_load_b64 s[20:21], s[0:1], 0x38
	s_load_b128 s[8:11], s[0:1], 0x68
	v_dual_mov_b32 v13, 0xff7fffff :: v_dual_lshlrev_b32 v10, 3, v11
	v_lshlrev_b32_e32 v9, 2, v12
	s_mul_i32 s22, s3, s14
	s_xor_b32 exec_lo, exec_lo, s24
	s_cbranch_execz .LBB257_253
; %bb.8:
	s_load_b64 s[4:5], s[0:1], 0x20
	v_bfe_u32 v3, v0, 2, 3
	v_mov_b32_e32 v2, 0
	v_dual_mov_b32 v13, 0xff7fffff :: v_dual_lshlrev_b32 v4, 1, v1
	v_mul_u32_u24_e32 v16, 60, v1
	v_cmp_eq_u32_e32 vcc_lo, 0, v1
	v_lshlrev_b32_e32 v1, 4, v3
	v_dual_mov_b32 v14, 32 :: v_dual_lshlrev_b32 v5, 2, v3
	s_ashr_i32 s23, s22, 31
	s_cmp_neq_f32 s6, 0
	v_add3_u32 v17, s28, v10, v3
	s_delay_alu instid0(VALU_DEP_2) | instskip(SKIP_3) | instid1(VALU_DEP_1)
	v_lshl_or_b32 v3, v11, 5, v5
	s_mov_b32 s14, 0
	s_cselect_b32 s3, -1, 0
	s_lshl_b64 s[34:35], s[18:19], 2
	v_dual_mov_b32 v19, v12 :: v_dual_add_nc_u32 v18, 0x110, v3
	s_wait_kmcnt 0x0
	s_add_nc_u64 s[34:35], s[20:21], s[34:35]
	s_add_nc_u64 s[4:5], s[4:5], s[22:23]
	s_mov_b32 s23, s13
	v_add_co_u32 v1, s4, s4, v1
	s_wait_alu 0xf1ff
	v_add_co_ci_u32_e64 v5, null, s5, 0, s4
	s_sub_co_i32 s25, 1, s27
	v_add_co_u32 v3, s4, v1, v4
	s_wait_alu 0xf1ff
	v_add_co_ci_u32_e64 v4, null, 0, v5, s4
	v_add_co_u32 v5, s4, s34, v9
	s_wait_alu 0xf1ff
	v_add_co_ci_u32_e64 v6, null, s35, 0, s4
	s_branch .LBB257_10
.LBB257_9:                              ;   in Loop: Header=BB257_10 Depth=1
	s_wait_alu 0xfffe
	s_or_b32 exec_lo, exec_lo, s5
	v_add_nc_u32_e32 v19, 4, v19
	v_add_co_u32 v5, s5, v5, 16
	v_add_nc_u32_e32 v17, 32, v17
	v_add_nc_u32_e32 v18, 0x80, v18
	s_delay_alu instid0(VALU_DEP_4) | instskip(SKIP_3) | instid1(SALU_CYCLE_1)
	v_cmp_le_i32_e64 s4, s17, v19
	s_wait_alu 0xf1ff
	v_add_co_ci_u32_e64 v6, null, 0, v6, s5
	s_or_b32 s14, s4, s14
	s_and_not1_b32 exec_lo, exec_lo, s14
	s_cbranch_execz .LBB257_252
.LBB257_10:                             ; =>This Inner Loop Header: Depth=1
	global_load_b32 v1, v[5:6], off
	s_wait_loadcnt_dscnt 0x0
	v_mad_co_i64_i32 v[7:8], null, v1, s23, v[3:4]
	global_load_u16 v1, v[7:8], off
	s_wait_loadcnt 0x0
	v_dual_mov_b32 v21, 0 :: v_dual_and_b32 v22, 0xff, v1
	global_load_b32 v20, v21, s[8:9]
	v_and_b32_e32 v1, 0xffff, v1
	v_cmp_ne_u16_e64 s4, 0, v22
	v_mov_b32_e32 v22, 0
	s_and_saveexec_b32 s5, s4
	s_cbranch_execz .LBB257_18
; %bb.11:                               ;   in Loop: Header=BB257_10 Depth=1
	v_and_b32_e32 v22, 0xff, v1
	s_delay_alu instid0(VALU_DEP_1)
	v_cmp_ne_u16_e64 s4, 0x80, v22
	v_mov_b32_e32 v22, 0x8000
	s_and_saveexec_b32 s33, s4
	s_cbranch_execz .LBB257_17
; %bb.12:                               ;   in Loop: Header=BB257_10 Depth=1
	v_and_b32_e32 v24, 0x7f, v1
	v_mov_b32_e32 v22, 0x7c01
	s_mov_b32 s34, exec_lo
	s_delay_alu instid0(VALU_DEP_2)
	v_cmpx_ne_u32_e32 0x7f, v24
	s_cbranch_execz .LBB257_16
; %bb.13:                               ;   in Loop: Header=BB257_10 Depth=1
	v_and_b32_e32 v22, 7, v1
	v_lshrrev_b32_e32 v23, 3, v24
	s_mov_b32 s35, exec_lo
	v_cmpx_gt_u32_e32 8, v24
; %bb.14:                               ;   in Loop: Header=BB257_10 Depth=1
	s_delay_alu instid0(VALU_DEP_3) | instskip(NEXT) | instid1(VALU_DEP_1)
	v_clz_i32_u32_e32 v22, v22
	v_min_u32_e32 v24, 32, v22
	s_delay_alu instid0(VALU_DEP_1) | instskip(NEXT) | instid1(VALU_DEP_1)
	v_subrev_nc_u32_e32 v22, 28, v24
	v_lshlrev_b64_e32 v[22:23], v22, v[1:2]
	v_sub_nc_u32_e32 v23, 29, v24
	s_delay_alu instid0(VALU_DEP_2)
	v_and_b32_e32 v22, 7, v22
; %bb.15:                               ;   in Loop: Header=BB257_10 Depth=1
	s_wait_alu 0xfffe
	s_or_b32 exec_lo, exec_lo, s35
	v_lshlrev_b32_e32 v24, 8, v1
	v_lshl_add_u32 v23, v23, 10, 0x2000
	v_lshlrev_b32_e32 v22, 7, v22
	s_delay_alu instid0(VALU_DEP_3) | instskip(NEXT) | instid1(VALU_DEP_3)
	v_and_b32_e32 v24, 0x8000, v24
	v_and_b32_e32 v23, 0xfc00, v23
	s_delay_alu instid0(VALU_DEP_1)
	v_or3_b32 v22, v24, v23, v22
.LBB257_16:                             ;   in Loop: Header=BB257_10 Depth=1
	s_wait_alu 0xfffe
	s_or_b32 exec_lo, exec_lo, s34
.LBB257_17:                             ;   in Loop: Header=BB257_10 Depth=1
	s_delay_alu instid0(SALU_CYCLE_1)
	s_or_b32 exec_lo, exec_lo, s33
.LBB257_18:                             ;   in Loop: Header=BB257_10 Depth=1
	s_wait_alu 0xfffe
	s_or_b32 exec_lo, exec_lo, s5
	v_lshrrev_b16 v1, 8, v1
	s_mov_b32 s5, exec_lo
	s_delay_alu instid0(VALU_DEP_1)
	v_cmpx_ne_u16_e32 0, v1
	s_cbranch_execz .LBB257_26
; %bb.19:                               ;   in Loop: Header=BB257_10 Depth=1
	v_bfrev_b32_e32 v21, 1
	s_mov_b32 s33, exec_lo
	v_cmpx_ne_u16_e32 0x80, v1
	s_cbranch_execz .LBB257_25
; %bb.20:                               ;   in Loop: Header=BB257_10 Depth=1
	v_and_b32_e32 v23, 0xffff, v1
	v_mov_b32_e32 v21, 0x7c010000
	s_mov_b32 s34, exec_lo
	s_delay_alu instid0(VALU_DEP_2) | instskip(NEXT) | instid1(VALU_DEP_1)
	v_and_b32_e32 v25, 0x7f, v23
	v_cmpx_ne_u32_e32 0x7f, v25
	s_cbranch_execz .LBB257_24
; %bb.21:                               ;   in Loop: Header=BB257_10 Depth=1
	v_and_b32_e32 v21, 7, v23
	v_lshrrev_b32_e32 v24, 3, v25
	s_mov_b32 s35, exec_lo
	v_cmpx_gt_u32_e32 8, v25
; %bb.22:                               ;   in Loop: Header=BB257_10 Depth=1
	s_delay_alu instid0(VALU_DEP_3) | instskip(NEXT) | instid1(VALU_DEP_1)
	v_clz_i32_u32_e32 v21, v21
	v_min_u32_e32 v21, 32, v21
	s_delay_alu instid0(VALU_DEP_1) | instskip(NEXT) | instid1(VALU_DEP_1)
	v_subrev_nc_u32_e32 v24, 28, v21
	v_lshlrev_b64_e32 v[25:26], v24, v[1:2]
	v_sub_nc_u32_e32 v24, 29, v21
	s_delay_alu instid0(VALU_DEP_2)
	v_and_b32_e32 v21, 7, v25
; %bb.23:                               ;   in Loop: Header=BB257_10 Depth=1
	s_wait_alu 0xfffe
	s_or_b32 exec_lo, exec_lo, s35
	v_lshlrev_b32_e32 v1, 8, v23
	v_lshl_add_u32 v23, v24, 10, 0x2000
	v_lshlrev_b32_e32 v21, 23, v21
	s_delay_alu instid0(VALU_DEP_2) | instskip(NEXT) | instid1(VALU_DEP_1)
	v_and_or_b32 v1, 0x8000, v1, v23
	v_lshl_or_b32 v21, v1, 16, v21
.LBB257_24:                             ;   in Loop: Header=BB257_10 Depth=1
	s_wait_alu 0xfffe
	s_or_b32 exec_lo, exec_lo, s34
.LBB257_25:                             ;   in Loop: Header=BB257_10 Depth=1
	s_delay_alu instid0(SALU_CYCLE_1)
	s_or_b32 exec_lo, exec_lo, s33
.LBB257_26:                             ;   in Loop: Header=BB257_10 Depth=1
	s_wait_alu 0xfffe
	s_or_b32 exec_lo, exec_lo, s5
	global_load_u16 v1, v[7:8], off offset:8
	s_wait_loadcnt 0x0
	v_dual_mov_b32 v23, 0 :: v_dual_and_b32 v24, 0xff, v1
	v_and_b32_e32 v1, 0xffff, v1
	s_delay_alu instid0(VALU_DEP_2)
	v_cmp_ne_u16_e64 s4, 0, v24
	v_mov_b32_e32 v24, 0
	s_and_saveexec_b32 s5, s4
	s_cbranch_execz .LBB257_34
; %bb.27:                               ;   in Loop: Header=BB257_10 Depth=1
	v_and_b32_e32 v24, 0xff, v1
	s_delay_alu instid0(VALU_DEP_1)
	v_cmp_ne_u16_e64 s4, 0x80, v24
	v_mov_b32_e32 v24, 0x8000
	s_and_saveexec_b32 s33, s4
	s_cbranch_execz .LBB257_33
; %bb.28:                               ;   in Loop: Header=BB257_10 Depth=1
	v_and_b32_e32 v26, 0x7f, v1
	v_mov_b32_e32 v24, 0x7c01
	s_mov_b32 s34, exec_lo
	s_delay_alu instid0(VALU_DEP_2)
	v_cmpx_ne_u32_e32 0x7f, v26
	s_cbranch_execz .LBB257_32
; %bb.29:                               ;   in Loop: Header=BB257_10 Depth=1
	v_and_b32_e32 v24, 7, v1
	v_lshrrev_b32_e32 v25, 3, v26
	s_mov_b32 s35, exec_lo
	v_cmpx_gt_u32_e32 8, v26
; %bb.30:                               ;   in Loop: Header=BB257_10 Depth=1
	s_delay_alu instid0(VALU_DEP_3) | instskip(NEXT) | instid1(VALU_DEP_1)
	v_clz_i32_u32_e32 v24, v24
	v_min_u32_e32 v26, 32, v24
	s_delay_alu instid0(VALU_DEP_1) | instskip(NEXT) | instid1(VALU_DEP_1)
	v_subrev_nc_u32_e32 v24, 28, v26
	v_lshlrev_b64_e32 v[24:25], v24, v[1:2]
	v_sub_nc_u32_e32 v25, 29, v26
	s_delay_alu instid0(VALU_DEP_2)
	v_and_b32_e32 v24, 7, v24
; %bb.31:                               ;   in Loop: Header=BB257_10 Depth=1
	s_wait_alu 0xfffe
	s_or_b32 exec_lo, exec_lo, s35
	v_lshlrev_b32_e32 v26, 8, v1
	v_lshl_add_u32 v25, v25, 10, 0x2000
	v_lshlrev_b32_e32 v24, 7, v24
	s_delay_alu instid0(VALU_DEP_3) | instskip(NEXT) | instid1(VALU_DEP_3)
	v_and_b32_e32 v26, 0x8000, v26
	v_and_b32_e32 v25, 0xfc00, v25
	s_delay_alu instid0(VALU_DEP_1)
	v_or3_b32 v24, v26, v25, v24
.LBB257_32:                             ;   in Loop: Header=BB257_10 Depth=1
	s_wait_alu 0xfffe
	s_or_b32 exec_lo, exec_lo, s34
.LBB257_33:                             ;   in Loop: Header=BB257_10 Depth=1
	s_delay_alu instid0(SALU_CYCLE_1)
	s_or_b32 exec_lo, exec_lo, s33
.LBB257_34:                             ;   in Loop: Header=BB257_10 Depth=1
	s_wait_alu 0xfffe
	s_or_b32 exec_lo, exec_lo, s5
	v_lshrrev_b16 v1, 8, v1
	s_mov_b32 s5, exec_lo
	s_delay_alu instid0(VALU_DEP_1)
	v_cmpx_ne_u16_e32 0, v1
	s_cbranch_execz .LBB257_42
; %bb.35:                               ;   in Loop: Header=BB257_10 Depth=1
	v_bfrev_b32_e32 v23, 1
	s_mov_b32 s33, exec_lo
	v_cmpx_ne_u16_e32 0x80, v1
	s_cbranch_execz .LBB257_41
; %bb.36:                               ;   in Loop: Header=BB257_10 Depth=1
	v_and_b32_e32 v25, 0xffff, v1
	v_mov_b32_e32 v23, 0x7c010000
	s_mov_b32 s34, exec_lo
	s_delay_alu instid0(VALU_DEP_2) | instskip(NEXT) | instid1(VALU_DEP_1)
	v_and_b32_e32 v27, 0x7f, v25
	v_cmpx_ne_u32_e32 0x7f, v27
	s_cbranch_execz .LBB257_40
; %bb.37:                               ;   in Loop: Header=BB257_10 Depth=1
	v_and_b32_e32 v23, 7, v25
	v_lshrrev_b32_e32 v26, 3, v27
	s_mov_b32 s35, exec_lo
	v_cmpx_gt_u32_e32 8, v27
; %bb.38:                               ;   in Loop: Header=BB257_10 Depth=1
	s_delay_alu instid0(VALU_DEP_3) | instskip(NEXT) | instid1(VALU_DEP_1)
	v_clz_i32_u32_e32 v23, v23
	v_min_u32_e32 v23, 32, v23
	s_delay_alu instid0(VALU_DEP_1) | instskip(NEXT) | instid1(VALU_DEP_1)
	v_subrev_nc_u32_e32 v26, 28, v23
	v_lshlrev_b64_e32 v[27:28], v26, v[1:2]
	v_sub_nc_u32_e32 v26, 29, v23
	s_delay_alu instid0(VALU_DEP_2)
	v_and_b32_e32 v23, 7, v27
; %bb.39:                               ;   in Loop: Header=BB257_10 Depth=1
	s_wait_alu 0xfffe
	s_or_b32 exec_lo, exec_lo, s35
	v_lshlrev_b32_e32 v1, 8, v25
	v_lshl_add_u32 v25, v26, 10, 0x2000
	v_lshlrev_b32_e32 v23, 23, v23
	s_delay_alu instid0(VALU_DEP_2) | instskip(NEXT) | instid1(VALU_DEP_1)
	v_and_or_b32 v1, 0x8000, v1, v25
	v_lshl_or_b32 v23, v1, 16, v23
.LBB257_40:                             ;   in Loop: Header=BB257_10 Depth=1
	s_wait_alu 0xfffe
	s_or_b32 exec_lo, exec_lo, s34
.LBB257_41:                             ;   in Loop: Header=BB257_10 Depth=1
	s_delay_alu instid0(SALU_CYCLE_1)
	s_or_b32 exec_lo, exec_lo, s33
.LBB257_42:                             ;   in Loop: Header=BB257_10 Depth=1
	s_wait_alu 0xfffe
	s_or_b32 exec_lo, exec_lo, s5
	global_load_u16 v1, v[7:8], off offset:128
	s_wait_loadcnt 0x0
	v_dual_mov_b32 v25, 0 :: v_dual_and_b32 v26, 0xff, v1
	v_and_b32_e32 v1, 0xffff, v1
	s_delay_alu instid0(VALU_DEP_2)
	v_cmp_ne_u16_e64 s4, 0, v26
	v_mov_b32_e32 v26, 0
	s_and_saveexec_b32 s5, s4
	s_cbranch_execz .LBB257_50
; %bb.43:                               ;   in Loop: Header=BB257_10 Depth=1
	v_and_b32_e32 v26, 0xff, v1
	s_delay_alu instid0(VALU_DEP_1)
	v_cmp_ne_u16_e64 s4, 0x80, v26
	v_mov_b32_e32 v26, 0x8000
	s_and_saveexec_b32 s33, s4
	s_cbranch_execz .LBB257_49
; %bb.44:                               ;   in Loop: Header=BB257_10 Depth=1
	v_and_b32_e32 v28, 0x7f, v1
	v_mov_b32_e32 v26, 0x7c01
	s_mov_b32 s34, exec_lo
	s_delay_alu instid0(VALU_DEP_2)
	v_cmpx_ne_u32_e32 0x7f, v28
	s_cbranch_execz .LBB257_48
; %bb.45:                               ;   in Loop: Header=BB257_10 Depth=1
	v_and_b32_e32 v26, 7, v1
	v_lshrrev_b32_e32 v27, 3, v28
	s_mov_b32 s35, exec_lo
	v_cmpx_gt_u32_e32 8, v28
; %bb.46:                               ;   in Loop: Header=BB257_10 Depth=1
	s_delay_alu instid0(VALU_DEP_3) | instskip(NEXT) | instid1(VALU_DEP_1)
	v_clz_i32_u32_e32 v26, v26
	v_min_u32_e32 v28, 32, v26
	s_delay_alu instid0(VALU_DEP_1) | instskip(NEXT) | instid1(VALU_DEP_1)
	v_subrev_nc_u32_e32 v26, 28, v28
	v_lshlrev_b64_e32 v[26:27], v26, v[1:2]
	v_sub_nc_u32_e32 v27, 29, v28
	s_delay_alu instid0(VALU_DEP_2)
	v_and_b32_e32 v26, 7, v26
; %bb.47:                               ;   in Loop: Header=BB257_10 Depth=1
	s_wait_alu 0xfffe
	s_or_b32 exec_lo, exec_lo, s35
	v_lshlrev_b32_e32 v28, 8, v1
	v_lshl_add_u32 v27, v27, 10, 0x2000
	v_lshlrev_b32_e32 v26, 7, v26
	s_delay_alu instid0(VALU_DEP_3) | instskip(NEXT) | instid1(VALU_DEP_3)
	v_and_b32_e32 v28, 0x8000, v28
	v_and_b32_e32 v27, 0xfc00, v27
	s_delay_alu instid0(VALU_DEP_1)
	v_or3_b32 v26, v28, v27, v26
.LBB257_48:                             ;   in Loop: Header=BB257_10 Depth=1
	s_wait_alu 0xfffe
	s_or_b32 exec_lo, exec_lo, s34
.LBB257_49:                             ;   in Loop: Header=BB257_10 Depth=1
	s_delay_alu instid0(SALU_CYCLE_1)
	s_or_b32 exec_lo, exec_lo, s33
.LBB257_50:                             ;   in Loop: Header=BB257_10 Depth=1
	s_wait_alu 0xfffe
	s_or_b32 exec_lo, exec_lo, s5
	v_lshrrev_b16 v1, 8, v1
	s_mov_b32 s5, exec_lo
	s_delay_alu instid0(VALU_DEP_1)
	v_cmpx_ne_u16_e32 0, v1
	s_cbranch_execz .LBB257_58
; %bb.51:                               ;   in Loop: Header=BB257_10 Depth=1
	v_bfrev_b32_e32 v25, 1
	s_mov_b32 s33, exec_lo
	v_cmpx_ne_u16_e32 0x80, v1
	s_cbranch_execz .LBB257_57
; %bb.52:                               ;   in Loop: Header=BB257_10 Depth=1
	v_and_b32_e32 v27, 0xffff, v1
	v_mov_b32_e32 v25, 0x7c010000
	s_mov_b32 s34, exec_lo
	s_delay_alu instid0(VALU_DEP_2) | instskip(NEXT) | instid1(VALU_DEP_1)
	v_and_b32_e32 v29, 0x7f, v27
	v_cmpx_ne_u32_e32 0x7f, v29
	s_cbranch_execz .LBB257_56
; %bb.53:                               ;   in Loop: Header=BB257_10 Depth=1
	v_and_b32_e32 v25, 7, v27
	v_lshrrev_b32_e32 v28, 3, v29
	s_mov_b32 s35, exec_lo
	v_cmpx_gt_u32_e32 8, v29
; %bb.54:                               ;   in Loop: Header=BB257_10 Depth=1
	s_delay_alu instid0(VALU_DEP_3) | instskip(NEXT) | instid1(VALU_DEP_1)
	v_clz_i32_u32_e32 v25, v25
	v_min_u32_e32 v25, 32, v25
	s_delay_alu instid0(VALU_DEP_1) | instskip(NEXT) | instid1(VALU_DEP_1)
	v_subrev_nc_u32_e32 v28, 28, v25
	v_lshlrev_b64_e32 v[29:30], v28, v[1:2]
	v_sub_nc_u32_e32 v28, 29, v25
	s_delay_alu instid0(VALU_DEP_2)
	v_and_b32_e32 v25, 7, v29
; %bb.55:                               ;   in Loop: Header=BB257_10 Depth=1
	s_wait_alu 0xfffe
	s_or_b32 exec_lo, exec_lo, s35
	v_lshlrev_b32_e32 v1, 8, v27
	v_lshl_add_u32 v27, v28, 10, 0x2000
	v_lshlrev_b32_e32 v25, 23, v25
	s_delay_alu instid0(VALU_DEP_2) | instskip(NEXT) | instid1(VALU_DEP_1)
	v_and_or_b32 v1, 0x8000, v1, v27
	v_lshl_or_b32 v25, v1, 16, v25
.LBB257_56:                             ;   in Loop: Header=BB257_10 Depth=1
	s_wait_alu 0xfffe
	s_or_b32 exec_lo, exec_lo, s34
.LBB257_57:                             ;   in Loop: Header=BB257_10 Depth=1
	s_delay_alu instid0(SALU_CYCLE_1)
	s_or_b32 exec_lo, exec_lo, s33
.LBB257_58:                             ;   in Loop: Header=BB257_10 Depth=1
	s_wait_alu 0xfffe
	s_or_b32 exec_lo, exec_lo, s5
	global_load_u16 v1, v[7:8], off offset:136
	s_wait_loadcnt 0x0
	v_dual_mov_b32 v27, 0 :: v_dual_and_b32 v28, 0xff, v1
	v_and_b32_e32 v1, 0xffff, v1
	s_delay_alu instid0(VALU_DEP_2)
	v_cmp_ne_u16_e64 s4, 0, v28
	v_mov_b32_e32 v28, 0
	s_and_saveexec_b32 s5, s4
	s_cbranch_execz .LBB257_66
; %bb.59:                               ;   in Loop: Header=BB257_10 Depth=1
	v_and_b32_e32 v28, 0xff, v1
	s_delay_alu instid0(VALU_DEP_1)
	v_cmp_ne_u16_e64 s4, 0x80, v28
	v_mov_b32_e32 v28, 0x8000
	s_and_saveexec_b32 s33, s4
	s_cbranch_execz .LBB257_65
; %bb.60:                               ;   in Loop: Header=BB257_10 Depth=1
	v_and_b32_e32 v30, 0x7f, v1
	v_mov_b32_e32 v28, 0x7c01
	s_mov_b32 s34, exec_lo
	s_delay_alu instid0(VALU_DEP_2)
	v_cmpx_ne_u32_e32 0x7f, v30
	s_cbranch_execz .LBB257_64
; %bb.61:                               ;   in Loop: Header=BB257_10 Depth=1
	v_and_b32_e32 v28, 7, v1
	v_lshrrev_b32_e32 v29, 3, v30
	s_mov_b32 s35, exec_lo
	v_cmpx_gt_u32_e32 8, v30
; %bb.62:                               ;   in Loop: Header=BB257_10 Depth=1
	s_delay_alu instid0(VALU_DEP_3) | instskip(NEXT) | instid1(VALU_DEP_1)
	v_clz_i32_u32_e32 v28, v28
	v_min_u32_e32 v30, 32, v28
	s_delay_alu instid0(VALU_DEP_1) | instskip(NEXT) | instid1(VALU_DEP_1)
	v_subrev_nc_u32_e32 v28, 28, v30
	v_lshlrev_b64_e32 v[28:29], v28, v[1:2]
	v_sub_nc_u32_e32 v29, 29, v30
	s_delay_alu instid0(VALU_DEP_2)
	v_and_b32_e32 v28, 7, v28
; %bb.63:                               ;   in Loop: Header=BB257_10 Depth=1
	s_wait_alu 0xfffe
	s_or_b32 exec_lo, exec_lo, s35
	v_lshlrev_b32_e32 v30, 8, v1
	v_lshl_add_u32 v29, v29, 10, 0x2000
	v_lshlrev_b32_e32 v28, 7, v28
	s_delay_alu instid0(VALU_DEP_3) | instskip(NEXT) | instid1(VALU_DEP_3)
	v_and_b32_e32 v30, 0x8000, v30
	v_and_b32_e32 v29, 0xfc00, v29
	s_delay_alu instid0(VALU_DEP_1)
	v_or3_b32 v28, v30, v29, v28
.LBB257_64:                             ;   in Loop: Header=BB257_10 Depth=1
	s_wait_alu 0xfffe
	s_or_b32 exec_lo, exec_lo, s34
.LBB257_65:                             ;   in Loop: Header=BB257_10 Depth=1
	s_delay_alu instid0(SALU_CYCLE_1)
	s_or_b32 exec_lo, exec_lo, s33
.LBB257_66:                             ;   in Loop: Header=BB257_10 Depth=1
	s_wait_alu 0xfffe
	s_or_b32 exec_lo, exec_lo, s5
	v_lshrrev_b16 v1, 8, v1
	s_mov_b32 s5, exec_lo
	s_delay_alu instid0(VALU_DEP_1)
	v_cmpx_ne_u16_e32 0, v1
	s_cbranch_execz .LBB257_74
; %bb.67:                               ;   in Loop: Header=BB257_10 Depth=1
	v_bfrev_b32_e32 v27, 1
	s_mov_b32 s33, exec_lo
	v_cmpx_ne_u16_e32 0x80, v1
	s_cbranch_execz .LBB257_73
; %bb.68:                               ;   in Loop: Header=BB257_10 Depth=1
	v_and_b32_e32 v29, 0xffff, v1
	v_mov_b32_e32 v27, 0x7c010000
	s_mov_b32 s34, exec_lo
	s_delay_alu instid0(VALU_DEP_2) | instskip(NEXT) | instid1(VALU_DEP_1)
	v_and_b32_e32 v31, 0x7f, v29
	v_cmpx_ne_u32_e32 0x7f, v31
	s_cbranch_execz .LBB257_72
; %bb.69:                               ;   in Loop: Header=BB257_10 Depth=1
	v_and_b32_e32 v27, 7, v29
	v_lshrrev_b32_e32 v30, 3, v31
	s_mov_b32 s35, exec_lo
	v_cmpx_gt_u32_e32 8, v31
; %bb.70:                               ;   in Loop: Header=BB257_10 Depth=1
	s_delay_alu instid0(VALU_DEP_3) | instskip(NEXT) | instid1(VALU_DEP_1)
	v_clz_i32_u32_e32 v27, v27
	v_min_u32_e32 v27, 32, v27
	s_delay_alu instid0(VALU_DEP_1) | instskip(NEXT) | instid1(VALU_DEP_1)
	v_subrev_nc_u32_e32 v30, 28, v27
	v_lshlrev_b64_e32 v[31:32], v30, v[1:2]
	v_sub_nc_u32_e32 v30, 29, v27
	s_delay_alu instid0(VALU_DEP_2)
	v_and_b32_e32 v27, 7, v31
; %bb.71:                               ;   in Loop: Header=BB257_10 Depth=1
	s_wait_alu 0xfffe
	s_or_b32 exec_lo, exec_lo, s35
	v_lshlrev_b32_e32 v1, 8, v29
	v_lshl_add_u32 v29, v30, 10, 0x2000
	v_lshlrev_b32_e32 v27, 23, v27
	s_delay_alu instid0(VALU_DEP_2) | instskip(NEXT) | instid1(VALU_DEP_1)
	v_and_or_b32 v1, 0x8000, v1, v29
	v_lshl_or_b32 v27, v1, 16, v27
.LBB257_72:                             ;   in Loop: Header=BB257_10 Depth=1
	s_wait_alu 0xfffe
	s_or_b32 exec_lo, exec_lo, s34
.LBB257_73:                             ;   in Loop: Header=BB257_10 Depth=1
	s_delay_alu instid0(SALU_CYCLE_1)
	s_or_b32 exec_lo, exec_lo, s33
.LBB257_74:                             ;   in Loop: Header=BB257_10 Depth=1
	s_wait_alu 0xfffe
	s_or_b32 exec_lo, exec_lo, s5
	global_load_u16 v1, v[7:8], off offset:256
	s_wait_loadcnt 0x0
	v_dual_mov_b32 v29, 0 :: v_dual_and_b32 v30, 0xff, v1
	v_and_b32_e32 v1, 0xffff, v1
	s_delay_alu instid0(VALU_DEP_2)
	v_cmp_ne_u16_e64 s4, 0, v30
	v_mov_b32_e32 v30, 0
	s_and_saveexec_b32 s5, s4
	s_cbranch_execz .LBB257_82
; %bb.75:                               ;   in Loop: Header=BB257_10 Depth=1
	v_and_b32_e32 v30, 0xff, v1
	s_delay_alu instid0(VALU_DEP_1)
	v_cmp_ne_u16_e64 s4, 0x80, v30
	v_mov_b32_e32 v30, 0x8000
	s_and_saveexec_b32 s33, s4
	s_cbranch_execz .LBB257_81
; %bb.76:                               ;   in Loop: Header=BB257_10 Depth=1
	v_and_b32_e32 v32, 0x7f, v1
	v_mov_b32_e32 v30, 0x7c01
	s_mov_b32 s34, exec_lo
	s_delay_alu instid0(VALU_DEP_2)
	v_cmpx_ne_u32_e32 0x7f, v32
	s_cbranch_execz .LBB257_80
; %bb.77:                               ;   in Loop: Header=BB257_10 Depth=1
	v_and_b32_e32 v30, 7, v1
	v_lshrrev_b32_e32 v31, 3, v32
	s_mov_b32 s35, exec_lo
	v_cmpx_gt_u32_e32 8, v32
; %bb.78:                               ;   in Loop: Header=BB257_10 Depth=1
	s_delay_alu instid0(VALU_DEP_3) | instskip(NEXT) | instid1(VALU_DEP_1)
	v_clz_i32_u32_e32 v30, v30
	v_min_u32_e32 v32, 32, v30
	s_delay_alu instid0(VALU_DEP_1) | instskip(NEXT) | instid1(VALU_DEP_1)
	v_subrev_nc_u32_e32 v30, 28, v32
	v_lshlrev_b64_e32 v[30:31], v30, v[1:2]
	v_sub_nc_u32_e32 v31, 29, v32
	s_delay_alu instid0(VALU_DEP_2)
	v_and_b32_e32 v30, 7, v30
; %bb.79:                               ;   in Loop: Header=BB257_10 Depth=1
	s_wait_alu 0xfffe
	s_or_b32 exec_lo, exec_lo, s35
	v_lshlrev_b32_e32 v32, 8, v1
	v_lshl_add_u32 v31, v31, 10, 0x2000
	v_lshlrev_b32_e32 v30, 7, v30
	s_delay_alu instid0(VALU_DEP_3) | instskip(NEXT) | instid1(VALU_DEP_3)
	v_and_b32_e32 v32, 0x8000, v32
	v_and_b32_e32 v31, 0xfc00, v31
	s_delay_alu instid0(VALU_DEP_1)
	v_or3_b32 v30, v32, v31, v30
.LBB257_80:                             ;   in Loop: Header=BB257_10 Depth=1
	s_wait_alu 0xfffe
	s_or_b32 exec_lo, exec_lo, s34
.LBB257_81:                             ;   in Loop: Header=BB257_10 Depth=1
	s_delay_alu instid0(SALU_CYCLE_1)
	s_or_b32 exec_lo, exec_lo, s33
.LBB257_82:                             ;   in Loop: Header=BB257_10 Depth=1
	s_wait_alu 0xfffe
	s_or_b32 exec_lo, exec_lo, s5
	v_lshrrev_b16 v1, 8, v1
	s_mov_b32 s5, exec_lo
	s_delay_alu instid0(VALU_DEP_1)
	v_cmpx_ne_u16_e32 0, v1
	s_cbranch_execz .LBB257_90
; %bb.83:                               ;   in Loop: Header=BB257_10 Depth=1
	v_bfrev_b32_e32 v29, 1
	s_mov_b32 s33, exec_lo
	v_cmpx_ne_u16_e32 0x80, v1
	s_cbranch_execz .LBB257_89
; %bb.84:                               ;   in Loop: Header=BB257_10 Depth=1
	v_and_b32_e32 v31, 0xffff, v1
	v_mov_b32_e32 v29, 0x7c010000
	s_mov_b32 s34, exec_lo
	s_delay_alu instid0(VALU_DEP_2) | instskip(NEXT) | instid1(VALU_DEP_1)
	v_and_b32_e32 v33, 0x7f, v31
	v_cmpx_ne_u32_e32 0x7f, v33
	s_cbranch_execz .LBB257_88
; %bb.85:                               ;   in Loop: Header=BB257_10 Depth=1
	v_and_b32_e32 v29, 7, v31
	v_lshrrev_b32_e32 v32, 3, v33
	s_mov_b32 s35, exec_lo
	v_cmpx_gt_u32_e32 8, v33
; %bb.86:                               ;   in Loop: Header=BB257_10 Depth=1
	s_delay_alu instid0(VALU_DEP_3) | instskip(NEXT) | instid1(VALU_DEP_1)
	v_clz_i32_u32_e32 v29, v29
	v_min_u32_e32 v29, 32, v29
	s_delay_alu instid0(VALU_DEP_1) | instskip(NEXT) | instid1(VALU_DEP_1)
	v_subrev_nc_u32_e32 v32, 28, v29
	v_lshlrev_b64_e32 v[33:34], v32, v[1:2]
	v_sub_nc_u32_e32 v32, 29, v29
	s_delay_alu instid0(VALU_DEP_2)
	v_and_b32_e32 v29, 7, v33
; %bb.87:                               ;   in Loop: Header=BB257_10 Depth=1
	s_wait_alu 0xfffe
	s_or_b32 exec_lo, exec_lo, s35
	v_lshlrev_b32_e32 v1, 8, v31
	v_lshl_add_u32 v31, v32, 10, 0x2000
	v_lshlrev_b32_e32 v29, 23, v29
	s_delay_alu instid0(VALU_DEP_2) | instskip(NEXT) | instid1(VALU_DEP_1)
	v_and_or_b32 v1, 0x8000, v1, v31
	v_lshl_or_b32 v29, v1, 16, v29
.LBB257_88:                             ;   in Loop: Header=BB257_10 Depth=1
	s_wait_alu 0xfffe
	s_or_b32 exec_lo, exec_lo, s34
.LBB257_89:                             ;   in Loop: Header=BB257_10 Depth=1
	s_delay_alu instid0(SALU_CYCLE_1)
	s_or_b32 exec_lo, exec_lo, s33
.LBB257_90:                             ;   in Loop: Header=BB257_10 Depth=1
	s_wait_alu 0xfffe
	s_or_b32 exec_lo, exec_lo, s5
	global_load_u16 v1, v[7:8], off offset:264
	s_wait_loadcnt 0x0
	v_dual_mov_b32 v31, 0 :: v_dual_and_b32 v32, 0xff, v1
	v_and_b32_e32 v1, 0xffff, v1
	s_delay_alu instid0(VALU_DEP_2)
	v_cmp_ne_u16_e64 s4, 0, v32
	v_mov_b32_e32 v32, 0
	s_and_saveexec_b32 s5, s4
	s_cbranch_execz .LBB257_98
; %bb.91:                               ;   in Loop: Header=BB257_10 Depth=1
	v_and_b32_e32 v32, 0xff, v1
	s_delay_alu instid0(VALU_DEP_1)
	v_cmp_ne_u16_e64 s4, 0x80, v32
	v_mov_b32_e32 v32, 0x8000
	s_and_saveexec_b32 s33, s4
	s_cbranch_execz .LBB257_97
; %bb.92:                               ;   in Loop: Header=BB257_10 Depth=1
	v_and_b32_e32 v34, 0x7f, v1
	v_mov_b32_e32 v32, 0x7c01
	s_mov_b32 s34, exec_lo
	s_delay_alu instid0(VALU_DEP_2)
	v_cmpx_ne_u32_e32 0x7f, v34
	s_cbranch_execz .LBB257_96
; %bb.93:                               ;   in Loop: Header=BB257_10 Depth=1
	v_and_b32_e32 v32, 7, v1
	v_lshrrev_b32_e32 v33, 3, v34
	s_mov_b32 s35, exec_lo
	v_cmpx_gt_u32_e32 8, v34
; %bb.94:                               ;   in Loop: Header=BB257_10 Depth=1
	s_delay_alu instid0(VALU_DEP_3) | instskip(NEXT) | instid1(VALU_DEP_1)
	v_clz_i32_u32_e32 v32, v32
	v_min_u32_e32 v34, 32, v32
	s_delay_alu instid0(VALU_DEP_1) | instskip(NEXT) | instid1(VALU_DEP_1)
	v_subrev_nc_u32_e32 v32, 28, v34
	v_lshlrev_b64_e32 v[32:33], v32, v[1:2]
	v_sub_nc_u32_e32 v33, 29, v34
	s_delay_alu instid0(VALU_DEP_2)
	v_and_b32_e32 v32, 7, v32
; %bb.95:                               ;   in Loop: Header=BB257_10 Depth=1
	s_wait_alu 0xfffe
	s_or_b32 exec_lo, exec_lo, s35
	v_lshlrev_b32_e32 v34, 8, v1
	v_lshl_add_u32 v33, v33, 10, 0x2000
	v_lshlrev_b32_e32 v32, 7, v32
	s_delay_alu instid0(VALU_DEP_3) | instskip(NEXT) | instid1(VALU_DEP_3)
	v_and_b32_e32 v34, 0x8000, v34
	v_and_b32_e32 v33, 0xfc00, v33
	s_delay_alu instid0(VALU_DEP_1)
	v_or3_b32 v32, v34, v33, v32
.LBB257_96:                             ;   in Loop: Header=BB257_10 Depth=1
	s_wait_alu 0xfffe
	s_or_b32 exec_lo, exec_lo, s34
.LBB257_97:                             ;   in Loop: Header=BB257_10 Depth=1
	s_delay_alu instid0(SALU_CYCLE_1)
	s_or_b32 exec_lo, exec_lo, s33
.LBB257_98:                             ;   in Loop: Header=BB257_10 Depth=1
	s_wait_alu 0xfffe
	s_or_b32 exec_lo, exec_lo, s5
	v_lshrrev_b16 v1, 8, v1
	s_mov_b32 s5, exec_lo
	s_delay_alu instid0(VALU_DEP_1)
	v_cmpx_ne_u16_e32 0, v1
	s_cbranch_execz .LBB257_106
; %bb.99:                               ;   in Loop: Header=BB257_10 Depth=1
	v_bfrev_b32_e32 v31, 1
	s_mov_b32 s33, exec_lo
	v_cmpx_ne_u16_e32 0x80, v1
	s_cbranch_execz .LBB257_105
; %bb.100:                              ;   in Loop: Header=BB257_10 Depth=1
	v_and_b32_e32 v33, 0xffff, v1
	v_mov_b32_e32 v31, 0x7c010000
	s_mov_b32 s34, exec_lo
	s_delay_alu instid0(VALU_DEP_2) | instskip(NEXT) | instid1(VALU_DEP_1)
	v_and_b32_e32 v35, 0x7f, v33
	v_cmpx_ne_u32_e32 0x7f, v35
	s_cbranch_execz .LBB257_104
; %bb.101:                              ;   in Loop: Header=BB257_10 Depth=1
	v_and_b32_e32 v31, 7, v33
	v_lshrrev_b32_e32 v34, 3, v35
	s_mov_b32 s35, exec_lo
	v_cmpx_gt_u32_e32 8, v35
; %bb.102:                              ;   in Loop: Header=BB257_10 Depth=1
	s_delay_alu instid0(VALU_DEP_3) | instskip(NEXT) | instid1(VALU_DEP_1)
	v_clz_i32_u32_e32 v31, v31
	v_min_u32_e32 v31, 32, v31
	s_delay_alu instid0(VALU_DEP_1) | instskip(NEXT) | instid1(VALU_DEP_1)
	v_subrev_nc_u32_e32 v34, 28, v31
	v_lshlrev_b64_e32 v[35:36], v34, v[1:2]
	v_sub_nc_u32_e32 v34, 29, v31
	s_delay_alu instid0(VALU_DEP_2)
	v_and_b32_e32 v31, 7, v35
; %bb.103:                              ;   in Loop: Header=BB257_10 Depth=1
	s_wait_alu 0xfffe
	s_or_b32 exec_lo, exec_lo, s35
	v_lshlrev_b32_e32 v1, 8, v33
	v_lshl_add_u32 v33, v34, 10, 0x2000
	v_lshlrev_b32_e32 v31, 23, v31
	s_delay_alu instid0(VALU_DEP_2) | instskip(NEXT) | instid1(VALU_DEP_1)
	v_and_or_b32 v1, 0x8000, v1, v33
	v_lshl_or_b32 v31, v1, 16, v31
.LBB257_104:                            ;   in Loop: Header=BB257_10 Depth=1
	s_wait_alu 0xfffe
	s_or_b32 exec_lo, exec_lo, s34
.LBB257_105:                            ;   in Loop: Header=BB257_10 Depth=1
	s_delay_alu instid0(SALU_CYCLE_1)
	s_or_b32 exec_lo, exec_lo, s33
.LBB257_106:                            ;   in Loop: Header=BB257_10 Depth=1
	s_wait_alu 0xfffe
	s_or_b32 exec_lo, exec_lo, s5
	global_load_u16 v1, v[7:8], off offset:384
	s_wait_loadcnt 0x0
	v_dual_mov_b32 v33, 0 :: v_dual_and_b32 v34, 0xff, v1
	v_and_b32_e32 v1, 0xffff, v1
	s_delay_alu instid0(VALU_DEP_2)
	v_cmp_ne_u16_e64 s4, 0, v34
	v_mov_b32_e32 v34, 0
	s_and_saveexec_b32 s5, s4
	s_cbranch_execz .LBB257_114
; %bb.107:                              ;   in Loop: Header=BB257_10 Depth=1
	v_and_b32_e32 v34, 0xff, v1
	s_delay_alu instid0(VALU_DEP_1)
	v_cmp_ne_u16_e64 s4, 0x80, v34
	v_mov_b32_e32 v34, 0x8000
	s_and_saveexec_b32 s33, s4
	s_cbranch_execz .LBB257_113
; %bb.108:                              ;   in Loop: Header=BB257_10 Depth=1
	v_and_b32_e32 v36, 0x7f, v1
	v_mov_b32_e32 v34, 0x7c01
	s_mov_b32 s34, exec_lo
	s_delay_alu instid0(VALU_DEP_2)
	v_cmpx_ne_u32_e32 0x7f, v36
	s_cbranch_execz .LBB257_112
; %bb.109:                              ;   in Loop: Header=BB257_10 Depth=1
	v_and_b32_e32 v34, 7, v1
	v_lshrrev_b32_e32 v35, 3, v36
	s_mov_b32 s35, exec_lo
	v_cmpx_gt_u32_e32 8, v36
; %bb.110:                              ;   in Loop: Header=BB257_10 Depth=1
	s_delay_alu instid0(VALU_DEP_3) | instskip(NEXT) | instid1(VALU_DEP_1)
	v_clz_i32_u32_e32 v34, v34
	v_min_u32_e32 v36, 32, v34
	s_delay_alu instid0(VALU_DEP_1) | instskip(NEXT) | instid1(VALU_DEP_1)
	v_subrev_nc_u32_e32 v34, 28, v36
	v_lshlrev_b64_e32 v[34:35], v34, v[1:2]
	v_sub_nc_u32_e32 v35, 29, v36
	s_delay_alu instid0(VALU_DEP_2)
	v_and_b32_e32 v34, 7, v34
; %bb.111:                              ;   in Loop: Header=BB257_10 Depth=1
	s_wait_alu 0xfffe
	s_or_b32 exec_lo, exec_lo, s35
	v_lshlrev_b32_e32 v36, 8, v1
	v_lshl_add_u32 v35, v35, 10, 0x2000
	v_lshlrev_b32_e32 v34, 7, v34
	s_delay_alu instid0(VALU_DEP_3) | instskip(NEXT) | instid1(VALU_DEP_3)
	v_and_b32_e32 v36, 0x8000, v36
	v_and_b32_e32 v35, 0xfc00, v35
	s_delay_alu instid0(VALU_DEP_1)
	v_or3_b32 v34, v36, v35, v34
.LBB257_112:                            ;   in Loop: Header=BB257_10 Depth=1
	s_wait_alu 0xfffe
	s_or_b32 exec_lo, exec_lo, s34
.LBB257_113:                            ;   in Loop: Header=BB257_10 Depth=1
	s_delay_alu instid0(SALU_CYCLE_1)
	s_or_b32 exec_lo, exec_lo, s33
.LBB257_114:                            ;   in Loop: Header=BB257_10 Depth=1
	s_wait_alu 0xfffe
	s_or_b32 exec_lo, exec_lo, s5
	v_lshrrev_b16 v1, 8, v1
	s_mov_b32 s5, exec_lo
	s_delay_alu instid0(VALU_DEP_1)
	v_cmpx_ne_u16_e32 0, v1
	s_cbranch_execz .LBB257_122
; %bb.115:                              ;   in Loop: Header=BB257_10 Depth=1
	v_bfrev_b32_e32 v33, 1
	s_mov_b32 s33, exec_lo
	v_cmpx_ne_u16_e32 0x80, v1
	s_cbranch_execz .LBB257_121
; %bb.116:                              ;   in Loop: Header=BB257_10 Depth=1
	v_and_b32_e32 v35, 0xffff, v1
	v_mov_b32_e32 v33, 0x7c010000
	s_mov_b32 s34, exec_lo
	s_delay_alu instid0(VALU_DEP_2) | instskip(NEXT) | instid1(VALU_DEP_1)
	v_and_b32_e32 v37, 0x7f, v35
	v_cmpx_ne_u32_e32 0x7f, v37
	s_cbranch_execz .LBB257_120
; %bb.117:                              ;   in Loop: Header=BB257_10 Depth=1
	v_and_b32_e32 v33, 7, v35
	v_lshrrev_b32_e32 v36, 3, v37
	s_mov_b32 s35, exec_lo
	v_cmpx_gt_u32_e32 8, v37
; %bb.118:                              ;   in Loop: Header=BB257_10 Depth=1
	s_delay_alu instid0(VALU_DEP_3) | instskip(NEXT) | instid1(VALU_DEP_1)
	v_clz_i32_u32_e32 v33, v33
	v_min_u32_e32 v33, 32, v33
	s_delay_alu instid0(VALU_DEP_1) | instskip(NEXT) | instid1(VALU_DEP_1)
	v_subrev_nc_u32_e32 v36, 28, v33
	v_lshlrev_b64_e32 v[37:38], v36, v[1:2]
	v_sub_nc_u32_e32 v36, 29, v33
	s_delay_alu instid0(VALU_DEP_2)
	v_and_b32_e32 v33, 7, v37
; %bb.119:                              ;   in Loop: Header=BB257_10 Depth=1
	s_wait_alu 0xfffe
	s_or_b32 exec_lo, exec_lo, s35
	v_lshlrev_b32_e32 v1, 8, v35
	v_lshl_add_u32 v35, v36, 10, 0x2000
	v_lshlrev_b32_e32 v33, 23, v33
	s_delay_alu instid0(VALU_DEP_2) | instskip(NEXT) | instid1(VALU_DEP_1)
	v_and_or_b32 v1, 0x8000, v1, v35
	v_lshl_or_b32 v33, v1, 16, v33
.LBB257_120:                            ;   in Loop: Header=BB257_10 Depth=1
	s_wait_alu 0xfffe
	s_or_b32 exec_lo, exec_lo, s34
.LBB257_121:                            ;   in Loop: Header=BB257_10 Depth=1
	s_delay_alu instid0(SALU_CYCLE_1)
	s_or_b32 exec_lo, exec_lo, s33
.LBB257_122:                            ;   in Loop: Header=BB257_10 Depth=1
	s_wait_alu 0xfffe
	s_or_b32 exec_lo, exec_lo, s5
	global_load_u16 v1, v[7:8], off offset:392
	s_wait_loadcnt 0x0
	v_dual_mov_b32 v35, 0 :: v_dual_and_b32 v36, 0xff, v1
	v_and_b32_e32 v1, 0xffff, v1
	s_delay_alu instid0(VALU_DEP_2)
	v_cmp_ne_u16_e64 s4, 0, v36
	v_mov_b32_e32 v36, 0
	s_and_saveexec_b32 s5, s4
	s_cbranch_execz .LBB257_130
; %bb.123:                              ;   in Loop: Header=BB257_10 Depth=1
	v_and_b32_e32 v36, 0xff, v1
	s_delay_alu instid0(VALU_DEP_1)
	v_cmp_ne_u16_e64 s4, 0x80, v36
	v_mov_b32_e32 v36, 0x8000
	s_and_saveexec_b32 s33, s4
	s_cbranch_execz .LBB257_129
; %bb.124:                              ;   in Loop: Header=BB257_10 Depth=1
	v_and_b32_e32 v38, 0x7f, v1
	v_mov_b32_e32 v36, 0x7c01
	s_mov_b32 s34, exec_lo
	s_delay_alu instid0(VALU_DEP_2)
	v_cmpx_ne_u32_e32 0x7f, v38
	s_cbranch_execz .LBB257_128
; %bb.125:                              ;   in Loop: Header=BB257_10 Depth=1
	v_and_b32_e32 v36, 7, v1
	v_lshrrev_b32_e32 v37, 3, v38
	s_mov_b32 s35, exec_lo
	v_cmpx_gt_u32_e32 8, v38
; %bb.126:                              ;   in Loop: Header=BB257_10 Depth=1
	s_delay_alu instid0(VALU_DEP_3) | instskip(NEXT) | instid1(VALU_DEP_1)
	v_clz_i32_u32_e32 v36, v36
	v_min_u32_e32 v38, 32, v36
	s_delay_alu instid0(VALU_DEP_1) | instskip(NEXT) | instid1(VALU_DEP_1)
	v_subrev_nc_u32_e32 v36, 28, v38
	v_lshlrev_b64_e32 v[36:37], v36, v[1:2]
	v_sub_nc_u32_e32 v37, 29, v38
	s_delay_alu instid0(VALU_DEP_2)
	v_and_b32_e32 v36, 7, v36
; %bb.127:                              ;   in Loop: Header=BB257_10 Depth=1
	s_wait_alu 0xfffe
	s_or_b32 exec_lo, exec_lo, s35
	v_lshlrev_b32_e32 v38, 8, v1
	v_lshl_add_u32 v37, v37, 10, 0x2000
	v_lshlrev_b32_e32 v36, 7, v36
	s_delay_alu instid0(VALU_DEP_3) | instskip(NEXT) | instid1(VALU_DEP_3)
	v_and_b32_e32 v38, 0x8000, v38
	v_and_b32_e32 v37, 0xfc00, v37
	s_delay_alu instid0(VALU_DEP_1)
	v_or3_b32 v36, v38, v37, v36
.LBB257_128:                            ;   in Loop: Header=BB257_10 Depth=1
	s_wait_alu 0xfffe
	s_or_b32 exec_lo, exec_lo, s34
.LBB257_129:                            ;   in Loop: Header=BB257_10 Depth=1
	s_delay_alu instid0(SALU_CYCLE_1)
	s_or_b32 exec_lo, exec_lo, s33
.LBB257_130:                            ;   in Loop: Header=BB257_10 Depth=1
	s_wait_alu 0xfffe
	s_or_b32 exec_lo, exec_lo, s5
	v_lshrrev_b16 v1, 8, v1
	s_mov_b32 s5, exec_lo
	s_delay_alu instid0(VALU_DEP_1)
	v_cmpx_ne_u16_e32 0, v1
	s_cbranch_execz .LBB257_138
; %bb.131:                              ;   in Loop: Header=BB257_10 Depth=1
	v_bfrev_b32_e32 v35, 1
	s_mov_b32 s33, exec_lo
	v_cmpx_ne_u16_e32 0x80, v1
	s_cbranch_execz .LBB257_137
; %bb.132:                              ;   in Loop: Header=BB257_10 Depth=1
	v_and_b32_e32 v37, 0xffff, v1
	v_mov_b32_e32 v35, 0x7c010000
	s_mov_b32 s34, exec_lo
	s_delay_alu instid0(VALU_DEP_2) | instskip(NEXT) | instid1(VALU_DEP_1)
	v_and_b32_e32 v39, 0x7f, v37
	v_cmpx_ne_u32_e32 0x7f, v39
	s_cbranch_execz .LBB257_136
; %bb.133:                              ;   in Loop: Header=BB257_10 Depth=1
	v_and_b32_e32 v35, 7, v37
	v_lshrrev_b32_e32 v38, 3, v39
	s_mov_b32 s35, exec_lo
	v_cmpx_gt_u32_e32 8, v39
; %bb.134:                              ;   in Loop: Header=BB257_10 Depth=1
	s_delay_alu instid0(VALU_DEP_3) | instskip(NEXT) | instid1(VALU_DEP_1)
	v_clz_i32_u32_e32 v35, v35
	v_min_u32_e32 v35, 32, v35
	s_delay_alu instid0(VALU_DEP_1) | instskip(NEXT) | instid1(VALU_DEP_1)
	v_subrev_nc_u32_e32 v38, 28, v35
	v_lshlrev_b64_e32 v[39:40], v38, v[1:2]
	v_sub_nc_u32_e32 v38, 29, v35
	s_delay_alu instid0(VALU_DEP_2)
	v_and_b32_e32 v35, 7, v39
; %bb.135:                              ;   in Loop: Header=BB257_10 Depth=1
	s_wait_alu 0xfffe
	s_or_b32 exec_lo, exec_lo, s35
	v_lshlrev_b32_e32 v1, 8, v37
	v_lshl_add_u32 v37, v38, 10, 0x2000
	v_lshlrev_b32_e32 v35, 23, v35
	s_delay_alu instid0(VALU_DEP_2) | instskip(NEXT) | instid1(VALU_DEP_1)
	v_and_or_b32 v1, 0x8000, v1, v37
	v_lshl_or_b32 v35, v1, 16, v35
.LBB257_136:                            ;   in Loop: Header=BB257_10 Depth=1
	s_wait_alu 0xfffe
	s_or_b32 exec_lo, exec_lo, s34
.LBB257_137:                            ;   in Loop: Header=BB257_10 Depth=1
	s_delay_alu instid0(SALU_CYCLE_1)
	s_or_b32 exec_lo, exec_lo, s33
.LBB257_138:                            ;   in Loop: Header=BB257_10 Depth=1
	s_wait_alu 0xfffe
	s_or_b32 exec_lo, exec_lo, s5
	global_load_u16 v1, v[7:8], off offset:512
	s_wait_loadcnt 0x0
	v_dual_mov_b32 v37, 0 :: v_dual_and_b32 v38, 0xff, v1
	v_and_b32_e32 v1, 0xffff, v1
	s_delay_alu instid0(VALU_DEP_2)
	v_cmp_ne_u16_e64 s4, 0, v38
	v_mov_b32_e32 v38, 0
	s_and_saveexec_b32 s5, s4
	s_cbranch_execz .LBB257_146
; %bb.139:                              ;   in Loop: Header=BB257_10 Depth=1
	v_and_b32_e32 v38, 0xff, v1
	s_delay_alu instid0(VALU_DEP_1)
	v_cmp_ne_u16_e64 s4, 0x80, v38
	v_mov_b32_e32 v38, 0x8000
	s_and_saveexec_b32 s33, s4
	s_cbranch_execz .LBB257_145
; %bb.140:                              ;   in Loop: Header=BB257_10 Depth=1
	v_and_b32_e32 v40, 0x7f, v1
	v_mov_b32_e32 v38, 0x7c01
	s_mov_b32 s34, exec_lo
	s_delay_alu instid0(VALU_DEP_2)
	v_cmpx_ne_u32_e32 0x7f, v40
	s_cbranch_execz .LBB257_144
; %bb.141:                              ;   in Loop: Header=BB257_10 Depth=1
	v_and_b32_e32 v38, 7, v1
	v_lshrrev_b32_e32 v39, 3, v40
	s_mov_b32 s35, exec_lo
	v_cmpx_gt_u32_e32 8, v40
; %bb.142:                              ;   in Loop: Header=BB257_10 Depth=1
	s_delay_alu instid0(VALU_DEP_3) | instskip(NEXT) | instid1(VALU_DEP_1)
	v_clz_i32_u32_e32 v38, v38
	v_min_u32_e32 v40, 32, v38
	s_delay_alu instid0(VALU_DEP_1) | instskip(NEXT) | instid1(VALU_DEP_1)
	v_subrev_nc_u32_e32 v38, 28, v40
	v_lshlrev_b64_e32 v[38:39], v38, v[1:2]
	v_sub_nc_u32_e32 v39, 29, v40
	s_delay_alu instid0(VALU_DEP_2)
	v_and_b32_e32 v38, 7, v38
; %bb.143:                              ;   in Loop: Header=BB257_10 Depth=1
	s_wait_alu 0xfffe
	s_or_b32 exec_lo, exec_lo, s35
	v_lshlrev_b32_e32 v40, 8, v1
	v_lshl_add_u32 v39, v39, 10, 0x2000
	v_lshlrev_b32_e32 v38, 7, v38
	s_delay_alu instid0(VALU_DEP_3) | instskip(NEXT) | instid1(VALU_DEP_3)
	v_and_b32_e32 v40, 0x8000, v40
	v_and_b32_e32 v39, 0xfc00, v39
	s_delay_alu instid0(VALU_DEP_1)
	v_or3_b32 v38, v40, v39, v38
.LBB257_144:                            ;   in Loop: Header=BB257_10 Depth=1
	s_wait_alu 0xfffe
	s_or_b32 exec_lo, exec_lo, s34
.LBB257_145:                            ;   in Loop: Header=BB257_10 Depth=1
	s_delay_alu instid0(SALU_CYCLE_1)
	s_or_b32 exec_lo, exec_lo, s33
.LBB257_146:                            ;   in Loop: Header=BB257_10 Depth=1
	s_wait_alu 0xfffe
	s_or_b32 exec_lo, exec_lo, s5
	v_lshrrev_b16 v1, 8, v1
	s_mov_b32 s5, exec_lo
	s_delay_alu instid0(VALU_DEP_1)
	v_cmpx_ne_u16_e32 0, v1
	s_cbranch_execz .LBB257_154
; %bb.147:                              ;   in Loop: Header=BB257_10 Depth=1
	v_bfrev_b32_e32 v37, 1
	s_mov_b32 s33, exec_lo
	v_cmpx_ne_u16_e32 0x80, v1
	s_cbranch_execz .LBB257_153
; %bb.148:                              ;   in Loop: Header=BB257_10 Depth=1
	v_and_b32_e32 v39, 0xffff, v1
	v_mov_b32_e32 v37, 0x7c010000
	s_mov_b32 s34, exec_lo
	s_delay_alu instid0(VALU_DEP_2) | instskip(NEXT) | instid1(VALU_DEP_1)
	v_and_b32_e32 v41, 0x7f, v39
	v_cmpx_ne_u32_e32 0x7f, v41
	s_cbranch_execz .LBB257_152
; %bb.149:                              ;   in Loop: Header=BB257_10 Depth=1
	v_and_b32_e32 v37, 7, v39
	v_lshrrev_b32_e32 v40, 3, v41
	s_mov_b32 s35, exec_lo
	v_cmpx_gt_u32_e32 8, v41
; %bb.150:                              ;   in Loop: Header=BB257_10 Depth=1
	s_delay_alu instid0(VALU_DEP_3) | instskip(NEXT) | instid1(VALU_DEP_1)
	v_clz_i32_u32_e32 v37, v37
	v_min_u32_e32 v37, 32, v37
	s_delay_alu instid0(VALU_DEP_1) | instskip(NEXT) | instid1(VALU_DEP_1)
	v_subrev_nc_u32_e32 v40, 28, v37
	v_lshlrev_b64_e32 v[41:42], v40, v[1:2]
	v_sub_nc_u32_e32 v40, 29, v37
	s_delay_alu instid0(VALU_DEP_2)
	v_and_b32_e32 v37, 7, v41
; %bb.151:                              ;   in Loop: Header=BB257_10 Depth=1
	s_wait_alu 0xfffe
	s_or_b32 exec_lo, exec_lo, s35
	v_lshlrev_b32_e32 v1, 8, v39
	v_lshl_add_u32 v39, v40, 10, 0x2000
	v_lshlrev_b32_e32 v37, 23, v37
	s_delay_alu instid0(VALU_DEP_2) | instskip(NEXT) | instid1(VALU_DEP_1)
	v_and_or_b32 v1, 0x8000, v1, v39
	v_lshl_or_b32 v37, v1, 16, v37
.LBB257_152:                            ;   in Loop: Header=BB257_10 Depth=1
	s_wait_alu 0xfffe
	s_or_b32 exec_lo, exec_lo, s34
.LBB257_153:                            ;   in Loop: Header=BB257_10 Depth=1
	s_delay_alu instid0(SALU_CYCLE_1)
	s_or_b32 exec_lo, exec_lo, s33
.LBB257_154:                            ;   in Loop: Header=BB257_10 Depth=1
	s_wait_alu 0xfffe
	s_or_b32 exec_lo, exec_lo, s5
	global_load_u16 v1, v[7:8], off offset:520
	s_wait_loadcnt 0x0
	v_dual_mov_b32 v39, 0 :: v_dual_and_b32 v40, 0xff, v1
	v_and_b32_e32 v1, 0xffff, v1
	s_delay_alu instid0(VALU_DEP_2)
	v_cmp_ne_u16_e64 s4, 0, v40
	v_mov_b32_e32 v40, 0
	s_and_saveexec_b32 s5, s4
	s_cbranch_execz .LBB257_162
; %bb.155:                              ;   in Loop: Header=BB257_10 Depth=1
	v_and_b32_e32 v40, 0xff, v1
	s_delay_alu instid0(VALU_DEP_1)
	v_cmp_ne_u16_e64 s4, 0x80, v40
	v_mov_b32_e32 v40, 0x8000
	s_and_saveexec_b32 s33, s4
	s_cbranch_execz .LBB257_161
; %bb.156:                              ;   in Loop: Header=BB257_10 Depth=1
	v_and_b32_e32 v42, 0x7f, v1
	v_mov_b32_e32 v40, 0x7c01
	s_mov_b32 s34, exec_lo
	s_delay_alu instid0(VALU_DEP_2)
	v_cmpx_ne_u32_e32 0x7f, v42
	s_cbranch_execz .LBB257_160
; %bb.157:                              ;   in Loop: Header=BB257_10 Depth=1
	v_and_b32_e32 v40, 7, v1
	v_lshrrev_b32_e32 v41, 3, v42
	s_mov_b32 s35, exec_lo
	v_cmpx_gt_u32_e32 8, v42
; %bb.158:                              ;   in Loop: Header=BB257_10 Depth=1
	s_delay_alu instid0(VALU_DEP_3) | instskip(NEXT) | instid1(VALU_DEP_1)
	v_clz_i32_u32_e32 v40, v40
	v_min_u32_e32 v42, 32, v40
	s_delay_alu instid0(VALU_DEP_1) | instskip(NEXT) | instid1(VALU_DEP_1)
	v_subrev_nc_u32_e32 v40, 28, v42
	v_lshlrev_b64_e32 v[40:41], v40, v[1:2]
	v_sub_nc_u32_e32 v41, 29, v42
	s_delay_alu instid0(VALU_DEP_2)
	v_and_b32_e32 v40, 7, v40
; %bb.159:                              ;   in Loop: Header=BB257_10 Depth=1
	s_wait_alu 0xfffe
	s_or_b32 exec_lo, exec_lo, s35
	v_lshlrev_b32_e32 v42, 8, v1
	v_lshl_add_u32 v41, v41, 10, 0x2000
	v_lshlrev_b32_e32 v40, 7, v40
	s_delay_alu instid0(VALU_DEP_3) | instskip(NEXT) | instid1(VALU_DEP_3)
	v_and_b32_e32 v42, 0x8000, v42
	v_and_b32_e32 v41, 0xfc00, v41
	s_delay_alu instid0(VALU_DEP_1)
	v_or3_b32 v40, v42, v41, v40
.LBB257_160:                            ;   in Loop: Header=BB257_10 Depth=1
	s_wait_alu 0xfffe
	s_or_b32 exec_lo, exec_lo, s34
.LBB257_161:                            ;   in Loop: Header=BB257_10 Depth=1
	s_delay_alu instid0(SALU_CYCLE_1)
	s_or_b32 exec_lo, exec_lo, s33
.LBB257_162:                            ;   in Loop: Header=BB257_10 Depth=1
	s_wait_alu 0xfffe
	s_or_b32 exec_lo, exec_lo, s5
	v_lshrrev_b16 v1, 8, v1
	s_mov_b32 s5, exec_lo
	s_delay_alu instid0(VALU_DEP_1)
	v_cmpx_ne_u16_e32 0, v1
	s_cbranch_execz .LBB257_170
; %bb.163:                              ;   in Loop: Header=BB257_10 Depth=1
	v_bfrev_b32_e32 v39, 1
	s_mov_b32 s33, exec_lo
	v_cmpx_ne_u16_e32 0x80, v1
	s_cbranch_execz .LBB257_169
; %bb.164:                              ;   in Loop: Header=BB257_10 Depth=1
	v_and_b32_e32 v41, 0xffff, v1
	v_mov_b32_e32 v39, 0x7c010000
	s_mov_b32 s34, exec_lo
	s_delay_alu instid0(VALU_DEP_2) | instskip(NEXT) | instid1(VALU_DEP_1)
	v_and_b32_e32 v43, 0x7f, v41
	v_cmpx_ne_u32_e32 0x7f, v43
	s_cbranch_execz .LBB257_168
; %bb.165:                              ;   in Loop: Header=BB257_10 Depth=1
	v_and_b32_e32 v39, 7, v41
	v_lshrrev_b32_e32 v42, 3, v43
	s_mov_b32 s35, exec_lo
	v_cmpx_gt_u32_e32 8, v43
; %bb.166:                              ;   in Loop: Header=BB257_10 Depth=1
	s_delay_alu instid0(VALU_DEP_3) | instskip(NEXT) | instid1(VALU_DEP_1)
	v_clz_i32_u32_e32 v39, v39
	v_min_u32_e32 v39, 32, v39
	s_delay_alu instid0(VALU_DEP_1) | instskip(NEXT) | instid1(VALU_DEP_1)
	v_subrev_nc_u32_e32 v42, 28, v39
	v_lshlrev_b64_e32 v[43:44], v42, v[1:2]
	v_sub_nc_u32_e32 v42, 29, v39
	s_delay_alu instid0(VALU_DEP_2)
	v_and_b32_e32 v39, 7, v43
; %bb.167:                              ;   in Loop: Header=BB257_10 Depth=1
	s_wait_alu 0xfffe
	s_or_b32 exec_lo, exec_lo, s35
	v_lshlrev_b32_e32 v1, 8, v41
	v_lshl_add_u32 v41, v42, 10, 0x2000
	v_lshlrev_b32_e32 v39, 23, v39
	s_delay_alu instid0(VALU_DEP_2) | instskip(NEXT) | instid1(VALU_DEP_1)
	v_and_or_b32 v1, 0x8000, v1, v41
	v_lshl_or_b32 v39, v1, 16, v39
.LBB257_168:                            ;   in Loop: Header=BB257_10 Depth=1
	s_wait_alu 0xfffe
	s_or_b32 exec_lo, exec_lo, s34
.LBB257_169:                            ;   in Loop: Header=BB257_10 Depth=1
	s_delay_alu instid0(SALU_CYCLE_1)
	s_or_b32 exec_lo, exec_lo, s33
.LBB257_170:                            ;   in Loop: Header=BB257_10 Depth=1
	s_wait_alu 0xfffe
	s_or_b32 exec_lo, exec_lo, s5
	global_load_u16 v1, v[7:8], off offset:640
	s_wait_loadcnt 0x0
	v_dual_mov_b32 v41, 0 :: v_dual_and_b32 v42, 0xff, v1
	v_and_b32_e32 v1, 0xffff, v1
	s_delay_alu instid0(VALU_DEP_2)
	v_cmp_ne_u16_e64 s4, 0, v42
	v_mov_b32_e32 v42, 0
	s_and_saveexec_b32 s5, s4
	s_cbranch_execz .LBB257_178
; %bb.171:                              ;   in Loop: Header=BB257_10 Depth=1
	v_and_b32_e32 v42, 0xff, v1
	s_delay_alu instid0(VALU_DEP_1)
	v_cmp_ne_u16_e64 s4, 0x80, v42
	v_mov_b32_e32 v42, 0x8000
	s_and_saveexec_b32 s33, s4
	s_cbranch_execz .LBB257_177
; %bb.172:                              ;   in Loop: Header=BB257_10 Depth=1
	v_and_b32_e32 v44, 0x7f, v1
	v_mov_b32_e32 v42, 0x7c01
	s_mov_b32 s34, exec_lo
	s_delay_alu instid0(VALU_DEP_2)
	v_cmpx_ne_u32_e32 0x7f, v44
	s_cbranch_execz .LBB257_176
; %bb.173:                              ;   in Loop: Header=BB257_10 Depth=1
	v_and_b32_e32 v42, 7, v1
	v_lshrrev_b32_e32 v43, 3, v44
	s_mov_b32 s35, exec_lo
	v_cmpx_gt_u32_e32 8, v44
; %bb.174:                              ;   in Loop: Header=BB257_10 Depth=1
	s_delay_alu instid0(VALU_DEP_3) | instskip(NEXT) | instid1(VALU_DEP_1)
	v_clz_i32_u32_e32 v42, v42
	v_min_u32_e32 v44, 32, v42
	s_delay_alu instid0(VALU_DEP_1) | instskip(NEXT) | instid1(VALU_DEP_1)
	v_subrev_nc_u32_e32 v42, 28, v44
	v_lshlrev_b64_e32 v[42:43], v42, v[1:2]
	v_sub_nc_u32_e32 v43, 29, v44
	s_delay_alu instid0(VALU_DEP_2)
	v_and_b32_e32 v42, 7, v42
; %bb.175:                              ;   in Loop: Header=BB257_10 Depth=1
	s_wait_alu 0xfffe
	s_or_b32 exec_lo, exec_lo, s35
	v_lshlrev_b32_e32 v44, 8, v1
	v_lshl_add_u32 v43, v43, 10, 0x2000
	v_lshlrev_b32_e32 v42, 7, v42
	s_delay_alu instid0(VALU_DEP_3) | instskip(NEXT) | instid1(VALU_DEP_3)
	v_and_b32_e32 v44, 0x8000, v44
	v_and_b32_e32 v43, 0xfc00, v43
	s_delay_alu instid0(VALU_DEP_1)
	v_or3_b32 v42, v44, v43, v42
.LBB257_176:                            ;   in Loop: Header=BB257_10 Depth=1
	s_wait_alu 0xfffe
	s_or_b32 exec_lo, exec_lo, s34
.LBB257_177:                            ;   in Loop: Header=BB257_10 Depth=1
	s_delay_alu instid0(SALU_CYCLE_1)
	s_or_b32 exec_lo, exec_lo, s33
.LBB257_178:                            ;   in Loop: Header=BB257_10 Depth=1
	s_wait_alu 0xfffe
	s_or_b32 exec_lo, exec_lo, s5
	v_lshrrev_b16 v1, 8, v1
	s_mov_b32 s5, exec_lo
	s_delay_alu instid0(VALU_DEP_1)
	v_cmpx_ne_u16_e32 0, v1
	s_cbranch_execz .LBB257_186
; %bb.179:                              ;   in Loop: Header=BB257_10 Depth=1
	v_bfrev_b32_e32 v41, 1
	s_mov_b32 s33, exec_lo
	v_cmpx_ne_u16_e32 0x80, v1
	s_cbranch_execz .LBB257_185
; %bb.180:                              ;   in Loop: Header=BB257_10 Depth=1
	v_and_b32_e32 v43, 0xffff, v1
	v_mov_b32_e32 v41, 0x7c010000
	s_mov_b32 s34, exec_lo
	s_delay_alu instid0(VALU_DEP_2) | instskip(NEXT) | instid1(VALU_DEP_1)
	v_and_b32_e32 v45, 0x7f, v43
	v_cmpx_ne_u32_e32 0x7f, v45
	s_cbranch_execz .LBB257_184
; %bb.181:                              ;   in Loop: Header=BB257_10 Depth=1
	v_and_b32_e32 v41, 7, v43
	v_lshrrev_b32_e32 v44, 3, v45
	s_mov_b32 s35, exec_lo
	v_cmpx_gt_u32_e32 8, v45
; %bb.182:                              ;   in Loop: Header=BB257_10 Depth=1
	s_delay_alu instid0(VALU_DEP_3) | instskip(NEXT) | instid1(VALU_DEP_1)
	v_clz_i32_u32_e32 v41, v41
	v_min_u32_e32 v41, 32, v41
	s_delay_alu instid0(VALU_DEP_1) | instskip(NEXT) | instid1(VALU_DEP_1)
	v_subrev_nc_u32_e32 v44, 28, v41
	v_lshlrev_b64_e32 v[45:46], v44, v[1:2]
	v_sub_nc_u32_e32 v44, 29, v41
	s_delay_alu instid0(VALU_DEP_2)
	v_and_b32_e32 v41, 7, v45
; %bb.183:                              ;   in Loop: Header=BB257_10 Depth=1
	s_wait_alu 0xfffe
	s_or_b32 exec_lo, exec_lo, s35
	v_lshlrev_b32_e32 v1, 8, v43
	v_lshl_add_u32 v43, v44, 10, 0x2000
	v_lshlrev_b32_e32 v41, 23, v41
	s_delay_alu instid0(VALU_DEP_2) | instskip(NEXT) | instid1(VALU_DEP_1)
	v_and_or_b32 v1, 0x8000, v1, v43
	v_lshl_or_b32 v41, v1, 16, v41
.LBB257_184:                            ;   in Loop: Header=BB257_10 Depth=1
	s_wait_alu 0xfffe
	s_or_b32 exec_lo, exec_lo, s34
.LBB257_185:                            ;   in Loop: Header=BB257_10 Depth=1
	s_delay_alu instid0(SALU_CYCLE_1)
	s_or_b32 exec_lo, exec_lo, s33
.LBB257_186:                            ;   in Loop: Header=BB257_10 Depth=1
	s_wait_alu 0xfffe
	s_or_b32 exec_lo, exec_lo, s5
	global_load_u16 v1, v[7:8], off offset:648
	s_wait_loadcnt 0x0
	v_dual_mov_b32 v43, 0 :: v_dual_and_b32 v44, 0xff, v1
	v_and_b32_e32 v1, 0xffff, v1
	s_delay_alu instid0(VALU_DEP_2)
	v_cmp_ne_u16_e64 s4, 0, v44
	v_mov_b32_e32 v44, 0
	s_and_saveexec_b32 s5, s4
	s_cbranch_execz .LBB257_194
; %bb.187:                              ;   in Loop: Header=BB257_10 Depth=1
	v_and_b32_e32 v44, 0xff, v1
	s_delay_alu instid0(VALU_DEP_1)
	v_cmp_ne_u16_e64 s4, 0x80, v44
	v_mov_b32_e32 v44, 0x8000
	s_and_saveexec_b32 s33, s4
	s_cbranch_execz .LBB257_193
; %bb.188:                              ;   in Loop: Header=BB257_10 Depth=1
	v_and_b32_e32 v46, 0x7f, v1
	v_mov_b32_e32 v44, 0x7c01
	s_mov_b32 s34, exec_lo
	s_delay_alu instid0(VALU_DEP_2)
	v_cmpx_ne_u32_e32 0x7f, v46
	s_cbranch_execz .LBB257_192
; %bb.189:                              ;   in Loop: Header=BB257_10 Depth=1
	v_and_b32_e32 v44, 7, v1
	v_lshrrev_b32_e32 v45, 3, v46
	s_mov_b32 s35, exec_lo
	v_cmpx_gt_u32_e32 8, v46
; %bb.190:                              ;   in Loop: Header=BB257_10 Depth=1
	s_delay_alu instid0(VALU_DEP_3) | instskip(NEXT) | instid1(VALU_DEP_1)
	v_clz_i32_u32_e32 v44, v44
	v_min_u32_e32 v46, 32, v44
	s_delay_alu instid0(VALU_DEP_1) | instskip(NEXT) | instid1(VALU_DEP_1)
	v_subrev_nc_u32_e32 v44, 28, v46
	v_lshlrev_b64_e32 v[44:45], v44, v[1:2]
	v_sub_nc_u32_e32 v45, 29, v46
	s_delay_alu instid0(VALU_DEP_2)
	v_and_b32_e32 v44, 7, v44
; %bb.191:                              ;   in Loop: Header=BB257_10 Depth=1
	s_wait_alu 0xfffe
	s_or_b32 exec_lo, exec_lo, s35
	v_lshlrev_b32_e32 v46, 8, v1
	v_lshl_add_u32 v45, v45, 10, 0x2000
	v_lshlrev_b32_e32 v44, 7, v44
	s_delay_alu instid0(VALU_DEP_3) | instskip(NEXT) | instid1(VALU_DEP_3)
	v_and_b32_e32 v46, 0x8000, v46
	v_and_b32_e32 v45, 0xfc00, v45
	s_delay_alu instid0(VALU_DEP_1)
	v_or3_b32 v44, v46, v45, v44
.LBB257_192:                            ;   in Loop: Header=BB257_10 Depth=1
	s_wait_alu 0xfffe
	s_or_b32 exec_lo, exec_lo, s34
.LBB257_193:                            ;   in Loop: Header=BB257_10 Depth=1
	s_delay_alu instid0(SALU_CYCLE_1)
	s_or_b32 exec_lo, exec_lo, s33
.LBB257_194:                            ;   in Loop: Header=BB257_10 Depth=1
	s_wait_alu 0xfffe
	s_or_b32 exec_lo, exec_lo, s5
	v_lshrrev_b16 v1, 8, v1
	s_mov_b32 s5, exec_lo
	s_delay_alu instid0(VALU_DEP_1)
	v_cmpx_ne_u16_e32 0, v1
	s_cbranch_execz .LBB257_202
; %bb.195:                              ;   in Loop: Header=BB257_10 Depth=1
	v_bfrev_b32_e32 v43, 1
	s_mov_b32 s33, exec_lo
	v_cmpx_ne_u16_e32 0x80, v1
	s_cbranch_execz .LBB257_201
; %bb.196:                              ;   in Loop: Header=BB257_10 Depth=1
	v_and_b32_e32 v45, 0xffff, v1
	v_mov_b32_e32 v43, 0x7c010000
	s_mov_b32 s34, exec_lo
	s_delay_alu instid0(VALU_DEP_2) | instskip(NEXT) | instid1(VALU_DEP_1)
	v_and_b32_e32 v47, 0x7f, v45
	v_cmpx_ne_u32_e32 0x7f, v47
	s_cbranch_execz .LBB257_200
; %bb.197:                              ;   in Loop: Header=BB257_10 Depth=1
	v_and_b32_e32 v43, 7, v45
	v_lshrrev_b32_e32 v46, 3, v47
	s_mov_b32 s35, exec_lo
	v_cmpx_gt_u32_e32 8, v47
; %bb.198:                              ;   in Loop: Header=BB257_10 Depth=1
	s_delay_alu instid0(VALU_DEP_3) | instskip(NEXT) | instid1(VALU_DEP_1)
	v_clz_i32_u32_e32 v43, v43
	v_min_u32_e32 v43, 32, v43
	s_delay_alu instid0(VALU_DEP_1) | instskip(NEXT) | instid1(VALU_DEP_1)
	v_subrev_nc_u32_e32 v46, 28, v43
	v_lshlrev_b64_e32 v[47:48], v46, v[1:2]
	v_sub_nc_u32_e32 v46, 29, v43
	s_delay_alu instid0(VALU_DEP_2)
	v_and_b32_e32 v43, 7, v47
; %bb.199:                              ;   in Loop: Header=BB257_10 Depth=1
	s_wait_alu 0xfffe
	s_or_b32 exec_lo, exec_lo, s35
	v_lshlrev_b32_e32 v1, 8, v45
	v_lshl_add_u32 v45, v46, 10, 0x2000
	v_lshlrev_b32_e32 v43, 23, v43
	s_delay_alu instid0(VALU_DEP_2) | instskip(NEXT) | instid1(VALU_DEP_1)
	v_and_or_b32 v1, 0x8000, v1, v45
	v_lshl_or_b32 v43, v1, 16, v43
.LBB257_200:                            ;   in Loop: Header=BB257_10 Depth=1
	s_wait_alu 0xfffe
	s_or_b32 exec_lo, exec_lo, s34
.LBB257_201:                            ;   in Loop: Header=BB257_10 Depth=1
	s_delay_alu instid0(SALU_CYCLE_1)
	s_or_b32 exec_lo, exec_lo, s33
.LBB257_202:                            ;   in Loop: Header=BB257_10 Depth=1
	s_wait_alu 0xfffe
	s_or_b32 exec_lo, exec_lo, s5
	global_load_u16 v1, v[7:8], off offset:768
	s_wait_loadcnt 0x0
	v_dual_mov_b32 v45, 0 :: v_dual_and_b32 v46, 0xff, v1
	v_and_b32_e32 v1, 0xffff, v1
	s_delay_alu instid0(VALU_DEP_2)
	v_cmp_ne_u16_e64 s4, 0, v46
	v_mov_b32_e32 v46, 0
	s_and_saveexec_b32 s5, s4
	s_cbranch_execz .LBB257_210
; %bb.203:                              ;   in Loop: Header=BB257_10 Depth=1
	v_and_b32_e32 v46, 0xff, v1
	s_delay_alu instid0(VALU_DEP_1)
	v_cmp_ne_u16_e64 s4, 0x80, v46
	v_mov_b32_e32 v46, 0x8000
	s_and_saveexec_b32 s33, s4
	s_cbranch_execz .LBB257_209
; %bb.204:                              ;   in Loop: Header=BB257_10 Depth=1
	v_and_b32_e32 v48, 0x7f, v1
	v_mov_b32_e32 v46, 0x7c01
	s_mov_b32 s34, exec_lo
	s_delay_alu instid0(VALU_DEP_2)
	v_cmpx_ne_u32_e32 0x7f, v48
	s_cbranch_execz .LBB257_208
; %bb.205:                              ;   in Loop: Header=BB257_10 Depth=1
	v_and_b32_e32 v46, 7, v1
	v_lshrrev_b32_e32 v47, 3, v48
	s_mov_b32 s35, exec_lo
	v_cmpx_gt_u32_e32 8, v48
; %bb.206:                              ;   in Loop: Header=BB257_10 Depth=1
	s_delay_alu instid0(VALU_DEP_3) | instskip(NEXT) | instid1(VALU_DEP_1)
	v_clz_i32_u32_e32 v46, v46
	v_min_u32_e32 v48, 32, v46
	s_delay_alu instid0(VALU_DEP_1) | instskip(NEXT) | instid1(VALU_DEP_1)
	v_subrev_nc_u32_e32 v46, 28, v48
	v_lshlrev_b64_e32 v[46:47], v46, v[1:2]
	v_sub_nc_u32_e32 v47, 29, v48
	s_delay_alu instid0(VALU_DEP_2)
	v_and_b32_e32 v46, 7, v46
; %bb.207:                              ;   in Loop: Header=BB257_10 Depth=1
	s_wait_alu 0xfffe
	s_or_b32 exec_lo, exec_lo, s35
	v_lshlrev_b32_e32 v48, 8, v1
	v_lshl_add_u32 v47, v47, 10, 0x2000
	v_lshlrev_b32_e32 v46, 7, v46
	s_delay_alu instid0(VALU_DEP_3) | instskip(NEXT) | instid1(VALU_DEP_3)
	v_and_b32_e32 v48, 0x8000, v48
	v_and_b32_e32 v47, 0xfc00, v47
	s_delay_alu instid0(VALU_DEP_1)
	v_or3_b32 v46, v48, v47, v46
.LBB257_208:                            ;   in Loop: Header=BB257_10 Depth=1
	s_wait_alu 0xfffe
	s_or_b32 exec_lo, exec_lo, s34
.LBB257_209:                            ;   in Loop: Header=BB257_10 Depth=1
	s_delay_alu instid0(SALU_CYCLE_1)
	s_or_b32 exec_lo, exec_lo, s33
.LBB257_210:                            ;   in Loop: Header=BB257_10 Depth=1
	s_wait_alu 0xfffe
	s_or_b32 exec_lo, exec_lo, s5
	v_lshrrev_b16 v1, 8, v1
	s_mov_b32 s5, exec_lo
	s_delay_alu instid0(VALU_DEP_1)
	v_cmpx_ne_u16_e32 0, v1
	s_cbranch_execz .LBB257_218
; %bb.211:                              ;   in Loop: Header=BB257_10 Depth=1
	v_bfrev_b32_e32 v45, 1
	s_mov_b32 s33, exec_lo
	v_cmpx_ne_u16_e32 0x80, v1
	s_cbranch_execz .LBB257_217
; %bb.212:                              ;   in Loop: Header=BB257_10 Depth=1
	v_and_b32_e32 v47, 0xffff, v1
	v_mov_b32_e32 v45, 0x7c010000
	s_mov_b32 s34, exec_lo
	s_delay_alu instid0(VALU_DEP_2) | instskip(NEXT) | instid1(VALU_DEP_1)
	v_and_b32_e32 v49, 0x7f, v47
	v_cmpx_ne_u32_e32 0x7f, v49
	s_cbranch_execz .LBB257_216
; %bb.213:                              ;   in Loop: Header=BB257_10 Depth=1
	v_and_b32_e32 v45, 7, v47
	v_lshrrev_b32_e32 v48, 3, v49
	s_mov_b32 s35, exec_lo
	v_cmpx_gt_u32_e32 8, v49
; %bb.214:                              ;   in Loop: Header=BB257_10 Depth=1
	s_delay_alu instid0(VALU_DEP_3) | instskip(NEXT) | instid1(VALU_DEP_1)
	v_clz_i32_u32_e32 v45, v45
	v_min_u32_e32 v45, 32, v45
	s_delay_alu instid0(VALU_DEP_1) | instskip(NEXT) | instid1(VALU_DEP_1)
	v_subrev_nc_u32_e32 v48, 28, v45
	v_lshlrev_b64_e32 v[49:50], v48, v[1:2]
	v_sub_nc_u32_e32 v48, 29, v45
	s_delay_alu instid0(VALU_DEP_2)
	v_and_b32_e32 v45, 7, v49
; %bb.215:                              ;   in Loop: Header=BB257_10 Depth=1
	s_wait_alu 0xfffe
	s_or_b32 exec_lo, exec_lo, s35
	v_lshlrev_b32_e32 v1, 8, v47
	v_lshl_add_u32 v47, v48, 10, 0x2000
	v_lshlrev_b32_e32 v45, 23, v45
	s_delay_alu instid0(VALU_DEP_2) | instskip(NEXT) | instid1(VALU_DEP_1)
	v_and_or_b32 v1, 0x8000, v1, v47
	v_lshl_or_b32 v45, v1, 16, v45
.LBB257_216:                            ;   in Loop: Header=BB257_10 Depth=1
	s_wait_alu 0xfffe
	s_or_b32 exec_lo, exec_lo, s34
.LBB257_217:                            ;   in Loop: Header=BB257_10 Depth=1
	s_delay_alu instid0(SALU_CYCLE_1)
	s_or_b32 exec_lo, exec_lo, s33
.LBB257_218:                            ;   in Loop: Header=BB257_10 Depth=1
	s_wait_alu 0xfffe
	s_or_b32 exec_lo, exec_lo, s5
	global_load_u16 v1, v[7:8], off offset:776
	s_wait_loadcnt 0x0
	v_dual_mov_b32 v47, 0 :: v_dual_and_b32 v48, 0xff, v1
	v_and_b32_e32 v1, 0xffff, v1
	s_delay_alu instid0(VALU_DEP_2)
	v_cmp_ne_u16_e64 s4, 0, v48
	v_mov_b32_e32 v48, 0
	s_and_saveexec_b32 s5, s4
	s_cbranch_execz .LBB257_226
; %bb.219:                              ;   in Loop: Header=BB257_10 Depth=1
	v_and_b32_e32 v48, 0xff, v1
	s_delay_alu instid0(VALU_DEP_1)
	v_cmp_ne_u16_e64 s4, 0x80, v48
	v_mov_b32_e32 v48, 0x8000
	s_and_saveexec_b32 s33, s4
	s_cbranch_execz .LBB257_225
; %bb.220:                              ;   in Loop: Header=BB257_10 Depth=1
	v_and_b32_e32 v50, 0x7f, v1
	v_mov_b32_e32 v48, 0x7c01
	s_mov_b32 s34, exec_lo
	s_delay_alu instid0(VALU_DEP_2)
	v_cmpx_ne_u32_e32 0x7f, v50
	s_cbranch_execz .LBB257_224
; %bb.221:                              ;   in Loop: Header=BB257_10 Depth=1
	v_and_b32_e32 v48, 7, v1
	v_lshrrev_b32_e32 v49, 3, v50
	s_mov_b32 s35, exec_lo
	v_cmpx_gt_u32_e32 8, v50
; %bb.222:                              ;   in Loop: Header=BB257_10 Depth=1
	s_delay_alu instid0(VALU_DEP_3) | instskip(NEXT) | instid1(VALU_DEP_1)
	v_clz_i32_u32_e32 v48, v48
	v_min_u32_e32 v50, 32, v48
	s_delay_alu instid0(VALU_DEP_1) | instskip(NEXT) | instid1(VALU_DEP_1)
	v_subrev_nc_u32_e32 v48, 28, v50
	v_lshlrev_b64_e32 v[48:49], v48, v[1:2]
	v_sub_nc_u32_e32 v49, 29, v50
	s_delay_alu instid0(VALU_DEP_2)
	v_and_b32_e32 v48, 7, v48
; %bb.223:                              ;   in Loop: Header=BB257_10 Depth=1
	s_wait_alu 0xfffe
	s_or_b32 exec_lo, exec_lo, s35
	v_lshlrev_b32_e32 v50, 8, v1
	v_lshl_add_u32 v49, v49, 10, 0x2000
	v_lshlrev_b32_e32 v48, 7, v48
	s_delay_alu instid0(VALU_DEP_3) | instskip(NEXT) | instid1(VALU_DEP_3)
	v_and_b32_e32 v50, 0x8000, v50
	v_and_b32_e32 v49, 0xfc00, v49
	s_delay_alu instid0(VALU_DEP_1)
	v_or3_b32 v48, v50, v49, v48
.LBB257_224:                            ;   in Loop: Header=BB257_10 Depth=1
	s_wait_alu 0xfffe
	s_or_b32 exec_lo, exec_lo, s34
.LBB257_225:                            ;   in Loop: Header=BB257_10 Depth=1
	s_delay_alu instid0(SALU_CYCLE_1)
	s_or_b32 exec_lo, exec_lo, s33
.LBB257_226:                            ;   in Loop: Header=BB257_10 Depth=1
	s_wait_alu 0xfffe
	s_or_b32 exec_lo, exec_lo, s5
	v_lshrrev_b16 v1, 8, v1
	s_mov_b32 s5, exec_lo
	s_delay_alu instid0(VALU_DEP_1)
	v_cmpx_ne_u16_e32 0, v1
	s_cbranch_execz .LBB257_234
; %bb.227:                              ;   in Loop: Header=BB257_10 Depth=1
	v_bfrev_b32_e32 v47, 1
	s_mov_b32 s33, exec_lo
	v_cmpx_ne_u16_e32 0x80, v1
	s_cbranch_execz .LBB257_233
; %bb.228:                              ;   in Loop: Header=BB257_10 Depth=1
	v_and_b32_e32 v49, 0xffff, v1
	v_mov_b32_e32 v47, 0x7c010000
	s_mov_b32 s34, exec_lo
	s_delay_alu instid0(VALU_DEP_2) | instskip(NEXT) | instid1(VALU_DEP_1)
	v_and_b32_e32 v51, 0x7f, v49
	v_cmpx_ne_u32_e32 0x7f, v51
	s_cbranch_execz .LBB257_232
; %bb.229:                              ;   in Loop: Header=BB257_10 Depth=1
	v_and_b32_e32 v47, 7, v49
	v_lshrrev_b32_e32 v50, 3, v51
	s_mov_b32 s35, exec_lo
	v_cmpx_gt_u32_e32 8, v51
; %bb.230:                              ;   in Loop: Header=BB257_10 Depth=1
	s_delay_alu instid0(VALU_DEP_3) | instskip(NEXT) | instid1(VALU_DEP_1)
	v_clz_i32_u32_e32 v47, v47
	v_min_u32_e32 v47, 32, v47
	s_delay_alu instid0(VALU_DEP_1) | instskip(NEXT) | instid1(VALU_DEP_1)
	v_subrev_nc_u32_e32 v50, 28, v47
	v_lshlrev_b64_e32 v[51:52], v50, v[1:2]
	v_sub_nc_u32_e32 v50, 29, v47
	s_delay_alu instid0(VALU_DEP_2)
	v_and_b32_e32 v47, 7, v51
; %bb.231:                              ;   in Loop: Header=BB257_10 Depth=1
	s_wait_alu 0xfffe
	s_or_b32 exec_lo, exec_lo, s35
	v_lshlrev_b32_e32 v1, 8, v49
	v_lshl_add_u32 v49, v50, 10, 0x2000
	v_lshlrev_b32_e32 v47, 23, v47
	s_delay_alu instid0(VALU_DEP_2) | instskip(NEXT) | instid1(VALU_DEP_1)
	v_and_or_b32 v1, 0x8000, v1, v49
	v_lshl_or_b32 v47, v1, 16, v47
.LBB257_232:                            ;   in Loop: Header=BB257_10 Depth=1
	s_wait_alu 0xfffe
	s_or_b32 exec_lo, exec_lo, s34
.LBB257_233:                            ;   in Loop: Header=BB257_10 Depth=1
	s_delay_alu instid0(SALU_CYCLE_1)
	s_or_b32 exec_lo, exec_lo, s33
.LBB257_234:                            ;   in Loop: Header=BB257_10 Depth=1
	s_wait_alu 0xfffe
	s_or_b32 exec_lo, exec_lo, s5
	global_load_u16 v1, v[7:8], off offset:896
	s_wait_loadcnt 0x0
	v_dual_mov_b32 v7, 0 :: v_dual_and_b32 v8, 0xff, v1
	v_and_b32_e32 v1, 0xffff, v1
	s_delay_alu instid0(VALU_DEP_2)
	v_cmp_ne_u16_e64 s4, 0, v8
	v_mov_b32_e32 v8, 0
	s_and_saveexec_b32 s5, s4
	s_cbranch_execz .LBB257_242
; %bb.235:                              ;   in Loop: Header=BB257_10 Depth=1
	v_and_b32_e32 v8, 0xff, v1
	s_delay_alu instid0(VALU_DEP_1)
	v_cmp_ne_u16_e64 s4, 0x80, v8
	v_mov_b32_e32 v8, 0x8000
	s_and_saveexec_b32 s33, s4
	s_cbranch_execz .LBB257_241
; %bb.236:                              ;   in Loop: Header=BB257_10 Depth=1
	v_and_b32_e32 v50, 0x7f, v1
	v_mov_b32_e32 v8, 0x7c01
	s_mov_b32 s34, exec_lo
	s_delay_alu instid0(VALU_DEP_2)
	v_cmpx_ne_u32_e32 0x7f, v50
	s_cbranch_execz .LBB257_240
; %bb.237:                              ;   in Loop: Header=BB257_10 Depth=1
	v_and_b32_e32 v8, 7, v1
	v_lshrrev_b32_e32 v49, 3, v50
	s_mov_b32 s35, exec_lo
	v_cmpx_gt_u32_e32 8, v50
; %bb.238:                              ;   in Loop: Header=BB257_10 Depth=1
	s_delay_alu instid0(VALU_DEP_3) | instskip(NEXT) | instid1(VALU_DEP_1)
	v_clz_i32_u32_e32 v8, v8
	v_min_u32_e32 v8, 32, v8
	s_delay_alu instid0(VALU_DEP_1) | instskip(NEXT) | instid1(VALU_DEP_1)
	v_subrev_nc_u32_e32 v49, 28, v8
	v_lshlrev_b64_e32 v[50:51], v49, v[1:2]
	v_sub_nc_u32_e32 v49, 29, v8
	s_delay_alu instid0(VALU_DEP_2)
	v_and_b32_e32 v8, 7, v50
; %bb.239:                              ;   in Loop: Header=BB257_10 Depth=1
	s_wait_alu 0xfffe
	s_or_b32 exec_lo, exec_lo, s35
	v_lshlrev_b32_e32 v50, 8, v1
	v_lshl_add_u32 v49, v49, 10, 0x2000
	v_lshlrev_b32_e32 v8, 7, v8
	s_delay_alu instid0(VALU_DEP_3) | instskip(NEXT) | instid1(VALU_DEP_3)
	v_and_b32_e32 v50, 0x8000, v50
	v_and_b32_e32 v49, 0xfc00, v49
	s_delay_alu instid0(VALU_DEP_1)
	v_or3_b32 v8, v50, v49, v8
.LBB257_240:                            ;   in Loop: Header=BB257_10 Depth=1
	s_wait_alu 0xfffe
	s_or_b32 exec_lo, exec_lo, s34
.LBB257_241:                            ;   in Loop: Header=BB257_10 Depth=1
	s_delay_alu instid0(SALU_CYCLE_1)
	s_or_b32 exec_lo, exec_lo, s33
.LBB257_242:                            ;   in Loop: Header=BB257_10 Depth=1
	s_wait_alu 0xfffe
	s_or_b32 exec_lo, exec_lo, s5
	v_lshrrev_b16 v1, 8, v1
	s_mov_b32 s5, exec_lo
	s_delay_alu instid0(VALU_DEP_1)
	v_cmpx_ne_u16_e32 0, v1
	s_cbranch_execz .LBB257_250
; %bb.243:                              ;   in Loop: Header=BB257_10 Depth=1
	v_bfrev_b32_e32 v7, 1
	s_mov_b32 s33, exec_lo
	v_cmpx_ne_u16_e32 0x80, v1
	s_cbranch_execz .LBB257_249
; %bb.244:                              ;   in Loop: Header=BB257_10 Depth=1
	v_and_b32_e32 v49, 0xffff, v1
	v_mov_b32_e32 v7, 0x7c010000
	s_mov_b32 s34, exec_lo
	s_delay_alu instid0(VALU_DEP_2) | instskip(NEXT) | instid1(VALU_DEP_1)
	v_and_b32_e32 v51, 0x7f, v49
	v_cmpx_ne_u32_e32 0x7f, v51
	s_cbranch_execz .LBB257_248
; %bb.245:                              ;   in Loop: Header=BB257_10 Depth=1
	v_and_b32_e32 v7, 7, v49
	v_lshrrev_b32_e32 v50, 3, v51
	s_mov_b32 s35, exec_lo
	v_cmpx_gt_u32_e32 8, v51
; %bb.246:                              ;   in Loop: Header=BB257_10 Depth=1
	s_delay_alu instid0(VALU_DEP_3) | instskip(NEXT) | instid1(VALU_DEP_1)
	v_clz_i32_u32_e32 v7, v7
	v_min_u32_e32 v7, 32, v7
	s_delay_alu instid0(VALU_DEP_1) | instskip(NEXT) | instid1(VALU_DEP_1)
	v_subrev_nc_u32_e32 v50, 28, v7
	v_lshlrev_b64_e32 v[51:52], v50, v[1:2]
	v_sub_nc_u32_e32 v50, 29, v7
	s_delay_alu instid0(VALU_DEP_2)
	v_and_b32_e32 v7, 7, v51
; %bb.247:                              ;   in Loop: Header=BB257_10 Depth=1
	s_wait_alu 0xfffe
	s_or_b32 exec_lo, exec_lo, s35
	v_lshlrev_b32_e32 v1, 8, v49
	v_lshl_add_u32 v49, v50, 10, 0x2000
	v_lshlrev_b32_e32 v7, 23, v7
	s_delay_alu instid0(VALU_DEP_2) | instskip(NEXT) | instid1(VALU_DEP_1)
	v_and_or_b32 v1, 0x8000, v1, v49
	v_lshl_or_b32 v7, v1, 16, v7
.LBB257_248:                            ;   in Loop: Header=BB257_10 Depth=1
	s_wait_alu 0xfffe
	s_or_b32 exec_lo, exec_lo, s34
.LBB257_249:                            ;   in Loop: Header=BB257_10 Depth=1
	s_delay_alu instid0(SALU_CYCLE_1)
	s_or_b32 exec_lo, exec_lo, s33
.LBB257_250:                            ;   in Loop: Header=BB257_10 Depth=1
	s_wait_alu 0xfffe
	s_or_b32 exec_lo, exec_lo, s5
	ds_load_b32 v1, v16
	v_or_b32_e32 v22, v21, v22
	v_fma_mixlo_f16 v21, v20, v21, 0 op_sel:[0,1,0] op_sel_hi:[0,1,0]
	v_or_b32_e32 v24, v23, v24
	v_fma_mixlo_f16 v23, v20, v23, 0 op_sel:[0,1,0] op_sel_hi:[0,1,0]
	v_or_b32_e32 v26, v25, v26
	v_fma_mixlo_f16 v22, v20, v22, 0 op_sel_hi:[0,1,0]
	v_and_b32_e32 v51, 0xffff, v21
	v_fma_mixlo_f16 v24, v20, v24, 0 op_sel_hi:[0,1,0]
	v_and_b32_e32 v53, 0xffff, v23
	;; [unrolled: 2-line block ×3, first 2 shown]
	v_fma_mixlo_f16 v25, v20, v25, 0 op_sel:[0,1,0] op_sel_hi:[0,1,0]
	v_or_b32_e32 v28, v27, v28
	v_fma_mixlo_f16 v27, v20, v27, 0 op_sel:[0,1,0] op_sel_hi:[0,1,0]
	v_and_b32_e32 v54, 0xffff, v26
	v_or_b32_e32 v30, v29, v30
	v_and_b32_e32 v55, 0xffff, v25
	v_fma_mixlo_f16 v28, v20, v28, 0 op_sel_hi:[0,1,0]
	v_and_b32_e32 v57, 0xffff, v27
	s_wait_dscnt 0x0
	v_and_b32_e32 v49, 0xffff, v1
	v_lshrrev_b32_e32 v50, 16, v1
	;;#ASMSTART
	v_cvt_f32_f16 v1, v49;
	;;#ASMEND
	;;#ASMSTART
	v_cvt_f32_f16 v21, v50;
	;;#ASMEND
	;; [unrolled: 3-line block ×4, first 2 shown]
	ds_load_b32 v50, v16 offset:4
	v_fma_mixlo_f16 v30, v20, v30, 0 op_sel_hi:[0,1,0]
	v_fma_mixlo_f16 v29, v20, v29, 0 op_sel:[0,1,0] op_sel_hi:[0,1,0]
	v_or_b32_e32 v32, v31, v32
	v_fma_mixlo_f16 v31, v20, v31, 0 op_sel:[0,1,0] op_sel_hi:[0,1,0]
	v_or_b32_e32 v34, v33, v34
	v_and_b32_e32 v58, 0xffff, v30
	v_and_b32_e32 v59, 0xffff, v29
	v_fma_mixlo_f16 v32, v20, v32, 0 op_sel_hi:[0,1,0]
	v_and_b32_e32 v61, 0xffff, v31
	v_fma_mixlo_f16 v34, v20, v34, 0 op_sel_hi:[0,1,0]
	v_fma_mixlo_f16 v33, v20, v33, 0 op_sel:[0,1,0] op_sel_hi:[0,1,0]
	v_or_b32_e32 v36, v35, v36
	v_fma_mixlo_f16 v35, v20, v35, 0 op_sel:[0,1,0] op_sel_hi:[0,1,0]
	v_or_b32_e32 v38, v37, v38
	v_and_b32_e32 v62, 0xffff, v34
	v_and_b32_e32 v63, 0xffff, v33
	v_fma_mixlo_f16 v36, v20, v36, 0 op_sel_hi:[0,1,0]
	v_and_b32_e32 v65, 0xffff, v35
	v_fma_mixlo_f16 v38, v20, v38, 0 op_sel_hi:[0,1,0]
	s_wait_dscnt 0x0
	v_and_b32_e32 v51, 0xffff, v50
	v_lshrrev_b32_e32 v50, 16, v50
	;;#ASMSTART
	v_cvt_f32_f16 v23, v51;
	;;#ASMEND
	v_and_b32_e32 v52, 0xffff, v24
	;;#ASMSTART
	v_cvt_f32_f16 v24, v50;
	;;#ASMEND
	;;#ASMSTART
	v_cvt_f32_f16 v50, v52;
	;;#ASMEND
	;; [unrolled: 3-line block ×3, first 2 shown]
	ds_load_b32 v52, v16 offset:8
	v_dual_mul_f32 v24, v24, v51 :: v_dual_mul_f32 v23, v23, v50
	v_and_b32_e32 v56, 0xffff, v28
	v_fma_mixlo_f16 v37, v20, v37, 0 op_sel:[0,1,0] op_sel_hi:[0,1,0]
	v_and_b32_e32 v66, 0xffff, v38
	s_delay_alu instid0(VALU_DEP_4)
	v_fmac_f32_e32 v24, v21, v49
	v_fmac_f32_e32 v23, v1, v22
	v_or_b32_e32 v40, v39, v40
	v_and_b32_e32 v67, 0xffff, v37
	v_fma_mixlo_f16 v39, v20, v39, 0 op_sel:[0,1,0] op_sel_hi:[0,1,0]
	v_or_b32_e32 v42, v41, v42
	v_fma_mixlo_f16 v41, v20, v41, 0 op_sel:[0,1,0] op_sel_hi:[0,1,0]
	v_fma_mixlo_f16 v40, v20, v40, 0 op_sel_hi:[0,1,0]
	v_or_b32_e32 v44, v43, v44
	v_and_b32_e32 v69, 0xffff, v39
	v_fma_mixlo_f16 v42, v20, v42, 0 op_sel_hi:[0,1,0]
	v_and_b32_e32 v71, 0xffff, v41
	v_fma_mixlo_f16 v43, v20, v43, 0 op_sel:[0,1,0] op_sel_hi:[0,1,0]
	v_fma_mixlo_f16 v44, v20, v44, 0 op_sel_hi:[0,1,0]
	s_wait_dscnt 0x0
	v_and_b32_e32 v53, 0xffff, v52
	v_lshrrev_b32_e32 v52, 16, v52
	;;#ASMSTART
	v_cvt_f32_f16 v25, v53;
	;;#ASMEND
	;;#ASMSTART
	v_cvt_f32_f16 v26, v52;
	;;#ASMEND
	;; [unrolled: 3-line block ×4, first 2 shown]
	ds_load_b32 v54, v16 offset:12
	v_dual_fmac_f32 v23, v25, v52 :: v_dual_and_b32 v70, 0xffff, v42
	v_dual_fmac_f32 v24, v26, v53 :: v_dual_and_b32 v73, 0xffff, v43
	v_or_b32_e32 v46, v45, v46
	v_fma_mixlo_f16 v45, v20, v45, 0 op_sel:[0,1,0] op_sel_hi:[0,1,0]
	v_or_b32_e32 v8, v7, v8
	v_fma_mixlo_f16 v7, v20, v7, 0 op_sel:[0,1,0] op_sel_hi:[0,1,0]
	s_delay_alu instid0(VALU_DEP_4) | instskip(NEXT) | instid1(VALU_DEP_4)
	v_fma_mixlo_f16 v1, v20, v46, 0 op_sel_hi:[0,1,0]
	v_and_b32_e32 v45, 0xffff, v45
	s_delay_alu instid0(VALU_DEP_4) | instskip(NEXT) | instid1(VALU_DEP_3)
	v_fma_mixlo_f16 v8, v20, v8, 0 op_sel_hi:[0,1,0]
	v_and_b32_e32 v25, 0xffff, v1
	s_wait_dscnt 0x0
	v_and_b32_e32 v55, 0xffff, v54
	v_lshrrev_b32_e32 v54, 16, v54
	;;#ASMSTART
	v_cvt_f32_f16 v27, v55;
	;;#ASMEND
	;;#ASMSTART
	v_cvt_f32_f16 v28, v54;
	;;#ASMEND
	;; [unrolled: 3-line block ×4, first 2 shown]
	ds_load_b32 v56, v16 offset:16
	v_dual_fmac_f32 v23, v27, v54 :: v_dual_and_b32 v60, 0xffff, v32
	v_fmac_f32_e32 v24, v28, v55
	v_or_b32_e32 v27, v47, v48
	v_fma_mixlo_f16 v28, v20, v47, 0 op_sel:[0,1,0] op_sel_hi:[0,1,0]
	s_delay_alu instid0(VALU_DEP_2)
	v_fma_mixlo_f16 v27, v20, v27, 0 op_sel_hi:[0,1,0]
	s_wait_dscnt 0x0
	v_and_b32_e32 v57, 0xffff, v56
	v_lshrrev_b32_e32 v56, 16, v56
	;;#ASMSTART
	v_cvt_f32_f16 v29, v57;
	;;#ASMEND
	;;#ASMSTART
	v_cvt_f32_f16 v30, v56;
	;;#ASMEND
	;; [unrolled: 3-line block ×4, first 2 shown]
	ds_load_b32 v58, v16 offset:20
	v_dual_fmac_f32 v23, v29, v56 :: v_dual_fmac_f32 v24, v30, v57
	v_and_b32_e32 v29, 0xffff, v28
	s_wait_dscnt 0x0
	v_and_b32_e32 v59, 0xffff, v58
	v_lshrrev_b32_e32 v58, 16, v58
	;;#ASMSTART
	v_cvt_f32_f16 v31, v59;
	;;#ASMEND
	;;#ASMSTART
	v_cvt_f32_f16 v32, v58;
	;;#ASMEND
	;; [unrolled: 3-line block ×4, first 2 shown]
	ds_load_b32 v60, v16 offset:24
	v_dual_fmac_f32 v23, v31, v58 :: v_dual_and_b32 v64, 0xffff, v36
	v_fmac_f32_e32 v24, v32, v59
	v_and_b32_e32 v31, 0xffff, v27
	v_and_b32_e32 v32, 0xffff, v7
	s_wait_dscnt 0x0
	v_and_b32_e32 v61, 0xffff, v60
	v_lshrrev_b32_e32 v60, 16, v60
	;;#ASMSTART
	v_cvt_f32_f16 v33, v61;
	;;#ASMEND
	;;#ASMSTART
	v_cvt_f32_f16 v34, v60;
	;;#ASMEND
	;; [unrolled: 3-line block ×4, first 2 shown]
	ds_load_b32 v62, v16 offset:28
	v_dual_fmac_f32 v23, v33, v60 :: v_dual_fmac_f32 v24, v34, v61
	s_wait_dscnt 0x0
	v_and_b32_e32 v63, 0xffff, v62
	v_lshrrev_b32_e32 v62, 16, v62
	;;#ASMSTART
	v_cvt_f32_f16 v35, v63;
	;;#ASMEND
	;;#ASMSTART
	v_cvt_f32_f16 v36, v62;
	;;#ASMEND
	;; [unrolled: 3-line block ×4, first 2 shown]
	ds_load_b32 v64, v16 offset:32
	v_dual_fmac_f32 v23, v35, v62 :: v_dual_and_b32 v68, 0xffff, v40
	s_wait_dscnt 0x0
	v_dual_fmac_f32 v24, v36, v63 :: v_dual_and_b32 v65, 0xffff, v64
	v_lshrrev_b32_e32 v64, 16, v64
	;;#ASMSTART
	v_cvt_f32_f16 v37, v65;
	;;#ASMEND
	;;#ASMSTART
	v_cvt_f32_f16 v38, v64;
	;;#ASMEND
	;; [unrolled: 3-line block ×4, first 2 shown]
	ds_load_b32 v66, v16 offset:36
	v_dual_fmac_f32 v23, v37, v64 :: v_dual_fmac_f32 v24, v38, v65
	s_wait_dscnt 0x0
	v_and_b32_e32 v67, 0xffff, v66
	v_lshrrev_b32_e32 v66, 16, v66
	;;#ASMSTART
	v_cvt_f32_f16 v39, v67;
	;;#ASMEND
	;;#ASMSTART
	v_cvt_f32_f16 v40, v66;
	;;#ASMEND
	;; [unrolled: 3-line block ×4, first 2 shown]
	ds_load_b32 v68, v16 offset:40
	v_dual_fmac_f32 v23, v39, v66 :: v_dual_and_b32 v72, 0xffff, v44
	s_wait_dscnt 0x0
	v_dual_fmac_f32 v24, v40, v67 :: v_dual_and_b32 v69, 0xffff, v68
	v_lshrrev_b32_e32 v68, 16, v68
	;;#ASMSTART
	v_cvt_f32_f16 v41, v69;
	;;#ASMEND
	;;#ASMSTART
	v_cvt_f32_f16 v42, v68;
	;;#ASMEND
	;; [unrolled: 3-line block ×4, first 2 shown]
	ds_load_b32 v70, v16 offset:44
	v_dual_fmac_f32 v23, v41, v68 :: v_dual_fmac_f32 v24, v42, v69
	s_wait_dscnt 0x0
	v_and_b32_e32 v71, 0xffff, v70
	v_lshrrev_b32_e32 v70, 16, v70
	;;#ASMSTART
	v_cvt_f32_f16 v43, v71;
	;;#ASMEND
	;;#ASMSTART
	v_cvt_f32_f16 v44, v70;
	;;#ASMEND
	;; [unrolled: 3-line block ×4, first 2 shown]
	ds_load_b32 v72, v16 offset:48
	v_dual_fmac_f32 v23, v43, v70 :: v_dual_fmac_f32 v24, v44, v71
	s_wait_dscnt 0x0
	v_and_b32_e32 v21, 0xffff, v72
	v_lshrrev_b32_e32 v22, 16, v72
	;;#ASMSTART
	v_cvt_f32_f16 v1, v21;
	;;#ASMEND
	;;#ASMSTART
	v_cvt_f32_f16 v21, v22;
	;;#ASMEND
	;; [unrolled: 3-line block ×4, first 2 shown]
	ds_load_b32 v26, v16 offset:52
	v_fmac_f32_e32 v23, v1, v22
	v_dual_fmac_f32 v24, v21, v25 :: v_dual_and_b32 v21, 0xffff, v8
	s_wait_dscnt 0x0
	v_and_b32_e32 v28, 0xffff, v26
	v_lshrrev_b32_e32 v30, 16, v26
	;;#ASMSTART
	v_cvt_f32_f16 v26, v28;
	;;#ASMEND
	;;#ASMSTART
	v_cvt_f32_f16 v27, v30;
	;;#ASMEND
	;;#ASMSTART
	v_cvt_f32_f16 v28, v31;
	;;#ASMEND
	;;#ASMSTART
	v_cvt_f32_f16 v29, v29;
	;;#ASMEND
	ds_load_b32 v30, v16 offset:56
	v_xor_b32_e32 v31, 2, v15
	v_dual_fmac_f32 v23, v26, v28 :: v_dual_fmac_f32 v24, v27, v29
	s_delay_alu instid0(VALU_DEP_2) | instskip(SKIP_1) | instid1(VALU_DEP_1)
	v_cmp_gt_i32_e64 s4, 32, v31
	s_wait_alu 0xf1ff
	v_cndmask_b32_e64 v7, v15, v31, s4
	s_wait_dscnt 0x0
	v_and_b32_e32 v1, 0xffff, v30
	v_lshrrev_b32_e32 v20, 16, v30
	;;#ASMSTART
	v_cvt_f32_f16 v1, v1;
	;;#ASMEND
	;;#ASMSTART
	v_cvt_f32_f16 v8, v20;
	;;#ASMEND
	;; [unrolled: 3-line block ×4, first 2 shown]
	v_dual_fmac_f32 v23, v1, v20 :: v_dual_fmac_f32 v24, v8, v21
	v_lshlrev_b32_e32 v1, 2, v7
	v_xor_b32_e32 v8, 1, v15
	s_delay_alu instid0(VALU_DEP_3) | instskip(NEXT) | instid1(VALU_DEP_2)
	v_add_f32_e32 v7, v23, v24
	v_cmp_gt_i32_e64 s4, 32, v8
	ds_bpermute_b32 v1, v1, v7
	s_wait_alu 0xf1ff
	v_cndmask_b32_e64 v8, v15, v8, s4
	s_wait_dscnt 0x0
	v_add_f32_e32 v1, v7, v1
	s_delay_alu instid0(VALU_DEP_2)
	v_lshlrev_b32_e32 v7, 2, v8
	ds_bpermute_b32 v7, v7, v1
	s_and_saveexec_b32 s5, vcc_lo
	s_cbranch_execz .LBB257_9
; %bb.251:                              ;   in Loop: Header=BB257_10 Depth=1
	s_wait_dscnt 0x0
	v_dual_add_f32 v1, v1, v7 :: v_dual_add_nc_u32 v8, s25, v17
	v_cmp_gt_i32_e64 s4, s27, v17
	s_delay_alu instid0(VALU_DEP_2) | instskip(NEXT) | instid1(VALU_DEP_1)
	v_cvt_f32_i32_e32 v8, v8
	v_mul_f32_e32 v8, s6, v8
	s_delay_alu instid0(VALU_DEP_1) | instskip(SKIP_1) | instid1(VALU_DEP_2)
	v_cndmask_b32_e64 v7, 0, v8, s3
	v_max_num_f32_e32 v8, v13, v13
	v_fmac_f32_e32 v7, s7, v1
	s_delay_alu instid0(VALU_DEP_1) | instskip(SKIP_2) | instid1(VALU_DEP_2)
	v_max_num_f32_e32 v1, v8, v7
	s_wait_alu 0xf1ff
	v_cndmask_b32_e64 v7, 0, v7, s4
	v_cndmask_b32_e64 v13, v13, v1, s4
	ds_store_b32 v18, v7
	s_branch .LBB257_9
.LBB257_252:
	s_or_b32 exec_lo, exec_lo, s14
.LBB257_253:
	s_delay_alu instid0(SALU_CYCLE_1)
	s_or_b32 exec_lo, exec_lo, s24
	v_xor_b32_e32 v1, 16, v15
	v_xor_b32_e32 v4, 8, v15
	v_xor_b32_e32 v6, 4, v15
	s_load_b128 s[4:7], s[0:1], 0x0
	s_wait_kmcnt 0x0
	s_clause 0x1
	s_load_b64 s[8:9], s[0:1], 0x10
	s_load_b64 s[24:25], s[0:1], 0x28
	v_cmp_lt_i32_e32 vcc_lo, v1, v14
	v_cndmask_b32_e32 v1, v15, v1, vcc_lo
	v_cmp_lt_i32_e32 vcc_lo, v4, v14
	s_wait_alu 0xfffd
	v_dual_max_num_f32 v5, v13, v13 :: v_dual_cndmask_b32 v4, v15, v4
	v_cmp_lt_i32_e32 vcc_lo, v6, v14
	s_delay_alu instid0(VALU_DEP_2)
	v_lshlrev_b32_e32 v4, 2, v4
	s_wait_alu 0xfffd
	v_dual_cndmask_b32 v6, v15, v6 :: v_dual_lshlrev_b32 v3, 2, v1
	ds_bpermute_b32 v1, v3, v13
	s_wait_dscnt 0x1
	v_lshlrev_b32_e32 v7, 2, v6
	v_and_b32_e32 v13, 31, v0
	s_delay_alu instid0(VALU_DEP_1) | instskip(SKIP_2) | instid1(VALU_DEP_1)
	v_cmp_eq_u32_e32 vcc_lo, 0, v13
	s_wait_dscnt 0x0
	v_max_num_f32_e32 v1, v1, v1
	v_max_num_f32_e32 v1, v5, v1
	ds_bpermute_b32 v5, v4, v1
	s_wait_dscnt 0x0
	v_max_num_f32_e32 v5, v5, v5
	s_delay_alu instid0(VALU_DEP_1)
	v_max_num_f32_e32 v1, v1, v5
	v_lshlrev_b32_e32 v5, 2, v11
	ds_bpermute_b32 v6, v7, v1
	s_and_saveexec_b32 s0, vcc_lo
	s_cbranch_execz .LBB257_255
; %bb.254:
	s_wait_dscnt 0x0
	v_dual_max_num_f32 v6, v6, v6 :: v_dual_max_num_f32 v1, v1, v1
	s_delay_alu instid0(VALU_DEP_1)
	v_max_num_f32_e32 v1, v1, v6
	ds_store_b32 v5, v1 offset:240
.LBB257_255:
	s_or_b32 exec_lo, exec_lo, s0
	v_cmp_gt_u32_e64 s0, 4, v13
	s_wait_dscnt 0x0
	v_dual_mov_b32 v1, 0xff7fffff :: v_dual_lshlrev_b32 v6, 2, v13
	s_wait_loadcnt 0x0
	s_barrier_signal -1
	s_barrier_wait -1
	global_inv scope:SCOPE_SE
	s_and_saveexec_b32 s1, s0
; %bb.256:
	ds_load_b32 v1, v6 offset:240
; %bb.257:
	s_or_b32 exec_lo, exec_lo, s1
	v_xor_b32_e32 v8, 2, v15
	v_xor_b32_e32 v17, 1, v15
	v_lshlrev_b32_e32 v2, 2, v2
	s_delay_alu instid0(VALU_DEP_3) | instskip(NEXT) | instid1(VALU_DEP_1)
	v_cmp_lt_i32_e64 s1, v8, v14
	v_cndmask_b32_e64 v8, v15, v8, s1
	s_delay_alu instid0(VALU_DEP_4) | instskip(NEXT) | instid1(VALU_DEP_2)
	v_cmp_lt_i32_e64 s1, v17, v14
	v_lshlrev_b32_e32 v8, 2, v8
	s_wait_alu 0xf1ff
	s_delay_alu instid0(VALU_DEP_2)
	v_cndmask_b32_e64 v14, v15, v17, s1
	s_sub_co_i32 s1, s17, s31
	s_wait_alu 0xfffe
	s_lshl_b32 s1, s1, 3
	s_wait_dscnt 0x0
	ds_bpermute_b32 v16, v8, v1
	v_max_num_f32_e32 v1, v1, v1
	s_wait_alu 0xfffe
	s_add_co_i32 s1, s1, s28
	s_wait_alu 0xfffe
	s_min_i32 s1, s1, s27
	s_wait_alu 0xfffe
	s_sub_co_i32 s14, s1, s28
	s_delay_alu instid0(SALU_CYCLE_1) | instskip(SKIP_2) | instid1(VALU_DEP_1)
	v_cmp_gt_i32_e64 s1, s14, v0
	s_wait_dscnt 0x0
	v_dual_max_num_f32 v17, v16, v16 :: v_dual_lshlrev_b32 v16, 2, v14
	v_max_num_f32_e32 v1, v1, v17
	ds_bpermute_b32 v14, v16, v1
	s_wait_dscnt 0x0
	v_max_num_f32_e32 v14, v14, v14
	s_delay_alu instid0(VALU_DEP_1)
	v_max_num_f32_e32 v1, v1, v14
	v_lshl_add_u32 v14, v0, 2, 0x110
	ds_bpermute_b32 v1, v2, v1
	v_mov_b32_e32 v2, 0
	s_and_saveexec_b32 s23, s1
	s_cbranch_execz .LBB257_261
; %bb.258:
	v_lshl_add_u32 v17, v0, 2, 0x110
	v_mov_b32_e32 v2, 0
	v_mov_b32_e32 v18, v0
	s_mov_b32 s31, 0
.LBB257_259:                            ; =>This Inner Loop Header: Depth=1
	ds_load_b32 v19, v17
	v_add_nc_u32_e32 v18, 0x80, v18
	s_delay_alu instid0(VALU_DEP_1) | instskip(SKIP_4) | instid1(VALU_DEP_1)
	v_cmp_le_i32_e64 s3, s14, v18
	s_wait_alu 0xfffe
	s_or_b32 s31, s3, s31
	s_wait_dscnt 0x0
	v_sub_f32_e32 v19, v19, v1
	v_mul_f32_e32 v19, 0x3fb8aa3b, v19
	s_delay_alu instid0(VALU_DEP_1)
	v_exp_f32_e32 v19, v19
	ds_store_b32 v17, v19
	v_dual_add_f32 v2, v2, v19 :: v_dual_add_nc_u32 v17, 0x200, v17
	s_wait_alu 0xfffe
	s_and_not1_b32 exec_lo, exec_lo, s31
	s_cbranch_execnz .LBB257_259
; %bb.260:
	s_or_b32 exec_lo, exec_lo, s31
.LBB257_261:
	s_wait_alu 0xfffe
	s_or_b32 exec_lo, exec_lo, s23
	ds_bpermute_b32 v3, v3, v2
	s_wait_dscnt 0x0
	v_add_f32_e32 v2, v2, v3
	ds_bpermute_b32 v3, v4, v2
	s_wait_dscnt 0x0
	v_add_f32_e32 v2, v2, v3
	;; [unrolled: 3-line block ×5, first 2 shown]
	s_and_saveexec_b32 s3, vcc_lo
; %bb.262:
	ds_store_b32 v5, v2 offset:256
; %bb.263:
	s_wait_alu 0xfffe
	s_or_b32 exec_lo, exec_lo, s3
	s_wait_loadcnt_dscnt 0x0
	s_barrier_signal -1
	s_barrier_wait -1
	global_inv scope:SCOPE_SE
	s_and_saveexec_b32 s3, s0
; %bb.264:
	ds_load_b32 v2, v6 offset:256
; %bb.265:
	s_wait_alu 0xfffe
	s_or_b32 exec_lo, exec_lo, s3
	s_wait_dscnt 0x0
	ds_bpermute_b32 v3, v8, v2
	v_lshlrev_b32_e32 v4, 2, v15
	s_wait_dscnt 0x0
	v_add_f32_e32 v2, v2, v3
	ds_bpermute_b32 v3, v16, v2
	s_wait_dscnt 0x0
	v_dual_add_f32 v2, v2, v3 :: v_dual_and_b32 v3, 0xffffff80, v4
	ds_bpermute_b32 v2, v3, v2
	s_and_saveexec_b32 s0, s1
	s_cbranch_execz .LBB257_268
; %bb.266:
	s_wait_dscnt 0x0
	v_add_f32_e32 v4, 0x358637bd, v2
	s_mov_b32 s1, 0
	s_delay_alu instid0(VALU_DEP_1) | instskip(NEXT) | instid1(VALU_DEP_1)
	v_div_scale_f32 v3, null, v4, v4, 1.0
	v_rcp_f32_e32 v5, v3
	s_delay_alu instid0(TRANS32_DEP_1) | instskip(NEXT) | instid1(VALU_DEP_1)
	v_fma_f32 v6, -v3, v5, 1.0
	v_fmac_f32_e32 v5, v6, v5
	v_div_scale_f32 v7, vcc_lo, 1.0, v4, 1.0
	s_delay_alu instid0(VALU_DEP_1) | instskip(NEXT) | instid1(VALU_DEP_1)
	v_mul_f32_e32 v6, v7, v5
	v_fma_f32 v8, -v3, v6, v7
	s_delay_alu instid0(VALU_DEP_1) | instskip(NEXT) | instid1(VALU_DEP_1)
	v_fmac_f32_e32 v6, v8, v5
	v_fma_f32 v3, -v3, v6, v7
	s_wait_alu 0xfffd
	s_delay_alu instid0(VALU_DEP_1) | instskip(SKIP_1) | instid1(VALU_DEP_2)
	v_div_fmas_f32 v5, v3, v5, v6
	v_mov_b32_e32 v3, v14
	v_div_fixup_f32 v4, v5, v4, 1.0
	v_mov_b32_e32 v5, v0
.LBB257_267:                            ; =>This Inner Loop Header: Depth=1
	ds_load_b32 v6, v3
	s_wait_dscnt 0x0
	v_dual_mul_f32 v6, v4, v6 :: v_dual_add_nc_u32 v5, 0x80, v5
	s_delay_alu instid0(VALU_DEP_1)
	v_cmp_le_i32_e32 vcc_lo, s14, v5
	ds_store_b32 v3, v6
	v_add_nc_u32_e32 v3, 0x200, v3
	s_wait_alu 0xfffe
	s_or_b32 s1, vcc_lo, s1
	s_wait_alu 0xfffe
	s_and_not1_b32 exec_lo, exec_lo, s1
	s_cbranch_execnz .LBB257_267
.LBB257_268:
	s_wait_alu 0xfffe
	s_or_b32 exec_lo, exec_lo, s0
	s_mul_i32 s0, s12, s15
	s_wait_loadcnt_dscnt 0x0
	s_wait_alu 0xfffe
	s_mul_i32 s14, s0, s29
	s_mov_b32 s0, exec_lo
	s_barrier_signal -1
	s_barrier_wait -1
	global_inv scope:SCOPE_SE
	v_cmpx_eq_u32_e32 0, v0
	s_cbranch_execz .LBB257_270
; %bb.269:
	s_wait_alu 0xfffe
	s_ashr_i32 s15, s14, 31
	s_mul_i32 s34, s12, ttmp9
	s_lshl_b32 s1, s26, 2
	s_wait_alu 0xfffe
	s_lshl_b64 s[36:37], s[14:15], 2
	s_ashr_i32 s35, s34, 31
	v_mov_b32_e32 v3, s1
	s_add_nc_u64 s[6:7], s[6:7], s[36:37]
	s_wait_alu 0xfffe
	s_lshl_b64 s[34:35], s[34:35], 2
	s_add_nc_u64 s[4:5], s[4:5], s[36:37]
	s_wait_alu 0xfffe
	s_add_nc_u64 s[6:7], s[6:7], s[34:35]
	s_add_nc_u64 s[4:5], s[4:5], s[34:35]
	s_clause 0x1
	global_store_b32 v3, v1, s[6:7]
	global_store_b32 v3, v2, s[4:5]
.LBB257_270:
	s_wait_alu 0xfffe
	s_or_b32 exec_lo, exec_lo, s0
	v_dual_mov_b32 v18, 0 :: v_dual_mov_b32 v17, 0
	v_dual_mov_b32 v16, 0 :: v_dual_mov_b32 v15, 0
	s_and_saveexec_b32 s6, s2
	s_cbranch_execz .LBB257_540
; %bb.271:
	s_lshl_b64 s[0:1], s[18:19], 2
	v_or_b32_e32 v1, 0x60, v13
	s_wait_alu 0xfffe
	s_add_nc_u64 s[0:1], s[20:21], s[0:1]
	v_dual_mov_b32 v2, 0 :: v_dual_lshlrev_b32 v19, 3, v13
	s_wait_alu 0xfffe
	v_add_co_u32 v3, s0, s0, v9
	v_dual_mov_b32 v15, 0 :: v_dual_lshlrev_b32 v20, 3, v1
	v_add3_u32 v21, s28, v10, 7
	v_lshl_add_u32 v22, v11, 5, 0x110
	s_wait_alu 0xf1ff
	v_add_co_ci_u32_e64 v4, null, s1, 0, s0
	v_dual_mov_b32 v16, 0 :: v_dual_mov_b32 v17, 0
	v_mov_b32_e32 v18, 0
	s_ashr_i32 s23, s22, 31
	s_mov_b32 s4, -1
	s_mov_b32 s7, s13
	s_wait_kmcnt 0x0
	s_wait_alu 0xfffe
	s_add_nc_u64 s[2:3], s[24:25], s[22:23]
	s_mov_b32 s5, 0xffffff
	s_add_co_i32 s30, s30, -1
	s_mov_b32 s13, 0
	v_cmp_gt_u32_e32 vcc_lo, 0x78, v1
	s_branch .LBB257_274
.LBB257_272:                            ;   in Loop: Header=BB257_274 Depth=1
	s_wait_alu 0xfffe
	s_or_b32 exec_lo, exec_lo, s1
	;;#ASMSTART
	v_pk_mul_f16 v1, v29, v37;

	;;#ASMEND
	;;#ASMSTART
	v_pk_mul_f16 v5, v28, v36;

	;;#ASMEND
	;;#ASMSTART
	v_pk_mul_f16 v6, v27, v35;

	;;#ASMEND
	;;#ASMSTART
	v_pk_mul_f16 v23, v26, v34;

	;;#ASMEND
	;;#ASMSTART
	v_pk_add_f16 v1, v1, v5;

	;;#ASMEND
	;;#ASMSTART
	v_pk_add_f16 v1, v1, v6;

	;;#ASMEND
	;; [unrolled: 4-line block ×3, first 2 shown]
	v_and_b32_e32 v5, 0xffff, v1
	v_lshrrev_b32_e32 v6, 16, v1
	;;#ASMSTART
	v_cvt_f32_f16 v1, v5;
	;;#ASMEND
	;;#ASMSTART
	v_cvt_f32_f16 v5, v6;
	;;#ASMEND
	s_delay_alu instid0(VALU_DEP_2) | instskip(NEXT) | instid1(VALU_DEP_1)
	v_add_f32_e32 v1, v1, v5
	v_add_f32_e32 v15, v15, v1
.LBB257_273:                            ;   in Loop: Header=BB257_274 Depth=1
	s_wait_alu 0xfffe
	s_or_b32 exec_lo, exec_lo, s15
	v_dual_add_f32 v5, v9, v10 :: v_dual_add_nc_u32 v12, 4, v12
	v_dual_add_f32 v1, v7, v8 :: v_dual_add_f32 v6, v24, v25
	v_add_co_u32 v3, s1, v3, 16
	s_delay_alu instid0(VALU_DEP_3) | instskip(NEXT) | instid1(VALU_DEP_3)
	v_cmp_le_i32_e64 s0, s17, v12
	v_add_f32_e32 v16, v16, v1
	s_delay_alu instid0(VALU_DEP_4)
	v_dual_add_f32 v17, v17, v5 :: v_dual_add_f32 v18, v18, v6
	v_add_nc_u32_e32 v21, 32, v21
	v_add_nc_u32_e32 v22, 0x80, v22
	s_wait_alu 0xf1ff
	v_add_co_ci_u32_e64 v4, null, 0, v4, s1
	s_or_b32 s13, s0, s13
	s_delay_alu instid0(SALU_CYCLE_1)
	s_and_not1_b32 exec_lo, exec_lo, s13
	s_cbranch_execz .LBB257_539
.LBB257_274:                            ; =>This Inner Loop Header: Depth=1
	global_load_b32 v1, v[3:4], off
	ds_load_2addr_b64 v[7:10], v22 offset1:1
	ds_load_2addr_b64 v[29:32], v22 offset0:2 offset1:3
	v_mov_b32_e32 v33, 0
	s_mov_b32 s1, exec_lo
	s_wait_dscnt 0x1
	;;#ASMSTART
	v_cvt_f16_f32 v27, v7;

	;;#ASMEND
	;;#ASMSTART
	v_cvt_f16_f32 v24, v8;

	;;#ASMEND
	;; [unrolled: 4-line block ×4, first 2 shown]
	s_wait_dscnt 0x0
	;;#ASMSTART
	v_cvt_f16_f32 v29, v29;

	;;#ASMEND
	;;#ASMSTART
	v_cvt_f16_f32 v26, v30;

	;;#ASMEND
	;; [unrolled: 4-line block ×4, first 2 shown]
	s_wait_loadcnt 0x0
	s_wait_alu 0xfffe
	v_mad_co_i64_i32 v[5:6], null, v1, s7, s[2:3]
	s_delay_alu instid0(VALU_DEP_1) | instskip(SKIP_1) | instid1(VALU_DEP_2)
	v_add_co_u32 v7, s0, v5, v19
	s_wait_alu 0xf1ff
	v_add_co_ci_u32_e64 v8, null, 0, v6, s0
	global_load_b64 v[9:10], v[7:8], off
	global_load_b32 v32, v2, s[10:11]
	s_wait_loadcnt 0x1
	v_and_b32_e32 v1, 0xff, v9
	s_delay_alu instid0(VALU_DEP_1)
	v_cmpx_ne_u16_e32 0, v1
	s_cbranch_execz .LBB257_282
; %bb.275:                              ;   in Loop: Header=BB257_274 Depth=1
	v_mov_b32_e32 v33, 0x8000
	s_mov_b32 s15, exec_lo
	v_cmpx_ne_u16_e32 0x80, v1
	s_cbranch_execz .LBB257_281
; %bb.276:                              ;   in Loop: Header=BB257_274 Depth=1
	v_and_b32_e32 v34, 0x7f, v9
	v_mov_b32_e32 v33, 0x7c01
	s_mov_b32 s18, exec_lo
	s_delay_alu instid0(VALU_DEP_2)
	v_cmpx_ne_u32_e32 0x7f, v34
	s_cbranch_execz .LBB257_280
; %bb.277:                              ;   in Loop: Header=BB257_274 Depth=1
	v_and_b32_e32 v1, 7, v9
	v_lshrrev_b32_e32 v23, 3, v34
	s_mov_b32 s19, exec_lo
	v_cmpx_gt_u32_e32 8, v34
; %bb.278:                              ;   in Loop: Header=BB257_274 Depth=1
	s_delay_alu instid0(VALU_DEP_3) | instskip(NEXT) | instid1(VALU_DEP_1)
	v_clz_i32_u32_e32 v1, v1
	v_min_u32_e32 v1, 32, v1
	s_delay_alu instid0(VALU_DEP_1) | instskip(NEXT) | instid1(VALU_DEP_1)
	v_subrev_nc_u32_e32 v23, 28, v1
	v_lshlrev_b64_e32 v[33:34], v23, v[9:10]
	v_sub_nc_u32_e32 v23, 29, v1
	s_delay_alu instid0(VALU_DEP_2)
	v_and_b32_e32 v1, 7, v33
; %bb.279:                              ;   in Loop: Header=BB257_274 Depth=1
	s_or_b32 exec_lo, exec_lo, s19
	v_lshlrev_b32_e32 v33, 8, v9
	s_delay_alu instid0(VALU_DEP_3) | instskip(NEXT) | instid1(VALU_DEP_3)
	v_lshl_add_u32 v23, v23, 10, 0x2000
	v_lshlrev_b32_e32 v1, 7, v1
	s_delay_alu instid0(VALU_DEP_3) | instskip(NEXT) | instid1(VALU_DEP_3)
	v_and_b32_e32 v33, 0x8000, v33
	v_and_b32_e32 v23, 0xfc00, v23
	s_delay_alu instid0(VALU_DEP_1)
	v_or3_b32 v33, v33, v23, v1
.LBB257_280:                            ;   in Loop: Header=BB257_274 Depth=1
	s_or_b32 exec_lo, exec_lo, s18
.LBB257_281:                            ;   in Loop: Header=BB257_274 Depth=1
	s_wait_alu 0xfffe
	s_or_b32 exec_lo, exec_lo, s15
.LBB257_282:                            ;   in Loop: Header=BB257_274 Depth=1
	s_delay_alu instid0(SALU_CYCLE_1) | instskip(SKIP_3) | instid1(VALU_DEP_2)
	s_or_b32 exec_lo, exec_lo, s1
	v_lshrrev_b16 v1, 8, v9
	v_dual_mov_b32 v23, 0 :: v_dual_mov_b32 v34, 0
	s_mov_b32 s1, exec_lo
	v_cmpx_ne_u16_e32 0, v1
	s_cbranch_execz .LBB257_290
; %bb.283:                              ;   in Loop: Header=BB257_274 Depth=1
	v_bfrev_b32_e32 v34, 1
	s_mov_b32 s15, exec_lo
	v_cmpx_ne_u16_e32 0x80, v1
	s_cbranch_execz .LBB257_289
; %bb.284:                              ;   in Loop: Header=BB257_274 Depth=1
	v_and_b32_e32 v35, 0xffff, v1
	v_mov_b32_e32 v34, 0x7c010000
	s_mov_b32 s18, exec_lo
	s_delay_alu instid0(VALU_DEP_2) | instskip(NEXT) | instid1(VALU_DEP_1)
	v_and_b32_e32 v37, 0x7f, v35
	v_cmpx_ne_u32_e32 0x7f, v37
	s_cbranch_execz .LBB257_288
; %bb.285:                              ;   in Loop: Header=BB257_274 Depth=1
	v_and_b32_e32 v34, 7, v35
	v_lshrrev_b32_e32 v36, 3, v37
	s_mov_b32 s19, exec_lo
	v_cmpx_gt_u32_e32 8, v37
; %bb.286:                              ;   in Loop: Header=BB257_274 Depth=1
	s_delay_alu instid0(VALU_DEP_3) | instskip(NEXT) | instid1(VALU_DEP_1)
	v_clz_i32_u32_e32 v34, v34
	v_min_u32_e32 v34, 32, v34
	s_delay_alu instid0(VALU_DEP_1) | instskip(NEXT) | instid1(VALU_DEP_1)
	v_subrev_nc_u32_e32 v36, 28, v34
	v_lshlrev_b64_e32 v[37:38], v36, v[1:2]
	v_sub_nc_u32_e32 v36, 29, v34
	s_delay_alu instid0(VALU_DEP_2)
	v_and_b32_e32 v34, 7, v37
; %bb.287:                              ;   in Loop: Header=BB257_274 Depth=1
	s_or_b32 exec_lo, exec_lo, s19
	v_lshlrev_b32_e32 v1, 8, v35
	s_delay_alu instid0(VALU_DEP_3) | instskip(NEXT) | instid1(VALU_DEP_3)
	v_lshl_add_u32 v35, v36, 10, 0x2000
	v_lshlrev_b32_e32 v34, 23, v34
	s_delay_alu instid0(VALU_DEP_2) | instskip(NEXT) | instid1(VALU_DEP_1)
	v_and_or_b32 v1, 0x8000, v1, v35
	v_lshl_or_b32 v34, v1, 16, v34
.LBB257_288:                            ;   in Loop: Header=BB257_274 Depth=1
	s_or_b32 exec_lo, exec_lo, s18
.LBB257_289:                            ;   in Loop: Header=BB257_274 Depth=1
	s_wait_alu 0xfffe
	s_or_b32 exec_lo, exec_lo, s15
.LBB257_290:                            ;   in Loop: Header=BB257_274 Depth=1
	s_wait_alu 0xfffe
	s_or_b32 exec_lo, exec_lo, s1
	v_lshrrev_b32_e32 v1, 16, v9
	s_mov_b32 s1, exec_lo
	s_delay_alu instid0(VALU_DEP_1) | instskip(NEXT) | instid1(VALU_DEP_1)
	v_and_b32_e32 v35, 0xff, v1
	v_cmpx_ne_u16_e32 0, v35
	s_cbranch_execz .LBB257_298
; %bb.291:                              ;   in Loop: Header=BB257_274 Depth=1
	v_mov_b32_e32 v23, 0x8000
	s_mov_b32 s15, exec_lo
	v_cmpx_ne_u16_e32 0x80, v35
	s_cbranch_execz .LBB257_297
; %bb.292:                              ;   in Loop: Header=BB257_274 Depth=1
	v_bfe_u32 v36, v9, 16, 7
	v_mov_b32_e32 v23, 0x7c01
	s_mov_b32 s18, exec_lo
	s_delay_alu instid0(VALU_DEP_2)
	v_cmpx_ne_u32_e32 0x7f, v36
	s_cbranch_execz .LBB257_296
; %bb.293:                              ;   in Loop: Header=BB257_274 Depth=1
	v_and_b32_e32 v23, 7, v1
	v_lshrrev_b32_e32 v35, 3, v36
	s_mov_b32 s19, exec_lo
	v_cmpx_gt_u32_e32 8, v36
; %bb.294:                              ;   in Loop: Header=BB257_274 Depth=1
	s_delay_alu instid0(VALU_DEP_3) | instskip(NEXT) | instid1(VALU_DEP_1)
	v_clz_i32_u32_e32 v23, v23
	v_min_u32_e32 v23, 32, v23
	s_delay_alu instid0(VALU_DEP_1) | instskip(NEXT) | instid1(VALU_DEP_1)
	v_subrev_nc_u32_e32 v35, 28, v23
	v_lshlrev_b64_e32 v[36:37], v35, v[1:2]
	v_sub_nc_u32_e32 v35, 29, v23
	s_delay_alu instid0(VALU_DEP_2)
	v_and_b32_e32 v23, 7, v36
; %bb.295:                              ;   in Loop: Header=BB257_274 Depth=1
	s_or_b32 exec_lo, exec_lo, s19
	v_lshlrev_b32_e32 v1, 8, v1
	s_delay_alu instid0(VALU_DEP_3) | instskip(NEXT) | instid1(VALU_DEP_3)
	v_lshl_add_u32 v35, v35, 10, 0x2000
	v_lshlrev_b32_e32 v23, 7, v23
	s_delay_alu instid0(VALU_DEP_3) | instskip(NEXT) | instid1(VALU_DEP_3)
	v_and_b32_e32 v1, 0x8000, v1
	v_and_b32_e32 v35, 0xfc00, v35
	s_delay_alu instid0(VALU_DEP_1)
	v_or3_b32 v23, v1, v35, v23
.LBB257_296:                            ;   in Loop: Header=BB257_274 Depth=1
	s_or_b32 exec_lo, exec_lo, s18
.LBB257_297:                            ;   in Loop: Header=BB257_274 Depth=1
	s_wait_alu 0xfffe
	s_or_b32 exec_lo, exec_lo, s15
.LBB257_298:                            ;   in Loop: Header=BB257_274 Depth=1
	s_wait_alu 0xfffe
	s_or_b32 exec_lo, exec_lo, s1
	v_dual_mov_b32 v35, 0 :: v_dual_mov_b32 v36, 0
	s_mov_b32 s1, exec_lo
	v_cmpx_lt_u32_e32 0xffffff, v9
	s_cbranch_execz .LBB257_306
; %bb.299:                              ;   in Loop: Header=BB257_274 Depth=1
	v_lshrrev_b32_e32 v1, 24, v9
	v_bfrev_b32_e32 v36, 1
	s_mov_b32 s15, exec_lo
	s_delay_alu instid0(VALU_DEP_2)
	v_cmpx_ne_u32_e32 0x80, v1
	s_cbranch_execz .LBB257_305
; %bb.300:                              ;   in Loop: Header=BB257_274 Depth=1
	v_and_b32_e32 v38, 0x7f, v1
	v_mov_b32_e32 v36, 0x7c010000
	s_mov_b32 s18, exec_lo
	s_delay_alu instid0(VALU_DEP_2)
	v_cmpx_ne_u32_e32 0x7f, v38
	s_cbranch_execz .LBB257_304
; %bb.301:                              ;   in Loop: Header=BB257_274 Depth=1
	v_and_b32_e32 v36, 7, v1
	v_lshrrev_b32_e32 v37, 3, v38
	s_mov_b32 s19, exec_lo
	v_cmpx_gt_u32_e32 8, v38
; %bb.302:                              ;   in Loop: Header=BB257_274 Depth=1
	s_delay_alu instid0(VALU_DEP_3) | instskip(NEXT) | instid1(VALU_DEP_1)
	v_clz_i32_u32_e32 v36, v36
	v_min_u32_e32 v38, 32, v36
	s_delay_alu instid0(VALU_DEP_1) | instskip(NEXT) | instid1(VALU_DEP_1)
	v_subrev_nc_u32_e32 v36, 28, v38
	v_lshlrev_b64_e32 v[36:37], v36, v[1:2]
	v_sub_nc_u32_e32 v37, 29, v38
	s_delay_alu instid0(VALU_DEP_2)
	v_and_b32_e32 v36, 7, v36
; %bb.303:                              ;   in Loop: Header=BB257_274 Depth=1
	s_or_b32 exec_lo, exec_lo, s19
	v_lshlrev_b32_e32 v1, 8, v1
	s_delay_alu instid0(VALU_DEP_3) | instskip(NEXT) | instid1(VALU_DEP_3)
	v_lshl_add_u32 v37, v37, 10, 0x2000
	v_lshlrev_b32_e32 v36, 23, v36
	s_delay_alu instid0(VALU_DEP_2) | instskip(NEXT) | instid1(VALU_DEP_1)
	v_and_or_b32 v1, 0x8000, v1, v37
	v_lshl_or_b32 v36, v1, 16, v36
.LBB257_304:                            ;   in Loop: Header=BB257_274 Depth=1
	s_or_b32 exec_lo, exec_lo, s18
.LBB257_305:                            ;   in Loop: Header=BB257_274 Depth=1
	s_wait_alu 0xfffe
	s_or_b32 exec_lo, exec_lo, s15
.LBB257_306:                            ;   in Loop: Header=BB257_274 Depth=1
	s_wait_alu 0xfffe
	s_or_b32 exec_lo, exec_lo, s1
	v_and_b32_e32 v37, 0xff, v10
	v_mov_b32_e32 v1, v10
	s_mov_b32 s1, exec_lo
	s_delay_alu instid0(VALU_DEP_2)
	v_cmpx_ne_u16_e32 0, v37
	s_cbranch_execz .LBB257_314
; %bb.307:                              ;   in Loop: Header=BB257_274 Depth=1
	v_mov_b32_e32 v35, 0x8000
	s_mov_b32 s15, exec_lo
	v_cmpx_ne_u16_e32 0x80, v37
	s_cbranch_execz .LBB257_313
; %bb.308:                              ;   in Loop: Header=BB257_274 Depth=1
	v_and_b32_e32 v38, 0x7f, v10
	v_mov_b32_e32 v35, 0x7c01
	s_mov_b32 s18, exec_lo
	s_delay_alu instid0(VALU_DEP_2)
	v_cmpx_ne_u32_e32 0x7f, v38
	s_cbranch_execz .LBB257_312
; %bb.309:                              ;   in Loop: Header=BB257_274 Depth=1
	v_and_b32_e32 v35, 7, v10
	v_lshrrev_b32_e32 v37, 3, v38
	s_mov_b32 s19, exec_lo
	v_cmpx_gt_u32_e32 8, v38
; %bb.310:                              ;   in Loop: Header=BB257_274 Depth=1
	s_delay_alu instid0(VALU_DEP_3) | instskip(NEXT) | instid1(VALU_DEP_1)
	v_clz_i32_u32_e32 v35, v35
	v_min_u32_e32 v35, 32, v35
	s_delay_alu instid0(VALU_DEP_1) | instskip(NEXT) | instid1(VALU_DEP_1)
	v_subrev_nc_u32_e32 v37, 28, v35
	v_lshlrev_b64_e32 v[38:39], v37, v[1:2]
	v_sub_nc_u32_e32 v37, 29, v35
	s_delay_alu instid0(VALU_DEP_2)
	v_and_b32_e32 v35, 7, v38
; %bb.311:                              ;   in Loop: Header=BB257_274 Depth=1
	s_or_b32 exec_lo, exec_lo, s19
	v_lshlrev_b32_e32 v38, 8, v10
	s_delay_alu instid0(VALU_DEP_3) | instskip(NEXT) | instid1(VALU_DEP_3)
	v_lshl_add_u32 v37, v37, 10, 0x2000
	v_lshlrev_b32_e32 v35, 7, v35
	s_delay_alu instid0(VALU_DEP_3) | instskip(NEXT) | instid1(VALU_DEP_3)
	v_and_b32_e32 v38, 0x8000, v38
	v_and_b32_e32 v37, 0xfc00, v37
	s_delay_alu instid0(VALU_DEP_1)
	v_or3_b32 v35, v38, v37, v35
.LBB257_312:                            ;   in Loop: Header=BB257_274 Depth=1
	s_or_b32 exec_lo, exec_lo, s18
.LBB257_313:                            ;   in Loop: Header=BB257_274 Depth=1
	s_wait_alu 0xfffe
	s_or_b32 exec_lo, exec_lo, s15
.LBB257_314:                            ;   in Loop: Header=BB257_274 Depth=1
	s_wait_alu 0xfffe
	s_or_b32 exec_lo, exec_lo, s1
	v_lshrrev_b16 v1, 8, v1
	v_dual_mov_b32 v38, 0 :: v_dual_mov_b32 v37, 0
	s_mov_b32 s1, exec_lo
	s_delay_alu instid0(VALU_DEP_2)
	v_cmpx_ne_u16_e32 0, v1
	s_cbranch_execz .LBB257_322
; %bb.315:                              ;   in Loop: Header=BB257_274 Depth=1
	v_bfrev_b32_e32 v37, 1
	s_mov_b32 s15, exec_lo
	v_cmpx_ne_u16_e32 0x80, v1
	s_cbranch_execz .LBB257_321
; %bb.316:                              ;   in Loop: Header=BB257_274 Depth=1
	v_and_b32_e32 v39, 0xffff, v1
	v_mov_b32_e32 v37, 0x7c010000
	s_mov_b32 s18, exec_lo
	s_delay_alu instid0(VALU_DEP_2) | instskip(NEXT) | instid1(VALU_DEP_1)
	v_and_b32_e32 v41, 0x7f, v39
	v_cmpx_ne_u32_e32 0x7f, v41
	s_cbranch_execz .LBB257_320
; %bb.317:                              ;   in Loop: Header=BB257_274 Depth=1
	v_and_b32_e32 v37, 7, v39
	v_lshrrev_b32_e32 v40, 3, v41
	s_mov_b32 s19, exec_lo
	v_cmpx_gt_u32_e32 8, v41
; %bb.318:                              ;   in Loop: Header=BB257_274 Depth=1
	s_delay_alu instid0(VALU_DEP_3) | instskip(NEXT) | instid1(VALU_DEP_1)
	v_clz_i32_u32_e32 v37, v37
	v_min_u32_e32 v37, 32, v37
	s_delay_alu instid0(VALU_DEP_1) | instskip(NEXT) | instid1(VALU_DEP_1)
	v_subrev_nc_u32_e32 v40, 28, v37
	v_lshlrev_b64_e32 v[41:42], v40, v[1:2]
	v_sub_nc_u32_e32 v40, 29, v37
	s_delay_alu instid0(VALU_DEP_2)
	v_and_b32_e32 v37, 7, v41
; %bb.319:                              ;   in Loop: Header=BB257_274 Depth=1
	s_or_b32 exec_lo, exec_lo, s19
	v_lshlrev_b32_e32 v1, 8, v39
	s_delay_alu instid0(VALU_DEP_3) | instskip(NEXT) | instid1(VALU_DEP_3)
	v_lshl_add_u32 v39, v40, 10, 0x2000
	v_lshlrev_b32_e32 v37, 23, v37
	s_delay_alu instid0(VALU_DEP_2) | instskip(NEXT) | instid1(VALU_DEP_1)
	v_and_or_b32 v1, 0x8000, v1, v39
	v_lshl_or_b32 v37, v1, 16, v37
.LBB257_320:                            ;   in Loop: Header=BB257_274 Depth=1
	s_or_b32 exec_lo, exec_lo, s18
.LBB257_321:                            ;   in Loop: Header=BB257_274 Depth=1
	s_wait_alu 0xfffe
	s_or_b32 exec_lo, exec_lo, s15
.LBB257_322:                            ;   in Loop: Header=BB257_274 Depth=1
	s_wait_alu 0xfffe
	s_or_b32 exec_lo, exec_lo, s1
	v_lshrrev_b32_e32 v1, 16, v10
	s_mov_b32 s1, exec_lo
	s_delay_alu instid0(VALU_DEP_1) | instskip(NEXT) | instid1(VALU_DEP_1)
	v_and_b32_e32 v39, 0xff, v1
	v_cmpx_ne_u16_e32 0, v39
	s_cbranch_execz .LBB257_330
; %bb.323:                              ;   in Loop: Header=BB257_274 Depth=1
	v_mov_b32_e32 v38, 0x8000
	s_mov_b32 s15, exec_lo
	v_cmpx_ne_u16_e32 0x80, v39
	s_cbranch_execz .LBB257_329
; %bb.324:                              ;   in Loop: Header=BB257_274 Depth=1
	v_bfe_u32 v40, v10, 16, 7
	v_mov_b32_e32 v38, 0x7c01
	s_mov_b32 s18, exec_lo
	s_delay_alu instid0(VALU_DEP_2)
	v_cmpx_ne_u32_e32 0x7f, v40
	s_cbranch_execz .LBB257_328
; %bb.325:                              ;   in Loop: Header=BB257_274 Depth=1
	v_and_b32_e32 v38, 7, v1
	v_lshrrev_b32_e32 v39, 3, v40
	s_mov_b32 s19, exec_lo
	v_cmpx_gt_u32_e32 8, v40
; %bb.326:                              ;   in Loop: Header=BB257_274 Depth=1
	s_delay_alu instid0(VALU_DEP_3) | instskip(NEXT) | instid1(VALU_DEP_1)
	v_clz_i32_u32_e32 v38, v38
	v_min_u32_e32 v40, 32, v38
	s_delay_alu instid0(VALU_DEP_1) | instskip(NEXT) | instid1(VALU_DEP_1)
	v_subrev_nc_u32_e32 v38, 28, v40
	v_lshlrev_b64_e32 v[38:39], v38, v[1:2]
	v_sub_nc_u32_e32 v39, 29, v40
	s_delay_alu instid0(VALU_DEP_2)
	v_and_b32_e32 v38, 7, v38
; %bb.327:                              ;   in Loop: Header=BB257_274 Depth=1
	s_or_b32 exec_lo, exec_lo, s19
	v_lshlrev_b32_e32 v1, 8, v1
	s_delay_alu instid0(VALU_DEP_3) | instskip(NEXT) | instid1(VALU_DEP_3)
	v_lshl_add_u32 v39, v39, 10, 0x2000
	v_lshlrev_b32_e32 v38, 7, v38
	s_delay_alu instid0(VALU_DEP_3) | instskip(NEXT) | instid1(VALU_DEP_3)
	v_and_b32_e32 v1, 0x8000, v1
	v_and_b32_e32 v39, 0xfc00, v39
	s_delay_alu instid0(VALU_DEP_1)
	v_or3_b32 v38, v1, v39, v38
.LBB257_328:                            ;   in Loop: Header=BB257_274 Depth=1
	s_or_b32 exec_lo, exec_lo, s18
.LBB257_329:                            ;   in Loop: Header=BB257_274 Depth=1
	s_wait_alu 0xfffe
	s_or_b32 exec_lo, exec_lo, s15
.LBB257_330:                            ;   in Loop: Header=BB257_274 Depth=1
	s_wait_alu 0xfffe
	s_or_b32 exec_lo, exec_lo, s1
	v_cmp_lt_u64_e64 s0, s[4:5], v[9:10]
	v_mov_b32_e32 v9, 0
	s_and_saveexec_b32 s1, s0
	s_cbranch_execz .LBB257_338
; %bb.331:                              ;   in Loop: Header=BB257_274 Depth=1
	v_lshrrev_b32_e32 v1, 24, v10
	v_bfrev_b32_e32 v9, 1
	s_mov_b32 s15, exec_lo
	s_delay_alu instid0(VALU_DEP_2)
	v_cmpx_ne_u32_e32 0x80, v1
	s_cbranch_execz .LBB257_337
; %bb.332:                              ;   in Loop: Header=BB257_274 Depth=1
	v_and_b32_e32 v39, 0x7f, v1
	v_mov_b32_e32 v9, 0x7c010000
	s_mov_b32 s18, exec_lo
	s_delay_alu instid0(VALU_DEP_2)
	v_cmpx_ne_u32_e32 0x7f, v39
	s_cbranch_execz .LBB257_336
; %bb.333:                              ;   in Loop: Header=BB257_274 Depth=1
	v_and_b32_e32 v9, 7, v1
	v_lshrrev_b32_e32 v10, 3, v39
	s_mov_b32 s19, exec_lo
	v_cmpx_gt_u32_e32 8, v39
; %bb.334:                              ;   in Loop: Header=BB257_274 Depth=1
	s_delay_alu instid0(VALU_DEP_3) | instskip(NEXT) | instid1(VALU_DEP_1)
	v_clz_i32_u32_e32 v9, v9
	v_min_u32_e32 v39, 32, v9
	s_delay_alu instid0(VALU_DEP_1) | instskip(NEXT) | instid1(VALU_DEP_1)
	v_subrev_nc_u32_e32 v9, 28, v39
	v_lshlrev_b64_e32 v[9:10], v9, v[1:2]
	v_sub_nc_u32_e32 v10, 29, v39
	s_delay_alu instid0(VALU_DEP_2)
	v_and_b32_e32 v9, 7, v9
; %bb.335:                              ;   in Loop: Header=BB257_274 Depth=1
	s_or_b32 exec_lo, exec_lo, s19
	v_lshlrev_b32_e32 v1, 8, v1
	s_delay_alu instid0(VALU_DEP_3) | instskip(NEXT) | instid1(VALU_DEP_3)
	v_lshl_add_u32 v10, v10, 10, 0x2000
	v_lshlrev_b32_e32 v9, 23, v9
	s_delay_alu instid0(VALU_DEP_2) | instskip(NEXT) | instid1(VALU_DEP_1)
	v_and_or_b32 v1, 0x8000, v1, v10
	v_lshl_or_b32 v9, v1, 16, v9
.LBB257_336:                            ;   in Loop: Header=BB257_274 Depth=1
	s_or_b32 exec_lo, exec_lo, s18
.LBB257_337:                            ;   in Loop: Header=BB257_274 Depth=1
	s_wait_alu 0xfffe
	s_or_b32 exec_lo, exec_lo, s15
.LBB257_338:                            ;   in Loop: Header=BB257_274 Depth=1
	s_wait_alu 0xfffe
	s_or_b32 exec_lo, exec_lo, s1
	v_or_b32_e32 v1, v36, v23
	s_wait_loadcnt 0x0
	v_fma_mixlo_f16 v10, v32, v36, 0 op_sel:[0,1,0] op_sel_hi:[0,1,0]
	v_or_b32_e32 v33, v34, v33
	v_fma_mixlo_f16 v34, v32, v34, 0 op_sel:[0,1,0] op_sel_hi:[0,1,0]
	v_or_b32_e32 v39, v37, v35
	v_fma_mixlo_f16 v36, v32, v1, 0 op_sel_hi:[0,1,0]
	v_or_b32_e32 v38, v9, v38
	v_lshlrev_b32_e32 v1, 16, v10
	v_lshlrev_b32_e32 v35, 16, v34
	v_fma_mixlo_f16 v10, v32, v33, 0 op_sel_hi:[0,1,0]
	v_and_b32_e32 v34, 0xffff, v36
	v_fma_mixlo_f16 v33, v32, v37, 0 op_sel:[0,1,0] op_sel_hi:[0,1,0]
	v_fma_mixlo_f16 v36, v32, v39, 0 op_sel_hi:[0,1,0]
	v_fma_mixlo_f16 v9, v32, v9, 0 op_sel:[0,1,0] op_sel_hi:[0,1,0]
	v_fma_mixlo_f16 v32, v32, v38, 0 op_sel_hi:[0,1,0]
	v_and_b32_e32 v40, 0xffff, v10
	v_lshlrev_b32_e32 v10, 16, v33
	v_and_b32_e32 v33, 0xffff, v36
	v_lshlrev_b32_e32 v9, 16, v9
	v_and_b32_e32 v32, 0xffff, v32
	v_add_nc_u32_e32 v23, -7, v21
	v_cmp_eq_u32_e64 s0, s30, v12
	v_or_b32_e32 v36, v1, v34
	v_or_b32_e32 v37, v35, v40
	;; [unrolled: 1-line block ×4, first 2 shown]
	s_and_saveexec_b32 s15, s0
	s_cbranch_execz .LBB257_340
; %bb.339:                              ;   in Loop: Header=BB257_274 Depth=1
	v_add_nc_u32_e32 v36, -6, v21
	v_cmp_gt_i32_e64 s1, s27, v23
	v_add_nc_u32_e32 v37, -5, v21
	v_add_nc_u32_e32 v39, -2, v21
	s_wait_alu 0xf1ff
	s_delay_alu instid0(VALU_DEP_3) | instskip(SKIP_3) | instid1(VALU_DEP_2)
	v_cndmask_b32_e64 v38, 0, v40, s1
	v_cmp_gt_i32_e64 s1, s27, v36
	v_add_nc_u32_e32 v36, -4, v21
	s_wait_alu 0xf1ff
	v_cndmask_b32_e64 v35, 0, v35, s1
	v_cmp_gt_i32_e64 s1, s27, v37
	v_add_nc_u32_e32 v37, -3, v21
	s_wait_alu 0xf1ff
	s_delay_alu instid0(VALU_DEP_2) | instskip(SKIP_3) | instid1(VALU_DEP_2)
	v_cndmask_b32_e64 v34, 0, v34, s1
	v_cmp_gt_i32_e64 s1, s27, v36
	v_add_nc_u32_e32 v36, -1, v21
	s_wait_alu 0xf1ff
	v_cndmask_b32_e64 v1, 0, v1, s1
	v_cmp_gt_i32_e64 s1, s27, v37
	v_or_b32_e32 v37, v35, v38
	s_wait_alu 0xf1ff
	s_delay_alu instid0(VALU_DEP_2) | instskip(SKIP_2) | instid1(VALU_DEP_1)
	v_cndmask_b32_e64 v33, 0, v33, s1
	v_cmp_gt_i32_e64 s1, s27, v39
	s_wait_alu 0xf1ff
	v_cndmask_b32_e64 v10, 0, v10, s1
	v_cmp_gt_i32_e64 s1, s27, v36
	v_or_b32_e32 v36, v1, v34
	s_delay_alu instid0(VALU_DEP_3) | instskip(SKIP_1) | instid1(VALU_DEP_3)
	v_or_b32_e32 v38, v10, v33
	s_wait_alu 0xf1ff
	v_cndmask_b32_e64 v32, 0, v32, s1
	v_cmp_gt_i32_e64 s1, s27, v21
	s_wait_alu 0xf1ff
	s_delay_alu instid0(VALU_DEP_1) | instskip(NEXT) | instid1(VALU_DEP_1)
	v_cndmask_b32_e64 v9, 0, v9, s1
	v_or_b32_e32 v39, v9, v32
.LBB257_340:                            ;   in Loop: Header=BB257_274 Depth=1
	s_wait_alu 0xfffe
	s_or_b32 exec_lo, exec_lo, s15
	v_dual_mov_b32 v32, 0 :: v_dual_and_b32 v1, 0xffff, v27
	v_and_b32_e32 v9, 0xffff, v28
	v_and_b32_e32 v10, 0xffff, v29
	;; [unrolled: 1-line block ×3, first 2 shown]
	s_delay_alu instid0(VALU_DEP_4)
	v_lshl_or_b32 v29, v24, 16, v1
	;;#ASMSTART
	v_pk_mul_f16 v1, v29, v37;

	;;#ASMEND
	v_lshl_or_b32 v28, v25, 16, v9
	v_lshl_or_b32 v27, v26, 16, v10
	;; [unrolled: 1-line block ×3, first 2 shown]
	;;#ASMSTART
	v_pk_mul_f16 v9, v28, v36;

	;;#ASMEND
	;;#ASMSTART
	v_pk_mul_f16 v10, v27, v38;

	;;#ASMEND
	;;#ASMSTART
	v_pk_mul_f16 v24, v26, v39;

	;;#ASMEND
	;;#ASMSTART
	v_pk_add_f16 v1, v1, v9;

	;;#ASMEND
	;;#ASMSTART
	v_pk_add_f16 v1, v1, v10;

	;;#ASMEND
	;;#ASMSTART
	v_pk_add_f16 v1, v1, v24;

	;;#ASMEND
	v_and_b32_e32 v9, 0xffff, v1
	v_lshrrev_b32_e32 v1, 16, v1
	;;#ASMSTART
	v_cvt_f32_f16 v24, v9;
	;;#ASMEND
	;;#ASMSTART
	v_cvt_f32_f16 v25, v1;
	;;#ASMEND
	global_load_b64 v[9:10], v[7:8], off offset:256
	v_mov_b32_e32 v31, 0
	s_mov_b32 s15, exec_lo
	global_load_b32 v30, v31, s[10:11]
	s_wait_loadcnt 0x1
	v_and_b32_e32 v1, 0xff, v9
	s_delay_alu instid0(VALU_DEP_1)
	v_cmpx_ne_u16_e32 0, v1
	s_cbranch_execz .LBB257_348
; %bb.341:                              ;   in Loop: Header=BB257_274 Depth=1
	v_mov_b32_e32 v32, 0x8000
	s_mov_b32 s18, exec_lo
	v_cmpx_ne_u16_e32 0x80, v1
	s_cbranch_execz .LBB257_347
; %bb.342:                              ;   in Loop: Header=BB257_274 Depth=1
	v_and_b32_e32 v33, 0x7f, v9
	v_mov_b32_e32 v32, 0x7c01
	s_mov_b32 s19, exec_lo
	s_delay_alu instid0(VALU_DEP_2)
	v_cmpx_ne_u32_e32 0x7f, v33
	s_cbranch_execz .LBB257_346
; %bb.343:                              ;   in Loop: Header=BB257_274 Depth=1
	v_and_b32_e32 v1, 7, v9
	v_lshrrev_b32_e32 v32, 3, v33
	s_mov_b32 s20, exec_lo
	v_cmpx_gt_u32_e32 8, v33
; %bb.344:                              ;   in Loop: Header=BB257_274 Depth=1
	s_delay_alu instid0(VALU_DEP_3) | instskip(NEXT) | instid1(VALU_DEP_1)
	v_clz_i32_u32_e32 v1, v1
	v_min_u32_e32 v1, 32, v1
	s_delay_alu instid0(VALU_DEP_1) | instskip(NEXT) | instid1(VALU_DEP_1)
	v_subrev_nc_u32_e32 v32, 28, v1
	v_lshlrev_b64_e32 v[33:34], v32, v[9:10]
	v_sub_nc_u32_e32 v32, 29, v1
	s_delay_alu instid0(VALU_DEP_2)
	v_and_b32_e32 v1, 7, v33
; %bb.345:                              ;   in Loop: Header=BB257_274 Depth=1
	s_or_b32 exec_lo, exec_lo, s20
	v_lshlrev_b32_e32 v33, 8, v9
	s_delay_alu instid0(VALU_DEP_3) | instskip(NEXT) | instid1(VALU_DEP_3)
	v_lshl_add_u32 v32, v32, 10, 0x2000
	v_lshlrev_b32_e32 v1, 7, v1
	s_delay_alu instid0(VALU_DEP_3) | instskip(NEXT) | instid1(VALU_DEP_3)
	v_and_b32_e32 v33, 0x8000, v33
	v_and_b32_e32 v32, 0xfc00, v32
	s_delay_alu instid0(VALU_DEP_1)
	v_or3_b32 v32, v33, v32, v1
.LBB257_346:                            ;   in Loop: Header=BB257_274 Depth=1
	s_or_b32 exec_lo, exec_lo, s19
.LBB257_347:                            ;   in Loop: Header=BB257_274 Depth=1
	s_delay_alu instid0(SALU_CYCLE_1)
	s_or_b32 exec_lo, exec_lo, s18
.LBB257_348:                            ;   in Loop: Header=BB257_274 Depth=1
	s_wait_alu 0xfffe
	s_or_b32 exec_lo, exec_lo, s15
	v_lshrrev_b16 v1, 8, v9
	s_mov_b32 s15, exec_lo
	s_delay_alu instid0(VALU_DEP_1)
	v_cmpx_ne_u16_e32 0, v1
	s_cbranch_execz .LBB257_356
; %bb.349:                              ;   in Loop: Header=BB257_274 Depth=1
	v_bfrev_b32_e32 v31, 1
	s_mov_b32 s18, exec_lo
	v_cmpx_ne_u16_e32 0x80, v1
	s_cbranch_execz .LBB257_355
; %bb.350:                              ;   in Loop: Header=BB257_274 Depth=1
	v_and_b32_e32 v33, 0xffff, v1
	v_mov_b32_e32 v31, 0x7c010000
	s_mov_b32 s19, exec_lo
	s_delay_alu instid0(VALU_DEP_2) | instskip(NEXT) | instid1(VALU_DEP_1)
	v_and_b32_e32 v35, 0x7f, v33
	v_cmpx_ne_u32_e32 0x7f, v35
	s_cbranch_execz .LBB257_354
; %bb.351:                              ;   in Loop: Header=BB257_274 Depth=1
	v_and_b32_e32 v31, 7, v33
	v_lshrrev_b32_e32 v34, 3, v35
	s_mov_b32 s20, exec_lo
	v_cmpx_gt_u32_e32 8, v35
; %bb.352:                              ;   in Loop: Header=BB257_274 Depth=1
	s_delay_alu instid0(VALU_DEP_3) | instskip(NEXT) | instid1(VALU_DEP_1)
	v_clz_i32_u32_e32 v31, v31
	v_min_u32_e32 v31, 32, v31
	s_delay_alu instid0(VALU_DEP_1) | instskip(NEXT) | instid1(VALU_DEP_1)
	v_subrev_nc_u32_e32 v34, 28, v31
	v_lshlrev_b64_e32 v[35:36], v34, v[1:2]
	v_sub_nc_u32_e32 v34, 29, v31
	s_delay_alu instid0(VALU_DEP_2)
	v_and_b32_e32 v31, 7, v35
; %bb.353:                              ;   in Loop: Header=BB257_274 Depth=1
	s_or_b32 exec_lo, exec_lo, s20
	v_lshlrev_b32_e32 v1, 8, v33
	s_delay_alu instid0(VALU_DEP_3) | instskip(NEXT) | instid1(VALU_DEP_3)
	v_lshl_add_u32 v33, v34, 10, 0x2000
	v_lshlrev_b32_e32 v31, 23, v31
	s_delay_alu instid0(VALU_DEP_2) | instskip(NEXT) | instid1(VALU_DEP_1)
	v_and_or_b32 v1, 0x8000, v1, v33
	v_lshl_or_b32 v31, v1, 16, v31
.LBB257_354:                            ;   in Loop: Header=BB257_274 Depth=1
	s_or_b32 exec_lo, exec_lo, s19
.LBB257_355:                            ;   in Loop: Header=BB257_274 Depth=1
	s_delay_alu instid0(SALU_CYCLE_1)
	s_or_b32 exec_lo, exec_lo, s18
.LBB257_356:                            ;   in Loop: Header=BB257_274 Depth=1
	s_wait_alu 0xfffe
	s_or_b32 exec_lo, exec_lo, s15
	v_lshrrev_b32_e32 v1, 16, v9
	v_mov_b32_e32 v33, 0
	s_mov_b32 s15, exec_lo
	s_delay_alu instid0(VALU_DEP_2) | instskip(NEXT) | instid1(VALU_DEP_1)
	v_dual_mov_b32 v34, 0 :: v_dual_and_b32 v35, 0xff, v1
	v_cmpx_ne_u16_e32 0, v35
	s_cbranch_execz .LBB257_364
; %bb.357:                              ;   in Loop: Header=BB257_274 Depth=1
	v_mov_b32_e32 v34, 0x8000
	s_mov_b32 s18, exec_lo
	v_cmpx_ne_u16_e32 0x80, v35
	s_cbranch_execz .LBB257_363
; %bb.358:                              ;   in Loop: Header=BB257_274 Depth=1
	v_bfe_u32 v36, v9, 16, 7
	v_mov_b32_e32 v34, 0x7c01
	s_mov_b32 s19, exec_lo
	s_delay_alu instid0(VALU_DEP_2)
	v_cmpx_ne_u32_e32 0x7f, v36
	s_cbranch_execz .LBB257_362
; %bb.359:                              ;   in Loop: Header=BB257_274 Depth=1
	v_and_b32_e32 v34, 7, v1
	v_lshrrev_b32_e32 v35, 3, v36
	s_mov_b32 s20, exec_lo
	v_cmpx_gt_u32_e32 8, v36
; %bb.360:                              ;   in Loop: Header=BB257_274 Depth=1
	s_delay_alu instid0(VALU_DEP_3) | instskip(NEXT) | instid1(VALU_DEP_1)
	v_clz_i32_u32_e32 v34, v34
	v_min_u32_e32 v36, 32, v34
	s_delay_alu instid0(VALU_DEP_1) | instskip(NEXT) | instid1(VALU_DEP_1)
	v_subrev_nc_u32_e32 v34, 28, v36
	v_lshlrev_b64_e32 v[34:35], v34, v[1:2]
	v_sub_nc_u32_e32 v35, 29, v36
	s_delay_alu instid0(VALU_DEP_2)
	v_and_b32_e32 v34, 7, v34
; %bb.361:                              ;   in Loop: Header=BB257_274 Depth=1
	s_or_b32 exec_lo, exec_lo, s20
	v_lshlrev_b32_e32 v1, 8, v1
	s_delay_alu instid0(VALU_DEP_3) | instskip(NEXT) | instid1(VALU_DEP_3)
	v_lshl_add_u32 v35, v35, 10, 0x2000
	v_lshlrev_b32_e32 v34, 7, v34
	s_delay_alu instid0(VALU_DEP_3) | instskip(NEXT) | instid1(VALU_DEP_3)
	v_and_b32_e32 v1, 0x8000, v1
	v_and_b32_e32 v35, 0xfc00, v35
	s_delay_alu instid0(VALU_DEP_1)
	v_or3_b32 v34, v1, v35, v34
.LBB257_362:                            ;   in Loop: Header=BB257_274 Depth=1
	s_or_b32 exec_lo, exec_lo, s19
.LBB257_363:                            ;   in Loop: Header=BB257_274 Depth=1
	s_delay_alu instid0(SALU_CYCLE_1)
	s_or_b32 exec_lo, exec_lo, s18
.LBB257_364:                            ;   in Loop: Header=BB257_274 Depth=1
	s_wait_alu 0xfffe
	s_or_b32 exec_lo, exec_lo, s15
	s_delay_alu instid0(SALU_CYCLE_1)
	s_mov_b32 s15, exec_lo
	v_cmpx_lt_u32_e32 0xffffff, v9
	s_cbranch_execz .LBB257_372
; %bb.365:                              ;   in Loop: Header=BB257_274 Depth=1
	v_lshrrev_b32_e32 v1, 24, v9
	v_bfrev_b32_e32 v33, 1
	s_mov_b32 s18, exec_lo
	s_delay_alu instid0(VALU_DEP_2)
	v_cmpx_ne_u32_e32 0x80, v1
	s_cbranch_execz .LBB257_371
; %bb.366:                              ;   in Loop: Header=BB257_274 Depth=1
	v_and_b32_e32 v36, 0x7f, v1
	v_mov_b32_e32 v33, 0x7c010000
	s_mov_b32 s19, exec_lo
	s_delay_alu instid0(VALU_DEP_2)
	v_cmpx_ne_u32_e32 0x7f, v36
	s_cbranch_execz .LBB257_370
; %bb.367:                              ;   in Loop: Header=BB257_274 Depth=1
	v_and_b32_e32 v33, 7, v1
	v_lshrrev_b32_e32 v35, 3, v36
	s_mov_b32 s20, exec_lo
	v_cmpx_gt_u32_e32 8, v36
; %bb.368:                              ;   in Loop: Header=BB257_274 Depth=1
	s_delay_alu instid0(VALU_DEP_3) | instskip(NEXT) | instid1(VALU_DEP_1)
	v_clz_i32_u32_e32 v33, v33
	v_min_u32_e32 v33, 32, v33
	s_delay_alu instid0(VALU_DEP_1) | instskip(NEXT) | instid1(VALU_DEP_1)
	v_subrev_nc_u32_e32 v35, 28, v33
	v_lshlrev_b64_e32 v[36:37], v35, v[1:2]
	v_sub_nc_u32_e32 v35, 29, v33
	s_delay_alu instid0(VALU_DEP_2)
	v_and_b32_e32 v33, 7, v36
; %bb.369:                              ;   in Loop: Header=BB257_274 Depth=1
	s_or_b32 exec_lo, exec_lo, s20
	v_lshlrev_b32_e32 v1, 8, v1
	s_delay_alu instid0(VALU_DEP_3) | instskip(NEXT) | instid1(VALU_DEP_3)
	v_lshl_add_u32 v35, v35, 10, 0x2000
	v_lshlrev_b32_e32 v33, 23, v33
	s_delay_alu instid0(VALU_DEP_2) | instskip(NEXT) | instid1(VALU_DEP_1)
	v_and_or_b32 v1, 0x8000, v1, v35
	v_lshl_or_b32 v33, v1, 16, v33
.LBB257_370:                            ;   in Loop: Header=BB257_274 Depth=1
	s_or_b32 exec_lo, exec_lo, s19
.LBB257_371:                            ;   in Loop: Header=BB257_274 Depth=1
	s_delay_alu instid0(SALU_CYCLE_1)
	s_or_b32 exec_lo, exec_lo, s18
.LBB257_372:                            ;   in Loop: Header=BB257_274 Depth=1
	s_wait_alu 0xfffe
	s_or_b32 exec_lo, exec_lo, s15
	v_dual_mov_b32 v36, 0 :: v_dual_and_b32 v37, 0xff, v10
	v_mov_b32_e32 v1, v10
	v_mov_b32_e32 v35, 0
	s_mov_b32 s15, exec_lo
	s_delay_alu instid0(VALU_DEP_3)
	v_cmpx_ne_u16_e32 0, v37
	s_cbranch_execz .LBB257_380
; %bb.373:                              ;   in Loop: Header=BB257_274 Depth=1
	v_mov_b32_e32 v36, 0x8000
	s_mov_b32 s18, exec_lo
	v_cmpx_ne_u16_e32 0x80, v37
	s_cbranch_execz .LBB257_379
; %bb.374:                              ;   in Loop: Header=BB257_274 Depth=1
	v_and_b32_e32 v38, 0x7f, v10
	v_mov_b32_e32 v36, 0x7c01
	s_mov_b32 s19, exec_lo
	s_delay_alu instid0(VALU_DEP_2)
	v_cmpx_ne_u32_e32 0x7f, v38
	s_cbranch_execz .LBB257_378
; %bb.375:                              ;   in Loop: Header=BB257_274 Depth=1
	v_and_b32_e32 v36, 7, v10
	v_lshrrev_b32_e32 v37, 3, v38
	s_mov_b32 s20, exec_lo
	v_cmpx_gt_u32_e32 8, v38
; %bb.376:                              ;   in Loop: Header=BB257_274 Depth=1
	s_delay_alu instid0(VALU_DEP_3) | instskip(NEXT) | instid1(VALU_DEP_1)
	v_clz_i32_u32_e32 v36, v36
	v_min_u32_e32 v38, 32, v36
	s_delay_alu instid0(VALU_DEP_1) | instskip(NEXT) | instid1(VALU_DEP_1)
	v_subrev_nc_u32_e32 v36, 28, v38
	v_lshlrev_b64_e32 v[36:37], v36, v[1:2]
	v_sub_nc_u32_e32 v37, 29, v38
	s_delay_alu instid0(VALU_DEP_2)
	v_and_b32_e32 v36, 7, v36
; %bb.377:                              ;   in Loop: Header=BB257_274 Depth=1
	s_or_b32 exec_lo, exec_lo, s20
	v_lshlrev_b32_e32 v38, 8, v10
	s_delay_alu instid0(VALU_DEP_3) | instskip(NEXT) | instid1(VALU_DEP_3)
	v_lshl_add_u32 v37, v37, 10, 0x2000
	v_lshlrev_b32_e32 v36, 7, v36
	s_delay_alu instid0(VALU_DEP_3) | instskip(NEXT) | instid1(VALU_DEP_3)
	v_and_b32_e32 v38, 0x8000, v38
	v_and_b32_e32 v37, 0xfc00, v37
	s_delay_alu instid0(VALU_DEP_1)
	v_or3_b32 v36, v38, v37, v36
.LBB257_378:                            ;   in Loop: Header=BB257_274 Depth=1
	s_or_b32 exec_lo, exec_lo, s19
.LBB257_379:                            ;   in Loop: Header=BB257_274 Depth=1
	s_delay_alu instid0(SALU_CYCLE_1)
	s_or_b32 exec_lo, exec_lo, s18
.LBB257_380:                            ;   in Loop: Header=BB257_274 Depth=1
	s_wait_alu 0xfffe
	s_or_b32 exec_lo, exec_lo, s15
	v_lshrrev_b16 v1, 8, v1
	v_mov_b32_e32 v37, 0
	s_mov_b32 s15, exec_lo
	s_delay_alu instid0(VALU_DEP_2)
	v_cmpx_ne_u16_e32 0, v1
	s_cbranch_execz .LBB257_388
; %bb.381:                              ;   in Loop: Header=BB257_274 Depth=1
	v_bfrev_b32_e32 v37, 1
	s_mov_b32 s18, exec_lo
	v_cmpx_ne_u16_e32 0x80, v1
	s_cbranch_execz .LBB257_387
; %bb.382:                              ;   in Loop: Header=BB257_274 Depth=1
	v_and_b32_e32 v38, 0xffff, v1
	v_mov_b32_e32 v37, 0x7c010000
	s_mov_b32 s19, exec_lo
	s_delay_alu instid0(VALU_DEP_2) | instskip(NEXT) | instid1(VALU_DEP_1)
	v_and_b32_e32 v40, 0x7f, v38
	v_cmpx_ne_u32_e32 0x7f, v40
	s_cbranch_execz .LBB257_386
; %bb.383:                              ;   in Loop: Header=BB257_274 Depth=1
	v_and_b32_e32 v37, 7, v38
	v_lshrrev_b32_e32 v39, 3, v40
	s_mov_b32 s20, exec_lo
	v_cmpx_gt_u32_e32 8, v40
; %bb.384:                              ;   in Loop: Header=BB257_274 Depth=1
	s_delay_alu instid0(VALU_DEP_3) | instskip(NEXT) | instid1(VALU_DEP_1)
	v_clz_i32_u32_e32 v37, v37
	v_min_u32_e32 v37, 32, v37
	s_delay_alu instid0(VALU_DEP_1) | instskip(NEXT) | instid1(VALU_DEP_1)
	v_subrev_nc_u32_e32 v39, 28, v37
	v_lshlrev_b64_e32 v[40:41], v39, v[1:2]
	v_sub_nc_u32_e32 v39, 29, v37
	s_delay_alu instid0(VALU_DEP_2)
	v_and_b32_e32 v37, 7, v40
; %bb.385:                              ;   in Loop: Header=BB257_274 Depth=1
	s_or_b32 exec_lo, exec_lo, s20
	v_lshlrev_b32_e32 v1, 8, v38
	s_delay_alu instid0(VALU_DEP_3) | instskip(NEXT) | instid1(VALU_DEP_3)
	v_lshl_add_u32 v38, v39, 10, 0x2000
	v_lshlrev_b32_e32 v37, 23, v37
	s_delay_alu instid0(VALU_DEP_2) | instskip(NEXT) | instid1(VALU_DEP_1)
	v_and_or_b32 v1, 0x8000, v1, v38
	v_lshl_or_b32 v37, v1, 16, v37
.LBB257_386:                            ;   in Loop: Header=BB257_274 Depth=1
	s_or_b32 exec_lo, exec_lo, s19
.LBB257_387:                            ;   in Loop: Header=BB257_274 Depth=1
	s_delay_alu instid0(SALU_CYCLE_1)
	s_or_b32 exec_lo, exec_lo, s18
.LBB257_388:                            ;   in Loop: Header=BB257_274 Depth=1
	s_wait_alu 0xfffe
	s_or_b32 exec_lo, exec_lo, s15
	v_lshrrev_b32_e32 v1, 16, v10
	s_mov_b32 s15, exec_lo
	s_delay_alu instid0(VALU_DEP_1) | instskip(NEXT) | instid1(VALU_DEP_1)
	v_and_b32_e32 v38, 0xff, v1
	v_cmpx_ne_u16_e32 0, v38
	s_cbranch_execz .LBB257_396
; %bb.389:                              ;   in Loop: Header=BB257_274 Depth=1
	v_mov_b32_e32 v35, 0x8000
	s_mov_b32 s18, exec_lo
	v_cmpx_ne_u16_e32 0x80, v38
	s_cbranch_execz .LBB257_395
; %bb.390:                              ;   in Loop: Header=BB257_274 Depth=1
	v_bfe_u32 v39, v10, 16, 7
	v_mov_b32_e32 v35, 0x7c01
	s_mov_b32 s19, exec_lo
	s_delay_alu instid0(VALU_DEP_2)
	v_cmpx_ne_u32_e32 0x7f, v39
	s_cbranch_execz .LBB257_394
; %bb.391:                              ;   in Loop: Header=BB257_274 Depth=1
	v_and_b32_e32 v35, 7, v1
	v_lshrrev_b32_e32 v38, 3, v39
	s_mov_b32 s20, exec_lo
	v_cmpx_gt_u32_e32 8, v39
; %bb.392:                              ;   in Loop: Header=BB257_274 Depth=1
	s_delay_alu instid0(VALU_DEP_3) | instskip(NEXT) | instid1(VALU_DEP_1)
	v_clz_i32_u32_e32 v35, v35
	v_min_u32_e32 v35, 32, v35
	s_delay_alu instid0(VALU_DEP_1) | instskip(NEXT) | instid1(VALU_DEP_1)
	v_subrev_nc_u32_e32 v38, 28, v35
	v_lshlrev_b64_e32 v[39:40], v38, v[1:2]
	v_sub_nc_u32_e32 v38, 29, v35
	s_delay_alu instid0(VALU_DEP_2)
	v_and_b32_e32 v35, 7, v39
; %bb.393:                              ;   in Loop: Header=BB257_274 Depth=1
	s_or_b32 exec_lo, exec_lo, s20
	v_lshlrev_b32_e32 v1, 8, v1
	s_delay_alu instid0(VALU_DEP_3) | instskip(NEXT) | instid1(VALU_DEP_3)
	v_lshl_add_u32 v38, v38, 10, 0x2000
	v_lshlrev_b32_e32 v35, 7, v35
	s_delay_alu instid0(VALU_DEP_3) | instskip(NEXT) | instid1(VALU_DEP_3)
	v_and_b32_e32 v1, 0x8000, v1
	v_and_b32_e32 v38, 0xfc00, v38
	s_delay_alu instid0(VALU_DEP_1)
	v_or3_b32 v35, v1, v38, v35
.LBB257_394:                            ;   in Loop: Header=BB257_274 Depth=1
	s_or_b32 exec_lo, exec_lo, s19
.LBB257_395:                            ;   in Loop: Header=BB257_274 Depth=1
	s_delay_alu instid0(SALU_CYCLE_1)
	s_or_b32 exec_lo, exec_lo, s18
.LBB257_396:                            ;   in Loop: Header=BB257_274 Depth=1
	s_wait_alu 0xfffe
	s_or_b32 exec_lo, exec_lo, s15
	v_cmp_lt_u64_e64 s1, s[4:5], v[9:10]
	v_mov_b32_e32 v9, 0
	s_and_saveexec_b32 s15, s1
	s_cbranch_execz .LBB257_404
; %bb.397:                              ;   in Loop: Header=BB257_274 Depth=1
	v_lshrrev_b32_e32 v1, 24, v10
	v_bfrev_b32_e32 v9, 1
	s_mov_b32 s18, exec_lo
	s_delay_alu instid0(VALU_DEP_2)
	v_cmpx_ne_u32_e32 0x80, v1
	s_cbranch_execz .LBB257_403
; %bb.398:                              ;   in Loop: Header=BB257_274 Depth=1
	v_and_b32_e32 v38, 0x7f, v1
	v_mov_b32_e32 v9, 0x7c010000
	s_mov_b32 s19, exec_lo
	s_delay_alu instid0(VALU_DEP_2)
	v_cmpx_ne_u32_e32 0x7f, v38
	s_cbranch_execz .LBB257_402
; %bb.399:                              ;   in Loop: Header=BB257_274 Depth=1
	v_and_b32_e32 v9, 7, v1
	v_lshrrev_b32_e32 v10, 3, v38
	s_mov_b32 s20, exec_lo
	v_cmpx_gt_u32_e32 8, v38
; %bb.400:                              ;   in Loop: Header=BB257_274 Depth=1
	s_delay_alu instid0(VALU_DEP_3) | instskip(NEXT) | instid1(VALU_DEP_1)
	v_clz_i32_u32_e32 v9, v9
	v_min_u32_e32 v38, 32, v9
	s_delay_alu instid0(VALU_DEP_1) | instskip(NEXT) | instid1(VALU_DEP_1)
	v_subrev_nc_u32_e32 v9, 28, v38
	v_lshlrev_b64_e32 v[9:10], v9, v[1:2]
	v_sub_nc_u32_e32 v10, 29, v38
	s_delay_alu instid0(VALU_DEP_2)
	v_and_b32_e32 v9, 7, v9
; %bb.401:                              ;   in Loop: Header=BB257_274 Depth=1
	s_or_b32 exec_lo, exec_lo, s20
	v_lshlrev_b32_e32 v1, 8, v1
	s_delay_alu instid0(VALU_DEP_3) | instskip(NEXT) | instid1(VALU_DEP_3)
	v_lshl_add_u32 v10, v10, 10, 0x2000
	v_lshlrev_b32_e32 v9, 23, v9
	s_delay_alu instid0(VALU_DEP_2) | instskip(NEXT) | instid1(VALU_DEP_1)
	v_and_or_b32 v1, 0x8000, v1, v10
	v_lshl_or_b32 v9, v1, 16, v9
.LBB257_402:                            ;   in Loop: Header=BB257_274 Depth=1
	s_or_b32 exec_lo, exec_lo, s19
.LBB257_403:                            ;   in Loop: Header=BB257_274 Depth=1
	s_delay_alu instid0(SALU_CYCLE_1)
	s_or_b32 exec_lo, exec_lo, s18
.LBB257_404:                            ;   in Loop: Header=BB257_274 Depth=1
	s_wait_alu 0xfffe
	s_or_b32 exec_lo, exec_lo, s15
	v_or_b32_e32 v1, v33, v34
	s_wait_loadcnt 0x0
	v_fma_mixlo_f16 v10, v30, v33, 0 op_sel:[0,1,0] op_sel_hi:[0,1,0]
	v_or_b32_e32 v32, v31, v32
	v_fma_mixlo_f16 v31, v30, v31, 0 op_sel:[0,1,0] op_sel_hi:[0,1,0]
	v_or_b32_e32 v34, v37, v36
	v_or_b32_e32 v35, v9, v35
	v_fma_mixlo_f16 v36, v30, v1, 0 op_sel_hi:[0,1,0]
	v_lshlrev_b32_e32 v1, 16, v10
	v_lshlrev_b32_e32 v33, 16, v31
	v_fma_mixlo_f16 v10, v30, v32, 0 op_sel_hi:[0,1,0]
	v_fma_mixlo_f16 v31, v30, v37, 0 op_sel:[0,1,0] op_sel_hi:[0,1,0]
	v_fma_mixlo_f16 v34, v30, v34, 0 op_sel_hi:[0,1,0]
	v_fma_mixlo_f16 v9, v30, v9, 0 op_sel:[0,1,0] op_sel_hi:[0,1,0]
	v_fma_mixlo_f16 v30, v30, v35, 0 op_sel_hi:[0,1,0]
	v_and_b32_e32 v32, 0xffff, v36
	v_and_b32_e32 v37, 0xffff, v10
	v_lshlrev_b32_e32 v10, 16, v31
	v_and_b32_e32 v31, 0xffff, v34
	v_lshlrev_b32_e32 v9, 16, v9
	v_and_b32_e32 v30, 0xffff, v30
	v_or_b32_e32 v34, v1, v32
	v_or_b32_e32 v38, v33, v37
	;; [unrolled: 1-line block ×3, first 2 shown]
	s_delay_alu instid0(VALU_DEP_4)
	v_or_b32_e32 v35, v9, v30
	s_and_saveexec_b32 s15, s0
	s_cbranch_execz .LBB257_406
; %bb.405:                              ;   in Loop: Header=BB257_274 Depth=1
	v_add_nc_u32_e32 v34, -6, v21
	v_cmp_gt_i32_e64 s1, s27, v23
	v_add_nc_u32_e32 v35, -5, v21
	s_wait_alu 0xf1ff
	s_delay_alu instid0(VALU_DEP_2) | instskip(SKIP_4) | instid1(VALU_DEP_3)
	v_cndmask_b32_e64 v36, 0, v37, s1
	v_cmp_gt_i32_e64 s1, s27, v34
	v_add_nc_u32_e32 v34, -4, v21
	v_add_nc_u32_e32 v37, -2, v21
	s_wait_alu 0xf1ff
	v_cndmask_b32_e64 v33, 0, v33, s1
	v_cmp_gt_i32_e64 s1, s27, v35
	v_add_nc_u32_e32 v35, -3, v21
	s_delay_alu instid0(VALU_DEP_3) | instskip(SKIP_1) | instid1(VALU_DEP_3)
	v_or_b32_e32 v38, v33, v36
	s_wait_alu 0xf1ff
	v_cndmask_b32_e64 v32, 0, v32, s1
	v_cmp_gt_i32_e64 s1, s27, v34
	v_add_nc_u32_e32 v34, -1, v21
	s_wait_alu 0xf1ff
	s_delay_alu instid0(VALU_DEP_2) | instskip(SKIP_2) | instid1(VALU_DEP_1)
	v_cndmask_b32_e64 v1, 0, v1, s1
	v_cmp_gt_i32_e64 s1, s27, v35
	s_wait_alu 0xf1ff
	v_cndmask_b32_e64 v31, 0, v31, s1
	v_cmp_gt_i32_e64 s1, s27, v37
	s_wait_alu 0xf1ff
	s_delay_alu instid0(VALU_DEP_1) | instskip(SKIP_2) | instid1(VALU_DEP_3)
	v_cndmask_b32_e64 v10, 0, v10, s1
	v_cmp_gt_i32_e64 s1, s27, v34
	v_or_b32_e32 v34, v1, v32
	v_or_b32_e32 v36, v10, v31
	s_wait_alu 0xf1ff
	s_delay_alu instid0(VALU_DEP_3) | instskip(SKIP_2) | instid1(VALU_DEP_1)
	v_cndmask_b32_e64 v30, 0, v30, s1
	v_cmp_gt_i32_e64 s1, s27, v21
	s_wait_alu 0xf1ff
	v_cndmask_b32_e64 v9, 0, v9, s1
	s_delay_alu instid0(VALU_DEP_1)
	v_or_b32_e32 v35, v9, v30
.LBB257_406:                            ;   in Loop: Header=BB257_274 Depth=1
	s_wait_alu 0xfffe
	s_or_b32 exec_lo, exec_lo, s15
	;;#ASMSTART
	v_pk_mul_f16 v1, v29, v38;

	;;#ASMEND
	;;#ASMSTART
	v_pk_mul_f16 v9, v28, v34;

	;;#ASMEND
	;;#ASMSTART
	v_pk_mul_f16 v10, v27, v36;

	;;#ASMEND
	;;#ASMSTART
	v_pk_mul_f16 v30, v26, v35;

	;;#ASMEND
	;;#ASMSTART
	v_pk_add_f16 v1, v1, v9;

	;;#ASMEND
	;;#ASMSTART
	v_pk_add_f16 v1, v1, v10;

	;;#ASMEND
	;; [unrolled: 4-line block ×3, first 2 shown]
	v_dual_mov_b32 v32, 0 :: v_dual_and_b32 v9, 0xffff, v1
	v_lshrrev_b32_e32 v1, 16, v1
	;;#ASMSTART
	v_cvt_f32_f16 v9, v9;
	;;#ASMEND
	;;#ASMSTART
	v_cvt_f32_f16 v10, v1;
	;;#ASMEND
	global_load_b64 v[7:8], v[7:8], off offset:512
	v_mov_b32_e32 v31, 0
	s_mov_b32 s15, exec_lo
	global_load_b32 v30, v31, s[10:11]
	s_wait_loadcnt 0x1
	v_and_b32_e32 v1, 0xff, v7
	s_delay_alu instid0(VALU_DEP_1)
	v_cmpx_ne_u16_e32 0, v1
	s_cbranch_execz .LBB257_414
; %bb.407:                              ;   in Loop: Header=BB257_274 Depth=1
	v_mov_b32_e32 v32, 0x8000
	s_mov_b32 s18, exec_lo
	v_cmpx_ne_u16_e32 0x80, v1
	s_cbranch_execz .LBB257_413
; %bb.408:                              ;   in Loop: Header=BB257_274 Depth=1
	v_and_b32_e32 v33, 0x7f, v7
	v_mov_b32_e32 v32, 0x7c01
	s_mov_b32 s19, exec_lo
	s_delay_alu instid0(VALU_DEP_2)
	v_cmpx_ne_u32_e32 0x7f, v33
	s_cbranch_execz .LBB257_412
; %bb.409:                              ;   in Loop: Header=BB257_274 Depth=1
	v_and_b32_e32 v1, 7, v7
	v_lshrrev_b32_e32 v32, 3, v33
	s_mov_b32 s20, exec_lo
	v_cmpx_gt_u32_e32 8, v33
; %bb.410:                              ;   in Loop: Header=BB257_274 Depth=1
	s_delay_alu instid0(VALU_DEP_3) | instskip(NEXT) | instid1(VALU_DEP_1)
	v_clz_i32_u32_e32 v1, v1
	v_min_u32_e32 v1, 32, v1
	s_delay_alu instid0(VALU_DEP_1) | instskip(NEXT) | instid1(VALU_DEP_1)
	v_subrev_nc_u32_e32 v32, 28, v1
	v_lshlrev_b64_e32 v[33:34], v32, v[7:8]
	v_sub_nc_u32_e32 v32, 29, v1
	s_delay_alu instid0(VALU_DEP_2)
	v_and_b32_e32 v1, 7, v33
; %bb.411:                              ;   in Loop: Header=BB257_274 Depth=1
	s_or_b32 exec_lo, exec_lo, s20
	v_lshlrev_b32_e32 v33, 8, v7
	s_delay_alu instid0(VALU_DEP_3) | instskip(NEXT) | instid1(VALU_DEP_3)
	v_lshl_add_u32 v32, v32, 10, 0x2000
	v_lshlrev_b32_e32 v1, 7, v1
	s_delay_alu instid0(VALU_DEP_3) | instskip(NEXT) | instid1(VALU_DEP_3)
	v_and_b32_e32 v33, 0x8000, v33
	v_and_b32_e32 v32, 0xfc00, v32
	s_delay_alu instid0(VALU_DEP_1)
	v_or3_b32 v32, v33, v32, v1
.LBB257_412:                            ;   in Loop: Header=BB257_274 Depth=1
	s_or_b32 exec_lo, exec_lo, s19
.LBB257_413:                            ;   in Loop: Header=BB257_274 Depth=1
	s_delay_alu instid0(SALU_CYCLE_1)
	s_or_b32 exec_lo, exec_lo, s18
.LBB257_414:                            ;   in Loop: Header=BB257_274 Depth=1
	s_wait_alu 0xfffe
	s_or_b32 exec_lo, exec_lo, s15
	v_lshrrev_b16 v1, 8, v7
	s_mov_b32 s15, exec_lo
	s_delay_alu instid0(VALU_DEP_1)
	v_cmpx_ne_u16_e32 0, v1
	s_cbranch_execz .LBB257_422
; %bb.415:                              ;   in Loop: Header=BB257_274 Depth=1
	v_bfrev_b32_e32 v31, 1
	s_mov_b32 s18, exec_lo
	v_cmpx_ne_u16_e32 0x80, v1
	s_cbranch_execz .LBB257_421
; %bb.416:                              ;   in Loop: Header=BB257_274 Depth=1
	v_and_b32_e32 v33, 0xffff, v1
	v_mov_b32_e32 v31, 0x7c010000
	s_mov_b32 s19, exec_lo
	s_delay_alu instid0(VALU_DEP_2) | instskip(NEXT) | instid1(VALU_DEP_1)
	v_and_b32_e32 v35, 0x7f, v33
	v_cmpx_ne_u32_e32 0x7f, v35
	s_cbranch_execz .LBB257_420
; %bb.417:                              ;   in Loop: Header=BB257_274 Depth=1
	v_and_b32_e32 v31, 7, v33
	v_lshrrev_b32_e32 v34, 3, v35
	s_mov_b32 s20, exec_lo
	v_cmpx_gt_u32_e32 8, v35
; %bb.418:                              ;   in Loop: Header=BB257_274 Depth=1
	s_delay_alu instid0(VALU_DEP_3) | instskip(NEXT) | instid1(VALU_DEP_1)
	v_clz_i32_u32_e32 v31, v31
	v_min_u32_e32 v31, 32, v31
	s_delay_alu instid0(VALU_DEP_1) | instskip(NEXT) | instid1(VALU_DEP_1)
	v_subrev_nc_u32_e32 v34, 28, v31
	v_lshlrev_b64_e32 v[35:36], v34, v[1:2]
	v_sub_nc_u32_e32 v34, 29, v31
	s_delay_alu instid0(VALU_DEP_2)
	v_and_b32_e32 v31, 7, v35
; %bb.419:                              ;   in Loop: Header=BB257_274 Depth=1
	s_or_b32 exec_lo, exec_lo, s20
	v_lshlrev_b32_e32 v1, 8, v33
	s_delay_alu instid0(VALU_DEP_3) | instskip(NEXT) | instid1(VALU_DEP_3)
	v_lshl_add_u32 v33, v34, 10, 0x2000
	v_lshlrev_b32_e32 v31, 23, v31
	s_delay_alu instid0(VALU_DEP_2) | instskip(NEXT) | instid1(VALU_DEP_1)
	v_and_or_b32 v1, 0x8000, v1, v33
	v_lshl_or_b32 v31, v1, 16, v31
.LBB257_420:                            ;   in Loop: Header=BB257_274 Depth=1
	s_or_b32 exec_lo, exec_lo, s19
.LBB257_421:                            ;   in Loop: Header=BB257_274 Depth=1
	s_delay_alu instid0(SALU_CYCLE_1)
	s_or_b32 exec_lo, exec_lo, s18
.LBB257_422:                            ;   in Loop: Header=BB257_274 Depth=1
	s_wait_alu 0xfffe
	s_or_b32 exec_lo, exec_lo, s15
	v_lshrrev_b32_e32 v1, 16, v7
	v_mov_b32_e32 v33, 0
	s_mov_b32 s15, exec_lo
	s_delay_alu instid0(VALU_DEP_2) | instskip(NEXT) | instid1(VALU_DEP_1)
	v_dual_mov_b32 v34, 0 :: v_dual_and_b32 v35, 0xff, v1
	v_cmpx_ne_u16_e32 0, v35
	s_cbranch_execz .LBB257_430
; %bb.423:                              ;   in Loop: Header=BB257_274 Depth=1
	v_mov_b32_e32 v34, 0x8000
	s_mov_b32 s18, exec_lo
	v_cmpx_ne_u16_e32 0x80, v35
	s_cbranch_execz .LBB257_429
; %bb.424:                              ;   in Loop: Header=BB257_274 Depth=1
	v_bfe_u32 v36, v7, 16, 7
	v_mov_b32_e32 v34, 0x7c01
	s_mov_b32 s19, exec_lo
	s_delay_alu instid0(VALU_DEP_2)
	v_cmpx_ne_u32_e32 0x7f, v36
	s_cbranch_execz .LBB257_428
; %bb.425:                              ;   in Loop: Header=BB257_274 Depth=1
	v_and_b32_e32 v34, 7, v1
	v_lshrrev_b32_e32 v35, 3, v36
	s_mov_b32 s20, exec_lo
	v_cmpx_gt_u32_e32 8, v36
; %bb.426:                              ;   in Loop: Header=BB257_274 Depth=1
	s_delay_alu instid0(VALU_DEP_3) | instskip(NEXT) | instid1(VALU_DEP_1)
	v_clz_i32_u32_e32 v34, v34
	v_min_u32_e32 v36, 32, v34
	s_delay_alu instid0(VALU_DEP_1) | instskip(NEXT) | instid1(VALU_DEP_1)
	v_subrev_nc_u32_e32 v34, 28, v36
	v_lshlrev_b64_e32 v[34:35], v34, v[1:2]
	v_sub_nc_u32_e32 v35, 29, v36
	s_delay_alu instid0(VALU_DEP_2)
	v_and_b32_e32 v34, 7, v34
; %bb.427:                              ;   in Loop: Header=BB257_274 Depth=1
	s_or_b32 exec_lo, exec_lo, s20
	v_lshlrev_b32_e32 v1, 8, v1
	s_delay_alu instid0(VALU_DEP_3) | instskip(NEXT) | instid1(VALU_DEP_3)
	v_lshl_add_u32 v35, v35, 10, 0x2000
	v_lshlrev_b32_e32 v34, 7, v34
	s_delay_alu instid0(VALU_DEP_3) | instskip(NEXT) | instid1(VALU_DEP_3)
	v_and_b32_e32 v1, 0x8000, v1
	v_and_b32_e32 v35, 0xfc00, v35
	s_delay_alu instid0(VALU_DEP_1)
	v_or3_b32 v34, v1, v35, v34
.LBB257_428:                            ;   in Loop: Header=BB257_274 Depth=1
	s_or_b32 exec_lo, exec_lo, s19
.LBB257_429:                            ;   in Loop: Header=BB257_274 Depth=1
	s_delay_alu instid0(SALU_CYCLE_1)
	s_or_b32 exec_lo, exec_lo, s18
.LBB257_430:                            ;   in Loop: Header=BB257_274 Depth=1
	s_wait_alu 0xfffe
	s_or_b32 exec_lo, exec_lo, s15
	s_delay_alu instid0(SALU_CYCLE_1)
	s_mov_b32 s15, exec_lo
	v_cmpx_lt_u32_e32 0xffffff, v7
	s_cbranch_execz .LBB257_438
; %bb.431:                              ;   in Loop: Header=BB257_274 Depth=1
	v_lshrrev_b32_e32 v1, 24, v7
	v_bfrev_b32_e32 v33, 1
	s_mov_b32 s18, exec_lo
	s_delay_alu instid0(VALU_DEP_2)
	v_cmpx_ne_u32_e32 0x80, v1
	s_cbranch_execz .LBB257_437
; %bb.432:                              ;   in Loop: Header=BB257_274 Depth=1
	v_and_b32_e32 v36, 0x7f, v1
	v_mov_b32_e32 v33, 0x7c010000
	s_mov_b32 s19, exec_lo
	s_delay_alu instid0(VALU_DEP_2)
	v_cmpx_ne_u32_e32 0x7f, v36
	s_cbranch_execz .LBB257_436
; %bb.433:                              ;   in Loop: Header=BB257_274 Depth=1
	v_and_b32_e32 v33, 7, v1
	v_lshrrev_b32_e32 v35, 3, v36
	s_mov_b32 s20, exec_lo
	v_cmpx_gt_u32_e32 8, v36
; %bb.434:                              ;   in Loop: Header=BB257_274 Depth=1
	s_delay_alu instid0(VALU_DEP_3) | instskip(NEXT) | instid1(VALU_DEP_1)
	v_clz_i32_u32_e32 v33, v33
	v_min_u32_e32 v33, 32, v33
	s_delay_alu instid0(VALU_DEP_1) | instskip(NEXT) | instid1(VALU_DEP_1)
	v_subrev_nc_u32_e32 v35, 28, v33
	v_lshlrev_b64_e32 v[36:37], v35, v[1:2]
	v_sub_nc_u32_e32 v35, 29, v33
	s_delay_alu instid0(VALU_DEP_2)
	v_and_b32_e32 v33, 7, v36
; %bb.435:                              ;   in Loop: Header=BB257_274 Depth=1
	s_or_b32 exec_lo, exec_lo, s20
	v_lshlrev_b32_e32 v1, 8, v1
	s_delay_alu instid0(VALU_DEP_3) | instskip(NEXT) | instid1(VALU_DEP_3)
	v_lshl_add_u32 v35, v35, 10, 0x2000
	v_lshlrev_b32_e32 v33, 23, v33
	s_delay_alu instid0(VALU_DEP_2) | instskip(NEXT) | instid1(VALU_DEP_1)
	v_and_or_b32 v1, 0x8000, v1, v35
	v_lshl_or_b32 v33, v1, 16, v33
.LBB257_436:                            ;   in Loop: Header=BB257_274 Depth=1
	s_or_b32 exec_lo, exec_lo, s19
.LBB257_437:                            ;   in Loop: Header=BB257_274 Depth=1
	s_delay_alu instid0(SALU_CYCLE_1)
	s_or_b32 exec_lo, exec_lo, s18
.LBB257_438:                            ;   in Loop: Header=BB257_274 Depth=1
	s_wait_alu 0xfffe
	s_or_b32 exec_lo, exec_lo, s15
	v_dual_mov_b32 v36, 0 :: v_dual_and_b32 v37, 0xff, v8
	v_mov_b32_e32 v1, v8
	v_mov_b32_e32 v35, 0
	s_mov_b32 s15, exec_lo
	s_delay_alu instid0(VALU_DEP_3)
	v_cmpx_ne_u16_e32 0, v37
	s_cbranch_execz .LBB257_446
; %bb.439:                              ;   in Loop: Header=BB257_274 Depth=1
	v_mov_b32_e32 v36, 0x8000
	s_mov_b32 s18, exec_lo
	v_cmpx_ne_u16_e32 0x80, v37
	s_cbranch_execz .LBB257_445
; %bb.440:                              ;   in Loop: Header=BB257_274 Depth=1
	v_and_b32_e32 v38, 0x7f, v8
	v_mov_b32_e32 v36, 0x7c01
	s_mov_b32 s19, exec_lo
	s_delay_alu instid0(VALU_DEP_2)
	v_cmpx_ne_u32_e32 0x7f, v38
	s_cbranch_execz .LBB257_444
; %bb.441:                              ;   in Loop: Header=BB257_274 Depth=1
	v_and_b32_e32 v36, 7, v8
	v_lshrrev_b32_e32 v37, 3, v38
	s_mov_b32 s20, exec_lo
	v_cmpx_gt_u32_e32 8, v38
; %bb.442:                              ;   in Loop: Header=BB257_274 Depth=1
	s_delay_alu instid0(VALU_DEP_3) | instskip(NEXT) | instid1(VALU_DEP_1)
	v_clz_i32_u32_e32 v36, v36
	v_min_u32_e32 v38, 32, v36
	s_delay_alu instid0(VALU_DEP_1) | instskip(NEXT) | instid1(VALU_DEP_1)
	v_subrev_nc_u32_e32 v36, 28, v38
	v_lshlrev_b64_e32 v[36:37], v36, v[1:2]
	v_sub_nc_u32_e32 v37, 29, v38
	s_delay_alu instid0(VALU_DEP_2)
	v_and_b32_e32 v36, 7, v36
; %bb.443:                              ;   in Loop: Header=BB257_274 Depth=1
	s_or_b32 exec_lo, exec_lo, s20
	v_lshlrev_b32_e32 v38, 8, v8
	s_delay_alu instid0(VALU_DEP_3) | instskip(NEXT) | instid1(VALU_DEP_3)
	v_lshl_add_u32 v37, v37, 10, 0x2000
	v_lshlrev_b32_e32 v36, 7, v36
	s_delay_alu instid0(VALU_DEP_3) | instskip(NEXT) | instid1(VALU_DEP_3)
	v_and_b32_e32 v38, 0x8000, v38
	v_and_b32_e32 v37, 0xfc00, v37
	s_delay_alu instid0(VALU_DEP_1)
	v_or3_b32 v36, v38, v37, v36
.LBB257_444:                            ;   in Loop: Header=BB257_274 Depth=1
	s_or_b32 exec_lo, exec_lo, s19
.LBB257_445:                            ;   in Loop: Header=BB257_274 Depth=1
	s_delay_alu instid0(SALU_CYCLE_1)
	s_or_b32 exec_lo, exec_lo, s18
.LBB257_446:                            ;   in Loop: Header=BB257_274 Depth=1
	s_wait_alu 0xfffe
	s_or_b32 exec_lo, exec_lo, s15
	v_lshrrev_b16 v1, 8, v1
	v_mov_b32_e32 v37, 0
	s_mov_b32 s15, exec_lo
	s_delay_alu instid0(VALU_DEP_2)
	v_cmpx_ne_u16_e32 0, v1
	s_cbranch_execz .LBB257_454
; %bb.447:                              ;   in Loop: Header=BB257_274 Depth=1
	v_bfrev_b32_e32 v37, 1
	s_mov_b32 s18, exec_lo
	v_cmpx_ne_u16_e32 0x80, v1
	s_cbranch_execz .LBB257_453
; %bb.448:                              ;   in Loop: Header=BB257_274 Depth=1
	v_and_b32_e32 v38, 0xffff, v1
	v_mov_b32_e32 v37, 0x7c010000
	s_mov_b32 s19, exec_lo
	s_delay_alu instid0(VALU_DEP_2) | instskip(NEXT) | instid1(VALU_DEP_1)
	v_and_b32_e32 v40, 0x7f, v38
	v_cmpx_ne_u32_e32 0x7f, v40
	s_cbranch_execz .LBB257_452
; %bb.449:                              ;   in Loop: Header=BB257_274 Depth=1
	v_and_b32_e32 v37, 7, v38
	v_lshrrev_b32_e32 v39, 3, v40
	s_mov_b32 s20, exec_lo
	v_cmpx_gt_u32_e32 8, v40
; %bb.450:                              ;   in Loop: Header=BB257_274 Depth=1
	s_delay_alu instid0(VALU_DEP_3) | instskip(NEXT) | instid1(VALU_DEP_1)
	v_clz_i32_u32_e32 v37, v37
	v_min_u32_e32 v37, 32, v37
	s_delay_alu instid0(VALU_DEP_1) | instskip(NEXT) | instid1(VALU_DEP_1)
	v_subrev_nc_u32_e32 v39, 28, v37
	v_lshlrev_b64_e32 v[40:41], v39, v[1:2]
	v_sub_nc_u32_e32 v39, 29, v37
	s_delay_alu instid0(VALU_DEP_2)
	v_and_b32_e32 v37, 7, v40
; %bb.451:                              ;   in Loop: Header=BB257_274 Depth=1
	s_or_b32 exec_lo, exec_lo, s20
	v_lshlrev_b32_e32 v1, 8, v38
	s_delay_alu instid0(VALU_DEP_3) | instskip(NEXT) | instid1(VALU_DEP_3)
	v_lshl_add_u32 v38, v39, 10, 0x2000
	v_lshlrev_b32_e32 v37, 23, v37
	s_delay_alu instid0(VALU_DEP_2) | instskip(NEXT) | instid1(VALU_DEP_1)
	v_and_or_b32 v1, 0x8000, v1, v38
	v_lshl_or_b32 v37, v1, 16, v37
.LBB257_452:                            ;   in Loop: Header=BB257_274 Depth=1
	s_or_b32 exec_lo, exec_lo, s19
.LBB257_453:                            ;   in Loop: Header=BB257_274 Depth=1
	s_delay_alu instid0(SALU_CYCLE_1)
	s_or_b32 exec_lo, exec_lo, s18
.LBB257_454:                            ;   in Loop: Header=BB257_274 Depth=1
	s_wait_alu 0xfffe
	s_or_b32 exec_lo, exec_lo, s15
	v_lshrrev_b32_e32 v1, 16, v8
	s_mov_b32 s15, exec_lo
	s_delay_alu instid0(VALU_DEP_1) | instskip(NEXT) | instid1(VALU_DEP_1)
	v_and_b32_e32 v38, 0xff, v1
	v_cmpx_ne_u16_e32 0, v38
	s_cbranch_execz .LBB257_462
; %bb.455:                              ;   in Loop: Header=BB257_274 Depth=1
	v_mov_b32_e32 v35, 0x8000
	s_mov_b32 s18, exec_lo
	v_cmpx_ne_u16_e32 0x80, v38
	s_cbranch_execz .LBB257_461
; %bb.456:                              ;   in Loop: Header=BB257_274 Depth=1
	v_bfe_u32 v39, v8, 16, 7
	v_mov_b32_e32 v35, 0x7c01
	s_mov_b32 s19, exec_lo
	s_delay_alu instid0(VALU_DEP_2)
	v_cmpx_ne_u32_e32 0x7f, v39
	s_cbranch_execz .LBB257_460
; %bb.457:                              ;   in Loop: Header=BB257_274 Depth=1
	v_and_b32_e32 v35, 7, v1
	v_lshrrev_b32_e32 v38, 3, v39
	s_mov_b32 s20, exec_lo
	v_cmpx_gt_u32_e32 8, v39
; %bb.458:                              ;   in Loop: Header=BB257_274 Depth=1
	s_delay_alu instid0(VALU_DEP_3) | instskip(NEXT) | instid1(VALU_DEP_1)
	v_clz_i32_u32_e32 v35, v35
	v_min_u32_e32 v35, 32, v35
	s_delay_alu instid0(VALU_DEP_1) | instskip(NEXT) | instid1(VALU_DEP_1)
	v_subrev_nc_u32_e32 v38, 28, v35
	v_lshlrev_b64_e32 v[39:40], v38, v[1:2]
	v_sub_nc_u32_e32 v38, 29, v35
	s_delay_alu instid0(VALU_DEP_2)
	v_and_b32_e32 v35, 7, v39
; %bb.459:                              ;   in Loop: Header=BB257_274 Depth=1
	s_or_b32 exec_lo, exec_lo, s20
	v_lshlrev_b32_e32 v1, 8, v1
	s_delay_alu instid0(VALU_DEP_3) | instskip(NEXT) | instid1(VALU_DEP_3)
	v_lshl_add_u32 v38, v38, 10, 0x2000
	v_lshlrev_b32_e32 v35, 7, v35
	s_delay_alu instid0(VALU_DEP_3) | instskip(NEXT) | instid1(VALU_DEP_3)
	v_and_b32_e32 v1, 0x8000, v1
	v_and_b32_e32 v38, 0xfc00, v38
	s_delay_alu instid0(VALU_DEP_1)
	v_or3_b32 v35, v1, v38, v35
.LBB257_460:                            ;   in Loop: Header=BB257_274 Depth=1
	s_or_b32 exec_lo, exec_lo, s19
.LBB257_461:                            ;   in Loop: Header=BB257_274 Depth=1
	s_delay_alu instid0(SALU_CYCLE_1)
	s_or_b32 exec_lo, exec_lo, s18
.LBB257_462:                            ;   in Loop: Header=BB257_274 Depth=1
	s_wait_alu 0xfffe
	s_or_b32 exec_lo, exec_lo, s15
	v_cmp_lt_u64_e64 s1, s[4:5], v[7:8]
	v_mov_b32_e32 v7, 0
	s_and_saveexec_b32 s15, s1
	s_cbranch_execz .LBB257_470
; %bb.463:                              ;   in Loop: Header=BB257_274 Depth=1
	v_lshrrev_b32_e32 v1, 24, v8
	v_bfrev_b32_e32 v7, 1
	s_mov_b32 s18, exec_lo
	s_delay_alu instid0(VALU_DEP_2)
	v_cmpx_ne_u32_e32 0x80, v1
	s_cbranch_execz .LBB257_469
; %bb.464:                              ;   in Loop: Header=BB257_274 Depth=1
	v_and_b32_e32 v38, 0x7f, v1
	v_mov_b32_e32 v7, 0x7c010000
	s_mov_b32 s19, exec_lo
	s_delay_alu instid0(VALU_DEP_2)
	v_cmpx_ne_u32_e32 0x7f, v38
	s_cbranch_execz .LBB257_468
; %bb.465:                              ;   in Loop: Header=BB257_274 Depth=1
	v_and_b32_e32 v7, 7, v1
	v_lshrrev_b32_e32 v8, 3, v38
	s_mov_b32 s20, exec_lo
	v_cmpx_gt_u32_e32 8, v38
; %bb.466:                              ;   in Loop: Header=BB257_274 Depth=1
	s_delay_alu instid0(VALU_DEP_3) | instskip(NEXT) | instid1(VALU_DEP_1)
	v_clz_i32_u32_e32 v7, v7
	v_min_u32_e32 v38, 32, v7
	s_delay_alu instid0(VALU_DEP_1) | instskip(NEXT) | instid1(VALU_DEP_1)
	v_subrev_nc_u32_e32 v7, 28, v38
	v_lshlrev_b64_e32 v[7:8], v7, v[1:2]
	v_sub_nc_u32_e32 v8, 29, v38
	s_delay_alu instid0(VALU_DEP_2)
	v_and_b32_e32 v7, 7, v7
; %bb.467:                              ;   in Loop: Header=BB257_274 Depth=1
	s_or_b32 exec_lo, exec_lo, s20
	v_lshlrev_b32_e32 v1, 8, v1
	s_delay_alu instid0(VALU_DEP_3) | instskip(NEXT) | instid1(VALU_DEP_3)
	v_lshl_add_u32 v8, v8, 10, 0x2000
	v_lshlrev_b32_e32 v7, 23, v7
	s_delay_alu instid0(VALU_DEP_2) | instskip(NEXT) | instid1(VALU_DEP_1)
	v_and_or_b32 v1, 0x8000, v1, v8
	v_lshl_or_b32 v7, v1, 16, v7
.LBB257_468:                            ;   in Loop: Header=BB257_274 Depth=1
	s_or_b32 exec_lo, exec_lo, s19
.LBB257_469:                            ;   in Loop: Header=BB257_274 Depth=1
	s_delay_alu instid0(SALU_CYCLE_1)
	s_or_b32 exec_lo, exec_lo, s18
.LBB257_470:                            ;   in Loop: Header=BB257_274 Depth=1
	s_wait_alu 0xfffe
	s_or_b32 exec_lo, exec_lo, s15
	v_or_b32_e32 v1, v33, v34
	s_wait_loadcnt 0x0
	v_fma_mixlo_f16 v8, v30, v33, 0 op_sel:[0,1,0] op_sel_hi:[0,1,0]
	v_or_b32_e32 v32, v31, v32
	v_fma_mixlo_f16 v31, v30, v31, 0 op_sel:[0,1,0] op_sel_hi:[0,1,0]
	v_or_b32_e32 v34, v37, v36
	v_or_b32_e32 v35, v7, v35
	v_fma_mixlo_f16 v36, v30, v1, 0 op_sel_hi:[0,1,0]
	v_lshlrev_b32_e32 v1, 16, v8
	v_lshlrev_b32_e32 v33, 16, v31
	v_fma_mixlo_f16 v8, v30, v32, 0 op_sel_hi:[0,1,0]
	v_fma_mixlo_f16 v31, v30, v37, 0 op_sel:[0,1,0] op_sel_hi:[0,1,0]
	v_fma_mixlo_f16 v34, v30, v34, 0 op_sel_hi:[0,1,0]
	v_fma_mixlo_f16 v7, v30, v7, 0 op_sel:[0,1,0] op_sel_hi:[0,1,0]
	v_fma_mixlo_f16 v30, v30, v35, 0 op_sel_hi:[0,1,0]
	v_and_b32_e32 v32, 0xffff, v36
	v_and_b32_e32 v37, 0xffff, v8
	v_lshlrev_b32_e32 v8, 16, v31
	v_and_b32_e32 v31, 0xffff, v34
	v_lshlrev_b32_e32 v7, 16, v7
	v_and_b32_e32 v30, 0xffff, v30
	v_or_b32_e32 v34, v1, v32
	v_or_b32_e32 v38, v33, v37
	v_or_b32_e32 v36, v8, v31
	s_delay_alu instid0(VALU_DEP_4)
	v_or_b32_e32 v35, v7, v30
	s_and_saveexec_b32 s15, s0
	s_cbranch_execz .LBB257_472
; %bb.471:                              ;   in Loop: Header=BB257_274 Depth=1
	v_add_nc_u32_e32 v34, -6, v21
	v_cmp_gt_i32_e64 s1, s27, v23
	v_add_nc_u32_e32 v35, -5, v21
	s_wait_alu 0xf1ff
	s_delay_alu instid0(VALU_DEP_2) | instskip(SKIP_4) | instid1(VALU_DEP_3)
	v_cndmask_b32_e64 v36, 0, v37, s1
	v_cmp_gt_i32_e64 s1, s27, v34
	v_add_nc_u32_e32 v34, -4, v21
	v_add_nc_u32_e32 v37, -2, v21
	s_wait_alu 0xf1ff
	v_cndmask_b32_e64 v33, 0, v33, s1
	v_cmp_gt_i32_e64 s1, s27, v35
	v_add_nc_u32_e32 v35, -3, v21
	s_delay_alu instid0(VALU_DEP_3) | instskip(SKIP_1) | instid1(VALU_DEP_3)
	v_or_b32_e32 v38, v33, v36
	s_wait_alu 0xf1ff
	v_cndmask_b32_e64 v32, 0, v32, s1
	v_cmp_gt_i32_e64 s1, s27, v34
	v_add_nc_u32_e32 v34, -1, v21
	s_wait_alu 0xf1ff
	s_delay_alu instid0(VALU_DEP_2) | instskip(SKIP_2) | instid1(VALU_DEP_1)
	v_cndmask_b32_e64 v1, 0, v1, s1
	v_cmp_gt_i32_e64 s1, s27, v35
	s_wait_alu 0xf1ff
	v_cndmask_b32_e64 v31, 0, v31, s1
	v_cmp_gt_i32_e64 s1, s27, v37
	s_wait_alu 0xf1ff
	s_delay_alu instid0(VALU_DEP_1) | instskip(SKIP_2) | instid1(VALU_DEP_3)
	v_cndmask_b32_e64 v8, 0, v8, s1
	v_cmp_gt_i32_e64 s1, s27, v34
	v_or_b32_e32 v34, v1, v32
	v_or_b32_e32 v36, v8, v31
	s_wait_alu 0xf1ff
	s_delay_alu instid0(VALU_DEP_3) | instskip(SKIP_2) | instid1(VALU_DEP_1)
	v_cndmask_b32_e64 v30, 0, v30, s1
	v_cmp_gt_i32_e64 s1, s27, v21
	s_wait_alu 0xf1ff
	v_cndmask_b32_e64 v7, 0, v7, s1
	s_delay_alu instid0(VALU_DEP_1)
	v_or_b32_e32 v35, v7, v30
.LBB257_472:                            ;   in Loop: Header=BB257_274 Depth=1
	s_wait_alu 0xfffe
	s_or_b32 exec_lo, exec_lo, s15
	;;#ASMSTART
	v_pk_mul_f16 v1, v29, v38;

	;;#ASMEND
	;;#ASMSTART
	v_pk_mul_f16 v7, v28, v34;

	;;#ASMEND
	;; [unrolled: 4-line block ×4, first 2 shown]
	;;#ASMSTART
	v_pk_add_f16 v1, v1, v7;

	;;#ASMEND
	;;#ASMSTART
	v_pk_add_f16 v1, v1, v8;

	;;#ASMEND
	;; [unrolled: 4-line block ×3, first 2 shown]
	v_and_b32_e32 v7, 0xffff, v1
	v_lshrrev_b32_e32 v1, 16, v1
	;;#ASMSTART
	v_cvt_f32_f16 v7, v7;
	;;#ASMEND
	;;#ASMSTART
	v_cvt_f32_f16 v8, v1;
	;;#ASMEND
	s_and_saveexec_b32 s15, vcc_lo
	s_cbranch_execz .LBB257_273
; %bb.473:                              ;   in Loop: Header=BB257_274 Depth=1
	v_add_co_u32 v5, s1, v5, v20
	s_wait_alu 0xf1ff
	v_add_co_ci_u32_e64 v6, null, 0, v6, s1
	v_dual_mov_b32 v31, 0 :: v_dual_mov_b32 v32, 0
	s_mov_b32 s18, exec_lo
	global_load_b64 v[5:6], v[5:6], off
	global_load_b32 v30, v31, s[10:11]
	s_wait_loadcnt 0x1
	v_and_b32_e32 v1, 0xff, v5
	s_delay_alu instid0(VALU_DEP_1)
	v_cmpx_ne_u16_e32 0, v1
	s_cbranch_execz .LBB257_481
; %bb.474:                              ;   in Loop: Header=BB257_274 Depth=1
	v_mov_b32_e32 v32, 0x8000
	s_mov_b32 s19, exec_lo
	v_cmpx_ne_u16_e32 0x80, v1
	s_cbranch_execz .LBB257_480
; %bb.475:                              ;   in Loop: Header=BB257_274 Depth=1
	v_and_b32_e32 v33, 0x7f, v5
	v_mov_b32_e32 v32, 0x7c01
	s_mov_b32 s20, exec_lo
	s_delay_alu instid0(VALU_DEP_2)
	v_cmpx_ne_u32_e32 0x7f, v33
	s_cbranch_execz .LBB257_479
; %bb.476:                              ;   in Loop: Header=BB257_274 Depth=1
	v_and_b32_e32 v1, 7, v5
	v_lshrrev_b32_e32 v32, 3, v33
	s_mov_b32 s21, exec_lo
	v_cmpx_gt_u32_e32 8, v33
; %bb.477:                              ;   in Loop: Header=BB257_274 Depth=1
	s_delay_alu instid0(VALU_DEP_3) | instskip(NEXT) | instid1(VALU_DEP_1)
	v_clz_i32_u32_e32 v1, v1
	v_min_u32_e32 v1, 32, v1
	s_delay_alu instid0(VALU_DEP_1) | instskip(NEXT) | instid1(VALU_DEP_1)
	v_subrev_nc_u32_e32 v32, 28, v1
	v_lshlrev_b64_e32 v[33:34], v32, v[5:6]
	v_sub_nc_u32_e32 v32, 29, v1
	s_delay_alu instid0(VALU_DEP_2)
	v_and_b32_e32 v1, 7, v33
; %bb.478:                              ;   in Loop: Header=BB257_274 Depth=1
	s_or_b32 exec_lo, exec_lo, s21
	v_lshlrev_b32_e32 v33, 8, v5
	s_delay_alu instid0(VALU_DEP_3) | instskip(NEXT) | instid1(VALU_DEP_3)
	v_lshl_add_u32 v32, v32, 10, 0x2000
	v_lshlrev_b32_e32 v1, 7, v1
	s_delay_alu instid0(VALU_DEP_3) | instskip(NEXT) | instid1(VALU_DEP_3)
	v_and_b32_e32 v33, 0x8000, v33
	v_and_b32_e32 v32, 0xfc00, v32
	s_delay_alu instid0(VALU_DEP_1)
	v_or3_b32 v32, v33, v32, v1
.LBB257_479:                            ;   in Loop: Header=BB257_274 Depth=1
	s_or_b32 exec_lo, exec_lo, s20
.LBB257_480:                            ;   in Loop: Header=BB257_274 Depth=1
	s_delay_alu instid0(SALU_CYCLE_1)
	s_or_b32 exec_lo, exec_lo, s19
.LBB257_481:                            ;   in Loop: Header=BB257_274 Depth=1
	s_delay_alu instid0(SALU_CYCLE_1) | instskip(SKIP_2) | instid1(VALU_DEP_1)
	s_or_b32 exec_lo, exec_lo, s18
	v_lshrrev_b16 v1, 8, v5
	s_mov_b32 s18, exec_lo
	v_cmpx_ne_u16_e32 0, v1
	s_cbranch_execz .LBB257_489
; %bb.482:                              ;   in Loop: Header=BB257_274 Depth=1
	v_bfrev_b32_e32 v31, 1
	s_mov_b32 s19, exec_lo
	v_cmpx_ne_u16_e32 0x80, v1
	s_cbranch_execz .LBB257_488
; %bb.483:                              ;   in Loop: Header=BB257_274 Depth=1
	v_and_b32_e32 v33, 0xffff, v1
	v_mov_b32_e32 v31, 0x7c010000
	s_mov_b32 s20, exec_lo
	s_delay_alu instid0(VALU_DEP_2) | instskip(NEXT) | instid1(VALU_DEP_1)
	v_and_b32_e32 v35, 0x7f, v33
	v_cmpx_ne_u32_e32 0x7f, v35
	s_cbranch_execz .LBB257_487
; %bb.484:                              ;   in Loop: Header=BB257_274 Depth=1
	v_and_b32_e32 v31, 7, v33
	v_lshrrev_b32_e32 v34, 3, v35
	s_mov_b32 s21, exec_lo
	v_cmpx_gt_u32_e32 8, v35
; %bb.485:                              ;   in Loop: Header=BB257_274 Depth=1
	s_delay_alu instid0(VALU_DEP_3) | instskip(NEXT) | instid1(VALU_DEP_1)
	v_clz_i32_u32_e32 v31, v31
	v_min_u32_e32 v31, 32, v31
	s_delay_alu instid0(VALU_DEP_1) | instskip(NEXT) | instid1(VALU_DEP_1)
	v_subrev_nc_u32_e32 v34, 28, v31
	v_lshlrev_b64_e32 v[35:36], v34, v[1:2]
	v_sub_nc_u32_e32 v34, 29, v31
	s_delay_alu instid0(VALU_DEP_2)
	v_and_b32_e32 v31, 7, v35
; %bb.486:                              ;   in Loop: Header=BB257_274 Depth=1
	s_or_b32 exec_lo, exec_lo, s21
	v_lshlrev_b32_e32 v1, 8, v33
	s_delay_alu instid0(VALU_DEP_3) | instskip(NEXT) | instid1(VALU_DEP_3)
	v_lshl_add_u32 v33, v34, 10, 0x2000
	v_lshlrev_b32_e32 v31, 23, v31
	s_delay_alu instid0(VALU_DEP_2) | instskip(NEXT) | instid1(VALU_DEP_1)
	v_and_or_b32 v1, 0x8000, v1, v33
	v_lshl_or_b32 v31, v1, 16, v31
.LBB257_487:                            ;   in Loop: Header=BB257_274 Depth=1
	s_or_b32 exec_lo, exec_lo, s20
.LBB257_488:                            ;   in Loop: Header=BB257_274 Depth=1
	s_delay_alu instid0(SALU_CYCLE_1)
	s_or_b32 exec_lo, exec_lo, s19
.LBB257_489:                            ;   in Loop: Header=BB257_274 Depth=1
	s_delay_alu instid0(SALU_CYCLE_1) | instskip(SKIP_3) | instid1(VALU_DEP_2)
	s_or_b32 exec_lo, exec_lo, s18
	v_lshrrev_b32_e32 v1, 16, v5
	v_mov_b32_e32 v33, 0
	s_mov_b32 s18, exec_lo
	v_dual_mov_b32 v34, 0 :: v_dual_and_b32 v35, 0xff, v1
	s_delay_alu instid0(VALU_DEP_1)
	v_cmpx_ne_u16_e32 0, v35
	s_cbranch_execz .LBB257_497
; %bb.490:                              ;   in Loop: Header=BB257_274 Depth=1
	v_mov_b32_e32 v34, 0x8000
	s_mov_b32 s19, exec_lo
	v_cmpx_ne_u16_e32 0x80, v35
	s_cbranch_execz .LBB257_496
; %bb.491:                              ;   in Loop: Header=BB257_274 Depth=1
	v_bfe_u32 v36, v5, 16, 7
	v_mov_b32_e32 v34, 0x7c01
	s_mov_b32 s20, exec_lo
	s_delay_alu instid0(VALU_DEP_2)
	v_cmpx_ne_u32_e32 0x7f, v36
	s_cbranch_execz .LBB257_495
; %bb.492:                              ;   in Loop: Header=BB257_274 Depth=1
	v_and_b32_e32 v34, 7, v1
	v_lshrrev_b32_e32 v35, 3, v36
	s_mov_b32 s21, exec_lo
	v_cmpx_gt_u32_e32 8, v36
; %bb.493:                              ;   in Loop: Header=BB257_274 Depth=1
	s_delay_alu instid0(VALU_DEP_3) | instskip(NEXT) | instid1(VALU_DEP_1)
	v_clz_i32_u32_e32 v34, v34
	v_min_u32_e32 v36, 32, v34
	s_delay_alu instid0(VALU_DEP_1) | instskip(NEXT) | instid1(VALU_DEP_1)
	v_subrev_nc_u32_e32 v34, 28, v36
	v_lshlrev_b64_e32 v[34:35], v34, v[1:2]
	v_sub_nc_u32_e32 v35, 29, v36
	s_delay_alu instid0(VALU_DEP_2)
	v_and_b32_e32 v34, 7, v34
; %bb.494:                              ;   in Loop: Header=BB257_274 Depth=1
	s_or_b32 exec_lo, exec_lo, s21
	v_lshlrev_b32_e32 v1, 8, v1
	s_delay_alu instid0(VALU_DEP_3) | instskip(NEXT) | instid1(VALU_DEP_3)
	v_lshl_add_u32 v35, v35, 10, 0x2000
	v_lshlrev_b32_e32 v34, 7, v34
	s_delay_alu instid0(VALU_DEP_3) | instskip(NEXT) | instid1(VALU_DEP_3)
	v_and_b32_e32 v1, 0x8000, v1
	v_and_b32_e32 v35, 0xfc00, v35
	s_delay_alu instid0(VALU_DEP_1)
	v_or3_b32 v34, v1, v35, v34
.LBB257_495:                            ;   in Loop: Header=BB257_274 Depth=1
	s_or_b32 exec_lo, exec_lo, s20
.LBB257_496:                            ;   in Loop: Header=BB257_274 Depth=1
	s_delay_alu instid0(SALU_CYCLE_1)
	s_or_b32 exec_lo, exec_lo, s19
.LBB257_497:                            ;   in Loop: Header=BB257_274 Depth=1
	s_delay_alu instid0(SALU_CYCLE_1) | instskip(NEXT) | instid1(SALU_CYCLE_1)
	s_or_b32 exec_lo, exec_lo, s18
	s_mov_b32 s18, exec_lo
	v_cmpx_lt_u32_e32 0xffffff, v5
	s_cbranch_execz .LBB257_505
; %bb.498:                              ;   in Loop: Header=BB257_274 Depth=1
	v_lshrrev_b32_e32 v1, 24, v5
	v_bfrev_b32_e32 v33, 1
	s_mov_b32 s19, exec_lo
	s_delay_alu instid0(VALU_DEP_2)
	v_cmpx_ne_u32_e32 0x80, v1
	s_cbranch_execz .LBB257_504
; %bb.499:                              ;   in Loop: Header=BB257_274 Depth=1
	v_and_b32_e32 v36, 0x7f, v1
	v_mov_b32_e32 v33, 0x7c010000
	s_mov_b32 s20, exec_lo
	s_delay_alu instid0(VALU_DEP_2)
	v_cmpx_ne_u32_e32 0x7f, v36
	s_cbranch_execz .LBB257_503
; %bb.500:                              ;   in Loop: Header=BB257_274 Depth=1
	v_and_b32_e32 v33, 7, v1
	v_lshrrev_b32_e32 v35, 3, v36
	s_mov_b32 s21, exec_lo
	v_cmpx_gt_u32_e32 8, v36
; %bb.501:                              ;   in Loop: Header=BB257_274 Depth=1
	s_delay_alu instid0(VALU_DEP_3) | instskip(NEXT) | instid1(VALU_DEP_1)
	v_clz_i32_u32_e32 v33, v33
	v_min_u32_e32 v33, 32, v33
	s_delay_alu instid0(VALU_DEP_1) | instskip(NEXT) | instid1(VALU_DEP_1)
	v_subrev_nc_u32_e32 v35, 28, v33
	v_lshlrev_b64_e32 v[36:37], v35, v[1:2]
	v_sub_nc_u32_e32 v35, 29, v33
	s_delay_alu instid0(VALU_DEP_2)
	v_and_b32_e32 v33, 7, v36
; %bb.502:                              ;   in Loop: Header=BB257_274 Depth=1
	s_or_b32 exec_lo, exec_lo, s21
	v_lshlrev_b32_e32 v1, 8, v1
	s_delay_alu instid0(VALU_DEP_3) | instskip(NEXT) | instid1(VALU_DEP_3)
	v_lshl_add_u32 v35, v35, 10, 0x2000
	v_lshlrev_b32_e32 v33, 23, v33
	s_delay_alu instid0(VALU_DEP_2) | instskip(NEXT) | instid1(VALU_DEP_1)
	v_and_or_b32 v1, 0x8000, v1, v35
	v_lshl_or_b32 v33, v1, 16, v33
.LBB257_503:                            ;   in Loop: Header=BB257_274 Depth=1
	s_or_b32 exec_lo, exec_lo, s20
.LBB257_504:                            ;   in Loop: Header=BB257_274 Depth=1
	s_delay_alu instid0(SALU_CYCLE_1)
	s_or_b32 exec_lo, exec_lo, s19
.LBB257_505:                            ;   in Loop: Header=BB257_274 Depth=1
	s_delay_alu instid0(SALU_CYCLE_1) | instskip(SKIP_4) | instid1(VALU_DEP_3)
	s_or_b32 exec_lo, exec_lo, s18
	v_dual_mov_b32 v36, 0 :: v_dual_and_b32 v37, 0xff, v6
	v_mov_b32_e32 v1, v6
	v_mov_b32_e32 v35, 0
	s_mov_b32 s18, exec_lo
	v_cmpx_ne_u16_e32 0, v37
	s_cbranch_execz .LBB257_513
; %bb.506:                              ;   in Loop: Header=BB257_274 Depth=1
	v_mov_b32_e32 v36, 0x8000
	s_mov_b32 s19, exec_lo
	v_cmpx_ne_u16_e32 0x80, v37
	s_cbranch_execz .LBB257_512
; %bb.507:                              ;   in Loop: Header=BB257_274 Depth=1
	v_and_b32_e32 v38, 0x7f, v6
	v_mov_b32_e32 v36, 0x7c01
	s_mov_b32 s20, exec_lo
	s_delay_alu instid0(VALU_DEP_2)
	v_cmpx_ne_u32_e32 0x7f, v38
	s_cbranch_execz .LBB257_511
; %bb.508:                              ;   in Loop: Header=BB257_274 Depth=1
	v_and_b32_e32 v36, 7, v6
	v_lshrrev_b32_e32 v37, 3, v38
	s_mov_b32 s21, exec_lo
	v_cmpx_gt_u32_e32 8, v38
; %bb.509:                              ;   in Loop: Header=BB257_274 Depth=1
	s_delay_alu instid0(VALU_DEP_3) | instskip(NEXT) | instid1(VALU_DEP_1)
	v_clz_i32_u32_e32 v36, v36
	v_min_u32_e32 v38, 32, v36
	s_delay_alu instid0(VALU_DEP_1) | instskip(NEXT) | instid1(VALU_DEP_1)
	v_subrev_nc_u32_e32 v36, 28, v38
	v_lshlrev_b64_e32 v[36:37], v36, v[1:2]
	v_sub_nc_u32_e32 v37, 29, v38
	s_delay_alu instid0(VALU_DEP_2)
	v_and_b32_e32 v36, 7, v36
; %bb.510:                              ;   in Loop: Header=BB257_274 Depth=1
	s_or_b32 exec_lo, exec_lo, s21
	v_lshlrev_b32_e32 v38, 8, v6
	s_delay_alu instid0(VALU_DEP_3) | instskip(NEXT) | instid1(VALU_DEP_3)
	v_lshl_add_u32 v37, v37, 10, 0x2000
	v_lshlrev_b32_e32 v36, 7, v36
	s_delay_alu instid0(VALU_DEP_3) | instskip(NEXT) | instid1(VALU_DEP_3)
	v_and_b32_e32 v38, 0x8000, v38
	v_and_b32_e32 v37, 0xfc00, v37
	s_delay_alu instid0(VALU_DEP_1)
	v_or3_b32 v36, v38, v37, v36
.LBB257_511:                            ;   in Loop: Header=BB257_274 Depth=1
	s_or_b32 exec_lo, exec_lo, s20
.LBB257_512:                            ;   in Loop: Header=BB257_274 Depth=1
	s_delay_alu instid0(SALU_CYCLE_1)
	s_or_b32 exec_lo, exec_lo, s19
.LBB257_513:                            ;   in Loop: Header=BB257_274 Depth=1
	s_delay_alu instid0(SALU_CYCLE_1) | instskip(SKIP_3) | instid1(VALU_DEP_2)
	s_or_b32 exec_lo, exec_lo, s18
	v_lshrrev_b16 v1, 8, v1
	v_mov_b32_e32 v37, 0
	s_mov_b32 s18, exec_lo
	v_cmpx_ne_u16_e32 0, v1
	s_cbranch_execz .LBB257_521
; %bb.514:                              ;   in Loop: Header=BB257_274 Depth=1
	v_bfrev_b32_e32 v37, 1
	s_mov_b32 s19, exec_lo
	v_cmpx_ne_u16_e32 0x80, v1
	s_cbranch_execz .LBB257_520
; %bb.515:                              ;   in Loop: Header=BB257_274 Depth=1
	v_and_b32_e32 v38, 0xffff, v1
	v_mov_b32_e32 v37, 0x7c010000
	s_mov_b32 s20, exec_lo
	s_delay_alu instid0(VALU_DEP_2) | instskip(NEXT) | instid1(VALU_DEP_1)
	v_and_b32_e32 v40, 0x7f, v38
	v_cmpx_ne_u32_e32 0x7f, v40
	s_cbranch_execz .LBB257_519
; %bb.516:                              ;   in Loop: Header=BB257_274 Depth=1
	v_and_b32_e32 v37, 7, v38
	v_lshrrev_b32_e32 v39, 3, v40
	s_mov_b32 s21, exec_lo
	v_cmpx_gt_u32_e32 8, v40
; %bb.517:                              ;   in Loop: Header=BB257_274 Depth=1
	s_delay_alu instid0(VALU_DEP_3) | instskip(NEXT) | instid1(VALU_DEP_1)
	v_clz_i32_u32_e32 v37, v37
	v_min_u32_e32 v37, 32, v37
	s_delay_alu instid0(VALU_DEP_1) | instskip(NEXT) | instid1(VALU_DEP_1)
	v_subrev_nc_u32_e32 v39, 28, v37
	v_lshlrev_b64_e32 v[40:41], v39, v[1:2]
	v_sub_nc_u32_e32 v39, 29, v37
	s_delay_alu instid0(VALU_DEP_2)
	v_and_b32_e32 v37, 7, v40
; %bb.518:                              ;   in Loop: Header=BB257_274 Depth=1
	s_or_b32 exec_lo, exec_lo, s21
	v_lshlrev_b32_e32 v1, 8, v38
	s_delay_alu instid0(VALU_DEP_3) | instskip(NEXT) | instid1(VALU_DEP_3)
	v_lshl_add_u32 v38, v39, 10, 0x2000
	v_lshlrev_b32_e32 v37, 23, v37
	s_delay_alu instid0(VALU_DEP_2) | instskip(NEXT) | instid1(VALU_DEP_1)
	v_and_or_b32 v1, 0x8000, v1, v38
	v_lshl_or_b32 v37, v1, 16, v37
.LBB257_519:                            ;   in Loop: Header=BB257_274 Depth=1
	s_or_b32 exec_lo, exec_lo, s20
.LBB257_520:                            ;   in Loop: Header=BB257_274 Depth=1
	s_delay_alu instid0(SALU_CYCLE_1)
	s_or_b32 exec_lo, exec_lo, s19
.LBB257_521:                            ;   in Loop: Header=BB257_274 Depth=1
	s_delay_alu instid0(SALU_CYCLE_1) | instskip(SKIP_2) | instid1(VALU_DEP_1)
	s_or_b32 exec_lo, exec_lo, s18
	v_lshrrev_b32_e32 v1, 16, v6
	s_mov_b32 s18, exec_lo
	v_and_b32_e32 v38, 0xff, v1
	s_delay_alu instid0(VALU_DEP_1)
	v_cmpx_ne_u16_e32 0, v38
	s_cbranch_execz .LBB257_529
; %bb.522:                              ;   in Loop: Header=BB257_274 Depth=1
	v_mov_b32_e32 v35, 0x8000
	s_mov_b32 s19, exec_lo
	v_cmpx_ne_u16_e32 0x80, v38
	s_cbranch_execz .LBB257_528
; %bb.523:                              ;   in Loop: Header=BB257_274 Depth=1
	v_bfe_u32 v39, v6, 16, 7
	v_mov_b32_e32 v35, 0x7c01
	s_mov_b32 s20, exec_lo
	s_delay_alu instid0(VALU_DEP_2)
	v_cmpx_ne_u32_e32 0x7f, v39
	s_cbranch_execz .LBB257_527
; %bb.524:                              ;   in Loop: Header=BB257_274 Depth=1
	v_and_b32_e32 v35, 7, v1
	v_lshrrev_b32_e32 v38, 3, v39
	s_mov_b32 s21, exec_lo
	v_cmpx_gt_u32_e32 8, v39
; %bb.525:                              ;   in Loop: Header=BB257_274 Depth=1
	s_delay_alu instid0(VALU_DEP_3) | instskip(NEXT) | instid1(VALU_DEP_1)
	v_clz_i32_u32_e32 v35, v35
	v_min_u32_e32 v35, 32, v35
	s_delay_alu instid0(VALU_DEP_1) | instskip(NEXT) | instid1(VALU_DEP_1)
	v_subrev_nc_u32_e32 v38, 28, v35
	v_lshlrev_b64_e32 v[39:40], v38, v[1:2]
	v_sub_nc_u32_e32 v38, 29, v35
	s_delay_alu instid0(VALU_DEP_2)
	v_and_b32_e32 v35, 7, v39
; %bb.526:                              ;   in Loop: Header=BB257_274 Depth=1
	s_or_b32 exec_lo, exec_lo, s21
	v_lshlrev_b32_e32 v1, 8, v1
	s_delay_alu instid0(VALU_DEP_3) | instskip(NEXT) | instid1(VALU_DEP_3)
	v_lshl_add_u32 v38, v38, 10, 0x2000
	v_lshlrev_b32_e32 v35, 7, v35
	s_delay_alu instid0(VALU_DEP_3) | instskip(NEXT) | instid1(VALU_DEP_3)
	v_and_b32_e32 v1, 0x8000, v1
	v_and_b32_e32 v38, 0xfc00, v38
	s_delay_alu instid0(VALU_DEP_1)
	v_or3_b32 v35, v1, v38, v35
.LBB257_527:                            ;   in Loop: Header=BB257_274 Depth=1
	s_or_b32 exec_lo, exec_lo, s20
.LBB257_528:                            ;   in Loop: Header=BB257_274 Depth=1
	s_delay_alu instid0(SALU_CYCLE_1)
	s_or_b32 exec_lo, exec_lo, s19
.LBB257_529:                            ;   in Loop: Header=BB257_274 Depth=1
	s_delay_alu instid0(SALU_CYCLE_1)
	s_or_b32 exec_lo, exec_lo, s18
	v_cmp_lt_u64_e64 s1, s[4:5], v[5:6]
	v_mov_b32_e32 v5, 0
	s_and_saveexec_b32 s18, s1
	s_cbranch_execz .LBB257_537
; %bb.530:                              ;   in Loop: Header=BB257_274 Depth=1
	v_lshrrev_b32_e32 v1, 24, v6
	v_bfrev_b32_e32 v5, 1
	s_mov_b32 s19, exec_lo
	s_delay_alu instid0(VALU_DEP_2)
	v_cmpx_ne_u32_e32 0x80, v1
	s_cbranch_execz .LBB257_536
; %bb.531:                              ;   in Loop: Header=BB257_274 Depth=1
	v_and_b32_e32 v38, 0x7f, v1
	v_mov_b32_e32 v5, 0x7c010000
	s_mov_b32 s20, exec_lo
	s_delay_alu instid0(VALU_DEP_2)
	v_cmpx_ne_u32_e32 0x7f, v38
	s_cbranch_execz .LBB257_535
; %bb.532:                              ;   in Loop: Header=BB257_274 Depth=1
	v_and_b32_e32 v5, 7, v1
	v_lshrrev_b32_e32 v6, 3, v38
	s_mov_b32 s21, exec_lo
	v_cmpx_gt_u32_e32 8, v38
; %bb.533:                              ;   in Loop: Header=BB257_274 Depth=1
	s_delay_alu instid0(VALU_DEP_3) | instskip(NEXT) | instid1(VALU_DEP_1)
	v_clz_i32_u32_e32 v5, v5
	v_min_u32_e32 v38, 32, v5
	s_delay_alu instid0(VALU_DEP_1) | instskip(NEXT) | instid1(VALU_DEP_1)
	v_subrev_nc_u32_e32 v5, 28, v38
	v_lshlrev_b64_e32 v[5:6], v5, v[1:2]
	v_sub_nc_u32_e32 v6, 29, v38
	s_delay_alu instid0(VALU_DEP_2)
	v_and_b32_e32 v5, 7, v5
; %bb.534:                              ;   in Loop: Header=BB257_274 Depth=1
	s_or_b32 exec_lo, exec_lo, s21
	v_lshlrev_b32_e32 v1, 8, v1
	s_delay_alu instid0(VALU_DEP_3) | instskip(NEXT) | instid1(VALU_DEP_3)
	v_lshl_add_u32 v6, v6, 10, 0x2000
	v_lshlrev_b32_e32 v5, 23, v5
	s_delay_alu instid0(VALU_DEP_2) | instskip(NEXT) | instid1(VALU_DEP_1)
	v_and_or_b32 v1, 0x8000, v1, v6
	v_lshl_or_b32 v5, v1, 16, v5
.LBB257_535:                            ;   in Loop: Header=BB257_274 Depth=1
	s_or_b32 exec_lo, exec_lo, s20
.LBB257_536:                            ;   in Loop: Header=BB257_274 Depth=1
	s_delay_alu instid0(SALU_CYCLE_1)
	s_or_b32 exec_lo, exec_lo, s19
.LBB257_537:                            ;   in Loop: Header=BB257_274 Depth=1
	s_delay_alu instid0(SALU_CYCLE_1)
	s_or_b32 exec_lo, exec_lo, s18
	v_or_b32_e32 v1, v33, v34
	s_wait_loadcnt 0x0
	v_fma_mixlo_f16 v6, v30, v33, 0 op_sel:[0,1,0] op_sel_hi:[0,1,0]
	v_or_b32_e32 v32, v31, v32
	v_fma_mixlo_f16 v31, v30, v31, 0 op_sel:[0,1,0] op_sel_hi:[0,1,0]
	v_or_b32_e32 v34, v37, v36
	v_or_b32_e32 v35, v5, v35
	v_fma_mixlo_f16 v36, v30, v1, 0 op_sel_hi:[0,1,0]
	v_lshlrev_b32_e32 v1, 16, v6
	v_lshlrev_b32_e32 v33, 16, v31
	v_fma_mixlo_f16 v6, v30, v32, 0 op_sel_hi:[0,1,0]
	v_fma_mixlo_f16 v31, v30, v37, 0 op_sel:[0,1,0] op_sel_hi:[0,1,0]
	v_fma_mixlo_f16 v34, v30, v34, 0 op_sel_hi:[0,1,0]
	v_fma_mixlo_f16 v5, v30, v5, 0 op_sel:[0,1,0] op_sel_hi:[0,1,0]
	v_fma_mixlo_f16 v30, v30, v35, 0 op_sel_hi:[0,1,0]
	v_and_b32_e32 v32, 0xffff, v36
	v_and_b32_e32 v38, 0xffff, v6
	v_lshlrev_b32_e32 v6, 16, v31
	v_and_b32_e32 v31, 0xffff, v34
	v_lshlrev_b32_e32 v5, 16, v5
	v_and_b32_e32 v30, 0xffff, v30
	v_or_b32_e32 v36, v1, v32
	v_or_b32_e32 v37, v33, v38
	;; [unrolled: 1-line block ×3, first 2 shown]
	s_delay_alu instid0(VALU_DEP_4)
	v_or_b32_e32 v34, v5, v30
	s_and_saveexec_b32 s1, s0
	s_cbranch_execz .LBB257_272
; %bb.538:                              ;   in Loop: Header=BB257_274 Depth=1
	v_add_nc_u32_e32 v34, -6, v21
	v_cmp_gt_i32_e64 s0, s27, v23
	v_add_nc_u32_e32 v35, -5, v21
	v_add_nc_u32_e32 v36, -2, v21
	s_wait_alu 0xf1ff
	s_delay_alu instid0(VALU_DEP_3) | instskip(SKIP_3) | instid1(VALU_DEP_2)
	v_cndmask_b32_e64 v23, 0, v38, s0
	v_cmp_gt_i32_e64 s0, s27, v34
	v_add_nc_u32_e32 v34, -4, v21
	s_wait_alu 0xf1ff
	v_cndmask_b32_e64 v33, 0, v33, s0
	v_cmp_gt_i32_e64 s0, s27, v35
	v_add_nc_u32_e32 v35, -3, v21
	s_delay_alu instid0(VALU_DEP_3) | instskip(SKIP_1) | instid1(VALU_DEP_3)
	v_or_b32_e32 v37, v33, v23
	s_wait_alu 0xf1ff
	v_cndmask_b32_e64 v32, 0, v32, s0
	v_cmp_gt_i32_e64 s0, s27, v34
	v_add_nc_u32_e32 v34, -1, v21
	s_wait_alu 0xf1ff
	s_delay_alu instid0(VALU_DEP_2) | instskip(SKIP_2) | instid1(VALU_DEP_1)
	v_cndmask_b32_e64 v1, 0, v1, s0
	v_cmp_gt_i32_e64 s0, s27, v35
	s_wait_alu 0xf1ff
	v_cndmask_b32_e64 v31, 0, v31, s0
	v_cmp_gt_i32_e64 s0, s27, v36
	v_or_b32_e32 v36, v1, v32
	s_wait_alu 0xf1ff
	s_delay_alu instid0(VALU_DEP_2) | instskip(SKIP_1) | instid1(VALU_DEP_2)
	v_cndmask_b32_e64 v6, 0, v6, s0
	v_cmp_gt_i32_e64 s0, s27, v34
	v_or_b32_e32 v35, v6, v31
	s_wait_alu 0xf1ff
	s_delay_alu instid0(VALU_DEP_2) | instskip(SKIP_2) | instid1(VALU_DEP_1)
	v_cndmask_b32_e64 v30, 0, v30, s0
	v_cmp_gt_i32_e64 s0, s27, v21
	s_wait_alu 0xf1ff
	v_cndmask_b32_e64 v5, 0, v5, s0
	s_delay_alu instid0(VALU_DEP_1)
	v_or_b32_e32 v34, v5, v30
	s_branch .LBB257_272
.LBB257_539:
	s_or_b32 exec_lo, exec_lo, s13
.LBB257_540:
	s_wait_alu 0xfffe
	s_or_b32 exec_lo, exec_lo, s6
	s_movk_i32 s0, 0x1e0
	v_and_b32_e32 v1, 0x3c0, v0
	s_wait_alu 0xfffe
	v_mad_u32_u24 v4, v11, s0, 0x110
	v_or_b32_e32 v3, 0x60, v0
	s_mov_b32 s0, exec_lo
	s_wait_loadcnt 0x0
	s_wait_storecnt 0x0
	s_barrier_signal -1
	s_barrier_wait -1
	global_inv scope:SCOPE_SE
	v_cmpx_eq_u32_e32 64, v1
	s_cbranch_execz .LBB257_543
; %bb.541:
	v_add_nc_u32_e32 v1, 0xfffffc40, v4
	v_cmp_gt_u32_e32 vcc_lo, 0x78, v3
	s_delay_alu instid0(VALU_DEP_2)
	v_lshl_add_u32 v2, v13, 2, v1
	ds_store_2addr_b32 v2, v18, v17 offset1:32
	ds_store_b32 v2, v16 offset:256
	s_and_b32 exec_lo, exec_lo, vcc_lo
; %bb.542:
	v_lshl_add_u32 v1, v3, 2, v1
	ds_store_b32 v1, v15
.LBB257_543:
	s_wait_alu 0xfffe
	s_or_b32 exec_lo, exec_lo, s0
	v_lshl_add_u32 v5, v13, 2, v4
	s_mov_b32 s0, exec_lo
	s_wait_loadcnt_dscnt 0x0
	s_barrier_signal -1
	s_barrier_wait -1
	global_inv scope:SCOPE_SE
	v_cmpx_gt_u32_e32 64, v0
	s_cbranch_execz .LBB257_547
; %bb.544:
	v_lshl_or_b32 v1, v0, 2, 0x80
	s_mov_b32 s1, exec_lo
	s_delay_alu instid0(VALU_DEP_1)
	v_add_nc_u32_e32 v6, v4, v1
	ds_load_2addr_stride64_b32 v[1:2], v5 offset1:1
	ds_load_b32 v6, v6
	v_cmpx_gt_u32_e32 0x78, v3
	s_cbranch_execz .LBB257_546
; %bb.545:
	v_lshl_add_u32 v7, v3, 2, v4
	ds_load_b32 v7, v7
	s_wait_dscnt 0x0
	v_add_f32_e32 v15, v15, v7
.LBB257_546:
	s_wait_alu 0xfffe
	s_or_b32 exec_lo, exec_lo, s1
	s_wait_dscnt 0x0
	v_dual_add_f32 v18, v18, v1 :: v_dual_add_f32 v17, v17, v6
	v_add_f32_e32 v16, v16, v2
.LBB257_547:
	s_wait_alu 0xfffe
	s_or_b32 exec_lo, exec_lo, s0
	v_and_b32_e32 v1, 0x3e0, v0
	s_mov_b32 s0, exec_lo
	s_wait_loadcnt 0x0
	s_barrier_signal -1
	s_barrier_wait -1
	global_inv scope:SCOPE_SE
	v_cmpx_eq_u32_e32 32, v1
	s_cbranch_execz .LBB257_550
; %bb.548:
	v_lshl_add_u32 v1, v13, 2, 0x110
	v_cmp_gt_u32_e32 vcc_lo, 0x78, v3
	ds_store_b32 v1, v18
	ds_store_b32 v14, v17
	ds_store_b32 v1, v16 offset:256
	s_and_b32 exec_lo, exec_lo, vcc_lo
; %bb.549:
	v_lshl_add_u32 v1, v3, 2, 0x110
	ds_store_b32 v1, v15
.LBB257_550:
	s_wait_alu 0xfffe
	s_or_b32 exec_lo, exec_lo, s0
	v_cmp_gt_u32_e32 vcc_lo, 32, v0
	s_wait_loadcnt_dscnt 0x0
	s_barrier_signal -1
	s_barrier_wait -1
	global_inv scope:SCOPE_SE
	s_and_saveexec_b32 s1, vcc_lo
	s_cbranch_execz .LBB257_554
; %bb.551:
	v_lshl_add_u32 v6, v0, 2, v4
	s_mov_b32 s2, exec_lo
	ds_load_b32 v4, v5
	ds_load_2addr_b32 v[1:2], v6 offset0:32 offset1:64
	v_cmpx_gt_u32_e32 0x78, v3
	s_cbranch_execz .LBB257_553
; %bb.552:
	ds_load_b32 v5, v6 offset:384
	s_wait_dscnt 0x0
	v_add_f32_e32 v15, v15, v5
.LBB257_553:
	s_wait_alu 0xfffe
	s_or_b32 exec_lo, exec_lo, s2
	s_wait_dscnt 0x0
	v_dual_add_f32 v18, v18, v4 :: v_dual_add_f32 v17, v17, v1
	v_add_f32_e32 v16, v16, v2
.LBB257_554:
	s_wait_alu 0xfffe
	s_or_b32 exec_lo, exec_lo, s1
	s_wait_loadcnt 0x0
	s_barrier_signal -1
	s_barrier_wait -1
	global_inv scope:SCOPE_SE
	s_and_saveexec_b32 s0, vcc_lo
	s_cbranch_execz .LBB257_557
; %bb.555:
	s_mul_i32 s0, s14, 0x78
	s_mul_i32 s2, s12, s16
	s_wait_alu 0xfffe
	s_ashr_i32 s1, s0, 31
	s_ashr_i32 s3, s2, 31
	s_wait_alu 0xfffe
	s_lshl_b64 s[0:1], s[0:1], 1
	s_lshl_b64 s[2:3], s[2:3], 1
	s_wait_kmcnt 0x0
	s_wait_alu 0xfffe
	s_add_nc_u64 s[0:1], s[8:9], s[0:1]
	v_lshlrev_b32_e32 v0, 1, v0
	s_mul_i32 s4, s26, 0xf0
	s_wait_alu 0xfffe
	s_add_nc_u64 s[0:1], s[0:1], s[2:3]
	s_mov_b32 s5, 0
	v_cmp_gt_u32_e32 vcc_lo, 0x78, v3
	s_wait_alu 0xfffe
	s_add_nc_u64 s[0:1], s[0:1], s[4:5]
	;;#ASMSTART
	v_cvt_f16_f32 v1, v18;

	;;#ASMEND
	global_store_b16 v0, v1, s[0:1]
	;;#ASMSTART
	v_cvt_f16_f32 v1, v17;

	;;#ASMEND
	global_store_b16 v0, v1, s[0:1] offset:64
	;;#ASMSTART
	v_cvt_f16_f32 v1, v16;

	;;#ASMEND
	global_store_b16 v0, v1, s[0:1] offset:128
	s_and_b32 exec_lo, exec_lo, vcc_lo
	s_cbranch_execz .LBB257_557
; %bb.556:
	s_wait_alu 0xfffe
	v_add_co_u32 v0, s0, s0, v0
	s_wait_alu 0xf1ff
	v_add_co_ci_u32_e64 v1, null, s1, 0, s0
	;;#ASMSTART
	v_cvt_f16_f32 v2, v15;

	;;#ASMEND
	global_store_b16 v[0:1], v2, off offset:192
.LBB257_557:
	s_endpgm
	.section	.rodata,"a",@progbits
	.p2align	6, 0x0
	.amdhsa_kernel _ZN4vllm25paged_attention_v2_kernelIthLi120ELi8ELi128ELNS_18Fp8KVCacheDataTypeE1ELb0ELi512EEEvPfS2_PT_PKS3_PKT0_S9_ifPKiSB_iPKfiiiSD_SD_iiiii
		.amdhsa_group_segment_fixed_size 272
		.amdhsa_private_segment_fixed_size 0
		.amdhsa_kernarg_size 400
		.amdhsa_user_sgpr_count 2
		.amdhsa_user_sgpr_dispatch_ptr 0
		.amdhsa_user_sgpr_queue_ptr 0
		.amdhsa_user_sgpr_kernarg_segment_ptr 1
		.amdhsa_user_sgpr_dispatch_id 0
		.amdhsa_user_sgpr_private_segment_size 0
		.amdhsa_wavefront_size32 1
		.amdhsa_uses_dynamic_stack 0
		.amdhsa_enable_private_segment 0
		.amdhsa_system_sgpr_workgroup_id_x 1
		.amdhsa_system_sgpr_workgroup_id_y 1
		.amdhsa_system_sgpr_workgroup_id_z 1
		.amdhsa_system_sgpr_workgroup_info 0
		.amdhsa_system_vgpr_workitem_id 0
		.amdhsa_next_free_vgpr 74
		.amdhsa_next_free_sgpr 38
		.amdhsa_reserve_vcc 1
		.amdhsa_float_round_mode_32 0
		.amdhsa_float_round_mode_16_64 0
		.amdhsa_float_denorm_mode_32 3
		.amdhsa_float_denorm_mode_16_64 3
		.amdhsa_fp16_overflow 0
		.amdhsa_workgroup_processor_mode 1
		.amdhsa_memory_ordered 1
		.amdhsa_forward_progress 1
		.amdhsa_inst_pref_size 162
		.amdhsa_round_robin_scheduling 0
		.amdhsa_exception_fp_ieee_invalid_op 0
		.amdhsa_exception_fp_denorm_src 0
		.amdhsa_exception_fp_ieee_div_zero 0
		.amdhsa_exception_fp_ieee_overflow 0
		.amdhsa_exception_fp_ieee_underflow 0
		.amdhsa_exception_fp_ieee_inexact 0
		.amdhsa_exception_int_div_zero 0
	.end_amdhsa_kernel
	.section	.text._ZN4vllm25paged_attention_v2_kernelIthLi120ELi8ELi128ELNS_18Fp8KVCacheDataTypeE1ELb0ELi512EEEvPfS2_PT_PKS3_PKT0_S9_ifPKiSB_iPKfiiiSD_SD_iiiii,"axG",@progbits,_ZN4vllm25paged_attention_v2_kernelIthLi120ELi8ELi128ELNS_18Fp8KVCacheDataTypeE1ELb0ELi512EEEvPfS2_PT_PKS3_PKT0_S9_ifPKiSB_iPKfiiiSD_SD_iiiii,comdat
.Lfunc_end257:
	.size	_ZN4vllm25paged_attention_v2_kernelIthLi120ELi8ELi128ELNS_18Fp8KVCacheDataTypeE1ELb0ELi512EEEvPfS2_PT_PKS3_PKT0_S9_ifPKiSB_iPKfiiiSD_SD_iiiii, .Lfunc_end257-_ZN4vllm25paged_attention_v2_kernelIthLi120ELi8ELi128ELNS_18Fp8KVCacheDataTypeE1ELb0ELi512EEEvPfS2_PT_PKS3_PKT0_S9_ifPKiSB_iPKfiiiSD_SD_iiiii
                                        ; -- End function
	.set _ZN4vllm25paged_attention_v2_kernelIthLi120ELi8ELi128ELNS_18Fp8KVCacheDataTypeE1ELb0ELi512EEEvPfS2_PT_PKS3_PKT0_S9_ifPKiSB_iPKfiiiSD_SD_iiiii.num_vgpr, 74
	.set _ZN4vllm25paged_attention_v2_kernelIthLi120ELi8ELi128ELNS_18Fp8KVCacheDataTypeE1ELb0ELi512EEEvPfS2_PT_PKS3_PKT0_S9_ifPKiSB_iPKfiiiSD_SD_iiiii.num_agpr, 0
	.set _ZN4vllm25paged_attention_v2_kernelIthLi120ELi8ELi128ELNS_18Fp8KVCacheDataTypeE1ELb0ELi512EEEvPfS2_PT_PKS3_PKT0_S9_ifPKiSB_iPKfiiiSD_SD_iiiii.numbered_sgpr, 38
	.set _ZN4vllm25paged_attention_v2_kernelIthLi120ELi8ELi128ELNS_18Fp8KVCacheDataTypeE1ELb0ELi512EEEvPfS2_PT_PKS3_PKT0_S9_ifPKiSB_iPKfiiiSD_SD_iiiii.num_named_barrier, 0
	.set _ZN4vllm25paged_attention_v2_kernelIthLi120ELi8ELi128ELNS_18Fp8KVCacheDataTypeE1ELb0ELi512EEEvPfS2_PT_PKS3_PKT0_S9_ifPKiSB_iPKfiiiSD_SD_iiiii.private_seg_size, 0
	.set _ZN4vllm25paged_attention_v2_kernelIthLi120ELi8ELi128ELNS_18Fp8KVCacheDataTypeE1ELb0ELi512EEEvPfS2_PT_PKS3_PKT0_S9_ifPKiSB_iPKfiiiSD_SD_iiiii.uses_vcc, 1
	.set _ZN4vllm25paged_attention_v2_kernelIthLi120ELi8ELi128ELNS_18Fp8KVCacheDataTypeE1ELb0ELi512EEEvPfS2_PT_PKS3_PKT0_S9_ifPKiSB_iPKfiiiSD_SD_iiiii.uses_flat_scratch, 0
	.set _ZN4vllm25paged_attention_v2_kernelIthLi120ELi8ELi128ELNS_18Fp8KVCacheDataTypeE1ELb0ELi512EEEvPfS2_PT_PKS3_PKT0_S9_ifPKiSB_iPKfiiiSD_SD_iiiii.has_dyn_sized_stack, 0
	.set _ZN4vllm25paged_attention_v2_kernelIthLi120ELi8ELi128ELNS_18Fp8KVCacheDataTypeE1ELb0ELi512EEEvPfS2_PT_PKS3_PKT0_S9_ifPKiSB_iPKfiiiSD_SD_iiiii.has_recursion, 0
	.set _ZN4vllm25paged_attention_v2_kernelIthLi120ELi8ELi128ELNS_18Fp8KVCacheDataTypeE1ELb0ELi512EEEvPfS2_PT_PKS3_PKT0_S9_ifPKiSB_iPKfiiiSD_SD_iiiii.has_indirect_call, 0
	.section	.AMDGPU.csdata,"",@progbits
; Kernel info:
; codeLenInByte = 20668
; TotalNumSgprs: 40
; NumVgprs: 74
; ScratchSize: 0
; MemoryBound: 0
; FloatMode: 240
; IeeeMode: 1
; LDSByteSize: 272 bytes/workgroup (compile time only)
; SGPRBlocks: 0
; VGPRBlocks: 9
; NumSGPRsForWavesPerEU: 40
; NumVGPRsForWavesPerEU: 74
; Occupancy: 16
; WaveLimiterHint : 1
; COMPUTE_PGM_RSRC2:SCRATCH_EN: 0
; COMPUTE_PGM_RSRC2:USER_SGPR: 2
; COMPUTE_PGM_RSRC2:TRAP_HANDLER: 0
; COMPUTE_PGM_RSRC2:TGID_X_EN: 1
; COMPUTE_PGM_RSRC2:TGID_Y_EN: 1
; COMPUTE_PGM_RSRC2:TGID_Z_EN: 1
; COMPUTE_PGM_RSRC2:TIDIG_COMP_CNT: 0
	.section	.text._ZN4vllm25paged_attention_v2_kernelIthLi128ELi8ELi128ELNS_18Fp8KVCacheDataTypeE1ELb0ELi512EEEvPfS2_PT_PKS3_PKT0_S9_ifPKiSB_iPKfiiiSD_SD_iiiii,"axG",@progbits,_ZN4vllm25paged_attention_v2_kernelIthLi128ELi8ELi128ELNS_18Fp8KVCacheDataTypeE1ELb0ELi512EEEvPfS2_PT_PKS3_PKT0_S9_ifPKiSB_iPKfiiiSD_SD_iiiii,comdat
	.protected	_ZN4vllm25paged_attention_v2_kernelIthLi128ELi8ELi128ELNS_18Fp8KVCacheDataTypeE1ELb0ELi512EEEvPfS2_PT_PKS3_PKT0_S9_ifPKiSB_iPKfiiiSD_SD_iiiii ; -- Begin function _ZN4vllm25paged_attention_v2_kernelIthLi128ELi8ELi128ELNS_18Fp8KVCacheDataTypeE1ELb0ELi512EEEvPfS2_PT_PKS3_PKT0_S9_ifPKiSB_iPKfiiiSD_SD_iiiii
	.globl	_ZN4vllm25paged_attention_v2_kernelIthLi128ELi8ELi128ELNS_18Fp8KVCacheDataTypeE1ELb0ELi512EEEvPfS2_PT_PKS3_PKT0_S9_ifPKiSB_iPKfiiiSD_SD_iiiii
	.p2align	8
	.type	_ZN4vllm25paged_attention_v2_kernelIthLi128ELi8ELi128ELNS_18Fp8KVCacheDataTypeE1ELb0ELi512EEEvPfS2_PT_PKS3_PKT0_S9_ifPKiSB_iPKfiiiSD_SD_iiiii,@function
_ZN4vllm25paged_attention_v2_kernelIthLi128ELi8ELi128ELNS_18Fp8KVCacheDataTypeE1ELb0ELi512EEEvPfS2_PT_PKS3_PKT0_S9_ifPKiSB_iPKfiiiSD_SD_iiiii: ; @_ZN4vllm25paged_attention_v2_kernelIthLi128ELi8ELi128ELNS_18Fp8KVCacheDataTypeE1ELb0ELi512EEEvPfS2_PT_PKS3_PKT0_S9_ifPKiSB_iPKfiiiSD_SD_iiiii
; %bb.0:
	s_load_b64 s[2:3], s[0:1], 0x40
	s_and_b32 s29, ttmp7, 0xffff
	s_lshr_b32 s26, ttmp7, 16
	s_lshl_b32 s4, s29, 2
	s_lshl_b32 s28, s26, 9
	s_wait_kmcnt 0x0
	s_load_b32 s27, s[2:3], s4 offset:0x0
	s_wait_kmcnt 0x0
	s_cmp_ge_i32 s28, s27
	s_cbranch_scc1 .LBB258_564
; %bb.1:
	s_clause 0x1
	s_load_b32 s30, s[0:1], 0x90
	s_load_b64 s[6:7], s[0:1], 0x30
	s_wait_kmcnt 0x0
	s_abs_i32 s5, s30
	s_abs_i32 s2, s6
	s_delay_alu instid0(SALU_CYCLE_1) | instskip(SKIP_1) | instid1(SALU_CYCLE_2)
	s_cvt_f32_u32 s3, s2
	s_sub_co_i32 s4, 0, s2
	v_rcp_iflag_f32_e32 v1, s3
	s_delay_alu instid0(TRANS32_DEP_1) | instskip(SKIP_2) | instid1(SALU_CYCLE_2)
	v_readfirstlane_b32 s3, v1
	s_mul_f32 s3, s3, 0x4f7ffffe
	s_wait_alu 0xfffe
	s_cvt_u32_f32 s3, s3
	s_wait_alu 0xfffe
	s_delay_alu instid0(SALU_CYCLE_2) | instskip(NEXT) | instid1(SALU_CYCLE_1)
	s_mul_i32 s4, s4, s3
	s_mul_hi_u32 s4, s3, s4
	s_delay_alu instid0(SALU_CYCLE_1)
	s_add_co_i32 s3, s3, s4
	s_xor_b32 s4, s30, s6
	s_wait_alu 0xfffe
	s_mul_hi_u32 s3, s5, s3
	s_ashr_i32 s4, s4, 31
	s_wait_alu 0xfffe
	s_mul_i32 s6, s3, s2
	s_delay_alu instid0(SALU_CYCLE_1)
	s_sub_co_i32 s5, s5, s6
	s_add_co_i32 s6, s3, 1
	s_sub_co_i32 s8, s5, s2
	s_cmp_ge_u32 s5, s2
	s_cselect_b32 s3, s6, s3
	s_cselect_b32 s5, s8, s5
	s_wait_alu 0xfffe
	s_add_co_i32 s6, s3, 1
	s_cmp_ge_u32 s5, s2
	s_load_b64 s[8:9], s[0:1], 0x50
	s_cselect_b32 s2, s6, s3
	s_mov_b32 s5, 0
	s_wait_alu 0xfffe
	s_xor_b32 s2, s2, s4
	s_mov_b32 s12, s5
	s_wait_alu 0xfffe
	s_sub_co_i32 s10, s2, s4
	s_abs_i32 s4, ttmp9
	s_abs_i32 s6, s10
	s_delay_alu instid0(SALU_CYCLE_1) | instskip(SKIP_2) | instid1(SALU_CYCLE_1)
	s_cvt_f32_u32 s2, s6
	s_sub_co_i32 s3, 0, s6
	s_wait_alu 0xfffe
	v_rcp_iflag_f32_e32 v1, s2
	s_delay_alu instid0(TRANS32_DEP_1) | instskip(SKIP_2) | instid1(SALU_CYCLE_2)
	v_readfirstlane_b32 s2, v1
	s_mul_f32 s2, s2, 0x4f7ffffe
	s_wait_alu 0xfffe
	s_cvt_u32_f32 s2, s2
	s_wait_alu 0xfffe
	s_delay_alu instid0(SALU_CYCLE_2)
	s_mul_i32 s3, s3, s2
	s_wait_alu 0xfffe
	s_mul_hi_u32 s3, s2, s3
	s_wait_alu 0xfffe
	s_add_co_i32 s2, s2, s3
	s_mov_b32 s3, s5
	s_wait_kmcnt 0x0
	s_cmp_eq_u64 s[8:9], 0
	s_cbranch_scc1 .LBB258_3
; %bb.2:
	s_mov_b32 s12, ttmp9
	s_ashr_i32 s13, ttmp9, 31
	s_delay_alu instid0(SALU_CYCLE_1) | instskip(NEXT) | instid1(SALU_CYCLE_1)
	s_lshl_b64 s[12:13], s[12:13], 2
	s_add_nc_u64 s[8:9], s[8:9], s[12:13]
	s_load_b32 s12, s[8:9], 0x0
.LBB258_3:
	s_load_b96 s[16:18], s[0:1], 0x58
	s_mul_u64 s[2:3], s[4:5], s[2:3]
	v_and_b32_e32 v1, 3, v0
	v_cmp_gt_u32_e64 s2, 64, v0
	s_ashr_i32 s5, ttmp9, 31
	s_ashr_i32 s8, s10, 31
	s_lshl_b32 s20, ttmp9, 7
	s_wait_alu 0xfffe
	s_and_saveexec_b32 s9, s2
	s_cbranch_execz .LBB258_5
; %bb.4:
	s_load_b64 s[10:11], s[0:1], 0x18
	s_wait_kmcnt 0x0
	s_mul_i32 s14, s16, s29
	s_ashr_i32 s21, s20, 31
	s_ashr_i32 s15, s14, 31
	v_lshlrev_b32_e32 v2, 2, v0
	s_lshl_b64 s[14:15], s[14:15], 1
	v_and_b32_e32 v3, 0x3fc, v0
	s_delay_alu instid0(VALU_DEP_1) | instskip(SKIP_2) | instid1(SALU_CYCLE_1)
	v_lshl_add_u32 v3, v1, 6, v3
	s_add_nc_u64 s[10:11], s[10:11], s[14:15]
	s_lshl_b64 s[14:15], s[20:21], 1
	s_add_nc_u64 s[10:11], s[10:11], s[14:15]
	global_load_b32 v2, v2, s[10:11]
	s_wait_loadcnt 0x0
	ds_store_b32 v3, v2
.LBB258_5:
	s_or_b32 exec_lo, exec_lo, s9
	s_add_co_i32 s9, s27, 7
	s_xor_b32 s5, s5, s8
	s_ashr_i32 s10, s9, 31
	s_lshl_b32 s33, s26, 6
	s_lshr_b32 s8, s10, 29
	s_mul_i32 s10, s3, s6
	s_add_co_i32 s9, s9, s8
	s_add_co_i32 s8, s33, 64
	s_ashr_i32 s31, s9, 3
	s_load_b32 s9, s[0:1], 0x48
	s_sub_co_i32 s4, s4, s10
	s_min_i32 s21, s8, s31
	s_add_co_i32 s8, s3, 1
	s_sub_co_i32 s10, s4, s6
	s_cmp_ge_u32 s4, s6
	v_lshrrev_b32_e32 v11, 5, v0
	s_cselect_b32 s3, s8, s3
	s_cselect_b32 s4, s10, s4
	s_wait_alu 0xfffe
	s_add_co_i32 s8, s3, 1
	s_cmp_ge_u32 s4, s6
	v_or_b32_e32 v12, s33, v11
	s_cselect_b32 s3, s8, s3
	v_mbcnt_lo_u32_b32 v13, -1, 0
	s_wait_alu 0xfffe
	s_xor_b32 s3, s3, s5
	s_wait_dscnt 0x0
	s_wait_alu 0xfffe
	s_sub_co_i32 s4, s3, s5
	v_cmp_gt_i32_e64 s3, s21, v12
	s_mov_b32 s5, exec_lo
	s_barrier_signal -1
	s_wait_kmcnt 0x0
	s_mul_i32 s22, s9, s29
	s_barrier_wait -1
	s_ashr_i32 s23, s22, 31
	global_inv scope:SCOPE_SE
                                        ; implicit-def: $vgpr2
                                        ; implicit-def: $vgpr15
	v_cmpx_le_i32_e64 s21, v12
	s_xor_b32 s5, exec_lo, s5
; %bb.6:
	v_dual_mov_b32 v2, 0 :: v_dual_mov_b32 v15, 32
	v_mbcnt_lo_u32_b32 v13, -1, 0
                                        ; implicit-def: $vgpr1
; %bb.7:
	s_or_saveexec_b32 s13, s5
	s_clause 0x2
	s_load_b32 s16, s[0:1], 0x98
	s_load_b64 s[24:25], s[0:1], 0x38
	s_load_b128 s[8:11], s[0:1], 0x68
	v_dual_mov_b32 v14, 0xff7fffff :: v_dual_lshlrev_b32 v9, 2, v12
	v_lshlrev_b32_e32 v10, 3, v11
	s_mul_i32 s18, s4, s18
	s_xor_b32 exec_lo, exec_lo, s13
	s_cbranch_execz .LBB258_269
; %bb.8:
	s_load_b64 s[14:15], s[0:1], 0x20
	v_bfe_u32 v3, v0, 2, 3
	v_mov_b32_e32 v2, 0
	v_dual_mov_b32 v15, 32 :: v_dual_lshlrev_b32 v4, 1, v1
	v_dual_mov_b32 v19, v12 :: v_dual_lshlrev_b32 v16, 6, v1
	v_cmp_eq_u32_e32 vcc_lo, 0, v1
	v_lshlrev_b32_e32 v1, 4, v3
	v_dual_mov_b32 v14, 0xff7fffff :: v_dual_lshlrev_b32 v5, 2, v3
	s_ashr_i32 s19, s18, 31
	s_cmp_neq_f32 s12, 0
	v_add3_u32 v17, s28, v10, v3
	s_delay_alu instid0(VALU_DEP_2)
	v_lshl_or_b32 v3, v11, 5, v5
	s_cselect_b32 s4, -1, 0
	s_lshl_b64 s[34:35], s[22:23], 2
	s_wait_kmcnt 0x0
	s_add_nc_u64 s[34:35], s[24:25], s[34:35]
	s_add_nc_u64 s[14:15], s[14:15], s[18:19]
	v_add_nc_u32_e32 v18, 0x120, v3
	v_add_co_u32 v1, s5, s14, v1
	s_delay_alu instid0(VALU_DEP_1)
	v_add_co_ci_u32_e64 v5, null, s15, 0, s5
	s_mov_b32 s15, s17
	v_add_co_u32 v3, s5, v1, v4
	s_wait_alu 0xf1ff
	v_add_co_ci_u32_e64 v4, null, 0, v5, s5
	v_add_co_u32 v5, s5, s34, v9
	s_wait_alu 0xf1ff
	v_add_co_ci_u32_e64 v6, null, s35, 0, s5
	s_mov_b32 s14, 0
	s_sub_co_i32 s19, 1, s27
	s_branch .LBB258_10
.LBB258_9:                              ;   in Loop: Header=BB258_10 Depth=1
	s_wait_alu 0xfffe
	s_or_b32 exec_lo, exec_lo, s6
	v_add_nc_u32_e32 v19, 4, v19
	v_add_co_u32 v5, s6, v5, 16
	v_add_nc_u32_e32 v17, 32, v17
	v_add_nc_u32_e32 v18, 0x80, v18
	s_delay_alu instid0(VALU_DEP_4)
	v_cmp_le_i32_e64 s5, s21, v19
	s_wait_alu 0xf1ff
	v_add_co_ci_u32_e64 v6, null, 0, v6, s6
	s_or_b32 s14, s5, s14
	s_wait_alu 0xfffe
	s_and_not1_b32 exec_lo, exec_lo, s14
	s_cbranch_execz .LBB258_268
.LBB258_10:                             ; =>This Inner Loop Header: Depth=1
	global_load_b32 v1, v[5:6], off
	s_wait_loadcnt_dscnt 0x0
	s_wait_alu 0xfffe
	v_mad_co_i64_i32 v[7:8], null, v1, s15, v[3:4]
	global_load_u16 v1, v[7:8], off
	s_wait_loadcnt 0x0
	v_dual_mov_b32 v21, 0 :: v_dual_and_b32 v22, 0xff, v1
	global_load_b32 v20, v21, s[8:9]
	v_and_b32_e32 v1, 0xffff, v1
	v_cmp_ne_u16_e64 s5, 0, v22
	v_mov_b32_e32 v22, 0
	s_and_saveexec_b32 s6, s5
	s_cbranch_execz .LBB258_18
; %bb.11:                               ;   in Loop: Header=BB258_10 Depth=1
	v_and_b32_e32 v22, 0xff, v1
	s_delay_alu instid0(VALU_DEP_1)
	v_cmp_ne_u16_e64 s5, 0x80, v22
	v_mov_b32_e32 v22, 0x8000
	s_and_saveexec_b32 s34, s5
	s_cbranch_execz .LBB258_17
; %bb.12:                               ;   in Loop: Header=BB258_10 Depth=1
	v_and_b32_e32 v24, 0x7f, v1
	v_mov_b32_e32 v22, 0x7c01
	s_mov_b32 s35, exec_lo
	s_delay_alu instid0(VALU_DEP_2)
	v_cmpx_ne_u32_e32 0x7f, v24
	s_cbranch_execz .LBB258_16
; %bb.13:                               ;   in Loop: Header=BB258_10 Depth=1
	v_and_b32_e32 v22, 7, v1
	v_lshrrev_b32_e32 v23, 3, v24
	s_mov_b32 s36, exec_lo
	v_cmpx_gt_u32_e32 8, v24
; %bb.14:                               ;   in Loop: Header=BB258_10 Depth=1
	s_delay_alu instid0(VALU_DEP_3) | instskip(NEXT) | instid1(VALU_DEP_1)
	v_clz_i32_u32_e32 v22, v22
	v_min_u32_e32 v24, 32, v22
	s_delay_alu instid0(VALU_DEP_1) | instskip(NEXT) | instid1(VALU_DEP_1)
	v_subrev_nc_u32_e32 v22, 28, v24
	v_lshlrev_b64_e32 v[22:23], v22, v[1:2]
	v_sub_nc_u32_e32 v23, 29, v24
	s_delay_alu instid0(VALU_DEP_2)
	v_and_b32_e32 v22, 7, v22
; %bb.15:                               ;   in Loop: Header=BB258_10 Depth=1
	s_or_b32 exec_lo, exec_lo, s36
	v_lshlrev_b32_e32 v24, 8, v1
	s_delay_alu instid0(VALU_DEP_3) | instskip(NEXT) | instid1(VALU_DEP_3)
	v_lshl_add_u32 v23, v23, 10, 0x2000
	v_lshlrev_b32_e32 v22, 7, v22
	s_delay_alu instid0(VALU_DEP_3) | instskip(NEXT) | instid1(VALU_DEP_3)
	v_and_b32_e32 v24, 0x8000, v24
	v_and_b32_e32 v23, 0xfc00, v23
	s_delay_alu instid0(VALU_DEP_1)
	v_or3_b32 v22, v24, v23, v22
.LBB258_16:                             ;   in Loop: Header=BB258_10 Depth=1
	s_wait_alu 0xfffe
	s_or_b32 exec_lo, exec_lo, s35
.LBB258_17:                             ;   in Loop: Header=BB258_10 Depth=1
	s_wait_alu 0xfffe
	s_or_b32 exec_lo, exec_lo, s34
.LBB258_18:                             ;   in Loop: Header=BB258_10 Depth=1
	s_wait_alu 0xfffe
	s_or_b32 exec_lo, exec_lo, s6
	v_lshrrev_b16 v1, 8, v1
	s_mov_b32 s6, exec_lo
	s_delay_alu instid0(VALU_DEP_1)
	v_cmpx_ne_u16_e32 0, v1
	s_cbranch_execz .LBB258_26
; %bb.19:                               ;   in Loop: Header=BB258_10 Depth=1
	v_bfrev_b32_e32 v21, 1
	s_mov_b32 s34, exec_lo
	v_cmpx_ne_u16_e32 0x80, v1
	s_cbranch_execz .LBB258_25
; %bb.20:                               ;   in Loop: Header=BB258_10 Depth=1
	v_and_b32_e32 v23, 0xffff, v1
	v_mov_b32_e32 v21, 0x7c010000
	s_mov_b32 s35, exec_lo
	s_delay_alu instid0(VALU_DEP_2) | instskip(NEXT) | instid1(VALU_DEP_1)
	v_and_b32_e32 v25, 0x7f, v23
	v_cmpx_ne_u32_e32 0x7f, v25
	s_cbranch_execz .LBB258_24
; %bb.21:                               ;   in Loop: Header=BB258_10 Depth=1
	v_and_b32_e32 v21, 7, v23
	v_lshrrev_b32_e32 v24, 3, v25
	s_mov_b32 s36, exec_lo
	v_cmpx_gt_u32_e32 8, v25
; %bb.22:                               ;   in Loop: Header=BB258_10 Depth=1
	s_delay_alu instid0(VALU_DEP_3) | instskip(NEXT) | instid1(VALU_DEP_1)
	v_clz_i32_u32_e32 v21, v21
	v_min_u32_e32 v21, 32, v21
	s_delay_alu instid0(VALU_DEP_1) | instskip(NEXT) | instid1(VALU_DEP_1)
	v_subrev_nc_u32_e32 v24, 28, v21
	v_lshlrev_b64_e32 v[25:26], v24, v[1:2]
	v_sub_nc_u32_e32 v24, 29, v21
	s_delay_alu instid0(VALU_DEP_2)
	v_and_b32_e32 v21, 7, v25
; %bb.23:                               ;   in Loop: Header=BB258_10 Depth=1
	s_or_b32 exec_lo, exec_lo, s36
	v_lshlrev_b32_e32 v1, 8, v23
	s_delay_alu instid0(VALU_DEP_3) | instskip(NEXT) | instid1(VALU_DEP_3)
	v_lshl_add_u32 v23, v24, 10, 0x2000
	v_lshlrev_b32_e32 v21, 23, v21
	s_delay_alu instid0(VALU_DEP_2) | instskip(NEXT) | instid1(VALU_DEP_1)
	v_and_or_b32 v1, 0x8000, v1, v23
	v_lshl_or_b32 v21, v1, 16, v21
.LBB258_24:                             ;   in Loop: Header=BB258_10 Depth=1
	s_wait_alu 0xfffe
	s_or_b32 exec_lo, exec_lo, s35
.LBB258_25:                             ;   in Loop: Header=BB258_10 Depth=1
	s_wait_alu 0xfffe
	s_or_b32 exec_lo, exec_lo, s34
.LBB258_26:                             ;   in Loop: Header=BB258_10 Depth=1
	s_wait_alu 0xfffe
	s_or_b32 exec_lo, exec_lo, s6
	global_load_u16 v1, v[7:8], off offset:8
	s_wait_loadcnt 0x0
	v_dual_mov_b32 v23, 0 :: v_dual_and_b32 v24, 0xff, v1
	v_and_b32_e32 v1, 0xffff, v1
	s_delay_alu instid0(VALU_DEP_2)
	v_cmp_ne_u16_e64 s5, 0, v24
	v_mov_b32_e32 v24, 0
	s_and_saveexec_b32 s6, s5
	s_cbranch_execz .LBB258_34
; %bb.27:                               ;   in Loop: Header=BB258_10 Depth=1
	v_and_b32_e32 v24, 0xff, v1
	s_delay_alu instid0(VALU_DEP_1)
	v_cmp_ne_u16_e64 s5, 0x80, v24
	v_mov_b32_e32 v24, 0x8000
	s_and_saveexec_b32 s34, s5
	s_cbranch_execz .LBB258_33
; %bb.28:                               ;   in Loop: Header=BB258_10 Depth=1
	v_and_b32_e32 v26, 0x7f, v1
	v_mov_b32_e32 v24, 0x7c01
	s_mov_b32 s35, exec_lo
	s_delay_alu instid0(VALU_DEP_2)
	v_cmpx_ne_u32_e32 0x7f, v26
	s_cbranch_execz .LBB258_32
; %bb.29:                               ;   in Loop: Header=BB258_10 Depth=1
	v_and_b32_e32 v24, 7, v1
	v_lshrrev_b32_e32 v25, 3, v26
	s_mov_b32 s36, exec_lo
	v_cmpx_gt_u32_e32 8, v26
; %bb.30:                               ;   in Loop: Header=BB258_10 Depth=1
	s_delay_alu instid0(VALU_DEP_3) | instskip(NEXT) | instid1(VALU_DEP_1)
	v_clz_i32_u32_e32 v24, v24
	v_min_u32_e32 v26, 32, v24
	s_delay_alu instid0(VALU_DEP_1) | instskip(NEXT) | instid1(VALU_DEP_1)
	v_subrev_nc_u32_e32 v24, 28, v26
	v_lshlrev_b64_e32 v[24:25], v24, v[1:2]
	v_sub_nc_u32_e32 v25, 29, v26
	s_delay_alu instid0(VALU_DEP_2)
	v_and_b32_e32 v24, 7, v24
; %bb.31:                               ;   in Loop: Header=BB258_10 Depth=1
	s_or_b32 exec_lo, exec_lo, s36
	v_lshlrev_b32_e32 v26, 8, v1
	s_delay_alu instid0(VALU_DEP_3) | instskip(NEXT) | instid1(VALU_DEP_3)
	v_lshl_add_u32 v25, v25, 10, 0x2000
	v_lshlrev_b32_e32 v24, 7, v24
	s_delay_alu instid0(VALU_DEP_3) | instskip(NEXT) | instid1(VALU_DEP_3)
	v_and_b32_e32 v26, 0x8000, v26
	v_and_b32_e32 v25, 0xfc00, v25
	s_delay_alu instid0(VALU_DEP_1)
	v_or3_b32 v24, v26, v25, v24
.LBB258_32:                             ;   in Loop: Header=BB258_10 Depth=1
	s_wait_alu 0xfffe
	s_or_b32 exec_lo, exec_lo, s35
.LBB258_33:                             ;   in Loop: Header=BB258_10 Depth=1
	s_wait_alu 0xfffe
	s_or_b32 exec_lo, exec_lo, s34
.LBB258_34:                             ;   in Loop: Header=BB258_10 Depth=1
	s_wait_alu 0xfffe
	s_or_b32 exec_lo, exec_lo, s6
	v_lshrrev_b16 v1, 8, v1
	s_mov_b32 s6, exec_lo
	s_delay_alu instid0(VALU_DEP_1)
	v_cmpx_ne_u16_e32 0, v1
	s_cbranch_execz .LBB258_42
; %bb.35:                               ;   in Loop: Header=BB258_10 Depth=1
	v_bfrev_b32_e32 v23, 1
	s_mov_b32 s34, exec_lo
	v_cmpx_ne_u16_e32 0x80, v1
	s_cbranch_execz .LBB258_41
; %bb.36:                               ;   in Loop: Header=BB258_10 Depth=1
	v_and_b32_e32 v25, 0xffff, v1
	v_mov_b32_e32 v23, 0x7c010000
	s_mov_b32 s35, exec_lo
	s_delay_alu instid0(VALU_DEP_2) | instskip(NEXT) | instid1(VALU_DEP_1)
	v_and_b32_e32 v27, 0x7f, v25
	v_cmpx_ne_u32_e32 0x7f, v27
	s_cbranch_execz .LBB258_40
; %bb.37:                               ;   in Loop: Header=BB258_10 Depth=1
	v_and_b32_e32 v23, 7, v25
	v_lshrrev_b32_e32 v26, 3, v27
	s_mov_b32 s36, exec_lo
	v_cmpx_gt_u32_e32 8, v27
; %bb.38:                               ;   in Loop: Header=BB258_10 Depth=1
	s_delay_alu instid0(VALU_DEP_3) | instskip(NEXT) | instid1(VALU_DEP_1)
	v_clz_i32_u32_e32 v23, v23
	v_min_u32_e32 v23, 32, v23
	s_delay_alu instid0(VALU_DEP_1) | instskip(NEXT) | instid1(VALU_DEP_1)
	v_subrev_nc_u32_e32 v26, 28, v23
	v_lshlrev_b64_e32 v[27:28], v26, v[1:2]
	v_sub_nc_u32_e32 v26, 29, v23
	s_delay_alu instid0(VALU_DEP_2)
	v_and_b32_e32 v23, 7, v27
; %bb.39:                               ;   in Loop: Header=BB258_10 Depth=1
	s_or_b32 exec_lo, exec_lo, s36
	v_lshlrev_b32_e32 v1, 8, v25
	s_delay_alu instid0(VALU_DEP_3) | instskip(NEXT) | instid1(VALU_DEP_3)
	v_lshl_add_u32 v25, v26, 10, 0x2000
	v_lshlrev_b32_e32 v23, 23, v23
	s_delay_alu instid0(VALU_DEP_2) | instskip(NEXT) | instid1(VALU_DEP_1)
	v_and_or_b32 v1, 0x8000, v1, v25
	v_lshl_or_b32 v23, v1, 16, v23
.LBB258_40:                             ;   in Loop: Header=BB258_10 Depth=1
	s_wait_alu 0xfffe
	s_or_b32 exec_lo, exec_lo, s35
.LBB258_41:                             ;   in Loop: Header=BB258_10 Depth=1
	s_wait_alu 0xfffe
	s_or_b32 exec_lo, exec_lo, s34
.LBB258_42:                             ;   in Loop: Header=BB258_10 Depth=1
	s_wait_alu 0xfffe
	s_or_b32 exec_lo, exec_lo, s6
	global_load_u16 v1, v[7:8], off offset:128
	s_wait_loadcnt 0x0
	v_dual_mov_b32 v25, 0 :: v_dual_and_b32 v26, 0xff, v1
	v_and_b32_e32 v1, 0xffff, v1
	s_delay_alu instid0(VALU_DEP_2)
	v_cmp_ne_u16_e64 s5, 0, v26
	v_mov_b32_e32 v26, 0
	s_and_saveexec_b32 s6, s5
	s_cbranch_execz .LBB258_50
; %bb.43:                               ;   in Loop: Header=BB258_10 Depth=1
	v_and_b32_e32 v26, 0xff, v1
	s_delay_alu instid0(VALU_DEP_1)
	v_cmp_ne_u16_e64 s5, 0x80, v26
	v_mov_b32_e32 v26, 0x8000
	s_and_saveexec_b32 s34, s5
	s_cbranch_execz .LBB258_49
; %bb.44:                               ;   in Loop: Header=BB258_10 Depth=1
	v_and_b32_e32 v28, 0x7f, v1
	v_mov_b32_e32 v26, 0x7c01
	s_mov_b32 s35, exec_lo
	s_delay_alu instid0(VALU_DEP_2)
	v_cmpx_ne_u32_e32 0x7f, v28
	s_cbranch_execz .LBB258_48
; %bb.45:                               ;   in Loop: Header=BB258_10 Depth=1
	v_and_b32_e32 v26, 7, v1
	v_lshrrev_b32_e32 v27, 3, v28
	s_mov_b32 s36, exec_lo
	v_cmpx_gt_u32_e32 8, v28
; %bb.46:                               ;   in Loop: Header=BB258_10 Depth=1
	s_delay_alu instid0(VALU_DEP_3) | instskip(NEXT) | instid1(VALU_DEP_1)
	v_clz_i32_u32_e32 v26, v26
	v_min_u32_e32 v28, 32, v26
	s_delay_alu instid0(VALU_DEP_1) | instskip(NEXT) | instid1(VALU_DEP_1)
	v_subrev_nc_u32_e32 v26, 28, v28
	v_lshlrev_b64_e32 v[26:27], v26, v[1:2]
	v_sub_nc_u32_e32 v27, 29, v28
	s_delay_alu instid0(VALU_DEP_2)
	v_and_b32_e32 v26, 7, v26
; %bb.47:                               ;   in Loop: Header=BB258_10 Depth=1
	s_or_b32 exec_lo, exec_lo, s36
	v_lshlrev_b32_e32 v28, 8, v1
	s_delay_alu instid0(VALU_DEP_3) | instskip(NEXT) | instid1(VALU_DEP_3)
	v_lshl_add_u32 v27, v27, 10, 0x2000
	v_lshlrev_b32_e32 v26, 7, v26
	s_delay_alu instid0(VALU_DEP_3) | instskip(NEXT) | instid1(VALU_DEP_3)
	v_and_b32_e32 v28, 0x8000, v28
	v_and_b32_e32 v27, 0xfc00, v27
	s_delay_alu instid0(VALU_DEP_1)
	v_or3_b32 v26, v28, v27, v26
.LBB258_48:                             ;   in Loop: Header=BB258_10 Depth=1
	s_wait_alu 0xfffe
	s_or_b32 exec_lo, exec_lo, s35
.LBB258_49:                             ;   in Loop: Header=BB258_10 Depth=1
	s_wait_alu 0xfffe
	s_or_b32 exec_lo, exec_lo, s34
.LBB258_50:                             ;   in Loop: Header=BB258_10 Depth=1
	s_wait_alu 0xfffe
	s_or_b32 exec_lo, exec_lo, s6
	v_lshrrev_b16 v1, 8, v1
	s_mov_b32 s6, exec_lo
	s_delay_alu instid0(VALU_DEP_1)
	v_cmpx_ne_u16_e32 0, v1
	s_cbranch_execz .LBB258_58
; %bb.51:                               ;   in Loop: Header=BB258_10 Depth=1
	v_bfrev_b32_e32 v25, 1
	s_mov_b32 s34, exec_lo
	v_cmpx_ne_u16_e32 0x80, v1
	s_cbranch_execz .LBB258_57
; %bb.52:                               ;   in Loop: Header=BB258_10 Depth=1
	v_and_b32_e32 v27, 0xffff, v1
	v_mov_b32_e32 v25, 0x7c010000
	s_mov_b32 s35, exec_lo
	s_delay_alu instid0(VALU_DEP_2) | instskip(NEXT) | instid1(VALU_DEP_1)
	v_and_b32_e32 v29, 0x7f, v27
	v_cmpx_ne_u32_e32 0x7f, v29
	s_cbranch_execz .LBB258_56
; %bb.53:                               ;   in Loop: Header=BB258_10 Depth=1
	v_and_b32_e32 v25, 7, v27
	v_lshrrev_b32_e32 v28, 3, v29
	s_mov_b32 s36, exec_lo
	v_cmpx_gt_u32_e32 8, v29
; %bb.54:                               ;   in Loop: Header=BB258_10 Depth=1
	s_delay_alu instid0(VALU_DEP_3) | instskip(NEXT) | instid1(VALU_DEP_1)
	v_clz_i32_u32_e32 v25, v25
	v_min_u32_e32 v25, 32, v25
	s_delay_alu instid0(VALU_DEP_1) | instskip(NEXT) | instid1(VALU_DEP_1)
	v_subrev_nc_u32_e32 v28, 28, v25
	v_lshlrev_b64_e32 v[29:30], v28, v[1:2]
	v_sub_nc_u32_e32 v28, 29, v25
	s_delay_alu instid0(VALU_DEP_2)
	v_and_b32_e32 v25, 7, v29
; %bb.55:                               ;   in Loop: Header=BB258_10 Depth=1
	s_or_b32 exec_lo, exec_lo, s36
	v_lshlrev_b32_e32 v1, 8, v27
	s_delay_alu instid0(VALU_DEP_3) | instskip(NEXT) | instid1(VALU_DEP_3)
	v_lshl_add_u32 v27, v28, 10, 0x2000
	v_lshlrev_b32_e32 v25, 23, v25
	s_delay_alu instid0(VALU_DEP_2) | instskip(NEXT) | instid1(VALU_DEP_1)
	v_and_or_b32 v1, 0x8000, v1, v27
	v_lshl_or_b32 v25, v1, 16, v25
.LBB258_56:                             ;   in Loop: Header=BB258_10 Depth=1
	s_wait_alu 0xfffe
	s_or_b32 exec_lo, exec_lo, s35
.LBB258_57:                             ;   in Loop: Header=BB258_10 Depth=1
	s_wait_alu 0xfffe
	s_or_b32 exec_lo, exec_lo, s34
.LBB258_58:                             ;   in Loop: Header=BB258_10 Depth=1
	s_wait_alu 0xfffe
	s_or_b32 exec_lo, exec_lo, s6
	global_load_u16 v1, v[7:8], off offset:136
	s_wait_loadcnt 0x0
	v_dual_mov_b32 v27, 0 :: v_dual_and_b32 v28, 0xff, v1
	v_and_b32_e32 v1, 0xffff, v1
	s_delay_alu instid0(VALU_DEP_2)
	v_cmp_ne_u16_e64 s5, 0, v28
	v_mov_b32_e32 v28, 0
	s_and_saveexec_b32 s6, s5
	s_cbranch_execz .LBB258_66
; %bb.59:                               ;   in Loop: Header=BB258_10 Depth=1
	v_and_b32_e32 v28, 0xff, v1
	s_delay_alu instid0(VALU_DEP_1)
	v_cmp_ne_u16_e64 s5, 0x80, v28
	v_mov_b32_e32 v28, 0x8000
	s_and_saveexec_b32 s34, s5
	s_cbranch_execz .LBB258_65
; %bb.60:                               ;   in Loop: Header=BB258_10 Depth=1
	v_and_b32_e32 v30, 0x7f, v1
	v_mov_b32_e32 v28, 0x7c01
	s_mov_b32 s35, exec_lo
	s_delay_alu instid0(VALU_DEP_2)
	v_cmpx_ne_u32_e32 0x7f, v30
	s_cbranch_execz .LBB258_64
; %bb.61:                               ;   in Loop: Header=BB258_10 Depth=1
	v_and_b32_e32 v28, 7, v1
	v_lshrrev_b32_e32 v29, 3, v30
	s_mov_b32 s36, exec_lo
	v_cmpx_gt_u32_e32 8, v30
; %bb.62:                               ;   in Loop: Header=BB258_10 Depth=1
	s_delay_alu instid0(VALU_DEP_3) | instskip(NEXT) | instid1(VALU_DEP_1)
	v_clz_i32_u32_e32 v28, v28
	v_min_u32_e32 v30, 32, v28
	s_delay_alu instid0(VALU_DEP_1) | instskip(NEXT) | instid1(VALU_DEP_1)
	v_subrev_nc_u32_e32 v28, 28, v30
	v_lshlrev_b64_e32 v[28:29], v28, v[1:2]
	v_sub_nc_u32_e32 v29, 29, v30
	s_delay_alu instid0(VALU_DEP_2)
	v_and_b32_e32 v28, 7, v28
; %bb.63:                               ;   in Loop: Header=BB258_10 Depth=1
	s_or_b32 exec_lo, exec_lo, s36
	v_lshlrev_b32_e32 v30, 8, v1
	s_delay_alu instid0(VALU_DEP_3) | instskip(NEXT) | instid1(VALU_DEP_3)
	v_lshl_add_u32 v29, v29, 10, 0x2000
	v_lshlrev_b32_e32 v28, 7, v28
	s_delay_alu instid0(VALU_DEP_3) | instskip(NEXT) | instid1(VALU_DEP_3)
	v_and_b32_e32 v30, 0x8000, v30
	v_and_b32_e32 v29, 0xfc00, v29
	s_delay_alu instid0(VALU_DEP_1)
	v_or3_b32 v28, v30, v29, v28
.LBB258_64:                             ;   in Loop: Header=BB258_10 Depth=1
	s_wait_alu 0xfffe
	s_or_b32 exec_lo, exec_lo, s35
.LBB258_65:                             ;   in Loop: Header=BB258_10 Depth=1
	s_wait_alu 0xfffe
	s_or_b32 exec_lo, exec_lo, s34
.LBB258_66:                             ;   in Loop: Header=BB258_10 Depth=1
	s_wait_alu 0xfffe
	s_or_b32 exec_lo, exec_lo, s6
	v_lshrrev_b16 v1, 8, v1
	s_mov_b32 s6, exec_lo
	s_delay_alu instid0(VALU_DEP_1)
	v_cmpx_ne_u16_e32 0, v1
	s_cbranch_execz .LBB258_74
; %bb.67:                               ;   in Loop: Header=BB258_10 Depth=1
	v_bfrev_b32_e32 v27, 1
	s_mov_b32 s34, exec_lo
	v_cmpx_ne_u16_e32 0x80, v1
	s_cbranch_execz .LBB258_73
; %bb.68:                               ;   in Loop: Header=BB258_10 Depth=1
	v_and_b32_e32 v29, 0xffff, v1
	v_mov_b32_e32 v27, 0x7c010000
	s_mov_b32 s35, exec_lo
	s_delay_alu instid0(VALU_DEP_2) | instskip(NEXT) | instid1(VALU_DEP_1)
	v_and_b32_e32 v31, 0x7f, v29
	v_cmpx_ne_u32_e32 0x7f, v31
	s_cbranch_execz .LBB258_72
; %bb.69:                               ;   in Loop: Header=BB258_10 Depth=1
	v_and_b32_e32 v27, 7, v29
	v_lshrrev_b32_e32 v30, 3, v31
	s_mov_b32 s36, exec_lo
	v_cmpx_gt_u32_e32 8, v31
; %bb.70:                               ;   in Loop: Header=BB258_10 Depth=1
	s_delay_alu instid0(VALU_DEP_3) | instskip(NEXT) | instid1(VALU_DEP_1)
	v_clz_i32_u32_e32 v27, v27
	v_min_u32_e32 v27, 32, v27
	s_delay_alu instid0(VALU_DEP_1) | instskip(NEXT) | instid1(VALU_DEP_1)
	v_subrev_nc_u32_e32 v30, 28, v27
	v_lshlrev_b64_e32 v[31:32], v30, v[1:2]
	v_sub_nc_u32_e32 v30, 29, v27
	s_delay_alu instid0(VALU_DEP_2)
	v_and_b32_e32 v27, 7, v31
; %bb.71:                               ;   in Loop: Header=BB258_10 Depth=1
	s_or_b32 exec_lo, exec_lo, s36
	v_lshlrev_b32_e32 v1, 8, v29
	s_delay_alu instid0(VALU_DEP_3) | instskip(NEXT) | instid1(VALU_DEP_3)
	v_lshl_add_u32 v29, v30, 10, 0x2000
	v_lshlrev_b32_e32 v27, 23, v27
	s_delay_alu instid0(VALU_DEP_2) | instskip(NEXT) | instid1(VALU_DEP_1)
	v_and_or_b32 v1, 0x8000, v1, v29
	v_lshl_or_b32 v27, v1, 16, v27
.LBB258_72:                             ;   in Loop: Header=BB258_10 Depth=1
	s_wait_alu 0xfffe
	s_or_b32 exec_lo, exec_lo, s35
.LBB258_73:                             ;   in Loop: Header=BB258_10 Depth=1
	s_wait_alu 0xfffe
	s_or_b32 exec_lo, exec_lo, s34
.LBB258_74:                             ;   in Loop: Header=BB258_10 Depth=1
	s_wait_alu 0xfffe
	s_or_b32 exec_lo, exec_lo, s6
	global_load_u16 v1, v[7:8], off offset:256
	s_wait_loadcnt 0x0
	v_dual_mov_b32 v29, 0 :: v_dual_and_b32 v30, 0xff, v1
	v_and_b32_e32 v1, 0xffff, v1
	s_delay_alu instid0(VALU_DEP_2)
	v_cmp_ne_u16_e64 s5, 0, v30
	v_mov_b32_e32 v30, 0
	s_and_saveexec_b32 s6, s5
	s_cbranch_execz .LBB258_82
; %bb.75:                               ;   in Loop: Header=BB258_10 Depth=1
	v_and_b32_e32 v30, 0xff, v1
	s_delay_alu instid0(VALU_DEP_1)
	v_cmp_ne_u16_e64 s5, 0x80, v30
	v_mov_b32_e32 v30, 0x8000
	s_and_saveexec_b32 s34, s5
	s_cbranch_execz .LBB258_81
; %bb.76:                               ;   in Loop: Header=BB258_10 Depth=1
	v_and_b32_e32 v32, 0x7f, v1
	v_mov_b32_e32 v30, 0x7c01
	s_mov_b32 s35, exec_lo
	s_delay_alu instid0(VALU_DEP_2)
	v_cmpx_ne_u32_e32 0x7f, v32
	s_cbranch_execz .LBB258_80
; %bb.77:                               ;   in Loop: Header=BB258_10 Depth=1
	v_and_b32_e32 v30, 7, v1
	v_lshrrev_b32_e32 v31, 3, v32
	s_mov_b32 s36, exec_lo
	v_cmpx_gt_u32_e32 8, v32
; %bb.78:                               ;   in Loop: Header=BB258_10 Depth=1
	s_delay_alu instid0(VALU_DEP_3) | instskip(NEXT) | instid1(VALU_DEP_1)
	v_clz_i32_u32_e32 v30, v30
	v_min_u32_e32 v32, 32, v30
	s_delay_alu instid0(VALU_DEP_1) | instskip(NEXT) | instid1(VALU_DEP_1)
	v_subrev_nc_u32_e32 v30, 28, v32
	v_lshlrev_b64_e32 v[30:31], v30, v[1:2]
	v_sub_nc_u32_e32 v31, 29, v32
	s_delay_alu instid0(VALU_DEP_2)
	v_and_b32_e32 v30, 7, v30
; %bb.79:                               ;   in Loop: Header=BB258_10 Depth=1
	s_or_b32 exec_lo, exec_lo, s36
	v_lshlrev_b32_e32 v32, 8, v1
	s_delay_alu instid0(VALU_DEP_3) | instskip(NEXT) | instid1(VALU_DEP_3)
	v_lshl_add_u32 v31, v31, 10, 0x2000
	v_lshlrev_b32_e32 v30, 7, v30
	s_delay_alu instid0(VALU_DEP_3) | instskip(NEXT) | instid1(VALU_DEP_3)
	v_and_b32_e32 v32, 0x8000, v32
	v_and_b32_e32 v31, 0xfc00, v31
	s_delay_alu instid0(VALU_DEP_1)
	v_or3_b32 v30, v32, v31, v30
.LBB258_80:                             ;   in Loop: Header=BB258_10 Depth=1
	s_wait_alu 0xfffe
	s_or_b32 exec_lo, exec_lo, s35
.LBB258_81:                             ;   in Loop: Header=BB258_10 Depth=1
	s_wait_alu 0xfffe
	s_or_b32 exec_lo, exec_lo, s34
.LBB258_82:                             ;   in Loop: Header=BB258_10 Depth=1
	s_wait_alu 0xfffe
	s_or_b32 exec_lo, exec_lo, s6
	v_lshrrev_b16 v1, 8, v1
	s_mov_b32 s6, exec_lo
	s_delay_alu instid0(VALU_DEP_1)
	v_cmpx_ne_u16_e32 0, v1
	s_cbranch_execz .LBB258_90
; %bb.83:                               ;   in Loop: Header=BB258_10 Depth=1
	v_bfrev_b32_e32 v29, 1
	s_mov_b32 s34, exec_lo
	v_cmpx_ne_u16_e32 0x80, v1
	s_cbranch_execz .LBB258_89
; %bb.84:                               ;   in Loop: Header=BB258_10 Depth=1
	v_and_b32_e32 v31, 0xffff, v1
	v_mov_b32_e32 v29, 0x7c010000
	s_mov_b32 s35, exec_lo
	s_delay_alu instid0(VALU_DEP_2) | instskip(NEXT) | instid1(VALU_DEP_1)
	v_and_b32_e32 v33, 0x7f, v31
	v_cmpx_ne_u32_e32 0x7f, v33
	s_cbranch_execz .LBB258_88
; %bb.85:                               ;   in Loop: Header=BB258_10 Depth=1
	v_and_b32_e32 v29, 7, v31
	v_lshrrev_b32_e32 v32, 3, v33
	s_mov_b32 s36, exec_lo
	v_cmpx_gt_u32_e32 8, v33
; %bb.86:                               ;   in Loop: Header=BB258_10 Depth=1
	s_delay_alu instid0(VALU_DEP_3) | instskip(NEXT) | instid1(VALU_DEP_1)
	v_clz_i32_u32_e32 v29, v29
	v_min_u32_e32 v29, 32, v29
	s_delay_alu instid0(VALU_DEP_1) | instskip(NEXT) | instid1(VALU_DEP_1)
	v_subrev_nc_u32_e32 v32, 28, v29
	v_lshlrev_b64_e32 v[33:34], v32, v[1:2]
	v_sub_nc_u32_e32 v32, 29, v29
	s_delay_alu instid0(VALU_DEP_2)
	v_and_b32_e32 v29, 7, v33
; %bb.87:                               ;   in Loop: Header=BB258_10 Depth=1
	s_or_b32 exec_lo, exec_lo, s36
	v_lshlrev_b32_e32 v1, 8, v31
	s_delay_alu instid0(VALU_DEP_3) | instskip(NEXT) | instid1(VALU_DEP_3)
	v_lshl_add_u32 v31, v32, 10, 0x2000
	v_lshlrev_b32_e32 v29, 23, v29
	s_delay_alu instid0(VALU_DEP_2) | instskip(NEXT) | instid1(VALU_DEP_1)
	v_and_or_b32 v1, 0x8000, v1, v31
	v_lshl_or_b32 v29, v1, 16, v29
.LBB258_88:                             ;   in Loop: Header=BB258_10 Depth=1
	s_wait_alu 0xfffe
	s_or_b32 exec_lo, exec_lo, s35
.LBB258_89:                             ;   in Loop: Header=BB258_10 Depth=1
	s_wait_alu 0xfffe
	s_or_b32 exec_lo, exec_lo, s34
.LBB258_90:                             ;   in Loop: Header=BB258_10 Depth=1
	s_wait_alu 0xfffe
	s_or_b32 exec_lo, exec_lo, s6
	global_load_u16 v1, v[7:8], off offset:264
	s_wait_loadcnt 0x0
	v_dual_mov_b32 v31, 0 :: v_dual_and_b32 v32, 0xff, v1
	v_and_b32_e32 v1, 0xffff, v1
	s_delay_alu instid0(VALU_DEP_2)
	v_cmp_ne_u16_e64 s5, 0, v32
	v_mov_b32_e32 v32, 0
	s_and_saveexec_b32 s6, s5
	s_cbranch_execz .LBB258_98
; %bb.91:                               ;   in Loop: Header=BB258_10 Depth=1
	v_and_b32_e32 v32, 0xff, v1
	s_delay_alu instid0(VALU_DEP_1)
	v_cmp_ne_u16_e64 s5, 0x80, v32
	v_mov_b32_e32 v32, 0x8000
	s_and_saveexec_b32 s34, s5
	s_cbranch_execz .LBB258_97
; %bb.92:                               ;   in Loop: Header=BB258_10 Depth=1
	v_and_b32_e32 v34, 0x7f, v1
	v_mov_b32_e32 v32, 0x7c01
	s_mov_b32 s35, exec_lo
	s_delay_alu instid0(VALU_DEP_2)
	v_cmpx_ne_u32_e32 0x7f, v34
	s_cbranch_execz .LBB258_96
; %bb.93:                               ;   in Loop: Header=BB258_10 Depth=1
	v_and_b32_e32 v32, 7, v1
	v_lshrrev_b32_e32 v33, 3, v34
	s_mov_b32 s36, exec_lo
	v_cmpx_gt_u32_e32 8, v34
; %bb.94:                               ;   in Loop: Header=BB258_10 Depth=1
	s_delay_alu instid0(VALU_DEP_3) | instskip(NEXT) | instid1(VALU_DEP_1)
	v_clz_i32_u32_e32 v32, v32
	v_min_u32_e32 v34, 32, v32
	s_delay_alu instid0(VALU_DEP_1) | instskip(NEXT) | instid1(VALU_DEP_1)
	v_subrev_nc_u32_e32 v32, 28, v34
	v_lshlrev_b64_e32 v[32:33], v32, v[1:2]
	v_sub_nc_u32_e32 v33, 29, v34
	s_delay_alu instid0(VALU_DEP_2)
	v_and_b32_e32 v32, 7, v32
; %bb.95:                               ;   in Loop: Header=BB258_10 Depth=1
	s_or_b32 exec_lo, exec_lo, s36
	v_lshlrev_b32_e32 v34, 8, v1
	s_delay_alu instid0(VALU_DEP_3) | instskip(NEXT) | instid1(VALU_DEP_3)
	v_lshl_add_u32 v33, v33, 10, 0x2000
	v_lshlrev_b32_e32 v32, 7, v32
	s_delay_alu instid0(VALU_DEP_3) | instskip(NEXT) | instid1(VALU_DEP_3)
	v_and_b32_e32 v34, 0x8000, v34
	v_and_b32_e32 v33, 0xfc00, v33
	s_delay_alu instid0(VALU_DEP_1)
	v_or3_b32 v32, v34, v33, v32
.LBB258_96:                             ;   in Loop: Header=BB258_10 Depth=1
	s_wait_alu 0xfffe
	s_or_b32 exec_lo, exec_lo, s35
.LBB258_97:                             ;   in Loop: Header=BB258_10 Depth=1
	s_wait_alu 0xfffe
	s_or_b32 exec_lo, exec_lo, s34
.LBB258_98:                             ;   in Loop: Header=BB258_10 Depth=1
	s_wait_alu 0xfffe
	s_or_b32 exec_lo, exec_lo, s6
	v_lshrrev_b16 v1, 8, v1
	s_mov_b32 s6, exec_lo
	s_delay_alu instid0(VALU_DEP_1)
	v_cmpx_ne_u16_e32 0, v1
	s_cbranch_execz .LBB258_106
; %bb.99:                               ;   in Loop: Header=BB258_10 Depth=1
	v_bfrev_b32_e32 v31, 1
	s_mov_b32 s34, exec_lo
	v_cmpx_ne_u16_e32 0x80, v1
	s_cbranch_execz .LBB258_105
; %bb.100:                              ;   in Loop: Header=BB258_10 Depth=1
	v_and_b32_e32 v33, 0xffff, v1
	v_mov_b32_e32 v31, 0x7c010000
	s_mov_b32 s35, exec_lo
	s_delay_alu instid0(VALU_DEP_2) | instskip(NEXT) | instid1(VALU_DEP_1)
	v_and_b32_e32 v35, 0x7f, v33
	v_cmpx_ne_u32_e32 0x7f, v35
	s_cbranch_execz .LBB258_104
; %bb.101:                              ;   in Loop: Header=BB258_10 Depth=1
	v_and_b32_e32 v31, 7, v33
	v_lshrrev_b32_e32 v34, 3, v35
	s_mov_b32 s36, exec_lo
	v_cmpx_gt_u32_e32 8, v35
; %bb.102:                              ;   in Loop: Header=BB258_10 Depth=1
	s_delay_alu instid0(VALU_DEP_3) | instskip(NEXT) | instid1(VALU_DEP_1)
	v_clz_i32_u32_e32 v31, v31
	v_min_u32_e32 v31, 32, v31
	s_delay_alu instid0(VALU_DEP_1) | instskip(NEXT) | instid1(VALU_DEP_1)
	v_subrev_nc_u32_e32 v34, 28, v31
	v_lshlrev_b64_e32 v[35:36], v34, v[1:2]
	v_sub_nc_u32_e32 v34, 29, v31
	s_delay_alu instid0(VALU_DEP_2)
	v_and_b32_e32 v31, 7, v35
; %bb.103:                              ;   in Loop: Header=BB258_10 Depth=1
	s_or_b32 exec_lo, exec_lo, s36
	v_lshlrev_b32_e32 v1, 8, v33
	s_delay_alu instid0(VALU_DEP_3) | instskip(NEXT) | instid1(VALU_DEP_3)
	v_lshl_add_u32 v33, v34, 10, 0x2000
	v_lshlrev_b32_e32 v31, 23, v31
	s_delay_alu instid0(VALU_DEP_2) | instskip(NEXT) | instid1(VALU_DEP_1)
	v_and_or_b32 v1, 0x8000, v1, v33
	v_lshl_or_b32 v31, v1, 16, v31
.LBB258_104:                            ;   in Loop: Header=BB258_10 Depth=1
	s_wait_alu 0xfffe
	s_or_b32 exec_lo, exec_lo, s35
.LBB258_105:                            ;   in Loop: Header=BB258_10 Depth=1
	s_wait_alu 0xfffe
	s_or_b32 exec_lo, exec_lo, s34
.LBB258_106:                            ;   in Loop: Header=BB258_10 Depth=1
	s_wait_alu 0xfffe
	s_or_b32 exec_lo, exec_lo, s6
	global_load_u16 v1, v[7:8], off offset:384
	s_wait_loadcnt 0x0
	v_dual_mov_b32 v33, 0 :: v_dual_and_b32 v34, 0xff, v1
	v_and_b32_e32 v1, 0xffff, v1
	s_delay_alu instid0(VALU_DEP_2)
	v_cmp_ne_u16_e64 s5, 0, v34
	v_mov_b32_e32 v34, 0
	s_and_saveexec_b32 s6, s5
	s_cbranch_execz .LBB258_114
; %bb.107:                              ;   in Loop: Header=BB258_10 Depth=1
	v_and_b32_e32 v34, 0xff, v1
	s_delay_alu instid0(VALU_DEP_1)
	v_cmp_ne_u16_e64 s5, 0x80, v34
	v_mov_b32_e32 v34, 0x8000
	s_and_saveexec_b32 s34, s5
	s_cbranch_execz .LBB258_113
; %bb.108:                              ;   in Loop: Header=BB258_10 Depth=1
	v_and_b32_e32 v36, 0x7f, v1
	v_mov_b32_e32 v34, 0x7c01
	s_mov_b32 s35, exec_lo
	s_delay_alu instid0(VALU_DEP_2)
	v_cmpx_ne_u32_e32 0x7f, v36
	s_cbranch_execz .LBB258_112
; %bb.109:                              ;   in Loop: Header=BB258_10 Depth=1
	v_and_b32_e32 v34, 7, v1
	v_lshrrev_b32_e32 v35, 3, v36
	s_mov_b32 s36, exec_lo
	v_cmpx_gt_u32_e32 8, v36
; %bb.110:                              ;   in Loop: Header=BB258_10 Depth=1
	s_delay_alu instid0(VALU_DEP_3) | instskip(NEXT) | instid1(VALU_DEP_1)
	v_clz_i32_u32_e32 v34, v34
	v_min_u32_e32 v36, 32, v34
	s_delay_alu instid0(VALU_DEP_1) | instskip(NEXT) | instid1(VALU_DEP_1)
	v_subrev_nc_u32_e32 v34, 28, v36
	v_lshlrev_b64_e32 v[34:35], v34, v[1:2]
	v_sub_nc_u32_e32 v35, 29, v36
	s_delay_alu instid0(VALU_DEP_2)
	v_and_b32_e32 v34, 7, v34
; %bb.111:                              ;   in Loop: Header=BB258_10 Depth=1
	s_or_b32 exec_lo, exec_lo, s36
	v_lshlrev_b32_e32 v36, 8, v1
	s_delay_alu instid0(VALU_DEP_3) | instskip(NEXT) | instid1(VALU_DEP_3)
	v_lshl_add_u32 v35, v35, 10, 0x2000
	v_lshlrev_b32_e32 v34, 7, v34
	s_delay_alu instid0(VALU_DEP_3) | instskip(NEXT) | instid1(VALU_DEP_3)
	v_and_b32_e32 v36, 0x8000, v36
	v_and_b32_e32 v35, 0xfc00, v35
	s_delay_alu instid0(VALU_DEP_1)
	v_or3_b32 v34, v36, v35, v34
.LBB258_112:                            ;   in Loop: Header=BB258_10 Depth=1
	s_wait_alu 0xfffe
	s_or_b32 exec_lo, exec_lo, s35
.LBB258_113:                            ;   in Loop: Header=BB258_10 Depth=1
	s_wait_alu 0xfffe
	s_or_b32 exec_lo, exec_lo, s34
.LBB258_114:                            ;   in Loop: Header=BB258_10 Depth=1
	s_wait_alu 0xfffe
	s_or_b32 exec_lo, exec_lo, s6
	v_lshrrev_b16 v1, 8, v1
	s_mov_b32 s6, exec_lo
	s_delay_alu instid0(VALU_DEP_1)
	v_cmpx_ne_u16_e32 0, v1
	s_cbranch_execz .LBB258_122
; %bb.115:                              ;   in Loop: Header=BB258_10 Depth=1
	v_bfrev_b32_e32 v33, 1
	s_mov_b32 s34, exec_lo
	v_cmpx_ne_u16_e32 0x80, v1
	s_cbranch_execz .LBB258_121
; %bb.116:                              ;   in Loop: Header=BB258_10 Depth=1
	v_and_b32_e32 v35, 0xffff, v1
	v_mov_b32_e32 v33, 0x7c010000
	s_mov_b32 s35, exec_lo
	s_delay_alu instid0(VALU_DEP_2) | instskip(NEXT) | instid1(VALU_DEP_1)
	v_and_b32_e32 v37, 0x7f, v35
	v_cmpx_ne_u32_e32 0x7f, v37
	s_cbranch_execz .LBB258_120
; %bb.117:                              ;   in Loop: Header=BB258_10 Depth=1
	v_and_b32_e32 v33, 7, v35
	v_lshrrev_b32_e32 v36, 3, v37
	s_mov_b32 s36, exec_lo
	v_cmpx_gt_u32_e32 8, v37
; %bb.118:                              ;   in Loop: Header=BB258_10 Depth=1
	s_delay_alu instid0(VALU_DEP_3) | instskip(NEXT) | instid1(VALU_DEP_1)
	v_clz_i32_u32_e32 v33, v33
	v_min_u32_e32 v33, 32, v33
	s_delay_alu instid0(VALU_DEP_1) | instskip(NEXT) | instid1(VALU_DEP_1)
	v_subrev_nc_u32_e32 v36, 28, v33
	v_lshlrev_b64_e32 v[37:38], v36, v[1:2]
	v_sub_nc_u32_e32 v36, 29, v33
	s_delay_alu instid0(VALU_DEP_2)
	v_and_b32_e32 v33, 7, v37
; %bb.119:                              ;   in Loop: Header=BB258_10 Depth=1
	s_or_b32 exec_lo, exec_lo, s36
	v_lshlrev_b32_e32 v1, 8, v35
	s_delay_alu instid0(VALU_DEP_3) | instskip(NEXT) | instid1(VALU_DEP_3)
	v_lshl_add_u32 v35, v36, 10, 0x2000
	v_lshlrev_b32_e32 v33, 23, v33
	s_delay_alu instid0(VALU_DEP_2) | instskip(NEXT) | instid1(VALU_DEP_1)
	v_and_or_b32 v1, 0x8000, v1, v35
	v_lshl_or_b32 v33, v1, 16, v33
.LBB258_120:                            ;   in Loop: Header=BB258_10 Depth=1
	s_wait_alu 0xfffe
	s_or_b32 exec_lo, exec_lo, s35
.LBB258_121:                            ;   in Loop: Header=BB258_10 Depth=1
	s_wait_alu 0xfffe
	s_or_b32 exec_lo, exec_lo, s34
.LBB258_122:                            ;   in Loop: Header=BB258_10 Depth=1
	s_wait_alu 0xfffe
	s_or_b32 exec_lo, exec_lo, s6
	global_load_u16 v1, v[7:8], off offset:392
	s_wait_loadcnt 0x0
	v_dual_mov_b32 v35, 0 :: v_dual_and_b32 v36, 0xff, v1
	v_and_b32_e32 v1, 0xffff, v1
	s_delay_alu instid0(VALU_DEP_2)
	v_cmp_ne_u16_e64 s5, 0, v36
	v_mov_b32_e32 v36, 0
	s_and_saveexec_b32 s6, s5
	s_cbranch_execz .LBB258_130
; %bb.123:                              ;   in Loop: Header=BB258_10 Depth=1
	v_and_b32_e32 v36, 0xff, v1
	s_delay_alu instid0(VALU_DEP_1)
	v_cmp_ne_u16_e64 s5, 0x80, v36
	v_mov_b32_e32 v36, 0x8000
	s_and_saveexec_b32 s34, s5
	s_cbranch_execz .LBB258_129
; %bb.124:                              ;   in Loop: Header=BB258_10 Depth=1
	v_and_b32_e32 v38, 0x7f, v1
	v_mov_b32_e32 v36, 0x7c01
	s_mov_b32 s35, exec_lo
	s_delay_alu instid0(VALU_DEP_2)
	v_cmpx_ne_u32_e32 0x7f, v38
	s_cbranch_execz .LBB258_128
; %bb.125:                              ;   in Loop: Header=BB258_10 Depth=1
	v_and_b32_e32 v36, 7, v1
	v_lshrrev_b32_e32 v37, 3, v38
	s_mov_b32 s36, exec_lo
	v_cmpx_gt_u32_e32 8, v38
; %bb.126:                              ;   in Loop: Header=BB258_10 Depth=1
	s_delay_alu instid0(VALU_DEP_3) | instskip(NEXT) | instid1(VALU_DEP_1)
	v_clz_i32_u32_e32 v36, v36
	v_min_u32_e32 v38, 32, v36
	s_delay_alu instid0(VALU_DEP_1) | instskip(NEXT) | instid1(VALU_DEP_1)
	v_subrev_nc_u32_e32 v36, 28, v38
	v_lshlrev_b64_e32 v[36:37], v36, v[1:2]
	v_sub_nc_u32_e32 v37, 29, v38
	s_delay_alu instid0(VALU_DEP_2)
	v_and_b32_e32 v36, 7, v36
; %bb.127:                              ;   in Loop: Header=BB258_10 Depth=1
	s_or_b32 exec_lo, exec_lo, s36
	v_lshlrev_b32_e32 v38, 8, v1
	s_delay_alu instid0(VALU_DEP_3) | instskip(NEXT) | instid1(VALU_DEP_3)
	v_lshl_add_u32 v37, v37, 10, 0x2000
	v_lshlrev_b32_e32 v36, 7, v36
	s_delay_alu instid0(VALU_DEP_3) | instskip(NEXT) | instid1(VALU_DEP_3)
	v_and_b32_e32 v38, 0x8000, v38
	v_and_b32_e32 v37, 0xfc00, v37
	s_delay_alu instid0(VALU_DEP_1)
	v_or3_b32 v36, v38, v37, v36
.LBB258_128:                            ;   in Loop: Header=BB258_10 Depth=1
	s_wait_alu 0xfffe
	s_or_b32 exec_lo, exec_lo, s35
.LBB258_129:                            ;   in Loop: Header=BB258_10 Depth=1
	s_wait_alu 0xfffe
	s_or_b32 exec_lo, exec_lo, s34
.LBB258_130:                            ;   in Loop: Header=BB258_10 Depth=1
	s_wait_alu 0xfffe
	s_or_b32 exec_lo, exec_lo, s6
	v_lshrrev_b16 v1, 8, v1
	s_mov_b32 s6, exec_lo
	s_delay_alu instid0(VALU_DEP_1)
	v_cmpx_ne_u16_e32 0, v1
	s_cbranch_execz .LBB258_138
; %bb.131:                              ;   in Loop: Header=BB258_10 Depth=1
	v_bfrev_b32_e32 v35, 1
	s_mov_b32 s34, exec_lo
	v_cmpx_ne_u16_e32 0x80, v1
	s_cbranch_execz .LBB258_137
; %bb.132:                              ;   in Loop: Header=BB258_10 Depth=1
	v_and_b32_e32 v37, 0xffff, v1
	v_mov_b32_e32 v35, 0x7c010000
	s_mov_b32 s35, exec_lo
	s_delay_alu instid0(VALU_DEP_2) | instskip(NEXT) | instid1(VALU_DEP_1)
	v_and_b32_e32 v39, 0x7f, v37
	v_cmpx_ne_u32_e32 0x7f, v39
	s_cbranch_execz .LBB258_136
; %bb.133:                              ;   in Loop: Header=BB258_10 Depth=1
	v_and_b32_e32 v35, 7, v37
	v_lshrrev_b32_e32 v38, 3, v39
	s_mov_b32 s36, exec_lo
	v_cmpx_gt_u32_e32 8, v39
; %bb.134:                              ;   in Loop: Header=BB258_10 Depth=1
	s_delay_alu instid0(VALU_DEP_3) | instskip(NEXT) | instid1(VALU_DEP_1)
	v_clz_i32_u32_e32 v35, v35
	v_min_u32_e32 v35, 32, v35
	s_delay_alu instid0(VALU_DEP_1) | instskip(NEXT) | instid1(VALU_DEP_1)
	v_subrev_nc_u32_e32 v38, 28, v35
	v_lshlrev_b64_e32 v[39:40], v38, v[1:2]
	v_sub_nc_u32_e32 v38, 29, v35
	s_delay_alu instid0(VALU_DEP_2)
	v_and_b32_e32 v35, 7, v39
; %bb.135:                              ;   in Loop: Header=BB258_10 Depth=1
	s_or_b32 exec_lo, exec_lo, s36
	v_lshlrev_b32_e32 v1, 8, v37
	s_delay_alu instid0(VALU_DEP_3) | instskip(NEXT) | instid1(VALU_DEP_3)
	v_lshl_add_u32 v37, v38, 10, 0x2000
	v_lshlrev_b32_e32 v35, 23, v35
	s_delay_alu instid0(VALU_DEP_2) | instskip(NEXT) | instid1(VALU_DEP_1)
	v_and_or_b32 v1, 0x8000, v1, v37
	v_lshl_or_b32 v35, v1, 16, v35
.LBB258_136:                            ;   in Loop: Header=BB258_10 Depth=1
	s_wait_alu 0xfffe
	s_or_b32 exec_lo, exec_lo, s35
.LBB258_137:                            ;   in Loop: Header=BB258_10 Depth=1
	s_wait_alu 0xfffe
	s_or_b32 exec_lo, exec_lo, s34
.LBB258_138:                            ;   in Loop: Header=BB258_10 Depth=1
	s_wait_alu 0xfffe
	s_or_b32 exec_lo, exec_lo, s6
	global_load_u16 v1, v[7:8], off offset:512
	s_wait_loadcnt 0x0
	v_dual_mov_b32 v37, 0 :: v_dual_and_b32 v38, 0xff, v1
	v_and_b32_e32 v1, 0xffff, v1
	s_delay_alu instid0(VALU_DEP_2)
	v_cmp_ne_u16_e64 s5, 0, v38
	v_mov_b32_e32 v38, 0
	s_and_saveexec_b32 s6, s5
	s_cbranch_execz .LBB258_146
; %bb.139:                              ;   in Loop: Header=BB258_10 Depth=1
	v_and_b32_e32 v38, 0xff, v1
	s_delay_alu instid0(VALU_DEP_1)
	v_cmp_ne_u16_e64 s5, 0x80, v38
	v_mov_b32_e32 v38, 0x8000
	s_and_saveexec_b32 s34, s5
	s_cbranch_execz .LBB258_145
; %bb.140:                              ;   in Loop: Header=BB258_10 Depth=1
	v_and_b32_e32 v40, 0x7f, v1
	v_mov_b32_e32 v38, 0x7c01
	s_mov_b32 s35, exec_lo
	s_delay_alu instid0(VALU_DEP_2)
	v_cmpx_ne_u32_e32 0x7f, v40
	s_cbranch_execz .LBB258_144
; %bb.141:                              ;   in Loop: Header=BB258_10 Depth=1
	v_and_b32_e32 v38, 7, v1
	v_lshrrev_b32_e32 v39, 3, v40
	s_mov_b32 s36, exec_lo
	v_cmpx_gt_u32_e32 8, v40
; %bb.142:                              ;   in Loop: Header=BB258_10 Depth=1
	s_delay_alu instid0(VALU_DEP_3) | instskip(NEXT) | instid1(VALU_DEP_1)
	v_clz_i32_u32_e32 v38, v38
	v_min_u32_e32 v40, 32, v38
	s_delay_alu instid0(VALU_DEP_1) | instskip(NEXT) | instid1(VALU_DEP_1)
	v_subrev_nc_u32_e32 v38, 28, v40
	v_lshlrev_b64_e32 v[38:39], v38, v[1:2]
	v_sub_nc_u32_e32 v39, 29, v40
	s_delay_alu instid0(VALU_DEP_2)
	v_and_b32_e32 v38, 7, v38
; %bb.143:                              ;   in Loop: Header=BB258_10 Depth=1
	s_or_b32 exec_lo, exec_lo, s36
	v_lshlrev_b32_e32 v40, 8, v1
	s_delay_alu instid0(VALU_DEP_3) | instskip(NEXT) | instid1(VALU_DEP_3)
	v_lshl_add_u32 v39, v39, 10, 0x2000
	v_lshlrev_b32_e32 v38, 7, v38
	s_delay_alu instid0(VALU_DEP_3) | instskip(NEXT) | instid1(VALU_DEP_3)
	v_and_b32_e32 v40, 0x8000, v40
	v_and_b32_e32 v39, 0xfc00, v39
	s_delay_alu instid0(VALU_DEP_1)
	v_or3_b32 v38, v40, v39, v38
.LBB258_144:                            ;   in Loop: Header=BB258_10 Depth=1
	s_wait_alu 0xfffe
	s_or_b32 exec_lo, exec_lo, s35
.LBB258_145:                            ;   in Loop: Header=BB258_10 Depth=1
	s_wait_alu 0xfffe
	s_or_b32 exec_lo, exec_lo, s34
.LBB258_146:                            ;   in Loop: Header=BB258_10 Depth=1
	s_wait_alu 0xfffe
	s_or_b32 exec_lo, exec_lo, s6
	v_lshrrev_b16 v1, 8, v1
	s_mov_b32 s6, exec_lo
	s_delay_alu instid0(VALU_DEP_1)
	v_cmpx_ne_u16_e32 0, v1
	s_cbranch_execz .LBB258_154
; %bb.147:                              ;   in Loop: Header=BB258_10 Depth=1
	v_bfrev_b32_e32 v37, 1
	s_mov_b32 s34, exec_lo
	v_cmpx_ne_u16_e32 0x80, v1
	s_cbranch_execz .LBB258_153
; %bb.148:                              ;   in Loop: Header=BB258_10 Depth=1
	v_and_b32_e32 v39, 0xffff, v1
	v_mov_b32_e32 v37, 0x7c010000
	s_mov_b32 s35, exec_lo
	s_delay_alu instid0(VALU_DEP_2) | instskip(NEXT) | instid1(VALU_DEP_1)
	v_and_b32_e32 v41, 0x7f, v39
	v_cmpx_ne_u32_e32 0x7f, v41
	s_cbranch_execz .LBB258_152
; %bb.149:                              ;   in Loop: Header=BB258_10 Depth=1
	v_and_b32_e32 v37, 7, v39
	v_lshrrev_b32_e32 v40, 3, v41
	s_mov_b32 s36, exec_lo
	v_cmpx_gt_u32_e32 8, v41
; %bb.150:                              ;   in Loop: Header=BB258_10 Depth=1
	s_delay_alu instid0(VALU_DEP_3) | instskip(NEXT) | instid1(VALU_DEP_1)
	v_clz_i32_u32_e32 v37, v37
	v_min_u32_e32 v37, 32, v37
	s_delay_alu instid0(VALU_DEP_1) | instskip(NEXT) | instid1(VALU_DEP_1)
	v_subrev_nc_u32_e32 v40, 28, v37
	v_lshlrev_b64_e32 v[41:42], v40, v[1:2]
	v_sub_nc_u32_e32 v40, 29, v37
	s_delay_alu instid0(VALU_DEP_2)
	v_and_b32_e32 v37, 7, v41
; %bb.151:                              ;   in Loop: Header=BB258_10 Depth=1
	s_or_b32 exec_lo, exec_lo, s36
	v_lshlrev_b32_e32 v1, 8, v39
	s_delay_alu instid0(VALU_DEP_3) | instskip(NEXT) | instid1(VALU_DEP_3)
	v_lshl_add_u32 v39, v40, 10, 0x2000
	v_lshlrev_b32_e32 v37, 23, v37
	s_delay_alu instid0(VALU_DEP_2) | instskip(NEXT) | instid1(VALU_DEP_1)
	v_and_or_b32 v1, 0x8000, v1, v39
	v_lshl_or_b32 v37, v1, 16, v37
.LBB258_152:                            ;   in Loop: Header=BB258_10 Depth=1
	s_wait_alu 0xfffe
	s_or_b32 exec_lo, exec_lo, s35
.LBB258_153:                            ;   in Loop: Header=BB258_10 Depth=1
	s_wait_alu 0xfffe
	s_or_b32 exec_lo, exec_lo, s34
.LBB258_154:                            ;   in Loop: Header=BB258_10 Depth=1
	s_wait_alu 0xfffe
	s_or_b32 exec_lo, exec_lo, s6
	global_load_u16 v1, v[7:8], off offset:520
	s_wait_loadcnt 0x0
	v_dual_mov_b32 v39, 0 :: v_dual_and_b32 v40, 0xff, v1
	v_and_b32_e32 v1, 0xffff, v1
	s_delay_alu instid0(VALU_DEP_2)
	v_cmp_ne_u16_e64 s5, 0, v40
	v_mov_b32_e32 v40, 0
	s_and_saveexec_b32 s6, s5
	s_cbranch_execz .LBB258_162
; %bb.155:                              ;   in Loop: Header=BB258_10 Depth=1
	v_and_b32_e32 v40, 0xff, v1
	s_delay_alu instid0(VALU_DEP_1)
	v_cmp_ne_u16_e64 s5, 0x80, v40
	v_mov_b32_e32 v40, 0x8000
	s_and_saveexec_b32 s34, s5
	s_cbranch_execz .LBB258_161
; %bb.156:                              ;   in Loop: Header=BB258_10 Depth=1
	v_and_b32_e32 v42, 0x7f, v1
	v_mov_b32_e32 v40, 0x7c01
	s_mov_b32 s35, exec_lo
	s_delay_alu instid0(VALU_DEP_2)
	v_cmpx_ne_u32_e32 0x7f, v42
	s_cbranch_execz .LBB258_160
; %bb.157:                              ;   in Loop: Header=BB258_10 Depth=1
	v_and_b32_e32 v40, 7, v1
	v_lshrrev_b32_e32 v41, 3, v42
	s_mov_b32 s36, exec_lo
	v_cmpx_gt_u32_e32 8, v42
; %bb.158:                              ;   in Loop: Header=BB258_10 Depth=1
	s_delay_alu instid0(VALU_DEP_3) | instskip(NEXT) | instid1(VALU_DEP_1)
	v_clz_i32_u32_e32 v40, v40
	v_min_u32_e32 v42, 32, v40
	s_delay_alu instid0(VALU_DEP_1) | instskip(NEXT) | instid1(VALU_DEP_1)
	v_subrev_nc_u32_e32 v40, 28, v42
	v_lshlrev_b64_e32 v[40:41], v40, v[1:2]
	v_sub_nc_u32_e32 v41, 29, v42
	s_delay_alu instid0(VALU_DEP_2)
	v_and_b32_e32 v40, 7, v40
; %bb.159:                              ;   in Loop: Header=BB258_10 Depth=1
	s_or_b32 exec_lo, exec_lo, s36
	v_lshlrev_b32_e32 v42, 8, v1
	s_delay_alu instid0(VALU_DEP_3) | instskip(NEXT) | instid1(VALU_DEP_3)
	v_lshl_add_u32 v41, v41, 10, 0x2000
	v_lshlrev_b32_e32 v40, 7, v40
	s_delay_alu instid0(VALU_DEP_3) | instskip(NEXT) | instid1(VALU_DEP_3)
	v_and_b32_e32 v42, 0x8000, v42
	v_and_b32_e32 v41, 0xfc00, v41
	s_delay_alu instid0(VALU_DEP_1)
	v_or3_b32 v40, v42, v41, v40
.LBB258_160:                            ;   in Loop: Header=BB258_10 Depth=1
	s_wait_alu 0xfffe
	s_or_b32 exec_lo, exec_lo, s35
.LBB258_161:                            ;   in Loop: Header=BB258_10 Depth=1
	s_wait_alu 0xfffe
	s_or_b32 exec_lo, exec_lo, s34
.LBB258_162:                            ;   in Loop: Header=BB258_10 Depth=1
	s_wait_alu 0xfffe
	s_or_b32 exec_lo, exec_lo, s6
	v_lshrrev_b16 v1, 8, v1
	s_mov_b32 s6, exec_lo
	s_delay_alu instid0(VALU_DEP_1)
	v_cmpx_ne_u16_e32 0, v1
	s_cbranch_execz .LBB258_170
; %bb.163:                              ;   in Loop: Header=BB258_10 Depth=1
	v_bfrev_b32_e32 v39, 1
	s_mov_b32 s34, exec_lo
	v_cmpx_ne_u16_e32 0x80, v1
	s_cbranch_execz .LBB258_169
; %bb.164:                              ;   in Loop: Header=BB258_10 Depth=1
	v_and_b32_e32 v41, 0xffff, v1
	v_mov_b32_e32 v39, 0x7c010000
	s_mov_b32 s35, exec_lo
	s_delay_alu instid0(VALU_DEP_2) | instskip(NEXT) | instid1(VALU_DEP_1)
	v_and_b32_e32 v43, 0x7f, v41
	v_cmpx_ne_u32_e32 0x7f, v43
	s_cbranch_execz .LBB258_168
; %bb.165:                              ;   in Loop: Header=BB258_10 Depth=1
	v_and_b32_e32 v39, 7, v41
	v_lshrrev_b32_e32 v42, 3, v43
	s_mov_b32 s36, exec_lo
	v_cmpx_gt_u32_e32 8, v43
; %bb.166:                              ;   in Loop: Header=BB258_10 Depth=1
	s_delay_alu instid0(VALU_DEP_3) | instskip(NEXT) | instid1(VALU_DEP_1)
	v_clz_i32_u32_e32 v39, v39
	v_min_u32_e32 v39, 32, v39
	s_delay_alu instid0(VALU_DEP_1) | instskip(NEXT) | instid1(VALU_DEP_1)
	v_subrev_nc_u32_e32 v42, 28, v39
	v_lshlrev_b64_e32 v[43:44], v42, v[1:2]
	v_sub_nc_u32_e32 v42, 29, v39
	s_delay_alu instid0(VALU_DEP_2)
	v_and_b32_e32 v39, 7, v43
; %bb.167:                              ;   in Loop: Header=BB258_10 Depth=1
	s_or_b32 exec_lo, exec_lo, s36
	v_lshlrev_b32_e32 v1, 8, v41
	s_delay_alu instid0(VALU_DEP_3) | instskip(NEXT) | instid1(VALU_DEP_3)
	v_lshl_add_u32 v41, v42, 10, 0x2000
	v_lshlrev_b32_e32 v39, 23, v39
	s_delay_alu instid0(VALU_DEP_2) | instskip(NEXT) | instid1(VALU_DEP_1)
	v_and_or_b32 v1, 0x8000, v1, v41
	v_lshl_or_b32 v39, v1, 16, v39
.LBB258_168:                            ;   in Loop: Header=BB258_10 Depth=1
	s_wait_alu 0xfffe
	s_or_b32 exec_lo, exec_lo, s35
.LBB258_169:                            ;   in Loop: Header=BB258_10 Depth=1
	s_wait_alu 0xfffe
	s_or_b32 exec_lo, exec_lo, s34
.LBB258_170:                            ;   in Loop: Header=BB258_10 Depth=1
	s_wait_alu 0xfffe
	s_or_b32 exec_lo, exec_lo, s6
	global_load_u16 v1, v[7:8], off offset:640
	s_wait_loadcnt 0x0
	v_dual_mov_b32 v41, 0 :: v_dual_and_b32 v42, 0xff, v1
	v_and_b32_e32 v1, 0xffff, v1
	s_delay_alu instid0(VALU_DEP_2)
	v_cmp_ne_u16_e64 s5, 0, v42
	v_mov_b32_e32 v42, 0
	s_and_saveexec_b32 s6, s5
	s_cbranch_execz .LBB258_178
; %bb.171:                              ;   in Loop: Header=BB258_10 Depth=1
	v_and_b32_e32 v42, 0xff, v1
	s_delay_alu instid0(VALU_DEP_1)
	v_cmp_ne_u16_e64 s5, 0x80, v42
	v_mov_b32_e32 v42, 0x8000
	s_and_saveexec_b32 s34, s5
	s_cbranch_execz .LBB258_177
; %bb.172:                              ;   in Loop: Header=BB258_10 Depth=1
	v_and_b32_e32 v44, 0x7f, v1
	v_mov_b32_e32 v42, 0x7c01
	s_mov_b32 s35, exec_lo
	s_delay_alu instid0(VALU_DEP_2)
	v_cmpx_ne_u32_e32 0x7f, v44
	s_cbranch_execz .LBB258_176
; %bb.173:                              ;   in Loop: Header=BB258_10 Depth=1
	v_and_b32_e32 v42, 7, v1
	v_lshrrev_b32_e32 v43, 3, v44
	s_mov_b32 s36, exec_lo
	v_cmpx_gt_u32_e32 8, v44
; %bb.174:                              ;   in Loop: Header=BB258_10 Depth=1
	s_delay_alu instid0(VALU_DEP_3) | instskip(NEXT) | instid1(VALU_DEP_1)
	v_clz_i32_u32_e32 v42, v42
	v_min_u32_e32 v44, 32, v42
	s_delay_alu instid0(VALU_DEP_1) | instskip(NEXT) | instid1(VALU_DEP_1)
	v_subrev_nc_u32_e32 v42, 28, v44
	v_lshlrev_b64_e32 v[42:43], v42, v[1:2]
	v_sub_nc_u32_e32 v43, 29, v44
	s_delay_alu instid0(VALU_DEP_2)
	v_and_b32_e32 v42, 7, v42
; %bb.175:                              ;   in Loop: Header=BB258_10 Depth=1
	s_or_b32 exec_lo, exec_lo, s36
	v_lshlrev_b32_e32 v44, 8, v1
	s_delay_alu instid0(VALU_DEP_3) | instskip(NEXT) | instid1(VALU_DEP_3)
	v_lshl_add_u32 v43, v43, 10, 0x2000
	v_lshlrev_b32_e32 v42, 7, v42
	s_delay_alu instid0(VALU_DEP_3) | instskip(NEXT) | instid1(VALU_DEP_3)
	v_and_b32_e32 v44, 0x8000, v44
	v_and_b32_e32 v43, 0xfc00, v43
	s_delay_alu instid0(VALU_DEP_1)
	v_or3_b32 v42, v44, v43, v42
.LBB258_176:                            ;   in Loop: Header=BB258_10 Depth=1
	s_wait_alu 0xfffe
	s_or_b32 exec_lo, exec_lo, s35
.LBB258_177:                            ;   in Loop: Header=BB258_10 Depth=1
	s_wait_alu 0xfffe
	s_or_b32 exec_lo, exec_lo, s34
.LBB258_178:                            ;   in Loop: Header=BB258_10 Depth=1
	s_wait_alu 0xfffe
	s_or_b32 exec_lo, exec_lo, s6
	v_lshrrev_b16 v1, 8, v1
	s_mov_b32 s6, exec_lo
	s_delay_alu instid0(VALU_DEP_1)
	v_cmpx_ne_u16_e32 0, v1
	s_cbranch_execz .LBB258_186
; %bb.179:                              ;   in Loop: Header=BB258_10 Depth=1
	v_bfrev_b32_e32 v41, 1
	s_mov_b32 s34, exec_lo
	v_cmpx_ne_u16_e32 0x80, v1
	s_cbranch_execz .LBB258_185
; %bb.180:                              ;   in Loop: Header=BB258_10 Depth=1
	v_and_b32_e32 v43, 0xffff, v1
	v_mov_b32_e32 v41, 0x7c010000
	s_mov_b32 s35, exec_lo
	s_delay_alu instid0(VALU_DEP_2) | instskip(NEXT) | instid1(VALU_DEP_1)
	v_and_b32_e32 v45, 0x7f, v43
	v_cmpx_ne_u32_e32 0x7f, v45
	s_cbranch_execz .LBB258_184
; %bb.181:                              ;   in Loop: Header=BB258_10 Depth=1
	v_and_b32_e32 v41, 7, v43
	v_lshrrev_b32_e32 v44, 3, v45
	s_mov_b32 s36, exec_lo
	v_cmpx_gt_u32_e32 8, v45
; %bb.182:                              ;   in Loop: Header=BB258_10 Depth=1
	s_delay_alu instid0(VALU_DEP_3) | instskip(NEXT) | instid1(VALU_DEP_1)
	v_clz_i32_u32_e32 v41, v41
	v_min_u32_e32 v41, 32, v41
	s_delay_alu instid0(VALU_DEP_1) | instskip(NEXT) | instid1(VALU_DEP_1)
	v_subrev_nc_u32_e32 v44, 28, v41
	v_lshlrev_b64_e32 v[45:46], v44, v[1:2]
	v_sub_nc_u32_e32 v44, 29, v41
	s_delay_alu instid0(VALU_DEP_2)
	v_and_b32_e32 v41, 7, v45
; %bb.183:                              ;   in Loop: Header=BB258_10 Depth=1
	s_or_b32 exec_lo, exec_lo, s36
	v_lshlrev_b32_e32 v1, 8, v43
	s_delay_alu instid0(VALU_DEP_3) | instskip(NEXT) | instid1(VALU_DEP_3)
	v_lshl_add_u32 v43, v44, 10, 0x2000
	v_lshlrev_b32_e32 v41, 23, v41
	s_delay_alu instid0(VALU_DEP_2) | instskip(NEXT) | instid1(VALU_DEP_1)
	v_and_or_b32 v1, 0x8000, v1, v43
	v_lshl_or_b32 v41, v1, 16, v41
.LBB258_184:                            ;   in Loop: Header=BB258_10 Depth=1
	s_wait_alu 0xfffe
	s_or_b32 exec_lo, exec_lo, s35
.LBB258_185:                            ;   in Loop: Header=BB258_10 Depth=1
	s_wait_alu 0xfffe
	s_or_b32 exec_lo, exec_lo, s34
.LBB258_186:                            ;   in Loop: Header=BB258_10 Depth=1
	s_wait_alu 0xfffe
	s_or_b32 exec_lo, exec_lo, s6
	global_load_u16 v1, v[7:8], off offset:648
	s_wait_loadcnt 0x0
	v_dual_mov_b32 v43, 0 :: v_dual_and_b32 v44, 0xff, v1
	v_and_b32_e32 v1, 0xffff, v1
	s_delay_alu instid0(VALU_DEP_2)
	v_cmp_ne_u16_e64 s5, 0, v44
	v_mov_b32_e32 v44, 0
	s_and_saveexec_b32 s6, s5
	s_cbranch_execz .LBB258_194
; %bb.187:                              ;   in Loop: Header=BB258_10 Depth=1
	v_and_b32_e32 v44, 0xff, v1
	s_delay_alu instid0(VALU_DEP_1)
	v_cmp_ne_u16_e64 s5, 0x80, v44
	v_mov_b32_e32 v44, 0x8000
	s_and_saveexec_b32 s34, s5
	s_cbranch_execz .LBB258_193
; %bb.188:                              ;   in Loop: Header=BB258_10 Depth=1
	v_and_b32_e32 v46, 0x7f, v1
	v_mov_b32_e32 v44, 0x7c01
	s_mov_b32 s35, exec_lo
	s_delay_alu instid0(VALU_DEP_2)
	v_cmpx_ne_u32_e32 0x7f, v46
	s_cbranch_execz .LBB258_192
; %bb.189:                              ;   in Loop: Header=BB258_10 Depth=1
	v_and_b32_e32 v44, 7, v1
	v_lshrrev_b32_e32 v45, 3, v46
	s_mov_b32 s36, exec_lo
	v_cmpx_gt_u32_e32 8, v46
; %bb.190:                              ;   in Loop: Header=BB258_10 Depth=1
	s_delay_alu instid0(VALU_DEP_3) | instskip(NEXT) | instid1(VALU_DEP_1)
	v_clz_i32_u32_e32 v44, v44
	v_min_u32_e32 v46, 32, v44
	s_delay_alu instid0(VALU_DEP_1) | instskip(NEXT) | instid1(VALU_DEP_1)
	v_subrev_nc_u32_e32 v44, 28, v46
	v_lshlrev_b64_e32 v[44:45], v44, v[1:2]
	v_sub_nc_u32_e32 v45, 29, v46
	s_delay_alu instid0(VALU_DEP_2)
	v_and_b32_e32 v44, 7, v44
; %bb.191:                              ;   in Loop: Header=BB258_10 Depth=1
	s_or_b32 exec_lo, exec_lo, s36
	v_lshlrev_b32_e32 v46, 8, v1
	s_delay_alu instid0(VALU_DEP_3) | instskip(NEXT) | instid1(VALU_DEP_3)
	v_lshl_add_u32 v45, v45, 10, 0x2000
	v_lshlrev_b32_e32 v44, 7, v44
	s_delay_alu instid0(VALU_DEP_3) | instskip(NEXT) | instid1(VALU_DEP_3)
	v_and_b32_e32 v46, 0x8000, v46
	v_and_b32_e32 v45, 0xfc00, v45
	s_delay_alu instid0(VALU_DEP_1)
	v_or3_b32 v44, v46, v45, v44
.LBB258_192:                            ;   in Loop: Header=BB258_10 Depth=1
	s_wait_alu 0xfffe
	s_or_b32 exec_lo, exec_lo, s35
.LBB258_193:                            ;   in Loop: Header=BB258_10 Depth=1
	s_wait_alu 0xfffe
	s_or_b32 exec_lo, exec_lo, s34
.LBB258_194:                            ;   in Loop: Header=BB258_10 Depth=1
	s_wait_alu 0xfffe
	s_or_b32 exec_lo, exec_lo, s6
	v_lshrrev_b16 v1, 8, v1
	s_mov_b32 s6, exec_lo
	s_delay_alu instid0(VALU_DEP_1)
	v_cmpx_ne_u16_e32 0, v1
	s_cbranch_execz .LBB258_202
; %bb.195:                              ;   in Loop: Header=BB258_10 Depth=1
	v_bfrev_b32_e32 v43, 1
	s_mov_b32 s34, exec_lo
	v_cmpx_ne_u16_e32 0x80, v1
	s_cbranch_execz .LBB258_201
; %bb.196:                              ;   in Loop: Header=BB258_10 Depth=1
	v_and_b32_e32 v45, 0xffff, v1
	v_mov_b32_e32 v43, 0x7c010000
	s_mov_b32 s35, exec_lo
	s_delay_alu instid0(VALU_DEP_2) | instskip(NEXT) | instid1(VALU_DEP_1)
	v_and_b32_e32 v47, 0x7f, v45
	v_cmpx_ne_u32_e32 0x7f, v47
	s_cbranch_execz .LBB258_200
; %bb.197:                              ;   in Loop: Header=BB258_10 Depth=1
	v_and_b32_e32 v43, 7, v45
	v_lshrrev_b32_e32 v46, 3, v47
	s_mov_b32 s36, exec_lo
	v_cmpx_gt_u32_e32 8, v47
; %bb.198:                              ;   in Loop: Header=BB258_10 Depth=1
	s_delay_alu instid0(VALU_DEP_3) | instskip(NEXT) | instid1(VALU_DEP_1)
	v_clz_i32_u32_e32 v43, v43
	v_min_u32_e32 v43, 32, v43
	s_delay_alu instid0(VALU_DEP_1) | instskip(NEXT) | instid1(VALU_DEP_1)
	v_subrev_nc_u32_e32 v46, 28, v43
	v_lshlrev_b64_e32 v[47:48], v46, v[1:2]
	v_sub_nc_u32_e32 v46, 29, v43
	s_delay_alu instid0(VALU_DEP_2)
	v_and_b32_e32 v43, 7, v47
; %bb.199:                              ;   in Loop: Header=BB258_10 Depth=1
	s_or_b32 exec_lo, exec_lo, s36
	v_lshlrev_b32_e32 v1, 8, v45
	s_delay_alu instid0(VALU_DEP_3) | instskip(NEXT) | instid1(VALU_DEP_3)
	v_lshl_add_u32 v45, v46, 10, 0x2000
	v_lshlrev_b32_e32 v43, 23, v43
	s_delay_alu instid0(VALU_DEP_2) | instskip(NEXT) | instid1(VALU_DEP_1)
	v_and_or_b32 v1, 0x8000, v1, v45
	v_lshl_or_b32 v43, v1, 16, v43
.LBB258_200:                            ;   in Loop: Header=BB258_10 Depth=1
	s_wait_alu 0xfffe
	s_or_b32 exec_lo, exec_lo, s35
.LBB258_201:                            ;   in Loop: Header=BB258_10 Depth=1
	s_wait_alu 0xfffe
	s_or_b32 exec_lo, exec_lo, s34
.LBB258_202:                            ;   in Loop: Header=BB258_10 Depth=1
	s_wait_alu 0xfffe
	s_or_b32 exec_lo, exec_lo, s6
	global_load_u16 v1, v[7:8], off offset:768
	s_wait_loadcnt 0x0
	v_dual_mov_b32 v45, 0 :: v_dual_and_b32 v46, 0xff, v1
	v_and_b32_e32 v1, 0xffff, v1
	s_delay_alu instid0(VALU_DEP_2)
	v_cmp_ne_u16_e64 s5, 0, v46
	v_mov_b32_e32 v46, 0
	s_and_saveexec_b32 s6, s5
	s_cbranch_execz .LBB258_210
; %bb.203:                              ;   in Loop: Header=BB258_10 Depth=1
	v_and_b32_e32 v46, 0xff, v1
	s_delay_alu instid0(VALU_DEP_1)
	v_cmp_ne_u16_e64 s5, 0x80, v46
	v_mov_b32_e32 v46, 0x8000
	s_and_saveexec_b32 s34, s5
	s_cbranch_execz .LBB258_209
; %bb.204:                              ;   in Loop: Header=BB258_10 Depth=1
	v_and_b32_e32 v48, 0x7f, v1
	v_mov_b32_e32 v46, 0x7c01
	s_mov_b32 s35, exec_lo
	s_delay_alu instid0(VALU_DEP_2)
	v_cmpx_ne_u32_e32 0x7f, v48
	s_cbranch_execz .LBB258_208
; %bb.205:                              ;   in Loop: Header=BB258_10 Depth=1
	v_and_b32_e32 v46, 7, v1
	v_lshrrev_b32_e32 v47, 3, v48
	s_mov_b32 s36, exec_lo
	v_cmpx_gt_u32_e32 8, v48
; %bb.206:                              ;   in Loop: Header=BB258_10 Depth=1
	s_delay_alu instid0(VALU_DEP_3) | instskip(NEXT) | instid1(VALU_DEP_1)
	v_clz_i32_u32_e32 v46, v46
	v_min_u32_e32 v48, 32, v46
	s_delay_alu instid0(VALU_DEP_1) | instskip(NEXT) | instid1(VALU_DEP_1)
	v_subrev_nc_u32_e32 v46, 28, v48
	v_lshlrev_b64_e32 v[46:47], v46, v[1:2]
	v_sub_nc_u32_e32 v47, 29, v48
	s_delay_alu instid0(VALU_DEP_2)
	v_and_b32_e32 v46, 7, v46
; %bb.207:                              ;   in Loop: Header=BB258_10 Depth=1
	s_or_b32 exec_lo, exec_lo, s36
	v_lshlrev_b32_e32 v48, 8, v1
	s_delay_alu instid0(VALU_DEP_3) | instskip(NEXT) | instid1(VALU_DEP_3)
	v_lshl_add_u32 v47, v47, 10, 0x2000
	v_lshlrev_b32_e32 v46, 7, v46
	s_delay_alu instid0(VALU_DEP_3) | instskip(NEXT) | instid1(VALU_DEP_3)
	v_and_b32_e32 v48, 0x8000, v48
	v_and_b32_e32 v47, 0xfc00, v47
	s_delay_alu instid0(VALU_DEP_1)
	v_or3_b32 v46, v48, v47, v46
.LBB258_208:                            ;   in Loop: Header=BB258_10 Depth=1
	s_wait_alu 0xfffe
	s_or_b32 exec_lo, exec_lo, s35
.LBB258_209:                            ;   in Loop: Header=BB258_10 Depth=1
	s_wait_alu 0xfffe
	s_or_b32 exec_lo, exec_lo, s34
.LBB258_210:                            ;   in Loop: Header=BB258_10 Depth=1
	s_wait_alu 0xfffe
	s_or_b32 exec_lo, exec_lo, s6
	v_lshrrev_b16 v1, 8, v1
	s_mov_b32 s6, exec_lo
	s_delay_alu instid0(VALU_DEP_1)
	v_cmpx_ne_u16_e32 0, v1
	s_cbranch_execz .LBB258_218
; %bb.211:                              ;   in Loop: Header=BB258_10 Depth=1
	v_bfrev_b32_e32 v45, 1
	s_mov_b32 s34, exec_lo
	v_cmpx_ne_u16_e32 0x80, v1
	s_cbranch_execz .LBB258_217
; %bb.212:                              ;   in Loop: Header=BB258_10 Depth=1
	v_and_b32_e32 v47, 0xffff, v1
	v_mov_b32_e32 v45, 0x7c010000
	s_mov_b32 s35, exec_lo
	s_delay_alu instid0(VALU_DEP_2) | instskip(NEXT) | instid1(VALU_DEP_1)
	v_and_b32_e32 v49, 0x7f, v47
	v_cmpx_ne_u32_e32 0x7f, v49
	s_cbranch_execz .LBB258_216
; %bb.213:                              ;   in Loop: Header=BB258_10 Depth=1
	v_and_b32_e32 v45, 7, v47
	v_lshrrev_b32_e32 v48, 3, v49
	s_mov_b32 s36, exec_lo
	v_cmpx_gt_u32_e32 8, v49
; %bb.214:                              ;   in Loop: Header=BB258_10 Depth=1
	s_delay_alu instid0(VALU_DEP_3) | instskip(NEXT) | instid1(VALU_DEP_1)
	v_clz_i32_u32_e32 v45, v45
	v_min_u32_e32 v45, 32, v45
	s_delay_alu instid0(VALU_DEP_1) | instskip(NEXT) | instid1(VALU_DEP_1)
	v_subrev_nc_u32_e32 v48, 28, v45
	v_lshlrev_b64_e32 v[49:50], v48, v[1:2]
	v_sub_nc_u32_e32 v48, 29, v45
	s_delay_alu instid0(VALU_DEP_2)
	v_and_b32_e32 v45, 7, v49
; %bb.215:                              ;   in Loop: Header=BB258_10 Depth=1
	s_or_b32 exec_lo, exec_lo, s36
	v_lshlrev_b32_e32 v1, 8, v47
	s_delay_alu instid0(VALU_DEP_3) | instskip(NEXT) | instid1(VALU_DEP_3)
	v_lshl_add_u32 v47, v48, 10, 0x2000
	v_lshlrev_b32_e32 v45, 23, v45
	s_delay_alu instid0(VALU_DEP_2) | instskip(NEXT) | instid1(VALU_DEP_1)
	v_and_or_b32 v1, 0x8000, v1, v47
	v_lshl_or_b32 v45, v1, 16, v45
.LBB258_216:                            ;   in Loop: Header=BB258_10 Depth=1
	s_wait_alu 0xfffe
	s_or_b32 exec_lo, exec_lo, s35
.LBB258_217:                            ;   in Loop: Header=BB258_10 Depth=1
	s_wait_alu 0xfffe
	s_or_b32 exec_lo, exec_lo, s34
.LBB258_218:                            ;   in Loop: Header=BB258_10 Depth=1
	s_wait_alu 0xfffe
	s_or_b32 exec_lo, exec_lo, s6
	global_load_u16 v1, v[7:8], off offset:776
	s_wait_loadcnt 0x0
	v_dual_mov_b32 v47, 0 :: v_dual_and_b32 v48, 0xff, v1
	v_and_b32_e32 v1, 0xffff, v1
	s_delay_alu instid0(VALU_DEP_2)
	v_cmp_ne_u16_e64 s5, 0, v48
	v_mov_b32_e32 v48, 0
	s_and_saveexec_b32 s6, s5
	s_cbranch_execz .LBB258_226
; %bb.219:                              ;   in Loop: Header=BB258_10 Depth=1
	v_and_b32_e32 v48, 0xff, v1
	s_delay_alu instid0(VALU_DEP_1)
	v_cmp_ne_u16_e64 s5, 0x80, v48
	v_mov_b32_e32 v48, 0x8000
	s_and_saveexec_b32 s34, s5
	s_cbranch_execz .LBB258_225
; %bb.220:                              ;   in Loop: Header=BB258_10 Depth=1
	v_and_b32_e32 v50, 0x7f, v1
	v_mov_b32_e32 v48, 0x7c01
	s_mov_b32 s35, exec_lo
	s_delay_alu instid0(VALU_DEP_2)
	v_cmpx_ne_u32_e32 0x7f, v50
	s_cbranch_execz .LBB258_224
; %bb.221:                              ;   in Loop: Header=BB258_10 Depth=1
	v_and_b32_e32 v48, 7, v1
	v_lshrrev_b32_e32 v49, 3, v50
	s_mov_b32 s36, exec_lo
	v_cmpx_gt_u32_e32 8, v50
; %bb.222:                              ;   in Loop: Header=BB258_10 Depth=1
	s_delay_alu instid0(VALU_DEP_3) | instskip(NEXT) | instid1(VALU_DEP_1)
	v_clz_i32_u32_e32 v48, v48
	v_min_u32_e32 v50, 32, v48
	s_delay_alu instid0(VALU_DEP_1) | instskip(NEXT) | instid1(VALU_DEP_1)
	v_subrev_nc_u32_e32 v48, 28, v50
	v_lshlrev_b64_e32 v[48:49], v48, v[1:2]
	v_sub_nc_u32_e32 v49, 29, v50
	s_delay_alu instid0(VALU_DEP_2)
	v_and_b32_e32 v48, 7, v48
; %bb.223:                              ;   in Loop: Header=BB258_10 Depth=1
	s_or_b32 exec_lo, exec_lo, s36
	v_lshlrev_b32_e32 v50, 8, v1
	s_delay_alu instid0(VALU_DEP_3) | instskip(NEXT) | instid1(VALU_DEP_3)
	v_lshl_add_u32 v49, v49, 10, 0x2000
	v_lshlrev_b32_e32 v48, 7, v48
	s_delay_alu instid0(VALU_DEP_3) | instskip(NEXT) | instid1(VALU_DEP_3)
	v_and_b32_e32 v50, 0x8000, v50
	v_and_b32_e32 v49, 0xfc00, v49
	s_delay_alu instid0(VALU_DEP_1)
	v_or3_b32 v48, v50, v49, v48
.LBB258_224:                            ;   in Loop: Header=BB258_10 Depth=1
	s_wait_alu 0xfffe
	s_or_b32 exec_lo, exec_lo, s35
.LBB258_225:                            ;   in Loop: Header=BB258_10 Depth=1
	s_wait_alu 0xfffe
	s_or_b32 exec_lo, exec_lo, s34
.LBB258_226:                            ;   in Loop: Header=BB258_10 Depth=1
	s_wait_alu 0xfffe
	s_or_b32 exec_lo, exec_lo, s6
	v_lshrrev_b16 v1, 8, v1
	s_mov_b32 s6, exec_lo
	s_delay_alu instid0(VALU_DEP_1)
	v_cmpx_ne_u16_e32 0, v1
	s_cbranch_execz .LBB258_234
; %bb.227:                              ;   in Loop: Header=BB258_10 Depth=1
	v_bfrev_b32_e32 v47, 1
	s_mov_b32 s34, exec_lo
	v_cmpx_ne_u16_e32 0x80, v1
	s_cbranch_execz .LBB258_233
; %bb.228:                              ;   in Loop: Header=BB258_10 Depth=1
	v_and_b32_e32 v49, 0xffff, v1
	v_mov_b32_e32 v47, 0x7c010000
	s_mov_b32 s35, exec_lo
	s_delay_alu instid0(VALU_DEP_2) | instskip(NEXT) | instid1(VALU_DEP_1)
	v_and_b32_e32 v51, 0x7f, v49
	v_cmpx_ne_u32_e32 0x7f, v51
	s_cbranch_execz .LBB258_232
; %bb.229:                              ;   in Loop: Header=BB258_10 Depth=1
	v_and_b32_e32 v47, 7, v49
	v_lshrrev_b32_e32 v50, 3, v51
	s_mov_b32 s36, exec_lo
	v_cmpx_gt_u32_e32 8, v51
; %bb.230:                              ;   in Loop: Header=BB258_10 Depth=1
	s_delay_alu instid0(VALU_DEP_3) | instskip(NEXT) | instid1(VALU_DEP_1)
	v_clz_i32_u32_e32 v47, v47
	v_min_u32_e32 v47, 32, v47
	s_delay_alu instid0(VALU_DEP_1) | instskip(NEXT) | instid1(VALU_DEP_1)
	v_subrev_nc_u32_e32 v50, 28, v47
	v_lshlrev_b64_e32 v[51:52], v50, v[1:2]
	v_sub_nc_u32_e32 v50, 29, v47
	s_delay_alu instid0(VALU_DEP_2)
	v_and_b32_e32 v47, 7, v51
; %bb.231:                              ;   in Loop: Header=BB258_10 Depth=1
	s_or_b32 exec_lo, exec_lo, s36
	v_lshlrev_b32_e32 v1, 8, v49
	s_delay_alu instid0(VALU_DEP_3) | instskip(NEXT) | instid1(VALU_DEP_3)
	v_lshl_add_u32 v49, v50, 10, 0x2000
	v_lshlrev_b32_e32 v47, 23, v47
	s_delay_alu instid0(VALU_DEP_2) | instskip(NEXT) | instid1(VALU_DEP_1)
	v_and_or_b32 v1, 0x8000, v1, v49
	v_lshl_or_b32 v47, v1, 16, v47
.LBB258_232:                            ;   in Loop: Header=BB258_10 Depth=1
	s_wait_alu 0xfffe
	s_or_b32 exec_lo, exec_lo, s35
.LBB258_233:                            ;   in Loop: Header=BB258_10 Depth=1
	s_wait_alu 0xfffe
	s_or_b32 exec_lo, exec_lo, s34
.LBB258_234:                            ;   in Loop: Header=BB258_10 Depth=1
	s_wait_alu 0xfffe
	s_or_b32 exec_lo, exec_lo, s6
	global_load_u16 v1, v[7:8], off offset:896
	s_wait_loadcnt 0x0
	v_dual_mov_b32 v49, 0 :: v_dual_and_b32 v50, 0xff, v1
	v_and_b32_e32 v1, 0xffff, v1
	s_delay_alu instid0(VALU_DEP_2)
	v_cmp_ne_u16_e64 s5, 0, v50
	v_mov_b32_e32 v50, 0
	s_and_saveexec_b32 s6, s5
	s_cbranch_execz .LBB258_242
; %bb.235:                              ;   in Loop: Header=BB258_10 Depth=1
	v_and_b32_e32 v50, 0xff, v1
	s_delay_alu instid0(VALU_DEP_1)
	v_cmp_ne_u16_e64 s5, 0x80, v50
	v_mov_b32_e32 v50, 0x8000
	s_and_saveexec_b32 s34, s5
	s_cbranch_execz .LBB258_241
; %bb.236:                              ;   in Loop: Header=BB258_10 Depth=1
	v_and_b32_e32 v52, 0x7f, v1
	v_mov_b32_e32 v50, 0x7c01
	s_mov_b32 s35, exec_lo
	s_delay_alu instid0(VALU_DEP_2)
	v_cmpx_ne_u32_e32 0x7f, v52
	s_cbranch_execz .LBB258_240
; %bb.237:                              ;   in Loop: Header=BB258_10 Depth=1
	v_and_b32_e32 v50, 7, v1
	v_lshrrev_b32_e32 v51, 3, v52
	s_mov_b32 s36, exec_lo
	v_cmpx_gt_u32_e32 8, v52
; %bb.238:                              ;   in Loop: Header=BB258_10 Depth=1
	s_delay_alu instid0(VALU_DEP_3) | instskip(NEXT) | instid1(VALU_DEP_1)
	v_clz_i32_u32_e32 v50, v50
	v_min_u32_e32 v52, 32, v50
	s_delay_alu instid0(VALU_DEP_1) | instskip(NEXT) | instid1(VALU_DEP_1)
	v_subrev_nc_u32_e32 v50, 28, v52
	v_lshlrev_b64_e32 v[50:51], v50, v[1:2]
	v_sub_nc_u32_e32 v51, 29, v52
	s_delay_alu instid0(VALU_DEP_2)
	v_and_b32_e32 v50, 7, v50
; %bb.239:                              ;   in Loop: Header=BB258_10 Depth=1
	s_or_b32 exec_lo, exec_lo, s36
	v_lshlrev_b32_e32 v52, 8, v1
	s_delay_alu instid0(VALU_DEP_3) | instskip(NEXT) | instid1(VALU_DEP_3)
	v_lshl_add_u32 v51, v51, 10, 0x2000
	v_lshlrev_b32_e32 v50, 7, v50
	s_delay_alu instid0(VALU_DEP_3) | instskip(NEXT) | instid1(VALU_DEP_3)
	v_and_b32_e32 v52, 0x8000, v52
	v_and_b32_e32 v51, 0xfc00, v51
	s_delay_alu instid0(VALU_DEP_1)
	v_or3_b32 v50, v52, v51, v50
.LBB258_240:                            ;   in Loop: Header=BB258_10 Depth=1
	s_wait_alu 0xfffe
	s_or_b32 exec_lo, exec_lo, s35
.LBB258_241:                            ;   in Loop: Header=BB258_10 Depth=1
	s_wait_alu 0xfffe
	s_or_b32 exec_lo, exec_lo, s34
.LBB258_242:                            ;   in Loop: Header=BB258_10 Depth=1
	s_wait_alu 0xfffe
	s_or_b32 exec_lo, exec_lo, s6
	v_lshrrev_b16 v1, 8, v1
	s_mov_b32 s6, exec_lo
	s_delay_alu instid0(VALU_DEP_1)
	v_cmpx_ne_u16_e32 0, v1
	s_cbranch_execz .LBB258_250
; %bb.243:                              ;   in Loop: Header=BB258_10 Depth=1
	v_bfrev_b32_e32 v49, 1
	s_mov_b32 s34, exec_lo
	v_cmpx_ne_u16_e32 0x80, v1
	s_cbranch_execz .LBB258_249
; %bb.244:                              ;   in Loop: Header=BB258_10 Depth=1
	v_and_b32_e32 v51, 0xffff, v1
	v_mov_b32_e32 v49, 0x7c010000
	s_mov_b32 s35, exec_lo
	s_delay_alu instid0(VALU_DEP_2) | instskip(NEXT) | instid1(VALU_DEP_1)
	v_and_b32_e32 v53, 0x7f, v51
	v_cmpx_ne_u32_e32 0x7f, v53
	s_cbranch_execz .LBB258_248
; %bb.245:                              ;   in Loop: Header=BB258_10 Depth=1
	v_and_b32_e32 v49, 7, v51
	v_lshrrev_b32_e32 v52, 3, v53
	s_mov_b32 s36, exec_lo
	v_cmpx_gt_u32_e32 8, v53
; %bb.246:                              ;   in Loop: Header=BB258_10 Depth=1
	s_delay_alu instid0(VALU_DEP_3) | instskip(NEXT) | instid1(VALU_DEP_1)
	v_clz_i32_u32_e32 v49, v49
	v_min_u32_e32 v49, 32, v49
	s_delay_alu instid0(VALU_DEP_1) | instskip(NEXT) | instid1(VALU_DEP_1)
	v_subrev_nc_u32_e32 v52, 28, v49
	v_lshlrev_b64_e32 v[53:54], v52, v[1:2]
	v_sub_nc_u32_e32 v52, 29, v49
	s_delay_alu instid0(VALU_DEP_2)
	v_and_b32_e32 v49, 7, v53
; %bb.247:                              ;   in Loop: Header=BB258_10 Depth=1
	s_or_b32 exec_lo, exec_lo, s36
	v_lshlrev_b32_e32 v1, 8, v51
	s_delay_alu instid0(VALU_DEP_3) | instskip(NEXT) | instid1(VALU_DEP_3)
	v_lshl_add_u32 v51, v52, 10, 0x2000
	v_lshlrev_b32_e32 v49, 23, v49
	s_delay_alu instid0(VALU_DEP_2) | instskip(NEXT) | instid1(VALU_DEP_1)
	v_and_or_b32 v1, 0x8000, v1, v51
	v_lshl_or_b32 v49, v1, 16, v49
.LBB258_248:                            ;   in Loop: Header=BB258_10 Depth=1
	s_wait_alu 0xfffe
	s_or_b32 exec_lo, exec_lo, s35
.LBB258_249:                            ;   in Loop: Header=BB258_10 Depth=1
	s_wait_alu 0xfffe
	s_or_b32 exec_lo, exec_lo, s34
.LBB258_250:                            ;   in Loop: Header=BB258_10 Depth=1
	s_wait_alu 0xfffe
	s_or_b32 exec_lo, exec_lo, s6
	global_load_u16 v1, v[7:8], off offset:904
	s_wait_loadcnt 0x0
	v_dual_mov_b32 v7, 0 :: v_dual_and_b32 v8, 0xff, v1
	v_and_b32_e32 v1, 0xffff, v1
	s_delay_alu instid0(VALU_DEP_2)
	v_cmp_ne_u16_e64 s5, 0, v8
	v_mov_b32_e32 v8, 0
	s_and_saveexec_b32 s6, s5
	s_cbranch_execz .LBB258_258
; %bb.251:                              ;   in Loop: Header=BB258_10 Depth=1
	v_and_b32_e32 v8, 0xff, v1
	s_delay_alu instid0(VALU_DEP_1)
	v_cmp_ne_u16_e64 s5, 0x80, v8
	v_mov_b32_e32 v8, 0x8000
	s_and_saveexec_b32 s34, s5
	s_cbranch_execz .LBB258_257
; %bb.252:                              ;   in Loop: Header=BB258_10 Depth=1
	v_and_b32_e32 v52, 0x7f, v1
	v_mov_b32_e32 v8, 0x7c01
	s_mov_b32 s35, exec_lo
	s_delay_alu instid0(VALU_DEP_2)
	v_cmpx_ne_u32_e32 0x7f, v52
	s_cbranch_execz .LBB258_256
; %bb.253:                              ;   in Loop: Header=BB258_10 Depth=1
	v_and_b32_e32 v8, 7, v1
	v_lshrrev_b32_e32 v51, 3, v52
	s_mov_b32 s36, exec_lo
	v_cmpx_gt_u32_e32 8, v52
; %bb.254:                              ;   in Loop: Header=BB258_10 Depth=1
	s_delay_alu instid0(VALU_DEP_3) | instskip(NEXT) | instid1(VALU_DEP_1)
	v_clz_i32_u32_e32 v8, v8
	v_min_u32_e32 v8, 32, v8
	s_delay_alu instid0(VALU_DEP_1) | instskip(NEXT) | instid1(VALU_DEP_1)
	v_subrev_nc_u32_e32 v51, 28, v8
	v_lshlrev_b64_e32 v[52:53], v51, v[1:2]
	v_sub_nc_u32_e32 v51, 29, v8
	s_delay_alu instid0(VALU_DEP_2)
	v_and_b32_e32 v8, 7, v52
; %bb.255:                              ;   in Loop: Header=BB258_10 Depth=1
	s_or_b32 exec_lo, exec_lo, s36
	v_lshlrev_b32_e32 v52, 8, v1
	s_delay_alu instid0(VALU_DEP_3) | instskip(NEXT) | instid1(VALU_DEP_3)
	v_lshl_add_u32 v51, v51, 10, 0x2000
	v_lshlrev_b32_e32 v8, 7, v8
	s_delay_alu instid0(VALU_DEP_3) | instskip(NEXT) | instid1(VALU_DEP_3)
	v_and_b32_e32 v52, 0x8000, v52
	v_and_b32_e32 v51, 0xfc00, v51
	s_delay_alu instid0(VALU_DEP_1)
	v_or3_b32 v8, v52, v51, v8
.LBB258_256:                            ;   in Loop: Header=BB258_10 Depth=1
	s_wait_alu 0xfffe
	s_or_b32 exec_lo, exec_lo, s35
.LBB258_257:                            ;   in Loop: Header=BB258_10 Depth=1
	s_wait_alu 0xfffe
	s_or_b32 exec_lo, exec_lo, s34
.LBB258_258:                            ;   in Loop: Header=BB258_10 Depth=1
	s_wait_alu 0xfffe
	s_or_b32 exec_lo, exec_lo, s6
	v_lshrrev_b16 v1, 8, v1
	s_mov_b32 s6, exec_lo
	s_delay_alu instid0(VALU_DEP_1)
	v_cmpx_ne_u16_e32 0, v1
	s_cbranch_execz .LBB258_266
; %bb.259:                              ;   in Loop: Header=BB258_10 Depth=1
	v_bfrev_b32_e32 v7, 1
	s_mov_b32 s34, exec_lo
	v_cmpx_ne_u16_e32 0x80, v1
	s_cbranch_execz .LBB258_265
; %bb.260:                              ;   in Loop: Header=BB258_10 Depth=1
	v_and_b32_e32 v51, 0xffff, v1
	v_mov_b32_e32 v7, 0x7c010000
	s_mov_b32 s35, exec_lo
	s_delay_alu instid0(VALU_DEP_2) | instskip(NEXT) | instid1(VALU_DEP_1)
	v_and_b32_e32 v53, 0x7f, v51
	v_cmpx_ne_u32_e32 0x7f, v53
	s_cbranch_execz .LBB258_264
; %bb.261:                              ;   in Loop: Header=BB258_10 Depth=1
	v_and_b32_e32 v7, 7, v51
	v_lshrrev_b32_e32 v52, 3, v53
	s_mov_b32 s36, exec_lo
	v_cmpx_gt_u32_e32 8, v53
; %bb.262:                              ;   in Loop: Header=BB258_10 Depth=1
	s_delay_alu instid0(VALU_DEP_3) | instskip(NEXT) | instid1(VALU_DEP_1)
	v_clz_i32_u32_e32 v7, v7
	v_min_u32_e32 v7, 32, v7
	s_delay_alu instid0(VALU_DEP_1) | instskip(NEXT) | instid1(VALU_DEP_1)
	v_subrev_nc_u32_e32 v52, 28, v7
	v_lshlrev_b64_e32 v[53:54], v52, v[1:2]
	v_sub_nc_u32_e32 v52, 29, v7
	s_delay_alu instid0(VALU_DEP_2)
	v_and_b32_e32 v7, 7, v53
; %bb.263:                              ;   in Loop: Header=BB258_10 Depth=1
	s_or_b32 exec_lo, exec_lo, s36
	v_lshlrev_b32_e32 v1, 8, v51
	s_delay_alu instid0(VALU_DEP_3) | instskip(NEXT) | instid1(VALU_DEP_3)
	v_lshl_add_u32 v51, v52, 10, 0x2000
	v_lshlrev_b32_e32 v7, 23, v7
	s_delay_alu instid0(VALU_DEP_2) | instskip(NEXT) | instid1(VALU_DEP_1)
	v_and_or_b32 v1, 0x8000, v1, v51
	v_lshl_or_b32 v7, v1, 16, v7
.LBB258_264:                            ;   in Loop: Header=BB258_10 Depth=1
	s_wait_alu 0xfffe
	s_or_b32 exec_lo, exec_lo, s35
.LBB258_265:                            ;   in Loop: Header=BB258_10 Depth=1
	s_wait_alu 0xfffe
	s_or_b32 exec_lo, exec_lo, s34
.LBB258_266:                            ;   in Loop: Header=BB258_10 Depth=1
	s_wait_alu 0xfffe
	s_or_b32 exec_lo, exec_lo, s6
	ds_load_b32 v1, v16
	v_or_b32_e32 v22, v21, v22
	v_fma_mixlo_f16 v21, v20, v21, 0 op_sel:[0,1,0] op_sel_hi:[0,1,0]
	v_or_b32_e32 v24, v23, v24
	v_fma_mixlo_f16 v23, v20, v23, 0 op_sel:[0,1,0] op_sel_hi:[0,1,0]
	v_or_b32_e32 v26, v25, v26
	v_fma_mixlo_f16 v22, v20, v22, 0 op_sel_hi:[0,1,0]
	v_and_b32_e32 v53, 0xffff, v21
	v_fma_mixlo_f16 v24, v20, v24, 0 op_sel_hi:[0,1,0]
	v_and_b32_e32 v55, 0xffff, v23
	;; [unrolled: 2-line block ×3, first 2 shown]
	v_fma_mixlo_f16 v25, v20, v25, 0 op_sel:[0,1,0] op_sel_hi:[0,1,0]
	v_or_b32_e32 v28, v27, v28
	v_fma_mixlo_f16 v27, v20, v27, 0 op_sel:[0,1,0] op_sel_hi:[0,1,0]
	v_and_b32_e32 v56, 0xffff, v26
	v_or_b32_e32 v30, v29, v30
	v_and_b32_e32 v57, 0xffff, v25
	v_fma_mixlo_f16 v28, v20, v28, 0 op_sel_hi:[0,1,0]
	v_and_b32_e32 v59, 0xffff, v27
	s_wait_dscnt 0x0
	v_and_b32_e32 v51, 0xffff, v1
	v_lshrrev_b32_e32 v52, 16, v1
	;;#ASMSTART
	v_cvt_f32_f16 v1, v51;
	;;#ASMEND
	;;#ASMSTART
	v_cvt_f32_f16 v21, v52;
	;;#ASMEND
	;; [unrolled: 3-line block ×4, first 2 shown]
	ds_load_b32 v52, v16 offset:4
	v_and_b32_e32 v54, 0xffff, v24
	v_fma_mixlo_f16 v30, v20, v30, 0 op_sel_hi:[0,1,0]
	v_fma_mixlo_f16 v29, v20, v29, 0 op_sel:[0,1,0] op_sel_hi:[0,1,0]
	v_or_b32_e32 v32, v31, v32
	v_fma_mixlo_f16 v31, v20, v31, 0 op_sel:[0,1,0] op_sel_hi:[0,1,0]
	v_or_b32_e32 v34, v33, v34
	v_fma_mixlo_f16 v33, v20, v33, 0 op_sel:[0,1,0] op_sel_hi:[0,1,0]
	v_and_b32_e32 v61, 0xffff, v29
	v_fma_mixlo_f16 v32, v20, v32, 0 op_sel_hi:[0,1,0]
	v_and_b32_e32 v63, 0xffff, v31
	v_fma_mixlo_f16 v34, v20, v34, 0 op_sel_hi:[0,1,0]
	v_and_b32_e32 v65, 0xffff, v33
	v_or_b32_e32 v36, v35, v36
	v_fma_mixlo_f16 v35, v20, v35, 0 op_sel:[0,1,0] op_sel_hi:[0,1,0]
	v_or_b32_e32 v38, v37, v38
	v_and_b32_e32 v64, 0xffff, v34
	v_fma_mixlo_f16 v37, v20, v37, 0 op_sel:[0,1,0] op_sel_hi:[0,1,0]
	v_fma_mixlo_f16 v36, v20, v36, 0 op_sel_hi:[0,1,0]
	v_and_b32_e32 v67, 0xffff, v35
	s_wait_dscnt 0x0
	v_and_b32_e32 v53, 0xffff, v52
	v_lshrrev_b32_e32 v52, 16, v52
	;;#ASMSTART
	v_cvt_f32_f16 v23, v53;
	;;#ASMEND
	;;#ASMSTART
	v_cvt_f32_f16 v24, v52;
	;;#ASMEND
	;; [unrolled: 3-line block ×4, first 2 shown]
	ds_load_b32 v54, v16 offset:8
	v_mul_f32_e32 v23, v23, v52
	v_fma_mixlo_f16 v38, v20, v38, 0 op_sel_hi:[0,1,0]
	v_and_b32_e32 v69, 0xffff, v37
	v_or_b32_e32 v40, v39, v40
	v_fma_mixlo_f16 v39, v20, v39, 0 op_sel:[0,1,0] op_sel_hi:[0,1,0]
	v_fmac_f32_e32 v23, v1, v22
	v_or_b32_e32 v42, v41, v42
	v_fma_mixlo_f16 v41, v20, v41, 0 op_sel:[0,1,0] op_sel_hi:[0,1,0]
	v_fma_mixlo_f16 v40, v20, v40, 0 op_sel_hi:[0,1,0]
	v_and_b32_e32 v71, 0xffff, v39
	v_or_b32_e32 v44, v43, v44
	v_fma_mixlo_f16 v42, v20, v42, 0 op_sel_hi:[0,1,0]
	v_and_b32_e32 v73, 0xffff, v41
	v_fma_mixlo_f16 v43, v20, v43, 0 op_sel:[0,1,0] op_sel_hi:[0,1,0]
	v_mul_f32_e32 v24, v24, v53
	v_fma_mixlo_f16 v44, v20, v44, 0 op_sel_hi:[0,1,0]
	v_and_b32_e32 v72, 0xffff, v42
	v_or_b32_e32 v46, v45, v46
	v_and_b32_e32 v75, 0xffff, v43
	s_wait_dscnt 0x0
	v_and_b32_e32 v55, 0xffff, v54
	v_lshrrev_b32_e32 v54, 16, v54
	;;#ASMSTART
	v_cvt_f32_f16 v25, v55;
	;;#ASMEND
	;;#ASMSTART
	v_cvt_f32_f16 v26, v54;
	;;#ASMEND
	;; [unrolled: 3-line block ×4, first 2 shown]
	ds_load_b32 v56, v16 offset:12
	v_dual_fmac_f32 v23, v25, v54 :: v_dual_and_b32 v58, 0xffff, v28
	v_fmac_f32_e32 v24, v21, v51
	v_fma_mixlo_f16 v46, v20, v46, 0 op_sel_hi:[0,1,0]
	v_fma_mixlo_f16 v45, v20, v45, 0 op_sel:[0,1,0] op_sel_hi:[0,1,0]
	v_or_b32_e32 v1, v47, v48
	v_fma_mixlo_f16 v21, v20, v47, 0 op_sel:[0,1,0] op_sel_hi:[0,1,0]
	v_fmac_f32_e32 v24, v26, v55
	v_or_b32_e32 v8, v7, v8
	v_and_b32_e32 v77, 0xffff, v45
	v_fma_mixlo_f16 v1, v20, v1, 0 op_sel_hi:[0,1,0]
	v_and_b32_e32 v25, 0xffff, v21
	v_fma_mixlo_f16 v7, v20, v7, 0 op_sel:[0,1,0] op_sel_hi:[0,1,0]
	v_fma_mixlo_f16 v8, v20, v8, 0 op_sel_hi:[0,1,0]
	s_wait_dscnt 0x0
	v_and_b32_e32 v57, 0xffff, v56
	v_lshrrev_b32_e32 v56, 16, v56
	;;#ASMSTART
	v_cvt_f32_f16 v27, v57;
	;;#ASMEND
	;;#ASMSTART
	v_cvt_f32_f16 v28, v56;
	;;#ASMEND
	;;#ASMSTART
	v_cvt_f32_f16 v56, v58;
	;;#ASMEND
	;;#ASMSTART
	v_cvt_f32_f16 v57, v59;
	;;#ASMEND
	ds_load_b32 v58, v16 offset:16
	v_dual_fmac_f32 v23, v27, v56 :: v_dual_and_b32 v60, 0xffff, v30
	v_fmac_f32_e32 v24, v28, v57
	v_or_b32_e32 v27, v49, v50
	v_fma_mixlo_f16 v28, v20, v49, 0 op_sel:[0,1,0] op_sel_hi:[0,1,0]
	s_delay_alu instid0(VALU_DEP_2)
	v_fma_mixlo_f16 v27, v20, v27, 0 op_sel_hi:[0,1,0]
	s_wait_dscnt 0x0
	v_and_b32_e32 v59, 0xffff, v58
	v_lshrrev_b32_e32 v58, 16, v58
	;;#ASMSTART
	v_cvt_f32_f16 v29, v59;
	;;#ASMEND
	;;#ASMSTART
	v_cvt_f32_f16 v30, v58;
	;;#ASMEND
	;; [unrolled: 3-line block ×4, first 2 shown]
	ds_load_b32 v60, v16 offset:20
	v_dual_fmac_f32 v23, v29, v58 :: v_dual_and_b32 v62, 0xffff, v32
	v_dual_fmac_f32 v24, v30, v59 :: v_dual_and_b32 v29, 0xffff, v28
	s_wait_dscnt 0x0
	v_and_b32_e32 v61, 0xffff, v60
	v_lshrrev_b32_e32 v60, 16, v60
	;;#ASMSTART
	v_cvt_f32_f16 v31, v61;
	;;#ASMEND
	;;#ASMSTART
	v_cvt_f32_f16 v32, v60;
	;;#ASMEND
	;; [unrolled: 3-line block ×4, first 2 shown]
	ds_load_b32 v62, v16 offset:24
	v_dual_fmac_f32 v23, v31, v60 :: v_dual_fmac_f32 v24, v32, v61
	v_and_b32_e32 v31, 0xffff, v27
	s_wait_dscnt 0x0
	v_and_b32_e32 v63, 0xffff, v62
	v_lshrrev_b32_e32 v62, 16, v62
	;;#ASMSTART
	v_cvt_f32_f16 v33, v63;
	;;#ASMEND
	;;#ASMSTART
	v_cvt_f32_f16 v34, v62;
	;;#ASMEND
	;;#ASMSTART
	v_cvt_f32_f16 v62, v64;
	;;#ASMEND
	;;#ASMSTART
	v_cvt_f32_f16 v63, v65;
	;;#ASMEND
	ds_load_b32 v64, v16 offset:28
	v_dual_fmac_f32 v23, v33, v62 :: v_dual_and_b32 v66, 0xffff, v36
	s_wait_dscnt 0x0
	v_dual_fmac_f32 v24, v34, v63 :: v_dual_and_b32 v65, 0xffff, v64
	v_lshrrev_b32_e32 v64, 16, v64
	;;#ASMSTART
	v_cvt_f32_f16 v35, v65;
	;;#ASMEND
	;;#ASMSTART
	v_cvt_f32_f16 v36, v64;
	;;#ASMEND
	;;#ASMSTART
	v_cvt_f32_f16 v64, v66;
	;;#ASMEND
	;;#ASMSTART
	v_cvt_f32_f16 v65, v67;
	;;#ASMEND
	ds_load_b32 v66, v16 offset:32
	v_dual_fmac_f32 v23, v35, v64 :: v_dual_and_b32 v68, 0xffff, v38
	s_wait_dscnt 0x0
	v_dual_fmac_f32 v24, v36, v65 :: v_dual_and_b32 v67, 0xffff, v66
	;; [unrolled: 17-line block ×3, first 2 shown]
	v_lshrrev_b32_e32 v68, 16, v68
	;;#ASMSTART
	v_cvt_f32_f16 v39, v69;
	;;#ASMEND
	;;#ASMSTART
	v_cvt_f32_f16 v40, v68;
	;;#ASMEND
	;; [unrolled: 3-line block ×4, first 2 shown]
	ds_load_b32 v70, v16 offset:40
	v_dual_fmac_f32 v23, v39, v68 :: v_dual_fmac_f32 v24, v40, v69
	s_wait_dscnt 0x0
	v_and_b32_e32 v71, 0xffff, v70
	v_lshrrev_b32_e32 v70, 16, v70
	;;#ASMSTART
	v_cvt_f32_f16 v41, v71;
	;;#ASMEND
	;;#ASMSTART
	v_cvt_f32_f16 v42, v70;
	;;#ASMEND
	;;#ASMSTART
	v_cvt_f32_f16 v70, v72;
	;;#ASMEND
	;;#ASMSTART
	v_cvt_f32_f16 v71, v73;
	;;#ASMEND
	ds_load_b32 v72, v16 offset:44
	v_dual_fmac_f32 v23, v41, v70 :: v_dual_and_b32 v74, 0xffff, v44
	s_wait_dscnt 0x0
	v_dual_fmac_f32 v24, v42, v71 :: v_dual_and_b32 v73, 0xffff, v72
	v_lshrrev_b32_e32 v72, 16, v72
	;;#ASMSTART
	v_cvt_f32_f16 v43, v73;
	;;#ASMEND
	;;#ASMSTART
	v_cvt_f32_f16 v44, v72;
	;;#ASMEND
	;;#ASMSTART
	v_cvt_f32_f16 v72, v74;
	;;#ASMEND
	;;#ASMSTART
	v_cvt_f32_f16 v73, v75;
	;;#ASMEND
	ds_load_b32 v74, v16 offset:48
	v_dual_fmac_f32 v23, v43, v72 :: v_dual_and_b32 v76, 0xffff, v46
	s_wait_dscnt 0x0
	v_dual_fmac_f32 v24, v44, v73 :: v_dual_and_b32 v75, 0xffff, v74
	;; [unrolled: 17-line block ×3, first 2 shown]
	v_lshrrev_b32_e32 v22, 16, v76
	;;#ASMSTART
	v_cvt_f32_f16 v1, v21;
	;;#ASMEND
	;;#ASMSTART
	v_cvt_f32_f16 v21, v22;
	;;#ASMEND
	;; [unrolled: 3-line block ×4, first 2 shown]
	ds_load_b32 v26, v16 offset:56
	v_dual_fmac_f32 v23, v1, v22 :: v_dual_and_b32 v32, 0xffff, v7
	v_dual_fmac_f32 v24, v21, v25 :: v_dual_and_b32 v21, 0xffff, v8
	s_wait_dscnt 0x0
	v_and_b32_e32 v28, 0xffff, v26
	v_lshrrev_b32_e32 v30, 16, v26
	;;#ASMSTART
	v_cvt_f32_f16 v26, v28;
	;;#ASMEND
	;;#ASMSTART
	v_cvt_f32_f16 v27, v30;
	;;#ASMEND
	;;#ASMSTART
	v_cvt_f32_f16 v28, v31;
	;;#ASMEND
	;;#ASMSTART
	v_cvt_f32_f16 v29, v29;
	;;#ASMEND
	ds_load_b32 v30, v16 offset:60
	v_xor_b32_e32 v31, 2, v13
	v_dual_fmac_f32 v23, v26, v28 :: v_dual_fmac_f32 v24, v27, v29
	s_delay_alu instid0(VALU_DEP_2) | instskip(SKIP_1) | instid1(VALU_DEP_1)
	v_cmp_gt_i32_e64 s5, 32, v31
	s_wait_alu 0xf1ff
	v_cndmask_b32_e64 v7, v13, v31, s5
	s_wait_dscnt 0x0
	v_and_b32_e32 v1, 0xffff, v30
	v_lshrrev_b32_e32 v20, 16, v30
	;;#ASMSTART
	v_cvt_f32_f16 v1, v1;
	;;#ASMEND
	;;#ASMSTART
	v_cvt_f32_f16 v8, v20;
	;;#ASMEND
	;; [unrolled: 3-line block ×4, first 2 shown]
	v_dual_fmac_f32 v23, v1, v20 :: v_dual_fmac_f32 v24, v8, v21
	v_lshlrev_b32_e32 v1, 2, v7
	v_xor_b32_e32 v8, 1, v13
	s_delay_alu instid0(VALU_DEP_3) | instskip(NEXT) | instid1(VALU_DEP_2)
	v_add_f32_e32 v7, v23, v24
	v_cmp_gt_i32_e64 s5, 32, v8
	ds_bpermute_b32 v1, v1, v7
	s_wait_alu 0xf1ff
	v_cndmask_b32_e64 v8, v13, v8, s5
	s_wait_dscnt 0x0
	v_add_f32_e32 v1, v7, v1
	s_delay_alu instid0(VALU_DEP_2)
	v_lshlrev_b32_e32 v7, 2, v8
	ds_bpermute_b32 v7, v7, v1
	s_and_saveexec_b32 s6, vcc_lo
	s_cbranch_execz .LBB258_9
; %bb.267:                              ;   in Loop: Header=BB258_10 Depth=1
	s_wait_dscnt 0x0
	v_dual_add_f32 v1, v1, v7 :: v_dual_add_nc_u32 v8, s19, v17
	v_cmp_gt_i32_e64 s5, s27, v17
	s_delay_alu instid0(VALU_DEP_2) | instskip(NEXT) | instid1(VALU_DEP_1)
	v_cvt_f32_i32_e32 v8, v8
	v_mul_f32_e32 v8, s12, v8
	s_delay_alu instid0(VALU_DEP_1) | instskip(NEXT) | instid1(VALU_DEP_1)
	v_cndmask_b32_e64 v7, 0, v8, s4
	v_dual_max_num_f32 v8, v14, v14 :: v_dual_fmac_f32 v7, s7, v1
	s_delay_alu instid0(VALU_DEP_1) | instskip(SKIP_2) | instid1(VALU_DEP_2)
	v_max_num_f32_e32 v1, v8, v7
	s_wait_alu 0xf1ff
	v_cndmask_b32_e64 v7, 0, v7, s5
	v_cndmask_b32_e64 v14, v14, v1, s5
	ds_store_b32 v18, v7
	s_branch .LBB258_9
.LBB258_268:
	s_or_b32 exec_lo, exec_lo, s14
.LBB258_269:
	s_delay_alu instid0(SALU_CYCLE_1)
	s_or_b32 exec_lo, exec_lo, s13
	v_xor_b32_e32 v1, 16, v13
	v_xor_b32_e32 v4, 8, v13
	v_xor_b32_e32 v6, 4, v13
	s_clause 0x1
	s_load_b128 s[12:15], s[0:1], 0x0
	s_load_b64 s[6:7], s[0:1], 0x10
	s_wait_kmcnt 0x0
	s_load_b64 s[8:9], s[0:1], 0x28
	v_cmp_lt_i32_e32 vcc_lo, v1, v15
	v_cndmask_b32_e32 v1, v13, v1, vcc_lo
	v_cmp_lt_i32_e32 vcc_lo, v4, v15
	s_wait_alu 0xfffd
	v_dual_max_num_f32 v5, v14, v14 :: v_dual_cndmask_b32 v4, v13, v4
	v_cmp_lt_i32_e32 vcc_lo, v6, v15
	s_delay_alu instid0(VALU_DEP_2)
	v_lshlrev_b32_e32 v4, 2, v4
	s_wait_alu 0xfffd
	v_dual_cndmask_b32 v6, v13, v6 :: v_dual_lshlrev_b32 v3, 2, v1
	ds_bpermute_b32 v1, v3, v14
	s_wait_dscnt 0x1
	v_lshlrev_b32_e32 v7, 2, v6
	v_and_b32_e32 v14, 31, v0
	s_delay_alu instid0(VALU_DEP_1) | instskip(SKIP_2) | instid1(VALU_DEP_1)
	v_cmp_eq_u32_e32 vcc_lo, 0, v14
	s_wait_dscnt 0x0
	v_max_num_f32_e32 v1, v1, v1
	v_max_num_f32_e32 v1, v5, v1
	ds_bpermute_b32 v5, v4, v1
	s_wait_dscnt 0x0
	v_max_num_f32_e32 v5, v5, v5
	s_delay_alu instid0(VALU_DEP_1)
	v_max_num_f32_e32 v1, v1, v5
	v_lshlrev_b32_e32 v5, 2, v11
	ds_bpermute_b32 v6, v7, v1
	s_and_saveexec_b32 s0, vcc_lo
	s_cbranch_execz .LBB258_271
; %bb.270:
	s_wait_dscnt 0x0
	v_dual_max_num_f32 v6, v6, v6 :: v_dual_max_num_f32 v1, v1, v1
	s_delay_alu instid0(VALU_DEP_1)
	v_max_num_f32_e32 v1, v1, v6
	ds_store_b32 v5, v1 offset:256
.LBB258_271:
	s_or_b32 exec_lo, exec_lo, s0
	v_cmp_gt_u32_e64 s0, 4, v14
	s_wait_dscnt 0x0
	v_dual_mov_b32 v1, 0xff7fffff :: v_dual_lshlrev_b32 v6, 2, v14
	s_wait_loadcnt 0x0
	s_barrier_signal -1
	s_barrier_wait -1
	global_inv scope:SCOPE_SE
	s_and_saveexec_b32 s1, s0
; %bb.272:
	ds_load_b32 v1, v6 offset:256
; %bb.273:
	s_or_b32 exec_lo, exec_lo, s1
	v_xor_b32_e32 v8, 2, v13
	v_xor_b32_e32 v17, 1, v13
	v_lshlrev_b32_e32 v2, 2, v2
	s_delay_alu instid0(VALU_DEP_3) | instskip(NEXT) | instid1(VALU_DEP_1)
	v_cmp_lt_i32_e64 s1, v8, v15
	v_cndmask_b32_e64 v8, v13, v8, s1
	s_delay_alu instid0(VALU_DEP_4) | instskip(NEXT) | instid1(VALU_DEP_2)
	v_cmp_lt_i32_e64 s1, v17, v15
	v_lshlrev_b32_e32 v8, 2, v8
	s_wait_alu 0xf1ff
	s_delay_alu instid0(VALU_DEP_2)
	v_cndmask_b32_e64 v15, v13, v17, s1
	s_sub_co_i32 s1, s21, s33
	s_wait_alu 0xfffe
	s_lshl_b32 s1, s1, 3
	s_wait_dscnt 0x0
	ds_bpermute_b32 v16, v8, v1
	v_max_num_f32_e32 v1, v1, v1
	v_lshlrev_b32_e32 v15, 2, v15
	s_wait_alu 0xfffe
	s_add_co_i32 s1, s1, s28
	s_wait_alu 0xfffe
	s_min_i32 s1, s1, s27
	s_wait_alu 0xfffe
	s_sub_co_i32 s5, s1, s28
	s_wait_alu 0xfffe
	v_cmp_gt_i32_e64 s1, s5, v0
	s_wait_dscnt 0x0
	v_max_num_f32_e32 v16, v16, v16
	s_delay_alu instid0(VALU_DEP_1) | instskip(SKIP_3) | instid1(VALU_DEP_1)
	v_max_num_f32_e32 v1, v1, v16
	ds_bpermute_b32 v16, v15, v1
	s_wait_dscnt 0x0
	v_max_num_f32_e32 v16, v16, v16
	v_dual_max_num_f32 v1, v1, v16 :: v_dual_mov_b32 v16, 0
	ds_bpermute_b32 v1, v2, v1
	v_lshl_add_u32 v2, v0, 2, 0x120
	s_and_saveexec_b32 s19, s1
	s_cbranch_execz .LBB258_277
; %bb.274:
	v_lshl_add_u32 v17, v0, 2, 0x120
	v_mov_b32_e32 v16, 0
	v_mov_b32_e32 v18, v0
	s_mov_b32 s33, 0
.LBB258_275:                            ; =>This Inner Loop Header: Depth=1
	ds_load_b32 v19, v17
	v_add_nc_u32_e32 v18, 0x80, v18
	s_delay_alu instid0(VALU_DEP_1) | instskip(SKIP_4) | instid1(VALU_DEP_1)
	v_cmp_le_i32_e64 s4, s5, v18
	s_wait_alu 0xfffe
	s_or_b32 s33, s4, s33
	s_wait_dscnt 0x0
	v_sub_f32_e32 v19, v19, v1
	v_mul_f32_e32 v19, 0x3fb8aa3b, v19
	s_delay_alu instid0(VALU_DEP_1)
	v_exp_f32_e32 v19, v19
	ds_store_b32 v17, v19
	v_dual_add_f32 v16, v16, v19 :: v_dual_add_nc_u32 v17, 0x200, v17
	s_wait_alu 0xfffe
	s_and_not1_b32 exec_lo, exec_lo, s33
	s_cbranch_execnz .LBB258_275
; %bb.276:
	s_or_b32 exec_lo, exec_lo, s33
.LBB258_277:
	s_wait_alu 0xfffe
	s_or_b32 exec_lo, exec_lo, s19
	ds_bpermute_b32 v3, v3, v16
	s_wait_dscnt 0x0
	v_add_f32_e32 v3, v16, v3
	ds_bpermute_b32 v4, v4, v3
	s_wait_dscnt 0x0
	v_add_f32_e32 v3, v3, v4
	;; [unrolled: 3-line block ×5, first 2 shown]
	s_and_saveexec_b32 s4, vcc_lo
; %bb.278:
	ds_store_b32 v5, v3 offset:272
; %bb.279:
	s_wait_alu 0xfffe
	s_or_b32 exec_lo, exec_lo, s4
	s_wait_loadcnt_dscnt 0x0
	s_barrier_signal -1
	s_barrier_wait -1
	global_inv scope:SCOPE_SE
	s_and_saveexec_b32 s4, s0
; %bb.280:
	ds_load_b32 v3, v6 offset:272
; %bb.281:
	s_wait_alu 0xfffe
	s_or_b32 exec_lo, exec_lo, s4
	s_wait_dscnt 0x0
	ds_bpermute_b32 v4, v8, v3
	v_lshlrev_b32_e32 v5, 2, v13
	s_wait_dscnt 0x0
	v_add_f32_e32 v3, v3, v4
	ds_bpermute_b32 v4, v15, v3
	s_wait_dscnt 0x0
	v_dual_add_f32 v3, v3, v4 :: v_dual_and_b32 v4, 0xffffff80, v5
	ds_bpermute_b32 v3, v4, v3
	s_and_saveexec_b32 s0, s1
	s_cbranch_execz .LBB258_284
; %bb.282:
	s_wait_dscnt 0x0
	v_add_f32_e32 v4, 0x358637bd, v3
	s_mov_b32 s1, 0
	s_delay_alu instid0(VALU_DEP_1) | instskip(SKIP_1) | instid1(VALU_DEP_2)
	v_div_scale_f32 v5, null, v4, v4, 1.0
	v_div_scale_f32 v8, vcc_lo, 1.0, v4, 1.0
	v_rcp_f32_e32 v6, v5
	s_delay_alu instid0(TRANS32_DEP_1) | instskip(NEXT) | instid1(VALU_DEP_1)
	v_fma_f32 v7, -v5, v6, 1.0
	v_fmac_f32_e32 v6, v7, v6
	s_delay_alu instid0(VALU_DEP_1) | instskip(NEXT) | instid1(VALU_DEP_1)
	v_mul_f32_e32 v7, v8, v6
	v_fma_f32 v13, -v5, v7, v8
	s_delay_alu instid0(VALU_DEP_1) | instskip(NEXT) | instid1(VALU_DEP_1)
	v_fmac_f32_e32 v7, v13, v6
	v_fma_f32 v5, -v5, v7, v8
	s_wait_alu 0xfffd
	s_delay_alu instid0(VALU_DEP_1) | instskip(NEXT) | instid1(VALU_DEP_1)
	v_div_fmas_f32 v5, v5, v6, v7
	v_div_fixup_f32 v4, v5, v4, 1.0
	v_mov_b32_e32 v5, v0
.LBB258_283:                            ; =>This Inner Loop Header: Depth=1
	ds_load_b32 v6, v2
	s_wait_dscnt 0x0
	v_dual_mul_f32 v6, v4, v6 :: v_dual_add_nc_u32 v5, 0x80, v5
	s_delay_alu instid0(VALU_DEP_1)
	v_cmp_le_i32_e32 vcc_lo, s5, v5
	ds_store_b32 v2, v6
	v_add_nc_u32_e32 v2, 0x200, v2
	s_wait_alu 0xfffe
	s_or_b32 s1, vcc_lo, s1
	s_wait_alu 0xfffe
	s_and_not1_b32 exec_lo, exec_lo, s1
	s_cbranch_execnz .LBB258_283
.LBB258_284:
	s_wait_alu 0xfffe
	s_or_b32 exec_lo, exec_lo, s0
	s_mul_i32 s0, s16, s29
	s_wait_loadcnt_dscnt 0x0
	s_wait_alu 0xfffe
	s_mul_i32 s4, s0, s30
	s_mov_b32 s0, exec_lo
	s_barrier_signal -1
	s_barrier_wait -1
	global_inv scope:SCOPE_SE
	v_cmpx_eq_u32_e32 0, v0
	s_cbranch_execz .LBB258_286
; %bb.285:
	s_wait_alu 0xfffe
	s_ashr_i32 s5, s4, 31
	s_mul_i32 s34, s16, ttmp9
	s_lshl_b32 s1, s26, 2
	s_wait_alu 0xfffe
	s_lshl_b64 s[36:37], s[4:5], 2
	s_ashr_i32 s35, s34, 31
	v_mov_b32_e32 v2, s1
	s_add_nc_u64 s[14:15], s[14:15], s[36:37]
	s_wait_alu 0xfffe
	s_lshl_b64 s[34:35], s[34:35], 2
	s_add_nc_u64 s[12:13], s[12:13], s[36:37]
	s_wait_alu 0xfffe
	s_add_nc_u64 s[14:15], s[14:15], s[34:35]
	s_add_nc_u64 s[12:13], s[12:13], s[34:35]
	s_clause 0x1
	global_store_b32 v2, v1, s[14:15]
	global_store_b32 v2, v3, s[12:13]
.LBB258_286:
	s_wait_alu 0xfffe
	s_or_b32 exec_lo, exec_lo, s0
	v_dual_mov_b32 v17, 0 :: v_dual_mov_b32 v16, 0
	v_mov_b32_e32 v15, 0
	v_mov_b32_e32 v13, 0
	s_and_saveexec_b32 s1, s3
	s_cbranch_execz .LBB258_554
; %bb.287:
	v_dual_mov_b32 v2, 0 :: v_dual_lshlrev_b32 v1, 3, v14
	s_ashr_i32 s19, s18, 31
	v_add3_u32 v18, s28, v10, 7
	s_wait_kmcnt 0x0
	s_wait_alu 0xfffe
	s_add_nc_u64 s[12:13], s[8:9], s[18:19]
	v_lshl_add_u32 v19, v11, 5, 0x120
	s_wait_alu 0xfffe
	v_add_co_u32 v3, s0, s12, v1
	s_wait_alu 0xf1ff
	v_add_co_ci_u32_e64 v4, null, s13, 0, s0
	s_lshl_b64 s[12:13], s[22:23], 2
	v_dual_mov_b32 v13, 0 :: v_dual_mov_b32 v16, 0
	s_wait_alu 0xfffe
	s_add_nc_u64 s[12:13], s[24:25], s[12:13]
	v_mov_b32_e32 v15, 0
	s_wait_alu 0xfffe
	v_add_co_u32 v5, s0, s12, v9
	s_wait_alu 0xf1ff
	v_add_co_ci_u32_e64 v6, null, s13, 0, s0
	v_mov_b32_e32 v17, 0
	s_mov_b32 s8, -1
	s_mov_b32 s3, s17
	s_mov_b32 s9, 0xffffff
	s_add_co_i32 s31, s31, -1
	s_mov_b32 s5, 0
	s_branch .LBB258_289
.LBB258_288:                            ;   in Loop: Header=BB258_289 Depth=1
	s_wait_alu 0xfffe
	s_or_b32 exec_lo, exec_lo, s0
	;;#ASMSTART
	v_pk_mul_f16 v1, v31, v37;

	;;#ASMEND
	;;#ASMSTART
	v_pk_mul_f16 v7, v29, v7;

	;;#ASMEND
	;;#ASMSTART
	v_pk_mul_f16 v8, v28, v36;

	;;#ASMEND
	;;#ASMSTART
	v_pk_mul_f16 v20, v27, v35;

	;;#ASMEND
	;;#ASMSTART
	v_pk_add_f16 v1, v1, v7;

	;;#ASMEND
	;;#ASMSTART
	v_pk_add_f16 v1, v1, v8;

	;;#ASMEND
	;; [unrolled: 4-line block ×3, first 2 shown]
	v_and_b32_e32 v20, 0xffff, v1
	v_lshrrev_b32_e32 v21, 16, v1
	v_dual_add_f32 v1, v9, v10 :: v_dual_add_nc_u32 v12, 4, v12
	;;#ASMSTART
	v_cvt_f32_f16 v9, v20;
	;;#ASMEND
	v_dual_add_f32 v7, v33, v34 :: v_dual_add_f32 v8, v30, v32
	s_delay_alu instid0(VALU_DEP_2) | instskip(SKIP_1) | instid1(VALU_DEP_2)
	v_add_f32_e32 v15, v15, v1
	;;#ASMSTART
	v_cvt_f32_f16 v10, v21;
	;;#ASMEND
	v_dual_add_f32 v9, v9, v10 :: v_dual_add_f32 v16, v16, v7
	v_cmp_le_i32_e32 vcc_lo, s21, v12
	v_add_co_u32 v5, s0, v5, 16
	v_dual_add_f32 v17, v17, v8 :: v_dual_add_nc_u32 v18, 32, v18
	s_delay_alu instid0(VALU_DEP_4)
	v_add_f32_e32 v13, v13, v9
	v_add_nc_u32_e32 v19, 0x80, v19
	s_wait_alu 0xf1ff
	v_add_co_ci_u32_e64 v6, null, 0, v6, s0
	s_or_b32 s5, vcc_lo, s5
	s_wait_alu 0xfffe
	s_and_not1_b32 exec_lo, exec_lo, s5
	s_cbranch_execz .LBB258_553
.LBB258_289:                            ; =>This Inner Loop Header: Depth=1
	global_load_b32 v1, v[5:6], off
	ds_load_2addr_b64 v[20:23], v19 offset1:1
	ds_load_2addr_b64 v[33:36], v19 offset0:2 offset1:3
	s_mov_b32 s0, exec_lo
	s_wait_dscnt 0x1
	;;#ASMSTART
	v_cvt_f16_f32 v27, v20;

	;;#ASMEND
	;;#ASMSTART
	v_cvt_f16_f32 v28, v21;

	;;#ASMEND
	;; [unrolled: 4-line block ×4, first 2 shown]
	s_wait_dscnt 0x0
	;;#ASMSTART
	v_cvt_f16_f32 v33, v33;

	;;#ASMEND
	;;#ASMSTART
	v_cvt_f16_f32 v30, v34;

	;;#ASMEND
	;; [unrolled: 4-line block ×4, first 2 shown]
	v_mov_b32_e32 v22, 0
	s_wait_loadcnt 0x0
	s_wait_alu 0xfffe
	v_mad_co_i64_i32 v[7:8], null, v1, s3, v[3:4]
	global_load_b64 v[9:10], v[7:8], off
	global_load_b32 v21, v2, s[10:11]
	s_wait_loadcnt 0x1
	v_and_b32_e32 v1, 0xff, v9
	s_delay_alu instid0(VALU_DEP_1)
	v_cmpx_ne_u16_e32 0, v1
	s_cbranch_execz .LBB258_297
; %bb.290:                              ;   in Loop: Header=BB258_289 Depth=1
	v_mov_b32_e32 v22, 0x8000
	s_mov_b32 s12, exec_lo
	v_cmpx_ne_u16_e32 0x80, v1
	s_cbranch_execz .LBB258_296
; %bb.291:                              ;   in Loop: Header=BB258_289 Depth=1
	v_and_b32_e32 v23, 0x7f, v9
	v_mov_b32_e32 v22, 0x7c01
	s_mov_b32 s13, exec_lo
	s_delay_alu instid0(VALU_DEP_2)
	v_cmpx_ne_u32_e32 0x7f, v23
	s_cbranch_execz .LBB258_295
; %bb.292:                              ;   in Loop: Header=BB258_289 Depth=1
	v_and_b32_e32 v1, 7, v9
	v_lshrrev_b32_e32 v20, 3, v23
	s_mov_b32 s14, exec_lo
	v_cmpx_gt_u32_e32 8, v23
; %bb.293:                              ;   in Loop: Header=BB258_289 Depth=1
	s_delay_alu instid0(VALU_DEP_3) | instskip(NEXT) | instid1(VALU_DEP_1)
	v_clz_i32_u32_e32 v1, v1
	v_min_u32_e32 v1, 32, v1
	s_delay_alu instid0(VALU_DEP_1) | instskip(NEXT) | instid1(VALU_DEP_1)
	v_subrev_nc_u32_e32 v20, 28, v1
	v_lshlrev_b64_e32 v[22:23], v20, v[9:10]
	v_sub_nc_u32_e32 v20, 29, v1
	s_delay_alu instid0(VALU_DEP_2)
	v_and_b32_e32 v1, 7, v22
; %bb.294:                              ;   in Loop: Header=BB258_289 Depth=1
	s_wait_alu 0xfffe
	s_or_b32 exec_lo, exec_lo, s14
	v_lshlrev_b32_e32 v22, 8, v9
	v_lshl_add_u32 v20, v20, 10, 0x2000
	v_lshlrev_b32_e32 v1, 7, v1
	s_delay_alu instid0(VALU_DEP_3) | instskip(NEXT) | instid1(VALU_DEP_3)
	v_and_b32_e32 v22, 0x8000, v22
	v_and_b32_e32 v20, 0xfc00, v20
	s_delay_alu instid0(VALU_DEP_1)
	v_or3_b32 v22, v22, v20, v1
.LBB258_295:                            ;   in Loop: Header=BB258_289 Depth=1
	s_wait_alu 0xfffe
	s_or_b32 exec_lo, exec_lo, s13
.LBB258_296:                            ;   in Loop: Header=BB258_289 Depth=1
	s_wait_alu 0xfffe
	s_or_b32 exec_lo, exec_lo, s12
.LBB258_297:                            ;   in Loop: Header=BB258_289 Depth=1
	s_delay_alu instid0(SALU_CYCLE_1) | instskip(SKIP_3) | instid1(VALU_DEP_2)
	s_or_b32 exec_lo, exec_lo, s0
	v_lshrrev_b16 v1, 8, v9
	v_dual_mov_b32 v20, 0 :: v_dual_mov_b32 v23, 0
	s_mov_b32 s0, exec_lo
	v_cmpx_ne_u16_e32 0, v1
	s_cbranch_execz .LBB258_305
; %bb.298:                              ;   in Loop: Header=BB258_289 Depth=1
	v_bfrev_b32_e32 v23, 1
	s_mov_b32 s12, exec_lo
	v_cmpx_ne_u16_e32 0x80, v1
	s_cbranch_execz .LBB258_304
; %bb.299:                              ;   in Loop: Header=BB258_289 Depth=1
	v_and_b32_e32 v24, 0xffff, v1
	v_mov_b32_e32 v23, 0x7c010000
	s_mov_b32 s13, exec_lo
	s_delay_alu instid0(VALU_DEP_2) | instskip(NEXT) | instid1(VALU_DEP_1)
	v_and_b32_e32 v26, 0x7f, v24
	v_cmpx_ne_u32_e32 0x7f, v26
	s_cbranch_execz .LBB258_303
; %bb.300:                              ;   in Loop: Header=BB258_289 Depth=1
	v_and_b32_e32 v23, 7, v24
	v_lshrrev_b32_e32 v25, 3, v26
	s_mov_b32 s14, exec_lo
	v_cmpx_gt_u32_e32 8, v26
; %bb.301:                              ;   in Loop: Header=BB258_289 Depth=1
	s_delay_alu instid0(VALU_DEP_3) | instskip(NEXT) | instid1(VALU_DEP_1)
	v_clz_i32_u32_e32 v23, v23
	v_min_u32_e32 v23, 32, v23
	s_delay_alu instid0(VALU_DEP_1) | instskip(NEXT) | instid1(VALU_DEP_1)
	v_subrev_nc_u32_e32 v25, 28, v23
	v_lshlrev_b64_e32 v[35:36], v25, v[1:2]
	v_sub_nc_u32_e32 v25, 29, v23
	s_delay_alu instid0(VALU_DEP_2)
	v_and_b32_e32 v23, 7, v35
; %bb.302:                              ;   in Loop: Header=BB258_289 Depth=1
	s_wait_alu 0xfffe
	s_or_b32 exec_lo, exec_lo, s14
	v_lshlrev_b32_e32 v1, 8, v24
	v_lshl_add_u32 v24, v25, 10, 0x2000
	v_lshlrev_b32_e32 v23, 23, v23
	s_delay_alu instid0(VALU_DEP_2) | instskip(NEXT) | instid1(VALU_DEP_1)
	v_and_or_b32 v1, 0x8000, v1, v24
	v_lshl_or_b32 v23, v1, 16, v23
.LBB258_303:                            ;   in Loop: Header=BB258_289 Depth=1
	s_wait_alu 0xfffe
	s_or_b32 exec_lo, exec_lo, s13
.LBB258_304:                            ;   in Loop: Header=BB258_289 Depth=1
	s_wait_alu 0xfffe
	s_or_b32 exec_lo, exec_lo, s12
.LBB258_305:                            ;   in Loop: Header=BB258_289 Depth=1
	s_wait_alu 0xfffe
	s_or_b32 exec_lo, exec_lo, s0
	v_lshrrev_b32_e32 v1, 16, v9
	s_mov_b32 s0, exec_lo
	s_delay_alu instid0(VALU_DEP_1) | instskip(NEXT) | instid1(VALU_DEP_1)
	v_and_b32_e32 v24, 0xff, v1
	v_cmpx_ne_u16_e32 0, v24
	s_cbranch_execz .LBB258_313
; %bb.306:                              ;   in Loop: Header=BB258_289 Depth=1
	v_mov_b32_e32 v20, 0x8000
	s_mov_b32 s12, exec_lo
	v_cmpx_ne_u16_e32 0x80, v24
	s_cbranch_execz .LBB258_312
; %bb.307:                              ;   in Loop: Header=BB258_289 Depth=1
	v_bfe_u32 v25, v9, 16, 7
	v_mov_b32_e32 v20, 0x7c01
	s_mov_b32 s13, exec_lo
	s_delay_alu instid0(VALU_DEP_2)
	v_cmpx_ne_u32_e32 0x7f, v25
	s_cbranch_execz .LBB258_311
; %bb.308:                              ;   in Loop: Header=BB258_289 Depth=1
	v_and_b32_e32 v20, 7, v1
	v_lshrrev_b32_e32 v24, 3, v25
	s_mov_b32 s14, exec_lo
	v_cmpx_gt_u32_e32 8, v25
; %bb.309:                              ;   in Loop: Header=BB258_289 Depth=1
	s_delay_alu instid0(VALU_DEP_3) | instskip(NEXT) | instid1(VALU_DEP_1)
	v_clz_i32_u32_e32 v20, v20
	v_min_u32_e32 v20, 32, v20
	s_delay_alu instid0(VALU_DEP_1) | instskip(NEXT) | instid1(VALU_DEP_1)
	v_subrev_nc_u32_e32 v24, 28, v20
	v_lshlrev_b64_e32 v[25:26], v24, v[1:2]
	v_sub_nc_u32_e32 v24, 29, v20
	s_delay_alu instid0(VALU_DEP_2)
	v_and_b32_e32 v20, 7, v25
; %bb.310:                              ;   in Loop: Header=BB258_289 Depth=1
	s_wait_alu 0xfffe
	s_or_b32 exec_lo, exec_lo, s14
	v_lshlrev_b32_e32 v1, 8, v1
	v_lshl_add_u32 v24, v24, 10, 0x2000
	v_lshlrev_b32_e32 v20, 7, v20
	s_delay_alu instid0(VALU_DEP_3) | instskip(NEXT) | instid1(VALU_DEP_3)
	v_and_b32_e32 v1, 0x8000, v1
	v_and_b32_e32 v24, 0xfc00, v24
	s_delay_alu instid0(VALU_DEP_1)
	v_or3_b32 v20, v1, v24, v20
.LBB258_311:                            ;   in Loop: Header=BB258_289 Depth=1
	s_wait_alu 0xfffe
	s_or_b32 exec_lo, exec_lo, s13
.LBB258_312:                            ;   in Loop: Header=BB258_289 Depth=1
	s_wait_alu 0xfffe
	s_or_b32 exec_lo, exec_lo, s12
.LBB258_313:                            ;   in Loop: Header=BB258_289 Depth=1
	s_wait_alu 0xfffe
	s_or_b32 exec_lo, exec_lo, s0
	v_dual_mov_b32 v24, 0 :: v_dual_mov_b32 v25, 0
	s_mov_b32 s0, exec_lo
	v_cmpx_lt_u32_e32 0xffffff, v9
	s_cbranch_execz .LBB258_321
; %bb.314:                              ;   in Loop: Header=BB258_289 Depth=1
	v_lshrrev_b32_e32 v1, 24, v9
	v_bfrev_b32_e32 v25, 1
	s_mov_b32 s12, exec_lo
	s_delay_alu instid0(VALU_DEP_2)
	v_cmpx_ne_u32_e32 0x80, v1
	s_cbranch_execz .LBB258_320
; %bb.315:                              ;   in Loop: Header=BB258_289 Depth=1
	v_and_b32_e32 v35, 0x7f, v1
	v_mov_b32_e32 v25, 0x7c010000
	s_mov_b32 s13, exec_lo
	s_delay_alu instid0(VALU_DEP_2)
	v_cmpx_ne_u32_e32 0x7f, v35
	s_cbranch_execz .LBB258_319
; %bb.316:                              ;   in Loop: Header=BB258_289 Depth=1
	v_and_b32_e32 v25, 7, v1
	v_lshrrev_b32_e32 v26, 3, v35
	s_mov_b32 s14, exec_lo
	v_cmpx_gt_u32_e32 8, v35
; %bb.317:                              ;   in Loop: Header=BB258_289 Depth=1
	s_delay_alu instid0(VALU_DEP_3) | instskip(NEXT) | instid1(VALU_DEP_1)
	v_clz_i32_u32_e32 v25, v25
	v_min_u32_e32 v35, 32, v25
	s_delay_alu instid0(VALU_DEP_1) | instskip(NEXT) | instid1(VALU_DEP_1)
	v_subrev_nc_u32_e32 v25, 28, v35
	v_lshlrev_b64_e32 v[25:26], v25, v[1:2]
	v_sub_nc_u32_e32 v26, 29, v35
	s_delay_alu instid0(VALU_DEP_2)
	v_and_b32_e32 v25, 7, v25
; %bb.318:                              ;   in Loop: Header=BB258_289 Depth=1
	s_wait_alu 0xfffe
	s_or_b32 exec_lo, exec_lo, s14
	v_lshlrev_b32_e32 v1, 8, v1
	v_lshl_add_u32 v26, v26, 10, 0x2000
	v_lshlrev_b32_e32 v25, 23, v25
	s_delay_alu instid0(VALU_DEP_2) | instskip(NEXT) | instid1(VALU_DEP_1)
	v_and_or_b32 v1, 0x8000, v1, v26
	v_lshl_or_b32 v25, v1, 16, v25
.LBB258_319:                            ;   in Loop: Header=BB258_289 Depth=1
	s_wait_alu 0xfffe
	s_or_b32 exec_lo, exec_lo, s13
.LBB258_320:                            ;   in Loop: Header=BB258_289 Depth=1
	s_wait_alu 0xfffe
	s_or_b32 exec_lo, exec_lo, s12
.LBB258_321:                            ;   in Loop: Header=BB258_289 Depth=1
	s_wait_alu 0xfffe
	s_or_b32 exec_lo, exec_lo, s0
	v_dual_mov_b32 v1, v10 :: v_dual_and_b32 v26, 0xff, v10
	s_mov_b32 s0, exec_lo
	s_delay_alu instid0(VALU_DEP_1)
	v_cmpx_ne_u16_e32 0, v26
	s_cbranch_execz .LBB258_329
; %bb.322:                              ;   in Loop: Header=BB258_289 Depth=1
	v_mov_b32_e32 v24, 0x8000
	s_mov_b32 s12, exec_lo
	v_cmpx_ne_u16_e32 0x80, v26
	s_cbranch_execz .LBB258_328
; %bb.323:                              ;   in Loop: Header=BB258_289 Depth=1
	v_and_b32_e32 v35, 0x7f, v10
	v_mov_b32_e32 v24, 0x7c01
	s_mov_b32 s13, exec_lo
	s_delay_alu instid0(VALU_DEP_2)
	v_cmpx_ne_u32_e32 0x7f, v35
	s_cbranch_execz .LBB258_327
; %bb.324:                              ;   in Loop: Header=BB258_289 Depth=1
	v_and_b32_e32 v24, 7, v10
	v_lshrrev_b32_e32 v26, 3, v35
	s_mov_b32 s14, exec_lo
	v_cmpx_gt_u32_e32 8, v35
; %bb.325:                              ;   in Loop: Header=BB258_289 Depth=1
	s_delay_alu instid0(VALU_DEP_3) | instskip(NEXT) | instid1(VALU_DEP_1)
	v_clz_i32_u32_e32 v24, v24
	v_min_u32_e32 v24, 32, v24
	s_delay_alu instid0(VALU_DEP_1) | instskip(NEXT) | instid1(VALU_DEP_1)
	v_subrev_nc_u32_e32 v26, 28, v24
	v_lshlrev_b64_e32 v[35:36], v26, v[1:2]
	v_sub_nc_u32_e32 v26, 29, v24
	s_delay_alu instid0(VALU_DEP_2)
	v_and_b32_e32 v24, 7, v35
; %bb.326:                              ;   in Loop: Header=BB258_289 Depth=1
	s_wait_alu 0xfffe
	s_or_b32 exec_lo, exec_lo, s14
	v_lshlrev_b32_e32 v35, 8, v10
	v_lshl_add_u32 v26, v26, 10, 0x2000
	v_lshlrev_b32_e32 v24, 7, v24
	s_delay_alu instid0(VALU_DEP_3) | instskip(NEXT) | instid1(VALU_DEP_3)
	v_and_b32_e32 v35, 0x8000, v35
	v_and_b32_e32 v26, 0xfc00, v26
	s_delay_alu instid0(VALU_DEP_1)
	v_or3_b32 v24, v35, v26, v24
.LBB258_327:                            ;   in Loop: Header=BB258_289 Depth=1
	s_wait_alu 0xfffe
	s_or_b32 exec_lo, exec_lo, s13
.LBB258_328:                            ;   in Loop: Header=BB258_289 Depth=1
	s_wait_alu 0xfffe
	s_or_b32 exec_lo, exec_lo, s12
.LBB258_329:                            ;   in Loop: Header=BB258_289 Depth=1
	s_wait_alu 0xfffe
	s_or_b32 exec_lo, exec_lo, s0
	v_lshrrev_b16 v1, 8, v1
	v_dual_mov_b32 v35, 0 :: v_dual_mov_b32 v26, 0
	s_mov_b32 s0, exec_lo
	s_delay_alu instid0(VALU_DEP_2)
	v_cmpx_ne_u16_e32 0, v1
	s_cbranch_execz .LBB258_337
; %bb.330:                              ;   in Loop: Header=BB258_289 Depth=1
	v_bfrev_b32_e32 v26, 1
	s_mov_b32 s12, exec_lo
	v_cmpx_ne_u16_e32 0x80, v1
	s_cbranch_execz .LBB258_336
; %bb.331:                              ;   in Loop: Header=BB258_289 Depth=1
	v_and_b32_e32 v36, 0xffff, v1
	v_mov_b32_e32 v26, 0x7c010000
	s_mov_b32 s13, exec_lo
	s_delay_alu instid0(VALU_DEP_2) | instskip(NEXT) | instid1(VALU_DEP_1)
	v_and_b32_e32 v38, 0x7f, v36
	v_cmpx_ne_u32_e32 0x7f, v38
	s_cbranch_execz .LBB258_335
; %bb.332:                              ;   in Loop: Header=BB258_289 Depth=1
	v_and_b32_e32 v26, 7, v36
	v_lshrrev_b32_e32 v37, 3, v38
	s_mov_b32 s14, exec_lo
	v_cmpx_gt_u32_e32 8, v38
; %bb.333:                              ;   in Loop: Header=BB258_289 Depth=1
	s_delay_alu instid0(VALU_DEP_3) | instskip(NEXT) | instid1(VALU_DEP_1)
	v_clz_i32_u32_e32 v26, v26
	v_min_u32_e32 v26, 32, v26
	s_delay_alu instid0(VALU_DEP_1) | instskip(NEXT) | instid1(VALU_DEP_1)
	v_subrev_nc_u32_e32 v37, 28, v26
	v_lshlrev_b64_e32 v[38:39], v37, v[1:2]
	v_sub_nc_u32_e32 v37, 29, v26
	s_delay_alu instid0(VALU_DEP_2)
	v_and_b32_e32 v26, 7, v38
; %bb.334:                              ;   in Loop: Header=BB258_289 Depth=1
	s_wait_alu 0xfffe
	s_or_b32 exec_lo, exec_lo, s14
	v_lshlrev_b32_e32 v1, 8, v36
	v_lshl_add_u32 v36, v37, 10, 0x2000
	v_lshlrev_b32_e32 v26, 23, v26
	s_delay_alu instid0(VALU_DEP_2) | instskip(NEXT) | instid1(VALU_DEP_1)
	v_and_or_b32 v1, 0x8000, v1, v36
	v_lshl_or_b32 v26, v1, 16, v26
.LBB258_335:                            ;   in Loop: Header=BB258_289 Depth=1
	s_wait_alu 0xfffe
	s_or_b32 exec_lo, exec_lo, s13
.LBB258_336:                            ;   in Loop: Header=BB258_289 Depth=1
	s_wait_alu 0xfffe
	s_or_b32 exec_lo, exec_lo, s12
.LBB258_337:                            ;   in Loop: Header=BB258_289 Depth=1
	s_wait_alu 0xfffe
	s_or_b32 exec_lo, exec_lo, s0
	v_lshrrev_b32_e32 v1, 16, v10
	s_mov_b32 s0, exec_lo
	s_delay_alu instid0(VALU_DEP_1) | instskip(NEXT) | instid1(VALU_DEP_1)
	v_and_b32_e32 v36, 0xff, v1
	v_cmpx_ne_u16_e32 0, v36
	s_cbranch_execz .LBB258_345
; %bb.338:                              ;   in Loop: Header=BB258_289 Depth=1
	v_mov_b32_e32 v35, 0x8000
	s_mov_b32 s12, exec_lo
	v_cmpx_ne_u16_e32 0x80, v36
	s_cbranch_execz .LBB258_344
; %bb.339:                              ;   in Loop: Header=BB258_289 Depth=1
	v_bfe_u32 v37, v10, 16, 7
	v_mov_b32_e32 v35, 0x7c01
	s_mov_b32 s13, exec_lo
	s_delay_alu instid0(VALU_DEP_2)
	v_cmpx_ne_u32_e32 0x7f, v37
	s_cbranch_execz .LBB258_343
; %bb.340:                              ;   in Loop: Header=BB258_289 Depth=1
	v_and_b32_e32 v35, 7, v1
	v_lshrrev_b32_e32 v36, 3, v37
	s_mov_b32 s14, exec_lo
	v_cmpx_gt_u32_e32 8, v37
; %bb.341:                              ;   in Loop: Header=BB258_289 Depth=1
	s_delay_alu instid0(VALU_DEP_3) | instskip(NEXT) | instid1(VALU_DEP_1)
	v_clz_i32_u32_e32 v35, v35
	v_min_u32_e32 v37, 32, v35
	s_delay_alu instid0(VALU_DEP_1) | instskip(NEXT) | instid1(VALU_DEP_1)
	v_subrev_nc_u32_e32 v35, 28, v37
	v_lshlrev_b64_e32 v[35:36], v35, v[1:2]
	v_sub_nc_u32_e32 v36, 29, v37
	s_delay_alu instid0(VALU_DEP_2)
	v_and_b32_e32 v35, 7, v35
; %bb.342:                              ;   in Loop: Header=BB258_289 Depth=1
	s_wait_alu 0xfffe
	s_or_b32 exec_lo, exec_lo, s14
	v_lshlrev_b32_e32 v1, 8, v1
	v_lshl_add_u32 v36, v36, 10, 0x2000
	v_lshlrev_b32_e32 v35, 7, v35
	s_delay_alu instid0(VALU_DEP_3) | instskip(NEXT) | instid1(VALU_DEP_3)
	v_and_b32_e32 v1, 0x8000, v1
	v_and_b32_e32 v36, 0xfc00, v36
	s_delay_alu instid0(VALU_DEP_1)
	v_or3_b32 v35, v1, v36, v35
.LBB258_343:                            ;   in Loop: Header=BB258_289 Depth=1
	s_wait_alu 0xfffe
	s_or_b32 exec_lo, exec_lo, s13
.LBB258_344:                            ;   in Loop: Header=BB258_289 Depth=1
	s_wait_alu 0xfffe
	s_or_b32 exec_lo, exec_lo, s12
.LBB258_345:                            ;   in Loop: Header=BB258_289 Depth=1
	s_wait_alu 0xfffe
	s_or_b32 exec_lo, exec_lo, s0
	v_cmp_lt_u64_e32 vcc_lo, s[8:9], v[9:10]
	v_mov_b32_e32 v9, 0
	s_and_saveexec_b32 s0, vcc_lo
	s_cbranch_execz .LBB258_353
; %bb.346:                              ;   in Loop: Header=BB258_289 Depth=1
	v_lshrrev_b32_e32 v1, 24, v10
	v_bfrev_b32_e32 v9, 1
	s_mov_b32 s12, exec_lo
	s_delay_alu instid0(VALU_DEP_2)
	v_cmpx_ne_u32_e32 0x80, v1
	s_cbranch_execz .LBB258_352
; %bb.347:                              ;   in Loop: Header=BB258_289 Depth=1
	v_and_b32_e32 v36, 0x7f, v1
	v_mov_b32_e32 v9, 0x7c010000
	s_mov_b32 s13, exec_lo
	s_delay_alu instid0(VALU_DEP_2)
	v_cmpx_ne_u32_e32 0x7f, v36
	s_cbranch_execz .LBB258_351
; %bb.348:                              ;   in Loop: Header=BB258_289 Depth=1
	v_and_b32_e32 v9, 7, v1
	v_lshrrev_b32_e32 v10, 3, v36
	s_mov_b32 s14, exec_lo
	v_cmpx_gt_u32_e32 8, v36
; %bb.349:                              ;   in Loop: Header=BB258_289 Depth=1
	s_delay_alu instid0(VALU_DEP_3) | instskip(NEXT) | instid1(VALU_DEP_1)
	v_clz_i32_u32_e32 v9, v9
	v_min_u32_e32 v36, 32, v9
	s_delay_alu instid0(VALU_DEP_1) | instskip(NEXT) | instid1(VALU_DEP_1)
	v_subrev_nc_u32_e32 v9, 28, v36
	v_lshlrev_b64_e32 v[9:10], v9, v[1:2]
	v_sub_nc_u32_e32 v10, 29, v36
	s_delay_alu instid0(VALU_DEP_2)
	v_and_b32_e32 v9, 7, v9
; %bb.350:                              ;   in Loop: Header=BB258_289 Depth=1
	s_wait_alu 0xfffe
	s_or_b32 exec_lo, exec_lo, s14
	v_lshlrev_b32_e32 v1, 8, v1
	v_lshl_add_u32 v10, v10, 10, 0x2000
	v_lshlrev_b32_e32 v9, 23, v9
	s_delay_alu instid0(VALU_DEP_2) | instskip(NEXT) | instid1(VALU_DEP_1)
	v_and_or_b32 v1, 0x8000, v1, v10
	v_lshl_or_b32 v9, v1, 16, v9
.LBB258_351:                            ;   in Loop: Header=BB258_289 Depth=1
	s_wait_alu 0xfffe
	s_or_b32 exec_lo, exec_lo, s13
.LBB258_352:                            ;   in Loop: Header=BB258_289 Depth=1
	s_wait_alu 0xfffe
	s_or_b32 exec_lo, exec_lo, s12
.LBB258_353:                            ;   in Loop: Header=BB258_289 Depth=1
	s_wait_alu 0xfffe
	s_or_b32 exec_lo, exec_lo, s0
	v_or_b32_e32 v1, v25, v20
	s_wait_loadcnt 0x0
	v_fma_mixlo_f16 v10, v21, v25, 0 op_sel:[0,1,0] op_sel_hi:[0,1,0]
	v_or_b32_e32 v22, v23, v22
	v_fma_mixlo_f16 v23, v21, v23, 0 op_sel:[0,1,0] op_sel_hi:[0,1,0]
	v_or_b32_e32 v24, v26, v24
	v_fma_mixlo_f16 v1, v21, v1, 0 op_sel_hi:[0,1,0]
	v_or_b32_e32 v25, v9, v35
	v_fma_mixlo_f16 v9, v21, v9, 0 op_sel:[0,1,0] op_sel_hi:[0,1,0]
	v_lshlrev_b32_e32 v41, 16, v23
	v_fma_mixlo_f16 v23, v21, v24, 0 op_sel_hi:[0,1,0]
	v_and_b32_e32 v38, 0xffff, v1
	v_fma_mixlo_f16 v1, v21, v22, 0 op_sel_hi:[0,1,0]
	v_fma_mixlo_f16 v22, v21, v26, 0 op_sel:[0,1,0] op_sel_hi:[0,1,0]
	v_fma_mixlo_f16 v21, v21, v25, 0 op_sel_hi:[0,1,0]
	v_lshlrev_b32_e32 v10, 16, v10
	v_and_b32_e32 v42, 0xffff, v23
	v_and_b32_e32 v43, 0xffff, v1
	v_lshlrev_b32_e32 v39, 16, v22
	v_lshlrev_b32_e32 v36, 16, v9
	v_and_b32_e32 v40, 0xffff, v21
	v_add_nc_u32_e32 v20, -7, v18
	v_cmp_eq_u32_e32 vcc_lo, s31, v12
	v_or_b32_e32 v1, v10, v38
	v_or_b32_e32 v9, v41, v43
	;; [unrolled: 1-line block ×4, first 2 shown]
	v_add_nc_u32_e32 v26, -6, v18
	v_add_nc_u32_e32 v25, -5, v18
	;; [unrolled: 1-line block ×6, first 2 shown]
	s_and_saveexec_b32 s12, vcc_lo
	s_cbranch_execz .LBB258_355
; %bb.354:                              ;   in Loop: Header=BB258_289 Depth=1
	v_cmp_gt_i32_e64 s0, s27, v20
	s_wait_alu 0xf1ff
	s_delay_alu instid0(VALU_DEP_1) | instskip(SKIP_2) | instid1(VALU_DEP_1)
	v_cndmask_b32_e64 v1, 0, v43, s0
	v_cmp_gt_i32_e64 s0, s27, v26
	s_wait_alu 0xf1ff
	v_cndmask_b32_e64 v9, 0, v41, s0
	v_cmp_gt_i32_e64 s0, s27, v25
	s_delay_alu instid0(VALU_DEP_2) | instskip(SKIP_1) | instid1(VALU_DEP_2)
	v_or_b32_e32 v9, v9, v1
	s_wait_alu 0xf1ff
	v_cndmask_b32_e64 v35, 0, v38, s0
	v_cmp_gt_i32_e64 s0, s27, v24
	s_wait_alu 0xf1ff
	s_delay_alu instid0(VALU_DEP_1) | instskip(SKIP_1) | instid1(VALU_DEP_2)
	v_cndmask_b32_e64 v10, 0, v10, s0
	v_cmp_gt_i32_e64 s0, s27, v23
	v_or_b32_e32 v1, v10, v35
	s_wait_alu 0xf1ff
	s_delay_alu instid0(VALU_DEP_2) | instskip(SKIP_2) | instid1(VALU_DEP_1)
	v_cndmask_b32_e64 v37, 0, v42, s0
	v_cmp_gt_i32_e64 s0, s27, v22
	s_wait_alu 0xf1ff
	v_cndmask_b32_e64 v38, 0, v39, s0
	v_cmp_gt_i32_e64 s0, s27, v21
	s_delay_alu instid0(VALU_DEP_2) | instskip(SKIP_1) | instid1(VALU_DEP_2)
	v_or_b32_e32 v35, v38, v37
	s_wait_alu 0xf1ff
	v_cndmask_b32_e64 v39, 0, v40, s0
	v_cmp_gt_i32_e64 s0, s27, v18
	s_wait_alu 0xf1ff
	s_delay_alu instid0(VALU_DEP_1) | instskip(NEXT) | instid1(VALU_DEP_1)
	v_cndmask_b32_e64 v36, 0, v36, s0
	v_or_b32_e32 v37, v36, v39
.LBB258_355:                            ;   in Loop: Header=BB258_289 Depth=1
	s_wait_alu 0xfffe
	s_or_b32 exec_lo, exec_lo, s12
	v_and_b32_e32 v10, 0xffff, v27
	v_and_b32_e32 v27, 0xffff, v31
	;; [unrolled: 1-line block ×4, first 2 shown]
	s_mov_b32 s12, exec_lo
	v_lshl_or_b32 v31, v28, 16, v10
	v_lshl_or_b32 v29, v29, 16, v27
	;;#ASMSTART
	v_pk_mul_f16 v9, v31, v9;

	;;#ASMEND
	;;#ASMSTART
	v_pk_mul_f16 v1, v29, v1;

	;;#ASMEND
	v_lshl_or_b32 v28, v30, 16, v33
	v_lshl_or_b32 v27, v32, 16, v34
	;;#ASMSTART
	v_pk_mul_f16 v10, v28, v35;

	;;#ASMEND
	;;#ASMSTART
	v_pk_mul_f16 v30, v27, v37;

	;;#ASMEND
	;;#ASMSTART
	v_pk_add_f16 v1, v9, v1;

	;;#ASMEND
	;;#ASMSTART
	v_pk_add_f16 v1, v1, v10;
	;; [unrolled: 4-line block ×3, first 2 shown]

	;;#ASMEND
	v_and_b32_e32 v9, 0xffff, v1
	v_lshrrev_b32_e32 v1, 16, v1
	;;#ASMSTART
	v_cvt_f32_f16 v30, v9;
	;;#ASMEND
	;;#ASMSTART
	v_cvt_f32_f16 v32, v1;
	;;#ASMEND
	global_load_b64 v[9:10], v[7:8], off offset:256
	v_dual_mov_b32 v34, 0 :: v_dual_mov_b32 v35, 0
	global_load_b32 v33, v34, s[10:11]
	s_wait_loadcnt 0x1
	v_and_b32_e32 v1, 0xff, v9
	s_delay_alu instid0(VALU_DEP_1)
	v_cmpx_ne_u16_e32 0, v1
	s_cbranch_execz .LBB258_363
; %bb.356:                              ;   in Loop: Header=BB258_289 Depth=1
	v_mov_b32_e32 v35, 0x8000
	s_mov_b32 s13, exec_lo
	v_cmpx_ne_u16_e32 0x80, v1
	s_cbranch_execz .LBB258_362
; %bb.357:                              ;   in Loop: Header=BB258_289 Depth=1
	v_and_b32_e32 v36, 0x7f, v9
	v_mov_b32_e32 v35, 0x7c01
	s_mov_b32 s14, exec_lo
	s_delay_alu instid0(VALU_DEP_2)
	v_cmpx_ne_u32_e32 0x7f, v36
	s_cbranch_execz .LBB258_361
; %bb.358:                              ;   in Loop: Header=BB258_289 Depth=1
	v_and_b32_e32 v1, 7, v9
	v_lshrrev_b32_e32 v35, 3, v36
	s_mov_b32 s15, exec_lo
	v_cmpx_gt_u32_e32 8, v36
; %bb.359:                              ;   in Loop: Header=BB258_289 Depth=1
	s_delay_alu instid0(VALU_DEP_3) | instskip(NEXT) | instid1(VALU_DEP_1)
	v_clz_i32_u32_e32 v1, v1
	v_min_u32_e32 v1, 32, v1
	s_delay_alu instid0(VALU_DEP_1) | instskip(NEXT) | instid1(VALU_DEP_1)
	v_subrev_nc_u32_e32 v35, 28, v1
	v_lshlrev_b64_e32 v[36:37], v35, v[9:10]
	v_sub_nc_u32_e32 v35, 29, v1
	s_delay_alu instid0(VALU_DEP_2)
	v_and_b32_e32 v1, 7, v36
; %bb.360:                              ;   in Loop: Header=BB258_289 Depth=1
	s_wait_alu 0xfffe
	s_or_b32 exec_lo, exec_lo, s15
	v_lshlrev_b32_e32 v36, 8, v9
	v_lshl_add_u32 v35, v35, 10, 0x2000
	v_lshlrev_b32_e32 v1, 7, v1
	s_delay_alu instid0(VALU_DEP_3) | instskip(NEXT) | instid1(VALU_DEP_3)
	v_and_b32_e32 v36, 0x8000, v36
	v_and_b32_e32 v35, 0xfc00, v35
	s_delay_alu instid0(VALU_DEP_1)
	v_or3_b32 v35, v36, v35, v1
.LBB258_361:                            ;   in Loop: Header=BB258_289 Depth=1
	s_wait_alu 0xfffe
	s_or_b32 exec_lo, exec_lo, s14
.LBB258_362:                            ;   in Loop: Header=BB258_289 Depth=1
	s_wait_alu 0xfffe
	s_or_b32 exec_lo, exec_lo, s13
.LBB258_363:                            ;   in Loop: Header=BB258_289 Depth=1
	s_wait_alu 0xfffe
	s_or_b32 exec_lo, exec_lo, s12
	v_lshrrev_b16 v1, 8, v9
	s_mov_b32 s12, exec_lo
	s_delay_alu instid0(VALU_DEP_1)
	v_cmpx_ne_u16_e32 0, v1
	s_cbranch_execz .LBB258_371
; %bb.364:                              ;   in Loop: Header=BB258_289 Depth=1
	v_bfrev_b32_e32 v34, 1
	s_mov_b32 s13, exec_lo
	v_cmpx_ne_u16_e32 0x80, v1
	s_cbranch_execz .LBB258_370
; %bb.365:                              ;   in Loop: Header=BB258_289 Depth=1
	v_and_b32_e32 v36, 0xffff, v1
	v_mov_b32_e32 v34, 0x7c010000
	s_mov_b32 s14, exec_lo
	s_delay_alu instid0(VALU_DEP_2) | instskip(NEXT) | instid1(VALU_DEP_1)
	v_and_b32_e32 v38, 0x7f, v36
	v_cmpx_ne_u32_e32 0x7f, v38
	s_cbranch_execz .LBB258_369
; %bb.366:                              ;   in Loop: Header=BB258_289 Depth=1
	v_and_b32_e32 v34, 7, v36
	v_lshrrev_b32_e32 v37, 3, v38
	s_mov_b32 s15, exec_lo
	v_cmpx_gt_u32_e32 8, v38
; %bb.367:                              ;   in Loop: Header=BB258_289 Depth=1
	s_delay_alu instid0(VALU_DEP_3) | instskip(NEXT) | instid1(VALU_DEP_1)
	v_clz_i32_u32_e32 v34, v34
	v_min_u32_e32 v34, 32, v34
	s_delay_alu instid0(VALU_DEP_1) | instskip(NEXT) | instid1(VALU_DEP_1)
	v_subrev_nc_u32_e32 v37, 28, v34
	v_lshlrev_b64_e32 v[38:39], v37, v[1:2]
	v_sub_nc_u32_e32 v37, 29, v34
	s_delay_alu instid0(VALU_DEP_2)
	v_and_b32_e32 v34, 7, v38
; %bb.368:                              ;   in Loop: Header=BB258_289 Depth=1
	s_wait_alu 0xfffe
	s_or_b32 exec_lo, exec_lo, s15
	v_lshlrev_b32_e32 v1, 8, v36
	v_lshl_add_u32 v36, v37, 10, 0x2000
	v_lshlrev_b32_e32 v34, 23, v34
	s_delay_alu instid0(VALU_DEP_2) | instskip(NEXT) | instid1(VALU_DEP_1)
	v_and_or_b32 v1, 0x8000, v1, v36
	v_lshl_or_b32 v34, v1, 16, v34
.LBB258_369:                            ;   in Loop: Header=BB258_289 Depth=1
	s_wait_alu 0xfffe
	s_or_b32 exec_lo, exec_lo, s14
.LBB258_370:                            ;   in Loop: Header=BB258_289 Depth=1
	s_wait_alu 0xfffe
	s_or_b32 exec_lo, exec_lo, s13
.LBB258_371:                            ;   in Loop: Header=BB258_289 Depth=1
	s_wait_alu 0xfffe
	s_or_b32 exec_lo, exec_lo, s12
	v_lshrrev_b32_e32 v1, 16, v9
	v_mov_b32_e32 v36, 0
	s_mov_b32 s12, exec_lo
	s_delay_alu instid0(VALU_DEP_2) | instskip(NEXT) | instid1(VALU_DEP_1)
	v_dual_mov_b32 v37, 0 :: v_dual_and_b32 v38, 0xff, v1
	v_cmpx_ne_u16_e32 0, v38
	s_cbranch_execz .LBB258_379
; %bb.372:                              ;   in Loop: Header=BB258_289 Depth=1
	v_mov_b32_e32 v37, 0x8000
	s_mov_b32 s13, exec_lo
	v_cmpx_ne_u16_e32 0x80, v38
	s_cbranch_execz .LBB258_378
; %bb.373:                              ;   in Loop: Header=BB258_289 Depth=1
	v_bfe_u32 v39, v9, 16, 7
	v_mov_b32_e32 v37, 0x7c01
	s_mov_b32 s14, exec_lo
	s_delay_alu instid0(VALU_DEP_2)
	v_cmpx_ne_u32_e32 0x7f, v39
	s_cbranch_execz .LBB258_377
; %bb.374:                              ;   in Loop: Header=BB258_289 Depth=1
	v_and_b32_e32 v37, 7, v1
	v_lshrrev_b32_e32 v38, 3, v39
	s_mov_b32 s15, exec_lo
	v_cmpx_gt_u32_e32 8, v39
; %bb.375:                              ;   in Loop: Header=BB258_289 Depth=1
	s_delay_alu instid0(VALU_DEP_3) | instskip(NEXT) | instid1(VALU_DEP_1)
	v_clz_i32_u32_e32 v37, v37
	v_min_u32_e32 v39, 32, v37
	s_delay_alu instid0(VALU_DEP_1) | instskip(NEXT) | instid1(VALU_DEP_1)
	v_subrev_nc_u32_e32 v37, 28, v39
	v_lshlrev_b64_e32 v[37:38], v37, v[1:2]
	v_sub_nc_u32_e32 v38, 29, v39
	s_delay_alu instid0(VALU_DEP_2)
	v_and_b32_e32 v37, 7, v37
; %bb.376:                              ;   in Loop: Header=BB258_289 Depth=1
	s_wait_alu 0xfffe
	s_or_b32 exec_lo, exec_lo, s15
	v_lshlrev_b32_e32 v1, 8, v1
	v_lshl_add_u32 v38, v38, 10, 0x2000
	v_lshlrev_b32_e32 v37, 7, v37
	s_delay_alu instid0(VALU_DEP_3) | instskip(NEXT) | instid1(VALU_DEP_3)
	v_and_b32_e32 v1, 0x8000, v1
	v_and_b32_e32 v38, 0xfc00, v38
	s_delay_alu instid0(VALU_DEP_1)
	v_or3_b32 v37, v1, v38, v37
.LBB258_377:                            ;   in Loop: Header=BB258_289 Depth=1
	s_wait_alu 0xfffe
	s_or_b32 exec_lo, exec_lo, s14
.LBB258_378:                            ;   in Loop: Header=BB258_289 Depth=1
	s_wait_alu 0xfffe
	s_or_b32 exec_lo, exec_lo, s13
.LBB258_379:                            ;   in Loop: Header=BB258_289 Depth=1
	s_wait_alu 0xfffe
	s_or_b32 exec_lo, exec_lo, s12
	s_delay_alu instid0(SALU_CYCLE_1)
	s_mov_b32 s12, exec_lo
	v_cmpx_lt_u32_e32 0xffffff, v9
	s_cbranch_execz .LBB258_387
; %bb.380:                              ;   in Loop: Header=BB258_289 Depth=1
	v_lshrrev_b32_e32 v1, 24, v9
	v_bfrev_b32_e32 v36, 1
	s_mov_b32 s13, exec_lo
	s_delay_alu instid0(VALU_DEP_2)
	v_cmpx_ne_u32_e32 0x80, v1
	s_cbranch_execz .LBB258_386
; %bb.381:                              ;   in Loop: Header=BB258_289 Depth=1
	v_and_b32_e32 v39, 0x7f, v1
	v_mov_b32_e32 v36, 0x7c010000
	s_mov_b32 s14, exec_lo
	s_delay_alu instid0(VALU_DEP_2)
	v_cmpx_ne_u32_e32 0x7f, v39
	s_cbranch_execz .LBB258_385
; %bb.382:                              ;   in Loop: Header=BB258_289 Depth=1
	v_and_b32_e32 v36, 7, v1
	v_lshrrev_b32_e32 v38, 3, v39
	s_mov_b32 s15, exec_lo
	v_cmpx_gt_u32_e32 8, v39
; %bb.383:                              ;   in Loop: Header=BB258_289 Depth=1
	s_delay_alu instid0(VALU_DEP_3) | instskip(NEXT) | instid1(VALU_DEP_1)
	v_clz_i32_u32_e32 v36, v36
	v_min_u32_e32 v36, 32, v36
	s_delay_alu instid0(VALU_DEP_1) | instskip(NEXT) | instid1(VALU_DEP_1)
	v_subrev_nc_u32_e32 v38, 28, v36
	v_lshlrev_b64_e32 v[39:40], v38, v[1:2]
	v_sub_nc_u32_e32 v38, 29, v36
	s_delay_alu instid0(VALU_DEP_2)
	v_and_b32_e32 v36, 7, v39
; %bb.384:                              ;   in Loop: Header=BB258_289 Depth=1
	s_wait_alu 0xfffe
	s_or_b32 exec_lo, exec_lo, s15
	v_lshlrev_b32_e32 v1, 8, v1
	v_lshl_add_u32 v38, v38, 10, 0x2000
	v_lshlrev_b32_e32 v36, 23, v36
	s_delay_alu instid0(VALU_DEP_2) | instskip(NEXT) | instid1(VALU_DEP_1)
	v_and_or_b32 v1, 0x8000, v1, v38
	v_lshl_or_b32 v36, v1, 16, v36
.LBB258_385:                            ;   in Loop: Header=BB258_289 Depth=1
	s_wait_alu 0xfffe
	s_or_b32 exec_lo, exec_lo, s14
.LBB258_386:                            ;   in Loop: Header=BB258_289 Depth=1
	s_wait_alu 0xfffe
	s_or_b32 exec_lo, exec_lo, s13
.LBB258_387:                            ;   in Loop: Header=BB258_289 Depth=1
	s_wait_alu 0xfffe
	s_or_b32 exec_lo, exec_lo, s12
	v_dual_mov_b32 v1, v10 :: v_dual_and_b32 v40, 0xff, v10
	v_dual_mov_b32 v38, 0 :: v_dual_mov_b32 v39, 0
	s_mov_b32 s12, exec_lo
	s_delay_alu instid0(VALU_DEP_2)
	v_cmpx_ne_u16_e32 0, v40
	s_cbranch_execz .LBB258_395
; %bb.388:                              ;   in Loop: Header=BB258_289 Depth=1
	v_mov_b32_e32 v39, 0x8000
	s_mov_b32 s13, exec_lo
	v_cmpx_ne_u16_e32 0x80, v40
	s_cbranch_execz .LBB258_394
; %bb.389:                              ;   in Loop: Header=BB258_289 Depth=1
	v_and_b32_e32 v41, 0x7f, v10
	v_mov_b32_e32 v39, 0x7c01
	s_mov_b32 s14, exec_lo
	s_delay_alu instid0(VALU_DEP_2)
	v_cmpx_ne_u32_e32 0x7f, v41
	s_cbranch_execz .LBB258_393
; %bb.390:                              ;   in Loop: Header=BB258_289 Depth=1
	v_and_b32_e32 v39, 7, v10
	v_lshrrev_b32_e32 v40, 3, v41
	s_mov_b32 s15, exec_lo
	v_cmpx_gt_u32_e32 8, v41
; %bb.391:                              ;   in Loop: Header=BB258_289 Depth=1
	s_delay_alu instid0(VALU_DEP_3) | instskip(NEXT) | instid1(VALU_DEP_1)
	v_clz_i32_u32_e32 v39, v39
	v_min_u32_e32 v41, 32, v39
	s_delay_alu instid0(VALU_DEP_1) | instskip(NEXT) | instid1(VALU_DEP_1)
	v_subrev_nc_u32_e32 v39, 28, v41
	v_lshlrev_b64_e32 v[39:40], v39, v[1:2]
	v_sub_nc_u32_e32 v40, 29, v41
	s_delay_alu instid0(VALU_DEP_2)
	v_and_b32_e32 v39, 7, v39
; %bb.392:                              ;   in Loop: Header=BB258_289 Depth=1
	s_wait_alu 0xfffe
	s_or_b32 exec_lo, exec_lo, s15
	v_lshlrev_b32_e32 v41, 8, v10
	v_lshl_add_u32 v40, v40, 10, 0x2000
	v_lshlrev_b32_e32 v39, 7, v39
	s_delay_alu instid0(VALU_DEP_3) | instskip(NEXT) | instid1(VALU_DEP_3)
	v_and_b32_e32 v41, 0x8000, v41
	v_and_b32_e32 v40, 0xfc00, v40
	s_delay_alu instid0(VALU_DEP_1)
	v_or3_b32 v39, v41, v40, v39
.LBB258_393:                            ;   in Loop: Header=BB258_289 Depth=1
	s_wait_alu 0xfffe
	s_or_b32 exec_lo, exec_lo, s14
.LBB258_394:                            ;   in Loop: Header=BB258_289 Depth=1
	s_wait_alu 0xfffe
	s_or_b32 exec_lo, exec_lo, s13
.LBB258_395:                            ;   in Loop: Header=BB258_289 Depth=1
	s_wait_alu 0xfffe
	s_or_b32 exec_lo, exec_lo, s12
	v_lshrrev_b16 v1, 8, v1
	v_mov_b32_e32 v40, 0
	s_mov_b32 s12, exec_lo
	s_delay_alu instid0(VALU_DEP_2)
	v_cmpx_ne_u16_e32 0, v1
	s_cbranch_execz .LBB258_403
; %bb.396:                              ;   in Loop: Header=BB258_289 Depth=1
	v_bfrev_b32_e32 v40, 1
	s_mov_b32 s13, exec_lo
	v_cmpx_ne_u16_e32 0x80, v1
	s_cbranch_execz .LBB258_402
; %bb.397:                              ;   in Loop: Header=BB258_289 Depth=1
	v_and_b32_e32 v41, 0xffff, v1
	v_mov_b32_e32 v40, 0x7c010000
	s_mov_b32 s14, exec_lo
	s_delay_alu instid0(VALU_DEP_2) | instskip(NEXT) | instid1(VALU_DEP_1)
	v_and_b32_e32 v43, 0x7f, v41
	v_cmpx_ne_u32_e32 0x7f, v43
	s_cbranch_execz .LBB258_401
; %bb.398:                              ;   in Loop: Header=BB258_289 Depth=1
	v_and_b32_e32 v40, 7, v41
	v_lshrrev_b32_e32 v42, 3, v43
	s_mov_b32 s15, exec_lo
	v_cmpx_gt_u32_e32 8, v43
; %bb.399:                              ;   in Loop: Header=BB258_289 Depth=1
	s_delay_alu instid0(VALU_DEP_3) | instskip(NEXT) | instid1(VALU_DEP_1)
	v_clz_i32_u32_e32 v40, v40
	v_min_u32_e32 v40, 32, v40
	s_delay_alu instid0(VALU_DEP_1) | instskip(NEXT) | instid1(VALU_DEP_1)
	v_subrev_nc_u32_e32 v42, 28, v40
	v_lshlrev_b64_e32 v[43:44], v42, v[1:2]
	v_sub_nc_u32_e32 v42, 29, v40
	s_delay_alu instid0(VALU_DEP_2)
	v_and_b32_e32 v40, 7, v43
; %bb.400:                              ;   in Loop: Header=BB258_289 Depth=1
	s_wait_alu 0xfffe
	s_or_b32 exec_lo, exec_lo, s15
	v_lshlrev_b32_e32 v1, 8, v41
	v_lshl_add_u32 v41, v42, 10, 0x2000
	v_lshlrev_b32_e32 v40, 23, v40
	s_delay_alu instid0(VALU_DEP_2) | instskip(NEXT) | instid1(VALU_DEP_1)
	v_and_or_b32 v1, 0x8000, v1, v41
	v_lshl_or_b32 v40, v1, 16, v40
.LBB258_401:                            ;   in Loop: Header=BB258_289 Depth=1
	s_wait_alu 0xfffe
	s_or_b32 exec_lo, exec_lo, s14
.LBB258_402:                            ;   in Loop: Header=BB258_289 Depth=1
	s_wait_alu 0xfffe
	s_or_b32 exec_lo, exec_lo, s13
.LBB258_403:                            ;   in Loop: Header=BB258_289 Depth=1
	s_wait_alu 0xfffe
	s_or_b32 exec_lo, exec_lo, s12
	v_lshrrev_b32_e32 v1, 16, v10
	s_mov_b32 s12, exec_lo
	s_delay_alu instid0(VALU_DEP_1) | instskip(NEXT) | instid1(VALU_DEP_1)
	v_and_b32_e32 v41, 0xff, v1
	v_cmpx_ne_u16_e32 0, v41
	s_cbranch_execz .LBB258_411
; %bb.404:                              ;   in Loop: Header=BB258_289 Depth=1
	v_mov_b32_e32 v38, 0x8000
	s_mov_b32 s13, exec_lo
	v_cmpx_ne_u16_e32 0x80, v41
	s_cbranch_execz .LBB258_410
; %bb.405:                              ;   in Loop: Header=BB258_289 Depth=1
	v_bfe_u32 v42, v10, 16, 7
	v_mov_b32_e32 v38, 0x7c01
	s_mov_b32 s14, exec_lo
	s_delay_alu instid0(VALU_DEP_2)
	v_cmpx_ne_u32_e32 0x7f, v42
	s_cbranch_execz .LBB258_409
; %bb.406:                              ;   in Loop: Header=BB258_289 Depth=1
	v_and_b32_e32 v38, 7, v1
	v_lshrrev_b32_e32 v41, 3, v42
	s_mov_b32 s15, exec_lo
	v_cmpx_gt_u32_e32 8, v42
; %bb.407:                              ;   in Loop: Header=BB258_289 Depth=1
	s_delay_alu instid0(VALU_DEP_3) | instskip(NEXT) | instid1(VALU_DEP_1)
	v_clz_i32_u32_e32 v38, v38
	v_min_u32_e32 v38, 32, v38
	s_delay_alu instid0(VALU_DEP_1) | instskip(NEXT) | instid1(VALU_DEP_1)
	v_subrev_nc_u32_e32 v41, 28, v38
	v_lshlrev_b64_e32 v[42:43], v41, v[1:2]
	v_sub_nc_u32_e32 v41, 29, v38
	s_delay_alu instid0(VALU_DEP_2)
	v_and_b32_e32 v38, 7, v42
; %bb.408:                              ;   in Loop: Header=BB258_289 Depth=1
	s_wait_alu 0xfffe
	s_or_b32 exec_lo, exec_lo, s15
	v_lshlrev_b32_e32 v1, 8, v1
	v_lshl_add_u32 v41, v41, 10, 0x2000
	v_lshlrev_b32_e32 v38, 7, v38
	s_delay_alu instid0(VALU_DEP_3) | instskip(NEXT) | instid1(VALU_DEP_3)
	v_and_b32_e32 v1, 0x8000, v1
	v_and_b32_e32 v41, 0xfc00, v41
	s_delay_alu instid0(VALU_DEP_1)
	v_or3_b32 v38, v1, v41, v38
.LBB258_409:                            ;   in Loop: Header=BB258_289 Depth=1
	s_wait_alu 0xfffe
	s_or_b32 exec_lo, exec_lo, s14
.LBB258_410:                            ;   in Loop: Header=BB258_289 Depth=1
	s_wait_alu 0xfffe
	s_or_b32 exec_lo, exec_lo, s13
.LBB258_411:                            ;   in Loop: Header=BB258_289 Depth=1
	s_wait_alu 0xfffe
	s_or_b32 exec_lo, exec_lo, s12
	v_cmp_lt_u64_e64 s0, s[8:9], v[9:10]
	v_mov_b32_e32 v9, 0
	s_and_saveexec_b32 s12, s0
	s_cbranch_execz .LBB258_419
; %bb.412:                              ;   in Loop: Header=BB258_289 Depth=1
	v_lshrrev_b32_e32 v1, 24, v10
	v_bfrev_b32_e32 v9, 1
	s_mov_b32 s13, exec_lo
	s_delay_alu instid0(VALU_DEP_2)
	v_cmpx_ne_u32_e32 0x80, v1
	s_cbranch_execz .LBB258_418
; %bb.413:                              ;   in Loop: Header=BB258_289 Depth=1
	v_and_b32_e32 v41, 0x7f, v1
	v_mov_b32_e32 v9, 0x7c010000
	s_mov_b32 s14, exec_lo
	s_delay_alu instid0(VALU_DEP_2)
	v_cmpx_ne_u32_e32 0x7f, v41
	s_cbranch_execz .LBB258_417
; %bb.414:                              ;   in Loop: Header=BB258_289 Depth=1
	v_and_b32_e32 v9, 7, v1
	v_lshrrev_b32_e32 v10, 3, v41
	s_mov_b32 s15, exec_lo
	v_cmpx_gt_u32_e32 8, v41
; %bb.415:                              ;   in Loop: Header=BB258_289 Depth=1
	s_delay_alu instid0(VALU_DEP_3) | instskip(NEXT) | instid1(VALU_DEP_1)
	v_clz_i32_u32_e32 v9, v9
	v_min_u32_e32 v41, 32, v9
	s_delay_alu instid0(VALU_DEP_1) | instskip(NEXT) | instid1(VALU_DEP_1)
	v_subrev_nc_u32_e32 v9, 28, v41
	v_lshlrev_b64_e32 v[9:10], v9, v[1:2]
	v_sub_nc_u32_e32 v10, 29, v41
	s_delay_alu instid0(VALU_DEP_2)
	v_and_b32_e32 v9, 7, v9
; %bb.416:                              ;   in Loop: Header=BB258_289 Depth=1
	s_wait_alu 0xfffe
	s_or_b32 exec_lo, exec_lo, s15
	v_lshlrev_b32_e32 v1, 8, v1
	v_lshl_add_u32 v10, v10, 10, 0x2000
	v_lshlrev_b32_e32 v9, 23, v9
	s_delay_alu instid0(VALU_DEP_2) | instskip(NEXT) | instid1(VALU_DEP_1)
	v_and_or_b32 v1, 0x8000, v1, v10
	v_lshl_or_b32 v9, v1, 16, v9
.LBB258_417:                            ;   in Loop: Header=BB258_289 Depth=1
	s_wait_alu 0xfffe
	s_or_b32 exec_lo, exec_lo, s14
.LBB258_418:                            ;   in Loop: Header=BB258_289 Depth=1
	s_wait_alu 0xfffe
	s_or_b32 exec_lo, exec_lo, s13
.LBB258_419:                            ;   in Loop: Header=BB258_289 Depth=1
	s_wait_alu 0xfffe
	s_or_b32 exec_lo, exec_lo, s12
	v_or_b32_e32 v1, v36, v37
	s_wait_loadcnt 0x0
	v_fma_mixlo_f16 v10, v33, v36, 0 op_sel:[0,1,0] op_sel_hi:[0,1,0]
	v_or_b32_e32 v36, v34, v35
	v_fma_mixlo_f16 v34, v33, v34, 0 op_sel:[0,1,0] op_sel_hi:[0,1,0]
	v_or_b32_e32 v37, v40, v39
	v_or_b32_e32 v38, v9, v38
	v_fma_mixlo_f16 v39, v33, v1, 0 op_sel_hi:[0,1,0]
	v_fma_mixlo_f16 v9, v33, v9, 0 op_sel:[0,1,0] op_sel_hi:[0,1,0]
	v_lshlrev_b32_e32 v35, 16, v34
	v_fma_mixlo_f16 v34, v33, v36, 0 op_sel_hi:[0,1,0]
	v_fma_mixlo_f16 v36, v33, v40, 0 op_sel:[0,1,0] op_sel_hi:[0,1,0]
	v_fma_mixlo_f16 v37, v33, v37, 0 op_sel_hi:[0,1,0]
	v_fma_mixlo_f16 v38, v33, v38, 0 op_sel_hi:[0,1,0]
	v_lshlrev_b32_e32 v1, 16, v10
	v_and_b32_e32 v10, 0xffff, v39
	v_and_b32_e32 v41, 0xffff, v34
	v_lshlrev_b32_e32 v33, 16, v36
	v_and_b32_e32 v37, 0xffff, v37
	v_lshlrev_b32_e32 v9, 16, v9
	v_and_b32_e32 v34, 0xffff, v38
	v_or_b32_e32 v36, v1, v10
	v_or_b32_e32 v40, v35, v41
	;; [unrolled: 1-line block ×3, first 2 shown]
	s_delay_alu instid0(VALU_DEP_4)
	v_or_b32_e32 v38, v9, v34
	s_and_saveexec_b32 s12, vcc_lo
	s_cbranch_execz .LBB258_421
; %bb.420:                              ;   in Loop: Header=BB258_289 Depth=1
	v_cmp_gt_i32_e64 s0, s27, v20
	s_wait_alu 0xf1ff
	s_delay_alu instid0(VALU_DEP_1) | instskip(SKIP_2) | instid1(VALU_DEP_1)
	v_cndmask_b32_e64 v36, 0, v41, s0
	v_cmp_gt_i32_e64 s0, s27, v26
	s_wait_alu 0xf1ff
	v_cndmask_b32_e64 v35, 0, v35, s0
	v_cmp_gt_i32_e64 s0, s27, v25
	s_delay_alu instid0(VALU_DEP_2) | instskip(SKIP_1) | instid1(VALU_DEP_2)
	v_or_b32_e32 v40, v35, v36
	s_wait_alu 0xf1ff
	v_cndmask_b32_e64 v10, 0, v10, s0
	v_cmp_gt_i32_e64 s0, s27, v24
	s_wait_alu 0xf1ff
	s_delay_alu instid0(VALU_DEP_1) | instskip(SKIP_1) | instid1(VALU_DEP_2)
	v_cndmask_b32_e64 v1, 0, v1, s0
	v_cmp_gt_i32_e64 s0, s27, v23
	v_or_b32_e32 v36, v1, v10
	s_wait_alu 0xf1ff
	s_delay_alu instid0(VALU_DEP_2) | instskip(SKIP_2) | instid1(VALU_DEP_1)
	v_cndmask_b32_e64 v37, 0, v37, s0
	v_cmp_gt_i32_e64 s0, s27, v22
	s_wait_alu 0xf1ff
	v_cndmask_b32_e64 v33, 0, v33, s0
	v_cmp_gt_i32_e64 s0, s27, v21
	s_delay_alu instid0(VALU_DEP_2) | instskip(SKIP_1) | instid1(VALU_DEP_2)
	v_or_b32_e32 v39, v33, v37
	s_wait_alu 0xf1ff
	v_cndmask_b32_e64 v34, 0, v34, s0
	v_cmp_gt_i32_e64 s0, s27, v18
	s_wait_alu 0xf1ff
	s_delay_alu instid0(VALU_DEP_1) | instskip(NEXT) | instid1(VALU_DEP_1)
	v_cndmask_b32_e64 v9, 0, v9, s0
	v_or_b32_e32 v38, v9, v34
.LBB258_421:                            ;   in Loop: Header=BB258_289 Depth=1
	s_wait_alu 0xfffe
	s_or_b32 exec_lo, exec_lo, s12
	;;#ASMSTART
	v_pk_mul_f16 v1, v31, v40;

	;;#ASMEND
	;;#ASMSTART
	v_pk_mul_f16 v9, v29, v36;

	;;#ASMEND
	;; [unrolled: 4-line block ×4, first 2 shown]
	;;#ASMSTART
	v_pk_add_f16 v1, v1, v9;

	;;#ASMEND
	;;#ASMSTART
	v_pk_add_f16 v1, v1, v10;

	;;#ASMEND
	;; [unrolled: 4-line block ×3, first 2 shown]
	v_dual_mov_b32 v36, 0 :: v_dual_and_b32 v9, 0xffff, v1
	v_lshrrev_b32_e32 v1, 16, v1
	;;#ASMSTART
	v_cvt_f32_f16 v33, v9;
	;;#ASMEND
	;;#ASMSTART
	v_cvt_f32_f16 v34, v1;
	;;#ASMEND
	global_load_b64 v[9:10], v[7:8], off offset:512
	global_load_b32 v35, v36, s[10:11]
	v_mov_b32_e32 v37, 0
	s_mov_b32 s12, exec_lo
	s_wait_loadcnt 0x1
	v_and_b32_e32 v1, 0xff, v9
	s_delay_alu instid0(VALU_DEP_1)
	v_cmpx_ne_u16_e32 0, v1
	s_cbranch_execz .LBB258_429
; %bb.422:                              ;   in Loop: Header=BB258_289 Depth=1
	v_mov_b32_e32 v37, 0x8000
	s_mov_b32 s13, exec_lo
	v_cmpx_ne_u16_e32 0x80, v1
	s_cbranch_execz .LBB258_428
; %bb.423:                              ;   in Loop: Header=BB258_289 Depth=1
	v_and_b32_e32 v38, 0x7f, v9
	v_mov_b32_e32 v37, 0x7c01
	s_mov_b32 s14, exec_lo
	s_delay_alu instid0(VALU_DEP_2)
	v_cmpx_ne_u32_e32 0x7f, v38
	s_cbranch_execz .LBB258_427
; %bb.424:                              ;   in Loop: Header=BB258_289 Depth=1
	v_and_b32_e32 v1, 7, v9
	v_lshrrev_b32_e32 v37, 3, v38
	s_mov_b32 s15, exec_lo
	v_cmpx_gt_u32_e32 8, v38
; %bb.425:                              ;   in Loop: Header=BB258_289 Depth=1
	s_delay_alu instid0(VALU_DEP_3) | instskip(NEXT) | instid1(VALU_DEP_1)
	v_clz_i32_u32_e32 v1, v1
	v_min_u32_e32 v1, 32, v1
	s_delay_alu instid0(VALU_DEP_1) | instskip(NEXT) | instid1(VALU_DEP_1)
	v_subrev_nc_u32_e32 v37, 28, v1
	v_lshlrev_b64_e32 v[38:39], v37, v[9:10]
	v_sub_nc_u32_e32 v37, 29, v1
	s_delay_alu instid0(VALU_DEP_2)
	v_and_b32_e32 v1, 7, v38
; %bb.426:                              ;   in Loop: Header=BB258_289 Depth=1
	s_wait_alu 0xfffe
	s_or_b32 exec_lo, exec_lo, s15
	v_lshlrev_b32_e32 v38, 8, v9
	v_lshl_add_u32 v37, v37, 10, 0x2000
	v_lshlrev_b32_e32 v1, 7, v1
	s_delay_alu instid0(VALU_DEP_3) | instskip(NEXT) | instid1(VALU_DEP_3)
	v_and_b32_e32 v38, 0x8000, v38
	v_and_b32_e32 v37, 0xfc00, v37
	s_delay_alu instid0(VALU_DEP_1)
	v_or3_b32 v37, v38, v37, v1
.LBB258_427:                            ;   in Loop: Header=BB258_289 Depth=1
	s_wait_alu 0xfffe
	s_or_b32 exec_lo, exec_lo, s14
.LBB258_428:                            ;   in Loop: Header=BB258_289 Depth=1
	s_wait_alu 0xfffe
	s_or_b32 exec_lo, exec_lo, s13
.LBB258_429:                            ;   in Loop: Header=BB258_289 Depth=1
	s_wait_alu 0xfffe
	s_or_b32 exec_lo, exec_lo, s12
	v_lshrrev_b16 v1, 8, v9
	s_mov_b32 s12, exec_lo
	s_delay_alu instid0(VALU_DEP_1)
	v_cmpx_ne_u16_e32 0, v1
	s_cbranch_execz .LBB258_437
; %bb.430:                              ;   in Loop: Header=BB258_289 Depth=1
	v_bfrev_b32_e32 v36, 1
	s_mov_b32 s13, exec_lo
	v_cmpx_ne_u16_e32 0x80, v1
	s_cbranch_execz .LBB258_436
; %bb.431:                              ;   in Loop: Header=BB258_289 Depth=1
	v_and_b32_e32 v38, 0xffff, v1
	v_mov_b32_e32 v36, 0x7c010000
	s_mov_b32 s14, exec_lo
	s_delay_alu instid0(VALU_DEP_2) | instskip(NEXT) | instid1(VALU_DEP_1)
	v_and_b32_e32 v40, 0x7f, v38
	v_cmpx_ne_u32_e32 0x7f, v40
	s_cbranch_execz .LBB258_435
; %bb.432:                              ;   in Loop: Header=BB258_289 Depth=1
	v_and_b32_e32 v36, 7, v38
	v_lshrrev_b32_e32 v39, 3, v40
	s_mov_b32 s15, exec_lo
	v_cmpx_gt_u32_e32 8, v40
; %bb.433:                              ;   in Loop: Header=BB258_289 Depth=1
	s_delay_alu instid0(VALU_DEP_3) | instskip(NEXT) | instid1(VALU_DEP_1)
	v_clz_i32_u32_e32 v36, v36
	v_min_u32_e32 v36, 32, v36
	s_delay_alu instid0(VALU_DEP_1) | instskip(NEXT) | instid1(VALU_DEP_1)
	v_subrev_nc_u32_e32 v39, 28, v36
	v_lshlrev_b64_e32 v[40:41], v39, v[1:2]
	v_sub_nc_u32_e32 v39, 29, v36
	s_delay_alu instid0(VALU_DEP_2)
	v_and_b32_e32 v36, 7, v40
; %bb.434:                              ;   in Loop: Header=BB258_289 Depth=1
	s_wait_alu 0xfffe
	s_or_b32 exec_lo, exec_lo, s15
	v_lshlrev_b32_e32 v1, 8, v38
	v_lshl_add_u32 v38, v39, 10, 0x2000
	v_lshlrev_b32_e32 v36, 23, v36
	s_delay_alu instid0(VALU_DEP_2) | instskip(NEXT) | instid1(VALU_DEP_1)
	v_and_or_b32 v1, 0x8000, v1, v38
	v_lshl_or_b32 v36, v1, 16, v36
.LBB258_435:                            ;   in Loop: Header=BB258_289 Depth=1
	s_wait_alu 0xfffe
	s_or_b32 exec_lo, exec_lo, s14
.LBB258_436:                            ;   in Loop: Header=BB258_289 Depth=1
	s_wait_alu 0xfffe
	s_or_b32 exec_lo, exec_lo, s13
.LBB258_437:                            ;   in Loop: Header=BB258_289 Depth=1
	s_wait_alu 0xfffe
	s_or_b32 exec_lo, exec_lo, s12
	v_lshrrev_b32_e32 v1, 16, v9
	v_mov_b32_e32 v38, 0
	s_mov_b32 s12, exec_lo
	s_delay_alu instid0(VALU_DEP_2) | instskip(NEXT) | instid1(VALU_DEP_1)
	v_dual_mov_b32 v39, 0 :: v_dual_and_b32 v40, 0xff, v1
	v_cmpx_ne_u16_e32 0, v40
	s_cbranch_execz .LBB258_445
; %bb.438:                              ;   in Loop: Header=BB258_289 Depth=1
	v_mov_b32_e32 v39, 0x8000
	s_mov_b32 s13, exec_lo
	v_cmpx_ne_u16_e32 0x80, v40
	s_cbranch_execz .LBB258_444
; %bb.439:                              ;   in Loop: Header=BB258_289 Depth=1
	v_bfe_u32 v41, v9, 16, 7
	v_mov_b32_e32 v39, 0x7c01
	s_mov_b32 s14, exec_lo
	s_delay_alu instid0(VALU_DEP_2)
	v_cmpx_ne_u32_e32 0x7f, v41
	s_cbranch_execz .LBB258_443
; %bb.440:                              ;   in Loop: Header=BB258_289 Depth=1
	v_and_b32_e32 v39, 7, v1
	v_lshrrev_b32_e32 v40, 3, v41
	s_mov_b32 s15, exec_lo
	v_cmpx_gt_u32_e32 8, v41
; %bb.441:                              ;   in Loop: Header=BB258_289 Depth=1
	s_delay_alu instid0(VALU_DEP_3) | instskip(NEXT) | instid1(VALU_DEP_1)
	v_clz_i32_u32_e32 v39, v39
	v_min_u32_e32 v41, 32, v39
	s_delay_alu instid0(VALU_DEP_1) | instskip(NEXT) | instid1(VALU_DEP_1)
	v_subrev_nc_u32_e32 v39, 28, v41
	v_lshlrev_b64_e32 v[39:40], v39, v[1:2]
	v_sub_nc_u32_e32 v40, 29, v41
	s_delay_alu instid0(VALU_DEP_2)
	v_and_b32_e32 v39, 7, v39
; %bb.442:                              ;   in Loop: Header=BB258_289 Depth=1
	s_wait_alu 0xfffe
	s_or_b32 exec_lo, exec_lo, s15
	v_lshlrev_b32_e32 v1, 8, v1
	v_lshl_add_u32 v40, v40, 10, 0x2000
	v_lshlrev_b32_e32 v39, 7, v39
	s_delay_alu instid0(VALU_DEP_3) | instskip(NEXT) | instid1(VALU_DEP_3)
	v_and_b32_e32 v1, 0x8000, v1
	v_and_b32_e32 v40, 0xfc00, v40
	s_delay_alu instid0(VALU_DEP_1)
	v_or3_b32 v39, v1, v40, v39
.LBB258_443:                            ;   in Loop: Header=BB258_289 Depth=1
	s_wait_alu 0xfffe
	s_or_b32 exec_lo, exec_lo, s14
.LBB258_444:                            ;   in Loop: Header=BB258_289 Depth=1
	s_wait_alu 0xfffe
	s_or_b32 exec_lo, exec_lo, s13
.LBB258_445:                            ;   in Loop: Header=BB258_289 Depth=1
	s_wait_alu 0xfffe
	s_or_b32 exec_lo, exec_lo, s12
	s_delay_alu instid0(SALU_CYCLE_1)
	s_mov_b32 s12, exec_lo
	v_cmpx_lt_u32_e32 0xffffff, v9
	s_cbranch_execz .LBB258_453
; %bb.446:                              ;   in Loop: Header=BB258_289 Depth=1
	v_lshrrev_b32_e32 v1, 24, v9
	v_bfrev_b32_e32 v38, 1
	s_mov_b32 s13, exec_lo
	s_delay_alu instid0(VALU_DEP_2)
	v_cmpx_ne_u32_e32 0x80, v1
	s_cbranch_execz .LBB258_452
; %bb.447:                              ;   in Loop: Header=BB258_289 Depth=1
	v_and_b32_e32 v41, 0x7f, v1
	v_mov_b32_e32 v38, 0x7c010000
	s_mov_b32 s14, exec_lo
	s_delay_alu instid0(VALU_DEP_2)
	v_cmpx_ne_u32_e32 0x7f, v41
	s_cbranch_execz .LBB258_451
; %bb.448:                              ;   in Loop: Header=BB258_289 Depth=1
	v_and_b32_e32 v38, 7, v1
	v_lshrrev_b32_e32 v40, 3, v41
	s_mov_b32 s15, exec_lo
	v_cmpx_gt_u32_e32 8, v41
; %bb.449:                              ;   in Loop: Header=BB258_289 Depth=1
	s_delay_alu instid0(VALU_DEP_3) | instskip(NEXT) | instid1(VALU_DEP_1)
	v_clz_i32_u32_e32 v38, v38
	v_min_u32_e32 v38, 32, v38
	s_delay_alu instid0(VALU_DEP_1) | instskip(NEXT) | instid1(VALU_DEP_1)
	v_subrev_nc_u32_e32 v40, 28, v38
	v_lshlrev_b64_e32 v[41:42], v40, v[1:2]
	v_sub_nc_u32_e32 v40, 29, v38
	s_delay_alu instid0(VALU_DEP_2)
	v_and_b32_e32 v38, 7, v41
; %bb.450:                              ;   in Loop: Header=BB258_289 Depth=1
	s_wait_alu 0xfffe
	s_or_b32 exec_lo, exec_lo, s15
	v_lshlrev_b32_e32 v1, 8, v1
	v_lshl_add_u32 v40, v40, 10, 0x2000
	v_lshlrev_b32_e32 v38, 23, v38
	s_delay_alu instid0(VALU_DEP_2) | instskip(NEXT) | instid1(VALU_DEP_1)
	v_and_or_b32 v1, 0x8000, v1, v40
	v_lshl_or_b32 v38, v1, 16, v38
.LBB258_451:                            ;   in Loop: Header=BB258_289 Depth=1
	s_wait_alu 0xfffe
	s_or_b32 exec_lo, exec_lo, s14
.LBB258_452:                            ;   in Loop: Header=BB258_289 Depth=1
	s_wait_alu 0xfffe
	s_or_b32 exec_lo, exec_lo, s13
.LBB258_453:                            ;   in Loop: Header=BB258_289 Depth=1
	s_wait_alu 0xfffe
	s_or_b32 exec_lo, exec_lo, s12
	v_dual_mov_b32 v1, v10 :: v_dual_and_b32 v42, 0xff, v10
	v_dual_mov_b32 v40, 0 :: v_dual_mov_b32 v41, 0
	s_mov_b32 s12, exec_lo
	s_delay_alu instid0(VALU_DEP_2)
	v_cmpx_ne_u16_e32 0, v42
	s_cbranch_execz .LBB258_461
; %bb.454:                              ;   in Loop: Header=BB258_289 Depth=1
	v_mov_b32_e32 v41, 0x8000
	s_mov_b32 s13, exec_lo
	v_cmpx_ne_u16_e32 0x80, v42
	s_cbranch_execz .LBB258_460
; %bb.455:                              ;   in Loop: Header=BB258_289 Depth=1
	v_and_b32_e32 v43, 0x7f, v10
	v_mov_b32_e32 v41, 0x7c01
	s_mov_b32 s14, exec_lo
	s_delay_alu instid0(VALU_DEP_2)
	v_cmpx_ne_u32_e32 0x7f, v43
	s_cbranch_execz .LBB258_459
; %bb.456:                              ;   in Loop: Header=BB258_289 Depth=1
	v_and_b32_e32 v41, 7, v10
	v_lshrrev_b32_e32 v42, 3, v43
	s_mov_b32 s15, exec_lo
	v_cmpx_gt_u32_e32 8, v43
; %bb.457:                              ;   in Loop: Header=BB258_289 Depth=1
	s_delay_alu instid0(VALU_DEP_3) | instskip(NEXT) | instid1(VALU_DEP_1)
	v_clz_i32_u32_e32 v41, v41
	v_min_u32_e32 v43, 32, v41
	s_delay_alu instid0(VALU_DEP_1) | instskip(NEXT) | instid1(VALU_DEP_1)
	v_subrev_nc_u32_e32 v41, 28, v43
	v_lshlrev_b64_e32 v[41:42], v41, v[1:2]
	v_sub_nc_u32_e32 v42, 29, v43
	s_delay_alu instid0(VALU_DEP_2)
	v_and_b32_e32 v41, 7, v41
; %bb.458:                              ;   in Loop: Header=BB258_289 Depth=1
	s_wait_alu 0xfffe
	s_or_b32 exec_lo, exec_lo, s15
	v_lshlrev_b32_e32 v43, 8, v10
	v_lshl_add_u32 v42, v42, 10, 0x2000
	v_lshlrev_b32_e32 v41, 7, v41
	s_delay_alu instid0(VALU_DEP_3) | instskip(NEXT) | instid1(VALU_DEP_3)
	v_and_b32_e32 v43, 0x8000, v43
	v_and_b32_e32 v42, 0xfc00, v42
	s_delay_alu instid0(VALU_DEP_1)
	v_or3_b32 v41, v43, v42, v41
.LBB258_459:                            ;   in Loop: Header=BB258_289 Depth=1
	s_wait_alu 0xfffe
	s_or_b32 exec_lo, exec_lo, s14
.LBB258_460:                            ;   in Loop: Header=BB258_289 Depth=1
	s_wait_alu 0xfffe
	s_or_b32 exec_lo, exec_lo, s13
.LBB258_461:                            ;   in Loop: Header=BB258_289 Depth=1
	s_wait_alu 0xfffe
	s_or_b32 exec_lo, exec_lo, s12
	v_lshrrev_b16 v1, 8, v1
	v_mov_b32_e32 v42, 0
	s_mov_b32 s12, exec_lo
	s_delay_alu instid0(VALU_DEP_2)
	v_cmpx_ne_u16_e32 0, v1
	s_cbranch_execz .LBB258_469
; %bb.462:                              ;   in Loop: Header=BB258_289 Depth=1
	v_bfrev_b32_e32 v42, 1
	s_mov_b32 s13, exec_lo
	v_cmpx_ne_u16_e32 0x80, v1
	s_cbranch_execz .LBB258_468
; %bb.463:                              ;   in Loop: Header=BB258_289 Depth=1
	v_and_b32_e32 v43, 0xffff, v1
	v_mov_b32_e32 v42, 0x7c010000
	s_mov_b32 s14, exec_lo
	s_delay_alu instid0(VALU_DEP_2) | instskip(NEXT) | instid1(VALU_DEP_1)
	v_and_b32_e32 v45, 0x7f, v43
	v_cmpx_ne_u32_e32 0x7f, v45
	s_cbranch_execz .LBB258_467
; %bb.464:                              ;   in Loop: Header=BB258_289 Depth=1
	v_and_b32_e32 v42, 7, v43
	v_lshrrev_b32_e32 v44, 3, v45
	s_mov_b32 s15, exec_lo
	v_cmpx_gt_u32_e32 8, v45
; %bb.465:                              ;   in Loop: Header=BB258_289 Depth=1
	s_delay_alu instid0(VALU_DEP_3) | instskip(NEXT) | instid1(VALU_DEP_1)
	v_clz_i32_u32_e32 v42, v42
	v_min_u32_e32 v42, 32, v42
	s_delay_alu instid0(VALU_DEP_1) | instskip(NEXT) | instid1(VALU_DEP_1)
	v_subrev_nc_u32_e32 v44, 28, v42
	v_lshlrev_b64_e32 v[45:46], v44, v[1:2]
	v_sub_nc_u32_e32 v44, 29, v42
	s_delay_alu instid0(VALU_DEP_2)
	v_and_b32_e32 v42, 7, v45
; %bb.466:                              ;   in Loop: Header=BB258_289 Depth=1
	s_wait_alu 0xfffe
	s_or_b32 exec_lo, exec_lo, s15
	v_lshlrev_b32_e32 v1, 8, v43
	v_lshl_add_u32 v43, v44, 10, 0x2000
	v_lshlrev_b32_e32 v42, 23, v42
	s_delay_alu instid0(VALU_DEP_2) | instskip(NEXT) | instid1(VALU_DEP_1)
	v_and_or_b32 v1, 0x8000, v1, v43
	v_lshl_or_b32 v42, v1, 16, v42
.LBB258_467:                            ;   in Loop: Header=BB258_289 Depth=1
	s_wait_alu 0xfffe
	s_or_b32 exec_lo, exec_lo, s14
.LBB258_468:                            ;   in Loop: Header=BB258_289 Depth=1
	s_wait_alu 0xfffe
	s_or_b32 exec_lo, exec_lo, s13
.LBB258_469:                            ;   in Loop: Header=BB258_289 Depth=1
	s_wait_alu 0xfffe
	s_or_b32 exec_lo, exec_lo, s12
	v_lshrrev_b32_e32 v1, 16, v10
	s_mov_b32 s12, exec_lo
	s_delay_alu instid0(VALU_DEP_1) | instskip(NEXT) | instid1(VALU_DEP_1)
	v_and_b32_e32 v43, 0xff, v1
	v_cmpx_ne_u16_e32 0, v43
	s_cbranch_execz .LBB258_477
; %bb.470:                              ;   in Loop: Header=BB258_289 Depth=1
	v_mov_b32_e32 v40, 0x8000
	s_mov_b32 s13, exec_lo
	v_cmpx_ne_u16_e32 0x80, v43
	s_cbranch_execz .LBB258_476
; %bb.471:                              ;   in Loop: Header=BB258_289 Depth=1
	v_bfe_u32 v44, v10, 16, 7
	v_mov_b32_e32 v40, 0x7c01
	s_mov_b32 s14, exec_lo
	s_delay_alu instid0(VALU_DEP_2)
	v_cmpx_ne_u32_e32 0x7f, v44
	s_cbranch_execz .LBB258_475
; %bb.472:                              ;   in Loop: Header=BB258_289 Depth=1
	v_and_b32_e32 v40, 7, v1
	v_lshrrev_b32_e32 v43, 3, v44
	s_mov_b32 s15, exec_lo
	v_cmpx_gt_u32_e32 8, v44
; %bb.473:                              ;   in Loop: Header=BB258_289 Depth=1
	s_delay_alu instid0(VALU_DEP_3) | instskip(NEXT) | instid1(VALU_DEP_1)
	v_clz_i32_u32_e32 v40, v40
	v_min_u32_e32 v40, 32, v40
	s_delay_alu instid0(VALU_DEP_1) | instskip(NEXT) | instid1(VALU_DEP_1)
	v_subrev_nc_u32_e32 v43, 28, v40
	v_lshlrev_b64_e32 v[44:45], v43, v[1:2]
	v_sub_nc_u32_e32 v43, 29, v40
	s_delay_alu instid0(VALU_DEP_2)
	v_and_b32_e32 v40, 7, v44
; %bb.474:                              ;   in Loop: Header=BB258_289 Depth=1
	s_wait_alu 0xfffe
	s_or_b32 exec_lo, exec_lo, s15
	v_lshlrev_b32_e32 v1, 8, v1
	v_lshl_add_u32 v43, v43, 10, 0x2000
	v_lshlrev_b32_e32 v40, 7, v40
	s_delay_alu instid0(VALU_DEP_3) | instskip(NEXT) | instid1(VALU_DEP_3)
	v_and_b32_e32 v1, 0x8000, v1
	v_and_b32_e32 v43, 0xfc00, v43
	s_delay_alu instid0(VALU_DEP_1)
	v_or3_b32 v40, v1, v43, v40
.LBB258_475:                            ;   in Loop: Header=BB258_289 Depth=1
	s_wait_alu 0xfffe
	s_or_b32 exec_lo, exec_lo, s14
.LBB258_476:                            ;   in Loop: Header=BB258_289 Depth=1
	s_wait_alu 0xfffe
	s_or_b32 exec_lo, exec_lo, s13
.LBB258_477:                            ;   in Loop: Header=BB258_289 Depth=1
	s_wait_alu 0xfffe
	s_or_b32 exec_lo, exec_lo, s12
	v_cmp_lt_u64_e64 s0, s[8:9], v[9:10]
	v_mov_b32_e32 v9, 0
	s_and_saveexec_b32 s12, s0
	s_cbranch_execz .LBB258_485
; %bb.478:                              ;   in Loop: Header=BB258_289 Depth=1
	v_lshrrev_b32_e32 v1, 24, v10
	v_bfrev_b32_e32 v9, 1
	s_mov_b32 s13, exec_lo
	s_delay_alu instid0(VALU_DEP_2)
	v_cmpx_ne_u32_e32 0x80, v1
	s_cbranch_execz .LBB258_484
; %bb.479:                              ;   in Loop: Header=BB258_289 Depth=1
	v_and_b32_e32 v43, 0x7f, v1
	v_mov_b32_e32 v9, 0x7c010000
	s_mov_b32 s14, exec_lo
	s_delay_alu instid0(VALU_DEP_2)
	v_cmpx_ne_u32_e32 0x7f, v43
	s_cbranch_execz .LBB258_483
; %bb.480:                              ;   in Loop: Header=BB258_289 Depth=1
	v_and_b32_e32 v9, 7, v1
	v_lshrrev_b32_e32 v10, 3, v43
	s_mov_b32 s15, exec_lo
	v_cmpx_gt_u32_e32 8, v43
; %bb.481:                              ;   in Loop: Header=BB258_289 Depth=1
	s_delay_alu instid0(VALU_DEP_3) | instskip(NEXT) | instid1(VALU_DEP_1)
	v_clz_i32_u32_e32 v9, v9
	v_min_u32_e32 v43, 32, v9
	s_delay_alu instid0(VALU_DEP_1) | instskip(NEXT) | instid1(VALU_DEP_1)
	v_subrev_nc_u32_e32 v9, 28, v43
	v_lshlrev_b64_e32 v[9:10], v9, v[1:2]
	v_sub_nc_u32_e32 v10, 29, v43
	s_delay_alu instid0(VALU_DEP_2)
	v_and_b32_e32 v9, 7, v9
; %bb.482:                              ;   in Loop: Header=BB258_289 Depth=1
	s_wait_alu 0xfffe
	s_or_b32 exec_lo, exec_lo, s15
	v_lshlrev_b32_e32 v1, 8, v1
	v_lshl_add_u32 v10, v10, 10, 0x2000
	v_lshlrev_b32_e32 v9, 23, v9
	s_delay_alu instid0(VALU_DEP_2) | instskip(NEXT) | instid1(VALU_DEP_1)
	v_and_or_b32 v1, 0x8000, v1, v10
	v_lshl_or_b32 v9, v1, 16, v9
.LBB258_483:                            ;   in Loop: Header=BB258_289 Depth=1
	s_wait_alu 0xfffe
	s_or_b32 exec_lo, exec_lo, s14
.LBB258_484:                            ;   in Loop: Header=BB258_289 Depth=1
	s_wait_alu 0xfffe
	s_or_b32 exec_lo, exec_lo, s13
.LBB258_485:                            ;   in Loop: Header=BB258_289 Depth=1
	s_wait_alu 0xfffe
	s_or_b32 exec_lo, exec_lo, s12
	v_or_b32_e32 v1, v38, v39
	s_wait_loadcnt 0x0
	v_fma_mixlo_f16 v10, v35, v38, 0 op_sel:[0,1,0] op_sel_hi:[0,1,0]
	v_or_b32_e32 v38, v36, v37
	v_fma_mixlo_f16 v36, v35, v36, 0 op_sel:[0,1,0] op_sel_hi:[0,1,0]
	v_or_b32_e32 v39, v42, v41
	v_or_b32_e32 v40, v9, v40
	v_fma_mixlo_f16 v41, v35, v1, 0 op_sel_hi:[0,1,0]
	v_fma_mixlo_f16 v9, v35, v9, 0 op_sel:[0,1,0] op_sel_hi:[0,1,0]
	v_lshlrev_b32_e32 v37, 16, v36
	v_fma_mixlo_f16 v36, v35, v38, 0 op_sel_hi:[0,1,0]
	v_fma_mixlo_f16 v38, v35, v42, 0 op_sel:[0,1,0] op_sel_hi:[0,1,0]
	v_fma_mixlo_f16 v39, v35, v39, 0 op_sel_hi:[0,1,0]
	v_fma_mixlo_f16 v40, v35, v40, 0 op_sel_hi:[0,1,0]
	v_lshlrev_b32_e32 v1, 16, v10
	v_and_b32_e32 v10, 0xffff, v41
	v_and_b32_e32 v43, 0xffff, v36
	v_lshlrev_b32_e32 v35, 16, v38
	v_and_b32_e32 v39, 0xffff, v39
	v_lshlrev_b32_e32 v9, 16, v9
	v_and_b32_e32 v36, 0xffff, v40
	v_or_b32_e32 v38, v1, v10
	v_or_b32_e32 v42, v37, v43
	;; [unrolled: 1-line block ×3, first 2 shown]
	s_delay_alu instid0(VALU_DEP_4)
	v_or_b32_e32 v40, v9, v36
	s_and_saveexec_b32 s12, vcc_lo
	s_cbranch_execz .LBB258_487
; %bb.486:                              ;   in Loop: Header=BB258_289 Depth=1
	v_cmp_gt_i32_e64 s0, s27, v20
	s_wait_alu 0xf1ff
	s_delay_alu instid0(VALU_DEP_1) | instskip(SKIP_2) | instid1(VALU_DEP_1)
	v_cndmask_b32_e64 v38, 0, v43, s0
	v_cmp_gt_i32_e64 s0, s27, v26
	s_wait_alu 0xf1ff
	v_cndmask_b32_e64 v37, 0, v37, s0
	v_cmp_gt_i32_e64 s0, s27, v25
	s_delay_alu instid0(VALU_DEP_2) | instskip(SKIP_1) | instid1(VALU_DEP_2)
	v_or_b32_e32 v42, v37, v38
	s_wait_alu 0xf1ff
	v_cndmask_b32_e64 v10, 0, v10, s0
	v_cmp_gt_i32_e64 s0, s27, v24
	s_wait_alu 0xf1ff
	s_delay_alu instid0(VALU_DEP_1) | instskip(SKIP_1) | instid1(VALU_DEP_2)
	v_cndmask_b32_e64 v1, 0, v1, s0
	v_cmp_gt_i32_e64 s0, s27, v23
	v_or_b32_e32 v38, v1, v10
	s_wait_alu 0xf1ff
	s_delay_alu instid0(VALU_DEP_2) | instskip(SKIP_2) | instid1(VALU_DEP_1)
	v_cndmask_b32_e64 v39, 0, v39, s0
	v_cmp_gt_i32_e64 s0, s27, v22
	s_wait_alu 0xf1ff
	v_cndmask_b32_e64 v35, 0, v35, s0
	v_cmp_gt_i32_e64 s0, s27, v21
	s_delay_alu instid0(VALU_DEP_2) | instskip(SKIP_1) | instid1(VALU_DEP_2)
	v_or_b32_e32 v41, v35, v39
	s_wait_alu 0xf1ff
	v_cndmask_b32_e64 v36, 0, v36, s0
	v_cmp_gt_i32_e64 s0, s27, v18
	s_wait_alu 0xf1ff
	s_delay_alu instid0(VALU_DEP_1) | instskip(NEXT) | instid1(VALU_DEP_1)
	v_cndmask_b32_e64 v9, 0, v9, s0
	v_or_b32_e32 v40, v9, v36
.LBB258_487:                            ;   in Loop: Header=BB258_289 Depth=1
	s_wait_alu 0xfffe
	s_or_b32 exec_lo, exec_lo, s12
	;;#ASMSTART
	v_pk_mul_f16 v1, v31, v42;

	;;#ASMEND
	;;#ASMSTART
	v_pk_mul_f16 v9, v29, v38;

	;;#ASMEND
	;; [unrolled: 4-line block ×4, first 2 shown]
	;;#ASMSTART
	v_pk_add_f16 v1, v1, v9;

	;;#ASMEND
	;;#ASMSTART
	v_pk_add_f16 v1, v1, v10;

	;;#ASMEND
	;; [unrolled: 4-line block ×3, first 2 shown]
	v_dual_mov_b32 v36, 0 :: v_dual_and_b32 v9, 0xffff, v1
	v_lshrrev_b32_e32 v1, 16, v1
	;;#ASMSTART
	v_cvt_f32_f16 v9, v9;
	;;#ASMEND
	;;#ASMSTART
	v_cvt_f32_f16 v10, v1;
	;;#ASMEND
	global_load_b64 v[7:8], v[7:8], off offset:768
	global_load_b32 v35, v36, s[10:11]
	v_mov_b32_e32 v37, 0
	s_mov_b32 s12, exec_lo
	s_wait_loadcnt 0x1
	v_and_b32_e32 v1, 0xff, v7
	s_delay_alu instid0(VALU_DEP_1)
	v_cmpx_ne_u16_e32 0, v1
	s_cbranch_execz .LBB258_495
; %bb.488:                              ;   in Loop: Header=BB258_289 Depth=1
	v_mov_b32_e32 v37, 0x8000
	s_mov_b32 s13, exec_lo
	v_cmpx_ne_u16_e32 0x80, v1
	s_cbranch_execz .LBB258_494
; %bb.489:                              ;   in Loop: Header=BB258_289 Depth=1
	v_and_b32_e32 v38, 0x7f, v7
	v_mov_b32_e32 v37, 0x7c01
	s_mov_b32 s14, exec_lo
	s_delay_alu instid0(VALU_DEP_2)
	v_cmpx_ne_u32_e32 0x7f, v38
	s_cbranch_execz .LBB258_493
; %bb.490:                              ;   in Loop: Header=BB258_289 Depth=1
	v_and_b32_e32 v1, 7, v7
	v_lshrrev_b32_e32 v37, 3, v38
	s_mov_b32 s15, exec_lo
	v_cmpx_gt_u32_e32 8, v38
; %bb.491:                              ;   in Loop: Header=BB258_289 Depth=1
	s_delay_alu instid0(VALU_DEP_3) | instskip(NEXT) | instid1(VALU_DEP_1)
	v_clz_i32_u32_e32 v1, v1
	v_min_u32_e32 v1, 32, v1
	s_delay_alu instid0(VALU_DEP_1) | instskip(NEXT) | instid1(VALU_DEP_1)
	v_subrev_nc_u32_e32 v37, 28, v1
	v_lshlrev_b64_e32 v[38:39], v37, v[7:8]
	v_sub_nc_u32_e32 v37, 29, v1
	s_delay_alu instid0(VALU_DEP_2)
	v_and_b32_e32 v1, 7, v38
; %bb.492:                              ;   in Loop: Header=BB258_289 Depth=1
	s_wait_alu 0xfffe
	s_or_b32 exec_lo, exec_lo, s15
	v_lshlrev_b32_e32 v38, 8, v7
	v_lshl_add_u32 v37, v37, 10, 0x2000
	v_lshlrev_b32_e32 v1, 7, v1
	s_delay_alu instid0(VALU_DEP_3) | instskip(NEXT) | instid1(VALU_DEP_3)
	v_and_b32_e32 v38, 0x8000, v38
	v_and_b32_e32 v37, 0xfc00, v37
	s_delay_alu instid0(VALU_DEP_1)
	v_or3_b32 v37, v38, v37, v1
.LBB258_493:                            ;   in Loop: Header=BB258_289 Depth=1
	s_wait_alu 0xfffe
	s_or_b32 exec_lo, exec_lo, s14
.LBB258_494:                            ;   in Loop: Header=BB258_289 Depth=1
	s_wait_alu 0xfffe
	s_or_b32 exec_lo, exec_lo, s13
.LBB258_495:                            ;   in Loop: Header=BB258_289 Depth=1
	s_wait_alu 0xfffe
	s_or_b32 exec_lo, exec_lo, s12
	v_lshrrev_b16 v1, 8, v7
	s_mov_b32 s12, exec_lo
	s_delay_alu instid0(VALU_DEP_1)
	v_cmpx_ne_u16_e32 0, v1
	s_cbranch_execz .LBB258_503
; %bb.496:                              ;   in Loop: Header=BB258_289 Depth=1
	v_bfrev_b32_e32 v36, 1
	s_mov_b32 s13, exec_lo
	v_cmpx_ne_u16_e32 0x80, v1
	s_cbranch_execz .LBB258_502
; %bb.497:                              ;   in Loop: Header=BB258_289 Depth=1
	v_and_b32_e32 v38, 0xffff, v1
	v_mov_b32_e32 v36, 0x7c010000
	s_mov_b32 s14, exec_lo
	s_delay_alu instid0(VALU_DEP_2) | instskip(NEXT) | instid1(VALU_DEP_1)
	v_and_b32_e32 v40, 0x7f, v38
	v_cmpx_ne_u32_e32 0x7f, v40
	s_cbranch_execz .LBB258_501
; %bb.498:                              ;   in Loop: Header=BB258_289 Depth=1
	v_and_b32_e32 v36, 7, v38
	v_lshrrev_b32_e32 v39, 3, v40
	s_mov_b32 s15, exec_lo
	v_cmpx_gt_u32_e32 8, v40
; %bb.499:                              ;   in Loop: Header=BB258_289 Depth=1
	s_delay_alu instid0(VALU_DEP_3) | instskip(NEXT) | instid1(VALU_DEP_1)
	v_clz_i32_u32_e32 v36, v36
	v_min_u32_e32 v36, 32, v36
	s_delay_alu instid0(VALU_DEP_1) | instskip(NEXT) | instid1(VALU_DEP_1)
	v_subrev_nc_u32_e32 v39, 28, v36
	v_lshlrev_b64_e32 v[40:41], v39, v[1:2]
	v_sub_nc_u32_e32 v39, 29, v36
	s_delay_alu instid0(VALU_DEP_2)
	v_and_b32_e32 v36, 7, v40
; %bb.500:                              ;   in Loop: Header=BB258_289 Depth=1
	s_wait_alu 0xfffe
	s_or_b32 exec_lo, exec_lo, s15
	v_lshlrev_b32_e32 v1, 8, v38
	v_lshl_add_u32 v38, v39, 10, 0x2000
	v_lshlrev_b32_e32 v36, 23, v36
	s_delay_alu instid0(VALU_DEP_2) | instskip(NEXT) | instid1(VALU_DEP_1)
	v_and_or_b32 v1, 0x8000, v1, v38
	v_lshl_or_b32 v36, v1, 16, v36
.LBB258_501:                            ;   in Loop: Header=BB258_289 Depth=1
	s_wait_alu 0xfffe
	s_or_b32 exec_lo, exec_lo, s14
.LBB258_502:                            ;   in Loop: Header=BB258_289 Depth=1
	s_wait_alu 0xfffe
	s_or_b32 exec_lo, exec_lo, s13
.LBB258_503:                            ;   in Loop: Header=BB258_289 Depth=1
	s_wait_alu 0xfffe
	s_or_b32 exec_lo, exec_lo, s12
	v_lshrrev_b32_e32 v1, 16, v7
	v_mov_b32_e32 v38, 0
	s_mov_b32 s12, exec_lo
	s_delay_alu instid0(VALU_DEP_2) | instskip(NEXT) | instid1(VALU_DEP_1)
	v_dual_mov_b32 v39, 0 :: v_dual_and_b32 v40, 0xff, v1
	v_cmpx_ne_u16_e32 0, v40
	s_cbranch_execz .LBB258_511
; %bb.504:                              ;   in Loop: Header=BB258_289 Depth=1
	v_mov_b32_e32 v39, 0x8000
	s_mov_b32 s13, exec_lo
	v_cmpx_ne_u16_e32 0x80, v40
	s_cbranch_execz .LBB258_510
; %bb.505:                              ;   in Loop: Header=BB258_289 Depth=1
	v_bfe_u32 v41, v7, 16, 7
	v_mov_b32_e32 v39, 0x7c01
	s_mov_b32 s14, exec_lo
	s_delay_alu instid0(VALU_DEP_2)
	v_cmpx_ne_u32_e32 0x7f, v41
	s_cbranch_execz .LBB258_509
; %bb.506:                              ;   in Loop: Header=BB258_289 Depth=1
	v_and_b32_e32 v39, 7, v1
	v_lshrrev_b32_e32 v40, 3, v41
	s_mov_b32 s15, exec_lo
	v_cmpx_gt_u32_e32 8, v41
; %bb.507:                              ;   in Loop: Header=BB258_289 Depth=1
	s_delay_alu instid0(VALU_DEP_3) | instskip(NEXT) | instid1(VALU_DEP_1)
	v_clz_i32_u32_e32 v39, v39
	v_min_u32_e32 v41, 32, v39
	s_delay_alu instid0(VALU_DEP_1) | instskip(NEXT) | instid1(VALU_DEP_1)
	v_subrev_nc_u32_e32 v39, 28, v41
	v_lshlrev_b64_e32 v[39:40], v39, v[1:2]
	v_sub_nc_u32_e32 v40, 29, v41
	s_delay_alu instid0(VALU_DEP_2)
	v_and_b32_e32 v39, 7, v39
; %bb.508:                              ;   in Loop: Header=BB258_289 Depth=1
	s_wait_alu 0xfffe
	s_or_b32 exec_lo, exec_lo, s15
	v_lshlrev_b32_e32 v1, 8, v1
	v_lshl_add_u32 v40, v40, 10, 0x2000
	v_lshlrev_b32_e32 v39, 7, v39
	s_delay_alu instid0(VALU_DEP_3) | instskip(NEXT) | instid1(VALU_DEP_3)
	v_and_b32_e32 v1, 0x8000, v1
	v_and_b32_e32 v40, 0xfc00, v40
	s_delay_alu instid0(VALU_DEP_1)
	v_or3_b32 v39, v1, v40, v39
.LBB258_509:                            ;   in Loop: Header=BB258_289 Depth=1
	s_wait_alu 0xfffe
	s_or_b32 exec_lo, exec_lo, s14
.LBB258_510:                            ;   in Loop: Header=BB258_289 Depth=1
	s_wait_alu 0xfffe
	s_or_b32 exec_lo, exec_lo, s13
.LBB258_511:                            ;   in Loop: Header=BB258_289 Depth=1
	s_wait_alu 0xfffe
	s_or_b32 exec_lo, exec_lo, s12
	s_delay_alu instid0(SALU_CYCLE_1)
	s_mov_b32 s12, exec_lo
	v_cmpx_lt_u32_e32 0xffffff, v7
	s_cbranch_execz .LBB258_519
; %bb.512:                              ;   in Loop: Header=BB258_289 Depth=1
	v_lshrrev_b32_e32 v1, 24, v7
	v_bfrev_b32_e32 v38, 1
	s_mov_b32 s13, exec_lo
	s_delay_alu instid0(VALU_DEP_2)
	v_cmpx_ne_u32_e32 0x80, v1
	s_cbranch_execz .LBB258_518
; %bb.513:                              ;   in Loop: Header=BB258_289 Depth=1
	v_and_b32_e32 v41, 0x7f, v1
	v_mov_b32_e32 v38, 0x7c010000
	s_mov_b32 s14, exec_lo
	s_delay_alu instid0(VALU_DEP_2)
	v_cmpx_ne_u32_e32 0x7f, v41
	s_cbranch_execz .LBB258_517
; %bb.514:                              ;   in Loop: Header=BB258_289 Depth=1
	v_and_b32_e32 v38, 7, v1
	v_lshrrev_b32_e32 v40, 3, v41
	s_mov_b32 s15, exec_lo
	v_cmpx_gt_u32_e32 8, v41
; %bb.515:                              ;   in Loop: Header=BB258_289 Depth=1
	s_delay_alu instid0(VALU_DEP_3) | instskip(NEXT) | instid1(VALU_DEP_1)
	v_clz_i32_u32_e32 v38, v38
	v_min_u32_e32 v38, 32, v38
	s_delay_alu instid0(VALU_DEP_1) | instskip(NEXT) | instid1(VALU_DEP_1)
	v_subrev_nc_u32_e32 v40, 28, v38
	v_lshlrev_b64_e32 v[41:42], v40, v[1:2]
	v_sub_nc_u32_e32 v40, 29, v38
	s_delay_alu instid0(VALU_DEP_2)
	v_and_b32_e32 v38, 7, v41
; %bb.516:                              ;   in Loop: Header=BB258_289 Depth=1
	s_wait_alu 0xfffe
	s_or_b32 exec_lo, exec_lo, s15
	v_lshlrev_b32_e32 v1, 8, v1
	v_lshl_add_u32 v40, v40, 10, 0x2000
	v_lshlrev_b32_e32 v38, 23, v38
	s_delay_alu instid0(VALU_DEP_2) | instskip(NEXT) | instid1(VALU_DEP_1)
	v_and_or_b32 v1, 0x8000, v1, v40
	v_lshl_or_b32 v38, v1, 16, v38
.LBB258_517:                            ;   in Loop: Header=BB258_289 Depth=1
	s_wait_alu 0xfffe
	s_or_b32 exec_lo, exec_lo, s14
.LBB258_518:                            ;   in Loop: Header=BB258_289 Depth=1
	s_wait_alu 0xfffe
	s_or_b32 exec_lo, exec_lo, s13
.LBB258_519:                            ;   in Loop: Header=BB258_289 Depth=1
	s_wait_alu 0xfffe
	s_or_b32 exec_lo, exec_lo, s12
	v_dual_mov_b32 v1, v8 :: v_dual_and_b32 v42, 0xff, v8
	v_dual_mov_b32 v40, 0 :: v_dual_mov_b32 v41, 0
	s_mov_b32 s12, exec_lo
	s_delay_alu instid0(VALU_DEP_2)
	v_cmpx_ne_u16_e32 0, v42
	s_cbranch_execz .LBB258_527
; %bb.520:                              ;   in Loop: Header=BB258_289 Depth=1
	v_mov_b32_e32 v41, 0x8000
	s_mov_b32 s13, exec_lo
	v_cmpx_ne_u16_e32 0x80, v42
	s_cbranch_execz .LBB258_526
; %bb.521:                              ;   in Loop: Header=BB258_289 Depth=1
	v_and_b32_e32 v43, 0x7f, v8
	v_mov_b32_e32 v41, 0x7c01
	s_mov_b32 s14, exec_lo
	s_delay_alu instid0(VALU_DEP_2)
	v_cmpx_ne_u32_e32 0x7f, v43
	s_cbranch_execz .LBB258_525
; %bb.522:                              ;   in Loop: Header=BB258_289 Depth=1
	v_and_b32_e32 v41, 7, v8
	v_lshrrev_b32_e32 v42, 3, v43
	s_mov_b32 s15, exec_lo
	v_cmpx_gt_u32_e32 8, v43
; %bb.523:                              ;   in Loop: Header=BB258_289 Depth=1
	s_delay_alu instid0(VALU_DEP_3) | instskip(NEXT) | instid1(VALU_DEP_1)
	v_clz_i32_u32_e32 v41, v41
	v_min_u32_e32 v43, 32, v41
	s_delay_alu instid0(VALU_DEP_1) | instskip(NEXT) | instid1(VALU_DEP_1)
	v_subrev_nc_u32_e32 v41, 28, v43
	v_lshlrev_b64_e32 v[41:42], v41, v[1:2]
	v_sub_nc_u32_e32 v42, 29, v43
	s_delay_alu instid0(VALU_DEP_2)
	v_and_b32_e32 v41, 7, v41
; %bb.524:                              ;   in Loop: Header=BB258_289 Depth=1
	s_wait_alu 0xfffe
	s_or_b32 exec_lo, exec_lo, s15
	v_lshlrev_b32_e32 v43, 8, v8
	v_lshl_add_u32 v42, v42, 10, 0x2000
	v_lshlrev_b32_e32 v41, 7, v41
	s_delay_alu instid0(VALU_DEP_3) | instskip(NEXT) | instid1(VALU_DEP_3)
	v_and_b32_e32 v43, 0x8000, v43
	v_and_b32_e32 v42, 0xfc00, v42
	s_delay_alu instid0(VALU_DEP_1)
	v_or3_b32 v41, v43, v42, v41
.LBB258_525:                            ;   in Loop: Header=BB258_289 Depth=1
	s_wait_alu 0xfffe
	s_or_b32 exec_lo, exec_lo, s14
.LBB258_526:                            ;   in Loop: Header=BB258_289 Depth=1
	s_wait_alu 0xfffe
	s_or_b32 exec_lo, exec_lo, s13
.LBB258_527:                            ;   in Loop: Header=BB258_289 Depth=1
	s_wait_alu 0xfffe
	s_or_b32 exec_lo, exec_lo, s12
	v_lshrrev_b16 v1, 8, v1
	v_mov_b32_e32 v42, 0
	s_mov_b32 s12, exec_lo
	s_delay_alu instid0(VALU_DEP_2)
	v_cmpx_ne_u16_e32 0, v1
	s_cbranch_execz .LBB258_535
; %bb.528:                              ;   in Loop: Header=BB258_289 Depth=1
	v_bfrev_b32_e32 v42, 1
	s_mov_b32 s13, exec_lo
	v_cmpx_ne_u16_e32 0x80, v1
	s_cbranch_execz .LBB258_534
; %bb.529:                              ;   in Loop: Header=BB258_289 Depth=1
	v_and_b32_e32 v43, 0xffff, v1
	v_mov_b32_e32 v42, 0x7c010000
	s_mov_b32 s14, exec_lo
	s_delay_alu instid0(VALU_DEP_2) | instskip(NEXT) | instid1(VALU_DEP_1)
	v_and_b32_e32 v45, 0x7f, v43
	v_cmpx_ne_u32_e32 0x7f, v45
	s_cbranch_execz .LBB258_533
; %bb.530:                              ;   in Loop: Header=BB258_289 Depth=1
	v_and_b32_e32 v42, 7, v43
	v_lshrrev_b32_e32 v44, 3, v45
	s_mov_b32 s15, exec_lo
	v_cmpx_gt_u32_e32 8, v45
; %bb.531:                              ;   in Loop: Header=BB258_289 Depth=1
	s_delay_alu instid0(VALU_DEP_3) | instskip(NEXT) | instid1(VALU_DEP_1)
	v_clz_i32_u32_e32 v42, v42
	v_min_u32_e32 v42, 32, v42
	s_delay_alu instid0(VALU_DEP_1) | instskip(NEXT) | instid1(VALU_DEP_1)
	v_subrev_nc_u32_e32 v44, 28, v42
	v_lshlrev_b64_e32 v[45:46], v44, v[1:2]
	v_sub_nc_u32_e32 v44, 29, v42
	s_delay_alu instid0(VALU_DEP_2)
	v_and_b32_e32 v42, 7, v45
; %bb.532:                              ;   in Loop: Header=BB258_289 Depth=1
	s_wait_alu 0xfffe
	s_or_b32 exec_lo, exec_lo, s15
	v_lshlrev_b32_e32 v1, 8, v43
	v_lshl_add_u32 v43, v44, 10, 0x2000
	v_lshlrev_b32_e32 v42, 23, v42
	s_delay_alu instid0(VALU_DEP_2) | instskip(NEXT) | instid1(VALU_DEP_1)
	v_and_or_b32 v1, 0x8000, v1, v43
	v_lshl_or_b32 v42, v1, 16, v42
.LBB258_533:                            ;   in Loop: Header=BB258_289 Depth=1
	s_wait_alu 0xfffe
	s_or_b32 exec_lo, exec_lo, s14
.LBB258_534:                            ;   in Loop: Header=BB258_289 Depth=1
	s_wait_alu 0xfffe
	s_or_b32 exec_lo, exec_lo, s13
.LBB258_535:                            ;   in Loop: Header=BB258_289 Depth=1
	s_wait_alu 0xfffe
	s_or_b32 exec_lo, exec_lo, s12
	v_lshrrev_b32_e32 v1, 16, v8
	s_mov_b32 s12, exec_lo
	s_delay_alu instid0(VALU_DEP_1) | instskip(NEXT) | instid1(VALU_DEP_1)
	v_and_b32_e32 v43, 0xff, v1
	v_cmpx_ne_u16_e32 0, v43
	s_cbranch_execz .LBB258_543
; %bb.536:                              ;   in Loop: Header=BB258_289 Depth=1
	v_mov_b32_e32 v40, 0x8000
	s_mov_b32 s13, exec_lo
	v_cmpx_ne_u16_e32 0x80, v43
	s_cbranch_execz .LBB258_542
; %bb.537:                              ;   in Loop: Header=BB258_289 Depth=1
	v_bfe_u32 v44, v8, 16, 7
	v_mov_b32_e32 v40, 0x7c01
	s_mov_b32 s14, exec_lo
	s_delay_alu instid0(VALU_DEP_2)
	v_cmpx_ne_u32_e32 0x7f, v44
	s_cbranch_execz .LBB258_541
; %bb.538:                              ;   in Loop: Header=BB258_289 Depth=1
	v_and_b32_e32 v40, 7, v1
	v_lshrrev_b32_e32 v43, 3, v44
	s_mov_b32 s15, exec_lo
	v_cmpx_gt_u32_e32 8, v44
; %bb.539:                              ;   in Loop: Header=BB258_289 Depth=1
	s_delay_alu instid0(VALU_DEP_3) | instskip(NEXT) | instid1(VALU_DEP_1)
	v_clz_i32_u32_e32 v40, v40
	v_min_u32_e32 v40, 32, v40
	s_delay_alu instid0(VALU_DEP_1) | instskip(NEXT) | instid1(VALU_DEP_1)
	v_subrev_nc_u32_e32 v43, 28, v40
	v_lshlrev_b64_e32 v[44:45], v43, v[1:2]
	v_sub_nc_u32_e32 v43, 29, v40
	s_delay_alu instid0(VALU_DEP_2)
	v_and_b32_e32 v40, 7, v44
; %bb.540:                              ;   in Loop: Header=BB258_289 Depth=1
	s_wait_alu 0xfffe
	s_or_b32 exec_lo, exec_lo, s15
	v_lshlrev_b32_e32 v1, 8, v1
	v_lshl_add_u32 v43, v43, 10, 0x2000
	v_lshlrev_b32_e32 v40, 7, v40
	s_delay_alu instid0(VALU_DEP_3) | instskip(NEXT) | instid1(VALU_DEP_3)
	v_and_b32_e32 v1, 0x8000, v1
	v_and_b32_e32 v43, 0xfc00, v43
	s_delay_alu instid0(VALU_DEP_1)
	v_or3_b32 v40, v1, v43, v40
.LBB258_541:                            ;   in Loop: Header=BB258_289 Depth=1
	s_wait_alu 0xfffe
	s_or_b32 exec_lo, exec_lo, s14
.LBB258_542:                            ;   in Loop: Header=BB258_289 Depth=1
	s_wait_alu 0xfffe
	s_or_b32 exec_lo, exec_lo, s13
.LBB258_543:                            ;   in Loop: Header=BB258_289 Depth=1
	s_wait_alu 0xfffe
	s_or_b32 exec_lo, exec_lo, s12
	v_cmp_lt_u64_e64 s0, s[8:9], v[7:8]
	v_mov_b32_e32 v7, 0
	s_and_saveexec_b32 s12, s0
	s_cbranch_execz .LBB258_551
; %bb.544:                              ;   in Loop: Header=BB258_289 Depth=1
	v_lshrrev_b32_e32 v1, 24, v8
	v_bfrev_b32_e32 v7, 1
	s_mov_b32 s13, exec_lo
	s_delay_alu instid0(VALU_DEP_2)
	v_cmpx_ne_u32_e32 0x80, v1
	s_cbranch_execz .LBB258_550
; %bb.545:                              ;   in Loop: Header=BB258_289 Depth=1
	v_and_b32_e32 v43, 0x7f, v1
	v_mov_b32_e32 v7, 0x7c010000
	s_mov_b32 s14, exec_lo
	s_delay_alu instid0(VALU_DEP_2)
	v_cmpx_ne_u32_e32 0x7f, v43
	s_cbranch_execz .LBB258_549
; %bb.546:                              ;   in Loop: Header=BB258_289 Depth=1
	v_and_b32_e32 v7, 7, v1
	v_lshrrev_b32_e32 v8, 3, v43
	s_mov_b32 s15, exec_lo
	v_cmpx_gt_u32_e32 8, v43
; %bb.547:                              ;   in Loop: Header=BB258_289 Depth=1
	s_delay_alu instid0(VALU_DEP_3) | instskip(NEXT) | instid1(VALU_DEP_1)
	v_clz_i32_u32_e32 v7, v7
	v_min_u32_e32 v43, 32, v7
	s_delay_alu instid0(VALU_DEP_1) | instskip(NEXT) | instid1(VALU_DEP_1)
	v_subrev_nc_u32_e32 v7, 28, v43
	v_lshlrev_b64_e32 v[7:8], v7, v[1:2]
	v_sub_nc_u32_e32 v8, 29, v43
	s_delay_alu instid0(VALU_DEP_2)
	v_and_b32_e32 v7, 7, v7
; %bb.548:                              ;   in Loop: Header=BB258_289 Depth=1
	s_wait_alu 0xfffe
	s_or_b32 exec_lo, exec_lo, s15
	v_lshlrev_b32_e32 v1, 8, v1
	v_lshl_add_u32 v8, v8, 10, 0x2000
	v_lshlrev_b32_e32 v7, 23, v7
	s_delay_alu instid0(VALU_DEP_2) | instskip(NEXT) | instid1(VALU_DEP_1)
	v_and_or_b32 v1, 0x8000, v1, v8
	v_lshl_or_b32 v7, v1, 16, v7
.LBB258_549:                            ;   in Loop: Header=BB258_289 Depth=1
	s_wait_alu 0xfffe
	s_or_b32 exec_lo, exec_lo, s14
.LBB258_550:                            ;   in Loop: Header=BB258_289 Depth=1
	s_wait_alu 0xfffe
	s_or_b32 exec_lo, exec_lo, s13
.LBB258_551:                            ;   in Loop: Header=BB258_289 Depth=1
	s_wait_alu 0xfffe
	s_or_b32 exec_lo, exec_lo, s12
	v_or_b32_e32 v1, v38, v39
	s_wait_loadcnt 0x0
	v_fma_mixlo_f16 v8, v35, v38, 0 op_sel:[0,1,0] op_sel_hi:[0,1,0]
	v_or_b32_e32 v37, v36, v37
	v_fma_mixlo_f16 v36, v35, v36, 0 op_sel:[0,1,0] op_sel_hi:[0,1,0]
	v_or_b32_e32 v39, v42, v41
	v_or_b32_e32 v40, v7, v40
	v_fma_mixlo_f16 v38, v35, v1, 0 op_sel_hi:[0,1,0]
	v_lshlrev_b32_e32 v1, 16, v8
	v_lshlrev_b32_e32 v41, 16, v36
	v_fma_mixlo_f16 v8, v35, v37, 0 op_sel_hi:[0,1,0]
	v_fma_mixlo_f16 v36, v35, v42, 0 op_sel:[0,1,0] op_sel_hi:[0,1,0]
	v_fma_mixlo_f16 v37, v35, v39, 0 op_sel_hi:[0,1,0]
	v_fma_mixlo_f16 v7, v35, v7, 0 op_sel:[0,1,0] op_sel_hi:[0,1,0]
	v_fma_mixlo_f16 v35, v35, v40, 0 op_sel_hi:[0,1,0]
	v_and_b32_e32 v38, 0xffff, v38
	v_and_b32_e32 v43, 0xffff, v8
	v_lshlrev_b32_e32 v39, 16, v36
	v_and_b32_e32 v42, 0xffff, v37
	v_lshlrev_b32_e32 v8, 16, v7
	v_and_b32_e32 v40, 0xffff, v35
	v_or_b32_e32 v7, v1, v38
	v_or_b32_e32 v37, v41, v43
	;; [unrolled: 1-line block ×3, first 2 shown]
	s_delay_alu instid0(VALU_DEP_4)
	v_or_b32_e32 v35, v8, v40
	s_and_saveexec_b32 s0, vcc_lo
	s_cbranch_execz .LBB258_288
; %bb.552:                              ;   in Loop: Header=BB258_289 Depth=1
	v_cmp_gt_i32_e32 vcc_lo, s27, v20
	s_wait_alu 0xfffd
	v_cndmask_b32_e32 v7, 0, v43, vcc_lo
	v_cmp_gt_i32_e32 vcc_lo, s27, v26
	s_wait_alu 0xfffd
	v_cndmask_b32_e32 v20, 0, v41, vcc_lo
	v_cmp_gt_i32_e32 vcc_lo, s27, v25
	s_delay_alu instid0(VALU_DEP_2)
	v_or_b32_e32 v37, v20, v7
	s_wait_alu 0xfffd
	v_cndmask_b32_e32 v25, 0, v38, vcc_lo
	v_cmp_gt_i32_e32 vcc_lo, s27, v24
	s_wait_alu 0xfffd
	v_cndmask_b32_e32 v1, 0, v1, vcc_lo
	v_cmp_gt_i32_e32 vcc_lo, s27, v23
	;; [unrolled: 3-line block ×4, first 2 shown]
	s_delay_alu instid0(VALU_DEP_2)
	v_or_b32_e32 v36, v22, v23
	s_wait_alu 0xfffd
	v_cndmask_b32_e32 v21, 0, v40, vcc_lo
	v_cmp_gt_i32_e32 vcc_lo, s27, v18
	s_wait_alu 0xfffd
	v_cndmask_b32_e32 v8, 0, v8, vcc_lo
	v_or_b32_e32 v7, v1, v25
	s_delay_alu instid0(VALU_DEP_2)
	v_or_b32_e32 v35, v8, v21
	s_branch .LBB258_288
.LBB258_553:
	s_or_b32 exec_lo, exec_lo, s5
.LBB258_554:
	s_wait_alu 0xfffe
	s_or_b32 exec_lo, exec_lo, s1
	v_lshl_add_u32 v2, v14, 2, 0x120
	v_and_b32_e32 v3, 0x3c0, v0
	s_mov_b32 s0, exec_lo
	s_wait_loadcnt 0x0
	s_wait_storecnt 0x0
	s_barrier_signal -1
	v_lshl_add_u32 v1, v11, 9, v2
	s_barrier_wait -1
	global_inv scope:SCOPE_SE
	v_cmpx_eq_u32_e32 64, v3
	s_cbranch_execz .LBB258_556
; %bb.555:
	v_add_nc_u32_e32 v3, 0xfffffc00, v1
	v_add_nc_u32_e32 v4, 0xfffffc80, v1
	;; [unrolled: 1-line block ×4, first 2 shown]
	ds_store_b32 v3, v17
	ds_store_b32 v4, v16
	;; [unrolled: 1-line block ×4, first 2 shown]
.LBB258_556:
	s_wait_alu 0xfffe
	s_or_b32 exec_lo, exec_lo, s0
	s_wait_loadcnt_dscnt 0x0
	s_barrier_signal -1
	s_barrier_wait -1
	global_inv scope:SCOPE_SE
	s_and_saveexec_b32 s0, s2
	s_cbranch_execz .LBB258_558
; %bb.557:
	ds_load_2addr_b32 v[3:4], v1 offset1:32
	ds_load_2addr_b32 v[5:6], v1 offset0:64 offset1:96
	s_wait_dscnt 0x1
	v_dual_add_f32 v17, v17, v3 :: v_dual_add_f32 v16, v16, v4
	s_wait_dscnt 0x0
	v_add_f32_e32 v15, v15, v5
	v_add_f32_e32 v13, v13, v6
.LBB258_558:
	s_wait_alu 0xfffe
	s_or_b32 exec_lo, exec_lo, s0
	v_and_b32_e32 v3, 0x3e0, v0
	s_mov_b32 s0, exec_lo
	s_wait_loadcnt 0x0
	s_barrier_signal -1
	s_barrier_wait -1
	global_inv scope:SCOPE_SE
	v_cmpx_eq_u32_e32 32, v3
	s_cbranch_execz .LBB258_560
; %bb.559:
	ds_store_2addr_b32 v2, v17, v16 offset1:32
	ds_store_2addr_b32 v2, v15, v13 offset0:64 offset1:96
.LBB258_560:
	s_wait_alu 0xfffe
	s_or_b32 exec_lo, exec_lo, s0
	v_cmp_gt_u32_e32 vcc_lo, 32, v0
	s_wait_loadcnt_dscnt 0x0
	s_barrier_signal -1
	s_barrier_wait -1
	global_inv scope:SCOPE_SE
	s_and_saveexec_b32 s0, vcc_lo
	s_cbranch_execz .LBB258_562
; %bb.561:
	ds_load_2addr_b32 v[2:3], v1 offset1:32
	ds_load_2addr_b32 v[4:5], v1 offset0:64 offset1:96
	s_wait_dscnt 0x1
	v_dual_add_f32 v17, v17, v2 :: v_dual_add_f32 v16, v16, v3
	s_wait_dscnt 0x0
	v_add_f32_e32 v15, v15, v4
	v_add_f32_e32 v13, v13, v5
.LBB258_562:
	s_wait_alu 0xfffe
	s_or_b32 exec_lo, exec_lo, s0
	s_wait_loadcnt 0x0
	s_barrier_signal -1
	s_barrier_wait -1
	global_inv scope:SCOPE_SE
	s_and_saveexec_b32 s0, vcc_lo
	s_cbranch_execz .LBB258_564
; %bb.563:
	s_lshl_b32 s0, s4, 7
	s_mul_i32 s2, s16, s20
	s_wait_alu 0xfffe
	s_ashr_i32 s1, s0, 31
	s_ashr_i32 s3, s2, 31
	s_wait_alu 0xfffe
	s_lshl_b64 s[0:1], s[0:1], 1
	s_lshl_b64 s[2:3], s[2:3], 1
	s_wait_alu 0xfffe
	s_add_nc_u64 s[0:1], s[6:7], s[0:1]
	v_lshlrev_b32_e32 v0, 1, v0
	s_lshl_b32 s4, s26, 8
	s_wait_alu 0xfffe
	s_add_nc_u64 s[0:1], s[0:1], s[2:3]
	s_mov_b32 s5, 0
	;;#ASMSTART
	v_cvt_f16_f32 v1, v17;

	;;#ASMEND
	s_wait_alu 0xfffe
	s_add_nc_u64 s[0:1], s[0:1], s[4:5]
	global_store_b16 v0, v1, s[0:1]
	;;#ASMSTART
	v_cvt_f16_f32 v1, v16;

	;;#ASMEND
	global_store_b16 v0, v1, s[0:1] offset:64
	;;#ASMSTART
	v_cvt_f16_f32 v1, v15;

	;;#ASMEND
	global_store_b16 v0, v1, s[0:1] offset:128
	;; [unrolled: 5-line block ×3, first 2 shown]
.LBB258_564:
	s_endpgm
	.section	.rodata,"a",@progbits
	.p2align	6, 0x0
	.amdhsa_kernel _ZN4vllm25paged_attention_v2_kernelIthLi128ELi8ELi128ELNS_18Fp8KVCacheDataTypeE1ELb0ELi512EEEvPfS2_PT_PKS3_PKT0_S9_ifPKiSB_iPKfiiiSD_SD_iiiii
		.amdhsa_group_segment_fixed_size 288
		.amdhsa_private_segment_fixed_size 0
		.amdhsa_kernarg_size 400
		.amdhsa_user_sgpr_count 2
		.amdhsa_user_sgpr_dispatch_ptr 0
		.amdhsa_user_sgpr_queue_ptr 0
		.amdhsa_user_sgpr_kernarg_segment_ptr 1
		.amdhsa_user_sgpr_dispatch_id 0
		.amdhsa_user_sgpr_private_segment_size 0
		.amdhsa_wavefront_size32 1
		.amdhsa_uses_dynamic_stack 0
		.amdhsa_enable_private_segment 0
		.amdhsa_system_sgpr_workgroup_id_x 1
		.amdhsa_system_sgpr_workgroup_id_y 1
		.amdhsa_system_sgpr_workgroup_id_z 1
		.amdhsa_system_sgpr_workgroup_info 0
		.amdhsa_system_vgpr_workitem_id 0
		.amdhsa_next_free_vgpr 78
		.amdhsa_next_free_sgpr 38
		.amdhsa_reserve_vcc 1
		.amdhsa_float_round_mode_32 0
		.amdhsa_float_round_mode_16_64 0
		.amdhsa_float_denorm_mode_32 3
		.amdhsa_float_denorm_mode_16_64 3
		.amdhsa_fp16_overflow 0
		.amdhsa_workgroup_processor_mode 1
		.amdhsa_memory_ordered 1
		.amdhsa_forward_progress 1
		.amdhsa_inst_pref_size 164
		.amdhsa_round_robin_scheduling 0
		.amdhsa_exception_fp_ieee_invalid_op 0
		.amdhsa_exception_fp_denorm_src 0
		.amdhsa_exception_fp_ieee_div_zero 0
		.amdhsa_exception_fp_ieee_overflow 0
		.amdhsa_exception_fp_ieee_underflow 0
		.amdhsa_exception_fp_ieee_inexact 0
		.amdhsa_exception_int_div_zero 0
	.end_amdhsa_kernel
	.section	.text._ZN4vllm25paged_attention_v2_kernelIthLi128ELi8ELi128ELNS_18Fp8KVCacheDataTypeE1ELb0ELi512EEEvPfS2_PT_PKS3_PKT0_S9_ifPKiSB_iPKfiiiSD_SD_iiiii,"axG",@progbits,_ZN4vllm25paged_attention_v2_kernelIthLi128ELi8ELi128ELNS_18Fp8KVCacheDataTypeE1ELb0ELi512EEEvPfS2_PT_PKS3_PKT0_S9_ifPKiSB_iPKfiiiSD_SD_iiiii,comdat
.Lfunc_end258:
	.size	_ZN4vllm25paged_attention_v2_kernelIthLi128ELi8ELi128ELNS_18Fp8KVCacheDataTypeE1ELb0ELi512EEEvPfS2_PT_PKS3_PKT0_S9_ifPKiSB_iPKfiiiSD_SD_iiiii, .Lfunc_end258-_ZN4vllm25paged_attention_v2_kernelIthLi128ELi8ELi128ELNS_18Fp8KVCacheDataTypeE1ELb0ELi512EEEvPfS2_PT_PKS3_PKT0_S9_ifPKiSB_iPKfiiiSD_SD_iiiii
                                        ; -- End function
	.set _ZN4vllm25paged_attention_v2_kernelIthLi128ELi8ELi128ELNS_18Fp8KVCacheDataTypeE1ELb0ELi512EEEvPfS2_PT_PKS3_PKT0_S9_ifPKiSB_iPKfiiiSD_SD_iiiii.num_vgpr, 78
	.set _ZN4vllm25paged_attention_v2_kernelIthLi128ELi8ELi128ELNS_18Fp8KVCacheDataTypeE1ELb0ELi512EEEvPfS2_PT_PKS3_PKT0_S9_ifPKiSB_iPKfiiiSD_SD_iiiii.num_agpr, 0
	.set _ZN4vllm25paged_attention_v2_kernelIthLi128ELi8ELi128ELNS_18Fp8KVCacheDataTypeE1ELb0ELi512EEEvPfS2_PT_PKS3_PKT0_S9_ifPKiSB_iPKfiiiSD_SD_iiiii.numbered_sgpr, 38
	.set _ZN4vllm25paged_attention_v2_kernelIthLi128ELi8ELi128ELNS_18Fp8KVCacheDataTypeE1ELb0ELi512EEEvPfS2_PT_PKS3_PKT0_S9_ifPKiSB_iPKfiiiSD_SD_iiiii.num_named_barrier, 0
	.set _ZN4vllm25paged_attention_v2_kernelIthLi128ELi8ELi128ELNS_18Fp8KVCacheDataTypeE1ELb0ELi512EEEvPfS2_PT_PKS3_PKT0_S9_ifPKiSB_iPKfiiiSD_SD_iiiii.private_seg_size, 0
	.set _ZN4vllm25paged_attention_v2_kernelIthLi128ELi8ELi128ELNS_18Fp8KVCacheDataTypeE1ELb0ELi512EEEvPfS2_PT_PKS3_PKT0_S9_ifPKiSB_iPKfiiiSD_SD_iiiii.uses_vcc, 1
	.set _ZN4vllm25paged_attention_v2_kernelIthLi128ELi8ELi128ELNS_18Fp8KVCacheDataTypeE1ELb0ELi512EEEvPfS2_PT_PKS3_PKT0_S9_ifPKiSB_iPKfiiiSD_SD_iiiii.uses_flat_scratch, 0
	.set _ZN4vllm25paged_attention_v2_kernelIthLi128ELi8ELi128ELNS_18Fp8KVCacheDataTypeE1ELb0ELi512EEEvPfS2_PT_PKS3_PKT0_S9_ifPKiSB_iPKfiiiSD_SD_iiiii.has_dyn_sized_stack, 0
	.set _ZN4vllm25paged_attention_v2_kernelIthLi128ELi8ELi128ELNS_18Fp8KVCacheDataTypeE1ELb0ELi512EEEvPfS2_PT_PKS3_PKT0_S9_ifPKiSB_iPKfiiiSD_SD_iiiii.has_recursion, 0
	.set _ZN4vllm25paged_attention_v2_kernelIthLi128ELi8ELi128ELNS_18Fp8KVCacheDataTypeE1ELb0ELi512EEEvPfS2_PT_PKS3_PKT0_S9_ifPKiSB_iPKfiiiSD_SD_iiiii.has_indirect_call, 0
	.section	.AMDGPU.csdata,"",@progbits
; Kernel info:
; codeLenInByte = 20916
; TotalNumSgprs: 40
; NumVgprs: 78
; ScratchSize: 0
; MemoryBound: 0
; FloatMode: 240
; IeeeMode: 1
; LDSByteSize: 288 bytes/workgroup (compile time only)
; SGPRBlocks: 0
; VGPRBlocks: 9
; NumSGPRsForWavesPerEU: 40
; NumVGPRsForWavesPerEU: 78
; Occupancy: 16
; WaveLimiterHint : 1
; COMPUTE_PGM_RSRC2:SCRATCH_EN: 0
; COMPUTE_PGM_RSRC2:USER_SGPR: 2
; COMPUTE_PGM_RSRC2:TRAP_HANDLER: 0
; COMPUTE_PGM_RSRC2:TGID_X_EN: 1
; COMPUTE_PGM_RSRC2:TGID_Y_EN: 1
; COMPUTE_PGM_RSRC2:TGID_Z_EN: 1
; COMPUTE_PGM_RSRC2:TIDIG_COMP_CNT: 0
	.section	.text._ZN4vllm25paged_attention_v2_kernelIthLi192ELi8ELi128ELNS_18Fp8KVCacheDataTypeE1ELb0ELi512EEEvPfS2_PT_PKS3_PKT0_S9_ifPKiSB_iPKfiiiSD_SD_iiiii,"axG",@progbits,_ZN4vllm25paged_attention_v2_kernelIthLi192ELi8ELi128ELNS_18Fp8KVCacheDataTypeE1ELb0ELi512EEEvPfS2_PT_PKS3_PKT0_S9_ifPKiSB_iPKfiiiSD_SD_iiiii,comdat
	.protected	_ZN4vllm25paged_attention_v2_kernelIthLi192ELi8ELi128ELNS_18Fp8KVCacheDataTypeE1ELb0ELi512EEEvPfS2_PT_PKS3_PKT0_S9_ifPKiSB_iPKfiiiSD_SD_iiiii ; -- Begin function _ZN4vllm25paged_attention_v2_kernelIthLi192ELi8ELi128ELNS_18Fp8KVCacheDataTypeE1ELb0ELi512EEEvPfS2_PT_PKS3_PKT0_S9_ifPKiSB_iPKfiiiSD_SD_iiiii
	.globl	_ZN4vllm25paged_attention_v2_kernelIthLi192ELi8ELi128ELNS_18Fp8KVCacheDataTypeE1ELb0ELi512EEEvPfS2_PT_PKS3_PKT0_S9_ifPKiSB_iPKfiiiSD_SD_iiiii
	.p2align	8
	.type	_ZN4vllm25paged_attention_v2_kernelIthLi192ELi8ELi128ELNS_18Fp8KVCacheDataTypeE1ELb0ELi512EEEvPfS2_PT_PKS3_PKT0_S9_ifPKiSB_iPKfiiiSD_SD_iiiii,@function
_ZN4vllm25paged_attention_v2_kernelIthLi192ELi8ELi128ELNS_18Fp8KVCacheDataTypeE1ELb0ELi512EEEvPfS2_PT_PKS3_PKT0_S9_ifPKiSB_iPKfiiiSD_SD_iiiii: ; @_ZN4vllm25paged_attention_v2_kernelIthLi192ELi8ELi128ELNS_18Fp8KVCacheDataTypeE1ELb0ELi512EEEvPfS2_PT_PKS3_PKT0_S9_ifPKiSB_iPKfiiiSD_SD_iiiii
; %bb.0:
	s_load_b64 s[2:3], s[0:1], 0x40
	s_and_b32 s22, ttmp7, 0xffff
	s_lshr_b32 s26, ttmp7, 16
	s_lshl_b32 s4, s22, 2
	s_lshl_b32 s28, s26, 9
	s_wait_kmcnt 0x0
	s_load_b32 s27, s[2:3], s4 offset:0x0
	s_wait_kmcnt 0x0
	s_cmp_ge_i32 s28, s27
	s_cbranch_scc1 .LBB259_824
; %bb.1:
	s_clause 0x1
	s_load_b32 s23, s[0:1], 0x90
	s_load_b64 s[6:7], s[0:1], 0x30
	s_wait_kmcnt 0x0
	s_abs_i32 s5, s23
	s_abs_i32 s2, s6
	s_delay_alu instid0(SALU_CYCLE_1) | instskip(SKIP_1) | instid1(SALU_CYCLE_2)
	s_cvt_f32_u32 s3, s2
	s_sub_co_i32 s4, 0, s2
	v_rcp_iflag_f32_e32 v1, s3
	s_delay_alu instid0(TRANS32_DEP_1) | instskip(SKIP_2) | instid1(SALU_CYCLE_2)
	v_readfirstlane_b32 s3, v1
	s_mul_f32 s3, s3, 0x4f7ffffe
	s_wait_alu 0xfffe
	s_cvt_u32_f32 s3, s3
	s_wait_alu 0xfffe
	s_delay_alu instid0(SALU_CYCLE_2) | instskip(NEXT) | instid1(SALU_CYCLE_1)
	s_mul_i32 s4, s4, s3
	s_mul_hi_u32 s4, s3, s4
	s_delay_alu instid0(SALU_CYCLE_1)
	s_add_co_i32 s3, s3, s4
	s_xor_b32 s4, s23, s6
	s_wait_alu 0xfffe
	s_mul_hi_u32 s3, s5, s3
	s_ashr_i32 s4, s4, 31
	s_wait_alu 0xfffe
	s_mul_i32 s6, s3, s2
	s_delay_alu instid0(SALU_CYCLE_1)
	s_sub_co_i32 s5, s5, s6
	s_add_co_i32 s6, s3, 1
	s_sub_co_i32 s8, s5, s2
	s_cmp_ge_u32 s5, s2
	s_cselect_b32 s3, s6, s3
	s_cselect_b32 s5, s8, s5
	s_wait_alu 0xfffe
	s_add_co_i32 s6, s3, 1
	s_cmp_ge_u32 s5, s2
	s_load_b64 s[8:9], s[0:1], 0x50
	s_cselect_b32 s2, s6, s3
	s_mov_b32 s3, 0
	s_wait_alu 0xfffe
	s_xor_b32 s2, s2, s4
	s_mov_b32 s6, s3
	s_wait_alu 0xfffe
	s_sub_co_i32 s11, s2, s4
	s_delay_alu instid0(SALU_CYCLE_1) | instskip(NEXT) | instid1(SALU_CYCLE_1)
	s_abs_i32 s10, s11
	s_cvt_f32_u32 s2, s10
	s_wait_alu 0xfffe
	s_delay_alu instid0(SALU_CYCLE_2) | instskip(NEXT) | instid1(TRANS32_DEP_1)
	v_rcp_iflag_f32_e32 v1, s2
	v_readfirstlane_b32 s2, v1
	s_mul_f32 s2, s2, 0x4f7ffffe
	s_wait_alu 0xfffe
	s_delay_alu instid0(SALU_CYCLE_2) | instskip(SKIP_2) | instid1(SALU_CYCLE_1)
	s_cvt_u32_f32 s4, s2
	s_sub_co_i32 s2, 0, s10
	s_wait_alu 0xfffe
	s_mul_i32 s2, s2, s4
	s_wait_alu 0xfffe
	s_mul_hi_u32 s5, s4, s2
	s_abs_i32 s2, ttmp9
	s_add_co_i32 s4, s4, s5
	s_mov_b32 s5, s3
	s_wait_kmcnt 0x0
	s_cmp_eq_u64 s[8:9], 0
	s_cbranch_scc1 .LBB259_3
; %bb.2:
	s_mov_b32 s12, ttmp9
	s_ashr_i32 s13, ttmp9, 31
	s_delay_alu instid0(SALU_CYCLE_1) | instskip(NEXT) | instid1(SALU_CYCLE_1)
	s_lshl_b64 s[12:13], s[12:13], 2
	s_add_nc_u64 s[8:9], s[8:9], s[12:13]
	s_load_b32 s6, s[8:9], 0x0
.LBB259_3:
	s_load_b96 s[12:14], s[0:1], 0x58
	v_and_b32_e32 v1, 3, v0
	s_mul_u64 s[4:5], s[2:3], s[4:5]
	s_ashr_i32 s3, ttmp9, 31
	s_ashr_i32 s4, s11, 31
	s_mul_i32 s16, ttmp9, 0xc0
	s_mov_b32 s8, exec_lo
	v_cmpx_gt_u32_e32 0x60, v0
	s_cbranch_execz .LBB259_5
; %bb.4:
	s_load_b64 s[18:19], s[0:1], 0x18
	s_wait_kmcnt 0x0
	s_mul_i32 s20, s12, s22
	s_ashr_i32 s17, s16, 31
	s_ashr_i32 s21, s20, 31
	v_lshlrev_b32_e32 v2, 2, v0
	s_lshl_b64 s[20:21], s[20:21], 1
	v_and_b32_e32 v3, 0x3fc, v0
	s_delay_alu instid0(VALU_DEP_1) | instskip(SKIP_2) | instid1(SALU_CYCLE_1)
	v_mad_u32_u24 v3, 0x60, v1, v3
	s_add_nc_u64 s[18:19], s[18:19], s[20:21]
	s_lshl_b64 s[20:21], s[16:17], 1
	s_add_nc_u64 s[18:19], s[18:19], s[20:21]
	global_load_b32 v2, v2, s[18:19]
	s_wait_loadcnt 0x0
	ds_store_b32 v3, v2
.LBB259_5:
	s_or_b32 exec_lo, exec_lo, s8
	s_add_co_i32 s8, s27, 7
	s_wait_alu 0xfffe
	s_xor_b32 s3, s3, s4
	s_ashr_i32 s9, s8, 31
	s_lshl_b32 s30, s26, 6
	s_lshr_b32 s4, s9, 29
	s_mul_i32 s9, s5, s10
	s_add_co_i32 s8, s8, s4
	s_add_co_i32 s4, s30, 64
	s_ashr_i32 s29, s8, 3
	s_load_b32 s8, s[0:1], 0x48
	s_sub_co_i32 s2, s2, s9
	s_min_i32 s17, s4, s29
	s_add_co_i32 s4, s5, 1
	s_wait_alu 0xfffe
	s_sub_co_i32 s9, s2, s10
	s_cmp_ge_u32 s2, s10
	v_lshrrev_b32_e32 v11, 5, v0
	s_cselect_b32 s4, s4, s5
	s_cselect_b32 s2, s9, s2
	s_add_co_i32 s5, s4, 1
	s_wait_alu 0xfffe
	s_cmp_ge_u32 s2, s10
	v_or_b32_e32 v12, s30, v11
	s_cselect_b32 s2, s5, s4
	v_mbcnt_lo_u32_b32 v13, -1, 0
	s_wait_alu 0xfffe
	s_xor_b32 s2, s2, s3
	s_mov_b32 s4, exec_lo
	s_wait_alu 0xfffe
	s_sub_co_i32 s3, s2, s3
	v_cmp_gt_i32_e64 s2, s17, v12
	s_wait_dscnt 0x0
	s_barrier_signal -1
	s_wait_kmcnt 0x0
	s_mul_i32 s18, s8, s22
	s_barrier_wait -1
	s_ashr_i32 s19, s18, 31
	global_inv scope:SCOPE_SE
                                        ; implicit-def: $vgpr2
                                        ; implicit-def: $vgpr15
	v_cmpx_le_i32_e64 s17, v12
	s_xor_b32 s4, exec_lo, s4
; %bb.6:
	v_dual_mov_b32 v2, 0 :: v_dual_mov_b32 v15, 32
	v_mbcnt_lo_u32_b32 v13, -1, 0
                                        ; implicit-def: $vgpr1
; %bb.7:
	s_or_saveexec_b32 s24, s4
	s_clause 0x2
	s_load_b32 s12, s[0:1], 0x98
	s_load_b64 s[20:21], s[0:1], 0x38
	s_load_b128 s[8:11], s[0:1], 0x68
	v_dual_mov_b32 v14, 0xff7fffff :: v_dual_lshlrev_b32 v9, 2, v12
	v_lshlrev_b32_e32 v10, 3, v11
	s_mul_i32 s14, s3, s14
	s_xor_b32 exec_lo, exec_lo, s24
	s_cbranch_execz .LBB259_397
; %bb.8:
	s_load_b64 s[4:5], s[0:1], 0x20
	v_bfe_u32 v3, v0, 2, 3
	v_mov_b32_e32 v2, 0
	v_dual_mov_b32 v15, 32 :: v_dual_lshlrev_b32 v4, 1, v1
	v_mul_u32_u24_e32 v16, 0x60, v1
	v_cmp_eq_u32_e32 vcc_lo, 0, v1
	v_lshlrev_b32_e32 v1, 4, v3
	v_dual_mov_b32 v14, 0xff7fffff :: v_dual_lshlrev_b32 v5, 2, v3
	s_ashr_i32 s15, s14, 31
	s_cmp_neq_f32 s6, 0
	v_add3_u32 v17, s28, v10, v3
	s_delay_alu instid0(VALU_DEP_2) | instskip(SKIP_3) | instid1(VALU_DEP_1)
	v_lshl_or_b32 v3, v11, 5, v5
	s_mov_b32 s25, s13
	s_cselect_b32 s3, -1, 0
	s_lshl_b64 s[34:35], s[18:19], 2
	v_dual_mov_b32 v19, v12 :: v_dual_add_nc_u32 v18, 0x1a0, v3
	s_wait_kmcnt 0x0
	s_add_nc_u64 s[34:35], s[20:21], s[34:35]
	s_add_nc_u64 s[4:5], s[4:5], s[14:15]
	s_mov_b32 s15, 0
	v_add_co_u32 v1, s4, s4, v1
	s_wait_alu 0xf1ff
	v_add_co_ci_u32_e64 v5, null, s5, 0, s4
	s_sub_co_i32 s31, 1, s27
	v_add_co_u32 v3, s4, v1, v4
	s_wait_alu 0xf1ff
	v_add_co_ci_u32_e64 v4, null, 0, v5, s4
	v_add_co_u32 v5, s4, s34, v9
	s_wait_alu 0xf1ff
	v_add_co_ci_u32_e64 v6, null, s35, 0, s4
	s_branch .LBB259_10
.LBB259_9:                              ;   in Loop: Header=BB259_10 Depth=1
	s_wait_alu 0xfffe
	s_or_b32 exec_lo, exec_lo, s5
	v_add_nc_u32_e32 v19, 4, v19
	v_add_co_u32 v5, s5, v5, 16
	v_add_nc_u32_e32 v17, 32, v17
	v_add_nc_u32_e32 v18, 0x80, v18
	s_delay_alu instid0(VALU_DEP_4) | instskip(SKIP_3) | instid1(SALU_CYCLE_1)
	v_cmp_le_i32_e64 s4, s17, v19
	s_wait_alu 0xf1ff
	v_add_co_ci_u32_e64 v6, null, 0, v6, s5
	s_or_b32 s15, s4, s15
	s_and_not1_b32 exec_lo, exec_lo, s15
	s_cbranch_execz .LBB259_396
.LBB259_10:                             ; =>This Inner Loop Header: Depth=1
	global_load_b32 v1, v[5:6], off
	s_wait_loadcnt_dscnt 0x0
	v_mad_co_i64_i32 v[7:8], null, v1, s25, v[3:4]
	global_load_u16 v1, v[7:8], off
	s_wait_loadcnt 0x0
	v_dual_mov_b32 v21, 0 :: v_dual_and_b32 v22, 0xff, v1
	global_load_b32 v20, v21, s[8:9]
	v_and_b32_e32 v1, 0xffff, v1
	v_cmp_ne_u16_e64 s4, 0, v22
	v_mov_b32_e32 v22, 0
	s_and_saveexec_b32 s5, s4
	s_cbranch_execz .LBB259_18
; %bb.11:                               ;   in Loop: Header=BB259_10 Depth=1
	v_and_b32_e32 v22, 0xff, v1
	s_delay_alu instid0(VALU_DEP_1)
	v_cmp_ne_u16_e64 s4, 0x80, v22
	v_mov_b32_e32 v22, 0x8000
	s_and_saveexec_b32 s33, s4
	s_cbranch_execz .LBB259_17
; %bb.12:                               ;   in Loop: Header=BB259_10 Depth=1
	v_and_b32_e32 v24, 0x7f, v1
	v_mov_b32_e32 v22, 0x7c01
	s_mov_b32 s34, exec_lo
	s_delay_alu instid0(VALU_DEP_2)
	v_cmpx_ne_u32_e32 0x7f, v24
	s_cbranch_execz .LBB259_16
; %bb.13:                               ;   in Loop: Header=BB259_10 Depth=1
	v_and_b32_e32 v22, 7, v1
	v_lshrrev_b32_e32 v23, 3, v24
	s_mov_b32 s35, exec_lo
	v_cmpx_gt_u32_e32 8, v24
; %bb.14:                               ;   in Loop: Header=BB259_10 Depth=1
	s_delay_alu instid0(VALU_DEP_3) | instskip(NEXT) | instid1(VALU_DEP_1)
	v_clz_i32_u32_e32 v22, v22
	v_min_u32_e32 v24, 32, v22
	s_delay_alu instid0(VALU_DEP_1) | instskip(NEXT) | instid1(VALU_DEP_1)
	v_subrev_nc_u32_e32 v22, 28, v24
	v_lshlrev_b64_e32 v[22:23], v22, v[1:2]
	v_sub_nc_u32_e32 v23, 29, v24
	s_delay_alu instid0(VALU_DEP_2)
	v_and_b32_e32 v22, 7, v22
; %bb.15:                               ;   in Loop: Header=BB259_10 Depth=1
	s_wait_alu 0xfffe
	s_or_b32 exec_lo, exec_lo, s35
	v_lshlrev_b32_e32 v24, 8, v1
	v_lshl_add_u32 v23, v23, 10, 0x2000
	v_lshlrev_b32_e32 v22, 7, v22
	s_delay_alu instid0(VALU_DEP_3) | instskip(NEXT) | instid1(VALU_DEP_3)
	v_and_b32_e32 v24, 0x8000, v24
	v_and_b32_e32 v23, 0xfc00, v23
	s_delay_alu instid0(VALU_DEP_1)
	v_or3_b32 v22, v24, v23, v22
.LBB259_16:                             ;   in Loop: Header=BB259_10 Depth=1
	s_wait_alu 0xfffe
	s_or_b32 exec_lo, exec_lo, s34
.LBB259_17:                             ;   in Loop: Header=BB259_10 Depth=1
	s_delay_alu instid0(SALU_CYCLE_1)
	s_or_b32 exec_lo, exec_lo, s33
.LBB259_18:                             ;   in Loop: Header=BB259_10 Depth=1
	s_wait_alu 0xfffe
	s_or_b32 exec_lo, exec_lo, s5
	v_lshrrev_b16 v1, 8, v1
	s_mov_b32 s5, exec_lo
	s_delay_alu instid0(VALU_DEP_1)
	v_cmpx_ne_u16_e32 0, v1
	s_cbranch_execz .LBB259_26
; %bb.19:                               ;   in Loop: Header=BB259_10 Depth=1
	v_bfrev_b32_e32 v21, 1
	s_mov_b32 s33, exec_lo
	v_cmpx_ne_u16_e32 0x80, v1
	s_cbranch_execz .LBB259_25
; %bb.20:                               ;   in Loop: Header=BB259_10 Depth=1
	v_and_b32_e32 v23, 0xffff, v1
	v_mov_b32_e32 v21, 0x7c010000
	s_mov_b32 s34, exec_lo
	s_delay_alu instid0(VALU_DEP_2) | instskip(NEXT) | instid1(VALU_DEP_1)
	v_and_b32_e32 v25, 0x7f, v23
	v_cmpx_ne_u32_e32 0x7f, v25
	s_cbranch_execz .LBB259_24
; %bb.21:                               ;   in Loop: Header=BB259_10 Depth=1
	v_and_b32_e32 v21, 7, v23
	v_lshrrev_b32_e32 v24, 3, v25
	s_mov_b32 s35, exec_lo
	v_cmpx_gt_u32_e32 8, v25
; %bb.22:                               ;   in Loop: Header=BB259_10 Depth=1
	s_delay_alu instid0(VALU_DEP_3) | instskip(NEXT) | instid1(VALU_DEP_1)
	v_clz_i32_u32_e32 v21, v21
	v_min_u32_e32 v21, 32, v21
	s_delay_alu instid0(VALU_DEP_1) | instskip(NEXT) | instid1(VALU_DEP_1)
	v_subrev_nc_u32_e32 v24, 28, v21
	v_lshlrev_b64_e32 v[25:26], v24, v[1:2]
	v_sub_nc_u32_e32 v24, 29, v21
	s_delay_alu instid0(VALU_DEP_2)
	v_and_b32_e32 v21, 7, v25
; %bb.23:                               ;   in Loop: Header=BB259_10 Depth=1
	s_wait_alu 0xfffe
	s_or_b32 exec_lo, exec_lo, s35
	v_lshlrev_b32_e32 v1, 8, v23
	v_lshl_add_u32 v23, v24, 10, 0x2000
	v_lshlrev_b32_e32 v21, 23, v21
	s_delay_alu instid0(VALU_DEP_2) | instskip(NEXT) | instid1(VALU_DEP_1)
	v_and_or_b32 v1, 0x8000, v1, v23
	v_lshl_or_b32 v21, v1, 16, v21
.LBB259_24:                             ;   in Loop: Header=BB259_10 Depth=1
	s_wait_alu 0xfffe
	s_or_b32 exec_lo, exec_lo, s34
.LBB259_25:                             ;   in Loop: Header=BB259_10 Depth=1
	s_delay_alu instid0(SALU_CYCLE_1)
	s_or_b32 exec_lo, exec_lo, s33
.LBB259_26:                             ;   in Loop: Header=BB259_10 Depth=1
	s_wait_alu 0xfffe
	s_or_b32 exec_lo, exec_lo, s5
	global_load_u16 v1, v[7:8], off offset:8
	s_wait_loadcnt 0x0
	v_dual_mov_b32 v23, 0 :: v_dual_and_b32 v24, 0xff, v1
	v_and_b32_e32 v1, 0xffff, v1
	s_delay_alu instid0(VALU_DEP_2)
	v_cmp_ne_u16_e64 s4, 0, v24
	v_mov_b32_e32 v24, 0
	s_and_saveexec_b32 s5, s4
	s_cbranch_execz .LBB259_34
; %bb.27:                               ;   in Loop: Header=BB259_10 Depth=1
	v_and_b32_e32 v24, 0xff, v1
	s_delay_alu instid0(VALU_DEP_1)
	v_cmp_ne_u16_e64 s4, 0x80, v24
	v_mov_b32_e32 v24, 0x8000
	s_and_saveexec_b32 s33, s4
	s_cbranch_execz .LBB259_33
; %bb.28:                               ;   in Loop: Header=BB259_10 Depth=1
	v_and_b32_e32 v26, 0x7f, v1
	v_mov_b32_e32 v24, 0x7c01
	s_mov_b32 s34, exec_lo
	s_delay_alu instid0(VALU_DEP_2)
	v_cmpx_ne_u32_e32 0x7f, v26
	s_cbranch_execz .LBB259_32
; %bb.29:                               ;   in Loop: Header=BB259_10 Depth=1
	v_and_b32_e32 v24, 7, v1
	v_lshrrev_b32_e32 v25, 3, v26
	s_mov_b32 s35, exec_lo
	v_cmpx_gt_u32_e32 8, v26
; %bb.30:                               ;   in Loop: Header=BB259_10 Depth=1
	s_delay_alu instid0(VALU_DEP_3) | instskip(NEXT) | instid1(VALU_DEP_1)
	v_clz_i32_u32_e32 v24, v24
	v_min_u32_e32 v26, 32, v24
	s_delay_alu instid0(VALU_DEP_1) | instskip(NEXT) | instid1(VALU_DEP_1)
	v_subrev_nc_u32_e32 v24, 28, v26
	v_lshlrev_b64_e32 v[24:25], v24, v[1:2]
	v_sub_nc_u32_e32 v25, 29, v26
	s_delay_alu instid0(VALU_DEP_2)
	v_and_b32_e32 v24, 7, v24
; %bb.31:                               ;   in Loop: Header=BB259_10 Depth=1
	s_wait_alu 0xfffe
	s_or_b32 exec_lo, exec_lo, s35
	v_lshlrev_b32_e32 v26, 8, v1
	v_lshl_add_u32 v25, v25, 10, 0x2000
	v_lshlrev_b32_e32 v24, 7, v24
	s_delay_alu instid0(VALU_DEP_3) | instskip(NEXT) | instid1(VALU_DEP_3)
	v_and_b32_e32 v26, 0x8000, v26
	v_and_b32_e32 v25, 0xfc00, v25
	s_delay_alu instid0(VALU_DEP_1)
	v_or3_b32 v24, v26, v25, v24
.LBB259_32:                             ;   in Loop: Header=BB259_10 Depth=1
	s_wait_alu 0xfffe
	s_or_b32 exec_lo, exec_lo, s34
.LBB259_33:                             ;   in Loop: Header=BB259_10 Depth=1
	s_delay_alu instid0(SALU_CYCLE_1)
	s_or_b32 exec_lo, exec_lo, s33
.LBB259_34:                             ;   in Loop: Header=BB259_10 Depth=1
	s_wait_alu 0xfffe
	s_or_b32 exec_lo, exec_lo, s5
	v_lshrrev_b16 v1, 8, v1
	s_mov_b32 s5, exec_lo
	s_delay_alu instid0(VALU_DEP_1)
	v_cmpx_ne_u16_e32 0, v1
	s_cbranch_execz .LBB259_42
; %bb.35:                               ;   in Loop: Header=BB259_10 Depth=1
	v_bfrev_b32_e32 v23, 1
	s_mov_b32 s33, exec_lo
	v_cmpx_ne_u16_e32 0x80, v1
	s_cbranch_execz .LBB259_41
; %bb.36:                               ;   in Loop: Header=BB259_10 Depth=1
	v_and_b32_e32 v25, 0xffff, v1
	v_mov_b32_e32 v23, 0x7c010000
	s_mov_b32 s34, exec_lo
	s_delay_alu instid0(VALU_DEP_2) | instskip(NEXT) | instid1(VALU_DEP_1)
	v_and_b32_e32 v27, 0x7f, v25
	v_cmpx_ne_u32_e32 0x7f, v27
	s_cbranch_execz .LBB259_40
; %bb.37:                               ;   in Loop: Header=BB259_10 Depth=1
	v_and_b32_e32 v23, 7, v25
	v_lshrrev_b32_e32 v26, 3, v27
	s_mov_b32 s35, exec_lo
	v_cmpx_gt_u32_e32 8, v27
; %bb.38:                               ;   in Loop: Header=BB259_10 Depth=1
	s_delay_alu instid0(VALU_DEP_3) | instskip(NEXT) | instid1(VALU_DEP_1)
	v_clz_i32_u32_e32 v23, v23
	v_min_u32_e32 v23, 32, v23
	s_delay_alu instid0(VALU_DEP_1) | instskip(NEXT) | instid1(VALU_DEP_1)
	v_subrev_nc_u32_e32 v26, 28, v23
	v_lshlrev_b64_e32 v[27:28], v26, v[1:2]
	v_sub_nc_u32_e32 v26, 29, v23
	s_delay_alu instid0(VALU_DEP_2)
	v_and_b32_e32 v23, 7, v27
; %bb.39:                               ;   in Loop: Header=BB259_10 Depth=1
	s_wait_alu 0xfffe
	s_or_b32 exec_lo, exec_lo, s35
	v_lshlrev_b32_e32 v1, 8, v25
	v_lshl_add_u32 v25, v26, 10, 0x2000
	v_lshlrev_b32_e32 v23, 23, v23
	s_delay_alu instid0(VALU_DEP_2) | instskip(NEXT) | instid1(VALU_DEP_1)
	v_and_or_b32 v1, 0x8000, v1, v25
	v_lshl_or_b32 v23, v1, 16, v23
.LBB259_40:                             ;   in Loop: Header=BB259_10 Depth=1
	s_wait_alu 0xfffe
	s_or_b32 exec_lo, exec_lo, s34
.LBB259_41:                             ;   in Loop: Header=BB259_10 Depth=1
	s_delay_alu instid0(SALU_CYCLE_1)
	s_or_b32 exec_lo, exec_lo, s33
.LBB259_42:                             ;   in Loop: Header=BB259_10 Depth=1
	s_wait_alu 0xfffe
	s_or_b32 exec_lo, exec_lo, s5
	global_load_u16 v1, v[7:8], off offset:128
	s_wait_loadcnt 0x0
	v_dual_mov_b32 v25, 0 :: v_dual_and_b32 v26, 0xff, v1
	v_and_b32_e32 v1, 0xffff, v1
	s_delay_alu instid0(VALU_DEP_2)
	v_cmp_ne_u16_e64 s4, 0, v26
	v_mov_b32_e32 v26, 0
	s_and_saveexec_b32 s5, s4
	s_cbranch_execz .LBB259_50
; %bb.43:                               ;   in Loop: Header=BB259_10 Depth=1
	v_and_b32_e32 v26, 0xff, v1
	s_delay_alu instid0(VALU_DEP_1)
	v_cmp_ne_u16_e64 s4, 0x80, v26
	v_mov_b32_e32 v26, 0x8000
	s_and_saveexec_b32 s33, s4
	s_cbranch_execz .LBB259_49
; %bb.44:                               ;   in Loop: Header=BB259_10 Depth=1
	v_and_b32_e32 v28, 0x7f, v1
	v_mov_b32_e32 v26, 0x7c01
	s_mov_b32 s34, exec_lo
	s_delay_alu instid0(VALU_DEP_2)
	v_cmpx_ne_u32_e32 0x7f, v28
	s_cbranch_execz .LBB259_48
; %bb.45:                               ;   in Loop: Header=BB259_10 Depth=1
	v_and_b32_e32 v26, 7, v1
	v_lshrrev_b32_e32 v27, 3, v28
	s_mov_b32 s35, exec_lo
	v_cmpx_gt_u32_e32 8, v28
; %bb.46:                               ;   in Loop: Header=BB259_10 Depth=1
	s_delay_alu instid0(VALU_DEP_3) | instskip(NEXT) | instid1(VALU_DEP_1)
	v_clz_i32_u32_e32 v26, v26
	v_min_u32_e32 v28, 32, v26
	s_delay_alu instid0(VALU_DEP_1) | instskip(NEXT) | instid1(VALU_DEP_1)
	v_subrev_nc_u32_e32 v26, 28, v28
	v_lshlrev_b64_e32 v[26:27], v26, v[1:2]
	v_sub_nc_u32_e32 v27, 29, v28
	s_delay_alu instid0(VALU_DEP_2)
	v_and_b32_e32 v26, 7, v26
; %bb.47:                               ;   in Loop: Header=BB259_10 Depth=1
	s_wait_alu 0xfffe
	s_or_b32 exec_lo, exec_lo, s35
	v_lshlrev_b32_e32 v28, 8, v1
	v_lshl_add_u32 v27, v27, 10, 0x2000
	v_lshlrev_b32_e32 v26, 7, v26
	s_delay_alu instid0(VALU_DEP_3) | instskip(NEXT) | instid1(VALU_DEP_3)
	v_and_b32_e32 v28, 0x8000, v28
	v_and_b32_e32 v27, 0xfc00, v27
	s_delay_alu instid0(VALU_DEP_1)
	v_or3_b32 v26, v28, v27, v26
.LBB259_48:                             ;   in Loop: Header=BB259_10 Depth=1
	s_wait_alu 0xfffe
	s_or_b32 exec_lo, exec_lo, s34
.LBB259_49:                             ;   in Loop: Header=BB259_10 Depth=1
	s_delay_alu instid0(SALU_CYCLE_1)
	s_or_b32 exec_lo, exec_lo, s33
.LBB259_50:                             ;   in Loop: Header=BB259_10 Depth=1
	s_wait_alu 0xfffe
	s_or_b32 exec_lo, exec_lo, s5
	v_lshrrev_b16 v1, 8, v1
	s_mov_b32 s5, exec_lo
	s_delay_alu instid0(VALU_DEP_1)
	v_cmpx_ne_u16_e32 0, v1
	s_cbranch_execz .LBB259_58
; %bb.51:                               ;   in Loop: Header=BB259_10 Depth=1
	v_bfrev_b32_e32 v25, 1
	s_mov_b32 s33, exec_lo
	v_cmpx_ne_u16_e32 0x80, v1
	s_cbranch_execz .LBB259_57
; %bb.52:                               ;   in Loop: Header=BB259_10 Depth=1
	v_and_b32_e32 v27, 0xffff, v1
	v_mov_b32_e32 v25, 0x7c010000
	s_mov_b32 s34, exec_lo
	s_delay_alu instid0(VALU_DEP_2) | instskip(NEXT) | instid1(VALU_DEP_1)
	v_and_b32_e32 v29, 0x7f, v27
	v_cmpx_ne_u32_e32 0x7f, v29
	s_cbranch_execz .LBB259_56
; %bb.53:                               ;   in Loop: Header=BB259_10 Depth=1
	v_and_b32_e32 v25, 7, v27
	v_lshrrev_b32_e32 v28, 3, v29
	s_mov_b32 s35, exec_lo
	v_cmpx_gt_u32_e32 8, v29
; %bb.54:                               ;   in Loop: Header=BB259_10 Depth=1
	s_delay_alu instid0(VALU_DEP_3) | instskip(NEXT) | instid1(VALU_DEP_1)
	v_clz_i32_u32_e32 v25, v25
	v_min_u32_e32 v25, 32, v25
	s_delay_alu instid0(VALU_DEP_1) | instskip(NEXT) | instid1(VALU_DEP_1)
	v_subrev_nc_u32_e32 v28, 28, v25
	v_lshlrev_b64_e32 v[29:30], v28, v[1:2]
	v_sub_nc_u32_e32 v28, 29, v25
	s_delay_alu instid0(VALU_DEP_2)
	v_and_b32_e32 v25, 7, v29
; %bb.55:                               ;   in Loop: Header=BB259_10 Depth=1
	s_wait_alu 0xfffe
	s_or_b32 exec_lo, exec_lo, s35
	v_lshlrev_b32_e32 v1, 8, v27
	v_lshl_add_u32 v27, v28, 10, 0x2000
	v_lshlrev_b32_e32 v25, 23, v25
	s_delay_alu instid0(VALU_DEP_2) | instskip(NEXT) | instid1(VALU_DEP_1)
	v_and_or_b32 v1, 0x8000, v1, v27
	v_lshl_or_b32 v25, v1, 16, v25
.LBB259_56:                             ;   in Loop: Header=BB259_10 Depth=1
	s_wait_alu 0xfffe
	s_or_b32 exec_lo, exec_lo, s34
.LBB259_57:                             ;   in Loop: Header=BB259_10 Depth=1
	s_delay_alu instid0(SALU_CYCLE_1)
	s_or_b32 exec_lo, exec_lo, s33
.LBB259_58:                             ;   in Loop: Header=BB259_10 Depth=1
	s_wait_alu 0xfffe
	s_or_b32 exec_lo, exec_lo, s5
	global_load_u16 v1, v[7:8], off offset:136
	s_wait_loadcnt 0x0
	v_dual_mov_b32 v27, 0 :: v_dual_and_b32 v28, 0xff, v1
	v_and_b32_e32 v1, 0xffff, v1
	s_delay_alu instid0(VALU_DEP_2)
	v_cmp_ne_u16_e64 s4, 0, v28
	v_mov_b32_e32 v28, 0
	s_and_saveexec_b32 s5, s4
	s_cbranch_execz .LBB259_66
; %bb.59:                               ;   in Loop: Header=BB259_10 Depth=1
	v_and_b32_e32 v28, 0xff, v1
	s_delay_alu instid0(VALU_DEP_1)
	v_cmp_ne_u16_e64 s4, 0x80, v28
	v_mov_b32_e32 v28, 0x8000
	s_and_saveexec_b32 s33, s4
	s_cbranch_execz .LBB259_65
; %bb.60:                               ;   in Loop: Header=BB259_10 Depth=1
	v_and_b32_e32 v30, 0x7f, v1
	v_mov_b32_e32 v28, 0x7c01
	s_mov_b32 s34, exec_lo
	s_delay_alu instid0(VALU_DEP_2)
	v_cmpx_ne_u32_e32 0x7f, v30
	s_cbranch_execz .LBB259_64
; %bb.61:                               ;   in Loop: Header=BB259_10 Depth=1
	v_and_b32_e32 v28, 7, v1
	v_lshrrev_b32_e32 v29, 3, v30
	s_mov_b32 s35, exec_lo
	v_cmpx_gt_u32_e32 8, v30
; %bb.62:                               ;   in Loop: Header=BB259_10 Depth=1
	s_delay_alu instid0(VALU_DEP_3) | instskip(NEXT) | instid1(VALU_DEP_1)
	v_clz_i32_u32_e32 v28, v28
	v_min_u32_e32 v30, 32, v28
	s_delay_alu instid0(VALU_DEP_1) | instskip(NEXT) | instid1(VALU_DEP_1)
	v_subrev_nc_u32_e32 v28, 28, v30
	v_lshlrev_b64_e32 v[28:29], v28, v[1:2]
	v_sub_nc_u32_e32 v29, 29, v30
	s_delay_alu instid0(VALU_DEP_2)
	v_and_b32_e32 v28, 7, v28
; %bb.63:                               ;   in Loop: Header=BB259_10 Depth=1
	s_wait_alu 0xfffe
	s_or_b32 exec_lo, exec_lo, s35
	v_lshlrev_b32_e32 v30, 8, v1
	v_lshl_add_u32 v29, v29, 10, 0x2000
	v_lshlrev_b32_e32 v28, 7, v28
	s_delay_alu instid0(VALU_DEP_3) | instskip(NEXT) | instid1(VALU_DEP_3)
	v_and_b32_e32 v30, 0x8000, v30
	v_and_b32_e32 v29, 0xfc00, v29
	s_delay_alu instid0(VALU_DEP_1)
	v_or3_b32 v28, v30, v29, v28
.LBB259_64:                             ;   in Loop: Header=BB259_10 Depth=1
	s_wait_alu 0xfffe
	s_or_b32 exec_lo, exec_lo, s34
.LBB259_65:                             ;   in Loop: Header=BB259_10 Depth=1
	s_delay_alu instid0(SALU_CYCLE_1)
	s_or_b32 exec_lo, exec_lo, s33
.LBB259_66:                             ;   in Loop: Header=BB259_10 Depth=1
	s_wait_alu 0xfffe
	s_or_b32 exec_lo, exec_lo, s5
	v_lshrrev_b16 v1, 8, v1
	s_mov_b32 s5, exec_lo
	s_delay_alu instid0(VALU_DEP_1)
	v_cmpx_ne_u16_e32 0, v1
	s_cbranch_execz .LBB259_74
; %bb.67:                               ;   in Loop: Header=BB259_10 Depth=1
	v_bfrev_b32_e32 v27, 1
	s_mov_b32 s33, exec_lo
	v_cmpx_ne_u16_e32 0x80, v1
	s_cbranch_execz .LBB259_73
; %bb.68:                               ;   in Loop: Header=BB259_10 Depth=1
	v_and_b32_e32 v29, 0xffff, v1
	v_mov_b32_e32 v27, 0x7c010000
	s_mov_b32 s34, exec_lo
	s_delay_alu instid0(VALU_DEP_2) | instskip(NEXT) | instid1(VALU_DEP_1)
	v_and_b32_e32 v31, 0x7f, v29
	v_cmpx_ne_u32_e32 0x7f, v31
	s_cbranch_execz .LBB259_72
; %bb.69:                               ;   in Loop: Header=BB259_10 Depth=1
	v_and_b32_e32 v27, 7, v29
	v_lshrrev_b32_e32 v30, 3, v31
	s_mov_b32 s35, exec_lo
	v_cmpx_gt_u32_e32 8, v31
; %bb.70:                               ;   in Loop: Header=BB259_10 Depth=1
	s_delay_alu instid0(VALU_DEP_3) | instskip(NEXT) | instid1(VALU_DEP_1)
	v_clz_i32_u32_e32 v27, v27
	v_min_u32_e32 v27, 32, v27
	s_delay_alu instid0(VALU_DEP_1) | instskip(NEXT) | instid1(VALU_DEP_1)
	v_subrev_nc_u32_e32 v30, 28, v27
	v_lshlrev_b64_e32 v[31:32], v30, v[1:2]
	v_sub_nc_u32_e32 v30, 29, v27
	s_delay_alu instid0(VALU_DEP_2)
	v_and_b32_e32 v27, 7, v31
; %bb.71:                               ;   in Loop: Header=BB259_10 Depth=1
	s_wait_alu 0xfffe
	s_or_b32 exec_lo, exec_lo, s35
	v_lshlrev_b32_e32 v1, 8, v29
	v_lshl_add_u32 v29, v30, 10, 0x2000
	v_lshlrev_b32_e32 v27, 23, v27
	s_delay_alu instid0(VALU_DEP_2) | instskip(NEXT) | instid1(VALU_DEP_1)
	v_and_or_b32 v1, 0x8000, v1, v29
	v_lshl_or_b32 v27, v1, 16, v27
.LBB259_72:                             ;   in Loop: Header=BB259_10 Depth=1
	s_wait_alu 0xfffe
	s_or_b32 exec_lo, exec_lo, s34
.LBB259_73:                             ;   in Loop: Header=BB259_10 Depth=1
	s_delay_alu instid0(SALU_CYCLE_1)
	s_or_b32 exec_lo, exec_lo, s33
.LBB259_74:                             ;   in Loop: Header=BB259_10 Depth=1
	s_wait_alu 0xfffe
	s_or_b32 exec_lo, exec_lo, s5
	global_load_u16 v1, v[7:8], off offset:256
	s_wait_loadcnt 0x0
	v_dual_mov_b32 v29, 0 :: v_dual_and_b32 v30, 0xff, v1
	v_and_b32_e32 v1, 0xffff, v1
	s_delay_alu instid0(VALU_DEP_2)
	v_cmp_ne_u16_e64 s4, 0, v30
	v_mov_b32_e32 v30, 0
	s_and_saveexec_b32 s5, s4
	s_cbranch_execz .LBB259_82
; %bb.75:                               ;   in Loop: Header=BB259_10 Depth=1
	v_and_b32_e32 v30, 0xff, v1
	s_delay_alu instid0(VALU_DEP_1)
	v_cmp_ne_u16_e64 s4, 0x80, v30
	v_mov_b32_e32 v30, 0x8000
	s_and_saveexec_b32 s33, s4
	s_cbranch_execz .LBB259_81
; %bb.76:                               ;   in Loop: Header=BB259_10 Depth=1
	v_and_b32_e32 v32, 0x7f, v1
	v_mov_b32_e32 v30, 0x7c01
	s_mov_b32 s34, exec_lo
	s_delay_alu instid0(VALU_DEP_2)
	v_cmpx_ne_u32_e32 0x7f, v32
	s_cbranch_execz .LBB259_80
; %bb.77:                               ;   in Loop: Header=BB259_10 Depth=1
	v_and_b32_e32 v30, 7, v1
	v_lshrrev_b32_e32 v31, 3, v32
	s_mov_b32 s35, exec_lo
	v_cmpx_gt_u32_e32 8, v32
; %bb.78:                               ;   in Loop: Header=BB259_10 Depth=1
	s_delay_alu instid0(VALU_DEP_3) | instskip(NEXT) | instid1(VALU_DEP_1)
	v_clz_i32_u32_e32 v30, v30
	v_min_u32_e32 v32, 32, v30
	s_delay_alu instid0(VALU_DEP_1) | instskip(NEXT) | instid1(VALU_DEP_1)
	v_subrev_nc_u32_e32 v30, 28, v32
	v_lshlrev_b64_e32 v[30:31], v30, v[1:2]
	v_sub_nc_u32_e32 v31, 29, v32
	s_delay_alu instid0(VALU_DEP_2)
	v_and_b32_e32 v30, 7, v30
; %bb.79:                               ;   in Loop: Header=BB259_10 Depth=1
	s_wait_alu 0xfffe
	s_or_b32 exec_lo, exec_lo, s35
	v_lshlrev_b32_e32 v32, 8, v1
	v_lshl_add_u32 v31, v31, 10, 0x2000
	v_lshlrev_b32_e32 v30, 7, v30
	s_delay_alu instid0(VALU_DEP_3) | instskip(NEXT) | instid1(VALU_DEP_3)
	v_and_b32_e32 v32, 0x8000, v32
	v_and_b32_e32 v31, 0xfc00, v31
	s_delay_alu instid0(VALU_DEP_1)
	v_or3_b32 v30, v32, v31, v30
.LBB259_80:                             ;   in Loop: Header=BB259_10 Depth=1
	s_wait_alu 0xfffe
	s_or_b32 exec_lo, exec_lo, s34
.LBB259_81:                             ;   in Loop: Header=BB259_10 Depth=1
	s_delay_alu instid0(SALU_CYCLE_1)
	s_or_b32 exec_lo, exec_lo, s33
.LBB259_82:                             ;   in Loop: Header=BB259_10 Depth=1
	s_wait_alu 0xfffe
	s_or_b32 exec_lo, exec_lo, s5
	v_lshrrev_b16 v1, 8, v1
	s_mov_b32 s5, exec_lo
	s_delay_alu instid0(VALU_DEP_1)
	v_cmpx_ne_u16_e32 0, v1
	s_cbranch_execz .LBB259_90
; %bb.83:                               ;   in Loop: Header=BB259_10 Depth=1
	v_bfrev_b32_e32 v29, 1
	s_mov_b32 s33, exec_lo
	v_cmpx_ne_u16_e32 0x80, v1
	s_cbranch_execz .LBB259_89
; %bb.84:                               ;   in Loop: Header=BB259_10 Depth=1
	v_and_b32_e32 v31, 0xffff, v1
	v_mov_b32_e32 v29, 0x7c010000
	s_mov_b32 s34, exec_lo
	s_delay_alu instid0(VALU_DEP_2) | instskip(NEXT) | instid1(VALU_DEP_1)
	v_and_b32_e32 v33, 0x7f, v31
	v_cmpx_ne_u32_e32 0x7f, v33
	s_cbranch_execz .LBB259_88
; %bb.85:                               ;   in Loop: Header=BB259_10 Depth=1
	v_and_b32_e32 v29, 7, v31
	v_lshrrev_b32_e32 v32, 3, v33
	s_mov_b32 s35, exec_lo
	v_cmpx_gt_u32_e32 8, v33
; %bb.86:                               ;   in Loop: Header=BB259_10 Depth=1
	s_delay_alu instid0(VALU_DEP_3) | instskip(NEXT) | instid1(VALU_DEP_1)
	v_clz_i32_u32_e32 v29, v29
	v_min_u32_e32 v29, 32, v29
	s_delay_alu instid0(VALU_DEP_1) | instskip(NEXT) | instid1(VALU_DEP_1)
	v_subrev_nc_u32_e32 v32, 28, v29
	v_lshlrev_b64_e32 v[33:34], v32, v[1:2]
	v_sub_nc_u32_e32 v32, 29, v29
	s_delay_alu instid0(VALU_DEP_2)
	v_and_b32_e32 v29, 7, v33
; %bb.87:                               ;   in Loop: Header=BB259_10 Depth=1
	s_wait_alu 0xfffe
	s_or_b32 exec_lo, exec_lo, s35
	v_lshlrev_b32_e32 v1, 8, v31
	v_lshl_add_u32 v31, v32, 10, 0x2000
	v_lshlrev_b32_e32 v29, 23, v29
	s_delay_alu instid0(VALU_DEP_2) | instskip(NEXT) | instid1(VALU_DEP_1)
	v_and_or_b32 v1, 0x8000, v1, v31
	v_lshl_or_b32 v29, v1, 16, v29
.LBB259_88:                             ;   in Loop: Header=BB259_10 Depth=1
	s_wait_alu 0xfffe
	s_or_b32 exec_lo, exec_lo, s34
.LBB259_89:                             ;   in Loop: Header=BB259_10 Depth=1
	s_delay_alu instid0(SALU_CYCLE_1)
	s_or_b32 exec_lo, exec_lo, s33
.LBB259_90:                             ;   in Loop: Header=BB259_10 Depth=1
	s_wait_alu 0xfffe
	s_or_b32 exec_lo, exec_lo, s5
	global_load_u16 v1, v[7:8], off offset:264
	s_wait_loadcnt 0x0
	v_dual_mov_b32 v31, 0 :: v_dual_and_b32 v32, 0xff, v1
	v_and_b32_e32 v1, 0xffff, v1
	s_delay_alu instid0(VALU_DEP_2)
	v_cmp_ne_u16_e64 s4, 0, v32
	v_mov_b32_e32 v32, 0
	s_and_saveexec_b32 s5, s4
	s_cbranch_execz .LBB259_98
; %bb.91:                               ;   in Loop: Header=BB259_10 Depth=1
	v_and_b32_e32 v32, 0xff, v1
	s_delay_alu instid0(VALU_DEP_1)
	v_cmp_ne_u16_e64 s4, 0x80, v32
	v_mov_b32_e32 v32, 0x8000
	s_and_saveexec_b32 s33, s4
	s_cbranch_execz .LBB259_97
; %bb.92:                               ;   in Loop: Header=BB259_10 Depth=1
	v_and_b32_e32 v34, 0x7f, v1
	v_mov_b32_e32 v32, 0x7c01
	s_mov_b32 s34, exec_lo
	s_delay_alu instid0(VALU_DEP_2)
	v_cmpx_ne_u32_e32 0x7f, v34
	s_cbranch_execz .LBB259_96
; %bb.93:                               ;   in Loop: Header=BB259_10 Depth=1
	v_and_b32_e32 v32, 7, v1
	v_lshrrev_b32_e32 v33, 3, v34
	s_mov_b32 s35, exec_lo
	v_cmpx_gt_u32_e32 8, v34
; %bb.94:                               ;   in Loop: Header=BB259_10 Depth=1
	s_delay_alu instid0(VALU_DEP_3) | instskip(NEXT) | instid1(VALU_DEP_1)
	v_clz_i32_u32_e32 v32, v32
	v_min_u32_e32 v34, 32, v32
	s_delay_alu instid0(VALU_DEP_1) | instskip(NEXT) | instid1(VALU_DEP_1)
	v_subrev_nc_u32_e32 v32, 28, v34
	v_lshlrev_b64_e32 v[32:33], v32, v[1:2]
	v_sub_nc_u32_e32 v33, 29, v34
	s_delay_alu instid0(VALU_DEP_2)
	v_and_b32_e32 v32, 7, v32
; %bb.95:                               ;   in Loop: Header=BB259_10 Depth=1
	s_wait_alu 0xfffe
	s_or_b32 exec_lo, exec_lo, s35
	v_lshlrev_b32_e32 v34, 8, v1
	v_lshl_add_u32 v33, v33, 10, 0x2000
	v_lshlrev_b32_e32 v32, 7, v32
	s_delay_alu instid0(VALU_DEP_3) | instskip(NEXT) | instid1(VALU_DEP_3)
	v_and_b32_e32 v34, 0x8000, v34
	v_and_b32_e32 v33, 0xfc00, v33
	s_delay_alu instid0(VALU_DEP_1)
	v_or3_b32 v32, v34, v33, v32
.LBB259_96:                             ;   in Loop: Header=BB259_10 Depth=1
	s_wait_alu 0xfffe
	s_or_b32 exec_lo, exec_lo, s34
.LBB259_97:                             ;   in Loop: Header=BB259_10 Depth=1
	s_delay_alu instid0(SALU_CYCLE_1)
	s_or_b32 exec_lo, exec_lo, s33
.LBB259_98:                             ;   in Loop: Header=BB259_10 Depth=1
	s_wait_alu 0xfffe
	s_or_b32 exec_lo, exec_lo, s5
	v_lshrrev_b16 v1, 8, v1
	s_mov_b32 s5, exec_lo
	s_delay_alu instid0(VALU_DEP_1)
	v_cmpx_ne_u16_e32 0, v1
	s_cbranch_execz .LBB259_106
; %bb.99:                               ;   in Loop: Header=BB259_10 Depth=1
	v_bfrev_b32_e32 v31, 1
	s_mov_b32 s33, exec_lo
	v_cmpx_ne_u16_e32 0x80, v1
	s_cbranch_execz .LBB259_105
; %bb.100:                              ;   in Loop: Header=BB259_10 Depth=1
	v_and_b32_e32 v33, 0xffff, v1
	v_mov_b32_e32 v31, 0x7c010000
	s_mov_b32 s34, exec_lo
	s_delay_alu instid0(VALU_DEP_2) | instskip(NEXT) | instid1(VALU_DEP_1)
	v_and_b32_e32 v35, 0x7f, v33
	v_cmpx_ne_u32_e32 0x7f, v35
	s_cbranch_execz .LBB259_104
; %bb.101:                              ;   in Loop: Header=BB259_10 Depth=1
	v_and_b32_e32 v31, 7, v33
	v_lshrrev_b32_e32 v34, 3, v35
	s_mov_b32 s35, exec_lo
	v_cmpx_gt_u32_e32 8, v35
; %bb.102:                              ;   in Loop: Header=BB259_10 Depth=1
	s_delay_alu instid0(VALU_DEP_3) | instskip(NEXT) | instid1(VALU_DEP_1)
	v_clz_i32_u32_e32 v31, v31
	v_min_u32_e32 v31, 32, v31
	s_delay_alu instid0(VALU_DEP_1) | instskip(NEXT) | instid1(VALU_DEP_1)
	v_subrev_nc_u32_e32 v34, 28, v31
	v_lshlrev_b64_e32 v[35:36], v34, v[1:2]
	v_sub_nc_u32_e32 v34, 29, v31
	s_delay_alu instid0(VALU_DEP_2)
	v_and_b32_e32 v31, 7, v35
; %bb.103:                              ;   in Loop: Header=BB259_10 Depth=1
	s_wait_alu 0xfffe
	s_or_b32 exec_lo, exec_lo, s35
	v_lshlrev_b32_e32 v1, 8, v33
	v_lshl_add_u32 v33, v34, 10, 0x2000
	v_lshlrev_b32_e32 v31, 23, v31
	s_delay_alu instid0(VALU_DEP_2) | instskip(NEXT) | instid1(VALU_DEP_1)
	v_and_or_b32 v1, 0x8000, v1, v33
	v_lshl_or_b32 v31, v1, 16, v31
.LBB259_104:                            ;   in Loop: Header=BB259_10 Depth=1
	s_wait_alu 0xfffe
	s_or_b32 exec_lo, exec_lo, s34
.LBB259_105:                            ;   in Loop: Header=BB259_10 Depth=1
	s_delay_alu instid0(SALU_CYCLE_1)
	s_or_b32 exec_lo, exec_lo, s33
.LBB259_106:                            ;   in Loop: Header=BB259_10 Depth=1
	s_wait_alu 0xfffe
	s_or_b32 exec_lo, exec_lo, s5
	global_load_u16 v1, v[7:8], off offset:384
	s_wait_loadcnt 0x0
	v_dual_mov_b32 v33, 0 :: v_dual_and_b32 v34, 0xff, v1
	v_and_b32_e32 v1, 0xffff, v1
	s_delay_alu instid0(VALU_DEP_2)
	v_cmp_ne_u16_e64 s4, 0, v34
	v_mov_b32_e32 v34, 0
	s_and_saveexec_b32 s5, s4
	s_cbranch_execz .LBB259_114
; %bb.107:                              ;   in Loop: Header=BB259_10 Depth=1
	v_and_b32_e32 v34, 0xff, v1
	s_delay_alu instid0(VALU_DEP_1)
	v_cmp_ne_u16_e64 s4, 0x80, v34
	v_mov_b32_e32 v34, 0x8000
	s_and_saveexec_b32 s33, s4
	s_cbranch_execz .LBB259_113
; %bb.108:                              ;   in Loop: Header=BB259_10 Depth=1
	v_and_b32_e32 v36, 0x7f, v1
	v_mov_b32_e32 v34, 0x7c01
	s_mov_b32 s34, exec_lo
	s_delay_alu instid0(VALU_DEP_2)
	v_cmpx_ne_u32_e32 0x7f, v36
	s_cbranch_execz .LBB259_112
; %bb.109:                              ;   in Loop: Header=BB259_10 Depth=1
	v_and_b32_e32 v34, 7, v1
	v_lshrrev_b32_e32 v35, 3, v36
	s_mov_b32 s35, exec_lo
	v_cmpx_gt_u32_e32 8, v36
; %bb.110:                              ;   in Loop: Header=BB259_10 Depth=1
	s_delay_alu instid0(VALU_DEP_3) | instskip(NEXT) | instid1(VALU_DEP_1)
	v_clz_i32_u32_e32 v34, v34
	v_min_u32_e32 v36, 32, v34
	s_delay_alu instid0(VALU_DEP_1) | instskip(NEXT) | instid1(VALU_DEP_1)
	v_subrev_nc_u32_e32 v34, 28, v36
	v_lshlrev_b64_e32 v[34:35], v34, v[1:2]
	v_sub_nc_u32_e32 v35, 29, v36
	s_delay_alu instid0(VALU_DEP_2)
	v_and_b32_e32 v34, 7, v34
; %bb.111:                              ;   in Loop: Header=BB259_10 Depth=1
	s_wait_alu 0xfffe
	s_or_b32 exec_lo, exec_lo, s35
	v_lshlrev_b32_e32 v36, 8, v1
	v_lshl_add_u32 v35, v35, 10, 0x2000
	v_lshlrev_b32_e32 v34, 7, v34
	s_delay_alu instid0(VALU_DEP_3) | instskip(NEXT) | instid1(VALU_DEP_3)
	v_and_b32_e32 v36, 0x8000, v36
	v_and_b32_e32 v35, 0xfc00, v35
	s_delay_alu instid0(VALU_DEP_1)
	v_or3_b32 v34, v36, v35, v34
.LBB259_112:                            ;   in Loop: Header=BB259_10 Depth=1
	s_wait_alu 0xfffe
	s_or_b32 exec_lo, exec_lo, s34
.LBB259_113:                            ;   in Loop: Header=BB259_10 Depth=1
	s_delay_alu instid0(SALU_CYCLE_1)
	s_or_b32 exec_lo, exec_lo, s33
.LBB259_114:                            ;   in Loop: Header=BB259_10 Depth=1
	s_wait_alu 0xfffe
	s_or_b32 exec_lo, exec_lo, s5
	v_lshrrev_b16 v1, 8, v1
	s_mov_b32 s5, exec_lo
	s_delay_alu instid0(VALU_DEP_1)
	v_cmpx_ne_u16_e32 0, v1
	s_cbranch_execz .LBB259_122
; %bb.115:                              ;   in Loop: Header=BB259_10 Depth=1
	v_bfrev_b32_e32 v33, 1
	s_mov_b32 s33, exec_lo
	v_cmpx_ne_u16_e32 0x80, v1
	s_cbranch_execz .LBB259_121
; %bb.116:                              ;   in Loop: Header=BB259_10 Depth=1
	v_and_b32_e32 v35, 0xffff, v1
	v_mov_b32_e32 v33, 0x7c010000
	s_mov_b32 s34, exec_lo
	s_delay_alu instid0(VALU_DEP_2) | instskip(NEXT) | instid1(VALU_DEP_1)
	v_and_b32_e32 v37, 0x7f, v35
	v_cmpx_ne_u32_e32 0x7f, v37
	s_cbranch_execz .LBB259_120
; %bb.117:                              ;   in Loop: Header=BB259_10 Depth=1
	v_and_b32_e32 v33, 7, v35
	v_lshrrev_b32_e32 v36, 3, v37
	s_mov_b32 s35, exec_lo
	v_cmpx_gt_u32_e32 8, v37
; %bb.118:                              ;   in Loop: Header=BB259_10 Depth=1
	s_delay_alu instid0(VALU_DEP_3) | instskip(NEXT) | instid1(VALU_DEP_1)
	v_clz_i32_u32_e32 v33, v33
	v_min_u32_e32 v33, 32, v33
	s_delay_alu instid0(VALU_DEP_1) | instskip(NEXT) | instid1(VALU_DEP_1)
	v_subrev_nc_u32_e32 v36, 28, v33
	v_lshlrev_b64_e32 v[37:38], v36, v[1:2]
	v_sub_nc_u32_e32 v36, 29, v33
	s_delay_alu instid0(VALU_DEP_2)
	v_and_b32_e32 v33, 7, v37
; %bb.119:                              ;   in Loop: Header=BB259_10 Depth=1
	s_wait_alu 0xfffe
	s_or_b32 exec_lo, exec_lo, s35
	v_lshlrev_b32_e32 v1, 8, v35
	v_lshl_add_u32 v35, v36, 10, 0x2000
	v_lshlrev_b32_e32 v33, 23, v33
	s_delay_alu instid0(VALU_DEP_2) | instskip(NEXT) | instid1(VALU_DEP_1)
	v_and_or_b32 v1, 0x8000, v1, v35
	v_lshl_or_b32 v33, v1, 16, v33
.LBB259_120:                            ;   in Loop: Header=BB259_10 Depth=1
	s_wait_alu 0xfffe
	s_or_b32 exec_lo, exec_lo, s34
.LBB259_121:                            ;   in Loop: Header=BB259_10 Depth=1
	s_delay_alu instid0(SALU_CYCLE_1)
	s_or_b32 exec_lo, exec_lo, s33
.LBB259_122:                            ;   in Loop: Header=BB259_10 Depth=1
	s_wait_alu 0xfffe
	s_or_b32 exec_lo, exec_lo, s5
	global_load_u16 v1, v[7:8], off offset:392
	s_wait_loadcnt 0x0
	v_dual_mov_b32 v35, 0 :: v_dual_and_b32 v36, 0xff, v1
	v_and_b32_e32 v1, 0xffff, v1
	s_delay_alu instid0(VALU_DEP_2)
	v_cmp_ne_u16_e64 s4, 0, v36
	v_mov_b32_e32 v36, 0
	s_and_saveexec_b32 s5, s4
	s_cbranch_execz .LBB259_130
; %bb.123:                              ;   in Loop: Header=BB259_10 Depth=1
	v_and_b32_e32 v36, 0xff, v1
	s_delay_alu instid0(VALU_DEP_1)
	v_cmp_ne_u16_e64 s4, 0x80, v36
	v_mov_b32_e32 v36, 0x8000
	s_and_saveexec_b32 s33, s4
	s_cbranch_execz .LBB259_129
; %bb.124:                              ;   in Loop: Header=BB259_10 Depth=1
	v_and_b32_e32 v38, 0x7f, v1
	v_mov_b32_e32 v36, 0x7c01
	s_mov_b32 s34, exec_lo
	s_delay_alu instid0(VALU_DEP_2)
	v_cmpx_ne_u32_e32 0x7f, v38
	s_cbranch_execz .LBB259_128
; %bb.125:                              ;   in Loop: Header=BB259_10 Depth=1
	v_and_b32_e32 v36, 7, v1
	v_lshrrev_b32_e32 v37, 3, v38
	s_mov_b32 s35, exec_lo
	v_cmpx_gt_u32_e32 8, v38
; %bb.126:                              ;   in Loop: Header=BB259_10 Depth=1
	s_delay_alu instid0(VALU_DEP_3) | instskip(NEXT) | instid1(VALU_DEP_1)
	v_clz_i32_u32_e32 v36, v36
	v_min_u32_e32 v38, 32, v36
	s_delay_alu instid0(VALU_DEP_1) | instskip(NEXT) | instid1(VALU_DEP_1)
	v_subrev_nc_u32_e32 v36, 28, v38
	v_lshlrev_b64_e32 v[36:37], v36, v[1:2]
	v_sub_nc_u32_e32 v37, 29, v38
	s_delay_alu instid0(VALU_DEP_2)
	v_and_b32_e32 v36, 7, v36
; %bb.127:                              ;   in Loop: Header=BB259_10 Depth=1
	s_wait_alu 0xfffe
	s_or_b32 exec_lo, exec_lo, s35
	v_lshlrev_b32_e32 v38, 8, v1
	v_lshl_add_u32 v37, v37, 10, 0x2000
	v_lshlrev_b32_e32 v36, 7, v36
	s_delay_alu instid0(VALU_DEP_3) | instskip(NEXT) | instid1(VALU_DEP_3)
	v_and_b32_e32 v38, 0x8000, v38
	v_and_b32_e32 v37, 0xfc00, v37
	s_delay_alu instid0(VALU_DEP_1)
	v_or3_b32 v36, v38, v37, v36
.LBB259_128:                            ;   in Loop: Header=BB259_10 Depth=1
	s_wait_alu 0xfffe
	s_or_b32 exec_lo, exec_lo, s34
.LBB259_129:                            ;   in Loop: Header=BB259_10 Depth=1
	s_delay_alu instid0(SALU_CYCLE_1)
	s_or_b32 exec_lo, exec_lo, s33
.LBB259_130:                            ;   in Loop: Header=BB259_10 Depth=1
	s_wait_alu 0xfffe
	s_or_b32 exec_lo, exec_lo, s5
	v_lshrrev_b16 v1, 8, v1
	s_mov_b32 s5, exec_lo
	s_delay_alu instid0(VALU_DEP_1)
	v_cmpx_ne_u16_e32 0, v1
	s_cbranch_execz .LBB259_138
; %bb.131:                              ;   in Loop: Header=BB259_10 Depth=1
	v_bfrev_b32_e32 v35, 1
	s_mov_b32 s33, exec_lo
	v_cmpx_ne_u16_e32 0x80, v1
	s_cbranch_execz .LBB259_137
; %bb.132:                              ;   in Loop: Header=BB259_10 Depth=1
	v_and_b32_e32 v37, 0xffff, v1
	v_mov_b32_e32 v35, 0x7c010000
	s_mov_b32 s34, exec_lo
	s_delay_alu instid0(VALU_DEP_2) | instskip(NEXT) | instid1(VALU_DEP_1)
	v_and_b32_e32 v39, 0x7f, v37
	v_cmpx_ne_u32_e32 0x7f, v39
	s_cbranch_execz .LBB259_136
; %bb.133:                              ;   in Loop: Header=BB259_10 Depth=1
	v_and_b32_e32 v35, 7, v37
	v_lshrrev_b32_e32 v38, 3, v39
	s_mov_b32 s35, exec_lo
	v_cmpx_gt_u32_e32 8, v39
; %bb.134:                              ;   in Loop: Header=BB259_10 Depth=1
	s_delay_alu instid0(VALU_DEP_3) | instskip(NEXT) | instid1(VALU_DEP_1)
	v_clz_i32_u32_e32 v35, v35
	v_min_u32_e32 v35, 32, v35
	s_delay_alu instid0(VALU_DEP_1) | instskip(NEXT) | instid1(VALU_DEP_1)
	v_subrev_nc_u32_e32 v38, 28, v35
	v_lshlrev_b64_e32 v[39:40], v38, v[1:2]
	v_sub_nc_u32_e32 v38, 29, v35
	s_delay_alu instid0(VALU_DEP_2)
	v_and_b32_e32 v35, 7, v39
; %bb.135:                              ;   in Loop: Header=BB259_10 Depth=1
	s_wait_alu 0xfffe
	s_or_b32 exec_lo, exec_lo, s35
	v_lshlrev_b32_e32 v1, 8, v37
	v_lshl_add_u32 v37, v38, 10, 0x2000
	v_lshlrev_b32_e32 v35, 23, v35
	s_delay_alu instid0(VALU_DEP_2) | instskip(NEXT) | instid1(VALU_DEP_1)
	v_and_or_b32 v1, 0x8000, v1, v37
	v_lshl_or_b32 v35, v1, 16, v35
.LBB259_136:                            ;   in Loop: Header=BB259_10 Depth=1
	s_wait_alu 0xfffe
	s_or_b32 exec_lo, exec_lo, s34
.LBB259_137:                            ;   in Loop: Header=BB259_10 Depth=1
	s_delay_alu instid0(SALU_CYCLE_1)
	s_or_b32 exec_lo, exec_lo, s33
.LBB259_138:                            ;   in Loop: Header=BB259_10 Depth=1
	s_wait_alu 0xfffe
	s_or_b32 exec_lo, exec_lo, s5
	global_load_u16 v1, v[7:8], off offset:512
	s_wait_loadcnt 0x0
	v_dual_mov_b32 v37, 0 :: v_dual_and_b32 v38, 0xff, v1
	v_and_b32_e32 v1, 0xffff, v1
	s_delay_alu instid0(VALU_DEP_2)
	v_cmp_ne_u16_e64 s4, 0, v38
	v_mov_b32_e32 v38, 0
	s_and_saveexec_b32 s5, s4
	s_cbranch_execz .LBB259_146
; %bb.139:                              ;   in Loop: Header=BB259_10 Depth=1
	v_and_b32_e32 v38, 0xff, v1
	s_delay_alu instid0(VALU_DEP_1)
	v_cmp_ne_u16_e64 s4, 0x80, v38
	v_mov_b32_e32 v38, 0x8000
	s_and_saveexec_b32 s33, s4
	s_cbranch_execz .LBB259_145
; %bb.140:                              ;   in Loop: Header=BB259_10 Depth=1
	v_and_b32_e32 v40, 0x7f, v1
	v_mov_b32_e32 v38, 0x7c01
	s_mov_b32 s34, exec_lo
	s_delay_alu instid0(VALU_DEP_2)
	v_cmpx_ne_u32_e32 0x7f, v40
	s_cbranch_execz .LBB259_144
; %bb.141:                              ;   in Loop: Header=BB259_10 Depth=1
	v_and_b32_e32 v38, 7, v1
	v_lshrrev_b32_e32 v39, 3, v40
	s_mov_b32 s35, exec_lo
	v_cmpx_gt_u32_e32 8, v40
; %bb.142:                              ;   in Loop: Header=BB259_10 Depth=1
	s_delay_alu instid0(VALU_DEP_3) | instskip(NEXT) | instid1(VALU_DEP_1)
	v_clz_i32_u32_e32 v38, v38
	v_min_u32_e32 v40, 32, v38
	s_delay_alu instid0(VALU_DEP_1) | instskip(NEXT) | instid1(VALU_DEP_1)
	v_subrev_nc_u32_e32 v38, 28, v40
	v_lshlrev_b64_e32 v[38:39], v38, v[1:2]
	v_sub_nc_u32_e32 v39, 29, v40
	s_delay_alu instid0(VALU_DEP_2)
	v_and_b32_e32 v38, 7, v38
; %bb.143:                              ;   in Loop: Header=BB259_10 Depth=1
	s_wait_alu 0xfffe
	s_or_b32 exec_lo, exec_lo, s35
	v_lshlrev_b32_e32 v40, 8, v1
	v_lshl_add_u32 v39, v39, 10, 0x2000
	v_lshlrev_b32_e32 v38, 7, v38
	s_delay_alu instid0(VALU_DEP_3) | instskip(NEXT) | instid1(VALU_DEP_3)
	v_and_b32_e32 v40, 0x8000, v40
	v_and_b32_e32 v39, 0xfc00, v39
	s_delay_alu instid0(VALU_DEP_1)
	v_or3_b32 v38, v40, v39, v38
.LBB259_144:                            ;   in Loop: Header=BB259_10 Depth=1
	s_wait_alu 0xfffe
	s_or_b32 exec_lo, exec_lo, s34
.LBB259_145:                            ;   in Loop: Header=BB259_10 Depth=1
	s_delay_alu instid0(SALU_CYCLE_1)
	s_or_b32 exec_lo, exec_lo, s33
.LBB259_146:                            ;   in Loop: Header=BB259_10 Depth=1
	s_wait_alu 0xfffe
	s_or_b32 exec_lo, exec_lo, s5
	v_lshrrev_b16 v1, 8, v1
	s_mov_b32 s5, exec_lo
	s_delay_alu instid0(VALU_DEP_1)
	v_cmpx_ne_u16_e32 0, v1
	s_cbranch_execz .LBB259_154
; %bb.147:                              ;   in Loop: Header=BB259_10 Depth=1
	v_bfrev_b32_e32 v37, 1
	s_mov_b32 s33, exec_lo
	v_cmpx_ne_u16_e32 0x80, v1
	s_cbranch_execz .LBB259_153
; %bb.148:                              ;   in Loop: Header=BB259_10 Depth=1
	v_and_b32_e32 v39, 0xffff, v1
	v_mov_b32_e32 v37, 0x7c010000
	s_mov_b32 s34, exec_lo
	s_delay_alu instid0(VALU_DEP_2) | instskip(NEXT) | instid1(VALU_DEP_1)
	v_and_b32_e32 v41, 0x7f, v39
	v_cmpx_ne_u32_e32 0x7f, v41
	s_cbranch_execz .LBB259_152
; %bb.149:                              ;   in Loop: Header=BB259_10 Depth=1
	v_and_b32_e32 v37, 7, v39
	v_lshrrev_b32_e32 v40, 3, v41
	s_mov_b32 s35, exec_lo
	v_cmpx_gt_u32_e32 8, v41
; %bb.150:                              ;   in Loop: Header=BB259_10 Depth=1
	s_delay_alu instid0(VALU_DEP_3) | instskip(NEXT) | instid1(VALU_DEP_1)
	v_clz_i32_u32_e32 v37, v37
	v_min_u32_e32 v37, 32, v37
	s_delay_alu instid0(VALU_DEP_1) | instskip(NEXT) | instid1(VALU_DEP_1)
	v_subrev_nc_u32_e32 v40, 28, v37
	v_lshlrev_b64_e32 v[41:42], v40, v[1:2]
	v_sub_nc_u32_e32 v40, 29, v37
	s_delay_alu instid0(VALU_DEP_2)
	v_and_b32_e32 v37, 7, v41
; %bb.151:                              ;   in Loop: Header=BB259_10 Depth=1
	s_wait_alu 0xfffe
	s_or_b32 exec_lo, exec_lo, s35
	v_lshlrev_b32_e32 v1, 8, v39
	v_lshl_add_u32 v39, v40, 10, 0x2000
	v_lshlrev_b32_e32 v37, 23, v37
	s_delay_alu instid0(VALU_DEP_2) | instskip(NEXT) | instid1(VALU_DEP_1)
	v_and_or_b32 v1, 0x8000, v1, v39
	v_lshl_or_b32 v37, v1, 16, v37
.LBB259_152:                            ;   in Loop: Header=BB259_10 Depth=1
	s_wait_alu 0xfffe
	s_or_b32 exec_lo, exec_lo, s34
.LBB259_153:                            ;   in Loop: Header=BB259_10 Depth=1
	s_delay_alu instid0(SALU_CYCLE_1)
	s_or_b32 exec_lo, exec_lo, s33
.LBB259_154:                            ;   in Loop: Header=BB259_10 Depth=1
	s_wait_alu 0xfffe
	s_or_b32 exec_lo, exec_lo, s5
	global_load_u16 v1, v[7:8], off offset:520
	s_wait_loadcnt 0x0
	v_dual_mov_b32 v39, 0 :: v_dual_and_b32 v40, 0xff, v1
	v_and_b32_e32 v1, 0xffff, v1
	s_delay_alu instid0(VALU_DEP_2)
	v_cmp_ne_u16_e64 s4, 0, v40
	v_mov_b32_e32 v40, 0
	s_and_saveexec_b32 s5, s4
	s_cbranch_execz .LBB259_162
; %bb.155:                              ;   in Loop: Header=BB259_10 Depth=1
	v_and_b32_e32 v40, 0xff, v1
	s_delay_alu instid0(VALU_DEP_1)
	v_cmp_ne_u16_e64 s4, 0x80, v40
	v_mov_b32_e32 v40, 0x8000
	s_and_saveexec_b32 s33, s4
	s_cbranch_execz .LBB259_161
; %bb.156:                              ;   in Loop: Header=BB259_10 Depth=1
	v_and_b32_e32 v42, 0x7f, v1
	v_mov_b32_e32 v40, 0x7c01
	s_mov_b32 s34, exec_lo
	s_delay_alu instid0(VALU_DEP_2)
	v_cmpx_ne_u32_e32 0x7f, v42
	s_cbranch_execz .LBB259_160
; %bb.157:                              ;   in Loop: Header=BB259_10 Depth=1
	v_and_b32_e32 v40, 7, v1
	v_lshrrev_b32_e32 v41, 3, v42
	s_mov_b32 s35, exec_lo
	v_cmpx_gt_u32_e32 8, v42
; %bb.158:                              ;   in Loop: Header=BB259_10 Depth=1
	s_delay_alu instid0(VALU_DEP_3) | instskip(NEXT) | instid1(VALU_DEP_1)
	v_clz_i32_u32_e32 v40, v40
	v_min_u32_e32 v42, 32, v40
	s_delay_alu instid0(VALU_DEP_1) | instskip(NEXT) | instid1(VALU_DEP_1)
	v_subrev_nc_u32_e32 v40, 28, v42
	v_lshlrev_b64_e32 v[40:41], v40, v[1:2]
	v_sub_nc_u32_e32 v41, 29, v42
	s_delay_alu instid0(VALU_DEP_2)
	v_and_b32_e32 v40, 7, v40
; %bb.159:                              ;   in Loop: Header=BB259_10 Depth=1
	s_wait_alu 0xfffe
	s_or_b32 exec_lo, exec_lo, s35
	v_lshlrev_b32_e32 v42, 8, v1
	v_lshl_add_u32 v41, v41, 10, 0x2000
	v_lshlrev_b32_e32 v40, 7, v40
	s_delay_alu instid0(VALU_DEP_3) | instskip(NEXT) | instid1(VALU_DEP_3)
	v_and_b32_e32 v42, 0x8000, v42
	v_and_b32_e32 v41, 0xfc00, v41
	s_delay_alu instid0(VALU_DEP_1)
	v_or3_b32 v40, v42, v41, v40
.LBB259_160:                            ;   in Loop: Header=BB259_10 Depth=1
	s_wait_alu 0xfffe
	s_or_b32 exec_lo, exec_lo, s34
.LBB259_161:                            ;   in Loop: Header=BB259_10 Depth=1
	s_delay_alu instid0(SALU_CYCLE_1)
	s_or_b32 exec_lo, exec_lo, s33
.LBB259_162:                            ;   in Loop: Header=BB259_10 Depth=1
	s_wait_alu 0xfffe
	s_or_b32 exec_lo, exec_lo, s5
	v_lshrrev_b16 v1, 8, v1
	s_mov_b32 s5, exec_lo
	s_delay_alu instid0(VALU_DEP_1)
	v_cmpx_ne_u16_e32 0, v1
	s_cbranch_execz .LBB259_170
; %bb.163:                              ;   in Loop: Header=BB259_10 Depth=1
	v_bfrev_b32_e32 v39, 1
	s_mov_b32 s33, exec_lo
	v_cmpx_ne_u16_e32 0x80, v1
	s_cbranch_execz .LBB259_169
; %bb.164:                              ;   in Loop: Header=BB259_10 Depth=1
	v_and_b32_e32 v41, 0xffff, v1
	v_mov_b32_e32 v39, 0x7c010000
	s_mov_b32 s34, exec_lo
	s_delay_alu instid0(VALU_DEP_2) | instskip(NEXT) | instid1(VALU_DEP_1)
	v_and_b32_e32 v43, 0x7f, v41
	v_cmpx_ne_u32_e32 0x7f, v43
	s_cbranch_execz .LBB259_168
; %bb.165:                              ;   in Loop: Header=BB259_10 Depth=1
	v_and_b32_e32 v39, 7, v41
	v_lshrrev_b32_e32 v42, 3, v43
	s_mov_b32 s35, exec_lo
	v_cmpx_gt_u32_e32 8, v43
; %bb.166:                              ;   in Loop: Header=BB259_10 Depth=1
	s_delay_alu instid0(VALU_DEP_3) | instskip(NEXT) | instid1(VALU_DEP_1)
	v_clz_i32_u32_e32 v39, v39
	v_min_u32_e32 v39, 32, v39
	s_delay_alu instid0(VALU_DEP_1) | instskip(NEXT) | instid1(VALU_DEP_1)
	v_subrev_nc_u32_e32 v42, 28, v39
	v_lshlrev_b64_e32 v[43:44], v42, v[1:2]
	v_sub_nc_u32_e32 v42, 29, v39
	s_delay_alu instid0(VALU_DEP_2)
	v_and_b32_e32 v39, 7, v43
; %bb.167:                              ;   in Loop: Header=BB259_10 Depth=1
	s_wait_alu 0xfffe
	s_or_b32 exec_lo, exec_lo, s35
	v_lshlrev_b32_e32 v1, 8, v41
	v_lshl_add_u32 v41, v42, 10, 0x2000
	v_lshlrev_b32_e32 v39, 23, v39
	s_delay_alu instid0(VALU_DEP_2) | instskip(NEXT) | instid1(VALU_DEP_1)
	v_and_or_b32 v1, 0x8000, v1, v41
	v_lshl_or_b32 v39, v1, 16, v39
.LBB259_168:                            ;   in Loop: Header=BB259_10 Depth=1
	s_wait_alu 0xfffe
	s_or_b32 exec_lo, exec_lo, s34
.LBB259_169:                            ;   in Loop: Header=BB259_10 Depth=1
	s_delay_alu instid0(SALU_CYCLE_1)
	s_or_b32 exec_lo, exec_lo, s33
.LBB259_170:                            ;   in Loop: Header=BB259_10 Depth=1
	s_wait_alu 0xfffe
	s_or_b32 exec_lo, exec_lo, s5
	global_load_u16 v1, v[7:8], off offset:640
	s_wait_loadcnt 0x0
	v_dual_mov_b32 v41, 0 :: v_dual_and_b32 v42, 0xff, v1
	v_and_b32_e32 v1, 0xffff, v1
	s_delay_alu instid0(VALU_DEP_2)
	v_cmp_ne_u16_e64 s4, 0, v42
	v_mov_b32_e32 v42, 0
	s_and_saveexec_b32 s5, s4
	s_cbranch_execz .LBB259_178
; %bb.171:                              ;   in Loop: Header=BB259_10 Depth=1
	v_and_b32_e32 v42, 0xff, v1
	s_delay_alu instid0(VALU_DEP_1)
	v_cmp_ne_u16_e64 s4, 0x80, v42
	v_mov_b32_e32 v42, 0x8000
	s_and_saveexec_b32 s33, s4
	s_cbranch_execz .LBB259_177
; %bb.172:                              ;   in Loop: Header=BB259_10 Depth=1
	v_and_b32_e32 v44, 0x7f, v1
	v_mov_b32_e32 v42, 0x7c01
	s_mov_b32 s34, exec_lo
	s_delay_alu instid0(VALU_DEP_2)
	v_cmpx_ne_u32_e32 0x7f, v44
	s_cbranch_execz .LBB259_176
; %bb.173:                              ;   in Loop: Header=BB259_10 Depth=1
	v_and_b32_e32 v42, 7, v1
	v_lshrrev_b32_e32 v43, 3, v44
	s_mov_b32 s35, exec_lo
	v_cmpx_gt_u32_e32 8, v44
; %bb.174:                              ;   in Loop: Header=BB259_10 Depth=1
	s_delay_alu instid0(VALU_DEP_3) | instskip(NEXT) | instid1(VALU_DEP_1)
	v_clz_i32_u32_e32 v42, v42
	v_min_u32_e32 v44, 32, v42
	s_delay_alu instid0(VALU_DEP_1) | instskip(NEXT) | instid1(VALU_DEP_1)
	v_subrev_nc_u32_e32 v42, 28, v44
	v_lshlrev_b64_e32 v[42:43], v42, v[1:2]
	v_sub_nc_u32_e32 v43, 29, v44
	s_delay_alu instid0(VALU_DEP_2)
	v_and_b32_e32 v42, 7, v42
; %bb.175:                              ;   in Loop: Header=BB259_10 Depth=1
	s_wait_alu 0xfffe
	s_or_b32 exec_lo, exec_lo, s35
	v_lshlrev_b32_e32 v44, 8, v1
	v_lshl_add_u32 v43, v43, 10, 0x2000
	v_lshlrev_b32_e32 v42, 7, v42
	s_delay_alu instid0(VALU_DEP_3) | instskip(NEXT) | instid1(VALU_DEP_3)
	v_and_b32_e32 v44, 0x8000, v44
	v_and_b32_e32 v43, 0xfc00, v43
	s_delay_alu instid0(VALU_DEP_1)
	v_or3_b32 v42, v44, v43, v42
.LBB259_176:                            ;   in Loop: Header=BB259_10 Depth=1
	s_wait_alu 0xfffe
	s_or_b32 exec_lo, exec_lo, s34
.LBB259_177:                            ;   in Loop: Header=BB259_10 Depth=1
	s_delay_alu instid0(SALU_CYCLE_1)
	s_or_b32 exec_lo, exec_lo, s33
.LBB259_178:                            ;   in Loop: Header=BB259_10 Depth=1
	s_wait_alu 0xfffe
	s_or_b32 exec_lo, exec_lo, s5
	v_lshrrev_b16 v1, 8, v1
	s_mov_b32 s5, exec_lo
	s_delay_alu instid0(VALU_DEP_1)
	v_cmpx_ne_u16_e32 0, v1
	s_cbranch_execz .LBB259_186
; %bb.179:                              ;   in Loop: Header=BB259_10 Depth=1
	v_bfrev_b32_e32 v41, 1
	s_mov_b32 s33, exec_lo
	v_cmpx_ne_u16_e32 0x80, v1
	s_cbranch_execz .LBB259_185
; %bb.180:                              ;   in Loop: Header=BB259_10 Depth=1
	v_and_b32_e32 v43, 0xffff, v1
	v_mov_b32_e32 v41, 0x7c010000
	s_mov_b32 s34, exec_lo
	s_delay_alu instid0(VALU_DEP_2) | instskip(NEXT) | instid1(VALU_DEP_1)
	v_and_b32_e32 v45, 0x7f, v43
	v_cmpx_ne_u32_e32 0x7f, v45
	s_cbranch_execz .LBB259_184
; %bb.181:                              ;   in Loop: Header=BB259_10 Depth=1
	v_and_b32_e32 v41, 7, v43
	v_lshrrev_b32_e32 v44, 3, v45
	s_mov_b32 s35, exec_lo
	v_cmpx_gt_u32_e32 8, v45
; %bb.182:                              ;   in Loop: Header=BB259_10 Depth=1
	s_delay_alu instid0(VALU_DEP_3) | instskip(NEXT) | instid1(VALU_DEP_1)
	v_clz_i32_u32_e32 v41, v41
	v_min_u32_e32 v41, 32, v41
	s_delay_alu instid0(VALU_DEP_1) | instskip(NEXT) | instid1(VALU_DEP_1)
	v_subrev_nc_u32_e32 v44, 28, v41
	v_lshlrev_b64_e32 v[45:46], v44, v[1:2]
	v_sub_nc_u32_e32 v44, 29, v41
	s_delay_alu instid0(VALU_DEP_2)
	v_and_b32_e32 v41, 7, v45
; %bb.183:                              ;   in Loop: Header=BB259_10 Depth=1
	s_wait_alu 0xfffe
	s_or_b32 exec_lo, exec_lo, s35
	v_lshlrev_b32_e32 v1, 8, v43
	v_lshl_add_u32 v43, v44, 10, 0x2000
	v_lshlrev_b32_e32 v41, 23, v41
	s_delay_alu instid0(VALU_DEP_2) | instskip(NEXT) | instid1(VALU_DEP_1)
	v_and_or_b32 v1, 0x8000, v1, v43
	v_lshl_or_b32 v41, v1, 16, v41
.LBB259_184:                            ;   in Loop: Header=BB259_10 Depth=1
	s_wait_alu 0xfffe
	s_or_b32 exec_lo, exec_lo, s34
.LBB259_185:                            ;   in Loop: Header=BB259_10 Depth=1
	s_delay_alu instid0(SALU_CYCLE_1)
	s_or_b32 exec_lo, exec_lo, s33
.LBB259_186:                            ;   in Loop: Header=BB259_10 Depth=1
	s_wait_alu 0xfffe
	s_or_b32 exec_lo, exec_lo, s5
	global_load_u16 v1, v[7:8], off offset:648
	s_wait_loadcnt 0x0
	v_dual_mov_b32 v43, 0 :: v_dual_and_b32 v44, 0xff, v1
	v_and_b32_e32 v1, 0xffff, v1
	s_delay_alu instid0(VALU_DEP_2)
	v_cmp_ne_u16_e64 s4, 0, v44
	v_mov_b32_e32 v44, 0
	s_and_saveexec_b32 s5, s4
	s_cbranch_execz .LBB259_194
; %bb.187:                              ;   in Loop: Header=BB259_10 Depth=1
	v_and_b32_e32 v44, 0xff, v1
	s_delay_alu instid0(VALU_DEP_1)
	v_cmp_ne_u16_e64 s4, 0x80, v44
	v_mov_b32_e32 v44, 0x8000
	s_and_saveexec_b32 s33, s4
	s_cbranch_execz .LBB259_193
; %bb.188:                              ;   in Loop: Header=BB259_10 Depth=1
	v_and_b32_e32 v46, 0x7f, v1
	v_mov_b32_e32 v44, 0x7c01
	s_mov_b32 s34, exec_lo
	s_delay_alu instid0(VALU_DEP_2)
	v_cmpx_ne_u32_e32 0x7f, v46
	s_cbranch_execz .LBB259_192
; %bb.189:                              ;   in Loop: Header=BB259_10 Depth=1
	v_and_b32_e32 v44, 7, v1
	v_lshrrev_b32_e32 v45, 3, v46
	s_mov_b32 s35, exec_lo
	v_cmpx_gt_u32_e32 8, v46
; %bb.190:                              ;   in Loop: Header=BB259_10 Depth=1
	s_delay_alu instid0(VALU_DEP_3) | instskip(NEXT) | instid1(VALU_DEP_1)
	v_clz_i32_u32_e32 v44, v44
	v_min_u32_e32 v46, 32, v44
	s_delay_alu instid0(VALU_DEP_1) | instskip(NEXT) | instid1(VALU_DEP_1)
	v_subrev_nc_u32_e32 v44, 28, v46
	v_lshlrev_b64_e32 v[44:45], v44, v[1:2]
	v_sub_nc_u32_e32 v45, 29, v46
	s_delay_alu instid0(VALU_DEP_2)
	v_and_b32_e32 v44, 7, v44
; %bb.191:                              ;   in Loop: Header=BB259_10 Depth=1
	s_wait_alu 0xfffe
	s_or_b32 exec_lo, exec_lo, s35
	v_lshlrev_b32_e32 v46, 8, v1
	v_lshl_add_u32 v45, v45, 10, 0x2000
	v_lshlrev_b32_e32 v44, 7, v44
	s_delay_alu instid0(VALU_DEP_3) | instskip(NEXT) | instid1(VALU_DEP_3)
	v_and_b32_e32 v46, 0x8000, v46
	v_and_b32_e32 v45, 0xfc00, v45
	s_delay_alu instid0(VALU_DEP_1)
	v_or3_b32 v44, v46, v45, v44
.LBB259_192:                            ;   in Loop: Header=BB259_10 Depth=1
	s_wait_alu 0xfffe
	s_or_b32 exec_lo, exec_lo, s34
.LBB259_193:                            ;   in Loop: Header=BB259_10 Depth=1
	s_delay_alu instid0(SALU_CYCLE_1)
	s_or_b32 exec_lo, exec_lo, s33
.LBB259_194:                            ;   in Loop: Header=BB259_10 Depth=1
	s_wait_alu 0xfffe
	s_or_b32 exec_lo, exec_lo, s5
	v_lshrrev_b16 v1, 8, v1
	s_mov_b32 s5, exec_lo
	s_delay_alu instid0(VALU_DEP_1)
	v_cmpx_ne_u16_e32 0, v1
	s_cbranch_execz .LBB259_202
; %bb.195:                              ;   in Loop: Header=BB259_10 Depth=1
	v_bfrev_b32_e32 v43, 1
	s_mov_b32 s33, exec_lo
	v_cmpx_ne_u16_e32 0x80, v1
	s_cbranch_execz .LBB259_201
; %bb.196:                              ;   in Loop: Header=BB259_10 Depth=1
	v_and_b32_e32 v45, 0xffff, v1
	v_mov_b32_e32 v43, 0x7c010000
	s_mov_b32 s34, exec_lo
	s_delay_alu instid0(VALU_DEP_2) | instskip(NEXT) | instid1(VALU_DEP_1)
	v_and_b32_e32 v47, 0x7f, v45
	v_cmpx_ne_u32_e32 0x7f, v47
	s_cbranch_execz .LBB259_200
; %bb.197:                              ;   in Loop: Header=BB259_10 Depth=1
	v_and_b32_e32 v43, 7, v45
	v_lshrrev_b32_e32 v46, 3, v47
	s_mov_b32 s35, exec_lo
	v_cmpx_gt_u32_e32 8, v47
; %bb.198:                              ;   in Loop: Header=BB259_10 Depth=1
	s_delay_alu instid0(VALU_DEP_3) | instskip(NEXT) | instid1(VALU_DEP_1)
	v_clz_i32_u32_e32 v43, v43
	v_min_u32_e32 v43, 32, v43
	s_delay_alu instid0(VALU_DEP_1) | instskip(NEXT) | instid1(VALU_DEP_1)
	v_subrev_nc_u32_e32 v46, 28, v43
	v_lshlrev_b64_e32 v[47:48], v46, v[1:2]
	v_sub_nc_u32_e32 v46, 29, v43
	s_delay_alu instid0(VALU_DEP_2)
	v_and_b32_e32 v43, 7, v47
; %bb.199:                              ;   in Loop: Header=BB259_10 Depth=1
	s_wait_alu 0xfffe
	s_or_b32 exec_lo, exec_lo, s35
	v_lshlrev_b32_e32 v1, 8, v45
	v_lshl_add_u32 v45, v46, 10, 0x2000
	v_lshlrev_b32_e32 v43, 23, v43
	s_delay_alu instid0(VALU_DEP_2) | instskip(NEXT) | instid1(VALU_DEP_1)
	v_and_or_b32 v1, 0x8000, v1, v45
	v_lshl_or_b32 v43, v1, 16, v43
.LBB259_200:                            ;   in Loop: Header=BB259_10 Depth=1
	s_wait_alu 0xfffe
	s_or_b32 exec_lo, exec_lo, s34
.LBB259_201:                            ;   in Loop: Header=BB259_10 Depth=1
	s_delay_alu instid0(SALU_CYCLE_1)
	s_or_b32 exec_lo, exec_lo, s33
.LBB259_202:                            ;   in Loop: Header=BB259_10 Depth=1
	s_wait_alu 0xfffe
	s_or_b32 exec_lo, exec_lo, s5
	global_load_u16 v1, v[7:8], off offset:768
	s_wait_loadcnt 0x0
	v_dual_mov_b32 v45, 0 :: v_dual_and_b32 v46, 0xff, v1
	v_and_b32_e32 v1, 0xffff, v1
	s_delay_alu instid0(VALU_DEP_2)
	v_cmp_ne_u16_e64 s4, 0, v46
	v_mov_b32_e32 v46, 0
	s_and_saveexec_b32 s5, s4
	s_cbranch_execz .LBB259_210
; %bb.203:                              ;   in Loop: Header=BB259_10 Depth=1
	v_and_b32_e32 v46, 0xff, v1
	s_delay_alu instid0(VALU_DEP_1)
	v_cmp_ne_u16_e64 s4, 0x80, v46
	v_mov_b32_e32 v46, 0x8000
	s_and_saveexec_b32 s33, s4
	s_cbranch_execz .LBB259_209
; %bb.204:                              ;   in Loop: Header=BB259_10 Depth=1
	v_and_b32_e32 v48, 0x7f, v1
	v_mov_b32_e32 v46, 0x7c01
	s_mov_b32 s34, exec_lo
	s_delay_alu instid0(VALU_DEP_2)
	v_cmpx_ne_u32_e32 0x7f, v48
	s_cbranch_execz .LBB259_208
; %bb.205:                              ;   in Loop: Header=BB259_10 Depth=1
	v_and_b32_e32 v46, 7, v1
	v_lshrrev_b32_e32 v47, 3, v48
	s_mov_b32 s35, exec_lo
	v_cmpx_gt_u32_e32 8, v48
; %bb.206:                              ;   in Loop: Header=BB259_10 Depth=1
	s_delay_alu instid0(VALU_DEP_3) | instskip(NEXT) | instid1(VALU_DEP_1)
	v_clz_i32_u32_e32 v46, v46
	v_min_u32_e32 v48, 32, v46
	s_delay_alu instid0(VALU_DEP_1) | instskip(NEXT) | instid1(VALU_DEP_1)
	v_subrev_nc_u32_e32 v46, 28, v48
	v_lshlrev_b64_e32 v[46:47], v46, v[1:2]
	v_sub_nc_u32_e32 v47, 29, v48
	s_delay_alu instid0(VALU_DEP_2)
	v_and_b32_e32 v46, 7, v46
; %bb.207:                              ;   in Loop: Header=BB259_10 Depth=1
	s_wait_alu 0xfffe
	s_or_b32 exec_lo, exec_lo, s35
	v_lshlrev_b32_e32 v48, 8, v1
	v_lshl_add_u32 v47, v47, 10, 0x2000
	v_lshlrev_b32_e32 v46, 7, v46
	s_delay_alu instid0(VALU_DEP_3) | instskip(NEXT) | instid1(VALU_DEP_3)
	v_and_b32_e32 v48, 0x8000, v48
	v_and_b32_e32 v47, 0xfc00, v47
	s_delay_alu instid0(VALU_DEP_1)
	v_or3_b32 v46, v48, v47, v46
.LBB259_208:                            ;   in Loop: Header=BB259_10 Depth=1
	s_wait_alu 0xfffe
	s_or_b32 exec_lo, exec_lo, s34
.LBB259_209:                            ;   in Loop: Header=BB259_10 Depth=1
	s_delay_alu instid0(SALU_CYCLE_1)
	s_or_b32 exec_lo, exec_lo, s33
.LBB259_210:                            ;   in Loop: Header=BB259_10 Depth=1
	s_wait_alu 0xfffe
	s_or_b32 exec_lo, exec_lo, s5
	v_lshrrev_b16 v1, 8, v1
	s_mov_b32 s5, exec_lo
	s_delay_alu instid0(VALU_DEP_1)
	v_cmpx_ne_u16_e32 0, v1
	s_cbranch_execz .LBB259_218
; %bb.211:                              ;   in Loop: Header=BB259_10 Depth=1
	v_bfrev_b32_e32 v45, 1
	s_mov_b32 s33, exec_lo
	v_cmpx_ne_u16_e32 0x80, v1
	s_cbranch_execz .LBB259_217
; %bb.212:                              ;   in Loop: Header=BB259_10 Depth=1
	v_and_b32_e32 v47, 0xffff, v1
	v_mov_b32_e32 v45, 0x7c010000
	s_mov_b32 s34, exec_lo
	s_delay_alu instid0(VALU_DEP_2) | instskip(NEXT) | instid1(VALU_DEP_1)
	v_and_b32_e32 v49, 0x7f, v47
	v_cmpx_ne_u32_e32 0x7f, v49
	s_cbranch_execz .LBB259_216
; %bb.213:                              ;   in Loop: Header=BB259_10 Depth=1
	v_and_b32_e32 v45, 7, v47
	v_lshrrev_b32_e32 v48, 3, v49
	s_mov_b32 s35, exec_lo
	v_cmpx_gt_u32_e32 8, v49
; %bb.214:                              ;   in Loop: Header=BB259_10 Depth=1
	s_delay_alu instid0(VALU_DEP_3) | instskip(NEXT) | instid1(VALU_DEP_1)
	v_clz_i32_u32_e32 v45, v45
	v_min_u32_e32 v45, 32, v45
	s_delay_alu instid0(VALU_DEP_1) | instskip(NEXT) | instid1(VALU_DEP_1)
	v_subrev_nc_u32_e32 v48, 28, v45
	v_lshlrev_b64_e32 v[49:50], v48, v[1:2]
	v_sub_nc_u32_e32 v48, 29, v45
	s_delay_alu instid0(VALU_DEP_2)
	v_and_b32_e32 v45, 7, v49
; %bb.215:                              ;   in Loop: Header=BB259_10 Depth=1
	s_wait_alu 0xfffe
	s_or_b32 exec_lo, exec_lo, s35
	v_lshlrev_b32_e32 v1, 8, v47
	v_lshl_add_u32 v47, v48, 10, 0x2000
	v_lshlrev_b32_e32 v45, 23, v45
	s_delay_alu instid0(VALU_DEP_2) | instskip(NEXT) | instid1(VALU_DEP_1)
	v_and_or_b32 v1, 0x8000, v1, v47
	v_lshl_or_b32 v45, v1, 16, v45
.LBB259_216:                            ;   in Loop: Header=BB259_10 Depth=1
	s_wait_alu 0xfffe
	s_or_b32 exec_lo, exec_lo, s34
.LBB259_217:                            ;   in Loop: Header=BB259_10 Depth=1
	s_delay_alu instid0(SALU_CYCLE_1)
	s_or_b32 exec_lo, exec_lo, s33
.LBB259_218:                            ;   in Loop: Header=BB259_10 Depth=1
	s_wait_alu 0xfffe
	s_or_b32 exec_lo, exec_lo, s5
	global_load_u16 v1, v[7:8], off offset:776
	s_wait_loadcnt 0x0
	v_dual_mov_b32 v47, 0 :: v_dual_and_b32 v48, 0xff, v1
	v_and_b32_e32 v1, 0xffff, v1
	s_delay_alu instid0(VALU_DEP_2)
	v_cmp_ne_u16_e64 s4, 0, v48
	v_mov_b32_e32 v48, 0
	s_and_saveexec_b32 s5, s4
	s_cbranch_execz .LBB259_226
; %bb.219:                              ;   in Loop: Header=BB259_10 Depth=1
	v_and_b32_e32 v48, 0xff, v1
	s_delay_alu instid0(VALU_DEP_1)
	v_cmp_ne_u16_e64 s4, 0x80, v48
	v_mov_b32_e32 v48, 0x8000
	s_and_saveexec_b32 s33, s4
	s_cbranch_execz .LBB259_225
; %bb.220:                              ;   in Loop: Header=BB259_10 Depth=1
	v_and_b32_e32 v50, 0x7f, v1
	v_mov_b32_e32 v48, 0x7c01
	s_mov_b32 s34, exec_lo
	s_delay_alu instid0(VALU_DEP_2)
	v_cmpx_ne_u32_e32 0x7f, v50
	s_cbranch_execz .LBB259_224
; %bb.221:                              ;   in Loop: Header=BB259_10 Depth=1
	v_and_b32_e32 v48, 7, v1
	v_lshrrev_b32_e32 v49, 3, v50
	s_mov_b32 s35, exec_lo
	v_cmpx_gt_u32_e32 8, v50
; %bb.222:                              ;   in Loop: Header=BB259_10 Depth=1
	s_delay_alu instid0(VALU_DEP_3) | instskip(NEXT) | instid1(VALU_DEP_1)
	v_clz_i32_u32_e32 v48, v48
	v_min_u32_e32 v50, 32, v48
	s_delay_alu instid0(VALU_DEP_1) | instskip(NEXT) | instid1(VALU_DEP_1)
	v_subrev_nc_u32_e32 v48, 28, v50
	v_lshlrev_b64_e32 v[48:49], v48, v[1:2]
	v_sub_nc_u32_e32 v49, 29, v50
	s_delay_alu instid0(VALU_DEP_2)
	v_and_b32_e32 v48, 7, v48
; %bb.223:                              ;   in Loop: Header=BB259_10 Depth=1
	s_wait_alu 0xfffe
	s_or_b32 exec_lo, exec_lo, s35
	v_lshlrev_b32_e32 v50, 8, v1
	v_lshl_add_u32 v49, v49, 10, 0x2000
	v_lshlrev_b32_e32 v48, 7, v48
	s_delay_alu instid0(VALU_DEP_3) | instskip(NEXT) | instid1(VALU_DEP_3)
	v_and_b32_e32 v50, 0x8000, v50
	v_and_b32_e32 v49, 0xfc00, v49
	s_delay_alu instid0(VALU_DEP_1)
	v_or3_b32 v48, v50, v49, v48
.LBB259_224:                            ;   in Loop: Header=BB259_10 Depth=1
	s_wait_alu 0xfffe
	s_or_b32 exec_lo, exec_lo, s34
.LBB259_225:                            ;   in Loop: Header=BB259_10 Depth=1
	s_delay_alu instid0(SALU_CYCLE_1)
	s_or_b32 exec_lo, exec_lo, s33
.LBB259_226:                            ;   in Loop: Header=BB259_10 Depth=1
	s_wait_alu 0xfffe
	s_or_b32 exec_lo, exec_lo, s5
	v_lshrrev_b16 v1, 8, v1
	s_mov_b32 s5, exec_lo
	s_delay_alu instid0(VALU_DEP_1)
	v_cmpx_ne_u16_e32 0, v1
	s_cbranch_execz .LBB259_234
; %bb.227:                              ;   in Loop: Header=BB259_10 Depth=1
	v_bfrev_b32_e32 v47, 1
	s_mov_b32 s33, exec_lo
	v_cmpx_ne_u16_e32 0x80, v1
	s_cbranch_execz .LBB259_233
; %bb.228:                              ;   in Loop: Header=BB259_10 Depth=1
	v_and_b32_e32 v49, 0xffff, v1
	v_mov_b32_e32 v47, 0x7c010000
	s_mov_b32 s34, exec_lo
	s_delay_alu instid0(VALU_DEP_2) | instskip(NEXT) | instid1(VALU_DEP_1)
	v_and_b32_e32 v51, 0x7f, v49
	v_cmpx_ne_u32_e32 0x7f, v51
	s_cbranch_execz .LBB259_232
; %bb.229:                              ;   in Loop: Header=BB259_10 Depth=1
	v_and_b32_e32 v47, 7, v49
	v_lshrrev_b32_e32 v50, 3, v51
	s_mov_b32 s35, exec_lo
	v_cmpx_gt_u32_e32 8, v51
; %bb.230:                              ;   in Loop: Header=BB259_10 Depth=1
	s_delay_alu instid0(VALU_DEP_3) | instskip(NEXT) | instid1(VALU_DEP_1)
	v_clz_i32_u32_e32 v47, v47
	v_min_u32_e32 v47, 32, v47
	s_delay_alu instid0(VALU_DEP_1) | instskip(NEXT) | instid1(VALU_DEP_1)
	v_subrev_nc_u32_e32 v50, 28, v47
	v_lshlrev_b64_e32 v[51:52], v50, v[1:2]
	v_sub_nc_u32_e32 v50, 29, v47
	s_delay_alu instid0(VALU_DEP_2)
	v_and_b32_e32 v47, 7, v51
; %bb.231:                              ;   in Loop: Header=BB259_10 Depth=1
	s_wait_alu 0xfffe
	s_or_b32 exec_lo, exec_lo, s35
	v_lshlrev_b32_e32 v1, 8, v49
	v_lshl_add_u32 v49, v50, 10, 0x2000
	v_lshlrev_b32_e32 v47, 23, v47
	s_delay_alu instid0(VALU_DEP_2) | instskip(NEXT) | instid1(VALU_DEP_1)
	v_and_or_b32 v1, 0x8000, v1, v49
	v_lshl_or_b32 v47, v1, 16, v47
.LBB259_232:                            ;   in Loop: Header=BB259_10 Depth=1
	s_wait_alu 0xfffe
	s_or_b32 exec_lo, exec_lo, s34
.LBB259_233:                            ;   in Loop: Header=BB259_10 Depth=1
	s_delay_alu instid0(SALU_CYCLE_1)
	s_or_b32 exec_lo, exec_lo, s33
.LBB259_234:                            ;   in Loop: Header=BB259_10 Depth=1
	s_wait_alu 0xfffe
	s_or_b32 exec_lo, exec_lo, s5
	global_load_u16 v1, v[7:8], off offset:896
	s_wait_loadcnt 0x0
	v_dual_mov_b32 v49, 0 :: v_dual_and_b32 v50, 0xff, v1
	v_and_b32_e32 v1, 0xffff, v1
	s_delay_alu instid0(VALU_DEP_2)
	v_cmp_ne_u16_e64 s4, 0, v50
	v_mov_b32_e32 v50, 0
	s_and_saveexec_b32 s5, s4
	s_cbranch_execz .LBB259_242
; %bb.235:                              ;   in Loop: Header=BB259_10 Depth=1
	v_and_b32_e32 v50, 0xff, v1
	s_delay_alu instid0(VALU_DEP_1)
	v_cmp_ne_u16_e64 s4, 0x80, v50
	v_mov_b32_e32 v50, 0x8000
	s_and_saveexec_b32 s33, s4
	s_cbranch_execz .LBB259_241
; %bb.236:                              ;   in Loop: Header=BB259_10 Depth=1
	v_and_b32_e32 v52, 0x7f, v1
	v_mov_b32_e32 v50, 0x7c01
	s_mov_b32 s34, exec_lo
	s_delay_alu instid0(VALU_DEP_2)
	v_cmpx_ne_u32_e32 0x7f, v52
	s_cbranch_execz .LBB259_240
; %bb.237:                              ;   in Loop: Header=BB259_10 Depth=1
	v_and_b32_e32 v50, 7, v1
	v_lshrrev_b32_e32 v51, 3, v52
	s_mov_b32 s35, exec_lo
	v_cmpx_gt_u32_e32 8, v52
; %bb.238:                              ;   in Loop: Header=BB259_10 Depth=1
	s_delay_alu instid0(VALU_DEP_3) | instskip(NEXT) | instid1(VALU_DEP_1)
	v_clz_i32_u32_e32 v50, v50
	v_min_u32_e32 v52, 32, v50
	s_delay_alu instid0(VALU_DEP_1) | instskip(NEXT) | instid1(VALU_DEP_1)
	v_subrev_nc_u32_e32 v50, 28, v52
	v_lshlrev_b64_e32 v[50:51], v50, v[1:2]
	v_sub_nc_u32_e32 v51, 29, v52
	s_delay_alu instid0(VALU_DEP_2)
	v_and_b32_e32 v50, 7, v50
; %bb.239:                              ;   in Loop: Header=BB259_10 Depth=1
	s_wait_alu 0xfffe
	s_or_b32 exec_lo, exec_lo, s35
	v_lshlrev_b32_e32 v52, 8, v1
	v_lshl_add_u32 v51, v51, 10, 0x2000
	v_lshlrev_b32_e32 v50, 7, v50
	s_delay_alu instid0(VALU_DEP_3) | instskip(NEXT) | instid1(VALU_DEP_3)
	v_and_b32_e32 v52, 0x8000, v52
	v_and_b32_e32 v51, 0xfc00, v51
	s_delay_alu instid0(VALU_DEP_1)
	v_or3_b32 v50, v52, v51, v50
.LBB259_240:                            ;   in Loop: Header=BB259_10 Depth=1
	s_wait_alu 0xfffe
	s_or_b32 exec_lo, exec_lo, s34
.LBB259_241:                            ;   in Loop: Header=BB259_10 Depth=1
	s_delay_alu instid0(SALU_CYCLE_1)
	s_or_b32 exec_lo, exec_lo, s33
.LBB259_242:                            ;   in Loop: Header=BB259_10 Depth=1
	s_wait_alu 0xfffe
	s_or_b32 exec_lo, exec_lo, s5
	v_lshrrev_b16 v1, 8, v1
	s_mov_b32 s5, exec_lo
	s_delay_alu instid0(VALU_DEP_1)
	v_cmpx_ne_u16_e32 0, v1
	s_cbranch_execz .LBB259_250
; %bb.243:                              ;   in Loop: Header=BB259_10 Depth=1
	v_bfrev_b32_e32 v49, 1
	s_mov_b32 s33, exec_lo
	v_cmpx_ne_u16_e32 0x80, v1
	s_cbranch_execz .LBB259_249
; %bb.244:                              ;   in Loop: Header=BB259_10 Depth=1
	v_and_b32_e32 v51, 0xffff, v1
	v_mov_b32_e32 v49, 0x7c010000
	s_mov_b32 s34, exec_lo
	s_delay_alu instid0(VALU_DEP_2) | instskip(NEXT) | instid1(VALU_DEP_1)
	v_and_b32_e32 v53, 0x7f, v51
	v_cmpx_ne_u32_e32 0x7f, v53
	s_cbranch_execz .LBB259_248
; %bb.245:                              ;   in Loop: Header=BB259_10 Depth=1
	v_and_b32_e32 v49, 7, v51
	v_lshrrev_b32_e32 v52, 3, v53
	s_mov_b32 s35, exec_lo
	v_cmpx_gt_u32_e32 8, v53
; %bb.246:                              ;   in Loop: Header=BB259_10 Depth=1
	s_delay_alu instid0(VALU_DEP_3) | instskip(NEXT) | instid1(VALU_DEP_1)
	v_clz_i32_u32_e32 v49, v49
	v_min_u32_e32 v49, 32, v49
	s_delay_alu instid0(VALU_DEP_1) | instskip(NEXT) | instid1(VALU_DEP_1)
	v_subrev_nc_u32_e32 v52, 28, v49
	v_lshlrev_b64_e32 v[53:54], v52, v[1:2]
	v_sub_nc_u32_e32 v52, 29, v49
	s_delay_alu instid0(VALU_DEP_2)
	v_and_b32_e32 v49, 7, v53
; %bb.247:                              ;   in Loop: Header=BB259_10 Depth=1
	s_wait_alu 0xfffe
	s_or_b32 exec_lo, exec_lo, s35
	v_lshlrev_b32_e32 v1, 8, v51
	v_lshl_add_u32 v51, v52, 10, 0x2000
	v_lshlrev_b32_e32 v49, 23, v49
	s_delay_alu instid0(VALU_DEP_2) | instskip(NEXT) | instid1(VALU_DEP_1)
	v_and_or_b32 v1, 0x8000, v1, v51
	v_lshl_or_b32 v49, v1, 16, v49
.LBB259_248:                            ;   in Loop: Header=BB259_10 Depth=1
	s_wait_alu 0xfffe
	s_or_b32 exec_lo, exec_lo, s34
.LBB259_249:                            ;   in Loop: Header=BB259_10 Depth=1
	s_delay_alu instid0(SALU_CYCLE_1)
	s_or_b32 exec_lo, exec_lo, s33
.LBB259_250:                            ;   in Loop: Header=BB259_10 Depth=1
	s_wait_alu 0xfffe
	s_or_b32 exec_lo, exec_lo, s5
	global_load_u16 v1, v[7:8], off offset:904
	s_wait_loadcnt 0x0
	v_dual_mov_b32 v51, 0 :: v_dual_and_b32 v52, 0xff, v1
	v_and_b32_e32 v1, 0xffff, v1
	s_delay_alu instid0(VALU_DEP_2)
	v_cmp_ne_u16_e64 s4, 0, v52
	v_mov_b32_e32 v52, 0
	s_and_saveexec_b32 s5, s4
	s_cbranch_execz .LBB259_258
; %bb.251:                              ;   in Loop: Header=BB259_10 Depth=1
	v_and_b32_e32 v52, 0xff, v1
	s_delay_alu instid0(VALU_DEP_1)
	v_cmp_ne_u16_e64 s4, 0x80, v52
	v_mov_b32_e32 v52, 0x8000
	s_and_saveexec_b32 s33, s4
	s_cbranch_execz .LBB259_257
; %bb.252:                              ;   in Loop: Header=BB259_10 Depth=1
	v_and_b32_e32 v54, 0x7f, v1
	v_mov_b32_e32 v52, 0x7c01
	s_mov_b32 s34, exec_lo
	s_delay_alu instid0(VALU_DEP_2)
	v_cmpx_ne_u32_e32 0x7f, v54
	s_cbranch_execz .LBB259_256
; %bb.253:                              ;   in Loop: Header=BB259_10 Depth=1
	v_and_b32_e32 v52, 7, v1
	v_lshrrev_b32_e32 v53, 3, v54
	s_mov_b32 s35, exec_lo
	v_cmpx_gt_u32_e32 8, v54
; %bb.254:                              ;   in Loop: Header=BB259_10 Depth=1
	s_delay_alu instid0(VALU_DEP_3) | instskip(NEXT) | instid1(VALU_DEP_1)
	v_clz_i32_u32_e32 v52, v52
	v_min_u32_e32 v54, 32, v52
	s_delay_alu instid0(VALU_DEP_1) | instskip(NEXT) | instid1(VALU_DEP_1)
	v_subrev_nc_u32_e32 v52, 28, v54
	v_lshlrev_b64_e32 v[52:53], v52, v[1:2]
	v_sub_nc_u32_e32 v53, 29, v54
	s_delay_alu instid0(VALU_DEP_2)
	v_and_b32_e32 v52, 7, v52
; %bb.255:                              ;   in Loop: Header=BB259_10 Depth=1
	s_wait_alu 0xfffe
	s_or_b32 exec_lo, exec_lo, s35
	v_lshlrev_b32_e32 v54, 8, v1
	v_lshl_add_u32 v53, v53, 10, 0x2000
	v_lshlrev_b32_e32 v52, 7, v52
	s_delay_alu instid0(VALU_DEP_3) | instskip(NEXT) | instid1(VALU_DEP_3)
	v_and_b32_e32 v54, 0x8000, v54
	v_and_b32_e32 v53, 0xfc00, v53
	s_delay_alu instid0(VALU_DEP_1)
	v_or3_b32 v52, v54, v53, v52
.LBB259_256:                            ;   in Loop: Header=BB259_10 Depth=1
	s_wait_alu 0xfffe
	s_or_b32 exec_lo, exec_lo, s34
.LBB259_257:                            ;   in Loop: Header=BB259_10 Depth=1
	s_delay_alu instid0(SALU_CYCLE_1)
	s_or_b32 exec_lo, exec_lo, s33
.LBB259_258:                            ;   in Loop: Header=BB259_10 Depth=1
	s_wait_alu 0xfffe
	s_or_b32 exec_lo, exec_lo, s5
	v_lshrrev_b16 v1, 8, v1
	s_mov_b32 s5, exec_lo
	s_delay_alu instid0(VALU_DEP_1)
	v_cmpx_ne_u16_e32 0, v1
	s_cbranch_execz .LBB259_266
; %bb.259:                              ;   in Loop: Header=BB259_10 Depth=1
	v_bfrev_b32_e32 v51, 1
	s_mov_b32 s33, exec_lo
	v_cmpx_ne_u16_e32 0x80, v1
	s_cbranch_execz .LBB259_265
; %bb.260:                              ;   in Loop: Header=BB259_10 Depth=1
	v_and_b32_e32 v53, 0xffff, v1
	v_mov_b32_e32 v51, 0x7c010000
	s_mov_b32 s34, exec_lo
	s_delay_alu instid0(VALU_DEP_2) | instskip(NEXT) | instid1(VALU_DEP_1)
	v_and_b32_e32 v55, 0x7f, v53
	v_cmpx_ne_u32_e32 0x7f, v55
	s_cbranch_execz .LBB259_264
; %bb.261:                              ;   in Loop: Header=BB259_10 Depth=1
	v_and_b32_e32 v51, 7, v53
	v_lshrrev_b32_e32 v54, 3, v55
	s_mov_b32 s35, exec_lo
	v_cmpx_gt_u32_e32 8, v55
; %bb.262:                              ;   in Loop: Header=BB259_10 Depth=1
	s_delay_alu instid0(VALU_DEP_3) | instskip(NEXT) | instid1(VALU_DEP_1)
	v_clz_i32_u32_e32 v51, v51
	v_min_u32_e32 v51, 32, v51
	s_delay_alu instid0(VALU_DEP_1) | instskip(NEXT) | instid1(VALU_DEP_1)
	v_subrev_nc_u32_e32 v54, 28, v51
	v_lshlrev_b64_e32 v[55:56], v54, v[1:2]
	v_sub_nc_u32_e32 v54, 29, v51
	s_delay_alu instid0(VALU_DEP_2)
	v_and_b32_e32 v51, 7, v55
; %bb.263:                              ;   in Loop: Header=BB259_10 Depth=1
	s_wait_alu 0xfffe
	s_or_b32 exec_lo, exec_lo, s35
	v_lshlrev_b32_e32 v1, 8, v53
	v_lshl_add_u32 v53, v54, 10, 0x2000
	v_lshlrev_b32_e32 v51, 23, v51
	s_delay_alu instid0(VALU_DEP_2) | instskip(NEXT) | instid1(VALU_DEP_1)
	v_and_or_b32 v1, 0x8000, v1, v53
	v_lshl_or_b32 v51, v1, 16, v51
.LBB259_264:                            ;   in Loop: Header=BB259_10 Depth=1
	s_wait_alu 0xfffe
	s_or_b32 exec_lo, exec_lo, s34
.LBB259_265:                            ;   in Loop: Header=BB259_10 Depth=1
	s_delay_alu instid0(SALU_CYCLE_1)
	s_or_b32 exec_lo, exec_lo, s33
.LBB259_266:                            ;   in Loop: Header=BB259_10 Depth=1
	s_wait_alu 0xfffe
	s_or_b32 exec_lo, exec_lo, s5
	global_load_u16 v1, v[7:8], off offset:1024
	s_wait_loadcnt 0x0
	v_dual_mov_b32 v53, 0 :: v_dual_and_b32 v54, 0xff, v1
	v_and_b32_e32 v1, 0xffff, v1
	s_delay_alu instid0(VALU_DEP_2)
	v_cmp_ne_u16_e64 s4, 0, v54
	v_mov_b32_e32 v54, 0
	s_and_saveexec_b32 s5, s4
	s_cbranch_execz .LBB259_274
; %bb.267:                              ;   in Loop: Header=BB259_10 Depth=1
	v_and_b32_e32 v54, 0xff, v1
	s_delay_alu instid0(VALU_DEP_1)
	v_cmp_ne_u16_e64 s4, 0x80, v54
	v_mov_b32_e32 v54, 0x8000
	s_and_saveexec_b32 s33, s4
	s_cbranch_execz .LBB259_273
; %bb.268:                              ;   in Loop: Header=BB259_10 Depth=1
	v_and_b32_e32 v56, 0x7f, v1
	v_mov_b32_e32 v54, 0x7c01
	s_mov_b32 s34, exec_lo
	s_delay_alu instid0(VALU_DEP_2)
	v_cmpx_ne_u32_e32 0x7f, v56
	s_cbranch_execz .LBB259_272
; %bb.269:                              ;   in Loop: Header=BB259_10 Depth=1
	v_and_b32_e32 v54, 7, v1
	v_lshrrev_b32_e32 v55, 3, v56
	s_mov_b32 s35, exec_lo
	v_cmpx_gt_u32_e32 8, v56
; %bb.270:                              ;   in Loop: Header=BB259_10 Depth=1
	s_delay_alu instid0(VALU_DEP_3) | instskip(NEXT) | instid1(VALU_DEP_1)
	v_clz_i32_u32_e32 v54, v54
	v_min_u32_e32 v56, 32, v54
	s_delay_alu instid0(VALU_DEP_1) | instskip(NEXT) | instid1(VALU_DEP_1)
	v_subrev_nc_u32_e32 v54, 28, v56
	v_lshlrev_b64_e32 v[54:55], v54, v[1:2]
	v_sub_nc_u32_e32 v55, 29, v56
	s_delay_alu instid0(VALU_DEP_2)
	v_and_b32_e32 v54, 7, v54
; %bb.271:                              ;   in Loop: Header=BB259_10 Depth=1
	s_wait_alu 0xfffe
	s_or_b32 exec_lo, exec_lo, s35
	v_lshlrev_b32_e32 v56, 8, v1
	v_lshl_add_u32 v55, v55, 10, 0x2000
	v_lshlrev_b32_e32 v54, 7, v54
	s_delay_alu instid0(VALU_DEP_3) | instskip(NEXT) | instid1(VALU_DEP_3)
	v_and_b32_e32 v56, 0x8000, v56
	v_and_b32_e32 v55, 0xfc00, v55
	s_delay_alu instid0(VALU_DEP_1)
	v_or3_b32 v54, v56, v55, v54
.LBB259_272:                            ;   in Loop: Header=BB259_10 Depth=1
	s_wait_alu 0xfffe
	s_or_b32 exec_lo, exec_lo, s34
.LBB259_273:                            ;   in Loop: Header=BB259_10 Depth=1
	s_delay_alu instid0(SALU_CYCLE_1)
	s_or_b32 exec_lo, exec_lo, s33
.LBB259_274:                            ;   in Loop: Header=BB259_10 Depth=1
	s_wait_alu 0xfffe
	s_or_b32 exec_lo, exec_lo, s5
	v_lshrrev_b16 v1, 8, v1
	s_mov_b32 s5, exec_lo
	s_delay_alu instid0(VALU_DEP_1)
	v_cmpx_ne_u16_e32 0, v1
	s_cbranch_execz .LBB259_282
; %bb.275:                              ;   in Loop: Header=BB259_10 Depth=1
	v_bfrev_b32_e32 v53, 1
	s_mov_b32 s33, exec_lo
	v_cmpx_ne_u16_e32 0x80, v1
	s_cbranch_execz .LBB259_281
; %bb.276:                              ;   in Loop: Header=BB259_10 Depth=1
	v_and_b32_e32 v55, 0xffff, v1
	v_mov_b32_e32 v53, 0x7c010000
	s_mov_b32 s34, exec_lo
	s_delay_alu instid0(VALU_DEP_2) | instskip(NEXT) | instid1(VALU_DEP_1)
	v_and_b32_e32 v57, 0x7f, v55
	v_cmpx_ne_u32_e32 0x7f, v57
	s_cbranch_execz .LBB259_280
; %bb.277:                              ;   in Loop: Header=BB259_10 Depth=1
	v_and_b32_e32 v53, 7, v55
	v_lshrrev_b32_e32 v56, 3, v57
	s_mov_b32 s35, exec_lo
	v_cmpx_gt_u32_e32 8, v57
; %bb.278:                              ;   in Loop: Header=BB259_10 Depth=1
	s_delay_alu instid0(VALU_DEP_3) | instskip(NEXT) | instid1(VALU_DEP_1)
	v_clz_i32_u32_e32 v53, v53
	v_min_u32_e32 v53, 32, v53
	s_delay_alu instid0(VALU_DEP_1) | instskip(NEXT) | instid1(VALU_DEP_1)
	v_subrev_nc_u32_e32 v56, 28, v53
	v_lshlrev_b64_e32 v[57:58], v56, v[1:2]
	v_sub_nc_u32_e32 v56, 29, v53
	s_delay_alu instid0(VALU_DEP_2)
	v_and_b32_e32 v53, 7, v57
; %bb.279:                              ;   in Loop: Header=BB259_10 Depth=1
	s_wait_alu 0xfffe
	s_or_b32 exec_lo, exec_lo, s35
	v_lshlrev_b32_e32 v1, 8, v55
	v_lshl_add_u32 v55, v56, 10, 0x2000
	v_lshlrev_b32_e32 v53, 23, v53
	s_delay_alu instid0(VALU_DEP_2) | instskip(NEXT) | instid1(VALU_DEP_1)
	v_and_or_b32 v1, 0x8000, v1, v55
	v_lshl_or_b32 v53, v1, 16, v53
.LBB259_280:                            ;   in Loop: Header=BB259_10 Depth=1
	s_wait_alu 0xfffe
	s_or_b32 exec_lo, exec_lo, s34
.LBB259_281:                            ;   in Loop: Header=BB259_10 Depth=1
	s_delay_alu instid0(SALU_CYCLE_1)
	s_or_b32 exec_lo, exec_lo, s33
.LBB259_282:                            ;   in Loop: Header=BB259_10 Depth=1
	s_wait_alu 0xfffe
	s_or_b32 exec_lo, exec_lo, s5
	global_load_u16 v1, v[7:8], off offset:1032
	s_wait_loadcnt 0x0
	v_dual_mov_b32 v55, 0 :: v_dual_and_b32 v56, 0xff, v1
	v_and_b32_e32 v1, 0xffff, v1
	s_delay_alu instid0(VALU_DEP_2)
	v_cmp_ne_u16_e64 s4, 0, v56
	v_mov_b32_e32 v56, 0
	s_and_saveexec_b32 s5, s4
	s_cbranch_execz .LBB259_290
; %bb.283:                              ;   in Loop: Header=BB259_10 Depth=1
	v_and_b32_e32 v56, 0xff, v1
	s_delay_alu instid0(VALU_DEP_1)
	v_cmp_ne_u16_e64 s4, 0x80, v56
	v_mov_b32_e32 v56, 0x8000
	s_and_saveexec_b32 s33, s4
	s_cbranch_execz .LBB259_289
; %bb.284:                              ;   in Loop: Header=BB259_10 Depth=1
	v_and_b32_e32 v58, 0x7f, v1
	v_mov_b32_e32 v56, 0x7c01
	s_mov_b32 s34, exec_lo
	s_delay_alu instid0(VALU_DEP_2)
	v_cmpx_ne_u32_e32 0x7f, v58
	s_cbranch_execz .LBB259_288
; %bb.285:                              ;   in Loop: Header=BB259_10 Depth=1
	v_and_b32_e32 v56, 7, v1
	v_lshrrev_b32_e32 v57, 3, v58
	s_mov_b32 s35, exec_lo
	v_cmpx_gt_u32_e32 8, v58
; %bb.286:                              ;   in Loop: Header=BB259_10 Depth=1
	s_delay_alu instid0(VALU_DEP_3) | instskip(NEXT) | instid1(VALU_DEP_1)
	v_clz_i32_u32_e32 v56, v56
	v_min_u32_e32 v58, 32, v56
	s_delay_alu instid0(VALU_DEP_1) | instskip(NEXT) | instid1(VALU_DEP_1)
	v_subrev_nc_u32_e32 v56, 28, v58
	v_lshlrev_b64_e32 v[56:57], v56, v[1:2]
	v_sub_nc_u32_e32 v57, 29, v58
	s_delay_alu instid0(VALU_DEP_2)
	v_and_b32_e32 v56, 7, v56
; %bb.287:                              ;   in Loop: Header=BB259_10 Depth=1
	s_wait_alu 0xfffe
	s_or_b32 exec_lo, exec_lo, s35
	v_lshlrev_b32_e32 v58, 8, v1
	v_lshl_add_u32 v57, v57, 10, 0x2000
	v_lshlrev_b32_e32 v56, 7, v56
	s_delay_alu instid0(VALU_DEP_3) | instskip(NEXT) | instid1(VALU_DEP_3)
	v_and_b32_e32 v58, 0x8000, v58
	v_and_b32_e32 v57, 0xfc00, v57
	s_delay_alu instid0(VALU_DEP_1)
	v_or3_b32 v56, v58, v57, v56
.LBB259_288:                            ;   in Loop: Header=BB259_10 Depth=1
	s_wait_alu 0xfffe
	s_or_b32 exec_lo, exec_lo, s34
.LBB259_289:                            ;   in Loop: Header=BB259_10 Depth=1
	s_delay_alu instid0(SALU_CYCLE_1)
	s_or_b32 exec_lo, exec_lo, s33
.LBB259_290:                            ;   in Loop: Header=BB259_10 Depth=1
	s_wait_alu 0xfffe
	s_or_b32 exec_lo, exec_lo, s5
	v_lshrrev_b16 v1, 8, v1
	s_mov_b32 s5, exec_lo
	s_delay_alu instid0(VALU_DEP_1)
	v_cmpx_ne_u16_e32 0, v1
	s_cbranch_execz .LBB259_298
; %bb.291:                              ;   in Loop: Header=BB259_10 Depth=1
	v_bfrev_b32_e32 v55, 1
	s_mov_b32 s33, exec_lo
	v_cmpx_ne_u16_e32 0x80, v1
	s_cbranch_execz .LBB259_297
; %bb.292:                              ;   in Loop: Header=BB259_10 Depth=1
	v_and_b32_e32 v57, 0xffff, v1
	v_mov_b32_e32 v55, 0x7c010000
	s_mov_b32 s34, exec_lo
	s_delay_alu instid0(VALU_DEP_2) | instskip(NEXT) | instid1(VALU_DEP_1)
	v_and_b32_e32 v59, 0x7f, v57
	v_cmpx_ne_u32_e32 0x7f, v59
	s_cbranch_execz .LBB259_296
; %bb.293:                              ;   in Loop: Header=BB259_10 Depth=1
	v_and_b32_e32 v55, 7, v57
	v_lshrrev_b32_e32 v58, 3, v59
	s_mov_b32 s35, exec_lo
	v_cmpx_gt_u32_e32 8, v59
; %bb.294:                              ;   in Loop: Header=BB259_10 Depth=1
	s_delay_alu instid0(VALU_DEP_3) | instskip(NEXT) | instid1(VALU_DEP_1)
	v_clz_i32_u32_e32 v55, v55
	v_min_u32_e32 v55, 32, v55
	s_delay_alu instid0(VALU_DEP_1) | instskip(NEXT) | instid1(VALU_DEP_1)
	v_subrev_nc_u32_e32 v58, 28, v55
	v_lshlrev_b64_e32 v[59:60], v58, v[1:2]
	v_sub_nc_u32_e32 v58, 29, v55
	s_delay_alu instid0(VALU_DEP_2)
	v_and_b32_e32 v55, 7, v59
; %bb.295:                              ;   in Loop: Header=BB259_10 Depth=1
	s_wait_alu 0xfffe
	s_or_b32 exec_lo, exec_lo, s35
	v_lshlrev_b32_e32 v1, 8, v57
	v_lshl_add_u32 v57, v58, 10, 0x2000
	v_lshlrev_b32_e32 v55, 23, v55
	s_delay_alu instid0(VALU_DEP_2) | instskip(NEXT) | instid1(VALU_DEP_1)
	v_and_or_b32 v1, 0x8000, v1, v57
	v_lshl_or_b32 v55, v1, 16, v55
.LBB259_296:                            ;   in Loop: Header=BB259_10 Depth=1
	s_wait_alu 0xfffe
	s_or_b32 exec_lo, exec_lo, s34
.LBB259_297:                            ;   in Loop: Header=BB259_10 Depth=1
	s_delay_alu instid0(SALU_CYCLE_1)
	s_or_b32 exec_lo, exec_lo, s33
.LBB259_298:                            ;   in Loop: Header=BB259_10 Depth=1
	s_wait_alu 0xfffe
	s_or_b32 exec_lo, exec_lo, s5
	global_load_u16 v1, v[7:8], off offset:1152
	s_wait_loadcnt 0x0
	v_dual_mov_b32 v57, 0 :: v_dual_and_b32 v58, 0xff, v1
	v_and_b32_e32 v1, 0xffff, v1
	s_delay_alu instid0(VALU_DEP_2)
	v_cmp_ne_u16_e64 s4, 0, v58
	v_mov_b32_e32 v58, 0
	s_and_saveexec_b32 s5, s4
	s_cbranch_execz .LBB259_306
; %bb.299:                              ;   in Loop: Header=BB259_10 Depth=1
	v_and_b32_e32 v58, 0xff, v1
	s_delay_alu instid0(VALU_DEP_1)
	v_cmp_ne_u16_e64 s4, 0x80, v58
	v_mov_b32_e32 v58, 0x8000
	s_and_saveexec_b32 s33, s4
	s_cbranch_execz .LBB259_305
; %bb.300:                              ;   in Loop: Header=BB259_10 Depth=1
	v_and_b32_e32 v60, 0x7f, v1
	v_mov_b32_e32 v58, 0x7c01
	s_mov_b32 s34, exec_lo
	s_delay_alu instid0(VALU_DEP_2)
	v_cmpx_ne_u32_e32 0x7f, v60
	s_cbranch_execz .LBB259_304
; %bb.301:                              ;   in Loop: Header=BB259_10 Depth=1
	v_and_b32_e32 v58, 7, v1
	v_lshrrev_b32_e32 v59, 3, v60
	s_mov_b32 s35, exec_lo
	v_cmpx_gt_u32_e32 8, v60
; %bb.302:                              ;   in Loop: Header=BB259_10 Depth=1
	s_delay_alu instid0(VALU_DEP_3) | instskip(NEXT) | instid1(VALU_DEP_1)
	v_clz_i32_u32_e32 v58, v58
	v_min_u32_e32 v60, 32, v58
	s_delay_alu instid0(VALU_DEP_1) | instskip(NEXT) | instid1(VALU_DEP_1)
	v_subrev_nc_u32_e32 v58, 28, v60
	v_lshlrev_b64_e32 v[58:59], v58, v[1:2]
	v_sub_nc_u32_e32 v59, 29, v60
	s_delay_alu instid0(VALU_DEP_2)
	v_and_b32_e32 v58, 7, v58
; %bb.303:                              ;   in Loop: Header=BB259_10 Depth=1
	s_wait_alu 0xfffe
	s_or_b32 exec_lo, exec_lo, s35
	v_lshlrev_b32_e32 v60, 8, v1
	v_lshl_add_u32 v59, v59, 10, 0x2000
	v_lshlrev_b32_e32 v58, 7, v58
	s_delay_alu instid0(VALU_DEP_3) | instskip(NEXT) | instid1(VALU_DEP_3)
	v_and_b32_e32 v60, 0x8000, v60
	v_and_b32_e32 v59, 0xfc00, v59
	s_delay_alu instid0(VALU_DEP_1)
	v_or3_b32 v58, v60, v59, v58
.LBB259_304:                            ;   in Loop: Header=BB259_10 Depth=1
	s_wait_alu 0xfffe
	s_or_b32 exec_lo, exec_lo, s34
.LBB259_305:                            ;   in Loop: Header=BB259_10 Depth=1
	s_delay_alu instid0(SALU_CYCLE_1)
	s_or_b32 exec_lo, exec_lo, s33
.LBB259_306:                            ;   in Loop: Header=BB259_10 Depth=1
	s_wait_alu 0xfffe
	s_or_b32 exec_lo, exec_lo, s5
	v_lshrrev_b16 v1, 8, v1
	s_mov_b32 s5, exec_lo
	s_delay_alu instid0(VALU_DEP_1)
	v_cmpx_ne_u16_e32 0, v1
	s_cbranch_execz .LBB259_314
; %bb.307:                              ;   in Loop: Header=BB259_10 Depth=1
	v_bfrev_b32_e32 v57, 1
	s_mov_b32 s33, exec_lo
	v_cmpx_ne_u16_e32 0x80, v1
	s_cbranch_execz .LBB259_313
; %bb.308:                              ;   in Loop: Header=BB259_10 Depth=1
	v_and_b32_e32 v59, 0xffff, v1
	v_mov_b32_e32 v57, 0x7c010000
	s_mov_b32 s34, exec_lo
	s_delay_alu instid0(VALU_DEP_2) | instskip(NEXT) | instid1(VALU_DEP_1)
	v_and_b32_e32 v61, 0x7f, v59
	v_cmpx_ne_u32_e32 0x7f, v61
	s_cbranch_execz .LBB259_312
; %bb.309:                              ;   in Loop: Header=BB259_10 Depth=1
	v_and_b32_e32 v57, 7, v59
	v_lshrrev_b32_e32 v60, 3, v61
	s_mov_b32 s35, exec_lo
	v_cmpx_gt_u32_e32 8, v61
; %bb.310:                              ;   in Loop: Header=BB259_10 Depth=1
	s_delay_alu instid0(VALU_DEP_3) | instskip(NEXT) | instid1(VALU_DEP_1)
	v_clz_i32_u32_e32 v57, v57
	v_min_u32_e32 v57, 32, v57
	s_delay_alu instid0(VALU_DEP_1) | instskip(NEXT) | instid1(VALU_DEP_1)
	v_subrev_nc_u32_e32 v60, 28, v57
	v_lshlrev_b64_e32 v[61:62], v60, v[1:2]
	v_sub_nc_u32_e32 v60, 29, v57
	s_delay_alu instid0(VALU_DEP_2)
	v_and_b32_e32 v57, 7, v61
; %bb.311:                              ;   in Loop: Header=BB259_10 Depth=1
	s_wait_alu 0xfffe
	s_or_b32 exec_lo, exec_lo, s35
	v_lshlrev_b32_e32 v1, 8, v59
	v_lshl_add_u32 v59, v60, 10, 0x2000
	v_lshlrev_b32_e32 v57, 23, v57
	s_delay_alu instid0(VALU_DEP_2) | instskip(NEXT) | instid1(VALU_DEP_1)
	v_and_or_b32 v1, 0x8000, v1, v59
	v_lshl_or_b32 v57, v1, 16, v57
.LBB259_312:                            ;   in Loop: Header=BB259_10 Depth=1
	s_wait_alu 0xfffe
	s_or_b32 exec_lo, exec_lo, s34
.LBB259_313:                            ;   in Loop: Header=BB259_10 Depth=1
	s_delay_alu instid0(SALU_CYCLE_1)
	s_or_b32 exec_lo, exec_lo, s33
.LBB259_314:                            ;   in Loop: Header=BB259_10 Depth=1
	s_wait_alu 0xfffe
	s_or_b32 exec_lo, exec_lo, s5
	global_load_u16 v1, v[7:8], off offset:1160
	s_wait_loadcnt 0x0
	v_dual_mov_b32 v59, 0 :: v_dual_and_b32 v60, 0xff, v1
	v_and_b32_e32 v1, 0xffff, v1
	s_delay_alu instid0(VALU_DEP_2)
	v_cmp_ne_u16_e64 s4, 0, v60
	v_mov_b32_e32 v60, 0
	s_and_saveexec_b32 s5, s4
	s_cbranch_execz .LBB259_322
; %bb.315:                              ;   in Loop: Header=BB259_10 Depth=1
	v_and_b32_e32 v60, 0xff, v1
	s_delay_alu instid0(VALU_DEP_1)
	v_cmp_ne_u16_e64 s4, 0x80, v60
	v_mov_b32_e32 v60, 0x8000
	s_and_saveexec_b32 s33, s4
	s_cbranch_execz .LBB259_321
; %bb.316:                              ;   in Loop: Header=BB259_10 Depth=1
	v_and_b32_e32 v62, 0x7f, v1
	v_mov_b32_e32 v60, 0x7c01
	s_mov_b32 s34, exec_lo
	s_delay_alu instid0(VALU_DEP_2)
	v_cmpx_ne_u32_e32 0x7f, v62
	s_cbranch_execz .LBB259_320
; %bb.317:                              ;   in Loop: Header=BB259_10 Depth=1
	v_and_b32_e32 v60, 7, v1
	v_lshrrev_b32_e32 v61, 3, v62
	s_mov_b32 s35, exec_lo
	v_cmpx_gt_u32_e32 8, v62
; %bb.318:                              ;   in Loop: Header=BB259_10 Depth=1
	s_delay_alu instid0(VALU_DEP_3) | instskip(NEXT) | instid1(VALU_DEP_1)
	v_clz_i32_u32_e32 v60, v60
	v_min_u32_e32 v62, 32, v60
	s_delay_alu instid0(VALU_DEP_1) | instskip(NEXT) | instid1(VALU_DEP_1)
	v_subrev_nc_u32_e32 v60, 28, v62
	v_lshlrev_b64_e32 v[60:61], v60, v[1:2]
	v_sub_nc_u32_e32 v61, 29, v62
	s_delay_alu instid0(VALU_DEP_2)
	v_and_b32_e32 v60, 7, v60
; %bb.319:                              ;   in Loop: Header=BB259_10 Depth=1
	s_wait_alu 0xfffe
	s_or_b32 exec_lo, exec_lo, s35
	v_lshlrev_b32_e32 v62, 8, v1
	v_lshl_add_u32 v61, v61, 10, 0x2000
	v_lshlrev_b32_e32 v60, 7, v60
	s_delay_alu instid0(VALU_DEP_3) | instskip(NEXT) | instid1(VALU_DEP_3)
	v_and_b32_e32 v62, 0x8000, v62
	v_and_b32_e32 v61, 0xfc00, v61
	s_delay_alu instid0(VALU_DEP_1)
	v_or3_b32 v60, v62, v61, v60
.LBB259_320:                            ;   in Loop: Header=BB259_10 Depth=1
	s_wait_alu 0xfffe
	s_or_b32 exec_lo, exec_lo, s34
.LBB259_321:                            ;   in Loop: Header=BB259_10 Depth=1
	s_delay_alu instid0(SALU_CYCLE_1)
	s_or_b32 exec_lo, exec_lo, s33
.LBB259_322:                            ;   in Loop: Header=BB259_10 Depth=1
	s_wait_alu 0xfffe
	s_or_b32 exec_lo, exec_lo, s5
	v_lshrrev_b16 v1, 8, v1
	s_mov_b32 s5, exec_lo
	s_delay_alu instid0(VALU_DEP_1)
	v_cmpx_ne_u16_e32 0, v1
	s_cbranch_execz .LBB259_330
; %bb.323:                              ;   in Loop: Header=BB259_10 Depth=1
	v_bfrev_b32_e32 v59, 1
	s_mov_b32 s33, exec_lo
	v_cmpx_ne_u16_e32 0x80, v1
	s_cbranch_execz .LBB259_329
; %bb.324:                              ;   in Loop: Header=BB259_10 Depth=1
	v_and_b32_e32 v61, 0xffff, v1
	v_mov_b32_e32 v59, 0x7c010000
	s_mov_b32 s34, exec_lo
	s_delay_alu instid0(VALU_DEP_2) | instskip(NEXT) | instid1(VALU_DEP_1)
	v_and_b32_e32 v63, 0x7f, v61
	v_cmpx_ne_u32_e32 0x7f, v63
	s_cbranch_execz .LBB259_328
; %bb.325:                              ;   in Loop: Header=BB259_10 Depth=1
	v_and_b32_e32 v59, 7, v61
	v_lshrrev_b32_e32 v62, 3, v63
	s_mov_b32 s35, exec_lo
	v_cmpx_gt_u32_e32 8, v63
; %bb.326:                              ;   in Loop: Header=BB259_10 Depth=1
	s_delay_alu instid0(VALU_DEP_3) | instskip(NEXT) | instid1(VALU_DEP_1)
	v_clz_i32_u32_e32 v59, v59
	v_min_u32_e32 v59, 32, v59
	s_delay_alu instid0(VALU_DEP_1) | instskip(NEXT) | instid1(VALU_DEP_1)
	v_subrev_nc_u32_e32 v62, 28, v59
	v_lshlrev_b64_e32 v[63:64], v62, v[1:2]
	v_sub_nc_u32_e32 v62, 29, v59
	s_delay_alu instid0(VALU_DEP_2)
	v_and_b32_e32 v59, 7, v63
; %bb.327:                              ;   in Loop: Header=BB259_10 Depth=1
	s_wait_alu 0xfffe
	s_or_b32 exec_lo, exec_lo, s35
	v_lshlrev_b32_e32 v1, 8, v61
	v_lshl_add_u32 v61, v62, 10, 0x2000
	v_lshlrev_b32_e32 v59, 23, v59
	s_delay_alu instid0(VALU_DEP_2) | instskip(NEXT) | instid1(VALU_DEP_1)
	v_and_or_b32 v1, 0x8000, v1, v61
	v_lshl_or_b32 v59, v1, 16, v59
.LBB259_328:                            ;   in Loop: Header=BB259_10 Depth=1
	s_wait_alu 0xfffe
	s_or_b32 exec_lo, exec_lo, s34
.LBB259_329:                            ;   in Loop: Header=BB259_10 Depth=1
	s_delay_alu instid0(SALU_CYCLE_1)
	s_or_b32 exec_lo, exec_lo, s33
.LBB259_330:                            ;   in Loop: Header=BB259_10 Depth=1
	s_wait_alu 0xfffe
	s_or_b32 exec_lo, exec_lo, s5
	global_load_u16 v1, v[7:8], off offset:1280
	s_wait_loadcnt 0x0
	v_dual_mov_b32 v61, 0 :: v_dual_and_b32 v62, 0xff, v1
	v_and_b32_e32 v1, 0xffff, v1
	s_delay_alu instid0(VALU_DEP_2)
	v_cmp_ne_u16_e64 s4, 0, v62
	v_mov_b32_e32 v62, 0
	s_and_saveexec_b32 s5, s4
	s_cbranch_execz .LBB259_338
; %bb.331:                              ;   in Loop: Header=BB259_10 Depth=1
	v_and_b32_e32 v62, 0xff, v1
	s_delay_alu instid0(VALU_DEP_1)
	v_cmp_ne_u16_e64 s4, 0x80, v62
	v_mov_b32_e32 v62, 0x8000
	s_and_saveexec_b32 s33, s4
	s_cbranch_execz .LBB259_337
; %bb.332:                              ;   in Loop: Header=BB259_10 Depth=1
	v_and_b32_e32 v64, 0x7f, v1
	v_mov_b32_e32 v62, 0x7c01
	s_mov_b32 s34, exec_lo
	s_delay_alu instid0(VALU_DEP_2)
	v_cmpx_ne_u32_e32 0x7f, v64
	s_cbranch_execz .LBB259_336
; %bb.333:                              ;   in Loop: Header=BB259_10 Depth=1
	v_and_b32_e32 v62, 7, v1
	v_lshrrev_b32_e32 v63, 3, v64
	s_mov_b32 s35, exec_lo
	v_cmpx_gt_u32_e32 8, v64
; %bb.334:                              ;   in Loop: Header=BB259_10 Depth=1
	s_delay_alu instid0(VALU_DEP_3) | instskip(NEXT) | instid1(VALU_DEP_1)
	v_clz_i32_u32_e32 v62, v62
	v_min_u32_e32 v64, 32, v62
	s_delay_alu instid0(VALU_DEP_1) | instskip(NEXT) | instid1(VALU_DEP_1)
	v_subrev_nc_u32_e32 v62, 28, v64
	v_lshlrev_b64_e32 v[62:63], v62, v[1:2]
	v_sub_nc_u32_e32 v63, 29, v64
	s_delay_alu instid0(VALU_DEP_2)
	v_and_b32_e32 v62, 7, v62
; %bb.335:                              ;   in Loop: Header=BB259_10 Depth=1
	s_wait_alu 0xfffe
	s_or_b32 exec_lo, exec_lo, s35
	v_lshlrev_b32_e32 v64, 8, v1
	v_lshl_add_u32 v63, v63, 10, 0x2000
	v_lshlrev_b32_e32 v62, 7, v62
	s_delay_alu instid0(VALU_DEP_3) | instskip(NEXT) | instid1(VALU_DEP_3)
	v_and_b32_e32 v64, 0x8000, v64
	v_and_b32_e32 v63, 0xfc00, v63
	s_delay_alu instid0(VALU_DEP_1)
	v_or3_b32 v62, v64, v63, v62
.LBB259_336:                            ;   in Loop: Header=BB259_10 Depth=1
	s_wait_alu 0xfffe
	s_or_b32 exec_lo, exec_lo, s34
.LBB259_337:                            ;   in Loop: Header=BB259_10 Depth=1
	s_delay_alu instid0(SALU_CYCLE_1)
	s_or_b32 exec_lo, exec_lo, s33
.LBB259_338:                            ;   in Loop: Header=BB259_10 Depth=1
	s_wait_alu 0xfffe
	s_or_b32 exec_lo, exec_lo, s5
	v_lshrrev_b16 v1, 8, v1
	s_mov_b32 s5, exec_lo
	s_delay_alu instid0(VALU_DEP_1)
	v_cmpx_ne_u16_e32 0, v1
	s_cbranch_execz .LBB259_346
; %bb.339:                              ;   in Loop: Header=BB259_10 Depth=1
	v_bfrev_b32_e32 v61, 1
	s_mov_b32 s33, exec_lo
	v_cmpx_ne_u16_e32 0x80, v1
	s_cbranch_execz .LBB259_345
; %bb.340:                              ;   in Loop: Header=BB259_10 Depth=1
	v_and_b32_e32 v63, 0xffff, v1
	v_mov_b32_e32 v61, 0x7c010000
	s_mov_b32 s34, exec_lo
	s_delay_alu instid0(VALU_DEP_2) | instskip(NEXT) | instid1(VALU_DEP_1)
	v_and_b32_e32 v65, 0x7f, v63
	v_cmpx_ne_u32_e32 0x7f, v65
	s_cbranch_execz .LBB259_344
; %bb.341:                              ;   in Loop: Header=BB259_10 Depth=1
	v_and_b32_e32 v61, 7, v63
	v_lshrrev_b32_e32 v64, 3, v65
	s_mov_b32 s35, exec_lo
	v_cmpx_gt_u32_e32 8, v65
; %bb.342:                              ;   in Loop: Header=BB259_10 Depth=1
	s_delay_alu instid0(VALU_DEP_3) | instskip(NEXT) | instid1(VALU_DEP_1)
	v_clz_i32_u32_e32 v61, v61
	v_min_u32_e32 v61, 32, v61
	s_delay_alu instid0(VALU_DEP_1) | instskip(NEXT) | instid1(VALU_DEP_1)
	v_subrev_nc_u32_e32 v64, 28, v61
	v_lshlrev_b64_e32 v[65:66], v64, v[1:2]
	v_sub_nc_u32_e32 v64, 29, v61
	s_delay_alu instid0(VALU_DEP_2)
	v_and_b32_e32 v61, 7, v65
; %bb.343:                              ;   in Loop: Header=BB259_10 Depth=1
	s_wait_alu 0xfffe
	s_or_b32 exec_lo, exec_lo, s35
	v_lshlrev_b32_e32 v1, 8, v63
	v_lshl_add_u32 v63, v64, 10, 0x2000
	v_lshlrev_b32_e32 v61, 23, v61
	s_delay_alu instid0(VALU_DEP_2) | instskip(NEXT) | instid1(VALU_DEP_1)
	v_and_or_b32 v1, 0x8000, v1, v63
	v_lshl_or_b32 v61, v1, 16, v61
.LBB259_344:                            ;   in Loop: Header=BB259_10 Depth=1
	s_wait_alu 0xfffe
	s_or_b32 exec_lo, exec_lo, s34
.LBB259_345:                            ;   in Loop: Header=BB259_10 Depth=1
	s_delay_alu instid0(SALU_CYCLE_1)
	s_or_b32 exec_lo, exec_lo, s33
.LBB259_346:                            ;   in Loop: Header=BB259_10 Depth=1
	s_wait_alu 0xfffe
	s_or_b32 exec_lo, exec_lo, s5
	global_load_u16 v1, v[7:8], off offset:1288
	s_wait_loadcnt 0x0
	v_dual_mov_b32 v63, 0 :: v_dual_and_b32 v64, 0xff, v1
	v_and_b32_e32 v1, 0xffff, v1
	s_delay_alu instid0(VALU_DEP_2)
	v_cmp_ne_u16_e64 s4, 0, v64
	v_mov_b32_e32 v64, 0
	s_and_saveexec_b32 s5, s4
	s_cbranch_execz .LBB259_354
; %bb.347:                              ;   in Loop: Header=BB259_10 Depth=1
	v_and_b32_e32 v64, 0xff, v1
	s_delay_alu instid0(VALU_DEP_1)
	v_cmp_ne_u16_e64 s4, 0x80, v64
	v_mov_b32_e32 v64, 0x8000
	s_and_saveexec_b32 s33, s4
	s_cbranch_execz .LBB259_353
; %bb.348:                              ;   in Loop: Header=BB259_10 Depth=1
	v_and_b32_e32 v66, 0x7f, v1
	v_mov_b32_e32 v64, 0x7c01
	s_mov_b32 s34, exec_lo
	s_delay_alu instid0(VALU_DEP_2)
	v_cmpx_ne_u32_e32 0x7f, v66
	s_cbranch_execz .LBB259_352
; %bb.349:                              ;   in Loop: Header=BB259_10 Depth=1
	v_and_b32_e32 v64, 7, v1
	v_lshrrev_b32_e32 v65, 3, v66
	s_mov_b32 s35, exec_lo
	v_cmpx_gt_u32_e32 8, v66
; %bb.350:                              ;   in Loop: Header=BB259_10 Depth=1
	s_delay_alu instid0(VALU_DEP_3) | instskip(NEXT) | instid1(VALU_DEP_1)
	v_clz_i32_u32_e32 v64, v64
	v_min_u32_e32 v66, 32, v64
	s_delay_alu instid0(VALU_DEP_1) | instskip(NEXT) | instid1(VALU_DEP_1)
	v_subrev_nc_u32_e32 v64, 28, v66
	v_lshlrev_b64_e32 v[64:65], v64, v[1:2]
	v_sub_nc_u32_e32 v65, 29, v66
	s_delay_alu instid0(VALU_DEP_2)
	v_and_b32_e32 v64, 7, v64
; %bb.351:                              ;   in Loop: Header=BB259_10 Depth=1
	s_wait_alu 0xfffe
	s_or_b32 exec_lo, exec_lo, s35
	v_lshlrev_b32_e32 v66, 8, v1
	v_lshl_add_u32 v65, v65, 10, 0x2000
	v_lshlrev_b32_e32 v64, 7, v64
	s_delay_alu instid0(VALU_DEP_3) | instskip(NEXT) | instid1(VALU_DEP_3)
	v_and_b32_e32 v66, 0x8000, v66
	v_and_b32_e32 v65, 0xfc00, v65
	s_delay_alu instid0(VALU_DEP_1)
	v_or3_b32 v64, v66, v65, v64
.LBB259_352:                            ;   in Loop: Header=BB259_10 Depth=1
	s_wait_alu 0xfffe
	s_or_b32 exec_lo, exec_lo, s34
.LBB259_353:                            ;   in Loop: Header=BB259_10 Depth=1
	s_delay_alu instid0(SALU_CYCLE_1)
	s_or_b32 exec_lo, exec_lo, s33
.LBB259_354:                            ;   in Loop: Header=BB259_10 Depth=1
	s_wait_alu 0xfffe
	s_or_b32 exec_lo, exec_lo, s5
	v_lshrrev_b16 v1, 8, v1
	s_mov_b32 s5, exec_lo
	s_delay_alu instid0(VALU_DEP_1)
	v_cmpx_ne_u16_e32 0, v1
	s_cbranch_execz .LBB259_362
; %bb.355:                              ;   in Loop: Header=BB259_10 Depth=1
	v_bfrev_b32_e32 v63, 1
	s_mov_b32 s33, exec_lo
	v_cmpx_ne_u16_e32 0x80, v1
	s_cbranch_execz .LBB259_361
; %bb.356:                              ;   in Loop: Header=BB259_10 Depth=1
	v_and_b32_e32 v65, 0xffff, v1
	v_mov_b32_e32 v63, 0x7c010000
	s_mov_b32 s34, exec_lo
	s_delay_alu instid0(VALU_DEP_2) | instskip(NEXT) | instid1(VALU_DEP_1)
	v_and_b32_e32 v67, 0x7f, v65
	v_cmpx_ne_u32_e32 0x7f, v67
	s_cbranch_execz .LBB259_360
; %bb.357:                              ;   in Loop: Header=BB259_10 Depth=1
	v_and_b32_e32 v63, 7, v65
	v_lshrrev_b32_e32 v66, 3, v67
	s_mov_b32 s35, exec_lo
	v_cmpx_gt_u32_e32 8, v67
; %bb.358:                              ;   in Loop: Header=BB259_10 Depth=1
	s_delay_alu instid0(VALU_DEP_3) | instskip(NEXT) | instid1(VALU_DEP_1)
	v_clz_i32_u32_e32 v63, v63
	v_min_u32_e32 v63, 32, v63
	s_delay_alu instid0(VALU_DEP_1) | instskip(NEXT) | instid1(VALU_DEP_1)
	v_subrev_nc_u32_e32 v66, 28, v63
	v_lshlrev_b64_e32 v[67:68], v66, v[1:2]
	v_sub_nc_u32_e32 v66, 29, v63
	s_delay_alu instid0(VALU_DEP_2)
	v_and_b32_e32 v63, 7, v67
; %bb.359:                              ;   in Loop: Header=BB259_10 Depth=1
	s_wait_alu 0xfffe
	s_or_b32 exec_lo, exec_lo, s35
	v_lshlrev_b32_e32 v1, 8, v65
	v_lshl_add_u32 v65, v66, 10, 0x2000
	v_lshlrev_b32_e32 v63, 23, v63
	s_delay_alu instid0(VALU_DEP_2) | instskip(NEXT) | instid1(VALU_DEP_1)
	v_and_or_b32 v1, 0x8000, v1, v65
	v_lshl_or_b32 v63, v1, 16, v63
.LBB259_360:                            ;   in Loop: Header=BB259_10 Depth=1
	s_wait_alu 0xfffe
	s_or_b32 exec_lo, exec_lo, s34
.LBB259_361:                            ;   in Loop: Header=BB259_10 Depth=1
	s_delay_alu instid0(SALU_CYCLE_1)
	s_or_b32 exec_lo, exec_lo, s33
.LBB259_362:                            ;   in Loop: Header=BB259_10 Depth=1
	s_wait_alu 0xfffe
	s_or_b32 exec_lo, exec_lo, s5
	global_load_u16 v1, v[7:8], off offset:1408
	s_wait_loadcnt 0x0
	v_dual_mov_b32 v65, 0 :: v_dual_and_b32 v66, 0xff, v1
	v_and_b32_e32 v1, 0xffff, v1
	s_delay_alu instid0(VALU_DEP_2)
	v_cmp_ne_u16_e64 s4, 0, v66
	v_mov_b32_e32 v66, 0
	s_and_saveexec_b32 s5, s4
	s_cbranch_execz .LBB259_370
; %bb.363:                              ;   in Loop: Header=BB259_10 Depth=1
	v_and_b32_e32 v66, 0xff, v1
	s_delay_alu instid0(VALU_DEP_1)
	v_cmp_ne_u16_e64 s4, 0x80, v66
	v_mov_b32_e32 v66, 0x8000
	s_and_saveexec_b32 s33, s4
	s_cbranch_execz .LBB259_369
; %bb.364:                              ;   in Loop: Header=BB259_10 Depth=1
	v_and_b32_e32 v68, 0x7f, v1
	v_mov_b32_e32 v66, 0x7c01
	s_mov_b32 s34, exec_lo
	s_delay_alu instid0(VALU_DEP_2)
	v_cmpx_ne_u32_e32 0x7f, v68
	s_cbranch_execz .LBB259_368
; %bb.365:                              ;   in Loop: Header=BB259_10 Depth=1
	v_and_b32_e32 v66, 7, v1
	v_lshrrev_b32_e32 v67, 3, v68
	s_mov_b32 s35, exec_lo
	v_cmpx_gt_u32_e32 8, v68
; %bb.366:                              ;   in Loop: Header=BB259_10 Depth=1
	s_delay_alu instid0(VALU_DEP_3) | instskip(NEXT) | instid1(VALU_DEP_1)
	v_clz_i32_u32_e32 v66, v66
	v_min_u32_e32 v68, 32, v66
	s_delay_alu instid0(VALU_DEP_1) | instskip(NEXT) | instid1(VALU_DEP_1)
	v_subrev_nc_u32_e32 v66, 28, v68
	v_lshlrev_b64_e32 v[66:67], v66, v[1:2]
	v_sub_nc_u32_e32 v67, 29, v68
	s_delay_alu instid0(VALU_DEP_2)
	v_and_b32_e32 v66, 7, v66
; %bb.367:                              ;   in Loop: Header=BB259_10 Depth=1
	s_wait_alu 0xfffe
	s_or_b32 exec_lo, exec_lo, s35
	v_lshlrev_b32_e32 v68, 8, v1
	v_lshl_add_u32 v67, v67, 10, 0x2000
	v_lshlrev_b32_e32 v66, 7, v66
	s_delay_alu instid0(VALU_DEP_3) | instskip(NEXT) | instid1(VALU_DEP_3)
	v_and_b32_e32 v68, 0x8000, v68
	v_and_b32_e32 v67, 0xfc00, v67
	s_delay_alu instid0(VALU_DEP_1)
	v_or3_b32 v66, v68, v67, v66
.LBB259_368:                            ;   in Loop: Header=BB259_10 Depth=1
	s_wait_alu 0xfffe
	s_or_b32 exec_lo, exec_lo, s34
.LBB259_369:                            ;   in Loop: Header=BB259_10 Depth=1
	s_delay_alu instid0(SALU_CYCLE_1)
	s_or_b32 exec_lo, exec_lo, s33
.LBB259_370:                            ;   in Loop: Header=BB259_10 Depth=1
	s_wait_alu 0xfffe
	s_or_b32 exec_lo, exec_lo, s5
	v_lshrrev_b16 v1, 8, v1
	s_mov_b32 s5, exec_lo
	s_delay_alu instid0(VALU_DEP_1)
	v_cmpx_ne_u16_e32 0, v1
	s_cbranch_execz .LBB259_378
; %bb.371:                              ;   in Loop: Header=BB259_10 Depth=1
	v_bfrev_b32_e32 v65, 1
	s_mov_b32 s33, exec_lo
	v_cmpx_ne_u16_e32 0x80, v1
	s_cbranch_execz .LBB259_377
; %bb.372:                              ;   in Loop: Header=BB259_10 Depth=1
	v_and_b32_e32 v67, 0xffff, v1
	v_mov_b32_e32 v65, 0x7c010000
	s_mov_b32 s34, exec_lo
	s_delay_alu instid0(VALU_DEP_2) | instskip(NEXT) | instid1(VALU_DEP_1)
	v_and_b32_e32 v69, 0x7f, v67
	v_cmpx_ne_u32_e32 0x7f, v69
	s_cbranch_execz .LBB259_376
; %bb.373:                              ;   in Loop: Header=BB259_10 Depth=1
	v_and_b32_e32 v65, 7, v67
	v_lshrrev_b32_e32 v68, 3, v69
	s_mov_b32 s35, exec_lo
	v_cmpx_gt_u32_e32 8, v69
; %bb.374:                              ;   in Loop: Header=BB259_10 Depth=1
	s_delay_alu instid0(VALU_DEP_3) | instskip(NEXT) | instid1(VALU_DEP_1)
	v_clz_i32_u32_e32 v65, v65
	v_min_u32_e32 v65, 32, v65
	s_delay_alu instid0(VALU_DEP_1) | instskip(NEXT) | instid1(VALU_DEP_1)
	v_subrev_nc_u32_e32 v68, 28, v65
	v_lshlrev_b64_e32 v[69:70], v68, v[1:2]
	v_sub_nc_u32_e32 v68, 29, v65
	s_delay_alu instid0(VALU_DEP_2)
	v_and_b32_e32 v65, 7, v69
; %bb.375:                              ;   in Loop: Header=BB259_10 Depth=1
	s_wait_alu 0xfffe
	s_or_b32 exec_lo, exec_lo, s35
	v_lshlrev_b32_e32 v1, 8, v67
	v_lshl_add_u32 v67, v68, 10, 0x2000
	v_lshlrev_b32_e32 v65, 23, v65
	s_delay_alu instid0(VALU_DEP_2) | instskip(NEXT) | instid1(VALU_DEP_1)
	v_and_or_b32 v1, 0x8000, v1, v67
	v_lshl_or_b32 v65, v1, 16, v65
.LBB259_376:                            ;   in Loop: Header=BB259_10 Depth=1
	s_wait_alu 0xfffe
	s_or_b32 exec_lo, exec_lo, s34
.LBB259_377:                            ;   in Loop: Header=BB259_10 Depth=1
	s_delay_alu instid0(SALU_CYCLE_1)
	s_or_b32 exec_lo, exec_lo, s33
.LBB259_378:                            ;   in Loop: Header=BB259_10 Depth=1
	s_wait_alu 0xfffe
	s_or_b32 exec_lo, exec_lo, s5
	global_load_u16 v1, v[7:8], off offset:1416
	s_wait_loadcnt 0x0
	v_dual_mov_b32 v7, 0 :: v_dual_and_b32 v8, 0xff, v1
	v_and_b32_e32 v1, 0xffff, v1
	s_delay_alu instid0(VALU_DEP_2)
	v_cmp_ne_u16_e64 s4, 0, v8
	v_mov_b32_e32 v8, 0
	s_and_saveexec_b32 s5, s4
	s_cbranch_execz .LBB259_386
; %bb.379:                              ;   in Loop: Header=BB259_10 Depth=1
	v_and_b32_e32 v8, 0xff, v1
	s_delay_alu instid0(VALU_DEP_1)
	v_cmp_ne_u16_e64 s4, 0x80, v8
	v_mov_b32_e32 v8, 0x8000
	s_and_saveexec_b32 s33, s4
	s_cbranch_execz .LBB259_385
; %bb.380:                              ;   in Loop: Header=BB259_10 Depth=1
	v_and_b32_e32 v68, 0x7f, v1
	v_mov_b32_e32 v8, 0x7c01
	s_mov_b32 s34, exec_lo
	s_delay_alu instid0(VALU_DEP_2)
	v_cmpx_ne_u32_e32 0x7f, v68
	s_cbranch_execz .LBB259_384
; %bb.381:                              ;   in Loop: Header=BB259_10 Depth=1
	v_and_b32_e32 v8, 7, v1
	v_lshrrev_b32_e32 v67, 3, v68
	s_mov_b32 s35, exec_lo
	v_cmpx_gt_u32_e32 8, v68
; %bb.382:                              ;   in Loop: Header=BB259_10 Depth=1
	s_delay_alu instid0(VALU_DEP_3) | instskip(NEXT) | instid1(VALU_DEP_1)
	v_clz_i32_u32_e32 v8, v8
	v_min_u32_e32 v8, 32, v8
	s_delay_alu instid0(VALU_DEP_1) | instskip(NEXT) | instid1(VALU_DEP_1)
	v_subrev_nc_u32_e32 v67, 28, v8
	v_lshlrev_b64_e32 v[68:69], v67, v[1:2]
	v_sub_nc_u32_e32 v67, 29, v8
	s_delay_alu instid0(VALU_DEP_2)
	v_and_b32_e32 v8, 7, v68
; %bb.383:                              ;   in Loop: Header=BB259_10 Depth=1
	s_wait_alu 0xfffe
	s_or_b32 exec_lo, exec_lo, s35
	v_lshlrev_b32_e32 v68, 8, v1
	v_lshl_add_u32 v67, v67, 10, 0x2000
	v_lshlrev_b32_e32 v8, 7, v8
	s_delay_alu instid0(VALU_DEP_3) | instskip(NEXT) | instid1(VALU_DEP_3)
	v_and_b32_e32 v68, 0x8000, v68
	v_and_b32_e32 v67, 0xfc00, v67
	s_delay_alu instid0(VALU_DEP_1)
	v_or3_b32 v8, v68, v67, v8
.LBB259_384:                            ;   in Loop: Header=BB259_10 Depth=1
	s_wait_alu 0xfffe
	s_or_b32 exec_lo, exec_lo, s34
.LBB259_385:                            ;   in Loop: Header=BB259_10 Depth=1
	s_delay_alu instid0(SALU_CYCLE_1)
	s_or_b32 exec_lo, exec_lo, s33
.LBB259_386:                            ;   in Loop: Header=BB259_10 Depth=1
	s_wait_alu 0xfffe
	s_or_b32 exec_lo, exec_lo, s5
	v_lshrrev_b16 v1, 8, v1
	s_mov_b32 s5, exec_lo
	s_delay_alu instid0(VALU_DEP_1)
	v_cmpx_ne_u16_e32 0, v1
	s_cbranch_execz .LBB259_394
; %bb.387:                              ;   in Loop: Header=BB259_10 Depth=1
	v_bfrev_b32_e32 v7, 1
	s_mov_b32 s33, exec_lo
	v_cmpx_ne_u16_e32 0x80, v1
	s_cbranch_execz .LBB259_393
; %bb.388:                              ;   in Loop: Header=BB259_10 Depth=1
	v_and_b32_e32 v67, 0xffff, v1
	v_mov_b32_e32 v7, 0x7c010000
	s_mov_b32 s34, exec_lo
	s_delay_alu instid0(VALU_DEP_2) | instskip(NEXT) | instid1(VALU_DEP_1)
	v_and_b32_e32 v69, 0x7f, v67
	v_cmpx_ne_u32_e32 0x7f, v69
	s_cbranch_execz .LBB259_392
; %bb.389:                              ;   in Loop: Header=BB259_10 Depth=1
	v_and_b32_e32 v7, 7, v67
	v_lshrrev_b32_e32 v68, 3, v69
	s_mov_b32 s35, exec_lo
	v_cmpx_gt_u32_e32 8, v69
; %bb.390:                              ;   in Loop: Header=BB259_10 Depth=1
	s_delay_alu instid0(VALU_DEP_3) | instskip(NEXT) | instid1(VALU_DEP_1)
	v_clz_i32_u32_e32 v7, v7
	v_min_u32_e32 v7, 32, v7
	s_delay_alu instid0(VALU_DEP_1) | instskip(NEXT) | instid1(VALU_DEP_1)
	v_subrev_nc_u32_e32 v68, 28, v7
	v_lshlrev_b64_e32 v[69:70], v68, v[1:2]
	v_sub_nc_u32_e32 v68, 29, v7
	s_delay_alu instid0(VALU_DEP_2)
	v_and_b32_e32 v7, 7, v69
; %bb.391:                              ;   in Loop: Header=BB259_10 Depth=1
	s_wait_alu 0xfffe
	s_or_b32 exec_lo, exec_lo, s35
	v_lshlrev_b32_e32 v1, 8, v67
	v_lshl_add_u32 v67, v68, 10, 0x2000
	v_lshlrev_b32_e32 v7, 23, v7
	s_delay_alu instid0(VALU_DEP_2) | instskip(NEXT) | instid1(VALU_DEP_1)
	v_and_or_b32 v1, 0x8000, v1, v67
	v_lshl_or_b32 v7, v1, 16, v7
.LBB259_392:                            ;   in Loop: Header=BB259_10 Depth=1
	s_wait_alu 0xfffe
	s_or_b32 exec_lo, exec_lo, s34
.LBB259_393:                            ;   in Loop: Header=BB259_10 Depth=1
	s_delay_alu instid0(SALU_CYCLE_1)
	s_or_b32 exec_lo, exec_lo, s33
.LBB259_394:                            ;   in Loop: Header=BB259_10 Depth=1
	s_wait_alu 0xfffe
	s_or_b32 exec_lo, exec_lo, s5
	ds_load_b32 v1, v16
	v_or_b32_e32 v22, v21, v22
	v_fma_mixlo_f16 v21, v20, v21, 0 op_sel:[0,1,0] op_sel_hi:[0,1,0]
	v_or_b32_e32 v24, v23, v24
	v_fma_mixlo_f16 v23, v20, v23, 0 op_sel:[0,1,0] op_sel_hi:[0,1,0]
	v_or_b32_e32 v26, v25, v26
	v_fma_mixlo_f16 v22, v20, v22, 0 op_sel_hi:[0,1,0]
	v_and_b32_e32 v69, 0xffff, v21
	v_fma_mixlo_f16 v24, v20, v24, 0 op_sel_hi:[0,1,0]
	v_and_b32_e32 v71, 0xffff, v23
	;; [unrolled: 2-line block ×3, first 2 shown]
	v_fma_mixlo_f16 v25, v20, v25, 0 op_sel:[0,1,0] op_sel_hi:[0,1,0]
	v_or_b32_e32 v28, v27, v28
	v_fma_mixlo_f16 v27, v20, v27, 0 op_sel:[0,1,0] op_sel_hi:[0,1,0]
	v_and_b32_e32 v72, 0xffff, v26
	v_or_b32_e32 v30, v29, v30
	v_and_b32_e32 v73, 0xffff, v25
	v_fma_mixlo_f16 v28, v20, v28, 0 op_sel_hi:[0,1,0]
	v_and_b32_e32 v75, 0xffff, v27
	s_wait_dscnt 0x0
	v_and_b32_e32 v67, 0xffff, v1
	v_lshrrev_b32_e32 v68, 16, v1
	;;#ASMSTART
	v_cvt_f32_f16 v1, v67;
	;;#ASMEND
	;;#ASMSTART
	v_cvt_f32_f16 v21, v68;
	;;#ASMEND
	;; [unrolled: 3-line block ×4, first 2 shown]
	ds_load_b32 v68, v16 offset:4
	v_and_b32_e32 v70, 0xffff, v24
	v_fma_mixlo_f16 v30, v20, v30, 0 op_sel_hi:[0,1,0]
	v_fma_mixlo_f16 v29, v20, v29, 0 op_sel:[0,1,0] op_sel_hi:[0,1,0]
	v_or_b32_e32 v32, v31, v32
	v_fma_mixlo_f16 v31, v20, v31, 0 op_sel:[0,1,0] op_sel_hi:[0,1,0]
	v_or_b32_e32 v34, v33, v34
	v_fma_mixlo_f16 v33, v20, v33, 0 op_sel:[0,1,0] op_sel_hi:[0,1,0]
	v_and_b32_e32 v77, 0xffff, v29
	v_fma_mixlo_f16 v32, v20, v32, 0 op_sel_hi:[0,1,0]
	v_and_b32_e32 v79, 0xffff, v31
	v_fma_mixlo_f16 v34, v20, v34, 0 op_sel_hi:[0,1,0]
	v_and_b32_e32 v81, 0xffff, v33
	v_or_b32_e32 v36, v35, v36
	v_fma_mixlo_f16 v35, v20, v35, 0 op_sel:[0,1,0] op_sel_hi:[0,1,0]
	v_or_b32_e32 v38, v37, v38
	v_and_b32_e32 v80, 0xffff, v34
	v_fma_mixlo_f16 v37, v20, v37, 0 op_sel:[0,1,0] op_sel_hi:[0,1,0]
	v_fma_mixlo_f16 v36, v20, v36, 0 op_sel_hi:[0,1,0]
	v_and_b32_e32 v83, 0xffff, v35
	s_wait_dscnt 0x0
	v_and_b32_e32 v69, 0xffff, v68
	v_lshrrev_b32_e32 v68, 16, v68
	;;#ASMSTART
	v_cvt_f32_f16 v23, v69;
	;;#ASMEND
	;;#ASMSTART
	v_cvt_f32_f16 v24, v68;
	;;#ASMEND
	;;#ASMSTART
	v_cvt_f32_f16 v68, v70;
	;;#ASMEND
	;;#ASMSTART
	v_cvt_f32_f16 v69, v71;
	;;#ASMEND
	ds_load_b32 v70, v16 offset:8
	v_mul_f32_e32 v23, v23, v68
	v_fma_mixlo_f16 v38, v20, v38, 0 op_sel_hi:[0,1,0]
	v_and_b32_e32 v85, 0xffff, v37
	v_or_b32_e32 v40, v39, v40
	v_fma_mixlo_f16 v39, v20, v39, 0 op_sel:[0,1,0] op_sel_hi:[0,1,0]
	v_fmac_f32_e32 v23, v1, v22
	v_or_b32_e32 v42, v41, v42
	v_fma_mixlo_f16 v41, v20, v41, 0 op_sel:[0,1,0] op_sel_hi:[0,1,0]
	v_fma_mixlo_f16 v40, v20, v40, 0 op_sel_hi:[0,1,0]
	v_and_b32_e32 v87, 0xffff, v39
	v_or_b32_e32 v44, v43, v44
	v_fma_mixlo_f16 v42, v20, v42, 0 op_sel_hi:[0,1,0]
	v_and_b32_e32 v89, 0xffff, v41
	v_fma_mixlo_f16 v43, v20, v43, 0 op_sel:[0,1,0] op_sel_hi:[0,1,0]
	v_or_b32_e32 v46, v45, v46
	v_fma_mixlo_f16 v44, v20, v44, 0 op_sel_hi:[0,1,0]
	v_and_b32_e32 v88, 0xffff, v42
	v_fma_mixlo_f16 v45, v20, v45, 0 op_sel:[0,1,0] op_sel_hi:[0,1,0]
	v_and_b32_e32 v91, 0xffff, v43
	s_wait_dscnt 0x0
	v_and_b32_e32 v71, 0xffff, v70
	v_lshrrev_b32_e32 v70, 16, v70
	;;#ASMSTART
	v_cvt_f32_f16 v25, v71;
	;;#ASMEND
	;;#ASMSTART
	v_cvt_f32_f16 v26, v70;
	;;#ASMEND
	;; [unrolled: 3-line block ×4, first 2 shown]
	ds_load_b32 v72, v16 offset:12
	v_dual_fmac_f32 v23, v25, v70 :: v_dual_and_b32 v74, 0xffff, v28
	v_fma_mixlo_f16 v46, v20, v46, 0 op_sel_hi:[0,1,0]
	v_and_b32_e32 v93, 0xffff, v45
	v_or_b32_e32 v48, v47, v48
	v_fma_mixlo_f16 v47, v20, v47, 0 op_sel:[0,1,0] op_sel_hi:[0,1,0]
	v_or_b32_e32 v50, v49, v50
	v_fma_mixlo_f16 v49, v20, v49, 0 op_sel:[0,1,0] op_sel_hi:[0,1,0]
	v_or_b32_e32 v52, v51, v52
	v_fma_mixlo_f16 v48, v20, v48, 0 op_sel_hi:[0,1,0]
	v_and_b32_e32 v95, 0xffff, v47
	v_fma_mixlo_f16 v50, v20, v50, 0 op_sel_hi:[0,1,0]
	v_and_b32_e32 v97, 0xffff, v49
	v_fma_mixlo_f16 v52, v20, v52, 0 op_sel_hi:[0,1,0]
	v_fma_mixlo_f16 v51, v20, v51, 0 op_sel:[0,1,0] op_sel_hi:[0,1,0]
	v_or_b32_e32 v54, v53, v54
	v_and_b32_e32 v96, 0xffff, v50
	v_fma_mixlo_f16 v53, v20, v53, 0 op_sel:[0,1,0] op_sel_hi:[0,1,0]
	v_or_b32_e32 v56, v55, v56
	s_wait_dscnt 0x0
	v_and_b32_e32 v73, 0xffff, v72
	v_lshrrev_b32_e32 v72, 16, v72
	;;#ASMSTART
	v_cvt_f32_f16 v27, v73;
	;;#ASMEND
	;;#ASMSTART
	v_cvt_f32_f16 v28, v72;
	;;#ASMEND
	;;#ASMSTART
	v_cvt_f32_f16 v72, v74;
	;;#ASMEND
	;;#ASMSTART
	v_cvt_f32_f16 v73, v75;
	;;#ASMEND
	ds_load_b32 v74, v16 offset:16
	v_dual_fmac_f32 v23, v27, v72 :: v_dual_and_b32 v76, 0xffff, v30
	v_and_b32_e32 v99, 0xffff, v51
	v_fma_mixlo_f16 v54, v20, v54, 0 op_sel_hi:[0,1,0]
	v_and_b32_e32 v101, 0xffff, v53
	v_fma_mixlo_f16 v56, v20, v56, 0 op_sel_hi:[0,1,0]
	v_fma_mixlo_f16 v55, v20, v55, 0 op_sel:[0,1,0] op_sel_hi:[0,1,0]
	v_or_b32_e32 v58, v57, v58
	v_mul_f32_e32 v24, v24, v69
	v_fma_mixlo_f16 v57, v20, v57, 0 op_sel:[0,1,0] op_sel_hi:[0,1,0]
	v_or_b32_e32 v60, v59, v60
	v_and_b32_e32 v103, 0xffff, v55
	v_fma_mixlo_f16 v58, v20, v58, 0 op_sel_hi:[0,1,0]
	s_delay_alu instid0(VALU_DEP_4) | instskip(NEXT) | instid1(VALU_DEP_4)
	v_dual_fmac_f32 v24, v21, v67 :: v_dual_and_b32 v105, 0xffff, v57
	v_fma_mixlo_f16 v60, v20, v60, 0 op_sel_hi:[0,1,0]
	v_fma_mixlo_f16 v59, v20, v59, 0 op_sel:[0,1,0] op_sel_hi:[0,1,0]
	s_delay_alu instid0(VALU_DEP_4)
	v_and_b32_e32 v104, 0xffff, v58
	s_wait_dscnt 0x0
	v_dual_fmac_f32 v24, v26, v71 :: v_dual_and_b32 v75, 0xffff, v74
	v_lshrrev_b32_e32 v74, 16, v74
	;;#ASMSTART
	v_cvt_f32_f16 v29, v75;
	;;#ASMEND
	;;#ASMSTART
	v_cvt_f32_f16 v30, v74;
	;;#ASMEND
	;; [unrolled: 3-line block ×4, first 2 shown]
	ds_load_b32 v76, v16 offset:20
	v_dual_fmac_f32 v23, v29, v74 :: v_dual_and_b32 v78, 0xffff, v32
	v_dual_fmac_f32 v24, v28, v73 :: v_dual_and_b32 v59, 0xffff, v59
	v_or_b32_e32 v27, v61, v62
	v_fma_mixlo_f16 v28, v20, v61, 0 op_sel:[0,1,0] op_sel_hi:[0,1,0]
	v_or_b32_e32 v8, v7, v8
	s_delay_alu instid0(VALU_DEP_4) | instskip(NEXT) | instid1(VALU_DEP_4)
	v_fmac_f32_e32 v24, v30, v75
	v_fma_mixlo_f16 v27, v20, v27, 0 op_sel_hi:[0,1,0]
	s_delay_alu instid0(VALU_DEP_4) | instskip(NEXT) | instid1(VALU_DEP_4)
	v_and_b32_e32 v29, 0xffff, v28
	v_fma_mixlo_f16 v8, v20, v8, 0 op_sel_hi:[0,1,0]
	s_wait_dscnt 0x0
	v_and_b32_e32 v77, 0xffff, v76
	v_lshrrev_b32_e32 v76, 16, v76
	;;#ASMSTART
	v_cvt_f32_f16 v31, v77;
	;;#ASMEND
	;;#ASMSTART
	v_cvt_f32_f16 v32, v76;
	;;#ASMEND
	;; [unrolled: 3-line block ×4, first 2 shown]
	ds_load_b32 v78, v16 offset:24
	v_dual_fmac_f32 v23, v31, v76 :: v_dual_fmac_f32 v24, v32, v77
	v_and_b32_e32 v31, 0xffff, v27
	v_fma_mixlo_f16 v32, v20, v63, 0 op_sel:[0,1,0] op_sel_hi:[0,1,0]
	s_wait_dscnt 0x0
	v_and_b32_e32 v79, 0xffff, v78
	v_lshrrev_b32_e32 v78, 16, v78
	;;#ASMSTART
	v_cvt_f32_f16 v33, v79;
	;;#ASMEND
	;;#ASMSTART
	v_cvt_f32_f16 v34, v78;
	;;#ASMEND
	;; [unrolled: 3-line block ×4, first 2 shown]
	ds_load_b32 v80, v16 offset:28
	v_dual_fmac_f32 v23, v33, v78 :: v_dual_and_b32 v82, 0xffff, v36
	v_dual_fmac_f32 v24, v34, v79 :: v_dual_and_b32 v33, 0xffff, v32
	s_wait_dscnt 0x0
	v_and_b32_e32 v81, 0xffff, v80
	v_lshrrev_b32_e32 v80, 16, v80
	;;#ASMSTART
	v_cvt_f32_f16 v35, v81;
	;;#ASMEND
	;;#ASMSTART
	v_cvt_f32_f16 v36, v80;
	;;#ASMEND
	;; [unrolled: 3-line block ×4, first 2 shown]
	ds_load_b32 v82, v16 offset:32
	v_dual_fmac_f32 v23, v35, v80 :: v_dual_and_b32 v84, 0xffff, v38
	v_fmac_f32_e32 v24, v36, v81
	v_fma_mixlo_f16 v36, v20, v65, 0 op_sel:[0,1,0] op_sel_hi:[0,1,0]
	s_wait_dscnt 0x0
	v_and_b32_e32 v83, 0xffff, v82
	v_lshrrev_b32_e32 v82, 16, v82
	;;#ASMSTART
	v_cvt_f32_f16 v37, v83;
	;;#ASMEND
	;;#ASMSTART
	v_cvt_f32_f16 v38, v82;
	;;#ASMEND
	;;#ASMSTART
	v_cvt_f32_f16 v82, v84;
	;;#ASMEND
	;;#ASMSTART
	v_cvt_f32_f16 v83, v85;
	;;#ASMEND
	ds_load_b32 v84, v16 offset:36
	v_dual_fmac_f32 v23, v37, v82 :: v_dual_and_b32 v86, 0xffff, v40
	v_dual_fmac_f32 v24, v38, v83 :: v_dual_and_b32 v37, 0xffff, v36
	s_wait_dscnt 0x0
	v_and_b32_e32 v85, 0xffff, v84
	v_lshrrev_b32_e32 v84, 16, v84
	;;#ASMSTART
	v_cvt_f32_f16 v39, v85;
	;;#ASMEND
	;;#ASMSTART
	v_cvt_f32_f16 v40, v84;
	;;#ASMEND
	;; [unrolled: 3-line block ×4, first 2 shown]
	ds_load_b32 v86, v16 offset:40
	v_dual_fmac_f32 v23, v39, v84 :: v_dual_fmac_f32 v24, v40, v85
	s_wait_dscnt 0x0
	v_and_b32_e32 v87, 0xffff, v86
	v_lshrrev_b32_e32 v86, 16, v86
	;;#ASMSTART
	v_cvt_f32_f16 v41, v87;
	;;#ASMEND
	;;#ASMSTART
	v_cvt_f32_f16 v42, v86;
	;;#ASMEND
	;;#ASMSTART
	v_cvt_f32_f16 v86, v88;
	;;#ASMEND
	;;#ASMSTART
	v_cvt_f32_f16 v87, v89;
	;;#ASMEND
	ds_load_b32 v88, v16 offset:44
	v_dual_fmac_f32 v23, v41, v86 :: v_dual_and_b32 v90, 0xffff, v44
	s_wait_dscnt 0x0
	v_dual_fmac_f32 v24, v42, v87 :: v_dual_and_b32 v89, 0xffff, v88
	v_lshrrev_b32_e32 v88, 16, v88
	;;#ASMSTART
	v_cvt_f32_f16 v43, v89;
	;;#ASMEND
	;;#ASMSTART
	v_cvt_f32_f16 v44, v88;
	;;#ASMEND
	;;#ASMSTART
	v_cvt_f32_f16 v88, v90;
	;;#ASMEND
	;;#ASMSTART
	v_cvt_f32_f16 v89, v91;
	;;#ASMEND
	ds_load_b32 v90, v16 offset:48
	v_dual_fmac_f32 v23, v43, v88 :: v_dual_and_b32 v92, 0xffff, v46
	s_wait_dscnt 0x0
	v_dual_fmac_f32 v24, v44, v89 :: v_dual_and_b32 v91, 0xffff, v90
	;; [unrolled: 17-line block ×3, first 2 shown]
	v_lshrrev_b32_e32 v92, 16, v92
	;;#ASMSTART
	v_cvt_f32_f16 v47, v93;
	;;#ASMEND
	;;#ASMSTART
	v_cvt_f32_f16 v48, v92;
	;;#ASMEND
	;; [unrolled: 3-line block ×4, first 2 shown]
	ds_load_b32 v94, v16 offset:56
	v_dual_fmac_f32 v23, v47, v92 :: v_dual_fmac_f32 v24, v48, v93
	s_wait_dscnt 0x0
	v_and_b32_e32 v95, 0xffff, v94
	v_lshrrev_b32_e32 v94, 16, v94
	;;#ASMSTART
	v_cvt_f32_f16 v49, v95;
	;;#ASMEND
	;;#ASMSTART
	v_cvt_f32_f16 v50, v94;
	;;#ASMEND
	;;#ASMSTART
	v_cvt_f32_f16 v94, v96;
	;;#ASMEND
	;;#ASMSTART
	v_cvt_f32_f16 v95, v97;
	;;#ASMEND
	ds_load_b32 v96, v16 offset:60
	v_dual_fmac_f32 v23, v49, v94 :: v_dual_and_b32 v98, 0xffff, v52
	s_wait_dscnt 0x0
	v_dual_fmac_f32 v24, v50, v95 :: v_dual_and_b32 v97, 0xffff, v96
	v_lshrrev_b32_e32 v96, 16, v96
	;;#ASMSTART
	v_cvt_f32_f16 v51, v97;
	;;#ASMEND
	;;#ASMSTART
	v_cvt_f32_f16 v52, v96;
	;;#ASMEND
	;;#ASMSTART
	v_cvt_f32_f16 v96, v98;
	;;#ASMEND
	;;#ASMSTART
	v_cvt_f32_f16 v97, v99;
	;;#ASMEND
	ds_load_b32 v98, v16 offset:64
	v_dual_fmac_f32 v23, v51, v96 :: v_dual_and_b32 v100, 0xffff, v54
	s_wait_dscnt 0x0
	v_dual_fmac_f32 v24, v52, v97 :: v_dual_and_b32 v99, 0xffff, v98
	;; [unrolled: 17-line block ×3, first 2 shown]
	v_lshrrev_b32_e32 v100, 16, v100
	;;#ASMSTART
	v_cvt_f32_f16 v55, v101;
	;;#ASMEND
	;;#ASMSTART
	v_cvt_f32_f16 v56, v100;
	;;#ASMEND
	;;#ASMSTART
	v_cvt_f32_f16 v100, v102;
	;;#ASMEND
	;;#ASMSTART
	v_cvt_f32_f16 v101, v103;
	;;#ASMEND
	ds_load_b32 v102, v16 offset:72
	v_dual_fmac_f32 v23, v55, v100 :: v_dual_fmac_f32 v24, v56, v101
	s_wait_dscnt 0x0
	v_and_b32_e32 v103, 0xffff, v102
	v_lshrrev_b32_e32 v102, 16, v102
	;;#ASMSTART
	v_cvt_f32_f16 v57, v103;
	;;#ASMEND
	;;#ASMSTART
	v_cvt_f32_f16 v58, v102;
	;;#ASMEND
	;; [unrolled: 3-line block ×4, first 2 shown]
	ds_load_b32 v104, v16 offset:76
	v_dual_fmac_f32 v23, v57, v102 :: v_dual_and_b32 v22, 0xffff, v60
	s_wait_dscnt 0x0
	v_dual_fmac_f32 v24, v58, v103 :: v_dual_and_b32 v1, 0xffff, v104
	v_lshrrev_b32_e32 v21, 16, v104
	;;#ASMSTART
	v_cvt_f32_f16 v1, v1;
	;;#ASMEND
	;;#ASMSTART
	v_cvt_f32_f16 v21, v21;
	;;#ASMEND
	;; [unrolled: 3-line block ×4, first 2 shown]
	ds_load_b32 v26, v16 offset:80
	v_dual_fmac_f32 v23, v1, v22 :: v_dual_and_b32 v22, 0xffff, v8
	v_fmac_f32_e32 v24, v21, v25
	v_fma_mixlo_f16 v1, v20, v7, 0 op_sel:[0,1,0] op_sel_hi:[0,1,0]
	v_xor_b32_e32 v7, 2, v13
	s_delay_alu instid0(VALU_DEP_2) | instskip(NEXT) | instid1(VALU_DEP_2)
	v_and_b32_e32 v21, 0xffff, v1
	v_cmp_gt_i32_e64 s4, 32, v7
	s_wait_alu 0xf1ff
	s_delay_alu instid0(VALU_DEP_1)
	v_cndmask_b32_e64 v1, v13, v7, s4
	s_wait_dscnt 0x0
	v_and_b32_e32 v28, 0xffff, v26
	v_lshrrev_b32_e32 v30, 16, v26
	;;#ASMSTART
	v_cvt_f32_f16 v26, v28;
	;;#ASMEND
	;;#ASMSTART
	v_cvt_f32_f16 v27, v30;
	;;#ASMEND
	;; [unrolled: 3-line block ×4, first 2 shown]
	ds_load_b32 v30, v16 offset:84
	v_or_b32_e32 v31, v63, v64
	v_dual_fmac_f32 v23, v26, v28 :: v_dual_fmac_f32 v24, v27, v29
	v_lshlrev_b32_e32 v1, 2, v1
	s_delay_alu instid0(VALU_DEP_3) | instskip(NEXT) | instid1(VALU_DEP_1)
	v_fma_mixlo_f16 v31, v20, v31, 0 op_sel_hi:[0,1,0]
	v_and_b32_e32 v35, 0xffff, v31
	s_wait_dscnt 0x0
	v_and_b32_e32 v32, 0xffff, v30
	v_lshrrev_b32_e32 v34, 16, v30
	;;#ASMSTART
	v_cvt_f32_f16 v30, v32;
	;;#ASMEND
	;;#ASMSTART
	v_cvt_f32_f16 v31, v34;
	;;#ASMEND
	;; [unrolled: 3-line block ×4, first 2 shown]
	ds_load_b32 v34, v16 offset:88
	v_or_b32_e32 v35, v65, v66
	v_dual_fmac_f32 v23, v30, v32 :: v_dual_fmac_f32 v24, v31, v33
	s_delay_alu instid0(VALU_DEP_2) | instskip(NEXT) | instid1(VALU_DEP_1)
	v_fma_mixlo_f16 v35, v20, v35, 0 op_sel_hi:[0,1,0]
	v_and_b32_e32 v39, 0xffff, v35
	s_wait_dscnt 0x0
	v_and_b32_e32 v36, 0xffff, v34
	v_lshrrev_b32_e32 v38, 16, v34
	;;#ASMSTART
	v_cvt_f32_f16 v34, v36;
	;;#ASMEND
	;;#ASMSTART
	v_cvt_f32_f16 v35, v38;
	;;#ASMEND
	;; [unrolled: 3-line block ×4, first 2 shown]
	ds_load_b32 v38, v16 offset:92
	v_dual_fmac_f32 v23, v34, v36 :: v_dual_fmac_f32 v24, v35, v37
	s_wait_dscnt 0x0
	v_and_b32_e32 v7, 0xffff, v38
	v_lshrrev_b32_e32 v20, 16, v38
	;;#ASMSTART
	v_cvt_f32_f16 v7, v7;
	;;#ASMEND
	;;#ASMSTART
	v_cvt_f32_f16 v8, v20;
	;;#ASMEND
	;; [unrolled: 3-line block ×4, first 2 shown]
	v_dual_fmac_f32 v23, v7, v20 :: v_dual_fmac_f32 v24, v8, v21
	v_xor_b32_e32 v8, 1, v13
	s_delay_alu instid0(VALU_DEP_2) | instskip(NEXT) | instid1(VALU_DEP_2)
	v_add_f32_e32 v7, v23, v24
	v_cmp_gt_i32_e64 s4, 32, v8
	ds_bpermute_b32 v1, v1, v7
	s_wait_alu 0xf1ff
	v_cndmask_b32_e64 v8, v13, v8, s4
	s_wait_dscnt 0x0
	v_add_f32_e32 v1, v7, v1
	s_delay_alu instid0(VALU_DEP_2)
	v_lshlrev_b32_e32 v7, 2, v8
	ds_bpermute_b32 v7, v7, v1
	s_and_saveexec_b32 s5, vcc_lo
	s_cbranch_execz .LBB259_9
; %bb.395:                              ;   in Loop: Header=BB259_10 Depth=1
	s_wait_dscnt 0x0
	v_dual_add_f32 v1, v1, v7 :: v_dual_add_nc_u32 v8, s31, v17
	v_cmp_gt_i32_e64 s4, s27, v17
	s_delay_alu instid0(VALU_DEP_2) | instskip(NEXT) | instid1(VALU_DEP_1)
	v_cvt_f32_i32_e32 v8, v8
	v_mul_f32_e32 v8, s6, v8
	s_delay_alu instid0(VALU_DEP_1) | instskip(NEXT) | instid1(VALU_DEP_1)
	v_cndmask_b32_e64 v7, 0, v8, s3
	v_dual_max_num_f32 v8, v14, v14 :: v_dual_fmac_f32 v7, s7, v1
	s_delay_alu instid0(VALU_DEP_1) | instskip(SKIP_2) | instid1(VALU_DEP_2)
	v_max_num_f32_e32 v1, v8, v7
	s_wait_alu 0xf1ff
	v_cndmask_b32_e64 v7, 0, v7, s4
	v_cndmask_b32_e64 v14, v14, v1, s4
	ds_store_b32 v18, v7
	s_branch .LBB259_9
.LBB259_396:
	s_or_b32 exec_lo, exec_lo, s15
.LBB259_397:
	s_delay_alu instid0(SALU_CYCLE_1)
	s_or_b32 exec_lo, exec_lo, s24
	v_xor_b32_e32 v1, 16, v13
	v_xor_b32_e32 v4, 8, v13
	;; [unrolled: 1-line block ×3, first 2 shown]
	s_load_b128 s[4:7], s[0:1], 0x0
	s_wait_kmcnt 0x0
	s_clause 0x1
	s_load_b64 s[8:9], s[0:1], 0x10
	s_load_b64 s[24:25], s[0:1], 0x28
	v_cmp_lt_i32_e32 vcc_lo, v1, v15
	v_cndmask_b32_e32 v1, v13, v1, vcc_lo
	v_cmp_lt_i32_e32 vcc_lo, v4, v15
	s_wait_alu 0xfffd
	v_dual_max_num_f32 v5, v14, v14 :: v_dual_cndmask_b32 v4, v13, v4
	v_cmp_lt_i32_e32 vcc_lo, v6, v15
	s_delay_alu instid0(VALU_DEP_2)
	v_lshlrev_b32_e32 v4, 2, v4
	s_wait_alu 0xfffd
	v_dual_cndmask_b32 v6, v13, v6 :: v_dual_lshlrev_b32 v3, 2, v1
	ds_bpermute_b32 v1, v3, v14
	s_wait_dscnt 0x1
	v_lshlrev_b32_e32 v7, 2, v6
	v_and_b32_e32 v14, 31, v0
	s_delay_alu instid0(VALU_DEP_1) | instskip(SKIP_2) | instid1(VALU_DEP_1)
	v_cmp_eq_u32_e32 vcc_lo, 0, v14
	s_wait_dscnt 0x0
	v_max_num_f32_e32 v1, v1, v1
	v_max_num_f32_e32 v1, v5, v1
	ds_bpermute_b32 v5, v4, v1
	s_wait_dscnt 0x0
	v_max_num_f32_e32 v5, v5, v5
	s_delay_alu instid0(VALU_DEP_1)
	v_max_num_f32_e32 v1, v1, v5
	v_lshlrev_b32_e32 v5, 2, v11
	ds_bpermute_b32 v6, v7, v1
	s_and_saveexec_b32 s0, vcc_lo
	s_cbranch_execz .LBB259_399
; %bb.398:
	s_wait_dscnt 0x0
	v_dual_max_num_f32 v6, v6, v6 :: v_dual_max_num_f32 v1, v1, v1
	s_delay_alu instid0(VALU_DEP_1)
	v_max_num_f32_e32 v1, v1, v6
	ds_store_b32 v5, v1 offset:384
.LBB259_399:
	s_or_b32 exec_lo, exec_lo, s0
	v_cmp_gt_u32_e64 s0, 4, v14
	s_wait_dscnt 0x0
	v_dual_mov_b32 v1, 0xff7fffff :: v_dual_lshlrev_b32 v6, 2, v14
	s_wait_loadcnt 0x0
	s_barrier_signal -1
	s_barrier_wait -1
	global_inv scope:SCOPE_SE
	s_and_saveexec_b32 s1, s0
; %bb.400:
	ds_load_b32 v1, v6 offset:384
; %bb.401:
	s_or_b32 exec_lo, exec_lo, s1
	v_xor_b32_e32 v8, 2, v13
	v_xor_b32_e32 v17, 1, v13
	v_lshlrev_b32_e32 v2, 2, v2
	s_delay_alu instid0(VALU_DEP_3) | instskip(NEXT) | instid1(VALU_DEP_1)
	v_cmp_lt_i32_e64 s1, v8, v15
	v_cndmask_b32_e64 v8, v13, v8, s1
	s_delay_alu instid0(VALU_DEP_4) | instskip(NEXT) | instid1(VALU_DEP_2)
	v_cmp_lt_i32_e64 s1, v17, v15
	v_lshlrev_b32_e32 v8, 2, v8
	s_wait_alu 0xf1ff
	s_delay_alu instid0(VALU_DEP_2)
	v_cndmask_b32_e64 v15, v13, v17, s1
	s_sub_co_i32 s1, s17, s30
	s_wait_alu 0xfffe
	s_lshl_b32 s1, s1, 3
	s_wait_dscnt 0x0
	ds_bpermute_b32 v16, v8, v1
	v_max_num_f32_e32 v1, v1, v1
	v_lshlrev_b32_e32 v15, 2, v15
	s_wait_alu 0xfffe
	s_add_co_i32 s1, s1, s28
	s_wait_alu 0xfffe
	s_min_i32 s1, s1, s27
	s_wait_alu 0xfffe
	s_sub_co_i32 s15, s1, s28
	s_delay_alu instid0(SALU_CYCLE_1) | instskip(SKIP_2) | instid1(VALU_DEP_1)
	v_cmp_gt_i32_e64 s1, s15, v0
	s_wait_dscnt 0x0
	v_max_num_f32_e32 v16, v16, v16
	v_max_num_f32_e32 v1, v1, v16
	ds_bpermute_b32 v16, v15, v1
	s_wait_dscnt 0x0
	v_max_num_f32_e32 v16, v16, v16
	s_delay_alu instid0(VALU_DEP_1)
	v_dual_max_num_f32 v1, v1, v16 :: v_dual_mov_b32 v16, 0
	ds_bpermute_b32 v1, v2, v1
	v_lshl_add_u32 v2, v0, 2, 0x1a0
	s_and_saveexec_b32 s30, s1
	s_cbranch_execz .LBB259_405
; %bb.402:
	v_lshl_add_u32 v17, v0, 2, 0x1a0
	v_mov_b32_e32 v16, 0
	v_mov_b32_e32 v18, v0
	s_mov_b32 s31, 0
.LBB259_403:                            ; =>This Inner Loop Header: Depth=1
	ds_load_b32 v19, v17
	v_add_nc_u32_e32 v18, 0x80, v18
	s_delay_alu instid0(VALU_DEP_1) | instskip(SKIP_4) | instid1(VALU_DEP_1)
	v_cmp_le_i32_e64 s3, s15, v18
	s_wait_alu 0xfffe
	s_or_b32 s31, s3, s31
	s_wait_dscnt 0x0
	v_sub_f32_e32 v19, v19, v1
	v_mul_f32_e32 v19, 0x3fb8aa3b, v19
	s_delay_alu instid0(VALU_DEP_1)
	v_exp_f32_e32 v19, v19
	ds_store_b32 v17, v19
	v_dual_add_f32 v16, v16, v19 :: v_dual_add_nc_u32 v17, 0x200, v17
	s_wait_alu 0xfffe
	s_and_not1_b32 exec_lo, exec_lo, s31
	s_cbranch_execnz .LBB259_403
; %bb.404:
	s_or_b32 exec_lo, exec_lo, s31
.LBB259_405:
	s_wait_alu 0xfffe
	s_or_b32 exec_lo, exec_lo, s30
	ds_bpermute_b32 v3, v3, v16
	s_wait_dscnt 0x0
	v_add_f32_e32 v3, v16, v3
	ds_bpermute_b32 v4, v4, v3
	s_wait_dscnt 0x0
	v_add_f32_e32 v3, v3, v4
	;; [unrolled: 3-line block ×5, first 2 shown]
	s_and_saveexec_b32 s3, vcc_lo
; %bb.406:
	ds_store_b32 v5, v3 offset:400
; %bb.407:
	s_wait_alu 0xfffe
	s_or_b32 exec_lo, exec_lo, s3
	s_wait_loadcnt_dscnt 0x0
	s_barrier_signal -1
	s_barrier_wait -1
	global_inv scope:SCOPE_SE
	s_and_saveexec_b32 s3, s0
; %bb.408:
	ds_load_b32 v3, v6 offset:400
; %bb.409:
	s_wait_alu 0xfffe
	s_or_b32 exec_lo, exec_lo, s3
	s_wait_dscnt 0x0
	ds_bpermute_b32 v4, v8, v3
	v_lshlrev_b32_e32 v5, 2, v13
	s_wait_dscnt 0x0
	v_add_f32_e32 v3, v3, v4
	ds_bpermute_b32 v4, v15, v3
	s_wait_dscnt 0x0
	v_dual_add_f32 v3, v3, v4 :: v_dual_and_b32 v4, 0xffffff80, v5
	ds_bpermute_b32 v3, v4, v3
	s_and_saveexec_b32 s0, s1
	s_cbranch_execz .LBB259_412
; %bb.410:
	s_wait_dscnt 0x0
	v_add_f32_e32 v4, 0x358637bd, v3
	s_mov_b32 s1, 0
	s_delay_alu instid0(VALU_DEP_1) | instskip(SKIP_1) | instid1(VALU_DEP_2)
	v_div_scale_f32 v5, null, v4, v4, 1.0
	v_div_scale_f32 v8, vcc_lo, 1.0, v4, 1.0
	v_rcp_f32_e32 v6, v5
	s_delay_alu instid0(TRANS32_DEP_1) | instskip(NEXT) | instid1(VALU_DEP_1)
	v_fma_f32 v7, -v5, v6, 1.0
	v_fmac_f32_e32 v6, v7, v6
	s_delay_alu instid0(VALU_DEP_1) | instskip(NEXT) | instid1(VALU_DEP_1)
	v_mul_f32_e32 v7, v8, v6
	v_fma_f32 v13, -v5, v7, v8
	s_delay_alu instid0(VALU_DEP_1) | instskip(NEXT) | instid1(VALU_DEP_1)
	v_fmac_f32_e32 v7, v13, v6
	v_fma_f32 v5, -v5, v7, v8
	s_wait_alu 0xfffd
	s_delay_alu instid0(VALU_DEP_1) | instskip(NEXT) | instid1(VALU_DEP_1)
	v_div_fmas_f32 v5, v5, v6, v7
	v_div_fixup_f32 v4, v5, v4, 1.0
	v_mov_b32_e32 v5, v0
.LBB259_411:                            ; =>This Inner Loop Header: Depth=1
	ds_load_b32 v6, v2
	s_wait_dscnt 0x0
	v_dual_mul_f32 v6, v4, v6 :: v_dual_add_nc_u32 v5, 0x80, v5
	s_delay_alu instid0(VALU_DEP_1)
	v_cmp_le_i32_e32 vcc_lo, s15, v5
	ds_store_b32 v2, v6
	v_add_nc_u32_e32 v2, 0x200, v2
	s_wait_alu 0xfffe
	s_or_b32 s1, vcc_lo, s1
	s_wait_alu 0xfffe
	s_and_not1_b32 exec_lo, exec_lo, s1
	s_cbranch_execnz .LBB259_411
.LBB259_412:
	s_wait_alu 0xfffe
	s_or_b32 exec_lo, exec_lo, s0
	s_mul_i32 s0, s12, s22
	s_wait_loadcnt_dscnt 0x0
	s_wait_alu 0xfffe
	s_mul_i32 s22, s0, s23
	s_mov_b32 s0, exec_lo
	s_barrier_signal -1
	s_barrier_wait -1
	global_inv scope:SCOPE_SE
	v_cmpx_eq_u32_e32 0, v0
	s_cbranch_execz .LBB259_414
; %bb.413:
	s_ashr_i32 s23, s22, 31
	s_wait_alu 0xfffe
	s_mul_i32 s30, s12, ttmp9
	s_lshl_b32 s1, s26, 2
	s_lshl_b64 s[34:35], s[22:23], 2
	s_wait_alu 0xfffe
	s_ashr_i32 s31, s30, 31
	v_mov_b32_e32 v2, s1
	s_add_nc_u64 s[6:7], s[6:7], s[34:35]
	s_wait_alu 0xfffe
	s_lshl_b64 s[30:31], s[30:31], 2
	s_add_nc_u64 s[4:5], s[4:5], s[34:35]
	s_wait_alu 0xfffe
	s_add_nc_u64 s[6:7], s[6:7], s[30:31]
	s_add_nc_u64 s[4:5], s[4:5], s[30:31]
	s_clause 0x1
	global_store_b32 v2, v1, s[6:7]
	global_store_b32 v2, v3, s[4:5]
.LBB259_414:
	s_wait_alu 0xfffe
	s_or_b32 exec_lo, exec_lo, s0
	v_dual_mov_b32 v19, 0 :: v_dual_mov_b32 v18, 0
	v_dual_mov_b32 v17, 0 :: v_dual_mov_b32 v16, 0
	v_mov_b32_e32 v15, 0
	v_mov_b32_e32 v13, 0
	s_and_saveexec_b32 s1, s2
	s_cbranch_execz .LBB259_814
; %bb.415:
	v_dual_mov_b32 v2, 0 :: v_dual_lshlrev_b32 v1, 3, v14
	s_ashr_i32 s15, s14, 31
	v_add3_u32 v20, s28, v10, 7
	s_wait_kmcnt 0x0
	s_wait_alu 0xfffe
	s_add_nc_u64 s[6:7], s[24:25], s[14:15]
	v_lshl_add_u32 v21, v11, 5, 0x1a0
	s_wait_alu 0xfffe
	v_add_co_u32 v3, s0, s6, v1
	s_wait_alu 0xf1ff
	v_add_co_ci_u32_e64 v4, null, s7, 0, s0
	s_lshl_b64 s[6:7], s[18:19], 2
	v_dual_mov_b32 v13, 0 :: v_dual_mov_b32 v16, 0
	s_wait_alu 0xfffe
	s_add_nc_u64 s[6:7], s[20:21], s[6:7]
	v_dual_mov_b32 v15, 0 :: v_dual_mov_b32 v18, 0
	s_wait_alu 0xfffe
	v_add_co_u32 v5, s0, s6, v9
	s_wait_alu 0xf1ff
	v_add_co_ci_u32_e64 v6, null, s7, 0, s0
	v_mov_b32_e32 v17, 0
	v_mov_b32_e32 v19, 0
	s_mov_b32 s2, -1
	s_mov_b32 s4, s13
	s_mov_b32 s3, 0xffffff
	s_add_co_i32 s29, s29, -1
	s_mov_b32 s5, 0
	s_branch .LBB259_417
.LBB259_416:                            ;   in Loop: Header=BB259_417 Depth=1
	s_wait_alu 0xfffe
	s_or_b32 exec_lo, exec_lo, s0
	;;#ASMSTART
	v_pk_mul_f16 v22, v34, v41;

	;;#ASMEND
	;;#ASMSTART
	v_pk_mul_f16 v8, v32, v8;

	;;#ASMEND
	;; [unrolled: 4-line block ×3, first 2 shown]
	v_dual_add_f32 v9, v9, v10 :: v_dual_add_f32 v10, v39, v40
	;;#ASMSTART
	v_pk_mul_f16 v1, v29, v1;

	;;#ASMEND
	;;#ASMSTART
	v_pk_add_f16 v8, v22, v8;

	;;#ASMEND
	;;#ASMSTART
	v_pk_add_f16 v7, v8, v7;
	;; [unrolled: 4-line block ×3, first 2 shown]

	;;#ASMEND
	v_add_f32_e32 v7, v35, v36
	v_dual_add_f32 v15, v15, v9 :: v_dual_add_f32 v16, v16, v10
	v_and_b32_e32 v9, 0xffff, v1
	v_lshrrev_b32_e32 v10, 16, v1
	s_delay_alu instid0(VALU_DEP_4) | instskip(SKIP_2) | instid1(VALU_DEP_2)
	v_add_f32_e32 v18, v18, v7
	;;#ASMSTART
	v_cvt_f32_f16 v9, v9;
	;;#ASMEND
	;;#ASMSTART
	v_cvt_f32_f16 v10, v10;
	;;#ASMEND
	v_dual_add_f32 v9, v9, v10 :: v_dual_add_nc_u32 v12, 4, v12
	v_dual_add_f32 v1, v37, v38 :: v_dual_add_f32 v8, v31, v33
	v_add_co_u32 v5, s0, v5, 16
	s_delay_alu instid0(VALU_DEP_3) | instskip(NEXT) | instid1(VALU_DEP_3)
	v_cmp_le_i32_e32 vcc_lo, s17, v12
	v_dual_add_f32 v17, v17, v1 :: v_dual_add_nc_u32 v20, 32, v20
	s_delay_alu instid0(VALU_DEP_4)
	v_add_f32_e32 v19, v19, v8
	v_add_f32_e32 v13, v13, v9
	v_add_nc_u32_e32 v21, 0x80, v21
	s_wait_alu 0xf1ff
	v_add_co_ci_u32_e64 v6, null, 0, v6, s0
	s_or_b32 s5, vcc_lo, s5
	s_wait_alu 0xfffe
	s_and_not1_b32 exec_lo, exec_lo, s5
	s_cbranch_execz .LBB259_813
.LBB259_417:                            ; =>This Inner Loop Header: Depth=1
	global_load_b32 v1, v[5:6], off
	ds_load_2addr_b64 v[22:25], v21 offset1:1
	ds_load_2addr_b64 v[34:37], v21 offset0:2 offset1:3
	s_mov_b32 s0, exec_lo
	s_wait_dscnt 0x1
	;;#ASMSTART
	v_cvt_f16_f32 v29, v22;

	;;#ASMEND
	;;#ASMSTART
	v_cvt_f16_f32 v30, v23;

	;;#ASMEND
	;; [unrolled: 4-line block ×4, first 2 shown]
	s_wait_dscnt 0x0
	;;#ASMSTART
	v_cvt_f16_f32 v34, v34;

	;;#ASMEND
	;;#ASMSTART
	v_cvt_f16_f32 v33, v35;

	;;#ASMEND
	;; [unrolled: 4-line block ×4, first 2 shown]
	v_mov_b32_e32 v24, 0
	s_wait_loadcnt 0x0
	s_wait_alu 0xfffe
	v_mad_co_i64_i32 v[7:8], null, v1, s4, v[3:4]
	global_load_b64 v[9:10], v[7:8], off
	global_load_b32 v23, v2, s[10:11]
	s_wait_loadcnt 0x1
	v_and_b32_e32 v1, 0xff, v9
	s_delay_alu instid0(VALU_DEP_1)
	v_cmpx_ne_u16_e32 0, v1
	s_cbranch_execz .LBB259_425
; %bb.418:                              ;   in Loop: Header=BB259_417 Depth=1
	v_mov_b32_e32 v24, 0x8000
	s_mov_b32 s6, exec_lo
	v_cmpx_ne_u16_e32 0x80, v1
	s_cbranch_execz .LBB259_424
; %bb.419:                              ;   in Loop: Header=BB259_417 Depth=1
	v_and_b32_e32 v25, 0x7f, v9
	v_mov_b32_e32 v24, 0x7c01
	s_mov_b32 s7, exec_lo
	s_delay_alu instid0(VALU_DEP_2)
	v_cmpx_ne_u32_e32 0x7f, v25
	s_cbranch_execz .LBB259_423
; %bb.420:                              ;   in Loop: Header=BB259_417 Depth=1
	v_and_b32_e32 v1, 7, v9
	v_lshrrev_b32_e32 v22, 3, v25
	s_mov_b32 s13, exec_lo
	v_cmpx_gt_u32_e32 8, v25
; %bb.421:                              ;   in Loop: Header=BB259_417 Depth=1
	s_delay_alu instid0(VALU_DEP_3) | instskip(NEXT) | instid1(VALU_DEP_1)
	v_clz_i32_u32_e32 v1, v1
	v_min_u32_e32 v1, 32, v1
	s_delay_alu instid0(VALU_DEP_1) | instskip(NEXT) | instid1(VALU_DEP_1)
	v_subrev_nc_u32_e32 v22, 28, v1
	v_lshlrev_b64_e32 v[24:25], v22, v[9:10]
	v_sub_nc_u32_e32 v22, 29, v1
	s_delay_alu instid0(VALU_DEP_2)
	v_and_b32_e32 v1, 7, v24
; %bb.422:                              ;   in Loop: Header=BB259_417 Depth=1
	s_or_b32 exec_lo, exec_lo, s13
	v_lshlrev_b32_e32 v24, 8, v9
	s_delay_alu instid0(VALU_DEP_3) | instskip(NEXT) | instid1(VALU_DEP_3)
	v_lshl_add_u32 v22, v22, 10, 0x2000
	v_lshlrev_b32_e32 v1, 7, v1
	s_delay_alu instid0(VALU_DEP_3) | instskip(NEXT) | instid1(VALU_DEP_3)
	v_and_b32_e32 v24, 0x8000, v24
	v_and_b32_e32 v22, 0xfc00, v22
	s_delay_alu instid0(VALU_DEP_1)
	v_or3_b32 v24, v24, v22, v1
.LBB259_423:                            ;   in Loop: Header=BB259_417 Depth=1
	s_wait_alu 0xfffe
	s_or_b32 exec_lo, exec_lo, s7
.LBB259_424:                            ;   in Loop: Header=BB259_417 Depth=1
	s_wait_alu 0xfffe
	s_or_b32 exec_lo, exec_lo, s6
.LBB259_425:                            ;   in Loop: Header=BB259_417 Depth=1
	s_delay_alu instid0(SALU_CYCLE_1) | instskip(SKIP_3) | instid1(VALU_DEP_2)
	s_or_b32 exec_lo, exec_lo, s0
	v_lshrrev_b16 v1, 8, v9
	v_dual_mov_b32 v22, 0 :: v_dual_mov_b32 v25, 0
	s_mov_b32 s0, exec_lo
	v_cmpx_ne_u16_e32 0, v1
	s_cbranch_execz .LBB259_433
; %bb.426:                              ;   in Loop: Header=BB259_417 Depth=1
	v_bfrev_b32_e32 v25, 1
	s_mov_b32 s6, exec_lo
	v_cmpx_ne_u16_e32 0x80, v1
	s_cbranch_execz .LBB259_432
; %bb.427:                              ;   in Loop: Header=BB259_417 Depth=1
	v_and_b32_e32 v26, 0xffff, v1
	v_mov_b32_e32 v25, 0x7c010000
	s_mov_b32 s7, exec_lo
	s_delay_alu instid0(VALU_DEP_2) | instskip(NEXT) | instid1(VALU_DEP_1)
	v_and_b32_e32 v28, 0x7f, v26
	v_cmpx_ne_u32_e32 0x7f, v28
	s_cbranch_execz .LBB259_431
; %bb.428:                              ;   in Loop: Header=BB259_417 Depth=1
	v_and_b32_e32 v25, 7, v26
	v_lshrrev_b32_e32 v27, 3, v28
	s_mov_b32 s13, exec_lo
	v_cmpx_gt_u32_e32 8, v28
; %bb.429:                              ;   in Loop: Header=BB259_417 Depth=1
	s_delay_alu instid0(VALU_DEP_3) | instskip(NEXT) | instid1(VALU_DEP_1)
	v_clz_i32_u32_e32 v25, v25
	v_min_u32_e32 v25, 32, v25
	s_delay_alu instid0(VALU_DEP_1) | instskip(NEXT) | instid1(VALU_DEP_1)
	v_subrev_nc_u32_e32 v27, 28, v25
	v_lshlrev_b64_e32 v[37:38], v27, v[1:2]
	v_sub_nc_u32_e32 v27, 29, v25
	s_delay_alu instid0(VALU_DEP_2)
	v_and_b32_e32 v25, 7, v37
; %bb.430:                              ;   in Loop: Header=BB259_417 Depth=1
	s_or_b32 exec_lo, exec_lo, s13
	v_lshlrev_b32_e32 v1, 8, v26
	s_delay_alu instid0(VALU_DEP_3) | instskip(NEXT) | instid1(VALU_DEP_3)
	v_lshl_add_u32 v26, v27, 10, 0x2000
	v_lshlrev_b32_e32 v25, 23, v25
	s_delay_alu instid0(VALU_DEP_2) | instskip(NEXT) | instid1(VALU_DEP_1)
	v_and_or_b32 v1, 0x8000, v1, v26
	v_lshl_or_b32 v25, v1, 16, v25
.LBB259_431:                            ;   in Loop: Header=BB259_417 Depth=1
	s_wait_alu 0xfffe
	s_or_b32 exec_lo, exec_lo, s7
.LBB259_432:                            ;   in Loop: Header=BB259_417 Depth=1
	s_wait_alu 0xfffe
	s_or_b32 exec_lo, exec_lo, s6
.LBB259_433:                            ;   in Loop: Header=BB259_417 Depth=1
	s_wait_alu 0xfffe
	s_or_b32 exec_lo, exec_lo, s0
	v_lshrrev_b32_e32 v1, 16, v9
	s_mov_b32 s0, exec_lo
	s_delay_alu instid0(VALU_DEP_1) | instskip(NEXT) | instid1(VALU_DEP_1)
	v_and_b32_e32 v26, 0xff, v1
	v_cmpx_ne_u16_e32 0, v26
	s_cbranch_execz .LBB259_441
; %bb.434:                              ;   in Loop: Header=BB259_417 Depth=1
	v_mov_b32_e32 v22, 0x8000
	s_mov_b32 s6, exec_lo
	v_cmpx_ne_u16_e32 0x80, v26
	s_cbranch_execz .LBB259_440
; %bb.435:                              ;   in Loop: Header=BB259_417 Depth=1
	v_bfe_u32 v27, v9, 16, 7
	v_mov_b32_e32 v22, 0x7c01
	s_mov_b32 s7, exec_lo
	s_delay_alu instid0(VALU_DEP_2)
	v_cmpx_ne_u32_e32 0x7f, v27
	s_cbranch_execz .LBB259_439
; %bb.436:                              ;   in Loop: Header=BB259_417 Depth=1
	v_and_b32_e32 v22, 7, v1
	v_lshrrev_b32_e32 v26, 3, v27
	s_mov_b32 s13, exec_lo
	v_cmpx_gt_u32_e32 8, v27
; %bb.437:                              ;   in Loop: Header=BB259_417 Depth=1
	s_delay_alu instid0(VALU_DEP_3) | instskip(NEXT) | instid1(VALU_DEP_1)
	v_clz_i32_u32_e32 v22, v22
	v_min_u32_e32 v22, 32, v22
	s_delay_alu instid0(VALU_DEP_1) | instskip(NEXT) | instid1(VALU_DEP_1)
	v_subrev_nc_u32_e32 v26, 28, v22
	v_lshlrev_b64_e32 v[27:28], v26, v[1:2]
	v_sub_nc_u32_e32 v26, 29, v22
	s_delay_alu instid0(VALU_DEP_2)
	v_and_b32_e32 v22, 7, v27
; %bb.438:                              ;   in Loop: Header=BB259_417 Depth=1
	s_or_b32 exec_lo, exec_lo, s13
	v_lshlrev_b32_e32 v1, 8, v1
	s_delay_alu instid0(VALU_DEP_3) | instskip(NEXT) | instid1(VALU_DEP_3)
	v_lshl_add_u32 v26, v26, 10, 0x2000
	v_lshlrev_b32_e32 v22, 7, v22
	s_delay_alu instid0(VALU_DEP_3) | instskip(NEXT) | instid1(VALU_DEP_3)
	v_and_b32_e32 v1, 0x8000, v1
	v_and_b32_e32 v26, 0xfc00, v26
	s_delay_alu instid0(VALU_DEP_1)
	v_or3_b32 v22, v1, v26, v22
.LBB259_439:                            ;   in Loop: Header=BB259_417 Depth=1
	s_wait_alu 0xfffe
	s_or_b32 exec_lo, exec_lo, s7
.LBB259_440:                            ;   in Loop: Header=BB259_417 Depth=1
	s_wait_alu 0xfffe
	s_or_b32 exec_lo, exec_lo, s6
.LBB259_441:                            ;   in Loop: Header=BB259_417 Depth=1
	s_wait_alu 0xfffe
	s_or_b32 exec_lo, exec_lo, s0
	v_dual_mov_b32 v26, 0 :: v_dual_mov_b32 v27, 0
	s_mov_b32 s0, exec_lo
	v_cmpx_lt_u32_e32 0xffffff, v9
	s_cbranch_execz .LBB259_449
; %bb.442:                              ;   in Loop: Header=BB259_417 Depth=1
	v_lshrrev_b32_e32 v1, 24, v9
	v_bfrev_b32_e32 v27, 1
	s_mov_b32 s6, exec_lo
	s_delay_alu instid0(VALU_DEP_2)
	v_cmpx_ne_u32_e32 0x80, v1
	s_cbranch_execz .LBB259_448
; %bb.443:                              ;   in Loop: Header=BB259_417 Depth=1
	v_and_b32_e32 v37, 0x7f, v1
	v_mov_b32_e32 v27, 0x7c010000
	s_mov_b32 s7, exec_lo
	s_delay_alu instid0(VALU_DEP_2)
	v_cmpx_ne_u32_e32 0x7f, v37
	s_cbranch_execz .LBB259_447
; %bb.444:                              ;   in Loop: Header=BB259_417 Depth=1
	v_and_b32_e32 v27, 7, v1
	v_lshrrev_b32_e32 v28, 3, v37
	s_mov_b32 s13, exec_lo
	v_cmpx_gt_u32_e32 8, v37
; %bb.445:                              ;   in Loop: Header=BB259_417 Depth=1
	s_delay_alu instid0(VALU_DEP_3) | instskip(NEXT) | instid1(VALU_DEP_1)
	v_clz_i32_u32_e32 v27, v27
	v_min_u32_e32 v37, 32, v27
	s_delay_alu instid0(VALU_DEP_1) | instskip(NEXT) | instid1(VALU_DEP_1)
	v_subrev_nc_u32_e32 v27, 28, v37
	v_lshlrev_b64_e32 v[27:28], v27, v[1:2]
	v_sub_nc_u32_e32 v28, 29, v37
	s_delay_alu instid0(VALU_DEP_2)
	v_and_b32_e32 v27, 7, v27
; %bb.446:                              ;   in Loop: Header=BB259_417 Depth=1
	s_or_b32 exec_lo, exec_lo, s13
	v_lshlrev_b32_e32 v1, 8, v1
	s_delay_alu instid0(VALU_DEP_3) | instskip(NEXT) | instid1(VALU_DEP_3)
	v_lshl_add_u32 v28, v28, 10, 0x2000
	v_lshlrev_b32_e32 v27, 23, v27
	s_delay_alu instid0(VALU_DEP_2) | instskip(NEXT) | instid1(VALU_DEP_1)
	v_and_or_b32 v1, 0x8000, v1, v28
	v_lshl_or_b32 v27, v1, 16, v27
.LBB259_447:                            ;   in Loop: Header=BB259_417 Depth=1
	s_wait_alu 0xfffe
	s_or_b32 exec_lo, exec_lo, s7
.LBB259_448:                            ;   in Loop: Header=BB259_417 Depth=1
	s_wait_alu 0xfffe
	s_or_b32 exec_lo, exec_lo, s6
.LBB259_449:                            ;   in Loop: Header=BB259_417 Depth=1
	s_wait_alu 0xfffe
	s_or_b32 exec_lo, exec_lo, s0
	v_dual_mov_b32 v1, v10 :: v_dual_and_b32 v28, 0xff, v10
	s_mov_b32 s0, exec_lo
	s_delay_alu instid0(VALU_DEP_1)
	v_cmpx_ne_u16_e32 0, v28
	s_cbranch_execz .LBB259_457
; %bb.450:                              ;   in Loop: Header=BB259_417 Depth=1
	v_mov_b32_e32 v26, 0x8000
	s_mov_b32 s6, exec_lo
	v_cmpx_ne_u16_e32 0x80, v28
	s_cbranch_execz .LBB259_456
; %bb.451:                              ;   in Loop: Header=BB259_417 Depth=1
	v_and_b32_e32 v37, 0x7f, v10
	v_mov_b32_e32 v26, 0x7c01
	s_mov_b32 s7, exec_lo
	s_delay_alu instid0(VALU_DEP_2)
	v_cmpx_ne_u32_e32 0x7f, v37
	s_cbranch_execz .LBB259_455
; %bb.452:                              ;   in Loop: Header=BB259_417 Depth=1
	v_and_b32_e32 v26, 7, v10
	v_lshrrev_b32_e32 v28, 3, v37
	s_mov_b32 s13, exec_lo
	v_cmpx_gt_u32_e32 8, v37
; %bb.453:                              ;   in Loop: Header=BB259_417 Depth=1
	s_delay_alu instid0(VALU_DEP_3) | instskip(NEXT) | instid1(VALU_DEP_1)
	v_clz_i32_u32_e32 v26, v26
	v_min_u32_e32 v26, 32, v26
	s_delay_alu instid0(VALU_DEP_1) | instskip(NEXT) | instid1(VALU_DEP_1)
	v_subrev_nc_u32_e32 v28, 28, v26
	v_lshlrev_b64_e32 v[37:38], v28, v[1:2]
	v_sub_nc_u32_e32 v28, 29, v26
	s_delay_alu instid0(VALU_DEP_2)
	v_and_b32_e32 v26, 7, v37
; %bb.454:                              ;   in Loop: Header=BB259_417 Depth=1
	s_or_b32 exec_lo, exec_lo, s13
	v_lshlrev_b32_e32 v37, 8, v10
	s_delay_alu instid0(VALU_DEP_3) | instskip(NEXT) | instid1(VALU_DEP_3)
	v_lshl_add_u32 v28, v28, 10, 0x2000
	v_lshlrev_b32_e32 v26, 7, v26
	s_delay_alu instid0(VALU_DEP_3) | instskip(NEXT) | instid1(VALU_DEP_3)
	v_and_b32_e32 v37, 0x8000, v37
	v_and_b32_e32 v28, 0xfc00, v28
	s_delay_alu instid0(VALU_DEP_1)
	v_or3_b32 v26, v37, v28, v26
.LBB259_455:                            ;   in Loop: Header=BB259_417 Depth=1
	s_wait_alu 0xfffe
	s_or_b32 exec_lo, exec_lo, s7
.LBB259_456:                            ;   in Loop: Header=BB259_417 Depth=1
	s_wait_alu 0xfffe
	s_or_b32 exec_lo, exec_lo, s6
.LBB259_457:                            ;   in Loop: Header=BB259_417 Depth=1
	s_wait_alu 0xfffe
	s_or_b32 exec_lo, exec_lo, s0
	v_lshrrev_b16 v1, 8, v1
	v_dual_mov_b32 v37, 0 :: v_dual_mov_b32 v28, 0
	s_mov_b32 s0, exec_lo
	s_delay_alu instid0(VALU_DEP_2)
	v_cmpx_ne_u16_e32 0, v1
	s_cbranch_execz .LBB259_465
; %bb.458:                              ;   in Loop: Header=BB259_417 Depth=1
	v_bfrev_b32_e32 v28, 1
	s_mov_b32 s6, exec_lo
	v_cmpx_ne_u16_e32 0x80, v1
	s_cbranch_execz .LBB259_464
; %bb.459:                              ;   in Loop: Header=BB259_417 Depth=1
	v_and_b32_e32 v38, 0xffff, v1
	v_mov_b32_e32 v28, 0x7c010000
	s_mov_b32 s7, exec_lo
	s_delay_alu instid0(VALU_DEP_2) | instskip(NEXT) | instid1(VALU_DEP_1)
	v_and_b32_e32 v40, 0x7f, v38
	v_cmpx_ne_u32_e32 0x7f, v40
	s_cbranch_execz .LBB259_463
; %bb.460:                              ;   in Loop: Header=BB259_417 Depth=1
	v_and_b32_e32 v28, 7, v38
	v_lshrrev_b32_e32 v39, 3, v40
	s_mov_b32 s13, exec_lo
	v_cmpx_gt_u32_e32 8, v40
; %bb.461:                              ;   in Loop: Header=BB259_417 Depth=1
	s_delay_alu instid0(VALU_DEP_3) | instskip(NEXT) | instid1(VALU_DEP_1)
	v_clz_i32_u32_e32 v28, v28
	v_min_u32_e32 v28, 32, v28
	s_delay_alu instid0(VALU_DEP_1) | instskip(NEXT) | instid1(VALU_DEP_1)
	v_subrev_nc_u32_e32 v39, 28, v28
	v_lshlrev_b64_e32 v[40:41], v39, v[1:2]
	v_sub_nc_u32_e32 v39, 29, v28
	s_delay_alu instid0(VALU_DEP_2)
	v_and_b32_e32 v28, 7, v40
; %bb.462:                              ;   in Loop: Header=BB259_417 Depth=1
	s_or_b32 exec_lo, exec_lo, s13
	v_lshlrev_b32_e32 v1, 8, v38
	s_delay_alu instid0(VALU_DEP_3) | instskip(NEXT) | instid1(VALU_DEP_3)
	v_lshl_add_u32 v38, v39, 10, 0x2000
	v_lshlrev_b32_e32 v28, 23, v28
	s_delay_alu instid0(VALU_DEP_2) | instskip(NEXT) | instid1(VALU_DEP_1)
	v_and_or_b32 v1, 0x8000, v1, v38
	v_lshl_or_b32 v28, v1, 16, v28
.LBB259_463:                            ;   in Loop: Header=BB259_417 Depth=1
	s_wait_alu 0xfffe
	s_or_b32 exec_lo, exec_lo, s7
.LBB259_464:                            ;   in Loop: Header=BB259_417 Depth=1
	s_wait_alu 0xfffe
	s_or_b32 exec_lo, exec_lo, s6
.LBB259_465:                            ;   in Loop: Header=BB259_417 Depth=1
	s_wait_alu 0xfffe
	s_or_b32 exec_lo, exec_lo, s0
	v_lshrrev_b32_e32 v1, 16, v10
	s_mov_b32 s0, exec_lo
	s_delay_alu instid0(VALU_DEP_1) | instskip(NEXT) | instid1(VALU_DEP_1)
	v_and_b32_e32 v38, 0xff, v1
	v_cmpx_ne_u16_e32 0, v38
	s_cbranch_execz .LBB259_473
; %bb.466:                              ;   in Loop: Header=BB259_417 Depth=1
	v_mov_b32_e32 v37, 0x8000
	s_mov_b32 s6, exec_lo
	v_cmpx_ne_u16_e32 0x80, v38
	s_cbranch_execz .LBB259_472
; %bb.467:                              ;   in Loop: Header=BB259_417 Depth=1
	v_bfe_u32 v39, v10, 16, 7
	v_mov_b32_e32 v37, 0x7c01
	s_mov_b32 s7, exec_lo
	s_delay_alu instid0(VALU_DEP_2)
	v_cmpx_ne_u32_e32 0x7f, v39
	s_cbranch_execz .LBB259_471
; %bb.468:                              ;   in Loop: Header=BB259_417 Depth=1
	v_and_b32_e32 v37, 7, v1
	v_lshrrev_b32_e32 v38, 3, v39
	s_mov_b32 s13, exec_lo
	v_cmpx_gt_u32_e32 8, v39
; %bb.469:                              ;   in Loop: Header=BB259_417 Depth=1
	s_delay_alu instid0(VALU_DEP_3) | instskip(NEXT) | instid1(VALU_DEP_1)
	v_clz_i32_u32_e32 v37, v37
	v_min_u32_e32 v39, 32, v37
	s_delay_alu instid0(VALU_DEP_1) | instskip(NEXT) | instid1(VALU_DEP_1)
	v_subrev_nc_u32_e32 v37, 28, v39
	v_lshlrev_b64_e32 v[37:38], v37, v[1:2]
	v_sub_nc_u32_e32 v38, 29, v39
	s_delay_alu instid0(VALU_DEP_2)
	v_and_b32_e32 v37, 7, v37
; %bb.470:                              ;   in Loop: Header=BB259_417 Depth=1
	s_or_b32 exec_lo, exec_lo, s13
	v_lshlrev_b32_e32 v1, 8, v1
	s_delay_alu instid0(VALU_DEP_3) | instskip(NEXT) | instid1(VALU_DEP_3)
	v_lshl_add_u32 v38, v38, 10, 0x2000
	v_lshlrev_b32_e32 v37, 7, v37
	s_delay_alu instid0(VALU_DEP_3) | instskip(NEXT) | instid1(VALU_DEP_3)
	v_and_b32_e32 v1, 0x8000, v1
	v_and_b32_e32 v38, 0xfc00, v38
	s_delay_alu instid0(VALU_DEP_1)
	v_or3_b32 v37, v1, v38, v37
.LBB259_471:                            ;   in Loop: Header=BB259_417 Depth=1
	s_wait_alu 0xfffe
	s_or_b32 exec_lo, exec_lo, s7
.LBB259_472:                            ;   in Loop: Header=BB259_417 Depth=1
	s_wait_alu 0xfffe
	s_or_b32 exec_lo, exec_lo, s6
.LBB259_473:                            ;   in Loop: Header=BB259_417 Depth=1
	s_wait_alu 0xfffe
	s_or_b32 exec_lo, exec_lo, s0
	v_cmp_lt_u64_e32 vcc_lo, s[2:3], v[9:10]
	v_mov_b32_e32 v9, 0
	s_and_saveexec_b32 s0, vcc_lo
	s_cbranch_execz .LBB259_481
; %bb.474:                              ;   in Loop: Header=BB259_417 Depth=1
	v_lshrrev_b32_e32 v1, 24, v10
	v_bfrev_b32_e32 v9, 1
	s_mov_b32 s6, exec_lo
	s_delay_alu instid0(VALU_DEP_2)
	v_cmpx_ne_u32_e32 0x80, v1
	s_cbranch_execz .LBB259_480
; %bb.475:                              ;   in Loop: Header=BB259_417 Depth=1
	v_and_b32_e32 v38, 0x7f, v1
	v_mov_b32_e32 v9, 0x7c010000
	s_mov_b32 s7, exec_lo
	s_delay_alu instid0(VALU_DEP_2)
	v_cmpx_ne_u32_e32 0x7f, v38
	s_cbranch_execz .LBB259_479
; %bb.476:                              ;   in Loop: Header=BB259_417 Depth=1
	v_and_b32_e32 v9, 7, v1
	v_lshrrev_b32_e32 v10, 3, v38
	s_mov_b32 s13, exec_lo
	v_cmpx_gt_u32_e32 8, v38
; %bb.477:                              ;   in Loop: Header=BB259_417 Depth=1
	s_delay_alu instid0(VALU_DEP_3) | instskip(NEXT) | instid1(VALU_DEP_1)
	v_clz_i32_u32_e32 v9, v9
	v_min_u32_e32 v38, 32, v9
	s_delay_alu instid0(VALU_DEP_1) | instskip(NEXT) | instid1(VALU_DEP_1)
	v_subrev_nc_u32_e32 v9, 28, v38
	v_lshlrev_b64_e32 v[9:10], v9, v[1:2]
	v_sub_nc_u32_e32 v10, 29, v38
	s_delay_alu instid0(VALU_DEP_2)
	v_and_b32_e32 v9, 7, v9
; %bb.478:                              ;   in Loop: Header=BB259_417 Depth=1
	s_or_b32 exec_lo, exec_lo, s13
	v_lshlrev_b32_e32 v1, 8, v1
	s_delay_alu instid0(VALU_DEP_3) | instskip(NEXT) | instid1(VALU_DEP_3)
	v_lshl_add_u32 v10, v10, 10, 0x2000
	v_lshlrev_b32_e32 v9, 23, v9
	s_delay_alu instid0(VALU_DEP_2) | instskip(NEXT) | instid1(VALU_DEP_1)
	v_and_or_b32 v1, 0x8000, v1, v10
	v_lshl_or_b32 v9, v1, 16, v9
.LBB259_479:                            ;   in Loop: Header=BB259_417 Depth=1
	s_wait_alu 0xfffe
	s_or_b32 exec_lo, exec_lo, s7
.LBB259_480:                            ;   in Loop: Header=BB259_417 Depth=1
	s_wait_alu 0xfffe
	s_or_b32 exec_lo, exec_lo, s6
.LBB259_481:                            ;   in Loop: Header=BB259_417 Depth=1
	s_wait_alu 0xfffe
	s_or_b32 exec_lo, exec_lo, s0
	v_or_b32_e32 v1, v27, v22
	s_wait_loadcnt 0x0
	v_fma_mixlo_f16 v10, v23, v27, 0 op_sel:[0,1,0] op_sel_hi:[0,1,0]
	v_or_b32_e32 v24, v25, v24
	v_fma_mixlo_f16 v25, v23, v25, 0 op_sel:[0,1,0] op_sel_hi:[0,1,0]
	v_or_b32_e32 v26, v28, v26
	v_fma_mixlo_f16 v1, v23, v1, 0 op_sel_hi:[0,1,0]
	v_or_b32_e32 v27, v9, v37
	v_fma_mixlo_f16 v9, v23, v9, 0 op_sel:[0,1,0] op_sel_hi:[0,1,0]
	v_lshlrev_b32_e32 v43, 16, v25
	v_fma_mixlo_f16 v25, v23, v26, 0 op_sel_hi:[0,1,0]
	v_and_b32_e32 v40, 0xffff, v1
	v_fma_mixlo_f16 v1, v23, v24, 0 op_sel_hi:[0,1,0]
	v_fma_mixlo_f16 v24, v23, v28, 0 op_sel:[0,1,0] op_sel_hi:[0,1,0]
	v_fma_mixlo_f16 v23, v23, v27, 0 op_sel_hi:[0,1,0]
	v_lshlrev_b32_e32 v10, 16, v10
	v_and_b32_e32 v44, 0xffff, v25
	v_and_b32_e32 v45, 0xffff, v1
	v_lshlrev_b32_e32 v41, 16, v24
	v_lshlrev_b32_e32 v38, 16, v9
	v_and_b32_e32 v42, 0xffff, v23
	v_add_nc_u32_e32 v22, -7, v20
	v_cmp_eq_u32_e32 vcc_lo, s29, v12
	v_or_b32_e32 v1, v10, v40
	v_or_b32_e32 v9, v43, v45
	;; [unrolled: 1-line block ×4, first 2 shown]
	v_add_nc_u32_e32 v28, -6, v20
	v_add_nc_u32_e32 v27, -5, v20
	;; [unrolled: 1-line block ×6, first 2 shown]
	s_and_saveexec_b32 s6, vcc_lo
	s_cbranch_execz .LBB259_483
; %bb.482:                              ;   in Loop: Header=BB259_417 Depth=1
	v_cmp_gt_i32_e64 s0, s27, v22
	s_wait_alu 0xf1ff
	s_delay_alu instid0(VALU_DEP_1) | instskip(SKIP_2) | instid1(VALU_DEP_1)
	v_cndmask_b32_e64 v1, 0, v45, s0
	v_cmp_gt_i32_e64 s0, s27, v28
	s_wait_alu 0xf1ff
	v_cndmask_b32_e64 v9, 0, v43, s0
	v_cmp_gt_i32_e64 s0, s27, v27
	s_delay_alu instid0(VALU_DEP_2) | instskip(SKIP_1) | instid1(VALU_DEP_2)
	v_or_b32_e32 v9, v9, v1
	s_wait_alu 0xf1ff
	v_cndmask_b32_e64 v37, 0, v40, s0
	v_cmp_gt_i32_e64 s0, s27, v26
	s_wait_alu 0xf1ff
	s_delay_alu instid0(VALU_DEP_1) | instskip(SKIP_1) | instid1(VALU_DEP_2)
	v_cndmask_b32_e64 v10, 0, v10, s0
	v_cmp_gt_i32_e64 s0, s27, v25
	v_or_b32_e32 v1, v10, v37
	s_wait_alu 0xf1ff
	s_delay_alu instid0(VALU_DEP_2) | instskip(SKIP_2) | instid1(VALU_DEP_1)
	v_cndmask_b32_e64 v39, 0, v44, s0
	v_cmp_gt_i32_e64 s0, s27, v24
	s_wait_alu 0xf1ff
	v_cndmask_b32_e64 v40, 0, v41, s0
	v_cmp_gt_i32_e64 s0, s27, v23
	s_delay_alu instid0(VALU_DEP_2) | instskip(SKIP_1) | instid1(VALU_DEP_2)
	v_or_b32_e32 v37, v40, v39
	s_wait_alu 0xf1ff
	v_cndmask_b32_e64 v41, 0, v42, s0
	v_cmp_gt_i32_e64 s0, s27, v20
	s_wait_alu 0xf1ff
	s_delay_alu instid0(VALU_DEP_1) | instskip(NEXT) | instid1(VALU_DEP_1)
	v_cndmask_b32_e64 v38, 0, v38, s0
	v_or_b32_e32 v39, v38, v41
.LBB259_483:                            ;   in Loop: Header=BB259_417 Depth=1
	s_wait_alu 0xfffe
	s_or_b32 exec_lo, exec_lo, s6
	v_and_b32_e32 v10, 0xffff, v29
	v_and_b32_e32 v29, 0xffff, v32
	;; [unrolled: 1-line block ×4, first 2 shown]
	s_mov_b32 s6, exec_lo
	v_lshl_or_b32 v34, v30, 16, v10
	v_lshl_or_b32 v32, v31, 16, v29
	;;#ASMSTART
	v_pk_mul_f16 v9, v34, v9;

	;;#ASMEND
	;;#ASMSTART
	v_pk_mul_f16 v1, v32, v1;

	;;#ASMEND
	v_lshl_or_b32 v30, v33, 16, v38
	v_lshl_or_b32 v29, v35, 16, v36
	;;#ASMSTART
	v_pk_mul_f16 v10, v30, v37;

	;;#ASMEND
	;;#ASMSTART
	v_pk_mul_f16 v31, v29, v39;

	;;#ASMEND
	;;#ASMSTART
	v_pk_add_f16 v1, v9, v1;

	;;#ASMEND
	;;#ASMSTART
	v_pk_add_f16 v1, v1, v10;
	;; [unrolled: 4-line block ×3, first 2 shown]

	;;#ASMEND
	v_and_b32_e32 v9, 0xffff, v1
	v_lshrrev_b32_e32 v1, 16, v1
	;;#ASMSTART
	v_cvt_f32_f16 v31, v9;
	;;#ASMEND
	;;#ASMSTART
	v_cvt_f32_f16 v33, v1;
	;;#ASMEND
	global_load_b64 v[9:10], v[7:8], off offset:256
	v_dual_mov_b32 v36, 0 :: v_dual_mov_b32 v37, 0
	global_load_b32 v35, v36, s[10:11]
	s_wait_loadcnt 0x1
	v_and_b32_e32 v1, 0xff, v9
	s_delay_alu instid0(VALU_DEP_1)
	v_cmpx_ne_u16_e32 0, v1
	s_cbranch_execz .LBB259_491
; %bb.484:                              ;   in Loop: Header=BB259_417 Depth=1
	v_mov_b32_e32 v37, 0x8000
	s_mov_b32 s7, exec_lo
	v_cmpx_ne_u16_e32 0x80, v1
	s_cbranch_execz .LBB259_490
; %bb.485:                              ;   in Loop: Header=BB259_417 Depth=1
	v_and_b32_e32 v38, 0x7f, v9
	v_mov_b32_e32 v37, 0x7c01
	s_mov_b32 s13, exec_lo
	s_delay_alu instid0(VALU_DEP_2)
	v_cmpx_ne_u32_e32 0x7f, v38
	s_cbranch_execz .LBB259_489
; %bb.486:                              ;   in Loop: Header=BB259_417 Depth=1
	v_and_b32_e32 v1, 7, v9
	v_lshrrev_b32_e32 v37, 3, v38
	s_mov_b32 s14, exec_lo
	v_cmpx_gt_u32_e32 8, v38
; %bb.487:                              ;   in Loop: Header=BB259_417 Depth=1
	s_delay_alu instid0(VALU_DEP_3) | instskip(NEXT) | instid1(VALU_DEP_1)
	v_clz_i32_u32_e32 v1, v1
	v_min_u32_e32 v1, 32, v1
	s_delay_alu instid0(VALU_DEP_1) | instskip(NEXT) | instid1(VALU_DEP_1)
	v_subrev_nc_u32_e32 v37, 28, v1
	v_lshlrev_b64_e32 v[38:39], v37, v[9:10]
	v_sub_nc_u32_e32 v37, 29, v1
	s_delay_alu instid0(VALU_DEP_2)
	v_and_b32_e32 v1, 7, v38
; %bb.488:                              ;   in Loop: Header=BB259_417 Depth=1
	s_wait_alu 0xfffe
	s_or_b32 exec_lo, exec_lo, s14
	v_lshlrev_b32_e32 v38, 8, v9
	v_lshl_add_u32 v37, v37, 10, 0x2000
	v_lshlrev_b32_e32 v1, 7, v1
	s_delay_alu instid0(VALU_DEP_3) | instskip(NEXT) | instid1(VALU_DEP_3)
	v_and_b32_e32 v38, 0x8000, v38
	v_and_b32_e32 v37, 0xfc00, v37
	s_delay_alu instid0(VALU_DEP_1)
	v_or3_b32 v37, v38, v37, v1
.LBB259_489:                            ;   in Loop: Header=BB259_417 Depth=1
	s_or_b32 exec_lo, exec_lo, s13
.LBB259_490:                            ;   in Loop: Header=BB259_417 Depth=1
	s_wait_alu 0xfffe
	s_or_b32 exec_lo, exec_lo, s7
.LBB259_491:                            ;   in Loop: Header=BB259_417 Depth=1
	s_wait_alu 0xfffe
	s_or_b32 exec_lo, exec_lo, s6
	v_lshrrev_b16 v1, 8, v9
	s_mov_b32 s6, exec_lo
	s_delay_alu instid0(VALU_DEP_1)
	v_cmpx_ne_u16_e32 0, v1
	s_cbranch_execz .LBB259_499
; %bb.492:                              ;   in Loop: Header=BB259_417 Depth=1
	v_bfrev_b32_e32 v36, 1
	s_mov_b32 s7, exec_lo
	v_cmpx_ne_u16_e32 0x80, v1
	s_cbranch_execz .LBB259_498
; %bb.493:                              ;   in Loop: Header=BB259_417 Depth=1
	v_and_b32_e32 v38, 0xffff, v1
	v_mov_b32_e32 v36, 0x7c010000
	s_mov_b32 s13, exec_lo
	s_delay_alu instid0(VALU_DEP_2) | instskip(NEXT) | instid1(VALU_DEP_1)
	v_and_b32_e32 v40, 0x7f, v38
	v_cmpx_ne_u32_e32 0x7f, v40
	s_cbranch_execz .LBB259_497
; %bb.494:                              ;   in Loop: Header=BB259_417 Depth=1
	v_and_b32_e32 v36, 7, v38
	v_lshrrev_b32_e32 v39, 3, v40
	s_mov_b32 s14, exec_lo
	v_cmpx_gt_u32_e32 8, v40
; %bb.495:                              ;   in Loop: Header=BB259_417 Depth=1
	s_delay_alu instid0(VALU_DEP_3) | instskip(NEXT) | instid1(VALU_DEP_1)
	v_clz_i32_u32_e32 v36, v36
	v_min_u32_e32 v36, 32, v36
	s_delay_alu instid0(VALU_DEP_1) | instskip(NEXT) | instid1(VALU_DEP_1)
	v_subrev_nc_u32_e32 v39, 28, v36
	v_lshlrev_b64_e32 v[40:41], v39, v[1:2]
	v_sub_nc_u32_e32 v39, 29, v36
	s_delay_alu instid0(VALU_DEP_2)
	v_and_b32_e32 v36, 7, v40
; %bb.496:                              ;   in Loop: Header=BB259_417 Depth=1
	s_wait_alu 0xfffe
	s_or_b32 exec_lo, exec_lo, s14
	v_lshlrev_b32_e32 v1, 8, v38
	v_lshl_add_u32 v38, v39, 10, 0x2000
	v_lshlrev_b32_e32 v36, 23, v36
	s_delay_alu instid0(VALU_DEP_2) | instskip(NEXT) | instid1(VALU_DEP_1)
	v_and_or_b32 v1, 0x8000, v1, v38
	v_lshl_or_b32 v36, v1, 16, v36
.LBB259_497:                            ;   in Loop: Header=BB259_417 Depth=1
	s_or_b32 exec_lo, exec_lo, s13
.LBB259_498:                            ;   in Loop: Header=BB259_417 Depth=1
	s_wait_alu 0xfffe
	s_or_b32 exec_lo, exec_lo, s7
.LBB259_499:                            ;   in Loop: Header=BB259_417 Depth=1
	s_wait_alu 0xfffe
	s_or_b32 exec_lo, exec_lo, s6
	v_lshrrev_b32_e32 v1, 16, v9
	v_mov_b32_e32 v38, 0
	s_mov_b32 s6, exec_lo
	s_delay_alu instid0(VALU_DEP_2) | instskip(NEXT) | instid1(VALU_DEP_1)
	v_dual_mov_b32 v39, 0 :: v_dual_and_b32 v40, 0xff, v1
	v_cmpx_ne_u16_e32 0, v40
	s_cbranch_execz .LBB259_507
; %bb.500:                              ;   in Loop: Header=BB259_417 Depth=1
	v_mov_b32_e32 v39, 0x8000
	s_mov_b32 s7, exec_lo
	v_cmpx_ne_u16_e32 0x80, v40
	s_cbranch_execz .LBB259_506
; %bb.501:                              ;   in Loop: Header=BB259_417 Depth=1
	v_bfe_u32 v41, v9, 16, 7
	v_mov_b32_e32 v39, 0x7c01
	s_mov_b32 s13, exec_lo
	s_delay_alu instid0(VALU_DEP_2)
	v_cmpx_ne_u32_e32 0x7f, v41
	s_cbranch_execz .LBB259_505
; %bb.502:                              ;   in Loop: Header=BB259_417 Depth=1
	v_and_b32_e32 v39, 7, v1
	v_lshrrev_b32_e32 v40, 3, v41
	s_mov_b32 s14, exec_lo
	v_cmpx_gt_u32_e32 8, v41
; %bb.503:                              ;   in Loop: Header=BB259_417 Depth=1
	s_delay_alu instid0(VALU_DEP_3) | instskip(NEXT) | instid1(VALU_DEP_1)
	v_clz_i32_u32_e32 v39, v39
	v_min_u32_e32 v41, 32, v39
	s_delay_alu instid0(VALU_DEP_1) | instskip(NEXT) | instid1(VALU_DEP_1)
	v_subrev_nc_u32_e32 v39, 28, v41
	v_lshlrev_b64_e32 v[39:40], v39, v[1:2]
	v_sub_nc_u32_e32 v40, 29, v41
	s_delay_alu instid0(VALU_DEP_2)
	v_and_b32_e32 v39, 7, v39
; %bb.504:                              ;   in Loop: Header=BB259_417 Depth=1
	s_wait_alu 0xfffe
	s_or_b32 exec_lo, exec_lo, s14
	v_lshlrev_b32_e32 v1, 8, v1
	v_lshl_add_u32 v40, v40, 10, 0x2000
	v_lshlrev_b32_e32 v39, 7, v39
	s_delay_alu instid0(VALU_DEP_3) | instskip(NEXT) | instid1(VALU_DEP_3)
	v_and_b32_e32 v1, 0x8000, v1
	v_and_b32_e32 v40, 0xfc00, v40
	s_delay_alu instid0(VALU_DEP_1)
	v_or3_b32 v39, v1, v40, v39
.LBB259_505:                            ;   in Loop: Header=BB259_417 Depth=1
	s_or_b32 exec_lo, exec_lo, s13
.LBB259_506:                            ;   in Loop: Header=BB259_417 Depth=1
	s_wait_alu 0xfffe
	s_or_b32 exec_lo, exec_lo, s7
.LBB259_507:                            ;   in Loop: Header=BB259_417 Depth=1
	s_wait_alu 0xfffe
	s_or_b32 exec_lo, exec_lo, s6
	s_delay_alu instid0(SALU_CYCLE_1)
	s_mov_b32 s6, exec_lo
	v_cmpx_lt_u32_e32 0xffffff, v9
	s_cbranch_execz .LBB259_515
; %bb.508:                              ;   in Loop: Header=BB259_417 Depth=1
	v_lshrrev_b32_e32 v1, 24, v9
	v_bfrev_b32_e32 v38, 1
	s_mov_b32 s7, exec_lo
	s_delay_alu instid0(VALU_DEP_2)
	v_cmpx_ne_u32_e32 0x80, v1
	s_cbranch_execz .LBB259_514
; %bb.509:                              ;   in Loop: Header=BB259_417 Depth=1
	v_and_b32_e32 v41, 0x7f, v1
	v_mov_b32_e32 v38, 0x7c010000
	s_mov_b32 s13, exec_lo
	s_delay_alu instid0(VALU_DEP_2)
	v_cmpx_ne_u32_e32 0x7f, v41
	s_cbranch_execz .LBB259_513
; %bb.510:                              ;   in Loop: Header=BB259_417 Depth=1
	v_and_b32_e32 v38, 7, v1
	v_lshrrev_b32_e32 v40, 3, v41
	s_mov_b32 s14, exec_lo
	v_cmpx_gt_u32_e32 8, v41
; %bb.511:                              ;   in Loop: Header=BB259_417 Depth=1
	s_delay_alu instid0(VALU_DEP_3) | instskip(NEXT) | instid1(VALU_DEP_1)
	v_clz_i32_u32_e32 v38, v38
	v_min_u32_e32 v38, 32, v38
	s_delay_alu instid0(VALU_DEP_1) | instskip(NEXT) | instid1(VALU_DEP_1)
	v_subrev_nc_u32_e32 v40, 28, v38
	v_lshlrev_b64_e32 v[41:42], v40, v[1:2]
	v_sub_nc_u32_e32 v40, 29, v38
	s_delay_alu instid0(VALU_DEP_2)
	v_and_b32_e32 v38, 7, v41
; %bb.512:                              ;   in Loop: Header=BB259_417 Depth=1
	s_wait_alu 0xfffe
	s_or_b32 exec_lo, exec_lo, s14
	v_lshlrev_b32_e32 v1, 8, v1
	v_lshl_add_u32 v40, v40, 10, 0x2000
	v_lshlrev_b32_e32 v38, 23, v38
	s_delay_alu instid0(VALU_DEP_2) | instskip(NEXT) | instid1(VALU_DEP_1)
	v_and_or_b32 v1, 0x8000, v1, v40
	v_lshl_or_b32 v38, v1, 16, v38
.LBB259_513:                            ;   in Loop: Header=BB259_417 Depth=1
	s_or_b32 exec_lo, exec_lo, s13
.LBB259_514:                            ;   in Loop: Header=BB259_417 Depth=1
	s_wait_alu 0xfffe
	s_or_b32 exec_lo, exec_lo, s7
.LBB259_515:                            ;   in Loop: Header=BB259_417 Depth=1
	s_wait_alu 0xfffe
	s_or_b32 exec_lo, exec_lo, s6
	v_dual_mov_b32 v1, v10 :: v_dual_and_b32 v42, 0xff, v10
	v_dual_mov_b32 v40, 0 :: v_dual_mov_b32 v41, 0
	s_mov_b32 s6, exec_lo
	s_delay_alu instid0(VALU_DEP_2)
	v_cmpx_ne_u16_e32 0, v42
	s_cbranch_execz .LBB259_523
; %bb.516:                              ;   in Loop: Header=BB259_417 Depth=1
	v_mov_b32_e32 v41, 0x8000
	s_mov_b32 s7, exec_lo
	v_cmpx_ne_u16_e32 0x80, v42
	s_cbranch_execz .LBB259_522
; %bb.517:                              ;   in Loop: Header=BB259_417 Depth=1
	v_and_b32_e32 v43, 0x7f, v10
	v_mov_b32_e32 v41, 0x7c01
	s_mov_b32 s13, exec_lo
	s_delay_alu instid0(VALU_DEP_2)
	v_cmpx_ne_u32_e32 0x7f, v43
	s_cbranch_execz .LBB259_521
; %bb.518:                              ;   in Loop: Header=BB259_417 Depth=1
	v_and_b32_e32 v41, 7, v10
	v_lshrrev_b32_e32 v42, 3, v43
	s_mov_b32 s14, exec_lo
	v_cmpx_gt_u32_e32 8, v43
; %bb.519:                              ;   in Loop: Header=BB259_417 Depth=1
	s_delay_alu instid0(VALU_DEP_3) | instskip(NEXT) | instid1(VALU_DEP_1)
	v_clz_i32_u32_e32 v41, v41
	v_min_u32_e32 v43, 32, v41
	s_delay_alu instid0(VALU_DEP_1) | instskip(NEXT) | instid1(VALU_DEP_1)
	v_subrev_nc_u32_e32 v41, 28, v43
	v_lshlrev_b64_e32 v[41:42], v41, v[1:2]
	v_sub_nc_u32_e32 v42, 29, v43
	s_delay_alu instid0(VALU_DEP_2)
	v_and_b32_e32 v41, 7, v41
; %bb.520:                              ;   in Loop: Header=BB259_417 Depth=1
	s_wait_alu 0xfffe
	s_or_b32 exec_lo, exec_lo, s14
	v_lshlrev_b32_e32 v43, 8, v10
	v_lshl_add_u32 v42, v42, 10, 0x2000
	v_lshlrev_b32_e32 v41, 7, v41
	s_delay_alu instid0(VALU_DEP_3) | instskip(NEXT) | instid1(VALU_DEP_3)
	v_and_b32_e32 v43, 0x8000, v43
	v_and_b32_e32 v42, 0xfc00, v42
	s_delay_alu instid0(VALU_DEP_1)
	v_or3_b32 v41, v43, v42, v41
.LBB259_521:                            ;   in Loop: Header=BB259_417 Depth=1
	s_or_b32 exec_lo, exec_lo, s13
.LBB259_522:                            ;   in Loop: Header=BB259_417 Depth=1
	s_wait_alu 0xfffe
	s_or_b32 exec_lo, exec_lo, s7
.LBB259_523:                            ;   in Loop: Header=BB259_417 Depth=1
	s_wait_alu 0xfffe
	s_or_b32 exec_lo, exec_lo, s6
	v_lshrrev_b16 v1, 8, v1
	v_mov_b32_e32 v42, 0
	s_mov_b32 s6, exec_lo
	s_delay_alu instid0(VALU_DEP_2)
	v_cmpx_ne_u16_e32 0, v1
	s_cbranch_execz .LBB259_531
; %bb.524:                              ;   in Loop: Header=BB259_417 Depth=1
	v_bfrev_b32_e32 v42, 1
	s_mov_b32 s7, exec_lo
	v_cmpx_ne_u16_e32 0x80, v1
	s_cbranch_execz .LBB259_530
; %bb.525:                              ;   in Loop: Header=BB259_417 Depth=1
	v_and_b32_e32 v43, 0xffff, v1
	v_mov_b32_e32 v42, 0x7c010000
	s_mov_b32 s13, exec_lo
	s_delay_alu instid0(VALU_DEP_2) | instskip(NEXT) | instid1(VALU_DEP_1)
	v_and_b32_e32 v45, 0x7f, v43
	v_cmpx_ne_u32_e32 0x7f, v45
	s_cbranch_execz .LBB259_529
; %bb.526:                              ;   in Loop: Header=BB259_417 Depth=1
	v_and_b32_e32 v42, 7, v43
	v_lshrrev_b32_e32 v44, 3, v45
	s_mov_b32 s14, exec_lo
	v_cmpx_gt_u32_e32 8, v45
; %bb.527:                              ;   in Loop: Header=BB259_417 Depth=1
	s_delay_alu instid0(VALU_DEP_3) | instskip(NEXT) | instid1(VALU_DEP_1)
	v_clz_i32_u32_e32 v42, v42
	v_min_u32_e32 v42, 32, v42
	s_delay_alu instid0(VALU_DEP_1) | instskip(NEXT) | instid1(VALU_DEP_1)
	v_subrev_nc_u32_e32 v44, 28, v42
	v_lshlrev_b64_e32 v[45:46], v44, v[1:2]
	v_sub_nc_u32_e32 v44, 29, v42
	s_delay_alu instid0(VALU_DEP_2)
	v_and_b32_e32 v42, 7, v45
; %bb.528:                              ;   in Loop: Header=BB259_417 Depth=1
	s_wait_alu 0xfffe
	s_or_b32 exec_lo, exec_lo, s14
	v_lshlrev_b32_e32 v1, 8, v43
	v_lshl_add_u32 v43, v44, 10, 0x2000
	v_lshlrev_b32_e32 v42, 23, v42
	s_delay_alu instid0(VALU_DEP_2) | instskip(NEXT) | instid1(VALU_DEP_1)
	v_and_or_b32 v1, 0x8000, v1, v43
	v_lshl_or_b32 v42, v1, 16, v42
.LBB259_529:                            ;   in Loop: Header=BB259_417 Depth=1
	s_or_b32 exec_lo, exec_lo, s13
.LBB259_530:                            ;   in Loop: Header=BB259_417 Depth=1
	s_wait_alu 0xfffe
	s_or_b32 exec_lo, exec_lo, s7
.LBB259_531:                            ;   in Loop: Header=BB259_417 Depth=1
	s_wait_alu 0xfffe
	s_or_b32 exec_lo, exec_lo, s6
	v_lshrrev_b32_e32 v1, 16, v10
	s_mov_b32 s6, exec_lo
	s_delay_alu instid0(VALU_DEP_1) | instskip(NEXT) | instid1(VALU_DEP_1)
	v_and_b32_e32 v43, 0xff, v1
	v_cmpx_ne_u16_e32 0, v43
	s_cbranch_execz .LBB259_539
; %bb.532:                              ;   in Loop: Header=BB259_417 Depth=1
	v_mov_b32_e32 v40, 0x8000
	s_mov_b32 s7, exec_lo
	v_cmpx_ne_u16_e32 0x80, v43
	s_cbranch_execz .LBB259_538
; %bb.533:                              ;   in Loop: Header=BB259_417 Depth=1
	v_bfe_u32 v44, v10, 16, 7
	v_mov_b32_e32 v40, 0x7c01
	s_mov_b32 s13, exec_lo
	s_delay_alu instid0(VALU_DEP_2)
	v_cmpx_ne_u32_e32 0x7f, v44
	s_cbranch_execz .LBB259_537
; %bb.534:                              ;   in Loop: Header=BB259_417 Depth=1
	v_and_b32_e32 v40, 7, v1
	v_lshrrev_b32_e32 v43, 3, v44
	s_mov_b32 s14, exec_lo
	v_cmpx_gt_u32_e32 8, v44
; %bb.535:                              ;   in Loop: Header=BB259_417 Depth=1
	s_delay_alu instid0(VALU_DEP_3) | instskip(NEXT) | instid1(VALU_DEP_1)
	v_clz_i32_u32_e32 v40, v40
	v_min_u32_e32 v40, 32, v40
	s_delay_alu instid0(VALU_DEP_1) | instskip(NEXT) | instid1(VALU_DEP_1)
	v_subrev_nc_u32_e32 v43, 28, v40
	v_lshlrev_b64_e32 v[44:45], v43, v[1:2]
	v_sub_nc_u32_e32 v43, 29, v40
	s_delay_alu instid0(VALU_DEP_2)
	v_and_b32_e32 v40, 7, v44
; %bb.536:                              ;   in Loop: Header=BB259_417 Depth=1
	s_wait_alu 0xfffe
	s_or_b32 exec_lo, exec_lo, s14
	v_lshlrev_b32_e32 v1, 8, v1
	v_lshl_add_u32 v43, v43, 10, 0x2000
	v_lshlrev_b32_e32 v40, 7, v40
	s_delay_alu instid0(VALU_DEP_3) | instskip(NEXT) | instid1(VALU_DEP_3)
	v_and_b32_e32 v1, 0x8000, v1
	v_and_b32_e32 v43, 0xfc00, v43
	s_delay_alu instid0(VALU_DEP_1)
	v_or3_b32 v40, v1, v43, v40
.LBB259_537:                            ;   in Loop: Header=BB259_417 Depth=1
	s_or_b32 exec_lo, exec_lo, s13
.LBB259_538:                            ;   in Loop: Header=BB259_417 Depth=1
	s_wait_alu 0xfffe
	s_or_b32 exec_lo, exec_lo, s7
.LBB259_539:                            ;   in Loop: Header=BB259_417 Depth=1
	s_wait_alu 0xfffe
	s_or_b32 exec_lo, exec_lo, s6
	v_cmp_lt_u64_e64 s0, s[2:3], v[9:10]
	v_mov_b32_e32 v9, 0
	s_and_saveexec_b32 s6, s0
	s_cbranch_execz .LBB259_547
; %bb.540:                              ;   in Loop: Header=BB259_417 Depth=1
	v_lshrrev_b32_e32 v1, 24, v10
	v_bfrev_b32_e32 v9, 1
	s_mov_b32 s7, exec_lo
	s_delay_alu instid0(VALU_DEP_2)
	v_cmpx_ne_u32_e32 0x80, v1
	s_cbranch_execz .LBB259_546
; %bb.541:                              ;   in Loop: Header=BB259_417 Depth=1
	v_and_b32_e32 v43, 0x7f, v1
	v_mov_b32_e32 v9, 0x7c010000
	s_mov_b32 s13, exec_lo
	s_delay_alu instid0(VALU_DEP_2)
	v_cmpx_ne_u32_e32 0x7f, v43
	s_cbranch_execz .LBB259_545
; %bb.542:                              ;   in Loop: Header=BB259_417 Depth=1
	v_and_b32_e32 v9, 7, v1
	v_lshrrev_b32_e32 v10, 3, v43
	s_mov_b32 s14, exec_lo
	v_cmpx_gt_u32_e32 8, v43
; %bb.543:                              ;   in Loop: Header=BB259_417 Depth=1
	s_delay_alu instid0(VALU_DEP_3) | instskip(NEXT) | instid1(VALU_DEP_1)
	v_clz_i32_u32_e32 v9, v9
	v_min_u32_e32 v43, 32, v9
	s_delay_alu instid0(VALU_DEP_1) | instskip(NEXT) | instid1(VALU_DEP_1)
	v_subrev_nc_u32_e32 v9, 28, v43
	v_lshlrev_b64_e32 v[9:10], v9, v[1:2]
	v_sub_nc_u32_e32 v10, 29, v43
	s_delay_alu instid0(VALU_DEP_2)
	v_and_b32_e32 v9, 7, v9
; %bb.544:                              ;   in Loop: Header=BB259_417 Depth=1
	s_wait_alu 0xfffe
	s_or_b32 exec_lo, exec_lo, s14
	v_lshlrev_b32_e32 v1, 8, v1
	v_lshl_add_u32 v10, v10, 10, 0x2000
	v_lshlrev_b32_e32 v9, 23, v9
	s_delay_alu instid0(VALU_DEP_2) | instskip(NEXT) | instid1(VALU_DEP_1)
	v_and_or_b32 v1, 0x8000, v1, v10
	v_lshl_or_b32 v9, v1, 16, v9
.LBB259_545:                            ;   in Loop: Header=BB259_417 Depth=1
	s_or_b32 exec_lo, exec_lo, s13
.LBB259_546:                            ;   in Loop: Header=BB259_417 Depth=1
	s_wait_alu 0xfffe
	s_or_b32 exec_lo, exec_lo, s7
.LBB259_547:                            ;   in Loop: Header=BB259_417 Depth=1
	s_wait_alu 0xfffe
	s_or_b32 exec_lo, exec_lo, s6
	v_or_b32_e32 v1, v38, v39
	s_wait_loadcnt 0x0
	v_fma_mixlo_f16 v10, v35, v38, 0 op_sel:[0,1,0] op_sel_hi:[0,1,0]
	v_or_b32_e32 v38, v36, v37
	v_fma_mixlo_f16 v36, v35, v36, 0 op_sel:[0,1,0] op_sel_hi:[0,1,0]
	v_or_b32_e32 v39, v42, v41
	v_or_b32_e32 v40, v9, v40
	v_fma_mixlo_f16 v41, v35, v1, 0 op_sel_hi:[0,1,0]
	v_fma_mixlo_f16 v9, v35, v9, 0 op_sel:[0,1,0] op_sel_hi:[0,1,0]
	v_lshlrev_b32_e32 v37, 16, v36
	v_fma_mixlo_f16 v36, v35, v38, 0 op_sel_hi:[0,1,0]
	v_fma_mixlo_f16 v38, v35, v42, 0 op_sel:[0,1,0] op_sel_hi:[0,1,0]
	v_fma_mixlo_f16 v39, v35, v39, 0 op_sel_hi:[0,1,0]
	v_fma_mixlo_f16 v40, v35, v40, 0 op_sel_hi:[0,1,0]
	v_lshlrev_b32_e32 v1, 16, v10
	v_and_b32_e32 v10, 0xffff, v41
	v_and_b32_e32 v43, 0xffff, v36
	v_lshlrev_b32_e32 v35, 16, v38
	v_and_b32_e32 v39, 0xffff, v39
	v_lshlrev_b32_e32 v9, 16, v9
	v_and_b32_e32 v36, 0xffff, v40
	v_or_b32_e32 v38, v1, v10
	v_or_b32_e32 v42, v37, v43
	;; [unrolled: 1-line block ×3, first 2 shown]
	s_delay_alu instid0(VALU_DEP_4)
	v_or_b32_e32 v40, v9, v36
	s_and_saveexec_b32 s6, vcc_lo
	s_cbranch_execz .LBB259_549
; %bb.548:                              ;   in Loop: Header=BB259_417 Depth=1
	v_cmp_gt_i32_e64 s0, s27, v22
	s_wait_alu 0xf1ff
	s_delay_alu instid0(VALU_DEP_1) | instskip(SKIP_2) | instid1(VALU_DEP_1)
	v_cndmask_b32_e64 v38, 0, v43, s0
	v_cmp_gt_i32_e64 s0, s27, v28
	s_wait_alu 0xf1ff
	v_cndmask_b32_e64 v37, 0, v37, s0
	v_cmp_gt_i32_e64 s0, s27, v27
	s_delay_alu instid0(VALU_DEP_2) | instskip(SKIP_1) | instid1(VALU_DEP_2)
	v_or_b32_e32 v42, v37, v38
	s_wait_alu 0xf1ff
	v_cndmask_b32_e64 v10, 0, v10, s0
	v_cmp_gt_i32_e64 s0, s27, v26
	s_wait_alu 0xf1ff
	s_delay_alu instid0(VALU_DEP_1) | instskip(SKIP_1) | instid1(VALU_DEP_2)
	v_cndmask_b32_e64 v1, 0, v1, s0
	v_cmp_gt_i32_e64 s0, s27, v25
	v_or_b32_e32 v38, v1, v10
	s_wait_alu 0xf1ff
	s_delay_alu instid0(VALU_DEP_2) | instskip(SKIP_2) | instid1(VALU_DEP_1)
	v_cndmask_b32_e64 v39, 0, v39, s0
	v_cmp_gt_i32_e64 s0, s27, v24
	s_wait_alu 0xf1ff
	v_cndmask_b32_e64 v35, 0, v35, s0
	v_cmp_gt_i32_e64 s0, s27, v23
	s_delay_alu instid0(VALU_DEP_2) | instskip(SKIP_1) | instid1(VALU_DEP_2)
	v_or_b32_e32 v41, v35, v39
	s_wait_alu 0xf1ff
	v_cndmask_b32_e64 v36, 0, v36, s0
	v_cmp_gt_i32_e64 s0, s27, v20
	s_wait_alu 0xf1ff
	s_delay_alu instid0(VALU_DEP_1) | instskip(NEXT) | instid1(VALU_DEP_1)
	v_cndmask_b32_e64 v9, 0, v9, s0
	v_or_b32_e32 v40, v9, v36
.LBB259_549:                            ;   in Loop: Header=BB259_417 Depth=1
	s_wait_alu 0xfffe
	s_or_b32 exec_lo, exec_lo, s6
	;;#ASMSTART
	v_pk_mul_f16 v1, v34, v42;

	;;#ASMEND
	;;#ASMSTART
	v_pk_mul_f16 v9, v32, v38;

	;;#ASMEND
	;; [unrolled: 4-line block ×4, first 2 shown]
	;;#ASMSTART
	v_pk_add_f16 v1, v1, v9;

	;;#ASMEND
	;;#ASMSTART
	v_pk_add_f16 v1, v1, v10;

	;;#ASMEND
	;;#ASMSTART
	v_pk_add_f16 v1, v1, v35;

	;;#ASMEND
	v_dual_mov_b32 v38, 0 :: v_dual_and_b32 v9, 0xffff, v1
	v_lshrrev_b32_e32 v1, 16, v1
	;;#ASMSTART
	v_cvt_f32_f16 v35, v9;
	;;#ASMEND
	;;#ASMSTART
	v_cvt_f32_f16 v36, v1;
	;;#ASMEND
	global_load_b64 v[9:10], v[7:8], off offset:512
	global_load_b32 v37, v38, s[10:11]
	v_mov_b32_e32 v39, 0
	s_mov_b32 s6, exec_lo
	s_wait_loadcnt 0x1
	v_and_b32_e32 v1, 0xff, v9
	s_delay_alu instid0(VALU_DEP_1)
	v_cmpx_ne_u16_e32 0, v1
	s_cbranch_execz .LBB259_557
; %bb.550:                              ;   in Loop: Header=BB259_417 Depth=1
	v_mov_b32_e32 v39, 0x8000
	s_mov_b32 s7, exec_lo
	v_cmpx_ne_u16_e32 0x80, v1
	s_cbranch_execz .LBB259_556
; %bb.551:                              ;   in Loop: Header=BB259_417 Depth=1
	v_and_b32_e32 v40, 0x7f, v9
	v_mov_b32_e32 v39, 0x7c01
	s_mov_b32 s13, exec_lo
	s_delay_alu instid0(VALU_DEP_2)
	v_cmpx_ne_u32_e32 0x7f, v40
	s_cbranch_execz .LBB259_555
; %bb.552:                              ;   in Loop: Header=BB259_417 Depth=1
	v_and_b32_e32 v1, 7, v9
	v_lshrrev_b32_e32 v39, 3, v40
	s_mov_b32 s14, exec_lo
	v_cmpx_gt_u32_e32 8, v40
; %bb.553:                              ;   in Loop: Header=BB259_417 Depth=1
	s_delay_alu instid0(VALU_DEP_3) | instskip(NEXT) | instid1(VALU_DEP_1)
	v_clz_i32_u32_e32 v1, v1
	v_min_u32_e32 v1, 32, v1
	s_delay_alu instid0(VALU_DEP_1) | instskip(NEXT) | instid1(VALU_DEP_1)
	v_subrev_nc_u32_e32 v39, 28, v1
	v_lshlrev_b64_e32 v[40:41], v39, v[9:10]
	v_sub_nc_u32_e32 v39, 29, v1
	s_delay_alu instid0(VALU_DEP_2)
	v_and_b32_e32 v1, 7, v40
; %bb.554:                              ;   in Loop: Header=BB259_417 Depth=1
	s_wait_alu 0xfffe
	s_or_b32 exec_lo, exec_lo, s14
	v_lshlrev_b32_e32 v40, 8, v9
	v_lshl_add_u32 v39, v39, 10, 0x2000
	v_lshlrev_b32_e32 v1, 7, v1
	s_delay_alu instid0(VALU_DEP_3) | instskip(NEXT) | instid1(VALU_DEP_3)
	v_and_b32_e32 v40, 0x8000, v40
	v_and_b32_e32 v39, 0xfc00, v39
	s_delay_alu instid0(VALU_DEP_1)
	v_or3_b32 v39, v40, v39, v1
.LBB259_555:                            ;   in Loop: Header=BB259_417 Depth=1
	s_or_b32 exec_lo, exec_lo, s13
.LBB259_556:                            ;   in Loop: Header=BB259_417 Depth=1
	s_wait_alu 0xfffe
	s_or_b32 exec_lo, exec_lo, s7
.LBB259_557:                            ;   in Loop: Header=BB259_417 Depth=1
	s_wait_alu 0xfffe
	s_or_b32 exec_lo, exec_lo, s6
	v_lshrrev_b16 v1, 8, v9
	s_mov_b32 s6, exec_lo
	s_delay_alu instid0(VALU_DEP_1)
	v_cmpx_ne_u16_e32 0, v1
	s_cbranch_execz .LBB259_565
; %bb.558:                              ;   in Loop: Header=BB259_417 Depth=1
	v_bfrev_b32_e32 v38, 1
	s_mov_b32 s7, exec_lo
	v_cmpx_ne_u16_e32 0x80, v1
	s_cbranch_execz .LBB259_564
; %bb.559:                              ;   in Loop: Header=BB259_417 Depth=1
	v_and_b32_e32 v40, 0xffff, v1
	v_mov_b32_e32 v38, 0x7c010000
	s_mov_b32 s13, exec_lo
	s_delay_alu instid0(VALU_DEP_2) | instskip(NEXT) | instid1(VALU_DEP_1)
	v_and_b32_e32 v42, 0x7f, v40
	v_cmpx_ne_u32_e32 0x7f, v42
	s_cbranch_execz .LBB259_563
; %bb.560:                              ;   in Loop: Header=BB259_417 Depth=1
	v_and_b32_e32 v38, 7, v40
	v_lshrrev_b32_e32 v41, 3, v42
	s_mov_b32 s14, exec_lo
	v_cmpx_gt_u32_e32 8, v42
; %bb.561:                              ;   in Loop: Header=BB259_417 Depth=1
	s_delay_alu instid0(VALU_DEP_3) | instskip(NEXT) | instid1(VALU_DEP_1)
	v_clz_i32_u32_e32 v38, v38
	v_min_u32_e32 v38, 32, v38
	s_delay_alu instid0(VALU_DEP_1) | instskip(NEXT) | instid1(VALU_DEP_1)
	v_subrev_nc_u32_e32 v41, 28, v38
	v_lshlrev_b64_e32 v[42:43], v41, v[1:2]
	v_sub_nc_u32_e32 v41, 29, v38
	s_delay_alu instid0(VALU_DEP_2)
	v_and_b32_e32 v38, 7, v42
; %bb.562:                              ;   in Loop: Header=BB259_417 Depth=1
	s_wait_alu 0xfffe
	s_or_b32 exec_lo, exec_lo, s14
	v_lshlrev_b32_e32 v1, 8, v40
	v_lshl_add_u32 v40, v41, 10, 0x2000
	v_lshlrev_b32_e32 v38, 23, v38
	s_delay_alu instid0(VALU_DEP_2) | instskip(NEXT) | instid1(VALU_DEP_1)
	v_and_or_b32 v1, 0x8000, v1, v40
	v_lshl_or_b32 v38, v1, 16, v38
.LBB259_563:                            ;   in Loop: Header=BB259_417 Depth=1
	s_or_b32 exec_lo, exec_lo, s13
.LBB259_564:                            ;   in Loop: Header=BB259_417 Depth=1
	s_wait_alu 0xfffe
	s_or_b32 exec_lo, exec_lo, s7
.LBB259_565:                            ;   in Loop: Header=BB259_417 Depth=1
	s_wait_alu 0xfffe
	s_or_b32 exec_lo, exec_lo, s6
	v_lshrrev_b32_e32 v1, 16, v9
	v_mov_b32_e32 v40, 0
	s_mov_b32 s6, exec_lo
	s_delay_alu instid0(VALU_DEP_2) | instskip(NEXT) | instid1(VALU_DEP_1)
	v_dual_mov_b32 v41, 0 :: v_dual_and_b32 v42, 0xff, v1
	v_cmpx_ne_u16_e32 0, v42
	s_cbranch_execz .LBB259_573
; %bb.566:                              ;   in Loop: Header=BB259_417 Depth=1
	v_mov_b32_e32 v41, 0x8000
	s_mov_b32 s7, exec_lo
	v_cmpx_ne_u16_e32 0x80, v42
	s_cbranch_execz .LBB259_572
; %bb.567:                              ;   in Loop: Header=BB259_417 Depth=1
	v_bfe_u32 v43, v9, 16, 7
	v_mov_b32_e32 v41, 0x7c01
	s_mov_b32 s13, exec_lo
	s_delay_alu instid0(VALU_DEP_2)
	v_cmpx_ne_u32_e32 0x7f, v43
	s_cbranch_execz .LBB259_571
; %bb.568:                              ;   in Loop: Header=BB259_417 Depth=1
	v_and_b32_e32 v41, 7, v1
	v_lshrrev_b32_e32 v42, 3, v43
	s_mov_b32 s14, exec_lo
	v_cmpx_gt_u32_e32 8, v43
; %bb.569:                              ;   in Loop: Header=BB259_417 Depth=1
	s_delay_alu instid0(VALU_DEP_3) | instskip(NEXT) | instid1(VALU_DEP_1)
	v_clz_i32_u32_e32 v41, v41
	v_min_u32_e32 v43, 32, v41
	s_delay_alu instid0(VALU_DEP_1) | instskip(NEXT) | instid1(VALU_DEP_1)
	v_subrev_nc_u32_e32 v41, 28, v43
	v_lshlrev_b64_e32 v[41:42], v41, v[1:2]
	v_sub_nc_u32_e32 v42, 29, v43
	s_delay_alu instid0(VALU_DEP_2)
	v_and_b32_e32 v41, 7, v41
; %bb.570:                              ;   in Loop: Header=BB259_417 Depth=1
	s_wait_alu 0xfffe
	s_or_b32 exec_lo, exec_lo, s14
	v_lshlrev_b32_e32 v1, 8, v1
	v_lshl_add_u32 v42, v42, 10, 0x2000
	v_lshlrev_b32_e32 v41, 7, v41
	s_delay_alu instid0(VALU_DEP_3) | instskip(NEXT) | instid1(VALU_DEP_3)
	v_and_b32_e32 v1, 0x8000, v1
	v_and_b32_e32 v42, 0xfc00, v42
	s_delay_alu instid0(VALU_DEP_1)
	v_or3_b32 v41, v1, v42, v41
.LBB259_571:                            ;   in Loop: Header=BB259_417 Depth=1
	s_or_b32 exec_lo, exec_lo, s13
.LBB259_572:                            ;   in Loop: Header=BB259_417 Depth=1
	s_wait_alu 0xfffe
	s_or_b32 exec_lo, exec_lo, s7
.LBB259_573:                            ;   in Loop: Header=BB259_417 Depth=1
	s_wait_alu 0xfffe
	s_or_b32 exec_lo, exec_lo, s6
	s_delay_alu instid0(SALU_CYCLE_1)
	s_mov_b32 s6, exec_lo
	v_cmpx_lt_u32_e32 0xffffff, v9
	s_cbranch_execz .LBB259_581
; %bb.574:                              ;   in Loop: Header=BB259_417 Depth=1
	v_lshrrev_b32_e32 v1, 24, v9
	v_bfrev_b32_e32 v40, 1
	s_mov_b32 s7, exec_lo
	s_delay_alu instid0(VALU_DEP_2)
	v_cmpx_ne_u32_e32 0x80, v1
	s_cbranch_execz .LBB259_580
; %bb.575:                              ;   in Loop: Header=BB259_417 Depth=1
	v_and_b32_e32 v43, 0x7f, v1
	v_mov_b32_e32 v40, 0x7c010000
	s_mov_b32 s13, exec_lo
	s_delay_alu instid0(VALU_DEP_2)
	v_cmpx_ne_u32_e32 0x7f, v43
	s_cbranch_execz .LBB259_579
; %bb.576:                              ;   in Loop: Header=BB259_417 Depth=1
	v_and_b32_e32 v40, 7, v1
	v_lshrrev_b32_e32 v42, 3, v43
	s_mov_b32 s14, exec_lo
	v_cmpx_gt_u32_e32 8, v43
; %bb.577:                              ;   in Loop: Header=BB259_417 Depth=1
	s_delay_alu instid0(VALU_DEP_3) | instskip(NEXT) | instid1(VALU_DEP_1)
	v_clz_i32_u32_e32 v40, v40
	v_min_u32_e32 v40, 32, v40
	s_delay_alu instid0(VALU_DEP_1) | instskip(NEXT) | instid1(VALU_DEP_1)
	v_subrev_nc_u32_e32 v42, 28, v40
	v_lshlrev_b64_e32 v[43:44], v42, v[1:2]
	v_sub_nc_u32_e32 v42, 29, v40
	s_delay_alu instid0(VALU_DEP_2)
	v_and_b32_e32 v40, 7, v43
; %bb.578:                              ;   in Loop: Header=BB259_417 Depth=1
	s_wait_alu 0xfffe
	s_or_b32 exec_lo, exec_lo, s14
	v_lshlrev_b32_e32 v1, 8, v1
	v_lshl_add_u32 v42, v42, 10, 0x2000
	v_lshlrev_b32_e32 v40, 23, v40
	s_delay_alu instid0(VALU_DEP_2) | instskip(NEXT) | instid1(VALU_DEP_1)
	v_and_or_b32 v1, 0x8000, v1, v42
	v_lshl_or_b32 v40, v1, 16, v40
.LBB259_579:                            ;   in Loop: Header=BB259_417 Depth=1
	s_or_b32 exec_lo, exec_lo, s13
.LBB259_580:                            ;   in Loop: Header=BB259_417 Depth=1
	s_wait_alu 0xfffe
	s_or_b32 exec_lo, exec_lo, s7
.LBB259_581:                            ;   in Loop: Header=BB259_417 Depth=1
	s_wait_alu 0xfffe
	s_or_b32 exec_lo, exec_lo, s6
	v_dual_mov_b32 v1, v10 :: v_dual_and_b32 v44, 0xff, v10
	v_dual_mov_b32 v42, 0 :: v_dual_mov_b32 v43, 0
	s_mov_b32 s6, exec_lo
	s_delay_alu instid0(VALU_DEP_2)
	v_cmpx_ne_u16_e32 0, v44
	s_cbranch_execz .LBB259_589
; %bb.582:                              ;   in Loop: Header=BB259_417 Depth=1
	v_mov_b32_e32 v43, 0x8000
	s_mov_b32 s7, exec_lo
	v_cmpx_ne_u16_e32 0x80, v44
	s_cbranch_execz .LBB259_588
; %bb.583:                              ;   in Loop: Header=BB259_417 Depth=1
	v_and_b32_e32 v45, 0x7f, v10
	v_mov_b32_e32 v43, 0x7c01
	s_mov_b32 s13, exec_lo
	s_delay_alu instid0(VALU_DEP_2)
	v_cmpx_ne_u32_e32 0x7f, v45
	s_cbranch_execz .LBB259_587
; %bb.584:                              ;   in Loop: Header=BB259_417 Depth=1
	v_and_b32_e32 v43, 7, v10
	v_lshrrev_b32_e32 v44, 3, v45
	s_mov_b32 s14, exec_lo
	v_cmpx_gt_u32_e32 8, v45
; %bb.585:                              ;   in Loop: Header=BB259_417 Depth=1
	s_delay_alu instid0(VALU_DEP_3) | instskip(NEXT) | instid1(VALU_DEP_1)
	v_clz_i32_u32_e32 v43, v43
	v_min_u32_e32 v45, 32, v43
	s_delay_alu instid0(VALU_DEP_1) | instskip(NEXT) | instid1(VALU_DEP_1)
	v_subrev_nc_u32_e32 v43, 28, v45
	v_lshlrev_b64_e32 v[43:44], v43, v[1:2]
	v_sub_nc_u32_e32 v44, 29, v45
	s_delay_alu instid0(VALU_DEP_2)
	v_and_b32_e32 v43, 7, v43
; %bb.586:                              ;   in Loop: Header=BB259_417 Depth=1
	s_wait_alu 0xfffe
	s_or_b32 exec_lo, exec_lo, s14
	v_lshlrev_b32_e32 v45, 8, v10
	v_lshl_add_u32 v44, v44, 10, 0x2000
	v_lshlrev_b32_e32 v43, 7, v43
	s_delay_alu instid0(VALU_DEP_3) | instskip(NEXT) | instid1(VALU_DEP_3)
	v_and_b32_e32 v45, 0x8000, v45
	v_and_b32_e32 v44, 0xfc00, v44
	s_delay_alu instid0(VALU_DEP_1)
	v_or3_b32 v43, v45, v44, v43
.LBB259_587:                            ;   in Loop: Header=BB259_417 Depth=1
	s_or_b32 exec_lo, exec_lo, s13
.LBB259_588:                            ;   in Loop: Header=BB259_417 Depth=1
	s_wait_alu 0xfffe
	s_or_b32 exec_lo, exec_lo, s7
.LBB259_589:                            ;   in Loop: Header=BB259_417 Depth=1
	s_wait_alu 0xfffe
	s_or_b32 exec_lo, exec_lo, s6
	v_lshrrev_b16 v1, 8, v1
	v_mov_b32_e32 v44, 0
	s_mov_b32 s6, exec_lo
	s_delay_alu instid0(VALU_DEP_2)
	v_cmpx_ne_u16_e32 0, v1
	s_cbranch_execz .LBB259_597
; %bb.590:                              ;   in Loop: Header=BB259_417 Depth=1
	v_bfrev_b32_e32 v44, 1
	s_mov_b32 s7, exec_lo
	v_cmpx_ne_u16_e32 0x80, v1
	s_cbranch_execz .LBB259_596
; %bb.591:                              ;   in Loop: Header=BB259_417 Depth=1
	v_and_b32_e32 v45, 0xffff, v1
	v_mov_b32_e32 v44, 0x7c010000
	s_mov_b32 s13, exec_lo
	s_delay_alu instid0(VALU_DEP_2) | instskip(NEXT) | instid1(VALU_DEP_1)
	v_and_b32_e32 v47, 0x7f, v45
	v_cmpx_ne_u32_e32 0x7f, v47
	s_cbranch_execz .LBB259_595
; %bb.592:                              ;   in Loop: Header=BB259_417 Depth=1
	v_and_b32_e32 v44, 7, v45
	v_lshrrev_b32_e32 v46, 3, v47
	s_mov_b32 s14, exec_lo
	v_cmpx_gt_u32_e32 8, v47
; %bb.593:                              ;   in Loop: Header=BB259_417 Depth=1
	s_delay_alu instid0(VALU_DEP_3) | instskip(NEXT) | instid1(VALU_DEP_1)
	v_clz_i32_u32_e32 v44, v44
	v_min_u32_e32 v44, 32, v44
	s_delay_alu instid0(VALU_DEP_1) | instskip(NEXT) | instid1(VALU_DEP_1)
	v_subrev_nc_u32_e32 v46, 28, v44
	v_lshlrev_b64_e32 v[47:48], v46, v[1:2]
	v_sub_nc_u32_e32 v46, 29, v44
	s_delay_alu instid0(VALU_DEP_2)
	v_and_b32_e32 v44, 7, v47
; %bb.594:                              ;   in Loop: Header=BB259_417 Depth=1
	s_wait_alu 0xfffe
	s_or_b32 exec_lo, exec_lo, s14
	v_lshlrev_b32_e32 v1, 8, v45
	v_lshl_add_u32 v45, v46, 10, 0x2000
	v_lshlrev_b32_e32 v44, 23, v44
	s_delay_alu instid0(VALU_DEP_2) | instskip(NEXT) | instid1(VALU_DEP_1)
	v_and_or_b32 v1, 0x8000, v1, v45
	v_lshl_or_b32 v44, v1, 16, v44
.LBB259_595:                            ;   in Loop: Header=BB259_417 Depth=1
	s_or_b32 exec_lo, exec_lo, s13
.LBB259_596:                            ;   in Loop: Header=BB259_417 Depth=1
	s_wait_alu 0xfffe
	s_or_b32 exec_lo, exec_lo, s7
.LBB259_597:                            ;   in Loop: Header=BB259_417 Depth=1
	s_wait_alu 0xfffe
	s_or_b32 exec_lo, exec_lo, s6
	v_lshrrev_b32_e32 v1, 16, v10
	s_mov_b32 s6, exec_lo
	s_delay_alu instid0(VALU_DEP_1) | instskip(NEXT) | instid1(VALU_DEP_1)
	v_and_b32_e32 v45, 0xff, v1
	v_cmpx_ne_u16_e32 0, v45
	s_cbranch_execz .LBB259_605
; %bb.598:                              ;   in Loop: Header=BB259_417 Depth=1
	v_mov_b32_e32 v42, 0x8000
	s_mov_b32 s7, exec_lo
	v_cmpx_ne_u16_e32 0x80, v45
	s_cbranch_execz .LBB259_604
; %bb.599:                              ;   in Loop: Header=BB259_417 Depth=1
	v_bfe_u32 v46, v10, 16, 7
	v_mov_b32_e32 v42, 0x7c01
	s_mov_b32 s13, exec_lo
	s_delay_alu instid0(VALU_DEP_2)
	v_cmpx_ne_u32_e32 0x7f, v46
	s_cbranch_execz .LBB259_603
; %bb.600:                              ;   in Loop: Header=BB259_417 Depth=1
	v_and_b32_e32 v42, 7, v1
	v_lshrrev_b32_e32 v45, 3, v46
	s_mov_b32 s14, exec_lo
	v_cmpx_gt_u32_e32 8, v46
; %bb.601:                              ;   in Loop: Header=BB259_417 Depth=1
	s_delay_alu instid0(VALU_DEP_3) | instskip(NEXT) | instid1(VALU_DEP_1)
	v_clz_i32_u32_e32 v42, v42
	v_min_u32_e32 v42, 32, v42
	s_delay_alu instid0(VALU_DEP_1) | instskip(NEXT) | instid1(VALU_DEP_1)
	v_subrev_nc_u32_e32 v45, 28, v42
	v_lshlrev_b64_e32 v[46:47], v45, v[1:2]
	v_sub_nc_u32_e32 v45, 29, v42
	s_delay_alu instid0(VALU_DEP_2)
	v_and_b32_e32 v42, 7, v46
; %bb.602:                              ;   in Loop: Header=BB259_417 Depth=1
	s_wait_alu 0xfffe
	s_or_b32 exec_lo, exec_lo, s14
	v_lshlrev_b32_e32 v1, 8, v1
	v_lshl_add_u32 v45, v45, 10, 0x2000
	v_lshlrev_b32_e32 v42, 7, v42
	s_delay_alu instid0(VALU_DEP_3) | instskip(NEXT) | instid1(VALU_DEP_3)
	v_and_b32_e32 v1, 0x8000, v1
	v_and_b32_e32 v45, 0xfc00, v45
	s_delay_alu instid0(VALU_DEP_1)
	v_or3_b32 v42, v1, v45, v42
.LBB259_603:                            ;   in Loop: Header=BB259_417 Depth=1
	s_or_b32 exec_lo, exec_lo, s13
.LBB259_604:                            ;   in Loop: Header=BB259_417 Depth=1
	s_wait_alu 0xfffe
	s_or_b32 exec_lo, exec_lo, s7
.LBB259_605:                            ;   in Loop: Header=BB259_417 Depth=1
	s_wait_alu 0xfffe
	s_or_b32 exec_lo, exec_lo, s6
	v_cmp_lt_u64_e64 s0, s[2:3], v[9:10]
	v_mov_b32_e32 v9, 0
	s_and_saveexec_b32 s6, s0
	s_cbranch_execz .LBB259_613
; %bb.606:                              ;   in Loop: Header=BB259_417 Depth=1
	v_lshrrev_b32_e32 v1, 24, v10
	v_bfrev_b32_e32 v9, 1
	s_mov_b32 s7, exec_lo
	s_delay_alu instid0(VALU_DEP_2)
	v_cmpx_ne_u32_e32 0x80, v1
	s_cbranch_execz .LBB259_612
; %bb.607:                              ;   in Loop: Header=BB259_417 Depth=1
	v_and_b32_e32 v45, 0x7f, v1
	v_mov_b32_e32 v9, 0x7c010000
	s_mov_b32 s13, exec_lo
	s_delay_alu instid0(VALU_DEP_2)
	v_cmpx_ne_u32_e32 0x7f, v45
	s_cbranch_execz .LBB259_611
; %bb.608:                              ;   in Loop: Header=BB259_417 Depth=1
	v_and_b32_e32 v9, 7, v1
	v_lshrrev_b32_e32 v10, 3, v45
	s_mov_b32 s14, exec_lo
	v_cmpx_gt_u32_e32 8, v45
; %bb.609:                              ;   in Loop: Header=BB259_417 Depth=1
	s_delay_alu instid0(VALU_DEP_3) | instskip(NEXT) | instid1(VALU_DEP_1)
	v_clz_i32_u32_e32 v9, v9
	v_min_u32_e32 v45, 32, v9
	s_delay_alu instid0(VALU_DEP_1) | instskip(NEXT) | instid1(VALU_DEP_1)
	v_subrev_nc_u32_e32 v9, 28, v45
	v_lshlrev_b64_e32 v[9:10], v9, v[1:2]
	v_sub_nc_u32_e32 v10, 29, v45
	s_delay_alu instid0(VALU_DEP_2)
	v_and_b32_e32 v9, 7, v9
; %bb.610:                              ;   in Loop: Header=BB259_417 Depth=1
	s_wait_alu 0xfffe
	s_or_b32 exec_lo, exec_lo, s14
	v_lshlrev_b32_e32 v1, 8, v1
	v_lshl_add_u32 v10, v10, 10, 0x2000
	v_lshlrev_b32_e32 v9, 23, v9
	s_delay_alu instid0(VALU_DEP_2) | instskip(NEXT) | instid1(VALU_DEP_1)
	v_and_or_b32 v1, 0x8000, v1, v10
	v_lshl_or_b32 v9, v1, 16, v9
.LBB259_611:                            ;   in Loop: Header=BB259_417 Depth=1
	s_or_b32 exec_lo, exec_lo, s13
.LBB259_612:                            ;   in Loop: Header=BB259_417 Depth=1
	s_wait_alu 0xfffe
	s_or_b32 exec_lo, exec_lo, s7
.LBB259_613:                            ;   in Loop: Header=BB259_417 Depth=1
	s_wait_alu 0xfffe
	s_or_b32 exec_lo, exec_lo, s6
	v_or_b32_e32 v1, v40, v41
	s_wait_loadcnt 0x0
	v_fma_mixlo_f16 v10, v37, v40, 0 op_sel:[0,1,0] op_sel_hi:[0,1,0]
	v_or_b32_e32 v40, v38, v39
	v_fma_mixlo_f16 v38, v37, v38, 0 op_sel:[0,1,0] op_sel_hi:[0,1,0]
	v_or_b32_e32 v41, v44, v43
	v_or_b32_e32 v42, v9, v42
	v_fma_mixlo_f16 v43, v37, v1, 0 op_sel_hi:[0,1,0]
	v_fma_mixlo_f16 v9, v37, v9, 0 op_sel:[0,1,0] op_sel_hi:[0,1,0]
	v_lshlrev_b32_e32 v39, 16, v38
	v_fma_mixlo_f16 v38, v37, v40, 0 op_sel_hi:[0,1,0]
	v_fma_mixlo_f16 v40, v37, v44, 0 op_sel:[0,1,0] op_sel_hi:[0,1,0]
	v_fma_mixlo_f16 v41, v37, v41, 0 op_sel_hi:[0,1,0]
	v_fma_mixlo_f16 v42, v37, v42, 0 op_sel_hi:[0,1,0]
	v_lshlrev_b32_e32 v1, 16, v10
	v_and_b32_e32 v10, 0xffff, v43
	v_and_b32_e32 v45, 0xffff, v38
	v_lshlrev_b32_e32 v37, 16, v40
	v_and_b32_e32 v41, 0xffff, v41
	v_lshlrev_b32_e32 v9, 16, v9
	v_and_b32_e32 v38, 0xffff, v42
	v_or_b32_e32 v40, v1, v10
	v_or_b32_e32 v44, v39, v45
	;; [unrolled: 1-line block ×3, first 2 shown]
	s_delay_alu instid0(VALU_DEP_4)
	v_or_b32_e32 v42, v9, v38
	s_and_saveexec_b32 s6, vcc_lo
	s_cbranch_execz .LBB259_615
; %bb.614:                              ;   in Loop: Header=BB259_417 Depth=1
	v_cmp_gt_i32_e64 s0, s27, v22
	s_wait_alu 0xf1ff
	s_delay_alu instid0(VALU_DEP_1) | instskip(SKIP_2) | instid1(VALU_DEP_1)
	v_cndmask_b32_e64 v40, 0, v45, s0
	v_cmp_gt_i32_e64 s0, s27, v28
	s_wait_alu 0xf1ff
	v_cndmask_b32_e64 v39, 0, v39, s0
	v_cmp_gt_i32_e64 s0, s27, v27
	s_delay_alu instid0(VALU_DEP_2) | instskip(SKIP_1) | instid1(VALU_DEP_2)
	v_or_b32_e32 v44, v39, v40
	s_wait_alu 0xf1ff
	v_cndmask_b32_e64 v10, 0, v10, s0
	v_cmp_gt_i32_e64 s0, s27, v26
	s_wait_alu 0xf1ff
	s_delay_alu instid0(VALU_DEP_1) | instskip(SKIP_1) | instid1(VALU_DEP_2)
	v_cndmask_b32_e64 v1, 0, v1, s0
	v_cmp_gt_i32_e64 s0, s27, v25
	v_or_b32_e32 v40, v1, v10
	s_wait_alu 0xf1ff
	s_delay_alu instid0(VALU_DEP_2) | instskip(SKIP_2) | instid1(VALU_DEP_1)
	v_cndmask_b32_e64 v41, 0, v41, s0
	v_cmp_gt_i32_e64 s0, s27, v24
	s_wait_alu 0xf1ff
	v_cndmask_b32_e64 v37, 0, v37, s0
	v_cmp_gt_i32_e64 s0, s27, v23
	s_delay_alu instid0(VALU_DEP_2) | instskip(SKIP_1) | instid1(VALU_DEP_2)
	v_or_b32_e32 v43, v37, v41
	s_wait_alu 0xf1ff
	v_cndmask_b32_e64 v38, 0, v38, s0
	v_cmp_gt_i32_e64 s0, s27, v20
	s_wait_alu 0xf1ff
	s_delay_alu instid0(VALU_DEP_1) | instskip(NEXT) | instid1(VALU_DEP_1)
	v_cndmask_b32_e64 v9, 0, v9, s0
	v_or_b32_e32 v42, v9, v38
.LBB259_615:                            ;   in Loop: Header=BB259_417 Depth=1
	s_wait_alu 0xfffe
	s_or_b32 exec_lo, exec_lo, s6
	;;#ASMSTART
	v_pk_mul_f16 v1, v34, v44;

	;;#ASMEND
	;;#ASMSTART
	v_pk_mul_f16 v9, v32, v40;

	;;#ASMEND
	;; [unrolled: 4-line block ×4, first 2 shown]
	;;#ASMSTART
	v_pk_add_f16 v1, v1, v9;

	;;#ASMEND
	;;#ASMSTART
	v_pk_add_f16 v1, v1, v10;

	;;#ASMEND
	;; [unrolled: 4-line block ×3, first 2 shown]
	v_dual_mov_b32 v40, 0 :: v_dual_and_b32 v9, 0xffff, v1
	v_lshrrev_b32_e32 v1, 16, v1
	;;#ASMSTART
	v_cvt_f32_f16 v37, v9;
	;;#ASMEND
	;;#ASMSTART
	v_cvt_f32_f16 v38, v1;
	;;#ASMEND
	global_load_b64 v[9:10], v[7:8], off offset:768
	global_load_b32 v39, v40, s[10:11]
	v_mov_b32_e32 v41, 0
	s_mov_b32 s6, exec_lo
	s_wait_loadcnt 0x1
	v_and_b32_e32 v1, 0xff, v9
	s_delay_alu instid0(VALU_DEP_1)
	v_cmpx_ne_u16_e32 0, v1
	s_cbranch_execz .LBB259_623
; %bb.616:                              ;   in Loop: Header=BB259_417 Depth=1
	v_mov_b32_e32 v41, 0x8000
	s_mov_b32 s7, exec_lo
	v_cmpx_ne_u16_e32 0x80, v1
	s_cbranch_execz .LBB259_622
; %bb.617:                              ;   in Loop: Header=BB259_417 Depth=1
	v_and_b32_e32 v42, 0x7f, v9
	v_mov_b32_e32 v41, 0x7c01
	s_mov_b32 s13, exec_lo
	s_delay_alu instid0(VALU_DEP_2)
	v_cmpx_ne_u32_e32 0x7f, v42
	s_cbranch_execz .LBB259_621
; %bb.618:                              ;   in Loop: Header=BB259_417 Depth=1
	v_and_b32_e32 v1, 7, v9
	v_lshrrev_b32_e32 v41, 3, v42
	s_mov_b32 s14, exec_lo
	v_cmpx_gt_u32_e32 8, v42
; %bb.619:                              ;   in Loop: Header=BB259_417 Depth=1
	s_delay_alu instid0(VALU_DEP_3) | instskip(NEXT) | instid1(VALU_DEP_1)
	v_clz_i32_u32_e32 v1, v1
	v_min_u32_e32 v1, 32, v1
	s_delay_alu instid0(VALU_DEP_1) | instskip(NEXT) | instid1(VALU_DEP_1)
	v_subrev_nc_u32_e32 v41, 28, v1
	v_lshlrev_b64_e32 v[42:43], v41, v[9:10]
	v_sub_nc_u32_e32 v41, 29, v1
	s_delay_alu instid0(VALU_DEP_2)
	v_and_b32_e32 v1, 7, v42
; %bb.620:                              ;   in Loop: Header=BB259_417 Depth=1
	s_wait_alu 0xfffe
	s_or_b32 exec_lo, exec_lo, s14
	v_lshlrev_b32_e32 v42, 8, v9
	v_lshl_add_u32 v41, v41, 10, 0x2000
	v_lshlrev_b32_e32 v1, 7, v1
	s_delay_alu instid0(VALU_DEP_3) | instskip(NEXT) | instid1(VALU_DEP_3)
	v_and_b32_e32 v42, 0x8000, v42
	v_and_b32_e32 v41, 0xfc00, v41
	s_delay_alu instid0(VALU_DEP_1)
	v_or3_b32 v41, v42, v41, v1
.LBB259_621:                            ;   in Loop: Header=BB259_417 Depth=1
	s_or_b32 exec_lo, exec_lo, s13
.LBB259_622:                            ;   in Loop: Header=BB259_417 Depth=1
	s_wait_alu 0xfffe
	s_or_b32 exec_lo, exec_lo, s7
.LBB259_623:                            ;   in Loop: Header=BB259_417 Depth=1
	s_wait_alu 0xfffe
	s_or_b32 exec_lo, exec_lo, s6
	v_lshrrev_b16 v1, 8, v9
	s_mov_b32 s6, exec_lo
	s_delay_alu instid0(VALU_DEP_1)
	v_cmpx_ne_u16_e32 0, v1
	s_cbranch_execz .LBB259_631
; %bb.624:                              ;   in Loop: Header=BB259_417 Depth=1
	v_bfrev_b32_e32 v40, 1
	s_mov_b32 s7, exec_lo
	v_cmpx_ne_u16_e32 0x80, v1
	s_cbranch_execz .LBB259_630
; %bb.625:                              ;   in Loop: Header=BB259_417 Depth=1
	v_and_b32_e32 v42, 0xffff, v1
	v_mov_b32_e32 v40, 0x7c010000
	s_mov_b32 s13, exec_lo
	s_delay_alu instid0(VALU_DEP_2) | instskip(NEXT) | instid1(VALU_DEP_1)
	v_and_b32_e32 v44, 0x7f, v42
	v_cmpx_ne_u32_e32 0x7f, v44
	s_cbranch_execz .LBB259_629
; %bb.626:                              ;   in Loop: Header=BB259_417 Depth=1
	v_and_b32_e32 v40, 7, v42
	v_lshrrev_b32_e32 v43, 3, v44
	s_mov_b32 s14, exec_lo
	v_cmpx_gt_u32_e32 8, v44
; %bb.627:                              ;   in Loop: Header=BB259_417 Depth=1
	s_delay_alu instid0(VALU_DEP_3) | instskip(NEXT) | instid1(VALU_DEP_1)
	v_clz_i32_u32_e32 v40, v40
	v_min_u32_e32 v40, 32, v40
	s_delay_alu instid0(VALU_DEP_1) | instskip(NEXT) | instid1(VALU_DEP_1)
	v_subrev_nc_u32_e32 v43, 28, v40
	v_lshlrev_b64_e32 v[44:45], v43, v[1:2]
	v_sub_nc_u32_e32 v43, 29, v40
	s_delay_alu instid0(VALU_DEP_2)
	v_and_b32_e32 v40, 7, v44
; %bb.628:                              ;   in Loop: Header=BB259_417 Depth=1
	s_wait_alu 0xfffe
	s_or_b32 exec_lo, exec_lo, s14
	v_lshlrev_b32_e32 v1, 8, v42
	v_lshl_add_u32 v42, v43, 10, 0x2000
	v_lshlrev_b32_e32 v40, 23, v40
	s_delay_alu instid0(VALU_DEP_2) | instskip(NEXT) | instid1(VALU_DEP_1)
	v_and_or_b32 v1, 0x8000, v1, v42
	v_lshl_or_b32 v40, v1, 16, v40
.LBB259_629:                            ;   in Loop: Header=BB259_417 Depth=1
	s_or_b32 exec_lo, exec_lo, s13
.LBB259_630:                            ;   in Loop: Header=BB259_417 Depth=1
	s_wait_alu 0xfffe
	s_or_b32 exec_lo, exec_lo, s7
.LBB259_631:                            ;   in Loop: Header=BB259_417 Depth=1
	s_wait_alu 0xfffe
	s_or_b32 exec_lo, exec_lo, s6
	v_lshrrev_b32_e32 v1, 16, v9
	v_mov_b32_e32 v42, 0
	s_mov_b32 s6, exec_lo
	s_delay_alu instid0(VALU_DEP_2) | instskip(NEXT) | instid1(VALU_DEP_1)
	v_dual_mov_b32 v43, 0 :: v_dual_and_b32 v44, 0xff, v1
	v_cmpx_ne_u16_e32 0, v44
	s_cbranch_execz .LBB259_639
; %bb.632:                              ;   in Loop: Header=BB259_417 Depth=1
	v_mov_b32_e32 v43, 0x8000
	s_mov_b32 s7, exec_lo
	v_cmpx_ne_u16_e32 0x80, v44
	s_cbranch_execz .LBB259_638
; %bb.633:                              ;   in Loop: Header=BB259_417 Depth=1
	v_bfe_u32 v45, v9, 16, 7
	v_mov_b32_e32 v43, 0x7c01
	s_mov_b32 s13, exec_lo
	s_delay_alu instid0(VALU_DEP_2)
	v_cmpx_ne_u32_e32 0x7f, v45
	s_cbranch_execz .LBB259_637
; %bb.634:                              ;   in Loop: Header=BB259_417 Depth=1
	v_and_b32_e32 v43, 7, v1
	v_lshrrev_b32_e32 v44, 3, v45
	s_mov_b32 s14, exec_lo
	v_cmpx_gt_u32_e32 8, v45
; %bb.635:                              ;   in Loop: Header=BB259_417 Depth=1
	s_delay_alu instid0(VALU_DEP_3) | instskip(NEXT) | instid1(VALU_DEP_1)
	v_clz_i32_u32_e32 v43, v43
	v_min_u32_e32 v45, 32, v43
	s_delay_alu instid0(VALU_DEP_1) | instskip(NEXT) | instid1(VALU_DEP_1)
	v_subrev_nc_u32_e32 v43, 28, v45
	v_lshlrev_b64_e32 v[43:44], v43, v[1:2]
	v_sub_nc_u32_e32 v44, 29, v45
	s_delay_alu instid0(VALU_DEP_2)
	v_and_b32_e32 v43, 7, v43
; %bb.636:                              ;   in Loop: Header=BB259_417 Depth=1
	s_wait_alu 0xfffe
	s_or_b32 exec_lo, exec_lo, s14
	v_lshlrev_b32_e32 v1, 8, v1
	v_lshl_add_u32 v44, v44, 10, 0x2000
	v_lshlrev_b32_e32 v43, 7, v43
	s_delay_alu instid0(VALU_DEP_3) | instskip(NEXT) | instid1(VALU_DEP_3)
	v_and_b32_e32 v1, 0x8000, v1
	v_and_b32_e32 v44, 0xfc00, v44
	s_delay_alu instid0(VALU_DEP_1)
	v_or3_b32 v43, v1, v44, v43
.LBB259_637:                            ;   in Loop: Header=BB259_417 Depth=1
	s_or_b32 exec_lo, exec_lo, s13
.LBB259_638:                            ;   in Loop: Header=BB259_417 Depth=1
	s_wait_alu 0xfffe
	s_or_b32 exec_lo, exec_lo, s7
.LBB259_639:                            ;   in Loop: Header=BB259_417 Depth=1
	s_wait_alu 0xfffe
	s_or_b32 exec_lo, exec_lo, s6
	s_delay_alu instid0(SALU_CYCLE_1)
	s_mov_b32 s6, exec_lo
	v_cmpx_lt_u32_e32 0xffffff, v9
	s_cbranch_execz .LBB259_647
; %bb.640:                              ;   in Loop: Header=BB259_417 Depth=1
	v_lshrrev_b32_e32 v1, 24, v9
	v_bfrev_b32_e32 v42, 1
	s_mov_b32 s7, exec_lo
	s_delay_alu instid0(VALU_DEP_2)
	v_cmpx_ne_u32_e32 0x80, v1
	s_cbranch_execz .LBB259_646
; %bb.641:                              ;   in Loop: Header=BB259_417 Depth=1
	v_and_b32_e32 v45, 0x7f, v1
	v_mov_b32_e32 v42, 0x7c010000
	s_mov_b32 s13, exec_lo
	s_delay_alu instid0(VALU_DEP_2)
	v_cmpx_ne_u32_e32 0x7f, v45
	s_cbranch_execz .LBB259_645
; %bb.642:                              ;   in Loop: Header=BB259_417 Depth=1
	v_and_b32_e32 v42, 7, v1
	v_lshrrev_b32_e32 v44, 3, v45
	s_mov_b32 s14, exec_lo
	v_cmpx_gt_u32_e32 8, v45
; %bb.643:                              ;   in Loop: Header=BB259_417 Depth=1
	s_delay_alu instid0(VALU_DEP_3) | instskip(NEXT) | instid1(VALU_DEP_1)
	v_clz_i32_u32_e32 v42, v42
	v_min_u32_e32 v42, 32, v42
	s_delay_alu instid0(VALU_DEP_1) | instskip(NEXT) | instid1(VALU_DEP_1)
	v_subrev_nc_u32_e32 v44, 28, v42
	v_lshlrev_b64_e32 v[45:46], v44, v[1:2]
	v_sub_nc_u32_e32 v44, 29, v42
	s_delay_alu instid0(VALU_DEP_2)
	v_and_b32_e32 v42, 7, v45
; %bb.644:                              ;   in Loop: Header=BB259_417 Depth=1
	s_wait_alu 0xfffe
	s_or_b32 exec_lo, exec_lo, s14
	v_lshlrev_b32_e32 v1, 8, v1
	v_lshl_add_u32 v44, v44, 10, 0x2000
	v_lshlrev_b32_e32 v42, 23, v42
	s_delay_alu instid0(VALU_DEP_2) | instskip(NEXT) | instid1(VALU_DEP_1)
	v_and_or_b32 v1, 0x8000, v1, v44
	v_lshl_or_b32 v42, v1, 16, v42
.LBB259_645:                            ;   in Loop: Header=BB259_417 Depth=1
	s_or_b32 exec_lo, exec_lo, s13
.LBB259_646:                            ;   in Loop: Header=BB259_417 Depth=1
	s_wait_alu 0xfffe
	s_or_b32 exec_lo, exec_lo, s7
.LBB259_647:                            ;   in Loop: Header=BB259_417 Depth=1
	s_wait_alu 0xfffe
	s_or_b32 exec_lo, exec_lo, s6
	v_dual_mov_b32 v1, v10 :: v_dual_and_b32 v46, 0xff, v10
	v_dual_mov_b32 v44, 0 :: v_dual_mov_b32 v45, 0
	s_mov_b32 s6, exec_lo
	s_delay_alu instid0(VALU_DEP_2)
	v_cmpx_ne_u16_e32 0, v46
	s_cbranch_execz .LBB259_655
; %bb.648:                              ;   in Loop: Header=BB259_417 Depth=1
	v_mov_b32_e32 v45, 0x8000
	s_mov_b32 s7, exec_lo
	v_cmpx_ne_u16_e32 0x80, v46
	s_cbranch_execz .LBB259_654
; %bb.649:                              ;   in Loop: Header=BB259_417 Depth=1
	v_and_b32_e32 v47, 0x7f, v10
	v_mov_b32_e32 v45, 0x7c01
	s_mov_b32 s13, exec_lo
	s_delay_alu instid0(VALU_DEP_2)
	v_cmpx_ne_u32_e32 0x7f, v47
	s_cbranch_execz .LBB259_653
; %bb.650:                              ;   in Loop: Header=BB259_417 Depth=1
	v_and_b32_e32 v45, 7, v10
	v_lshrrev_b32_e32 v46, 3, v47
	s_mov_b32 s14, exec_lo
	v_cmpx_gt_u32_e32 8, v47
; %bb.651:                              ;   in Loop: Header=BB259_417 Depth=1
	s_delay_alu instid0(VALU_DEP_3) | instskip(NEXT) | instid1(VALU_DEP_1)
	v_clz_i32_u32_e32 v45, v45
	v_min_u32_e32 v47, 32, v45
	s_delay_alu instid0(VALU_DEP_1) | instskip(NEXT) | instid1(VALU_DEP_1)
	v_subrev_nc_u32_e32 v45, 28, v47
	v_lshlrev_b64_e32 v[45:46], v45, v[1:2]
	v_sub_nc_u32_e32 v46, 29, v47
	s_delay_alu instid0(VALU_DEP_2)
	v_and_b32_e32 v45, 7, v45
; %bb.652:                              ;   in Loop: Header=BB259_417 Depth=1
	s_wait_alu 0xfffe
	s_or_b32 exec_lo, exec_lo, s14
	v_lshlrev_b32_e32 v47, 8, v10
	v_lshl_add_u32 v46, v46, 10, 0x2000
	v_lshlrev_b32_e32 v45, 7, v45
	s_delay_alu instid0(VALU_DEP_3) | instskip(NEXT) | instid1(VALU_DEP_3)
	v_and_b32_e32 v47, 0x8000, v47
	v_and_b32_e32 v46, 0xfc00, v46
	s_delay_alu instid0(VALU_DEP_1)
	v_or3_b32 v45, v47, v46, v45
.LBB259_653:                            ;   in Loop: Header=BB259_417 Depth=1
	s_or_b32 exec_lo, exec_lo, s13
.LBB259_654:                            ;   in Loop: Header=BB259_417 Depth=1
	s_wait_alu 0xfffe
	s_or_b32 exec_lo, exec_lo, s7
.LBB259_655:                            ;   in Loop: Header=BB259_417 Depth=1
	s_wait_alu 0xfffe
	s_or_b32 exec_lo, exec_lo, s6
	v_lshrrev_b16 v1, 8, v1
	v_mov_b32_e32 v46, 0
	s_mov_b32 s6, exec_lo
	s_delay_alu instid0(VALU_DEP_2)
	v_cmpx_ne_u16_e32 0, v1
	s_cbranch_execz .LBB259_663
; %bb.656:                              ;   in Loop: Header=BB259_417 Depth=1
	v_bfrev_b32_e32 v46, 1
	s_mov_b32 s7, exec_lo
	v_cmpx_ne_u16_e32 0x80, v1
	s_cbranch_execz .LBB259_662
; %bb.657:                              ;   in Loop: Header=BB259_417 Depth=1
	v_and_b32_e32 v47, 0xffff, v1
	v_mov_b32_e32 v46, 0x7c010000
	s_mov_b32 s13, exec_lo
	s_delay_alu instid0(VALU_DEP_2) | instskip(NEXT) | instid1(VALU_DEP_1)
	v_and_b32_e32 v49, 0x7f, v47
	v_cmpx_ne_u32_e32 0x7f, v49
	s_cbranch_execz .LBB259_661
; %bb.658:                              ;   in Loop: Header=BB259_417 Depth=1
	v_and_b32_e32 v46, 7, v47
	v_lshrrev_b32_e32 v48, 3, v49
	s_mov_b32 s14, exec_lo
	v_cmpx_gt_u32_e32 8, v49
; %bb.659:                              ;   in Loop: Header=BB259_417 Depth=1
	s_delay_alu instid0(VALU_DEP_3) | instskip(NEXT) | instid1(VALU_DEP_1)
	v_clz_i32_u32_e32 v46, v46
	v_min_u32_e32 v46, 32, v46
	s_delay_alu instid0(VALU_DEP_1) | instskip(NEXT) | instid1(VALU_DEP_1)
	v_subrev_nc_u32_e32 v48, 28, v46
	v_lshlrev_b64_e32 v[49:50], v48, v[1:2]
	v_sub_nc_u32_e32 v48, 29, v46
	s_delay_alu instid0(VALU_DEP_2)
	v_and_b32_e32 v46, 7, v49
; %bb.660:                              ;   in Loop: Header=BB259_417 Depth=1
	s_wait_alu 0xfffe
	s_or_b32 exec_lo, exec_lo, s14
	v_lshlrev_b32_e32 v1, 8, v47
	v_lshl_add_u32 v47, v48, 10, 0x2000
	v_lshlrev_b32_e32 v46, 23, v46
	s_delay_alu instid0(VALU_DEP_2) | instskip(NEXT) | instid1(VALU_DEP_1)
	v_and_or_b32 v1, 0x8000, v1, v47
	v_lshl_or_b32 v46, v1, 16, v46
.LBB259_661:                            ;   in Loop: Header=BB259_417 Depth=1
	s_or_b32 exec_lo, exec_lo, s13
.LBB259_662:                            ;   in Loop: Header=BB259_417 Depth=1
	s_wait_alu 0xfffe
	s_or_b32 exec_lo, exec_lo, s7
.LBB259_663:                            ;   in Loop: Header=BB259_417 Depth=1
	s_wait_alu 0xfffe
	s_or_b32 exec_lo, exec_lo, s6
	v_lshrrev_b32_e32 v1, 16, v10
	s_mov_b32 s6, exec_lo
	s_delay_alu instid0(VALU_DEP_1) | instskip(NEXT) | instid1(VALU_DEP_1)
	v_and_b32_e32 v47, 0xff, v1
	v_cmpx_ne_u16_e32 0, v47
	s_cbranch_execz .LBB259_671
; %bb.664:                              ;   in Loop: Header=BB259_417 Depth=1
	v_mov_b32_e32 v44, 0x8000
	s_mov_b32 s7, exec_lo
	v_cmpx_ne_u16_e32 0x80, v47
	s_cbranch_execz .LBB259_670
; %bb.665:                              ;   in Loop: Header=BB259_417 Depth=1
	v_bfe_u32 v48, v10, 16, 7
	v_mov_b32_e32 v44, 0x7c01
	s_mov_b32 s13, exec_lo
	s_delay_alu instid0(VALU_DEP_2)
	v_cmpx_ne_u32_e32 0x7f, v48
	s_cbranch_execz .LBB259_669
; %bb.666:                              ;   in Loop: Header=BB259_417 Depth=1
	v_and_b32_e32 v44, 7, v1
	v_lshrrev_b32_e32 v47, 3, v48
	s_mov_b32 s14, exec_lo
	v_cmpx_gt_u32_e32 8, v48
; %bb.667:                              ;   in Loop: Header=BB259_417 Depth=1
	s_delay_alu instid0(VALU_DEP_3) | instskip(NEXT) | instid1(VALU_DEP_1)
	v_clz_i32_u32_e32 v44, v44
	v_min_u32_e32 v44, 32, v44
	s_delay_alu instid0(VALU_DEP_1) | instskip(NEXT) | instid1(VALU_DEP_1)
	v_subrev_nc_u32_e32 v47, 28, v44
	v_lshlrev_b64_e32 v[48:49], v47, v[1:2]
	v_sub_nc_u32_e32 v47, 29, v44
	s_delay_alu instid0(VALU_DEP_2)
	v_and_b32_e32 v44, 7, v48
; %bb.668:                              ;   in Loop: Header=BB259_417 Depth=1
	s_wait_alu 0xfffe
	s_or_b32 exec_lo, exec_lo, s14
	v_lshlrev_b32_e32 v1, 8, v1
	v_lshl_add_u32 v47, v47, 10, 0x2000
	v_lshlrev_b32_e32 v44, 7, v44
	s_delay_alu instid0(VALU_DEP_3) | instskip(NEXT) | instid1(VALU_DEP_3)
	v_and_b32_e32 v1, 0x8000, v1
	v_and_b32_e32 v47, 0xfc00, v47
	s_delay_alu instid0(VALU_DEP_1)
	v_or3_b32 v44, v1, v47, v44
.LBB259_669:                            ;   in Loop: Header=BB259_417 Depth=1
	s_or_b32 exec_lo, exec_lo, s13
.LBB259_670:                            ;   in Loop: Header=BB259_417 Depth=1
	s_wait_alu 0xfffe
	s_or_b32 exec_lo, exec_lo, s7
.LBB259_671:                            ;   in Loop: Header=BB259_417 Depth=1
	s_wait_alu 0xfffe
	s_or_b32 exec_lo, exec_lo, s6
	v_cmp_lt_u64_e64 s0, s[2:3], v[9:10]
	v_mov_b32_e32 v9, 0
	s_and_saveexec_b32 s6, s0
	s_cbranch_execz .LBB259_679
; %bb.672:                              ;   in Loop: Header=BB259_417 Depth=1
	v_lshrrev_b32_e32 v1, 24, v10
	v_bfrev_b32_e32 v9, 1
	s_mov_b32 s7, exec_lo
	s_delay_alu instid0(VALU_DEP_2)
	v_cmpx_ne_u32_e32 0x80, v1
	s_cbranch_execz .LBB259_678
; %bb.673:                              ;   in Loop: Header=BB259_417 Depth=1
	v_and_b32_e32 v47, 0x7f, v1
	v_mov_b32_e32 v9, 0x7c010000
	s_mov_b32 s13, exec_lo
	s_delay_alu instid0(VALU_DEP_2)
	v_cmpx_ne_u32_e32 0x7f, v47
	s_cbranch_execz .LBB259_677
; %bb.674:                              ;   in Loop: Header=BB259_417 Depth=1
	v_and_b32_e32 v9, 7, v1
	v_lshrrev_b32_e32 v10, 3, v47
	s_mov_b32 s14, exec_lo
	v_cmpx_gt_u32_e32 8, v47
; %bb.675:                              ;   in Loop: Header=BB259_417 Depth=1
	s_delay_alu instid0(VALU_DEP_3) | instskip(NEXT) | instid1(VALU_DEP_1)
	v_clz_i32_u32_e32 v9, v9
	v_min_u32_e32 v47, 32, v9
	s_delay_alu instid0(VALU_DEP_1) | instskip(NEXT) | instid1(VALU_DEP_1)
	v_subrev_nc_u32_e32 v9, 28, v47
	v_lshlrev_b64_e32 v[9:10], v9, v[1:2]
	v_sub_nc_u32_e32 v10, 29, v47
	s_delay_alu instid0(VALU_DEP_2)
	v_and_b32_e32 v9, 7, v9
; %bb.676:                              ;   in Loop: Header=BB259_417 Depth=1
	s_wait_alu 0xfffe
	s_or_b32 exec_lo, exec_lo, s14
	v_lshlrev_b32_e32 v1, 8, v1
	v_lshl_add_u32 v10, v10, 10, 0x2000
	v_lshlrev_b32_e32 v9, 23, v9
	s_delay_alu instid0(VALU_DEP_2) | instskip(NEXT) | instid1(VALU_DEP_1)
	v_and_or_b32 v1, 0x8000, v1, v10
	v_lshl_or_b32 v9, v1, 16, v9
.LBB259_677:                            ;   in Loop: Header=BB259_417 Depth=1
	s_or_b32 exec_lo, exec_lo, s13
.LBB259_678:                            ;   in Loop: Header=BB259_417 Depth=1
	s_wait_alu 0xfffe
	s_or_b32 exec_lo, exec_lo, s7
.LBB259_679:                            ;   in Loop: Header=BB259_417 Depth=1
	s_wait_alu 0xfffe
	s_or_b32 exec_lo, exec_lo, s6
	v_or_b32_e32 v1, v42, v43
	s_wait_loadcnt 0x0
	v_fma_mixlo_f16 v10, v39, v42, 0 op_sel:[0,1,0] op_sel_hi:[0,1,0]
	v_or_b32_e32 v42, v40, v41
	v_fma_mixlo_f16 v40, v39, v40, 0 op_sel:[0,1,0] op_sel_hi:[0,1,0]
	v_or_b32_e32 v43, v46, v45
	v_or_b32_e32 v44, v9, v44
	v_fma_mixlo_f16 v45, v39, v1, 0 op_sel_hi:[0,1,0]
	v_fma_mixlo_f16 v9, v39, v9, 0 op_sel:[0,1,0] op_sel_hi:[0,1,0]
	v_lshlrev_b32_e32 v41, 16, v40
	v_fma_mixlo_f16 v40, v39, v42, 0 op_sel_hi:[0,1,0]
	v_fma_mixlo_f16 v42, v39, v46, 0 op_sel:[0,1,0] op_sel_hi:[0,1,0]
	v_fma_mixlo_f16 v43, v39, v43, 0 op_sel_hi:[0,1,0]
	v_fma_mixlo_f16 v44, v39, v44, 0 op_sel_hi:[0,1,0]
	v_lshlrev_b32_e32 v1, 16, v10
	v_and_b32_e32 v10, 0xffff, v45
	v_and_b32_e32 v47, 0xffff, v40
	v_lshlrev_b32_e32 v39, 16, v42
	v_and_b32_e32 v43, 0xffff, v43
	v_lshlrev_b32_e32 v9, 16, v9
	v_and_b32_e32 v40, 0xffff, v44
	v_or_b32_e32 v42, v1, v10
	v_or_b32_e32 v46, v41, v47
	;; [unrolled: 1-line block ×3, first 2 shown]
	s_delay_alu instid0(VALU_DEP_4)
	v_or_b32_e32 v44, v9, v40
	s_and_saveexec_b32 s6, vcc_lo
	s_cbranch_execz .LBB259_681
; %bb.680:                              ;   in Loop: Header=BB259_417 Depth=1
	v_cmp_gt_i32_e64 s0, s27, v22
	s_wait_alu 0xf1ff
	s_delay_alu instid0(VALU_DEP_1) | instskip(SKIP_2) | instid1(VALU_DEP_1)
	v_cndmask_b32_e64 v42, 0, v47, s0
	v_cmp_gt_i32_e64 s0, s27, v28
	s_wait_alu 0xf1ff
	v_cndmask_b32_e64 v41, 0, v41, s0
	v_cmp_gt_i32_e64 s0, s27, v27
	s_delay_alu instid0(VALU_DEP_2) | instskip(SKIP_1) | instid1(VALU_DEP_2)
	v_or_b32_e32 v46, v41, v42
	s_wait_alu 0xf1ff
	v_cndmask_b32_e64 v10, 0, v10, s0
	v_cmp_gt_i32_e64 s0, s27, v26
	s_wait_alu 0xf1ff
	s_delay_alu instid0(VALU_DEP_1) | instskip(SKIP_1) | instid1(VALU_DEP_2)
	v_cndmask_b32_e64 v1, 0, v1, s0
	v_cmp_gt_i32_e64 s0, s27, v25
	v_or_b32_e32 v42, v1, v10
	s_wait_alu 0xf1ff
	s_delay_alu instid0(VALU_DEP_2) | instskip(SKIP_2) | instid1(VALU_DEP_1)
	v_cndmask_b32_e64 v43, 0, v43, s0
	v_cmp_gt_i32_e64 s0, s27, v24
	s_wait_alu 0xf1ff
	v_cndmask_b32_e64 v39, 0, v39, s0
	v_cmp_gt_i32_e64 s0, s27, v23
	s_delay_alu instid0(VALU_DEP_2) | instskip(SKIP_1) | instid1(VALU_DEP_2)
	v_or_b32_e32 v45, v39, v43
	s_wait_alu 0xf1ff
	v_cndmask_b32_e64 v40, 0, v40, s0
	v_cmp_gt_i32_e64 s0, s27, v20
	s_wait_alu 0xf1ff
	s_delay_alu instid0(VALU_DEP_1) | instskip(NEXT) | instid1(VALU_DEP_1)
	v_cndmask_b32_e64 v9, 0, v9, s0
	v_or_b32_e32 v44, v9, v40
.LBB259_681:                            ;   in Loop: Header=BB259_417 Depth=1
	s_wait_alu 0xfffe
	s_or_b32 exec_lo, exec_lo, s6
	;;#ASMSTART
	v_pk_mul_f16 v1, v34, v46;

	;;#ASMEND
	;;#ASMSTART
	v_pk_mul_f16 v9, v32, v42;

	;;#ASMEND
	;;#ASMSTART
	v_pk_mul_f16 v10, v30, v45;

	;;#ASMEND
	;;#ASMSTART
	v_pk_mul_f16 v39, v29, v44;

	;;#ASMEND
	;;#ASMSTART
	v_pk_add_f16 v1, v1, v9;

	;;#ASMEND
	;;#ASMSTART
	v_pk_add_f16 v1, v1, v10;

	;;#ASMEND
	;; [unrolled: 4-line block ×3, first 2 shown]
	v_dual_mov_b32 v42, 0 :: v_dual_and_b32 v9, 0xffff, v1
	v_lshrrev_b32_e32 v1, 16, v1
	;;#ASMSTART
	v_cvt_f32_f16 v39, v9;
	;;#ASMEND
	;;#ASMSTART
	v_cvt_f32_f16 v40, v1;
	;;#ASMEND
	global_load_b64 v[9:10], v[7:8], off offset:1024
	global_load_b32 v41, v42, s[10:11]
	v_mov_b32_e32 v43, 0
	s_mov_b32 s6, exec_lo
	s_wait_loadcnt 0x1
	v_and_b32_e32 v1, 0xff, v9
	s_delay_alu instid0(VALU_DEP_1)
	v_cmpx_ne_u16_e32 0, v1
	s_cbranch_execz .LBB259_689
; %bb.682:                              ;   in Loop: Header=BB259_417 Depth=1
	v_mov_b32_e32 v43, 0x8000
	s_mov_b32 s7, exec_lo
	v_cmpx_ne_u16_e32 0x80, v1
	s_cbranch_execz .LBB259_688
; %bb.683:                              ;   in Loop: Header=BB259_417 Depth=1
	v_and_b32_e32 v44, 0x7f, v9
	v_mov_b32_e32 v43, 0x7c01
	s_mov_b32 s13, exec_lo
	s_delay_alu instid0(VALU_DEP_2)
	v_cmpx_ne_u32_e32 0x7f, v44
	s_cbranch_execz .LBB259_687
; %bb.684:                              ;   in Loop: Header=BB259_417 Depth=1
	v_and_b32_e32 v1, 7, v9
	v_lshrrev_b32_e32 v43, 3, v44
	s_mov_b32 s14, exec_lo
	v_cmpx_gt_u32_e32 8, v44
; %bb.685:                              ;   in Loop: Header=BB259_417 Depth=1
	s_delay_alu instid0(VALU_DEP_3) | instskip(NEXT) | instid1(VALU_DEP_1)
	v_clz_i32_u32_e32 v1, v1
	v_min_u32_e32 v1, 32, v1
	s_delay_alu instid0(VALU_DEP_1) | instskip(NEXT) | instid1(VALU_DEP_1)
	v_subrev_nc_u32_e32 v43, 28, v1
	v_lshlrev_b64_e32 v[44:45], v43, v[9:10]
	v_sub_nc_u32_e32 v43, 29, v1
	s_delay_alu instid0(VALU_DEP_2)
	v_and_b32_e32 v1, 7, v44
; %bb.686:                              ;   in Loop: Header=BB259_417 Depth=1
	s_wait_alu 0xfffe
	s_or_b32 exec_lo, exec_lo, s14
	v_lshlrev_b32_e32 v44, 8, v9
	v_lshl_add_u32 v43, v43, 10, 0x2000
	v_lshlrev_b32_e32 v1, 7, v1
	s_delay_alu instid0(VALU_DEP_3) | instskip(NEXT) | instid1(VALU_DEP_3)
	v_and_b32_e32 v44, 0x8000, v44
	v_and_b32_e32 v43, 0xfc00, v43
	s_delay_alu instid0(VALU_DEP_1)
	v_or3_b32 v43, v44, v43, v1
.LBB259_687:                            ;   in Loop: Header=BB259_417 Depth=1
	s_or_b32 exec_lo, exec_lo, s13
.LBB259_688:                            ;   in Loop: Header=BB259_417 Depth=1
	s_wait_alu 0xfffe
	s_or_b32 exec_lo, exec_lo, s7
.LBB259_689:                            ;   in Loop: Header=BB259_417 Depth=1
	s_wait_alu 0xfffe
	s_or_b32 exec_lo, exec_lo, s6
	v_lshrrev_b16 v1, 8, v9
	s_mov_b32 s6, exec_lo
	s_delay_alu instid0(VALU_DEP_1)
	v_cmpx_ne_u16_e32 0, v1
	s_cbranch_execz .LBB259_697
; %bb.690:                              ;   in Loop: Header=BB259_417 Depth=1
	v_bfrev_b32_e32 v42, 1
	s_mov_b32 s7, exec_lo
	v_cmpx_ne_u16_e32 0x80, v1
	s_cbranch_execz .LBB259_696
; %bb.691:                              ;   in Loop: Header=BB259_417 Depth=1
	v_and_b32_e32 v44, 0xffff, v1
	v_mov_b32_e32 v42, 0x7c010000
	s_mov_b32 s13, exec_lo
	s_delay_alu instid0(VALU_DEP_2) | instskip(NEXT) | instid1(VALU_DEP_1)
	v_and_b32_e32 v46, 0x7f, v44
	v_cmpx_ne_u32_e32 0x7f, v46
	s_cbranch_execz .LBB259_695
; %bb.692:                              ;   in Loop: Header=BB259_417 Depth=1
	v_and_b32_e32 v42, 7, v44
	v_lshrrev_b32_e32 v45, 3, v46
	s_mov_b32 s14, exec_lo
	v_cmpx_gt_u32_e32 8, v46
; %bb.693:                              ;   in Loop: Header=BB259_417 Depth=1
	s_delay_alu instid0(VALU_DEP_3) | instskip(NEXT) | instid1(VALU_DEP_1)
	v_clz_i32_u32_e32 v42, v42
	v_min_u32_e32 v42, 32, v42
	s_delay_alu instid0(VALU_DEP_1) | instskip(NEXT) | instid1(VALU_DEP_1)
	v_subrev_nc_u32_e32 v45, 28, v42
	v_lshlrev_b64_e32 v[46:47], v45, v[1:2]
	v_sub_nc_u32_e32 v45, 29, v42
	s_delay_alu instid0(VALU_DEP_2)
	v_and_b32_e32 v42, 7, v46
; %bb.694:                              ;   in Loop: Header=BB259_417 Depth=1
	s_wait_alu 0xfffe
	s_or_b32 exec_lo, exec_lo, s14
	v_lshlrev_b32_e32 v1, 8, v44
	v_lshl_add_u32 v44, v45, 10, 0x2000
	v_lshlrev_b32_e32 v42, 23, v42
	s_delay_alu instid0(VALU_DEP_2) | instskip(NEXT) | instid1(VALU_DEP_1)
	v_and_or_b32 v1, 0x8000, v1, v44
	v_lshl_or_b32 v42, v1, 16, v42
.LBB259_695:                            ;   in Loop: Header=BB259_417 Depth=1
	s_or_b32 exec_lo, exec_lo, s13
.LBB259_696:                            ;   in Loop: Header=BB259_417 Depth=1
	s_wait_alu 0xfffe
	s_or_b32 exec_lo, exec_lo, s7
.LBB259_697:                            ;   in Loop: Header=BB259_417 Depth=1
	s_wait_alu 0xfffe
	s_or_b32 exec_lo, exec_lo, s6
	v_lshrrev_b32_e32 v1, 16, v9
	v_mov_b32_e32 v44, 0
	s_mov_b32 s6, exec_lo
	s_delay_alu instid0(VALU_DEP_2) | instskip(NEXT) | instid1(VALU_DEP_1)
	v_dual_mov_b32 v45, 0 :: v_dual_and_b32 v46, 0xff, v1
	v_cmpx_ne_u16_e32 0, v46
	s_cbranch_execz .LBB259_705
; %bb.698:                              ;   in Loop: Header=BB259_417 Depth=1
	v_mov_b32_e32 v45, 0x8000
	s_mov_b32 s7, exec_lo
	v_cmpx_ne_u16_e32 0x80, v46
	s_cbranch_execz .LBB259_704
; %bb.699:                              ;   in Loop: Header=BB259_417 Depth=1
	v_bfe_u32 v47, v9, 16, 7
	v_mov_b32_e32 v45, 0x7c01
	s_mov_b32 s13, exec_lo
	s_delay_alu instid0(VALU_DEP_2)
	v_cmpx_ne_u32_e32 0x7f, v47
	s_cbranch_execz .LBB259_703
; %bb.700:                              ;   in Loop: Header=BB259_417 Depth=1
	v_and_b32_e32 v45, 7, v1
	v_lshrrev_b32_e32 v46, 3, v47
	s_mov_b32 s14, exec_lo
	v_cmpx_gt_u32_e32 8, v47
; %bb.701:                              ;   in Loop: Header=BB259_417 Depth=1
	s_delay_alu instid0(VALU_DEP_3) | instskip(NEXT) | instid1(VALU_DEP_1)
	v_clz_i32_u32_e32 v45, v45
	v_min_u32_e32 v47, 32, v45
	s_delay_alu instid0(VALU_DEP_1) | instskip(NEXT) | instid1(VALU_DEP_1)
	v_subrev_nc_u32_e32 v45, 28, v47
	v_lshlrev_b64_e32 v[45:46], v45, v[1:2]
	v_sub_nc_u32_e32 v46, 29, v47
	s_delay_alu instid0(VALU_DEP_2)
	v_and_b32_e32 v45, 7, v45
; %bb.702:                              ;   in Loop: Header=BB259_417 Depth=1
	s_wait_alu 0xfffe
	s_or_b32 exec_lo, exec_lo, s14
	v_lshlrev_b32_e32 v1, 8, v1
	v_lshl_add_u32 v46, v46, 10, 0x2000
	v_lshlrev_b32_e32 v45, 7, v45
	s_delay_alu instid0(VALU_DEP_3) | instskip(NEXT) | instid1(VALU_DEP_3)
	v_and_b32_e32 v1, 0x8000, v1
	v_and_b32_e32 v46, 0xfc00, v46
	s_delay_alu instid0(VALU_DEP_1)
	v_or3_b32 v45, v1, v46, v45
.LBB259_703:                            ;   in Loop: Header=BB259_417 Depth=1
	s_or_b32 exec_lo, exec_lo, s13
.LBB259_704:                            ;   in Loop: Header=BB259_417 Depth=1
	s_wait_alu 0xfffe
	s_or_b32 exec_lo, exec_lo, s7
.LBB259_705:                            ;   in Loop: Header=BB259_417 Depth=1
	s_wait_alu 0xfffe
	s_or_b32 exec_lo, exec_lo, s6
	s_delay_alu instid0(SALU_CYCLE_1)
	s_mov_b32 s6, exec_lo
	v_cmpx_lt_u32_e32 0xffffff, v9
	s_cbranch_execz .LBB259_713
; %bb.706:                              ;   in Loop: Header=BB259_417 Depth=1
	v_lshrrev_b32_e32 v1, 24, v9
	v_bfrev_b32_e32 v44, 1
	s_mov_b32 s7, exec_lo
	s_delay_alu instid0(VALU_DEP_2)
	v_cmpx_ne_u32_e32 0x80, v1
	s_cbranch_execz .LBB259_712
; %bb.707:                              ;   in Loop: Header=BB259_417 Depth=1
	v_and_b32_e32 v47, 0x7f, v1
	v_mov_b32_e32 v44, 0x7c010000
	s_mov_b32 s13, exec_lo
	s_delay_alu instid0(VALU_DEP_2)
	v_cmpx_ne_u32_e32 0x7f, v47
	s_cbranch_execz .LBB259_711
; %bb.708:                              ;   in Loop: Header=BB259_417 Depth=1
	v_and_b32_e32 v44, 7, v1
	v_lshrrev_b32_e32 v46, 3, v47
	s_mov_b32 s14, exec_lo
	v_cmpx_gt_u32_e32 8, v47
; %bb.709:                              ;   in Loop: Header=BB259_417 Depth=1
	s_delay_alu instid0(VALU_DEP_3) | instskip(NEXT) | instid1(VALU_DEP_1)
	v_clz_i32_u32_e32 v44, v44
	v_min_u32_e32 v44, 32, v44
	s_delay_alu instid0(VALU_DEP_1) | instskip(NEXT) | instid1(VALU_DEP_1)
	v_subrev_nc_u32_e32 v46, 28, v44
	v_lshlrev_b64_e32 v[47:48], v46, v[1:2]
	v_sub_nc_u32_e32 v46, 29, v44
	s_delay_alu instid0(VALU_DEP_2)
	v_and_b32_e32 v44, 7, v47
; %bb.710:                              ;   in Loop: Header=BB259_417 Depth=1
	s_wait_alu 0xfffe
	s_or_b32 exec_lo, exec_lo, s14
	v_lshlrev_b32_e32 v1, 8, v1
	v_lshl_add_u32 v46, v46, 10, 0x2000
	v_lshlrev_b32_e32 v44, 23, v44
	s_delay_alu instid0(VALU_DEP_2) | instskip(NEXT) | instid1(VALU_DEP_1)
	v_and_or_b32 v1, 0x8000, v1, v46
	v_lshl_or_b32 v44, v1, 16, v44
.LBB259_711:                            ;   in Loop: Header=BB259_417 Depth=1
	s_or_b32 exec_lo, exec_lo, s13
.LBB259_712:                            ;   in Loop: Header=BB259_417 Depth=1
	s_wait_alu 0xfffe
	s_or_b32 exec_lo, exec_lo, s7
.LBB259_713:                            ;   in Loop: Header=BB259_417 Depth=1
	s_wait_alu 0xfffe
	s_or_b32 exec_lo, exec_lo, s6
	v_dual_mov_b32 v1, v10 :: v_dual_and_b32 v48, 0xff, v10
	v_dual_mov_b32 v46, 0 :: v_dual_mov_b32 v47, 0
	s_mov_b32 s6, exec_lo
	s_delay_alu instid0(VALU_DEP_2)
	v_cmpx_ne_u16_e32 0, v48
	s_cbranch_execz .LBB259_721
; %bb.714:                              ;   in Loop: Header=BB259_417 Depth=1
	v_mov_b32_e32 v47, 0x8000
	s_mov_b32 s7, exec_lo
	v_cmpx_ne_u16_e32 0x80, v48
	s_cbranch_execz .LBB259_720
; %bb.715:                              ;   in Loop: Header=BB259_417 Depth=1
	v_and_b32_e32 v49, 0x7f, v10
	v_mov_b32_e32 v47, 0x7c01
	s_mov_b32 s13, exec_lo
	s_delay_alu instid0(VALU_DEP_2)
	v_cmpx_ne_u32_e32 0x7f, v49
	s_cbranch_execz .LBB259_719
; %bb.716:                              ;   in Loop: Header=BB259_417 Depth=1
	v_and_b32_e32 v47, 7, v10
	v_lshrrev_b32_e32 v48, 3, v49
	s_mov_b32 s14, exec_lo
	v_cmpx_gt_u32_e32 8, v49
; %bb.717:                              ;   in Loop: Header=BB259_417 Depth=1
	s_delay_alu instid0(VALU_DEP_3) | instskip(NEXT) | instid1(VALU_DEP_1)
	v_clz_i32_u32_e32 v47, v47
	v_min_u32_e32 v49, 32, v47
	s_delay_alu instid0(VALU_DEP_1) | instskip(NEXT) | instid1(VALU_DEP_1)
	v_subrev_nc_u32_e32 v47, 28, v49
	v_lshlrev_b64_e32 v[47:48], v47, v[1:2]
	v_sub_nc_u32_e32 v48, 29, v49
	s_delay_alu instid0(VALU_DEP_2)
	v_and_b32_e32 v47, 7, v47
; %bb.718:                              ;   in Loop: Header=BB259_417 Depth=1
	s_wait_alu 0xfffe
	s_or_b32 exec_lo, exec_lo, s14
	v_lshlrev_b32_e32 v49, 8, v10
	v_lshl_add_u32 v48, v48, 10, 0x2000
	v_lshlrev_b32_e32 v47, 7, v47
	s_delay_alu instid0(VALU_DEP_3) | instskip(NEXT) | instid1(VALU_DEP_3)
	v_and_b32_e32 v49, 0x8000, v49
	v_and_b32_e32 v48, 0xfc00, v48
	s_delay_alu instid0(VALU_DEP_1)
	v_or3_b32 v47, v49, v48, v47
.LBB259_719:                            ;   in Loop: Header=BB259_417 Depth=1
	s_or_b32 exec_lo, exec_lo, s13
.LBB259_720:                            ;   in Loop: Header=BB259_417 Depth=1
	s_wait_alu 0xfffe
	s_or_b32 exec_lo, exec_lo, s7
.LBB259_721:                            ;   in Loop: Header=BB259_417 Depth=1
	s_wait_alu 0xfffe
	s_or_b32 exec_lo, exec_lo, s6
	v_lshrrev_b16 v1, 8, v1
	v_mov_b32_e32 v48, 0
	s_mov_b32 s6, exec_lo
	s_delay_alu instid0(VALU_DEP_2)
	v_cmpx_ne_u16_e32 0, v1
	s_cbranch_execz .LBB259_729
; %bb.722:                              ;   in Loop: Header=BB259_417 Depth=1
	v_bfrev_b32_e32 v48, 1
	s_mov_b32 s7, exec_lo
	v_cmpx_ne_u16_e32 0x80, v1
	s_cbranch_execz .LBB259_728
; %bb.723:                              ;   in Loop: Header=BB259_417 Depth=1
	v_and_b32_e32 v49, 0xffff, v1
	v_mov_b32_e32 v48, 0x7c010000
	s_mov_b32 s13, exec_lo
	s_delay_alu instid0(VALU_DEP_2) | instskip(NEXT) | instid1(VALU_DEP_1)
	v_and_b32_e32 v51, 0x7f, v49
	v_cmpx_ne_u32_e32 0x7f, v51
	s_cbranch_execz .LBB259_727
; %bb.724:                              ;   in Loop: Header=BB259_417 Depth=1
	v_and_b32_e32 v48, 7, v49
	v_lshrrev_b32_e32 v50, 3, v51
	s_mov_b32 s14, exec_lo
	v_cmpx_gt_u32_e32 8, v51
; %bb.725:                              ;   in Loop: Header=BB259_417 Depth=1
	s_delay_alu instid0(VALU_DEP_3) | instskip(NEXT) | instid1(VALU_DEP_1)
	v_clz_i32_u32_e32 v48, v48
	v_min_u32_e32 v48, 32, v48
	s_delay_alu instid0(VALU_DEP_1) | instskip(NEXT) | instid1(VALU_DEP_1)
	v_subrev_nc_u32_e32 v50, 28, v48
	v_lshlrev_b64_e32 v[51:52], v50, v[1:2]
	v_sub_nc_u32_e32 v50, 29, v48
	s_delay_alu instid0(VALU_DEP_2)
	v_and_b32_e32 v48, 7, v51
; %bb.726:                              ;   in Loop: Header=BB259_417 Depth=1
	s_wait_alu 0xfffe
	s_or_b32 exec_lo, exec_lo, s14
	v_lshlrev_b32_e32 v1, 8, v49
	v_lshl_add_u32 v49, v50, 10, 0x2000
	v_lshlrev_b32_e32 v48, 23, v48
	s_delay_alu instid0(VALU_DEP_2) | instskip(NEXT) | instid1(VALU_DEP_1)
	v_and_or_b32 v1, 0x8000, v1, v49
	v_lshl_or_b32 v48, v1, 16, v48
.LBB259_727:                            ;   in Loop: Header=BB259_417 Depth=1
	s_or_b32 exec_lo, exec_lo, s13
.LBB259_728:                            ;   in Loop: Header=BB259_417 Depth=1
	s_wait_alu 0xfffe
	s_or_b32 exec_lo, exec_lo, s7
.LBB259_729:                            ;   in Loop: Header=BB259_417 Depth=1
	s_wait_alu 0xfffe
	s_or_b32 exec_lo, exec_lo, s6
	v_lshrrev_b32_e32 v1, 16, v10
	s_mov_b32 s6, exec_lo
	s_delay_alu instid0(VALU_DEP_1) | instskip(NEXT) | instid1(VALU_DEP_1)
	v_and_b32_e32 v49, 0xff, v1
	v_cmpx_ne_u16_e32 0, v49
	s_cbranch_execz .LBB259_737
; %bb.730:                              ;   in Loop: Header=BB259_417 Depth=1
	v_mov_b32_e32 v46, 0x8000
	s_mov_b32 s7, exec_lo
	v_cmpx_ne_u16_e32 0x80, v49
	s_cbranch_execz .LBB259_736
; %bb.731:                              ;   in Loop: Header=BB259_417 Depth=1
	v_bfe_u32 v50, v10, 16, 7
	v_mov_b32_e32 v46, 0x7c01
	s_mov_b32 s13, exec_lo
	s_delay_alu instid0(VALU_DEP_2)
	v_cmpx_ne_u32_e32 0x7f, v50
	s_cbranch_execz .LBB259_735
; %bb.732:                              ;   in Loop: Header=BB259_417 Depth=1
	v_and_b32_e32 v46, 7, v1
	v_lshrrev_b32_e32 v49, 3, v50
	s_mov_b32 s14, exec_lo
	v_cmpx_gt_u32_e32 8, v50
; %bb.733:                              ;   in Loop: Header=BB259_417 Depth=1
	s_delay_alu instid0(VALU_DEP_3) | instskip(NEXT) | instid1(VALU_DEP_1)
	v_clz_i32_u32_e32 v46, v46
	v_min_u32_e32 v46, 32, v46
	s_delay_alu instid0(VALU_DEP_1) | instskip(NEXT) | instid1(VALU_DEP_1)
	v_subrev_nc_u32_e32 v49, 28, v46
	v_lshlrev_b64_e32 v[50:51], v49, v[1:2]
	v_sub_nc_u32_e32 v49, 29, v46
	s_delay_alu instid0(VALU_DEP_2)
	v_and_b32_e32 v46, 7, v50
; %bb.734:                              ;   in Loop: Header=BB259_417 Depth=1
	s_wait_alu 0xfffe
	s_or_b32 exec_lo, exec_lo, s14
	v_lshlrev_b32_e32 v1, 8, v1
	v_lshl_add_u32 v49, v49, 10, 0x2000
	v_lshlrev_b32_e32 v46, 7, v46
	s_delay_alu instid0(VALU_DEP_3) | instskip(NEXT) | instid1(VALU_DEP_3)
	v_and_b32_e32 v1, 0x8000, v1
	v_and_b32_e32 v49, 0xfc00, v49
	s_delay_alu instid0(VALU_DEP_1)
	v_or3_b32 v46, v1, v49, v46
.LBB259_735:                            ;   in Loop: Header=BB259_417 Depth=1
	s_or_b32 exec_lo, exec_lo, s13
.LBB259_736:                            ;   in Loop: Header=BB259_417 Depth=1
	s_wait_alu 0xfffe
	s_or_b32 exec_lo, exec_lo, s7
.LBB259_737:                            ;   in Loop: Header=BB259_417 Depth=1
	s_wait_alu 0xfffe
	s_or_b32 exec_lo, exec_lo, s6
	v_cmp_lt_u64_e64 s0, s[2:3], v[9:10]
	v_mov_b32_e32 v9, 0
	s_and_saveexec_b32 s6, s0
	s_cbranch_execz .LBB259_745
; %bb.738:                              ;   in Loop: Header=BB259_417 Depth=1
	v_lshrrev_b32_e32 v1, 24, v10
	v_bfrev_b32_e32 v9, 1
	s_mov_b32 s7, exec_lo
	s_delay_alu instid0(VALU_DEP_2)
	v_cmpx_ne_u32_e32 0x80, v1
	s_cbranch_execz .LBB259_744
; %bb.739:                              ;   in Loop: Header=BB259_417 Depth=1
	v_and_b32_e32 v49, 0x7f, v1
	v_mov_b32_e32 v9, 0x7c010000
	s_mov_b32 s13, exec_lo
	s_delay_alu instid0(VALU_DEP_2)
	v_cmpx_ne_u32_e32 0x7f, v49
	s_cbranch_execz .LBB259_743
; %bb.740:                              ;   in Loop: Header=BB259_417 Depth=1
	v_and_b32_e32 v9, 7, v1
	v_lshrrev_b32_e32 v10, 3, v49
	s_mov_b32 s14, exec_lo
	v_cmpx_gt_u32_e32 8, v49
; %bb.741:                              ;   in Loop: Header=BB259_417 Depth=1
	s_delay_alu instid0(VALU_DEP_3) | instskip(NEXT) | instid1(VALU_DEP_1)
	v_clz_i32_u32_e32 v9, v9
	v_min_u32_e32 v49, 32, v9
	s_delay_alu instid0(VALU_DEP_1) | instskip(NEXT) | instid1(VALU_DEP_1)
	v_subrev_nc_u32_e32 v9, 28, v49
	v_lshlrev_b64_e32 v[9:10], v9, v[1:2]
	v_sub_nc_u32_e32 v10, 29, v49
	s_delay_alu instid0(VALU_DEP_2)
	v_and_b32_e32 v9, 7, v9
; %bb.742:                              ;   in Loop: Header=BB259_417 Depth=1
	s_wait_alu 0xfffe
	s_or_b32 exec_lo, exec_lo, s14
	v_lshlrev_b32_e32 v1, 8, v1
	v_lshl_add_u32 v10, v10, 10, 0x2000
	v_lshlrev_b32_e32 v9, 23, v9
	s_delay_alu instid0(VALU_DEP_2) | instskip(NEXT) | instid1(VALU_DEP_1)
	v_and_or_b32 v1, 0x8000, v1, v10
	v_lshl_or_b32 v9, v1, 16, v9
.LBB259_743:                            ;   in Loop: Header=BB259_417 Depth=1
	s_or_b32 exec_lo, exec_lo, s13
.LBB259_744:                            ;   in Loop: Header=BB259_417 Depth=1
	s_wait_alu 0xfffe
	s_or_b32 exec_lo, exec_lo, s7
.LBB259_745:                            ;   in Loop: Header=BB259_417 Depth=1
	s_wait_alu 0xfffe
	s_or_b32 exec_lo, exec_lo, s6
	v_or_b32_e32 v1, v44, v45
	s_wait_loadcnt 0x0
	v_fma_mixlo_f16 v10, v41, v44, 0 op_sel:[0,1,0] op_sel_hi:[0,1,0]
	v_or_b32_e32 v44, v42, v43
	v_fma_mixlo_f16 v42, v41, v42, 0 op_sel:[0,1,0] op_sel_hi:[0,1,0]
	v_or_b32_e32 v45, v48, v47
	v_or_b32_e32 v46, v9, v46
	v_fma_mixlo_f16 v47, v41, v1, 0 op_sel_hi:[0,1,0]
	v_fma_mixlo_f16 v9, v41, v9, 0 op_sel:[0,1,0] op_sel_hi:[0,1,0]
	v_lshlrev_b32_e32 v43, 16, v42
	v_fma_mixlo_f16 v42, v41, v44, 0 op_sel_hi:[0,1,0]
	v_fma_mixlo_f16 v44, v41, v48, 0 op_sel:[0,1,0] op_sel_hi:[0,1,0]
	v_fma_mixlo_f16 v45, v41, v45, 0 op_sel_hi:[0,1,0]
	v_fma_mixlo_f16 v46, v41, v46, 0 op_sel_hi:[0,1,0]
	v_lshlrev_b32_e32 v1, 16, v10
	v_and_b32_e32 v10, 0xffff, v47
	v_and_b32_e32 v49, 0xffff, v42
	v_lshlrev_b32_e32 v41, 16, v44
	v_and_b32_e32 v45, 0xffff, v45
	v_lshlrev_b32_e32 v9, 16, v9
	v_and_b32_e32 v42, 0xffff, v46
	v_or_b32_e32 v44, v1, v10
	v_or_b32_e32 v48, v43, v49
	;; [unrolled: 1-line block ×3, first 2 shown]
	s_delay_alu instid0(VALU_DEP_4)
	v_or_b32_e32 v46, v9, v42
	s_and_saveexec_b32 s6, vcc_lo
	s_cbranch_execz .LBB259_747
; %bb.746:                              ;   in Loop: Header=BB259_417 Depth=1
	v_cmp_gt_i32_e64 s0, s27, v22
	s_wait_alu 0xf1ff
	s_delay_alu instid0(VALU_DEP_1) | instskip(SKIP_2) | instid1(VALU_DEP_1)
	v_cndmask_b32_e64 v44, 0, v49, s0
	v_cmp_gt_i32_e64 s0, s27, v28
	s_wait_alu 0xf1ff
	v_cndmask_b32_e64 v43, 0, v43, s0
	v_cmp_gt_i32_e64 s0, s27, v27
	s_delay_alu instid0(VALU_DEP_2) | instskip(SKIP_1) | instid1(VALU_DEP_2)
	v_or_b32_e32 v48, v43, v44
	s_wait_alu 0xf1ff
	v_cndmask_b32_e64 v10, 0, v10, s0
	v_cmp_gt_i32_e64 s0, s27, v26
	s_wait_alu 0xf1ff
	s_delay_alu instid0(VALU_DEP_1) | instskip(SKIP_1) | instid1(VALU_DEP_2)
	v_cndmask_b32_e64 v1, 0, v1, s0
	v_cmp_gt_i32_e64 s0, s27, v25
	v_or_b32_e32 v44, v1, v10
	s_wait_alu 0xf1ff
	s_delay_alu instid0(VALU_DEP_2) | instskip(SKIP_2) | instid1(VALU_DEP_1)
	v_cndmask_b32_e64 v45, 0, v45, s0
	v_cmp_gt_i32_e64 s0, s27, v24
	s_wait_alu 0xf1ff
	v_cndmask_b32_e64 v41, 0, v41, s0
	v_cmp_gt_i32_e64 s0, s27, v23
	s_delay_alu instid0(VALU_DEP_2) | instskip(SKIP_1) | instid1(VALU_DEP_2)
	v_or_b32_e32 v47, v41, v45
	s_wait_alu 0xf1ff
	v_cndmask_b32_e64 v42, 0, v42, s0
	v_cmp_gt_i32_e64 s0, s27, v20
	s_wait_alu 0xf1ff
	s_delay_alu instid0(VALU_DEP_1) | instskip(NEXT) | instid1(VALU_DEP_1)
	v_cndmask_b32_e64 v9, 0, v9, s0
	v_or_b32_e32 v46, v9, v42
.LBB259_747:                            ;   in Loop: Header=BB259_417 Depth=1
	s_wait_alu 0xfffe
	s_or_b32 exec_lo, exec_lo, s6
	;;#ASMSTART
	v_pk_mul_f16 v1, v34, v48;

	;;#ASMEND
	;;#ASMSTART
	v_pk_mul_f16 v9, v32, v44;

	;;#ASMEND
	;; [unrolled: 4-line block ×4, first 2 shown]
	;;#ASMSTART
	v_pk_add_f16 v1, v1, v9;

	;;#ASMEND
	;;#ASMSTART
	v_pk_add_f16 v1, v1, v10;

	;;#ASMEND
	;; [unrolled: 4-line block ×3, first 2 shown]
	v_dual_mov_b32 v42, 0 :: v_dual_and_b32 v9, 0xffff, v1
	v_lshrrev_b32_e32 v1, 16, v1
	;;#ASMSTART
	v_cvt_f32_f16 v9, v9;
	;;#ASMEND
	;;#ASMSTART
	v_cvt_f32_f16 v10, v1;
	;;#ASMEND
	global_load_b64 v[7:8], v[7:8], off offset:1280
	global_load_b32 v41, v42, s[10:11]
	v_mov_b32_e32 v43, 0
	s_mov_b32 s6, exec_lo
	s_wait_loadcnt 0x1
	v_and_b32_e32 v1, 0xff, v7
	s_delay_alu instid0(VALU_DEP_1)
	v_cmpx_ne_u16_e32 0, v1
	s_cbranch_execz .LBB259_755
; %bb.748:                              ;   in Loop: Header=BB259_417 Depth=1
	v_mov_b32_e32 v43, 0x8000
	s_mov_b32 s7, exec_lo
	v_cmpx_ne_u16_e32 0x80, v1
	s_cbranch_execz .LBB259_754
; %bb.749:                              ;   in Loop: Header=BB259_417 Depth=1
	v_and_b32_e32 v44, 0x7f, v7
	v_mov_b32_e32 v43, 0x7c01
	s_mov_b32 s13, exec_lo
	s_delay_alu instid0(VALU_DEP_2)
	v_cmpx_ne_u32_e32 0x7f, v44
	s_cbranch_execz .LBB259_753
; %bb.750:                              ;   in Loop: Header=BB259_417 Depth=1
	v_and_b32_e32 v1, 7, v7
	v_lshrrev_b32_e32 v43, 3, v44
	s_mov_b32 s14, exec_lo
	v_cmpx_gt_u32_e32 8, v44
; %bb.751:                              ;   in Loop: Header=BB259_417 Depth=1
	s_delay_alu instid0(VALU_DEP_3) | instskip(NEXT) | instid1(VALU_DEP_1)
	v_clz_i32_u32_e32 v1, v1
	v_min_u32_e32 v1, 32, v1
	s_delay_alu instid0(VALU_DEP_1) | instskip(NEXT) | instid1(VALU_DEP_1)
	v_subrev_nc_u32_e32 v43, 28, v1
	v_lshlrev_b64_e32 v[44:45], v43, v[7:8]
	v_sub_nc_u32_e32 v43, 29, v1
	s_delay_alu instid0(VALU_DEP_2)
	v_and_b32_e32 v1, 7, v44
; %bb.752:                              ;   in Loop: Header=BB259_417 Depth=1
	s_wait_alu 0xfffe
	s_or_b32 exec_lo, exec_lo, s14
	v_lshlrev_b32_e32 v44, 8, v7
	v_lshl_add_u32 v43, v43, 10, 0x2000
	v_lshlrev_b32_e32 v1, 7, v1
	s_delay_alu instid0(VALU_DEP_3) | instskip(NEXT) | instid1(VALU_DEP_3)
	v_and_b32_e32 v44, 0x8000, v44
	v_and_b32_e32 v43, 0xfc00, v43
	s_delay_alu instid0(VALU_DEP_1)
	v_or3_b32 v43, v44, v43, v1
.LBB259_753:                            ;   in Loop: Header=BB259_417 Depth=1
	s_or_b32 exec_lo, exec_lo, s13
.LBB259_754:                            ;   in Loop: Header=BB259_417 Depth=1
	s_wait_alu 0xfffe
	s_or_b32 exec_lo, exec_lo, s7
.LBB259_755:                            ;   in Loop: Header=BB259_417 Depth=1
	s_wait_alu 0xfffe
	s_or_b32 exec_lo, exec_lo, s6
	v_lshrrev_b16 v1, 8, v7
	s_mov_b32 s6, exec_lo
	s_delay_alu instid0(VALU_DEP_1)
	v_cmpx_ne_u16_e32 0, v1
	s_cbranch_execz .LBB259_763
; %bb.756:                              ;   in Loop: Header=BB259_417 Depth=1
	v_bfrev_b32_e32 v42, 1
	s_mov_b32 s7, exec_lo
	v_cmpx_ne_u16_e32 0x80, v1
	s_cbranch_execz .LBB259_762
; %bb.757:                              ;   in Loop: Header=BB259_417 Depth=1
	v_and_b32_e32 v44, 0xffff, v1
	v_mov_b32_e32 v42, 0x7c010000
	s_mov_b32 s13, exec_lo
	s_delay_alu instid0(VALU_DEP_2) | instskip(NEXT) | instid1(VALU_DEP_1)
	v_and_b32_e32 v46, 0x7f, v44
	v_cmpx_ne_u32_e32 0x7f, v46
	s_cbranch_execz .LBB259_761
; %bb.758:                              ;   in Loop: Header=BB259_417 Depth=1
	v_and_b32_e32 v42, 7, v44
	v_lshrrev_b32_e32 v45, 3, v46
	s_mov_b32 s14, exec_lo
	v_cmpx_gt_u32_e32 8, v46
; %bb.759:                              ;   in Loop: Header=BB259_417 Depth=1
	s_delay_alu instid0(VALU_DEP_3) | instskip(NEXT) | instid1(VALU_DEP_1)
	v_clz_i32_u32_e32 v42, v42
	v_min_u32_e32 v42, 32, v42
	s_delay_alu instid0(VALU_DEP_1) | instskip(NEXT) | instid1(VALU_DEP_1)
	v_subrev_nc_u32_e32 v45, 28, v42
	v_lshlrev_b64_e32 v[46:47], v45, v[1:2]
	v_sub_nc_u32_e32 v45, 29, v42
	s_delay_alu instid0(VALU_DEP_2)
	v_and_b32_e32 v42, 7, v46
; %bb.760:                              ;   in Loop: Header=BB259_417 Depth=1
	s_wait_alu 0xfffe
	s_or_b32 exec_lo, exec_lo, s14
	v_lshlrev_b32_e32 v1, 8, v44
	v_lshl_add_u32 v44, v45, 10, 0x2000
	v_lshlrev_b32_e32 v42, 23, v42
	s_delay_alu instid0(VALU_DEP_2) | instskip(NEXT) | instid1(VALU_DEP_1)
	v_and_or_b32 v1, 0x8000, v1, v44
	v_lshl_or_b32 v42, v1, 16, v42
.LBB259_761:                            ;   in Loop: Header=BB259_417 Depth=1
	s_or_b32 exec_lo, exec_lo, s13
.LBB259_762:                            ;   in Loop: Header=BB259_417 Depth=1
	s_wait_alu 0xfffe
	s_or_b32 exec_lo, exec_lo, s7
.LBB259_763:                            ;   in Loop: Header=BB259_417 Depth=1
	s_wait_alu 0xfffe
	s_or_b32 exec_lo, exec_lo, s6
	v_lshrrev_b32_e32 v1, 16, v7
	v_mov_b32_e32 v44, 0
	s_mov_b32 s6, exec_lo
	s_delay_alu instid0(VALU_DEP_2) | instskip(NEXT) | instid1(VALU_DEP_1)
	v_dual_mov_b32 v45, 0 :: v_dual_and_b32 v46, 0xff, v1
	v_cmpx_ne_u16_e32 0, v46
	s_cbranch_execz .LBB259_771
; %bb.764:                              ;   in Loop: Header=BB259_417 Depth=1
	v_mov_b32_e32 v45, 0x8000
	s_mov_b32 s7, exec_lo
	v_cmpx_ne_u16_e32 0x80, v46
	s_cbranch_execz .LBB259_770
; %bb.765:                              ;   in Loop: Header=BB259_417 Depth=1
	v_bfe_u32 v47, v7, 16, 7
	v_mov_b32_e32 v45, 0x7c01
	s_mov_b32 s13, exec_lo
	s_delay_alu instid0(VALU_DEP_2)
	v_cmpx_ne_u32_e32 0x7f, v47
	s_cbranch_execz .LBB259_769
; %bb.766:                              ;   in Loop: Header=BB259_417 Depth=1
	v_and_b32_e32 v45, 7, v1
	v_lshrrev_b32_e32 v46, 3, v47
	s_mov_b32 s14, exec_lo
	v_cmpx_gt_u32_e32 8, v47
; %bb.767:                              ;   in Loop: Header=BB259_417 Depth=1
	s_delay_alu instid0(VALU_DEP_3) | instskip(NEXT) | instid1(VALU_DEP_1)
	v_clz_i32_u32_e32 v45, v45
	v_min_u32_e32 v47, 32, v45
	s_delay_alu instid0(VALU_DEP_1) | instskip(NEXT) | instid1(VALU_DEP_1)
	v_subrev_nc_u32_e32 v45, 28, v47
	v_lshlrev_b64_e32 v[45:46], v45, v[1:2]
	v_sub_nc_u32_e32 v46, 29, v47
	s_delay_alu instid0(VALU_DEP_2)
	v_and_b32_e32 v45, 7, v45
; %bb.768:                              ;   in Loop: Header=BB259_417 Depth=1
	s_wait_alu 0xfffe
	s_or_b32 exec_lo, exec_lo, s14
	v_lshlrev_b32_e32 v1, 8, v1
	v_lshl_add_u32 v46, v46, 10, 0x2000
	v_lshlrev_b32_e32 v45, 7, v45
	s_delay_alu instid0(VALU_DEP_3) | instskip(NEXT) | instid1(VALU_DEP_3)
	v_and_b32_e32 v1, 0x8000, v1
	v_and_b32_e32 v46, 0xfc00, v46
	s_delay_alu instid0(VALU_DEP_1)
	v_or3_b32 v45, v1, v46, v45
.LBB259_769:                            ;   in Loop: Header=BB259_417 Depth=1
	s_or_b32 exec_lo, exec_lo, s13
.LBB259_770:                            ;   in Loop: Header=BB259_417 Depth=1
	s_wait_alu 0xfffe
	s_or_b32 exec_lo, exec_lo, s7
.LBB259_771:                            ;   in Loop: Header=BB259_417 Depth=1
	s_wait_alu 0xfffe
	s_or_b32 exec_lo, exec_lo, s6
	s_delay_alu instid0(SALU_CYCLE_1)
	s_mov_b32 s6, exec_lo
	v_cmpx_lt_u32_e32 0xffffff, v7
	s_cbranch_execz .LBB259_779
; %bb.772:                              ;   in Loop: Header=BB259_417 Depth=1
	v_lshrrev_b32_e32 v1, 24, v7
	v_bfrev_b32_e32 v44, 1
	s_mov_b32 s7, exec_lo
	s_delay_alu instid0(VALU_DEP_2)
	v_cmpx_ne_u32_e32 0x80, v1
	s_cbranch_execz .LBB259_778
; %bb.773:                              ;   in Loop: Header=BB259_417 Depth=1
	v_and_b32_e32 v47, 0x7f, v1
	v_mov_b32_e32 v44, 0x7c010000
	s_mov_b32 s13, exec_lo
	s_delay_alu instid0(VALU_DEP_2)
	v_cmpx_ne_u32_e32 0x7f, v47
	s_cbranch_execz .LBB259_777
; %bb.774:                              ;   in Loop: Header=BB259_417 Depth=1
	v_and_b32_e32 v44, 7, v1
	v_lshrrev_b32_e32 v46, 3, v47
	s_mov_b32 s14, exec_lo
	v_cmpx_gt_u32_e32 8, v47
; %bb.775:                              ;   in Loop: Header=BB259_417 Depth=1
	s_delay_alu instid0(VALU_DEP_3) | instskip(NEXT) | instid1(VALU_DEP_1)
	v_clz_i32_u32_e32 v44, v44
	v_min_u32_e32 v44, 32, v44
	s_delay_alu instid0(VALU_DEP_1) | instskip(NEXT) | instid1(VALU_DEP_1)
	v_subrev_nc_u32_e32 v46, 28, v44
	v_lshlrev_b64_e32 v[47:48], v46, v[1:2]
	v_sub_nc_u32_e32 v46, 29, v44
	s_delay_alu instid0(VALU_DEP_2)
	v_and_b32_e32 v44, 7, v47
; %bb.776:                              ;   in Loop: Header=BB259_417 Depth=1
	s_wait_alu 0xfffe
	s_or_b32 exec_lo, exec_lo, s14
	v_lshlrev_b32_e32 v1, 8, v1
	v_lshl_add_u32 v46, v46, 10, 0x2000
	v_lshlrev_b32_e32 v44, 23, v44
	s_delay_alu instid0(VALU_DEP_2) | instskip(NEXT) | instid1(VALU_DEP_1)
	v_and_or_b32 v1, 0x8000, v1, v46
	v_lshl_or_b32 v44, v1, 16, v44
.LBB259_777:                            ;   in Loop: Header=BB259_417 Depth=1
	s_or_b32 exec_lo, exec_lo, s13
.LBB259_778:                            ;   in Loop: Header=BB259_417 Depth=1
	s_wait_alu 0xfffe
	s_or_b32 exec_lo, exec_lo, s7
.LBB259_779:                            ;   in Loop: Header=BB259_417 Depth=1
	s_wait_alu 0xfffe
	s_or_b32 exec_lo, exec_lo, s6
	v_dual_mov_b32 v1, v8 :: v_dual_and_b32 v48, 0xff, v8
	v_dual_mov_b32 v46, 0 :: v_dual_mov_b32 v47, 0
	s_mov_b32 s6, exec_lo
	s_delay_alu instid0(VALU_DEP_2)
	v_cmpx_ne_u16_e32 0, v48
	s_cbranch_execz .LBB259_787
; %bb.780:                              ;   in Loop: Header=BB259_417 Depth=1
	v_mov_b32_e32 v47, 0x8000
	s_mov_b32 s7, exec_lo
	v_cmpx_ne_u16_e32 0x80, v48
	s_cbranch_execz .LBB259_786
; %bb.781:                              ;   in Loop: Header=BB259_417 Depth=1
	v_and_b32_e32 v49, 0x7f, v8
	v_mov_b32_e32 v47, 0x7c01
	s_mov_b32 s13, exec_lo
	s_delay_alu instid0(VALU_DEP_2)
	v_cmpx_ne_u32_e32 0x7f, v49
	s_cbranch_execz .LBB259_785
; %bb.782:                              ;   in Loop: Header=BB259_417 Depth=1
	v_and_b32_e32 v47, 7, v8
	v_lshrrev_b32_e32 v48, 3, v49
	s_mov_b32 s14, exec_lo
	v_cmpx_gt_u32_e32 8, v49
; %bb.783:                              ;   in Loop: Header=BB259_417 Depth=1
	s_delay_alu instid0(VALU_DEP_3) | instskip(NEXT) | instid1(VALU_DEP_1)
	v_clz_i32_u32_e32 v47, v47
	v_min_u32_e32 v49, 32, v47
	s_delay_alu instid0(VALU_DEP_1) | instskip(NEXT) | instid1(VALU_DEP_1)
	v_subrev_nc_u32_e32 v47, 28, v49
	v_lshlrev_b64_e32 v[47:48], v47, v[1:2]
	v_sub_nc_u32_e32 v48, 29, v49
	s_delay_alu instid0(VALU_DEP_2)
	v_and_b32_e32 v47, 7, v47
; %bb.784:                              ;   in Loop: Header=BB259_417 Depth=1
	s_wait_alu 0xfffe
	s_or_b32 exec_lo, exec_lo, s14
	v_lshlrev_b32_e32 v49, 8, v8
	v_lshl_add_u32 v48, v48, 10, 0x2000
	v_lshlrev_b32_e32 v47, 7, v47
	s_delay_alu instid0(VALU_DEP_3) | instskip(NEXT) | instid1(VALU_DEP_3)
	v_and_b32_e32 v49, 0x8000, v49
	v_and_b32_e32 v48, 0xfc00, v48
	s_delay_alu instid0(VALU_DEP_1)
	v_or3_b32 v47, v49, v48, v47
.LBB259_785:                            ;   in Loop: Header=BB259_417 Depth=1
	s_or_b32 exec_lo, exec_lo, s13
.LBB259_786:                            ;   in Loop: Header=BB259_417 Depth=1
	s_wait_alu 0xfffe
	s_or_b32 exec_lo, exec_lo, s7
.LBB259_787:                            ;   in Loop: Header=BB259_417 Depth=1
	s_wait_alu 0xfffe
	s_or_b32 exec_lo, exec_lo, s6
	v_lshrrev_b16 v1, 8, v1
	v_mov_b32_e32 v48, 0
	s_mov_b32 s6, exec_lo
	s_delay_alu instid0(VALU_DEP_2)
	v_cmpx_ne_u16_e32 0, v1
	s_cbranch_execz .LBB259_795
; %bb.788:                              ;   in Loop: Header=BB259_417 Depth=1
	v_bfrev_b32_e32 v48, 1
	s_mov_b32 s7, exec_lo
	v_cmpx_ne_u16_e32 0x80, v1
	s_cbranch_execz .LBB259_794
; %bb.789:                              ;   in Loop: Header=BB259_417 Depth=1
	v_and_b32_e32 v49, 0xffff, v1
	v_mov_b32_e32 v48, 0x7c010000
	s_mov_b32 s13, exec_lo
	s_delay_alu instid0(VALU_DEP_2) | instskip(NEXT) | instid1(VALU_DEP_1)
	v_and_b32_e32 v51, 0x7f, v49
	v_cmpx_ne_u32_e32 0x7f, v51
	s_cbranch_execz .LBB259_793
; %bb.790:                              ;   in Loop: Header=BB259_417 Depth=1
	v_and_b32_e32 v48, 7, v49
	v_lshrrev_b32_e32 v50, 3, v51
	s_mov_b32 s14, exec_lo
	v_cmpx_gt_u32_e32 8, v51
; %bb.791:                              ;   in Loop: Header=BB259_417 Depth=1
	s_delay_alu instid0(VALU_DEP_3) | instskip(NEXT) | instid1(VALU_DEP_1)
	v_clz_i32_u32_e32 v48, v48
	v_min_u32_e32 v48, 32, v48
	s_delay_alu instid0(VALU_DEP_1) | instskip(NEXT) | instid1(VALU_DEP_1)
	v_subrev_nc_u32_e32 v50, 28, v48
	v_lshlrev_b64_e32 v[51:52], v50, v[1:2]
	v_sub_nc_u32_e32 v50, 29, v48
	s_delay_alu instid0(VALU_DEP_2)
	v_and_b32_e32 v48, 7, v51
; %bb.792:                              ;   in Loop: Header=BB259_417 Depth=1
	s_wait_alu 0xfffe
	s_or_b32 exec_lo, exec_lo, s14
	v_lshlrev_b32_e32 v1, 8, v49
	v_lshl_add_u32 v49, v50, 10, 0x2000
	v_lshlrev_b32_e32 v48, 23, v48
	s_delay_alu instid0(VALU_DEP_2) | instskip(NEXT) | instid1(VALU_DEP_1)
	v_and_or_b32 v1, 0x8000, v1, v49
	v_lshl_or_b32 v48, v1, 16, v48
.LBB259_793:                            ;   in Loop: Header=BB259_417 Depth=1
	s_or_b32 exec_lo, exec_lo, s13
.LBB259_794:                            ;   in Loop: Header=BB259_417 Depth=1
	s_wait_alu 0xfffe
	s_or_b32 exec_lo, exec_lo, s7
.LBB259_795:                            ;   in Loop: Header=BB259_417 Depth=1
	s_wait_alu 0xfffe
	s_or_b32 exec_lo, exec_lo, s6
	v_lshrrev_b32_e32 v1, 16, v8
	s_mov_b32 s6, exec_lo
	s_delay_alu instid0(VALU_DEP_1) | instskip(NEXT) | instid1(VALU_DEP_1)
	v_and_b32_e32 v49, 0xff, v1
	v_cmpx_ne_u16_e32 0, v49
	s_cbranch_execz .LBB259_803
; %bb.796:                              ;   in Loop: Header=BB259_417 Depth=1
	v_mov_b32_e32 v46, 0x8000
	s_mov_b32 s7, exec_lo
	v_cmpx_ne_u16_e32 0x80, v49
	s_cbranch_execz .LBB259_802
; %bb.797:                              ;   in Loop: Header=BB259_417 Depth=1
	v_bfe_u32 v50, v8, 16, 7
	v_mov_b32_e32 v46, 0x7c01
	s_mov_b32 s13, exec_lo
	s_delay_alu instid0(VALU_DEP_2)
	v_cmpx_ne_u32_e32 0x7f, v50
	s_cbranch_execz .LBB259_801
; %bb.798:                              ;   in Loop: Header=BB259_417 Depth=1
	v_and_b32_e32 v46, 7, v1
	v_lshrrev_b32_e32 v49, 3, v50
	s_mov_b32 s14, exec_lo
	v_cmpx_gt_u32_e32 8, v50
; %bb.799:                              ;   in Loop: Header=BB259_417 Depth=1
	s_delay_alu instid0(VALU_DEP_3) | instskip(NEXT) | instid1(VALU_DEP_1)
	v_clz_i32_u32_e32 v46, v46
	v_min_u32_e32 v46, 32, v46
	s_delay_alu instid0(VALU_DEP_1) | instskip(NEXT) | instid1(VALU_DEP_1)
	v_subrev_nc_u32_e32 v49, 28, v46
	v_lshlrev_b64_e32 v[50:51], v49, v[1:2]
	v_sub_nc_u32_e32 v49, 29, v46
	s_delay_alu instid0(VALU_DEP_2)
	v_and_b32_e32 v46, 7, v50
; %bb.800:                              ;   in Loop: Header=BB259_417 Depth=1
	s_wait_alu 0xfffe
	s_or_b32 exec_lo, exec_lo, s14
	v_lshlrev_b32_e32 v1, 8, v1
	v_lshl_add_u32 v49, v49, 10, 0x2000
	v_lshlrev_b32_e32 v46, 7, v46
	s_delay_alu instid0(VALU_DEP_3) | instskip(NEXT) | instid1(VALU_DEP_3)
	v_and_b32_e32 v1, 0x8000, v1
	v_and_b32_e32 v49, 0xfc00, v49
	s_delay_alu instid0(VALU_DEP_1)
	v_or3_b32 v46, v1, v49, v46
.LBB259_801:                            ;   in Loop: Header=BB259_417 Depth=1
	s_or_b32 exec_lo, exec_lo, s13
.LBB259_802:                            ;   in Loop: Header=BB259_417 Depth=1
	s_wait_alu 0xfffe
	s_or_b32 exec_lo, exec_lo, s7
.LBB259_803:                            ;   in Loop: Header=BB259_417 Depth=1
	s_wait_alu 0xfffe
	s_or_b32 exec_lo, exec_lo, s6
	v_cmp_lt_u64_e64 s0, s[2:3], v[7:8]
	v_mov_b32_e32 v7, 0
	s_and_saveexec_b32 s6, s0
	s_cbranch_execz .LBB259_811
; %bb.804:                              ;   in Loop: Header=BB259_417 Depth=1
	v_lshrrev_b32_e32 v1, 24, v8
	v_bfrev_b32_e32 v7, 1
	s_mov_b32 s7, exec_lo
	s_delay_alu instid0(VALU_DEP_2)
	v_cmpx_ne_u32_e32 0x80, v1
	s_cbranch_execz .LBB259_810
; %bb.805:                              ;   in Loop: Header=BB259_417 Depth=1
	v_and_b32_e32 v49, 0x7f, v1
	v_mov_b32_e32 v7, 0x7c010000
	s_mov_b32 s13, exec_lo
	s_delay_alu instid0(VALU_DEP_2)
	v_cmpx_ne_u32_e32 0x7f, v49
	s_cbranch_execz .LBB259_809
; %bb.806:                              ;   in Loop: Header=BB259_417 Depth=1
	v_and_b32_e32 v7, 7, v1
	v_lshrrev_b32_e32 v8, 3, v49
	s_mov_b32 s14, exec_lo
	v_cmpx_gt_u32_e32 8, v49
; %bb.807:                              ;   in Loop: Header=BB259_417 Depth=1
	s_delay_alu instid0(VALU_DEP_3) | instskip(NEXT) | instid1(VALU_DEP_1)
	v_clz_i32_u32_e32 v7, v7
	v_min_u32_e32 v49, 32, v7
	s_delay_alu instid0(VALU_DEP_1) | instskip(NEXT) | instid1(VALU_DEP_1)
	v_subrev_nc_u32_e32 v7, 28, v49
	v_lshlrev_b64_e32 v[7:8], v7, v[1:2]
	v_sub_nc_u32_e32 v8, 29, v49
	s_delay_alu instid0(VALU_DEP_2)
	v_and_b32_e32 v7, 7, v7
; %bb.808:                              ;   in Loop: Header=BB259_417 Depth=1
	s_wait_alu 0xfffe
	s_or_b32 exec_lo, exec_lo, s14
	v_lshlrev_b32_e32 v1, 8, v1
	v_lshl_add_u32 v8, v8, 10, 0x2000
	v_lshlrev_b32_e32 v7, 23, v7
	s_delay_alu instid0(VALU_DEP_2) | instskip(NEXT) | instid1(VALU_DEP_1)
	v_and_or_b32 v1, 0x8000, v1, v8
	v_lshl_or_b32 v7, v1, 16, v7
.LBB259_809:                            ;   in Loop: Header=BB259_417 Depth=1
	s_or_b32 exec_lo, exec_lo, s13
.LBB259_810:                            ;   in Loop: Header=BB259_417 Depth=1
	s_wait_alu 0xfffe
	s_or_b32 exec_lo, exec_lo, s7
.LBB259_811:                            ;   in Loop: Header=BB259_417 Depth=1
	s_wait_alu 0xfffe
	s_or_b32 exec_lo, exec_lo, s6
	v_or_b32_e32 v1, v44, v45
	s_wait_loadcnt 0x0
	v_fma_mixlo_f16 v8, v41, v44, 0 op_sel:[0,1,0] op_sel_hi:[0,1,0]
	v_or_b32_e32 v43, v42, v43
	v_fma_mixlo_f16 v44, v41, v42, 0 op_sel:[0,1,0] op_sel_hi:[0,1,0]
	v_or_b32_e32 v45, v48, v47
	v_fma_mixlo_f16 v1, v41, v1, 0 op_sel_hi:[0,1,0]
	v_or_b32_e32 v46, v7, v46
	v_lshlrev_b32_e32 v42, 16, v8
	v_lshlrev_b32_e32 v47, 16, v44
	v_fma_mixlo_f16 v8, v41, v43, 0 op_sel_hi:[0,1,0]
	v_and_b32_e32 v44, 0xffff, v1
	v_fma_mixlo_f16 v1, v41, v48, 0 op_sel:[0,1,0] op_sel_hi:[0,1,0]
	v_fma_mixlo_f16 v43, v41, v45, 0 op_sel_hi:[0,1,0]
	v_fma_mixlo_f16 v7, v41, v7, 0 op_sel:[0,1,0] op_sel_hi:[0,1,0]
	v_fma_mixlo_f16 v41, v41, v46, 0 op_sel_hi:[0,1,0]
	v_and_b32_e32 v49, 0xffff, v8
	v_lshlrev_b32_e32 v45, 16, v1
	v_and_b32_e32 v48, 0xffff, v43
	v_lshlrev_b32_e32 v43, 16, v7
	v_and_b32_e32 v46, 0xffff, v41
	v_or_b32_e32 v8, v42, v44
	v_or_b32_e32 v41, v47, v49
	;; [unrolled: 1-line block ×3, first 2 shown]
	s_delay_alu instid0(VALU_DEP_4)
	v_or_b32_e32 v1, v43, v46
	s_and_saveexec_b32 s0, vcc_lo
	s_cbranch_execz .LBB259_416
; %bb.812:                              ;   in Loop: Header=BB259_417 Depth=1
	v_cmp_gt_i32_e32 vcc_lo, s27, v22
	s_wait_alu 0xfffd
	v_cndmask_b32_e32 v1, 0, v49, vcc_lo
	v_cmp_gt_i32_e32 vcc_lo, s27, v28
	s_wait_alu 0xfffd
	v_cndmask_b32_e32 v7, 0, v47, vcc_lo
	;; [unrolled: 3-line block ×4, first 2 shown]
	v_cmp_gt_i32_e32 vcc_lo, s27, v25
	v_or_b32_e32 v41, v7, v1
	s_delay_alu instid0(VALU_DEP_3)
	v_or_b32_e32 v8, v22, v8
	s_wait_alu 0xfffd
	v_cndmask_b32_e32 v25, 0, v48, vcc_lo
	v_cmp_gt_i32_e32 vcc_lo, s27, v24
	s_wait_alu 0xfffd
	v_cndmask_b32_e32 v24, 0, v45, vcc_lo
	v_cmp_gt_i32_e32 vcc_lo, s27, v23
	s_delay_alu instid0(VALU_DEP_2)
	v_or_b32_e32 v7, v24, v25
	s_wait_alu 0xfffd
	v_cndmask_b32_e32 v23, 0, v46, vcc_lo
	v_cmp_gt_i32_e32 vcc_lo, s27, v20
	s_wait_alu 0xfffd
	v_cndmask_b32_e32 v26, 0, v43, vcc_lo
	s_delay_alu instid0(VALU_DEP_1)
	v_or_b32_e32 v1, v26, v23
	s_branch .LBB259_416
.LBB259_813:
	s_or_b32 exec_lo, exec_lo, s5
.LBB259_814:
	s_wait_alu 0xfffe
	s_or_b32 exec_lo, exec_lo, s1
	v_lshl_add_u32 v2, v14, 2, 0x1a0
	v_and_b32_e32 v3, 0x3c0, v0
	s_mov_b32 s0, exec_lo
	s_wait_loadcnt 0x0
	s_wait_storecnt 0x0
	s_barrier_signal -1
	v_mad_u32_u24 v1, 0x300, v11, v2
	s_barrier_wait -1
	global_inv scope:SCOPE_SE
	v_cmpx_eq_u32_e32 64, v3
	s_cbranch_execz .LBB259_816
; %bb.815:
	v_add_nc_u32_e32 v3, 0xfffffa00, v1
	v_add_nc_u32_e32 v4, 0xfffffa80, v1
	;; [unrolled: 1-line block ×6, first 2 shown]
	ds_store_b32 v3, v19
	ds_store_b32 v4, v18
	;; [unrolled: 1-line block ×6, first 2 shown]
.LBB259_816:
	s_wait_alu 0xfffe
	s_or_b32 exec_lo, exec_lo, s0
	s_delay_alu instid0(SALU_CYCLE_1)
	s_mov_b32 s0, exec_lo
	s_wait_loadcnt_dscnt 0x0
	s_barrier_signal -1
	s_barrier_wait -1
	global_inv scope:SCOPE_SE
	v_cmpx_gt_u32_e32 64, v0
	s_cbranch_execz .LBB259_818
; %bb.817:
	ds_load_2addr_b32 v[3:4], v1 offset1:32
	ds_load_2addr_b32 v[5:6], v1 offset0:64 offset1:96
	ds_load_2addr_b32 v[7:8], v1 offset0:128 offset1:160
	s_wait_dscnt 0x2
	v_dual_add_f32 v19, v19, v3 :: v_dual_add_f32 v18, v18, v4
	s_wait_dscnt 0x1
	v_dual_add_f32 v17, v17, v5 :: v_dual_add_f32 v16, v16, v6
	s_wait_dscnt 0x0
	v_add_f32_e32 v15, v15, v7
	v_add_f32_e32 v13, v13, v8
.LBB259_818:
	s_wait_alu 0xfffe
	s_or_b32 exec_lo, exec_lo, s0
	v_and_b32_e32 v3, 0x3e0, v0
	s_mov_b32 s0, exec_lo
	s_wait_loadcnt 0x0
	s_barrier_signal -1
	s_barrier_wait -1
	global_inv scope:SCOPE_SE
	v_cmpx_eq_u32_e32 32, v3
	s_cbranch_execz .LBB259_820
; %bb.819:
	ds_store_2addr_b32 v2, v19, v18 offset1:32
	ds_store_2addr_b32 v2, v17, v16 offset0:64 offset1:96
	ds_store_2addr_b32 v2, v15, v13 offset0:128 offset1:160
.LBB259_820:
	s_wait_alu 0xfffe
	s_or_b32 exec_lo, exec_lo, s0
	v_cmp_gt_u32_e32 vcc_lo, 32, v0
	s_wait_loadcnt_dscnt 0x0
	s_barrier_signal -1
	s_barrier_wait -1
	global_inv scope:SCOPE_SE
	s_and_saveexec_b32 s0, vcc_lo
	s_cbranch_execz .LBB259_822
; %bb.821:
	ds_load_2addr_b32 v[2:3], v1 offset1:32
	ds_load_2addr_b32 v[4:5], v1 offset0:64 offset1:96
	ds_load_2addr_b32 v[6:7], v1 offset0:128 offset1:160
	s_wait_dscnt 0x2
	v_dual_add_f32 v19, v19, v2 :: v_dual_add_f32 v18, v18, v3
	s_wait_dscnt 0x1
	v_dual_add_f32 v17, v17, v4 :: v_dual_add_f32 v16, v16, v5
	s_wait_dscnt 0x0
	v_add_f32_e32 v15, v15, v6
	v_add_f32_e32 v13, v13, v7
.LBB259_822:
	s_wait_alu 0xfffe
	s_or_b32 exec_lo, exec_lo, s0
	s_wait_loadcnt 0x0
	s_barrier_signal -1
	s_barrier_wait -1
	global_inv scope:SCOPE_SE
	s_and_saveexec_b32 s0, vcc_lo
	s_cbranch_execz .LBB259_824
; %bb.823:
	s_mul_i32 s0, s22, 0xc0
	s_mul_i32 s2, s12, s16
	s_wait_alu 0xfffe
	s_ashr_i32 s1, s0, 31
	s_ashr_i32 s3, s2, 31
	s_wait_alu 0xfffe
	s_lshl_b64 s[0:1], s[0:1], 1
	s_lshl_b64 s[2:3], s[2:3], 1
	s_wait_kmcnt 0x0
	s_wait_alu 0xfffe
	s_add_nc_u64 s[0:1], s[8:9], s[0:1]
	v_lshlrev_b32_e32 v0, 1, v0
	s_mul_i32 s4, s26, 0x180
	s_wait_alu 0xfffe
	s_add_nc_u64 s[0:1], s[0:1], s[2:3]
	s_mov_b32 s5, 0
	;;#ASMSTART
	v_cvt_f16_f32 v1, v19;

	;;#ASMEND
	s_wait_alu 0xfffe
	s_add_nc_u64 s[0:1], s[0:1], s[4:5]
	global_store_b16 v0, v1, s[0:1]
	;;#ASMSTART
	v_cvt_f16_f32 v1, v18;

	;;#ASMEND
	global_store_b16 v0, v1, s[0:1] offset:64
	;;#ASMSTART
	v_cvt_f16_f32 v1, v17;

	;;#ASMEND
	global_store_b16 v0, v1, s[0:1] offset:128
	;; [unrolled: 5-line block ×5, first 2 shown]
.LBB259_824:
	s_nop 0
	s_sendmsg sendmsg(MSG_DEALLOC_VGPRS)
	s_endpgm
	.section	.rodata,"a",@progbits
	.p2align	6, 0x0
	.amdhsa_kernel _ZN4vllm25paged_attention_v2_kernelIthLi192ELi8ELi128ELNS_18Fp8KVCacheDataTypeE1ELb0ELi512EEEvPfS2_PT_PKS3_PKT0_S9_ifPKiSB_iPKfiiiSD_SD_iiiii
		.amdhsa_group_segment_fixed_size 416
		.amdhsa_private_segment_fixed_size 0
		.amdhsa_kernarg_size 400
		.amdhsa_user_sgpr_count 2
		.amdhsa_user_sgpr_dispatch_ptr 0
		.amdhsa_user_sgpr_queue_ptr 0
		.amdhsa_user_sgpr_kernarg_segment_ptr 1
		.amdhsa_user_sgpr_dispatch_id 0
		.amdhsa_user_sgpr_private_segment_size 0
		.amdhsa_wavefront_size32 1
		.amdhsa_uses_dynamic_stack 0
		.amdhsa_enable_private_segment 0
		.amdhsa_system_sgpr_workgroup_id_x 1
		.amdhsa_system_sgpr_workgroup_id_y 1
		.amdhsa_system_sgpr_workgroup_id_z 1
		.amdhsa_system_sgpr_workgroup_info 0
		.amdhsa_system_vgpr_workitem_id 0
		.amdhsa_next_free_vgpr 106
		.amdhsa_next_free_sgpr 36
		.amdhsa_reserve_vcc 1
		.amdhsa_float_round_mode_32 0
		.amdhsa_float_round_mode_16_64 0
		.amdhsa_float_denorm_mode_32 3
		.amdhsa_float_denorm_mode_16_64 3
		.amdhsa_fp16_overflow 0
		.amdhsa_workgroup_processor_mode 1
		.amdhsa_memory_ordered 1
		.amdhsa_forward_progress 1
		.amdhsa_inst_pref_size 233
		.amdhsa_round_robin_scheduling 0
		.amdhsa_exception_fp_ieee_invalid_op 0
		.amdhsa_exception_fp_denorm_src 0
		.amdhsa_exception_fp_ieee_div_zero 0
		.amdhsa_exception_fp_ieee_overflow 0
		.amdhsa_exception_fp_ieee_underflow 0
		.amdhsa_exception_fp_ieee_inexact 0
		.amdhsa_exception_int_div_zero 0
	.end_amdhsa_kernel
	.section	.text._ZN4vllm25paged_attention_v2_kernelIthLi192ELi8ELi128ELNS_18Fp8KVCacheDataTypeE1ELb0ELi512EEEvPfS2_PT_PKS3_PKT0_S9_ifPKiSB_iPKfiiiSD_SD_iiiii,"axG",@progbits,_ZN4vllm25paged_attention_v2_kernelIthLi192ELi8ELi128ELNS_18Fp8KVCacheDataTypeE1ELb0ELi512EEEvPfS2_PT_PKS3_PKT0_S9_ifPKiSB_iPKfiiiSD_SD_iiiii,comdat
.Lfunc_end259:
	.size	_ZN4vllm25paged_attention_v2_kernelIthLi192ELi8ELi128ELNS_18Fp8KVCacheDataTypeE1ELb0ELi512EEEvPfS2_PT_PKS3_PKT0_S9_ifPKiSB_iPKfiiiSD_SD_iiiii, .Lfunc_end259-_ZN4vllm25paged_attention_v2_kernelIthLi192ELi8ELi128ELNS_18Fp8KVCacheDataTypeE1ELb0ELi512EEEvPfS2_PT_PKS3_PKT0_S9_ifPKiSB_iPKfiiiSD_SD_iiiii
                                        ; -- End function
	.set _ZN4vllm25paged_attention_v2_kernelIthLi192ELi8ELi128ELNS_18Fp8KVCacheDataTypeE1ELb0ELi512EEEvPfS2_PT_PKS3_PKT0_S9_ifPKiSB_iPKfiiiSD_SD_iiiii.num_vgpr, 106
	.set _ZN4vllm25paged_attention_v2_kernelIthLi192ELi8ELi128ELNS_18Fp8KVCacheDataTypeE1ELb0ELi512EEEvPfS2_PT_PKS3_PKT0_S9_ifPKiSB_iPKfiiiSD_SD_iiiii.num_agpr, 0
	.set _ZN4vllm25paged_attention_v2_kernelIthLi192ELi8ELi128ELNS_18Fp8KVCacheDataTypeE1ELb0ELi512EEEvPfS2_PT_PKS3_PKT0_S9_ifPKiSB_iPKfiiiSD_SD_iiiii.numbered_sgpr, 36
	.set _ZN4vllm25paged_attention_v2_kernelIthLi192ELi8ELi128ELNS_18Fp8KVCacheDataTypeE1ELb0ELi512EEEvPfS2_PT_PKS3_PKT0_S9_ifPKiSB_iPKfiiiSD_SD_iiiii.num_named_barrier, 0
	.set _ZN4vllm25paged_attention_v2_kernelIthLi192ELi8ELi128ELNS_18Fp8KVCacheDataTypeE1ELb0ELi512EEEvPfS2_PT_PKS3_PKT0_S9_ifPKiSB_iPKfiiiSD_SD_iiiii.private_seg_size, 0
	.set _ZN4vllm25paged_attention_v2_kernelIthLi192ELi8ELi128ELNS_18Fp8KVCacheDataTypeE1ELb0ELi512EEEvPfS2_PT_PKS3_PKT0_S9_ifPKiSB_iPKfiiiSD_SD_iiiii.uses_vcc, 1
	.set _ZN4vllm25paged_attention_v2_kernelIthLi192ELi8ELi128ELNS_18Fp8KVCacheDataTypeE1ELb0ELi512EEEvPfS2_PT_PKS3_PKT0_S9_ifPKiSB_iPKfiiiSD_SD_iiiii.uses_flat_scratch, 0
	.set _ZN4vllm25paged_attention_v2_kernelIthLi192ELi8ELi128ELNS_18Fp8KVCacheDataTypeE1ELb0ELi512EEEvPfS2_PT_PKS3_PKT0_S9_ifPKiSB_iPKfiiiSD_SD_iiiii.has_dyn_sized_stack, 0
	.set _ZN4vllm25paged_attention_v2_kernelIthLi192ELi8ELi128ELNS_18Fp8KVCacheDataTypeE1ELb0ELi512EEEvPfS2_PT_PKS3_PKT0_S9_ifPKiSB_iPKfiiiSD_SD_iiiii.has_recursion, 0
	.set _ZN4vllm25paged_attention_v2_kernelIthLi192ELi8ELi128ELNS_18Fp8KVCacheDataTypeE1ELb0ELi512EEEvPfS2_PT_PKS3_PKT0_S9_ifPKiSB_iPKfiiiSD_SD_iiiii.has_indirect_call, 0
	.section	.AMDGPU.csdata,"",@progbits
; Kernel info:
; codeLenInByte = 29772
; TotalNumSgprs: 38
; NumVgprs: 106
; ScratchSize: 0
; MemoryBound: 0
; FloatMode: 240
; IeeeMode: 1
; LDSByteSize: 416 bytes/workgroup (compile time only)
; SGPRBlocks: 0
; VGPRBlocks: 13
; NumSGPRsForWavesPerEU: 38
; NumVGPRsForWavesPerEU: 106
; Occupancy: 12
; WaveLimiterHint : 1
; COMPUTE_PGM_RSRC2:SCRATCH_EN: 0
; COMPUTE_PGM_RSRC2:USER_SGPR: 2
; COMPUTE_PGM_RSRC2:TRAP_HANDLER: 0
; COMPUTE_PGM_RSRC2:TGID_X_EN: 1
; COMPUTE_PGM_RSRC2:TGID_Y_EN: 1
; COMPUTE_PGM_RSRC2:TGID_Z_EN: 1
; COMPUTE_PGM_RSRC2:TIDIG_COMP_CNT: 0
	.section	.text._ZN4vllm25paged_attention_v2_kernelIthLi256ELi8ELi128ELNS_18Fp8KVCacheDataTypeE1ELb0ELi512EEEvPfS2_PT_PKS3_PKT0_S9_ifPKiSB_iPKfiiiSD_SD_iiiii,"axG",@progbits,_ZN4vllm25paged_attention_v2_kernelIthLi256ELi8ELi128ELNS_18Fp8KVCacheDataTypeE1ELb0ELi512EEEvPfS2_PT_PKS3_PKT0_S9_ifPKiSB_iPKfiiiSD_SD_iiiii,comdat
	.protected	_ZN4vllm25paged_attention_v2_kernelIthLi256ELi8ELi128ELNS_18Fp8KVCacheDataTypeE1ELb0ELi512EEEvPfS2_PT_PKS3_PKT0_S9_ifPKiSB_iPKfiiiSD_SD_iiiii ; -- Begin function _ZN4vllm25paged_attention_v2_kernelIthLi256ELi8ELi128ELNS_18Fp8KVCacheDataTypeE1ELb0ELi512EEEvPfS2_PT_PKS3_PKT0_S9_ifPKiSB_iPKfiiiSD_SD_iiiii
	.globl	_ZN4vllm25paged_attention_v2_kernelIthLi256ELi8ELi128ELNS_18Fp8KVCacheDataTypeE1ELb0ELi512EEEvPfS2_PT_PKS3_PKT0_S9_ifPKiSB_iPKfiiiSD_SD_iiiii
	.p2align	8
	.type	_ZN4vllm25paged_attention_v2_kernelIthLi256ELi8ELi128ELNS_18Fp8KVCacheDataTypeE1ELb0ELi512EEEvPfS2_PT_PKS3_PKT0_S9_ifPKiSB_iPKfiiiSD_SD_iiiii,@function
_ZN4vllm25paged_attention_v2_kernelIthLi256ELi8ELi128ELNS_18Fp8KVCacheDataTypeE1ELb0ELi512EEEvPfS2_PT_PKS3_PKT0_S9_ifPKiSB_iPKfiiiSD_SD_iiiii: ; @_ZN4vllm25paged_attention_v2_kernelIthLi256ELi8ELi128ELNS_18Fp8KVCacheDataTypeE1ELb0ELi512EEEvPfS2_PT_PKS3_PKT0_S9_ifPKiSB_iPKfiiiSD_SD_iiiii
; %bb.0:
	s_load_b64 s[2:3], s[0:1], 0x40
	s_and_b32 s24, ttmp7, 0xffff
	s_lshr_b32 s28, ttmp7, 16
	s_lshl_b32 s4, s24, 2
	s_lshl_b32 s16, s28, 9
	s_wait_kmcnt 0x0
	s_load_b32 s17, s[2:3], s4 offset:0x0
	s_wait_kmcnt 0x0
	s_cmp_ge_i32 s16, s17
	s_cbranch_scc1 .LBB260_1084
; %bb.1:
	s_clause 0x1
	s_load_b32 s25, s[0:1], 0x90
	s_load_b64 s[6:7], s[0:1], 0x30
	s_wait_kmcnt 0x0
	s_abs_i32 s5, s25
	s_abs_i32 s2, s6
	s_delay_alu instid0(SALU_CYCLE_1) | instskip(SKIP_1) | instid1(SALU_CYCLE_2)
	s_cvt_f32_u32 s3, s2
	s_sub_co_i32 s4, 0, s2
	v_rcp_iflag_f32_e32 v1, s3
	s_delay_alu instid0(TRANS32_DEP_1) | instskip(SKIP_2) | instid1(SALU_CYCLE_2)
	v_readfirstlane_b32 s3, v1
	s_mul_f32 s3, s3, 0x4f7ffffe
	s_wait_alu 0xfffe
	s_cvt_u32_f32 s3, s3
	s_wait_alu 0xfffe
	s_delay_alu instid0(SALU_CYCLE_2) | instskip(NEXT) | instid1(SALU_CYCLE_1)
	s_mul_i32 s4, s4, s3
	s_mul_hi_u32 s4, s3, s4
	s_delay_alu instid0(SALU_CYCLE_1)
	s_add_co_i32 s3, s3, s4
	s_xor_b32 s4, s25, s6
	s_wait_alu 0xfffe
	s_mul_hi_u32 s3, s5, s3
	s_ashr_i32 s4, s4, 31
	s_wait_alu 0xfffe
	s_mul_i32 s6, s3, s2
	s_delay_alu instid0(SALU_CYCLE_1)
	s_sub_co_i32 s5, s5, s6
	s_add_co_i32 s6, s3, 1
	s_sub_co_i32 s8, s5, s2
	s_cmp_ge_u32 s5, s2
	s_cselect_b32 s3, s6, s3
	s_cselect_b32 s5, s8, s5
	s_wait_alu 0xfffe
	s_add_co_i32 s6, s3, 1
	s_cmp_ge_u32 s5, s2
	s_load_b64 s[8:9], s[0:1], 0x50
	s_cselect_b32 s2, s6, s3
	s_mov_b32 s3, 0
	s_wait_alu 0xfffe
	s_xor_b32 s2, s2, s4
	s_mov_b32 s6, s3
	s_wait_alu 0xfffe
	s_sub_co_i32 s11, s2, s4
	s_delay_alu instid0(SALU_CYCLE_1) | instskip(NEXT) | instid1(SALU_CYCLE_1)
	s_abs_i32 s10, s11
	s_cvt_f32_u32 s2, s10
	s_wait_alu 0xfffe
	s_delay_alu instid0(SALU_CYCLE_2) | instskip(NEXT) | instid1(TRANS32_DEP_1)
	v_rcp_iflag_f32_e32 v1, s2
	v_readfirstlane_b32 s2, v1
	s_mul_f32 s2, s2, 0x4f7ffffe
	s_wait_alu 0xfffe
	s_delay_alu instid0(SALU_CYCLE_2) | instskip(SKIP_2) | instid1(SALU_CYCLE_1)
	s_cvt_u32_f32 s4, s2
	s_sub_co_i32 s2, 0, s10
	s_wait_alu 0xfffe
	s_mul_i32 s2, s2, s4
	s_wait_alu 0xfffe
	s_mul_hi_u32 s5, s4, s2
	s_abs_i32 s2, ttmp9
	s_add_co_i32 s4, s4, s5
	s_mov_b32 s5, s3
	s_wait_kmcnt 0x0
	s_cmp_eq_u64 s[8:9], 0
	s_cbranch_scc1 .LBB260_3
; %bb.2:
	s_mov_b32 s12, ttmp9
	s_ashr_i32 s13, ttmp9, 31
	s_delay_alu instid0(SALU_CYCLE_1) | instskip(NEXT) | instid1(SALU_CYCLE_1)
	s_lshl_b64 s[12:13], s[12:13], 2
	s_add_nc_u64 s[8:9], s[8:9], s[12:13]
	s_load_b32 s6, s[8:9], 0x0
.LBB260_3:
	s_load_b96 s[12:14], s[0:1], 0x58
	v_and_b32_e32 v1, 3, v0
	s_mul_u64 s[4:5], s[2:3], s[4:5]
	s_ashr_i32 s3, ttmp9, 31
	s_ashr_i32 s4, s11, 31
	s_lshl_b32 s18, ttmp9, 8
	s_mov_b32 s8, exec_lo
	v_cmpx_gt_u32_e32 0x80, v0
	s_cbranch_execz .LBB260_5
; %bb.4:
	s_load_b64 s[20:21], s[0:1], 0x18
	s_wait_kmcnt 0x0
	s_mul_i32 s22, s12, s24
	s_ashr_i32 s19, s18, 31
	s_ashr_i32 s23, s22, 31
	v_lshlrev_b32_e32 v2, 2, v0
	s_lshl_b64 s[22:23], s[22:23], 1
	v_and_b32_e32 v3, 0x3fc, v0
	s_delay_alu instid0(VALU_DEP_1) | instskip(SKIP_2) | instid1(SALU_CYCLE_1)
	v_lshl_add_u32 v3, v1, 7, v3
	s_add_nc_u64 s[20:21], s[20:21], s[22:23]
	s_lshl_b64 s[22:23], s[18:19], 1
	s_add_nc_u64 s[20:21], s[20:21], s[22:23]
	global_load_b32 v2, v2, s[20:21]
	s_wait_loadcnt 0x0
	ds_store_b32 v3, v2
.LBB260_5:
	s_or_b32 exec_lo, exec_lo, s8
	s_add_co_i32 s8, s17, 7
	s_wait_alu 0xfffe
	s_xor_b32 s3, s3, s4
	s_ashr_i32 s9, s8, 31
	s_lshl_b32 s30, s28, 6
	s_lshr_b32 s4, s9, 29
	s_mul_i32 s9, s5, s10
	s_add_co_i32 s8, s8, s4
	s_add_co_i32 s4, s30, 64
	s_ashr_i32 s29, s8, 3
	s_load_b32 s8, s[0:1], 0x48
	s_sub_co_i32 s2, s2, s9
	s_min_i32 s19, s4, s29
	s_add_co_i32 s4, s5, 1
	s_wait_alu 0xfffe
	s_sub_co_i32 s9, s2, s10
	s_cmp_ge_u32 s2, s10
	v_lshrrev_b32_e32 v11, 5, v0
	s_cselect_b32 s4, s4, s5
	s_cselect_b32 s2, s9, s2
	s_add_co_i32 s5, s4, 1
	s_wait_alu 0xfffe
	s_cmp_ge_u32 s2, s10
	v_or_b32_e32 v12, s30, v11
	s_cselect_b32 s2, s5, s4
	v_mbcnt_lo_u32_b32 v13, -1, 0
	s_wait_alu 0xfffe
	s_xor_b32 s2, s2, s3
	s_mov_b32 s4, exec_lo
	s_wait_alu 0xfffe
	s_sub_co_i32 s3, s2, s3
	v_cmp_gt_i32_e64 s2, s19, v12
	s_wait_dscnt 0x0
	s_barrier_signal -1
	s_wait_kmcnt 0x0
	s_mul_i32 s20, s8, s24
	s_barrier_wait -1
	s_ashr_i32 s21, s20, 31
	global_inv scope:SCOPE_SE
                                        ; implicit-def: $vgpr2
                                        ; implicit-def: $vgpr14
	v_cmpx_le_i32_e64 s19, v12
	s_xor_b32 s4, exec_lo, s4
; %bb.6:
	v_mov_b32_e32 v2, 0
	v_mbcnt_lo_u32_b32 v13, -1, 0
	v_mov_b32_e32 v14, 32
                                        ; implicit-def: $vgpr1
; %bb.7:
	s_or_saveexec_b32 s26, s4
	s_clause 0x2
	s_load_b32 s12, s[0:1], 0x98
	s_load_b64 s[22:23], s[0:1], 0x38
	s_load_b128 s[8:11], s[0:1], 0x68
	v_dual_mov_b32 v15, 0xff7fffff :: v_dual_lshlrev_b32 v10, 3, v11
	v_lshlrev_b32_e32 v9, 2, v12
	s_mul_i32 s14, s3, s14
	s_xor_b32 exec_lo, exec_lo, s26
	s_cbranch_execz .LBB260_525
; %bb.8:
	s_load_b64 s[4:5], s[0:1], 0x20
	v_bfe_u32 v3, v0, 2, 3
	v_mov_b32_e32 v2, 0
	v_dual_mov_b32 v15, 0xff7fffff :: v_dual_lshlrev_b32 v4, 1, v1
	v_dual_mov_b32 v19, v12 :: v_dual_lshlrev_b32 v16, 7, v1
	v_cmp_eq_u32_e32 vcc_lo, 0, v1
	v_lshlrev_b32_e32 v1, 4, v3
	v_dual_mov_b32 v14, 32 :: v_dual_lshlrev_b32 v5, 2, v3
	s_ashr_i32 s15, s14, 31
	s_cmp_neq_f32 s6, 0
	v_add3_u32 v17, s16, v10, v3
	s_delay_alu instid0(VALU_DEP_2)
	v_lshl_or_b32 v3, v11, 5, v5
	s_mov_b32 s27, s13
	s_cselect_b32 s3, -1, 0
	s_lshl_b64 s[34:35], s[20:21], 2
	s_sub_co_i32 s31, 1, s17
	s_wait_kmcnt 0x0
	s_add_nc_u64 s[34:35], s[22:23], s[34:35]
	s_add_nc_u64 s[4:5], s[4:5], s[14:15]
	v_add_nc_u32_e32 v18, 0x220, v3
	v_add_co_u32 v1, s4, s4, v1
	s_wait_alu 0xf1ff
	v_add_co_ci_u32_e64 v5, null, s5, 0, s4
	s_mov_b32 s15, 0
	v_add_co_u32 v3, s4, v1, v4
	s_wait_alu 0xf1ff
	v_add_co_ci_u32_e64 v4, null, 0, v5, s4
	v_add_co_u32 v5, s4, s34, v9
	s_wait_alu 0xf1ff
	v_add_co_ci_u32_e64 v6, null, s35, 0, s4
	s_branch .LBB260_10
.LBB260_9:                              ;   in Loop: Header=BB260_10 Depth=1
	s_wait_alu 0xfffe
	s_or_b32 exec_lo, exec_lo, s5
	v_add_nc_u32_e32 v19, 4, v19
	v_add_co_u32 v5, s5, v5, 16
	v_add_nc_u32_e32 v17, 32, v17
	v_add_nc_u32_e32 v18, 0x80, v18
	s_delay_alu instid0(VALU_DEP_4) | instskip(SKIP_3) | instid1(SALU_CYCLE_1)
	v_cmp_le_i32_e64 s4, s19, v19
	s_wait_alu 0xf1ff
	v_add_co_ci_u32_e64 v6, null, 0, v6, s5
	s_or_b32 s15, s4, s15
	s_and_not1_b32 exec_lo, exec_lo, s15
	s_cbranch_execz .LBB260_524
.LBB260_10:                             ; =>This Inner Loop Header: Depth=1
	global_load_b32 v1, v[5:6], off
	s_wait_loadcnt_dscnt 0x0
	v_mad_co_i64_i32 v[7:8], null, v1, s27, v[3:4]
	global_load_u16 v1, v[7:8], off
	s_wait_loadcnt 0x0
	v_dual_mov_b32 v21, 0 :: v_dual_and_b32 v22, 0xff, v1
	global_load_b32 v20, v21, s[8:9]
	v_and_b32_e32 v1, 0xffff, v1
	v_cmp_ne_u16_e64 s4, 0, v22
	v_mov_b32_e32 v22, 0
	s_and_saveexec_b32 s5, s4
	s_cbranch_execz .LBB260_18
; %bb.11:                               ;   in Loop: Header=BB260_10 Depth=1
	v_and_b32_e32 v22, 0xff, v1
	s_delay_alu instid0(VALU_DEP_1)
	v_cmp_ne_u16_e64 s4, 0x80, v22
	v_mov_b32_e32 v22, 0x8000
	s_and_saveexec_b32 s33, s4
	s_cbranch_execz .LBB260_17
; %bb.12:                               ;   in Loop: Header=BB260_10 Depth=1
	v_and_b32_e32 v24, 0x7f, v1
	v_mov_b32_e32 v22, 0x7c01
	s_mov_b32 s34, exec_lo
	s_delay_alu instid0(VALU_DEP_2)
	v_cmpx_ne_u32_e32 0x7f, v24
	s_cbranch_execz .LBB260_16
; %bb.13:                               ;   in Loop: Header=BB260_10 Depth=1
	v_and_b32_e32 v22, 7, v1
	v_lshrrev_b32_e32 v23, 3, v24
	s_mov_b32 s35, exec_lo
	v_cmpx_gt_u32_e32 8, v24
; %bb.14:                               ;   in Loop: Header=BB260_10 Depth=1
	s_delay_alu instid0(VALU_DEP_3) | instskip(NEXT) | instid1(VALU_DEP_1)
	v_clz_i32_u32_e32 v22, v22
	v_min_u32_e32 v24, 32, v22
	s_delay_alu instid0(VALU_DEP_1) | instskip(NEXT) | instid1(VALU_DEP_1)
	v_subrev_nc_u32_e32 v22, 28, v24
	v_lshlrev_b64_e32 v[22:23], v22, v[1:2]
	v_sub_nc_u32_e32 v23, 29, v24
	s_delay_alu instid0(VALU_DEP_2)
	v_and_b32_e32 v22, 7, v22
; %bb.15:                               ;   in Loop: Header=BB260_10 Depth=1
	s_wait_alu 0xfffe
	s_or_b32 exec_lo, exec_lo, s35
	v_lshlrev_b32_e32 v24, 8, v1
	v_lshl_add_u32 v23, v23, 10, 0x2000
	v_lshlrev_b32_e32 v22, 7, v22
	s_delay_alu instid0(VALU_DEP_3) | instskip(NEXT) | instid1(VALU_DEP_3)
	v_and_b32_e32 v24, 0x8000, v24
	v_and_b32_e32 v23, 0xfc00, v23
	s_delay_alu instid0(VALU_DEP_1)
	v_or3_b32 v22, v24, v23, v22
.LBB260_16:                             ;   in Loop: Header=BB260_10 Depth=1
	s_wait_alu 0xfffe
	s_or_b32 exec_lo, exec_lo, s34
.LBB260_17:                             ;   in Loop: Header=BB260_10 Depth=1
	s_delay_alu instid0(SALU_CYCLE_1)
	s_or_b32 exec_lo, exec_lo, s33
.LBB260_18:                             ;   in Loop: Header=BB260_10 Depth=1
	s_wait_alu 0xfffe
	s_or_b32 exec_lo, exec_lo, s5
	v_lshrrev_b16 v1, 8, v1
	s_mov_b32 s5, exec_lo
	s_delay_alu instid0(VALU_DEP_1)
	v_cmpx_ne_u16_e32 0, v1
	s_cbranch_execz .LBB260_26
; %bb.19:                               ;   in Loop: Header=BB260_10 Depth=1
	v_bfrev_b32_e32 v21, 1
	s_mov_b32 s33, exec_lo
	v_cmpx_ne_u16_e32 0x80, v1
	s_cbranch_execz .LBB260_25
; %bb.20:                               ;   in Loop: Header=BB260_10 Depth=1
	v_and_b32_e32 v23, 0xffff, v1
	v_mov_b32_e32 v21, 0x7c010000
	s_mov_b32 s34, exec_lo
	s_delay_alu instid0(VALU_DEP_2) | instskip(NEXT) | instid1(VALU_DEP_1)
	v_and_b32_e32 v25, 0x7f, v23
	v_cmpx_ne_u32_e32 0x7f, v25
	s_cbranch_execz .LBB260_24
; %bb.21:                               ;   in Loop: Header=BB260_10 Depth=1
	v_and_b32_e32 v21, 7, v23
	v_lshrrev_b32_e32 v24, 3, v25
	s_mov_b32 s35, exec_lo
	v_cmpx_gt_u32_e32 8, v25
; %bb.22:                               ;   in Loop: Header=BB260_10 Depth=1
	s_delay_alu instid0(VALU_DEP_3) | instskip(NEXT) | instid1(VALU_DEP_1)
	v_clz_i32_u32_e32 v21, v21
	v_min_u32_e32 v21, 32, v21
	s_delay_alu instid0(VALU_DEP_1) | instskip(NEXT) | instid1(VALU_DEP_1)
	v_subrev_nc_u32_e32 v24, 28, v21
	v_lshlrev_b64_e32 v[25:26], v24, v[1:2]
	v_sub_nc_u32_e32 v24, 29, v21
	s_delay_alu instid0(VALU_DEP_2)
	v_and_b32_e32 v21, 7, v25
; %bb.23:                               ;   in Loop: Header=BB260_10 Depth=1
	s_wait_alu 0xfffe
	s_or_b32 exec_lo, exec_lo, s35
	v_lshlrev_b32_e32 v1, 8, v23
	v_lshl_add_u32 v23, v24, 10, 0x2000
	v_lshlrev_b32_e32 v21, 23, v21
	s_delay_alu instid0(VALU_DEP_2) | instskip(NEXT) | instid1(VALU_DEP_1)
	v_and_or_b32 v1, 0x8000, v1, v23
	v_lshl_or_b32 v21, v1, 16, v21
.LBB260_24:                             ;   in Loop: Header=BB260_10 Depth=1
	s_wait_alu 0xfffe
	s_or_b32 exec_lo, exec_lo, s34
.LBB260_25:                             ;   in Loop: Header=BB260_10 Depth=1
	s_delay_alu instid0(SALU_CYCLE_1)
	s_or_b32 exec_lo, exec_lo, s33
.LBB260_26:                             ;   in Loop: Header=BB260_10 Depth=1
	s_wait_alu 0xfffe
	s_or_b32 exec_lo, exec_lo, s5
	global_load_u16 v1, v[7:8], off offset:8
	s_wait_loadcnt 0x0
	v_dual_mov_b32 v23, 0 :: v_dual_and_b32 v24, 0xff, v1
	v_and_b32_e32 v1, 0xffff, v1
	s_delay_alu instid0(VALU_DEP_2)
	v_cmp_ne_u16_e64 s4, 0, v24
	v_mov_b32_e32 v24, 0
	s_and_saveexec_b32 s5, s4
	s_cbranch_execz .LBB260_34
; %bb.27:                               ;   in Loop: Header=BB260_10 Depth=1
	v_and_b32_e32 v24, 0xff, v1
	s_delay_alu instid0(VALU_DEP_1)
	v_cmp_ne_u16_e64 s4, 0x80, v24
	v_mov_b32_e32 v24, 0x8000
	s_and_saveexec_b32 s33, s4
	s_cbranch_execz .LBB260_33
; %bb.28:                               ;   in Loop: Header=BB260_10 Depth=1
	v_and_b32_e32 v26, 0x7f, v1
	v_mov_b32_e32 v24, 0x7c01
	s_mov_b32 s34, exec_lo
	s_delay_alu instid0(VALU_DEP_2)
	v_cmpx_ne_u32_e32 0x7f, v26
	s_cbranch_execz .LBB260_32
; %bb.29:                               ;   in Loop: Header=BB260_10 Depth=1
	v_and_b32_e32 v24, 7, v1
	v_lshrrev_b32_e32 v25, 3, v26
	s_mov_b32 s35, exec_lo
	v_cmpx_gt_u32_e32 8, v26
; %bb.30:                               ;   in Loop: Header=BB260_10 Depth=1
	s_delay_alu instid0(VALU_DEP_3) | instskip(NEXT) | instid1(VALU_DEP_1)
	v_clz_i32_u32_e32 v24, v24
	v_min_u32_e32 v26, 32, v24
	s_delay_alu instid0(VALU_DEP_1) | instskip(NEXT) | instid1(VALU_DEP_1)
	v_subrev_nc_u32_e32 v24, 28, v26
	v_lshlrev_b64_e32 v[24:25], v24, v[1:2]
	v_sub_nc_u32_e32 v25, 29, v26
	s_delay_alu instid0(VALU_DEP_2)
	v_and_b32_e32 v24, 7, v24
; %bb.31:                               ;   in Loop: Header=BB260_10 Depth=1
	s_wait_alu 0xfffe
	s_or_b32 exec_lo, exec_lo, s35
	v_lshlrev_b32_e32 v26, 8, v1
	v_lshl_add_u32 v25, v25, 10, 0x2000
	v_lshlrev_b32_e32 v24, 7, v24
	s_delay_alu instid0(VALU_DEP_3) | instskip(NEXT) | instid1(VALU_DEP_3)
	v_and_b32_e32 v26, 0x8000, v26
	v_and_b32_e32 v25, 0xfc00, v25
	s_delay_alu instid0(VALU_DEP_1)
	v_or3_b32 v24, v26, v25, v24
.LBB260_32:                             ;   in Loop: Header=BB260_10 Depth=1
	s_wait_alu 0xfffe
	s_or_b32 exec_lo, exec_lo, s34
.LBB260_33:                             ;   in Loop: Header=BB260_10 Depth=1
	s_delay_alu instid0(SALU_CYCLE_1)
	s_or_b32 exec_lo, exec_lo, s33
.LBB260_34:                             ;   in Loop: Header=BB260_10 Depth=1
	s_wait_alu 0xfffe
	s_or_b32 exec_lo, exec_lo, s5
	v_lshrrev_b16 v1, 8, v1
	s_mov_b32 s5, exec_lo
	s_delay_alu instid0(VALU_DEP_1)
	v_cmpx_ne_u16_e32 0, v1
	s_cbranch_execz .LBB260_42
; %bb.35:                               ;   in Loop: Header=BB260_10 Depth=1
	v_bfrev_b32_e32 v23, 1
	s_mov_b32 s33, exec_lo
	v_cmpx_ne_u16_e32 0x80, v1
	s_cbranch_execz .LBB260_41
; %bb.36:                               ;   in Loop: Header=BB260_10 Depth=1
	v_and_b32_e32 v25, 0xffff, v1
	v_mov_b32_e32 v23, 0x7c010000
	s_mov_b32 s34, exec_lo
	s_delay_alu instid0(VALU_DEP_2) | instskip(NEXT) | instid1(VALU_DEP_1)
	v_and_b32_e32 v27, 0x7f, v25
	v_cmpx_ne_u32_e32 0x7f, v27
	s_cbranch_execz .LBB260_40
; %bb.37:                               ;   in Loop: Header=BB260_10 Depth=1
	v_and_b32_e32 v23, 7, v25
	v_lshrrev_b32_e32 v26, 3, v27
	s_mov_b32 s35, exec_lo
	v_cmpx_gt_u32_e32 8, v27
; %bb.38:                               ;   in Loop: Header=BB260_10 Depth=1
	s_delay_alu instid0(VALU_DEP_3) | instskip(NEXT) | instid1(VALU_DEP_1)
	v_clz_i32_u32_e32 v23, v23
	v_min_u32_e32 v23, 32, v23
	s_delay_alu instid0(VALU_DEP_1) | instskip(NEXT) | instid1(VALU_DEP_1)
	v_subrev_nc_u32_e32 v26, 28, v23
	v_lshlrev_b64_e32 v[27:28], v26, v[1:2]
	v_sub_nc_u32_e32 v26, 29, v23
	s_delay_alu instid0(VALU_DEP_2)
	v_and_b32_e32 v23, 7, v27
; %bb.39:                               ;   in Loop: Header=BB260_10 Depth=1
	s_wait_alu 0xfffe
	s_or_b32 exec_lo, exec_lo, s35
	v_lshlrev_b32_e32 v1, 8, v25
	v_lshl_add_u32 v25, v26, 10, 0x2000
	v_lshlrev_b32_e32 v23, 23, v23
	s_delay_alu instid0(VALU_DEP_2) | instskip(NEXT) | instid1(VALU_DEP_1)
	v_and_or_b32 v1, 0x8000, v1, v25
	v_lshl_or_b32 v23, v1, 16, v23
.LBB260_40:                             ;   in Loop: Header=BB260_10 Depth=1
	s_wait_alu 0xfffe
	s_or_b32 exec_lo, exec_lo, s34
.LBB260_41:                             ;   in Loop: Header=BB260_10 Depth=1
	s_delay_alu instid0(SALU_CYCLE_1)
	s_or_b32 exec_lo, exec_lo, s33
.LBB260_42:                             ;   in Loop: Header=BB260_10 Depth=1
	s_wait_alu 0xfffe
	s_or_b32 exec_lo, exec_lo, s5
	global_load_u16 v1, v[7:8], off offset:128
	s_wait_loadcnt 0x0
	v_dual_mov_b32 v25, 0 :: v_dual_and_b32 v26, 0xff, v1
	v_and_b32_e32 v1, 0xffff, v1
	s_delay_alu instid0(VALU_DEP_2)
	v_cmp_ne_u16_e64 s4, 0, v26
	v_mov_b32_e32 v26, 0
	s_and_saveexec_b32 s5, s4
	s_cbranch_execz .LBB260_50
; %bb.43:                               ;   in Loop: Header=BB260_10 Depth=1
	v_and_b32_e32 v26, 0xff, v1
	s_delay_alu instid0(VALU_DEP_1)
	v_cmp_ne_u16_e64 s4, 0x80, v26
	v_mov_b32_e32 v26, 0x8000
	s_and_saveexec_b32 s33, s4
	s_cbranch_execz .LBB260_49
; %bb.44:                               ;   in Loop: Header=BB260_10 Depth=1
	v_and_b32_e32 v28, 0x7f, v1
	v_mov_b32_e32 v26, 0x7c01
	s_mov_b32 s34, exec_lo
	s_delay_alu instid0(VALU_DEP_2)
	v_cmpx_ne_u32_e32 0x7f, v28
	s_cbranch_execz .LBB260_48
; %bb.45:                               ;   in Loop: Header=BB260_10 Depth=1
	v_and_b32_e32 v26, 7, v1
	v_lshrrev_b32_e32 v27, 3, v28
	s_mov_b32 s35, exec_lo
	v_cmpx_gt_u32_e32 8, v28
; %bb.46:                               ;   in Loop: Header=BB260_10 Depth=1
	s_delay_alu instid0(VALU_DEP_3) | instskip(NEXT) | instid1(VALU_DEP_1)
	v_clz_i32_u32_e32 v26, v26
	v_min_u32_e32 v28, 32, v26
	s_delay_alu instid0(VALU_DEP_1) | instskip(NEXT) | instid1(VALU_DEP_1)
	v_subrev_nc_u32_e32 v26, 28, v28
	v_lshlrev_b64_e32 v[26:27], v26, v[1:2]
	v_sub_nc_u32_e32 v27, 29, v28
	s_delay_alu instid0(VALU_DEP_2)
	v_and_b32_e32 v26, 7, v26
; %bb.47:                               ;   in Loop: Header=BB260_10 Depth=1
	s_wait_alu 0xfffe
	s_or_b32 exec_lo, exec_lo, s35
	v_lshlrev_b32_e32 v28, 8, v1
	v_lshl_add_u32 v27, v27, 10, 0x2000
	v_lshlrev_b32_e32 v26, 7, v26
	s_delay_alu instid0(VALU_DEP_3) | instskip(NEXT) | instid1(VALU_DEP_3)
	v_and_b32_e32 v28, 0x8000, v28
	v_and_b32_e32 v27, 0xfc00, v27
	s_delay_alu instid0(VALU_DEP_1)
	v_or3_b32 v26, v28, v27, v26
.LBB260_48:                             ;   in Loop: Header=BB260_10 Depth=1
	s_wait_alu 0xfffe
	s_or_b32 exec_lo, exec_lo, s34
.LBB260_49:                             ;   in Loop: Header=BB260_10 Depth=1
	s_delay_alu instid0(SALU_CYCLE_1)
	s_or_b32 exec_lo, exec_lo, s33
.LBB260_50:                             ;   in Loop: Header=BB260_10 Depth=1
	s_wait_alu 0xfffe
	s_or_b32 exec_lo, exec_lo, s5
	v_lshrrev_b16 v1, 8, v1
	s_mov_b32 s5, exec_lo
	s_delay_alu instid0(VALU_DEP_1)
	v_cmpx_ne_u16_e32 0, v1
	s_cbranch_execz .LBB260_58
; %bb.51:                               ;   in Loop: Header=BB260_10 Depth=1
	v_bfrev_b32_e32 v25, 1
	s_mov_b32 s33, exec_lo
	v_cmpx_ne_u16_e32 0x80, v1
	s_cbranch_execz .LBB260_57
; %bb.52:                               ;   in Loop: Header=BB260_10 Depth=1
	v_and_b32_e32 v27, 0xffff, v1
	v_mov_b32_e32 v25, 0x7c010000
	s_mov_b32 s34, exec_lo
	s_delay_alu instid0(VALU_DEP_2) | instskip(NEXT) | instid1(VALU_DEP_1)
	v_and_b32_e32 v29, 0x7f, v27
	v_cmpx_ne_u32_e32 0x7f, v29
	s_cbranch_execz .LBB260_56
; %bb.53:                               ;   in Loop: Header=BB260_10 Depth=1
	v_and_b32_e32 v25, 7, v27
	v_lshrrev_b32_e32 v28, 3, v29
	s_mov_b32 s35, exec_lo
	v_cmpx_gt_u32_e32 8, v29
; %bb.54:                               ;   in Loop: Header=BB260_10 Depth=1
	s_delay_alu instid0(VALU_DEP_3) | instskip(NEXT) | instid1(VALU_DEP_1)
	v_clz_i32_u32_e32 v25, v25
	v_min_u32_e32 v25, 32, v25
	s_delay_alu instid0(VALU_DEP_1) | instskip(NEXT) | instid1(VALU_DEP_1)
	v_subrev_nc_u32_e32 v28, 28, v25
	v_lshlrev_b64_e32 v[29:30], v28, v[1:2]
	v_sub_nc_u32_e32 v28, 29, v25
	s_delay_alu instid0(VALU_DEP_2)
	v_and_b32_e32 v25, 7, v29
; %bb.55:                               ;   in Loop: Header=BB260_10 Depth=1
	s_wait_alu 0xfffe
	s_or_b32 exec_lo, exec_lo, s35
	v_lshlrev_b32_e32 v1, 8, v27
	v_lshl_add_u32 v27, v28, 10, 0x2000
	v_lshlrev_b32_e32 v25, 23, v25
	s_delay_alu instid0(VALU_DEP_2) | instskip(NEXT) | instid1(VALU_DEP_1)
	v_and_or_b32 v1, 0x8000, v1, v27
	v_lshl_or_b32 v25, v1, 16, v25
.LBB260_56:                             ;   in Loop: Header=BB260_10 Depth=1
	s_wait_alu 0xfffe
	s_or_b32 exec_lo, exec_lo, s34
.LBB260_57:                             ;   in Loop: Header=BB260_10 Depth=1
	s_delay_alu instid0(SALU_CYCLE_1)
	s_or_b32 exec_lo, exec_lo, s33
.LBB260_58:                             ;   in Loop: Header=BB260_10 Depth=1
	s_wait_alu 0xfffe
	s_or_b32 exec_lo, exec_lo, s5
	global_load_u16 v1, v[7:8], off offset:136
	s_wait_loadcnt 0x0
	v_dual_mov_b32 v27, 0 :: v_dual_and_b32 v28, 0xff, v1
	v_and_b32_e32 v1, 0xffff, v1
	s_delay_alu instid0(VALU_DEP_2)
	v_cmp_ne_u16_e64 s4, 0, v28
	v_mov_b32_e32 v28, 0
	s_and_saveexec_b32 s5, s4
	s_cbranch_execz .LBB260_66
; %bb.59:                               ;   in Loop: Header=BB260_10 Depth=1
	v_and_b32_e32 v28, 0xff, v1
	s_delay_alu instid0(VALU_DEP_1)
	v_cmp_ne_u16_e64 s4, 0x80, v28
	v_mov_b32_e32 v28, 0x8000
	s_and_saveexec_b32 s33, s4
	s_cbranch_execz .LBB260_65
; %bb.60:                               ;   in Loop: Header=BB260_10 Depth=1
	v_and_b32_e32 v30, 0x7f, v1
	v_mov_b32_e32 v28, 0x7c01
	s_mov_b32 s34, exec_lo
	s_delay_alu instid0(VALU_DEP_2)
	v_cmpx_ne_u32_e32 0x7f, v30
	s_cbranch_execz .LBB260_64
; %bb.61:                               ;   in Loop: Header=BB260_10 Depth=1
	v_and_b32_e32 v28, 7, v1
	v_lshrrev_b32_e32 v29, 3, v30
	s_mov_b32 s35, exec_lo
	v_cmpx_gt_u32_e32 8, v30
; %bb.62:                               ;   in Loop: Header=BB260_10 Depth=1
	s_delay_alu instid0(VALU_DEP_3) | instskip(NEXT) | instid1(VALU_DEP_1)
	v_clz_i32_u32_e32 v28, v28
	v_min_u32_e32 v30, 32, v28
	s_delay_alu instid0(VALU_DEP_1) | instskip(NEXT) | instid1(VALU_DEP_1)
	v_subrev_nc_u32_e32 v28, 28, v30
	v_lshlrev_b64_e32 v[28:29], v28, v[1:2]
	v_sub_nc_u32_e32 v29, 29, v30
	s_delay_alu instid0(VALU_DEP_2)
	v_and_b32_e32 v28, 7, v28
; %bb.63:                               ;   in Loop: Header=BB260_10 Depth=1
	s_wait_alu 0xfffe
	s_or_b32 exec_lo, exec_lo, s35
	v_lshlrev_b32_e32 v30, 8, v1
	v_lshl_add_u32 v29, v29, 10, 0x2000
	v_lshlrev_b32_e32 v28, 7, v28
	s_delay_alu instid0(VALU_DEP_3) | instskip(NEXT) | instid1(VALU_DEP_3)
	v_and_b32_e32 v30, 0x8000, v30
	v_and_b32_e32 v29, 0xfc00, v29
	s_delay_alu instid0(VALU_DEP_1)
	v_or3_b32 v28, v30, v29, v28
.LBB260_64:                             ;   in Loop: Header=BB260_10 Depth=1
	s_wait_alu 0xfffe
	s_or_b32 exec_lo, exec_lo, s34
.LBB260_65:                             ;   in Loop: Header=BB260_10 Depth=1
	s_delay_alu instid0(SALU_CYCLE_1)
	s_or_b32 exec_lo, exec_lo, s33
.LBB260_66:                             ;   in Loop: Header=BB260_10 Depth=1
	s_wait_alu 0xfffe
	s_or_b32 exec_lo, exec_lo, s5
	v_lshrrev_b16 v1, 8, v1
	s_mov_b32 s5, exec_lo
	s_delay_alu instid0(VALU_DEP_1)
	v_cmpx_ne_u16_e32 0, v1
	s_cbranch_execz .LBB260_74
; %bb.67:                               ;   in Loop: Header=BB260_10 Depth=1
	v_bfrev_b32_e32 v27, 1
	s_mov_b32 s33, exec_lo
	v_cmpx_ne_u16_e32 0x80, v1
	s_cbranch_execz .LBB260_73
; %bb.68:                               ;   in Loop: Header=BB260_10 Depth=1
	v_and_b32_e32 v29, 0xffff, v1
	v_mov_b32_e32 v27, 0x7c010000
	s_mov_b32 s34, exec_lo
	s_delay_alu instid0(VALU_DEP_2) | instskip(NEXT) | instid1(VALU_DEP_1)
	v_and_b32_e32 v31, 0x7f, v29
	v_cmpx_ne_u32_e32 0x7f, v31
	s_cbranch_execz .LBB260_72
; %bb.69:                               ;   in Loop: Header=BB260_10 Depth=1
	v_and_b32_e32 v27, 7, v29
	v_lshrrev_b32_e32 v30, 3, v31
	s_mov_b32 s35, exec_lo
	v_cmpx_gt_u32_e32 8, v31
; %bb.70:                               ;   in Loop: Header=BB260_10 Depth=1
	s_delay_alu instid0(VALU_DEP_3) | instskip(NEXT) | instid1(VALU_DEP_1)
	v_clz_i32_u32_e32 v27, v27
	v_min_u32_e32 v27, 32, v27
	s_delay_alu instid0(VALU_DEP_1) | instskip(NEXT) | instid1(VALU_DEP_1)
	v_subrev_nc_u32_e32 v30, 28, v27
	v_lshlrev_b64_e32 v[31:32], v30, v[1:2]
	v_sub_nc_u32_e32 v30, 29, v27
	s_delay_alu instid0(VALU_DEP_2)
	v_and_b32_e32 v27, 7, v31
; %bb.71:                               ;   in Loop: Header=BB260_10 Depth=1
	s_wait_alu 0xfffe
	s_or_b32 exec_lo, exec_lo, s35
	v_lshlrev_b32_e32 v1, 8, v29
	v_lshl_add_u32 v29, v30, 10, 0x2000
	v_lshlrev_b32_e32 v27, 23, v27
	s_delay_alu instid0(VALU_DEP_2) | instskip(NEXT) | instid1(VALU_DEP_1)
	v_and_or_b32 v1, 0x8000, v1, v29
	v_lshl_or_b32 v27, v1, 16, v27
.LBB260_72:                             ;   in Loop: Header=BB260_10 Depth=1
	s_wait_alu 0xfffe
	s_or_b32 exec_lo, exec_lo, s34
.LBB260_73:                             ;   in Loop: Header=BB260_10 Depth=1
	s_delay_alu instid0(SALU_CYCLE_1)
	s_or_b32 exec_lo, exec_lo, s33
.LBB260_74:                             ;   in Loop: Header=BB260_10 Depth=1
	s_wait_alu 0xfffe
	s_or_b32 exec_lo, exec_lo, s5
	global_load_u16 v1, v[7:8], off offset:256
	s_wait_loadcnt 0x0
	v_dual_mov_b32 v29, 0 :: v_dual_and_b32 v30, 0xff, v1
	v_and_b32_e32 v1, 0xffff, v1
	s_delay_alu instid0(VALU_DEP_2)
	v_cmp_ne_u16_e64 s4, 0, v30
	v_mov_b32_e32 v30, 0
	s_and_saveexec_b32 s5, s4
	s_cbranch_execz .LBB260_82
; %bb.75:                               ;   in Loop: Header=BB260_10 Depth=1
	v_and_b32_e32 v30, 0xff, v1
	s_delay_alu instid0(VALU_DEP_1)
	v_cmp_ne_u16_e64 s4, 0x80, v30
	v_mov_b32_e32 v30, 0x8000
	s_and_saveexec_b32 s33, s4
	s_cbranch_execz .LBB260_81
; %bb.76:                               ;   in Loop: Header=BB260_10 Depth=1
	v_and_b32_e32 v32, 0x7f, v1
	v_mov_b32_e32 v30, 0x7c01
	s_mov_b32 s34, exec_lo
	s_delay_alu instid0(VALU_DEP_2)
	v_cmpx_ne_u32_e32 0x7f, v32
	s_cbranch_execz .LBB260_80
; %bb.77:                               ;   in Loop: Header=BB260_10 Depth=1
	v_and_b32_e32 v30, 7, v1
	v_lshrrev_b32_e32 v31, 3, v32
	s_mov_b32 s35, exec_lo
	v_cmpx_gt_u32_e32 8, v32
; %bb.78:                               ;   in Loop: Header=BB260_10 Depth=1
	s_delay_alu instid0(VALU_DEP_3) | instskip(NEXT) | instid1(VALU_DEP_1)
	v_clz_i32_u32_e32 v30, v30
	v_min_u32_e32 v32, 32, v30
	s_delay_alu instid0(VALU_DEP_1) | instskip(NEXT) | instid1(VALU_DEP_1)
	v_subrev_nc_u32_e32 v30, 28, v32
	v_lshlrev_b64_e32 v[30:31], v30, v[1:2]
	v_sub_nc_u32_e32 v31, 29, v32
	s_delay_alu instid0(VALU_DEP_2)
	v_and_b32_e32 v30, 7, v30
; %bb.79:                               ;   in Loop: Header=BB260_10 Depth=1
	s_wait_alu 0xfffe
	s_or_b32 exec_lo, exec_lo, s35
	v_lshlrev_b32_e32 v32, 8, v1
	v_lshl_add_u32 v31, v31, 10, 0x2000
	v_lshlrev_b32_e32 v30, 7, v30
	s_delay_alu instid0(VALU_DEP_3) | instskip(NEXT) | instid1(VALU_DEP_3)
	v_and_b32_e32 v32, 0x8000, v32
	v_and_b32_e32 v31, 0xfc00, v31
	s_delay_alu instid0(VALU_DEP_1)
	v_or3_b32 v30, v32, v31, v30
.LBB260_80:                             ;   in Loop: Header=BB260_10 Depth=1
	s_wait_alu 0xfffe
	s_or_b32 exec_lo, exec_lo, s34
.LBB260_81:                             ;   in Loop: Header=BB260_10 Depth=1
	s_delay_alu instid0(SALU_CYCLE_1)
	s_or_b32 exec_lo, exec_lo, s33
.LBB260_82:                             ;   in Loop: Header=BB260_10 Depth=1
	s_wait_alu 0xfffe
	s_or_b32 exec_lo, exec_lo, s5
	v_lshrrev_b16 v1, 8, v1
	s_mov_b32 s5, exec_lo
	s_delay_alu instid0(VALU_DEP_1)
	v_cmpx_ne_u16_e32 0, v1
	s_cbranch_execz .LBB260_90
; %bb.83:                               ;   in Loop: Header=BB260_10 Depth=1
	v_bfrev_b32_e32 v29, 1
	s_mov_b32 s33, exec_lo
	v_cmpx_ne_u16_e32 0x80, v1
	s_cbranch_execz .LBB260_89
; %bb.84:                               ;   in Loop: Header=BB260_10 Depth=1
	v_and_b32_e32 v31, 0xffff, v1
	v_mov_b32_e32 v29, 0x7c010000
	s_mov_b32 s34, exec_lo
	s_delay_alu instid0(VALU_DEP_2) | instskip(NEXT) | instid1(VALU_DEP_1)
	v_and_b32_e32 v33, 0x7f, v31
	v_cmpx_ne_u32_e32 0x7f, v33
	s_cbranch_execz .LBB260_88
; %bb.85:                               ;   in Loop: Header=BB260_10 Depth=1
	v_and_b32_e32 v29, 7, v31
	v_lshrrev_b32_e32 v32, 3, v33
	s_mov_b32 s35, exec_lo
	v_cmpx_gt_u32_e32 8, v33
; %bb.86:                               ;   in Loop: Header=BB260_10 Depth=1
	s_delay_alu instid0(VALU_DEP_3) | instskip(NEXT) | instid1(VALU_DEP_1)
	v_clz_i32_u32_e32 v29, v29
	v_min_u32_e32 v29, 32, v29
	s_delay_alu instid0(VALU_DEP_1) | instskip(NEXT) | instid1(VALU_DEP_1)
	v_subrev_nc_u32_e32 v32, 28, v29
	v_lshlrev_b64_e32 v[33:34], v32, v[1:2]
	v_sub_nc_u32_e32 v32, 29, v29
	s_delay_alu instid0(VALU_DEP_2)
	v_and_b32_e32 v29, 7, v33
; %bb.87:                               ;   in Loop: Header=BB260_10 Depth=1
	s_wait_alu 0xfffe
	s_or_b32 exec_lo, exec_lo, s35
	v_lshlrev_b32_e32 v1, 8, v31
	v_lshl_add_u32 v31, v32, 10, 0x2000
	v_lshlrev_b32_e32 v29, 23, v29
	s_delay_alu instid0(VALU_DEP_2) | instskip(NEXT) | instid1(VALU_DEP_1)
	v_and_or_b32 v1, 0x8000, v1, v31
	v_lshl_or_b32 v29, v1, 16, v29
.LBB260_88:                             ;   in Loop: Header=BB260_10 Depth=1
	s_wait_alu 0xfffe
	s_or_b32 exec_lo, exec_lo, s34
.LBB260_89:                             ;   in Loop: Header=BB260_10 Depth=1
	s_delay_alu instid0(SALU_CYCLE_1)
	s_or_b32 exec_lo, exec_lo, s33
.LBB260_90:                             ;   in Loop: Header=BB260_10 Depth=1
	s_wait_alu 0xfffe
	s_or_b32 exec_lo, exec_lo, s5
	global_load_u16 v1, v[7:8], off offset:264
	s_wait_loadcnt 0x0
	v_dual_mov_b32 v31, 0 :: v_dual_and_b32 v32, 0xff, v1
	v_and_b32_e32 v1, 0xffff, v1
	s_delay_alu instid0(VALU_DEP_2)
	v_cmp_ne_u16_e64 s4, 0, v32
	v_mov_b32_e32 v32, 0
	s_and_saveexec_b32 s5, s4
	s_cbranch_execz .LBB260_98
; %bb.91:                               ;   in Loop: Header=BB260_10 Depth=1
	v_and_b32_e32 v32, 0xff, v1
	s_delay_alu instid0(VALU_DEP_1)
	v_cmp_ne_u16_e64 s4, 0x80, v32
	v_mov_b32_e32 v32, 0x8000
	s_and_saveexec_b32 s33, s4
	s_cbranch_execz .LBB260_97
; %bb.92:                               ;   in Loop: Header=BB260_10 Depth=1
	v_and_b32_e32 v34, 0x7f, v1
	v_mov_b32_e32 v32, 0x7c01
	s_mov_b32 s34, exec_lo
	s_delay_alu instid0(VALU_DEP_2)
	v_cmpx_ne_u32_e32 0x7f, v34
	s_cbranch_execz .LBB260_96
; %bb.93:                               ;   in Loop: Header=BB260_10 Depth=1
	v_and_b32_e32 v32, 7, v1
	v_lshrrev_b32_e32 v33, 3, v34
	s_mov_b32 s35, exec_lo
	v_cmpx_gt_u32_e32 8, v34
; %bb.94:                               ;   in Loop: Header=BB260_10 Depth=1
	s_delay_alu instid0(VALU_DEP_3) | instskip(NEXT) | instid1(VALU_DEP_1)
	v_clz_i32_u32_e32 v32, v32
	v_min_u32_e32 v34, 32, v32
	s_delay_alu instid0(VALU_DEP_1) | instskip(NEXT) | instid1(VALU_DEP_1)
	v_subrev_nc_u32_e32 v32, 28, v34
	v_lshlrev_b64_e32 v[32:33], v32, v[1:2]
	v_sub_nc_u32_e32 v33, 29, v34
	s_delay_alu instid0(VALU_DEP_2)
	v_and_b32_e32 v32, 7, v32
; %bb.95:                               ;   in Loop: Header=BB260_10 Depth=1
	s_wait_alu 0xfffe
	s_or_b32 exec_lo, exec_lo, s35
	v_lshlrev_b32_e32 v34, 8, v1
	v_lshl_add_u32 v33, v33, 10, 0x2000
	v_lshlrev_b32_e32 v32, 7, v32
	s_delay_alu instid0(VALU_DEP_3) | instskip(NEXT) | instid1(VALU_DEP_3)
	v_and_b32_e32 v34, 0x8000, v34
	v_and_b32_e32 v33, 0xfc00, v33
	s_delay_alu instid0(VALU_DEP_1)
	v_or3_b32 v32, v34, v33, v32
.LBB260_96:                             ;   in Loop: Header=BB260_10 Depth=1
	s_wait_alu 0xfffe
	s_or_b32 exec_lo, exec_lo, s34
.LBB260_97:                             ;   in Loop: Header=BB260_10 Depth=1
	s_delay_alu instid0(SALU_CYCLE_1)
	s_or_b32 exec_lo, exec_lo, s33
.LBB260_98:                             ;   in Loop: Header=BB260_10 Depth=1
	s_wait_alu 0xfffe
	s_or_b32 exec_lo, exec_lo, s5
	v_lshrrev_b16 v1, 8, v1
	s_mov_b32 s5, exec_lo
	s_delay_alu instid0(VALU_DEP_1)
	v_cmpx_ne_u16_e32 0, v1
	s_cbranch_execz .LBB260_106
; %bb.99:                               ;   in Loop: Header=BB260_10 Depth=1
	v_bfrev_b32_e32 v31, 1
	s_mov_b32 s33, exec_lo
	v_cmpx_ne_u16_e32 0x80, v1
	s_cbranch_execz .LBB260_105
; %bb.100:                              ;   in Loop: Header=BB260_10 Depth=1
	v_and_b32_e32 v33, 0xffff, v1
	v_mov_b32_e32 v31, 0x7c010000
	s_mov_b32 s34, exec_lo
	s_delay_alu instid0(VALU_DEP_2) | instskip(NEXT) | instid1(VALU_DEP_1)
	v_and_b32_e32 v35, 0x7f, v33
	v_cmpx_ne_u32_e32 0x7f, v35
	s_cbranch_execz .LBB260_104
; %bb.101:                              ;   in Loop: Header=BB260_10 Depth=1
	v_and_b32_e32 v31, 7, v33
	v_lshrrev_b32_e32 v34, 3, v35
	s_mov_b32 s35, exec_lo
	v_cmpx_gt_u32_e32 8, v35
; %bb.102:                              ;   in Loop: Header=BB260_10 Depth=1
	s_delay_alu instid0(VALU_DEP_3) | instskip(NEXT) | instid1(VALU_DEP_1)
	v_clz_i32_u32_e32 v31, v31
	v_min_u32_e32 v31, 32, v31
	s_delay_alu instid0(VALU_DEP_1) | instskip(NEXT) | instid1(VALU_DEP_1)
	v_subrev_nc_u32_e32 v34, 28, v31
	v_lshlrev_b64_e32 v[35:36], v34, v[1:2]
	v_sub_nc_u32_e32 v34, 29, v31
	s_delay_alu instid0(VALU_DEP_2)
	v_and_b32_e32 v31, 7, v35
; %bb.103:                              ;   in Loop: Header=BB260_10 Depth=1
	s_wait_alu 0xfffe
	s_or_b32 exec_lo, exec_lo, s35
	v_lshlrev_b32_e32 v1, 8, v33
	v_lshl_add_u32 v33, v34, 10, 0x2000
	v_lshlrev_b32_e32 v31, 23, v31
	s_delay_alu instid0(VALU_DEP_2) | instskip(NEXT) | instid1(VALU_DEP_1)
	v_and_or_b32 v1, 0x8000, v1, v33
	v_lshl_or_b32 v31, v1, 16, v31
.LBB260_104:                            ;   in Loop: Header=BB260_10 Depth=1
	s_wait_alu 0xfffe
	s_or_b32 exec_lo, exec_lo, s34
.LBB260_105:                            ;   in Loop: Header=BB260_10 Depth=1
	s_delay_alu instid0(SALU_CYCLE_1)
	s_or_b32 exec_lo, exec_lo, s33
.LBB260_106:                            ;   in Loop: Header=BB260_10 Depth=1
	s_wait_alu 0xfffe
	s_or_b32 exec_lo, exec_lo, s5
	global_load_u16 v1, v[7:8], off offset:384
	s_wait_loadcnt 0x0
	v_dual_mov_b32 v33, 0 :: v_dual_and_b32 v34, 0xff, v1
	v_and_b32_e32 v1, 0xffff, v1
	s_delay_alu instid0(VALU_DEP_2)
	v_cmp_ne_u16_e64 s4, 0, v34
	v_mov_b32_e32 v34, 0
	s_and_saveexec_b32 s5, s4
	s_cbranch_execz .LBB260_114
; %bb.107:                              ;   in Loop: Header=BB260_10 Depth=1
	v_and_b32_e32 v34, 0xff, v1
	s_delay_alu instid0(VALU_DEP_1)
	v_cmp_ne_u16_e64 s4, 0x80, v34
	v_mov_b32_e32 v34, 0x8000
	s_and_saveexec_b32 s33, s4
	s_cbranch_execz .LBB260_113
; %bb.108:                              ;   in Loop: Header=BB260_10 Depth=1
	v_and_b32_e32 v36, 0x7f, v1
	v_mov_b32_e32 v34, 0x7c01
	s_mov_b32 s34, exec_lo
	s_delay_alu instid0(VALU_DEP_2)
	v_cmpx_ne_u32_e32 0x7f, v36
	s_cbranch_execz .LBB260_112
; %bb.109:                              ;   in Loop: Header=BB260_10 Depth=1
	v_and_b32_e32 v34, 7, v1
	v_lshrrev_b32_e32 v35, 3, v36
	s_mov_b32 s35, exec_lo
	v_cmpx_gt_u32_e32 8, v36
; %bb.110:                              ;   in Loop: Header=BB260_10 Depth=1
	s_delay_alu instid0(VALU_DEP_3) | instskip(NEXT) | instid1(VALU_DEP_1)
	v_clz_i32_u32_e32 v34, v34
	v_min_u32_e32 v36, 32, v34
	s_delay_alu instid0(VALU_DEP_1) | instskip(NEXT) | instid1(VALU_DEP_1)
	v_subrev_nc_u32_e32 v34, 28, v36
	v_lshlrev_b64_e32 v[34:35], v34, v[1:2]
	v_sub_nc_u32_e32 v35, 29, v36
	s_delay_alu instid0(VALU_DEP_2)
	v_and_b32_e32 v34, 7, v34
; %bb.111:                              ;   in Loop: Header=BB260_10 Depth=1
	s_wait_alu 0xfffe
	s_or_b32 exec_lo, exec_lo, s35
	v_lshlrev_b32_e32 v36, 8, v1
	v_lshl_add_u32 v35, v35, 10, 0x2000
	v_lshlrev_b32_e32 v34, 7, v34
	s_delay_alu instid0(VALU_DEP_3) | instskip(NEXT) | instid1(VALU_DEP_3)
	v_and_b32_e32 v36, 0x8000, v36
	v_and_b32_e32 v35, 0xfc00, v35
	s_delay_alu instid0(VALU_DEP_1)
	v_or3_b32 v34, v36, v35, v34
.LBB260_112:                            ;   in Loop: Header=BB260_10 Depth=1
	s_wait_alu 0xfffe
	s_or_b32 exec_lo, exec_lo, s34
.LBB260_113:                            ;   in Loop: Header=BB260_10 Depth=1
	s_delay_alu instid0(SALU_CYCLE_1)
	s_or_b32 exec_lo, exec_lo, s33
.LBB260_114:                            ;   in Loop: Header=BB260_10 Depth=1
	s_wait_alu 0xfffe
	s_or_b32 exec_lo, exec_lo, s5
	v_lshrrev_b16 v1, 8, v1
	s_mov_b32 s5, exec_lo
	s_delay_alu instid0(VALU_DEP_1)
	v_cmpx_ne_u16_e32 0, v1
	s_cbranch_execz .LBB260_122
; %bb.115:                              ;   in Loop: Header=BB260_10 Depth=1
	v_bfrev_b32_e32 v33, 1
	s_mov_b32 s33, exec_lo
	v_cmpx_ne_u16_e32 0x80, v1
	s_cbranch_execz .LBB260_121
; %bb.116:                              ;   in Loop: Header=BB260_10 Depth=1
	v_and_b32_e32 v35, 0xffff, v1
	v_mov_b32_e32 v33, 0x7c010000
	s_mov_b32 s34, exec_lo
	s_delay_alu instid0(VALU_DEP_2) | instskip(NEXT) | instid1(VALU_DEP_1)
	v_and_b32_e32 v37, 0x7f, v35
	v_cmpx_ne_u32_e32 0x7f, v37
	s_cbranch_execz .LBB260_120
; %bb.117:                              ;   in Loop: Header=BB260_10 Depth=1
	v_and_b32_e32 v33, 7, v35
	v_lshrrev_b32_e32 v36, 3, v37
	s_mov_b32 s35, exec_lo
	v_cmpx_gt_u32_e32 8, v37
; %bb.118:                              ;   in Loop: Header=BB260_10 Depth=1
	s_delay_alu instid0(VALU_DEP_3) | instskip(NEXT) | instid1(VALU_DEP_1)
	v_clz_i32_u32_e32 v33, v33
	v_min_u32_e32 v33, 32, v33
	s_delay_alu instid0(VALU_DEP_1) | instskip(NEXT) | instid1(VALU_DEP_1)
	v_subrev_nc_u32_e32 v36, 28, v33
	v_lshlrev_b64_e32 v[37:38], v36, v[1:2]
	v_sub_nc_u32_e32 v36, 29, v33
	s_delay_alu instid0(VALU_DEP_2)
	v_and_b32_e32 v33, 7, v37
; %bb.119:                              ;   in Loop: Header=BB260_10 Depth=1
	s_wait_alu 0xfffe
	s_or_b32 exec_lo, exec_lo, s35
	v_lshlrev_b32_e32 v1, 8, v35
	v_lshl_add_u32 v35, v36, 10, 0x2000
	v_lshlrev_b32_e32 v33, 23, v33
	s_delay_alu instid0(VALU_DEP_2) | instskip(NEXT) | instid1(VALU_DEP_1)
	v_and_or_b32 v1, 0x8000, v1, v35
	v_lshl_or_b32 v33, v1, 16, v33
.LBB260_120:                            ;   in Loop: Header=BB260_10 Depth=1
	s_wait_alu 0xfffe
	s_or_b32 exec_lo, exec_lo, s34
.LBB260_121:                            ;   in Loop: Header=BB260_10 Depth=1
	s_delay_alu instid0(SALU_CYCLE_1)
	s_or_b32 exec_lo, exec_lo, s33
.LBB260_122:                            ;   in Loop: Header=BB260_10 Depth=1
	s_wait_alu 0xfffe
	s_or_b32 exec_lo, exec_lo, s5
	global_load_u16 v1, v[7:8], off offset:392
	s_wait_loadcnt 0x0
	v_dual_mov_b32 v35, 0 :: v_dual_and_b32 v36, 0xff, v1
	v_and_b32_e32 v1, 0xffff, v1
	s_delay_alu instid0(VALU_DEP_2)
	v_cmp_ne_u16_e64 s4, 0, v36
	v_mov_b32_e32 v36, 0
	s_and_saveexec_b32 s5, s4
	s_cbranch_execz .LBB260_130
; %bb.123:                              ;   in Loop: Header=BB260_10 Depth=1
	v_and_b32_e32 v36, 0xff, v1
	s_delay_alu instid0(VALU_DEP_1)
	v_cmp_ne_u16_e64 s4, 0x80, v36
	v_mov_b32_e32 v36, 0x8000
	s_and_saveexec_b32 s33, s4
	s_cbranch_execz .LBB260_129
; %bb.124:                              ;   in Loop: Header=BB260_10 Depth=1
	v_and_b32_e32 v38, 0x7f, v1
	v_mov_b32_e32 v36, 0x7c01
	s_mov_b32 s34, exec_lo
	s_delay_alu instid0(VALU_DEP_2)
	v_cmpx_ne_u32_e32 0x7f, v38
	s_cbranch_execz .LBB260_128
; %bb.125:                              ;   in Loop: Header=BB260_10 Depth=1
	v_and_b32_e32 v36, 7, v1
	v_lshrrev_b32_e32 v37, 3, v38
	s_mov_b32 s35, exec_lo
	v_cmpx_gt_u32_e32 8, v38
; %bb.126:                              ;   in Loop: Header=BB260_10 Depth=1
	s_delay_alu instid0(VALU_DEP_3) | instskip(NEXT) | instid1(VALU_DEP_1)
	v_clz_i32_u32_e32 v36, v36
	v_min_u32_e32 v38, 32, v36
	s_delay_alu instid0(VALU_DEP_1) | instskip(NEXT) | instid1(VALU_DEP_1)
	v_subrev_nc_u32_e32 v36, 28, v38
	v_lshlrev_b64_e32 v[36:37], v36, v[1:2]
	v_sub_nc_u32_e32 v37, 29, v38
	s_delay_alu instid0(VALU_DEP_2)
	v_and_b32_e32 v36, 7, v36
; %bb.127:                              ;   in Loop: Header=BB260_10 Depth=1
	s_wait_alu 0xfffe
	s_or_b32 exec_lo, exec_lo, s35
	v_lshlrev_b32_e32 v38, 8, v1
	v_lshl_add_u32 v37, v37, 10, 0x2000
	v_lshlrev_b32_e32 v36, 7, v36
	s_delay_alu instid0(VALU_DEP_3) | instskip(NEXT) | instid1(VALU_DEP_3)
	v_and_b32_e32 v38, 0x8000, v38
	v_and_b32_e32 v37, 0xfc00, v37
	s_delay_alu instid0(VALU_DEP_1)
	v_or3_b32 v36, v38, v37, v36
.LBB260_128:                            ;   in Loop: Header=BB260_10 Depth=1
	s_wait_alu 0xfffe
	s_or_b32 exec_lo, exec_lo, s34
.LBB260_129:                            ;   in Loop: Header=BB260_10 Depth=1
	s_delay_alu instid0(SALU_CYCLE_1)
	s_or_b32 exec_lo, exec_lo, s33
.LBB260_130:                            ;   in Loop: Header=BB260_10 Depth=1
	s_wait_alu 0xfffe
	s_or_b32 exec_lo, exec_lo, s5
	v_lshrrev_b16 v1, 8, v1
	s_mov_b32 s5, exec_lo
	s_delay_alu instid0(VALU_DEP_1)
	v_cmpx_ne_u16_e32 0, v1
	s_cbranch_execz .LBB260_138
; %bb.131:                              ;   in Loop: Header=BB260_10 Depth=1
	v_bfrev_b32_e32 v35, 1
	s_mov_b32 s33, exec_lo
	v_cmpx_ne_u16_e32 0x80, v1
	s_cbranch_execz .LBB260_137
; %bb.132:                              ;   in Loop: Header=BB260_10 Depth=1
	v_and_b32_e32 v37, 0xffff, v1
	v_mov_b32_e32 v35, 0x7c010000
	s_mov_b32 s34, exec_lo
	s_delay_alu instid0(VALU_DEP_2) | instskip(NEXT) | instid1(VALU_DEP_1)
	v_and_b32_e32 v39, 0x7f, v37
	v_cmpx_ne_u32_e32 0x7f, v39
	s_cbranch_execz .LBB260_136
; %bb.133:                              ;   in Loop: Header=BB260_10 Depth=1
	v_and_b32_e32 v35, 7, v37
	v_lshrrev_b32_e32 v38, 3, v39
	s_mov_b32 s35, exec_lo
	v_cmpx_gt_u32_e32 8, v39
; %bb.134:                              ;   in Loop: Header=BB260_10 Depth=1
	s_delay_alu instid0(VALU_DEP_3) | instskip(NEXT) | instid1(VALU_DEP_1)
	v_clz_i32_u32_e32 v35, v35
	v_min_u32_e32 v35, 32, v35
	s_delay_alu instid0(VALU_DEP_1) | instskip(NEXT) | instid1(VALU_DEP_1)
	v_subrev_nc_u32_e32 v38, 28, v35
	v_lshlrev_b64_e32 v[39:40], v38, v[1:2]
	v_sub_nc_u32_e32 v38, 29, v35
	s_delay_alu instid0(VALU_DEP_2)
	v_and_b32_e32 v35, 7, v39
; %bb.135:                              ;   in Loop: Header=BB260_10 Depth=1
	s_wait_alu 0xfffe
	s_or_b32 exec_lo, exec_lo, s35
	v_lshlrev_b32_e32 v1, 8, v37
	v_lshl_add_u32 v37, v38, 10, 0x2000
	v_lshlrev_b32_e32 v35, 23, v35
	s_delay_alu instid0(VALU_DEP_2) | instskip(NEXT) | instid1(VALU_DEP_1)
	v_and_or_b32 v1, 0x8000, v1, v37
	v_lshl_or_b32 v35, v1, 16, v35
.LBB260_136:                            ;   in Loop: Header=BB260_10 Depth=1
	s_wait_alu 0xfffe
	s_or_b32 exec_lo, exec_lo, s34
.LBB260_137:                            ;   in Loop: Header=BB260_10 Depth=1
	s_delay_alu instid0(SALU_CYCLE_1)
	s_or_b32 exec_lo, exec_lo, s33
.LBB260_138:                            ;   in Loop: Header=BB260_10 Depth=1
	s_wait_alu 0xfffe
	s_or_b32 exec_lo, exec_lo, s5
	global_load_u16 v1, v[7:8], off offset:512
	s_wait_loadcnt 0x0
	v_dual_mov_b32 v37, 0 :: v_dual_and_b32 v38, 0xff, v1
	v_and_b32_e32 v1, 0xffff, v1
	s_delay_alu instid0(VALU_DEP_2)
	v_cmp_ne_u16_e64 s4, 0, v38
	v_mov_b32_e32 v38, 0
	s_and_saveexec_b32 s5, s4
	s_cbranch_execz .LBB260_146
; %bb.139:                              ;   in Loop: Header=BB260_10 Depth=1
	v_and_b32_e32 v38, 0xff, v1
	s_delay_alu instid0(VALU_DEP_1)
	v_cmp_ne_u16_e64 s4, 0x80, v38
	v_mov_b32_e32 v38, 0x8000
	s_and_saveexec_b32 s33, s4
	s_cbranch_execz .LBB260_145
; %bb.140:                              ;   in Loop: Header=BB260_10 Depth=1
	v_and_b32_e32 v40, 0x7f, v1
	v_mov_b32_e32 v38, 0x7c01
	s_mov_b32 s34, exec_lo
	s_delay_alu instid0(VALU_DEP_2)
	v_cmpx_ne_u32_e32 0x7f, v40
	s_cbranch_execz .LBB260_144
; %bb.141:                              ;   in Loop: Header=BB260_10 Depth=1
	v_and_b32_e32 v38, 7, v1
	v_lshrrev_b32_e32 v39, 3, v40
	s_mov_b32 s35, exec_lo
	v_cmpx_gt_u32_e32 8, v40
; %bb.142:                              ;   in Loop: Header=BB260_10 Depth=1
	s_delay_alu instid0(VALU_DEP_3) | instskip(NEXT) | instid1(VALU_DEP_1)
	v_clz_i32_u32_e32 v38, v38
	v_min_u32_e32 v40, 32, v38
	s_delay_alu instid0(VALU_DEP_1) | instskip(NEXT) | instid1(VALU_DEP_1)
	v_subrev_nc_u32_e32 v38, 28, v40
	v_lshlrev_b64_e32 v[38:39], v38, v[1:2]
	v_sub_nc_u32_e32 v39, 29, v40
	s_delay_alu instid0(VALU_DEP_2)
	v_and_b32_e32 v38, 7, v38
; %bb.143:                              ;   in Loop: Header=BB260_10 Depth=1
	s_wait_alu 0xfffe
	s_or_b32 exec_lo, exec_lo, s35
	v_lshlrev_b32_e32 v40, 8, v1
	v_lshl_add_u32 v39, v39, 10, 0x2000
	v_lshlrev_b32_e32 v38, 7, v38
	s_delay_alu instid0(VALU_DEP_3) | instskip(NEXT) | instid1(VALU_DEP_3)
	v_and_b32_e32 v40, 0x8000, v40
	v_and_b32_e32 v39, 0xfc00, v39
	s_delay_alu instid0(VALU_DEP_1)
	v_or3_b32 v38, v40, v39, v38
.LBB260_144:                            ;   in Loop: Header=BB260_10 Depth=1
	s_wait_alu 0xfffe
	s_or_b32 exec_lo, exec_lo, s34
.LBB260_145:                            ;   in Loop: Header=BB260_10 Depth=1
	s_delay_alu instid0(SALU_CYCLE_1)
	s_or_b32 exec_lo, exec_lo, s33
.LBB260_146:                            ;   in Loop: Header=BB260_10 Depth=1
	s_wait_alu 0xfffe
	s_or_b32 exec_lo, exec_lo, s5
	v_lshrrev_b16 v1, 8, v1
	s_mov_b32 s5, exec_lo
	s_delay_alu instid0(VALU_DEP_1)
	v_cmpx_ne_u16_e32 0, v1
	s_cbranch_execz .LBB260_154
; %bb.147:                              ;   in Loop: Header=BB260_10 Depth=1
	v_bfrev_b32_e32 v37, 1
	s_mov_b32 s33, exec_lo
	v_cmpx_ne_u16_e32 0x80, v1
	s_cbranch_execz .LBB260_153
; %bb.148:                              ;   in Loop: Header=BB260_10 Depth=1
	v_and_b32_e32 v39, 0xffff, v1
	v_mov_b32_e32 v37, 0x7c010000
	s_mov_b32 s34, exec_lo
	s_delay_alu instid0(VALU_DEP_2) | instskip(NEXT) | instid1(VALU_DEP_1)
	v_and_b32_e32 v41, 0x7f, v39
	v_cmpx_ne_u32_e32 0x7f, v41
	s_cbranch_execz .LBB260_152
; %bb.149:                              ;   in Loop: Header=BB260_10 Depth=1
	v_and_b32_e32 v37, 7, v39
	v_lshrrev_b32_e32 v40, 3, v41
	s_mov_b32 s35, exec_lo
	v_cmpx_gt_u32_e32 8, v41
; %bb.150:                              ;   in Loop: Header=BB260_10 Depth=1
	s_delay_alu instid0(VALU_DEP_3) | instskip(NEXT) | instid1(VALU_DEP_1)
	v_clz_i32_u32_e32 v37, v37
	v_min_u32_e32 v37, 32, v37
	s_delay_alu instid0(VALU_DEP_1) | instskip(NEXT) | instid1(VALU_DEP_1)
	v_subrev_nc_u32_e32 v40, 28, v37
	v_lshlrev_b64_e32 v[41:42], v40, v[1:2]
	v_sub_nc_u32_e32 v40, 29, v37
	s_delay_alu instid0(VALU_DEP_2)
	v_and_b32_e32 v37, 7, v41
; %bb.151:                              ;   in Loop: Header=BB260_10 Depth=1
	s_wait_alu 0xfffe
	s_or_b32 exec_lo, exec_lo, s35
	v_lshlrev_b32_e32 v1, 8, v39
	v_lshl_add_u32 v39, v40, 10, 0x2000
	v_lshlrev_b32_e32 v37, 23, v37
	s_delay_alu instid0(VALU_DEP_2) | instskip(NEXT) | instid1(VALU_DEP_1)
	v_and_or_b32 v1, 0x8000, v1, v39
	v_lshl_or_b32 v37, v1, 16, v37
.LBB260_152:                            ;   in Loop: Header=BB260_10 Depth=1
	s_wait_alu 0xfffe
	s_or_b32 exec_lo, exec_lo, s34
.LBB260_153:                            ;   in Loop: Header=BB260_10 Depth=1
	s_delay_alu instid0(SALU_CYCLE_1)
	s_or_b32 exec_lo, exec_lo, s33
.LBB260_154:                            ;   in Loop: Header=BB260_10 Depth=1
	s_wait_alu 0xfffe
	s_or_b32 exec_lo, exec_lo, s5
	global_load_u16 v1, v[7:8], off offset:520
	s_wait_loadcnt 0x0
	v_dual_mov_b32 v39, 0 :: v_dual_and_b32 v40, 0xff, v1
	v_and_b32_e32 v1, 0xffff, v1
	s_delay_alu instid0(VALU_DEP_2)
	v_cmp_ne_u16_e64 s4, 0, v40
	v_mov_b32_e32 v40, 0
	s_and_saveexec_b32 s5, s4
	s_cbranch_execz .LBB260_162
; %bb.155:                              ;   in Loop: Header=BB260_10 Depth=1
	v_and_b32_e32 v40, 0xff, v1
	s_delay_alu instid0(VALU_DEP_1)
	v_cmp_ne_u16_e64 s4, 0x80, v40
	v_mov_b32_e32 v40, 0x8000
	s_and_saveexec_b32 s33, s4
	s_cbranch_execz .LBB260_161
; %bb.156:                              ;   in Loop: Header=BB260_10 Depth=1
	v_and_b32_e32 v42, 0x7f, v1
	v_mov_b32_e32 v40, 0x7c01
	s_mov_b32 s34, exec_lo
	s_delay_alu instid0(VALU_DEP_2)
	v_cmpx_ne_u32_e32 0x7f, v42
	s_cbranch_execz .LBB260_160
; %bb.157:                              ;   in Loop: Header=BB260_10 Depth=1
	v_and_b32_e32 v40, 7, v1
	v_lshrrev_b32_e32 v41, 3, v42
	s_mov_b32 s35, exec_lo
	v_cmpx_gt_u32_e32 8, v42
; %bb.158:                              ;   in Loop: Header=BB260_10 Depth=1
	s_delay_alu instid0(VALU_DEP_3) | instskip(NEXT) | instid1(VALU_DEP_1)
	v_clz_i32_u32_e32 v40, v40
	v_min_u32_e32 v42, 32, v40
	s_delay_alu instid0(VALU_DEP_1) | instskip(NEXT) | instid1(VALU_DEP_1)
	v_subrev_nc_u32_e32 v40, 28, v42
	v_lshlrev_b64_e32 v[40:41], v40, v[1:2]
	v_sub_nc_u32_e32 v41, 29, v42
	s_delay_alu instid0(VALU_DEP_2)
	v_and_b32_e32 v40, 7, v40
; %bb.159:                              ;   in Loop: Header=BB260_10 Depth=1
	s_wait_alu 0xfffe
	s_or_b32 exec_lo, exec_lo, s35
	v_lshlrev_b32_e32 v42, 8, v1
	v_lshl_add_u32 v41, v41, 10, 0x2000
	v_lshlrev_b32_e32 v40, 7, v40
	s_delay_alu instid0(VALU_DEP_3) | instskip(NEXT) | instid1(VALU_DEP_3)
	v_and_b32_e32 v42, 0x8000, v42
	v_and_b32_e32 v41, 0xfc00, v41
	s_delay_alu instid0(VALU_DEP_1)
	v_or3_b32 v40, v42, v41, v40
.LBB260_160:                            ;   in Loop: Header=BB260_10 Depth=1
	s_wait_alu 0xfffe
	s_or_b32 exec_lo, exec_lo, s34
.LBB260_161:                            ;   in Loop: Header=BB260_10 Depth=1
	s_delay_alu instid0(SALU_CYCLE_1)
	s_or_b32 exec_lo, exec_lo, s33
.LBB260_162:                            ;   in Loop: Header=BB260_10 Depth=1
	s_wait_alu 0xfffe
	s_or_b32 exec_lo, exec_lo, s5
	v_lshrrev_b16 v1, 8, v1
	s_mov_b32 s5, exec_lo
	s_delay_alu instid0(VALU_DEP_1)
	v_cmpx_ne_u16_e32 0, v1
	s_cbranch_execz .LBB260_170
; %bb.163:                              ;   in Loop: Header=BB260_10 Depth=1
	v_bfrev_b32_e32 v39, 1
	s_mov_b32 s33, exec_lo
	v_cmpx_ne_u16_e32 0x80, v1
	s_cbranch_execz .LBB260_169
; %bb.164:                              ;   in Loop: Header=BB260_10 Depth=1
	v_and_b32_e32 v41, 0xffff, v1
	v_mov_b32_e32 v39, 0x7c010000
	s_mov_b32 s34, exec_lo
	s_delay_alu instid0(VALU_DEP_2) | instskip(NEXT) | instid1(VALU_DEP_1)
	v_and_b32_e32 v43, 0x7f, v41
	v_cmpx_ne_u32_e32 0x7f, v43
	s_cbranch_execz .LBB260_168
; %bb.165:                              ;   in Loop: Header=BB260_10 Depth=1
	v_and_b32_e32 v39, 7, v41
	v_lshrrev_b32_e32 v42, 3, v43
	s_mov_b32 s35, exec_lo
	v_cmpx_gt_u32_e32 8, v43
; %bb.166:                              ;   in Loop: Header=BB260_10 Depth=1
	s_delay_alu instid0(VALU_DEP_3) | instskip(NEXT) | instid1(VALU_DEP_1)
	v_clz_i32_u32_e32 v39, v39
	v_min_u32_e32 v39, 32, v39
	s_delay_alu instid0(VALU_DEP_1) | instskip(NEXT) | instid1(VALU_DEP_1)
	v_subrev_nc_u32_e32 v42, 28, v39
	v_lshlrev_b64_e32 v[43:44], v42, v[1:2]
	v_sub_nc_u32_e32 v42, 29, v39
	s_delay_alu instid0(VALU_DEP_2)
	v_and_b32_e32 v39, 7, v43
; %bb.167:                              ;   in Loop: Header=BB260_10 Depth=1
	s_wait_alu 0xfffe
	s_or_b32 exec_lo, exec_lo, s35
	v_lshlrev_b32_e32 v1, 8, v41
	v_lshl_add_u32 v41, v42, 10, 0x2000
	v_lshlrev_b32_e32 v39, 23, v39
	s_delay_alu instid0(VALU_DEP_2) | instskip(NEXT) | instid1(VALU_DEP_1)
	v_and_or_b32 v1, 0x8000, v1, v41
	v_lshl_or_b32 v39, v1, 16, v39
.LBB260_168:                            ;   in Loop: Header=BB260_10 Depth=1
	s_wait_alu 0xfffe
	s_or_b32 exec_lo, exec_lo, s34
.LBB260_169:                            ;   in Loop: Header=BB260_10 Depth=1
	s_delay_alu instid0(SALU_CYCLE_1)
	s_or_b32 exec_lo, exec_lo, s33
.LBB260_170:                            ;   in Loop: Header=BB260_10 Depth=1
	s_wait_alu 0xfffe
	s_or_b32 exec_lo, exec_lo, s5
	global_load_u16 v1, v[7:8], off offset:640
	s_wait_loadcnt 0x0
	v_dual_mov_b32 v41, 0 :: v_dual_and_b32 v42, 0xff, v1
	v_and_b32_e32 v1, 0xffff, v1
	s_delay_alu instid0(VALU_DEP_2)
	v_cmp_ne_u16_e64 s4, 0, v42
	v_mov_b32_e32 v42, 0
	s_and_saveexec_b32 s5, s4
	s_cbranch_execz .LBB260_178
; %bb.171:                              ;   in Loop: Header=BB260_10 Depth=1
	v_and_b32_e32 v42, 0xff, v1
	s_delay_alu instid0(VALU_DEP_1)
	v_cmp_ne_u16_e64 s4, 0x80, v42
	v_mov_b32_e32 v42, 0x8000
	s_and_saveexec_b32 s33, s4
	s_cbranch_execz .LBB260_177
; %bb.172:                              ;   in Loop: Header=BB260_10 Depth=1
	v_and_b32_e32 v44, 0x7f, v1
	v_mov_b32_e32 v42, 0x7c01
	s_mov_b32 s34, exec_lo
	s_delay_alu instid0(VALU_DEP_2)
	v_cmpx_ne_u32_e32 0x7f, v44
	s_cbranch_execz .LBB260_176
; %bb.173:                              ;   in Loop: Header=BB260_10 Depth=1
	v_and_b32_e32 v42, 7, v1
	v_lshrrev_b32_e32 v43, 3, v44
	s_mov_b32 s35, exec_lo
	v_cmpx_gt_u32_e32 8, v44
; %bb.174:                              ;   in Loop: Header=BB260_10 Depth=1
	s_delay_alu instid0(VALU_DEP_3) | instskip(NEXT) | instid1(VALU_DEP_1)
	v_clz_i32_u32_e32 v42, v42
	v_min_u32_e32 v44, 32, v42
	s_delay_alu instid0(VALU_DEP_1) | instskip(NEXT) | instid1(VALU_DEP_1)
	v_subrev_nc_u32_e32 v42, 28, v44
	v_lshlrev_b64_e32 v[42:43], v42, v[1:2]
	v_sub_nc_u32_e32 v43, 29, v44
	s_delay_alu instid0(VALU_DEP_2)
	v_and_b32_e32 v42, 7, v42
; %bb.175:                              ;   in Loop: Header=BB260_10 Depth=1
	s_wait_alu 0xfffe
	s_or_b32 exec_lo, exec_lo, s35
	v_lshlrev_b32_e32 v44, 8, v1
	v_lshl_add_u32 v43, v43, 10, 0x2000
	v_lshlrev_b32_e32 v42, 7, v42
	s_delay_alu instid0(VALU_DEP_3) | instskip(NEXT) | instid1(VALU_DEP_3)
	v_and_b32_e32 v44, 0x8000, v44
	v_and_b32_e32 v43, 0xfc00, v43
	s_delay_alu instid0(VALU_DEP_1)
	v_or3_b32 v42, v44, v43, v42
.LBB260_176:                            ;   in Loop: Header=BB260_10 Depth=1
	s_wait_alu 0xfffe
	s_or_b32 exec_lo, exec_lo, s34
.LBB260_177:                            ;   in Loop: Header=BB260_10 Depth=1
	s_delay_alu instid0(SALU_CYCLE_1)
	s_or_b32 exec_lo, exec_lo, s33
.LBB260_178:                            ;   in Loop: Header=BB260_10 Depth=1
	s_wait_alu 0xfffe
	s_or_b32 exec_lo, exec_lo, s5
	v_lshrrev_b16 v1, 8, v1
	s_mov_b32 s5, exec_lo
	s_delay_alu instid0(VALU_DEP_1)
	v_cmpx_ne_u16_e32 0, v1
	s_cbranch_execz .LBB260_186
; %bb.179:                              ;   in Loop: Header=BB260_10 Depth=1
	v_bfrev_b32_e32 v41, 1
	s_mov_b32 s33, exec_lo
	v_cmpx_ne_u16_e32 0x80, v1
	s_cbranch_execz .LBB260_185
; %bb.180:                              ;   in Loop: Header=BB260_10 Depth=1
	v_and_b32_e32 v43, 0xffff, v1
	v_mov_b32_e32 v41, 0x7c010000
	s_mov_b32 s34, exec_lo
	s_delay_alu instid0(VALU_DEP_2) | instskip(NEXT) | instid1(VALU_DEP_1)
	v_and_b32_e32 v45, 0x7f, v43
	v_cmpx_ne_u32_e32 0x7f, v45
	s_cbranch_execz .LBB260_184
; %bb.181:                              ;   in Loop: Header=BB260_10 Depth=1
	v_and_b32_e32 v41, 7, v43
	v_lshrrev_b32_e32 v44, 3, v45
	s_mov_b32 s35, exec_lo
	v_cmpx_gt_u32_e32 8, v45
; %bb.182:                              ;   in Loop: Header=BB260_10 Depth=1
	s_delay_alu instid0(VALU_DEP_3) | instskip(NEXT) | instid1(VALU_DEP_1)
	v_clz_i32_u32_e32 v41, v41
	v_min_u32_e32 v41, 32, v41
	s_delay_alu instid0(VALU_DEP_1) | instskip(NEXT) | instid1(VALU_DEP_1)
	v_subrev_nc_u32_e32 v44, 28, v41
	v_lshlrev_b64_e32 v[45:46], v44, v[1:2]
	v_sub_nc_u32_e32 v44, 29, v41
	s_delay_alu instid0(VALU_DEP_2)
	v_and_b32_e32 v41, 7, v45
; %bb.183:                              ;   in Loop: Header=BB260_10 Depth=1
	s_wait_alu 0xfffe
	s_or_b32 exec_lo, exec_lo, s35
	v_lshlrev_b32_e32 v1, 8, v43
	v_lshl_add_u32 v43, v44, 10, 0x2000
	v_lshlrev_b32_e32 v41, 23, v41
	s_delay_alu instid0(VALU_DEP_2) | instskip(NEXT) | instid1(VALU_DEP_1)
	v_and_or_b32 v1, 0x8000, v1, v43
	v_lshl_or_b32 v41, v1, 16, v41
.LBB260_184:                            ;   in Loop: Header=BB260_10 Depth=1
	s_wait_alu 0xfffe
	s_or_b32 exec_lo, exec_lo, s34
.LBB260_185:                            ;   in Loop: Header=BB260_10 Depth=1
	s_delay_alu instid0(SALU_CYCLE_1)
	s_or_b32 exec_lo, exec_lo, s33
.LBB260_186:                            ;   in Loop: Header=BB260_10 Depth=1
	s_wait_alu 0xfffe
	s_or_b32 exec_lo, exec_lo, s5
	global_load_u16 v1, v[7:8], off offset:648
	s_wait_loadcnt 0x0
	v_dual_mov_b32 v43, 0 :: v_dual_and_b32 v44, 0xff, v1
	v_and_b32_e32 v1, 0xffff, v1
	s_delay_alu instid0(VALU_DEP_2)
	v_cmp_ne_u16_e64 s4, 0, v44
	v_mov_b32_e32 v44, 0
	s_and_saveexec_b32 s5, s4
	s_cbranch_execz .LBB260_194
; %bb.187:                              ;   in Loop: Header=BB260_10 Depth=1
	v_and_b32_e32 v44, 0xff, v1
	s_delay_alu instid0(VALU_DEP_1)
	v_cmp_ne_u16_e64 s4, 0x80, v44
	v_mov_b32_e32 v44, 0x8000
	s_and_saveexec_b32 s33, s4
	s_cbranch_execz .LBB260_193
; %bb.188:                              ;   in Loop: Header=BB260_10 Depth=1
	v_and_b32_e32 v46, 0x7f, v1
	v_mov_b32_e32 v44, 0x7c01
	s_mov_b32 s34, exec_lo
	s_delay_alu instid0(VALU_DEP_2)
	v_cmpx_ne_u32_e32 0x7f, v46
	s_cbranch_execz .LBB260_192
; %bb.189:                              ;   in Loop: Header=BB260_10 Depth=1
	v_and_b32_e32 v44, 7, v1
	v_lshrrev_b32_e32 v45, 3, v46
	s_mov_b32 s35, exec_lo
	v_cmpx_gt_u32_e32 8, v46
; %bb.190:                              ;   in Loop: Header=BB260_10 Depth=1
	s_delay_alu instid0(VALU_DEP_3) | instskip(NEXT) | instid1(VALU_DEP_1)
	v_clz_i32_u32_e32 v44, v44
	v_min_u32_e32 v46, 32, v44
	s_delay_alu instid0(VALU_DEP_1) | instskip(NEXT) | instid1(VALU_DEP_1)
	v_subrev_nc_u32_e32 v44, 28, v46
	v_lshlrev_b64_e32 v[44:45], v44, v[1:2]
	v_sub_nc_u32_e32 v45, 29, v46
	s_delay_alu instid0(VALU_DEP_2)
	v_and_b32_e32 v44, 7, v44
; %bb.191:                              ;   in Loop: Header=BB260_10 Depth=1
	s_wait_alu 0xfffe
	s_or_b32 exec_lo, exec_lo, s35
	v_lshlrev_b32_e32 v46, 8, v1
	v_lshl_add_u32 v45, v45, 10, 0x2000
	v_lshlrev_b32_e32 v44, 7, v44
	s_delay_alu instid0(VALU_DEP_3) | instskip(NEXT) | instid1(VALU_DEP_3)
	v_and_b32_e32 v46, 0x8000, v46
	v_and_b32_e32 v45, 0xfc00, v45
	s_delay_alu instid0(VALU_DEP_1)
	v_or3_b32 v44, v46, v45, v44
.LBB260_192:                            ;   in Loop: Header=BB260_10 Depth=1
	s_wait_alu 0xfffe
	s_or_b32 exec_lo, exec_lo, s34
.LBB260_193:                            ;   in Loop: Header=BB260_10 Depth=1
	s_delay_alu instid0(SALU_CYCLE_1)
	s_or_b32 exec_lo, exec_lo, s33
.LBB260_194:                            ;   in Loop: Header=BB260_10 Depth=1
	s_wait_alu 0xfffe
	s_or_b32 exec_lo, exec_lo, s5
	v_lshrrev_b16 v1, 8, v1
	s_mov_b32 s5, exec_lo
	s_delay_alu instid0(VALU_DEP_1)
	v_cmpx_ne_u16_e32 0, v1
	s_cbranch_execz .LBB260_202
; %bb.195:                              ;   in Loop: Header=BB260_10 Depth=1
	v_bfrev_b32_e32 v43, 1
	s_mov_b32 s33, exec_lo
	v_cmpx_ne_u16_e32 0x80, v1
	s_cbranch_execz .LBB260_201
; %bb.196:                              ;   in Loop: Header=BB260_10 Depth=1
	v_and_b32_e32 v45, 0xffff, v1
	v_mov_b32_e32 v43, 0x7c010000
	s_mov_b32 s34, exec_lo
	s_delay_alu instid0(VALU_DEP_2) | instskip(NEXT) | instid1(VALU_DEP_1)
	v_and_b32_e32 v47, 0x7f, v45
	v_cmpx_ne_u32_e32 0x7f, v47
	s_cbranch_execz .LBB260_200
; %bb.197:                              ;   in Loop: Header=BB260_10 Depth=1
	v_and_b32_e32 v43, 7, v45
	v_lshrrev_b32_e32 v46, 3, v47
	s_mov_b32 s35, exec_lo
	v_cmpx_gt_u32_e32 8, v47
; %bb.198:                              ;   in Loop: Header=BB260_10 Depth=1
	s_delay_alu instid0(VALU_DEP_3) | instskip(NEXT) | instid1(VALU_DEP_1)
	v_clz_i32_u32_e32 v43, v43
	v_min_u32_e32 v43, 32, v43
	s_delay_alu instid0(VALU_DEP_1) | instskip(NEXT) | instid1(VALU_DEP_1)
	v_subrev_nc_u32_e32 v46, 28, v43
	v_lshlrev_b64_e32 v[47:48], v46, v[1:2]
	v_sub_nc_u32_e32 v46, 29, v43
	s_delay_alu instid0(VALU_DEP_2)
	v_and_b32_e32 v43, 7, v47
; %bb.199:                              ;   in Loop: Header=BB260_10 Depth=1
	s_wait_alu 0xfffe
	s_or_b32 exec_lo, exec_lo, s35
	v_lshlrev_b32_e32 v1, 8, v45
	v_lshl_add_u32 v45, v46, 10, 0x2000
	v_lshlrev_b32_e32 v43, 23, v43
	s_delay_alu instid0(VALU_DEP_2) | instskip(NEXT) | instid1(VALU_DEP_1)
	v_and_or_b32 v1, 0x8000, v1, v45
	v_lshl_or_b32 v43, v1, 16, v43
.LBB260_200:                            ;   in Loop: Header=BB260_10 Depth=1
	s_wait_alu 0xfffe
	s_or_b32 exec_lo, exec_lo, s34
.LBB260_201:                            ;   in Loop: Header=BB260_10 Depth=1
	s_delay_alu instid0(SALU_CYCLE_1)
	s_or_b32 exec_lo, exec_lo, s33
.LBB260_202:                            ;   in Loop: Header=BB260_10 Depth=1
	s_wait_alu 0xfffe
	s_or_b32 exec_lo, exec_lo, s5
	global_load_u16 v1, v[7:8], off offset:768
	s_wait_loadcnt 0x0
	v_dual_mov_b32 v45, 0 :: v_dual_and_b32 v46, 0xff, v1
	v_and_b32_e32 v1, 0xffff, v1
	s_delay_alu instid0(VALU_DEP_2)
	v_cmp_ne_u16_e64 s4, 0, v46
	v_mov_b32_e32 v46, 0
	s_and_saveexec_b32 s5, s4
	s_cbranch_execz .LBB260_210
; %bb.203:                              ;   in Loop: Header=BB260_10 Depth=1
	v_and_b32_e32 v46, 0xff, v1
	s_delay_alu instid0(VALU_DEP_1)
	v_cmp_ne_u16_e64 s4, 0x80, v46
	v_mov_b32_e32 v46, 0x8000
	s_and_saveexec_b32 s33, s4
	s_cbranch_execz .LBB260_209
; %bb.204:                              ;   in Loop: Header=BB260_10 Depth=1
	v_and_b32_e32 v48, 0x7f, v1
	v_mov_b32_e32 v46, 0x7c01
	s_mov_b32 s34, exec_lo
	s_delay_alu instid0(VALU_DEP_2)
	v_cmpx_ne_u32_e32 0x7f, v48
	s_cbranch_execz .LBB260_208
; %bb.205:                              ;   in Loop: Header=BB260_10 Depth=1
	v_and_b32_e32 v46, 7, v1
	v_lshrrev_b32_e32 v47, 3, v48
	s_mov_b32 s35, exec_lo
	v_cmpx_gt_u32_e32 8, v48
; %bb.206:                              ;   in Loop: Header=BB260_10 Depth=1
	s_delay_alu instid0(VALU_DEP_3) | instskip(NEXT) | instid1(VALU_DEP_1)
	v_clz_i32_u32_e32 v46, v46
	v_min_u32_e32 v48, 32, v46
	s_delay_alu instid0(VALU_DEP_1) | instskip(NEXT) | instid1(VALU_DEP_1)
	v_subrev_nc_u32_e32 v46, 28, v48
	v_lshlrev_b64_e32 v[46:47], v46, v[1:2]
	v_sub_nc_u32_e32 v47, 29, v48
	s_delay_alu instid0(VALU_DEP_2)
	v_and_b32_e32 v46, 7, v46
; %bb.207:                              ;   in Loop: Header=BB260_10 Depth=1
	s_wait_alu 0xfffe
	s_or_b32 exec_lo, exec_lo, s35
	v_lshlrev_b32_e32 v48, 8, v1
	v_lshl_add_u32 v47, v47, 10, 0x2000
	v_lshlrev_b32_e32 v46, 7, v46
	s_delay_alu instid0(VALU_DEP_3) | instskip(NEXT) | instid1(VALU_DEP_3)
	v_and_b32_e32 v48, 0x8000, v48
	v_and_b32_e32 v47, 0xfc00, v47
	s_delay_alu instid0(VALU_DEP_1)
	v_or3_b32 v46, v48, v47, v46
.LBB260_208:                            ;   in Loop: Header=BB260_10 Depth=1
	s_wait_alu 0xfffe
	s_or_b32 exec_lo, exec_lo, s34
.LBB260_209:                            ;   in Loop: Header=BB260_10 Depth=1
	s_delay_alu instid0(SALU_CYCLE_1)
	s_or_b32 exec_lo, exec_lo, s33
.LBB260_210:                            ;   in Loop: Header=BB260_10 Depth=1
	s_wait_alu 0xfffe
	s_or_b32 exec_lo, exec_lo, s5
	v_lshrrev_b16 v1, 8, v1
	s_mov_b32 s5, exec_lo
	s_delay_alu instid0(VALU_DEP_1)
	v_cmpx_ne_u16_e32 0, v1
	s_cbranch_execz .LBB260_218
; %bb.211:                              ;   in Loop: Header=BB260_10 Depth=1
	v_bfrev_b32_e32 v45, 1
	s_mov_b32 s33, exec_lo
	v_cmpx_ne_u16_e32 0x80, v1
	s_cbranch_execz .LBB260_217
; %bb.212:                              ;   in Loop: Header=BB260_10 Depth=1
	v_and_b32_e32 v47, 0xffff, v1
	v_mov_b32_e32 v45, 0x7c010000
	s_mov_b32 s34, exec_lo
	s_delay_alu instid0(VALU_DEP_2) | instskip(NEXT) | instid1(VALU_DEP_1)
	v_and_b32_e32 v49, 0x7f, v47
	v_cmpx_ne_u32_e32 0x7f, v49
	s_cbranch_execz .LBB260_216
; %bb.213:                              ;   in Loop: Header=BB260_10 Depth=1
	v_and_b32_e32 v45, 7, v47
	v_lshrrev_b32_e32 v48, 3, v49
	s_mov_b32 s35, exec_lo
	v_cmpx_gt_u32_e32 8, v49
; %bb.214:                              ;   in Loop: Header=BB260_10 Depth=1
	s_delay_alu instid0(VALU_DEP_3) | instskip(NEXT) | instid1(VALU_DEP_1)
	v_clz_i32_u32_e32 v45, v45
	v_min_u32_e32 v45, 32, v45
	s_delay_alu instid0(VALU_DEP_1) | instskip(NEXT) | instid1(VALU_DEP_1)
	v_subrev_nc_u32_e32 v48, 28, v45
	v_lshlrev_b64_e32 v[49:50], v48, v[1:2]
	v_sub_nc_u32_e32 v48, 29, v45
	s_delay_alu instid0(VALU_DEP_2)
	v_and_b32_e32 v45, 7, v49
; %bb.215:                              ;   in Loop: Header=BB260_10 Depth=1
	s_wait_alu 0xfffe
	s_or_b32 exec_lo, exec_lo, s35
	v_lshlrev_b32_e32 v1, 8, v47
	v_lshl_add_u32 v47, v48, 10, 0x2000
	v_lshlrev_b32_e32 v45, 23, v45
	s_delay_alu instid0(VALU_DEP_2) | instskip(NEXT) | instid1(VALU_DEP_1)
	v_and_or_b32 v1, 0x8000, v1, v47
	v_lshl_or_b32 v45, v1, 16, v45
.LBB260_216:                            ;   in Loop: Header=BB260_10 Depth=1
	s_wait_alu 0xfffe
	s_or_b32 exec_lo, exec_lo, s34
.LBB260_217:                            ;   in Loop: Header=BB260_10 Depth=1
	s_delay_alu instid0(SALU_CYCLE_1)
	s_or_b32 exec_lo, exec_lo, s33
.LBB260_218:                            ;   in Loop: Header=BB260_10 Depth=1
	s_wait_alu 0xfffe
	s_or_b32 exec_lo, exec_lo, s5
	global_load_u16 v1, v[7:8], off offset:776
	s_wait_loadcnt 0x0
	v_dual_mov_b32 v47, 0 :: v_dual_and_b32 v48, 0xff, v1
	v_and_b32_e32 v1, 0xffff, v1
	s_delay_alu instid0(VALU_DEP_2)
	v_cmp_ne_u16_e64 s4, 0, v48
	v_mov_b32_e32 v48, 0
	s_and_saveexec_b32 s5, s4
	s_cbranch_execz .LBB260_226
; %bb.219:                              ;   in Loop: Header=BB260_10 Depth=1
	v_and_b32_e32 v48, 0xff, v1
	s_delay_alu instid0(VALU_DEP_1)
	v_cmp_ne_u16_e64 s4, 0x80, v48
	v_mov_b32_e32 v48, 0x8000
	s_and_saveexec_b32 s33, s4
	s_cbranch_execz .LBB260_225
; %bb.220:                              ;   in Loop: Header=BB260_10 Depth=1
	v_and_b32_e32 v50, 0x7f, v1
	v_mov_b32_e32 v48, 0x7c01
	s_mov_b32 s34, exec_lo
	s_delay_alu instid0(VALU_DEP_2)
	v_cmpx_ne_u32_e32 0x7f, v50
	s_cbranch_execz .LBB260_224
; %bb.221:                              ;   in Loop: Header=BB260_10 Depth=1
	v_and_b32_e32 v48, 7, v1
	v_lshrrev_b32_e32 v49, 3, v50
	s_mov_b32 s35, exec_lo
	v_cmpx_gt_u32_e32 8, v50
; %bb.222:                              ;   in Loop: Header=BB260_10 Depth=1
	s_delay_alu instid0(VALU_DEP_3) | instskip(NEXT) | instid1(VALU_DEP_1)
	v_clz_i32_u32_e32 v48, v48
	v_min_u32_e32 v50, 32, v48
	s_delay_alu instid0(VALU_DEP_1) | instskip(NEXT) | instid1(VALU_DEP_1)
	v_subrev_nc_u32_e32 v48, 28, v50
	v_lshlrev_b64_e32 v[48:49], v48, v[1:2]
	v_sub_nc_u32_e32 v49, 29, v50
	s_delay_alu instid0(VALU_DEP_2)
	v_and_b32_e32 v48, 7, v48
; %bb.223:                              ;   in Loop: Header=BB260_10 Depth=1
	s_wait_alu 0xfffe
	s_or_b32 exec_lo, exec_lo, s35
	v_lshlrev_b32_e32 v50, 8, v1
	v_lshl_add_u32 v49, v49, 10, 0x2000
	v_lshlrev_b32_e32 v48, 7, v48
	s_delay_alu instid0(VALU_DEP_3) | instskip(NEXT) | instid1(VALU_DEP_3)
	v_and_b32_e32 v50, 0x8000, v50
	v_and_b32_e32 v49, 0xfc00, v49
	s_delay_alu instid0(VALU_DEP_1)
	v_or3_b32 v48, v50, v49, v48
.LBB260_224:                            ;   in Loop: Header=BB260_10 Depth=1
	s_wait_alu 0xfffe
	s_or_b32 exec_lo, exec_lo, s34
.LBB260_225:                            ;   in Loop: Header=BB260_10 Depth=1
	s_delay_alu instid0(SALU_CYCLE_1)
	s_or_b32 exec_lo, exec_lo, s33
.LBB260_226:                            ;   in Loop: Header=BB260_10 Depth=1
	s_wait_alu 0xfffe
	s_or_b32 exec_lo, exec_lo, s5
	v_lshrrev_b16 v1, 8, v1
	s_mov_b32 s5, exec_lo
	s_delay_alu instid0(VALU_DEP_1)
	v_cmpx_ne_u16_e32 0, v1
	s_cbranch_execz .LBB260_234
; %bb.227:                              ;   in Loop: Header=BB260_10 Depth=1
	v_bfrev_b32_e32 v47, 1
	s_mov_b32 s33, exec_lo
	v_cmpx_ne_u16_e32 0x80, v1
	s_cbranch_execz .LBB260_233
; %bb.228:                              ;   in Loop: Header=BB260_10 Depth=1
	v_and_b32_e32 v49, 0xffff, v1
	v_mov_b32_e32 v47, 0x7c010000
	s_mov_b32 s34, exec_lo
	s_delay_alu instid0(VALU_DEP_2) | instskip(NEXT) | instid1(VALU_DEP_1)
	v_and_b32_e32 v51, 0x7f, v49
	v_cmpx_ne_u32_e32 0x7f, v51
	s_cbranch_execz .LBB260_232
; %bb.229:                              ;   in Loop: Header=BB260_10 Depth=1
	v_and_b32_e32 v47, 7, v49
	v_lshrrev_b32_e32 v50, 3, v51
	s_mov_b32 s35, exec_lo
	v_cmpx_gt_u32_e32 8, v51
; %bb.230:                              ;   in Loop: Header=BB260_10 Depth=1
	s_delay_alu instid0(VALU_DEP_3) | instskip(NEXT) | instid1(VALU_DEP_1)
	v_clz_i32_u32_e32 v47, v47
	v_min_u32_e32 v47, 32, v47
	s_delay_alu instid0(VALU_DEP_1) | instskip(NEXT) | instid1(VALU_DEP_1)
	v_subrev_nc_u32_e32 v50, 28, v47
	v_lshlrev_b64_e32 v[51:52], v50, v[1:2]
	v_sub_nc_u32_e32 v50, 29, v47
	s_delay_alu instid0(VALU_DEP_2)
	v_and_b32_e32 v47, 7, v51
; %bb.231:                              ;   in Loop: Header=BB260_10 Depth=1
	s_wait_alu 0xfffe
	s_or_b32 exec_lo, exec_lo, s35
	v_lshlrev_b32_e32 v1, 8, v49
	v_lshl_add_u32 v49, v50, 10, 0x2000
	v_lshlrev_b32_e32 v47, 23, v47
	s_delay_alu instid0(VALU_DEP_2) | instskip(NEXT) | instid1(VALU_DEP_1)
	v_and_or_b32 v1, 0x8000, v1, v49
	v_lshl_or_b32 v47, v1, 16, v47
.LBB260_232:                            ;   in Loop: Header=BB260_10 Depth=1
	s_wait_alu 0xfffe
	s_or_b32 exec_lo, exec_lo, s34
.LBB260_233:                            ;   in Loop: Header=BB260_10 Depth=1
	s_delay_alu instid0(SALU_CYCLE_1)
	s_or_b32 exec_lo, exec_lo, s33
.LBB260_234:                            ;   in Loop: Header=BB260_10 Depth=1
	s_wait_alu 0xfffe
	s_or_b32 exec_lo, exec_lo, s5
	global_load_u16 v1, v[7:8], off offset:896
	s_wait_loadcnt 0x0
	v_dual_mov_b32 v49, 0 :: v_dual_and_b32 v50, 0xff, v1
	v_and_b32_e32 v1, 0xffff, v1
	s_delay_alu instid0(VALU_DEP_2)
	v_cmp_ne_u16_e64 s4, 0, v50
	v_mov_b32_e32 v50, 0
	s_and_saveexec_b32 s5, s4
	s_cbranch_execz .LBB260_242
; %bb.235:                              ;   in Loop: Header=BB260_10 Depth=1
	v_and_b32_e32 v50, 0xff, v1
	s_delay_alu instid0(VALU_DEP_1)
	v_cmp_ne_u16_e64 s4, 0x80, v50
	v_mov_b32_e32 v50, 0x8000
	s_and_saveexec_b32 s33, s4
	s_cbranch_execz .LBB260_241
; %bb.236:                              ;   in Loop: Header=BB260_10 Depth=1
	v_and_b32_e32 v52, 0x7f, v1
	v_mov_b32_e32 v50, 0x7c01
	s_mov_b32 s34, exec_lo
	s_delay_alu instid0(VALU_DEP_2)
	v_cmpx_ne_u32_e32 0x7f, v52
	s_cbranch_execz .LBB260_240
; %bb.237:                              ;   in Loop: Header=BB260_10 Depth=1
	v_and_b32_e32 v50, 7, v1
	v_lshrrev_b32_e32 v51, 3, v52
	s_mov_b32 s35, exec_lo
	v_cmpx_gt_u32_e32 8, v52
; %bb.238:                              ;   in Loop: Header=BB260_10 Depth=1
	s_delay_alu instid0(VALU_DEP_3) | instskip(NEXT) | instid1(VALU_DEP_1)
	v_clz_i32_u32_e32 v50, v50
	v_min_u32_e32 v52, 32, v50
	s_delay_alu instid0(VALU_DEP_1) | instskip(NEXT) | instid1(VALU_DEP_1)
	v_subrev_nc_u32_e32 v50, 28, v52
	v_lshlrev_b64_e32 v[50:51], v50, v[1:2]
	v_sub_nc_u32_e32 v51, 29, v52
	s_delay_alu instid0(VALU_DEP_2)
	v_and_b32_e32 v50, 7, v50
; %bb.239:                              ;   in Loop: Header=BB260_10 Depth=1
	s_wait_alu 0xfffe
	s_or_b32 exec_lo, exec_lo, s35
	v_lshlrev_b32_e32 v52, 8, v1
	v_lshl_add_u32 v51, v51, 10, 0x2000
	v_lshlrev_b32_e32 v50, 7, v50
	s_delay_alu instid0(VALU_DEP_3) | instskip(NEXT) | instid1(VALU_DEP_3)
	v_and_b32_e32 v52, 0x8000, v52
	v_and_b32_e32 v51, 0xfc00, v51
	s_delay_alu instid0(VALU_DEP_1)
	v_or3_b32 v50, v52, v51, v50
.LBB260_240:                            ;   in Loop: Header=BB260_10 Depth=1
	s_wait_alu 0xfffe
	s_or_b32 exec_lo, exec_lo, s34
.LBB260_241:                            ;   in Loop: Header=BB260_10 Depth=1
	s_delay_alu instid0(SALU_CYCLE_1)
	s_or_b32 exec_lo, exec_lo, s33
.LBB260_242:                            ;   in Loop: Header=BB260_10 Depth=1
	s_wait_alu 0xfffe
	s_or_b32 exec_lo, exec_lo, s5
	v_lshrrev_b16 v1, 8, v1
	s_mov_b32 s5, exec_lo
	s_delay_alu instid0(VALU_DEP_1)
	v_cmpx_ne_u16_e32 0, v1
	s_cbranch_execz .LBB260_250
; %bb.243:                              ;   in Loop: Header=BB260_10 Depth=1
	v_bfrev_b32_e32 v49, 1
	s_mov_b32 s33, exec_lo
	v_cmpx_ne_u16_e32 0x80, v1
	s_cbranch_execz .LBB260_249
; %bb.244:                              ;   in Loop: Header=BB260_10 Depth=1
	v_and_b32_e32 v51, 0xffff, v1
	v_mov_b32_e32 v49, 0x7c010000
	s_mov_b32 s34, exec_lo
	s_delay_alu instid0(VALU_DEP_2) | instskip(NEXT) | instid1(VALU_DEP_1)
	v_and_b32_e32 v53, 0x7f, v51
	v_cmpx_ne_u32_e32 0x7f, v53
	s_cbranch_execz .LBB260_248
; %bb.245:                              ;   in Loop: Header=BB260_10 Depth=1
	v_and_b32_e32 v49, 7, v51
	v_lshrrev_b32_e32 v52, 3, v53
	s_mov_b32 s35, exec_lo
	v_cmpx_gt_u32_e32 8, v53
; %bb.246:                              ;   in Loop: Header=BB260_10 Depth=1
	s_delay_alu instid0(VALU_DEP_3) | instskip(NEXT) | instid1(VALU_DEP_1)
	v_clz_i32_u32_e32 v49, v49
	v_min_u32_e32 v49, 32, v49
	s_delay_alu instid0(VALU_DEP_1) | instskip(NEXT) | instid1(VALU_DEP_1)
	v_subrev_nc_u32_e32 v52, 28, v49
	v_lshlrev_b64_e32 v[53:54], v52, v[1:2]
	v_sub_nc_u32_e32 v52, 29, v49
	s_delay_alu instid0(VALU_DEP_2)
	v_and_b32_e32 v49, 7, v53
; %bb.247:                              ;   in Loop: Header=BB260_10 Depth=1
	s_wait_alu 0xfffe
	s_or_b32 exec_lo, exec_lo, s35
	v_lshlrev_b32_e32 v1, 8, v51
	v_lshl_add_u32 v51, v52, 10, 0x2000
	v_lshlrev_b32_e32 v49, 23, v49
	s_delay_alu instid0(VALU_DEP_2) | instskip(NEXT) | instid1(VALU_DEP_1)
	v_and_or_b32 v1, 0x8000, v1, v51
	v_lshl_or_b32 v49, v1, 16, v49
.LBB260_248:                            ;   in Loop: Header=BB260_10 Depth=1
	s_wait_alu 0xfffe
	s_or_b32 exec_lo, exec_lo, s34
.LBB260_249:                            ;   in Loop: Header=BB260_10 Depth=1
	s_delay_alu instid0(SALU_CYCLE_1)
	s_or_b32 exec_lo, exec_lo, s33
.LBB260_250:                            ;   in Loop: Header=BB260_10 Depth=1
	s_wait_alu 0xfffe
	s_or_b32 exec_lo, exec_lo, s5
	global_load_u16 v1, v[7:8], off offset:904
	s_wait_loadcnt 0x0
	v_dual_mov_b32 v51, 0 :: v_dual_and_b32 v52, 0xff, v1
	v_and_b32_e32 v1, 0xffff, v1
	s_delay_alu instid0(VALU_DEP_2)
	v_cmp_ne_u16_e64 s4, 0, v52
	v_mov_b32_e32 v52, 0
	s_and_saveexec_b32 s5, s4
	s_cbranch_execz .LBB260_258
; %bb.251:                              ;   in Loop: Header=BB260_10 Depth=1
	v_and_b32_e32 v52, 0xff, v1
	s_delay_alu instid0(VALU_DEP_1)
	v_cmp_ne_u16_e64 s4, 0x80, v52
	v_mov_b32_e32 v52, 0x8000
	s_and_saveexec_b32 s33, s4
	s_cbranch_execz .LBB260_257
; %bb.252:                              ;   in Loop: Header=BB260_10 Depth=1
	v_and_b32_e32 v54, 0x7f, v1
	v_mov_b32_e32 v52, 0x7c01
	s_mov_b32 s34, exec_lo
	s_delay_alu instid0(VALU_DEP_2)
	v_cmpx_ne_u32_e32 0x7f, v54
	s_cbranch_execz .LBB260_256
; %bb.253:                              ;   in Loop: Header=BB260_10 Depth=1
	v_and_b32_e32 v52, 7, v1
	v_lshrrev_b32_e32 v53, 3, v54
	s_mov_b32 s35, exec_lo
	v_cmpx_gt_u32_e32 8, v54
; %bb.254:                              ;   in Loop: Header=BB260_10 Depth=1
	s_delay_alu instid0(VALU_DEP_3) | instskip(NEXT) | instid1(VALU_DEP_1)
	v_clz_i32_u32_e32 v52, v52
	v_min_u32_e32 v54, 32, v52
	s_delay_alu instid0(VALU_DEP_1) | instskip(NEXT) | instid1(VALU_DEP_1)
	v_subrev_nc_u32_e32 v52, 28, v54
	v_lshlrev_b64_e32 v[52:53], v52, v[1:2]
	v_sub_nc_u32_e32 v53, 29, v54
	s_delay_alu instid0(VALU_DEP_2)
	v_and_b32_e32 v52, 7, v52
; %bb.255:                              ;   in Loop: Header=BB260_10 Depth=1
	s_wait_alu 0xfffe
	s_or_b32 exec_lo, exec_lo, s35
	v_lshlrev_b32_e32 v54, 8, v1
	v_lshl_add_u32 v53, v53, 10, 0x2000
	v_lshlrev_b32_e32 v52, 7, v52
	s_delay_alu instid0(VALU_DEP_3) | instskip(NEXT) | instid1(VALU_DEP_3)
	v_and_b32_e32 v54, 0x8000, v54
	v_and_b32_e32 v53, 0xfc00, v53
	s_delay_alu instid0(VALU_DEP_1)
	v_or3_b32 v52, v54, v53, v52
.LBB260_256:                            ;   in Loop: Header=BB260_10 Depth=1
	s_wait_alu 0xfffe
	s_or_b32 exec_lo, exec_lo, s34
.LBB260_257:                            ;   in Loop: Header=BB260_10 Depth=1
	s_delay_alu instid0(SALU_CYCLE_1)
	s_or_b32 exec_lo, exec_lo, s33
.LBB260_258:                            ;   in Loop: Header=BB260_10 Depth=1
	s_wait_alu 0xfffe
	s_or_b32 exec_lo, exec_lo, s5
	v_lshrrev_b16 v1, 8, v1
	s_mov_b32 s5, exec_lo
	s_delay_alu instid0(VALU_DEP_1)
	v_cmpx_ne_u16_e32 0, v1
	s_cbranch_execz .LBB260_266
; %bb.259:                              ;   in Loop: Header=BB260_10 Depth=1
	v_bfrev_b32_e32 v51, 1
	s_mov_b32 s33, exec_lo
	v_cmpx_ne_u16_e32 0x80, v1
	s_cbranch_execz .LBB260_265
; %bb.260:                              ;   in Loop: Header=BB260_10 Depth=1
	v_and_b32_e32 v53, 0xffff, v1
	v_mov_b32_e32 v51, 0x7c010000
	s_mov_b32 s34, exec_lo
	s_delay_alu instid0(VALU_DEP_2) | instskip(NEXT) | instid1(VALU_DEP_1)
	v_and_b32_e32 v55, 0x7f, v53
	v_cmpx_ne_u32_e32 0x7f, v55
	s_cbranch_execz .LBB260_264
; %bb.261:                              ;   in Loop: Header=BB260_10 Depth=1
	v_and_b32_e32 v51, 7, v53
	v_lshrrev_b32_e32 v54, 3, v55
	s_mov_b32 s35, exec_lo
	v_cmpx_gt_u32_e32 8, v55
; %bb.262:                              ;   in Loop: Header=BB260_10 Depth=1
	s_delay_alu instid0(VALU_DEP_3) | instskip(NEXT) | instid1(VALU_DEP_1)
	v_clz_i32_u32_e32 v51, v51
	v_min_u32_e32 v51, 32, v51
	s_delay_alu instid0(VALU_DEP_1) | instskip(NEXT) | instid1(VALU_DEP_1)
	v_subrev_nc_u32_e32 v54, 28, v51
	v_lshlrev_b64_e32 v[55:56], v54, v[1:2]
	v_sub_nc_u32_e32 v54, 29, v51
	s_delay_alu instid0(VALU_DEP_2)
	v_and_b32_e32 v51, 7, v55
; %bb.263:                              ;   in Loop: Header=BB260_10 Depth=1
	s_wait_alu 0xfffe
	s_or_b32 exec_lo, exec_lo, s35
	v_lshlrev_b32_e32 v1, 8, v53
	v_lshl_add_u32 v53, v54, 10, 0x2000
	v_lshlrev_b32_e32 v51, 23, v51
	s_delay_alu instid0(VALU_DEP_2) | instskip(NEXT) | instid1(VALU_DEP_1)
	v_and_or_b32 v1, 0x8000, v1, v53
	v_lshl_or_b32 v51, v1, 16, v51
.LBB260_264:                            ;   in Loop: Header=BB260_10 Depth=1
	s_wait_alu 0xfffe
	s_or_b32 exec_lo, exec_lo, s34
.LBB260_265:                            ;   in Loop: Header=BB260_10 Depth=1
	s_delay_alu instid0(SALU_CYCLE_1)
	s_or_b32 exec_lo, exec_lo, s33
.LBB260_266:                            ;   in Loop: Header=BB260_10 Depth=1
	s_wait_alu 0xfffe
	s_or_b32 exec_lo, exec_lo, s5
	global_load_u16 v1, v[7:8], off offset:1024
	s_wait_loadcnt 0x0
	v_dual_mov_b32 v53, 0 :: v_dual_and_b32 v54, 0xff, v1
	v_and_b32_e32 v1, 0xffff, v1
	s_delay_alu instid0(VALU_DEP_2)
	v_cmp_ne_u16_e64 s4, 0, v54
	v_mov_b32_e32 v54, 0
	s_and_saveexec_b32 s5, s4
	s_cbranch_execz .LBB260_274
; %bb.267:                              ;   in Loop: Header=BB260_10 Depth=1
	v_and_b32_e32 v54, 0xff, v1
	s_delay_alu instid0(VALU_DEP_1)
	v_cmp_ne_u16_e64 s4, 0x80, v54
	v_mov_b32_e32 v54, 0x8000
	s_and_saveexec_b32 s33, s4
	s_cbranch_execz .LBB260_273
; %bb.268:                              ;   in Loop: Header=BB260_10 Depth=1
	v_and_b32_e32 v56, 0x7f, v1
	v_mov_b32_e32 v54, 0x7c01
	s_mov_b32 s34, exec_lo
	s_delay_alu instid0(VALU_DEP_2)
	v_cmpx_ne_u32_e32 0x7f, v56
	s_cbranch_execz .LBB260_272
; %bb.269:                              ;   in Loop: Header=BB260_10 Depth=1
	v_and_b32_e32 v54, 7, v1
	v_lshrrev_b32_e32 v55, 3, v56
	s_mov_b32 s35, exec_lo
	v_cmpx_gt_u32_e32 8, v56
; %bb.270:                              ;   in Loop: Header=BB260_10 Depth=1
	s_delay_alu instid0(VALU_DEP_3) | instskip(NEXT) | instid1(VALU_DEP_1)
	v_clz_i32_u32_e32 v54, v54
	v_min_u32_e32 v56, 32, v54
	s_delay_alu instid0(VALU_DEP_1) | instskip(NEXT) | instid1(VALU_DEP_1)
	v_subrev_nc_u32_e32 v54, 28, v56
	v_lshlrev_b64_e32 v[54:55], v54, v[1:2]
	v_sub_nc_u32_e32 v55, 29, v56
	s_delay_alu instid0(VALU_DEP_2)
	v_and_b32_e32 v54, 7, v54
; %bb.271:                              ;   in Loop: Header=BB260_10 Depth=1
	s_wait_alu 0xfffe
	s_or_b32 exec_lo, exec_lo, s35
	v_lshlrev_b32_e32 v56, 8, v1
	v_lshl_add_u32 v55, v55, 10, 0x2000
	v_lshlrev_b32_e32 v54, 7, v54
	s_delay_alu instid0(VALU_DEP_3) | instskip(NEXT) | instid1(VALU_DEP_3)
	v_and_b32_e32 v56, 0x8000, v56
	v_and_b32_e32 v55, 0xfc00, v55
	s_delay_alu instid0(VALU_DEP_1)
	v_or3_b32 v54, v56, v55, v54
.LBB260_272:                            ;   in Loop: Header=BB260_10 Depth=1
	s_wait_alu 0xfffe
	s_or_b32 exec_lo, exec_lo, s34
.LBB260_273:                            ;   in Loop: Header=BB260_10 Depth=1
	s_delay_alu instid0(SALU_CYCLE_1)
	s_or_b32 exec_lo, exec_lo, s33
.LBB260_274:                            ;   in Loop: Header=BB260_10 Depth=1
	s_wait_alu 0xfffe
	s_or_b32 exec_lo, exec_lo, s5
	v_lshrrev_b16 v1, 8, v1
	s_mov_b32 s5, exec_lo
	s_delay_alu instid0(VALU_DEP_1)
	v_cmpx_ne_u16_e32 0, v1
	s_cbranch_execz .LBB260_282
; %bb.275:                              ;   in Loop: Header=BB260_10 Depth=1
	v_bfrev_b32_e32 v53, 1
	s_mov_b32 s33, exec_lo
	v_cmpx_ne_u16_e32 0x80, v1
	s_cbranch_execz .LBB260_281
; %bb.276:                              ;   in Loop: Header=BB260_10 Depth=1
	v_and_b32_e32 v55, 0xffff, v1
	v_mov_b32_e32 v53, 0x7c010000
	s_mov_b32 s34, exec_lo
	s_delay_alu instid0(VALU_DEP_2) | instskip(NEXT) | instid1(VALU_DEP_1)
	v_and_b32_e32 v57, 0x7f, v55
	v_cmpx_ne_u32_e32 0x7f, v57
	s_cbranch_execz .LBB260_280
; %bb.277:                              ;   in Loop: Header=BB260_10 Depth=1
	v_and_b32_e32 v53, 7, v55
	v_lshrrev_b32_e32 v56, 3, v57
	s_mov_b32 s35, exec_lo
	v_cmpx_gt_u32_e32 8, v57
; %bb.278:                              ;   in Loop: Header=BB260_10 Depth=1
	s_delay_alu instid0(VALU_DEP_3) | instskip(NEXT) | instid1(VALU_DEP_1)
	v_clz_i32_u32_e32 v53, v53
	v_min_u32_e32 v53, 32, v53
	s_delay_alu instid0(VALU_DEP_1) | instskip(NEXT) | instid1(VALU_DEP_1)
	v_subrev_nc_u32_e32 v56, 28, v53
	v_lshlrev_b64_e32 v[57:58], v56, v[1:2]
	v_sub_nc_u32_e32 v56, 29, v53
	s_delay_alu instid0(VALU_DEP_2)
	v_and_b32_e32 v53, 7, v57
; %bb.279:                              ;   in Loop: Header=BB260_10 Depth=1
	s_wait_alu 0xfffe
	s_or_b32 exec_lo, exec_lo, s35
	v_lshlrev_b32_e32 v1, 8, v55
	v_lshl_add_u32 v55, v56, 10, 0x2000
	v_lshlrev_b32_e32 v53, 23, v53
	s_delay_alu instid0(VALU_DEP_2) | instskip(NEXT) | instid1(VALU_DEP_1)
	v_and_or_b32 v1, 0x8000, v1, v55
	v_lshl_or_b32 v53, v1, 16, v53
.LBB260_280:                            ;   in Loop: Header=BB260_10 Depth=1
	s_wait_alu 0xfffe
	s_or_b32 exec_lo, exec_lo, s34
.LBB260_281:                            ;   in Loop: Header=BB260_10 Depth=1
	s_delay_alu instid0(SALU_CYCLE_1)
	s_or_b32 exec_lo, exec_lo, s33
.LBB260_282:                            ;   in Loop: Header=BB260_10 Depth=1
	s_wait_alu 0xfffe
	s_or_b32 exec_lo, exec_lo, s5
	global_load_u16 v1, v[7:8], off offset:1032
	s_wait_loadcnt 0x0
	v_dual_mov_b32 v55, 0 :: v_dual_and_b32 v56, 0xff, v1
	v_and_b32_e32 v1, 0xffff, v1
	s_delay_alu instid0(VALU_DEP_2)
	v_cmp_ne_u16_e64 s4, 0, v56
	v_mov_b32_e32 v56, 0
	s_and_saveexec_b32 s5, s4
	s_cbranch_execz .LBB260_290
; %bb.283:                              ;   in Loop: Header=BB260_10 Depth=1
	v_and_b32_e32 v56, 0xff, v1
	s_delay_alu instid0(VALU_DEP_1)
	v_cmp_ne_u16_e64 s4, 0x80, v56
	v_mov_b32_e32 v56, 0x8000
	s_and_saveexec_b32 s33, s4
	s_cbranch_execz .LBB260_289
; %bb.284:                              ;   in Loop: Header=BB260_10 Depth=1
	v_and_b32_e32 v58, 0x7f, v1
	v_mov_b32_e32 v56, 0x7c01
	s_mov_b32 s34, exec_lo
	s_delay_alu instid0(VALU_DEP_2)
	v_cmpx_ne_u32_e32 0x7f, v58
	s_cbranch_execz .LBB260_288
; %bb.285:                              ;   in Loop: Header=BB260_10 Depth=1
	v_and_b32_e32 v56, 7, v1
	v_lshrrev_b32_e32 v57, 3, v58
	s_mov_b32 s35, exec_lo
	v_cmpx_gt_u32_e32 8, v58
; %bb.286:                              ;   in Loop: Header=BB260_10 Depth=1
	s_delay_alu instid0(VALU_DEP_3) | instskip(NEXT) | instid1(VALU_DEP_1)
	v_clz_i32_u32_e32 v56, v56
	v_min_u32_e32 v58, 32, v56
	s_delay_alu instid0(VALU_DEP_1) | instskip(NEXT) | instid1(VALU_DEP_1)
	v_subrev_nc_u32_e32 v56, 28, v58
	v_lshlrev_b64_e32 v[56:57], v56, v[1:2]
	v_sub_nc_u32_e32 v57, 29, v58
	s_delay_alu instid0(VALU_DEP_2)
	v_and_b32_e32 v56, 7, v56
; %bb.287:                              ;   in Loop: Header=BB260_10 Depth=1
	s_wait_alu 0xfffe
	s_or_b32 exec_lo, exec_lo, s35
	v_lshlrev_b32_e32 v58, 8, v1
	v_lshl_add_u32 v57, v57, 10, 0x2000
	v_lshlrev_b32_e32 v56, 7, v56
	s_delay_alu instid0(VALU_DEP_3) | instskip(NEXT) | instid1(VALU_DEP_3)
	v_and_b32_e32 v58, 0x8000, v58
	v_and_b32_e32 v57, 0xfc00, v57
	s_delay_alu instid0(VALU_DEP_1)
	v_or3_b32 v56, v58, v57, v56
.LBB260_288:                            ;   in Loop: Header=BB260_10 Depth=1
	s_wait_alu 0xfffe
	s_or_b32 exec_lo, exec_lo, s34
.LBB260_289:                            ;   in Loop: Header=BB260_10 Depth=1
	s_delay_alu instid0(SALU_CYCLE_1)
	s_or_b32 exec_lo, exec_lo, s33
.LBB260_290:                            ;   in Loop: Header=BB260_10 Depth=1
	s_wait_alu 0xfffe
	s_or_b32 exec_lo, exec_lo, s5
	v_lshrrev_b16 v1, 8, v1
	s_mov_b32 s5, exec_lo
	s_delay_alu instid0(VALU_DEP_1)
	v_cmpx_ne_u16_e32 0, v1
	s_cbranch_execz .LBB260_298
; %bb.291:                              ;   in Loop: Header=BB260_10 Depth=1
	v_bfrev_b32_e32 v55, 1
	s_mov_b32 s33, exec_lo
	v_cmpx_ne_u16_e32 0x80, v1
	s_cbranch_execz .LBB260_297
; %bb.292:                              ;   in Loop: Header=BB260_10 Depth=1
	v_and_b32_e32 v57, 0xffff, v1
	v_mov_b32_e32 v55, 0x7c010000
	s_mov_b32 s34, exec_lo
	s_delay_alu instid0(VALU_DEP_2) | instskip(NEXT) | instid1(VALU_DEP_1)
	v_and_b32_e32 v59, 0x7f, v57
	v_cmpx_ne_u32_e32 0x7f, v59
	s_cbranch_execz .LBB260_296
; %bb.293:                              ;   in Loop: Header=BB260_10 Depth=1
	v_and_b32_e32 v55, 7, v57
	v_lshrrev_b32_e32 v58, 3, v59
	s_mov_b32 s35, exec_lo
	v_cmpx_gt_u32_e32 8, v59
; %bb.294:                              ;   in Loop: Header=BB260_10 Depth=1
	s_delay_alu instid0(VALU_DEP_3) | instskip(NEXT) | instid1(VALU_DEP_1)
	v_clz_i32_u32_e32 v55, v55
	v_min_u32_e32 v55, 32, v55
	s_delay_alu instid0(VALU_DEP_1) | instskip(NEXT) | instid1(VALU_DEP_1)
	v_subrev_nc_u32_e32 v58, 28, v55
	v_lshlrev_b64_e32 v[59:60], v58, v[1:2]
	v_sub_nc_u32_e32 v58, 29, v55
	s_delay_alu instid0(VALU_DEP_2)
	v_and_b32_e32 v55, 7, v59
; %bb.295:                              ;   in Loop: Header=BB260_10 Depth=1
	s_wait_alu 0xfffe
	s_or_b32 exec_lo, exec_lo, s35
	v_lshlrev_b32_e32 v1, 8, v57
	v_lshl_add_u32 v57, v58, 10, 0x2000
	v_lshlrev_b32_e32 v55, 23, v55
	s_delay_alu instid0(VALU_DEP_2) | instskip(NEXT) | instid1(VALU_DEP_1)
	v_and_or_b32 v1, 0x8000, v1, v57
	v_lshl_or_b32 v55, v1, 16, v55
.LBB260_296:                            ;   in Loop: Header=BB260_10 Depth=1
	s_wait_alu 0xfffe
	s_or_b32 exec_lo, exec_lo, s34
.LBB260_297:                            ;   in Loop: Header=BB260_10 Depth=1
	s_delay_alu instid0(SALU_CYCLE_1)
	s_or_b32 exec_lo, exec_lo, s33
.LBB260_298:                            ;   in Loop: Header=BB260_10 Depth=1
	s_wait_alu 0xfffe
	s_or_b32 exec_lo, exec_lo, s5
	global_load_u16 v1, v[7:8], off offset:1152
	s_wait_loadcnt 0x0
	v_dual_mov_b32 v57, 0 :: v_dual_and_b32 v58, 0xff, v1
	v_and_b32_e32 v1, 0xffff, v1
	s_delay_alu instid0(VALU_DEP_2)
	v_cmp_ne_u16_e64 s4, 0, v58
	v_mov_b32_e32 v58, 0
	s_and_saveexec_b32 s5, s4
	s_cbranch_execz .LBB260_306
; %bb.299:                              ;   in Loop: Header=BB260_10 Depth=1
	v_and_b32_e32 v58, 0xff, v1
	s_delay_alu instid0(VALU_DEP_1)
	v_cmp_ne_u16_e64 s4, 0x80, v58
	v_mov_b32_e32 v58, 0x8000
	s_and_saveexec_b32 s33, s4
	s_cbranch_execz .LBB260_305
; %bb.300:                              ;   in Loop: Header=BB260_10 Depth=1
	v_and_b32_e32 v60, 0x7f, v1
	v_mov_b32_e32 v58, 0x7c01
	s_mov_b32 s34, exec_lo
	s_delay_alu instid0(VALU_DEP_2)
	v_cmpx_ne_u32_e32 0x7f, v60
	s_cbranch_execz .LBB260_304
; %bb.301:                              ;   in Loop: Header=BB260_10 Depth=1
	v_and_b32_e32 v58, 7, v1
	v_lshrrev_b32_e32 v59, 3, v60
	s_mov_b32 s35, exec_lo
	v_cmpx_gt_u32_e32 8, v60
; %bb.302:                              ;   in Loop: Header=BB260_10 Depth=1
	s_delay_alu instid0(VALU_DEP_3) | instskip(NEXT) | instid1(VALU_DEP_1)
	v_clz_i32_u32_e32 v58, v58
	v_min_u32_e32 v60, 32, v58
	s_delay_alu instid0(VALU_DEP_1) | instskip(NEXT) | instid1(VALU_DEP_1)
	v_subrev_nc_u32_e32 v58, 28, v60
	v_lshlrev_b64_e32 v[58:59], v58, v[1:2]
	v_sub_nc_u32_e32 v59, 29, v60
	s_delay_alu instid0(VALU_DEP_2)
	v_and_b32_e32 v58, 7, v58
; %bb.303:                              ;   in Loop: Header=BB260_10 Depth=1
	s_wait_alu 0xfffe
	s_or_b32 exec_lo, exec_lo, s35
	v_lshlrev_b32_e32 v60, 8, v1
	v_lshl_add_u32 v59, v59, 10, 0x2000
	v_lshlrev_b32_e32 v58, 7, v58
	s_delay_alu instid0(VALU_DEP_3) | instskip(NEXT) | instid1(VALU_DEP_3)
	v_and_b32_e32 v60, 0x8000, v60
	v_and_b32_e32 v59, 0xfc00, v59
	s_delay_alu instid0(VALU_DEP_1)
	v_or3_b32 v58, v60, v59, v58
.LBB260_304:                            ;   in Loop: Header=BB260_10 Depth=1
	s_wait_alu 0xfffe
	s_or_b32 exec_lo, exec_lo, s34
.LBB260_305:                            ;   in Loop: Header=BB260_10 Depth=1
	s_delay_alu instid0(SALU_CYCLE_1)
	s_or_b32 exec_lo, exec_lo, s33
.LBB260_306:                            ;   in Loop: Header=BB260_10 Depth=1
	s_wait_alu 0xfffe
	s_or_b32 exec_lo, exec_lo, s5
	v_lshrrev_b16 v1, 8, v1
	s_mov_b32 s5, exec_lo
	s_delay_alu instid0(VALU_DEP_1)
	v_cmpx_ne_u16_e32 0, v1
	s_cbranch_execz .LBB260_314
; %bb.307:                              ;   in Loop: Header=BB260_10 Depth=1
	v_bfrev_b32_e32 v57, 1
	s_mov_b32 s33, exec_lo
	v_cmpx_ne_u16_e32 0x80, v1
	s_cbranch_execz .LBB260_313
; %bb.308:                              ;   in Loop: Header=BB260_10 Depth=1
	v_and_b32_e32 v59, 0xffff, v1
	v_mov_b32_e32 v57, 0x7c010000
	s_mov_b32 s34, exec_lo
	s_delay_alu instid0(VALU_DEP_2) | instskip(NEXT) | instid1(VALU_DEP_1)
	v_and_b32_e32 v61, 0x7f, v59
	v_cmpx_ne_u32_e32 0x7f, v61
	s_cbranch_execz .LBB260_312
; %bb.309:                              ;   in Loop: Header=BB260_10 Depth=1
	v_and_b32_e32 v57, 7, v59
	v_lshrrev_b32_e32 v60, 3, v61
	s_mov_b32 s35, exec_lo
	v_cmpx_gt_u32_e32 8, v61
; %bb.310:                              ;   in Loop: Header=BB260_10 Depth=1
	s_delay_alu instid0(VALU_DEP_3) | instskip(NEXT) | instid1(VALU_DEP_1)
	v_clz_i32_u32_e32 v57, v57
	v_min_u32_e32 v57, 32, v57
	s_delay_alu instid0(VALU_DEP_1) | instskip(NEXT) | instid1(VALU_DEP_1)
	v_subrev_nc_u32_e32 v60, 28, v57
	v_lshlrev_b64_e32 v[61:62], v60, v[1:2]
	v_sub_nc_u32_e32 v60, 29, v57
	s_delay_alu instid0(VALU_DEP_2)
	v_and_b32_e32 v57, 7, v61
; %bb.311:                              ;   in Loop: Header=BB260_10 Depth=1
	s_wait_alu 0xfffe
	s_or_b32 exec_lo, exec_lo, s35
	v_lshlrev_b32_e32 v1, 8, v59
	v_lshl_add_u32 v59, v60, 10, 0x2000
	v_lshlrev_b32_e32 v57, 23, v57
	s_delay_alu instid0(VALU_DEP_2) | instskip(NEXT) | instid1(VALU_DEP_1)
	v_and_or_b32 v1, 0x8000, v1, v59
	v_lshl_or_b32 v57, v1, 16, v57
.LBB260_312:                            ;   in Loop: Header=BB260_10 Depth=1
	s_wait_alu 0xfffe
	s_or_b32 exec_lo, exec_lo, s34
.LBB260_313:                            ;   in Loop: Header=BB260_10 Depth=1
	s_delay_alu instid0(SALU_CYCLE_1)
	s_or_b32 exec_lo, exec_lo, s33
.LBB260_314:                            ;   in Loop: Header=BB260_10 Depth=1
	s_wait_alu 0xfffe
	s_or_b32 exec_lo, exec_lo, s5
	global_load_u16 v1, v[7:8], off offset:1160
	s_wait_loadcnt 0x0
	v_dual_mov_b32 v59, 0 :: v_dual_and_b32 v60, 0xff, v1
	v_and_b32_e32 v1, 0xffff, v1
	s_delay_alu instid0(VALU_DEP_2)
	v_cmp_ne_u16_e64 s4, 0, v60
	v_mov_b32_e32 v60, 0
	s_and_saveexec_b32 s5, s4
	s_cbranch_execz .LBB260_322
; %bb.315:                              ;   in Loop: Header=BB260_10 Depth=1
	v_and_b32_e32 v60, 0xff, v1
	s_delay_alu instid0(VALU_DEP_1)
	v_cmp_ne_u16_e64 s4, 0x80, v60
	v_mov_b32_e32 v60, 0x8000
	s_and_saveexec_b32 s33, s4
	s_cbranch_execz .LBB260_321
; %bb.316:                              ;   in Loop: Header=BB260_10 Depth=1
	v_and_b32_e32 v62, 0x7f, v1
	v_mov_b32_e32 v60, 0x7c01
	s_mov_b32 s34, exec_lo
	s_delay_alu instid0(VALU_DEP_2)
	v_cmpx_ne_u32_e32 0x7f, v62
	s_cbranch_execz .LBB260_320
; %bb.317:                              ;   in Loop: Header=BB260_10 Depth=1
	v_and_b32_e32 v60, 7, v1
	v_lshrrev_b32_e32 v61, 3, v62
	s_mov_b32 s35, exec_lo
	v_cmpx_gt_u32_e32 8, v62
; %bb.318:                              ;   in Loop: Header=BB260_10 Depth=1
	s_delay_alu instid0(VALU_DEP_3) | instskip(NEXT) | instid1(VALU_DEP_1)
	v_clz_i32_u32_e32 v60, v60
	v_min_u32_e32 v62, 32, v60
	s_delay_alu instid0(VALU_DEP_1) | instskip(NEXT) | instid1(VALU_DEP_1)
	v_subrev_nc_u32_e32 v60, 28, v62
	v_lshlrev_b64_e32 v[60:61], v60, v[1:2]
	v_sub_nc_u32_e32 v61, 29, v62
	s_delay_alu instid0(VALU_DEP_2)
	v_and_b32_e32 v60, 7, v60
; %bb.319:                              ;   in Loop: Header=BB260_10 Depth=1
	s_wait_alu 0xfffe
	s_or_b32 exec_lo, exec_lo, s35
	v_lshlrev_b32_e32 v62, 8, v1
	v_lshl_add_u32 v61, v61, 10, 0x2000
	v_lshlrev_b32_e32 v60, 7, v60
	s_delay_alu instid0(VALU_DEP_3) | instskip(NEXT) | instid1(VALU_DEP_3)
	v_and_b32_e32 v62, 0x8000, v62
	v_and_b32_e32 v61, 0xfc00, v61
	s_delay_alu instid0(VALU_DEP_1)
	v_or3_b32 v60, v62, v61, v60
.LBB260_320:                            ;   in Loop: Header=BB260_10 Depth=1
	s_wait_alu 0xfffe
	s_or_b32 exec_lo, exec_lo, s34
.LBB260_321:                            ;   in Loop: Header=BB260_10 Depth=1
	s_delay_alu instid0(SALU_CYCLE_1)
	s_or_b32 exec_lo, exec_lo, s33
.LBB260_322:                            ;   in Loop: Header=BB260_10 Depth=1
	s_wait_alu 0xfffe
	s_or_b32 exec_lo, exec_lo, s5
	v_lshrrev_b16 v1, 8, v1
	s_mov_b32 s5, exec_lo
	s_delay_alu instid0(VALU_DEP_1)
	v_cmpx_ne_u16_e32 0, v1
	s_cbranch_execz .LBB260_330
; %bb.323:                              ;   in Loop: Header=BB260_10 Depth=1
	v_bfrev_b32_e32 v59, 1
	s_mov_b32 s33, exec_lo
	v_cmpx_ne_u16_e32 0x80, v1
	s_cbranch_execz .LBB260_329
; %bb.324:                              ;   in Loop: Header=BB260_10 Depth=1
	v_and_b32_e32 v61, 0xffff, v1
	v_mov_b32_e32 v59, 0x7c010000
	s_mov_b32 s34, exec_lo
	s_delay_alu instid0(VALU_DEP_2) | instskip(NEXT) | instid1(VALU_DEP_1)
	v_and_b32_e32 v63, 0x7f, v61
	v_cmpx_ne_u32_e32 0x7f, v63
	s_cbranch_execz .LBB260_328
; %bb.325:                              ;   in Loop: Header=BB260_10 Depth=1
	v_and_b32_e32 v59, 7, v61
	v_lshrrev_b32_e32 v62, 3, v63
	s_mov_b32 s35, exec_lo
	v_cmpx_gt_u32_e32 8, v63
; %bb.326:                              ;   in Loop: Header=BB260_10 Depth=1
	s_delay_alu instid0(VALU_DEP_3) | instskip(NEXT) | instid1(VALU_DEP_1)
	v_clz_i32_u32_e32 v59, v59
	v_min_u32_e32 v59, 32, v59
	s_delay_alu instid0(VALU_DEP_1) | instskip(NEXT) | instid1(VALU_DEP_1)
	v_subrev_nc_u32_e32 v62, 28, v59
	v_lshlrev_b64_e32 v[63:64], v62, v[1:2]
	v_sub_nc_u32_e32 v62, 29, v59
	s_delay_alu instid0(VALU_DEP_2)
	v_and_b32_e32 v59, 7, v63
; %bb.327:                              ;   in Loop: Header=BB260_10 Depth=1
	s_wait_alu 0xfffe
	s_or_b32 exec_lo, exec_lo, s35
	v_lshlrev_b32_e32 v1, 8, v61
	v_lshl_add_u32 v61, v62, 10, 0x2000
	v_lshlrev_b32_e32 v59, 23, v59
	s_delay_alu instid0(VALU_DEP_2) | instskip(NEXT) | instid1(VALU_DEP_1)
	v_and_or_b32 v1, 0x8000, v1, v61
	v_lshl_or_b32 v59, v1, 16, v59
.LBB260_328:                            ;   in Loop: Header=BB260_10 Depth=1
	s_wait_alu 0xfffe
	s_or_b32 exec_lo, exec_lo, s34
.LBB260_329:                            ;   in Loop: Header=BB260_10 Depth=1
	s_delay_alu instid0(SALU_CYCLE_1)
	s_or_b32 exec_lo, exec_lo, s33
.LBB260_330:                            ;   in Loop: Header=BB260_10 Depth=1
	s_wait_alu 0xfffe
	s_or_b32 exec_lo, exec_lo, s5
	global_load_u16 v1, v[7:8], off offset:1280
	s_wait_loadcnt 0x0
	v_dual_mov_b32 v61, 0 :: v_dual_and_b32 v62, 0xff, v1
	v_and_b32_e32 v1, 0xffff, v1
	s_delay_alu instid0(VALU_DEP_2)
	v_cmp_ne_u16_e64 s4, 0, v62
	v_mov_b32_e32 v62, 0
	s_and_saveexec_b32 s5, s4
	s_cbranch_execz .LBB260_338
; %bb.331:                              ;   in Loop: Header=BB260_10 Depth=1
	v_and_b32_e32 v62, 0xff, v1
	s_delay_alu instid0(VALU_DEP_1)
	v_cmp_ne_u16_e64 s4, 0x80, v62
	v_mov_b32_e32 v62, 0x8000
	s_and_saveexec_b32 s33, s4
	s_cbranch_execz .LBB260_337
; %bb.332:                              ;   in Loop: Header=BB260_10 Depth=1
	v_and_b32_e32 v64, 0x7f, v1
	v_mov_b32_e32 v62, 0x7c01
	s_mov_b32 s34, exec_lo
	s_delay_alu instid0(VALU_DEP_2)
	v_cmpx_ne_u32_e32 0x7f, v64
	s_cbranch_execz .LBB260_336
; %bb.333:                              ;   in Loop: Header=BB260_10 Depth=1
	v_and_b32_e32 v62, 7, v1
	v_lshrrev_b32_e32 v63, 3, v64
	s_mov_b32 s35, exec_lo
	v_cmpx_gt_u32_e32 8, v64
; %bb.334:                              ;   in Loop: Header=BB260_10 Depth=1
	s_delay_alu instid0(VALU_DEP_3) | instskip(NEXT) | instid1(VALU_DEP_1)
	v_clz_i32_u32_e32 v62, v62
	v_min_u32_e32 v64, 32, v62
	s_delay_alu instid0(VALU_DEP_1) | instskip(NEXT) | instid1(VALU_DEP_1)
	v_subrev_nc_u32_e32 v62, 28, v64
	v_lshlrev_b64_e32 v[62:63], v62, v[1:2]
	v_sub_nc_u32_e32 v63, 29, v64
	s_delay_alu instid0(VALU_DEP_2)
	v_and_b32_e32 v62, 7, v62
; %bb.335:                              ;   in Loop: Header=BB260_10 Depth=1
	s_wait_alu 0xfffe
	s_or_b32 exec_lo, exec_lo, s35
	v_lshlrev_b32_e32 v64, 8, v1
	v_lshl_add_u32 v63, v63, 10, 0x2000
	v_lshlrev_b32_e32 v62, 7, v62
	s_delay_alu instid0(VALU_DEP_3) | instskip(NEXT) | instid1(VALU_DEP_3)
	v_and_b32_e32 v64, 0x8000, v64
	v_and_b32_e32 v63, 0xfc00, v63
	s_delay_alu instid0(VALU_DEP_1)
	v_or3_b32 v62, v64, v63, v62
.LBB260_336:                            ;   in Loop: Header=BB260_10 Depth=1
	s_wait_alu 0xfffe
	s_or_b32 exec_lo, exec_lo, s34
.LBB260_337:                            ;   in Loop: Header=BB260_10 Depth=1
	s_delay_alu instid0(SALU_CYCLE_1)
	s_or_b32 exec_lo, exec_lo, s33
.LBB260_338:                            ;   in Loop: Header=BB260_10 Depth=1
	s_wait_alu 0xfffe
	s_or_b32 exec_lo, exec_lo, s5
	v_lshrrev_b16 v1, 8, v1
	s_mov_b32 s5, exec_lo
	s_delay_alu instid0(VALU_DEP_1)
	v_cmpx_ne_u16_e32 0, v1
	s_cbranch_execz .LBB260_346
; %bb.339:                              ;   in Loop: Header=BB260_10 Depth=1
	v_bfrev_b32_e32 v61, 1
	s_mov_b32 s33, exec_lo
	v_cmpx_ne_u16_e32 0x80, v1
	s_cbranch_execz .LBB260_345
; %bb.340:                              ;   in Loop: Header=BB260_10 Depth=1
	v_and_b32_e32 v63, 0xffff, v1
	v_mov_b32_e32 v61, 0x7c010000
	s_mov_b32 s34, exec_lo
	s_delay_alu instid0(VALU_DEP_2) | instskip(NEXT) | instid1(VALU_DEP_1)
	v_and_b32_e32 v65, 0x7f, v63
	v_cmpx_ne_u32_e32 0x7f, v65
	s_cbranch_execz .LBB260_344
; %bb.341:                              ;   in Loop: Header=BB260_10 Depth=1
	v_and_b32_e32 v61, 7, v63
	v_lshrrev_b32_e32 v64, 3, v65
	s_mov_b32 s35, exec_lo
	v_cmpx_gt_u32_e32 8, v65
; %bb.342:                              ;   in Loop: Header=BB260_10 Depth=1
	s_delay_alu instid0(VALU_DEP_3) | instskip(NEXT) | instid1(VALU_DEP_1)
	v_clz_i32_u32_e32 v61, v61
	v_min_u32_e32 v61, 32, v61
	s_delay_alu instid0(VALU_DEP_1) | instskip(NEXT) | instid1(VALU_DEP_1)
	v_subrev_nc_u32_e32 v64, 28, v61
	v_lshlrev_b64_e32 v[65:66], v64, v[1:2]
	v_sub_nc_u32_e32 v64, 29, v61
	s_delay_alu instid0(VALU_DEP_2)
	v_and_b32_e32 v61, 7, v65
; %bb.343:                              ;   in Loop: Header=BB260_10 Depth=1
	s_wait_alu 0xfffe
	s_or_b32 exec_lo, exec_lo, s35
	v_lshlrev_b32_e32 v1, 8, v63
	v_lshl_add_u32 v63, v64, 10, 0x2000
	v_lshlrev_b32_e32 v61, 23, v61
	s_delay_alu instid0(VALU_DEP_2) | instskip(NEXT) | instid1(VALU_DEP_1)
	v_and_or_b32 v1, 0x8000, v1, v63
	v_lshl_or_b32 v61, v1, 16, v61
.LBB260_344:                            ;   in Loop: Header=BB260_10 Depth=1
	s_wait_alu 0xfffe
	s_or_b32 exec_lo, exec_lo, s34
.LBB260_345:                            ;   in Loop: Header=BB260_10 Depth=1
	s_delay_alu instid0(SALU_CYCLE_1)
	s_or_b32 exec_lo, exec_lo, s33
.LBB260_346:                            ;   in Loop: Header=BB260_10 Depth=1
	s_wait_alu 0xfffe
	s_or_b32 exec_lo, exec_lo, s5
	global_load_u16 v1, v[7:8], off offset:1288
	s_wait_loadcnt 0x0
	v_dual_mov_b32 v63, 0 :: v_dual_and_b32 v64, 0xff, v1
	v_and_b32_e32 v1, 0xffff, v1
	s_delay_alu instid0(VALU_DEP_2)
	v_cmp_ne_u16_e64 s4, 0, v64
	v_mov_b32_e32 v64, 0
	s_and_saveexec_b32 s5, s4
	s_cbranch_execz .LBB260_354
; %bb.347:                              ;   in Loop: Header=BB260_10 Depth=1
	v_and_b32_e32 v64, 0xff, v1
	s_delay_alu instid0(VALU_DEP_1)
	v_cmp_ne_u16_e64 s4, 0x80, v64
	v_mov_b32_e32 v64, 0x8000
	s_and_saveexec_b32 s33, s4
	s_cbranch_execz .LBB260_353
; %bb.348:                              ;   in Loop: Header=BB260_10 Depth=1
	v_and_b32_e32 v66, 0x7f, v1
	v_mov_b32_e32 v64, 0x7c01
	s_mov_b32 s34, exec_lo
	s_delay_alu instid0(VALU_DEP_2)
	v_cmpx_ne_u32_e32 0x7f, v66
	s_cbranch_execz .LBB260_352
; %bb.349:                              ;   in Loop: Header=BB260_10 Depth=1
	v_and_b32_e32 v64, 7, v1
	v_lshrrev_b32_e32 v65, 3, v66
	s_mov_b32 s35, exec_lo
	v_cmpx_gt_u32_e32 8, v66
; %bb.350:                              ;   in Loop: Header=BB260_10 Depth=1
	s_delay_alu instid0(VALU_DEP_3) | instskip(NEXT) | instid1(VALU_DEP_1)
	v_clz_i32_u32_e32 v64, v64
	v_min_u32_e32 v66, 32, v64
	s_delay_alu instid0(VALU_DEP_1) | instskip(NEXT) | instid1(VALU_DEP_1)
	v_subrev_nc_u32_e32 v64, 28, v66
	v_lshlrev_b64_e32 v[64:65], v64, v[1:2]
	v_sub_nc_u32_e32 v65, 29, v66
	s_delay_alu instid0(VALU_DEP_2)
	v_and_b32_e32 v64, 7, v64
; %bb.351:                              ;   in Loop: Header=BB260_10 Depth=1
	s_wait_alu 0xfffe
	s_or_b32 exec_lo, exec_lo, s35
	v_lshlrev_b32_e32 v66, 8, v1
	v_lshl_add_u32 v65, v65, 10, 0x2000
	v_lshlrev_b32_e32 v64, 7, v64
	s_delay_alu instid0(VALU_DEP_3) | instskip(NEXT) | instid1(VALU_DEP_3)
	v_and_b32_e32 v66, 0x8000, v66
	v_and_b32_e32 v65, 0xfc00, v65
	s_delay_alu instid0(VALU_DEP_1)
	v_or3_b32 v64, v66, v65, v64
.LBB260_352:                            ;   in Loop: Header=BB260_10 Depth=1
	s_wait_alu 0xfffe
	s_or_b32 exec_lo, exec_lo, s34
.LBB260_353:                            ;   in Loop: Header=BB260_10 Depth=1
	s_delay_alu instid0(SALU_CYCLE_1)
	s_or_b32 exec_lo, exec_lo, s33
.LBB260_354:                            ;   in Loop: Header=BB260_10 Depth=1
	s_wait_alu 0xfffe
	s_or_b32 exec_lo, exec_lo, s5
	v_lshrrev_b16 v1, 8, v1
	s_mov_b32 s5, exec_lo
	s_delay_alu instid0(VALU_DEP_1)
	v_cmpx_ne_u16_e32 0, v1
	s_cbranch_execz .LBB260_362
; %bb.355:                              ;   in Loop: Header=BB260_10 Depth=1
	v_bfrev_b32_e32 v63, 1
	s_mov_b32 s33, exec_lo
	v_cmpx_ne_u16_e32 0x80, v1
	s_cbranch_execz .LBB260_361
; %bb.356:                              ;   in Loop: Header=BB260_10 Depth=1
	v_and_b32_e32 v65, 0xffff, v1
	v_mov_b32_e32 v63, 0x7c010000
	s_mov_b32 s34, exec_lo
	s_delay_alu instid0(VALU_DEP_2) | instskip(NEXT) | instid1(VALU_DEP_1)
	v_and_b32_e32 v67, 0x7f, v65
	v_cmpx_ne_u32_e32 0x7f, v67
	s_cbranch_execz .LBB260_360
; %bb.357:                              ;   in Loop: Header=BB260_10 Depth=1
	v_and_b32_e32 v63, 7, v65
	v_lshrrev_b32_e32 v66, 3, v67
	s_mov_b32 s35, exec_lo
	v_cmpx_gt_u32_e32 8, v67
; %bb.358:                              ;   in Loop: Header=BB260_10 Depth=1
	s_delay_alu instid0(VALU_DEP_3) | instskip(NEXT) | instid1(VALU_DEP_1)
	v_clz_i32_u32_e32 v63, v63
	v_min_u32_e32 v63, 32, v63
	s_delay_alu instid0(VALU_DEP_1) | instskip(NEXT) | instid1(VALU_DEP_1)
	v_subrev_nc_u32_e32 v66, 28, v63
	v_lshlrev_b64_e32 v[67:68], v66, v[1:2]
	v_sub_nc_u32_e32 v66, 29, v63
	s_delay_alu instid0(VALU_DEP_2)
	v_and_b32_e32 v63, 7, v67
; %bb.359:                              ;   in Loop: Header=BB260_10 Depth=1
	s_wait_alu 0xfffe
	s_or_b32 exec_lo, exec_lo, s35
	v_lshlrev_b32_e32 v1, 8, v65
	v_lshl_add_u32 v65, v66, 10, 0x2000
	v_lshlrev_b32_e32 v63, 23, v63
	s_delay_alu instid0(VALU_DEP_2) | instskip(NEXT) | instid1(VALU_DEP_1)
	v_and_or_b32 v1, 0x8000, v1, v65
	v_lshl_or_b32 v63, v1, 16, v63
.LBB260_360:                            ;   in Loop: Header=BB260_10 Depth=1
	s_wait_alu 0xfffe
	s_or_b32 exec_lo, exec_lo, s34
.LBB260_361:                            ;   in Loop: Header=BB260_10 Depth=1
	s_delay_alu instid0(SALU_CYCLE_1)
	s_or_b32 exec_lo, exec_lo, s33
.LBB260_362:                            ;   in Loop: Header=BB260_10 Depth=1
	s_wait_alu 0xfffe
	s_or_b32 exec_lo, exec_lo, s5
	global_load_u16 v1, v[7:8], off offset:1408
	s_wait_loadcnt 0x0
	v_dual_mov_b32 v65, 0 :: v_dual_and_b32 v66, 0xff, v1
	v_and_b32_e32 v1, 0xffff, v1
	s_delay_alu instid0(VALU_DEP_2)
	v_cmp_ne_u16_e64 s4, 0, v66
	v_mov_b32_e32 v66, 0
	s_and_saveexec_b32 s5, s4
	s_cbranch_execz .LBB260_370
; %bb.363:                              ;   in Loop: Header=BB260_10 Depth=1
	v_and_b32_e32 v66, 0xff, v1
	s_delay_alu instid0(VALU_DEP_1)
	v_cmp_ne_u16_e64 s4, 0x80, v66
	v_mov_b32_e32 v66, 0x8000
	s_and_saveexec_b32 s33, s4
	s_cbranch_execz .LBB260_369
; %bb.364:                              ;   in Loop: Header=BB260_10 Depth=1
	v_and_b32_e32 v68, 0x7f, v1
	v_mov_b32_e32 v66, 0x7c01
	s_mov_b32 s34, exec_lo
	s_delay_alu instid0(VALU_DEP_2)
	v_cmpx_ne_u32_e32 0x7f, v68
	s_cbranch_execz .LBB260_368
; %bb.365:                              ;   in Loop: Header=BB260_10 Depth=1
	v_and_b32_e32 v66, 7, v1
	v_lshrrev_b32_e32 v67, 3, v68
	s_mov_b32 s35, exec_lo
	v_cmpx_gt_u32_e32 8, v68
; %bb.366:                              ;   in Loop: Header=BB260_10 Depth=1
	s_delay_alu instid0(VALU_DEP_3) | instskip(NEXT) | instid1(VALU_DEP_1)
	v_clz_i32_u32_e32 v66, v66
	v_min_u32_e32 v68, 32, v66
	s_delay_alu instid0(VALU_DEP_1) | instskip(NEXT) | instid1(VALU_DEP_1)
	v_subrev_nc_u32_e32 v66, 28, v68
	v_lshlrev_b64_e32 v[66:67], v66, v[1:2]
	v_sub_nc_u32_e32 v67, 29, v68
	s_delay_alu instid0(VALU_DEP_2)
	v_and_b32_e32 v66, 7, v66
; %bb.367:                              ;   in Loop: Header=BB260_10 Depth=1
	s_wait_alu 0xfffe
	s_or_b32 exec_lo, exec_lo, s35
	v_lshlrev_b32_e32 v68, 8, v1
	v_lshl_add_u32 v67, v67, 10, 0x2000
	v_lshlrev_b32_e32 v66, 7, v66
	s_delay_alu instid0(VALU_DEP_3) | instskip(NEXT) | instid1(VALU_DEP_3)
	v_and_b32_e32 v68, 0x8000, v68
	v_and_b32_e32 v67, 0xfc00, v67
	s_delay_alu instid0(VALU_DEP_1)
	v_or3_b32 v66, v68, v67, v66
.LBB260_368:                            ;   in Loop: Header=BB260_10 Depth=1
	s_wait_alu 0xfffe
	s_or_b32 exec_lo, exec_lo, s34
.LBB260_369:                            ;   in Loop: Header=BB260_10 Depth=1
	s_delay_alu instid0(SALU_CYCLE_1)
	s_or_b32 exec_lo, exec_lo, s33
.LBB260_370:                            ;   in Loop: Header=BB260_10 Depth=1
	s_wait_alu 0xfffe
	s_or_b32 exec_lo, exec_lo, s5
	v_lshrrev_b16 v1, 8, v1
	s_mov_b32 s5, exec_lo
	s_delay_alu instid0(VALU_DEP_1)
	v_cmpx_ne_u16_e32 0, v1
	s_cbranch_execz .LBB260_378
; %bb.371:                              ;   in Loop: Header=BB260_10 Depth=1
	v_bfrev_b32_e32 v65, 1
	s_mov_b32 s33, exec_lo
	v_cmpx_ne_u16_e32 0x80, v1
	s_cbranch_execz .LBB260_377
; %bb.372:                              ;   in Loop: Header=BB260_10 Depth=1
	v_and_b32_e32 v67, 0xffff, v1
	v_mov_b32_e32 v65, 0x7c010000
	s_mov_b32 s34, exec_lo
	s_delay_alu instid0(VALU_DEP_2) | instskip(NEXT) | instid1(VALU_DEP_1)
	v_and_b32_e32 v69, 0x7f, v67
	v_cmpx_ne_u32_e32 0x7f, v69
	s_cbranch_execz .LBB260_376
; %bb.373:                              ;   in Loop: Header=BB260_10 Depth=1
	v_and_b32_e32 v65, 7, v67
	v_lshrrev_b32_e32 v68, 3, v69
	s_mov_b32 s35, exec_lo
	v_cmpx_gt_u32_e32 8, v69
; %bb.374:                              ;   in Loop: Header=BB260_10 Depth=1
	s_delay_alu instid0(VALU_DEP_3) | instskip(NEXT) | instid1(VALU_DEP_1)
	v_clz_i32_u32_e32 v65, v65
	v_min_u32_e32 v65, 32, v65
	s_delay_alu instid0(VALU_DEP_1) | instskip(NEXT) | instid1(VALU_DEP_1)
	v_subrev_nc_u32_e32 v68, 28, v65
	v_lshlrev_b64_e32 v[69:70], v68, v[1:2]
	v_sub_nc_u32_e32 v68, 29, v65
	s_delay_alu instid0(VALU_DEP_2)
	v_and_b32_e32 v65, 7, v69
; %bb.375:                              ;   in Loop: Header=BB260_10 Depth=1
	s_wait_alu 0xfffe
	s_or_b32 exec_lo, exec_lo, s35
	v_lshlrev_b32_e32 v1, 8, v67
	v_lshl_add_u32 v67, v68, 10, 0x2000
	v_lshlrev_b32_e32 v65, 23, v65
	s_delay_alu instid0(VALU_DEP_2) | instskip(NEXT) | instid1(VALU_DEP_1)
	v_and_or_b32 v1, 0x8000, v1, v67
	v_lshl_or_b32 v65, v1, 16, v65
.LBB260_376:                            ;   in Loop: Header=BB260_10 Depth=1
	s_wait_alu 0xfffe
	s_or_b32 exec_lo, exec_lo, s34
.LBB260_377:                            ;   in Loop: Header=BB260_10 Depth=1
	s_delay_alu instid0(SALU_CYCLE_1)
	s_or_b32 exec_lo, exec_lo, s33
.LBB260_378:                            ;   in Loop: Header=BB260_10 Depth=1
	s_wait_alu 0xfffe
	s_or_b32 exec_lo, exec_lo, s5
	global_load_u16 v1, v[7:8], off offset:1416
	s_wait_loadcnt 0x0
	v_dual_mov_b32 v67, 0 :: v_dual_and_b32 v68, 0xff, v1
	v_and_b32_e32 v1, 0xffff, v1
	s_delay_alu instid0(VALU_DEP_2)
	v_cmp_ne_u16_e64 s4, 0, v68
	v_mov_b32_e32 v68, 0
	s_and_saveexec_b32 s5, s4
	s_cbranch_execz .LBB260_386
; %bb.379:                              ;   in Loop: Header=BB260_10 Depth=1
	v_and_b32_e32 v68, 0xff, v1
	s_delay_alu instid0(VALU_DEP_1)
	v_cmp_ne_u16_e64 s4, 0x80, v68
	v_mov_b32_e32 v68, 0x8000
	s_and_saveexec_b32 s33, s4
	s_cbranch_execz .LBB260_385
; %bb.380:                              ;   in Loop: Header=BB260_10 Depth=1
	v_and_b32_e32 v70, 0x7f, v1
	v_mov_b32_e32 v68, 0x7c01
	s_mov_b32 s34, exec_lo
	s_delay_alu instid0(VALU_DEP_2)
	v_cmpx_ne_u32_e32 0x7f, v70
	s_cbranch_execz .LBB260_384
; %bb.381:                              ;   in Loop: Header=BB260_10 Depth=1
	v_and_b32_e32 v68, 7, v1
	v_lshrrev_b32_e32 v69, 3, v70
	s_mov_b32 s35, exec_lo
	v_cmpx_gt_u32_e32 8, v70
; %bb.382:                              ;   in Loop: Header=BB260_10 Depth=1
	s_delay_alu instid0(VALU_DEP_3) | instskip(NEXT) | instid1(VALU_DEP_1)
	v_clz_i32_u32_e32 v68, v68
	v_min_u32_e32 v70, 32, v68
	s_delay_alu instid0(VALU_DEP_1) | instskip(NEXT) | instid1(VALU_DEP_1)
	v_subrev_nc_u32_e32 v68, 28, v70
	v_lshlrev_b64_e32 v[68:69], v68, v[1:2]
	v_sub_nc_u32_e32 v69, 29, v70
	s_delay_alu instid0(VALU_DEP_2)
	v_and_b32_e32 v68, 7, v68
; %bb.383:                              ;   in Loop: Header=BB260_10 Depth=1
	s_wait_alu 0xfffe
	s_or_b32 exec_lo, exec_lo, s35
	v_lshlrev_b32_e32 v70, 8, v1
	v_lshl_add_u32 v69, v69, 10, 0x2000
	v_lshlrev_b32_e32 v68, 7, v68
	s_delay_alu instid0(VALU_DEP_3) | instskip(NEXT) | instid1(VALU_DEP_3)
	v_and_b32_e32 v70, 0x8000, v70
	v_and_b32_e32 v69, 0xfc00, v69
	s_delay_alu instid0(VALU_DEP_1)
	v_or3_b32 v68, v70, v69, v68
.LBB260_384:                            ;   in Loop: Header=BB260_10 Depth=1
	s_wait_alu 0xfffe
	s_or_b32 exec_lo, exec_lo, s34
.LBB260_385:                            ;   in Loop: Header=BB260_10 Depth=1
	s_delay_alu instid0(SALU_CYCLE_1)
	s_or_b32 exec_lo, exec_lo, s33
.LBB260_386:                            ;   in Loop: Header=BB260_10 Depth=1
	s_wait_alu 0xfffe
	s_or_b32 exec_lo, exec_lo, s5
	v_lshrrev_b16 v1, 8, v1
	s_mov_b32 s5, exec_lo
	s_delay_alu instid0(VALU_DEP_1)
	v_cmpx_ne_u16_e32 0, v1
	s_cbranch_execz .LBB260_394
; %bb.387:                              ;   in Loop: Header=BB260_10 Depth=1
	v_bfrev_b32_e32 v67, 1
	s_mov_b32 s33, exec_lo
	v_cmpx_ne_u16_e32 0x80, v1
	s_cbranch_execz .LBB260_393
; %bb.388:                              ;   in Loop: Header=BB260_10 Depth=1
	v_and_b32_e32 v69, 0xffff, v1
	v_mov_b32_e32 v67, 0x7c010000
	s_mov_b32 s34, exec_lo
	s_delay_alu instid0(VALU_DEP_2) | instskip(NEXT) | instid1(VALU_DEP_1)
	v_and_b32_e32 v71, 0x7f, v69
	v_cmpx_ne_u32_e32 0x7f, v71
	s_cbranch_execz .LBB260_392
; %bb.389:                              ;   in Loop: Header=BB260_10 Depth=1
	v_and_b32_e32 v67, 7, v69
	v_lshrrev_b32_e32 v70, 3, v71
	s_mov_b32 s35, exec_lo
	v_cmpx_gt_u32_e32 8, v71
; %bb.390:                              ;   in Loop: Header=BB260_10 Depth=1
	s_delay_alu instid0(VALU_DEP_3) | instskip(NEXT) | instid1(VALU_DEP_1)
	v_clz_i32_u32_e32 v67, v67
	v_min_u32_e32 v67, 32, v67
	s_delay_alu instid0(VALU_DEP_1) | instskip(NEXT) | instid1(VALU_DEP_1)
	v_subrev_nc_u32_e32 v70, 28, v67
	v_lshlrev_b64_e32 v[71:72], v70, v[1:2]
	v_sub_nc_u32_e32 v70, 29, v67
	s_delay_alu instid0(VALU_DEP_2)
	v_and_b32_e32 v67, 7, v71
; %bb.391:                              ;   in Loop: Header=BB260_10 Depth=1
	s_wait_alu 0xfffe
	s_or_b32 exec_lo, exec_lo, s35
	v_lshlrev_b32_e32 v1, 8, v69
	v_lshl_add_u32 v69, v70, 10, 0x2000
	v_lshlrev_b32_e32 v67, 23, v67
	s_delay_alu instid0(VALU_DEP_2) | instskip(NEXT) | instid1(VALU_DEP_1)
	v_and_or_b32 v1, 0x8000, v1, v69
	v_lshl_or_b32 v67, v1, 16, v67
.LBB260_392:                            ;   in Loop: Header=BB260_10 Depth=1
	s_wait_alu 0xfffe
	s_or_b32 exec_lo, exec_lo, s34
.LBB260_393:                            ;   in Loop: Header=BB260_10 Depth=1
	s_delay_alu instid0(SALU_CYCLE_1)
	s_or_b32 exec_lo, exec_lo, s33
.LBB260_394:                            ;   in Loop: Header=BB260_10 Depth=1
	s_wait_alu 0xfffe
	s_or_b32 exec_lo, exec_lo, s5
	global_load_u16 v1, v[7:8], off offset:1536
	s_wait_loadcnt 0x0
	v_dual_mov_b32 v69, 0 :: v_dual_and_b32 v70, 0xff, v1
	v_and_b32_e32 v1, 0xffff, v1
	s_delay_alu instid0(VALU_DEP_2)
	v_cmp_ne_u16_e64 s4, 0, v70
	v_mov_b32_e32 v70, 0
	s_and_saveexec_b32 s5, s4
	s_cbranch_execz .LBB260_402
; %bb.395:                              ;   in Loop: Header=BB260_10 Depth=1
	v_and_b32_e32 v70, 0xff, v1
	s_delay_alu instid0(VALU_DEP_1)
	v_cmp_ne_u16_e64 s4, 0x80, v70
	v_mov_b32_e32 v70, 0x8000
	s_and_saveexec_b32 s33, s4
	s_cbranch_execz .LBB260_401
; %bb.396:                              ;   in Loop: Header=BB260_10 Depth=1
	v_and_b32_e32 v72, 0x7f, v1
	v_mov_b32_e32 v70, 0x7c01
	s_mov_b32 s34, exec_lo
	s_delay_alu instid0(VALU_DEP_2)
	v_cmpx_ne_u32_e32 0x7f, v72
	s_cbranch_execz .LBB260_400
; %bb.397:                              ;   in Loop: Header=BB260_10 Depth=1
	v_and_b32_e32 v70, 7, v1
	v_lshrrev_b32_e32 v71, 3, v72
	s_mov_b32 s35, exec_lo
	v_cmpx_gt_u32_e32 8, v72
; %bb.398:                              ;   in Loop: Header=BB260_10 Depth=1
	s_delay_alu instid0(VALU_DEP_3) | instskip(NEXT) | instid1(VALU_DEP_1)
	v_clz_i32_u32_e32 v70, v70
	v_min_u32_e32 v72, 32, v70
	s_delay_alu instid0(VALU_DEP_1) | instskip(NEXT) | instid1(VALU_DEP_1)
	v_subrev_nc_u32_e32 v70, 28, v72
	v_lshlrev_b64_e32 v[70:71], v70, v[1:2]
	v_sub_nc_u32_e32 v71, 29, v72
	s_delay_alu instid0(VALU_DEP_2)
	v_and_b32_e32 v70, 7, v70
; %bb.399:                              ;   in Loop: Header=BB260_10 Depth=1
	s_wait_alu 0xfffe
	s_or_b32 exec_lo, exec_lo, s35
	v_lshlrev_b32_e32 v72, 8, v1
	v_lshl_add_u32 v71, v71, 10, 0x2000
	v_lshlrev_b32_e32 v70, 7, v70
	s_delay_alu instid0(VALU_DEP_3) | instskip(NEXT) | instid1(VALU_DEP_3)
	v_and_b32_e32 v72, 0x8000, v72
	v_and_b32_e32 v71, 0xfc00, v71
	s_delay_alu instid0(VALU_DEP_1)
	v_or3_b32 v70, v72, v71, v70
.LBB260_400:                            ;   in Loop: Header=BB260_10 Depth=1
	s_wait_alu 0xfffe
	s_or_b32 exec_lo, exec_lo, s34
.LBB260_401:                            ;   in Loop: Header=BB260_10 Depth=1
	s_delay_alu instid0(SALU_CYCLE_1)
	s_or_b32 exec_lo, exec_lo, s33
.LBB260_402:                            ;   in Loop: Header=BB260_10 Depth=1
	s_wait_alu 0xfffe
	s_or_b32 exec_lo, exec_lo, s5
	v_lshrrev_b16 v1, 8, v1
	s_mov_b32 s5, exec_lo
	s_delay_alu instid0(VALU_DEP_1)
	v_cmpx_ne_u16_e32 0, v1
	s_cbranch_execz .LBB260_410
; %bb.403:                              ;   in Loop: Header=BB260_10 Depth=1
	v_bfrev_b32_e32 v69, 1
	s_mov_b32 s33, exec_lo
	v_cmpx_ne_u16_e32 0x80, v1
	s_cbranch_execz .LBB260_409
; %bb.404:                              ;   in Loop: Header=BB260_10 Depth=1
	v_and_b32_e32 v71, 0xffff, v1
	v_mov_b32_e32 v69, 0x7c010000
	s_mov_b32 s34, exec_lo
	s_delay_alu instid0(VALU_DEP_2) | instskip(NEXT) | instid1(VALU_DEP_1)
	v_and_b32_e32 v73, 0x7f, v71
	v_cmpx_ne_u32_e32 0x7f, v73
	s_cbranch_execz .LBB260_408
; %bb.405:                              ;   in Loop: Header=BB260_10 Depth=1
	v_and_b32_e32 v69, 7, v71
	v_lshrrev_b32_e32 v72, 3, v73
	s_mov_b32 s35, exec_lo
	v_cmpx_gt_u32_e32 8, v73
; %bb.406:                              ;   in Loop: Header=BB260_10 Depth=1
	s_delay_alu instid0(VALU_DEP_3) | instskip(NEXT) | instid1(VALU_DEP_1)
	v_clz_i32_u32_e32 v69, v69
	v_min_u32_e32 v69, 32, v69
	s_delay_alu instid0(VALU_DEP_1) | instskip(NEXT) | instid1(VALU_DEP_1)
	v_subrev_nc_u32_e32 v72, 28, v69
	v_lshlrev_b64_e32 v[73:74], v72, v[1:2]
	v_sub_nc_u32_e32 v72, 29, v69
	s_delay_alu instid0(VALU_DEP_2)
	v_and_b32_e32 v69, 7, v73
; %bb.407:                              ;   in Loop: Header=BB260_10 Depth=1
	s_wait_alu 0xfffe
	s_or_b32 exec_lo, exec_lo, s35
	v_lshlrev_b32_e32 v1, 8, v71
	v_lshl_add_u32 v71, v72, 10, 0x2000
	v_lshlrev_b32_e32 v69, 23, v69
	s_delay_alu instid0(VALU_DEP_2) | instskip(NEXT) | instid1(VALU_DEP_1)
	v_and_or_b32 v1, 0x8000, v1, v71
	v_lshl_or_b32 v69, v1, 16, v69
.LBB260_408:                            ;   in Loop: Header=BB260_10 Depth=1
	s_wait_alu 0xfffe
	s_or_b32 exec_lo, exec_lo, s34
.LBB260_409:                            ;   in Loop: Header=BB260_10 Depth=1
	s_delay_alu instid0(SALU_CYCLE_1)
	s_or_b32 exec_lo, exec_lo, s33
.LBB260_410:                            ;   in Loop: Header=BB260_10 Depth=1
	s_wait_alu 0xfffe
	s_or_b32 exec_lo, exec_lo, s5
	global_load_u16 v1, v[7:8], off offset:1544
	s_wait_loadcnt 0x0
	v_dual_mov_b32 v71, 0 :: v_dual_and_b32 v72, 0xff, v1
	v_and_b32_e32 v1, 0xffff, v1
	s_delay_alu instid0(VALU_DEP_2)
	v_cmp_ne_u16_e64 s4, 0, v72
	v_mov_b32_e32 v72, 0
	s_and_saveexec_b32 s5, s4
	s_cbranch_execz .LBB260_418
; %bb.411:                              ;   in Loop: Header=BB260_10 Depth=1
	v_and_b32_e32 v72, 0xff, v1
	s_delay_alu instid0(VALU_DEP_1)
	v_cmp_ne_u16_e64 s4, 0x80, v72
	v_mov_b32_e32 v72, 0x8000
	s_and_saveexec_b32 s33, s4
	s_cbranch_execz .LBB260_417
; %bb.412:                              ;   in Loop: Header=BB260_10 Depth=1
	v_and_b32_e32 v74, 0x7f, v1
	v_mov_b32_e32 v72, 0x7c01
	s_mov_b32 s34, exec_lo
	s_delay_alu instid0(VALU_DEP_2)
	v_cmpx_ne_u32_e32 0x7f, v74
	s_cbranch_execz .LBB260_416
; %bb.413:                              ;   in Loop: Header=BB260_10 Depth=1
	v_and_b32_e32 v72, 7, v1
	v_lshrrev_b32_e32 v73, 3, v74
	s_mov_b32 s35, exec_lo
	v_cmpx_gt_u32_e32 8, v74
; %bb.414:                              ;   in Loop: Header=BB260_10 Depth=1
	s_delay_alu instid0(VALU_DEP_3) | instskip(NEXT) | instid1(VALU_DEP_1)
	v_clz_i32_u32_e32 v72, v72
	v_min_u32_e32 v74, 32, v72
	s_delay_alu instid0(VALU_DEP_1) | instskip(NEXT) | instid1(VALU_DEP_1)
	v_subrev_nc_u32_e32 v72, 28, v74
	v_lshlrev_b64_e32 v[72:73], v72, v[1:2]
	v_sub_nc_u32_e32 v73, 29, v74
	s_delay_alu instid0(VALU_DEP_2)
	v_and_b32_e32 v72, 7, v72
; %bb.415:                              ;   in Loop: Header=BB260_10 Depth=1
	s_wait_alu 0xfffe
	s_or_b32 exec_lo, exec_lo, s35
	v_lshlrev_b32_e32 v74, 8, v1
	v_lshl_add_u32 v73, v73, 10, 0x2000
	v_lshlrev_b32_e32 v72, 7, v72
	s_delay_alu instid0(VALU_DEP_3) | instskip(NEXT) | instid1(VALU_DEP_3)
	v_and_b32_e32 v74, 0x8000, v74
	v_and_b32_e32 v73, 0xfc00, v73
	s_delay_alu instid0(VALU_DEP_1)
	v_or3_b32 v72, v74, v73, v72
.LBB260_416:                            ;   in Loop: Header=BB260_10 Depth=1
	s_wait_alu 0xfffe
	s_or_b32 exec_lo, exec_lo, s34
.LBB260_417:                            ;   in Loop: Header=BB260_10 Depth=1
	s_delay_alu instid0(SALU_CYCLE_1)
	s_or_b32 exec_lo, exec_lo, s33
.LBB260_418:                            ;   in Loop: Header=BB260_10 Depth=1
	s_wait_alu 0xfffe
	s_or_b32 exec_lo, exec_lo, s5
	v_lshrrev_b16 v1, 8, v1
	s_mov_b32 s5, exec_lo
	s_delay_alu instid0(VALU_DEP_1)
	v_cmpx_ne_u16_e32 0, v1
	s_cbranch_execz .LBB260_426
; %bb.419:                              ;   in Loop: Header=BB260_10 Depth=1
	v_bfrev_b32_e32 v71, 1
	s_mov_b32 s33, exec_lo
	v_cmpx_ne_u16_e32 0x80, v1
	s_cbranch_execz .LBB260_425
; %bb.420:                              ;   in Loop: Header=BB260_10 Depth=1
	v_and_b32_e32 v73, 0xffff, v1
	v_mov_b32_e32 v71, 0x7c010000
	s_mov_b32 s34, exec_lo
	s_delay_alu instid0(VALU_DEP_2) | instskip(NEXT) | instid1(VALU_DEP_1)
	v_and_b32_e32 v75, 0x7f, v73
	v_cmpx_ne_u32_e32 0x7f, v75
	s_cbranch_execz .LBB260_424
; %bb.421:                              ;   in Loop: Header=BB260_10 Depth=1
	v_and_b32_e32 v71, 7, v73
	v_lshrrev_b32_e32 v74, 3, v75
	s_mov_b32 s35, exec_lo
	v_cmpx_gt_u32_e32 8, v75
; %bb.422:                              ;   in Loop: Header=BB260_10 Depth=1
	s_delay_alu instid0(VALU_DEP_3) | instskip(NEXT) | instid1(VALU_DEP_1)
	v_clz_i32_u32_e32 v71, v71
	v_min_u32_e32 v71, 32, v71
	s_delay_alu instid0(VALU_DEP_1) | instskip(NEXT) | instid1(VALU_DEP_1)
	v_subrev_nc_u32_e32 v74, 28, v71
	v_lshlrev_b64_e32 v[75:76], v74, v[1:2]
	v_sub_nc_u32_e32 v74, 29, v71
	s_delay_alu instid0(VALU_DEP_2)
	v_and_b32_e32 v71, 7, v75
; %bb.423:                              ;   in Loop: Header=BB260_10 Depth=1
	s_wait_alu 0xfffe
	s_or_b32 exec_lo, exec_lo, s35
	v_lshlrev_b32_e32 v1, 8, v73
	v_lshl_add_u32 v73, v74, 10, 0x2000
	v_lshlrev_b32_e32 v71, 23, v71
	s_delay_alu instid0(VALU_DEP_2) | instskip(NEXT) | instid1(VALU_DEP_1)
	v_and_or_b32 v1, 0x8000, v1, v73
	v_lshl_or_b32 v71, v1, 16, v71
.LBB260_424:                            ;   in Loop: Header=BB260_10 Depth=1
	s_wait_alu 0xfffe
	s_or_b32 exec_lo, exec_lo, s34
.LBB260_425:                            ;   in Loop: Header=BB260_10 Depth=1
	s_delay_alu instid0(SALU_CYCLE_1)
	s_or_b32 exec_lo, exec_lo, s33
.LBB260_426:                            ;   in Loop: Header=BB260_10 Depth=1
	s_wait_alu 0xfffe
	s_or_b32 exec_lo, exec_lo, s5
	global_load_u16 v1, v[7:8], off offset:1664
	s_wait_loadcnt 0x0
	v_dual_mov_b32 v73, 0 :: v_dual_and_b32 v74, 0xff, v1
	v_and_b32_e32 v1, 0xffff, v1
	s_delay_alu instid0(VALU_DEP_2)
	v_cmp_ne_u16_e64 s4, 0, v74
	v_mov_b32_e32 v74, 0
	s_and_saveexec_b32 s5, s4
	s_cbranch_execz .LBB260_434
; %bb.427:                              ;   in Loop: Header=BB260_10 Depth=1
	v_and_b32_e32 v74, 0xff, v1
	s_delay_alu instid0(VALU_DEP_1)
	v_cmp_ne_u16_e64 s4, 0x80, v74
	v_mov_b32_e32 v74, 0x8000
	s_and_saveexec_b32 s33, s4
	s_cbranch_execz .LBB260_433
; %bb.428:                              ;   in Loop: Header=BB260_10 Depth=1
	v_and_b32_e32 v76, 0x7f, v1
	v_mov_b32_e32 v74, 0x7c01
	s_mov_b32 s34, exec_lo
	s_delay_alu instid0(VALU_DEP_2)
	v_cmpx_ne_u32_e32 0x7f, v76
	s_cbranch_execz .LBB260_432
; %bb.429:                              ;   in Loop: Header=BB260_10 Depth=1
	v_and_b32_e32 v74, 7, v1
	v_lshrrev_b32_e32 v75, 3, v76
	s_mov_b32 s35, exec_lo
	v_cmpx_gt_u32_e32 8, v76
; %bb.430:                              ;   in Loop: Header=BB260_10 Depth=1
	s_delay_alu instid0(VALU_DEP_3) | instskip(NEXT) | instid1(VALU_DEP_1)
	v_clz_i32_u32_e32 v74, v74
	v_min_u32_e32 v76, 32, v74
	s_delay_alu instid0(VALU_DEP_1) | instskip(NEXT) | instid1(VALU_DEP_1)
	v_subrev_nc_u32_e32 v74, 28, v76
	v_lshlrev_b64_e32 v[74:75], v74, v[1:2]
	v_sub_nc_u32_e32 v75, 29, v76
	s_delay_alu instid0(VALU_DEP_2)
	v_and_b32_e32 v74, 7, v74
; %bb.431:                              ;   in Loop: Header=BB260_10 Depth=1
	s_wait_alu 0xfffe
	s_or_b32 exec_lo, exec_lo, s35
	v_lshlrev_b32_e32 v76, 8, v1
	v_lshl_add_u32 v75, v75, 10, 0x2000
	v_lshlrev_b32_e32 v74, 7, v74
	s_delay_alu instid0(VALU_DEP_3) | instskip(NEXT) | instid1(VALU_DEP_3)
	v_and_b32_e32 v76, 0x8000, v76
	v_and_b32_e32 v75, 0xfc00, v75
	s_delay_alu instid0(VALU_DEP_1)
	v_or3_b32 v74, v76, v75, v74
.LBB260_432:                            ;   in Loop: Header=BB260_10 Depth=1
	s_wait_alu 0xfffe
	s_or_b32 exec_lo, exec_lo, s34
.LBB260_433:                            ;   in Loop: Header=BB260_10 Depth=1
	s_delay_alu instid0(SALU_CYCLE_1)
	s_or_b32 exec_lo, exec_lo, s33
.LBB260_434:                            ;   in Loop: Header=BB260_10 Depth=1
	s_wait_alu 0xfffe
	s_or_b32 exec_lo, exec_lo, s5
	v_lshrrev_b16 v1, 8, v1
	s_mov_b32 s5, exec_lo
	s_delay_alu instid0(VALU_DEP_1)
	v_cmpx_ne_u16_e32 0, v1
	s_cbranch_execz .LBB260_442
; %bb.435:                              ;   in Loop: Header=BB260_10 Depth=1
	v_bfrev_b32_e32 v73, 1
	s_mov_b32 s33, exec_lo
	v_cmpx_ne_u16_e32 0x80, v1
	s_cbranch_execz .LBB260_441
; %bb.436:                              ;   in Loop: Header=BB260_10 Depth=1
	v_and_b32_e32 v75, 0xffff, v1
	v_mov_b32_e32 v73, 0x7c010000
	s_mov_b32 s34, exec_lo
	s_delay_alu instid0(VALU_DEP_2) | instskip(NEXT) | instid1(VALU_DEP_1)
	v_and_b32_e32 v77, 0x7f, v75
	v_cmpx_ne_u32_e32 0x7f, v77
	s_cbranch_execz .LBB260_440
; %bb.437:                              ;   in Loop: Header=BB260_10 Depth=1
	v_and_b32_e32 v73, 7, v75
	v_lshrrev_b32_e32 v76, 3, v77
	s_mov_b32 s35, exec_lo
	v_cmpx_gt_u32_e32 8, v77
; %bb.438:                              ;   in Loop: Header=BB260_10 Depth=1
	s_delay_alu instid0(VALU_DEP_3) | instskip(NEXT) | instid1(VALU_DEP_1)
	v_clz_i32_u32_e32 v73, v73
	v_min_u32_e32 v73, 32, v73
	s_delay_alu instid0(VALU_DEP_1) | instskip(NEXT) | instid1(VALU_DEP_1)
	v_subrev_nc_u32_e32 v76, 28, v73
	v_lshlrev_b64_e32 v[77:78], v76, v[1:2]
	v_sub_nc_u32_e32 v76, 29, v73
	s_delay_alu instid0(VALU_DEP_2)
	v_and_b32_e32 v73, 7, v77
; %bb.439:                              ;   in Loop: Header=BB260_10 Depth=1
	s_wait_alu 0xfffe
	s_or_b32 exec_lo, exec_lo, s35
	v_lshlrev_b32_e32 v1, 8, v75
	v_lshl_add_u32 v75, v76, 10, 0x2000
	v_lshlrev_b32_e32 v73, 23, v73
	s_delay_alu instid0(VALU_DEP_2) | instskip(NEXT) | instid1(VALU_DEP_1)
	v_and_or_b32 v1, 0x8000, v1, v75
	v_lshl_or_b32 v73, v1, 16, v73
.LBB260_440:                            ;   in Loop: Header=BB260_10 Depth=1
	s_wait_alu 0xfffe
	s_or_b32 exec_lo, exec_lo, s34
.LBB260_441:                            ;   in Loop: Header=BB260_10 Depth=1
	s_delay_alu instid0(SALU_CYCLE_1)
	s_or_b32 exec_lo, exec_lo, s33
.LBB260_442:                            ;   in Loop: Header=BB260_10 Depth=1
	s_wait_alu 0xfffe
	s_or_b32 exec_lo, exec_lo, s5
	global_load_u16 v1, v[7:8], off offset:1672
	s_wait_loadcnt 0x0
	v_dual_mov_b32 v75, 0 :: v_dual_and_b32 v76, 0xff, v1
	v_and_b32_e32 v1, 0xffff, v1
	s_delay_alu instid0(VALU_DEP_2)
	v_cmp_ne_u16_e64 s4, 0, v76
	v_mov_b32_e32 v76, 0
	s_and_saveexec_b32 s5, s4
	s_cbranch_execz .LBB260_450
; %bb.443:                              ;   in Loop: Header=BB260_10 Depth=1
	v_and_b32_e32 v76, 0xff, v1
	s_delay_alu instid0(VALU_DEP_1)
	v_cmp_ne_u16_e64 s4, 0x80, v76
	v_mov_b32_e32 v76, 0x8000
	s_and_saveexec_b32 s33, s4
	s_cbranch_execz .LBB260_449
; %bb.444:                              ;   in Loop: Header=BB260_10 Depth=1
	v_and_b32_e32 v78, 0x7f, v1
	v_mov_b32_e32 v76, 0x7c01
	s_mov_b32 s34, exec_lo
	s_delay_alu instid0(VALU_DEP_2)
	v_cmpx_ne_u32_e32 0x7f, v78
	s_cbranch_execz .LBB260_448
; %bb.445:                              ;   in Loop: Header=BB260_10 Depth=1
	v_and_b32_e32 v76, 7, v1
	v_lshrrev_b32_e32 v77, 3, v78
	s_mov_b32 s35, exec_lo
	v_cmpx_gt_u32_e32 8, v78
; %bb.446:                              ;   in Loop: Header=BB260_10 Depth=1
	s_delay_alu instid0(VALU_DEP_3) | instskip(NEXT) | instid1(VALU_DEP_1)
	v_clz_i32_u32_e32 v76, v76
	v_min_u32_e32 v78, 32, v76
	s_delay_alu instid0(VALU_DEP_1) | instskip(NEXT) | instid1(VALU_DEP_1)
	v_subrev_nc_u32_e32 v76, 28, v78
	v_lshlrev_b64_e32 v[76:77], v76, v[1:2]
	v_sub_nc_u32_e32 v77, 29, v78
	s_delay_alu instid0(VALU_DEP_2)
	v_and_b32_e32 v76, 7, v76
; %bb.447:                              ;   in Loop: Header=BB260_10 Depth=1
	s_wait_alu 0xfffe
	s_or_b32 exec_lo, exec_lo, s35
	v_lshlrev_b32_e32 v78, 8, v1
	v_lshl_add_u32 v77, v77, 10, 0x2000
	v_lshlrev_b32_e32 v76, 7, v76
	s_delay_alu instid0(VALU_DEP_3) | instskip(NEXT) | instid1(VALU_DEP_3)
	v_and_b32_e32 v78, 0x8000, v78
	v_and_b32_e32 v77, 0xfc00, v77
	s_delay_alu instid0(VALU_DEP_1)
	v_or3_b32 v76, v78, v77, v76
.LBB260_448:                            ;   in Loop: Header=BB260_10 Depth=1
	s_wait_alu 0xfffe
	s_or_b32 exec_lo, exec_lo, s34
.LBB260_449:                            ;   in Loop: Header=BB260_10 Depth=1
	s_delay_alu instid0(SALU_CYCLE_1)
	s_or_b32 exec_lo, exec_lo, s33
.LBB260_450:                            ;   in Loop: Header=BB260_10 Depth=1
	s_wait_alu 0xfffe
	s_or_b32 exec_lo, exec_lo, s5
	v_lshrrev_b16 v1, 8, v1
	s_mov_b32 s5, exec_lo
	s_delay_alu instid0(VALU_DEP_1)
	v_cmpx_ne_u16_e32 0, v1
	s_cbranch_execz .LBB260_458
; %bb.451:                              ;   in Loop: Header=BB260_10 Depth=1
	v_bfrev_b32_e32 v75, 1
	s_mov_b32 s33, exec_lo
	v_cmpx_ne_u16_e32 0x80, v1
	s_cbranch_execz .LBB260_457
; %bb.452:                              ;   in Loop: Header=BB260_10 Depth=1
	v_and_b32_e32 v77, 0xffff, v1
	v_mov_b32_e32 v75, 0x7c010000
	s_mov_b32 s34, exec_lo
	s_delay_alu instid0(VALU_DEP_2) | instskip(NEXT) | instid1(VALU_DEP_1)
	v_and_b32_e32 v79, 0x7f, v77
	v_cmpx_ne_u32_e32 0x7f, v79
	s_cbranch_execz .LBB260_456
; %bb.453:                              ;   in Loop: Header=BB260_10 Depth=1
	v_and_b32_e32 v75, 7, v77
	v_lshrrev_b32_e32 v78, 3, v79
	s_mov_b32 s35, exec_lo
	v_cmpx_gt_u32_e32 8, v79
; %bb.454:                              ;   in Loop: Header=BB260_10 Depth=1
	s_delay_alu instid0(VALU_DEP_3) | instskip(NEXT) | instid1(VALU_DEP_1)
	v_clz_i32_u32_e32 v75, v75
	v_min_u32_e32 v75, 32, v75
	s_delay_alu instid0(VALU_DEP_1) | instskip(NEXT) | instid1(VALU_DEP_1)
	v_subrev_nc_u32_e32 v78, 28, v75
	v_lshlrev_b64_e32 v[79:80], v78, v[1:2]
	v_sub_nc_u32_e32 v78, 29, v75
	s_delay_alu instid0(VALU_DEP_2)
	v_and_b32_e32 v75, 7, v79
; %bb.455:                              ;   in Loop: Header=BB260_10 Depth=1
	s_wait_alu 0xfffe
	s_or_b32 exec_lo, exec_lo, s35
	v_lshlrev_b32_e32 v1, 8, v77
	v_lshl_add_u32 v77, v78, 10, 0x2000
	v_lshlrev_b32_e32 v75, 23, v75
	s_delay_alu instid0(VALU_DEP_2) | instskip(NEXT) | instid1(VALU_DEP_1)
	v_and_or_b32 v1, 0x8000, v1, v77
	v_lshl_or_b32 v75, v1, 16, v75
.LBB260_456:                            ;   in Loop: Header=BB260_10 Depth=1
	s_wait_alu 0xfffe
	s_or_b32 exec_lo, exec_lo, s34
.LBB260_457:                            ;   in Loop: Header=BB260_10 Depth=1
	s_delay_alu instid0(SALU_CYCLE_1)
	s_or_b32 exec_lo, exec_lo, s33
.LBB260_458:                            ;   in Loop: Header=BB260_10 Depth=1
	s_wait_alu 0xfffe
	s_or_b32 exec_lo, exec_lo, s5
	global_load_u16 v1, v[7:8], off offset:1792
	s_wait_loadcnt 0x0
	v_dual_mov_b32 v77, 0 :: v_dual_and_b32 v78, 0xff, v1
	v_and_b32_e32 v1, 0xffff, v1
	s_delay_alu instid0(VALU_DEP_2)
	v_cmp_ne_u16_e64 s4, 0, v78
	v_mov_b32_e32 v78, 0
	s_and_saveexec_b32 s5, s4
	s_cbranch_execz .LBB260_466
; %bb.459:                              ;   in Loop: Header=BB260_10 Depth=1
	v_and_b32_e32 v78, 0xff, v1
	s_delay_alu instid0(VALU_DEP_1)
	v_cmp_ne_u16_e64 s4, 0x80, v78
	v_mov_b32_e32 v78, 0x8000
	s_and_saveexec_b32 s33, s4
	s_cbranch_execz .LBB260_465
; %bb.460:                              ;   in Loop: Header=BB260_10 Depth=1
	v_and_b32_e32 v80, 0x7f, v1
	v_mov_b32_e32 v78, 0x7c01
	s_mov_b32 s34, exec_lo
	s_delay_alu instid0(VALU_DEP_2)
	v_cmpx_ne_u32_e32 0x7f, v80
	s_cbranch_execz .LBB260_464
; %bb.461:                              ;   in Loop: Header=BB260_10 Depth=1
	v_and_b32_e32 v78, 7, v1
	v_lshrrev_b32_e32 v79, 3, v80
	s_mov_b32 s35, exec_lo
	v_cmpx_gt_u32_e32 8, v80
; %bb.462:                              ;   in Loop: Header=BB260_10 Depth=1
	s_delay_alu instid0(VALU_DEP_3) | instskip(NEXT) | instid1(VALU_DEP_1)
	v_clz_i32_u32_e32 v78, v78
	v_min_u32_e32 v80, 32, v78
	s_delay_alu instid0(VALU_DEP_1) | instskip(NEXT) | instid1(VALU_DEP_1)
	v_subrev_nc_u32_e32 v78, 28, v80
	v_lshlrev_b64_e32 v[78:79], v78, v[1:2]
	v_sub_nc_u32_e32 v79, 29, v80
	s_delay_alu instid0(VALU_DEP_2)
	v_and_b32_e32 v78, 7, v78
; %bb.463:                              ;   in Loop: Header=BB260_10 Depth=1
	s_wait_alu 0xfffe
	s_or_b32 exec_lo, exec_lo, s35
	v_lshlrev_b32_e32 v80, 8, v1
	v_lshl_add_u32 v79, v79, 10, 0x2000
	v_lshlrev_b32_e32 v78, 7, v78
	s_delay_alu instid0(VALU_DEP_3) | instskip(NEXT) | instid1(VALU_DEP_3)
	v_and_b32_e32 v80, 0x8000, v80
	v_and_b32_e32 v79, 0xfc00, v79
	s_delay_alu instid0(VALU_DEP_1)
	v_or3_b32 v78, v80, v79, v78
.LBB260_464:                            ;   in Loop: Header=BB260_10 Depth=1
	s_wait_alu 0xfffe
	s_or_b32 exec_lo, exec_lo, s34
.LBB260_465:                            ;   in Loop: Header=BB260_10 Depth=1
	s_delay_alu instid0(SALU_CYCLE_1)
	s_or_b32 exec_lo, exec_lo, s33
.LBB260_466:                            ;   in Loop: Header=BB260_10 Depth=1
	s_wait_alu 0xfffe
	s_or_b32 exec_lo, exec_lo, s5
	v_lshrrev_b16 v1, 8, v1
	s_mov_b32 s5, exec_lo
	s_delay_alu instid0(VALU_DEP_1)
	v_cmpx_ne_u16_e32 0, v1
	s_cbranch_execz .LBB260_474
; %bb.467:                              ;   in Loop: Header=BB260_10 Depth=1
	v_bfrev_b32_e32 v77, 1
	s_mov_b32 s33, exec_lo
	v_cmpx_ne_u16_e32 0x80, v1
	s_cbranch_execz .LBB260_473
; %bb.468:                              ;   in Loop: Header=BB260_10 Depth=1
	v_and_b32_e32 v79, 0xffff, v1
	v_mov_b32_e32 v77, 0x7c010000
	s_mov_b32 s34, exec_lo
	s_delay_alu instid0(VALU_DEP_2) | instskip(NEXT) | instid1(VALU_DEP_1)
	v_and_b32_e32 v81, 0x7f, v79
	v_cmpx_ne_u32_e32 0x7f, v81
	s_cbranch_execz .LBB260_472
; %bb.469:                              ;   in Loop: Header=BB260_10 Depth=1
	v_and_b32_e32 v77, 7, v79
	v_lshrrev_b32_e32 v80, 3, v81
	s_mov_b32 s35, exec_lo
	v_cmpx_gt_u32_e32 8, v81
; %bb.470:                              ;   in Loop: Header=BB260_10 Depth=1
	s_delay_alu instid0(VALU_DEP_3) | instskip(NEXT) | instid1(VALU_DEP_1)
	v_clz_i32_u32_e32 v77, v77
	v_min_u32_e32 v77, 32, v77
	s_delay_alu instid0(VALU_DEP_1) | instskip(NEXT) | instid1(VALU_DEP_1)
	v_subrev_nc_u32_e32 v80, 28, v77
	v_lshlrev_b64_e32 v[81:82], v80, v[1:2]
	v_sub_nc_u32_e32 v80, 29, v77
	s_delay_alu instid0(VALU_DEP_2)
	v_and_b32_e32 v77, 7, v81
; %bb.471:                              ;   in Loop: Header=BB260_10 Depth=1
	s_wait_alu 0xfffe
	s_or_b32 exec_lo, exec_lo, s35
	v_lshlrev_b32_e32 v1, 8, v79
	v_lshl_add_u32 v79, v80, 10, 0x2000
	v_lshlrev_b32_e32 v77, 23, v77
	s_delay_alu instid0(VALU_DEP_2) | instskip(NEXT) | instid1(VALU_DEP_1)
	v_and_or_b32 v1, 0x8000, v1, v79
	v_lshl_or_b32 v77, v1, 16, v77
.LBB260_472:                            ;   in Loop: Header=BB260_10 Depth=1
	s_wait_alu 0xfffe
	s_or_b32 exec_lo, exec_lo, s34
.LBB260_473:                            ;   in Loop: Header=BB260_10 Depth=1
	s_delay_alu instid0(SALU_CYCLE_1)
	s_or_b32 exec_lo, exec_lo, s33
.LBB260_474:                            ;   in Loop: Header=BB260_10 Depth=1
	s_wait_alu 0xfffe
	s_or_b32 exec_lo, exec_lo, s5
	global_load_u16 v1, v[7:8], off offset:1800
	s_wait_loadcnt 0x0
	v_dual_mov_b32 v79, 0 :: v_dual_and_b32 v80, 0xff, v1
	v_and_b32_e32 v1, 0xffff, v1
	s_delay_alu instid0(VALU_DEP_2)
	v_cmp_ne_u16_e64 s4, 0, v80
	v_mov_b32_e32 v80, 0
	s_and_saveexec_b32 s5, s4
	s_cbranch_execz .LBB260_482
; %bb.475:                              ;   in Loop: Header=BB260_10 Depth=1
	v_and_b32_e32 v80, 0xff, v1
	s_delay_alu instid0(VALU_DEP_1)
	v_cmp_ne_u16_e64 s4, 0x80, v80
	v_mov_b32_e32 v80, 0x8000
	s_and_saveexec_b32 s33, s4
	s_cbranch_execz .LBB260_481
; %bb.476:                              ;   in Loop: Header=BB260_10 Depth=1
	v_and_b32_e32 v82, 0x7f, v1
	v_mov_b32_e32 v80, 0x7c01
	s_mov_b32 s34, exec_lo
	s_delay_alu instid0(VALU_DEP_2)
	v_cmpx_ne_u32_e32 0x7f, v82
	s_cbranch_execz .LBB260_480
; %bb.477:                              ;   in Loop: Header=BB260_10 Depth=1
	v_and_b32_e32 v80, 7, v1
	v_lshrrev_b32_e32 v81, 3, v82
	s_mov_b32 s35, exec_lo
	v_cmpx_gt_u32_e32 8, v82
; %bb.478:                              ;   in Loop: Header=BB260_10 Depth=1
	s_delay_alu instid0(VALU_DEP_3) | instskip(NEXT) | instid1(VALU_DEP_1)
	v_clz_i32_u32_e32 v80, v80
	v_min_u32_e32 v82, 32, v80
	s_delay_alu instid0(VALU_DEP_1) | instskip(NEXT) | instid1(VALU_DEP_1)
	v_subrev_nc_u32_e32 v80, 28, v82
	v_lshlrev_b64_e32 v[80:81], v80, v[1:2]
	v_sub_nc_u32_e32 v81, 29, v82
	s_delay_alu instid0(VALU_DEP_2)
	v_and_b32_e32 v80, 7, v80
; %bb.479:                              ;   in Loop: Header=BB260_10 Depth=1
	s_wait_alu 0xfffe
	s_or_b32 exec_lo, exec_lo, s35
	v_lshlrev_b32_e32 v82, 8, v1
	v_lshl_add_u32 v81, v81, 10, 0x2000
	v_lshlrev_b32_e32 v80, 7, v80
	s_delay_alu instid0(VALU_DEP_3) | instskip(NEXT) | instid1(VALU_DEP_3)
	v_and_b32_e32 v82, 0x8000, v82
	v_and_b32_e32 v81, 0xfc00, v81
	s_delay_alu instid0(VALU_DEP_1)
	v_or3_b32 v80, v82, v81, v80
.LBB260_480:                            ;   in Loop: Header=BB260_10 Depth=1
	s_wait_alu 0xfffe
	s_or_b32 exec_lo, exec_lo, s34
.LBB260_481:                            ;   in Loop: Header=BB260_10 Depth=1
	s_delay_alu instid0(SALU_CYCLE_1)
	s_or_b32 exec_lo, exec_lo, s33
.LBB260_482:                            ;   in Loop: Header=BB260_10 Depth=1
	s_wait_alu 0xfffe
	s_or_b32 exec_lo, exec_lo, s5
	v_lshrrev_b16 v1, 8, v1
	s_mov_b32 s5, exec_lo
	s_delay_alu instid0(VALU_DEP_1)
	v_cmpx_ne_u16_e32 0, v1
	s_cbranch_execz .LBB260_490
; %bb.483:                              ;   in Loop: Header=BB260_10 Depth=1
	v_bfrev_b32_e32 v79, 1
	s_mov_b32 s33, exec_lo
	v_cmpx_ne_u16_e32 0x80, v1
	s_cbranch_execz .LBB260_489
; %bb.484:                              ;   in Loop: Header=BB260_10 Depth=1
	v_and_b32_e32 v81, 0xffff, v1
	v_mov_b32_e32 v79, 0x7c010000
	s_mov_b32 s34, exec_lo
	s_delay_alu instid0(VALU_DEP_2) | instskip(NEXT) | instid1(VALU_DEP_1)
	v_and_b32_e32 v83, 0x7f, v81
	v_cmpx_ne_u32_e32 0x7f, v83
	s_cbranch_execz .LBB260_488
; %bb.485:                              ;   in Loop: Header=BB260_10 Depth=1
	v_and_b32_e32 v79, 7, v81
	v_lshrrev_b32_e32 v82, 3, v83
	s_mov_b32 s35, exec_lo
	v_cmpx_gt_u32_e32 8, v83
; %bb.486:                              ;   in Loop: Header=BB260_10 Depth=1
	s_delay_alu instid0(VALU_DEP_3) | instskip(NEXT) | instid1(VALU_DEP_1)
	v_clz_i32_u32_e32 v79, v79
	v_min_u32_e32 v79, 32, v79
	s_delay_alu instid0(VALU_DEP_1) | instskip(NEXT) | instid1(VALU_DEP_1)
	v_subrev_nc_u32_e32 v82, 28, v79
	v_lshlrev_b64_e32 v[83:84], v82, v[1:2]
	v_sub_nc_u32_e32 v82, 29, v79
	s_delay_alu instid0(VALU_DEP_2)
	v_and_b32_e32 v79, 7, v83
; %bb.487:                              ;   in Loop: Header=BB260_10 Depth=1
	s_wait_alu 0xfffe
	s_or_b32 exec_lo, exec_lo, s35
	v_lshlrev_b32_e32 v1, 8, v81
	v_lshl_add_u32 v81, v82, 10, 0x2000
	v_lshlrev_b32_e32 v79, 23, v79
	s_delay_alu instid0(VALU_DEP_2) | instskip(NEXT) | instid1(VALU_DEP_1)
	v_and_or_b32 v1, 0x8000, v1, v81
	v_lshl_or_b32 v79, v1, 16, v79
.LBB260_488:                            ;   in Loop: Header=BB260_10 Depth=1
	s_wait_alu 0xfffe
	s_or_b32 exec_lo, exec_lo, s34
.LBB260_489:                            ;   in Loop: Header=BB260_10 Depth=1
	s_delay_alu instid0(SALU_CYCLE_1)
	s_or_b32 exec_lo, exec_lo, s33
.LBB260_490:                            ;   in Loop: Header=BB260_10 Depth=1
	s_wait_alu 0xfffe
	s_or_b32 exec_lo, exec_lo, s5
	global_load_u16 v1, v[7:8], off offset:1920
	s_wait_loadcnt 0x0
	v_dual_mov_b32 v81, 0 :: v_dual_and_b32 v82, 0xff, v1
	v_and_b32_e32 v1, 0xffff, v1
	s_delay_alu instid0(VALU_DEP_2)
	v_cmp_ne_u16_e64 s4, 0, v82
	v_mov_b32_e32 v82, 0
	s_and_saveexec_b32 s5, s4
	s_cbranch_execz .LBB260_498
; %bb.491:                              ;   in Loop: Header=BB260_10 Depth=1
	v_and_b32_e32 v82, 0xff, v1
	s_delay_alu instid0(VALU_DEP_1)
	v_cmp_ne_u16_e64 s4, 0x80, v82
	v_mov_b32_e32 v82, 0x8000
	s_and_saveexec_b32 s33, s4
	s_cbranch_execz .LBB260_497
; %bb.492:                              ;   in Loop: Header=BB260_10 Depth=1
	v_and_b32_e32 v84, 0x7f, v1
	v_mov_b32_e32 v82, 0x7c01
	s_mov_b32 s34, exec_lo
	s_delay_alu instid0(VALU_DEP_2)
	v_cmpx_ne_u32_e32 0x7f, v84
	s_cbranch_execz .LBB260_496
; %bb.493:                              ;   in Loop: Header=BB260_10 Depth=1
	v_and_b32_e32 v82, 7, v1
	v_lshrrev_b32_e32 v83, 3, v84
	s_mov_b32 s35, exec_lo
	v_cmpx_gt_u32_e32 8, v84
; %bb.494:                              ;   in Loop: Header=BB260_10 Depth=1
	s_delay_alu instid0(VALU_DEP_3) | instskip(NEXT) | instid1(VALU_DEP_1)
	v_clz_i32_u32_e32 v82, v82
	v_min_u32_e32 v84, 32, v82
	s_delay_alu instid0(VALU_DEP_1) | instskip(NEXT) | instid1(VALU_DEP_1)
	v_subrev_nc_u32_e32 v82, 28, v84
	v_lshlrev_b64_e32 v[82:83], v82, v[1:2]
	v_sub_nc_u32_e32 v83, 29, v84
	s_delay_alu instid0(VALU_DEP_2)
	v_and_b32_e32 v82, 7, v82
; %bb.495:                              ;   in Loop: Header=BB260_10 Depth=1
	s_wait_alu 0xfffe
	s_or_b32 exec_lo, exec_lo, s35
	v_lshlrev_b32_e32 v84, 8, v1
	v_lshl_add_u32 v83, v83, 10, 0x2000
	v_lshlrev_b32_e32 v82, 7, v82
	s_delay_alu instid0(VALU_DEP_3) | instskip(NEXT) | instid1(VALU_DEP_3)
	v_and_b32_e32 v84, 0x8000, v84
	v_and_b32_e32 v83, 0xfc00, v83
	s_delay_alu instid0(VALU_DEP_1)
	v_or3_b32 v82, v84, v83, v82
.LBB260_496:                            ;   in Loop: Header=BB260_10 Depth=1
	s_wait_alu 0xfffe
	s_or_b32 exec_lo, exec_lo, s34
.LBB260_497:                            ;   in Loop: Header=BB260_10 Depth=1
	s_delay_alu instid0(SALU_CYCLE_1)
	s_or_b32 exec_lo, exec_lo, s33
.LBB260_498:                            ;   in Loop: Header=BB260_10 Depth=1
	s_wait_alu 0xfffe
	s_or_b32 exec_lo, exec_lo, s5
	v_lshrrev_b16 v1, 8, v1
	s_mov_b32 s5, exec_lo
	s_delay_alu instid0(VALU_DEP_1)
	v_cmpx_ne_u16_e32 0, v1
	s_cbranch_execz .LBB260_506
; %bb.499:                              ;   in Loop: Header=BB260_10 Depth=1
	v_bfrev_b32_e32 v81, 1
	s_mov_b32 s33, exec_lo
	v_cmpx_ne_u16_e32 0x80, v1
	s_cbranch_execz .LBB260_505
; %bb.500:                              ;   in Loop: Header=BB260_10 Depth=1
	v_and_b32_e32 v83, 0xffff, v1
	v_mov_b32_e32 v81, 0x7c010000
	s_mov_b32 s34, exec_lo
	s_delay_alu instid0(VALU_DEP_2) | instskip(NEXT) | instid1(VALU_DEP_1)
	v_and_b32_e32 v85, 0x7f, v83
	v_cmpx_ne_u32_e32 0x7f, v85
	s_cbranch_execz .LBB260_504
; %bb.501:                              ;   in Loop: Header=BB260_10 Depth=1
	v_and_b32_e32 v81, 7, v83
	v_lshrrev_b32_e32 v84, 3, v85
	s_mov_b32 s35, exec_lo
	v_cmpx_gt_u32_e32 8, v85
; %bb.502:                              ;   in Loop: Header=BB260_10 Depth=1
	s_delay_alu instid0(VALU_DEP_3) | instskip(NEXT) | instid1(VALU_DEP_1)
	v_clz_i32_u32_e32 v81, v81
	v_min_u32_e32 v81, 32, v81
	s_delay_alu instid0(VALU_DEP_1) | instskip(NEXT) | instid1(VALU_DEP_1)
	v_subrev_nc_u32_e32 v84, 28, v81
	v_lshlrev_b64_e32 v[85:86], v84, v[1:2]
	v_sub_nc_u32_e32 v84, 29, v81
	s_delay_alu instid0(VALU_DEP_2)
	v_and_b32_e32 v81, 7, v85
; %bb.503:                              ;   in Loop: Header=BB260_10 Depth=1
	s_wait_alu 0xfffe
	s_or_b32 exec_lo, exec_lo, s35
	v_lshlrev_b32_e32 v1, 8, v83
	v_lshl_add_u32 v83, v84, 10, 0x2000
	v_lshlrev_b32_e32 v81, 23, v81
	s_delay_alu instid0(VALU_DEP_2) | instskip(NEXT) | instid1(VALU_DEP_1)
	v_and_or_b32 v1, 0x8000, v1, v83
	v_lshl_or_b32 v81, v1, 16, v81
.LBB260_504:                            ;   in Loop: Header=BB260_10 Depth=1
	s_wait_alu 0xfffe
	s_or_b32 exec_lo, exec_lo, s34
.LBB260_505:                            ;   in Loop: Header=BB260_10 Depth=1
	s_delay_alu instid0(SALU_CYCLE_1)
	s_or_b32 exec_lo, exec_lo, s33
.LBB260_506:                            ;   in Loop: Header=BB260_10 Depth=1
	s_wait_alu 0xfffe
	s_or_b32 exec_lo, exec_lo, s5
	global_load_u16 v1, v[7:8], off offset:1928
	s_wait_loadcnt 0x0
	v_dual_mov_b32 v7, 0 :: v_dual_and_b32 v8, 0xff, v1
	v_and_b32_e32 v1, 0xffff, v1
	s_delay_alu instid0(VALU_DEP_2)
	v_cmp_ne_u16_e64 s4, 0, v8
	v_mov_b32_e32 v8, 0
	s_and_saveexec_b32 s5, s4
	s_cbranch_execz .LBB260_514
; %bb.507:                              ;   in Loop: Header=BB260_10 Depth=1
	v_and_b32_e32 v8, 0xff, v1
	s_delay_alu instid0(VALU_DEP_1)
	v_cmp_ne_u16_e64 s4, 0x80, v8
	v_mov_b32_e32 v8, 0x8000
	s_and_saveexec_b32 s33, s4
	s_cbranch_execz .LBB260_513
; %bb.508:                              ;   in Loop: Header=BB260_10 Depth=1
	v_and_b32_e32 v84, 0x7f, v1
	v_mov_b32_e32 v8, 0x7c01
	s_mov_b32 s34, exec_lo
	s_delay_alu instid0(VALU_DEP_2)
	v_cmpx_ne_u32_e32 0x7f, v84
	s_cbranch_execz .LBB260_512
; %bb.509:                              ;   in Loop: Header=BB260_10 Depth=1
	v_and_b32_e32 v8, 7, v1
	v_lshrrev_b32_e32 v83, 3, v84
	s_mov_b32 s35, exec_lo
	v_cmpx_gt_u32_e32 8, v84
; %bb.510:                              ;   in Loop: Header=BB260_10 Depth=1
	s_delay_alu instid0(VALU_DEP_3) | instskip(NEXT) | instid1(VALU_DEP_1)
	v_clz_i32_u32_e32 v8, v8
	v_min_u32_e32 v8, 32, v8
	s_delay_alu instid0(VALU_DEP_1) | instskip(NEXT) | instid1(VALU_DEP_1)
	v_subrev_nc_u32_e32 v83, 28, v8
	v_lshlrev_b64_e32 v[84:85], v83, v[1:2]
	v_sub_nc_u32_e32 v83, 29, v8
	s_delay_alu instid0(VALU_DEP_2)
	v_and_b32_e32 v8, 7, v84
; %bb.511:                              ;   in Loop: Header=BB260_10 Depth=1
	s_wait_alu 0xfffe
	s_or_b32 exec_lo, exec_lo, s35
	v_lshlrev_b32_e32 v84, 8, v1
	v_lshl_add_u32 v83, v83, 10, 0x2000
	v_lshlrev_b32_e32 v8, 7, v8
	s_delay_alu instid0(VALU_DEP_3) | instskip(NEXT) | instid1(VALU_DEP_3)
	v_and_b32_e32 v84, 0x8000, v84
	v_and_b32_e32 v83, 0xfc00, v83
	s_delay_alu instid0(VALU_DEP_1)
	v_or3_b32 v8, v84, v83, v8
.LBB260_512:                            ;   in Loop: Header=BB260_10 Depth=1
	s_wait_alu 0xfffe
	s_or_b32 exec_lo, exec_lo, s34
.LBB260_513:                            ;   in Loop: Header=BB260_10 Depth=1
	s_delay_alu instid0(SALU_CYCLE_1)
	s_or_b32 exec_lo, exec_lo, s33
.LBB260_514:                            ;   in Loop: Header=BB260_10 Depth=1
	s_wait_alu 0xfffe
	s_or_b32 exec_lo, exec_lo, s5
	v_lshrrev_b16 v1, 8, v1
	s_mov_b32 s5, exec_lo
	s_delay_alu instid0(VALU_DEP_1)
	v_cmpx_ne_u16_e32 0, v1
	s_cbranch_execz .LBB260_522
; %bb.515:                              ;   in Loop: Header=BB260_10 Depth=1
	v_bfrev_b32_e32 v7, 1
	s_mov_b32 s33, exec_lo
	v_cmpx_ne_u16_e32 0x80, v1
	s_cbranch_execz .LBB260_521
; %bb.516:                              ;   in Loop: Header=BB260_10 Depth=1
	v_and_b32_e32 v83, 0xffff, v1
	v_mov_b32_e32 v7, 0x7c010000
	s_mov_b32 s34, exec_lo
	s_delay_alu instid0(VALU_DEP_2) | instskip(NEXT) | instid1(VALU_DEP_1)
	v_and_b32_e32 v85, 0x7f, v83
	v_cmpx_ne_u32_e32 0x7f, v85
	s_cbranch_execz .LBB260_520
; %bb.517:                              ;   in Loop: Header=BB260_10 Depth=1
	v_and_b32_e32 v7, 7, v83
	v_lshrrev_b32_e32 v84, 3, v85
	s_mov_b32 s35, exec_lo
	v_cmpx_gt_u32_e32 8, v85
; %bb.518:                              ;   in Loop: Header=BB260_10 Depth=1
	s_delay_alu instid0(VALU_DEP_3) | instskip(NEXT) | instid1(VALU_DEP_1)
	v_clz_i32_u32_e32 v7, v7
	v_min_u32_e32 v7, 32, v7
	s_delay_alu instid0(VALU_DEP_1) | instskip(NEXT) | instid1(VALU_DEP_1)
	v_subrev_nc_u32_e32 v84, 28, v7
	v_lshlrev_b64_e32 v[85:86], v84, v[1:2]
	v_sub_nc_u32_e32 v84, 29, v7
	s_delay_alu instid0(VALU_DEP_2)
	v_and_b32_e32 v7, 7, v85
; %bb.519:                              ;   in Loop: Header=BB260_10 Depth=1
	s_wait_alu 0xfffe
	s_or_b32 exec_lo, exec_lo, s35
	v_lshlrev_b32_e32 v1, 8, v83
	v_lshl_add_u32 v83, v84, 10, 0x2000
	v_lshlrev_b32_e32 v7, 23, v7
	s_delay_alu instid0(VALU_DEP_2) | instskip(NEXT) | instid1(VALU_DEP_1)
	v_and_or_b32 v1, 0x8000, v1, v83
	v_lshl_or_b32 v7, v1, 16, v7
.LBB260_520:                            ;   in Loop: Header=BB260_10 Depth=1
	s_wait_alu 0xfffe
	s_or_b32 exec_lo, exec_lo, s34
.LBB260_521:                            ;   in Loop: Header=BB260_10 Depth=1
	s_delay_alu instid0(SALU_CYCLE_1)
	s_or_b32 exec_lo, exec_lo, s33
.LBB260_522:                            ;   in Loop: Header=BB260_10 Depth=1
	s_wait_alu 0xfffe
	s_or_b32 exec_lo, exec_lo, s5
	ds_load_b32 v1, v16
	v_or_b32_e32 v22, v21, v22
	v_fma_mixlo_f16 v21, v20, v21, 0 op_sel:[0,1,0] op_sel_hi:[0,1,0]
	v_or_b32_e32 v24, v23, v24
	v_fma_mixlo_f16 v23, v20, v23, 0 op_sel:[0,1,0] op_sel_hi:[0,1,0]
	v_or_b32_e32 v26, v25, v26
	v_fma_mixlo_f16 v22, v20, v22, 0 op_sel_hi:[0,1,0]
	v_fma_mixlo_f16 v25, v20, v25, 0 op_sel:[0,1,0] op_sel_hi:[0,1,0]
	v_fma_mixlo_f16 v24, v20, v24, 0 op_sel_hi:[0,1,0]
	v_and_b32_e32 v88, 0xffff, v23
	v_fma_mixlo_f16 v26, v20, v26, 0 op_sel_hi:[0,1,0]
	v_and_b32_e32 v84, 0xffff, v22
	v_or_b32_e32 v28, v27, v28
	v_fma_mixlo_f16 v27, v20, v27, 0 op_sel:[0,1,0] op_sel_hi:[0,1,0]
	v_or_b32_e32 v30, v29, v30
	v_fma_mixlo_f16 v29, v20, v29, 0 op_sel:[0,1,0] op_sel_hi:[0,1,0]
	v_or_b32_e32 v32, v31, v32
	v_fma_mixlo_f16 v28, v20, v28, 0 op_sel_hi:[0,1,0]
	v_fma_mixlo_f16 v31, v20, v31, 0 op_sel:[0,1,0] op_sel_hi:[0,1,0]
	v_fma_mixlo_f16 v30, v20, v30, 0 op_sel_hi:[0,1,0]
	s_wait_dscnt 0x0
	v_and_b32_e32 v83, 0xffff, v1
	v_lshrrev_b32_e32 v1, 16, v1
	;;#ASMSTART
	v_cvt_f32_f16 v22, v83;
	;;#ASMEND
	;;#ASMSTART
	v_cvt_f32_f16 v1, v1;
	;;#ASMEND
	;; [unrolled: 3-line block ×3, first 2 shown]
	v_and_b32_e32 v21, 0xffff, v21
	;;#ASMSTART
	v_cvt_f32_f16 v21, v21;
	;;#ASMEND
	ds_load_b32 v84, v16 offset:4
	v_and_b32_e32 v24, 0xffff, v24
	v_and_b32_e32 v90, 0xffff, v28
	;; [unrolled: 1-line block ×4, first 2 shown]
	v_fma_mixlo_f16 v32, v20, v32, 0 op_sel_hi:[0,1,0]
	v_and_b32_e32 v95, 0xffff, v31
	v_or_b32_e32 v34, v33, v34
	v_fma_mixlo_f16 v33, v20, v33, 0 op_sel:[0,1,0] op_sel_hi:[0,1,0]
	v_or_b32_e32 v36, v35, v36
	v_and_b32_e32 v94, 0xffff, v32
	v_fma_mixlo_f16 v35, v20, v35, 0 op_sel:[0,1,0] op_sel_hi:[0,1,0]
	v_fma_mixlo_f16 v34, v20, v34, 0 op_sel_hi:[0,1,0]
	v_and_b32_e32 v97, 0xffff, v33
	v_fma_mixlo_f16 v36, v20, v36, 0 op_sel_hi:[0,1,0]
	v_or_b32_e32 v38, v37, v38
	v_and_b32_e32 v99, 0xffff, v35
	v_and_b32_e32 v96, 0xffff, v34
	v_fma_mixlo_f16 v37, v20, v37, 0 op_sel:[0,1,0] op_sel_hi:[0,1,0]
	v_and_b32_e32 v98, 0xffff, v36
	s_wait_dscnt 0x0
	v_and_b32_e32 v85, 0xffff, v84
	v_lshrrev_b32_e32 v84, 16, v84
	;;#ASMSTART
	v_cvt_f32_f16 v86, v85;
	;;#ASMEND
	;;#ASMSTART
	v_cvt_f32_f16 v23, v84;
	;;#ASMEND
	;; [unrolled: 3-line block ×4, first 2 shown]
	ds_load_b32 v84, v16 offset:8
	v_mul_f32_e32 v86, v86, v87
	v_and_b32_e32 v88, 0xffff, v26
	v_fma_mixlo_f16 v38, v20, v38, 0 op_sel_hi:[0,1,0]
	v_and_b32_e32 v101, 0xffff, v37
	v_or_b32_e32 v40, v39, v40
	v_dual_fmac_f32 v86, v22, v83 :: v_dual_and_b32 v89, 0xffff, v25
	s_delay_alu instid0(VALU_DEP_4) | instskip(SKIP_1) | instid1(VALU_DEP_4)
	v_and_b32_e32 v100, 0xffff, v38
	v_fma_mixlo_f16 v39, v20, v39, 0 op_sel:[0,1,0] op_sel_hi:[0,1,0]
	v_fma_mixlo_f16 v40, v20, v40, 0 op_sel_hi:[0,1,0]
	v_or_b32_e32 v42, v41, v42
	v_fma_mixlo_f16 v41, v20, v41, 0 op_sel:[0,1,0] op_sel_hi:[0,1,0]
	v_or_b32_e32 v44, v43, v44
	v_and_b32_e32 v103, 0xffff, v39
	v_and_b32_e32 v102, 0xffff, v40
	v_fma_mixlo_f16 v42, v20, v42, 0 op_sel_hi:[0,1,0]
	v_and_b32_e32 v105, 0xffff, v41
	v_fma_mixlo_f16 v44, v20, v44, 0 op_sel_hi:[0,1,0]
	v_fma_mixlo_f16 v43, v20, v43, 0 op_sel:[0,1,0] op_sel_hi:[0,1,0]
	s_wait_dscnt 0x0
	v_and_b32_e32 v85, 0xffff, v84
	v_lshrrev_b32_e32 v84, 16, v84
	;;#ASMSTART
	v_cvt_f32_f16 v25, v85;
	;;#ASMEND
	;;#ASMSTART
	v_cvt_f32_f16 v26, v84;
	;;#ASMEND
	;; [unrolled: 3-line block ×3, first 2 shown]
	s_delay_alu instid0(VALU_DEP_1)
	v_fmac_f32_e32 v86, v25, v84
	;;#ASMSTART
	v_cvt_f32_f16 v85, v89;
	;;#ASMEND
	ds_load_b32 v88, v16 offset:12
	v_and_b32_e32 v91, 0xffff, v27
	v_and_b32_e32 v104, 0xffff, v42
	;; [unrolled: 1-line block ×4, first 2 shown]
	v_or_b32_e32 v46, v45, v46
	v_fma_mixlo_f16 v45, v20, v45, 0 op_sel:[0,1,0] op_sel_hi:[0,1,0]
	v_or_b32_e32 v48, v47, v48
	v_fma_mixlo_f16 v47, v20, v47, 0 op_sel:[0,1,0] op_sel_hi:[0,1,0]
	v_or_b32_e32 v50, v49, v50
	v_fma_mixlo_f16 v46, v20, v46, 0 op_sel_hi:[0,1,0]
	v_and_b32_e32 v109, 0xffff, v45
	v_fma_mixlo_f16 v48, v20, v48, 0 op_sel_hi:[0,1,0]
	v_and_b32_e32 v111, 0xffff, v47
	;; [unrolled: 2-line block ×3, first 2 shown]
	v_fma_mixlo_f16 v49, v20, v49, 0 op_sel:[0,1,0] op_sel_hi:[0,1,0]
	v_and_b32_e32 v110, 0xffff, v48
	v_or_b32_e32 v52, v51, v52
	v_and_b32_e32 v112, 0xffff, v50
	s_wait_dscnt 0x0
	v_and_b32_e32 v89, 0xffff, v88
	v_lshrrev_b32_e32 v88, 16, v88
	;;#ASMSTART
	v_cvt_f32_f16 v27, v89;
	;;#ASMEND
	;;#ASMSTART
	v_cvt_f32_f16 v28, v88;
	;;#ASMEND
	;; [unrolled: 3-line block ×3, first 2 shown]
	s_delay_alu instid0(VALU_DEP_1)
	v_fmac_f32_e32 v86, v27, v88
	;;#ASMSTART
	v_cvt_f32_f16 v89, v91;
	;;#ASMEND
	ds_load_b32 v90, v16 offset:16
	v_and_b32_e32 v113, 0xffff, v49
	v_fma_mixlo_f16 v52, v20, v52, 0 op_sel_hi:[0,1,0]
	v_fma_mixlo_f16 v51, v20, v51, 0 op_sel:[0,1,0] op_sel_hi:[0,1,0]
	v_or_b32_e32 v54, v53, v54
	v_fma_mixlo_f16 v53, v20, v53, 0 op_sel:[0,1,0] op_sel_hi:[0,1,0]
	v_or_b32_e32 v56, v55, v56
	v_and_b32_e32 v114, 0xffff, v52
	v_and_b32_e32 v115, 0xffff, v51
	v_fma_mixlo_f16 v54, v20, v54, 0 op_sel_hi:[0,1,0]
	v_and_b32_e32 v117, 0xffff, v53
	v_fma_mixlo_f16 v56, v20, v56, 0 op_sel_hi:[0,1,0]
	v_fma_mixlo_f16 v55, v20, v55, 0 op_sel:[0,1,0] op_sel_hi:[0,1,0]
	v_or_b32_e32 v58, v57, v58
	v_and_b32_e32 v116, 0xffff, v54
	v_fma_mixlo_f16 v57, v20, v57, 0 op_sel:[0,1,0] op_sel_hi:[0,1,0]
	v_and_b32_e32 v118, 0xffff, v56
	v_and_b32_e32 v119, 0xffff, v55
	v_fma_mixlo_f16 v58, v20, v58, 0 op_sel_hi:[0,1,0]
	v_or_b32_e32 v60, v59, v60
	s_wait_dscnt 0x0
	v_and_b32_e32 v91, 0xffff, v90
	v_lshrrev_b32_e32 v90, 16, v90
	;;#ASMSTART
	v_cvt_f32_f16 v29, v91;
	;;#ASMEND
	;;#ASMSTART
	v_cvt_f32_f16 v30, v90;
	;;#ASMEND
	;; [unrolled: 3-line block ×4, first 2 shown]
	ds_load_b32 v92, v16 offset:20
	v_and_b32_e32 v120, 0xffff, v58
	v_and_b32_e32 v121, 0xffff, v57
	v_fma_mixlo_f16 v60, v20, v60, 0 op_sel_hi:[0,1,0]
	v_fma_mixlo_f16 v59, v20, v59, 0 op_sel:[0,1,0] op_sel_hi:[0,1,0]
	v_or_b32_e32 v62, v61, v62
	v_fma_mixlo_f16 v61, v20, v61, 0 op_sel:[0,1,0] op_sel_hi:[0,1,0]
	v_or_b32_e32 v64, v63, v64
	v_and_b32_e32 v122, 0xffff, v60
	v_and_b32_e32 v123, 0xffff, v59
	v_fma_mixlo_f16 v62, v20, v62, 0 op_sel_hi:[0,1,0]
	v_and_b32_e32 v125, 0xffff, v61
	v_fma_mixlo_f16 v64, v20, v64, 0 op_sel_hi:[0,1,0]
	v_fma_mixlo_f16 v63, v20, v63, 0 op_sel:[0,1,0] op_sel_hi:[0,1,0]
	v_or_b32_e32 v66, v65, v66
	v_and_b32_e32 v124, 0xffff, v62
	v_fma_mixlo_f16 v65, v20, v65, 0 op_sel:[0,1,0] op_sel_hi:[0,1,0]
	v_and_b32_e32 v126, 0xffff, v64
	v_and_b32_e32 v127, 0xffff, v63
	v_fma_mixlo_f16 v66, v20, v66, 0 op_sel_hi:[0,1,0]
	s_wait_dscnt 0x0
	v_and_b32_e32 v93, 0xffff, v92
	v_lshrrev_b32_e32 v92, 16, v92
	;;#ASMSTART
	v_cvt_f32_f16 v31, v93;
	;;#ASMEND
	;;#ASMSTART
	v_cvt_f32_f16 v32, v92;
	;;#ASMEND
	;; [unrolled: 3-line block ×4, first 2 shown]
	ds_load_b32 v94, v16 offset:24
	v_and_b32_e32 v128, 0xffff, v66
	v_and_b32_e32 v129, 0xffff, v65
	v_or_b32_e32 v68, v67, v68
	v_fma_mixlo_f16 v67, v20, v67, 0 op_sel:[0,1,0] op_sel_hi:[0,1,0]
	v_or_b32_e32 v70, v69, v70
	v_mul_f32_e32 v23, v23, v24
	v_fma_mixlo_f16 v69, v20, v69, 0 op_sel:[0,1,0] op_sel_hi:[0,1,0]
	v_fma_mixlo_f16 v68, v20, v68, 0 op_sel_hi:[0,1,0]
	v_and_b32_e32 v131, 0xffff, v67
	v_fma_mixlo_f16 v70, v20, v70, 0 op_sel_hi:[0,1,0]
	v_fmac_f32_e32 v23, v1, v21
	v_or_b32_e32 v72, v71, v72
	v_and_b32_e32 v130, 0xffff, v68
	v_fmac_f32_e32 v86, v29, v90
	s_delay_alu instid0(VALU_DEP_4) | instskip(NEXT) | instid1(VALU_DEP_4)
	v_dual_fmac_f32 v23, v26, v85 :: v_dual_and_b32 v70, 0xffff, v70
	v_fma_mixlo_f16 v72, v20, v72, 0 op_sel_hi:[0,1,0]
	v_fma_mixlo_f16 v71, v20, v71, 0 op_sel:[0,1,0] op_sel_hi:[0,1,0]
	s_wait_dscnt 0x0
	v_dual_fmac_f32 v86, v31, v92 :: v_dual_and_b32 v95, 0xffff, v94
	v_lshrrev_b32_e32 v94, 16, v94
	;;#ASMSTART
	v_cvt_f32_f16 v33, v95;
	;;#ASMEND
	;;#ASMSTART
	v_cvt_f32_f16 v34, v94;
	;;#ASMEND
	;; [unrolled: 3-line block ×4, first 2 shown]
	ds_load_b32 v96, v16 offset:28
	v_dual_fmac_f32 v23, v28, v89 :: v_dual_and_b32 v72, 0xffff, v72
	v_fmac_f32_e32 v86, v33, v94
	v_or_b32_e32 v1, v73, v74
	v_fma_mixlo_f16 v21, v20, v73, 0 op_sel:[0,1,0] op_sel_hi:[0,1,0]
	s_delay_alu instid0(VALU_DEP_4)
	v_fmac_f32_e32 v23, v30, v91
	v_or_b32_e32 v28, v75, v76
	v_fma_mixlo_f16 v29, v20, v75, 0 op_sel:[0,1,0] op_sel_hi:[0,1,0]
	v_fma_mixlo_f16 v1, v20, v1, 0 op_sel_hi:[0,1,0]
	v_and_b32_e32 v26, 0xffff, v21
	v_fmac_f32_e32 v23, v32, v93
	v_fma_mixlo_f16 v28, v20, v28, 0 op_sel_hi:[0,1,0]
	v_and_b32_e32 v30, 0xffff, v29
	v_and_b32_e32 v27, 0xffff, v1
	v_fma_mixlo_f16 v33, v20, v77, 0 op_sel:[0,1,0] op_sel_hi:[0,1,0]
	s_delay_alu instid0(VALU_DEP_4)
	v_dual_fmac_f32 v23, v34, v95 :: v_dual_and_b32 v32, 0xffff, v28
	s_wait_dscnt 0x0
	v_and_b32_e32 v97, 0xffff, v96
	v_lshrrev_b32_e32 v96, 16, v96
	;;#ASMSTART
	v_cvt_f32_f16 v35, v97;
	;;#ASMEND
	;;#ASMSTART
	v_cvt_f32_f16 v36, v96;
	;;#ASMEND
	;;#ASMSTART
	v_cvt_f32_f16 v96, v98;
	;;#ASMEND
	;;#ASMSTART
	v_cvt_f32_f16 v97, v99;
	;;#ASMEND
	ds_load_b32 v98, v16 offset:32
	v_dual_fmac_f32 v86, v35, v96 :: v_dual_fmac_f32 v23, v36, v97
	v_and_b32_e32 v34, 0xffff, v33
	s_wait_dscnt 0x0
	v_and_b32_e32 v99, 0xffff, v98
	v_lshrrev_b32_e32 v98, 16, v98
	;;#ASMSTART
	v_cvt_f32_f16 v37, v99;
	;;#ASMEND
	;;#ASMSTART
	v_cvt_f32_f16 v38, v98;
	;;#ASMEND
	;; [unrolled: 3-line block ×4, first 2 shown]
	ds_load_b32 v100, v16 offset:36
	v_dual_fmac_f32 v86, v37, v98 :: v_dual_fmac_f32 v23, v38, v99
	v_fma_mixlo_f16 v37, v20, v79, 0 op_sel:[0,1,0] op_sel_hi:[0,1,0]
	s_delay_alu instid0(VALU_DEP_1)
	v_and_b32_e32 v38, 0xffff, v37
	s_wait_dscnt 0x0
	v_and_b32_e32 v101, 0xffff, v100
	v_lshrrev_b32_e32 v100, 16, v100
	;;#ASMSTART
	v_cvt_f32_f16 v39, v101;
	;;#ASMEND
	;;#ASMSTART
	v_cvt_f32_f16 v40, v100;
	;;#ASMEND
	;; [unrolled: 3-line block ×4, first 2 shown]
	ds_load_b32 v102, v16 offset:40
	v_dual_fmac_f32 v86, v39, v100 :: v_dual_fmac_f32 v23, v40, v101
	s_wait_dscnt 0x0
	v_and_b32_e32 v103, 0xffff, v102
	v_lshrrev_b32_e32 v102, 16, v102
	;;#ASMSTART
	v_cvt_f32_f16 v41, v103;
	;;#ASMEND
	;;#ASMSTART
	v_cvt_f32_f16 v42, v102;
	;;#ASMEND
	;; [unrolled: 3-line block ×4, first 2 shown]
	ds_load_b32 v104, v16 offset:44
	v_dual_fmac_f32 v86, v41, v102 :: v_dual_fmac_f32 v23, v42, v103
	v_fma_mixlo_f16 v41, v20, v81, 0 op_sel:[0,1,0] op_sel_hi:[0,1,0]
	s_delay_alu instid0(VALU_DEP_1)
	v_and_b32_e32 v41, 0xffff, v41
	s_wait_dscnt 0x0
	v_and_b32_e32 v105, 0xffff, v104
	v_lshrrev_b32_e32 v104, 16, v104
	;;#ASMSTART
	v_cvt_f32_f16 v43, v105;
	;;#ASMEND
	;;#ASMSTART
	v_cvt_f32_f16 v44, v104;
	;;#ASMEND
	;;#ASMSTART
	v_cvt_f32_f16 v104, v106;
	;;#ASMEND
	;;#ASMSTART
	v_cvt_f32_f16 v105, v107;
	;;#ASMEND
	ds_load_b32 v106, v16 offset:48
	v_dual_fmac_f32 v86, v43, v104 :: v_dual_fmac_f32 v23, v44, v105
	s_wait_dscnt 0x0
	v_and_b32_e32 v107, 0xffff, v106
	v_lshrrev_b32_e32 v106, 16, v106
	;;#ASMSTART
	v_cvt_f32_f16 v45, v107;
	;;#ASMEND
	;;#ASMSTART
	v_cvt_f32_f16 v46, v106;
	;;#ASMEND
	;;#ASMSTART
	v_cvt_f32_f16 v106, v108;
	;;#ASMEND
	;;#ASMSTART
	v_cvt_f32_f16 v107, v109;
	;;#ASMEND
	ds_load_b32 v108, v16 offset:52
	v_dual_fmac_f32 v86, v45, v106 :: v_dual_fmac_f32 v23, v46, v107
	;; [unrolled: 17-line block ×12, first 2 shown]
	s_wait_dscnt 0x0
	v_and_b32_e32 v129, 0xffff, v128
	v_lshrrev_b32_e32 v128, 16, v128
	;;#ASMSTART
	v_cvt_f32_f16 v67, v129;
	;;#ASMEND
	;;#ASMSTART
	v_cvt_f32_f16 v68, v128;
	;;#ASMEND
	;; [unrolled: 3-line block ×4, first 2 shown]
	ds_load_b32 v130, v16 offset:96
	v_dual_fmac_f32 v86, v67, v128 :: v_dual_and_b32 v131, 0xffff, v69
	v_fmac_f32_e32 v23, v68, v129
	s_wait_dscnt 0x0
	v_and_b32_e32 v87, 0xffff, v130
	v_lshrrev_b32_e32 v130, 16, v130
	;;#ASMSTART
	v_cvt_f32_f16 v22, v87;
	;;#ASMEND
	;;#ASMSTART
	v_cvt_f32_f16 v69, v130;
	;;#ASMEND
	;; [unrolled: 3-line block ×4, first 2 shown]
	ds_load_b32 v87, v16 offset:100
	v_dual_fmac_f32 v86, v22, v70 :: v_dual_and_b32 v131, 0xffff, v71
	v_fmac_f32_e32 v23, v69, v83
	s_wait_dscnt 0x0
	v_and_b32_e32 v130, 0xffff, v87
	v_lshrrev_b32_e32 v87, 16, v87
	;;#ASMSTART
	v_cvt_f32_f16 v24, v130;
	;;#ASMEND
	;;#ASMSTART
	v_cvt_f32_f16 v71, v87;
	;;#ASMEND
	;; [unrolled: 3-line block ×4, first 2 shown]
	ds_load_b32 v130, v16 offset:104
	v_dual_fmac_f32 v86, v24, v72 :: v_dual_fmac_f32 v23, v71, v87
	s_wait_dscnt 0x0
	v_and_b32_e32 v21, 0xffff, v130
	v_lshrrev_b32_e32 v25, 16, v130
	;;#ASMSTART
	v_cvt_f32_f16 v1, v21;
	;;#ASMEND
	;;#ASMSTART
	v_cvt_f32_f16 v21, v25;
	;;#ASMEND
	;;#ASMSTART
	v_cvt_f32_f16 v25, v27;
	;;#ASMEND
	;;#ASMSTART
	v_cvt_f32_f16 v26, v26;
	;;#ASMEND
	ds_load_b32 v27, v16 offset:108
	v_fmac_f32_e32 v86, v1, v25
	v_fmac_f32_e32 v23, v21, v26
	v_or_b32_e32 v1, v7, v8
	v_xor_b32_e32 v8, 2, v13
	v_fma_mixlo_f16 v7, v20, v7, 0 op_sel:[0,1,0] op_sel_hi:[0,1,0]
	s_delay_alu instid0(VALU_DEP_3) | instskip(NEXT) | instid1(VALU_DEP_3)
	v_fma_mixlo_f16 v1, v20, v1, 0 op_sel_hi:[0,1,0]
	v_cmp_gt_i32_e64 s4, 32, v8
	s_delay_alu instid0(VALU_DEP_3) | instskip(NEXT) | instid1(VALU_DEP_3)
	v_and_b32_e32 v21, 0xffff, v7
	v_and_b32_e32 v25, 0xffff, v1
	s_wait_alu 0xf1ff
	s_delay_alu instid0(VALU_DEP_3)
	v_cndmask_b32_e64 v7, v13, v8, s4
	s_wait_dscnt 0x0
	v_and_b32_e32 v29, 0xffff, v27
	v_lshrrev_b32_e32 v31, 16, v27
	;;#ASMSTART
	v_cvt_f32_f16 v27, v29;
	;;#ASMEND
	;;#ASMSTART
	v_cvt_f32_f16 v28, v31;
	;;#ASMEND
	;;#ASMSTART
	v_cvt_f32_f16 v29, v32;
	;;#ASMEND
	;;#ASMSTART
	v_cvt_f32_f16 v30, v30;
	;;#ASMEND
	ds_load_b32 v31, v16 offset:112
	v_or_b32_e32 v32, v77, v78
	v_dual_fmac_f32 v86, v27, v29 :: v_dual_fmac_f32 v23, v28, v30
	s_delay_alu instid0(VALU_DEP_2) | instskip(NEXT) | instid1(VALU_DEP_1)
	v_fma_mixlo_f16 v32, v20, v32, 0 op_sel_hi:[0,1,0]
	v_and_b32_e32 v36, 0xffff, v32
	s_wait_dscnt 0x0
	v_and_b32_e32 v33, 0xffff, v31
	v_lshrrev_b32_e32 v35, 16, v31
	;;#ASMSTART
	v_cvt_f32_f16 v31, v33;
	;;#ASMEND
	;;#ASMSTART
	v_cvt_f32_f16 v32, v35;
	;;#ASMEND
	;;#ASMSTART
	v_cvt_f32_f16 v33, v36;
	;;#ASMEND
	;;#ASMSTART
	v_cvt_f32_f16 v34, v34;
	;;#ASMEND
	ds_load_b32 v35, v16 offset:116
	v_or_b32_e32 v36, v79, v80
	v_dual_fmac_f32 v86, v31, v33 :: v_dual_fmac_f32 v23, v32, v34
	s_delay_alu instid0(VALU_DEP_2) | instskip(NEXT) | instid1(VALU_DEP_1)
	v_fma_mixlo_f16 v36, v20, v36, 0 op_sel_hi:[0,1,0]
	v_and_b32_e32 v40, 0xffff, v36
	;; [unrolled: 21-line block ×3, first 2 shown]
	s_wait_dscnt 0x0
	v_and_b32_e32 v22, 0xffff, v39
	v_lshrrev_b32_e32 v39, 16, v39
	;;#ASMSTART
	v_cvt_f32_f16 v22, v22;
	;;#ASMEND
	;;#ASMSTART
	v_cvt_f32_f16 v24, v39;
	;;#ASMEND
	;; [unrolled: 3-line block ×4, first 2 shown]
	ds_load_b32 v41, v16 offset:124
	v_dual_fmac_f32 v86, v22, v39 :: v_dual_fmac_f32 v23, v24, v40
	s_wait_dscnt 0x0
	v_and_b32_e32 v8, 0xffff, v41
	v_lshrrev_b32_e32 v20, 16, v41
	;;#ASMSTART
	v_cvt_f32_f16 v1, v8;
	;;#ASMEND
	;;#ASMSTART
	v_cvt_f32_f16 v8, v20;
	;;#ASMEND
	;; [unrolled: 3-line block ×4, first 2 shown]
	v_dual_fmac_f32 v86, v1, v20 :: v_dual_fmac_f32 v23, v8, v21
	v_lshlrev_b32_e32 v1, 2, v7
	v_xor_b32_e32 v8, 1, v13
	s_delay_alu instid0(VALU_DEP_3) | instskip(NEXT) | instid1(VALU_DEP_2)
	v_add_f32_e32 v7, v86, v23
	v_cmp_gt_i32_e64 s4, 32, v8
	ds_bpermute_b32 v1, v1, v7
	s_wait_alu 0xf1ff
	v_cndmask_b32_e64 v8, v13, v8, s4
	s_wait_dscnt 0x0
	v_add_f32_e32 v1, v7, v1
	s_delay_alu instid0(VALU_DEP_2)
	v_lshlrev_b32_e32 v7, 2, v8
	ds_bpermute_b32 v7, v7, v1
	s_and_saveexec_b32 s5, vcc_lo
	s_cbranch_execz .LBB260_9
; %bb.523:                              ;   in Loop: Header=BB260_10 Depth=1
	s_wait_dscnt 0x0
	v_dual_add_f32 v1, v1, v7 :: v_dual_add_nc_u32 v8, s31, v17
	v_cmp_gt_i32_e64 s4, s17, v17
	s_delay_alu instid0(VALU_DEP_2) | instskip(NEXT) | instid1(VALU_DEP_1)
	v_cvt_f32_i32_e32 v8, v8
	v_mul_f32_e32 v8, s6, v8
	s_delay_alu instid0(VALU_DEP_1) | instskip(NEXT) | instid1(VALU_DEP_1)
	v_cndmask_b32_e64 v7, 0, v8, s3
	v_dual_max_num_f32 v8, v15, v15 :: v_dual_fmac_f32 v7, s7, v1
	s_delay_alu instid0(VALU_DEP_1) | instskip(SKIP_2) | instid1(VALU_DEP_2)
	v_max_num_f32_e32 v1, v8, v7
	s_wait_alu 0xf1ff
	v_cndmask_b32_e64 v7, 0, v7, s4
	v_cndmask_b32_e64 v15, v15, v1, s4
	ds_store_b32 v18, v7
	s_branch .LBB260_9
.LBB260_524:
	s_or_b32 exec_lo, exec_lo, s15
.LBB260_525:
	s_delay_alu instid0(SALU_CYCLE_1)
	s_or_b32 exec_lo, exec_lo, s26
	v_xor_b32_e32 v1, 16, v13
	v_xor_b32_e32 v4, 8, v13
	;; [unrolled: 1-line block ×3, first 2 shown]
	s_load_b128 s[4:7], s[0:1], 0x0
	s_wait_kmcnt 0x0
	s_clause 0x1
	s_load_b64 s[8:9], s[0:1], 0x10
	s_load_b64 s[26:27], s[0:1], 0x28
	v_cmp_lt_i32_e32 vcc_lo, v1, v14
	v_cndmask_b32_e32 v1, v13, v1, vcc_lo
	v_cmp_lt_i32_e32 vcc_lo, v4, v14
	s_wait_alu 0xfffd
	v_dual_max_num_f32 v5, v15, v15 :: v_dual_cndmask_b32 v4, v13, v4
	v_cmp_lt_i32_e32 vcc_lo, v6, v14
	s_delay_alu instid0(VALU_DEP_2)
	v_lshlrev_b32_e32 v4, 2, v4
	s_wait_alu 0xfffd
	v_dual_cndmask_b32 v6, v13, v6 :: v_dual_lshlrev_b32 v3, 2, v1
	ds_bpermute_b32 v1, v3, v15
	s_wait_dscnt 0x1
	v_lshlrev_b32_e32 v7, 2, v6
	v_and_b32_e32 v15, 31, v0
	s_delay_alu instid0(VALU_DEP_1) | instskip(SKIP_2) | instid1(VALU_DEP_1)
	v_cmp_eq_u32_e32 vcc_lo, 0, v15
	s_wait_dscnt 0x0
	v_max_num_f32_e32 v1, v1, v1
	v_max_num_f32_e32 v1, v5, v1
	ds_bpermute_b32 v5, v4, v1
	s_wait_dscnt 0x0
	v_max_num_f32_e32 v5, v5, v5
	s_delay_alu instid0(VALU_DEP_1)
	v_max_num_f32_e32 v1, v1, v5
	v_lshlrev_b32_e32 v5, 2, v11
	ds_bpermute_b32 v6, v7, v1
	s_and_saveexec_b32 s0, vcc_lo
	s_cbranch_execz .LBB260_527
; %bb.526:
	s_wait_dscnt 0x0
	v_dual_max_num_f32 v6, v6, v6 :: v_dual_max_num_f32 v1, v1, v1
	s_delay_alu instid0(VALU_DEP_1)
	v_max_num_f32_e32 v1, v1, v6
	ds_store_b32 v5, v1 offset:512
.LBB260_527:
	s_or_b32 exec_lo, exec_lo, s0
	v_cmp_gt_u32_e64 s0, 4, v15
	s_wait_dscnt 0x0
	v_dual_mov_b32 v1, 0xff7fffff :: v_dual_lshlrev_b32 v6, 2, v15
	s_wait_loadcnt 0x0
	s_barrier_signal -1
	s_barrier_wait -1
	global_inv scope:SCOPE_SE
	s_and_saveexec_b32 s1, s0
; %bb.528:
	ds_load_b32 v1, v6 offset:512
; %bb.529:
	s_or_b32 exec_lo, exec_lo, s1
	v_xor_b32_e32 v8, 2, v13
	v_xor_b32_e32 v17, 1, v13
	v_lshlrev_b32_e32 v2, 2, v2
	s_delay_alu instid0(VALU_DEP_3) | instskip(NEXT) | instid1(VALU_DEP_1)
	v_cmp_lt_i32_e64 s1, v8, v14
	v_cndmask_b32_e64 v8, v13, v8, s1
	s_delay_alu instid0(VALU_DEP_4) | instskip(NEXT) | instid1(VALU_DEP_2)
	v_cmp_lt_i32_e64 s1, v17, v14
	v_lshlrev_b32_e32 v8, 2, v8
	s_wait_alu 0xf1ff
	s_delay_alu instid0(VALU_DEP_2)
	v_cndmask_b32_e64 v14, v13, v17, s1
	s_sub_co_i32 s1, s19, s30
	s_wait_alu 0xfffe
	s_lshl_b32 s1, s1, 3
	s_wait_dscnt 0x0
	ds_bpermute_b32 v16, v8, v1
	v_max_num_f32_e32 v1, v1, v1
	s_wait_alu 0xfffe
	s_add_co_i32 s1, s1, s16
	s_wait_alu 0xfffe
	s_min_i32 s1, s1, s17
	s_wait_alu 0xfffe
	s_sub_co_i32 s15, s1, s16
	s_delay_alu instid0(SALU_CYCLE_1) | instskip(SKIP_2) | instid1(VALU_DEP_1)
	v_cmp_gt_i32_e64 s1, s15, v0
	s_wait_dscnt 0x0
	v_max_num_f32_e32 v16, v16, v16
	v_dual_max_num_f32 v1, v1, v16 :: v_dual_lshlrev_b32 v14, 2, v14
	ds_bpermute_b32 v16, v14, v1
	s_wait_dscnt 0x0
	v_max_num_f32_e32 v16, v16, v16
	s_delay_alu instid0(VALU_DEP_1)
	v_dual_max_num_f32 v1, v1, v16 :: v_dual_mov_b32 v16, 0
	ds_bpermute_b32 v1, v2, v1
	v_lshl_add_u32 v2, v0, 2, 0x220
	s_and_saveexec_b32 s30, s1
	s_cbranch_execz .LBB260_533
; %bb.530:
	v_lshl_add_u32 v17, v0, 2, 0x220
	v_mov_b32_e32 v16, 0
	v_mov_b32_e32 v18, v0
	s_mov_b32 s31, 0
.LBB260_531:                            ; =>This Inner Loop Header: Depth=1
	ds_load_b32 v19, v17
	v_add_nc_u32_e32 v18, 0x80, v18
	s_delay_alu instid0(VALU_DEP_1) | instskip(SKIP_4) | instid1(VALU_DEP_1)
	v_cmp_le_i32_e64 s3, s15, v18
	s_wait_alu 0xfffe
	s_or_b32 s31, s3, s31
	s_wait_dscnt 0x0
	v_sub_f32_e32 v19, v19, v1
	v_mul_f32_e32 v19, 0x3fb8aa3b, v19
	s_delay_alu instid0(VALU_DEP_1)
	v_exp_f32_e32 v19, v19
	ds_store_b32 v17, v19
	v_dual_add_f32 v16, v16, v19 :: v_dual_add_nc_u32 v17, 0x200, v17
	s_wait_alu 0xfffe
	s_and_not1_b32 exec_lo, exec_lo, s31
	s_cbranch_execnz .LBB260_531
; %bb.532:
	s_or_b32 exec_lo, exec_lo, s31
.LBB260_533:
	s_wait_alu 0xfffe
	s_or_b32 exec_lo, exec_lo, s30
	ds_bpermute_b32 v3, v3, v16
	s_wait_dscnt 0x0
	v_add_f32_e32 v3, v16, v3
	ds_bpermute_b32 v4, v4, v3
	s_wait_dscnt 0x0
	v_add_f32_e32 v3, v3, v4
	;; [unrolled: 3-line block ×5, first 2 shown]
	s_and_saveexec_b32 s3, vcc_lo
; %bb.534:
	ds_store_b32 v5, v3 offset:528
; %bb.535:
	s_wait_alu 0xfffe
	s_or_b32 exec_lo, exec_lo, s3
	s_wait_loadcnt_dscnt 0x0
	s_barrier_signal -1
	s_barrier_wait -1
	global_inv scope:SCOPE_SE
	s_and_saveexec_b32 s3, s0
; %bb.536:
	ds_load_b32 v3, v6 offset:528
; %bb.537:
	s_wait_alu 0xfffe
	s_or_b32 exec_lo, exec_lo, s3
	s_wait_dscnt 0x0
	ds_bpermute_b32 v4, v8, v3
	v_lshlrev_b32_e32 v5, 2, v13
	s_wait_dscnt 0x0
	v_add_f32_e32 v3, v3, v4
	ds_bpermute_b32 v4, v14, v3
	s_wait_dscnt 0x0
	v_dual_add_f32 v3, v3, v4 :: v_dual_and_b32 v4, 0xffffff80, v5
	ds_bpermute_b32 v3, v4, v3
	s_and_saveexec_b32 s0, s1
	s_cbranch_execz .LBB260_540
; %bb.538:
	s_wait_dscnt 0x0
	v_add_f32_e32 v4, 0x358637bd, v3
	s_mov_b32 s1, 0
	s_delay_alu instid0(VALU_DEP_1) | instskip(SKIP_1) | instid1(VALU_DEP_2)
	v_div_scale_f32 v5, null, v4, v4, 1.0
	v_div_scale_f32 v8, vcc_lo, 1.0, v4, 1.0
	v_rcp_f32_e32 v6, v5
	s_delay_alu instid0(TRANS32_DEP_1) | instskip(NEXT) | instid1(VALU_DEP_1)
	v_fma_f32 v7, -v5, v6, 1.0
	v_fmac_f32_e32 v6, v7, v6
	s_delay_alu instid0(VALU_DEP_1) | instskip(NEXT) | instid1(VALU_DEP_1)
	v_mul_f32_e32 v7, v8, v6
	v_fma_f32 v13, -v5, v7, v8
	s_delay_alu instid0(VALU_DEP_1) | instskip(NEXT) | instid1(VALU_DEP_1)
	v_fmac_f32_e32 v7, v13, v6
	v_fma_f32 v5, -v5, v7, v8
	s_wait_alu 0xfffd
	s_delay_alu instid0(VALU_DEP_1) | instskip(NEXT) | instid1(VALU_DEP_1)
	v_div_fmas_f32 v5, v5, v6, v7
	v_div_fixup_f32 v4, v5, v4, 1.0
	v_mov_b32_e32 v5, v0
.LBB260_539:                            ; =>This Inner Loop Header: Depth=1
	ds_load_b32 v6, v2
	s_wait_dscnt 0x0
	v_dual_mul_f32 v6, v4, v6 :: v_dual_add_nc_u32 v5, 0x80, v5
	s_delay_alu instid0(VALU_DEP_1)
	v_cmp_le_i32_e32 vcc_lo, s15, v5
	ds_store_b32 v2, v6
	v_add_nc_u32_e32 v2, 0x200, v2
	s_wait_alu 0xfffe
	s_or_b32 s1, vcc_lo, s1
	s_wait_alu 0xfffe
	s_and_not1_b32 exec_lo, exec_lo, s1
	s_cbranch_execnz .LBB260_539
.LBB260_540:
	s_wait_alu 0xfffe
	s_or_b32 exec_lo, exec_lo, s0
	s_mul_i32 s0, s12, s24
	s_wait_loadcnt_dscnt 0x0
	s_wait_alu 0xfffe
	s_mul_i32 s24, s0, s25
	s_mov_b32 s0, exec_lo
	s_barrier_signal -1
	s_barrier_wait -1
	global_inv scope:SCOPE_SE
	v_cmpx_eq_u32_e32 0, v0
	s_cbranch_execz .LBB260_542
; %bb.541:
	s_ashr_i32 s25, s24, 31
	s_wait_alu 0xfffe
	s_mul_i32 s30, s12, ttmp9
	s_lshl_b32 s1, s28, 2
	s_lshl_b64 s[34:35], s[24:25], 2
	s_wait_alu 0xfffe
	s_ashr_i32 s31, s30, 31
	v_mov_b32_e32 v2, s1
	s_add_nc_u64 s[6:7], s[6:7], s[34:35]
	s_wait_alu 0xfffe
	s_lshl_b64 s[30:31], s[30:31], 2
	s_add_nc_u64 s[4:5], s[4:5], s[34:35]
	s_wait_alu 0xfffe
	s_add_nc_u64 s[6:7], s[6:7], s[30:31]
	s_add_nc_u64 s[4:5], s[4:5], s[30:31]
	s_clause 0x1
	global_store_b32 v2, v1, s[6:7]
	global_store_b32 v2, v3, s[4:5]
.LBB260_542:
	s_wait_alu 0xfffe
	s_or_b32 exec_lo, exec_lo, s0
	v_dual_mov_b32 v21, 0 :: v_dual_mov_b32 v20, 0
	v_dual_mov_b32 v19, 0 :: v_dual_mov_b32 v18, 0
	;; [unrolled: 1-line block ×4, first 2 shown]
	s_and_saveexec_b32 s1, s2
	s_cbranch_execz .LBB260_1074
; %bb.543:
	v_dual_mov_b32 v2, 0 :: v_dual_lshlrev_b32 v1, 3, v15
	s_ashr_i32 s15, s14, 31
	v_add3_u32 v22, s16, v10, 7
	s_wait_kmcnt 0x0
	s_wait_alu 0xfffe
	s_add_nc_u64 s[6:7], s[26:27], s[14:15]
	v_lshl_add_u32 v23, v11, 5, 0x220
	s_wait_alu 0xfffe
	v_add_co_u32 v3, s0, s6, v1
	s_wait_alu 0xf1ff
	v_add_co_ci_u32_e64 v4, null, s7, 0, s0
	s_lshl_b64 s[6:7], s[20:21], 2
	v_dual_mov_b32 v13, 0 :: v_dual_mov_b32 v14, 0
	s_wait_alu 0xfffe
	s_add_nc_u64 s[6:7], s[22:23], s[6:7]
	v_dual_mov_b32 v16, 0 :: v_dual_mov_b32 v17, 0
	s_wait_alu 0xfffe
	v_add_co_u32 v5, s0, s6, v9
	s_wait_alu 0xf1ff
	v_add_co_ci_u32_e64 v6, null, s7, 0, s0
	v_dual_mov_b32 v18, 0 :: v_dual_mov_b32 v19, 0
	v_dual_mov_b32 v20, 0 :: v_dual_mov_b32 v21, 0
	s_mov_b32 s2, -1
	s_mov_b32 s4, s13
	s_mov_b32 s3, 0xffffff
	s_add_co_i32 s29, s29, -1
	s_mov_b32 s5, 0
	s_branch .LBB260_545
.LBB260_544:                            ;   in Loop: Header=BB260_545 Depth=1
	s_wait_alu 0xfffe
	s_or_b32 exec_lo, exec_lo, s0
	v_dual_add_f32 v9, v9, v10 :: v_dual_add_f32 v24, v43, v44
	v_add_f32_e32 v25, v41, v42
	v_add_co_u32 v5, s0, v5, 16
	s_delay_alu instid0(VALU_DEP_3)
	v_add_f32_e32 v14, v14, v9
	;;#ASMSTART
	v_pk_mul_f16 v9, v35, v47;

	;;#ASMEND
	;;#ASMSTART
	v_pk_mul_f16 v1, v33, v1;

	;;#ASMEND
	;; [unrolled: 4-line block ×4, first 2 shown]
	;;#ASMSTART
	v_pk_add_f16 v1, v9, v1;

	;;#ASMEND
	;;#ASMSTART
	v_pk_add_f16 v1, v1, v8;

	;;#ASMEND
	;; [unrolled: 4-line block ×3, first 2 shown]
	v_dual_add_f32 v10, v45, v46 :: v_dual_and_b32 v9, 0xffff, v1
	v_add_f32_e32 v18, v18, v25
	;;#ASMSTART
	v_cvt_f32_f16 v9, v9;
	;;#ASMEND
	v_dual_add_f32 v7, v37, v38 :: v_dual_add_f32 v8, v34, v36
	s_delay_alu instid0(VALU_DEP_3) | instskip(SKIP_4) | instid1(VALU_DEP_3)
	v_dual_add_f32 v16, v16, v10 :: v_dual_add_f32 v17, v17, v24
	v_lshrrev_b32_e32 v10, 16, v1
	v_add_f32_e32 v1, v39, v40
	v_add_nc_u32_e32 v12, 4, v12
	;;#ASMSTART
	v_cvt_f32_f16 v10, v10;
	;;#ASMEND
	v_dual_add_f32 v9, v9, v10 :: v_dual_add_f32 v20, v20, v7
	s_delay_alu instid0(VALU_DEP_3) | instskip(NEXT) | instid1(VALU_DEP_3)
	v_add_f32_e32 v19, v19, v1
	v_cmp_le_i32_e32 vcc_lo, s19, v12
	v_dual_add_f32 v21, v21, v8 :: v_dual_add_nc_u32 v22, 32, v22
	s_delay_alu instid0(VALU_DEP_4)
	v_add_f32_e32 v13, v13, v9
	v_add_nc_u32_e32 v23, 0x80, v23
	s_wait_alu 0xf1ff
	v_add_co_ci_u32_e64 v6, null, 0, v6, s0
	s_or_b32 s5, vcc_lo, s5
	s_wait_alu 0xfffe
	s_and_not1_b32 exec_lo, exec_lo, s5
	s_cbranch_execz .LBB260_1073
.LBB260_545:                            ; =>This Inner Loop Header: Depth=1
	global_load_b32 v1, v[5:6], off
	ds_load_2addr_b64 v[24:27], v23 offset1:1
	ds_load_2addr_b64 v[37:40], v23 offset0:2 offset1:3
	s_mov_b32 s0, exec_lo
	s_wait_dscnt 0x1
	;;#ASMSTART
	v_cvt_f16_f32 v31, v24;

	;;#ASMEND
	;;#ASMSTART
	v_cvt_f16_f32 v32, v25;

	;;#ASMEND
	;; [unrolled: 4-line block ×4, first 2 shown]
	s_wait_dscnt 0x0
	;;#ASMSTART
	v_cvt_f16_f32 v37, v37;

	;;#ASMEND
	;;#ASMSTART
	v_cvt_f16_f32 v34, v38;

	;;#ASMEND
	;; [unrolled: 4-line block ×4, first 2 shown]
	v_mov_b32_e32 v26, 0
	s_wait_loadcnt 0x0
	s_wait_alu 0xfffe
	v_mad_co_i64_i32 v[7:8], null, v1, s4, v[3:4]
	global_load_b64 v[9:10], v[7:8], off
	global_load_b32 v25, v2, s[10:11]
	s_wait_loadcnt 0x1
	v_and_b32_e32 v1, 0xff, v9
	s_delay_alu instid0(VALU_DEP_1)
	v_cmpx_ne_u16_e32 0, v1
	s_cbranch_execz .LBB260_553
; %bb.546:                              ;   in Loop: Header=BB260_545 Depth=1
	v_mov_b32_e32 v26, 0x8000
	s_mov_b32 s6, exec_lo
	v_cmpx_ne_u16_e32 0x80, v1
	s_cbranch_execz .LBB260_552
; %bb.547:                              ;   in Loop: Header=BB260_545 Depth=1
	v_and_b32_e32 v27, 0x7f, v9
	v_mov_b32_e32 v26, 0x7c01
	s_mov_b32 s7, exec_lo
	s_delay_alu instid0(VALU_DEP_2)
	v_cmpx_ne_u32_e32 0x7f, v27
	s_cbranch_execz .LBB260_551
; %bb.548:                              ;   in Loop: Header=BB260_545 Depth=1
	v_and_b32_e32 v1, 7, v9
	v_lshrrev_b32_e32 v24, 3, v27
	s_mov_b32 s13, exec_lo
	v_cmpx_gt_u32_e32 8, v27
; %bb.549:                              ;   in Loop: Header=BB260_545 Depth=1
	s_delay_alu instid0(VALU_DEP_3) | instskip(NEXT) | instid1(VALU_DEP_1)
	v_clz_i32_u32_e32 v1, v1
	v_min_u32_e32 v1, 32, v1
	s_delay_alu instid0(VALU_DEP_1) | instskip(NEXT) | instid1(VALU_DEP_1)
	v_subrev_nc_u32_e32 v24, 28, v1
	v_lshlrev_b64_e32 v[26:27], v24, v[9:10]
	v_sub_nc_u32_e32 v24, 29, v1
	s_delay_alu instid0(VALU_DEP_2)
	v_and_b32_e32 v1, 7, v26
; %bb.550:                              ;   in Loop: Header=BB260_545 Depth=1
	s_or_b32 exec_lo, exec_lo, s13
	v_lshlrev_b32_e32 v26, 8, v9
	s_delay_alu instid0(VALU_DEP_3) | instskip(NEXT) | instid1(VALU_DEP_3)
	v_lshl_add_u32 v24, v24, 10, 0x2000
	v_lshlrev_b32_e32 v1, 7, v1
	s_delay_alu instid0(VALU_DEP_3) | instskip(NEXT) | instid1(VALU_DEP_3)
	v_and_b32_e32 v26, 0x8000, v26
	v_and_b32_e32 v24, 0xfc00, v24
	s_delay_alu instid0(VALU_DEP_1)
	v_or3_b32 v26, v26, v24, v1
.LBB260_551:                            ;   in Loop: Header=BB260_545 Depth=1
	s_wait_alu 0xfffe
	s_or_b32 exec_lo, exec_lo, s7
.LBB260_552:                            ;   in Loop: Header=BB260_545 Depth=1
	s_wait_alu 0xfffe
	s_or_b32 exec_lo, exec_lo, s6
.LBB260_553:                            ;   in Loop: Header=BB260_545 Depth=1
	s_delay_alu instid0(SALU_CYCLE_1) | instskip(SKIP_3) | instid1(VALU_DEP_2)
	s_or_b32 exec_lo, exec_lo, s0
	v_lshrrev_b16 v1, 8, v9
	v_dual_mov_b32 v24, 0 :: v_dual_mov_b32 v27, 0
	s_mov_b32 s0, exec_lo
	v_cmpx_ne_u16_e32 0, v1
	s_cbranch_execz .LBB260_561
; %bb.554:                              ;   in Loop: Header=BB260_545 Depth=1
	v_bfrev_b32_e32 v27, 1
	s_mov_b32 s6, exec_lo
	v_cmpx_ne_u16_e32 0x80, v1
	s_cbranch_execz .LBB260_560
; %bb.555:                              ;   in Loop: Header=BB260_545 Depth=1
	v_and_b32_e32 v28, 0xffff, v1
	v_mov_b32_e32 v27, 0x7c010000
	s_mov_b32 s7, exec_lo
	s_delay_alu instid0(VALU_DEP_2) | instskip(NEXT) | instid1(VALU_DEP_1)
	v_and_b32_e32 v30, 0x7f, v28
	v_cmpx_ne_u32_e32 0x7f, v30
	s_cbranch_execz .LBB260_559
; %bb.556:                              ;   in Loop: Header=BB260_545 Depth=1
	v_and_b32_e32 v27, 7, v28
	v_lshrrev_b32_e32 v29, 3, v30
	s_mov_b32 s13, exec_lo
	v_cmpx_gt_u32_e32 8, v30
; %bb.557:                              ;   in Loop: Header=BB260_545 Depth=1
	s_delay_alu instid0(VALU_DEP_3) | instskip(NEXT) | instid1(VALU_DEP_1)
	v_clz_i32_u32_e32 v27, v27
	v_min_u32_e32 v27, 32, v27
	s_delay_alu instid0(VALU_DEP_1) | instskip(NEXT) | instid1(VALU_DEP_1)
	v_subrev_nc_u32_e32 v29, 28, v27
	v_lshlrev_b64_e32 v[39:40], v29, v[1:2]
	v_sub_nc_u32_e32 v29, 29, v27
	s_delay_alu instid0(VALU_DEP_2)
	v_and_b32_e32 v27, 7, v39
; %bb.558:                              ;   in Loop: Header=BB260_545 Depth=1
	s_or_b32 exec_lo, exec_lo, s13
	v_lshlrev_b32_e32 v1, 8, v28
	s_delay_alu instid0(VALU_DEP_3) | instskip(NEXT) | instid1(VALU_DEP_3)
	v_lshl_add_u32 v28, v29, 10, 0x2000
	v_lshlrev_b32_e32 v27, 23, v27
	s_delay_alu instid0(VALU_DEP_2) | instskip(NEXT) | instid1(VALU_DEP_1)
	v_and_or_b32 v1, 0x8000, v1, v28
	v_lshl_or_b32 v27, v1, 16, v27
.LBB260_559:                            ;   in Loop: Header=BB260_545 Depth=1
	s_wait_alu 0xfffe
	s_or_b32 exec_lo, exec_lo, s7
.LBB260_560:                            ;   in Loop: Header=BB260_545 Depth=1
	s_wait_alu 0xfffe
	s_or_b32 exec_lo, exec_lo, s6
.LBB260_561:                            ;   in Loop: Header=BB260_545 Depth=1
	s_wait_alu 0xfffe
	s_or_b32 exec_lo, exec_lo, s0
	v_lshrrev_b32_e32 v1, 16, v9
	s_mov_b32 s0, exec_lo
	s_delay_alu instid0(VALU_DEP_1) | instskip(NEXT) | instid1(VALU_DEP_1)
	v_and_b32_e32 v28, 0xff, v1
	v_cmpx_ne_u16_e32 0, v28
	s_cbranch_execz .LBB260_569
; %bb.562:                              ;   in Loop: Header=BB260_545 Depth=1
	v_mov_b32_e32 v24, 0x8000
	s_mov_b32 s6, exec_lo
	v_cmpx_ne_u16_e32 0x80, v28
	s_cbranch_execz .LBB260_568
; %bb.563:                              ;   in Loop: Header=BB260_545 Depth=1
	v_bfe_u32 v29, v9, 16, 7
	v_mov_b32_e32 v24, 0x7c01
	s_mov_b32 s7, exec_lo
	s_delay_alu instid0(VALU_DEP_2)
	v_cmpx_ne_u32_e32 0x7f, v29
	s_cbranch_execz .LBB260_567
; %bb.564:                              ;   in Loop: Header=BB260_545 Depth=1
	v_and_b32_e32 v24, 7, v1
	v_lshrrev_b32_e32 v28, 3, v29
	s_mov_b32 s13, exec_lo
	v_cmpx_gt_u32_e32 8, v29
; %bb.565:                              ;   in Loop: Header=BB260_545 Depth=1
	s_delay_alu instid0(VALU_DEP_3) | instskip(NEXT) | instid1(VALU_DEP_1)
	v_clz_i32_u32_e32 v24, v24
	v_min_u32_e32 v24, 32, v24
	s_delay_alu instid0(VALU_DEP_1) | instskip(NEXT) | instid1(VALU_DEP_1)
	v_subrev_nc_u32_e32 v28, 28, v24
	v_lshlrev_b64_e32 v[29:30], v28, v[1:2]
	v_sub_nc_u32_e32 v28, 29, v24
	s_delay_alu instid0(VALU_DEP_2)
	v_and_b32_e32 v24, 7, v29
; %bb.566:                              ;   in Loop: Header=BB260_545 Depth=1
	s_or_b32 exec_lo, exec_lo, s13
	v_lshlrev_b32_e32 v1, 8, v1
	s_delay_alu instid0(VALU_DEP_3) | instskip(NEXT) | instid1(VALU_DEP_3)
	v_lshl_add_u32 v28, v28, 10, 0x2000
	v_lshlrev_b32_e32 v24, 7, v24
	s_delay_alu instid0(VALU_DEP_3) | instskip(NEXT) | instid1(VALU_DEP_3)
	v_and_b32_e32 v1, 0x8000, v1
	v_and_b32_e32 v28, 0xfc00, v28
	s_delay_alu instid0(VALU_DEP_1)
	v_or3_b32 v24, v1, v28, v24
.LBB260_567:                            ;   in Loop: Header=BB260_545 Depth=1
	s_wait_alu 0xfffe
	s_or_b32 exec_lo, exec_lo, s7
.LBB260_568:                            ;   in Loop: Header=BB260_545 Depth=1
	s_wait_alu 0xfffe
	s_or_b32 exec_lo, exec_lo, s6
.LBB260_569:                            ;   in Loop: Header=BB260_545 Depth=1
	s_wait_alu 0xfffe
	s_or_b32 exec_lo, exec_lo, s0
	v_dual_mov_b32 v28, 0 :: v_dual_mov_b32 v29, 0
	s_mov_b32 s0, exec_lo
	v_cmpx_lt_u32_e32 0xffffff, v9
	s_cbranch_execz .LBB260_577
; %bb.570:                              ;   in Loop: Header=BB260_545 Depth=1
	v_lshrrev_b32_e32 v1, 24, v9
	v_bfrev_b32_e32 v29, 1
	s_mov_b32 s6, exec_lo
	s_delay_alu instid0(VALU_DEP_2)
	v_cmpx_ne_u32_e32 0x80, v1
	s_cbranch_execz .LBB260_576
; %bb.571:                              ;   in Loop: Header=BB260_545 Depth=1
	v_and_b32_e32 v39, 0x7f, v1
	v_mov_b32_e32 v29, 0x7c010000
	s_mov_b32 s7, exec_lo
	s_delay_alu instid0(VALU_DEP_2)
	v_cmpx_ne_u32_e32 0x7f, v39
	s_cbranch_execz .LBB260_575
; %bb.572:                              ;   in Loop: Header=BB260_545 Depth=1
	v_and_b32_e32 v29, 7, v1
	v_lshrrev_b32_e32 v30, 3, v39
	s_mov_b32 s13, exec_lo
	v_cmpx_gt_u32_e32 8, v39
; %bb.573:                              ;   in Loop: Header=BB260_545 Depth=1
	s_delay_alu instid0(VALU_DEP_3) | instskip(NEXT) | instid1(VALU_DEP_1)
	v_clz_i32_u32_e32 v29, v29
	v_min_u32_e32 v39, 32, v29
	s_delay_alu instid0(VALU_DEP_1) | instskip(NEXT) | instid1(VALU_DEP_1)
	v_subrev_nc_u32_e32 v29, 28, v39
	v_lshlrev_b64_e32 v[29:30], v29, v[1:2]
	v_sub_nc_u32_e32 v30, 29, v39
	s_delay_alu instid0(VALU_DEP_2)
	v_and_b32_e32 v29, 7, v29
; %bb.574:                              ;   in Loop: Header=BB260_545 Depth=1
	s_or_b32 exec_lo, exec_lo, s13
	v_lshlrev_b32_e32 v1, 8, v1
	s_delay_alu instid0(VALU_DEP_3) | instskip(NEXT) | instid1(VALU_DEP_3)
	v_lshl_add_u32 v30, v30, 10, 0x2000
	v_lshlrev_b32_e32 v29, 23, v29
	s_delay_alu instid0(VALU_DEP_2) | instskip(NEXT) | instid1(VALU_DEP_1)
	v_and_or_b32 v1, 0x8000, v1, v30
	v_lshl_or_b32 v29, v1, 16, v29
.LBB260_575:                            ;   in Loop: Header=BB260_545 Depth=1
	s_wait_alu 0xfffe
	s_or_b32 exec_lo, exec_lo, s7
.LBB260_576:                            ;   in Loop: Header=BB260_545 Depth=1
	s_wait_alu 0xfffe
	s_or_b32 exec_lo, exec_lo, s6
.LBB260_577:                            ;   in Loop: Header=BB260_545 Depth=1
	s_wait_alu 0xfffe
	s_or_b32 exec_lo, exec_lo, s0
	v_dual_mov_b32 v1, v10 :: v_dual_and_b32 v30, 0xff, v10
	s_mov_b32 s0, exec_lo
	s_delay_alu instid0(VALU_DEP_1)
	v_cmpx_ne_u16_e32 0, v30
	s_cbranch_execz .LBB260_585
; %bb.578:                              ;   in Loop: Header=BB260_545 Depth=1
	v_mov_b32_e32 v28, 0x8000
	s_mov_b32 s6, exec_lo
	v_cmpx_ne_u16_e32 0x80, v30
	s_cbranch_execz .LBB260_584
; %bb.579:                              ;   in Loop: Header=BB260_545 Depth=1
	v_and_b32_e32 v39, 0x7f, v10
	v_mov_b32_e32 v28, 0x7c01
	s_mov_b32 s7, exec_lo
	s_delay_alu instid0(VALU_DEP_2)
	v_cmpx_ne_u32_e32 0x7f, v39
	s_cbranch_execz .LBB260_583
; %bb.580:                              ;   in Loop: Header=BB260_545 Depth=1
	v_and_b32_e32 v28, 7, v10
	v_lshrrev_b32_e32 v30, 3, v39
	s_mov_b32 s13, exec_lo
	v_cmpx_gt_u32_e32 8, v39
; %bb.581:                              ;   in Loop: Header=BB260_545 Depth=1
	s_delay_alu instid0(VALU_DEP_3) | instskip(NEXT) | instid1(VALU_DEP_1)
	v_clz_i32_u32_e32 v28, v28
	v_min_u32_e32 v28, 32, v28
	s_delay_alu instid0(VALU_DEP_1) | instskip(NEXT) | instid1(VALU_DEP_1)
	v_subrev_nc_u32_e32 v30, 28, v28
	v_lshlrev_b64_e32 v[39:40], v30, v[1:2]
	v_sub_nc_u32_e32 v30, 29, v28
	s_delay_alu instid0(VALU_DEP_2)
	v_and_b32_e32 v28, 7, v39
; %bb.582:                              ;   in Loop: Header=BB260_545 Depth=1
	s_or_b32 exec_lo, exec_lo, s13
	v_lshlrev_b32_e32 v39, 8, v10
	s_delay_alu instid0(VALU_DEP_3) | instskip(NEXT) | instid1(VALU_DEP_3)
	v_lshl_add_u32 v30, v30, 10, 0x2000
	v_lshlrev_b32_e32 v28, 7, v28
	s_delay_alu instid0(VALU_DEP_3) | instskip(NEXT) | instid1(VALU_DEP_3)
	v_and_b32_e32 v39, 0x8000, v39
	v_and_b32_e32 v30, 0xfc00, v30
	s_delay_alu instid0(VALU_DEP_1)
	v_or3_b32 v28, v39, v30, v28
.LBB260_583:                            ;   in Loop: Header=BB260_545 Depth=1
	s_wait_alu 0xfffe
	s_or_b32 exec_lo, exec_lo, s7
.LBB260_584:                            ;   in Loop: Header=BB260_545 Depth=1
	s_wait_alu 0xfffe
	s_or_b32 exec_lo, exec_lo, s6
.LBB260_585:                            ;   in Loop: Header=BB260_545 Depth=1
	s_wait_alu 0xfffe
	s_or_b32 exec_lo, exec_lo, s0
	v_lshrrev_b16 v1, 8, v1
	v_dual_mov_b32 v39, 0 :: v_dual_mov_b32 v30, 0
	s_mov_b32 s0, exec_lo
	s_delay_alu instid0(VALU_DEP_2)
	v_cmpx_ne_u16_e32 0, v1
	s_cbranch_execz .LBB260_593
; %bb.586:                              ;   in Loop: Header=BB260_545 Depth=1
	v_bfrev_b32_e32 v30, 1
	s_mov_b32 s6, exec_lo
	v_cmpx_ne_u16_e32 0x80, v1
	s_cbranch_execz .LBB260_592
; %bb.587:                              ;   in Loop: Header=BB260_545 Depth=1
	v_and_b32_e32 v40, 0xffff, v1
	v_mov_b32_e32 v30, 0x7c010000
	s_mov_b32 s7, exec_lo
	s_delay_alu instid0(VALU_DEP_2) | instskip(NEXT) | instid1(VALU_DEP_1)
	v_and_b32_e32 v42, 0x7f, v40
	v_cmpx_ne_u32_e32 0x7f, v42
	s_cbranch_execz .LBB260_591
; %bb.588:                              ;   in Loop: Header=BB260_545 Depth=1
	v_and_b32_e32 v30, 7, v40
	v_lshrrev_b32_e32 v41, 3, v42
	s_mov_b32 s13, exec_lo
	v_cmpx_gt_u32_e32 8, v42
; %bb.589:                              ;   in Loop: Header=BB260_545 Depth=1
	s_delay_alu instid0(VALU_DEP_3) | instskip(NEXT) | instid1(VALU_DEP_1)
	v_clz_i32_u32_e32 v30, v30
	v_min_u32_e32 v30, 32, v30
	s_delay_alu instid0(VALU_DEP_1) | instskip(NEXT) | instid1(VALU_DEP_1)
	v_subrev_nc_u32_e32 v41, 28, v30
	v_lshlrev_b64_e32 v[42:43], v41, v[1:2]
	v_sub_nc_u32_e32 v41, 29, v30
	s_delay_alu instid0(VALU_DEP_2)
	v_and_b32_e32 v30, 7, v42
; %bb.590:                              ;   in Loop: Header=BB260_545 Depth=1
	s_or_b32 exec_lo, exec_lo, s13
	v_lshlrev_b32_e32 v1, 8, v40
	s_delay_alu instid0(VALU_DEP_3) | instskip(NEXT) | instid1(VALU_DEP_3)
	v_lshl_add_u32 v40, v41, 10, 0x2000
	v_lshlrev_b32_e32 v30, 23, v30
	s_delay_alu instid0(VALU_DEP_2) | instskip(NEXT) | instid1(VALU_DEP_1)
	v_and_or_b32 v1, 0x8000, v1, v40
	v_lshl_or_b32 v30, v1, 16, v30
.LBB260_591:                            ;   in Loop: Header=BB260_545 Depth=1
	s_wait_alu 0xfffe
	s_or_b32 exec_lo, exec_lo, s7
.LBB260_592:                            ;   in Loop: Header=BB260_545 Depth=1
	s_wait_alu 0xfffe
	s_or_b32 exec_lo, exec_lo, s6
.LBB260_593:                            ;   in Loop: Header=BB260_545 Depth=1
	s_wait_alu 0xfffe
	s_or_b32 exec_lo, exec_lo, s0
	v_lshrrev_b32_e32 v1, 16, v10
	s_mov_b32 s0, exec_lo
	s_delay_alu instid0(VALU_DEP_1) | instskip(NEXT) | instid1(VALU_DEP_1)
	v_and_b32_e32 v40, 0xff, v1
	v_cmpx_ne_u16_e32 0, v40
	s_cbranch_execz .LBB260_601
; %bb.594:                              ;   in Loop: Header=BB260_545 Depth=1
	v_mov_b32_e32 v39, 0x8000
	s_mov_b32 s6, exec_lo
	v_cmpx_ne_u16_e32 0x80, v40
	s_cbranch_execz .LBB260_600
; %bb.595:                              ;   in Loop: Header=BB260_545 Depth=1
	v_bfe_u32 v41, v10, 16, 7
	v_mov_b32_e32 v39, 0x7c01
	s_mov_b32 s7, exec_lo
	s_delay_alu instid0(VALU_DEP_2)
	v_cmpx_ne_u32_e32 0x7f, v41
	s_cbranch_execz .LBB260_599
; %bb.596:                              ;   in Loop: Header=BB260_545 Depth=1
	v_and_b32_e32 v39, 7, v1
	v_lshrrev_b32_e32 v40, 3, v41
	s_mov_b32 s13, exec_lo
	v_cmpx_gt_u32_e32 8, v41
; %bb.597:                              ;   in Loop: Header=BB260_545 Depth=1
	s_delay_alu instid0(VALU_DEP_3) | instskip(NEXT) | instid1(VALU_DEP_1)
	v_clz_i32_u32_e32 v39, v39
	v_min_u32_e32 v41, 32, v39
	s_delay_alu instid0(VALU_DEP_1) | instskip(NEXT) | instid1(VALU_DEP_1)
	v_subrev_nc_u32_e32 v39, 28, v41
	v_lshlrev_b64_e32 v[39:40], v39, v[1:2]
	v_sub_nc_u32_e32 v40, 29, v41
	s_delay_alu instid0(VALU_DEP_2)
	v_and_b32_e32 v39, 7, v39
; %bb.598:                              ;   in Loop: Header=BB260_545 Depth=1
	s_or_b32 exec_lo, exec_lo, s13
	v_lshlrev_b32_e32 v1, 8, v1
	s_delay_alu instid0(VALU_DEP_3) | instskip(NEXT) | instid1(VALU_DEP_3)
	v_lshl_add_u32 v40, v40, 10, 0x2000
	v_lshlrev_b32_e32 v39, 7, v39
	s_delay_alu instid0(VALU_DEP_3) | instskip(NEXT) | instid1(VALU_DEP_3)
	v_and_b32_e32 v1, 0x8000, v1
	v_and_b32_e32 v40, 0xfc00, v40
	s_delay_alu instid0(VALU_DEP_1)
	v_or3_b32 v39, v1, v40, v39
.LBB260_599:                            ;   in Loop: Header=BB260_545 Depth=1
	s_wait_alu 0xfffe
	s_or_b32 exec_lo, exec_lo, s7
.LBB260_600:                            ;   in Loop: Header=BB260_545 Depth=1
	s_wait_alu 0xfffe
	s_or_b32 exec_lo, exec_lo, s6
.LBB260_601:                            ;   in Loop: Header=BB260_545 Depth=1
	s_wait_alu 0xfffe
	s_or_b32 exec_lo, exec_lo, s0
	v_cmp_lt_u64_e32 vcc_lo, s[2:3], v[9:10]
	v_mov_b32_e32 v9, 0
	s_and_saveexec_b32 s0, vcc_lo
	s_cbranch_execz .LBB260_609
; %bb.602:                              ;   in Loop: Header=BB260_545 Depth=1
	v_lshrrev_b32_e32 v1, 24, v10
	v_bfrev_b32_e32 v9, 1
	s_mov_b32 s6, exec_lo
	s_delay_alu instid0(VALU_DEP_2)
	v_cmpx_ne_u32_e32 0x80, v1
	s_cbranch_execz .LBB260_608
; %bb.603:                              ;   in Loop: Header=BB260_545 Depth=1
	v_and_b32_e32 v40, 0x7f, v1
	v_mov_b32_e32 v9, 0x7c010000
	s_mov_b32 s7, exec_lo
	s_delay_alu instid0(VALU_DEP_2)
	v_cmpx_ne_u32_e32 0x7f, v40
	s_cbranch_execz .LBB260_607
; %bb.604:                              ;   in Loop: Header=BB260_545 Depth=1
	v_and_b32_e32 v9, 7, v1
	v_lshrrev_b32_e32 v10, 3, v40
	s_mov_b32 s13, exec_lo
	v_cmpx_gt_u32_e32 8, v40
; %bb.605:                              ;   in Loop: Header=BB260_545 Depth=1
	s_delay_alu instid0(VALU_DEP_3) | instskip(NEXT) | instid1(VALU_DEP_1)
	v_clz_i32_u32_e32 v9, v9
	v_min_u32_e32 v40, 32, v9
	s_delay_alu instid0(VALU_DEP_1) | instskip(NEXT) | instid1(VALU_DEP_1)
	v_subrev_nc_u32_e32 v9, 28, v40
	v_lshlrev_b64_e32 v[9:10], v9, v[1:2]
	v_sub_nc_u32_e32 v10, 29, v40
	s_delay_alu instid0(VALU_DEP_2)
	v_and_b32_e32 v9, 7, v9
; %bb.606:                              ;   in Loop: Header=BB260_545 Depth=1
	s_or_b32 exec_lo, exec_lo, s13
	v_lshlrev_b32_e32 v1, 8, v1
	s_delay_alu instid0(VALU_DEP_3) | instskip(NEXT) | instid1(VALU_DEP_3)
	v_lshl_add_u32 v10, v10, 10, 0x2000
	v_lshlrev_b32_e32 v9, 23, v9
	s_delay_alu instid0(VALU_DEP_2) | instskip(NEXT) | instid1(VALU_DEP_1)
	v_and_or_b32 v1, 0x8000, v1, v10
	v_lshl_or_b32 v9, v1, 16, v9
.LBB260_607:                            ;   in Loop: Header=BB260_545 Depth=1
	s_wait_alu 0xfffe
	s_or_b32 exec_lo, exec_lo, s7
.LBB260_608:                            ;   in Loop: Header=BB260_545 Depth=1
	s_wait_alu 0xfffe
	s_or_b32 exec_lo, exec_lo, s6
.LBB260_609:                            ;   in Loop: Header=BB260_545 Depth=1
	s_wait_alu 0xfffe
	s_or_b32 exec_lo, exec_lo, s0
	v_or_b32_e32 v1, v29, v24
	s_wait_loadcnt 0x0
	v_fma_mixlo_f16 v10, v25, v29, 0 op_sel:[0,1,0] op_sel_hi:[0,1,0]
	v_or_b32_e32 v26, v27, v26
	v_fma_mixlo_f16 v27, v25, v27, 0 op_sel:[0,1,0] op_sel_hi:[0,1,0]
	v_or_b32_e32 v28, v30, v28
	v_fma_mixlo_f16 v1, v25, v1, 0 op_sel_hi:[0,1,0]
	v_or_b32_e32 v29, v9, v39
	v_fma_mixlo_f16 v9, v25, v9, 0 op_sel:[0,1,0] op_sel_hi:[0,1,0]
	v_lshlrev_b32_e32 v45, 16, v27
	v_fma_mixlo_f16 v27, v25, v28, 0 op_sel_hi:[0,1,0]
	v_and_b32_e32 v42, 0xffff, v1
	v_fma_mixlo_f16 v1, v25, v26, 0 op_sel_hi:[0,1,0]
	v_fma_mixlo_f16 v26, v25, v30, 0 op_sel:[0,1,0] op_sel_hi:[0,1,0]
	v_fma_mixlo_f16 v25, v25, v29, 0 op_sel_hi:[0,1,0]
	v_lshlrev_b32_e32 v10, 16, v10
	v_and_b32_e32 v46, 0xffff, v27
	v_and_b32_e32 v47, 0xffff, v1
	v_lshlrev_b32_e32 v43, 16, v26
	v_lshlrev_b32_e32 v40, 16, v9
	v_and_b32_e32 v44, 0xffff, v25
	v_add_nc_u32_e32 v24, -7, v22
	v_cmp_eq_u32_e32 vcc_lo, s29, v12
	v_or_b32_e32 v1, v10, v42
	v_or_b32_e32 v9, v45, v47
	;; [unrolled: 1-line block ×4, first 2 shown]
	v_add_nc_u32_e32 v30, -6, v22
	v_add_nc_u32_e32 v29, -5, v22
	;; [unrolled: 1-line block ×6, first 2 shown]
	s_and_saveexec_b32 s6, vcc_lo
	s_cbranch_execz .LBB260_611
; %bb.610:                              ;   in Loop: Header=BB260_545 Depth=1
	v_cmp_gt_i32_e64 s0, s17, v24
	s_wait_alu 0xf1ff
	s_delay_alu instid0(VALU_DEP_1) | instskip(SKIP_2) | instid1(VALU_DEP_1)
	v_cndmask_b32_e64 v1, 0, v47, s0
	v_cmp_gt_i32_e64 s0, s17, v30
	s_wait_alu 0xf1ff
	v_cndmask_b32_e64 v9, 0, v45, s0
	v_cmp_gt_i32_e64 s0, s17, v29
	s_delay_alu instid0(VALU_DEP_2) | instskip(SKIP_1) | instid1(VALU_DEP_2)
	v_or_b32_e32 v9, v9, v1
	s_wait_alu 0xf1ff
	v_cndmask_b32_e64 v39, 0, v42, s0
	v_cmp_gt_i32_e64 s0, s17, v28
	s_wait_alu 0xf1ff
	s_delay_alu instid0(VALU_DEP_1) | instskip(SKIP_1) | instid1(VALU_DEP_2)
	v_cndmask_b32_e64 v10, 0, v10, s0
	v_cmp_gt_i32_e64 s0, s17, v27
	v_or_b32_e32 v1, v10, v39
	s_wait_alu 0xf1ff
	s_delay_alu instid0(VALU_DEP_2) | instskip(SKIP_2) | instid1(VALU_DEP_1)
	v_cndmask_b32_e64 v41, 0, v46, s0
	v_cmp_gt_i32_e64 s0, s17, v26
	s_wait_alu 0xf1ff
	v_cndmask_b32_e64 v42, 0, v43, s0
	v_cmp_gt_i32_e64 s0, s17, v25
	s_delay_alu instid0(VALU_DEP_2) | instskip(SKIP_1) | instid1(VALU_DEP_2)
	v_or_b32_e32 v39, v42, v41
	s_wait_alu 0xf1ff
	v_cndmask_b32_e64 v43, 0, v44, s0
	v_cmp_gt_i32_e64 s0, s17, v22
	s_wait_alu 0xf1ff
	s_delay_alu instid0(VALU_DEP_1) | instskip(NEXT) | instid1(VALU_DEP_1)
	v_cndmask_b32_e64 v40, 0, v40, s0
	v_or_b32_e32 v41, v40, v43
.LBB260_611:                            ;   in Loop: Header=BB260_545 Depth=1
	s_wait_alu 0xfffe
	s_or_b32 exec_lo, exec_lo, s6
	v_and_b32_e32 v10, 0xffff, v31
	v_and_b32_e32 v31, 0xffff, v35
	;; [unrolled: 1-line block ×4, first 2 shown]
	s_mov_b32 s6, exec_lo
	v_lshl_or_b32 v35, v32, 16, v10
	v_lshl_or_b32 v33, v33, 16, v31
	;;#ASMSTART
	v_pk_mul_f16 v9, v35, v9;

	;;#ASMEND
	;;#ASMSTART
	v_pk_mul_f16 v1, v33, v1;

	;;#ASMEND
	v_lshl_or_b32 v32, v34, 16, v37
	v_lshl_or_b32 v31, v36, 16, v38
	;;#ASMSTART
	v_pk_mul_f16 v10, v32, v39;

	;;#ASMEND
	;;#ASMSTART
	v_pk_mul_f16 v34, v31, v41;

	;;#ASMEND
	;;#ASMSTART
	v_pk_add_f16 v1, v9, v1;

	;;#ASMEND
	;;#ASMSTART
	v_pk_add_f16 v1, v1, v10;
	;; [unrolled: 4-line block ×3, first 2 shown]

	;;#ASMEND
	v_and_b32_e32 v9, 0xffff, v1
	v_lshrrev_b32_e32 v1, 16, v1
	;;#ASMSTART
	v_cvt_f32_f16 v34, v9;
	;;#ASMEND
	;;#ASMSTART
	v_cvt_f32_f16 v36, v1;
	;;#ASMEND
	global_load_b64 v[9:10], v[7:8], off offset:256
	v_dual_mov_b32 v38, 0 :: v_dual_mov_b32 v39, 0
	global_load_b32 v37, v38, s[10:11]
	s_wait_loadcnt 0x1
	v_and_b32_e32 v1, 0xff, v9
	s_delay_alu instid0(VALU_DEP_1)
	v_cmpx_ne_u16_e32 0, v1
	s_cbranch_execz .LBB260_619
; %bb.612:                              ;   in Loop: Header=BB260_545 Depth=1
	v_mov_b32_e32 v39, 0x8000
	s_mov_b32 s7, exec_lo
	v_cmpx_ne_u16_e32 0x80, v1
	s_cbranch_execz .LBB260_618
; %bb.613:                              ;   in Loop: Header=BB260_545 Depth=1
	v_and_b32_e32 v40, 0x7f, v9
	v_mov_b32_e32 v39, 0x7c01
	s_mov_b32 s13, exec_lo
	s_delay_alu instid0(VALU_DEP_2)
	v_cmpx_ne_u32_e32 0x7f, v40
	s_cbranch_execz .LBB260_617
; %bb.614:                              ;   in Loop: Header=BB260_545 Depth=1
	v_and_b32_e32 v1, 7, v9
	v_lshrrev_b32_e32 v39, 3, v40
	s_mov_b32 s14, exec_lo
	v_cmpx_gt_u32_e32 8, v40
; %bb.615:                              ;   in Loop: Header=BB260_545 Depth=1
	s_delay_alu instid0(VALU_DEP_3) | instskip(NEXT) | instid1(VALU_DEP_1)
	v_clz_i32_u32_e32 v1, v1
	v_min_u32_e32 v1, 32, v1
	s_delay_alu instid0(VALU_DEP_1) | instskip(NEXT) | instid1(VALU_DEP_1)
	v_subrev_nc_u32_e32 v39, 28, v1
	v_lshlrev_b64_e32 v[40:41], v39, v[9:10]
	v_sub_nc_u32_e32 v39, 29, v1
	s_delay_alu instid0(VALU_DEP_2)
	v_and_b32_e32 v1, 7, v40
; %bb.616:                              ;   in Loop: Header=BB260_545 Depth=1
	s_wait_alu 0xfffe
	s_or_b32 exec_lo, exec_lo, s14
	v_lshlrev_b32_e32 v40, 8, v9
	v_lshl_add_u32 v39, v39, 10, 0x2000
	v_lshlrev_b32_e32 v1, 7, v1
	s_delay_alu instid0(VALU_DEP_3) | instskip(NEXT) | instid1(VALU_DEP_3)
	v_and_b32_e32 v40, 0x8000, v40
	v_and_b32_e32 v39, 0xfc00, v39
	s_delay_alu instid0(VALU_DEP_1)
	v_or3_b32 v39, v40, v39, v1
.LBB260_617:                            ;   in Loop: Header=BB260_545 Depth=1
	s_or_b32 exec_lo, exec_lo, s13
.LBB260_618:                            ;   in Loop: Header=BB260_545 Depth=1
	s_wait_alu 0xfffe
	s_or_b32 exec_lo, exec_lo, s7
.LBB260_619:                            ;   in Loop: Header=BB260_545 Depth=1
	s_wait_alu 0xfffe
	s_or_b32 exec_lo, exec_lo, s6
	v_lshrrev_b16 v1, 8, v9
	s_mov_b32 s6, exec_lo
	s_delay_alu instid0(VALU_DEP_1)
	v_cmpx_ne_u16_e32 0, v1
	s_cbranch_execz .LBB260_627
; %bb.620:                              ;   in Loop: Header=BB260_545 Depth=1
	v_bfrev_b32_e32 v38, 1
	s_mov_b32 s7, exec_lo
	v_cmpx_ne_u16_e32 0x80, v1
	s_cbranch_execz .LBB260_626
; %bb.621:                              ;   in Loop: Header=BB260_545 Depth=1
	v_and_b32_e32 v40, 0xffff, v1
	v_mov_b32_e32 v38, 0x7c010000
	s_mov_b32 s13, exec_lo
	s_delay_alu instid0(VALU_DEP_2) | instskip(NEXT) | instid1(VALU_DEP_1)
	v_and_b32_e32 v42, 0x7f, v40
	v_cmpx_ne_u32_e32 0x7f, v42
	s_cbranch_execz .LBB260_625
; %bb.622:                              ;   in Loop: Header=BB260_545 Depth=1
	v_and_b32_e32 v38, 7, v40
	v_lshrrev_b32_e32 v41, 3, v42
	s_mov_b32 s14, exec_lo
	v_cmpx_gt_u32_e32 8, v42
; %bb.623:                              ;   in Loop: Header=BB260_545 Depth=1
	s_delay_alu instid0(VALU_DEP_3) | instskip(NEXT) | instid1(VALU_DEP_1)
	v_clz_i32_u32_e32 v38, v38
	v_min_u32_e32 v38, 32, v38
	s_delay_alu instid0(VALU_DEP_1) | instskip(NEXT) | instid1(VALU_DEP_1)
	v_subrev_nc_u32_e32 v41, 28, v38
	v_lshlrev_b64_e32 v[42:43], v41, v[1:2]
	v_sub_nc_u32_e32 v41, 29, v38
	s_delay_alu instid0(VALU_DEP_2)
	v_and_b32_e32 v38, 7, v42
; %bb.624:                              ;   in Loop: Header=BB260_545 Depth=1
	s_wait_alu 0xfffe
	s_or_b32 exec_lo, exec_lo, s14
	v_lshlrev_b32_e32 v1, 8, v40
	v_lshl_add_u32 v40, v41, 10, 0x2000
	v_lshlrev_b32_e32 v38, 23, v38
	s_delay_alu instid0(VALU_DEP_2) | instskip(NEXT) | instid1(VALU_DEP_1)
	v_and_or_b32 v1, 0x8000, v1, v40
	v_lshl_or_b32 v38, v1, 16, v38
.LBB260_625:                            ;   in Loop: Header=BB260_545 Depth=1
	s_or_b32 exec_lo, exec_lo, s13
.LBB260_626:                            ;   in Loop: Header=BB260_545 Depth=1
	s_wait_alu 0xfffe
	s_or_b32 exec_lo, exec_lo, s7
.LBB260_627:                            ;   in Loop: Header=BB260_545 Depth=1
	s_wait_alu 0xfffe
	s_or_b32 exec_lo, exec_lo, s6
	v_lshrrev_b32_e32 v1, 16, v9
	v_mov_b32_e32 v40, 0
	s_mov_b32 s6, exec_lo
	s_delay_alu instid0(VALU_DEP_2) | instskip(NEXT) | instid1(VALU_DEP_1)
	v_dual_mov_b32 v41, 0 :: v_dual_and_b32 v42, 0xff, v1
	v_cmpx_ne_u16_e32 0, v42
	s_cbranch_execz .LBB260_635
; %bb.628:                              ;   in Loop: Header=BB260_545 Depth=1
	v_mov_b32_e32 v41, 0x8000
	s_mov_b32 s7, exec_lo
	v_cmpx_ne_u16_e32 0x80, v42
	s_cbranch_execz .LBB260_634
; %bb.629:                              ;   in Loop: Header=BB260_545 Depth=1
	v_bfe_u32 v43, v9, 16, 7
	v_mov_b32_e32 v41, 0x7c01
	s_mov_b32 s13, exec_lo
	s_delay_alu instid0(VALU_DEP_2)
	v_cmpx_ne_u32_e32 0x7f, v43
	s_cbranch_execz .LBB260_633
; %bb.630:                              ;   in Loop: Header=BB260_545 Depth=1
	v_and_b32_e32 v41, 7, v1
	v_lshrrev_b32_e32 v42, 3, v43
	s_mov_b32 s14, exec_lo
	v_cmpx_gt_u32_e32 8, v43
; %bb.631:                              ;   in Loop: Header=BB260_545 Depth=1
	s_delay_alu instid0(VALU_DEP_3) | instskip(NEXT) | instid1(VALU_DEP_1)
	v_clz_i32_u32_e32 v41, v41
	v_min_u32_e32 v43, 32, v41
	s_delay_alu instid0(VALU_DEP_1) | instskip(NEXT) | instid1(VALU_DEP_1)
	v_subrev_nc_u32_e32 v41, 28, v43
	v_lshlrev_b64_e32 v[41:42], v41, v[1:2]
	v_sub_nc_u32_e32 v42, 29, v43
	s_delay_alu instid0(VALU_DEP_2)
	v_and_b32_e32 v41, 7, v41
; %bb.632:                              ;   in Loop: Header=BB260_545 Depth=1
	s_wait_alu 0xfffe
	s_or_b32 exec_lo, exec_lo, s14
	v_lshlrev_b32_e32 v1, 8, v1
	v_lshl_add_u32 v42, v42, 10, 0x2000
	v_lshlrev_b32_e32 v41, 7, v41
	s_delay_alu instid0(VALU_DEP_3) | instskip(NEXT) | instid1(VALU_DEP_3)
	v_and_b32_e32 v1, 0x8000, v1
	v_and_b32_e32 v42, 0xfc00, v42
	s_delay_alu instid0(VALU_DEP_1)
	v_or3_b32 v41, v1, v42, v41
.LBB260_633:                            ;   in Loop: Header=BB260_545 Depth=1
	s_or_b32 exec_lo, exec_lo, s13
.LBB260_634:                            ;   in Loop: Header=BB260_545 Depth=1
	s_wait_alu 0xfffe
	s_or_b32 exec_lo, exec_lo, s7
.LBB260_635:                            ;   in Loop: Header=BB260_545 Depth=1
	s_wait_alu 0xfffe
	s_or_b32 exec_lo, exec_lo, s6
	s_delay_alu instid0(SALU_CYCLE_1)
	s_mov_b32 s6, exec_lo
	v_cmpx_lt_u32_e32 0xffffff, v9
	s_cbranch_execz .LBB260_643
; %bb.636:                              ;   in Loop: Header=BB260_545 Depth=1
	v_lshrrev_b32_e32 v1, 24, v9
	v_bfrev_b32_e32 v40, 1
	s_mov_b32 s7, exec_lo
	s_delay_alu instid0(VALU_DEP_2)
	v_cmpx_ne_u32_e32 0x80, v1
	s_cbranch_execz .LBB260_642
; %bb.637:                              ;   in Loop: Header=BB260_545 Depth=1
	v_and_b32_e32 v43, 0x7f, v1
	v_mov_b32_e32 v40, 0x7c010000
	s_mov_b32 s13, exec_lo
	s_delay_alu instid0(VALU_DEP_2)
	v_cmpx_ne_u32_e32 0x7f, v43
	s_cbranch_execz .LBB260_641
; %bb.638:                              ;   in Loop: Header=BB260_545 Depth=1
	v_and_b32_e32 v40, 7, v1
	v_lshrrev_b32_e32 v42, 3, v43
	s_mov_b32 s14, exec_lo
	v_cmpx_gt_u32_e32 8, v43
; %bb.639:                              ;   in Loop: Header=BB260_545 Depth=1
	s_delay_alu instid0(VALU_DEP_3) | instskip(NEXT) | instid1(VALU_DEP_1)
	v_clz_i32_u32_e32 v40, v40
	v_min_u32_e32 v40, 32, v40
	s_delay_alu instid0(VALU_DEP_1) | instskip(NEXT) | instid1(VALU_DEP_1)
	v_subrev_nc_u32_e32 v42, 28, v40
	v_lshlrev_b64_e32 v[43:44], v42, v[1:2]
	v_sub_nc_u32_e32 v42, 29, v40
	s_delay_alu instid0(VALU_DEP_2)
	v_and_b32_e32 v40, 7, v43
; %bb.640:                              ;   in Loop: Header=BB260_545 Depth=1
	s_wait_alu 0xfffe
	s_or_b32 exec_lo, exec_lo, s14
	v_lshlrev_b32_e32 v1, 8, v1
	v_lshl_add_u32 v42, v42, 10, 0x2000
	v_lshlrev_b32_e32 v40, 23, v40
	s_delay_alu instid0(VALU_DEP_2) | instskip(NEXT) | instid1(VALU_DEP_1)
	v_and_or_b32 v1, 0x8000, v1, v42
	v_lshl_or_b32 v40, v1, 16, v40
.LBB260_641:                            ;   in Loop: Header=BB260_545 Depth=1
	s_or_b32 exec_lo, exec_lo, s13
.LBB260_642:                            ;   in Loop: Header=BB260_545 Depth=1
	s_wait_alu 0xfffe
	s_or_b32 exec_lo, exec_lo, s7
.LBB260_643:                            ;   in Loop: Header=BB260_545 Depth=1
	s_wait_alu 0xfffe
	s_or_b32 exec_lo, exec_lo, s6
	v_dual_mov_b32 v1, v10 :: v_dual_and_b32 v44, 0xff, v10
	v_dual_mov_b32 v42, 0 :: v_dual_mov_b32 v43, 0
	s_mov_b32 s6, exec_lo
	s_delay_alu instid0(VALU_DEP_2)
	v_cmpx_ne_u16_e32 0, v44
	s_cbranch_execz .LBB260_651
; %bb.644:                              ;   in Loop: Header=BB260_545 Depth=1
	v_mov_b32_e32 v43, 0x8000
	s_mov_b32 s7, exec_lo
	v_cmpx_ne_u16_e32 0x80, v44
	s_cbranch_execz .LBB260_650
; %bb.645:                              ;   in Loop: Header=BB260_545 Depth=1
	v_and_b32_e32 v45, 0x7f, v10
	v_mov_b32_e32 v43, 0x7c01
	s_mov_b32 s13, exec_lo
	s_delay_alu instid0(VALU_DEP_2)
	v_cmpx_ne_u32_e32 0x7f, v45
	s_cbranch_execz .LBB260_649
; %bb.646:                              ;   in Loop: Header=BB260_545 Depth=1
	v_and_b32_e32 v43, 7, v10
	v_lshrrev_b32_e32 v44, 3, v45
	s_mov_b32 s14, exec_lo
	v_cmpx_gt_u32_e32 8, v45
; %bb.647:                              ;   in Loop: Header=BB260_545 Depth=1
	s_delay_alu instid0(VALU_DEP_3) | instskip(NEXT) | instid1(VALU_DEP_1)
	v_clz_i32_u32_e32 v43, v43
	v_min_u32_e32 v45, 32, v43
	s_delay_alu instid0(VALU_DEP_1) | instskip(NEXT) | instid1(VALU_DEP_1)
	v_subrev_nc_u32_e32 v43, 28, v45
	v_lshlrev_b64_e32 v[43:44], v43, v[1:2]
	v_sub_nc_u32_e32 v44, 29, v45
	s_delay_alu instid0(VALU_DEP_2)
	v_and_b32_e32 v43, 7, v43
; %bb.648:                              ;   in Loop: Header=BB260_545 Depth=1
	s_wait_alu 0xfffe
	s_or_b32 exec_lo, exec_lo, s14
	v_lshlrev_b32_e32 v45, 8, v10
	v_lshl_add_u32 v44, v44, 10, 0x2000
	v_lshlrev_b32_e32 v43, 7, v43
	s_delay_alu instid0(VALU_DEP_3) | instskip(NEXT) | instid1(VALU_DEP_3)
	v_and_b32_e32 v45, 0x8000, v45
	v_and_b32_e32 v44, 0xfc00, v44
	s_delay_alu instid0(VALU_DEP_1)
	v_or3_b32 v43, v45, v44, v43
.LBB260_649:                            ;   in Loop: Header=BB260_545 Depth=1
	s_or_b32 exec_lo, exec_lo, s13
.LBB260_650:                            ;   in Loop: Header=BB260_545 Depth=1
	s_wait_alu 0xfffe
	s_or_b32 exec_lo, exec_lo, s7
.LBB260_651:                            ;   in Loop: Header=BB260_545 Depth=1
	s_wait_alu 0xfffe
	s_or_b32 exec_lo, exec_lo, s6
	v_lshrrev_b16 v1, 8, v1
	v_mov_b32_e32 v44, 0
	s_mov_b32 s6, exec_lo
	s_delay_alu instid0(VALU_DEP_2)
	v_cmpx_ne_u16_e32 0, v1
	s_cbranch_execz .LBB260_659
; %bb.652:                              ;   in Loop: Header=BB260_545 Depth=1
	v_bfrev_b32_e32 v44, 1
	s_mov_b32 s7, exec_lo
	v_cmpx_ne_u16_e32 0x80, v1
	s_cbranch_execz .LBB260_658
; %bb.653:                              ;   in Loop: Header=BB260_545 Depth=1
	v_and_b32_e32 v45, 0xffff, v1
	v_mov_b32_e32 v44, 0x7c010000
	s_mov_b32 s13, exec_lo
	s_delay_alu instid0(VALU_DEP_2) | instskip(NEXT) | instid1(VALU_DEP_1)
	v_and_b32_e32 v47, 0x7f, v45
	v_cmpx_ne_u32_e32 0x7f, v47
	s_cbranch_execz .LBB260_657
; %bb.654:                              ;   in Loop: Header=BB260_545 Depth=1
	v_and_b32_e32 v44, 7, v45
	v_lshrrev_b32_e32 v46, 3, v47
	s_mov_b32 s14, exec_lo
	v_cmpx_gt_u32_e32 8, v47
; %bb.655:                              ;   in Loop: Header=BB260_545 Depth=1
	s_delay_alu instid0(VALU_DEP_3) | instskip(NEXT) | instid1(VALU_DEP_1)
	v_clz_i32_u32_e32 v44, v44
	v_min_u32_e32 v44, 32, v44
	s_delay_alu instid0(VALU_DEP_1) | instskip(NEXT) | instid1(VALU_DEP_1)
	v_subrev_nc_u32_e32 v46, 28, v44
	v_lshlrev_b64_e32 v[47:48], v46, v[1:2]
	v_sub_nc_u32_e32 v46, 29, v44
	s_delay_alu instid0(VALU_DEP_2)
	v_and_b32_e32 v44, 7, v47
; %bb.656:                              ;   in Loop: Header=BB260_545 Depth=1
	s_wait_alu 0xfffe
	s_or_b32 exec_lo, exec_lo, s14
	v_lshlrev_b32_e32 v1, 8, v45
	v_lshl_add_u32 v45, v46, 10, 0x2000
	v_lshlrev_b32_e32 v44, 23, v44
	s_delay_alu instid0(VALU_DEP_2) | instskip(NEXT) | instid1(VALU_DEP_1)
	v_and_or_b32 v1, 0x8000, v1, v45
	v_lshl_or_b32 v44, v1, 16, v44
.LBB260_657:                            ;   in Loop: Header=BB260_545 Depth=1
	s_or_b32 exec_lo, exec_lo, s13
.LBB260_658:                            ;   in Loop: Header=BB260_545 Depth=1
	s_wait_alu 0xfffe
	s_or_b32 exec_lo, exec_lo, s7
.LBB260_659:                            ;   in Loop: Header=BB260_545 Depth=1
	s_wait_alu 0xfffe
	s_or_b32 exec_lo, exec_lo, s6
	v_lshrrev_b32_e32 v1, 16, v10
	s_mov_b32 s6, exec_lo
	s_delay_alu instid0(VALU_DEP_1) | instskip(NEXT) | instid1(VALU_DEP_1)
	v_and_b32_e32 v45, 0xff, v1
	v_cmpx_ne_u16_e32 0, v45
	s_cbranch_execz .LBB260_667
; %bb.660:                              ;   in Loop: Header=BB260_545 Depth=1
	v_mov_b32_e32 v42, 0x8000
	s_mov_b32 s7, exec_lo
	v_cmpx_ne_u16_e32 0x80, v45
	s_cbranch_execz .LBB260_666
; %bb.661:                              ;   in Loop: Header=BB260_545 Depth=1
	v_bfe_u32 v46, v10, 16, 7
	v_mov_b32_e32 v42, 0x7c01
	s_mov_b32 s13, exec_lo
	s_delay_alu instid0(VALU_DEP_2)
	v_cmpx_ne_u32_e32 0x7f, v46
	s_cbranch_execz .LBB260_665
; %bb.662:                              ;   in Loop: Header=BB260_545 Depth=1
	v_and_b32_e32 v42, 7, v1
	v_lshrrev_b32_e32 v45, 3, v46
	s_mov_b32 s14, exec_lo
	v_cmpx_gt_u32_e32 8, v46
; %bb.663:                              ;   in Loop: Header=BB260_545 Depth=1
	s_delay_alu instid0(VALU_DEP_3) | instskip(NEXT) | instid1(VALU_DEP_1)
	v_clz_i32_u32_e32 v42, v42
	v_min_u32_e32 v42, 32, v42
	s_delay_alu instid0(VALU_DEP_1) | instskip(NEXT) | instid1(VALU_DEP_1)
	v_subrev_nc_u32_e32 v45, 28, v42
	v_lshlrev_b64_e32 v[46:47], v45, v[1:2]
	v_sub_nc_u32_e32 v45, 29, v42
	s_delay_alu instid0(VALU_DEP_2)
	v_and_b32_e32 v42, 7, v46
; %bb.664:                              ;   in Loop: Header=BB260_545 Depth=1
	s_wait_alu 0xfffe
	s_or_b32 exec_lo, exec_lo, s14
	v_lshlrev_b32_e32 v1, 8, v1
	v_lshl_add_u32 v45, v45, 10, 0x2000
	v_lshlrev_b32_e32 v42, 7, v42
	s_delay_alu instid0(VALU_DEP_3) | instskip(NEXT) | instid1(VALU_DEP_3)
	v_and_b32_e32 v1, 0x8000, v1
	v_and_b32_e32 v45, 0xfc00, v45
	s_delay_alu instid0(VALU_DEP_1)
	v_or3_b32 v42, v1, v45, v42
.LBB260_665:                            ;   in Loop: Header=BB260_545 Depth=1
	s_or_b32 exec_lo, exec_lo, s13
.LBB260_666:                            ;   in Loop: Header=BB260_545 Depth=1
	s_wait_alu 0xfffe
	s_or_b32 exec_lo, exec_lo, s7
.LBB260_667:                            ;   in Loop: Header=BB260_545 Depth=1
	s_wait_alu 0xfffe
	s_or_b32 exec_lo, exec_lo, s6
	v_cmp_lt_u64_e64 s0, s[2:3], v[9:10]
	v_mov_b32_e32 v9, 0
	s_and_saveexec_b32 s6, s0
	s_cbranch_execz .LBB260_675
; %bb.668:                              ;   in Loop: Header=BB260_545 Depth=1
	v_lshrrev_b32_e32 v1, 24, v10
	v_bfrev_b32_e32 v9, 1
	s_mov_b32 s7, exec_lo
	s_delay_alu instid0(VALU_DEP_2)
	v_cmpx_ne_u32_e32 0x80, v1
	s_cbranch_execz .LBB260_674
; %bb.669:                              ;   in Loop: Header=BB260_545 Depth=1
	v_and_b32_e32 v45, 0x7f, v1
	v_mov_b32_e32 v9, 0x7c010000
	s_mov_b32 s13, exec_lo
	s_delay_alu instid0(VALU_DEP_2)
	v_cmpx_ne_u32_e32 0x7f, v45
	s_cbranch_execz .LBB260_673
; %bb.670:                              ;   in Loop: Header=BB260_545 Depth=1
	v_and_b32_e32 v9, 7, v1
	v_lshrrev_b32_e32 v10, 3, v45
	s_mov_b32 s14, exec_lo
	v_cmpx_gt_u32_e32 8, v45
; %bb.671:                              ;   in Loop: Header=BB260_545 Depth=1
	s_delay_alu instid0(VALU_DEP_3) | instskip(NEXT) | instid1(VALU_DEP_1)
	v_clz_i32_u32_e32 v9, v9
	v_min_u32_e32 v45, 32, v9
	s_delay_alu instid0(VALU_DEP_1) | instskip(NEXT) | instid1(VALU_DEP_1)
	v_subrev_nc_u32_e32 v9, 28, v45
	v_lshlrev_b64_e32 v[9:10], v9, v[1:2]
	v_sub_nc_u32_e32 v10, 29, v45
	s_delay_alu instid0(VALU_DEP_2)
	v_and_b32_e32 v9, 7, v9
; %bb.672:                              ;   in Loop: Header=BB260_545 Depth=1
	s_wait_alu 0xfffe
	s_or_b32 exec_lo, exec_lo, s14
	v_lshlrev_b32_e32 v1, 8, v1
	v_lshl_add_u32 v10, v10, 10, 0x2000
	v_lshlrev_b32_e32 v9, 23, v9
	s_delay_alu instid0(VALU_DEP_2) | instskip(NEXT) | instid1(VALU_DEP_1)
	v_and_or_b32 v1, 0x8000, v1, v10
	v_lshl_or_b32 v9, v1, 16, v9
.LBB260_673:                            ;   in Loop: Header=BB260_545 Depth=1
	s_or_b32 exec_lo, exec_lo, s13
.LBB260_674:                            ;   in Loop: Header=BB260_545 Depth=1
	s_wait_alu 0xfffe
	s_or_b32 exec_lo, exec_lo, s7
.LBB260_675:                            ;   in Loop: Header=BB260_545 Depth=1
	s_wait_alu 0xfffe
	s_or_b32 exec_lo, exec_lo, s6
	v_or_b32_e32 v1, v40, v41
	s_wait_loadcnt 0x0
	v_fma_mixlo_f16 v10, v37, v40, 0 op_sel:[0,1,0] op_sel_hi:[0,1,0]
	v_or_b32_e32 v40, v38, v39
	v_fma_mixlo_f16 v38, v37, v38, 0 op_sel:[0,1,0] op_sel_hi:[0,1,0]
	v_or_b32_e32 v41, v44, v43
	v_or_b32_e32 v42, v9, v42
	v_fma_mixlo_f16 v43, v37, v1, 0 op_sel_hi:[0,1,0]
	v_fma_mixlo_f16 v9, v37, v9, 0 op_sel:[0,1,0] op_sel_hi:[0,1,0]
	v_lshlrev_b32_e32 v39, 16, v38
	v_fma_mixlo_f16 v38, v37, v40, 0 op_sel_hi:[0,1,0]
	v_fma_mixlo_f16 v40, v37, v44, 0 op_sel:[0,1,0] op_sel_hi:[0,1,0]
	v_fma_mixlo_f16 v41, v37, v41, 0 op_sel_hi:[0,1,0]
	v_fma_mixlo_f16 v42, v37, v42, 0 op_sel_hi:[0,1,0]
	v_lshlrev_b32_e32 v1, 16, v10
	v_and_b32_e32 v10, 0xffff, v43
	v_and_b32_e32 v45, 0xffff, v38
	v_lshlrev_b32_e32 v37, 16, v40
	v_and_b32_e32 v41, 0xffff, v41
	v_lshlrev_b32_e32 v9, 16, v9
	v_and_b32_e32 v38, 0xffff, v42
	v_or_b32_e32 v40, v1, v10
	v_or_b32_e32 v44, v39, v45
	;; [unrolled: 1-line block ×3, first 2 shown]
	s_delay_alu instid0(VALU_DEP_4)
	v_or_b32_e32 v42, v9, v38
	s_and_saveexec_b32 s6, vcc_lo
	s_cbranch_execz .LBB260_677
; %bb.676:                              ;   in Loop: Header=BB260_545 Depth=1
	v_cmp_gt_i32_e64 s0, s17, v24
	s_wait_alu 0xf1ff
	s_delay_alu instid0(VALU_DEP_1) | instskip(SKIP_2) | instid1(VALU_DEP_1)
	v_cndmask_b32_e64 v40, 0, v45, s0
	v_cmp_gt_i32_e64 s0, s17, v30
	s_wait_alu 0xf1ff
	v_cndmask_b32_e64 v39, 0, v39, s0
	v_cmp_gt_i32_e64 s0, s17, v29
	s_delay_alu instid0(VALU_DEP_2) | instskip(SKIP_1) | instid1(VALU_DEP_2)
	v_or_b32_e32 v44, v39, v40
	s_wait_alu 0xf1ff
	v_cndmask_b32_e64 v10, 0, v10, s0
	v_cmp_gt_i32_e64 s0, s17, v28
	s_wait_alu 0xf1ff
	s_delay_alu instid0(VALU_DEP_1) | instskip(SKIP_1) | instid1(VALU_DEP_2)
	v_cndmask_b32_e64 v1, 0, v1, s0
	v_cmp_gt_i32_e64 s0, s17, v27
	v_or_b32_e32 v40, v1, v10
	s_wait_alu 0xf1ff
	s_delay_alu instid0(VALU_DEP_2) | instskip(SKIP_2) | instid1(VALU_DEP_1)
	v_cndmask_b32_e64 v41, 0, v41, s0
	v_cmp_gt_i32_e64 s0, s17, v26
	s_wait_alu 0xf1ff
	v_cndmask_b32_e64 v37, 0, v37, s0
	v_cmp_gt_i32_e64 s0, s17, v25
	s_delay_alu instid0(VALU_DEP_2) | instskip(SKIP_1) | instid1(VALU_DEP_2)
	v_or_b32_e32 v43, v37, v41
	s_wait_alu 0xf1ff
	v_cndmask_b32_e64 v38, 0, v38, s0
	v_cmp_gt_i32_e64 s0, s17, v22
	s_wait_alu 0xf1ff
	s_delay_alu instid0(VALU_DEP_1) | instskip(NEXT) | instid1(VALU_DEP_1)
	v_cndmask_b32_e64 v9, 0, v9, s0
	v_or_b32_e32 v42, v9, v38
.LBB260_677:                            ;   in Loop: Header=BB260_545 Depth=1
	s_wait_alu 0xfffe
	s_or_b32 exec_lo, exec_lo, s6
	;;#ASMSTART
	v_pk_mul_f16 v1, v35, v44;

	;;#ASMEND
	;;#ASMSTART
	v_pk_mul_f16 v9, v33, v40;

	;;#ASMEND
	;; [unrolled: 4-line block ×4, first 2 shown]
	;;#ASMSTART
	v_pk_add_f16 v1, v1, v9;

	;;#ASMEND
	;;#ASMSTART
	v_pk_add_f16 v1, v1, v10;

	;;#ASMEND
	;; [unrolled: 4-line block ×3, first 2 shown]
	v_dual_mov_b32 v40, 0 :: v_dual_and_b32 v9, 0xffff, v1
	v_lshrrev_b32_e32 v1, 16, v1
	;;#ASMSTART
	v_cvt_f32_f16 v37, v9;
	;;#ASMEND
	;;#ASMSTART
	v_cvt_f32_f16 v38, v1;
	;;#ASMEND
	global_load_b64 v[9:10], v[7:8], off offset:512
	global_load_b32 v39, v40, s[10:11]
	v_mov_b32_e32 v41, 0
	s_mov_b32 s6, exec_lo
	s_wait_loadcnt 0x1
	v_and_b32_e32 v1, 0xff, v9
	s_delay_alu instid0(VALU_DEP_1)
	v_cmpx_ne_u16_e32 0, v1
	s_cbranch_execz .LBB260_685
; %bb.678:                              ;   in Loop: Header=BB260_545 Depth=1
	v_mov_b32_e32 v41, 0x8000
	s_mov_b32 s7, exec_lo
	v_cmpx_ne_u16_e32 0x80, v1
	s_cbranch_execz .LBB260_684
; %bb.679:                              ;   in Loop: Header=BB260_545 Depth=1
	v_and_b32_e32 v42, 0x7f, v9
	v_mov_b32_e32 v41, 0x7c01
	s_mov_b32 s13, exec_lo
	s_delay_alu instid0(VALU_DEP_2)
	v_cmpx_ne_u32_e32 0x7f, v42
	s_cbranch_execz .LBB260_683
; %bb.680:                              ;   in Loop: Header=BB260_545 Depth=1
	v_and_b32_e32 v1, 7, v9
	v_lshrrev_b32_e32 v41, 3, v42
	s_mov_b32 s14, exec_lo
	v_cmpx_gt_u32_e32 8, v42
; %bb.681:                              ;   in Loop: Header=BB260_545 Depth=1
	s_delay_alu instid0(VALU_DEP_3) | instskip(NEXT) | instid1(VALU_DEP_1)
	v_clz_i32_u32_e32 v1, v1
	v_min_u32_e32 v1, 32, v1
	s_delay_alu instid0(VALU_DEP_1) | instskip(NEXT) | instid1(VALU_DEP_1)
	v_subrev_nc_u32_e32 v41, 28, v1
	v_lshlrev_b64_e32 v[42:43], v41, v[9:10]
	v_sub_nc_u32_e32 v41, 29, v1
	s_delay_alu instid0(VALU_DEP_2)
	v_and_b32_e32 v1, 7, v42
; %bb.682:                              ;   in Loop: Header=BB260_545 Depth=1
	s_wait_alu 0xfffe
	s_or_b32 exec_lo, exec_lo, s14
	v_lshlrev_b32_e32 v42, 8, v9
	v_lshl_add_u32 v41, v41, 10, 0x2000
	v_lshlrev_b32_e32 v1, 7, v1
	s_delay_alu instid0(VALU_DEP_3) | instskip(NEXT) | instid1(VALU_DEP_3)
	v_and_b32_e32 v42, 0x8000, v42
	v_and_b32_e32 v41, 0xfc00, v41
	s_delay_alu instid0(VALU_DEP_1)
	v_or3_b32 v41, v42, v41, v1
.LBB260_683:                            ;   in Loop: Header=BB260_545 Depth=1
	s_or_b32 exec_lo, exec_lo, s13
.LBB260_684:                            ;   in Loop: Header=BB260_545 Depth=1
	s_wait_alu 0xfffe
	s_or_b32 exec_lo, exec_lo, s7
.LBB260_685:                            ;   in Loop: Header=BB260_545 Depth=1
	s_wait_alu 0xfffe
	s_or_b32 exec_lo, exec_lo, s6
	v_lshrrev_b16 v1, 8, v9
	s_mov_b32 s6, exec_lo
	s_delay_alu instid0(VALU_DEP_1)
	v_cmpx_ne_u16_e32 0, v1
	s_cbranch_execz .LBB260_693
; %bb.686:                              ;   in Loop: Header=BB260_545 Depth=1
	v_bfrev_b32_e32 v40, 1
	s_mov_b32 s7, exec_lo
	v_cmpx_ne_u16_e32 0x80, v1
	s_cbranch_execz .LBB260_692
; %bb.687:                              ;   in Loop: Header=BB260_545 Depth=1
	v_and_b32_e32 v42, 0xffff, v1
	v_mov_b32_e32 v40, 0x7c010000
	s_mov_b32 s13, exec_lo
	s_delay_alu instid0(VALU_DEP_2) | instskip(NEXT) | instid1(VALU_DEP_1)
	v_and_b32_e32 v44, 0x7f, v42
	v_cmpx_ne_u32_e32 0x7f, v44
	s_cbranch_execz .LBB260_691
; %bb.688:                              ;   in Loop: Header=BB260_545 Depth=1
	v_and_b32_e32 v40, 7, v42
	v_lshrrev_b32_e32 v43, 3, v44
	s_mov_b32 s14, exec_lo
	v_cmpx_gt_u32_e32 8, v44
; %bb.689:                              ;   in Loop: Header=BB260_545 Depth=1
	s_delay_alu instid0(VALU_DEP_3) | instskip(NEXT) | instid1(VALU_DEP_1)
	v_clz_i32_u32_e32 v40, v40
	v_min_u32_e32 v40, 32, v40
	s_delay_alu instid0(VALU_DEP_1) | instskip(NEXT) | instid1(VALU_DEP_1)
	v_subrev_nc_u32_e32 v43, 28, v40
	v_lshlrev_b64_e32 v[44:45], v43, v[1:2]
	v_sub_nc_u32_e32 v43, 29, v40
	s_delay_alu instid0(VALU_DEP_2)
	v_and_b32_e32 v40, 7, v44
; %bb.690:                              ;   in Loop: Header=BB260_545 Depth=1
	s_wait_alu 0xfffe
	s_or_b32 exec_lo, exec_lo, s14
	v_lshlrev_b32_e32 v1, 8, v42
	v_lshl_add_u32 v42, v43, 10, 0x2000
	v_lshlrev_b32_e32 v40, 23, v40
	s_delay_alu instid0(VALU_DEP_2) | instskip(NEXT) | instid1(VALU_DEP_1)
	v_and_or_b32 v1, 0x8000, v1, v42
	v_lshl_or_b32 v40, v1, 16, v40
.LBB260_691:                            ;   in Loop: Header=BB260_545 Depth=1
	s_or_b32 exec_lo, exec_lo, s13
.LBB260_692:                            ;   in Loop: Header=BB260_545 Depth=1
	s_wait_alu 0xfffe
	s_or_b32 exec_lo, exec_lo, s7
.LBB260_693:                            ;   in Loop: Header=BB260_545 Depth=1
	s_wait_alu 0xfffe
	s_or_b32 exec_lo, exec_lo, s6
	v_lshrrev_b32_e32 v1, 16, v9
	v_mov_b32_e32 v42, 0
	s_mov_b32 s6, exec_lo
	s_delay_alu instid0(VALU_DEP_2) | instskip(NEXT) | instid1(VALU_DEP_1)
	v_dual_mov_b32 v43, 0 :: v_dual_and_b32 v44, 0xff, v1
	v_cmpx_ne_u16_e32 0, v44
	s_cbranch_execz .LBB260_701
; %bb.694:                              ;   in Loop: Header=BB260_545 Depth=1
	v_mov_b32_e32 v43, 0x8000
	s_mov_b32 s7, exec_lo
	v_cmpx_ne_u16_e32 0x80, v44
	s_cbranch_execz .LBB260_700
; %bb.695:                              ;   in Loop: Header=BB260_545 Depth=1
	v_bfe_u32 v45, v9, 16, 7
	v_mov_b32_e32 v43, 0x7c01
	s_mov_b32 s13, exec_lo
	s_delay_alu instid0(VALU_DEP_2)
	v_cmpx_ne_u32_e32 0x7f, v45
	s_cbranch_execz .LBB260_699
; %bb.696:                              ;   in Loop: Header=BB260_545 Depth=1
	v_and_b32_e32 v43, 7, v1
	v_lshrrev_b32_e32 v44, 3, v45
	s_mov_b32 s14, exec_lo
	v_cmpx_gt_u32_e32 8, v45
; %bb.697:                              ;   in Loop: Header=BB260_545 Depth=1
	s_delay_alu instid0(VALU_DEP_3) | instskip(NEXT) | instid1(VALU_DEP_1)
	v_clz_i32_u32_e32 v43, v43
	v_min_u32_e32 v45, 32, v43
	s_delay_alu instid0(VALU_DEP_1) | instskip(NEXT) | instid1(VALU_DEP_1)
	v_subrev_nc_u32_e32 v43, 28, v45
	v_lshlrev_b64_e32 v[43:44], v43, v[1:2]
	v_sub_nc_u32_e32 v44, 29, v45
	s_delay_alu instid0(VALU_DEP_2)
	v_and_b32_e32 v43, 7, v43
; %bb.698:                              ;   in Loop: Header=BB260_545 Depth=1
	s_wait_alu 0xfffe
	s_or_b32 exec_lo, exec_lo, s14
	v_lshlrev_b32_e32 v1, 8, v1
	v_lshl_add_u32 v44, v44, 10, 0x2000
	v_lshlrev_b32_e32 v43, 7, v43
	s_delay_alu instid0(VALU_DEP_3) | instskip(NEXT) | instid1(VALU_DEP_3)
	v_and_b32_e32 v1, 0x8000, v1
	v_and_b32_e32 v44, 0xfc00, v44
	s_delay_alu instid0(VALU_DEP_1)
	v_or3_b32 v43, v1, v44, v43
.LBB260_699:                            ;   in Loop: Header=BB260_545 Depth=1
	s_or_b32 exec_lo, exec_lo, s13
.LBB260_700:                            ;   in Loop: Header=BB260_545 Depth=1
	s_wait_alu 0xfffe
	s_or_b32 exec_lo, exec_lo, s7
.LBB260_701:                            ;   in Loop: Header=BB260_545 Depth=1
	s_wait_alu 0xfffe
	s_or_b32 exec_lo, exec_lo, s6
	s_delay_alu instid0(SALU_CYCLE_1)
	s_mov_b32 s6, exec_lo
	v_cmpx_lt_u32_e32 0xffffff, v9
	s_cbranch_execz .LBB260_709
; %bb.702:                              ;   in Loop: Header=BB260_545 Depth=1
	v_lshrrev_b32_e32 v1, 24, v9
	v_bfrev_b32_e32 v42, 1
	s_mov_b32 s7, exec_lo
	s_delay_alu instid0(VALU_DEP_2)
	v_cmpx_ne_u32_e32 0x80, v1
	s_cbranch_execz .LBB260_708
; %bb.703:                              ;   in Loop: Header=BB260_545 Depth=1
	v_and_b32_e32 v45, 0x7f, v1
	v_mov_b32_e32 v42, 0x7c010000
	s_mov_b32 s13, exec_lo
	s_delay_alu instid0(VALU_DEP_2)
	v_cmpx_ne_u32_e32 0x7f, v45
	s_cbranch_execz .LBB260_707
; %bb.704:                              ;   in Loop: Header=BB260_545 Depth=1
	v_and_b32_e32 v42, 7, v1
	v_lshrrev_b32_e32 v44, 3, v45
	s_mov_b32 s14, exec_lo
	v_cmpx_gt_u32_e32 8, v45
; %bb.705:                              ;   in Loop: Header=BB260_545 Depth=1
	s_delay_alu instid0(VALU_DEP_3) | instskip(NEXT) | instid1(VALU_DEP_1)
	v_clz_i32_u32_e32 v42, v42
	v_min_u32_e32 v42, 32, v42
	s_delay_alu instid0(VALU_DEP_1) | instskip(NEXT) | instid1(VALU_DEP_1)
	v_subrev_nc_u32_e32 v44, 28, v42
	v_lshlrev_b64_e32 v[45:46], v44, v[1:2]
	v_sub_nc_u32_e32 v44, 29, v42
	s_delay_alu instid0(VALU_DEP_2)
	v_and_b32_e32 v42, 7, v45
; %bb.706:                              ;   in Loop: Header=BB260_545 Depth=1
	s_wait_alu 0xfffe
	s_or_b32 exec_lo, exec_lo, s14
	v_lshlrev_b32_e32 v1, 8, v1
	v_lshl_add_u32 v44, v44, 10, 0x2000
	v_lshlrev_b32_e32 v42, 23, v42
	s_delay_alu instid0(VALU_DEP_2) | instskip(NEXT) | instid1(VALU_DEP_1)
	v_and_or_b32 v1, 0x8000, v1, v44
	v_lshl_or_b32 v42, v1, 16, v42
.LBB260_707:                            ;   in Loop: Header=BB260_545 Depth=1
	s_or_b32 exec_lo, exec_lo, s13
.LBB260_708:                            ;   in Loop: Header=BB260_545 Depth=1
	s_wait_alu 0xfffe
	s_or_b32 exec_lo, exec_lo, s7
.LBB260_709:                            ;   in Loop: Header=BB260_545 Depth=1
	s_wait_alu 0xfffe
	s_or_b32 exec_lo, exec_lo, s6
	v_dual_mov_b32 v1, v10 :: v_dual_and_b32 v46, 0xff, v10
	v_dual_mov_b32 v44, 0 :: v_dual_mov_b32 v45, 0
	s_mov_b32 s6, exec_lo
	s_delay_alu instid0(VALU_DEP_2)
	v_cmpx_ne_u16_e32 0, v46
	s_cbranch_execz .LBB260_717
; %bb.710:                              ;   in Loop: Header=BB260_545 Depth=1
	v_mov_b32_e32 v45, 0x8000
	s_mov_b32 s7, exec_lo
	v_cmpx_ne_u16_e32 0x80, v46
	s_cbranch_execz .LBB260_716
; %bb.711:                              ;   in Loop: Header=BB260_545 Depth=1
	v_and_b32_e32 v47, 0x7f, v10
	v_mov_b32_e32 v45, 0x7c01
	s_mov_b32 s13, exec_lo
	s_delay_alu instid0(VALU_DEP_2)
	v_cmpx_ne_u32_e32 0x7f, v47
	s_cbranch_execz .LBB260_715
; %bb.712:                              ;   in Loop: Header=BB260_545 Depth=1
	v_and_b32_e32 v45, 7, v10
	v_lshrrev_b32_e32 v46, 3, v47
	s_mov_b32 s14, exec_lo
	v_cmpx_gt_u32_e32 8, v47
; %bb.713:                              ;   in Loop: Header=BB260_545 Depth=1
	s_delay_alu instid0(VALU_DEP_3) | instskip(NEXT) | instid1(VALU_DEP_1)
	v_clz_i32_u32_e32 v45, v45
	v_min_u32_e32 v47, 32, v45
	s_delay_alu instid0(VALU_DEP_1) | instskip(NEXT) | instid1(VALU_DEP_1)
	v_subrev_nc_u32_e32 v45, 28, v47
	v_lshlrev_b64_e32 v[45:46], v45, v[1:2]
	v_sub_nc_u32_e32 v46, 29, v47
	s_delay_alu instid0(VALU_DEP_2)
	v_and_b32_e32 v45, 7, v45
; %bb.714:                              ;   in Loop: Header=BB260_545 Depth=1
	s_wait_alu 0xfffe
	s_or_b32 exec_lo, exec_lo, s14
	v_lshlrev_b32_e32 v47, 8, v10
	v_lshl_add_u32 v46, v46, 10, 0x2000
	v_lshlrev_b32_e32 v45, 7, v45
	s_delay_alu instid0(VALU_DEP_3) | instskip(NEXT) | instid1(VALU_DEP_3)
	v_and_b32_e32 v47, 0x8000, v47
	v_and_b32_e32 v46, 0xfc00, v46
	s_delay_alu instid0(VALU_DEP_1)
	v_or3_b32 v45, v47, v46, v45
.LBB260_715:                            ;   in Loop: Header=BB260_545 Depth=1
	s_or_b32 exec_lo, exec_lo, s13
.LBB260_716:                            ;   in Loop: Header=BB260_545 Depth=1
	s_wait_alu 0xfffe
	s_or_b32 exec_lo, exec_lo, s7
.LBB260_717:                            ;   in Loop: Header=BB260_545 Depth=1
	s_wait_alu 0xfffe
	s_or_b32 exec_lo, exec_lo, s6
	v_lshrrev_b16 v1, 8, v1
	v_mov_b32_e32 v46, 0
	s_mov_b32 s6, exec_lo
	s_delay_alu instid0(VALU_DEP_2)
	v_cmpx_ne_u16_e32 0, v1
	s_cbranch_execz .LBB260_725
; %bb.718:                              ;   in Loop: Header=BB260_545 Depth=1
	v_bfrev_b32_e32 v46, 1
	s_mov_b32 s7, exec_lo
	v_cmpx_ne_u16_e32 0x80, v1
	s_cbranch_execz .LBB260_724
; %bb.719:                              ;   in Loop: Header=BB260_545 Depth=1
	v_and_b32_e32 v47, 0xffff, v1
	v_mov_b32_e32 v46, 0x7c010000
	s_mov_b32 s13, exec_lo
	s_delay_alu instid0(VALU_DEP_2) | instskip(NEXT) | instid1(VALU_DEP_1)
	v_and_b32_e32 v49, 0x7f, v47
	v_cmpx_ne_u32_e32 0x7f, v49
	s_cbranch_execz .LBB260_723
; %bb.720:                              ;   in Loop: Header=BB260_545 Depth=1
	v_and_b32_e32 v46, 7, v47
	v_lshrrev_b32_e32 v48, 3, v49
	s_mov_b32 s14, exec_lo
	v_cmpx_gt_u32_e32 8, v49
; %bb.721:                              ;   in Loop: Header=BB260_545 Depth=1
	s_delay_alu instid0(VALU_DEP_3) | instskip(NEXT) | instid1(VALU_DEP_1)
	v_clz_i32_u32_e32 v46, v46
	v_min_u32_e32 v46, 32, v46
	s_delay_alu instid0(VALU_DEP_1) | instskip(NEXT) | instid1(VALU_DEP_1)
	v_subrev_nc_u32_e32 v48, 28, v46
	v_lshlrev_b64_e32 v[49:50], v48, v[1:2]
	v_sub_nc_u32_e32 v48, 29, v46
	s_delay_alu instid0(VALU_DEP_2)
	v_and_b32_e32 v46, 7, v49
; %bb.722:                              ;   in Loop: Header=BB260_545 Depth=1
	s_wait_alu 0xfffe
	s_or_b32 exec_lo, exec_lo, s14
	v_lshlrev_b32_e32 v1, 8, v47
	v_lshl_add_u32 v47, v48, 10, 0x2000
	v_lshlrev_b32_e32 v46, 23, v46
	s_delay_alu instid0(VALU_DEP_2) | instskip(NEXT) | instid1(VALU_DEP_1)
	v_and_or_b32 v1, 0x8000, v1, v47
	v_lshl_or_b32 v46, v1, 16, v46
.LBB260_723:                            ;   in Loop: Header=BB260_545 Depth=1
	s_or_b32 exec_lo, exec_lo, s13
.LBB260_724:                            ;   in Loop: Header=BB260_545 Depth=1
	s_wait_alu 0xfffe
	s_or_b32 exec_lo, exec_lo, s7
.LBB260_725:                            ;   in Loop: Header=BB260_545 Depth=1
	s_wait_alu 0xfffe
	s_or_b32 exec_lo, exec_lo, s6
	v_lshrrev_b32_e32 v1, 16, v10
	s_mov_b32 s6, exec_lo
	s_delay_alu instid0(VALU_DEP_1) | instskip(NEXT) | instid1(VALU_DEP_1)
	v_and_b32_e32 v47, 0xff, v1
	v_cmpx_ne_u16_e32 0, v47
	s_cbranch_execz .LBB260_733
; %bb.726:                              ;   in Loop: Header=BB260_545 Depth=1
	v_mov_b32_e32 v44, 0x8000
	s_mov_b32 s7, exec_lo
	v_cmpx_ne_u16_e32 0x80, v47
	s_cbranch_execz .LBB260_732
; %bb.727:                              ;   in Loop: Header=BB260_545 Depth=1
	v_bfe_u32 v48, v10, 16, 7
	v_mov_b32_e32 v44, 0x7c01
	s_mov_b32 s13, exec_lo
	s_delay_alu instid0(VALU_DEP_2)
	v_cmpx_ne_u32_e32 0x7f, v48
	s_cbranch_execz .LBB260_731
; %bb.728:                              ;   in Loop: Header=BB260_545 Depth=1
	v_and_b32_e32 v44, 7, v1
	v_lshrrev_b32_e32 v47, 3, v48
	s_mov_b32 s14, exec_lo
	v_cmpx_gt_u32_e32 8, v48
; %bb.729:                              ;   in Loop: Header=BB260_545 Depth=1
	s_delay_alu instid0(VALU_DEP_3) | instskip(NEXT) | instid1(VALU_DEP_1)
	v_clz_i32_u32_e32 v44, v44
	v_min_u32_e32 v44, 32, v44
	s_delay_alu instid0(VALU_DEP_1) | instskip(NEXT) | instid1(VALU_DEP_1)
	v_subrev_nc_u32_e32 v47, 28, v44
	v_lshlrev_b64_e32 v[48:49], v47, v[1:2]
	v_sub_nc_u32_e32 v47, 29, v44
	s_delay_alu instid0(VALU_DEP_2)
	v_and_b32_e32 v44, 7, v48
; %bb.730:                              ;   in Loop: Header=BB260_545 Depth=1
	s_wait_alu 0xfffe
	s_or_b32 exec_lo, exec_lo, s14
	v_lshlrev_b32_e32 v1, 8, v1
	v_lshl_add_u32 v47, v47, 10, 0x2000
	v_lshlrev_b32_e32 v44, 7, v44
	s_delay_alu instid0(VALU_DEP_3) | instskip(NEXT) | instid1(VALU_DEP_3)
	v_and_b32_e32 v1, 0x8000, v1
	v_and_b32_e32 v47, 0xfc00, v47
	s_delay_alu instid0(VALU_DEP_1)
	v_or3_b32 v44, v1, v47, v44
.LBB260_731:                            ;   in Loop: Header=BB260_545 Depth=1
	s_or_b32 exec_lo, exec_lo, s13
.LBB260_732:                            ;   in Loop: Header=BB260_545 Depth=1
	s_wait_alu 0xfffe
	s_or_b32 exec_lo, exec_lo, s7
.LBB260_733:                            ;   in Loop: Header=BB260_545 Depth=1
	s_wait_alu 0xfffe
	s_or_b32 exec_lo, exec_lo, s6
	v_cmp_lt_u64_e64 s0, s[2:3], v[9:10]
	v_mov_b32_e32 v9, 0
	s_and_saveexec_b32 s6, s0
	s_cbranch_execz .LBB260_741
; %bb.734:                              ;   in Loop: Header=BB260_545 Depth=1
	v_lshrrev_b32_e32 v1, 24, v10
	v_bfrev_b32_e32 v9, 1
	s_mov_b32 s7, exec_lo
	s_delay_alu instid0(VALU_DEP_2)
	v_cmpx_ne_u32_e32 0x80, v1
	s_cbranch_execz .LBB260_740
; %bb.735:                              ;   in Loop: Header=BB260_545 Depth=1
	v_and_b32_e32 v47, 0x7f, v1
	v_mov_b32_e32 v9, 0x7c010000
	s_mov_b32 s13, exec_lo
	s_delay_alu instid0(VALU_DEP_2)
	v_cmpx_ne_u32_e32 0x7f, v47
	s_cbranch_execz .LBB260_739
; %bb.736:                              ;   in Loop: Header=BB260_545 Depth=1
	v_and_b32_e32 v9, 7, v1
	v_lshrrev_b32_e32 v10, 3, v47
	s_mov_b32 s14, exec_lo
	v_cmpx_gt_u32_e32 8, v47
; %bb.737:                              ;   in Loop: Header=BB260_545 Depth=1
	s_delay_alu instid0(VALU_DEP_3) | instskip(NEXT) | instid1(VALU_DEP_1)
	v_clz_i32_u32_e32 v9, v9
	v_min_u32_e32 v47, 32, v9
	s_delay_alu instid0(VALU_DEP_1) | instskip(NEXT) | instid1(VALU_DEP_1)
	v_subrev_nc_u32_e32 v9, 28, v47
	v_lshlrev_b64_e32 v[9:10], v9, v[1:2]
	v_sub_nc_u32_e32 v10, 29, v47
	s_delay_alu instid0(VALU_DEP_2)
	v_and_b32_e32 v9, 7, v9
; %bb.738:                              ;   in Loop: Header=BB260_545 Depth=1
	s_wait_alu 0xfffe
	s_or_b32 exec_lo, exec_lo, s14
	v_lshlrev_b32_e32 v1, 8, v1
	v_lshl_add_u32 v10, v10, 10, 0x2000
	v_lshlrev_b32_e32 v9, 23, v9
	s_delay_alu instid0(VALU_DEP_2) | instskip(NEXT) | instid1(VALU_DEP_1)
	v_and_or_b32 v1, 0x8000, v1, v10
	v_lshl_or_b32 v9, v1, 16, v9
.LBB260_739:                            ;   in Loop: Header=BB260_545 Depth=1
	s_or_b32 exec_lo, exec_lo, s13
.LBB260_740:                            ;   in Loop: Header=BB260_545 Depth=1
	s_wait_alu 0xfffe
	s_or_b32 exec_lo, exec_lo, s7
.LBB260_741:                            ;   in Loop: Header=BB260_545 Depth=1
	s_wait_alu 0xfffe
	s_or_b32 exec_lo, exec_lo, s6
	v_or_b32_e32 v1, v42, v43
	s_wait_loadcnt 0x0
	v_fma_mixlo_f16 v10, v39, v42, 0 op_sel:[0,1,0] op_sel_hi:[0,1,0]
	v_or_b32_e32 v42, v40, v41
	v_fma_mixlo_f16 v40, v39, v40, 0 op_sel:[0,1,0] op_sel_hi:[0,1,0]
	v_or_b32_e32 v43, v46, v45
	v_or_b32_e32 v44, v9, v44
	v_fma_mixlo_f16 v45, v39, v1, 0 op_sel_hi:[0,1,0]
	v_fma_mixlo_f16 v9, v39, v9, 0 op_sel:[0,1,0] op_sel_hi:[0,1,0]
	v_lshlrev_b32_e32 v41, 16, v40
	v_fma_mixlo_f16 v40, v39, v42, 0 op_sel_hi:[0,1,0]
	v_fma_mixlo_f16 v42, v39, v46, 0 op_sel:[0,1,0] op_sel_hi:[0,1,0]
	v_fma_mixlo_f16 v43, v39, v43, 0 op_sel_hi:[0,1,0]
	v_fma_mixlo_f16 v44, v39, v44, 0 op_sel_hi:[0,1,0]
	v_lshlrev_b32_e32 v1, 16, v10
	v_and_b32_e32 v10, 0xffff, v45
	v_and_b32_e32 v47, 0xffff, v40
	v_lshlrev_b32_e32 v39, 16, v42
	v_and_b32_e32 v43, 0xffff, v43
	v_lshlrev_b32_e32 v9, 16, v9
	v_and_b32_e32 v40, 0xffff, v44
	v_or_b32_e32 v42, v1, v10
	v_or_b32_e32 v46, v41, v47
	;; [unrolled: 1-line block ×3, first 2 shown]
	s_delay_alu instid0(VALU_DEP_4)
	v_or_b32_e32 v44, v9, v40
	s_and_saveexec_b32 s6, vcc_lo
	s_cbranch_execz .LBB260_743
; %bb.742:                              ;   in Loop: Header=BB260_545 Depth=1
	v_cmp_gt_i32_e64 s0, s17, v24
	s_wait_alu 0xf1ff
	s_delay_alu instid0(VALU_DEP_1) | instskip(SKIP_2) | instid1(VALU_DEP_1)
	v_cndmask_b32_e64 v42, 0, v47, s0
	v_cmp_gt_i32_e64 s0, s17, v30
	s_wait_alu 0xf1ff
	v_cndmask_b32_e64 v41, 0, v41, s0
	v_cmp_gt_i32_e64 s0, s17, v29
	s_delay_alu instid0(VALU_DEP_2) | instskip(SKIP_1) | instid1(VALU_DEP_2)
	v_or_b32_e32 v46, v41, v42
	s_wait_alu 0xf1ff
	v_cndmask_b32_e64 v10, 0, v10, s0
	v_cmp_gt_i32_e64 s0, s17, v28
	s_wait_alu 0xf1ff
	s_delay_alu instid0(VALU_DEP_1) | instskip(SKIP_1) | instid1(VALU_DEP_2)
	v_cndmask_b32_e64 v1, 0, v1, s0
	v_cmp_gt_i32_e64 s0, s17, v27
	v_or_b32_e32 v42, v1, v10
	s_wait_alu 0xf1ff
	s_delay_alu instid0(VALU_DEP_2) | instskip(SKIP_2) | instid1(VALU_DEP_1)
	v_cndmask_b32_e64 v43, 0, v43, s0
	v_cmp_gt_i32_e64 s0, s17, v26
	s_wait_alu 0xf1ff
	v_cndmask_b32_e64 v39, 0, v39, s0
	v_cmp_gt_i32_e64 s0, s17, v25
	s_delay_alu instid0(VALU_DEP_2) | instskip(SKIP_1) | instid1(VALU_DEP_2)
	v_or_b32_e32 v45, v39, v43
	s_wait_alu 0xf1ff
	v_cndmask_b32_e64 v40, 0, v40, s0
	v_cmp_gt_i32_e64 s0, s17, v22
	s_wait_alu 0xf1ff
	s_delay_alu instid0(VALU_DEP_1) | instskip(NEXT) | instid1(VALU_DEP_1)
	v_cndmask_b32_e64 v9, 0, v9, s0
	v_or_b32_e32 v44, v9, v40
.LBB260_743:                            ;   in Loop: Header=BB260_545 Depth=1
	s_wait_alu 0xfffe
	s_or_b32 exec_lo, exec_lo, s6
	;;#ASMSTART
	v_pk_mul_f16 v1, v35, v46;

	;;#ASMEND
	;;#ASMSTART
	v_pk_mul_f16 v9, v33, v42;

	;;#ASMEND
	;; [unrolled: 4-line block ×4, first 2 shown]
	;;#ASMSTART
	v_pk_add_f16 v1, v1, v9;

	;;#ASMEND
	;;#ASMSTART
	v_pk_add_f16 v1, v1, v10;

	;;#ASMEND
	;; [unrolled: 4-line block ×3, first 2 shown]
	v_dual_mov_b32 v42, 0 :: v_dual_and_b32 v9, 0xffff, v1
	v_lshrrev_b32_e32 v1, 16, v1
	;;#ASMSTART
	v_cvt_f32_f16 v39, v9;
	;;#ASMEND
	;;#ASMSTART
	v_cvt_f32_f16 v40, v1;
	;;#ASMEND
	global_load_b64 v[9:10], v[7:8], off offset:768
	global_load_b32 v41, v42, s[10:11]
	v_mov_b32_e32 v43, 0
	s_mov_b32 s6, exec_lo
	s_wait_loadcnt 0x1
	v_and_b32_e32 v1, 0xff, v9
	s_delay_alu instid0(VALU_DEP_1)
	v_cmpx_ne_u16_e32 0, v1
	s_cbranch_execz .LBB260_751
; %bb.744:                              ;   in Loop: Header=BB260_545 Depth=1
	v_mov_b32_e32 v43, 0x8000
	s_mov_b32 s7, exec_lo
	v_cmpx_ne_u16_e32 0x80, v1
	s_cbranch_execz .LBB260_750
; %bb.745:                              ;   in Loop: Header=BB260_545 Depth=1
	v_and_b32_e32 v44, 0x7f, v9
	v_mov_b32_e32 v43, 0x7c01
	s_mov_b32 s13, exec_lo
	s_delay_alu instid0(VALU_DEP_2)
	v_cmpx_ne_u32_e32 0x7f, v44
	s_cbranch_execz .LBB260_749
; %bb.746:                              ;   in Loop: Header=BB260_545 Depth=1
	v_and_b32_e32 v1, 7, v9
	v_lshrrev_b32_e32 v43, 3, v44
	s_mov_b32 s14, exec_lo
	v_cmpx_gt_u32_e32 8, v44
; %bb.747:                              ;   in Loop: Header=BB260_545 Depth=1
	s_delay_alu instid0(VALU_DEP_3) | instskip(NEXT) | instid1(VALU_DEP_1)
	v_clz_i32_u32_e32 v1, v1
	v_min_u32_e32 v1, 32, v1
	s_delay_alu instid0(VALU_DEP_1) | instskip(NEXT) | instid1(VALU_DEP_1)
	v_subrev_nc_u32_e32 v43, 28, v1
	v_lshlrev_b64_e32 v[44:45], v43, v[9:10]
	v_sub_nc_u32_e32 v43, 29, v1
	s_delay_alu instid0(VALU_DEP_2)
	v_and_b32_e32 v1, 7, v44
; %bb.748:                              ;   in Loop: Header=BB260_545 Depth=1
	s_wait_alu 0xfffe
	s_or_b32 exec_lo, exec_lo, s14
	v_lshlrev_b32_e32 v44, 8, v9
	v_lshl_add_u32 v43, v43, 10, 0x2000
	v_lshlrev_b32_e32 v1, 7, v1
	s_delay_alu instid0(VALU_DEP_3) | instskip(NEXT) | instid1(VALU_DEP_3)
	v_and_b32_e32 v44, 0x8000, v44
	v_and_b32_e32 v43, 0xfc00, v43
	s_delay_alu instid0(VALU_DEP_1)
	v_or3_b32 v43, v44, v43, v1
.LBB260_749:                            ;   in Loop: Header=BB260_545 Depth=1
	s_or_b32 exec_lo, exec_lo, s13
.LBB260_750:                            ;   in Loop: Header=BB260_545 Depth=1
	s_wait_alu 0xfffe
	s_or_b32 exec_lo, exec_lo, s7
.LBB260_751:                            ;   in Loop: Header=BB260_545 Depth=1
	s_wait_alu 0xfffe
	s_or_b32 exec_lo, exec_lo, s6
	v_lshrrev_b16 v1, 8, v9
	s_mov_b32 s6, exec_lo
	s_delay_alu instid0(VALU_DEP_1)
	v_cmpx_ne_u16_e32 0, v1
	s_cbranch_execz .LBB260_759
; %bb.752:                              ;   in Loop: Header=BB260_545 Depth=1
	v_bfrev_b32_e32 v42, 1
	s_mov_b32 s7, exec_lo
	v_cmpx_ne_u16_e32 0x80, v1
	s_cbranch_execz .LBB260_758
; %bb.753:                              ;   in Loop: Header=BB260_545 Depth=1
	v_and_b32_e32 v44, 0xffff, v1
	v_mov_b32_e32 v42, 0x7c010000
	s_mov_b32 s13, exec_lo
	s_delay_alu instid0(VALU_DEP_2) | instskip(NEXT) | instid1(VALU_DEP_1)
	v_and_b32_e32 v46, 0x7f, v44
	v_cmpx_ne_u32_e32 0x7f, v46
	s_cbranch_execz .LBB260_757
; %bb.754:                              ;   in Loop: Header=BB260_545 Depth=1
	v_and_b32_e32 v42, 7, v44
	v_lshrrev_b32_e32 v45, 3, v46
	s_mov_b32 s14, exec_lo
	v_cmpx_gt_u32_e32 8, v46
; %bb.755:                              ;   in Loop: Header=BB260_545 Depth=1
	s_delay_alu instid0(VALU_DEP_3) | instskip(NEXT) | instid1(VALU_DEP_1)
	v_clz_i32_u32_e32 v42, v42
	v_min_u32_e32 v42, 32, v42
	s_delay_alu instid0(VALU_DEP_1) | instskip(NEXT) | instid1(VALU_DEP_1)
	v_subrev_nc_u32_e32 v45, 28, v42
	v_lshlrev_b64_e32 v[46:47], v45, v[1:2]
	v_sub_nc_u32_e32 v45, 29, v42
	s_delay_alu instid0(VALU_DEP_2)
	v_and_b32_e32 v42, 7, v46
; %bb.756:                              ;   in Loop: Header=BB260_545 Depth=1
	s_wait_alu 0xfffe
	s_or_b32 exec_lo, exec_lo, s14
	v_lshlrev_b32_e32 v1, 8, v44
	v_lshl_add_u32 v44, v45, 10, 0x2000
	v_lshlrev_b32_e32 v42, 23, v42
	s_delay_alu instid0(VALU_DEP_2) | instskip(NEXT) | instid1(VALU_DEP_1)
	v_and_or_b32 v1, 0x8000, v1, v44
	v_lshl_or_b32 v42, v1, 16, v42
.LBB260_757:                            ;   in Loop: Header=BB260_545 Depth=1
	s_or_b32 exec_lo, exec_lo, s13
.LBB260_758:                            ;   in Loop: Header=BB260_545 Depth=1
	s_wait_alu 0xfffe
	s_or_b32 exec_lo, exec_lo, s7
.LBB260_759:                            ;   in Loop: Header=BB260_545 Depth=1
	s_wait_alu 0xfffe
	s_or_b32 exec_lo, exec_lo, s6
	v_lshrrev_b32_e32 v1, 16, v9
	v_mov_b32_e32 v44, 0
	s_mov_b32 s6, exec_lo
	s_delay_alu instid0(VALU_DEP_2) | instskip(NEXT) | instid1(VALU_DEP_1)
	v_dual_mov_b32 v45, 0 :: v_dual_and_b32 v46, 0xff, v1
	v_cmpx_ne_u16_e32 0, v46
	s_cbranch_execz .LBB260_767
; %bb.760:                              ;   in Loop: Header=BB260_545 Depth=1
	v_mov_b32_e32 v45, 0x8000
	s_mov_b32 s7, exec_lo
	v_cmpx_ne_u16_e32 0x80, v46
	s_cbranch_execz .LBB260_766
; %bb.761:                              ;   in Loop: Header=BB260_545 Depth=1
	v_bfe_u32 v47, v9, 16, 7
	v_mov_b32_e32 v45, 0x7c01
	s_mov_b32 s13, exec_lo
	s_delay_alu instid0(VALU_DEP_2)
	v_cmpx_ne_u32_e32 0x7f, v47
	s_cbranch_execz .LBB260_765
; %bb.762:                              ;   in Loop: Header=BB260_545 Depth=1
	v_and_b32_e32 v45, 7, v1
	v_lshrrev_b32_e32 v46, 3, v47
	s_mov_b32 s14, exec_lo
	v_cmpx_gt_u32_e32 8, v47
; %bb.763:                              ;   in Loop: Header=BB260_545 Depth=1
	s_delay_alu instid0(VALU_DEP_3) | instskip(NEXT) | instid1(VALU_DEP_1)
	v_clz_i32_u32_e32 v45, v45
	v_min_u32_e32 v47, 32, v45
	s_delay_alu instid0(VALU_DEP_1) | instskip(NEXT) | instid1(VALU_DEP_1)
	v_subrev_nc_u32_e32 v45, 28, v47
	v_lshlrev_b64_e32 v[45:46], v45, v[1:2]
	v_sub_nc_u32_e32 v46, 29, v47
	s_delay_alu instid0(VALU_DEP_2)
	v_and_b32_e32 v45, 7, v45
; %bb.764:                              ;   in Loop: Header=BB260_545 Depth=1
	s_wait_alu 0xfffe
	s_or_b32 exec_lo, exec_lo, s14
	v_lshlrev_b32_e32 v1, 8, v1
	v_lshl_add_u32 v46, v46, 10, 0x2000
	v_lshlrev_b32_e32 v45, 7, v45
	s_delay_alu instid0(VALU_DEP_3) | instskip(NEXT) | instid1(VALU_DEP_3)
	v_and_b32_e32 v1, 0x8000, v1
	v_and_b32_e32 v46, 0xfc00, v46
	s_delay_alu instid0(VALU_DEP_1)
	v_or3_b32 v45, v1, v46, v45
.LBB260_765:                            ;   in Loop: Header=BB260_545 Depth=1
	s_or_b32 exec_lo, exec_lo, s13
.LBB260_766:                            ;   in Loop: Header=BB260_545 Depth=1
	s_wait_alu 0xfffe
	s_or_b32 exec_lo, exec_lo, s7
.LBB260_767:                            ;   in Loop: Header=BB260_545 Depth=1
	s_wait_alu 0xfffe
	s_or_b32 exec_lo, exec_lo, s6
	s_delay_alu instid0(SALU_CYCLE_1)
	s_mov_b32 s6, exec_lo
	v_cmpx_lt_u32_e32 0xffffff, v9
	s_cbranch_execz .LBB260_775
; %bb.768:                              ;   in Loop: Header=BB260_545 Depth=1
	v_lshrrev_b32_e32 v1, 24, v9
	v_bfrev_b32_e32 v44, 1
	s_mov_b32 s7, exec_lo
	s_delay_alu instid0(VALU_DEP_2)
	v_cmpx_ne_u32_e32 0x80, v1
	s_cbranch_execz .LBB260_774
; %bb.769:                              ;   in Loop: Header=BB260_545 Depth=1
	v_and_b32_e32 v47, 0x7f, v1
	v_mov_b32_e32 v44, 0x7c010000
	s_mov_b32 s13, exec_lo
	s_delay_alu instid0(VALU_DEP_2)
	v_cmpx_ne_u32_e32 0x7f, v47
	s_cbranch_execz .LBB260_773
; %bb.770:                              ;   in Loop: Header=BB260_545 Depth=1
	v_and_b32_e32 v44, 7, v1
	v_lshrrev_b32_e32 v46, 3, v47
	s_mov_b32 s14, exec_lo
	v_cmpx_gt_u32_e32 8, v47
; %bb.771:                              ;   in Loop: Header=BB260_545 Depth=1
	s_delay_alu instid0(VALU_DEP_3) | instskip(NEXT) | instid1(VALU_DEP_1)
	v_clz_i32_u32_e32 v44, v44
	v_min_u32_e32 v44, 32, v44
	s_delay_alu instid0(VALU_DEP_1) | instskip(NEXT) | instid1(VALU_DEP_1)
	v_subrev_nc_u32_e32 v46, 28, v44
	v_lshlrev_b64_e32 v[47:48], v46, v[1:2]
	v_sub_nc_u32_e32 v46, 29, v44
	s_delay_alu instid0(VALU_DEP_2)
	v_and_b32_e32 v44, 7, v47
; %bb.772:                              ;   in Loop: Header=BB260_545 Depth=1
	s_wait_alu 0xfffe
	s_or_b32 exec_lo, exec_lo, s14
	v_lshlrev_b32_e32 v1, 8, v1
	v_lshl_add_u32 v46, v46, 10, 0x2000
	v_lshlrev_b32_e32 v44, 23, v44
	s_delay_alu instid0(VALU_DEP_2) | instskip(NEXT) | instid1(VALU_DEP_1)
	v_and_or_b32 v1, 0x8000, v1, v46
	v_lshl_or_b32 v44, v1, 16, v44
.LBB260_773:                            ;   in Loop: Header=BB260_545 Depth=1
	s_or_b32 exec_lo, exec_lo, s13
.LBB260_774:                            ;   in Loop: Header=BB260_545 Depth=1
	s_wait_alu 0xfffe
	s_or_b32 exec_lo, exec_lo, s7
.LBB260_775:                            ;   in Loop: Header=BB260_545 Depth=1
	s_wait_alu 0xfffe
	s_or_b32 exec_lo, exec_lo, s6
	v_dual_mov_b32 v1, v10 :: v_dual_and_b32 v48, 0xff, v10
	v_dual_mov_b32 v46, 0 :: v_dual_mov_b32 v47, 0
	s_mov_b32 s6, exec_lo
	s_delay_alu instid0(VALU_DEP_2)
	v_cmpx_ne_u16_e32 0, v48
	s_cbranch_execz .LBB260_783
; %bb.776:                              ;   in Loop: Header=BB260_545 Depth=1
	v_mov_b32_e32 v47, 0x8000
	s_mov_b32 s7, exec_lo
	v_cmpx_ne_u16_e32 0x80, v48
	s_cbranch_execz .LBB260_782
; %bb.777:                              ;   in Loop: Header=BB260_545 Depth=1
	v_and_b32_e32 v49, 0x7f, v10
	v_mov_b32_e32 v47, 0x7c01
	s_mov_b32 s13, exec_lo
	s_delay_alu instid0(VALU_DEP_2)
	v_cmpx_ne_u32_e32 0x7f, v49
	s_cbranch_execz .LBB260_781
; %bb.778:                              ;   in Loop: Header=BB260_545 Depth=1
	v_and_b32_e32 v47, 7, v10
	v_lshrrev_b32_e32 v48, 3, v49
	s_mov_b32 s14, exec_lo
	v_cmpx_gt_u32_e32 8, v49
; %bb.779:                              ;   in Loop: Header=BB260_545 Depth=1
	s_delay_alu instid0(VALU_DEP_3) | instskip(NEXT) | instid1(VALU_DEP_1)
	v_clz_i32_u32_e32 v47, v47
	v_min_u32_e32 v49, 32, v47
	s_delay_alu instid0(VALU_DEP_1) | instskip(NEXT) | instid1(VALU_DEP_1)
	v_subrev_nc_u32_e32 v47, 28, v49
	v_lshlrev_b64_e32 v[47:48], v47, v[1:2]
	v_sub_nc_u32_e32 v48, 29, v49
	s_delay_alu instid0(VALU_DEP_2)
	v_and_b32_e32 v47, 7, v47
; %bb.780:                              ;   in Loop: Header=BB260_545 Depth=1
	s_wait_alu 0xfffe
	s_or_b32 exec_lo, exec_lo, s14
	v_lshlrev_b32_e32 v49, 8, v10
	v_lshl_add_u32 v48, v48, 10, 0x2000
	v_lshlrev_b32_e32 v47, 7, v47
	s_delay_alu instid0(VALU_DEP_3) | instskip(NEXT) | instid1(VALU_DEP_3)
	v_and_b32_e32 v49, 0x8000, v49
	v_and_b32_e32 v48, 0xfc00, v48
	s_delay_alu instid0(VALU_DEP_1)
	v_or3_b32 v47, v49, v48, v47
.LBB260_781:                            ;   in Loop: Header=BB260_545 Depth=1
	s_or_b32 exec_lo, exec_lo, s13
.LBB260_782:                            ;   in Loop: Header=BB260_545 Depth=1
	s_wait_alu 0xfffe
	s_or_b32 exec_lo, exec_lo, s7
.LBB260_783:                            ;   in Loop: Header=BB260_545 Depth=1
	s_wait_alu 0xfffe
	s_or_b32 exec_lo, exec_lo, s6
	v_lshrrev_b16 v1, 8, v1
	v_mov_b32_e32 v48, 0
	s_mov_b32 s6, exec_lo
	s_delay_alu instid0(VALU_DEP_2)
	v_cmpx_ne_u16_e32 0, v1
	s_cbranch_execz .LBB260_791
; %bb.784:                              ;   in Loop: Header=BB260_545 Depth=1
	v_bfrev_b32_e32 v48, 1
	s_mov_b32 s7, exec_lo
	v_cmpx_ne_u16_e32 0x80, v1
	s_cbranch_execz .LBB260_790
; %bb.785:                              ;   in Loop: Header=BB260_545 Depth=1
	v_and_b32_e32 v49, 0xffff, v1
	v_mov_b32_e32 v48, 0x7c010000
	s_mov_b32 s13, exec_lo
	s_delay_alu instid0(VALU_DEP_2) | instskip(NEXT) | instid1(VALU_DEP_1)
	v_and_b32_e32 v51, 0x7f, v49
	v_cmpx_ne_u32_e32 0x7f, v51
	s_cbranch_execz .LBB260_789
; %bb.786:                              ;   in Loop: Header=BB260_545 Depth=1
	v_and_b32_e32 v48, 7, v49
	v_lshrrev_b32_e32 v50, 3, v51
	s_mov_b32 s14, exec_lo
	v_cmpx_gt_u32_e32 8, v51
; %bb.787:                              ;   in Loop: Header=BB260_545 Depth=1
	s_delay_alu instid0(VALU_DEP_3) | instskip(NEXT) | instid1(VALU_DEP_1)
	v_clz_i32_u32_e32 v48, v48
	v_min_u32_e32 v48, 32, v48
	s_delay_alu instid0(VALU_DEP_1) | instskip(NEXT) | instid1(VALU_DEP_1)
	v_subrev_nc_u32_e32 v50, 28, v48
	v_lshlrev_b64_e32 v[51:52], v50, v[1:2]
	v_sub_nc_u32_e32 v50, 29, v48
	s_delay_alu instid0(VALU_DEP_2)
	v_and_b32_e32 v48, 7, v51
; %bb.788:                              ;   in Loop: Header=BB260_545 Depth=1
	s_wait_alu 0xfffe
	s_or_b32 exec_lo, exec_lo, s14
	v_lshlrev_b32_e32 v1, 8, v49
	v_lshl_add_u32 v49, v50, 10, 0x2000
	v_lshlrev_b32_e32 v48, 23, v48
	s_delay_alu instid0(VALU_DEP_2) | instskip(NEXT) | instid1(VALU_DEP_1)
	v_and_or_b32 v1, 0x8000, v1, v49
	v_lshl_or_b32 v48, v1, 16, v48
.LBB260_789:                            ;   in Loop: Header=BB260_545 Depth=1
	s_or_b32 exec_lo, exec_lo, s13
.LBB260_790:                            ;   in Loop: Header=BB260_545 Depth=1
	s_wait_alu 0xfffe
	s_or_b32 exec_lo, exec_lo, s7
.LBB260_791:                            ;   in Loop: Header=BB260_545 Depth=1
	s_wait_alu 0xfffe
	s_or_b32 exec_lo, exec_lo, s6
	v_lshrrev_b32_e32 v1, 16, v10
	s_mov_b32 s6, exec_lo
	s_delay_alu instid0(VALU_DEP_1) | instskip(NEXT) | instid1(VALU_DEP_1)
	v_and_b32_e32 v49, 0xff, v1
	v_cmpx_ne_u16_e32 0, v49
	s_cbranch_execz .LBB260_799
; %bb.792:                              ;   in Loop: Header=BB260_545 Depth=1
	v_mov_b32_e32 v46, 0x8000
	s_mov_b32 s7, exec_lo
	v_cmpx_ne_u16_e32 0x80, v49
	s_cbranch_execz .LBB260_798
; %bb.793:                              ;   in Loop: Header=BB260_545 Depth=1
	v_bfe_u32 v50, v10, 16, 7
	v_mov_b32_e32 v46, 0x7c01
	s_mov_b32 s13, exec_lo
	s_delay_alu instid0(VALU_DEP_2)
	v_cmpx_ne_u32_e32 0x7f, v50
	s_cbranch_execz .LBB260_797
; %bb.794:                              ;   in Loop: Header=BB260_545 Depth=1
	v_and_b32_e32 v46, 7, v1
	v_lshrrev_b32_e32 v49, 3, v50
	s_mov_b32 s14, exec_lo
	v_cmpx_gt_u32_e32 8, v50
; %bb.795:                              ;   in Loop: Header=BB260_545 Depth=1
	s_delay_alu instid0(VALU_DEP_3) | instskip(NEXT) | instid1(VALU_DEP_1)
	v_clz_i32_u32_e32 v46, v46
	v_min_u32_e32 v46, 32, v46
	s_delay_alu instid0(VALU_DEP_1) | instskip(NEXT) | instid1(VALU_DEP_1)
	v_subrev_nc_u32_e32 v49, 28, v46
	v_lshlrev_b64_e32 v[50:51], v49, v[1:2]
	v_sub_nc_u32_e32 v49, 29, v46
	s_delay_alu instid0(VALU_DEP_2)
	v_and_b32_e32 v46, 7, v50
; %bb.796:                              ;   in Loop: Header=BB260_545 Depth=1
	s_wait_alu 0xfffe
	s_or_b32 exec_lo, exec_lo, s14
	v_lshlrev_b32_e32 v1, 8, v1
	v_lshl_add_u32 v49, v49, 10, 0x2000
	v_lshlrev_b32_e32 v46, 7, v46
	s_delay_alu instid0(VALU_DEP_3) | instskip(NEXT) | instid1(VALU_DEP_3)
	v_and_b32_e32 v1, 0x8000, v1
	v_and_b32_e32 v49, 0xfc00, v49
	s_delay_alu instid0(VALU_DEP_1)
	v_or3_b32 v46, v1, v49, v46
.LBB260_797:                            ;   in Loop: Header=BB260_545 Depth=1
	s_or_b32 exec_lo, exec_lo, s13
.LBB260_798:                            ;   in Loop: Header=BB260_545 Depth=1
	s_wait_alu 0xfffe
	s_or_b32 exec_lo, exec_lo, s7
.LBB260_799:                            ;   in Loop: Header=BB260_545 Depth=1
	s_wait_alu 0xfffe
	s_or_b32 exec_lo, exec_lo, s6
	v_cmp_lt_u64_e64 s0, s[2:3], v[9:10]
	v_mov_b32_e32 v9, 0
	s_and_saveexec_b32 s6, s0
	s_cbranch_execz .LBB260_807
; %bb.800:                              ;   in Loop: Header=BB260_545 Depth=1
	v_lshrrev_b32_e32 v1, 24, v10
	v_bfrev_b32_e32 v9, 1
	s_mov_b32 s7, exec_lo
	s_delay_alu instid0(VALU_DEP_2)
	v_cmpx_ne_u32_e32 0x80, v1
	s_cbranch_execz .LBB260_806
; %bb.801:                              ;   in Loop: Header=BB260_545 Depth=1
	v_and_b32_e32 v49, 0x7f, v1
	v_mov_b32_e32 v9, 0x7c010000
	s_mov_b32 s13, exec_lo
	s_delay_alu instid0(VALU_DEP_2)
	v_cmpx_ne_u32_e32 0x7f, v49
	s_cbranch_execz .LBB260_805
; %bb.802:                              ;   in Loop: Header=BB260_545 Depth=1
	v_and_b32_e32 v9, 7, v1
	v_lshrrev_b32_e32 v10, 3, v49
	s_mov_b32 s14, exec_lo
	v_cmpx_gt_u32_e32 8, v49
; %bb.803:                              ;   in Loop: Header=BB260_545 Depth=1
	s_delay_alu instid0(VALU_DEP_3) | instskip(NEXT) | instid1(VALU_DEP_1)
	v_clz_i32_u32_e32 v9, v9
	v_min_u32_e32 v49, 32, v9
	s_delay_alu instid0(VALU_DEP_1) | instskip(NEXT) | instid1(VALU_DEP_1)
	v_subrev_nc_u32_e32 v9, 28, v49
	v_lshlrev_b64_e32 v[9:10], v9, v[1:2]
	v_sub_nc_u32_e32 v10, 29, v49
	s_delay_alu instid0(VALU_DEP_2)
	v_and_b32_e32 v9, 7, v9
; %bb.804:                              ;   in Loop: Header=BB260_545 Depth=1
	s_wait_alu 0xfffe
	s_or_b32 exec_lo, exec_lo, s14
	v_lshlrev_b32_e32 v1, 8, v1
	v_lshl_add_u32 v10, v10, 10, 0x2000
	v_lshlrev_b32_e32 v9, 23, v9
	s_delay_alu instid0(VALU_DEP_2) | instskip(NEXT) | instid1(VALU_DEP_1)
	v_and_or_b32 v1, 0x8000, v1, v10
	v_lshl_or_b32 v9, v1, 16, v9
.LBB260_805:                            ;   in Loop: Header=BB260_545 Depth=1
	s_or_b32 exec_lo, exec_lo, s13
.LBB260_806:                            ;   in Loop: Header=BB260_545 Depth=1
	s_wait_alu 0xfffe
	s_or_b32 exec_lo, exec_lo, s7
.LBB260_807:                            ;   in Loop: Header=BB260_545 Depth=1
	s_wait_alu 0xfffe
	s_or_b32 exec_lo, exec_lo, s6
	v_or_b32_e32 v1, v44, v45
	s_wait_loadcnt 0x0
	v_fma_mixlo_f16 v10, v41, v44, 0 op_sel:[0,1,0] op_sel_hi:[0,1,0]
	v_or_b32_e32 v44, v42, v43
	v_fma_mixlo_f16 v42, v41, v42, 0 op_sel:[0,1,0] op_sel_hi:[0,1,0]
	v_or_b32_e32 v45, v48, v47
	v_or_b32_e32 v46, v9, v46
	v_fma_mixlo_f16 v47, v41, v1, 0 op_sel_hi:[0,1,0]
	v_fma_mixlo_f16 v9, v41, v9, 0 op_sel:[0,1,0] op_sel_hi:[0,1,0]
	v_lshlrev_b32_e32 v43, 16, v42
	v_fma_mixlo_f16 v42, v41, v44, 0 op_sel_hi:[0,1,0]
	v_fma_mixlo_f16 v44, v41, v48, 0 op_sel:[0,1,0] op_sel_hi:[0,1,0]
	v_fma_mixlo_f16 v45, v41, v45, 0 op_sel_hi:[0,1,0]
	v_fma_mixlo_f16 v46, v41, v46, 0 op_sel_hi:[0,1,0]
	v_lshlrev_b32_e32 v1, 16, v10
	v_and_b32_e32 v10, 0xffff, v47
	v_and_b32_e32 v49, 0xffff, v42
	v_lshlrev_b32_e32 v41, 16, v44
	v_and_b32_e32 v45, 0xffff, v45
	v_lshlrev_b32_e32 v9, 16, v9
	v_and_b32_e32 v42, 0xffff, v46
	v_or_b32_e32 v44, v1, v10
	v_or_b32_e32 v48, v43, v49
	;; [unrolled: 1-line block ×3, first 2 shown]
	s_delay_alu instid0(VALU_DEP_4)
	v_or_b32_e32 v46, v9, v42
	s_and_saveexec_b32 s6, vcc_lo
	s_cbranch_execz .LBB260_809
; %bb.808:                              ;   in Loop: Header=BB260_545 Depth=1
	v_cmp_gt_i32_e64 s0, s17, v24
	s_wait_alu 0xf1ff
	s_delay_alu instid0(VALU_DEP_1) | instskip(SKIP_2) | instid1(VALU_DEP_1)
	v_cndmask_b32_e64 v44, 0, v49, s0
	v_cmp_gt_i32_e64 s0, s17, v30
	s_wait_alu 0xf1ff
	v_cndmask_b32_e64 v43, 0, v43, s0
	v_cmp_gt_i32_e64 s0, s17, v29
	s_delay_alu instid0(VALU_DEP_2) | instskip(SKIP_1) | instid1(VALU_DEP_2)
	v_or_b32_e32 v48, v43, v44
	s_wait_alu 0xf1ff
	v_cndmask_b32_e64 v10, 0, v10, s0
	v_cmp_gt_i32_e64 s0, s17, v28
	s_wait_alu 0xf1ff
	s_delay_alu instid0(VALU_DEP_1) | instskip(SKIP_1) | instid1(VALU_DEP_2)
	v_cndmask_b32_e64 v1, 0, v1, s0
	v_cmp_gt_i32_e64 s0, s17, v27
	v_or_b32_e32 v44, v1, v10
	s_wait_alu 0xf1ff
	s_delay_alu instid0(VALU_DEP_2) | instskip(SKIP_2) | instid1(VALU_DEP_1)
	v_cndmask_b32_e64 v45, 0, v45, s0
	v_cmp_gt_i32_e64 s0, s17, v26
	s_wait_alu 0xf1ff
	v_cndmask_b32_e64 v41, 0, v41, s0
	v_cmp_gt_i32_e64 s0, s17, v25
	s_delay_alu instid0(VALU_DEP_2) | instskip(SKIP_1) | instid1(VALU_DEP_2)
	v_or_b32_e32 v47, v41, v45
	s_wait_alu 0xf1ff
	v_cndmask_b32_e64 v42, 0, v42, s0
	v_cmp_gt_i32_e64 s0, s17, v22
	s_wait_alu 0xf1ff
	s_delay_alu instid0(VALU_DEP_1) | instskip(NEXT) | instid1(VALU_DEP_1)
	v_cndmask_b32_e64 v9, 0, v9, s0
	v_or_b32_e32 v46, v9, v42
.LBB260_809:                            ;   in Loop: Header=BB260_545 Depth=1
	s_wait_alu 0xfffe
	s_or_b32 exec_lo, exec_lo, s6
	;;#ASMSTART
	v_pk_mul_f16 v1, v35, v48;

	;;#ASMEND
	;;#ASMSTART
	v_pk_mul_f16 v9, v33, v44;

	;;#ASMEND
	;; [unrolled: 4-line block ×4, first 2 shown]
	;;#ASMSTART
	v_pk_add_f16 v1, v1, v9;

	;;#ASMEND
	;;#ASMSTART
	v_pk_add_f16 v1, v1, v10;

	;;#ASMEND
	;; [unrolled: 4-line block ×3, first 2 shown]
	v_dual_mov_b32 v44, 0 :: v_dual_and_b32 v9, 0xffff, v1
	v_lshrrev_b32_e32 v1, 16, v1
	;;#ASMSTART
	v_cvt_f32_f16 v41, v9;
	;;#ASMEND
	;;#ASMSTART
	v_cvt_f32_f16 v42, v1;
	;;#ASMEND
	global_load_b64 v[9:10], v[7:8], off offset:1024
	global_load_b32 v43, v44, s[10:11]
	v_mov_b32_e32 v45, 0
	s_mov_b32 s6, exec_lo
	s_wait_loadcnt 0x1
	v_and_b32_e32 v1, 0xff, v9
	s_delay_alu instid0(VALU_DEP_1)
	v_cmpx_ne_u16_e32 0, v1
	s_cbranch_execz .LBB260_817
; %bb.810:                              ;   in Loop: Header=BB260_545 Depth=1
	v_mov_b32_e32 v45, 0x8000
	s_mov_b32 s7, exec_lo
	v_cmpx_ne_u16_e32 0x80, v1
	s_cbranch_execz .LBB260_816
; %bb.811:                              ;   in Loop: Header=BB260_545 Depth=1
	v_and_b32_e32 v46, 0x7f, v9
	v_mov_b32_e32 v45, 0x7c01
	s_mov_b32 s13, exec_lo
	s_delay_alu instid0(VALU_DEP_2)
	v_cmpx_ne_u32_e32 0x7f, v46
	s_cbranch_execz .LBB260_815
; %bb.812:                              ;   in Loop: Header=BB260_545 Depth=1
	v_and_b32_e32 v1, 7, v9
	v_lshrrev_b32_e32 v45, 3, v46
	s_mov_b32 s14, exec_lo
	v_cmpx_gt_u32_e32 8, v46
; %bb.813:                              ;   in Loop: Header=BB260_545 Depth=1
	s_delay_alu instid0(VALU_DEP_3) | instskip(NEXT) | instid1(VALU_DEP_1)
	v_clz_i32_u32_e32 v1, v1
	v_min_u32_e32 v1, 32, v1
	s_delay_alu instid0(VALU_DEP_1) | instskip(NEXT) | instid1(VALU_DEP_1)
	v_subrev_nc_u32_e32 v45, 28, v1
	v_lshlrev_b64_e32 v[46:47], v45, v[9:10]
	v_sub_nc_u32_e32 v45, 29, v1
	s_delay_alu instid0(VALU_DEP_2)
	v_and_b32_e32 v1, 7, v46
; %bb.814:                              ;   in Loop: Header=BB260_545 Depth=1
	s_wait_alu 0xfffe
	s_or_b32 exec_lo, exec_lo, s14
	v_lshlrev_b32_e32 v46, 8, v9
	v_lshl_add_u32 v45, v45, 10, 0x2000
	v_lshlrev_b32_e32 v1, 7, v1
	s_delay_alu instid0(VALU_DEP_3) | instskip(NEXT) | instid1(VALU_DEP_3)
	v_and_b32_e32 v46, 0x8000, v46
	v_and_b32_e32 v45, 0xfc00, v45
	s_delay_alu instid0(VALU_DEP_1)
	v_or3_b32 v45, v46, v45, v1
.LBB260_815:                            ;   in Loop: Header=BB260_545 Depth=1
	s_or_b32 exec_lo, exec_lo, s13
.LBB260_816:                            ;   in Loop: Header=BB260_545 Depth=1
	s_wait_alu 0xfffe
	s_or_b32 exec_lo, exec_lo, s7
.LBB260_817:                            ;   in Loop: Header=BB260_545 Depth=1
	s_wait_alu 0xfffe
	s_or_b32 exec_lo, exec_lo, s6
	v_lshrrev_b16 v1, 8, v9
	s_mov_b32 s6, exec_lo
	s_delay_alu instid0(VALU_DEP_1)
	v_cmpx_ne_u16_e32 0, v1
	s_cbranch_execz .LBB260_825
; %bb.818:                              ;   in Loop: Header=BB260_545 Depth=1
	v_bfrev_b32_e32 v44, 1
	s_mov_b32 s7, exec_lo
	v_cmpx_ne_u16_e32 0x80, v1
	s_cbranch_execz .LBB260_824
; %bb.819:                              ;   in Loop: Header=BB260_545 Depth=1
	v_and_b32_e32 v46, 0xffff, v1
	v_mov_b32_e32 v44, 0x7c010000
	s_mov_b32 s13, exec_lo
	s_delay_alu instid0(VALU_DEP_2) | instskip(NEXT) | instid1(VALU_DEP_1)
	v_and_b32_e32 v48, 0x7f, v46
	v_cmpx_ne_u32_e32 0x7f, v48
	s_cbranch_execz .LBB260_823
; %bb.820:                              ;   in Loop: Header=BB260_545 Depth=1
	v_and_b32_e32 v44, 7, v46
	v_lshrrev_b32_e32 v47, 3, v48
	s_mov_b32 s14, exec_lo
	v_cmpx_gt_u32_e32 8, v48
; %bb.821:                              ;   in Loop: Header=BB260_545 Depth=1
	s_delay_alu instid0(VALU_DEP_3) | instskip(NEXT) | instid1(VALU_DEP_1)
	v_clz_i32_u32_e32 v44, v44
	v_min_u32_e32 v44, 32, v44
	s_delay_alu instid0(VALU_DEP_1) | instskip(NEXT) | instid1(VALU_DEP_1)
	v_subrev_nc_u32_e32 v47, 28, v44
	v_lshlrev_b64_e32 v[48:49], v47, v[1:2]
	v_sub_nc_u32_e32 v47, 29, v44
	s_delay_alu instid0(VALU_DEP_2)
	v_and_b32_e32 v44, 7, v48
; %bb.822:                              ;   in Loop: Header=BB260_545 Depth=1
	s_wait_alu 0xfffe
	s_or_b32 exec_lo, exec_lo, s14
	v_lshlrev_b32_e32 v1, 8, v46
	v_lshl_add_u32 v46, v47, 10, 0x2000
	v_lshlrev_b32_e32 v44, 23, v44
	s_delay_alu instid0(VALU_DEP_2) | instskip(NEXT) | instid1(VALU_DEP_1)
	v_and_or_b32 v1, 0x8000, v1, v46
	v_lshl_or_b32 v44, v1, 16, v44
.LBB260_823:                            ;   in Loop: Header=BB260_545 Depth=1
	s_or_b32 exec_lo, exec_lo, s13
.LBB260_824:                            ;   in Loop: Header=BB260_545 Depth=1
	s_wait_alu 0xfffe
	s_or_b32 exec_lo, exec_lo, s7
.LBB260_825:                            ;   in Loop: Header=BB260_545 Depth=1
	s_wait_alu 0xfffe
	s_or_b32 exec_lo, exec_lo, s6
	v_lshrrev_b32_e32 v1, 16, v9
	v_mov_b32_e32 v46, 0
	s_mov_b32 s6, exec_lo
	s_delay_alu instid0(VALU_DEP_2) | instskip(NEXT) | instid1(VALU_DEP_1)
	v_dual_mov_b32 v47, 0 :: v_dual_and_b32 v48, 0xff, v1
	v_cmpx_ne_u16_e32 0, v48
	s_cbranch_execz .LBB260_833
; %bb.826:                              ;   in Loop: Header=BB260_545 Depth=1
	v_mov_b32_e32 v47, 0x8000
	s_mov_b32 s7, exec_lo
	v_cmpx_ne_u16_e32 0x80, v48
	s_cbranch_execz .LBB260_832
; %bb.827:                              ;   in Loop: Header=BB260_545 Depth=1
	v_bfe_u32 v49, v9, 16, 7
	v_mov_b32_e32 v47, 0x7c01
	s_mov_b32 s13, exec_lo
	s_delay_alu instid0(VALU_DEP_2)
	v_cmpx_ne_u32_e32 0x7f, v49
	s_cbranch_execz .LBB260_831
; %bb.828:                              ;   in Loop: Header=BB260_545 Depth=1
	v_and_b32_e32 v47, 7, v1
	v_lshrrev_b32_e32 v48, 3, v49
	s_mov_b32 s14, exec_lo
	v_cmpx_gt_u32_e32 8, v49
; %bb.829:                              ;   in Loop: Header=BB260_545 Depth=1
	s_delay_alu instid0(VALU_DEP_3) | instskip(NEXT) | instid1(VALU_DEP_1)
	v_clz_i32_u32_e32 v47, v47
	v_min_u32_e32 v49, 32, v47
	s_delay_alu instid0(VALU_DEP_1) | instskip(NEXT) | instid1(VALU_DEP_1)
	v_subrev_nc_u32_e32 v47, 28, v49
	v_lshlrev_b64_e32 v[47:48], v47, v[1:2]
	v_sub_nc_u32_e32 v48, 29, v49
	s_delay_alu instid0(VALU_DEP_2)
	v_and_b32_e32 v47, 7, v47
; %bb.830:                              ;   in Loop: Header=BB260_545 Depth=1
	s_wait_alu 0xfffe
	s_or_b32 exec_lo, exec_lo, s14
	v_lshlrev_b32_e32 v1, 8, v1
	v_lshl_add_u32 v48, v48, 10, 0x2000
	v_lshlrev_b32_e32 v47, 7, v47
	s_delay_alu instid0(VALU_DEP_3) | instskip(NEXT) | instid1(VALU_DEP_3)
	v_and_b32_e32 v1, 0x8000, v1
	v_and_b32_e32 v48, 0xfc00, v48
	s_delay_alu instid0(VALU_DEP_1)
	v_or3_b32 v47, v1, v48, v47
.LBB260_831:                            ;   in Loop: Header=BB260_545 Depth=1
	s_or_b32 exec_lo, exec_lo, s13
.LBB260_832:                            ;   in Loop: Header=BB260_545 Depth=1
	s_wait_alu 0xfffe
	s_or_b32 exec_lo, exec_lo, s7
.LBB260_833:                            ;   in Loop: Header=BB260_545 Depth=1
	s_wait_alu 0xfffe
	s_or_b32 exec_lo, exec_lo, s6
	s_delay_alu instid0(SALU_CYCLE_1)
	s_mov_b32 s6, exec_lo
	v_cmpx_lt_u32_e32 0xffffff, v9
	s_cbranch_execz .LBB260_841
; %bb.834:                              ;   in Loop: Header=BB260_545 Depth=1
	v_lshrrev_b32_e32 v1, 24, v9
	v_bfrev_b32_e32 v46, 1
	s_mov_b32 s7, exec_lo
	s_delay_alu instid0(VALU_DEP_2)
	v_cmpx_ne_u32_e32 0x80, v1
	s_cbranch_execz .LBB260_840
; %bb.835:                              ;   in Loop: Header=BB260_545 Depth=1
	v_and_b32_e32 v49, 0x7f, v1
	v_mov_b32_e32 v46, 0x7c010000
	s_mov_b32 s13, exec_lo
	s_delay_alu instid0(VALU_DEP_2)
	v_cmpx_ne_u32_e32 0x7f, v49
	s_cbranch_execz .LBB260_839
; %bb.836:                              ;   in Loop: Header=BB260_545 Depth=1
	v_and_b32_e32 v46, 7, v1
	v_lshrrev_b32_e32 v48, 3, v49
	s_mov_b32 s14, exec_lo
	v_cmpx_gt_u32_e32 8, v49
; %bb.837:                              ;   in Loop: Header=BB260_545 Depth=1
	s_delay_alu instid0(VALU_DEP_3) | instskip(NEXT) | instid1(VALU_DEP_1)
	v_clz_i32_u32_e32 v46, v46
	v_min_u32_e32 v46, 32, v46
	s_delay_alu instid0(VALU_DEP_1) | instskip(NEXT) | instid1(VALU_DEP_1)
	v_subrev_nc_u32_e32 v48, 28, v46
	v_lshlrev_b64_e32 v[49:50], v48, v[1:2]
	v_sub_nc_u32_e32 v48, 29, v46
	s_delay_alu instid0(VALU_DEP_2)
	v_and_b32_e32 v46, 7, v49
; %bb.838:                              ;   in Loop: Header=BB260_545 Depth=1
	s_wait_alu 0xfffe
	s_or_b32 exec_lo, exec_lo, s14
	v_lshlrev_b32_e32 v1, 8, v1
	v_lshl_add_u32 v48, v48, 10, 0x2000
	v_lshlrev_b32_e32 v46, 23, v46
	s_delay_alu instid0(VALU_DEP_2) | instskip(NEXT) | instid1(VALU_DEP_1)
	v_and_or_b32 v1, 0x8000, v1, v48
	v_lshl_or_b32 v46, v1, 16, v46
.LBB260_839:                            ;   in Loop: Header=BB260_545 Depth=1
	s_or_b32 exec_lo, exec_lo, s13
.LBB260_840:                            ;   in Loop: Header=BB260_545 Depth=1
	s_wait_alu 0xfffe
	s_or_b32 exec_lo, exec_lo, s7
.LBB260_841:                            ;   in Loop: Header=BB260_545 Depth=1
	s_wait_alu 0xfffe
	s_or_b32 exec_lo, exec_lo, s6
	v_dual_mov_b32 v1, v10 :: v_dual_and_b32 v50, 0xff, v10
	v_dual_mov_b32 v48, 0 :: v_dual_mov_b32 v49, 0
	s_mov_b32 s6, exec_lo
	s_delay_alu instid0(VALU_DEP_2)
	v_cmpx_ne_u16_e32 0, v50
	s_cbranch_execz .LBB260_849
; %bb.842:                              ;   in Loop: Header=BB260_545 Depth=1
	v_mov_b32_e32 v49, 0x8000
	s_mov_b32 s7, exec_lo
	v_cmpx_ne_u16_e32 0x80, v50
	s_cbranch_execz .LBB260_848
; %bb.843:                              ;   in Loop: Header=BB260_545 Depth=1
	v_and_b32_e32 v51, 0x7f, v10
	v_mov_b32_e32 v49, 0x7c01
	s_mov_b32 s13, exec_lo
	s_delay_alu instid0(VALU_DEP_2)
	v_cmpx_ne_u32_e32 0x7f, v51
	s_cbranch_execz .LBB260_847
; %bb.844:                              ;   in Loop: Header=BB260_545 Depth=1
	v_and_b32_e32 v49, 7, v10
	v_lshrrev_b32_e32 v50, 3, v51
	s_mov_b32 s14, exec_lo
	v_cmpx_gt_u32_e32 8, v51
; %bb.845:                              ;   in Loop: Header=BB260_545 Depth=1
	s_delay_alu instid0(VALU_DEP_3) | instskip(NEXT) | instid1(VALU_DEP_1)
	v_clz_i32_u32_e32 v49, v49
	v_min_u32_e32 v51, 32, v49
	s_delay_alu instid0(VALU_DEP_1) | instskip(NEXT) | instid1(VALU_DEP_1)
	v_subrev_nc_u32_e32 v49, 28, v51
	v_lshlrev_b64_e32 v[49:50], v49, v[1:2]
	v_sub_nc_u32_e32 v50, 29, v51
	s_delay_alu instid0(VALU_DEP_2)
	v_and_b32_e32 v49, 7, v49
; %bb.846:                              ;   in Loop: Header=BB260_545 Depth=1
	s_wait_alu 0xfffe
	s_or_b32 exec_lo, exec_lo, s14
	v_lshlrev_b32_e32 v51, 8, v10
	v_lshl_add_u32 v50, v50, 10, 0x2000
	v_lshlrev_b32_e32 v49, 7, v49
	s_delay_alu instid0(VALU_DEP_3) | instskip(NEXT) | instid1(VALU_DEP_3)
	v_and_b32_e32 v51, 0x8000, v51
	v_and_b32_e32 v50, 0xfc00, v50
	s_delay_alu instid0(VALU_DEP_1)
	v_or3_b32 v49, v51, v50, v49
.LBB260_847:                            ;   in Loop: Header=BB260_545 Depth=1
	s_or_b32 exec_lo, exec_lo, s13
.LBB260_848:                            ;   in Loop: Header=BB260_545 Depth=1
	s_wait_alu 0xfffe
	s_or_b32 exec_lo, exec_lo, s7
.LBB260_849:                            ;   in Loop: Header=BB260_545 Depth=1
	s_wait_alu 0xfffe
	s_or_b32 exec_lo, exec_lo, s6
	v_lshrrev_b16 v1, 8, v1
	v_mov_b32_e32 v50, 0
	s_mov_b32 s6, exec_lo
	s_delay_alu instid0(VALU_DEP_2)
	v_cmpx_ne_u16_e32 0, v1
	s_cbranch_execz .LBB260_857
; %bb.850:                              ;   in Loop: Header=BB260_545 Depth=1
	v_bfrev_b32_e32 v50, 1
	s_mov_b32 s7, exec_lo
	v_cmpx_ne_u16_e32 0x80, v1
	s_cbranch_execz .LBB260_856
; %bb.851:                              ;   in Loop: Header=BB260_545 Depth=1
	v_and_b32_e32 v51, 0xffff, v1
	v_mov_b32_e32 v50, 0x7c010000
	s_mov_b32 s13, exec_lo
	s_delay_alu instid0(VALU_DEP_2) | instskip(NEXT) | instid1(VALU_DEP_1)
	v_and_b32_e32 v53, 0x7f, v51
	v_cmpx_ne_u32_e32 0x7f, v53
	s_cbranch_execz .LBB260_855
; %bb.852:                              ;   in Loop: Header=BB260_545 Depth=1
	v_and_b32_e32 v50, 7, v51
	v_lshrrev_b32_e32 v52, 3, v53
	s_mov_b32 s14, exec_lo
	v_cmpx_gt_u32_e32 8, v53
; %bb.853:                              ;   in Loop: Header=BB260_545 Depth=1
	s_delay_alu instid0(VALU_DEP_3) | instskip(NEXT) | instid1(VALU_DEP_1)
	v_clz_i32_u32_e32 v50, v50
	v_min_u32_e32 v50, 32, v50
	s_delay_alu instid0(VALU_DEP_1) | instskip(NEXT) | instid1(VALU_DEP_1)
	v_subrev_nc_u32_e32 v52, 28, v50
	v_lshlrev_b64_e32 v[53:54], v52, v[1:2]
	v_sub_nc_u32_e32 v52, 29, v50
	s_delay_alu instid0(VALU_DEP_2)
	v_and_b32_e32 v50, 7, v53
; %bb.854:                              ;   in Loop: Header=BB260_545 Depth=1
	s_wait_alu 0xfffe
	s_or_b32 exec_lo, exec_lo, s14
	v_lshlrev_b32_e32 v1, 8, v51
	v_lshl_add_u32 v51, v52, 10, 0x2000
	v_lshlrev_b32_e32 v50, 23, v50
	s_delay_alu instid0(VALU_DEP_2) | instskip(NEXT) | instid1(VALU_DEP_1)
	v_and_or_b32 v1, 0x8000, v1, v51
	v_lshl_or_b32 v50, v1, 16, v50
.LBB260_855:                            ;   in Loop: Header=BB260_545 Depth=1
	s_or_b32 exec_lo, exec_lo, s13
.LBB260_856:                            ;   in Loop: Header=BB260_545 Depth=1
	s_wait_alu 0xfffe
	s_or_b32 exec_lo, exec_lo, s7
.LBB260_857:                            ;   in Loop: Header=BB260_545 Depth=1
	s_wait_alu 0xfffe
	s_or_b32 exec_lo, exec_lo, s6
	v_lshrrev_b32_e32 v1, 16, v10
	s_mov_b32 s6, exec_lo
	s_delay_alu instid0(VALU_DEP_1) | instskip(NEXT) | instid1(VALU_DEP_1)
	v_and_b32_e32 v51, 0xff, v1
	v_cmpx_ne_u16_e32 0, v51
	s_cbranch_execz .LBB260_865
; %bb.858:                              ;   in Loop: Header=BB260_545 Depth=1
	v_mov_b32_e32 v48, 0x8000
	s_mov_b32 s7, exec_lo
	v_cmpx_ne_u16_e32 0x80, v51
	s_cbranch_execz .LBB260_864
; %bb.859:                              ;   in Loop: Header=BB260_545 Depth=1
	v_bfe_u32 v52, v10, 16, 7
	v_mov_b32_e32 v48, 0x7c01
	s_mov_b32 s13, exec_lo
	s_delay_alu instid0(VALU_DEP_2)
	v_cmpx_ne_u32_e32 0x7f, v52
	s_cbranch_execz .LBB260_863
; %bb.860:                              ;   in Loop: Header=BB260_545 Depth=1
	v_and_b32_e32 v48, 7, v1
	v_lshrrev_b32_e32 v51, 3, v52
	s_mov_b32 s14, exec_lo
	v_cmpx_gt_u32_e32 8, v52
; %bb.861:                              ;   in Loop: Header=BB260_545 Depth=1
	s_delay_alu instid0(VALU_DEP_3) | instskip(NEXT) | instid1(VALU_DEP_1)
	v_clz_i32_u32_e32 v48, v48
	v_min_u32_e32 v48, 32, v48
	s_delay_alu instid0(VALU_DEP_1) | instskip(NEXT) | instid1(VALU_DEP_1)
	v_subrev_nc_u32_e32 v51, 28, v48
	v_lshlrev_b64_e32 v[52:53], v51, v[1:2]
	v_sub_nc_u32_e32 v51, 29, v48
	s_delay_alu instid0(VALU_DEP_2)
	v_and_b32_e32 v48, 7, v52
; %bb.862:                              ;   in Loop: Header=BB260_545 Depth=1
	s_wait_alu 0xfffe
	s_or_b32 exec_lo, exec_lo, s14
	v_lshlrev_b32_e32 v1, 8, v1
	v_lshl_add_u32 v51, v51, 10, 0x2000
	v_lshlrev_b32_e32 v48, 7, v48
	s_delay_alu instid0(VALU_DEP_3) | instskip(NEXT) | instid1(VALU_DEP_3)
	v_and_b32_e32 v1, 0x8000, v1
	v_and_b32_e32 v51, 0xfc00, v51
	s_delay_alu instid0(VALU_DEP_1)
	v_or3_b32 v48, v1, v51, v48
.LBB260_863:                            ;   in Loop: Header=BB260_545 Depth=1
	s_or_b32 exec_lo, exec_lo, s13
.LBB260_864:                            ;   in Loop: Header=BB260_545 Depth=1
	s_wait_alu 0xfffe
	s_or_b32 exec_lo, exec_lo, s7
.LBB260_865:                            ;   in Loop: Header=BB260_545 Depth=1
	s_wait_alu 0xfffe
	s_or_b32 exec_lo, exec_lo, s6
	v_cmp_lt_u64_e64 s0, s[2:3], v[9:10]
	v_mov_b32_e32 v9, 0
	s_and_saveexec_b32 s6, s0
	s_cbranch_execz .LBB260_873
; %bb.866:                              ;   in Loop: Header=BB260_545 Depth=1
	v_lshrrev_b32_e32 v1, 24, v10
	v_bfrev_b32_e32 v9, 1
	s_mov_b32 s7, exec_lo
	s_delay_alu instid0(VALU_DEP_2)
	v_cmpx_ne_u32_e32 0x80, v1
	s_cbranch_execz .LBB260_872
; %bb.867:                              ;   in Loop: Header=BB260_545 Depth=1
	v_and_b32_e32 v51, 0x7f, v1
	v_mov_b32_e32 v9, 0x7c010000
	s_mov_b32 s13, exec_lo
	s_delay_alu instid0(VALU_DEP_2)
	v_cmpx_ne_u32_e32 0x7f, v51
	s_cbranch_execz .LBB260_871
; %bb.868:                              ;   in Loop: Header=BB260_545 Depth=1
	v_and_b32_e32 v9, 7, v1
	v_lshrrev_b32_e32 v10, 3, v51
	s_mov_b32 s14, exec_lo
	v_cmpx_gt_u32_e32 8, v51
; %bb.869:                              ;   in Loop: Header=BB260_545 Depth=1
	s_delay_alu instid0(VALU_DEP_3) | instskip(NEXT) | instid1(VALU_DEP_1)
	v_clz_i32_u32_e32 v9, v9
	v_min_u32_e32 v51, 32, v9
	s_delay_alu instid0(VALU_DEP_1) | instskip(NEXT) | instid1(VALU_DEP_1)
	v_subrev_nc_u32_e32 v9, 28, v51
	v_lshlrev_b64_e32 v[9:10], v9, v[1:2]
	v_sub_nc_u32_e32 v10, 29, v51
	s_delay_alu instid0(VALU_DEP_2)
	v_and_b32_e32 v9, 7, v9
; %bb.870:                              ;   in Loop: Header=BB260_545 Depth=1
	s_wait_alu 0xfffe
	s_or_b32 exec_lo, exec_lo, s14
	v_lshlrev_b32_e32 v1, 8, v1
	v_lshl_add_u32 v10, v10, 10, 0x2000
	v_lshlrev_b32_e32 v9, 23, v9
	s_delay_alu instid0(VALU_DEP_2) | instskip(NEXT) | instid1(VALU_DEP_1)
	v_and_or_b32 v1, 0x8000, v1, v10
	v_lshl_or_b32 v9, v1, 16, v9
.LBB260_871:                            ;   in Loop: Header=BB260_545 Depth=1
	s_or_b32 exec_lo, exec_lo, s13
.LBB260_872:                            ;   in Loop: Header=BB260_545 Depth=1
	s_wait_alu 0xfffe
	s_or_b32 exec_lo, exec_lo, s7
.LBB260_873:                            ;   in Loop: Header=BB260_545 Depth=1
	s_wait_alu 0xfffe
	s_or_b32 exec_lo, exec_lo, s6
	v_or_b32_e32 v1, v46, v47
	s_wait_loadcnt 0x0
	v_fma_mixlo_f16 v10, v43, v46, 0 op_sel:[0,1,0] op_sel_hi:[0,1,0]
	v_or_b32_e32 v46, v44, v45
	v_fma_mixlo_f16 v44, v43, v44, 0 op_sel:[0,1,0] op_sel_hi:[0,1,0]
	v_or_b32_e32 v47, v50, v49
	v_or_b32_e32 v48, v9, v48
	v_fma_mixlo_f16 v49, v43, v1, 0 op_sel_hi:[0,1,0]
	v_fma_mixlo_f16 v9, v43, v9, 0 op_sel:[0,1,0] op_sel_hi:[0,1,0]
	v_lshlrev_b32_e32 v45, 16, v44
	v_fma_mixlo_f16 v44, v43, v46, 0 op_sel_hi:[0,1,0]
	v_fma_mixlo_f16 v46, v43, v50, 0 op_sel:[0,1,0] op_sel_hi:[0,1,0]
	v_fma_mixlo_f16 v47, v43, v47, 0 op_sel_hi:[0,1,0]
	v_fma_mixlo_f16 v48, v43, v48, 0 op_sel_hi:[0,1,0]
	v_lshlrev_b32_e32 v1, 16, v10
	v_and_b32_e32 v10, 0xffff, v49
	v_and_b32_e32 v51, 0xffff, v44
	v_lshlrev_b32_e32 v43, 16, v46
	v_and_b32_e32 v47, 0xffff, v47
	v_lshlrev_b32_e32 v9, 16, v9
	v_and_b32_e32 v44, 0xffff, v48
	v_or_b32_e32 v46, v1, v10
	v_or_b32_e32 v50, v45, v51
	;; [unrolled: 1-line block ×3, first 2 shown]
	s_delay_alu instid0(VALU_DEP_4)
	v_or_b32_e32 v48, v9, v44
	s_and_saveexec_b32 s6, vcc_lo
	s_cbranch_execz .LBB260_875
; %bb.874:                              ;   in Loop: Header=BB260_545 Depth=1
	v_cmp_gt_i32_e64 s0, s17, v24
	s_wait_alu 0xf1ff
	s_delay_alu instid0(VALU_DEP_1) | instskip(SKIP_2) | instid1(VALU_DEP_1)
	v_cndmask_b32_e64 v46, 0, v51, s0
	v_cmp_gt_i32_e64 s0, s17, v30
	s_wait_alu 0xf1ff
	v_cndmask_b32_e64 v45, 0, v45, s0
	v_cmp_gt_i32_e64 s0, s17, v29
	s_delay_alu instid0(VALU_DEP_2) | instskip(SKIP_1) | instid1(VALU_DEP_2)
	v_or_b32_e32 v50, v45, v46
	s_wait_alu 0xf1ff
	v_cndmask_b32_e64 v10, 0, v10, s0
	v_cmp_gt_i32_e64 s0, s17, v28
	s_wait_alu 0xf1ff
	s_delay_alu instid0(VALU_DEP_1) | instskip(SKIP_1) | instid1(VALU_DEP_2)
	v_cndmask_b32_e64 v1, 0, v1, s0
	v_cmp_gt_i32_e64 s0, s17, v27
	v_or_b32_e32 v46, v1, v10
	s_wait_alu 0xf1ff
	s_delay_alu instid0(VALU_DEP_2) | instskip(SKIP_2) | instid1(VALU_DEP_1)
	v_cndmask_b32_e64 v47, 0, v47, s0
	v_cmp_gt_i32_e64 s0, s17, v26
	s_wait_alu 0xf1ff
	v_cndmask_b32_e64 v43, 0, v43, s0
	v_cmp_gt_i32_e64 s0, s17, v25
	s_delay_alu instid0(VALU_DEP_2) | instskip(SKIP_1) | instid1(VALU_DEP_2)
	v_or_b32_e32 v49, v43, v47
	s_wait_alu 0xf1ff
	v_cndmask_b32_e64 v44, 0, v44, s0
	v_cmp_gt_i32_e64 s0, s17, v22
	s_wait_alu 0xf1ff
	s_delay_alu instid0(VALU_DEP_1) | instskip(NEXT) | instid1(VALU_DEP_1)
	v_cndmask_b32_e64 v9, 0, v9, s0
	v_or_b32_e32 v48, v9, v44
.LBB260_875:                            ;   in Loop: Header=BB260_545 Depth=1
	s_wait_alu 0xfffe
	s_or_b32 exec_lo, exec_lo, s6
	;;#ASMSTART
	v_pk_mul_f16 v1, v35, v50;

	;;#ASMEND
	;;#ASMSTART
	v_pk_mul_f16 v9, v33, v46;

	;;#ASMEND
	;; [unrolled: 4-line block ×4, first 2 shown]
	;;#ASMSTART
	v_pk_add_f16 v1, v1, v9;

	;;#ASMEND
	;;#ASMSTART
	v_pk_add_f16 v1, v1, v10;

	;;#ASMEND
	;; [unrolled: 4-line block ×3, first 2 shown]
	v_dual_mov_b32 v46, 0 :: v_dual_and_b32 v9, 0xffff, v1
	v_lshrrev_b32_e32 v1, 16, v1
	;;#ASMSTART
	v_cvt_f32_f16 v43, v9;
	;;#ASMEND
	;;#ASMSTART
	v_cvt_f32_f16 v44, v1;
	;;#ASMEND
	global_load_b64 v[9:10], v[7:8], off offset:1280
	global_load_b32 v45, v46, s[10:11]
	v_mov_b32_e32 v47, 0
	s_mov_b32 s6, exec_lo
	s_wait_loadcnt 0x1
	v_and_b32_e32 v1, 0xff, v9
	s_delay_alu instid0(VALU_DEP_1)
	v_cmpx_ne_u16_e32 0, v1
	s_cbranch_execz .LBB260_883
; %bb.876:                              ;   in Loop: Header=BB260_545 Depth=1
	v_mov_b32_e32 v47, 0x8000
	s_mov_b32 s7, exec_lo
	v_cmpx_ne_u16_e32 0x80, v1
	s_cbranch_execz .LBB260_882
; %bb.877:                              ;   in Loop: Header=BB260_545 Depth=1
	v_and_b32_e32 v48, 0x7f, v9
	v_mov_b32_e32 v47, 0x7c01
	s_mov_b32 s13, exec_lo
	s_delay_alu instid0(VALU_DEP_2)
	v_cmpx_ne_u32_e32 0x7f, v48
	s_cbranch_execz .LBB260_881
; %bb.878:                              ;   in Loop: Header=BB260_545 Depth=1
	v_and_b32_e32 v1, 7, v9
	v_lshrrev_b32_e32 v47, 3, v48
	s_mov_b32 s14, exec_lo
	v_cmpx_gt_u32_e32 8, v48
; %bb.879:                              ;   in Loop: Header=BB260_545 Depth=1
	s_delay_alu instid0(VALU_DEP_3) | instskip(NEXT) | instid1(VALU_DEP_1)
	v_clz_i32_u32_e32 v1, v1
	v_min_u32_e32 v1, 32, v1
	s_delay_alu instid0(VALU_DEP_1) | instskip(NEXT) | instid1(VALU_DEP_1)
	v_subrev_nc_u32_e32 v47, 28, v1
	v_lshlrev_b64_e32 v[48:49], v47, v[9:10]
	v_sub_nc_u32_e32 v47, 29, v1
	s_delay_alu instid0(VALU_DEP_2)
	v_and_b32_e32 v1, 7, v48
; %bb.880:                              ;   in Loop: Header=BB260_545 Depth=1
	s_wait_alu 0xfffe
	s_or_b32 exec_lo, exec_lo, s14
	v_lshlrev_b32_e32 v48, 8, v9
	v_lshl_add_u32 v47, v47, 10, 0x2000
	v_lshlrev_b32_e32 v1, 7, v1
	s_delay_alu instid0(VALU_DEP_3) | instskip(NEXT) | instid1(VALU_DEP_3)
	v_and_b32_e32 v48, 0x8000, v48
	v_and_b32_e32 v47, 0xfc00, v47
	s_delay_alu instid0(VALU_DEP_1)
	v_or3_b32 v47, v48, v47, v1
.LBB260_881:                            ;   in Loop: Header=BB260_545 Depth=1
	s_or_b32 exec_lo, exec_lo, s13
.LBB260_882:                            ;   in Loop: Header=BB260_545 Depth=1
	s_wait_alu 0xfffe
	s_or_b32 exec_lo, exec_lo, s7
.LBB260_883:                            ;   in Loop: Header=BB260_545 Depth=1
	s_wait_alu 0xfffe
	s_or_b32 exec_lo, exec_lo, s6
	v_lshrrev_b16 v1, 8, v9
	s_mov_b32 s6, exec_lo
	s_delay_alu instid0(VALU_DEP_1)
	v_cmpx_ne_u16_e32 0, v1
	s_cbranch_execz .LBB260_891
; %bb.884:                              ;   in Loop: Header=BB260_545 Depth=1
	v_bfrev_b32_e32 v46, 1
	s_mov_b32 s7, exec_lo
	v_cmpx_ne_u16_e32 0x80, v1
	s_cbranch_execz .LBB260_890
; %bb.885:                              ;   in Loop: Header=BB260_545 Depth=1
	v_and_b32_e32 v48, 0xffff, v1
	v_mov_b32_e32 v46, 0x7c010000
	s_mov_b32 s13, exec_lo
	s_delay_alu instid0(VALU_DEP_2) | instskip(NEXT) | instid1(VALU_DEP_1)
	v_and_b32_e32 v50, 0x7f, v48
	v_cmpx_ne_u32_e32 0x7f, v50
	s_cbranch_execz .LBB260_889
; %bb.886:                              ;   in Loop: Header=BB260_545 Depth=1
	v_and_b32_e32 v46, 7, v48
	v_lshrrev_b32_e32 v49, 3, v50
	s_mov_b32 s14, exec_lo
	v_cmpx_gt_u32_e32 8, v50
; %bb.887:                              ;   in Loop: Header=BB260_545 Depth=1
	s_delay_alu instid0(VALU_DEP_3) | instskip(NEXT) | instid1(VALU_DEP_1)
	v_clz_i32_u32_e32 v46, v46
	v_min_u32_e32 v46, 32, v46
	s_delay_alu instid0(VALU_DEP_1) | instskip(NEXT) | instid1(VALU_DEP_1)
	v_subrev_nc_u32_e32 v49, 28, v46
	v_lshlrev_b64_e32 v[50:51], v49, v[1:2]
	v_sub_nc_u32_e32 v49, 29, v46
	s_delay_alu instid0(VALU_DEP_2)
	v_and_b32_e32 v46, 7, v50
; %bb.888:                              ;   in Loop: Header=BB260_545 Depth=1
	s_wait_alu 0xfffe
	s_or_b32 exec_lo, exec_lo, s14
	v_lshlrev_b32_e32 v1, 8, v48
	v_lshl_add_u32 v48, v49, 10, 0x2000
	v_lshlrev_b32_e32 v46, 23, v46
	s_delay_alu instid0(VALU_DEP_2) | instskip(NEXT) | instid1(VALU_DEP_1)
	v_and_or_b32 v1, 0x8000, v1, v48
	v_lshl_or_b32 v46, v1, 16, v46
.LBB260_889:                            ;   in Loop: Header=BB260_545 Depth=1
	s_or_b32 exec_lo, exec_lo, s13
.LBB260_890:                            ;   in Loop: Header=BB260_545 Depth=1
	s_wait_alu 0xfffe
	s_or_b32 exec_lo, exec_lo, s7
.LBB260_891:                            ;   in Loop: Header=BB260_545 Depth=1
	s_wait_alu 0xfffe
	s_or_b32 exec_lo, exec_lo, s6
	v_lshrrev_b32_e32 v1, 16, v9
	v_mov_b32_e32 v48, 0
	s_mov_b32 s6, exec_lo
	s_delay_alu instid0(VALU_DEP_2) | instskip(NEXT) | instid1(VALU_DEP_1)
	v_dual_mov_b32 v49, 0 :: v_dual_and_b32 v50, 0xff, v1
	v_cmpx_ne_u16_e32 0, v50
	s_cbranch_execz .LBB260_899
; %bb.892:                              ;   in Loop: Header=BB260_545 Depth=1
	v_mov_b32_e32 v49, 0x8000
	s_mov_b32 s7, exec_lo
	v_cmpx_ne_u16_e32 0x80, v50
	s_cbranch_execz .LBB260_898
; %bb.893:                              ;   in Loop: Header=BB260_545 Depth=1
	v_bfe_u32 v51, v9, 16, 7
	v_mov_b32_e32 v49, 0x7c01
	s_mov_b32 s13, exec_lo
	s_delay_alu instid0(VALU_DEP_2)
	v_cmpx_ne_u32_e32 0x7f, v51
	s_cbranch_execz .LBB260_897
; %bb.894:                              ;   in Loop: Header=BB260_545 Depth=1
	v_and_b32_e32 v49, 7, v1
	v_lshrrev_b32_e32 v50, 3, v51
	s_mov_b32 s14, exec_lo
	v_cmpx_gt_u32_e32 8, v51
; %bb.895:                              ;   in Loop: Header=BB260_545 Depth=1
	s_delay_alu instid0(VALU_DEP_3) | instskip(NEXT) | instid1(VALU_DEP_1)
	v_clz_i32_u32_e32 v49, v49
	v_min_u32_e32 v51, 32, v49
	s_delay_alu instid0(VALU_DEP_1) | instskip(NEXT) | instid1(VALU_DEP_1)
	v_subrev_nc_u32_e32 v49, 28, v51
	v_lshlrev_b64_e32 v[49:50], v49, v[1:2]
	v_sub_nc_u32_e32 v50, 29, v51
	s_delay_alu instid0(VALU_DEP_2)
	v_and_b32_e32 v49, 7, v49
; %bb.896:                              ;   in Loop: Header=BB260_545 Depth=1
	s_wait_alu 0xfffe
	s_or_b32 exec_lo, exec_lo, s14
	v_lshlrev_b32_e32 v1, 8, v1
	v_lshl_add_u32 v50, v50, 10, 0x2000
	v_lshlrev_b32_e32 v49, 7, v49
	s_delay_alu instid0(VALU_DEP_3) | instskip(NEXT) | instid1(VALU_DEP_3)
	v_and_b32_e32 v1, 0x8000, v1
	v_and_b32_e32 v50, 0xfc00, v50
	s_delay_alu instid0(VALU_DEP_1)
	v_or3_b32 v49, v1, v50, v49
.LBB260_897:                            ;   in Loop: Header=BB260_545 Depth=1
	s_or_b32 exec_lo, exec_lo, s13
.LBB260_898:                            ;   in Loop: Header=BB260_545 Depth=1
	s_wait_alu 0xfffe
	s_or_b32 exec_lo, exec_lo, s7
.LBB260_899:                            ;   in Loop: Header=BB260_545 Depth=1
	s_wait_alu 0xfffe
	s_or_b32 exec_lo, exec_lo, s6
	s_delay_alu instid0(SALU_CYCLE_1)
	s_mov_b32 s6, exec_lo
	v_cmpx_lt_u32_e32 0xffffff, v9
	s_cbranch_execz .LBB260_907
; %bb.900:                              ;   in Loop: Header=BB260_545 Depth=1
	v_lshrrev_b32_e32 v1, 24, v9
	v_bfrev_b32_e32 v48, 1
	s_mov_b32 s7, exec_lo
	s_delay_alu instid0(VALU_DEP_2)
	v_cmpx_ne_u32_e32 0x80, v1
	s_cbranch_execz .LBB260_906
; %bb.901:                              ;   in Loop: Header=BB260_545 Depth=1
	v_and_b32_e32 v51, 0x7f, v1
	v_mov_b32_e32 v48, 0x7c010000
	s_mov_b32 s13, exec_lo
	s_delay_alu instid0(VALU_DEP_2)
	v_cmpx_ne_u32_e32 0x7f, v51
	s_cbranch_execz .LBB260_905
; %bb.902:                              ;   in Loop: Header=BB260_545 Depth=1
	v_and_b32_e32 v48, 7, v1
	v_lshrrev_b32_e32 v50, 3, v51
	s_mov_b32 s14, exec_lo
	v_cmpx_gt_u32_e32 8, v51
; %bb.903:                              ;   in Loop: Header=BB260_545 Depth=1
	s_delay_alu instid0(VALU_DEP_3) | instskip(NEXT) | instid1(VALU_DEP_1)
	v_clz_i32_u32_e32 v48, v48
	v_min_u32_e32 v48, 32, v48
	s_delay_alu instid0(VALU_DEP_1) | instskip(NEXT) | instid1(VALU_DEP_1)
	v_subrev_nc_u32_e32 v50, 28, v48
	v_lshlrev_b64_e32 v[51:52], v50, v[1:2]
	v_sub_nc_u32_e32 v50, 29, v48
	s_delay_alu instid0(VALU_DEP_2)
	v_and_b32_e32 v48, 7, v51
; %bb.904:                              ;   in Loop: Header=BB260_545 Depth=1
	s_wait_alu 0xfffe
	s_or_b32 exec_lo, exec_lo, s14
	v_lshlrev_b32_e32 v1, 8, v1
	v_lshl_add_u32 v50, v50, 10, 0x2000
	v_lshlrev_b32_e32 v48, 23, v48
	s_delay_alu instid0(VALU_DEP_2) | instskip(NEXT) | instid1(VALU_DEP_1)
	v_and_or_b32 v1, 0x8000, v1, v50
	v_lshl_or_b32 v48, v1, 16, v48
.LBB260_905:                            ;   in Loop: Header=BB260_545 Depth=1
	s_or_b32 exec_lo, exec_lo, s13
.LBB260_906:                            ;   in Loop: Header=BB260_545 Depth=1
	s_wait_alu 0xfffe
	s_or_b32 exec_lo, exec_lo, s7
.LBB260_907:                            ;   in Loop: Header=BB260_545 Depth=1
	s_wait_alu 0xfffe
	s_or_b32 exec_lo, exec_lo, s6
	v_dual_mov_b32 v1, v10 :: v_dual_and_b32 v52, 0xff, v10
	v_dual_mov_b32 v50, 0 :: v_dual_mov_b32 v51, 0
	s_mov_b32 s6, exec_lo
	s_delay_alu instid0(VALU_DEP_2)
	v_cmpx_ne_u16_e32 0, v52
	s_cbranch_execz .LBB260_915
; %bb.908:                              ;   in Loop: Header=BB260_545 Depth=1
	v_mov_b32_e32 v51, 0x8000
	s_mov_b32 s7, exec_lo
	v_cmpx_ne_u16_e32 0x80, v52
	s_cbranch_execz .LBB260_914
; %bb.909:                              ;   in Loop: Header=BB260_545 Depth=1
	v_and_b32_e32 v53, 0x7f, v10
	v_mov_b32_e32 v51, 0x7c01
	s_mov_b32 s13, exec_lo
	s_delay_alu instid0(VALU_DEP_2)
	v_cmpx_ne_u32_e32 0x7f, v53
	s_cbranch_execz .LBB260_913
; %bb.910:                              ;   in Loop: Header=BB260_545 Depth=1
	v_and_b32_e32 v51, 7, v10
	v_lshrrev_b32_e32 v52, 3, v53
	s_mov_b32 s14, exec_lo
	v_cmpx_gt_u32_e32 8, v53
; %bb.911:                              ;   in Loop: Header=BB260_545 Depth=1
	s_delay_alu instid0(VALU_DEP_3) | instskip(NEXT) | instid1(VALU_DEP_1)
	v_clz_i32_u32_e32 v51, v51
	v_min_u32_e32 v53, 32, v51
	s_delay_alu instid0(VALU_DEP_1) | instskip(NEXT) | instid1(VALU_DEP_1)
	v_subrev_nc_u32_e32 v51, 28, v53
	v_lshlrev_b64_e32 v[51:52], v51, v[1:2]
	v_sub_nc_u32_e32 v52, 29, v53
	s_delay_alu instid0(VALU_DEP_2)
	v_and_b32_e32 v51, 7, v51
; %bb.912:                              ;   in Loop: Header=BB260_545 Depth=1
	s_wait_alu 0xfffe
	s_or_b32 exec_lo, exec_lo, s14
	v_lshlrev_b32_e32 v53, 8, v10
	v_lshl_add_u32 v52, v52, 10, 0x2000
	v_lshlrev_b32_e32 v51, 7, v51
	s_delay_alu instid0(VALU_DEP_3) | instskip(NEXT) | instid1(VALU_DEP_3)
	v_and_b32_e32 v53, 0x8000, v53
	v_and_b32_e32 v52, 0xfc00, v52
	s_delay_alu instid0(VALU_DEP_1)
	v_or3_b32 v51, v53, v52, v51
.LBB260_913:                            ;   in Loop: Header=BB260_545 Depth=1
	s_or_b32 exec_lo, exec_lo, s13
.LBB260_914:                            ;   in Loop: Header=BB260_545 Depth=1
	s_wait_alu 0xfffe
	s_or_b32 exec_lo, exec_lo, s7
.LBB260_915:                            ;   in Loop: Header=BB260_545 Depth=1
	s_wait_alu 0xfffe
	s_or_b32 exec_lo, exec_lo, s6
	v_lshrrev_b16 v1, 8, v1
	v_mov_b32_e32 v52, 0
	s_mov_b32 s6, exec_lo
	s_delay_alu instid0(VALU_DEP_2)
	v_cmpx_ne_u16_e32 0, v1
	s_cbranch_execz .LBB260_923
; %bb.916:                              ;   in Loop: Header=BB260_545 Depth=1
	v_bfrev_b32_e32 v52, 1
	s_mov_b32 s7, exec_lo
	v_cmpx_ne_u16_e32 0x80, v1
	s_cbranch_execz .LBB260_922
; %bb.917:                              ;   in Loop: Header=BB260_545 Depth=1
	v_and_b32_e32 v53, 0xffff, v1
	v_mov_b32_e32 v52, 0x7c010000
	s_mov_b32 s13, exec_lo
	s_delay_alu instid0(VALU_DEP_2) | instskip(NEXT) | instid1(VALU_DEP_1)
	v_and_b32_e32 v55, 0x7f, v53
	v_cmpx_ne_u32_e32 0x7f, v55
	s_cbranch_execz .LBB260_921
; %bb.918:                              ;   in Loop: Header=BB260_545 Depth=1
	v_and_b32_e32 v52, 7, v53
	v_lshrrev_b32_e32 v54, 3, v55
	s_mov_b32 s14, exec_lo
	v_cmpx_gt_u32_e32 8, v55
; %bb.919:                              ;   in Loop: Header=BB260_545 Depth=1
	s_delay_alu instid0(VALU_DEP_3) | instskip(NEXT) | instid1(VALU_DEP_1)
	v_clz_i32_u32_e32 v52, v52
	v_min_u32_e32 v52, 32, v52
	s_delay_alu instid0(VALU_DEP_1) | instskip(NEXT) | instid1(VALU_DEP_1)
	v_subrev_nc_u32_e32 v54, 28, v52
	v_lshlrev_b64_e32 v[55:56], v54, v[1:2]
	v_sub_nc_u32_e32 v54, 29, v52
	s_delay_alu instid0(VALU_DEP_2)
	v_and_b32_e32 v52, 7, v55
; %bb.920:                              ;   in Loop: Header=BB260_545 Depth=1
	s_wait_alu 0xfffe
	s_or_b32 exec_lo, exec_lo, s14
	v_lshlrev_b32_e32 v1, 8, v53
	v_lshl_add_u32 v53, v54, 10, 0x2000
	v_lshlrev_b32_e32 v52, 23, v52
	s_delay_alu instid0(VALU_DEP_2) | instskip(NEXT) | instid1(VALU_DEP_1)
	v_and_or_b32 v1, 0x8000, v1, v53
	v_lshl_or_b32 v52, v1, 16, v52
.LBB260_921:                            ;   in Loop: Header=BB260_545 Depth=1
	s_or_b32 exec_lo, exec_lo, s13
.LBB260_922:                            ;   in Loop: Header=BB260_545 Depth=1
	s_wait_alu 0xfffe
	s_or_b32 exec_lo, exec_lo, s7
.LBB260_923:                            ;   in Loop: Header=BB260_545 Depth=1
	s_wait_alu 0xfffe
	s_or_b32 exec_lo, exec_lo, s6
	v_lshrrev_b32_e32 v1, 16, v10
	s_mov_b32 s6, exec_lo
	s_delay_alu instid0(VALU_DEP_1) | instskip(NEXT) | instid1(VALU_DEP_1)
	v_and_b32_e32 v53, 0xff, v1
	v_cmpx_ne_u16_e32 0, v53
	s_cbranch_execz .LBB260_931
; %bb.924:                              ;   in Loop: Header=BB260_545 Depth=1
	v_mov_b32_e32 v50, 0x8000
	s_mov_b32 s7, exec_lo
	v_cmpx_ne_u16_e32 0x80, v53
	s_cbranch_execz .LBB260_930
; %bb.925:                              ;   in Loop: Header=BB260_545 Depth=1
	v_bfe_u32 v54, v10, 16, 7
	v_mov_b32_e32 v50, 0x7c01
	s_mov_b32 s13, exec_lo
	s_delay_alu instid0(VALU_DEP_2)
	v_cmpx_ne_u32_e32 0x7f, v54
	s_cbranch_execz .LBB260_929
; %bb.926:                              ;   in Loop: Header=BB260_545 Depth=1
	v_and_b32_e32 v50, 7, v1
	v_lshrrev_b32_e32 v53, 3, v54
	s_mov_b32 s14, exec_lo
	v_cmpx_gt_u32_e32 8, v54
; %bb.927:                              ;   in Loop: Header=BB260_545 Depth=1
	s_delay_alu instid0(VALU_DEP_3) | instskip(NEXT) | instid1(VALU_DEP_1)
	v_clz_i32_u32_e32 v50, v50
	v_min_u32_e32 v50, 32, v50
	s_delay_alu instid0(VALU_DEP_1) | instskip(NEXT) | instid1(VALU_DEP_1)
	v_subrev_nc_u32_e32 v53, 28, v50
	v_lshlrev_b64_e32 v[54:55], v53, v[1:2]
	v_sub_nc_u32_e32 v53, 29, v50
	s_delay_alu instid0(VALU_DEP_2)
	v_and_b32_e32 v50, 7, v54
; %bb.928:                              ;   in Loop: Header=BB260_545 Depth=1
	s_wait_alu 0xfffe
	s_or_b32 exec_lo, exec_lo, s14
	v_lshlrev_b32_e32 v1, 8, v1
	v_lshl_add_u32 v53, v53, 10, 0x2000
	v_lshlrev_b32_e32 v50, 7, v50
	s_delay_alu instid0(VALU_DEP_3) | instskip(NEXT) | instid1(VALU_DEP_3)
	v_and_b32_e32 v1, 0x8000, v1
	v_and_b32_e32 v53, 0xfc00, v53
	s_delay_alu instid0(VALU_DEP_1)
	v_or3_b32 v50, v1, v53, v50
.LBB260_929:                            ;   in Loop: Header=BB260_545 Depth=1
	s_or_b32 exec_lo, exec_lo, s13
.LBB260_930:                            ;   in Loop: Header=BB260_545 Depth=1
	s_wait_alu 0xfffe
	s_or_b32 exec_lo, exec_lo, s7
.LBB260_931:                            ;   in Loop: Header=BB260_545 Depth=1
	s_wait_alu 0xfffe
	s_or_b32 exec_lo, exec_lo, s6
	v_cmp_lt_u64_e64 s0, s[2:3], v[9:10]
	v_mov_b32_e32 v9, 0
	s_and_saveexec_b32 s6, s0
	s_cbranch_execz .LBB260_939
; %bb.932:                              ;   in Loop: Header=BB260_545 Depth=1
	v_lshrrev_b32_e32 v1, 24, v10
	v_bfrev_b32_e32 v9, 1
	s_mov_b32 s7, exec_lo
	s_delay_alu instid0(VALU_DEP_2)
	v_cmpx_ne_u32_e32 0x80, v1
	s_cbranch_execz .LBB260_938
; %bb.933:                              ;   in Loop: Header=BB260_545 Depth=1
	v_and_b32_e32 v53, 0x7f, v1
	v_mov_b32_e32 v9, 0x7c010000
	s_mov_b32 s13, exec_lo
	s_delay_alu instid0(VALU_DEP_2)
	v_cmpx_ne_u32_e32 0x7f, v53
	s_cbranch_execz .LBB260_937
; %bb.934:                              ;   in Loop: Header=BB260_545 Depth=1
	v_and_b32_e32 v9, 7, v1
	v_lshrrev_b32_e32 v10, 3, v53
	s_mov_b32 s14, exec_lo
	v_cmpx_gt_u32_e32 8, v53
; %bb.935:                              ;   in Loop: Header=BB260_545 Depth=1
	s_delay_alu instid0(VALU_DEP_3) | instskip(NEXT) | instid1(VALU_DEP_1)
	v_clz_i32_u32_e32 v9, v9
	v_min_u32_e32 v53, 32, v9
	s_delay_alu instid0(VALU_DEP_1) | instskip(NEXT) | instid1(VALU_DEP_1)
	v_subrev_nc_u32_e32 v9, 28, v53
	v_lshlrev_b64_e32 v[9:10], v9, v[1:2]
	v_sub_nc_u32_e32 v10, 29, v53
	s_delay_alu instid0(VALU_DEP_2)
	v_and_b32_e32 v9, 7, v9
; %bb.936:                              ;   in Loop: Header=BB260_545 Depth=1
	s_wait_alu 0xfffe
	s_or_b32 exec_lo, exec_lo, s14
	v_lshlrev_b32_e32 v1, 8, v1
	v_lshl_add_u32 v10, v10, 10, 0x2000
	v_lshlrev_b32_e32 v9, 23, v9
	s_delay_alu instid0(VALU_DEP_2) | instskip(NEXT) | instid1(VALU_DEP_1)
	v_and_or_b32 v1, 0x8000, v1, v10
	v_lshl_or_b32 v9, v1, 16, v9
.LBB260_937:                            ;   in Loop: Header=BB260_545 Depth=1
	s_or_b32 exec_lo, exec_lo, s13
.LBB260_938:                            ;   in Loop: Header=BB260_545 Depth=1
	s_wait_alu 0xfffe
	s_or_b32 exec_lo, exec_lo, s7
.LBB260_939:                            ;   in Loop: Header=BB260_545 Depth=1
	s_wait_alu 0xfffe
	s_or_b32 exec_lo, exec_lo, s6
	v_or_b32_e32 v1, v48, v49
	s_wait_loadcnt 0x0
	v_fma_mixlo_f16 v10, v45, v48, 0 op_sel:[0,1,0] op_sel_hi:[0,1,0]
	v_or_b32_e32 v48, v46, v47
	v_fma_mixlo_f16 v46, v45, v46, 0 op_sel:[0,1,0] op_sel_hi:[0,1,0]
	v_or_b32_e32 v49, v52, v51
	v_or_b32_e32 v50, v9, v50
	v_fma_mixlo_f16 v51, v45, v1, 0 op_sel_hi:[0,1,0]
	v_fma_mixlo_f16 v9, v45, v9, 0 op_sel:[0,1,0] op_sel_hi:[0,1,0]
	v_lshlrev_b32_e32 v47, 16, v46
	v_fma_mixlo_f16 v46, v45, v48, 0 op_sel_hi:[0,1,0]
	v_fma_mixlo_f16 v48, v45, v52, 0 op_sel:[0,1,0] op_sel_hi:[0,1,0]
	v_fma_mixlo_f16 v49, v45, v49, 0 op_sel_hi:[0,1,0]
	v_fma_mixlo_f16 v50, v45, v50, 0 op_sel_hi:[0,1,0]
	v_lshlrev_b32_e32 v1, 16, v10
	v_and_b32_e32 v10, 0xffff, v51
	v_and_b32_e32 v53, 0xffff, v46
	v_lshlrev_b32_e32 v45, 16, v48
	v_and_b32_e32 v49, 0xffff, v49
	v_lshlrev_b32_e32 v9, 16, v9
	v_and_b32_e32 v46, 0xffff, v50
	v_or_b32_e32 v48, v1, v10
	v_or_b32_e32 v52, v47, v53
	;; [unrolled: 1-line block ×3, first 2 shown]
	s_delay_alu instid0(VALU_DEP_4)
	v_or_b32_e32 v50, v9, v46
	s_and_saveexec_b32 s6, vcc_lo
	s_cbranch_execz .LBB260_941
; %bb.940:                              ;   in Loop: Header=BB260_545 Depth=1
	v_cmp_gt_i32_e64 s0, s17, v24
	s_wait_alu 0xf1ff
	s_delay_alu instid0(VALU_DEP_1) | instskip(SKIP_2) | instid1(VALU_DEP_1)
	v_cndmask_b32_e64 v48, 0, v53, s0
	v_cmp_gt_i32_e64 s0, s17, v30
	s_wait_alu 0xf1ff
	v_cndmask_b32_e64 v47, 0, v47, s0
	v_cmp_gt_i32_e64 s0, s17, v29
	s_delay_alu instid0(VALU_DEP_2) | instskip(SKIP_1) | instid1(VALU_DEP_2)
	v_or_b32_e32 v52, v47, v48
	s_wait_alu 0xf1ff
	v_cndmask_b32_e64 v10, 0, v10, s0
	v_cmp_gt_i32_e64 s0, s17, v28
	s_wait_alu 0xf1ff
	s_delay_alu instid0(VALU_DEP_1) | instskip(SKIP_1) | instid1(VALU_DEP_2)
	v_cndmask_b32_e64 v1, 0, v1, s0
	v_cmp_gt_i32_e64 s0, s17, v27
	v_or_b32_e32 v48, v1, v10
	s_wait_alu 0xf1ff
	s_delay_alu instid0(VALU_DEP_2) | instskip(SKIP_2) | instid1(VALU_DEP_1)
	v_cndmask_b32_e64 v49, 0, v49, s0
	v_cmp_gt_i32_e64 s0, s17, v26
	s_wait_alu 0xf1ff
	v_cndmask_b32_e64 v45, 0, v45, s0
	v_cmp_gt_i32_e64 s0, s17, v25
	s_delay_alu instid0(VALU_DEP_2) | instskip(SKIP_1) | instid1(VALU_DEP_2)
	v_or_b32_e32 v51, v45, v49
	s_wait_alu 0xf1ff
	v_cndmask_b32_e64 v46, 0, v46, s0
	v_cmp_gt_i32_e64 s0, s17, v22
	s_wait_alu 0xf1ff
	s_delay_alu instid0(VALU_DEP_1) | instskip(NEXT) | instid1(VALU_DEP_1)
	v_cndmask_b32_e64 v9, 0, v9, s0
	v_or_b32_e32 v50, v9, v46
.LBB260_941:                            ;   in Loop: Header=BB260_545 Depth=1
	s_wait_alu 0xfffe
	s_or_b32 exec_lo, exec_lo, s6
	;;#ASMSTART
	v_pk_mul_f16 v1, v35, v52;

	;;#ASMEND
	;;#ASMSTART
	v_pk_mul_f16 v9, v33, v48;

	;;#ASMEND
	;; [unrolled: 4-line block ×4, first 2 shown]
	;;#ASMSTART
	v_pk_add_f16 v1, v1, v9;

	;;#ASMEND
	;;#ASMSTART
	v_pk_add_f16 v1, v1, v10;

	;;#ASMEND
	;; [unrolled: 4-line block ×3, first 2 shown]
	v_dual_mov_b32 v48, 0 :: v_dual_and_b32 v9, 0xffff, v1
	v_lshrrev_b32_e32 v1, 16, v1
	;;#ASMSTART
	v_cvt_f32_f16 v45, v9;
	;;#ASMEND
	;;#ASMSTART
	v_cvt_f32_f16 v46, v1;
	;;#ASMEND
	global_load_b64 v[9:10], v[7:8], off offset:1536
	global_load_b32 v47, v48, s[10:11]
	v_mov_b32_e32 v49, 0
	s_mov_b32 s6, exec_lo
	s_wait_loadcnt 0x1
	v_and_b32_e32 v1, 0xff, v9
	s_delay_alu instid0(VALU_DEP_1)
	v_cmpx_ne_u16_e32 0, v1
	s_cbranch_execz .LBB260_949
; %bb.942:                              ;   in Loop: Header=BB260_545 Depth=1
	v_mov_b32_e32 v49, 0x8000
	s_mov_b32 s7, exec_lo
	v_cmpx_ne_u16_e32 0x80, v1
	s_cbranch_execz .LBB260_948
; %bb.943:                              ;   in Loop: Header=BB260_545 Depth=1
	v_and_b32_e32 v50, 0x7f, v9
	v_mov_b32_e32 v49, 0x7c01
	s_mov_b32 s13, exec_lo
	s_delay_alu instid0(VALU_DEP_2)
	v_cmpx_ne_u32_e32 0x7f, v50
	s_cbranch_execz .LBB260_947
; %bb.944:                              ;   in Loop: Header=BB260_545 Depth=1
	v_and_b32_e32 v1, 7, v9
	v_lshrrev_b32_e32 v49, 3, v50
	s_mov_b32 s14, exec_lo
	v_cmpx_gt_u32_e32 8, v50
; %bb.945:                              ;   in Loop: Header=BB260_545 Depth=1
	s_delay_alu instid0(VALU_DEP_3) | instskip(NEXT) | instid1(VALU_DEP_1)
	v_clz_i32_u32_e32 v1, v1
	v_min_u32_e32 v1, 32, v1
	s_delay_alu instid0(VALU_DEP_1) | instskip(NEXT) | instid1(VALU_DEP_1)
	v_subrev_nc_u32_e32 v49, 28, v1
	v_lshlrev_b64_e32 v[50:51], v49, v[9:10]
	v_sub_nc_u32_e32 v49, 29, v1
	s_delay_alu instid0(VALU_DEP_2)
	v_and_b32_e32 v1, 7, v50
; %bb.946:                              ;   in Loop: Header=BB260_545 Depth=1
	s_wait_alu 0xfffe
	s_or_b32 exec_lo, exec_lo, s14
	v_lshlrev_b32_e32 v50, 8, v9
	v_lshl_add_u32 v49, v49, 10, 0x2000
	v_lshlrev_b32_e32 v1, 7, v1
	s_delay_alu instid0(VALU_DEP_3) | instskip(NEXT) | instid1(VALU_DEP_3)
	v_and_b32_e32 v50, 0x8000, v50
	v_and_b32_e32 v49, 0xfc00, v49
	s_delay_alu instid0(VALU_DEP_1)
	v_or3_b32 v49, v50, v49, v1
.LBB260_947:                            ;   in Loop: Header=BB260_545 Depth=1
	s_or_b32 exec_lo, exec_lo, s13
.LBB260_948:                            ;   in Loop: Header=BB260_545 Depth=1
	s_wait_alu 0xfffe
	s_or_b32 exec_lo, exec_lo, s7
.LBB260_949:                            ;   in Loop: Header=BB260_545 Depth=1
	s_wait_alu 0xfffe
	s_or_b32 exec_lo, exec_lo, s6
	v_lshrrev_b16 v1, 8, v9
	s_mov_b32 s6, exec_lo
	s_delay_alu instid0(VALU_DEP_1)
	v_cmpx_ne_u16_e32 0, v1
	s_cbranch_execz .LBB260_957
; %bb.950:                              ;   in Loop: Header=BB260_545 Depth=1
	v_bfrev_b32_e32 v48, 1
	s_mov_b32 s7, exec_lo
	v_cmpx_ne_u16_e32 0x80, v1
	s_cbranch_execz .LBB260_956
; %bb.951:                              ;   in Loop: Header=BB260_545 Depth=1
	v_and_b32_e32 v50, 0xffff, v1
	v_mov_b32_e32 v48, 0x7c010000
	s_mov_b32 s13, exec_lo
	s_delay_alu instid0(VALU_DEP_2) | instskip(NEXT) | instid1(VALU_DEP_1)
	v_and_b32_e32 v52, 0x7f, v50
	v_cmpx_ne_u32_e32 0x7f, v52
	s_cbranch_execz .LBB260_955
; %bb.952:                              ;   in Loop: Header=BB260_545 Depth=1
	v_and_b32_e32 v48, 7, v50
	v_lshrrev_b32_e32 v51, 3, v52
	s_mov_b32 s14, exec_lo
	v_cmpx_gt_u32_e32 8, v52
; %bb.953:                              ;   in Loop: Header=BB260_545 Depth=1
	s_delay_alu instid0(VALU_DEP_3) | instskip(NEXT) | instid1(VALU_DEP_1)
	v_clz_i32_u32_e32 v48, v48
	v_min_u32_e32 v48, 32, v48
	s_delay_alu instid0(VALU_DEP_1) | instskip(NEXT) | instid1(VALU_DEP_1)
	v_subrev_nc_u32_e32 v51, 28, v48
	v_lshlrev_b64_e32 v[52:53], v51, v[1:2]
	v_sub_nc_u32_e32 v51, 29, v48
	s_delay_alu instid0(VALU_DEP_2)
	v_and_b32_e32 v48, 7, v52
; %bb.954:                              ;   in Loop: Header=BB260_545 Depth=1
	s_wait_alu 0xfffe
	s_or_b32 exec_lo, exec_lo, s14
	v_lshlrev_b32_e32 v1, 8, v50
	v_lshl_add_u32 v50, v51, 10, 0x2000
	v_lshlrev_b32_e32 v48, 23, v48
	s_delay_alu instid0(VALU_DEP_2) | instskip(NEXT) | instid1(VALU_DEP_1)
	v_and_or_b32 v1, 0x8000, v1, v50
	v_lshl_or_b32 v48, v1, 16, v48
.LBB260_955:                            ;   in Loop: Header=BB260_545 Depth=1
	s_or_b32 exec_lo, exec_lo, s13
.LBB260_956:                            ;   in Loop: Header=BB260_545 Depth=1
	s_wait_alu 0xfffe
	s_or_b32 exec_lo, exec_lo, s7
.LBB260_957:                            ;   in Loop: Header=BB260_545 Depth=1
	s_wait_alu 0xfffe
	s_or_b32 exec_lo, exec_lo, s6
	v_lshrrev_b32_e32 v1, 16, v9
	v_mov_b32_e32 v50, 0
	s_mov_b32 s6, exec_lo
	s_delay_alu instid0(VALU_DEP_2) | instskip(NEXT) | instid1(VALU_DEP_1)
	v_dual_mov_b32 v51, 0 :: v_dual_and_b32 v52, 0xff, v1
	v_cmpx_ne_u16_e32 0, v52
	s_cbranch_execz .LBB260_965
; %bb.958:                              ;   in Loop: Header=BB260_545 Depth=1
	v_mov_b32_e32 v51, 0x8000
	s_mov_b32 s7, exec_lo
	v_cmpx_ne_u16_e32 0x80, v52
	s_cbranch_execz .LBB260_964
; %bb.959:                              ;   in Loop: Header=BB260_545 Depth=1
	v_bfe_u32 v53, v9, 16, 7
	v_mov_b32_e32 v51, 0x7c01
	s_mov_b32 s13, exec_lo
	s_delay_alu instid0(VALU_DEP_2)
	v_cmpx_ne_u32_e32 0x7f, v53
	s_cbranch_execz .LBB260_963
; %bb.960:                              ;   in Loop: Header=BB260_545 Depth=1
	v_and_b32_e32 v51, 7, v1
	v_lshrrev_b32_e32 v52, 3, v53
	s_mov_b32 s14, exec_lo
	v_cmpx_gt_u32_e32 8, v53
; %bb.961:                              ;   in Loop: Header=BB260_545 Depth=1
	s_delay_alu instid0(VALU_DEP_3) | instskip(NEXT) | instid1(VALU_DEP_1)
	v_clz_i32_u32_e32 v51, v51
	v_min_u32_e32 v53, 32, v51
	s_delay_alu instid0(VALU_DEP_1) | instskip(NEXT) | instid1(VALU_DEP_1)
	v_subrev_nc_u32_e32 v51, 28, v53
	v_lshlrev_b64_e32 v[51:52], v51, v[1:2]
	v_sub_nc_u32_e32 v52, 29, v53
	s_delay_alu instid0(VALU_DEP_2)
	v_and_b32_e32 v51, 7, v51
; %bb.962:                              ;   in Loop: Header=BB260_545 Depth=1
	s_wait_alu 0xfffe
	s_or_b32 exec_lo, exec_lo, s14
	v_lshlrev_b32_e32 v1, 8, v1
	v_lshl_add_u32 v52, v52, 10, 0x2000
	v_lshlrev_b32_e32 v51, 7, v51
	s_delay_alu instid0(VALU_DEP_3) | instskip(NEXT) | instid1(VALU_DEP_3)
	v_and_b32_e32 v1, 0x8000, v1
	v_and_b32_e32 v52, 0xfc00, v52
	s_delay_alu instid0(VALU_DEP_1)
	v_or3_b32 v51, v1, v52, v51
.LBB260_963:                            ;   in Loop: Header=BB260_545 Depth=1
	s_or_b32 exec_lo, exec_lo, s13
.LBB260_964:                            ;   in Loop: Header=BB260_545 Depth=1
	s_wait_alu 0xfffe
	s_or_b32 exec_lo, exec_lo, s7
.LBB260_965:                            ;   in Loop: Header=BB260_545 Depth=1
	s_wait_alu 0xfffe
	s_or_b32 exec_lo, exec_lo, s6
	s_delay_alu instid0(SALU_CYCLE_1)
	s_mov_b32 s6, exec_lo
	v_cmpx_lt_u32_e32 0xffffff, v9
	s_cbranch_execz .LBB260_973
; %bb.966:                              ;   in Loop: Header=BB260_545 Depth=1
	v_lshrrev_b32_e32 v1, 24, v9
	v_bfrev_b32_e32 v50, 1
	s_mov_b32 s7, exec_lo
	s_delay_alu instid0(VALU_DEP_2)
	v_cmpx_ne_u32_e32 0x80, v1
	s_cbranch_execz .LBB260_972
; %bb.967:                              ;   in Loop: Header=BB260_545 Depth=1
	v_and_b32_e32 v53, 0x7f, v1
	v_mov_b32_e32 v50, 0x7c010000
	s_mov_b32 s13, exec_lo
	s_delay_alu instid0(VALU_DEP_2)
	v_cmpx_ne_u32_e32 0x7f, v53
	s_cbranch_execz .LBB260_971
; %bb.968:                              ;   in Loop: Header=BB260_545 Depth=1
	v_and_b32_e32 v50, 7, v1
	v_lshrrev_b32_e32 v52, 3, v53
	s_mov_b32 s14, exec_lo
	v_cmpx_gt_u32_e32 8, v53
; %bb.969:                              ;   in Loop: Header=BB260_545 Depth=1
	s_delay_alu instid0(VALU_DEP_3) | instskip(NEXT) | instid1(VALU_DEP_1)
	v_clz_i32_u32_e32 v50, v50
	v_min_u32_e32 v50, 32, v50
	s_delay_alu instid0(VALU_DEP_1) | instskip(NEXT) | instid1(VALU_DEP_1)
	v_subrev_nc_u32_e32 v52, 28, v50
	v_lshlrev_b64_e32 v[53:54], v52, v[1:2]
	v_sub_nc_u32_e32 v52, 29, v50
	s_delay_alu instid0(VALU_DEP_2)
	v_and_b32_e32 v50, 7, v53
; %bb.970:                              ;   in Loop: Header=BB260_545 Depth=1
	s_wait_alu 0xfffe
	s_or_b32 exec_lo, exec_lo, s14
	v_lshlrev_b32_e32 v1, 8, v1
	v_lshl_add_u32 v52, v52, 10, 0x2000
	v_lshlrev_b32_e32 v50, 23, v50
	s_delay_alu instid0(VALU_DEP_2) | instskip(NEXT) | instid1(VALU_DEP_1)
	v_and_or_b32 v1, 0x8000, v1, v52
	v_lshl_or_b32 v50, v1, 16, v50
.LBB260_971:                            ;   in Loop: Header=BB260_545 Depth=1
	s_or_b32 exec_lo, exec_lo, s13
.LBB260_972:                            ;   in Loop: Header=BB260_545 Depth=1
	s_wait_alu 0xfffe
	s_or_b32 exec_lo, exec_lo, s7
.LBB260_973:                            ;   in Loop: Header=BB260_545 Depth=1
	s_wait_alu 0xfffe
	s_or_b32 exec_lo, exec_lo, s6
	v_dual_mov_b32 v1, v10 :: v_dual_and_b32 v54, 0xff, v10
	v_dual_mov_b32 v52, 0 :: v_dual_mov_b32 v53, 0
	s_mov_b32 s6, exec_lo
	s_delay_alu instid0(VALU_DEP_2)
	v_cmpx_ne_u16_e32 0, v54
	s_cbranch_execz .LBB260_981
; %bb.974:                              ;   in Loop: Header=BB260_545 Depth=1
	v_mov_b32_e32 v53, 0x8000
	s_mov_b32 s7, exec_lo
	v_cmpx_ne_u16_e32 0x80, v54
	s_cbranch_execz .LBB260_980
; %bb.975:                              ;   in Loop: Header=BB260_545 Depth=1
	v_and_b32_e32 v55, 0x7f, v10
	v_mov_b32_e32 v53, 0x7c01
	s_mov_b32 s13, exec_lo
	s_delay_alu instid0(VALU_DEP_2)
	v_cmpx_ne_u32_e32 0x7f, v55
	s_cbranch_execz .LBB260_979
; %bb.976:                              ;   in Loop: Header=BB260_545 Depth=1
	v_and_b32_e32 v53, 7, v10
	v_lshrrev_b32_e32 v54, 3, v55
	s_mov_b32 s14, exec_lo
	v_cmpx_gt_u32_e32 8, v55
; %bb.977:                              ;   in Loop: Header=BB260_545 Depth=1
	s_delay_alu instid0(VALU_DEP_3) | instskip(NEXT) | instid1(VALU_DEP_1)
	v_clz_i32_u32_e32 v53, v53
	v_min_u32_e32 v55, 32, v53
	s_delay_alu instid0(VALU_DEP_1) | instskip(NEXT) | instid1(VALU_DEP_1)
	v_subrev_nc_u32_e32 v53, 28, v55
	v_lshlrev_b64_e32 v[53:54], v53, v[1:2]
	v_sub_nc_u32_e32 v54, 29, v55
	s_delay_alu instid0(VALU_DEP_2)
	v_and_b32_e32 v53, 7, v53
; %bb.978:                              ;   in Loop: Header=BB260_545 Depth=1
	s_wait_alu 0xfffe
	s_or_b32 exec_lo, exec_lo, s14
	v_lshlrev_b32_e32 v55, 8, v10
	v_lshl_add_u32 v54, v54, 10, 0x2000
	v_lshlrev_b32_e32 v53, 7, v53
	s_delay_alu instid0(VALU_DEP_3) | instskip(NEXT) | instid1(VALU_DEP_3)
	v_and_b32_e32 v55, 0x8000, v55
	v_and_b32_e32 v54, 0xfc00, v54
	s_delay_alu instid0(VALU_DEP_1)
	v_or3_b32 v53, v55, v54, v53
.LBB260_979:                            ;   in Loop: Header=BB260_545 Depth=1
	s_or_b32 exec_lo, exec_lo, s13
.LBB260_980:                            ;   in Loop: Header=BB260_545 Depth=1
	s_wait_alu 0xfffe
	s_or_b32 exec_lo, exec_lo, s7
.LBB260_981:                            ;   in Loop: Header=BB260_545 Depth=1
	s_wait_alu 0xfffe
	s_or_b32 exec_lo, exec_lo, s6
	v_lshrrev_b16 v1, 8, v1
	v_mov_b32_e32 v54, 0
	s_mov_b32 s6, exec_lo
	s_delay_alu instid0(VALU_DEP_2)
	v_cmpx_ne_u16_e32 0, v1
	s_cbranch_execz .LBB260_989
; %bb.982:                              ;   in Loop: Header=BB260_545 Depth=1
	v_bfrev_b32_e32 v54, 1
	s_mov_b32 s7, exec_lo
	v_cmpx_ne_u16_e32 0x80, v1
	s_cbranch_execz .LBB260_988
; %bb.983:                              ;   in Loop: Header=BB260_545 Depth=1
	v_and_b32_e32 v55, 0xffff, v1
	v_mov_b32_e32 v54, 0x7c010000
	s_mov_b32 s13, exec_lo
	s_delay_alu instid0(VALU_DEP_2) | instskip(NEXT) | instid1(VALU_DEP_1)
	v_and_b32_e32 v57, 0x7f, v55
	v_cmpx_ne_u32_e32 0x7f, v57
	s_cbranch_execz .LBB260_987
; %bb.984:                              ;   in Loop: Header=BB260_545 Depth=1
	v_and_b32_e32 v54, 7, v55
	v_lshrrev_b32_e32 v56, 3, v57
	s_mov_b32 s14, exec_lo
	v_cmpx_gt_u32_e32 8, v57
; %bb.985:                              ;   in Loop: Header=BB260_545 Depth=1
	s_delay_alu instid0(VALU_DEP_3) | instskip(NEXT) | instid1(VALU_DEP_1)
	v_clz_i32_u32_e32 v54, v54
	v_min_u32_e32 v54, 32, v54
	s_delay_alu instid0(VALU_DEP_1) | instskip(NEXT) | instid1(VALU_DEP_1)
	v_subrev_nc_u32_e32 v56, 28, v54
	v_lshlrev_b64_e32 v[57:58], v56, v[1:2]
	v_sub_nc_u32_e32 v56, 29, v54
	s_delay_alu instid0(VALU_DEP_2)
	v_and_b32_e32 v54, 7, v57
; %bb.986:                              ;   in Loop: Header=BB260_545 Depth=1
	s_wait_alu 0xfffe
	s_or_b32 exec_lo, exec_lo, s14
	v_lshlrev_b32_e32 v1, 8, v55
	v_lshl_add_u32 v55, v56, 10, 0x2000
	v_lshlrev_b32_e32 v54, 23, v54
	s_delay_alu instid0(VALU_DEP_2) | instskip(NEXT) | instid1(VALU_DEP_1)
	v_and_or_b32 v1, 0x8000, v1, v55
	v_lshl_or_b32 v54, v1, 16, v54
.LBB260_987:                            ;   in Loop: Header=BB260_545 Depth=1
	s_or_b32 exec_lo, exec_lo, s13
.LBB260_988:                            ;   in Loop: Header=BB260_545 Depth=1
	s_wait_alu 0xfffe
	s_or_b32 exec_lo, exec_lo, s7
.LBB260_989:                            ;   in Loop: Header=BB260_545 Depth=1
	s_wait_alu 0xfffe
	s_or_b32 exec_lo, exec_lo, s6
	v_lshrrev_b32_e32 v1, 16, v10
	s_mov_b32 s6, exec_lo
	s_delay_alu instid0(VALU_DEP_1) | instskip(NEXT) | instid1(VALU_DEP_1)
	v_and_b32_e32 v55, 0xff, v1
	v_cmpx_ne_u16_e32 0, v55
	s_cbranch_execz .LBB260_997
; %bb.990:                              ;   in Loop: Header=BB260_545 Depth=1
	v_mov_b32_e32 v52, 0x8000
	s_mov_b32 s7, exec_lo
	v_cmpx_ne_u16_e32 0x80, v55
	s_cbranch_execz .LBB260_996
; %bb.991:                              ;   in Loop: Header=BB260_545 Depth=1
	v_bfe_u32 v56, v10, 16, 7
	v_mov_b32_e32 v52, 0x7c01
	s_mov_b32 s13, exec_lo
	s_delay_alu instid0(VALU_DEP_2)
	v_cmpx_ne_u32_e32 0x7f, v56
	s_cbranch_execz .LBB260_995
; %bb.992:                              ;   in Loop: Header=BB260_545 Depth=1
	v_and_b32_e32 v52, 7, v1
	v_lshrrev_b32_e32 v55, 3, v56
	s_mov_b32 s14, exec_lo
	v_cmpx_gt_u32_e32 8, v56
; %bb.993:                              ;   in Loop: Header=BB260_545 Depth=1
	s_delay_alu instid0(VALU_DEP_3) | instskip(NEXT) | instid1(VALU_DEP_1)
	v_clz_i32_u32_e32 v52, v52
	v_min_u32_e32 v52, 32, v52
	s_delay_alu instid0(VALU_DEP_1) | instskip(NEXT) | instid1(VALU_DEP_1)
	v_subrev_nc_u32_e32 v55, 28, v52
	v_lshlrev_b64_e32 v[56:57], v55, v[1:2]
	v_sub_nc_u32_e32 v55, 29, v52
	s_delay_alu instid0(VALU_DEP_2)
	v_and_b32_e32 v52, 7, v56
; %bb.994:                              ;   in Loop: Header=BB260_545 Depth=1
	s_wait_alu 0xfffe
	s_or_b32 exec_lo, exec_lo, s14
	v_lshlrev_b32_e32 v1, 8, v1
	v_lshl_add_u32 v55, v55, 10, 0x2000
	v_lshlrev_b32_e32 v52, 7, v52
	s_delay_alu instid0(VALU_DEP_3) | instskip(NEXT) | instid1(VALU_DEP_3)
	v_and_b32_e32 v1, 0x8000, v1
	v_and_b32_e32 v55, 0xfc00, v55
	s_delay_alu instid0(VALU_DEP_1)
	v_or3_b32 v52, v1, v55, v52
.LBB260_995:                            ;   in Loop: Header=BB260_545 Depth=1
	s_or_b32 exec_lo, exec_lo, s13
.LBB260_996:                            ;   in Loop: Header=BB260_545 Depth=1
	s_wait_alu 0xfffe
	s_or_b32 exec_lo, exec_lo, s7
.LBB260_997:                            ;   in Loop: Header=BB260_545 Depth=1
	s_wait_alu 0xfffe
	s_or_b32 exec_lo, exec_lo, s6
	v_cmp_lt_u64_e64 s0, s[2:3], v[9:10]
	v_mov_b32_e32 v9, 0
	s_and_saveexec_b32 s6, s0
	s_cbranch_execz .LBB260_1005
; %bb.998:                              ;   in Loop: Header=BB260_545 Depth=1
	v_lshrrev_b32_e32 v1, 24, v10
	v_bfrev_b32_e32 v9, 1
	s_mov_b32 s7, exec_lo
	s_delay_alu instid0(VALU_DEP_2)
	v_cmpx_ne_u32_e32 0x80, v1
	s_cbranch_execz .LBB260_1004
; %bb.999:                              ;   in Loop: Header=BB260_545 Depth=1
	v_and_b32_e32 v55, 0x7f, v1
	v_mov_b32_e32 v9, 0x7c010000
	s_mov_b32 s13, exec_lo
	s_delay_alu instid0(VALU_DEP_2)
	v_cmpx_ne_u32_e32 0x7f, v55
	s_cbranch_execz .LBB260_1003
; %bb.1000:                             ;   in Loop: Header=BB260_545 Depth=1
	v_and_b32_e32 v9, 7, v1
	v_lshrrev_b32_e32 v10, 3, v55
	s_mov_b32 s14, exec_lo
	v_cmpx_gt_u32_e32 8, v55
; %bb.1001:                             ;   in Loop: Header=BB260_545 Depth=1
	s_delay_alu instid0(VALU_DEP_3) | instskip(NEXT) | instid1(VALU_DEP_1)
	v_clz_i32_u32_e32 v9, v9
	v_min_u32_e32 v55, 32, v9
	s_delay_alu instid0(VALU_DEP_1) | instskip(NEXT) | instid1(VALU_DEP_1)
	v_subrev_nc_u32_e32 v9, 28, v55
	v_lshlrev_b64_e32 v[9:10], v9, v[1:2]
	v_sub_nc_u32_e32 v10, 29, v55
	s_delay_alu instid0(VALU_DEP_2)
	v_and_b32_e32 v9, 7, v9
; %bb.1002:                             ;   in Loop: Header=BB260_545 Depth=1
	s_wait_alu 0xfffe
	s_or_b32 exec_lo, exec_lo, s14
	v_lshlrev_b32_e32 v1, 8, v1
	v_lshl_add_u32 v10, v10, 10, 0x2000
	v_lshlrev_b32_e32 v9, 23, v9
	s_delay_alu instid0(VALU_DEP_2) | instskip(NEXT) | instid1(VALU_DEP_1)
	v_and_or_b32 v1, 0x8000, v1, v10
	v_lshl_or_b32 v9, v1, 16, v9
.LBB260_1003:                           ;   in Loop: Header=BB260_545 Depth=1
	s_or_b32 exec_lo, exec_lo, s13
.LBB260_1004:                           ;   in Loop: Header=BB260_545 Depth=1
	s_wait_alu 0xfffe
	s_or_b32 exec_lo, exec_lo, s7
.LBB260_1005:                           ;   in Loop: Header=BB260_545 Depth=1
	s_wait_alu 0xfffe
	s_or_b32 exec_lo, exec_lo, s6
	v_or_b32_e32 v1, v50, v51
	s_wait_loadcnt 0x0
	v_fma_mixlo_f16 v10, v47, v50, 0 op_sel:[0,1,0] op_sel_hi:[0,1,0]
	v_or_b32_e32 v50, v48, v49
	v_fma_mixlo_f16 v48, v47, v48, 0 op_sel:[0,1,0] op_sel_hi:[0,1,0]
	v_or_b32_e32 v51, v54, v53
	v_or_b32_e32 v52, v9, v52
	v_fma_mixlo_f16 v53, v47, v1, 0 op_sel_hi:[0,1,0]
	v_fma_mixlo_f16 v9, v47, v9, 0 op_sel:[0,1,0] op_sel_hi:[0,1,0]
	v_lshlrev_b32_e32 v49, 16, v48
	v_fma_mixlo_f16 v48, v47, v50, 0 op_sel_hi:[0,1,0]
	v_fma_mixlo_f16 v50, v47, v54, 0 op_sel:[0,1,0] op_sel_hi:[0,1,0]
	v_fma_mixlo_f16 v51, v47, v51, 0 op_sel_hi:[0,1,0]
	v_fma_mixlo_f16 v52, v47, v52, 0 op_sel_hi:[0,1,0]
	v_lshlrev_b32_e32 v1, 16, v10
	v_and_b32_e32 v10, 0xffff, v53
	v_and_b32_e32 v55, 0xffff, v48
	v_lshlrev_b32_e32 v47, 16, v50
	v_and_b32_e32 v51, 0xffff, v51
	v_lshlrev_b32_e32 v9, 16, v9
	v_and_b32_e32 v48, 0xffff, v52
	v_or_b32_e32 v50, v1, v10
	v_or_b32_e32 v54, v49, v55
	;; [unrolled: 1-line block ×3, first 2 shown]
	s_delay_alu instid0(VALU_DEP_4)
	v_or_b32_e32 v52, v9, v48
	s_and_saveexec_b32 s6, vcc_lo
	s_cbranch_execz .LBB260_1007
; %bb.1006:                             ;   in Loop: Header=BB260_545 Depth=1
	v_cmp_gt_i32_e64 s0, s17, v24
	s_wait_alu 0xf1ff
	s_delay_alu instid0(VALU_DEP_1) | instskip(SKIP_2) | instid1(VALU_DEP_1)
	v_cndmask_b32_e64 v50, 0, v55, s0
	v_cmp_gt_i32_e64 s0, s17, v30
	s_wait_alu 0xf1ff
	v_cndmask_b32_e64 v49, 0, v49, s0
	v_cmp_gt_i32_e64 s0, s17, v29
	s_delay_alu instid0(VALU_DEP_2) | instskip(SKIP_1) | instid1(VALU_DEP_2)
	v_or_b32_e32 v54, v49, v50
	s_wait_alu 0xf1ff
	v_cndmask_b32_e64 v10, 0, v10, s0
	v_cmp_gt_i32_e64 s0, s17, v28
	s_wait_alu 0xf1ff
	s_delay_alu instid0(VALU_DEP_1) | instskip(SKIP_1) | instid1(VALU_DEP_2)
	v_cndmask_b32_e64 v1, 0, v1, s0
	v_cmp_gt_i32_e64 s0, s17, v27
	v_or_b32_e32 v50, v1, v10
	s_wait_alu 0xf1ff
	s_delay_alu instid0(VALU_DEP_2) | instskip(SKIP_2) | instid1(VALU_DEP_1)
	v_cndmask_b32_e64 v51, 0, v51, s0
	v_cmp_gt_i32_e64 s0, s17, v26
	s_wait_alu 0xf1ff
	v_cndmask_b32_e64 v47, 0, v47, s0
	v_cmp_gt_i32_e64 s0, s17, v25
	s_delay_alu instid0(VALU_DEP_2) | instskip(SKIP_1) | instid1(VALU_DEP_2)
	v_or_b32_e32 v53, v47, v51
	s_wait_alu 0xf1ff
	v_cndmask_b32_e64 v48, 0, v48, s0
	v_cmp_gt_i32_e64 s0, s17, v22
	s_wait_alu 0xf1ff
	s_delay_alu instid0(VALU_DEP_1) | instskip(NEXT) | instid1(VALU_DEP_1)
	v_cndmask_b32_e64 v9, 0, v9, s0
	v_or_b32_e32 v52, v9, v48
.LBB260_1007:                           ;   in Loop: Header=BB260_545 Depth=1
	s_wait_alu 0xfffe
	s_or_b32 exec_lo, exec_lo, s6
	;;#ASMSTART
	v_pk_mul_f16 v1, v35, v54;

	;;#ASMEND
	;;#ASMSTART
	v_pk_mul_f16 v9, v33, v50;

	;;#ASMEND
	;; [unrolled: 4-line block ×4, first 2 shown]
	;;#ASMSTART
	v_pk_add_f16 v1, v1, v9;

	;;#ASMEND
	;;#ASMSTART
	v_pk_add_f16 v1, v1, v10;

	;;#ASMEND
	;; [unrolled: 4-line block ×3, first 2 shown]
	v_dual_mov_b32 v48, 0 :: v_dual_and_b32 v9, 0xffff, v1
	v_lshrrev_b32_e32 v1, 16, v1
	;;#ASMSTART
	v_cvt_f32_f16 v9, v9;
	;;#ASMEND
	;;#ASMSTART
	v_cvt_f32_f16 v10, v1;
	;;#ASMEND
	global_load_b64 v[7:8], v[7:8], off offset:1792
	global_load_b32 v47, v48, s[10:11]
	v_mov_b32_e32 v49, 0
	s_mov_b32 s6, exec_lo
	s_wait_loadcnt 0x1
	v_and_b32_e32 v1, 0xff, v7
	s_delay_alu instid0(VALU_DEP_1)
	v_cmpx_ne_u16_e32 0, v1
	s_cbranch_execz .LBB260_1015
; %bb.1008:                             ;   in Loop: Header=BB260_545 Depth=1
	v_mov_b32_e32 v49, 0x8000
	s_mov_b32 s7, exec_lo
	v_cmpx_ne_u16_e32 0x80, v1
	s_cbranch_execz .LBB260_1014
; %bb.1009:                             ;   in Loop: Header=BB260_545 Depth=1
	v_and_b32_e32 v50, 0x7f, v7
	v_mov_b32_e32 v49, 0x7c01
	s_mov_b32 s13, exec_lo
	s_delay_alu instid0(VALU_DEP_2)
	v_cmpx_ne_u32_e32 0x7f, v50
	s_cbranch_execz .LBB260_1013
; %bb.1010:                             ;   in Loop: Header=BB260_545 Depth=1
	v_and_b32_e32 v1, 7, v7
	v_lshrrev_b32_e32 v49, 3, v50
	s_mov_b32 s14, exec_lo
	v_cmpx_gt_u32_e32 8, v50
; %bb.1011:                             ;   in Loop: Header=BB260_545 Depth=1
	s_delay_alu instid0(VALU_DEP_3) | instskip(NEXT) | instid1(VALU_DEP_1)
	v_clz_i32_u32_e32 v1, v1
	v_min_u32_e32 v1, 32, v1
	s_delay_alu instid0(VALU_DEP_1) | instskip(NEXT) | instid1(VALU_DEP_1)
	v_subrev_nc_u32_e32 v49, 28, v1
	v_lshlrev_b64_e32 v[50:51], v49, v[7:8]
	v_sub_nc_u32_e32 v49, 29, v1
	s_delay_alu instid0(VALU_DEP_2)
	v_and_b32_e32 v1, 7, v50
; %bb.1012:                             ;   in Loop: Header=BB260_545 Depth=1
	s_wait_alu 0xfffe
	s_or_b32 exec_lo, exec_lo, s14
	v_lshlrev_b32_e32 v50, 8, v7
	v_lshl_add_u32 v49, v49, 10, 0x2000
	v_lshlrev_b32_e32 v1, 7, v1
	s_delay_alu instid0(VALU_DEP_3) | instskip(NEXT) | instid1(VALU_DEP_3)
	v_and_b32_e32 v50, 0x8000, v50
	v_and_b32_e32 v49, 0xfc00, v49
	s_delay_alu instid0(VALU_DEP_1)
	v_or3_b32 v49, v50, v49, v1
.LBB260_1013:                           ;   in Loop: Header=BB260_545 Depth=1
	s_or_b32 exec_lo, exec_lo, s13
.LBB260_1014:                           ;   in Loop: Header=BB260_545 Depth=1
	s_wait_alu 0xfffe
	s_or_b32 exec_lo, exec_lo, s7
.LBB260_1015:                           ;   in Loop: Header=BB260_545 Depth=1
	s_wait_alu 0xfffe
	s_or_b32 exec_lo, exec_lo, s6
	v_lshrrev_b16 v1, 8, v7
	s_mov_b32 s6, exec_lo
	s_delay_alu instid0(VALU_DEP_1)
	v_cmpx_ne_u16_e32 0, v1
	s_cbranch_execz .LBB260_1023
; %bb.1016:                             ;   in Loop: Header=BB260_545 Depth=1
	v_bfrev_b32_e32 v48, 1
	s_mov_b32 s7, exec_lo
	v_cmpx_ne_u16_e32 0x80, v1
	s_cbranch_execz .LBB260_1022
; %bb.1017:                             ;   in Loop: Header=BB260_545 Depth=1
	v_and_b32_e32 v50, 0xffff, v1
	v_mov_b32_e32 v48, 0x7c010000
	s_mov_b32 s13, exec_lo
	s_delay_alu instid0(VALU_DEP_2) | instskip(NEXT) | instid1(VALU_DEP_1)
	v_and_b32_e32 v52, 0x7f, v50
	v_cmpx_ne_u32_e32 0x7f, v52
	s_cbranch_execz .LBB260_1021
; %bb.1018:                             ;   in Loop: Header=BB260_545 Depth=1
	v_and_b32_e32 v48, 7, v50
	v_lshrrev_b32_e32 v51, 3, v52
	s_mov_b32 s14, exec_lo
	v_cmpx_gt_u32_e32 8, v52
; %bb.1019:                             ;   in Loop: Header=BB260_545 Depth=1
	s_delay_alu instid0(VALU_DEP_3) | instskip(NEXT) | instid1(VALU_DEP_1)
	v_clz_i32_u32_e32 v48, v48
	v_min_u32_e32 v48, 32, v48
	s_delay_alu instid0(VALU_DEP_1) | instskip(NEXT) | instid1(VALU_DEP_1)
	v_subrev_nc_u32_e32 v51, 28, v48
	v_lshlrev_b64_e32 v[52:53], v51, v[1:2]
	v_sub_nc_u32_e32 v51, 29, v48
	s_delay_alu instid0(VALU_DEP_2)
	v_and_b32_e32 v48, 7, v52
; %bb.1020:                             ;   in Loop: Header=BB260_545 Depth=1
	s_wait_alu 0xfffe
	s_or_b32 exec_lo, exec_lo, s14
	v_lshlrev_b32_e32 v1, 8, v50
	v_lshl_add_u32 v50, v51, 10, 0x2000
	v_lshlrev_b32_e32 v48, 23, v48
	s_delay_alu instid0(VALU_DEP_2) | instskip(NEXT) | instid1(VALU_DEP_1)
	v_and_or_b32 v1, 0x8000, v1, v50
	v_lshl_or_b32 v48, v1, 16, v48
.LBB260_1021:                           ;   in Loop: Header=BB260_545 Depth=1
	s_or_b32 exec_lo, exec_lo, s13
.LBB260_1022:                           ;   in Loop: Header=BB260_545 Depth=1
	s_wait_alu 0xfffe
	s_or_b32 exec_lo, exec_lo, s7
.LBB260_1023:                           ;   in Loop: Header=BB260_545 Depth=1
	s_wait_alu 0xfffe
	s_or_b32 exec_lo, exec_lo, s6
	v_lshrrev_b32_e32 v1, 16, v7
	v_mov_b32_e32 v50, 0
	s_mov_b32 s6, exec_lo
	s_delay_alu instid0(VALU_DEP_2) | instskip(NEXT) | instid1(VALU_DEP_1)
	v_dual_mov_b32 v51, 0 :: v_dual_and_b32 v52, 0xff, v1
	v_cmpx_ne_u16_e32 0, v52
	s_cbranch_execz .LBB260_1031
; %bb.1024:                             ;   in Loop: Header=BB260_545 Depth=1
	v_mov_b32_e32 v51, 0x8000
	s_mov_b32 s7, exec_lo
	v_cmpx_ne_u16_e32 0x80, v52
	s_cbranch_execz .LBB260_1030
; %bb.1025:                             ;   in Loop: Header=BB260_545 Depth=1
	v_bfe_u32 v53, v7, 16, 7
	v_mov_b32_e32 v51, 0x7c01
	s_mov_b32 s13, exec_lo
	s_delay_alu instid0(VALU_DEP_2)
	v_cmpx_ne_u32_e32 0x7f, v53
	s_cbranch_execz .LBB260_1029
; %bb.1026:                             ;   in Loop: Header=BB260_545 Depth=1
	v_and_b32_e32 v51, 7, v1
	v_lshrrev_b32_e32 v52, 3, v53
	s_mov_b32 s14, exec_lo
	v_cmpx_gt_u32_e32 8, v53
; %bb.1027:                             ;   in Loop: Header=BB260_545 Depth=1
	s_delay_alu instid0(VALU_DEP_3) | instskip(NEXT) | instid1(VALU_DEP_1)
	v_clz_i32_u32_e32 v51, v51
	v_min_u32_e32 v53, 32, v51
	s_delay_alu instid0(VALU_DEP_1) | instskip(NEXT) | instid1(VALU_DEP_1)
	v_subrev_nc_u32_e32 v51, 28, v53
	v_lshlrev_b64_e32 v[51:52], v51, v[1:2]
	v_sub_nc_u32_e32 v52, 29, v53
	s_delay_alu instid0(VALU_DEP_2)
	v_and_b32_e32 v51, 7, v51
; %bb.1028:                             ;   in Loop: Header=BB260_545 Depth=1
	s_wait_alu 0xfffe
	s_or_b32 exec_lo, exec_lo, s14
	v_lshlrev_b32_e32 v1, 8, v1
	v_lshl_add_u32 v52, v52, 10, 0x2000
	v_lshlrev_b32_e32 v51, 7, v51
	s_delay_alu instid0(VALU_DEP_3) | instskip(NEXT) | instid1(VALU_DEP_3)
	v_and_b32_e32 v1, 0x8000, v1
	v_and_b32_e32 v52, 0xfc00, v52
	s_delay_alu instid0(VALU_DEP_1)
	v_or3_b32 v51, v1, v52, v51
.LBB260_1029:                           ;   in Loop: Header=BB260_545 Depth=1
	s_or_b32 exec_lo, exec_lo, s13
.LBB260_1030:                           ;   in Loop: Header=BB260_545 Depth=1
	s_wait_alu 0xfffe
	s_or_b32 exec_lo, exec_lo, s7
.LBB260_1031:                           ;   in Loop: Header=BB260_545 Depth=1
	s_wait_alu 0xfffe
	s_or_b32 exec_lo, exec_lo, s6
	s_delay_alu instid0(SALU_CYCLE_1)
	s_mov_b32 s6, exec_lo
	v_cmpx_lt_u32_e32 0xffffff, v7
	s_cbranch_execz .LBB260_1039
; %bb.1032:                             ;   in Loop: Header=BB260_545 Depth=1
	v_lshrrev_b32_e32 v1, 24, v7
	v_bfrev_b32_e32 v50, 1
	s_mov_b32 s7, exec_lo
	s_delay_alu instid0(VALU_DEP_2)
	v_cmpx_ne_u32_e32 0x80, v1
	s_cbranch_execz .LBB260_1038
; %bb.1033:                             ;   in Loop: Header=BB260_545 Depth=1
	v_and_b32_e32 v53, 0x7f, v1
	v_mov_b32_e32 v50, 0x7c010000
	s_mov_b32 s13, exec_lo
	s_delay_alu instid0(VALU_DEP_2)
	v_cmpx_ne_u32_e32 0x7f, v53
	s_cbranch_execz .LBB260_1037
; %bb.1034:                             ;   in Loop: Header=BB260_545 Depth=1
	v_and_b32_e32 v50, 7, v1
	v_lshrrev_b32_e32 v52, 3, v53
	s_mov_b32 s14, exec_lo
	v_cmpx_gt_u32_e32 8, v53
; %bb.1035:                             ;   in Loop: Header=BB260_545 Depth=1
	s_delay_alu instid0(VALU_DEP_3) | instskip(NEXT) | instid1(VALU_DEP_1)
	v_clz_i32_u32_e32 v50, v50
	v_min_u32_e32 v50, 32, v50
	s_delay_alu instid0(VALU_DEP_1) | instskip(NEXT) | instid1(VALU_DEP_1)
	v_subrev_nc_u32_e32 v52, 28, v50
	v_lshlrev_b64_e32 v[53:54], v52, v[1:2]
	v_sub_nc_u32_e32 v52, 29, v50
	s_delay_alu instid0(VALU_DEP_2)
	v_and_b32_e32 v50, 7, v53
; %bb.1036:                             ;   in Loop: Header=BB260_545 Depth=1
	s_wait_alu 0xfffe
	s_or_b32 exec_lo, exec_lo, s14
	v_lshlrev_b32_e32 v1, 8, v1
	v_lshl_add_u32 v52, v52, 10, 0x2000
	v_lshlrev_b32_e32 v50, 23, v50
	s_delay_alu instid0(VALU_DEP_2) | instskip(NEXT) | instid1(VALU_DEP_1)
	v_and_or_b32 v1, 0x8000, v1, v52
	v_lshl_or_b32 v50, v1, 16, v50
.LBB260_1037:                           ;   in Loop: Header=BB260_545 Depth=1
	s_or_b32 exec_lo, exec_lo, s13
.LBB260_1038:                           ;   in Loop: Header=BB260_545 Depth=1
	s_wait_alu 0xfffe
	s_or_b32 exec_lo, exec_lo, s7
.LBB260_1039:                           ;   in Loop: Header=BB260_545 Depth=1
	s_wait_alu 0xfffe
	s_or_b32 exec_lo, exec_lo, s6
	v_dual_mov_b32 v1, v8 :: v_dual_and_b32 v54, 0xff, v8
	v_dual_mov_b32 v52, 0 :: v_dual_mov_b32 v53, 0
	s_mov_b32 s6, exec_lo
	s_delay_alu instid0(VALU_DEP_2)
	v_cmpx_ne_u16_e32 0, v54
	s_cbranch_execz .LBB260_1047
; %bb.1040:                             ;   in Loop: Header=BB260_545 Depth=1
	v_mov_b32_e32 v53, 0x8000
	s_mov_b32 s7, exec_lo
	v_cmpx_ne_u16_e32 0x80, v54
	s_cbranch_execz .LBB260_1046
; %bb.1041:                             ;   in Loop: Header=BB260_545 Depth=1
	v_and_b32_e32 v55, 0x7f, v8
	v_mov_b32_e32 v53, 0x7c01
	s_mov_b32 s13, exec_lo
	s_delay_alu instid0(VALU_DEP_2)
	v_cmpx_ne_u32_e32 0x7f, v55
	s_cbranch_execz .LBB260_1045
; %bb.1042:                             ;   in Loop: Header=BB260_545 Depth=1
	v_and_b32_e32 v53, 7, v8
	v_lshrrev_b32_e32 v54, 3, v55
	s_mov_b32 s14, exec_lo
	v_cmpx_gt_u32_e32 8, v55
; %bb.1043:                             ;   in Loop: Header=BB260_545 Depth=1
	s_delay_alu instid0(VALU_DEP_3) | instskip(NEXT) | instid1(VALU_DEP_1)
	v_clz_i32_u32_e32 v53, v53
	v_min_u32_e32 v55, 32, v53
	s_delay_alu instid0(VALU_DEP_1) | instskip(NEXT) | instid1(VALU_DEP_1)
	v_subrev_nc_u32_e32 v53, 28, v55
	v_lshlrev_b64_e32 v[53:54], v53, v[1:2]
	v_sub_nc_u32_e32 v54, 29, v55
	s_delay_alu instid0(VALU_DEP_2)
	v_and_b32_e32 v53, 7, v53
; %bb.1044:                             ;   in Loop: Header=BB260_545 Depth=1
	s_wait_alu 0xfffe
	s_or_b32 exec_lo, exec_lo, s14
	v_lshlrev_b32_e32 v55, 8, v8
	v_lshl_add_u32 v54, v54, 10, 0x2000
	v_lshlrev_b32_e32 v53, 7, v53
	s_delay_alu instid0(VALU_DEP_3) | instskip(NEXT) | instid1(VALU_DEP_3)
	v_and_b32_e32 v55, 0x8000, v55
	v_and_b32_e32 v54, 0xfc00, v54
	s_delay_alu instid0(VALU_DEP_1)
	v_or3_b32 v53, v55, v54, v53
.LBB260_1045:                           ;   in Loop: Header=BB260_545 Depth=1
	s_or_b32 exec_lo, exec_lo, s13
.LBB260_1046:                           ;   in Loop: Header=BB260_545 Depth=1
	s_wait_alu 0xfffe
	s_or_b32 exec_lo, exec_lo, s7
.LBB260_1047:                           ;   in Loop: Header=BB260_545 Depth=1
	s_wait_alu 0xfffe
	s_or_b32 exec_lo, exec_lo, s6
	v_lshrrev_b16 v1, 8, v1
	v_mov_b32_e32 v54, 0
	s_mov_b32 s6, exec_lo
	s_delay_alu instid0(VALU_DEP_2)
	v_cmpx_ne_u16_e32 0, v1
	s_cbranch_execz .LBB260_1055
; %bb.1048:                             ;   in Loop: Header=BB260_545 Depth=1
	v_bfrev_b32_e32 v54, 1
	s_mov_b32 s7, exec_lo
	v_cmpx_ne_u16_e32 0x80, v1
	s_cbranch_execz .LBB260_1054
; %bb.1049:                             ;   in Loop: Header=BB260_545 Depth=1
	v_and_b32_e32 v55, 0xffff, v1
	v_mov_b32_e32 v54, 0x7c010000
	s_mov_b32 s13, exec_lo
	s_delay_alu instid0(VALU_DEP_2) | instskip(NEXT) | instid1(VALU_DEP_1)
	v_and_b32_e32 v57, 0x7f, v55
	v_cmpx_ne_u32_e32 0x7f, v57
	s_cbranch_execz .LBB260_1053
; %bb.1050:                             ;   in Loop: Header=BB260_545 Depth=1
	v_and_b32_e32 v54, 7, v55
	v_lshrrev_b32_e32 v56, 3, v57
	s_mov_b32 s14, exec_lo
	v_cmpx_gt_u32_e32 8, v57
; %bb.1051:                             ;   in Loop: Header=BB260_545 Depth=1
	s_delay_alu instid0(VALU_DEP_3) | instskip(NEXT) | instid1(VALU_DEP_1)
	v_clz_i32_u32_e32 v54, v54
	v_min_u32_e32 v54, 32, v54
	s_delay_alu instid0(VALU_DEP_1) | instskip(NEXT) | instid1(VALU_DEP_1)
	v_subrev_nc_u32_e32 v56, 28, v54
	v_lshlrev_b64_e32 v[57:58], v56, v[1:2]
	v_sub_nc_u32_e32 v56, 29, v54
	s_delay_alu instid0(VALU_DEP_2)
	v_and_b32_e32 v54, 7, v57
; %bb.1052:                             ;   in Loop: Header=BB260_545 Depth=1
	s_wait_alu 0xfffe
	s_or_b32 exec_lo, exec_lo, s14
	v_lshlrev_b32_e32 v1, 8, v55
	v_lshl_add_u32 v55, v56, 10, 0x2000
	v_lshlrev_b32_e32 v54, 23, v54
	s_delay_alu instid0(VALU_DEP_2) | instskip(NEXT) | instid1(VALU_DEP_1)
	v_and_or_b32 v1, 0x8000, v1, v55
	v_lshl_or_b32 v54, v1, 16, v54
.LBB260_1053:                           ;   in Loop: Header=BB260_545 Depth=1
	s_or_b32 exec_lo, exec_lo, s13
.LBB260_1054:                           ;   in Loop: Header=BB260_545 Depth=1
	s_wait_alu 0xfffe
	s_or_b32 exec_lo, exec_lo, s7
.LBB260_1055:                           ;   in Loop: Header=BB260_545 Depth=1
	s_wait_alu 0xfffe
	s_or_b32 exec_lo, exec_lo, s6
	v_lshrrev_b32_e32 v1, 16, v8
	s_mov_b32 s6, exec_lo
	s_delay_alu instid0(VALU_DEP_1) | instskip(NEXT) | instid1(VALU_DEP_1)
	v_and_b32_e32 v55, 0xff, v1
	v_cmpx_ne_u16_e32 0, v55
	s_cbranch_execz .LBB260_1063
; %bb.1056:                             ;   in Loop: Header=BB260_545 Depth=1
	v_mov_b32_e32 v52, 0x8000
	s_mov_b32 s7, exec_lo
	v_cmpx_ne_u16_e32 0x80, v55
	s_cbranch_execz .LBB260_1062
; %bb.1057:                             ;   in Loop: Header=BB260_545 Depth=1
	v_bfe_u32 v56, v8, 16, 7
	v_mov_b32_e32 v52, 0x7c01
	s_mov_b32 s13, exec_lo
	s_delay_alu instid0(VALU_DEP_2)
	v_cmpx_ne_u32_e32 0x7f, v56
	s_cbranch_execz .LBB260_1061
; %bb.1058:                             ;   in Loop: Header=BB260_545 Depth=1
	v_and_b32_e32 v52, 7, v1
	v_lshrrev_b32_e32 v55, 3, v56
	s_mov_b32 s14, exec_lo
	v_cmpx_gt_u32_e32 8, v56
; %bb.1059:                             ;   in Loop: Header=BB260_545 Depth=1
	s_delay_alu instid0(VALU_DEP_3) | instskip(NEXT) | instid1(VALU_DEP_1)
	v_clz_i32_u32_e32 v52, v52
	v_min_u32_e32 v52, 32, v52
	s_delay_alu instid0(VALU_DEP_1) | instskip(NEXT) | instid1(VALU_DEP_1)
	v_subrev_nc_u32_e32 v55, 28, v52
	v_lshlrev_b64_e32 v[56:57], v55, v[1:2]
	v_sub_nc_u32_e32 v55, 29, v52
	s_delay_alu instid0(VALU_DEP_2)
	v_and_b32_e32 v52, 7, v56
; %bb.1060:                             ;   in Loop: Header=BB260_545 Depth=1
	s_wait_alu 0xfffe
	s_or_b32 exec_lo, exec_lo, s14
	v_lshlrev_b32_e32 v1, 8, v1
	v_lshl_add_u32 v55, v55, 10, 0x2000
	v_lshlrev_b32_e32 v52, 7, v52
	s_delay_alu instid0(VALU_DEP_3) | instskip(NEXT) | instid1(VALU_DEP_3)
	v_and_b32_e32 v1, 0x8000, v1
	v_and_b32_e32 v55, 0xfc00, v55
	s_delay_alu instid0(VALU_DEP_1)
	v_or3_b32 v52, v1, v55, v52
.LBB260_1061:                           ;   in Loop: Header=BB260_545 Depth=1
	s_or_b32 exec_lo, exec_lo, s13
.LBB260_1062:                           ;   in Loop: Header=BB260_545 Depth=1
	s_wait_alu 0xfffe
	s_or_b32 exec_lo, exec_lo, s7
.LBB260_1063:                           ;   in Loop: Header=BB260_545 Depth=1
	s_wait_alu 0xfffe
	s_or_b32 exec_lo, exec_lo, s6
	v_cmp_lt_u64_e64 s0, s[2:3], v[7:8]
	v_mov_b32_e32 v7, 0
	s_and_saveexec_b32 s6, s0
	s_cbranch_execz .LBB260_1071
; %bb.1064:                             ;   in Loop: Header=BB260_545 Depth=1
	v_lshrrev_b32_e32 v1, 24, v8
	v_bfrev_b32_e32 v7, 1
	s_mov_b32 s7, exec_lo
	s_delay_alu instid0(VALU_DEP_2)
	v_cmpx_ne_u32_e32 0x80, v1
	s_cbranch_execz .LBB260_1070
; %bb.1065:                             ;   in Loop: Header=BB260_545 Depth=1
	v_and_b32_e32 v55, 0x7f, v1
	v_mov_b32_e32 v7, 0x7c010000
	s_mov_b32 s13, exec_lo
	s_delay_alu instid0(VALU_DEP_2)
	v_cmpx_ne_u32_e32 0x7f, v55
	s_cbranch_execz .LBB260_1069
; %bb.1066:                             ;   in Loop: Header=BB260_545 Depth=1
	v_and_b32_e32 v7, 7, v1
	v_lshrrev_b32_e32 v8, 3, v55
	s_mov_b32 s14, exec_lo
	v_cmpx_gt_u32_e32 8, v55
; %bb.1067:                             ;   in Loop: Header=BB260_545 Depth=1
	s_delay_alu instid0(VALU_DEP_3) | instskip(NEXT) | instid1(VALU_DEP_1)
	v_clz_i32_u32_e32 v7, v7
	v_min_u32_e32 v55, 32, v7
	s_delay_alu instid0(VALU_DEP_1) | instskip(NEXT) | instid1(VALU_DEP_1)
	v_subrev_nc_u32_e32 v7, 28, v55
	v_lshlrev_b64_e32 v[7:8], v7, v[1:2]
	v_sub_nc_u32_e32 v8, 29, v55
	s_delay_alu instid0(VALU_DEP_2)
	v_and_b32_e32 v7, 7, v7
; %bb.1068:                             ;   in Loop: Header=BB260_545 Depth=1
	s_wait_alu 0xfffe
	s_or_b32 exec_lo, exec_lo, s14
	v_lshlrev_b32_e32 v1, 8, v1
	v_lshl_add_u32 v8, v8, 10, 0x2000
	v_lshlrev_b32_e32 v7, 23, v7
	s_delay_alu instid0(VALU_DEP_2) | instskip(NEXT) | instid1(VALU_DEP_1)
	v_and_or_b32 v1, 0x8000, v1, v8
	v_lshl_or_b32 v7, v1, 16, v7
.LBB260_1069:                           ;   in Loop: Header=BB260_545 Depth=1
	s_or_b32 exec_lo, exec_lo, s13
.LBB260_1070:                           ;   in Loop: Header=BB260_545 Depth=1
	s_wait_alu 0xfffe
	s_or_b32 exec_lo, exec_lo, s7
.LBB260_1071:                           ;   in Loop: Header=BB260_545 Depth=1
	s_wait_alu 0xfffe
	s_or_b32 exec_lo, exec_lo, s6
	v_or_b32_e32 v1, v50, v51
	s_wait_loadcnt 0x0
	v_fma_mixlo_f16 v8, v47, v50, 0 op_sel:[0,1,0] op_sel_hi:[0,1,0]
	v_or_b32_e32 v49, v48, v49
	v_fma_mixlo_f16 v50, v47, v48, 0 op_sel:[0,1,0] op_sel_hi:[0,1,0]
	v_or_b32_e32 v51, v54, v53
	v_fma_mixlo_f16 v1, v47, v1, 0 op_sel_hi:[0,1,0]
	v_or_b32_e32 v52, v7, v52
	v_lshlrev_b32_e32 v48, 16, v8
	v_lshlrev_b32_e32 v53, 16, v50
	v_fma_mixlo_f16 v8, v47, v49, 0 op_sel_hi:[0,1,0]
	v_and_b32_e32 v50, 0xffff, v1
	v_fma_mixlo_f16 v1, v47, v54, 0 op_sel:[0,1,0] op_sel_hi:[0,1,0]
	v_fma_mixlo_f16 v49, v47, v51, 0 op_sel_hi:[0,1,0]
	v_fma_mixlo_f16 v7, v47, v7, 0 op_sel:[0,1,0] op_sel_hi:[0,1,0]
	v_fma_mixlo_f16 v47, v47, v52, 0 op_sel_hi:[0,1,0]
	v_and_b32_e32 v55, 0xffff, v8
	v_lshlrev_b32_e32 v51, 16, v1
	v_and_b32_e32 v54, 0xffff, v49
	v_lshlrev_b32_e32 v49, 16, v7
	v_and_b32_e32 v52, 0xffff, v47
	v_or_b32_e32 v1, v48, v50
	v_or_b32_e32 v47, v53, v55
	;; [unrolled: 1-line block ×3, first 2 shown]
	s_delay_alu instid0(VALU_DEP_4)
	v_or_b32_e32 v7, v49, v52
	s_and_saveexec_b32 s0, vcc_lo
	s_cbranch_execz .LBB260_544
; %bb.1072:                             ;   in Loop: Header=BB260_545 Depth=1
	v_cmp_gt_i32_e32 vcc_lo, s17, v24
	s_wait_alu 0xfffd
	v_cndmask_b32_e32 v1, 0, v55, vcc_lo
	v_cmp_gt_i32_e32 vcc_lo, s17, v30
	s_wait_alu 0xfffd
	v_cndmask_b32_e32 v7, 0, v53, vcc_lo
	;; [unrolled: 3-line block ×4, first 2 shown]
	v_cmp_gt_i32_e32 vcc_lo, s17, v27
	v_or_b32_e32 v47, v7, v1
	s_delay_alu instid0(VALU_DEP_3)
	v_or_b32_e32 v1, v24, v8
	s_wait_alu 0xfffd
	v_cndmask_b32_e32 v27, 0, v54, vcc_lo
	v_cmp_gt_i32_e32 vcc_lo, s17, v26
	s_wait_alu 0xfffd
	v_cndmask_b32_e32 v26, 0, v51, vcc_lo
	v_cmp_gt_i32_e32 vcc_lo, s17, v25
	s_delay_alu instid0(VALU_DEP_2)
	v_or_b32_e32 v8, v26, v27
	s_wait_alu 0xfffd
	v_cndmask_b32_e32 v25, 0, v52, vcc_lo
	v_cmp_gt_i32_e32 vcc_lo, s17, v22
	s_wait_alu 0xfffd
	v_cndmask_b32_e32 v28, 0, v49, vcc_lo
	s_delay_alu instid0(VALU_DEP_1)
	v_or_b32_e32 v7, v28, v25
	s_branch .LBB260_544
.LBB260_1073:
	s_or_b32 exec_lo, exec_lo, s5
.LBB260_1074:
	s_wait_alu 0xfffe
	s_or_b32 exec_lo, exec_lo, s1
	v_lshl_add_u32 v2, v15, 2, 0x220
	v_and_b32_e32 v3, 0x3c0, v0
	s_mov_b32 s0, exec_lo
	s_wait_loadcnt 0x0
	s_wait_storecnt 0x0
	s_barrier_signal -1
	v_lshl_add_u32 v1, v11, 10, v2
	s_barrier_wait -1
	global_inv scope:SCOPE_SE
	v_cmpx_eq_u32_e32 64, v3
	s_cbranch_execz .LBB260_1076
; %bb.1075:
	v_add_nc_u32_e32 v3, 0xfffff800, v1
	v_add_nc_u32_e32 v4, 0xfffff880, v1
	v_add_nc_u32_e32 v5, 0xfffff900, v1
	v_add_nc_u32_e32 v6, 0xfffff980, v1
	v_add_nc_u32_e32 v7, 0xfffffa00, v1
	v_add_nc_u32_e32 v8, 0xfffffa80, v1
	v_add_nc_u32_e32 v9, 0xfffffb00, v1
	v_add_nc_u32_e32 v10, 0xfffffb80, v1
	ds_store_b32 v3, v21
	ds_store_b32 v4, v20
	;; [unrolled: 1-line block ×8, first 2 shown]
.LBB260_1076:
	s_wait_alu 0xfffe
	s_or_b32 exec_lo, exec_lo, s0
	s_delay_alu instid0(SALU_CYCLE_1)
	s_mov_b32 s0, exec_lo
	s_wait_loadcnt_dscnt 0x0
	s_barrier_signal -1
	s_barrier_wait -1
	global_inv scope:SCOPE_SE
	v_cmpx_gt_u32_e32 64, v0
	s_cbranch_execz .LBB260_1078
; %bb.1077:
	ds_load_2addr_b32 v[3:4], v1 offset1:32
	ds_load_2addr_b32 v[5:6], v1 offset0:64 offset1:96
	ds_load_2addr_b32 v[7:8], v1 offset0:128 offset1:160
	;; [unrolled: 1-line block ×3, first 2 shown]
	s_wait_dscnt 0x3
	v_dual_add_f32 v21, v21, v3 :: v_dual_add_f32 v20, v20, v4
	s_wait_dscnt 0x2
	v_dual_add_f32 v19, v19, v5 :: v_dual_add_f32 v18, v18, v6
	;; [unrolled: 2-line block ×4, first 2 shown]
.LBB260_1078:
	s_wait_alu 0xfffe
	s_or_b32 exec_lo, exec_lo, s0
	v_and_b32_e32 v3, 0x3e0, v0
	s_mov_b32 s0, exec_lo
	s_wait_loadcnt 0x0
	s_barrier_signal -1
	s_barrier_wait -1
	global_inv scope:SCOPE_SE
	v_cmpx_eq_u32_e32 32, v3
	s_cbranch_execz .LBB260_1080
; %bb.1079:
	ds_store_2addr_b32 v2, v21, v20 offset1:32
	ds_store_2addr_b32 v2, v19, v18 offset0:64 offset1:96
	ds_store_2addr_b32 v2, v17, v16 offset0:128 offset1:160
	;; [unrolled: 1-line block ×3, first 2 shown]
.LBB260_1080:
	s_wait_alu 0xfffe
	s_or_b32 exec_lo, exec_lo, s0
	v_cmp_gt_u32_e32 vcc_lo, 32, v0
	s_wait_loadcnt_dscnt 0x0
	s_barrier_signal -1
	s_barrier_wait -1
	global_inv scope:SCOPE_SE
	s_and_saveexec_b32 s0, vcc_lo
	s_cbranch_execz .LBB260_1082
; %bb.1081:
	ds_load_2addr_b32 v[2:3], v1 offset1:32
	ds_load_2addr_b32 v[4:5], v1 offset0:64 offset1:96
	ds_load_2addr_b32 v[6:7], v1 offset0:128 offset1:160
	;; [unrolled: 1-line block ×3, first 2 shown]
	s_wait_dscnt 0x3
	v_dual_add_f32 v21, v21, v2 :: v_dual_add_f32 v20, v20, v3
	s_wait_dscnt 0x2
	v_dual_add_f32 v19, v19, v4 :: v_dual_add_f32 v18, v18, v5
	;; [unrolled: 2-line block ×4, first 2 shown]
.LBB260_1082:
	s_wait_alu 0xfffe
	s_or_b32 exec_lo, exec_lo, s0
	s_wait_loadcnt 0x0
	s_barrier_signal -1
	s_barrier_wait -1
	global_inv scope:SCOPE_SE
	s_and_saveexec_b32 s0, vcc_lo
	s_cbranch_execz .LBB260_1084
; %bb.1083:
	s_lshl_b32 s0, s24, 8
	s_mul_i32 s2, s12, s18
	s_wait_alu 0xfffe
	s_ashr_i32 s1, s0, 31
	s_ashr_i32 s3, s2, 31
	s_wait_alu 0xfffe
	s_lshl_b64 s[0:1], s[0:1], 1
	s_lshl_b64 s[2:3], s[2:3], 1
	s_wait_kmcnt 0x0
	s_wait_alu 0xfffe
	s_add_nc_u64 s[0:1], s[8:9], s[0:1]
	v_lshlrev_b32_e32 v0, 1, v0
	s_mov_b32 s17, 0
	s_wait_alu 0xfffe
	s_add_nc_u64 s[0:1], s[0:1], s[2:3]
	;;#ASMSTART
	v_cvt_f16_f32 v1, v21;

	;;#ASMEND
	s_wait_alu 0xfffe
	s_add_nc_u64 s[0:1], s[0:1], s[16:17]
	global_store_b16 v0, v1, s[0:1]
	;;#ASMSTART
	v_cvt_f16_f32 v1, v20;

	;;#ASMEND
	global_store_b16 v0, v1, s[0:1] offset:64
	;;#ASMSTART
	v_cvt_f16_f32 v1, v19;

	;;#ASMEND
	global_store_b16 v0, v1, s[0:1] offset:128
	;; [unrolled: 5-line block ×7, first 2 shown]
.LBB260_1084:
	s_nop 0
	s_sendmsg sendmsg(MSG_DEALLOC_VGPRS)
	s_endpgm
	.section	.rodata,"a",@progbits
	.p2align	6, 0x0
	.amdhsa_kernel _ZN4vllm25paged_attention_v2_kernelIthLi256ELi8ELi128ELNS_18Fp8KVCacheDataTypeE1ELb0ELi512EEEvPfS2_PT_PKS3_PKT0_S9_ifPKiSB_iPKfiiiSD_SD_iiiii
		.amdhsa_group_segment_fixed_size 544
		.amdhsa_private_segment_fixed_size 0
		.amdhsa_kernarg_size 400
		.amdhsa_user_sgpr_count 2
		.amdhsa_user_sgpr_dispatch_ptr 0
		.amdhsa_user_sgpr_queue_ptr 0
		.amdhsa_user_sgpr_kernarg_segment_ptr 1
		.amdhsa_user_sgpr_dispatch_id 0
		.amdhsa_user_sgpr_private_segment_size 0
		.amdhsa_wavefront_size32 1
		.amdhsa_uses_dynamic_stack 0
		.amdhsa_enable_private_segment 0
		.amdhsa_system_sgpr_workgroup_id_x 1
		.amdhsa_system_sgpr_workgroup_id_y 1
		.amdhsa_system_sgpr_workgroup_id_z 1
		.amdhsa_system_sgpr_workgroup_info 0
		.amdhsa_system_vgpr_workitem_id 0
		.amdhsa_next_free_vgpr 132
		.amdhsa_next_free_sgpr 36
		.amdhsa_reserve_vcc 1
		.amdhsa_float_round_mode_32 0
		.amdhsa_float_round_mode_16_64 0
		.amdhsa_float_denorm_mode_32 3
		.amdhsa_float_denorm_mode_16_64 3
		.amdhsa_fp16_overflow 0
		.amdhsa_workgroup_processor_mode 1
		.amdhsa_memory_ordered 1
		.amdhsa_forward_progress 1
		.amdhsa_inst_pref_size 255
		.amdhsa_round_robin_scheduling 0
		.amdhsa_exception_fp_ieee_invalid_op 0
		.amdhsa_exception_fp_denorm_src 0
		.amdhsa_exception_fp_ieee_div_zero 0
		.amdhsa_exception_fp_ieee_overflow 0
		.amdhsa_exception_fp_ieee_underflow 0
		.amdhsa_exception_fp_ieee_inexact 0
		.amdhsa_exception_int_div_zero 0
	.end_amdhsa_kernel
	.section	.text._ZN4vllm25paged_attention_v2_kernelIthLi256ELi8ELi128ELNS_18Fp8KVCacheDataTypeE1ELb0ELi512EEEvPfS2_PT_PKS3_PKT0_S9_ifPKiSB_iPKfiiiSD_SD_iiiii,"axG",@progbits,_ZN4vllm25paged_attention_v2_kernelIthLi256ELi8ELi128ELNS_18Fp8KVCacheDataTypeE1ELb0ELi512EEEvPfS2_PT_PKS3_PKT0_S9_ifPKiSB_iPKfiiiSD_SD_iiiii,comdat
.Lfunc_end260:
	.size	_ZN4vllm25paged_attention_v2_kernelIthLi256ELi8ELi128ELNS_18Fp8KVCacheDataTypeE1ELb0ELi512EEEvPfS2_PT_PKS3_PKT0_S9_ifPKiSB_iPKfiiiSD_SD_iiiii, .Lfunc_end260-_ZN4vllm25paged_attention_v2_kernelIthLi256ELi8ELi128ELNS_18Fp8KVCacheDataTypeE1ELb0ELi512EEEvPfS2_PT_PKS3_PKT0_S9_ifPKiSB_iPKfiiiSD_SD_iiiii
                                        ; -- End function
	.set _ZN4vllm25paged_attention_v2_kernelIthLi256ELi8ELi128ELNS_18Fp8KVCacheDataTypeE1ELb0ELi512EEEvPfS2_PT_PKS3_PKT0_S9_ifPKiSB_iPKfiiiSD_SD_iiiii.num_vgpr, 132
	.set _ZN4vllm25paged_attention_v2_kernelIthLi256ELi8ELi128ELNS_18Fp8KVCacheDataTypeE1ELb0ELi512EEEvPfS2_PT_PKS3_PKT0_S9_ifPKiSB_iPKfiiiSD_SD_iiiii.num_agpr, 0
	.set _ZN4vllm25paged_attention_v2_kernelIthLi256ELi8ELi128ELNS_18Fp8KVCacheDataTypeE1ELb0ELi512EEEvPfS2_PT_PKS3_PKT0_S9_ifPKiSB_iPKfiiiSD_SD_iiiii.numbered_sgpr, 36
	.set _ZN4vllm25paged_attention_v2_kernelIthLi256ELi8ELi128ELNS_18Fp8KVCacheDataTypeE1ELb0ELi512EEEvPfS2_PT_PKS3_PKT0_S9_ifPKiSB_iPKfiiiSD_SD_iiiii.num_named_barrier, 0
	.set _ZN4vllm25paged_attention_v2_kernelIthLi256ELi8ELi128ELNS_18Fp8KVCacheDataTypeE1ELb0ELi512EEEvPfS2_PT_PKS3_PKT0_S9_ifPKiSB_iPKfiiiSD_SD_iiiii.private_seg_size, 0
	.set _ZN4vllm25paged_attention_v2_kernelIthLi256ELi8ELi128ELNS_18Fp8KVCacheDataTypeE1ELb0ELi512EEEvPfS2_PT_PKS3_PKT0_S9_ifPKiSB_iPKfiiiSD_SD_iiiii.uses_vcc, 1
	.set _ZN4vllm25paged_attention_v2_kernelIthLi256ELi8ELi128ELNS_18Fp8KVCacheDataTypeE1ELb0ELi512EEEvPfS2_PT_PKS3_PKT0_S9_ifPKiSB_iPKfiiiSD_SD_iiiii.uses_flat_scratch, 0
	.set _ZN4vllm25paged_attention_v2_kernelIthLi256ELi8ELi128ELNS_18Fp8KVCacheDataTypeE1ELb0ELi512EEEvPfS2_PT_PKS3_PKT0_S9_ifPKiSB_iPKfiiiSD_SD_iiiii.has_dyn_sized_stack, 0
	.set _ZN4vllm25paged_attention_v2_kernelIthLi256ELi8ELi128ELNS_18Fp8KVCacheDataTypeE1ELb0ELi512EEEvPfS2_PT_PKS3_PKT0_S9_ifPKiSB_iPKfiiiSD_SD_iiiii.has_recursion, 0
	.set _ZN4vllm25paged_attention_v2_kernelIthLi256ELi8ELi128ELNS_18Fp8KVCacheDataTypeE1ELb0ELi512EEEvPfS2_PT_PKS3_PKT0_S9_ifPKiSB_iPKfiiiSD_SD_iiiii.has_indirect_call, 0
	.section	.AMDGPU.csdata,"",@progbits
; Kernel info:
; codeLenInByte = 38660
; TotalNumSgprs: 38
; NumVgprs: 132
; ScratchSize: 0
; MemoryBound: 0
; FloatMode: 240
; IeeeMode: 1
; LDSByteSize: 544 bytes/workgroup (compile time only)
; SGPRBlocks: 0
; VGPRBlocks: 16
; NumSGPRsForWavesPerEU: 38
; NumVGPRsForWavesPerEU: 132
; Occupancy: 10
; WaveLimiterHint : 1
; COMPUTE_PGM_RSRC2:SCRATCH_EN: 0
; COMPUTE_PGM_RSRC2:USER_SGPR: 2
; COMPUTE_PGM_RSRC2:TRAP_HANDLER: 0
; COMPUTE_PGM_RSRC2:TGID_X_EN: 1
; COMPUTE_PGM_RSRC2:TGID_Y_EN: 1
; COMPUTE_PGM_RSRC2:TGID_Z_EN: 1
; COMPUTE_PGM_RSRC2:TIDIG_COMP_CNT: 0
	.section	.text._ZN4vllm25paged_attention_v2_kernelIthLi32ELi16ELi128ELNS_18Fp8KVCacheDataTypeE1ELb1ELi512EEEvPfS2_PT_PKS3_PKT0_S9_ifPKiSB_iPKfiiiSD_SD_iiiii,"axG",@progbits,_ZN4vllm25paged_attention_v2_kernelIthLi32ELi16ELi128ELNS_18Fp8KVCacheDataTypeE1ELb1ELi512EEEvPfS2_PT_PKS3_PKT0_S9_ifPKiSB_iPKfiiiSD_SD_iiiii,comdat
	.protected	_ZN4vllm25paged_attention_v2_kernelIthLi32ELi16ELi128ELNS_18Fp8KVCacheDataTypeE1ELb1ELi512EEEvPfS2_PT_PKS3_PKT0_S9_ifPKiSB_iPKfiiiSD_SD_iiiii ; -- Begin function _ZN4vllm25paged_attention_v2_kernelIthLi32ELi16ELi128ELNS_18Fp8KVCacheDataTypeE1ELb1ELi512EEEvPfS2_PT_PKS3_PKT0_S9_ifPKiSB_iPKfiiiSD_SD_iiiii
	.globl	_ZN4vllm25paged_attention_v2_kernelIthLi32ELi16ELi128ELNS_18Fp8KVCacheDataTypeE1ELb1ELi512EEEvPfS2_PT_PKS3_PKT0_S9_ifPKiSB_iPKfiiiSD_SD_iiiii
	.p2align	8
	.type	_ZN4vllm25paged_attention_v2_kernelIthLi32ELi16ELi128ELNS_18Fp8KVCacheDataTypeE1ELb1ELi512EEEvPfS2_PT_PKS3_PKT0_S9_ifPKiSB_iPKfiiiSD_SD_iiiii,@function
_ZN4vllm25paged_attention_v2_kernelIthLi32ELi16ELi128ELNS_18Fp8KVCacheDataTypeE1ELb1ELi512EEEvPfS2_PT_PKS3_PKT0_S9_ifPKiSB_iPKfiiiSD_SD_iiiii: ; @_ZN4vllm25paged_attention_v2_kernelIthLi32ELi16ELi128ELNS_18Fp8KVCacheDataTypeE1ELb1ELi512EEEvPfS2_PT_PKS3_PKT0_S9_ifPKiSB_iPKfiiiSD_SD_iiiii
; %bb.0:
	s_load_b64 s[2:3], s[0:1], 0x40
	s_and_b32 s28, ttmp7, 0xffff
	s_lshr_b32 s35, ttmp7, 16
	s_lshl_b32 s4, s28, 2
	s_lshl_b32 s36, s35, 9
	s_wait_kmcnt 0x0
	s_load_b32 s33, s[2:3], s4 offset:0x0
	s_wait_kmcnt 0x0
	s_cmp_ge_i32 s36, s33
	s_cbranch_scc1 .LBB261_322
; %bb.1:
	s_clause 0x1
	s_load_b32 s29, s[0:1], 0x90
	s_load_b64 s[6:7], s[0:1], 0x30
	s_wait_kmcnt 0x0
	s_abs_i32 s5, s29
	s_abs_i32 s2, s6
	s_delay_alu instid0(SALU_CYCLE_1) | instskip(SKIP_1) | instid1(SALU_CYCLE_2)
	s_cvt_f32_u32 s3, s2
	s_sub_co_i32 s4, 0, s2
	v_rcp_iflag_f32_e32 v1, s3
	s_delay_alu instid0(TRANS32_DEP_1) | instskip(SKIP_2) | instid1(SALU_CYCLE_2)
	v_readfirstlane_b32 s3, v1
	s_mul_f32 s3, s3, 0x4f7ffffe
	s_wait_alu 0xfffe
	s_cvt_u32_f32 s3, s3
	s_wait_alu 0xfffe
	s_delay_alu instid0(SALU_CYCLE_2) | instskip(NEXT) | instid1(SALU_CYCLE_1)
	s_mul_i32 s4, s4, s3
	s_mul_hi_u32 s4, s3, s4
	s_delay_alu instid0(SALU_CYCLE_1)
	s_add_co_i32 s3, s3, s4
	s_xor_b32 s4, s29, s6
	s_wait_alu 0xfffe
	s_mul_hi_u32 s3, s5, s3
	s_ashr_i32 s4, s4, 31
	s_wait_alu 0xfffe
	s_mul_i32 s8, s3, s2
	s_delay_alu instid0(SALU_CYCLE_1)
	s_sub_co_i32 s5, s5, s8
	s_add_co_i32 s8, s3, 1
	s_sub_co_i32 s9, s5, s2
	s_cmp_ge_u32 s5, s2
	s_cselect_b32 s3, s8, s3
	s_cselect_b32 s5, s9, s5
	s_wait_alu 0xfffe
	s_add_co_i32 s8, s3, 1
	s_cmp_ge_u32 s5, s2
	s_cselect_b32 s2, s8, s3
	s_load_b64 s[8:9], s[0:1], 0x50
	s_xor_b32 s2, s2, s4
	s_mov_b32 s3, 0
	s_wait_alu 0xfffe
	s_sub_co_i32 s11, s2, s4
	s_mov_b32 s30, s3
	s_abs_i32 s10, s11
	s_delay_alu instid0(SALU_CYCLE_1) | instskip(SKIP_1) | instid1(SALU_CYCLE_2)
	s_cvt_f32_u32 s2, s10
	s_wait_alu 0xfffe
	v_rcp_iflag_f32_e32 v1, s2
	s_delay_alu instid0(TRANS32_DEP_1) | instskip(SKIP_2) | instid1(SALU_CYCLE_2)
	v_readfirstlane_b32 s2, v1
	s_mul_f32 s2, s2, 0x4f7ffffe
	s_wait_alu 0xfffe
	s_cvt_u32_f32 s4, s2
	s_sub_co_i32 s2, 0, s10
	s_wait_alu 0xfffe
	s_delay_alu instid0(SALU_CYCLE_1)
	s_mul_i32 s2, s2, s4
	s_wait_alu 0xfffe
	s_mul_hi_u32 s5, s4, s2
	s_abs_i32 s2, ttmp9
	s_add_co_i32 s4, s4, s5
	s_mov_b32 s5, s3
	s_wait_kmcnt 0x0
	s_cmp_eq_u64 s[8:9], 0
	s_cbranch_scc1 .LBB261_3
; %bb.2:
	s_mov_b32 s12, ttmp9
	s_ashr_i32 s13, ttmp9, 31
	s_delay_alu instid0(SALU_CYCLE_1) | instskip(NEXT) | instid1(SALU_CYCLE_1)
	s_lshl_b64 s[12:13], s[12:13], 2
	s_add_nc_u64 s[8:9], s[8:9], s[12:13]
	s_load_b32 s30, s[8:9], 0x0
.LBB261_3:
	s_load_b96 s[16:18], s[0:1], 0x58
	v_lshrrev_b32_e32 v11, 1, v0
	v_and_b32_e32 v12, 1, v0
	v_lshlrev_b32_e32 v10, 3, v0
	s_mul_u64 s[4:5], s[2:3], s[4:5]
	s_ashr_i32 s3, ttmp9, 31
	s_ashr_i32 s4, s11, 31
	s_lshl_b32 s20, ttmp9, 5
	s_mov_b32 s8, exec_lo
	v_cmpx_gt_u32_e32 8, v0
	s_cbranch_execz .LBB261_5
; %bb.4:
	s_load_b64 s[12:13], s[0:1], 0x18
	s_wait_kmcnt 0x0
	s_mul_i32 s14, s16, s28
	s_ashr_i32 s21, s20, 31
	s_ashr_i32 s15, s14, 31
	v_lshlrev_b32_e32 v3, 3, v11
	s_lshl_b64 s[14:15], s[14:15], 1
	s_delay_alu instid0(VALU_DEP_1) | instskip(SKIP_2) | instid1(SALU_CYCLE_1)
	v_lshl_add_u32 v3, v12, 5, v3
	s_add_nc_u64 s[12:13], s[12:13], s[14:15]
	s_lshl_b64 s[14:15], s[20:21], 1
	s_add_nc_u64 s[12:13], s[12:13], s[14:15]
	global_load_b64 v[1:2], v10, s[12:13]
	s_wait_loadcnt 0x0
	ds_store_b64 v3, v[1:2]
.LBB261_5:
	s_or_b32 exec_lo, exec_lo, s8
	s_load_b128 s[12:15], s[0:1], 0x78
	s_mul_i32 s8, s5, s10
	s_xor_b32 s3, s3, s4
	s_sub_co_i32 s2, s2, s8
	s_add_co_i32 s4, s5, 1
	s_wait_alu 0xfffe
	s_sub_co_i32 s8, s2, s10
	s_cmp_ge_u32 s2, s10
                                        ; implicit-def: $sgpr21
	s_cselect_b32 s4, s4, s5
	s_cselect_b32 s2, s8, s2
	s_add_co_i32 s5, s4, 1
	s_wait_alu 0xfffe
	s_cmp_ge_u32 s2, s10
	s_load_b32 s8, s[0:1], 0x88
	s_cselect_b32 s2, s5, s4
	s_add_co_i32 s9, s33, -1
	s_wait_alu 0xfffe
	s_xor_b32 s2, s2, s3
	s_mov_b32 s10, -1
	s_wait_alu 0xfffe
	s_sub_co_i32 s19, s2, s3
	s_wait_dscnt 0x0
	s_barrier_signal -1
	s_wait_kmcnt 0x0
	s_abs_i32 s16, s15
	s_barrier_wait -1
	s_cvt_f32_u32 s4, s16
	global_inv scope:SCOPE_SE
	v_rcp_iflag_f32_e32 v1, s4
	s_delay_alu instid0(TRANS32_DEP_1) | instskip(SKIP_2) | instid1(SALU_CYCLE_2)
	v_readfirstlane_b32 s4, v1
	s_mul_f32 s2, s4, 0x4f7ffffe
	s_wait_alu 0xfffe
	s_cvt_u32_f32 s4, s2
	s_sub_co_i32 s2, 0, s16
	s_wait_alu 0xfffe
	s_delay_alu instid0(SALU_CYCLE_1)
	s_mul_i32 s3, s2, s4
	s_abs_i32 s2, s9
	s_wait_alu 0xfffe
	s_mul_hi_u32 s5, s4, s3
	s_mov_b32 s3, 0
	s_wait_alu 0xfffe
	s_add_co_i32 s22, s4, s5
	s_cmp_lt_i32 s8, 0
	s_mov_b32 s23, s3
	s_cbranch_scc0 .LBB261_7
; %bb.6:
	s_mul_i32 s4, s12, s6
	s_mov_b32 s10, s3
	s_wait_alu 0xfffe
	s_add_co_i32 s4, s19, s4
	s_wait_alu 0xfffe
	s_mul_i32 s4, s4, s8
	s_wait_alu 0xfffe
	s_sub_co_i32 s21, 1, s4
.LBB261_7:
	s_mul_u64 s[4:5], s[2:3], s[22:23]
	s_ashr_i32 s3, s9, 31
	s_and_not1_b32 vcc_lo, exec_lo, s10
	s_ashr_i32 s23, s15, 31
	s_cbranch_vccnz .LBB261_9
; %bb.8:
	s_mul_i32 s4, s29, s12
	s_wait_alu 0xfffe
	s_add_co_i32 s4, s4, ttmp9
	s_wait_alu 0xfffe
	s_mul_i32 s4, s4, s8
	s_wait_alu 0xfffe
	s_add_co_i32 s21, s4, 1
.LBB261_9:
	s_clause 0x3
	s_load_b32 s4, s[0:1], 0x48
	s_load_b64 s[24:25], s[0:1], 0x38
	s_load_b32 s12, s[0:1], 0x98
	s_load_b128 s[8:11], s[0:1], 0x68
	s_mul_i32 s6, s5, s16
	s_xor_b32 s3, s3, s23
	s_sub_co_i32 s2, s2, s6
	s_add_co_i32 s15, s5, 1
	v_lshrrev_b32_e32 v13, 5, v0
	v_mbcnt_lo_u32_b32 v18, -1, 0
	s_mul_i32 s18, s19, s18
	s_delay_alu instid0(VALU_DEP_2)
	v_lshl_add_u32 v14, v13, 4, s36
	s_wait_kmcnt 0x0
	s_mul_i32 s26, s4, s28
	s_wait_alu 0xfffe
	s_sub_co_i32 s4, s2, s16
	s_ashr_i32 s27, s26, 31
	s_cmp_ge_u32 s2, s16
	s_cselect_b32 s5, s15, s5
	s_wait_alu 0xfffe
	s_cselect_b32 s2, s4, s2
	s_add_co_i32 s4, s5, 1
	s_wait_alu 0xfffe
	s_cmp_ge_u32 s2, s16
	s_cselect_b32 s2, s4, s5
	s_add_co_i32 s4, s33, 15
	s_lshl_b32 s15, s35, 5
	s_wait_alu 0xfffe
	s_ashr_i32 s5, s4, 31
	v_or_b32_e32 v15, s15, v13
	s_wait_alu 0xfffe
	s_lshr_b32 s5, s5, 28
	v_mov_b32_e32 v19, 0xff7fffff
	s_wait_alu 0xfffe
	s_add_co_i32 s4, s4, s5
	s_add_co_i32 s5, s15, 32
	s_wait_alu 0xfffe
	s_ashr_i32 s37, s4, 4
	s_xor_b32 s4, s2, s3
	s_wait_alu 0xfffe
	s_min_i32 s34, s5, s37
	v_lshlrev_b32_e32 v16, 2, v15
	v_cmp_gt_i32_e64 s2, s34, v15
	s_sub_co_i32 s38, s4, s3
	s_and_saveexec_b32 s6, s2
	s_cbranch_execz .LBB261_149
; %bb.10:
	s_sub_co_i32 s31, s38, s13
	s_ashr_i32 s19, s18, 31
	s_cmp_neq_f32 s30, 0
	s_load_b64 s[4:5], s[0:1], 0x20
	v_bfe_u32 v17, v0, 1, 4
	v_dual_mov_b32 v2, 0 :: v_dual_lshlrev_b32 v3, 2, v12
	s_cselect_b32 vcc_lo, -1, 0
	s_abs_i32 s39, s14
	s_delay_alu instid0(VALU_DEP_2)
	v_dual_mov_b32 v25, v15 :: v_dual_lshlrev_b32 v4, 4, v17
	s_cvt_f32_u32 s3, s39
	v_dual_mov_b32 v24, 0xff7fffff :: v_dual_lshlrev_b32 v5, 2, v17
	s_lshl_b64 s[42:43], s[26:27], 2
	s_wait_alu 0xfffe
	v_rcp_iflag_f32_e32 v1, s3
	v_subrev_nc_u32_e32 v7, s33, v17
	s_add_nc_u64 s[42:43], s[24:25], s[42:43]
	s_sub_co_i32 s44, 0, s39
	v_cmp_eq_u32_e64 s3, 0, v12
	v_dual_mov_b32 v19, 0xff7fffff :: v_dual_lshlrev_b32 v20, 5, v12
	v_lshl_add_u32 v21, v13, 4, s36
	s_wait_kmcnt 0x0
	s_add_nc_u64 s[4:5], s[4:5], s[18:19]
	v_add_nc_u32_e32 v22, 1, v7
	v_readfirstlane_b32 s41, v1
	s_wait_alu 0xfffe
	v_add_co_u32 v4, s4, s4, v4
	v_lshl_or_b32 v1, v13, 6, v5
	s_wait_alu 0xf1ff
	v_add_co_ci_u32_e64 v5, null, s5, 0, s4
	s_mul_f32 s19, s41, 0x4f7ffffe
	v_add_co_u32 v3, s4, v4, v3
	s_wait_alu 0xf1ff
	v_add_co_ci_u32_e64 v4, null, 0, v5, s4
	s_cvt_u32_f32 s5, s19
	v_add_co_u32 v5, s4, s42, v16
	s_wait_alu 0xf1ff
	v_add_co_ci_u32_e64 v6, null, s43, 0, s4
	s_wait_alu 0xfffe
	s_mul_i32 s44, s44, s5
	v_add_nc_u32_e32 v23, 0x60, v1
	s_mul_hi_u32 s4, s5, s44
	s_mov_b32 s40, 0
	s_mov_b32 s19, s17
	s_wait_alu 0xfffe
	s_add_co_i32 s41, s5, s4
	s_branch .LBB261_13
.LBB261_11:                             ;   in Loop: Header=BB261_13 Depth=1
	s_wait_alu 0xfffe
	s_or_b32 exec_lo, exec_lo, s42
.LBB261_12:                             ;   in Loop: Header=BB261_13 Depth=1
	s_wait_alu 0xfffe
	s_or_b32 exec_lo, exec_lo, s5
	v_add_nc_u32_e32 v25, 4, v25
	v_add_co_u32 v5, s5, v5, 16
	s_wait_alu 0xf1ff
	v_add_co_ci_u32_e64 v6, null, 0, v6, s5
	s_delay_alu instid0(VALU_DEP_3)
	v_cmp_le_i32_e64 s4, s34, v25
	v_add_nc_u32_e32 v21, 64, v21
	v_add_nc_u32_e32 v23, 0x100, v23
	s_or_b32 s40, s4, s40
	s_wait_alu 0xfffe
	s_and_not1_b32 exec_lo, exec_lo, s40
	s_cbranch_execz .LBB261_148
.LBB261_13:                             ; =>This Inner Loop Header: Depth=1
	v_sub_nc_u32_e32 v1, 0, v21
	s_delay_alu instid0(VALU_DEP_1) | instskip(SKIP_1) | instid1(VALU_DEP_1)
	v_max_i32_e32 v1, v21, v1
	s_wait_dscnt 0x0
	v_mul_hi_u32 v7, v1, s22
	s_delay_alu instid0(VALU_DEP_1) | instskip(NEXT) | instid1(VALU_DEP_1)
	v_mul_lo_u32 v8, v7, s16
	v_sub_nc_u32_e32 v1, v1, v8
	v_add_nc_u32_e32 v8, 1, v7
	s_delay_alu instid0(VALU_DEP_2) | instskip(SKIP_2) | instid1(VALU_DEP_1)
	v_subrev_nc_u32_e32 v9, s16, v1
	v_cmp_le_u32_e64 s4, s16, v1
	s_wait_alu 0xf1ff
	v_cndmask_b32_e64 v7, v7, v8, s4
	s_delay_alu instid0(VALU_DEP_3) | instskip(SKIP_1) | instid1(VALU_DEP_3)
	v_cndmask_b32_e64 v1, v1, v9, s4
	v_ashrrev_i32_e32 v8, 31, v21
	v_add_nc_u32_e32 v9, 1, v7
	s_delay_alu instid0(VALU_DEP_3) | instskip(NEXT) | instid1(VALU_DEP_3)
	v_cmp_le_u32_e64 s4, s16, v1
	v_xor_b32_e32 v8, s23, v8
	s_wait_alu 0xf1ff
	s_delay_alu instid0(VALU_DEP_2) | instskip(NEXT) | instid1(VALU_DEP_1)
	v_cndmask_b32_e64 v1, v7, v9, s4
	v_xor_b32_e32 v1, v1, v8
	s_delay_alu instid0(VALU_DEP_1) | instskip(NEXT) | instid1(VALU_DEP_1)
	v_sub_nc_u32_e32 v1, v1, v8
	v_add_nc_u32_e32 v7, s21, v1
	v_cmp_ge_i32_e64 s5, s31, v1
	s_delay_alu instid0(VALU_DEP_2) | instskip(NEXT) | instid1(VALU_DEP_1)
	v_sub_nc_u32_e32 v8, 0, v7
	v_max_i32_e32 v8, v7, v8
	v_ashrrev_i32_e32 v7, 31, v7
	s_delay_alu instid0(VALU_DEP_2) | instskip(NEXT) | instid1(VALU_DEP_1)
	v_mul_hi_u32 v9, v8, s41
	v_mul_lo_u32 v9, v9, s39
	s_delay_alu instid0(VALU_DEP_1) | instskip(NEXT) | instid1(VALU_DEP_1)
	v_sub_nc_u32_e32 v8, v8, v9
	v_subrev_nc_u32_e32 v9, s39, v8
	v_cmp_le_u32_e64 s4, s39, v8
	s_wait_alu 0xf1ff
	s_delay_alu instid0(VALU_DEP_1) | instskip(NEXT) | instid1(VALU_DEP_1)
	v_cndmask_b32_e64 v8, v8, v9, s4
	v_subrev_nc_u32_e32 v9, s39, v8
	v_cmp_le_u32_e64 s4, s39, v8
	s_wait_alu 0xf1ff
	s_delay_alu instid0(VALU_DEP_1) | instskip(NEXT) | instid1(VALU_DEP_1)
	v_cndmask_b32_e64 v8, v8, v9, s4
	v_xor_b32_e32 v8, v8, v7
	s_delay_alu instid0(VALU_DEP_1) | instskip(NEXT) | instid1(VALU_DEP_1)
	v_sub_nc_u32_e32 v7, v8, v7
	v_cmp_ne_u32_e64 s4, 0, v7
	s_and_b32 s4, s4, s5
	s_wait_alu 0xfffe
	s_and_saveexec_b32 s5, s4
	s_wait_alu 0xfffe
	s_xor_b32 s4, exec_lo, s5
	s_cbranch_execz .LBB261_17
; %bb.14:                               ;   in Loop: Header=BB261_13 Depth=1
	s_and_saveexec_b32 s5, s3
; %bb.15:                               ;   in Loop: Header=BB261_13 Depth=1
	ds_store_b32 v23, v24
; %bb.16:                               ;   in Loop: Header=BB261_13 Depth=1
	s_wait_alu 0xfffe
	s_or_b32 exec_lo, exec_lo, s5
.LBB261_17:                             ;   in Loop: Header=BB261_13 Depth=1
	s_wait_alu 0xfffe
	s_and_not1_saveexec_b32 s5, s4
	s_cbranch_execz .LBB261_12
; %bb.18:                               ;   in Loop: Header=BB261_13 Depth=1
	global_load_b32 v1, v[5:6], off
	v_dual_mov_b32 v27, 0 :: v_dual_mov_b32 v28, 0
	s_mov_b32 s42, exec_lo
	global_load_b32 v26, v27, s[8:9]
	s_wait_loadcnt 0x1
	v_mad_co_i64_i32 v[7:8], null, v1, s19, v[3:4]
	global_load_b32 v9, v[7:8], off
	s_wait_loadcnt 0x0
	v_and_b32_e32 v1, 0xff, v9
	s_delay_alu instid0(VALU_DEP_1)
	v_cmpx_ne_u16_e32 0, v1
	s_cbranch_execz .LBB261_26
; %bb.19:                               ;   in Loop: Header=BB261_13 Depth=1
	v_mov_b32_e32 v28, 0x8000
	s_mov_b32 s43, exec_lo
	v_cmpx_ne_u16_e32 0x80, v1
	s_cbranch_execz .LBB261_25
; %bb.20:                               ;   in Loop: Header=BB261_13 Depth=1
	v_and_b32_e32 v29, 0x7f, v9
	v_mov_b32_e32 v28, 0x7c01
	s_mov_b32 s44, exec_lo
	s_delay_alu instid0(VALU_DEP_2)
	v_cmpx_ne_u32_e32 0x7f, v29
	s_cbranch_execz .LBB261_24
; %bb.21:                               ;   in Loop: Header=BB261_13 Depth=1
	v_and_b32_e32 v1, 7, v9
	v_lshrrev_b32_e32 v28, 3, v29
	s_mov_b32 s45, exec_lo
	v_cmpx_gt_u32_e32 8, v29
; %bb.22:                               ;   in Loop: Header=BB261_13 Depth=1
	s_delay_alu instid0(VALU_DEP_3) | instskip(NEXT) | instid1(VALU_DEP_1)
	v_clz_i32_u32_e32 v1, v1
	v_min_u32_e32 v1, 32, v1
	s_delay_alu instid0(VALU_DEP_1) | instskip(NEXT) | instid1(VALU_DEP_1)
	v_subrev_nc_u32_e32 v28, 28, v1
	v_lshlrev_b64_e32 v[29:30], v28, v[9:10]
	v_sub_nc_u32_e32 v28, 29, v1
	s_delay_alu instid0(VALU_DEP_2)
	v_and_b32_e32 v1, 7, v29
; %bb.23:                               ;   in Loop: Header=BB261_13 Depth=1
	s_or_b32 exec_lo, exec_lo, s45
	v_lshlrev_b32_e32 v29, 8, v9
	s_delay_alu instid0(VALU_DEP_3) | instskip(NEXT) | instid1(VALU_DEP_3)
	v_lshl_add_u32 v28, v28, 10, 0x2000
	v_lshlrev_b32_e32 v1, 7, v1
	s_delay_alu instid0(VALU_DEP_3) | instskip(NEXT) | instid1(VALU_DEP_3)
	v_and_b32_e32 v29, 0x8000, v29
	v_and_b32_e32 v28, 0xfc00, v28
	s_delay_alu instid0(VALU_DEP_1)
	v_or3_b32 v28, v29, v28, v1
.LBB261_24:                             ;   in Loop: Header=BB261_13 Depth=1
	s_or_b32 exec_lo, exec_lo, s44
.LBB261_25:                             ;   in Loop: Header=BB261_13 Depth=1
	s_wait_alu 0xfffe
	s_or_b32 exec_lo, exec_lo, s43
.LBB261_26:                             ;   in Loop: Header=BB261_13 Depth=1
	s_wait_alu 0xfffe
	s_or_b32 exec_lo, exec_lo, s42
	v_lshrrev_b16 v1, 8, v9
	s_mov_b32 s42, exec_lo
	s_delay_alu instid0(VALU_DEP_1)
	v_cmpx_ne_u16_e32 0, v1
	s_cbranch_execz .LBB261_34
; %bb.27:                               ;   in Loop: Header=BB261_13 Depth=1
	v_bfrev_b32_e32 v27, 1
	s_mov_b32 s43, exec_lo
	v_cmpx_ne_u16_e32 0x80, v1
	s_cbranch_execz .LBB261_33
; %bb.28:                               ;   in Loop: Header=BB261_13 Depth=1
	v_and_b32_e32 v29, 0xffff, v1
	v_mov_b32_e32 v27, 0x7c010000
	s_mov_b32 s44, exec_lo
	s_delay_alu instid0(VALU_DEP_2) | instskip(NEXT) | instid1(VALU_DEP_1)
	v_and_b32_e32 v31, 0x7f, v29
	v_cmpx_ne_u32_e32 0x7f, v31
	s_cbranch_execz .LBB261_32
; %bb.29:                               ;   in Loop: Header=BB261_13 Depth=1
	v_and_b32_e32 v27, 7, v29
	v_lshrrev_b32_e32 v30, 3, v31
	s_mov_b32 s45, exec_lo
	v_cmpx_gt_u32_e32 8, v31
; %bb.30:                               ;   in Loop: Header=BB261_13 Depth=1
	s_delay_alu instid0(VALU_DEP_3) | instskip(NEXT) | instid1(VALU_DEP_1)
	v_clz_i32_u32_e32 v27, v27
	v_min_u32_e32 v27, 32, v27
	s_delay_alu instid0(VALU_DEP_1) | instskip(NEXT) | instid1(VALU_DEP_1)
	v_subrev_nc_u32_e32 v30, 28, v27
	v_lshlrev_b64_e32 v[31:32], v30, v[1:2]
	v_sub_nc_u32_e32 v30, 29, v27
	s_delay_alu instid0(VALU_DEP_2)
	v_and_b32_e32 v27, 7, v31
; %bb.31:                               ;   in Loop: Header=BB261_13 Depth=1
	s_or_b32 exec_lo, exec_lo, s45
	v_lshlrev_b32_e32 v1, 8, v29
	s_delay_alu instid0(VALU_DEP_3) | instskip(NEXT) | instid1(VALU_DEP_3)
	v_lshl_add_u32 v29, v30, 10, 0x2000
	v_lshlrev_b32_e32 v27, 23, v27
	s_delay_alu instid0(VALU_DEP_2) | instskip(NEXT) | instid1(VALU_DEP_1)
	v_and_or_b32 v1, 0x8000, v1, v29
	v_lshl_or_b32 v27, v1, 16, v27
.LBB261_32:                             ;   in Loop: Header=BB261_13 Depth=1
	s_or_b32 exec_lo, exec_lo, s44
.LBB261_33:                             ;   in Loop: Header=BB261_13 Depth=1
	s_wait_alu 0xfffe
	s_or_b32 exec_lo, exec_lo, s43
.LBB261_34:                             ;   in Loop: Header=BB261_13 Depth=1
	s_wait_alu 0xfffe
	s_or_b32 exec_lo, exec_lo, s42
	v_lshrrev_b32_e32 v1, 16, v9
	v_mov_b32_e32 v29, 0
	s_mov_b32 s42, exec_lo
	s_delay_alu instid0(VALU_DEP_2) | instskip(NEXT) | instid1(VALU_DEP_1)
	v_dual_mov_b32 v30, 0 :: v_dual_and_b32 v31, 0xff, v1
	v_cmpx_ne_u16_e32 0, v31
	s_cbranch_execz .LBB261_42
; %bb.35:                               ;   in Loop: Header=BB261_13 Depth=1
	v_mov_b32_e32 v30, 0x8000
	s_mov_b32 s43, exec_lo
	v_cmpx_ne_u16_e32 0x80, v31
	s_cbranch_execz .LBB261_41
; %bb.36:                               ;   in Loop: Header=BB261_13 Depth=1
	v_bfe_u32 v32, v9, 16, 7
	v_mov_b32_e32 v30, 0x7c01
	s_mov_b32 s44, exec_lo
	s_delay_alu instid0(VALU_DEP_2)
	v_cmpx_ne_u32_e32 0x7f, v32
	s_cbranch_execz .LBB261_40
; %bb.37:                               ;   in Loop: Header=BB261_13 Depth=1
	v_and_b32_e32 v30, 7, v1
	v_lshrrev_b32_e32 v31, 3, v32
	s_mov_b32 s45, exec_lo
	v_cmpx_gt_u32_e32 8, v32
; %bb.38:                               ;   in Loop: Header=BB261_13 Depth=1
	s_delay_alu instid0(VALU_DEP_3) | instskip(NEXT) | instid1(VALU_DEP_1)
	v_clz_i32_u32_e32 v30, v30
	v_min_u32_e32 v32, 32, v30
	s_delay_alu instid0(VALU_DEP_1) | instskip(NEXT) | instid1(VALU_DEP_1)
	v_subrev_nc_u32_e32 v30, 28, v32
	v_lshlrev_b64_e32 v[30:31], v30, v[1:2]
	v_sub_nc_u32_e32 v31, 29, v32
	s_delay_alu instid0(VALU_DEP_2)
	v_and_b32_e32 v30, 7, v30
; %bb.39:                               ;   in Loop: Header=BB261_13 Depth=1
	s_or_b32 exec_lo, exec_lo, s45
	v_lshlrev_b32_e32 v1, 8, v1
	s_delay_alu instid0(VALU_DEP_3) | instskip(NEXT) | instid1(VALU_DEP_3)
	v_lshl_add_u32 v31, v31, 10, 0x2000
	v_lshlrev_b32_e32 v30, 7, v30
	s_delay_alu instid0(VALU_DEP_3) | instskip(NEXT) | instid1(VALU_DEP_3)
	v_and_b32_e32 v1, 0x8000, v1
	v_and_b32_e32 v31, 0xfc00, v31
	s_delay_alu instid0(VALU_DEP_1)
	v_or3_b32 v30, v1, v31, v30
.LBB261_40:                             ;   in Loop: Header=BB261_13 Depth=1
	s_or_b32 exec_lo, exec_lo, s44
.LBB261_41:                             ;   in Loop: Header=BB261_13 Depth=1
	s_wait_alu 0xfffe
	s_or_b32 exec_lo, exec_lo, s43
.LBB261_42:                             ;   in Loop: Header=BB261_13 Depth=1
	s_wait_alu 0xfffe
	s_or_b32 exec_lo, exec_lo, s42
	s_delay_alu instid0(SALU_CYCLE_1)
	s_mov_b32 s42, exec_lo
	v_cmpx_lt_u32_e32 0xffffff, v9
	s_cbranch_execz .LBB261_50
; %bb.43:                               ;   in Loop: Header=BB261_13 Depth=1
	v_lshrrev_b32_e32 v1, 24, v9
	v_bfrev_b32_e32 v29, 1
	s_mov_b32 s43, exec_lo
	s_delay_alu instid0(VALU_DEP_2)
	v_cmpx_ne_u32_e32 0x80, v1
	s_cbranch_execz .LBB261_49
; %bb.44:                               ;   in Loop: Header=BB261_13 Depth=1
	v_and_b32_e32 v31, 0x7f, v1
	v_mov_b32_e32 v29, 0x7c010000
	s_mov_b32 s44, exec_lo
	s_delay_alu instid0(VALU_DEP_2)
	v_cmpx_ne_u32_e32 0x7f, v31
	s_cbranch_execz .LBB261_48
; %bb.45:                               ;   in Loop: Header=BB261_13 Depth=1
	v_and_b32_e32 v9, 7, v1
	v_lshrrev_b32_e32 v29, 3, v31
	s_mov_b32 s45, exec_lo
	v_cmpx_gt_u32_e32 8, v31
; %bb.46:                               ;   in Loop: Header=BB261_13 Depth=1
	s_delay_alu instid0(VALU_DEP_3) | instskip(NEXT) | instid1(VALU_DEP_1)
	v_clz_i32_u32_e32 v9, v9
	v_min_u32_e32 v9, 32, v9
	s_delay_alu instid0(VALU_DEP_1) | instskip(NEXT) | instid1(VALU_DEP_1)
	v_subrev_nc_u32_e32 v29, 28, v9
	v_lshlrev_b64_e32 v[31:32], v29, v[1:2]
	v_sub_nc_u32_e32 v29, 29, v9
	s_delay_alu instid0(VALU_DEP_2)
	v_and_b32_e32 v9, 7, v31
; %bb.47:                               ;   in Loop: Header=BB261_13 Depth=1
	s_or_b32 exec_lo, exec_lo, s45
	v_lshlrev_b32_e32 v1, 8, v1
	s_delay_alu instid0(VALU_DEP_3) | instskip(NEXT) | instid1(VALU_DEP_3)
	v_lshl_add_u32 v29, v29, 10, 0x2000
	v_lshlrev_b32_e32 v9, 23, v9
	s_delay_alu instid0(VALU_DEP_2) | instskip(NEXT) | instid1(VALU_DEP_1)
	v_and_or_b32 v1, 0x8000, v1, v29
	v_lshl_or_b32 v29, v1, 16, v9
.LBB261_48:                             ;   in Loop: Header=BB261_13 Depth=1
	s_or_b32 exec_lo, exec_lo, s44
.LBB261_49:                             ;   in Loop: Header=BB261_13 Depth=1
	s_wait_alu 0xfffe
	s_or_b32 exec_lo, exec_lo, s43
.LBB261_50:                             ;   in Loop: Header=BB261_13 Depth=1
	s_wait_alu 0xfffe
	s_or_b32 exec_lo, exec_lo, s42
	global_load_b32 v9, v[7:8], off offset:8
	v_mov_b32_e32 v31, 0
	s_mov_b32 s42, exec_lo
	s_wait_loadcnt 0x0
	v_dual_mov_b32 v32, 0 :: v_dual_and_b32 v1, 0xff, v9
	s_delay_alu instid0(VALU_DEP_1)
	v_cmpx_ne_u16_e32 0, v1
	s_cbranch_execz .LBB261_58
; %bb.51:                               ;   in Loop: Header=BB261_13 Depth=1
	v_mov_b32_e32 v32, 0x8000
	s_mov_b32 s43, exec_lo
	v_cmpx_ne_u16_e32 0x80, v1
	s_cbranch_execz .LBB261_57
; %bb.52:                               ;   in Loop: Header=BB261_13 Depth=1
	v_and_b32_e32 v33, 0x7f, v9
	v_mov_b32_e32 v32, 0x7c01
	s_mov_b32 s44, exec_lo
	s_delay_alu instid0(VALU_DEP_2)
	v_cmpx_ne_u32_e32 0x7f, v33
	s_cbranch_execz .LBB261_56
; %bb.53:                               ;   in Loop: Header=BB261_13 Depth=1
	v_and_b32_e32 v1, 7, v9
	v_lshrrev_b32_e32 v32, 3, v33
	s_mov_b32 s45, exec_lo
	v_cmpx_gt_u32_e32 8, v33
; %bb.54:                               ;   in Loop: Header=BB261_13 Depth=1
	s_delay_alu instid0(VALU_DEP_3) | instskip(NEXT) | instid1(VALU_DEP_1)
	v_clz_i32_u32_e32 v1, v1
	v_min_u32_e32 v1, 32, v1
	s_delay_alu instid0(VALU_DEP_1) | instskip(NEXT) | instid1(VALU_DEP_1)
	v_subrev_nc_u32_e32 v32, 28, v1
	v_lshlrev_b64_e32 v[33:34], v32, v[9:10]
	v_sub_nc_u32_e32 v32, 29, v1
	s_delay_alu instid0(VALU_DEP_2)
	v_and_b32_e32 v1, 7, v33
; %bb.55:                               ;   in Loop: Header=BB261_13 Depth=1
	s_or_b32 exec_lo, exec_lo, s45
	v_lshlrev_b32_e32 v33, 8, v9
	s_delay_alu instid0(VALU_DEP_3) | instskip(NEXT) | instid1(VALU_DEP_3)
	v_lshl_add_u32 v32, v32, 10, 0x2000
	v_lshlrev_b32_e32 v1, 7, v1
	s_delay_alu instid0(VALU_DEP_3) | instskip(NEXT) | instid1(VALU_DEP_3)
	v_and_b32_e32 v33, 0x8000, v33
	v_and_b32_e32 v32, 0xfc00, v32
	s_delay_alu instid0(VALU_DEP_1)
	v_or3_b32 v32, v33, v32, v1
.LBB261_56:                             ;   in Loop: Header=BB261_13 Depth=1
	s_or_b32 exec_lo, exec_lo, s44
.LBB261_57:                             ;   in Loop: Header=BB261_13 Depth=1
	s_wait_alu 0xfffe
	s_or_b32 exec_lo, exec_lo, s43
.LBB261_58:                             ;   in Loop: Header=BB261_13 Depth=1
	s_wait_alu 0xfffe
	s_or_b32 exec_lo, exec_lo, s42
	v_lshrrev_b16 v1, 8, v9
	s_mov_b32 s42, exec_lo
	s_delay_alu instid0(VALU_DEP_1)
	v_cmpx_ne_u16_e32 0, v1
	s_cbranch_execz .LBB261_66
; %bb.59:                               ;   in Loop: Header=BB261_13 Depth=1
	v_bfrev_b32_e32 v31, 1
	s_mov_b32 s43, exec_lo
	v_cmpx_ne_u16_e32 0x80, v1
	s_cbranch_execz .LBB261_65
; %bb.60:                               ;   in Loop: Header=BB261_13 Depth=1
	v_and_b32_e32 v33, 0xffff, v1
	v_mov_b32_e32 v31, 0x7c010000
	s_mov_b32 s44, exec_lo
	s_delay_alu instid0(VALU_DEP_2) | instskip(NEXT) | instid1(VALU_DEP_1)
	v_and_b32_e32 v35, 0x7f, v33
	v_cmpx_ne_u32_e32 0x7f, v35
	s_cbranch_execz .LBB261_64
; %bb.61:                               ;   in Loop: Header=BB261_13 Depth=1
	v_and_b32_e32 v31, 7, v33
	v_lshrrev_b32_e32 v34, 3, v35
	s_mov_b32 s45, exec_lo
	v_cmpx_gt_u32_e32 8, v35
; %bb.62:                               ;   in Loop: Header=BB261_13 Depth=1
	s_delay_alu instid0(VALU_DEP_3) | instskip(NEXT) | instid1(VALU_DEP_1)
	v_clz_i32_u32_e32 v31, v31
	v_min_u32_e32 v31, 32, v31
	s_delay_alu instid0(VALU_DEP_1) | instskip(NEXT) | instid1(VALU_DEP_1)
	v_subrev_nc_u32_e32 v34, 28, v31
	v_lshlrev_b64_e32 v[35:36], v34, v[1:2]
	v_sub_nc_u32_e32 v34, 29, v31
	s_delay_alu instid0(VALU_DEP_2)
	v_and_b32_e32 v31, 7, v35
; %bb.63:                               ;   in Loop: Header=BB261_13 Depth=1
	s_or_b32 exec_lo, exec_lo, s45
	v_lshlrev_b32_e32 v1, 8, v33
	s_delay_alu instid0(VALU_DEP_3) | instskip(NEXT) | instid1(VALU_DEP_3)
	v_lshl_add_u32 v33, v34, 10, 0x2000
	v_lshlrev_b32_e32 v31, 23, v31
	s_delay_alu instid0(VALU_DEP_2) | instskip(NEXT) | instid1(VALU_DEP_1)
	v_and_or_b32 v1, 0x8000, v1, v33
	v_lshl_or_b32 v31, v1, 16, v31
.LBB261_64:                             ;   in Loop: Header=BB261_13 Depth=1
	s_or_b32 exec_lo, exec_lo, s44
.LBB261_65:                             ;   in Loop: Header=BB261_13 Depth=1
	s_wait_alu 0xfffe
	s_or_b32 exec_lo, exec_lo, s43
.LBB261_66:                             ;   in Loop: Header=BB261_13 Depth=1
	s_wait_alu 0xfffe
	s_or_b32 exec_lo, exec_lo, s42
	v_lshrrev_b32_e32 v1, 16, v9
	v_mov_b32_e32 v33, 0
	s_mov_b32 s42, exec_lo
	s_delay_alu instid0(VALU_DEP_2) | instskip(NEXT) | instid1(VALU_DEP_1)
	v_dual_mov_b32 v34, 0 :: v_dual_and_b32 v35, 0xff, v1
	v_cmpx_ne_u16_e32 0, v35
	s_cbranch_execz .LBB261_74
; %bb.67:                               ;   in Loop: Header=BB261_13 Depth=1
	v_mov_b32_e32 v34, 0x8000
	s_mov_b32 s43, exec_lo
	v_cmpx_ne_u16_e32 0x80, v35
	s_cbranch_execz .LBB261_73
; %bb.68:                               ;   in Loop: Header=BB261_13 Depth=1
	v_bfe_u32 v36, v9, 16, 7
	v_mov_b32_e32 v34, 0x7c01
	s_mov_b32 s44, exec_lo
	s_delay_alu instid0(VALU_DEP_2)
	v_cmpx_ne_u32_e32 0x7f, v36
	s_cbranch_execz .LBB261_72
; %bb.69:                               ;   in Loop: Header=BB261_13 Depth=1
	v_and_b32_e32 v34, 7, v1
	v_lshrrev_b32_e32 v35, 3, v36
	s_mov_b32 s45, exec_lo
	v_cmpx_gt_u32_e32 8, v36
; %bb.70:                               ;   in Loop: Header=BB261_13 Depth=1
	s_delay_alu instid0(VALU_DEP_3) | instskip(NEXT) | instid1(VALU_DEP_1)
	v_clz_i32_u32_e32 v34, v34
	v_min_u32_e32 v36, 32, v34
	s_delay_alu instid0(VALU_DEP_1) | instskip(NEXT) | instid1(VALU_DEP_1)
	v_subrev_nc_u32_e32 v34, 28, v36
	v_lshlrev_b64_e32 v[34:35], v34, v[1:2]
	v_sub_nc_u32_e32 v35, 29, v36
	s_delay_alu instid0(VALU_DEP_2)
	v_and_b32_e32 v34, 7, v34
; %bb.71:                               ;   in Loop: Header=BB261_13 Depth=1
	s_or_b32 exec_lo, exec_lo, s45
	v_lshlrev_b32_e32 v1, 8, v1
	s_delay_alu instid0(VALU_DEP_3) | instskip(NEXT) | instid1(VALU_DEP_3)
	v_lshl_add_u32 v35, v35, 10, 0x2000
	v_lshlrev_b32_e32 v34, 7, v34
	s_delay_alu instid0(VALU_DEP_3) | instskip(NEXT) | instid1(VALU_DEP_3)
	v_and_b32_e32 v1, 0x8000, v1
	v_and_b32_e32 v35, 0xfc00, v35
	s_delay_alu instid0(VALU_DEP_1)
	v_or3_b32 v34, v1, v35, v34
.LBB261_72:                             ;   in Loop: Header=BB261_13 Depth=1
	s_or_b32 exec_lo, exec_lo, s44
.LBB261_73:                             ;   in Loop: Header=BB261_13 Depth=1
	s_wait_alu 0xfffe
	s_or_b32 exec_lo, exec_lo, s43
.LBB261_74:                             ;   in Loop: Header=BB261_13 Depth=1
	s_wait_alu 0xfffe
	s_or_b32 exec_lo, exec_lo, s42
	s_delay_alu instid0(SALU_CYCLE_1)
	s_mov_b32 s42, exec_lo
	v_cmpx_lt_u32_e32 0xffffff, v9
	s_cbranch_execz .LBB261_82
; %bb.75:                               ;   in Loop: Header=BB261_13 Depth=1
	v_lshrrev_b32_e32 v1, 24, v9
	v_bfrev_b32_e32 v33, 1
	s_mov_b32 s43, exec_lo
	s_delay_alu instid0(VALU_DEP_2)
	v_cmpx_ne_u32_e32 0x80, v1
	s_cbranch_execz .LBB261_81
; %bb.76:                               ;   in Loop: Header=BB261_13 Depth=1
	v_and_b32_e32 v35, 0x7f, v1
	v_mov_b32_e32 v33, 0x7c010000
	s_mov_b32 s44, exec_lo
	s_delay_alu instid0(VALU_DEP_2)
	v_cmpx_ne_u32_e32 0x7f, v35
	s_cbranch_execz .LBB261_80
; %bb.77:                               ;   in Loop: Header=BB261_13 Depth=1
	v_and_b32_e32 v9, 7, v1
	v_lshrrev_b32_e32 v33, 3, v35
	s_mov_b32 s45, exec_lo
	v_cmpx_gt_u32_e32 8, v35
; %bb.78:                               ;   in Loop: Header=BB261_13 Depth=1
	s_delay_alu instid0(VALU_DEP_3) | instskip(NEXT) | instid1(VALU_DEP_1)
	v_clz_i32_u32_e32 v9, v9
	v_min_u32_e32 v9, 32, v9
	s_delay_alu instid0(VALU_DEP_1) | instskip(NEXT) | instid1(VALU_DEP_1)
	v_subrev_nc_u32_e32 v33, 28, v9
	v_lshlrev_b64_e32 v[35:36], v33, v[1:2]
	v_sub_nc_u32_e32 v33, 29, v9
	s_delay_alu instid0(VALU_DEP_2)
	v_and_b32_e32 v9, 7, v35
; %bb.79:                               ;   in Loop: Header=BB261_13 Depth=1
	s_or_b32 exec_lo, exec_lo, s45
	v_lshlrev_b32_e32 v1, 8, v1
	s_delay_alu instid0(VALU_DEP_3) | instskip(NEXT) | instid1(VALU_DEP_3)
	v_lshl_add_u32 v33, v33, 10, 0x2000
	v_lshlrev_b32_e32 v9, 23, v9
	s_delay_alu instid0(VALU_DEP_2) | instskip(NEXT) | instid1(VALU_DEP_1)
	v_and_or_b32 v1, 0x8000, v1, v33
	v_lshl_or_b32 v33, v1, 16, v9
.LBB261_80:                             ;   in Loop: Header=BB261_13 Depth=1
	s_or_b32 exec_lo, exec_lo, s44
.LBB261_81:                             ;   in Loop: Header=BB261_13 Depth=1
	s_wait_alu 0xfffe
	s_or_b32 exec_lo, exec_lo, s43
.LBB261_82:                             ;   in Loop: Header=BB261_13 Depth=1
	s_wait_alu 0xfffe
	s_or_b32 exec_lo, exec_lo, s42
	global_load_b32 v9, v[7:8], off offset:256
	v_mov_b32_e32 v35, 0
	s_mov_b32 s42, exec_lo
	s_wait_loadcnt 0x0
	v_dual_mov_b32 v36, 0 :: v_dual_and_b32 v1, 0xff, v9
	s_delay_alu instid0(VALU_DEP_1)
	v_cmpx_ne_u16_e32 0, v1
	s_cbranch_execz .LBB261_90
; %bb.83:                               ;   in Loop: Header=BB261_13 Depth=1
	v_mov_b32_e32 v36, 0x8000
	s_mov_b32 s43, exec_lo
	v_cmpx_ne_u16_e32 0x80, v1
	s_cbranch_execz .LBB261_89
; %bb.84:                               ;   in Loop: Header=BB261_13 Depth=1
	v_and_b32_e32 v37, 0x7f, v9
	v_mov_b32_e32 v36, 0x7c01
	s_mov_b32 s44, exec_lo
	s_delay_alu instid0(VALU_DEP_2)
	v_cmpx_ne_u32_e32 0x7f, v37
	s_cbranch_execz .LBB261_88
; %bb.85:                               ;   in Loop: Header=BB261_13 Depth=1
	v_and_b32_e32 v1, 7, v9
	v_lshrrev_b32_e32 v36, 3, v37
	s_mov_b32 s45, exec_lo
	v_cmpx_gt_u32_e32 8, v37
; %bb.86:                               ;   in Loop: Header=BB261_13 Depth=1
	s_delay_alu instid0(VALU_DEP_3) | instskip(NEXT) | instid1(VALU_DEP_1)
	v_clz_i32_u32_e32 v1, v1
	v_min_u32_e32 v1, 32, v1
	s_delay_alu instid0(VALU_DEP_1) | instskip(NEXT) | instid1(VALU_DEP_1)
	v_subrev_nc_u32_e32 v36, 28, v1
	v_lshlrev_b64_e32 v[37:38], v36, v[9:10]
	v_sub_nc_u32_e32 v36, 29, v1
	s_delay_alu instid0(VALU_DEP_2)
	v_and_b32_e32 v1, 7, v37
; %bb.87:                               ;   in Loop: Header=BB261_13 Depth=1
	s_or_b32 exec_lo, exec_lo, s45
	v_lshlrev_b32_e32 v37, 8, v9
	s_delay_alu instid0(VALU_DEP_3) | instskip(NEXT) | instid1(VALU_DEP_3)
	v_lshl_add_u32 v36, v36, 10, 0x2000
	v_lshlrev_b32_e32 v1, 7, v1
	s_delay_alu instid0(VALU_DEP_3) | instskip(NEXT) | instid1(VALU_DEP_3)
	v_and_b32_e32 v37, 0x8000, v37
	v_and_b32_e32 v36, 0xfc00, v36
	s_delay_alu instid0(VALU_DEP_1)
	v_or3_b32 v36, v37, v36, v1
.LBB261_88:                             ;   in Loop: Header=BB261_13 Depth=1
	s_or_b32 exec_lo, exec_lo, s44
.LBB261_89:                             ;   in Loop: Header=BB261_13 Depth=1
	s_wait_alu 0xfffe
	s_or_b32 exec_lo, exec_lo, s43
.LBB261_90:                             ;   in Loop: Header=BB261_13 Depth=1
	s_wait_alu 0xfffe
	s_or_b32 exec_lo, exec_lo, s42
	v_lshrrev_b16 v1, 8, v9
	s_mov_b32 s42, exec_lo
	s_delay_alu instid0(VALU_DEP_1)
	v_cmpx_ne_u16_e32 0, v1
	s_cbranch_execz .LBB261_98
; %bb.91:                               ;   in Loop: Header=BB261_13 Depth=1
	v_bfrev_b32_e32 v35, 1
	s_mov_b32 s43, exec_lo
	v_cmpx_ne_u16_e32 0x80, v1
	s_cbranch_execz .LBB261_97
; %bb.92:                               ;   in Loop: Header=BB261_13 Depth=1
	v_and_b32_e32 v37, 0xffff, v1
	v_mov_b32_e32 v35, 0x7c010000
	s_mov_b32 s44, exec_lo
	s_delay_alu instid0(VALU_DEP_2) | instskip(NEXT) | instid1(VALU_DEP_1)
	v_and_b32_e32 v39, 0x7f, v37
	v_cmpx_ne_u32_e32 0x7f, v39
	s_cbranch_execz .LBB261_96
; %bb.93:                               ;   in Loop: Header=BB261_13 Depth=1
	v_and_b32_e32 v35, 7, v37
	v_lshrrev_b32_e32 v38, 3, v39
	s_mov_b32 s45, exec_lo
	v_cmpx_gt_u32_e32 8, v39
; %bb.94:                               ;   in Loop: Header=BB261_13 Depth=1
	s_delay_alu instid0(VALU_DEP_3) | instskip(NEXT) | instid1(VALU_DEP_1)
	v_clz_i32_u32_e32 v35, v35
	v_min_u32_e32 v35, 32, v35
	s_delay_alu instid0(VALU_DEP_1) | instskip(NEXT) | instid1(VALU_DEP_1)
	v_subrev_nc_u32_e32 v38, 28, v35
	v_lshlrev_b64_e32 v[39:40], v38, v[1:2]
	v_sub_nc_u32_e32 v38, 29, v35
	s_delay_alu instid0(VALU_DEP_2)
	v_and_b32_e32 v35, 7, v39
; %bb.95:                               ;   in Loop: Header=BB261_13 Depth=1
	s_or_b32 exec_lo, exec_lo, s45
	v_lshlrev_b32_e32 v1, 8, v37
	s_delay_alu instid0(VALU_DEP_3) | instskip(NEXT) | instid1(VALU_DEP_3)
	v_lshl_add_u32 v37, v38, 10, 0x2000
	v_lshlrev_b32_e32 v35, 23, v35
	s_delay_alu instid0(VALU_DEP_2) | instskip(NEXT) | instid1(VALU_DEP_1)
	v_and_or_b32 v1, 0x8000, v1, v37
	v_lshl_or_b32 v35, v1, 16, v35
.LBB261_96:                             ;   in Loop: Header=BB261_13 Depth=1
	s_or_b32 exec_lo, exec_lo, s44
.LBB261_97:                             ;   in Loop: Header=BB261_13 Depth=1
	s_wait_alu 0xfffe
	s_or_b32 exec_lo, exec_lo, s43
.LBB261_98:                             ;   in Loop: Header=BB261_13 Depth=1
	s_wait_alu 0xfffe
	s_or_b32 exec_lo, exec_lo, s42
	v_lshrrev_b32_e32 v1, 16, v9
	v_mov_b32_e32 v37, 0
	s_mov_b32 s42, exec_lo
	s_delay_alu instid0(VALU_DEP_2) | instskip(NEXT) | instid1(VALU_DEP_1)
	v_dual_mov_b32 v38, 0 :: v_dual_and_b32 v39, 0xff, v1
	v_cmpx_ne_u16_e32 0, v39
	s_cbranch_execz .LBB261_106
; %bb.99:                               ;   in Loop: Header=BB261_13 Depth=1
	v_mov_b32_e32 v38, 0x8000
	s_mov_b32 s43, exec_lo
	v_cmpx_ne_u16_e32 0x80, v39
	s_cbranch_execz .LBB261_105
; %bb.100:                              ;   in Loop: Header=BB261_13 Depth=1
	v_bfe_u32 v40, v9, 16, 7
	v_mov_b32_e32 v38, 0x7c01
	s_mov_b32 s44, exec_lo
	s_delay_alu instid0(VALU_DEP_2)
	v_cmpx_ne_u32_e32 0x7f, v40
	s_cbranch_execz .LBB261_104
; %bb.101:                              ;   in Loop: Header=BB261_13 Depth=1
	v_and_b32_e32 v38, 7, v1
	v_lshrrev_b32_e32 v39, 3, v40
	s_mov_b32 s45, exec_lo
	v_cmpx_gt_u32_e32 8, v40
; %bb.102:                              ;   in Loop: Header=BB261_13 Depth=1
	s_delay_alu instid0(VALU_DEP_3) | instskip(NEXT) | instid1(VALU_DEP_1)
	v_clz_i32_u32_e32 v38, v38
	v_min_u32_e32 v40, 32, v38
	s_delay_alu instid0(VALU_DEP_1) | instskip(NEXT) | instid1(VALU_DEP_1)
	v_subrev_nc_u32_e32 v38, 28, v40
	v_lshlrev_b64_e32 v[38:39], v38, v[1:2]
	v_sub_nc_u32_e32 v39, 29, v40
	s_delay_alu instid0(VALU_DEP_2)
	v_and_b32_e32 v38, 7, v38
; %bb.103:                              ;   in Loop: Header=BB261_13 Depth=1
	s_or_b32 exec_lo, exec_lo, s45
	v_lshlrev_b32_e32 v1, 8, v1
	s_delay_alu instid0(VALU_DEP_3) | instskip(NEXT) | instid1(VALU_DEP_3)
	v_lshl_add_u32 v39, v39, 10, 0x2000
	v_lshlrev_b32_e32 v38, 7, v38
	s_delay_alu instid0(VALU_DEP_3) | instskip(NEXT) | instid1(VALU_DEP_3)
	v_and_b32_e32 v1, 0x8000, v1
	v_and_b32_e32 v39, 0xfc00, v39
	s_delay_alu instid0(VALU_DEP_1)
	v_or3_b32 v38, v1, v39, v38
.LBB261_104:                            ;   in Loop: Header=BB261_13 Depth=1
	s_or_b32 exec_lo, exec_lo, s44
.LBB261_105:                            ;   in Loop: Header=BB261_13 Depth=1
	s_wait_alu 0xfffe
	s_or_b32 exec_lo, exec_lo, s43
.LBB261_106:                            ;   in Loop: Header=BB261_13 Depth=1
	s_wait_alu 0xfffe
	s_or_b32 exec_lo, exec_lo, s42
	s_delay_alu instid0(SALU_CYCLE_1)
	s_mov_b32 s42, exec_lo
	v_cmpx_lt_u32_e32 0xffffff, v9
	s_cbranch_execz .LBB261_114
; %bb.107:                              ;   in Loop: Header=BB261_13 Depth=1
	v_lshrrev_b32_e32 v1, 24, v9
	v_bfrev_b32_e32 v37, 1
	s_mov_b32 s43, exec_lo
	s_delay_alu instid0(VALU_DEP_2)
	v_cmpx_ne_u32_e32 0x80, v1
	s_cbranch_execz .LBB261_113
; %bb.108:                              ;   in Loop: Header=BB261_13 Depth=1
	v_and_b32_e32 v39, 0x7f, v1
	v_mov_b32_e32 v37, 0x7c010000
	s_mov_b32 s44, exec_lo
	s_delay_alu instid0(VALU_DEP_2)
	v_cmpx_ne_u32_e32 0x7f, v39
	s_cbranch_execz .LBB261_112
; %bb.109:                              ;   in Loop: Header=BB261_13 Depth=1
	v_and_b32_e32 v9, 7, v1
	v_lshrrev_b32_e32 v37, 3, v39
	s_mov_b32 s45, exec_lo
	v_cmpx_gt_u32_e32 8, v39
; %bb.110:                              ;   in Loop: Header=BB261_13 Depth=1
	s_delay_alu instid0(VALU_DEP_3) | instskip(NEXT) | instid1(VALU_DEP_1)
	v_clz_i32_u32_e32 v9, v9
	v_min_u32_e32 v9, 32, v9
	s_delay_alu instid0(VALU_DEP_1) | instskip(NEXT) | instid1(VALU_DEP_1)
	v_subrev_nc_u32_e32 v37, 28, v9
	v_lshlrev_b64_e32 v[39:40], v37, v[1:2]
	v_sub_nc_u32_e32 v37, 29, v9
	s_delay_alu instid0(VALU_DEP_2)
	v_and_b32_e32 v9, 7, v39
; %bb.111:                              ;   in Loop: Header=BB261_13 Depth=1
	s_or_b32 exec_lo, exec_lo, s45
	v_lshlrev_b32_e32 v1, 8, v1
	s_delay_alu instid0(VALU_DEP_3) | instskip(NEXT) | instid1(VALU_DEP_3)
	v_lshl_add_u32 v37, v37, 10, 0x2000
	v_lshlrev_b32_e32 v9, 23, v9
	s_delay_alu instid0(VALU_DEP_2) | instskip(NEXT) | instid1(VALU_DEP_1)
	v_and_or_b32 v1, 0x8000, v1, v37
	v_lshl_or_b32 v37, v1, 16, v9
.LBB261_112:                            ;   in Loop: Header=BB261_13 Depth=1
	s_or_b32 exec_lo, exec_lo, s44
.LBB261_113:                            ;   in Loop: Header=BB261_13 Depth=1
	s_wait_alu 0xfffe
	s_or_b32 exec_lo, exec_lo, s43
.LBB261_114:                            ;   in Loop: Header=BB261_13 Depth=1
	s_wait_alu 0xfffe
	s_or_b32 exec_lo, exec_lo, s42
	global_load_b32 v7, v[7:8], off offset:264
	v_mov_b32_e32 v9, 0
	s_mov_b32 s42, exec_lo
	s_wait_loadcnt 0x0
	v_dual_mov_b32 v8, 0 :: v_dual_and_b32 v1, 0xff, v7
	s_delay_alu instid0(VALU_DEP_1)
	v_cmpx_ne_u16_e32 0, v1
	s_cbranch_execz .LBB261_122
; %bb.115:                              ;   in Loop: Header=BB261_13 Depth=1
	v_mov_b32_e32 v9, 0x8000
	s_mov_b32 s43, exec_lo
	v_cmpx_ne_u16_e32 0x80, v1
	s_cbranch_execz .LBB261_121
; %bb.116:                              ;   in Loop: Header=BB261_13 Depth=1
	v_and_b32_e32 v39, 0x7f, v7
	v_mov_b32_e32 v9, 0x7c01
	s_mov_b32 s44, exec_lo
	s_delay_alu instid0(VALU_DEP_2)
	v_cmpx_ne_u32_e32 0x7f, v39
	s_cbranch_execz .LBB261_120
; %bb.117:                              ;   in Loop: Header=BB261_13 Depth=1
	v_and_b32_e32 v1, 7, v7
	v_lshrrev_b32_e32 v9, 3, v39
	s_mov_b32 s45, exec_lo
	v_cmpx_gt_u32_e32 8, v39
; %bb.118:                              ;   in Loop: Header=BB261_13 Depth=1
	s_delay_alu instid0(VALU_DEP_3) | instskip(NEXT) | instid1(VALU_DEP_1)
	v_clz_i32_u32_e32 v1, v1
	v_min_u32_e32 v1, 32, v1
	s_delay_alu instid0(VALU_DEP_1) | instskip(NEXT) | instid1(VALU_DEP_1)
	v_subrev_nc_u32_e32 v9, 28, v1
	v_lshlrev_b64_e32 v[39:40], v9, v[7:8]
	v_sub_nc_u32_e32 v9, 29, v1
	s_delay_alu instid0(VALU_DEP_2)
	v_and_b32_e32 v1, 7, v39
; %bb.119:                              ;   in Loop: Header=BB261_13 Depth=1
	s_or_b32 exec_lo, exec_lo, s45
	v_lshlrev_b32_e32 v39, 8, v7
	s_delay_alu instid0(VALU_DEP_3) | instskip(NEXT) | instid1(VALU_DEP_3)
	v_lshl_add_u32 v9, v9, 10, 0x2000
	v_lshlrev_b32_e32 v1, 7, v1
	s_delay_alu instid0(VALU_DEP_3) | instskip(NEXT) | instid1(VALU_DEP_3)
	v_and_b32_e32 v39, 0x8000, v39
	v_and_b32_e32 v9, 0xfc00, v9
	s_delay_alu instid0(VALU_DEP_1)
	v_or3_b32 v9, v39, v9, v1
.LBB261_120:                            ;   in Loop: Header=BB261_13 Depth=1
	s_or_b32 exec_lo, exec_lo, s44
.LBB261_121:                            ;   in Loop: Header=BB261_13 Depth=1
	s_wait_alu 0xfffe
	s_or_b32 exec_lo, exec_lo, s43
.LBB261_122:                            ;   in Loop: Header=BB261_13 Depth=1
	s_wait_alu 0xfffe
	s_or_b32 exec_lo, exec_lo, s42
	v_lshrrev_b16 v1, 8, v7
	s_mov_b32 s42, exec_lo
	s_delay_alu instid0(VALU_DEP_1)
	v_cmpx_ne_u16_e32 0, v1
	s_cbranch_execz .LBB261_130
; %bb.123:                              ;   in Loop: Header=BB261_13 Depth=1
	v_bfrev_b32_e32 v8, 1
	s_mov_b32 s43, exec_lo
	v_cmpx_ne_u16_e32 0x80, v1
	s_cbranch_execz .LBB261_129
; %bb.124:                              ;   in Loop: Header=BB261_13 Depth=1
	v_and_b32_e32 v39, 0xffff, v1
	v_mov_b32_e32 v8, 0x7c010000
	s_mov_b32 s44, exec_lo
	s_delay_alu instid0(VALU_DEP_2) | instskip(NEXT) | instid1(VALU_DEP_1)
	v_and_b32_e32 v41, 0x7f, v39
	v_cmpx_ne_u32_e32 0x7f, v41
	s_cbranch_execz .LBB261_128
; %bb.125:                              ;   in Loop: Header=BB261_13 Depth=1
	v_and_b32_e32 v8, 7, v39
	v_lshrrev_b32_e32 v40, 3, v41
	s_mov_b32 s45, exec_lo
	v_cmpx_gt_u32_e32 8, v41
; %bb.126:                              ;   in Loop: Header=BB261_13 Depth=1
	s_delay_alu instid0(VALU_DEP_3) | instskip(NEXT) | instid1(VALU_DEP_1)
	v_clz_i32_u32_e32 v8, v8
	v_min_u32_e32 v8, 32, v8
	s_delay_alu instid0(VALU_DEP_1) | instskip(NEXT) | instid1(VALU_DEP_1)
	v_subrev_nc_u32_e32 v40, 28, v8
	v_lshlrev_b64_e32 v[41:42], v40, v[1:2]
	v_sub_nc_u32_e32 v40, 29, v8
	s_delay_alu instid0(VALU_DEP_2)
	v_and_b32_e32 v8, 7, v41
; %bb.127:                              ;   in Loop: Header=BB261_13 Depth=1
	s_or_b32 exec_lo, exec_lo, s45
	v_lshlrev_b32_e32 v1, 8, v39
	s_delay_alu instid0(VALU_DEP_3) | instskip(NEXT) | instid1(VALU_DEP_3)
	v_lshl_add_u32 v39, v40, 10, 0x2000
	v_lshlrev_b32_e32 v8, 23, v8
	s_delay_alu instid0(VALU_DEP_2) | instskip(NEXT) | instid1(VALU_DEP_1)
	v_and_or_b32 v1, 0x8000, v1, v39
	v_lshl_or_b32 v8, v1, 16, v8
.LBB261_128:                            ;   in Loop: Header=BB261_13 Depth=1
	s_or_b32 exec_lo, exec_lo, s44
.LBB261_129:                            ;   in Loop: Header=BB261_13 Depth=1
	s_wait_alu 0xfffe
	s_or_b32 exec_lo, exec_lo, s43
.LBB261_130:                            ;   in Loop: Header=BB261_13 Depth=1
	s_wait_alu 0xfffe
	s_or_b32 exec_lo, exec_lo, s42
	v_lshrrev_b32_e32 v1, 16, v7
	v_mov_b32_e32 v39, 0
	s_mov_b32 s42, exec_lo
	s_delay_alu instid0(VALU_DEP_2) | instskip(NEXT) | instid1(VALU_DEP_1)
	v_dual_mov_b32 v40, 0 :: v_dual_and_b32 v41, 0xff, v1
	v_cmpx_ne_u16_e32 0, v41
	s_cbranch_execz .LBB261_138
; %bb.131:                              ;   in Loop: Header=BB261_13 Depth=1
	v_mov_b32_e32 v40, 0x8000
	s_mov_b32 s43, exec_lo
	v_cmpx_ne_u16_e32 0x80, v41
	s_cbranch_execz .LBB261_137
; %bb.132:                              ;   in Loop: Header=BB261_13 Depth=1
	v_bfe_u32 v42, v7, 16, 7
	v_mov_b32_e32 v40, 0x7c01
	s_mov_b32 s44, exec_lo
	s_delay_alu instid0(VALU_DEP_2)
	v_cmpx_ne_u32_e32 0x7f, v42
	s_cbranch_execz .LBB261_136
; %bb.133:                              ;   in Loop: Header=BB261_13 Depth=1
	v_and_b32_e32 v40, 7, v1
	v_lshrrev_b32_e32 v41, 3, v42
	s_mov_b32 s45, exec_lo
	v_cmpx_gt_u32_e32 8, v42
; %bb.134:                              ;   in Loop: Header=BB261_13 Depth=1
	s_delay_alu instid0(VALU_DEP_3) | instskip(NEXT) | instid1(VALU_DEP_1)
	v_clz_i32_u32_e32 v40, v40
	v_min_u32_e32 v42, 32, v40
	s_delay_alu instid0(VALU_DEP_1) | instskip(NEXT) | instid1(VALU_DEP_1)
	v_subrev_nc_u32_e32 v40, 28, v42
	v_lshlrev_b64_e32 v[40:41], v40, v[1:2]
	v_sub_nc_u32_e32 v41, 29, v42
	s_delay_alu instid0(VALU_DEP_2)
	v_and_b32_e32 v40, 7, v40
; %bb.135:                              ;   in Loop: Header=BB261_13 Depth=1
	s_or_b32 exec_lo, exec_lo, s45
	v_lshlrev_b32_e32 v1, 8, v1
	s_delay_alu instid0(VALU_DEP_3) | instskip(NEXT) | instid1(VALU_DEP_3)
	v_lshl_add_u32 v41, v41, 10, 0x2000
	v_lshlrev_b32_e32 v40, 7, v40
	s_delay_alu instid0(VALU_DEP_3) | instskip(NEXT) | instid1(VALU_DEP_3)
	v_and_b32_e32 v1, 0x8000, v1
	v_and_b32_e32 v41, 0xfc00, v41
	s_delay_alu instid0(VALU_DEP_1)
	v_or3_b32 v40, v1, v41, v40
.LBB261_136:                            ;   in Loop: Header=BB261_13 Depth=1
	s_or_b32 exec_lo, exec_lo, s44
.LBB261_137:                            ;   in Loop: Header=BB261_13 Depth=1
	s_wait_alu 0xfffe
	s_or_b32 exec_lo, exec_lo, s43
.LBB261_138:                            ;   in Loop: Header=BB261_13 Depth=1
	s_wait_alu 0xfffe
	s_or_b32 exec_lo, exec_lo, s42
	s_delay_alu instid0(SALU_CYCLE_1)
	s_mov_b32 s42, exec_lo
	v_cmpx_lt_u32_e32 0xffffff, v7
	s_cbranch_execz .LBB261_146
; %bb.139:                              ;   in Loop: Header=BB261_13 Depth=1
	v_lshrrev_b32_e32 v1, 24, v7
	v_bfrev_b32_e32 v39, 1
	s_mov_b32 s43, exec_lo
	s_delay_alu instid0(VALU_DEP_2)
	v_cmpx_ne_u32_e32 0x80, v1
	s_cbranch_execz .LBB261_145
; %bb.140:                              ;   in Loop: Header=BB261_13 Depth=1
	v_and_b32_e32 v41, 0x7f, v1
	v_mov_b32_e32 v39, 0x7c010000
	s_mov_b32 s44, exec_lo
	s_delay_alu instid0(VALU_DEP_2)
	v_cmpx_ne_u32_e32 0x7f, v41
	s_cbranch_execz .LBB261_144
; %bb.141:                              ;   in Loop: Header=BB261_13 Depth=1
	v_and_b32_e32 v7, 7, v1
	v_lshrrev_b32_e32 v39, 3, v41
	s_mov_b32 s45, exec_lo
	v_cmpx_gt_u32_e32 8, v41
; %bb.142:                              ;   in Loop: Header=BB261_13 Depth=1
	s_delay_alu instid0(VALU_DEP_3) | instskip(NEXT) | instid1(VALU_DEP_1)
	v_clz_i32_u32_e32 v7, v7
	v_min_u32_e32 v7, 32, v7
	s_delay_alu instid0(VALU_DEP_1) | instskip(NEXT) | instid1(VALU_DEP_1)
	v_subrev_nc_u32_e32 v39, 28, v7
	v_lshlrev_b64_e32 v[41:42], v39, v[1:2]
	v_sub_nc_u32_e32 v39, 29, v7
	s_delay_alu instid0(VALU_DEP_2)
	v_and_b32_e32 v7, 7, v41
; %bb.143:                              ;   in Loop: Header=BB261_13 Depth=1
	s_or_b32 exec_lo, exec_lo, s45
	v_lshlrev_b32_e32 v1, 8, v1
	s_delay_alu instid0(VALU_DEP_3) | instskip(NEXT) | instid1(VALU_DEP_3)
	v_lshl_add_u32 v39, v39, 10, 0x2000
	v_lshlrev_b32_e32 v7, 23, v7
	s_delay_alu instid0(VALU_DEP_2) | instskip(NEXT) | instid1(VALU_DEP_1)
	v_and_or_b32 v1, 0x8000, v1, v39
	v_lshl_or_b32 v39, v1, 16, v7
.LBB261_144:                            ;   in Loop: Header=BB261_13 Depth=1
	s_or_b32 exec_lo, exec_lo, s44
.LBB261_145:                            ;   in Loop: Header=BB261_13 Depth=1
	s_wait_alu 0xfffe
	s_or_b32 exec_lo, exec_lo, s43
.LBB261_146:                            ;   in Loop: Header=BB261_13 Depth=1
	s_wait_alu 0xfffe
	s_or_b32 exec_lo, exec_lo, s42
	ds_load_b64 v[41:42], v20
	v_or_b32_e32 v1, v27, v28
	v_or_b32_e32 v7, v29, v30
	v_fma_mixlo_f16 v27, v26, v27, 0 op_sel:[0,1,0] op_sel_hi:[0,1,0]
	v_fma_mixlo_f16 v28, v26, v29, 0 op_sel:[0,1,0] op_sel_hi:[0,1,0]
	v_or_b32_e32 v9, v8, v9
	v_fma_mixlo_f16 v1, v26, v1, 0 op_sel_hi:[0,1,0]
	v_fma_mixlo_f16 v7, v26, v7, 0 op_sel_hi:[0,1,0]
	v_and_b32_e32 v27, 0xffff, v27
	v_and_b32_e32 v28, 0xffff, v28
	v_fma_mixlo_f16 v9, v26, v9, 0 op_sel_hi:[0,1,0]
	v_and_b32_e32 v30, 0xffff, v1
	v_or_b32_e32 v40, v39, v40
	v_fma_mixlo_f16 v39, v26, v39, 0 op_sel:[0,1,0] op_sel_hi:[0,1,0]
	s_delay_alu instid0(VALU_DEP_1)
	v_and_b32_e32 v39, 0xffff, v39
	s_wait_dscnt 0x0
	v_and_b32_e32 v1, 0xffff, v41
	v_lshrrev_b32_e32 v29, 16, v41
	v_lshrrev_b32_e32 v43, 16, v42
	v_and_b32_e32 v42, 0xffff, v42
	;;#ASMSTART
	v_cvt_f32_f16 v1, v1;
	;;#ASMEND
	;;#ASMSTART
	v_cvt_f32_f16 v29, v29;
	;;#ASMEND
	;; [unrolled: 3-line block ×4, first 2 shown]
	v_and_b32_e32 v7, 0xffff, v7
	;;#ASMSTART
	v_cvt_f32_f16 v42, v42;
	;;#ASMEND
	;;#ASMSTART
	v_cvt_f32_f16 v43, v43;
	;;#ASMEND
	;;#ASMSTART
	v_cvt_f32_f16 v44, v7;
	;;#ASMEND
	;;#ASMSTART
	v_cvt_f32_f16 v45, v28;
	;;#ASMEND
	ds_load_b64 v[27:28], v20 offset:8
	v_or_b32_e32 v7, v31, v32
	v_or_b32_e32 v32, v33, v34
	v_fma_mixlo_f16 v31, v26, v31, 0 op_sel:[0,1,0] op_sel_hi:[0,1,0]
	v_fma_mixlo_f16 v33, v26, v33, 0 op_sel:[0,1,0] op_sel_hi:[0,1,0]
	s_delay_alu instid0(VALU_DEP_4) | instskip(NEXT) | instid1(VALU_DEP_4)
	v_fma_mixlo_f16 v7, v26, v7, 0 op_sel_hi:[0,1,0]
	v_fma_mixlo_f16 v32, v26, v32, 0 op_sel_hi:[0,1,0]
	s_delay_alu instid0(VALU_DEP_4) | instskip(NEXT) | instid1(VALU_DEP_4)
	v_and_b32_e32 v34, 0xffff, v31
	v_and_b32_e32 v49, 0xffff, v33
	s_delay_alu instid0(VALU_DEP_4) | instskip(NEXT) | instid1(VALU_DEP_4)
	v_and_b32_e32 v7, 0xffff, v7
	v_and_b32_e32 v48, 0xffff, v32
	s_wait_dscnt 0x0
	v_and_b32_e32 v31, 0xffff, v27
	;;#ASMSTART
	v_cvt_f32_f16 v31, v31;
	;;#ASMEND
	v_lshrrev_b32_e32 v27, 16, v27
	;;#ASMSTART
	v_cvt_f32_f16 v32, v27;
	;;#ASMEND
	;;#ASMSTART
	v_cvt_f32_f16 v33, v7;
	;;#ASMEND
	v_mul_f32_e32 v31, v31, v33
	v_lshrrev_b32_e32 v47, 16, v28
	v_or_b32_e32 v7, v35, v36
	v_or_b32_e32 v36, v37, v38
	v_fma_mixlo_f16 v35, v26, v35, 0 op_sel:[0,1,0] op_sel_hi:[0,1,0]
	v_dual_fmac_f32 v31, v1, v30 :: v_dual_and_b32 v28, 0xffff, v28
	;;#ASMSTART
	v_cvt_f32_f16 v34, v34;
	;;#ASMEND
	;;#ASMSTART
	v_cvt_f32_f16 v46, v28;
	;;#ASMEND
	;; [unrolled: 3-line block ×5, first 2 shown]
	ds_load_b64 v[27:28], v20 offset:16
	v_mul_f32_e32 v33, v46, v48
	v_fma_mixlo_f16 v37, v26, v37, 0 op_sel:[0,1,0] op_sel_hi:[0,1,0]
	v_fma_mixlo_f16 v38, v26, v8, 0 op_sel:[0,1,0] op_sel_hi:[0,1,0]
	v_fma_mixlo_f16 v7, v26, v7, 0 op_sel_hi:[0,1,0]
	v_fma_mixlo_f16 v8, v26, v36, 0 op_sel_hi:[0,1,0]
	v_dual_fmac_f32 v33, v42, v44 :: v_dual_and_b32 v36, 0xffff, v35
	v_and_b32_e32 v52, 0xffff, v37
	s_delay_alu instid0(VALU_DEP_4) | instskip(NEXT) | instid1(VALU_DEP_4)
	v_and_b32_e32 v7, 0xffff, v7
	v_and_b32_e32 v8, 0xffff, v8
	v_mul_f32_e32 v32, v32, v34
	v_fma_mixlo_f16 v26, v26, v40, 0 op_sel_hi:[0,1,0]
	s_delay_alu instid0(VALU_DEP_1)
	v_dual_fmac_f32 v32, v29, v41 :: v_dual_and_b32 v29, 0xffff, v26
	s_wait_dscnt 0x0
	v_and_b32_e32 v35, 0xffff, v27
	v_lshrrev_b32_e32 v37, 16, v27
	v_lshrrev_b32_e32 v50, 16, v28
	v_and_b32_e32 v51, 0xffff, v28
	;;#ASMSTART
	v_cvt_f32_f16 v27, v35;
	;;#ASMEND
	;;#ASMSTART
	v_cvt_f32_f16 v28, v37;
	;;#ASMEND
	;; [unrolled: 3-line block ×7, first 2 shown]
	v_fmac_f32_e32 v33, v37, v51
	;;#ASMSTART
	v_cvt_f32_f16 v52, v52;
	;;#ASMEND
	ds_load_b64 v[7:8], v20 offset:24
	v_dual_fmac_f32 v31, v27, v35 :: v_dual_fmac_f32 v32, v28, v36
	s_wait_dscnt 0x0
	v_and_b32_e32 v1, 0xffff, v7
	;;#ASMSTART
	v_cvt_f32_f16 v1, v1;
	;;#ASMEND
	v_and_b32_e32 v34, 0xffff, v9
	v_mul_f32_e32 v9, v47, v49
	v_lshrrev_b32_e32 v7, 16, v7
	v_lshrrev_b32_e32 v27, 16, v8
	v_and_b32_e32 v28, 0xffff, v8
	;;#ASMSTART
	v_cvt_f32_f16 v7, v7;
	;;#ASMEND
	v_fmac_f32_e32 v9, v43, v45
	;;#ASMSTART
	v_cvt_f32_f16 v8, v34;
	;;#ASMEND
	v_dual_fmac_f32 v31, v1, v8 :: v_dual_and_b32 v38, 0xffff, v38
	s_delay_alu instid0(VALU_DEP_2)
	v_fmac_f32_e32 v9, v50, v52
	;;#ASMSTART
	v_cvt_f32_f16 v26, v38;
	;;#ASMEND
	v_fmac_f32_e32 v32, v7, v26
	;;#ASMSTART
	v_cvt_f32_f16 v1, v28;
	;;#ASMEND
	;;#ASMSTART
	v_cvt_f32_f16 v7, v27;
	;;#ASMEND
	;; [unrolled: 3-line block ×3, first 2 shown]
	v_fmac_f32_e32 v33, v1, v8
	v_xor_b32_e32 v8, 1, v18
	v_add_f32_e32 v1, v31, v32
	;;#ASMSTART
	v_cvt_f32_f16 v26, v39;
	;;#ASMEND
	v_fmac_f32_e32 v9, v7, v26
	s_delay_alu instid0(VALU_DEP_3) | instskip(NEXT) | instid1(VALU_DEP_3)
	v_cmp_gt_i32_e64 s4, 32, v8
	v_add_f32_e32 v1, v1, v33
	s_wait_alu 0xf1ff
	s_delay_alu instid0(VALU_DEP_2) | instskip(NEXT) | instid1(VALU_DEP_2)
	v_cndmask_b32_e64 v7, v18, v8, s4
	v_add_f32_e32 v1, v9, v1
	s_delay_alu instid0(VALU_DEP_2)
	v_lshlrev_b32_e32 v7, 2, v7
	ds_bpermute_b32 v7, v7, v1
	s_and_saveexec_b32 s42, s3
	s_cbranch_execz .LBB261_11
; %bb.147:                              ;   in Loop: Header=BB261_13 Depth=1
	s_wait_dscnt 0x0
	v_dual_add_f32 v1, v1, v7 :: v_dual_add_nc_u32 v8, v22, v21
	s_delay_alu instid0(VALU_DEP_1) | instskip(NEXT) | instid1(VALU_DEP_1)
	v_cvt_f32_i32_e32 v8, v8
	v_mul_f32_e32 v8, s30, v8
	s_delay_alu instid0(VALU_DEP_1) | instskip(NEXT) | instid1(VALU_DEP_1)
	v_dual_cndmask_b32 v7, 0, v8 :: v_dual_max_num_f32 v8, v19, v19
	v_fmac_f32_e32 v7, s7, v1
	s_delay_alu instid0(VALU_DEP_1) | instskip(NEXT) | instid1(VALU_DEP_1)
	v_dual_max_num_f32 v8, v8, v7 :: v_dual_add_nc_u32 v1, v17, v21
	v_cmp_gt_i32_e64 s4, s33, v1
	s_wait_alu 0xf1ff
	s_delay_alu instid0(VALU_DEP_1) | instskip(NEXT) | instid1(VALU_DEP_3)
	v_cndmask_b32_e64 v1, 0, v7, s4
	v_cndmask_b32_e64 v19, v19, v8, s4
	ds_store_b32 v23, v1
	s_branch .LBB261_11
.LBB261_148:
	s_or_b32 exec_lo, exec_lo, s40
.LBB261_149:
	s_delay_alu instid0(SALU_CYCLE_1)
	s_or_b32 exec_lo, exec_lo, s6
	v_xor_b32_e32 v1, 16, v18
	v_xor_b32_e32 v2, 8, v18
	s_clause 0x2
	s_load_b128 s[4:7], s[0:1], 0x0
	s_load_b64 s[8:9], s[0:1], 0x10
	s_load_b64 s[30:31], s[0:1], 0x28
	v_and_b32_e32 v17, 31, v0
	s_wait_dscnt 0x0
	v_lshlrev_b32_e32 v7, 2, v13
	v_cmp_gt_i32_e32 vcc_lo, 32, v1
	s_wait_alu 0xfffd
	v_cndmask_b32_e32 v1, v18, v1, vcc_lo
	v_cmp_gt_i32_e32 vcc_lo, 32, v2
	s_wait_alu 0xfffd
	v_dual_max_num_f32 v5, v19, v19 :: v_dual_cndmask_b32 v2, v18, v2
	s_delay_alu instid0(VALU_DEP_1) | instskip(SKIP_4) | instid1(VALU_DEP_1)
	v_lshlrev_b32_e32 v4, 2, v2
	v_lshlrev_b32_e32 v3, 2, v1
	ds_bpermute_b32 v1, v3, v19
	s_wait_dscnt 0x0
	v_max_num_f32_e32 v1, v1, v1
	v_max_num_f32_e32 v1, v5, v1
	v_xor_b32_e32 v5, 4, v18
	ds_bpermute_b32 v2, v4, v1
	v_cmp_gt_i32_e32 vcc_lo, 32, v5
	s_wait_alu 0xfffd
	v_cndmask_b32_e32 v5, v18, v5, vcc_lo
	s_wait_dscnt 0x0
	v_max_num_f32_e32 v2, v2, v2
	s_delay_alu instid0(VALU_DEP_2) | instskip(SKIP_1) | instid1(VALU_DEP_3)
	v_lshlrev_b32_e32 v6, 2, v5
	v_xor_b32_e32 v5, 2, v18
	v_max_num_f32_e32 v1, v1, v2
	s_delay_alu instid0(VALU_DEP_2)
	v_cmp_gt_i32_e32 vcc_lo, 32, v5
	ds_bpermute_b32 v2, v6, v1
	s_wait_alu 0xfffd
	v_cndmask_b32_e32 v5, v18, v5, vcc_lo
	v_cmp_eq_u32_e32 vcc_lo, 0, v17
	s_wait_dscnt 0x0
	v_max_num_f32_e32 v2, v2, v2
	s_delay_alu instid0(VALU_DEP_1)
	v_dual_max_num_f32 v1, v1, v2 :: v_dual_lshlrev_b32 v2, 2, v5
	ds_bpermute_b32 v5, v2, v1
	s_and_saveexec_b32 s0, vcc_lo
	s_cbranch_execz .LBB261_151
; %bb.150:
	s_wait_dscnt 0x0
	v_max_num_f32_e32 v5, v5, v5
	v_max_num_f32_e32 v1, v1, v1
	s_delay_alu instid0(VALU_DEP_1)
	v_max_num_f32_e32 v1, v1, v5
	ds_store_b32 v7, v1 offset:64
.LBB261_151:
	s_or_b32 exec_lo, exec_lo, s0
	v_cmp_gt_u32_e64 s0, 4, v17
	v_dual_mov_b32 v1, 0xff7fffff :: v_dual_lshlrev_b32 v8, 2, v17
	s_wait_loadcnt_dscnt 0x0
	s_barrier_signal -1
	s_barrier_wait -1
	global_inv scope:SCOPE_SE
	s_and_saveexec_b32 s1, s0
; %bb.152:
	ds_load_b32 v1, v8 offset:64
; %bb.153:
	s_or_b32 exec_lo, exec_lo, s1
	s_wait_dscnt 0x0
	ds_bpermute_b32 v5, v2, v1
	v_xor_b32_e32 v9, 1, v18
	v_max_num_f32_e32 v1, v1, v1
	s_delay_alu instid0(VALU_DEP_2) | instskip(NEXT) | instid1(VALU_DEP_1)
	v_cmp_gt_i32_e64 s1, 32, v9
	v_cndmask_b32_e64 v9, v18, v9, s1
	s_sub_co_i32 s1, s34, s15
	s_wait_alu 0xfffe
	s_lshl_b32 s1, s1, 4
	s_delay_alu instid0(VALU_DEP_1)
	v_dual_mov_b32 v9, 0 :: v_dual_lshlrev_b32 v18, 2, v9
	s_wait_alu 0xfffe
	s_add_co_i32 s1, s1, s36
	s_wait_alu 0xfffe
	s_min_i32 s1, s1, s33
	s_wait_dscnt 0x0
	v_max_num_f32_e32 v5, v5, v5
	s_wait_alu 0xfffe
	s_sub_co_i32 s19, s1, s36
	s_wait_alu 0xfffe
	v_cmp_gt_i32_e64 s1, s19, v0
	v_max_num_f32_e32 v1, v1, v5
	ds_bpermute_b32 v5, v18, v1
	s_wait_dscnt 0x0
	v_max_num_f32_e32 v5, v5, v5
	s_delay_alu instid0(VALU_DEP_1)
	v_max_num_f32_e32 v1, v1, v5
	v_lshl_add_u32 v5, v0, 2, 0x60
	ds_bpermute_b32 v1, v9, v1
	s_and_saveexec_b32 s36, s1
	s_cbranch_execz .LBB261_157
; %bb.154:
	v_lshl_add_u32 v19, v0, 2, 0x60
	v_dual_mov_b32 v9, 0 :: v_dual_mov_b32 v20, v0
	s_mov_b32 s39, 0
.LBB261_155:                            ; =>This Inner Loop Header: Depth=1
	ds_load_b32 v21, v19
	v_add_nc_u32_e32 v20, 0x80, v20
	s_delay_alu instid0(VALU_DEP_1) | instskip(SKIP_4) | instid1(VALU_DEP_1)
	v_cmp_le_i32_e64 s3, s19, v20
	s_wait_alu 0xfffe
	s_or_b32 s39, s3, s39
	s_wait_dscnt 0x0
	v_sub_f32_e32 v21, v21, v1
	v_mul_f32_e32 v21, 0x3fb8aa3b, v21
	s_delay_alu instid0(VALU_DEP_1)
	v_exp_f32_e32 v21, v21
	ds_store_b32 v19, v21
	v_add_f32_e32 v9, v9, v21
	v_add_nc_u32_e32 v19, 0x200, v19
	s_wait_alu 0xfffe
	s_and_not1_b32 exec_lo, exec_lo, s39
	s_cbranch_execnz .LBB261_155
; %bb.156:
	s_or_b32 exec_lo, exec_lo, s39
.LBB261_157:
	s_wait_alu 0xfffe
	s_or_b32 exec_lo, exec_lo, s36
	ds_bpermute_b32 v3, v3, v9
	s_wait_dscnt 0x0
	v_add_f32_e32 v3, v9, v3
	ds_bpermute_b32 v4, v4, v3
	s_wait_dscnt 0x0
	v_add_f32_e32 v3, v3, v4
	;; [unrolled: 3-line block ×5, first 2 shown]
	s_and_saveexec_b32 s3, vcc_lo
; %bb.158:
	ds_store_b32 v7, v3 offset:80
; %bb.159:
	s_wait_alu 0xfffe
	s_or_b32 exec_lo, exec_lo, s3
	s_wait_loadcnt_dscnt 0x0
	s_barrier_signal -1
	s_barrier_wait -1
	global_inv scope:SCOPE_SE
	s_and_saveexec_b32 s3, s0
; %bb.160:
	ds_load_b32 v3, v8 offset:80
; %bb.161:
	s_wait_alu 0xfffe
	s_or_b32 exec_lo, exec_lo, s3
	s_wait_dscnt 0x0
	ds_bpermute_b32 v2, v2, v3
	s_wait_dscnt 0x0
	v_add_f32_e32 v2, v3, v2
	ds_bpermute_b32 v3, v18, v2
	s_wait_dscnt 0x0
	v_dual_add_f32 v2, v2, v3 :: v_dual_mov_b32 v3, 0
	ds_bpermute_b32 v2, v3, v2
	s_and_saveexec_b32 s0, s1
	s_cbranch_execz .LBB261_164
; %bb.162:
	s_wait_dscnt 0x0
	v_add_f32_e32 v3, 0x358637bd, v2
	s_mov_b32 s1, 0
	s_delay_alu instid0(VALU_DEP_1) | instskip(SKIP_1) | instid1(VALU_DEP_2)
	v_div_scale_f32 v4, null, v3, v3, 1.0
	v_div_scale_f32 v8, vcc_lo, 1.0, v3, 1.0
	v_rcp_f32_e32 v6, v4
	s_delay_alu instid0(TRANS32_DEP_1) | instskip(NEXT) | instid1(VALU_DEP_1)
	v_fma_f32 v7, -v4, v6, 1.0
	v_fmac_f32_e32 v6, v7, v6
	s_delay_alu instid0(VALU_DEP_1) | instskip(NEXT) | instid1(VALU_DEP_1)
	v_mul_f32_e32 v7, v8, v6
	v_fma_f32 v9, -v4, v7, v8
	s_delay_alu instid0(VALU_DEP_1) | instskip(NEXT) | instid1(VALU_DEP_1)
	v_fmac_f32_e32 v7, v9, v6
	v_fma_f32 v4, -v4, v7, v8
	s_wait_alu 0xfffd
	s_delay_alu instid0(VALU_DEP_1) | instskip(NEXT) | instid1(VALU_DEP_1)
	v_div_fmas_f32 v4, v4, v6, v7
	v_div_fixup_f32 v3, v4, v3, 1.0
	v_mov_b32_e32 v4, v0
.LBB261_163:                            ; =>This Inner Loop Header: Depth=1
	ds_load_b32 v6, v5
	v_add_nc_u32_e32 v4, 0x80, v4
	s_delay_alu instid0(VALU_DEP_1)
	v_cmp_le_i32_e32 vcc_lo, s19, v4
	s_wait_alu 0xfffe
	s_or_b32 s1, vcc_lo, s1
	s_wait_dscnt 0x0
	v_mul_f32_e32 v6, v3, v6
	ds_store_b32 v5, v6
	v_add_nc_u32_e32 v5, 0x200, v5
	s_wait_alu 0xfffe
	s_and_not1_b32 exec_lo, exec_lo, s1
	s_cbranch_execnz .LBB261_163
.LBB261_164:
	s_wait_alu 0xfffe
	s_or_b32 exec_lo, exec_lo, s0
	s_mul_i32 s0, s12, s28
	s_wait_loadcnt_dscnt 0x0
	s_wait_alu 0xfffe
	s_mul_i32 s28, s0, s29
	s_mov_b32 s0, exec_lo
	s_barrier_signal -1
	s_barrier_wait -1
	global_inv scope:SCOPE_SE
	v_cmpx_eq_u32_e32 0, v0
	s_cbranch_execz .LBB261_166
; %bb.165:
	s_ashr_i32 s29, s28, 31
	s_wait_alu 0xfffe
	s_mul_i32 s40, s12, ttmp9
	s_lshl_b32 s1, s35, 2
	s_lshl_b64 s[42:43], s[28:29], 2
	s_wait_alu 0xfffe
	s_ashr_i32 s41, s40, 31
	v_mov_b32_e32 v3, s1
	s_wait_kmcnt 0x0
	s_add_nc_u64 s[6:7], s[6:7], s[42:43]
	s_wait_alu 0xfffe
	s_lshl_b64 s[40:41], s[40:41], 2
	s_add_nc_u64 s[4:5], s[4:5], s[42:43]
	s_wait_alu 0xfffe
	s_add_nc_u64 s[6:7], s[6:7], s[40:41]
	s_add_nc_u64 s[4:5], s[4:5], s[40:41]
	s_clause 0x1
	global_store_b32 v3, v1, s[6:7]
	global_store_b32 v3, v2, s[4:5]
.LBB261_166:
	s_wait_alu 0xfffe
	s_or_b32 exec_lo, exec_lo, s0
	v_dual_mov_b32 v21, 0 :: v_dual_mov_b32 v20, 0
	s_and_saveexec_b32 s1, s2
	s_cbranch_execz .LBB261_304
; %bb.167:
	s_wait_kmcnt 0x0
	s_abs_i32 s4, s14
	v_dual_mov_b32 v21, 0 :: v_dual_lshlrev_b32 v6, 5, v12
	s_wait_alu 0xfffe
	s_cvt_f32_u32 s0, s4
	s_lshl_b64 s[26:27], s[26:27], 2
	v_dual_mov_b32 v20, 0 :: v_dual_and_b32 v5, 0xf8, v10
	s_wait_alu 0xfffe
	v_rcp_iflag_f32_e32 v1, s0
	s_ashr_i32 s19, s18, 31
	s_add_nc_u64 s[24:25], s[24:25], s[26:27]
	s_sub_co_i32 s5, s38, s13
	s_wait_alu 0xfffe
	s_add_nc_u64 s[18:19], s[30:31], s[18:19]
	v_add_co_u32 v3, s13, s24, v16
	s_sub_co_i32 s7, 0, s4
	v_add_co_ci_u32_e64 v4, null, s25, 0, s13
	s_delay_alu instid0(TRANS32_DEP_1)
	v_readfirstlane_b32 s0, v1
	v_lshl_or_b32 v1, v13, 6, v6
	s_wait_alu 0xfffe
	v_add_co_u32 v5, s13, s18, v5
	v_dual_mov_b32 v2, 0 :: v_dual_and_b32 v19, 8, v10
	s_mul_f32 s0, s0, 0x4f7ffffe
	v_add_co_ci_u32_e64 v6, null, s19, 0, s13
	v_add_nc_u32_e32 v16, 0x60, v1
	s_wait_alu 0xfffe
	s_cvt_u32_f32 s0, s0
	s_mov_b32 s2, -1
	s_mov_b32 s6, s17
	s_mov_b32 s3, 0xffffff
	s_wait_alu 0xfffe
	s_mul_i32 s7, s7, s0
	s_add_co_i32 s37, s37, -1
	s_wait_alu 0xfffe
	s_mul_hi_u32 s13, s0, s7
	s_mov_b32 s7, 0
	s_wait_alu 0xfffe
	s_add_co_i32 s13, s0, s13
	s_branch .LBB261_170
.LBB261_168:                            ;   in Loop: Header=BB261_170 Depth=1
	s_wait_alu 0xfffe
	s_or_b32 exec_lo, exec_lo, s0
	;;#ASMSTART
	v_pk_mul_f16 v1, v34, v40;

	;;#ASMEND
	;;#ASMSTART
	v_pk_mul_f16 v7, v32, v35;

	;;#ASMEND
	;; [unrolled: 4-line block ×4, first 2 shown]
	;;#ASMSTART
	v_pk_add_f16 v1, v1, v7;

	;;#ASMEND
	;;#ASMSTART
	v_pk_add_f16 v1, v1, v9;

	;;#ASMEND
	;; [unrolled: 4-line block ×3, first 2 shown]
	v_and_b32_e32 v7, 0xffff, v1
	v_lshrrev_b32_e32 v8, 16, v1
	;;#ASMSTART
	v_cvt_f32_f16 v7, v7;
	;;#ASMEND
	v_add_f32_e32 v1, v28, v30
	;;#ASMSTART
	v_cvt_f32_f16 v8, v8;
	;;#ASMEND
	s_delay_alu instid0(VALU_DEP_1) | instskip(NEXT) | instid1(VALU_DEP_1)
	v_dual_add_f32 v7, v7, v8 :: v_dual_add_f32 v20, v20, v1
	v_add_f32_e32 v21, v21, v7
.LBB261_169:                            ;   in Loop: Header=BB261_170 Depth=1
	s_wait_alu 0xfffe
	s_or_b32 exec_lo, exec_lo, s14
	v_add_nc_u32_e32 v15, 4, v15
	v_add_co_u32 v3, s0, v3, 16
	s_wait_alu 0xf1ff
	v_add_co_ci_u32_e64 v4, null, 0, v4, s0
	s_delay_alu instid0(VALU_DEP_3)
	v_cmp_le_i32_e32 vcc_lo, s34, v15
	v_add_nc_u32_e32 v14, 64, v14
	v_add_nc_u32_e32 v16, 0x100, v16
	s_or_b32 s7, vcc_lo, s7
	s_wait_alu 0xfffe
	s_and_not1_b32 exec_lo, exec_lo, s7
	s_cbranch_execz .LBB261_303
.LBB261_170:                            ; =>This Inner Loop Header: Depth=1
	v_sub_nc_u32_e32 v1, 0, v14
	s_delay_alu instid0(VALU_DEP_1) | instskip(NEXT) | instid1(VALU_DEP_1)
	v_max_i32_e32 v1, v14, v1
	v_mul_hi_u32 v7, v1, s22
	s_delay_alu instid0(VALU_DEP_1) | instskip(NEXT) | instid1(VALU_DEP_1)
	v_mul_lo_u32 v8, v7, s16
	v_sub_nc_u32_e32 v1, v1, v8
	s_delay_alu instid0(VALU_DEP_1) | instskip(SKIP_2) | instid1(VALU_DEP_2)
	v_subrev_nc_u32_e32 v9, s16, v1
	v_cmp_le_u32_e32 vcc_lo, s16, v1
	s_wait_alu 0xfffd
	v_dual_cndmask_b32 v1, v1, v9 :: v_dual_add_nc_u32 v8, 1, v7
	s_delay_alu instid0(VALU_DEP_1) | instskip(SKIP_1) | instid1(VALU_DEP_3)
	v_cndmask_b32_e32 v7, v7, v8, vcc_lo
	v_ashrrev_i32_e32 v8, 31, v14
	v_cmp_le_u32_e32 vcc_lo, s16, v1
	s_delay_alu instid0(VALU_DEP_3) | instskip(NEXT) | instid1(VALU_DEP_3)
	v_add_nc_u32_e32 v9, 1, v7
	v_xor_b32_e32 v8, s23, v8
	s_wait_alu 0xfffd
	s_delay_alu instid0(VALU_DEP_2) | instskip(NEXT) | instid1(VALU_DEP_1)
	v_cndmask_b32_e32 v1, v7, v9, vcc_lo
	v_xor_b32_e32 v1, v1, v8
	s_delay_alu instid0(VALU_DEP_1) | instskip(NEXT) | instid1(VALU_DEP_1)
	v_sub_nc_u32_e32 v1, v1, v8
	v_add_nc_u32_e32 v7, s21, v1
	v_cmp_lt_i32_e64 s0, s5, v1
	s_delay_alu instid0(VALU_DEP_2) | instskip(NEXT) | instid1(VALU_DEP_1)
	v_sub_nc_u32_e32 v8, 0, v7
	v_max_i32_e32 v8, v7, v8
	v_ashrrev_i32_e32 v7, 31, v7
	s_wait_alu 0xfffe
	s_delay_alu instid0(VALU_DEP_2) | instskip(NEXT) | instid1(VALU_DEP_1)
	v_mul_hi_u32 v9, v8, s13
	v_mul_lo_u32 v9, v9, s4
	s_delay_alu instid0(VALU_DEP_1) | instskip(NEXT) | instid1(VALU_DEP_1)
	v_sub_nc_u32_e32 v8, v8, v9
	v_subrev_nc_u32_e32 v9, s4, v8
	v_cmp_le_u32_e32 vcc_lo, s4, v8
	s_wait_alu 0xfffd
	s_delay_alu instid0(VALU_DEP_2) | instskip(NEXT) | instid1(VALU_DEP_1)
	v_cndmask_b32_e32 v8, v8, v9, vcc_lo
	v_subrev_nc_u32_e32 v9, s4, v8
	v_cmp_le_u32_e32 vcc_lo, s4, v8
	s_wait_alu 0xfffd
	s_delay_alu instid0(VALU_DEP_2) | instskip(NEXT) | instid1(VALU_DEP_1)
	v_cndmask_b32_e32 v8, v8, v9, vcc_lo
	v_xor_b32_e32 v8, v8, v7
	s_delay_alu instid0(VALU_DEP_1) | instskip(NEXT) | instid1(VALU_DEP_1)
	v_sub_nc_u32_e32 v7, v8, v7
	v_cmp_eq_u32_e32 vcc_lo, 0, v7
	s_or_b32 s0, vcc_lo, s0
	s_wait_alu 0xfffe
	s_and_saveexec_b32 s14, s0
	s_cbranch_execz .LBB261_169
; %bb.171:                              ;   in Loop: Header=BB261_170 Depth=1
	global_load_b32 v1, v[3:4], off
	ds_load_2addr_b64 v[22:25], v16 offset1:1
	ds_load_2addr_b64 v[34:37], v16 offset0:2 offset1:3
	s_mov_b32 s0, exec_lo
	s_wait_dscnt 0x1
	;;#ASMSTART
	v_cvt_f16_f32 v28, v22;

	;;#ASMEND
	;;#ASMSTART
	v_cvt_f16_f32 v29, v23;

	;;#ASMEND
	;; [unrolled: 4-line block ×4, first 2 shown]
	s_wait_dscnt 0x0
	;;#ASMSTART
	v_cvt_f16_f32 v34, v34;

	;;#ASMEND
	;;#ASMSTART
	v_cvt_f16_f32 v31, v35;

	;;#ASMEND
	;; [unrolled: 4-line block ×4, first 2 shown]
	v_dual_mov_b32 v23, 0 :: v_dual_mov_b32 v24, 0
	global_load_b32 v22, v23, s[10:11]
	s_wait_loadcnt 0x1
	v_mad_co_i64_i32 v[7:8], null, v1, s6, v[5:6]
	global_load_b64 v[9:10], v[7:8], off
	s_wait_loadcnt 0x0
	v_and_b32_e32 v1, 0xff, v9
	s_delay_alu instid0(VALU_DEP_1)
	v_cmpx_ne_u16_e32 0, v1
	s_cbranch_execz .LBB261_179
; %bb.172:                              ;   in Loop: Header=BB261_170 Depth=1
	v_mov_b32_e32 v24, 0x8000
	s_mov_b32 s17, exec_lo
	v_cmpx_ne_u16_e32 0x80, v1
	s_cbranch_execz .LBB261_178
; %bb.173:                              ;   in Loop: Header=BB261_170 Depth=1
	v_and_b32_e32 v25, 0x7f, v9
	v_mov_b32_e32 v24, 0x7c01
	s_mov_b32 s18, exec_lo
	s_delay_alu instid0(VALU_DEP_2)
	v_cmpx_ne_u32_e32 0x7f, v25
	s_cbranch_execz .LBB261_177
; %bb.174:                              ;   in Loop: Header=BB261_170 Depth=1
	v_and_b32_e32 v1, 7, v9
	v_lshrrev_b32_e32 v24, 3, v25
	s_mov_b32 s19, exec_lo
	v_cmpx_gt_u32_e32 8, v25
; %bb.175:                              ;   in Loop: Header=BB261_170 Depth=1
	s_delay_alu instid0(VALU_DEP_3) | instskip(NEXT) | instid1(VALU_DEP_1)
	v_clz_i32_u32_e32 v1, v1
	v_min_u32_e32 v1, 32, v1
	s_delay_alu instid0(VALU_DEP_1) | instskip(NEXT) | instid1(VALU_DEP_1)
	v_subrev_nc_u32_e32 v24, 28, v1
	v_lshlrev_b64_e32 v[25:26], v24, v[9:10]
	v_sub_nc_u32_e32 v24, 29, v1
	s_delay_alu instid0(VALU_DEP_2)
	v_and_b32_e32 v1, 7, v25
; %bb.176:                              ;   in Loop: Header=BB261_170 Depth=1
	s_wait_alu 0xfffe
	s_or_b32 exec_lo, exec_lo, s19
	v_lshlrev_b32_e32 v25, 8, v9
	v_lshl_add_u32 v24, v24, 10, 0x2000
	v_lshlrev_b32_e32 v1, 7, v1
	s_delay_alu instid0(VALU_DEP_3) | instskip(NEXT) | instid1(VALU_DEP_3)
	v_and_b32_e32 v25, 0x8000, v25
	v_and_b32_e32 v24, 0xfc00, v24
	s_delay_alu instid0(VALU_DEP_1)
	v_or3_b32 v24, v25, v24, v1
.LBB261_177:                            ;   in Loop: Header=BB261_170 Depth=1
	s_wait_alu 0xfffe
	s_or_b32 exec_lo, exec_lo, s18
.LBB261_178:                            ;   in Loop: Header=BB261_170 Depth=1
	s_wait_alu 0xfffe
	s_or_b32 exec_lo, exec_lo, s17
.LBB261_179:                            ;   in Loop: Header=BB261_170 Depth=1
	s_wait_alu 0xfffe
	s_or_b32 exec_lo, exec_lo, s0
	v_lshrrev_b16 v1, 8, v9
	s_mov_b32 s0, exec_lo
	s_delay_alu instid0(VALU_DEP_1)
	v_cmpx_ne_u16_e32 0, v1
	s_cbranch_execz .LBB261_187
; %bb.180:                              ;   in Loop: Header=BB261_170 Depth=1
	v_bfrev_b32_e32 v23, 1
	s_mov_b32 s17, exec_lo
	v_cmpx_ne_u16_e32 0x80, v1
	s_cbranch_execz .LBB261_186
; %bb.181:                              ;   in Loop: Header=BB261_170 Depth=1
	v_and_b32_e32 v25, 0xffff, v1
	v_mov_b32_e32 v23, 0x7c010000
	s_mov_b32 s18, exec_lo
	s_delay_alu instid0(VALU_DEP_2) | instskip(NEXT) | instid1(VALU_DEP_1)
	v_and_b32_e32 v27, 0x7f, v25
	v_cmpx_ne_u32_e32 0x7f, v27
	s_cbranch_execz .LBB261_185
; %bb.182:                              ;   in Loop: Header=BB261_170 Depth=1
	v_and_b32_e32 v23, 7, v25
	v_lshrrev_b32_e32 v26, 3, v27
	s_mov_b32 s19, exec_lo
	v_cmpx_gt_u32_e32 8, v27
; %bb.183:                              ;   in Loop: Header=BB261_170 Depth=1
	s_delay_alu instid0(VALU_DEP_3) | instskip(NEXT) | instid1(VALU_DEP_1)
	v_clz_i32_u32_e32 v23, v23
	v_min_u32_e32 v23, 32, v23
	s_delay_alu instid0(VALU_DEP_1) | instskip(NEXT) | instid1(VALU_DEP_1)
	v_subrev_nc_u32_e32 v26, 28, v23
	v_lshlrev_b64_e32 v[36:37], v26, v[1:2]
	v_sub_nc_u32_e32 v26, 29, v23
	s_delay_alu instid0(VALU_DEP_2)
	v_and_b32_e32 v23, 7, v36
; %bb.184:                              ;   in Loop: Header=BB261_170 Depth=1
	s_wait_alu 0xfffe
	s_or_b32 exec_lo, exec_lo, s19
	v_lshlrev_b32_e32 v1, 8, v25
	v_lshl_add_u32 v25, v26, 10, 0x2000
	v_lshlrev_b32_e32 v23, 23, v23
	s_delay_alu instid0(VALU_DEP_2) | instskip(NEXT) | instid1(VALU_DEP_1)
	v_and_or_b32 v1, 0x8000, v1, v25
	v_lshl_or_b32 v23, v1, 16, v23
.LBB261_185:                            ;   in Loop: Header=BB261_170 Depth=1
	s_wait_alu 0xfffe
	s_or_b32 exec_lo, exec_lo, s18
.LBB261_186:                            ;   in Loop: Header=BB261_170 Depth=1
	s_wait_alu 0xfffe
	s_or_b32 exec_lo, exec_lo, s17
.LBB261_187:                            ;   in Loop: Header=BB261_170 Depth=1
	s_wait_alu 0xfffe
	s_or_b32 exec_lo, exec_lo, s0
	v_lshrrev_b32_e32 v1, 16, v9
	v_mov_b32_e32 v25, 0
	s_mov_b32 s0, exec_lo
	s_delay_alu instid0(VALU_DEP_2) | instskip(NEXT) | instid1(VALU_DEP_1)
	v_dual_mov_b32 v26, 0 :: v_dual_and_b32 v27, 0xff, v1
	v_cmpx_ne_u16_e32 0, v27
	s_cbranch_execz .LBB261_195
; %bb.188:                              ;   in Loop: Header=BB261_170 Depth=1
	v_mov_b32_e32 v26, 0x8000
	s_mov_b32 s17, exec_lo
	v_cmpx_ne_u16_e32 0x80, v27
	s_cbranch_execz .LBB261_194
; %bb.189:                              ;   in Loop: Header=BB261_170 Depth=1
	v_bfe_u32 v36, v9, 16, 7
	v_mov_b32_e32 v26, 0x7c01
	s_mov_b32 s18, exec_lo
	s_delay_alu instid0(VALU_DEP_2)
	v_cmpx_ne_u32_e32 0x7f, v36
	s_cbranch_execz .LBB261_193
; %bb.190:                              ;   in Loop: Header=BB261_170 Depth=1
	v_and_b32_e32 v26, 7, v1
	v_lshrrev_b32_e32 v27, 3, v36
	s_mov_b32 s19, exec_lo
	v_cmpx_gt_u32_e32 8, v36
; %bb.191:                              ;   in Loop: Header=BB261_170 Depth=1
	s_delay_alu instid0(VALU_DEP_3) | instskip(NEXT) | instid1(VALU_DEP_1)
	v_clz_i32_u32_e32 v26, v26
	v_min_u32_e32 v36, 32, v26
	s_delay_alu instid0(VALU_DEP_1) | instskip(NEXT) | instid1(VALU_DEP_1)
	v_subrev_nc_u32_e32 v26, 28, v36
	v_lshlrev_b64_e32 v[26:27], v26, v[1:2]
	v_sub_nc_u32_e32 v27, 29, v36
	s_delay_alu instid0(VALU_DEP_2)
	v_and_b32_e32 v26, 7, v26
; %bb.192:                              ;   in Loop: Header=BB261_170 Depth=1
	s_wait_alu 0xfffe
	s_or_b32 exec_lo, exec_lo, s19
	v_lshlrev_b32_e32 v1, 8, v1
	v_lshl_add_u32 v27, v27, 10, 0x2000
	v_lshlrev_b32_e32 v26, 7, v26
	s_delay_alu instid0(VALU_DEP_3) | instskip(NEXT) | instid1(VALU_DEP_3)
	v_and_b32_e32 v1, 0x8000, v1
	v_and_b32_e32 v27, 0xfc00, v27
	s_delay_alu instid0(VALU_DEP_1)
	v_or3_b32 v26, v1, v27, v26
.LBB261_193:                            ;   in Loop: Header=BB261_170 Depth=1
	s_wait_alu 0xfffe
	s_or_b32 exec_lo, exec_lo, s18
.LBB261_194:                            ;   in Loop: Header=BB261_170 Depth=1
	s_wait_alu 0xfffe
	s_or_b32 exec_lo, exec_lo, s17
.LBB261_195:                            ;   in Loop: Header=BB261_170 Depth=1
	s_wait_alu 0xfffe
	s_or_b32 exec_lo, exec_lo, s0
	s_delay_alu instid0(SALU_CYCLE_1)
	s_mov_b32 s0, exec_lo
	v_cmpx_lt_u32_e32 0xffffff, v9
	s_cbranch_execz .LBB261_203
; %bb.196:                              ;   in Loop: Header=BB261_170 Depth=1
	v_lshrrev_b32_e32 v1, 24, v9
	v_bfrev_b32_e32 v25, 1
	s_mov_b32 s17, exec_lo
	s_delay_alu instid0(VALU_DEP_2)
	v_cmpx_ne_u32_e32 0x80, v1
	s_cbranch_execz .LBB261_202
; %bb.197:                              ;   in Loop: Header=BB261_170 Depth=1
	v_and_b32_e32 v36, 0x7f, v1
	v_mov_b32_e32 v25, 0x7c010000
	s_mov_b32 s18, exec_lo
	s_delay_alu instid0(VALU_DEP_2)
	v_cmpx_ne_u32_e32 0x7f, v36
	s_cbranch_execz .LBB261_201
; %bb.198:                              ;   in Loop: Header=BB261_170 Depth=1
	v_and_b32_e32 v25, 7, v1
	v_lshrrev_b32_e32 v27, 3, v36
	s_mov_b32 s19, exec_lo
	v_cmpx_gt_u32_e32 8, v36
; %bb.199:                              ;   in Loop: Header=BB261_170 Depth=1
	s_delay_alu instid0(VALU_DEP_3) | instskip(NEXT) | instid1(VALU_DEP_1)
	v_clz_i32_u32_e32 v25, v25
	v_min_u32_e32 v25, 32, v25
	s_delay_alu instid0(VALU_DEP_1) | instskip(NEXT) | instid1(VALU_DEP_1)
	v_subrev_nc_u32_e32 v27, 28, v25
	v_lshlrev_b64_e32 v[36:37], v27, v[1:2]
	v_sub_nc_u32_e32 v27, 29, v25
	s_delay_alu instid0(VALU_DEP_2)
	v_and_b32_e32 v25, 7, v36
; %bb.200:                              ;   in Loop: Header=BB261_170 Depth=1
	s_wait_alu 0xfffe
	s_or_b32 exec_lo, exec_lo, s19
	v_lshlrev_b32_e32 v1, 8, v1
	v_lshl_add_u32 v27, v27, 10, 0x2000
	v_lshlrev_b32_e32 v25, 23, v25
	s_delay_alu instid0(VALU_DEP_2) | instskip(NEXT) | instid1(VALU_DEP_1)
	v_and_or_b32 v1, 0x8000, v1, v27
	v_lshl_or_b32 v25, v1, 16, v25
.LBB261_201:                            ;   in Loop: Header=BB261_170 Depth=1
	s_wait_alu 0xfffe
	s_or_b32 exec_lo, exec_lo, s18
.LBB261_202:                            ;   in Loop: Header=BB261_170 Depth=1
	s_wait_alu 0xfffe
	s_or_b32 exec_lo, exec_lo, s17
.LBB261_203:                            ;   in Loop: Header=BB261_170 Depth=1
	s_wait_alu 0xfffe
	s_or_b32 exec_lo, exec_lo, s0
	v_dual_mov_b32 v36, 0 :: v_dual_and_b32 v37, 0xff, v10
	v_mov_b32_e32 v1, v10
	v_mov_b32_e32 v27, 0
	s_mov_b32 s0, exec_lo
	s_delay_alu instid0(VALU_DEP_3)
	v_cmpx_ne_u16_e32 0, v37
	s_cbranch_execz .LBB261_211
; %bb.204:                              ;   in Loop: Header=BB261_170 Depth=1
	v_mov_b32_e32 v36, 0x8000
	s_mov_b32 s17, exec_lo
	v_cmpx_ne_u16_e32 0x80, v37
	s_cbranch_execz .LBB261_210
; %bb.205:                              ;   in Loop: Header=BB261_170 Depth=1
	v_and_b32_e32 v38, 0x7f, v10
	v_mov_b32_e32 v36, 0x7c01
	s_mov_b32 s18, exec_lo
	s_delay_alu instid0(VALU_DEP_2)
	v_cmpx_ne_u32_e32 0x7f, v38
	s_cbranch_execz .LBB261_209
; %bb.206:                              ;   in Loop: Header=BB261_170 Depth=1
	v_and_b32_e32 v36, 7, v10
	v_lshrrev_b32_e32 v37, 3, v38
	s_mov_b32 s19, exec_lo
	v_cmpx_gt_u32_e32 8, v38
; %bb.207:                              ;   in Loop: Header=BB261_170 Depth=1
	s_delay_alu instid0(VALU_DEP_3) | instskip(NEXT) | instid1(VALU_DEP_1)
	v_clz_i32_u32_e32 v36, v36
	v_min_u32_e32 v38, 32, v36
	s_delay_alu instid0(VALU_DEP_1) | instskip(NEXT) | instid1(VALU_DEP_1)
	v_subrev_nc_u32_e32 v36, 28, v38
	v_lshlrev_b64_e32 v[36:37], v36, v[1:2]
	v_sub_nc_u32_e32 v37, 29, v38
	s_delay_alu instid0(VALU_DEP_2)
	v_and_b32_e32 v36, 7, v36
; %bb.208:                              ;   in Loop: Header=BB261_170 Depth=1
	s_wait_alu 0xfffe
	s_or_b32 exec_lo, exec_lo, s19
	v_lshlrev_b32_e32 v38, 8, v10
	v_lshl_add_u32 v37, v37, 10, 0x2000
	v_lshlrev_b32_e32 v36, 7, v36
	s_delay_alu instid0(VALU_DEP_3) | instskip(NEXT) | instid1(VALU_DEP_3)
	v_and_b32_e32 v38, 0x8000, v38
	v_and_b32_e32 v37, 0xfc00, v37
	s_delay_alu instid0(VALU_DEP_1)
	v_or3_b32 v36, v38, v37, v36
.LBB261_209:                            ;   in Loop: Header=BB261_170 Depth=1
	s_wait_alu 0xfffe
	s_or_b32 exec_lo, exec_lo, s18
.LBB261_210:                            ;   in Loop: Header=BB261_170 Depth=1
	s_wait_alu 0xfffe
	s_or_b32 exec_lo, exec_lo, s17
.LBB261_211:                            ;   in Loop: Header=BB261_170 Depth=1
	s_wait_alu 0xfffe
	s_or_b32 exec_lo, exec_lo, s0
	v_lshrrev_b16 v1, 8, v1
	v_mov_b32_e32 v37, 0
	s_mov_b32 s0, exec_lo
	s_delay_alu instid0(VALU_DEP_2)
	v_cmpx_ne_u16_e32 0, v1
	s_cbranch_execz .LBB261_219
; %bb.212:                              ;   in Loop: Header=BB261_170 Depth=1
	v_bfrev_b32_e32 v37, 1
	s_mov_b32 s17, exec_lo
	v_cmpx_ne_u16_e32 0x80, v1
	s_cbranch_execz .LBB261_218
; %bb.213:                              ;   in Loop: Header=BB261_170 Depth=1
	v_and_b32_e32 v38, 0xffff, v1
	v_mov_b32_e32 v37, 0x7c010000
	s_mov_b32 s18, exec_lo
	s_delay_alu instid0(VALU_DEP_2) | instskip(NEXT) | instid1(VALU_DEP_1)
	v_and_b32_e32 v40, 0x7f, v38
	v_cmpx_ne_u32_e32 0x7f, v40
	s_cbranch_execz .LBB261_217
; %bb.214:                              ;   in Loop: Header=BB261_170 Depth=1
	v_and_b32_e32 v37, 7, v38
	v_lshrrev_b32_e32 v39, 3, v40
	s_mov_b32 s19, exec_lo
	v_cmpx_gt_u32_e32 8, v40
; %bb.215:                              ;   in Loop: Header=BB261_170 Depth=1
	s_delay_alu instid0(VALU_DEP_3) | instskip(NEXT) | instid1(VALU_DEP_1)
	v_clz_i32_u32_e32 v37, v37
	v_min_u32_e32 v37, 32, v37
	s_delay_alu instid0(VALU_DEP_1) | instskip(NEXT) | instid1(VALU_DEP_1)
	v_subrev_nc_u32_e32 v39, 28, v37
	v_lshlrev_b64_e32 v[40:41], v39, v[1:2]
	v_sub_nc_u32_e32 v39, 29, v37
	s_delay_alu instid0(VALU_DEP_2)
	v_and_b32_e32 v37, 7, v40
; %bb.216:                              ;   in Loop: Header=BB261_170 Depth=1
	s_wait_alu 0xfffe
	s_or_b32 exec_lo, exec_lo, s19
	v_lshlrev_b32_e32 v1, 8, v38
	v_lshl_add_u32 v38, v39, 10, 0x2000
	v_lshlrev_b32_e32 v37, 23, v37
	s_delay_alu instid0(VALU_DEP_2) | instskip(NEXT) | instid1(VALU_DEP_1)
	v_and_or_b32 v1, 0x8000, v1, v38
	v_lshl_or_b32 v37, v1, 16, v37
.LBB261_217:                            ;   in Loop: Header=BB261_170 Depth=1
	s_wait_alu 0xfffe
	s_or_b32 exec_lo, exec_lo, s18
.LBB261_218:                            ;   in Loop: Header=BB261_170 Depth=1
	s_wait_alu 0xfffe
	s_or_b32 exec_lo, exec_lo, s17
.LBB261_219:                            ;   in Loop: Header=BB261_170 Depth=1
	s_wait_alu 0xfffe
	s_or_b32 exec_lo, exec_lo, s0
	v_lshrrev_b32_e32 v1, 16, v10
	s_mov_b32 s0, exec_lo
	s_delay_alu instid0(VALU_DEP_1) | instskip(NEXT) | instid1(VALU_DEP_1)
	v_and_b32_e32 v38, 0xff, v1
	v_cmpx_ne_u16_e32 0, v38
	s_cbranch_execz .LBB261_227
; %bb.220:                              ;   in Loop: Header=BB261_170 Depth=1
	v_mov_b32_e32 v27, 0x8000
	s_mov_b32 s17, exec_lo
	v_cmpx_ne_u16_e32 0x80, v38
	s_cbranch_execz .LBB261_226
; %bb.221:                              ;   in Loop: Header=BB261_170 Depth=1
	v_bfe_u32 v39, v10, 16, 7
	v_mov_b32_e32 v27, 0x7c01
	s_mov_b32 s18, exec_lo
	s_delay_alu instid0(VALU_DEP_2)
	v_cmpx_ne_u32_e32 0x7f, v39
	s_cbranch_execz .LBB261_225
; %bb.222:                              ;   in Loop: Header=BB261_170 Depth=1
	v_and_b32_e32 v27, 7, v1
	v_lshrrev_b32_e32 v38, 3, v39
	s_mov_b32 s19, exec_lo
	v_cmpx_gt_u32_e32 8, v39
; %bb.223:                              ;   in Loop: Header=BB261_170 Depth=1
	s_delay_alu instid0(VALU_DEP_3) | instskip(NEXT) | instid1(VALU_DEP_1)
	v_clz_i32_u32_e32 v27, v27
	v_min_u32_e32 v27, 32, v27
	s_delay_alu instid0(VALU_DEP_1) | instskip(NEXT) | instid1(VALU_DEP_1)
	v_subrev_nc_u32_e32 v38, 28, v27
	v_lshlrev_b64_e32 v[39:40], v38, v[1:2]
	v_sub_nc_u32_e32 v38, 29, v27
	s_delay_alu instid0(VALU_DEP_2)
	v_and_b32_e32 v27, 7, v39
; %bb.224:                              ;   in Loop: Header=BB261_170 Depth=1
	s_wait_alu 0xfffe
	s_or_b32 exec_lo, exec_lo, s19
	v_lshlrev_b32_e32 v1, 8, v1
	v_lshl_add_u32 v38, v38, 10, 0x2000
	v_lshlrev_b32_e32 v27, 7, v27
	s_delay_alu instid0(VALU_DEP_3) | instskip(NEXT) | instid1(VALU_DEP_3)
	v_and_b32_e32 v1, 0x8000, v1
	v_and_b32_e32 v38, 0xfc00, v38
	s_delay_alu instid0(VALU_DEP_1)
	v_or3_b32 v27, v1, v38, v27
.LBB261_225:                            ;   in Loop: Header=BB261_170 Depth=1
	s_wait_alu 0xfffe
	s_or_b32 exec_lo, exec_lo, s18
.LBB261_226:                            ;   in Loop: Header=BB261_170 Depth=1
	s_wait_alu 0xfffe
	s_or_b32 exec_lo, exec_lo, s17
.LBB261_227:                            ;   in Loop: Header=BB261_170 Depth=1
	s_wait_alu 0xfffe
	s_or_b32 exec_lo, exec_lo, s0
	v_mov_b32_e32 v38, 0
	s_mov_b32 s0, exec_lo
	v_cmpx_lt_u64_e64 s[2:3], v[9:10]
	s_cbranch_execz .LBB261_235
; %bb.228:                              ;   in Loop: Header=BB261_170 Depth=1
	v_lshrrev_b32_e32 v1, 24, v10
	v_bfrev_b32_e32 v38, 1
	s_mov_b32 s17, exec_lo
	s_delay_alu instid0(VALU_DEP_2)
	v_cmpx_ne_u32_e32 0x80, v1
	s_cbranch_execz .LBB261_234
; %bb.229:                              ;   in Loop: Header=BB261_170 Depth=1
	v_and_b32_e32 v39, 0x7f, v1
	v_mov_b32_e32 v38, 0x7c010000
	s_mov_b32 s18, exec_lo
	s_delay_alu instid0(VALU_DEP_2)
	v_cmpx_ne_u32_e32 0x7f, v39
	s_cbranch_execz .LBB261_233
; %bb.230:                              ;   in Loop: Header=BB261_170 Depth=1
	v_and_b32_e32 v9, 7, v1
	v_lshrrev_b32_e32 v10, 3, v39
	s_mov_b32 s19, exec_lo
	v_cmpx_gt_u32_e32 8, v39
; %bb.231:                              ;   in Loop: Header=BB261_170 Depth=1
	s_delay_alu instid0(VALU_DEP_3) | instskip(NEXT) | instid1(VALU_DEP_1)
	v_clz_i32_u32_e32 v9, v9
	v_min_u32_e32 v38, 32, v9
	s_delay_alu instid0(VALU_DEP_1) | instskip(NEXT) | instid1(VALU_DEP_1)
	v_subrev_nc_u32_e32 v9, 28, v38
	v_lshlrev_b64_e32 v[9:10], v9, v[1:2]
	v_sub_nc_u32_e32 v10, 29, v38
	s_delay_alu instid0(VALU_DEP_2)
	v_and_b32_e32 v9, 7, v9
; %bb.232:                              ;   in Loop: Header=BB261_170 Depth=1
	s_wait_alu 0xfffe
	s_or_b32 exec_lo, exec_lo, s19
	v_lshlrev_b32_e32 v1, 8, v1
	v_lshl_add_u32 v10, v10, 10, 0x2000
	v_lshlrev_b32_e32 v9, 23, v9
	s_delay_alu instid0(VALU_DEP_2) | instskip(NEXT) | instid1(VALU_DEP_1)
	v_and_or_b32 v1, 0x8000, v1, v10
	v_lshl_or_b32 v38, v1, 16, v9
.LBB261_233:                            ;   in Loop: Header=BB261_170 Depth=1
	s_wait_alu 0xfffe
	s_or_b32 exec_lo, exec_lo, s18
.LBB261_234:                            ;   in Loop: Header=BB261_170 Depth=1
	s_wait_alu 0xfffe
	s_or_b32 exec_lo, exec_lo, s17
.LBB261_235:                            ;   in Loop: Header=BB261_170 Depth=1
	s_wait_alu 0xfffe
	s_or_b32 exec_lo, exec_lo, s0
	v_or_b32_e32 v1, v25, v26
	v_fma_mixlo_f16 v10, v22, v25, 0 op_sel:[0,1,0] op_sel_hi:[0,1,0]
	v_or_b32_e32 v24, v23, v24
	v_fma_mixlo_f16 v23, v22, v23, 0 op_sel:[0,1,0] op_sel_hi:[0,1,0]
	v_or_b32_e32 v25, v37, v36
	v_fma_mixlo_f16 v1, v22, v1, 0 op_sel_hi:[0,1,0]
	v_or_b32_e32 v26, v38, v27
	v_lshlrev_b32_e32 v36, 16, v10
	v_lshlrev_b32_e32 v44, 16, v23
	v_fma_mixlo_f16 v10, v22, v37, 0 op_sel:[0,1,0] op_sel_hi:[0,1,0]
	v_and_b32_e32 v41, 0xffff, v1
	v_fma_mixlo_f16 v1, v22, v24, 0 op_sel_hi:[0,1,0]
	v_fma_mixlo_f16 v23, v22, v25, 0 op_sel_hi:[0,1,0]
	v_fma_mixlo_f16 v24, v22, v38, 0 op_sel:[0,1,0] op_sel_hi:[0,1,0]
	v_fma_mixlo_f16 v22, v22, v26, 0 op_sel_hi:[0,1,0]
	v_add_nc_u32_e32 v9, v19, v14
	v_and_b32_e32 v46, 0xffff, v1
	v_lshlrev_b32_e32 v42, 16, v10
	v_and_b32_e32 v45, 0xffff, v23
	v_lshlrev_b32_e32 v39, 16, v24
	v_and_b32_e32 v43, 0xffff, v22
	v_cmp_eq_u32_e32 vcc_lo, s37, v15
	v_or_b32_e32 v1, v36, v41
	v_or_b32_e32 v37, v44, v46
	;; [unrolled: 1-line block ×4, first 2 shown]
	v_add_nc_u32_e32 v27, 1, v9
	v_add_nc_u32_e32 v26, 2, v9
	v_add_nc_u32_e32 v25, 3, v9
	v_add_nc_u32_e32 v24, 4, v9
	v_add_nc_u32_e32 v23, 5, v9
	v_add_nc_u32_e32 v22, 6, v9
	v_add_nc_u32_e32 v10, 7, v9
	s_and_saveexec_b32 s17, vcc_lo
	s_cbranch_execz .LBB261_237
; %bb.236:                              ;   in Loop: Header=BB261_170 Depth=1
	v_cmp_gt_i32_e64 s0, s33, v9
	s_wait_alu 0xf1ff
	s_delay_alu instid0(VALU_DEP_1) | instskip(SKIP_2) | instid1(VALU_DEP_1)
	v_cndmask_b32_e64 v1, 0, v46, s0
	v_cmp_gt_i32_e64 s0, s33, v27
	s_wait_alu 0xf1ff
	v_cndmask_b32_e64 v37, 0, v44, s0
	v_cmp_gt_i32_e64 s0, s33, v26
	s_delay_alu instid0(VALU_DEP_2) | instskip(SKIP_1) | instid1(VALU_DEP_2)
	v_or_b32_e32 v37, v37, v1
	s_wait_alu 0xf1ff
	v_cndmask_b32_e64 v38, 0, v41, s0
	v_cmp_gt_i32_e64 s0, s33, v25
	s_wait_alu 0xf1ff
	s_delay_alu instid0(VALU_DEP_1) | instskip(SKIP_1) | instid1(VALU_DEP_2)
	v_cndmask_b32_e64 v36, 0, v36, s0
	v_cmp_gt_i32_e64 s0, s33, v24
	v_or_b32_e32 v1, v36, v38
	s_wait_alu 0xf1ff
	s_delay_alu instid0(VALU_DEP_2) | instskip(SKIP_2) | instid1(VALU_DEP_1)
	v_cndmask_b32_e64 v40, 0, v45, s0
	v_cmp_gt_i32_e64 s0, s33, v23
	s_wait_alu 0xf1ff
	v_cndmask_b32_e64 v41, 0, v42, s0
	v_cmp_gt_i32_e64 s0, s33, v22
	s_delay_alu instid0(VALU_DEP_2) | instskip(SKIP_1) | instid1(VALU_DEP_2)
	v_or_b32_e32 v38, v41, v40
	s_wait_alu 0xf1ff
	v_cndmask_b32_e64 v42, 0, v43, s0
	v_cmp_gt_i32_e64 s0, s33, v10
	s_wait_alu 0xf1ff
	s_delay_alu instid0(VALU_DEP_1) | instskip(NEXT) | instid1(VALU_DEP_1)
	v_cndmask_b32_e64 v39, 0, v39, s0
	v_or_b32_e32 v40, v39, v42
.LBB261_237:                            ;   in Loop: Header=BB261_170 Depth=1
	s_wait_alu 0xfffe
	s_or_b32 exec_lo, exec_lo, s17
	v_and_b32_e32 v28, 0xffff, v28
	v_and_b32_e32 v32, 0xffff, v32
	;; [unrolled: 1-line block ×4, first 2 shown]
	s_mov_b32 s17, exec_lo
	v_lshl_or_b32 v34, v29, 16, v28
	v_lshl_or_b32 v32, v30, 16, v32
	;;#ASMSTART
	v_pk_mul_f16 v28, v34, v37;

	;;#ASMEND
	;;#ASMSTART
	v_pk_mul_f16 v1, v32, v1;

	;;#ASMEND
	v_lshl_or_b32 v31, v31, 16, v36
	;;#ASMSTART
	v_pk_mul_f16 v30, v31, v38;

	;;#ASMEND
	v_mov_b32_e32 v36, 0
	v_lshl_or_b32 v29, v33, 16, v35
	;;#ASMSTART
	v_pk_mul_f16 v33, v29, v40;

	;;#ASMEND
	;;#ASMSTART
	v_pk_add_f16 v1, v28, v1;

	;;#ASMEND
	;;#ASMSTART
	v_pk_add_f16 v1, v1, v30;
	;; [unrolled: 4-line block ×3, first 2 shown]

	;;#ASMEND
	v_and_b32_e32 v28, 0xffff, v1
	v_lshrrev_b32_e32 v1, 16, v1
	;;#ASMSTART
	v_cvt_f32_f16 v28, v28;
	;;#ASMEND
	;;#ASMSTART
	v_cvt_f32_f16 v30, v1;
	;;#ASMEND
	global_load_b64 v[7:8], v[7:8], off offset:256
	v_mov_b32_e32 v35, 0
	global_load_b32 v33, v35, s[10:11]
	s_wait_loadcnt 0x1
	v_and_b32_e32 v1, 0xff, v7
	s_delay_alu instid0(VALU_DEP_1)
	v_cmpx_ne_u16_e32 0, v1
	s_cbranch_execz .LBB261_245
; %bb.238:                              ;   in Loop: Header=BB261_170 Depth=1
	v_mov_b32_e32 v36, 0x8000
	s_mov_b32 s18, exec_lo
	v_cmpx_ne_u16_e32 0x80, v1
	s_cbranch_execz .LBB261_244
; %bb.239:                              ;   in Loop: Header=BB261_170 Depth=1
	v_and_b32_e32 v37, 0x7f, v7
	v_mov_b32_e32 v36, 0x7c01
	s_mov_b32 s19, exec_lo
	s_delay_alu instid0(VALU_DEP_2)
	v_cmpx_ne_u32_e32 0x7f, v37
	s_cbranch_execz .LBB261_243
; %bb.240:                              ;   in Loop: Header=BB261_170 Depth=1
	v_and_b32_e32 v1, 7, v7
	v_lshrrev_b32_e32 v36, 3, v37
	s_mov_b32 s24, exec_lo
	v_cmpx_gt_u32_e32 8, v37
; %bb.241:                              ;   in Loop: Header=BB261_170 Depth=1
	s_delay_alu instid0(VALU_DEP_3) | instskip(NEXT) | instid1(VALU_DEP_1)
	v_clz_i32_u32_e32 v1, v1
	v_min_u32_e32 v1, 32, v1
	s_delay_alu instid0(VALU_DEP_1) | instskip(NEXT) | instid1(VALU_DEP_1)
	v_subrev_nc_u32_e32 v36, 28, v1
	v_lshlrev_b64_e32 v[37:38], v36, v[7:8]
	v_sub_nc_u32_e32 v36, 29, v1
	s_delay_alu instid0(VALU_DEP_2)
	v_and_b32_e32 v1, 7, v37
; %bb.242:                              ;   in Loop: Header=BB261_170 Depth=1
	s_wait_alu 0xfffe
	s_or_b32 exec_lo, exec_lo, s24
	v_lshlrev_b32_e32 v37, 8, v7
	v_lshl_add_u32 v36, v36, 10, 0x2000
	v_lshlrev_b32_e32 v1, 7, v1
	s_delay_alu instid0(VALU_DEP_3) | instskip(NEXT) | instid1(VALU_DEP_3)
	v_and_b32_e32 v37, 0x8000, v37
	v_and_b32_e32 v36, 0xfc00, v36
	s_delay_alu instid0(VALU_DEP_1)
	v_or3_b32 v36, v37, v36, v1
.LBB261_243:                            ;   in Loop: Header=BB261_170 Depth=1
	s_wait_alu 0xfffe
	s_or_b32 exec_lo, exec_lo, s19
.LBB261_244:                            ;   in Loop: Header=BB261_170 Depth=1
	s_wait_alu 0xfffe
	s_or_b32 exec_lo, exec_lo, s18
.LBB261_245:                            ;   in Loop: Header=BB261_170 Depth=1
	s_wait_alu 0xfffe
	s_or_b32 exec_lo, exec_lo, s17
	v_lshrrev_b16 v1, 8, v7
	s_mov_b32 s17, exec_lo
	s_delay_alu instid0(VALU_DEP_1)
	v_cmpx_ne_u16_e32 0, v1
	s_cbranch_execz .LBB261_253
; %bb.246:                              ;   in Loop: Header=BB261_170 Depth=1
	v_bfrev_b32_e32 v35, 1
	s_mov_b32 s18, exec_lo
	v_cmpx_ne_u16_e32 0x80, v1
	s_cbranch_execz .LBB261_252
; %bb.247:                              ;   in Loop: Header=BB261_170 Depth=1
	v_and_b32_e32 v37, 0xffff, v1
	v_mov_b32_e32 v35, 0x7c010000
	s_mov_b32 s19, exec_lo
	s_delay_alu instid0(VALU_DEP_2) | instskip(NEXT) | instid1(VALU_DEP_1)
	v_and_b32_e32 v39, 0x7f, v37
	v_cmpx_ne_u32_e32 0x7f, v39
	s_cbranch_execz .LBB261_251
; %bb.248:                              ;   in Loop: Header=BB261_170 Depth=1
	v_and_b32_e32 v35, 7, v37
	v_lshrrev_b32_e32 v38, 3, v39
	s_mov_b32 s24, exec_lo
	v_cmpx_gt_u32_e32 8, v39
; %bb.249:                              ;   in Loop: Header=BB261_170 Depth=1
	s_delay_alu instid0(VALU_DEP_3) | instskip(NEXT) | instid1(VALU_DEP_1)
	v_clz_i32_u32_e32 v35, v35
	v_min_u32_e32 v35, 32, v35
	s_delay_alu instid0(VALU_DEP_1) | instskip(NEXT) | instid1(VALU_DEP_1)
	v_subrev_nc_u32_e32 v38, 28, v35
	v_lshlrev_b64_e32 v[39:40], v38, v[1:2]
	v_sub_nc_u32_e32 v38, 29, v35
	s_delay_alu instid0(VALU_DEP_2)
	v_and_b32_e32 v35, 7, v39
; %bb.250:                              ;   in Loop: Header=BB261_170 Depth=1
	s_wait_alu 0xfffe
	s_or_b32 exec_lo, exec_lo, s24
	v_lshlrev_b32_e32 v1, 8, v37
	v_lshl_add_u32 v37, v38, 10, 0x2000
	v_lshlrev_b32_e32 v35, 23, v35
	s_delay_alu instid0(VALU_DEP_2) | instskip(NEXT) | instid1(VALU_DEP_1)
	v_and_or_b32 v1, 0x8000, v1, v37
	v_lshl_or_b32 v35, v1, 16, v35
.LBB261_251:                            ;   in Loop: Header=BB261_170 Depth=1
	s_wait_alu 0xfffe
	s_or_b32 exec_lo, exec_lo, s19
.LBB261_252:                            ;   in Loop: Header=BB261_170 Depth=1
	s_wait_alu 0xfffe
	s_or_b32 exec_lo, exec_lo, s18
.LBB261_253:                            ;   in Loop: Header=BB261_170 Depth=1
	s_wait_alu 0xfffe
	s_or_b32 exec_lo, exec_lo, s17
	v_lshrrev_b32_e32 v1, 16, v7
	v_mov_b32_e32 v37, 0
	s_mov_b32 s17, exec_lo
	s_delay_alu instid0(VALU_DEP_2) | instskip(NEXT) | instid1(VALU_DEP_1)
	v_dual_mov_b32 v38, 0 :: v_dual_and_b32 v39, 0xff, v1
	v_cmpx_ne_u16_e32 0, v39
	s_cbranch_execz .LBB261_261
; %bb.254:                              ;   in Loop: Header=BB261_170 Depth=1
	v_mov_b32_e32 v38, 0x8000
	s_mov_b32 s18, exec_lo
	v_cmpx_ne_u16_e32 0x80, v39
	s_cbranch_execz .LBB261_260
; %bb.255:                              ;   in Loop: Header=BB261_170 Depth=1
	v_bfe_u32 v40, v7, 16, 7
	v_mov_b32_e32 v38, 0x7c01
	s_mov_b32 s19, exec_lo
	s_delay_alu instid0(VALU_DEP_2)
	v_cmpx_ne_u32_e32 0x7f, v40
	s_cbranch_execz .LBB261_259
; %bb.256:                              ;   in Loop: Header=BB261_170 Depth=1
	v_and_b32_e32 v38, 7, v1
	v_lshrrev_b32_e32 v39, 3, v40
	s_mov_b32 s24, exec_lo
	v_cmpx_gt_u32_e32 8, v40
; %bb.257:                              ;   in Loop: Header=BB261_170 Depth=1
	s_delay_alu instid0(VALU_DEP_3) | instskip(NEXT) | instid1(VALU_DEP_1)
	v_clz_i32_u32_e32 v38, v38
	v_min_u32_e32 v40, 32, v38
	s_delay_alu instid0(VALU_DEP_1) | instskip(NEXT) | instid1(VALU_DEP_1)
	v_subrev_nc_u32_e32 v38, 28, v40
	v_lshlrev_b64_e32 v[38:39], v38, v[1:2]
	v_sub_nc_u32_e32 v39, 29, v40
	s_delay_alu instid0(VALU_DEP_2)
	v_and_b32_e32 v38, 7, v38
; %bb.258:                              ;   in Loop: Header=BB261_170 Depth=1
	s_wait_alu 0xfffe
	s_or_b32 exec_lo, exec_lo, s24
	v_lshlrev_b32_e32 v1, 8, v1
	v_lshl_add_u32 v39, v39, 10, 0x2000
	v_lshlrev_b32_e32 v38, 7, v38
	s_delay_alu instid0(VALU_DEP_3) | instskip(NEXT) | instid1(VALU_DEP_3)
	v_and_b32_e32 v1, 0x8000, v1
	v_and_b32_e32 v39, 0xfc00, v39
	s_delay_alu instid0(VALU_DEP_1)
	v_or3_b32 v38, v1, v39, v38
.LBB261_259:                            ;   in Loop: Header=BB261_170 Depth=1
	s_wait_alu 0xfffe
	s_or_b32 exec_lo, exec_lo, s19
.LBB261_260:                            ;   in Loop: Header=BB261_170 Depth=1
	s_wait_alu 0xfffe
	s_or_b32 exec_lo, exec_lo, s18
.LBB261_261:                            ;   in Loop: Header=BB261_170 Depth=1
	s_wait_alu 0xfffe
	s_or_b32 exec_lo, exec_lo, s17
	s_delay_alu instid0(SALU_CYCLE_1)
	s_mov_b32 s17, exec_lo
	v_cmpx_lt_u32_e32 0xffffff, v7
	s_cbranch_execz .LBB261_269
; %bb.262:                              ;   in Loop: Header=BB261_170 Depth=1
	v_lshrrev_b32_e32 v1, 24, v7
	v_bfrev_b32_e32 v37, 1
	s_mov_b32 s18, exec_lo
	s_delay_alu instid0(VALU_DEP_2)
	v_cmpx_ne_u32_e32 0x80, v1
	s_cbranch_execz .LBB261_268
; %bb.263:                              ;   in Loop: Header=BB261_170 Depth=1
	v_and_b32_e32 v40, 0x7f, v1
	v_mov_b32_e32 v37, 0x7c010000
	s_mov_b32 s19, exec_lo
	s_delay_alu instid0(VALU_DEP_2)
	v_cmpx_ne_u32_e32 0x7f, v40
	s_cbranch_execz .LBB261_267
; %bb.264:                              ;   in Loop: Header=BB261_170 Depth=1
	v_and_b32_e32 v37, 7, v1
	v_lshrrev_b32_e32 v39, 3, v40
	s_mov_b32 s24, exec_lo
	v_cmpx_gt_u32_e32 8, v40
; %bb.265:                              ;   in Loop: Header=BB261_170 Depth=1
	s_delay_alu instid0(VALU_DEP_3) | instskip(NEXT) | instid1(VALU_DEP_1)
	v_clz_i32_u32_e32 v37, v37
	v_min_u32_e32 v37, 32, v37
	s_delay_alu instid0(VALU_DEP_1) | instskip(NEXT) | instid1(VALU_DEP_1)
	v_subrev_nc_u32_e32 v39, 28, v37
	v_lshlrev_b64_e32 v[40:41], v39, v[1:2]
	v_sub_nc_u32_e32 v39, 29, v37
	s_delay_alu instid0(VALU_DEP_2)
	v_and_b32_e32 v37, 7, v40
; %bb.266:                              ;   in Loop: Header=BB261_170 Depth=1
	s_wait_alu 0xfffe
	s_or_b32 exec_lo, exec_lo, s24
	v_lshlrev_b32_e32 v1, 8, v1
	v_lshl_add_u32 v39, v39, 10, 0x2000
	v_lshlrev_b32_e32 v37, 23, v37
	s_delay_alu instid0(VALU_DEP_2) | instskip(NEXT) | instid1(VALU_DEP_1)
	v_and_or_b32 v1, 0x8000, v1, v39
	v_lshl_or_b32 v37, v1, 16, v37
.LBB261_267:                            ;   in Loop: Header=BB261_170 Depth=1
	s_wait_alu 0xfffe
	s_or_b32 exec_lo, exec_lo, s19
.LBB261_268:                            ;   in Loop: Header=BB261_170 Depth=1
	s_wait_alu 0xfffe
	s_or_b32 exec_lo, exec_lo, s18
.LBB261_269:                            ;   in Loop: Header=BB261_170 Depth=1
	s_wait_alu 0xfffe
	s_or_b32 exec_lo, exec_lo, s17
	v_dual_mov_b32 v40, 0 :: v_dual_and_b32 v41, 0xff, v8
	v_mov_b32_e32 v1, v8
	v_mov_b32_e32 v39, 0
	s_mov_b32 s17, exec_lo
	s_delay_alu instid0(VALU_DEP_3)
	v_cmpx_ne_u16_e32 0, v41
	s_cbranch_execz .LBB261_277
; %bb.270:                              ;   in Loop: Header=BB261_170 Depth=1
	v_mov_b32_e32 v40, 0x8000
	s_mov_b32 s18, exec_lo
	v_cmpx_ne_u16_e32 0x80, v41
	s_cbranch_execz .LBB261_276
; %bb.271:                              ;   in Loop: Header=BB261_170 Depth=1
	v_and_b32_e32 v42, 0x7f, v8
	v_mov_b32_e32 v40, 0x7c01
	s_mov_b32 s19, exec_lo
	s_delay_alu instid0(VALU_DEP_2)
	v_cmpx_ne_u32_e32 0x7f, v42
	s_cbranch_execz .LBB261_275
; %bb.272:                              ;   in Loop: Header=BB261_170 Depth=1
	v_and_b32_e32 v40, 7, v8
	v_lshrrev_b32_e32 v41, 3, v42
	s_mov_b32 s24, exec_lo
	v_cmpx_gt_u32_e32 8, v42
; %bb.273:                              ;   in Loop: Header=BB261_170 Depth=1
	s_delay_alu instid0(VALU_DEP_3) | instskip(NEXT) | instid1(VALU_DEP_1)
	v_clz_i32_u32_e32 v40, v40
	v_min_u32_e32 v42, 32, v40
	s_delay_alu instid0(VALU_DEP_1) | instskip(NEXT) | instid1(VALU_DEP_1)
	v_subrev_nc_u32_e32 v40, 28, v42
	v_lshlrev_b64_e32 v[40:41], v40, v[1:2]
	v_sub_nc_u32_e32 v41, 29, v42
	s_delay_alu instid0(VALU_DEP_2)
	v_and_b32_e32 v40, 7, v40
; %bb.274:                              ;   in Loop: Header=BB261_170 Depth=1
	s_wait_alu 0xfffe
	s_or_b32 exec_lo, exec_lo, s24
	v_lshlrev_b32_e32 v42, 8, v8
	v_lshl_add_u32 v41, v41, 10, 0x2000
	v_lshlrev_b32_e32 v40, 7, v40
	s_delay_alu instid0(VALU_DEP_3) | instskip(NEXT) | instid1(VALU_DEP_3)
	v_and_b32_e32 v42, 0x8000, v42
	v_and_b32_e32 v41, 0xfc00, v41
	s_delay_alu instid0(VALU_DEP_1)
	v_or3_b32 v40, v42, v41, v40
.LBB261_275:                            ;   in Loop: Header=BB261_170 Depth=1
	s_wait_alu 0xfffe
	s_or_b32 exec_lo, exec_lo, s19
.LBB261_276:                            ;   in Loop: Header=BB261_170 Depth=1
	s_wait_alu 0xfffe
	s_or_b32 exec_lo, exec_lo, s18
.LBB261_277:                            ;   in Loop: Header=BB261_170 Depth=1
	s_wait_alu 0xfffe
	s_or_b32 exec_lo, exec_lo, s17
	v_lshrrev_b16 v1, 8, v1
	v_mov_b32_e32 v41, 0
	s_mov_b32 s17, exec_lo
	s_delay_alu instid0(VALU_DEP_2)
	v_cmpx_ne_u16_e32 0, v1
	s_cbranch_execz .LBB261_285
; %bb.278:                              ;   in Loop: Header=BB261_170 Depth=1
	v_bfrev_b32_e32 v41, 1
	s_mov_b32 s18, exec_lo
	v_cmpx_ne_u16_e32 0x80, v1
	s_cbranch_execz .LBB261_284
; %bb.279:                              ;   in Loop: Header=BB261_170 Depth=1
	v_and_b32_e32 v42, 0xffff, v1
	v_mov_b32_e32 v41, 0x7c010000
	s_mov_b32 s19, exec_lo
	s_delay_alu instid0(VALU_DEP_2) | instskip(NEXT) | instid1(VALU_DEP_1)
	v_and_b32_e32 v44, 0x7f, v42
	v_cmpx_ne_u32_e32 0x7f, v44
	s_cbranch_execz .LBB261_283
; %bb.280:                              ;   in Loop: Header=BB261_170 Depth=1
	v_and_b32_e32 v41, 7, v42
	v_lshrrev_b32_e32 v43, 3, v44
	s_mov_b32 s24, exec_lo
	v_cmpx_gt_u32_e32 8, v44
; %bb.281:                              ;   in Loop: Header=BB261_170 Depth=1
	s_delay_alu instid0(VALU_DEP_3) | instskip(NEXT) | instid1(VALU_DEP_1)
	v_clz_i32_u32_e32 v41, v41
	v_min_u32_e32 v41, 32, v41
	s_delay_alu instid0(VALU_DEP_1) | instskip(NEXT) | instid1(VALU_DEP_1)
	v_subrev_nc_u32_e32 v43, 28, v41
	v_lshlrev_b64_e32 v[44:45], v43, v[1:2]
	v_sub_nc_u32_e32 v43, 29, v41
	s_delay_alu instid0(VALU_DEP_2)
	v_and_b32_e32 v41, 7, v44
; %bb.282:                              ;   in Loop: Header=BB261_170 Depth=1
	s_wait_alu 0xfffe
	s_or_b32 exec_lo, exec_lo, s24
	v_lshlrev_b32_e32 v1, 8, v42
	v_lshl_add_u32 v42, v43, 10, 0x2000
	v_lshlrev_b32_e32 v41, 23, v41
	s_delay_alu instid0(VALU_DEP_2) | instskip(NEXT) | instid1(VALU_DEP_1)
	v_and_or_b32 v1, 0x8000, v1, v42
	v_lshl_or_b32 v41, v1, 16, v41
.LBB261_283:                            ;   in Loop: Header=BB261_170 Depth=1
	s_wait_alu 0xfffe
	s_or_b32 exec_lo, exec_lo, s19
.LBB261_284:                            ;   in Loop: Header=BB261_170 Depth=1
	s_wait_alu 0xfffe
	s_or_b32 exec_lo, exec_lo, s18
.LBB261_285:                            ;   in Loop: Header=BB261_170 Depth=1
	s_wait_alu 0xfffe
	s_or_b32 exec_lo, exec_lo, s17
	v_lshrrev_b32_e32 v1, 16, v8
	s_mov_b32 s17, exec_lo
	s_delay_alu instid0(VALU_DEP_1) | instskip(NEXT) | instid1(VALU_DEP_1)
	v_and_b32_e32 v42, 0xff, v1
	v_cmpx_ne_u16_e32 0, v42
	s_cbranch_execz .LBB261_293
; %bb.286:                              ;   in Loop: Header=BB261_170 Depth=1
	v_mov_b32_e32 v39, 0x8000
	s_mov_b32 s18, exec_lo
	v_cmpx_ne_u16_e32 0x80, v42
	s_cbranch_execz .LBB261_292
; %bb.287:                              ;   in Loop: Header=BB261_170 Depth=1
	v_bfe_u32 v43, v8, 16, 7
	v_mov_b32_e32 v39, 0x7c01
	s_mov_b32 s19, exec_lo
	s_delay_alu instid0(VALU_DEP_2)
	v_cmpx_ne_u32_e32 0x7f, v43
	s_cbranch_execz .LBB261_291
; %bb.288:                              ;   in Loop: Header=BB261_170 Depth=1
	v_and_b32_e32 v39, 7, v1
	v_lshrrev_b32_e32 v42, 3, v43
	s_mov_b32 s24, exec_lo
	v_cmpx_gt_u32_e32 8, v43
; %bb.289:                              ;   in Loop: Header=BB261_170 Depth=1
	s_delay_alu instid0(VALU_DEP_3) | instskip(NEXT) | instid1(VALU_DEP_1)
	v_clz_i32_u32_e32 v39, v39
	v_min_u32_e32 v39, 32, v39
	s_delay_alu instid0(VALU_DEP_1) | instskip(NEXT) | instid1(VALU_DEP_1)
	v_subrev_nc_u32_e32 v42, 28, v39
	v_lshlrev_b64_e32 v[43:44], v42, v[1:2]
	v_sub_nc_u32_e32 v42, 29, v39
	s_delay_alu instid0(VALU_DEP_2)
	v_and_b32_e32 v39, 7, v43
; %bb.290:                              ;   in Loop: Header=BB261_170 Depth=1
	s_wait_alu 0xfffe
	s_or_b32 exec_lo, exec_lo, s24
	v_lshlrev_b32_e32 v1, 8, v1
	v_lshl_add_u32 v42, v42, 10, 0x2000
	v_lshlrev_b32_e32 v39, 7, v39
	s_delay_alu instid0(VALU_DEP_3) | instskip(NEXT) | instid1(VALU_DEP_3)
	v_and_b32_e32 v1, 0x8000, v1
	v_and_b32_e32 v42, 0xfc00, v42
	s_delay_alu instid0(VALU_DEP_1)
	v_or3_b32 v39, v1, v42, v39
.LBB261_291:                            ;   in Loop: Header=BB261_170 Depth=1
	s_wait_alu 0xfffe
	s_or_b32 exec_lo, exec_lo, s19
.LBB261_292:                            ;   in Loop: Header=BB261_170 Depth=1
	s_wait_alu 0xfffe
	s_or_b32 exec_lo, exec_lo, s18
.LBB261_293:                            ;   in Loop: Header=BB261_170 Depth=1
	s_wait_alu 0xfffe
	s_or_b32 exec_lo, exec_lo, s17
	v_cmp_lt_u64_e64 s0, s[2:3], v[7:8]
	v_mov_b32_e32 v7, 0
	s_and_saveexec_b32 s17, s0
	s_cbranch_execz .LBB261_301
; %bb.294:                              ;   in Loop: Header=BB261_170 Depth=1
	v_lshrrev_b32_e32 v1, 24, v8
	v_bfrev_b32_e32 v7, 1
	s_mov_b32 s18, exec_lo
	s_delay_alu instid0(VALU_DEP_2)
	v_cmpx_ne_u32_e32 0x80, v1
	s_cbranch_execz .LBB261_300
; %bb.295:                              ;   in Loop: Header=BB261_170 Depth=1
	v_and_b32_e32 v42, 0x7f, v1
	v_mov_b32_e32 v7, 0x7c010000
	s_mov_b32 s19, exec_lo
	s_delay_alu instid0(VALU_DEP_2)
	v_cmpx_ne_u32_e32 0x7f, v42
	s_cbranch_execz .LBB261_299
; %bb.296:                              ;   in Loop: Header=BB261_170 Depth=1
	v_and_b32_e32 v7, 7, v1
	v_lshrrev_b32_e32 v8, 3, v42
	s_mov_b32 s24, exec_lo
	v_cmpx_gt_u32_e32 8, v42
; %bb.297:                              ;   in Loop: Header=BB261_170 Depth=1
	s_delay_alu instid0(VALU_DEP_3) | instskip(NEXT) | instid1(VALU_DEP_1)
	v_clz_i32_u32_e32 v7, v7
	v_min_u32_e32 v42, 32, v7
	s_delay_alu instid0(VALU_DEP_1) | instskip(NEXT) | instid1(VALU_DEP_1)
	v_subrev_nc_u32_e32 v7, 28, v42
	v_lshlrev_b64_e32 v[7:8], v7, v[1:2]
	v_sub_nc_u32_e32 v8, 29, v42
	s_delay_alu instid0(VALU_DEP_2)
	v_and_b32_e32 v7, 7, v7
; %bb.298:                              ;   in Loop: Header=BB261_170 Depth=1
	s_wait_alu 0xfffe
	s_or_b32 exec_lo, exec_lo, s24
	v_lshlrev_b32_e32 v1, 8, v1
	v_lshl_add_u32 v8, v8, 10, 0x2000
	v_lshlrev_b32_e32 v7, 23, v7
	s_delay_alu instid0(VALU_DEP_2) | instskip(NEXT) | instid1(VALU_DEP_1)
	v_and_or_b32 v1, 0x8000, v1, v8
	v_lshl_or_b32 v7, v1, 16, v7
.LBB261_299:                            ;   in Loop: Header=BB261_170 Depth=1
	s_wait_alu 0xfffe
	s_or_b32 exec_lo, exec_lo, s19
.LBB261_300:                            ;   in Loop: Header=BB261_170 Depth=1
	s_wait_alu 0xfffe
	s_or_b32 exec_lo, exec_lo, s18
.LBB261_301:                            ;   in Loop: Header=BB261_170 Depth=1
	s_wait_alu 0xfffe
	s_or_b32 exec_lo, exec_lo, s17
	v_or_b32_e32 v1, v37, v38
	s_wait_loadcnt 0x0
	v_fma_mixlo_f16 v8, v33, v37, 0 op_sel:[0,1,0] op_sel_hi:[0,1,0]
	v_or_b32_e32 v36, v35, v36
	v_fma_mixlo_f16 v35, v33, v35, 0 op_sel:[0,1,0] op_sel_hi:[0,1,0]
	v_or_b32_e32 v37, v41, v40
	v_fma_mixlo_f16 v38, v33, v1, 0 op_sel_hi:[0,1,0]
	v_or_b32_e32 v40, v7, v39
	v_lshlrev_b32_e32 v1, 16, v8
	v_lshlrev_b32_e32 v39, 16, v35
	v_fma_mixlo_f16 v8, v33, v36, 0 op_sel_hi:[0,1,0]
	v_and_b32_e32 v36, 0xffff, v38
	v_fma_mixlo_f16 v35, v33, v41, 0 op_sel:[0,1,0] op_sel_hi:[0,1,0]
	v_fma_mixlo_f16 v38, v33, v37, 0 op_sel_hi:[0,1,0]
	v_fma_mixlo_f16 v7, v33, v7, 0 op_sel:[0,1,0] op_sel_hi:[0,1,0]
	v_fma_mixlo_f16 v33, v33, v40, 0 op_sel_hi:[0,1,0]
	v_and_b32_e32 v42, 0xffff, v8
	v_lshlrev_b32_e32 v37, 16, v35
	v_and_b32_e32 v41, 0xffff, v38
	v_lshlrev_b32_e32 v7, 16, v7
	v_and_b32_e32 v38, 0xffff, v33
	v_or_b32_e32 v35, v1, v36
	v_or_b32_e32 v40, v39, v42
	;; [unrolled: 1-line block ×3, first 2 shown]
	s_delay_alu instid0(VALU_DEP_4)
	v_or_b32_e32 v8, v7, v38
	s_and_saveexec_b32 s0, vcc_lo
	s_cbranch_execz .LBB261_168
; %bb.302:                              ;   in Loop: Header=BB261_170 Depth=1
	v_cmp_gt_i32_e32 vcc_lo, s33, v9
	s_wait_alu 0xfffd
	v_cndmask_b32_e32 v8, 0, v42, vcc_lo
	v_cmp_gt_i32_e32 vcc_lo, s33, v27
	s_wait_alu 0xfffd
	v_cndmask_b32_e32 v9, 0, v39, vcc_lo
	v_cmp_gt_i32_e32 vcc_lo, s33, v26
	s_delay_alu instid0(VALU_DEP_2)
	v_or_b32_e32 v40, v9, v8
	s_wait_alu 0xfffd
	v_cndmask_b32_e32 v26, 0, v36, vcc_lo
	v_cmp_gt_i32_e32 vcc_lo, s33, v25
	s_wait_alu 0xfffd
	v_cndmask_b32_e32 v1, 0, v1, vcc_lo
	v_cmp_gt_i32_e32 vcc_lo, s33, v24
	s_delay_alu instid0(VALU_DEP_2)
	v_or_b32_e32 v35, v1, v26
	s_wait_alu 0xfffd
	v_cndmask_b32_e32 v24, 0, v41, vcc_lo
	v_cmp_gt_i32_e32 vcc_lo, s33, v23
	s_wait_alu 0xfffd
	v_cndmask_b32_e32 v23, 0, v37, vcc_lo
	v_cmp_gt_i32_e32 vcc_lo, s33, v22
	;; [unrolled: 3-line block ×3, first 2 shown]
	s_wait_alu 0xfffd
	v_cndmask_b32_e32 v7, 0, v7, vcc_lo
	v_or_b32_e32 v33, v23, v24
	s_delay_alu instid0(VALU_DEP_2)
	v_or_b32_e32 v8, v7, v22
	s_branch .LBB261_168
.LBB261_303:
	s_or_b32 exec_lo, exec_lo, s7
.LBB261_304:
	s_wait_alu 0xfffe
	s_or_b32 exec_lo, exec_lo, s1
	ds_bpermute_b32 v1, v18, v20
	ds_bpermute_b32 v5, v18, v21
	v_lshrrev_b32_e32 v3, 1, v17
	v_and_b32_e32 v6, 0x3c1, v0
	s_mov_b32 s0, exec_lo
	s_wait_storecnt 0x0
	s_wait_loadcnt_dscnt 0x0
	s_barrier_signal -1
	v_lshl_add_u32 v4, v3, 2, 0x60
	s_barrier_wait -1
	global_inv scope:SCOPE_SE
	v_add_f32_e32 v2, v20, v1
	v_add_f32_e32 v1, v21, v5
	v_cmpx_eq_u32_e32 64, v6
	s_cbranch_execz .LBB261_306
; %bb.305:
	v_lshl_add_u32 v5, v13, 7, v4
	s_delay_alu instid0(VALU_DEP_1)
	v_add_nc_u32_e32 v6, 0xffffff00, v5
	v_add_nc_u32_e32 v5, 0xffffff40, v5
	ds_store_b32 v6, v2
	ds_store_b32 v5, v1
.LBB261_306:
	s_wait_alu 0xfffe
	s_or_b32 exec_lo, exec_lo, s0
	v_and_b32_e32 v5, 0x3e0, v0
	v_lshlrev_b32_e32 v3, 2, v3
	s_mov_b32 s1, exec_lo
	v_cmp_eq_u32_e32 vcc_lo, 0, v12
	s_wait_loadcnt_dscnt 0x0
	v_lshlrev_b32_e32 v5, 2, v5
	s_barrier_signal -1
	s_barrier_wait -1
	global_inv scope:SCOPE_SE
	v_add3_u32 v3, 0x60, v5, v3
	v_cmpx_gt_u32_e32 64, v0
	s_cbranch_execz .LBB261_312
; %bb.307:
	s_and_saveexec_b32 s0, vcc_lo
	s_cbranch_execz .LBB261_309
; %bb.308:
	ds_load_b32 v5, v3
	s_wait_dscnt 0x0
	v_add_f32_e32 v2, v2, v5
.LBB261_309:
	s_wait_alu 0xfffe
	s_or_b32 exec_lo, exec_lo, s0
	s_and_saveexec_b32 s0, vcc_lo
	s_cbranch_execz .LBB261_311
; %bb.310:
	ds_load_b32 v5, v3 offset:64
	s_wait_dscnt 0x0
	v_add_f32_e32 v1, v1, v5
.LBB261_311:
	s_wait_alu 0xfffe
	s_or_b32 exec_lo, exec_lo, s0
.LBB261_312:
	s_wait_alu 0xfffe
	s_or_b32 exec_lo, exec_lo, s1
	v_and_b32_e32 v5, 0x3e1, v0
	s_mov_b32 s1, exec_lo
	s_wait_loadcnt 0x0
	s_barrier_signal -1
	s_barrier_wait -1
	global_inv scope:SCOPE_SE
	v_cmpx_eq_u32_e32 32, v5
; %bb.313:
	ds_store_2addr_b32 v4, v2, v1 offset1:16
; %bb.314:
	s_wait_alu 0xfffe
	s_or_b32 exec_lo, exec_lo, s1
	s_delay_alu instid0(SALU_CYCLE_1)
	s_mov_b32 s1, exec_lo
	s_wait_loadcnt_dscnt 0x0
	s_barrier_signal -1
	s_barrier_wait -1
	global_inv scope:SCOPE_SE
	v_cmpx_gt_u32_e32 32, v0
	s_cbranch_execz .LBB261_320
; %bb.315:
	s_and_saveexec_b32 s0, vcc_lo
	s_cbranch_execz .LBB261_317
; %bb.316:
	ds_load_b32 v0, v3
	s_wait_dscnt 0x0
	v_add_f32_e32 v2, v2, v0
.LBB261_317:
	s_wait_alu 0xfffe
	s_or_b32 exec_lo, exec_lo, s0
	s_and_saveexec_b32 s0, vcc_lo
	s_cbranch_execz .LBB261_319
; %bb.318:
	ds_load_b32 v0, v3 offset:64
	s_wait_dscnt 0x0
	v_add_f32_e32 v1, v1, v0
.LBB261_319:
	s_wait_alu 0xfffe
	s_or_b32 exec_lo, exec_lo, s0
.LBB261_320:
	s_wait_alu 0xfffe
	s_or_b32 exec_lo, exec_lo, s1
	s_mov_b32 s1, 0
	s_wait_loadcnt 0x0
	s_barrier_signal -1
	s_barrier_wait -1
	global_inv scope:SCOPE_SE
	s_mov_b32 s0, exec_lo
	v_cmpx_eq_u32_e32 0, v5
	s_cbranch_execz .LBB261_322
; %bb.321:
	s_lshl_b32 s2, s28, 5
	s_wait_kmcnt 0x0
	s_mul_i32 s4, s12, s20
	s_wait_alu 0xfffe
	s_ashr_i32 s3, s2, 31
	s_ashr_i32 s5, s4, 31
	s_wait_alu 0xfffe
	s_lshl_b64 s[2:3], s[2:3], 1
	s_lshl_b64 s[4:5], s[4:5], 1
	s_wait_alu 0xfffe
	s_add_nc_u64 s[2:3], s[8:9], s[2:3]
	v_lshlrev_b32_e32 v0, 1, v11
	s_lshl_b32 s0, s15, 1
	s_wait_alu 0xfffe
	s_add_nc_u64 s[2:3], s[2:3], s[4:5]
	;;#ASMSTART
	v_cvt_f16_f32 v2, v2;

	;;#ASMEND
	s_wait_alu 0xfffe
	s_add_nc_u64 s[0:1], s[2:3], s[0:1]
	global_store_b16 v0, v2, s[0:1]
	;;#ASMSTART
	v_cvt_f16_f32 v1, v1;

	;;#ASMEND
	global_store_b16 v0, v1, s[0:1] offset:32
.LBB261_322:
	s_endpgm
	.section	.rodata,"a",@progbits
	.p2align	6, 0x0
	.amdhsa_kernel _ZN4vllm25paged_attention_v2_kernelIthLi32ELi16ELi128ELNS_18Fp8KVCacheDataTypeE1ELb1ELi512EEEvPfS2_PT_PKS3_PKT0_S9_ifPKiSB_iPKfiiiSD_SD_iiiii
		.amdhsa_group_segment_fixed_size 96
		.amdhsa_private_segment_fixed_size 0
		.amdhsa_kernarg_size 400
		.amdhsa_user_sgpr_count 2
		.amdhsa_user_sgpr_dispatch_ptr 0
		.amdhsa_user_sgpr_queue_ptr 0
		.amdhsa_user_sgpr_kernarg_segment_ptr 1
		.amdhsa_user_sgpr_dispatch_id 0
		.amdhsa_user_sgpr_private_segment_size 0
		.amdhsa_wavefront_size32 1
		.amdhsa_uses_dynamic_stack 0
		.amdhsa_enable_private_segment 0
		.amdhsa_system_sgpr_workgroup_id_x 1
		.amdhsa_system_sgpr_workgroup_id_y 1
		.amdhsa_system_sgpr_workgroup_id_z 1
		.amdhsa_system_sgpr_workgroup_info 0
		.amdhsa_system_vgpr_workitem_id 0
		.amdhsa_next_free_vgpr 53
		.amdhsa_next_free_sgpr 46
		.amdhsa_reserve_vcc 1
		.amdhsa_float_round_mode_32 0
		.amdhsa_float_round_mode_16_64 0
		.amdhsa_float_denorm_mode_32 3
		.amdhsa_float_denorm_mode_16_64 3
		.amdhsa_fp16_overflow 0
		.amdhsa_workgroup_processor_mode 1
		.amdhsa_memory_ordered 1
		.amdhsa_forward_progress 1
		.amdhsa_inst_pref_size 100
		.amdhsa_round_robin_scheduling 0
		.amdhsa_exception_fp_ieee_invalid_op 0
		.amdhsa_exception_fp_denorm_src 0
		.amdhsa_exception_fp_ieee_div_zero 0
		.amdhsa_exception_fp_ieee_overflow 0
		.amdhsa_exception_fp_ieee_underflow 0
		.amdhsa_exception_fp_ieee_inexact 0
		.amdhsa_exception_int_div_zero 0
	.end_amdhsa_kernel
	.section	.text._ZN4vllm25paged_attention_v2_kernelIthLi32ELi16ELi128ELNS_18Fp8KVCacheDataTypeE1ELb1ELi512EEEvPfS2_PT_PKS3_PKT0_S9_ifPKiSB_iPKfiiiSD_SD_iiiii,"axG",@progbits,_ZN4vllm25paged_attention_v2_kernelIthLi32ELi16ELi128ELNS_18Fp8KVCacheDataTypeE1ELb1ELi512EEEvPfS2_PT_PKS3_PKT0_S9_ifPKiSB_iPKfiiiSD_SD_iiiii,comdat
.Lfunc_end261:
	.size	_ZN4vllm25paged_attention_v2_kernelIthLi32ELi16ELi128ELNS_18Fp8KVCacheDataTypeE1ELb1ELi512EEEvPfS2_PT_PKS3_PKT0_S9_ifPKiSB_iPKfiiiSD_SD_iiiii, .Lfunc_end261-_ZN4vllm25paged_attention_v2_kernelIthLi32ELi16ELi128ELNS_18Fp8KVCacheDataTypeE1ELb1ELi512EEEvPfS2_PT_PKS3_PKT0_S9_ifPKiSB_iPKfiiiSD_SD_iiiii
                                        ; -- End function
	.set _ZN4vllm25paged_attention_v2_kernelIthLi32ELi16ELi128ELNS_18Fp8KVCacheDataTypeE1ELb1ELi512EEEvPfS2_PT_PKS3_PKT0_S9_ifPKiSB_iPKfiiiSD_SD_iiiii.num_vgpr, 53
	.set _ZN4vllm25paged_attention_v2_kernelIthLi32ELi16ELi128ELNS_18Fp8KVCacheDataTypeE1ELb1ELi512EEEvPfS2_PT_PKS3_PKT0_S9_ifPKiSB_iPKfiiiSD_SD_iiiii.num_agpr, 0
	.set _ZN4vllm25paged_attention_v2_kernelIthLi32ELi16ELi128ELNS_18Fp8KVCacheDataTypeE1ELb1ELi512EEEvPfS2_PT_PKS3_PKT0_S9_ifPKiSB_iPKfiiiSD_SD_iiiii.numbered_sgpr, 46
	.set _ZN4vllm25paged_attention_v2_kernelIthLi32ELi16ELi128ELNS_18Fp8KVCacheDataTypeE1ELb1ELi512EEEvPfS2_PT_PKS3_PKT0_S9_ifPKiSB_iPKfiiiSD_SD_iiiii.num_named_barrier, 0
	.set _ZN4vllm25paged_attention_v2_kernelIthLi32ELi16ELi128ELNS_18Fp8KVCacheDataTypeE1ELb1ELi512EEEvPfS2_PT_PKS3_PKT0_S9_ifPKiSB_iPKfiiiSD_SD_iiiii.private_seg_size, 0
	.set _ZN4vllm25paged_attention_v2_kernelIthLi32ELi16ELi128ELNS_18Fp8KVCacheDataTypeE1ELb1ELi512EEEvPfS2_PT_PKS3_PKT0_S9_ifPKiSB_iPKfiiiSD_SD_iiiii.uses_vcc, 1
	.set _ZN4vllm25paged_attention_v2_kernelIthLi32ELi16ELi128ELNS_18Fp8KVCacheDataTypeE1ELb1ELi512EEEvPfS2_PT_PKS3_PKT0_S9_ifPKiSB_iPKfiiiSD_SD_iiiii.uses_flat_scratch, 0
	.set _ZN4vllm25paged_attention_v2_kernelIthLi32ELi16ELi128ELNS_18Fp8KVCacheDataTypeE1ELb1ELi512EEEvPfS2_PT_PKS3_PKT0_S9_ifPKiSB_iPKfiiiSD_SD_iiiii.has_dyn_sized_stack, 0
	.set _ZN4vllm25paged_attention_v2_kernelIthLi32ELi16ELi128ELNS_18Fp8KVCacheDataTypeE1ELb1ELi512EEEvPfS2_PT_PKS3_PKT0_S9_ifPKiSB_iPKfiiiSD_SD_iiiii.has_recursion, 0
	.set _ZN4vllm25paged_attention_v2_kernelIthLi32ELi16ELi128ELNS_18Fp8KVCacheDataTypeE1ELb1ELi512EEEvPfS2_PT_PKS3_PKT0_S9_ifPKiSB_iPKfiiiSD_SD_iiiii.has_indirect_call, 0
	.section	.AMDGPU.csdata,"",@progbits
; Kernel info:
; codeLenInByte = 12696
; TotalNumSgprs: 48
; NumVgprs: 53
; ScratchSize: 0
; MemoryBound: 0
; FloatMode: 240
; IeeeMode: 1
; LDSByteSize: 96 bytes/workgroup (compile time only)
; SGPRBlocks: 0
; VGPRBlocks: 6
; NumSGPRsForWavesPerEU: 48
; NumVGPRsForWavesPerEU: 53
; Occupancy: 16
; WaveLimiterHint : 1
; COMPUTE_PGM_RSRC2:SCRATCH_EN: 0
; COMPUTE_PGM_RSRC2:USER_SGPR: 2
; COMPUTE_PGM_RSRC2:TRAP_HANDLER: 0
; COMPUTE_PGM_RSRC2:TGID_X_EN: 1
; COMPUTE_PGM_RSRC2:TGID_Y_EN: 1
; COMPUTE_PGM_RSRC2:TGID_Z_EN: 1
; COMPUTE_PGM_RSRC2:TIDIG_COMP_CNT: 0
	.section	.text._ZN4vllm25paged_attention_v2_kernelIthLi64ELi16ELi128ELNS_18Fp8KVCacheDataTypeE1ELb1ELi512EEEvPfS2_PT_PKS3_PKT0_S9_ifPKiSB_iPKfiiiSD_SD_iiiii,"axG",@progbits,_ZN4vllm25paged_attention_v2_kernelIthLi64ELi16ELi128ELNS_18Fp8KVCacheDataTypeE1ELb1ELi512EEEvPfS2_PT_PKS3_PKT0_S9_ifPKiSB_iPKfiiiSD_SD_iiiii,comdat
	.protected	_ZN4vllm25paged_attention_v2_kernelIthLi64ELi16ELi128ELNS_18Fp8KVCacheDataTypeE1ELb1ELi512EEEvPfS2_PT_PKS3_PKT0_S9_ifPKiSB_iPKfiiiSD_SD_iiiii ; -- Begin function _ZN4vllm25paged_attention_v2_kernelIthLi64ELi16ELi128ELNS_18Fp8KVCacheDataTypeE1ELb1ELi512EEEvPfS2_PT_PKS3_PKT0_S9_ifPKiSB_iPKfiiiSD_SD_iiiii
	.globl	_ZN4vllm25paged_attention_v2_kernelIthLi64ELi16ELi128ELNS_18Fp8KVCacheDataTypeE1ELb1ELi512EEEvPfS2_PT_PKS3_PKT0_S9_ifPKiSB_iPKfiiiSD_SD_iiiii
	.p2align	8
	.type	_ZN4vllm25paged_attention_v2_kernelIthLi64ELi16ELi128ELNS_18Fp8KVCacheDataTypeE1ELb1ELi512EEEvPfS2_PT_PKS3_PKT0_S9_ifPKiSB_iPKfiiiSD_SD_iiiii,@function
_ZN4vllm25paged_attention_v2_kernelIthLi64ELi16ELi128ELNS_18Fp8KVCacheDataTypeE1ELb1ELi512EEEvPfS2_PT_PKS3_PKT0_S9_ifPKiSB_iPKfiiiSD_SD_iiiii: ; @_ZN4vllm25paged_attention_v2_kernelIthLi64ELi16ELi128ELNS_18Fp8KVCacheDataTypeE1ELb1ELi512EEEvPfS2_PT_PKS3_PKT0_S9_ifPKiSB_iPKfiiiSD_SD_iiiii
; %bb.0:
	s_load_b64 s[2:3], s[0:1], 0x40
	s_and_b32 s28, ttmp7, 0xffff
	s_lshr_b32 s33, ttmp7, 16
	s_lshl_b32 s4, s28, 2
	s_lshl_b32 s35, s33, 9
	s_wait_kmcnt 0x0
	s_load_b32 s34, s[2:3], s4 offset:0x0
	s_wait_kmcnt 0x0
	s_cmp_ge_i32 s35, s34
	s_cbranch_scc1 .LBB262_584
; %bb.1:
	s_clause 0x1
	s_load_b32 s29, s[0:1], 0x90
	s_load_b64 s[6:7], s[0:1], 0x30
	s_wait_kmcnt 0x0
	s_abs_i32 s5, s29
	s_abs_i32 s2, s6
	s_delay_alu instid0(SALU_CYCLE_1) | instskip(SKIP_1) | instid1(SALU_CYCLE_2)
	s_cvt_f32_u32 s3, s2
	s_sub_co_i32 s4, 0, s2
	v_rcp_iflag_f32_e32 v1, s3
	s_delay_alu instid0(TRANS32_DEP_1) | instskip(SKIP_2) | instid1(SALU_CYCLE_2)
	v_readfirstlane_b32 s3, v1
	s_mul_f32 s3, s3, 0x4f7ffffe
	s_wait_alu 0xfffe
	s_cvt_u32_f32 s3, s3
	s_wait_alu 0xfffe
	s_delay_alu instid0(SALU_CYCLE_2) | instskip(NEXT) | instid1(SALU_CYCLE_1)
	s_mul_i32 s4, s4, s3
	s_mul_hi_u32 s4, s3, s4
	s_delay_alu instid0(SALU_CYCLE_1)
	s_add_co_i32 s3, s3, s4
	s_xor_b32 s4, s29, s6
	s_wait_alu 0xfffe
	s_mul_hi_u32 s3, s5, s3
	s_ashr_i32 s4, s4, 31
	s_wait_alu 0xfffe
	s_mul_i32 s8, s3, s2
	s_delay_alu instid0(SALU_CYCLE_1)
	s_sub_co_i32 s5, s5, s8
	s_add_co_i32 s8, s3, 1
	s_sub_co_i32 s9, s5, s2
	s_cmp_ge_u32 s5, s2
	s_cselect_b32 s3, s8, s3
	s_cselect_b32 s5, s9, s5
	s_wait_alu 0xfffe
	s_add_co_i32 s8, s3, 1
	s_cmp_ge_u32 s5, s2
	s_cselect_b32 s2, s8, s3
	s_load_b64 s[8:9], s[0:1], 0x50
	s_xor_b32 s2, s2, s4
	s_mov_b32 s3, 0
	s_wait_alu 0xfffe
	s_sub_co_i32 s11, s2, s4
	s_mov_b32 s30, s3
	s_abs_i32 s10, s11
	s_delay_alu instid0(SALU_CYCLE_1) | instskip(SKIP_1) | instid1(SALU_CYCLE_2)
	s_cvt_f32_u32 s2, s10
	s_wait_alu 0xfffe
	v_rcp_iflag_f32_e32 v1, s2
	s_delay_alu instid0(TRANS32_DEP_1) | instskip(SKIP_2) | instid1(SALU_CYCLE_2)
	v_readfirstlane_b32 s2, v1
	s_mul_f32 s2, s2, 0x4f7ffffe
	s_wait_alu 0xfffe
	s_cvt_u32_f32 s4, s2
	s_sub_co_i32 s2, 0, s10
	s_wait_alu 0xfffe
	s_delay_alu instid0(SALU_CYCLE_1)
	s_mul_i32 s2, s2, s4
	s_wait_alu 0xfffe
	s_mul_hi_u32 s5, s4, s2
	s_abs_i32 s2, ttmp9
	s_add_co_i32 s4, s4, s5
	s_mov_b32 s5, s3
	s_wait_kmcnt 0x0
	s_cmp_eq_u64 s[8:9], 0
	s_cbranch_scc1 .LBB262_3
; %bb.2:
	s_mov_b32 s12, ttmp9
	s_ashr_i32 s13, ttmp9, 31
	s_delay_alu instid0(SALU_CYCLE_1) | instskip(NEXT) | instid1(SALU_CYCLE_1)
	s_lshl_b64 s[12:13], s[12:13], 2
	s_add_nc_u64 s[8:9], s[8:9], s[12:13]
	s_load_b32 s30, s[8:9], 0x0
.LBB262_3:
	s_load_b96 s[16:18], s[0:1], 0x58
	v_lshrrev_b32_e32 v11, 1, v0
	v_and_b32_e32 v12, 1, v0
	v_lshlrev_b32_e32 v10, 3, v0
	s_mul_u64 s[4:5], s[2:3], s[4:5]
	s_ashr_i32 s3, ttmp9, 31
	s_ashr_i32 s4, s11, 31
	s_lshl_b32 s20, ttmp9, 6
	s_mov_b32 s8, exec_lo
	v_cmpx_gt_u32_e32 16, v0
	s_cbranch_execz .LBB262_5
; %bb.4:
	s_load_b64 s[12:13], s[0:1], 0x18
	s_wait_kmcnt 0x0
	s_mul_i32 s14, s16, s28
	s_ashr_i32 s21, s20, 31
	s_ashr_i32 s15, s14, 31
	v_lshlrev_b32_e32 v3, 3, v11
	s_lshl_b64 s[14:15], s[14:15], 1
	s_delay_alu instid0(VALU_DEP_1) | instskip(SKIP_2) | instid1(SALU_CYCLE_1)
	v_lshl_add_u32 v3, v12, 6, v3
	s_add_nc_u64 s[12:13], s[12:13], s[14:15]
	s_lshl_b64 s[14:15], s[20:21], 1
	s_add_nc_u64 s[12:13], s[12:13], s[14:15]
	global_load_b64 v[1:2], v10, s[12:13]
	s_wait_loadcnt 0x0
	ds_store_b64 v3, v[1:2]
.LBB262_5:
	s_or_b32 exec_lo, exec_lo, s8
	s_load_b128 s[12:15], s[0:1], 0x78
	s_mul_i32 s8, s5, s10
	s_xor_b32 s3, s3, s4
	s_sub_co_i32 s2, s2, s8
	s_add_co_i32 s4, s5, 1
	s_wait_alu 0xfffe
	s_sub_co_i32 s8, s2, s10
	s_cmp_ge_u32 s2, s10
                                        ; implicit-def: $sgpr21
	s_cselect_b32 s4, s4, s5
	s_cselect_b32 s2, s8, s2
	s_add_co_i32 s5, s4, 1
	s_wait_alu 0xfffe
	s_cmp_ge_u32 s2, s10
	s_load_b32 s8, s[0:1], 0x88
	s_cselect_b32 s2, s5, s4
	s_add_co_i32 s9, s34, -1
	s_wait_alu 0xfffe
	s_xor_b32 s2, s2, s3
	s_mov_b32 s10, -1
	s_wait_alu 0xfffe
	s_sub_co_i32 s19, s2, s3
	s_wait_dscnt 0x0
	s_barrier_signal -1
	s_wait_kmcnt 0x0
	s_abs_i32 s16, s15
	s_barrier_wait -1
	s_cvt_f32_u32 s4, s16
	global_inv scope:SCOPE_SE
	v_rcp_iflag_f32_e32 v1, s4
	s_delay_alu instid0(TRANS32_DEP_1) | instskip(SKIP_2) | instid1(SALU_CYCLE_2)
	v_readfirstlane_b32 s4, v1
	s_mul_f32 s2, s4, 0x4f7ffffe
	s_wait_alu 0xfffe
	s_cvt_u32_f32 s4, s2
	s_sub_co_i32 s2, 0, s16
	s_wait_alu 0xfffe
	s_delay_alu instid0(SALU_CYCLE_1)
	s_mul_i32 s3, s2, s4
	s_abs_i32 s2, s9
	s_wait_alu 0xfffe
	s_mul_hi_u32 s5, s4, s3
	s_mov_b32 s3, 0
	s_wait_alu 0xfffe
	s_add_co_i32 s22, s4, s5
	s_cmp_lt_i32 s8, 0
	s_mov_b32 s23, s3
	s_cbranch_scc0 .LBB262_7
; %bb.6:
	s_mul_i32 s4, s12, s6
	s_mov_b32 s10, s3
	s_wait_alu 0xfffe
	s_add_co_i32 s4, s19, s4
	s_wait_alu 0xfffe
	s_mul_i32 s4, s4, s8
	s_wait_alu 0xfffe
	s_sub_co_i32 s21, 1, s4
.LBB262_7:
	s_mul_u64 s[4:5], s[2:3], s[22:23]
	s_ashr_i32 s3, s9, 31
	s_and_not1_b32 vcc_lo, exec_lo, s10
	s_ashr_i32 s15, s15, 31
	s_cbranch_vccnz .LBB262_9
; %bb.8:
	s_mul_i32 s4, s29, s12
	s_wait_alu 0xfffe
	s_add_co_i32 s4, s4, ttmp9
	s_wait_alu 0xfffe
	s_mul_i32 s4, s4, s8
	s_wait_alu 0xfffe
	s_add_co_i32 s21, s4, 1
.LBB262_9:
	s_clause 0x3
	s_load_b32 s4, s[0:1], 0x48
	s_load_b64 s[24:25], s[0:1], 0x38
	s_load_b32 s12, s[0:1], 0x98
	s_load_b128 s[8:11], s[0:1], 0x68
	s_mul_i32 s6, s5, s16
	s_xor_b32 s3, s3, s15
	s_sub_co_i32 s2, s2, s6
	s_add_co_i32 s23, s5, 1
	v_lshrrev_b32_e32 v13, 5, v0
	v_mbcnt_lo_u32_b32 v18, -1, 0
	s_mul_i32 s18, s19, s18
	s_delay_alu instid0(VALU_DEP_2)
	v_lshl_add_u32 v14, v13, 4, s35
	s_wait_kmcnt 0x0
	s_mul_i32 s26, s4, s28
	s_wait_alu 0xfffe
	s_sub_co_i32 s4, s2, s16
	s_ashr_i32 s27, s26, 31
	s_cmp_ge_u32 s2, s16
	s_cselect_b32 s5, s23, s5
	s_wait_alu 0xfffe
	s_cselect_b32 s2, s4, s2
	s_add_co_i32 s4, s5, 1
	s_wait_alu 0xfffe
	s_cmp_ge_u32 s2, s16
	s_cselect_b32 s2, s4, s5
	s_add_co_i32 s4, s34, 15
	s_lshl_b32 s38, s33, 5
	s_wait_alu 0xfffe
	s_ashr_i32 s5, s4, 31
	v_or_b32_e32 v15, s38, v13
	s_wait_alu 0xfffe
	s_lshr_b32 s5, s5, 28
	v_mov_b32_e32 v19, 0xff7fffff
	s_wait_alu 0xfffe
	s_add_co_i32 s4, s4, s5
	s_add_co_i32 s5, s38, 32
	s_wait_alu 0xfffe
	s_ashr_i32 s36, s4, 4
	s_xor_b32 s4, s2, s3
	s_min_i32 s23, s5, s36
	v_lshlrev_b32_e32 v16, 2, v15
	v_cmp_gt_i32_e64 s2, s23, v15
	s_wait_alu 0xfffe
	s_sub_co_i32 s37, s4, s3
	s_and_saveexec_b32 s6, s2
	s_cbranch_execz .LBB262_277
; %bb.10:
	s_sub_co_i32 s31, s37, s13
	s_ashr_i32 s19, s18, 31
	s_cmp_neq_f32 s30, 0
	s_load_b64 s[4:5], s[0:1], 0x20
	v_bfe_u32 v17, v0, 1, 4
	v_dual_mov_b32 v2, 0 :: v_dual_lshlrev_b32 v3, 2, v12
	s_cselect_b32 vcc_lo, -1, 0
	s_abs_i32 s39, s14
	s_delay_alu instid0(VALU_DEP_2)
	v_dual_mov_b32 v25, v15 :: v_dual_lshlrev_b32 v4, 4, v17
	s_wait_alu 0xfffe
	s_cvt_f32_u32 s3, s39
	v_dual_mov_b32 v24, 0xff7fffff :: v_dual_lshlrev_b32 v5, 2, v17
	s_lshl_b64 s[42:43], s[26:27], 2
	s_wait_alu 0xfffe
	v_rcp_iflag_f32_e32 v1, s3
	v_subrev_nc_u32_e32 v7, s34, v17
	s_add_nc_u64 s[42:43], s[24:25], s[42:43]
	s_sub_co_i32 s44, 0, s39
	v_cmp_eq_u32_e64 s3, 0, v12
	v_dual_mov_b32 v19, 0xff7fffff :: v_dual_lshlrev_b32 v20, 6, v12
	v_lshl_add_u32 v21, v13, 4, s35
	s_wait_kmcnt 0x0
	s_add_nc_u64 s[4:5], s[4:5], s[18:19]
	v_add_nc_u32_e32 v22, 1, v7
	v_readfirstlane_b32 s41, v1
	s_wait_alu 0xfffe
	v_add_co_u32 v4, s4, s4, v4
	v_lshl_or_b32 v1, v13, 6, v5
	s_wait_alu 0xf1ff
	v_add_co_ci_u32_e64 v5, null, s5, 0, s4
	s_mul_f32 s19, s41, 0x4f7ffffe
	v_add_co_u32 v3, s4, v4, v3
	s_wait_alu 0xf1ff
	v_add_co_ci_u32_e64 v4, null, 0, v5, s4
	s_cvt_u32_f32 s5, s19
	v_add_co_u32 v5, s4, s42, v16
	s_wait_alu 0xf1ff
	v_add_co_ci_u32_e64 v6, null, s43, 0, s4
	s_wait_alu 0xfffe
	s_mul_i32 s44, s44, s5
	v_add_nc_u32_e32 v23, 0xa0, v1
	s_mul_hi_u32 s4, s5, s44
	s_mov_b32 s40, 0
	s_mov_b32 s19, s17
	s_wait_alu 0xfffe
	s_add_co_i32 s41, s5, s4
	s_branch .LBB262_13
.LBB262_11:                             ;   in Loop: Header=BB262_13 Depth=1
	s_wait_alu 0xfffe
	s_or_b32 exec_lo, exec_lo, s42
.LBB262_12:                             ;   in Loop: Header=BB262_13 Depth=1
	s_wait_alu 0xfffe
	s_or_b32 exec_lo, exec_lo, s5
	v_add_nc_u32_e32 v25, 4, v25
	v_add_co_u32 v5, s5, v5, 16
	s_wait_alu 0xf1ff
	v_add_co_ci_u32_e64 v6, null, 0, v6, s5
	s_delay_alu instid0(VALU_DEP_3)
	v_cmp_le_i32_e64 s4, s23, v25
	v_add_nc_u32_e32 v21, 64, v21
	v_add_nc_u32_e32 v23, 0x100, v23
	s_or_b32 s40, s4, s40
	s_wait_alu 0xfffe
	s_and_not1_b32 exec_lo, exec_lo, s40
	s_cbranch_execz .LBB262_276
.LBB262_13:                             ; =>This Inner Loop Header: Depth=1
	v_sub_nc_u32_e32 v1, 0, v21
	s_delay_alu instid0(VALU_DEP_1) | instskip(SKIP_1) | instid1(VALU_DEP_1)
	v_max_i32_e32 v1, v21, v1
	s_wait_dscnt 0x0
	v_mul_hi_u32 v7, v1, s22
	s_delay_alu instid0(VALU_DEP_1) | instskip(NEXT) | instid1(VALU_DEP_1)
	v_mul_lo_u32 v8, v7, s16
	v_sub_nc_u32_e32 v1, v1, v8
	v_add_nc_u32_e32 v8, 1, v7
	s_delay_alu instid0(VALU_DEP_2) | instskip(SKIP_2) | instid1(VALU_DEP_1)
	v_subrev_nc_u32_e32 v9, s16, v1
	v_cmp_le_u32_e64 s4, s16, v1
	s_wait_alu 0xf1ff
	v_cndmask_b32_e64 v7, v7, v8, s4
	s_delay_alu instid0(VALU_DEP_3) | instskip(SKIP_1) | instid1(VALU_DEP_3)
	v_cndmask_b32_e64 v1, v1, v9, s4
	v_ashrrev_i32_e32 v8, 31, v21
	v_add_nc_u32_e32 v9, 1, v7
	s_delay_alu instid0(VALU_DEP_3) | instskip(NEXT) | instid1(VALU_DEP_3)
	v_cmp_le_u32_e64 s4, s16, v1
	v_xor_b32_e32 v8, s15, v8
	s_wait_alu 0xf1ff
	s_delay_alu instid0(VALU_DEP_2) | instskip(NEXT) | instid1(VALU_DEP_1)
	v_cndmask_b32_e64 v1, v7, v9, s4
	v_xor_b32_e32 v1, v1, v8
	s_delay_alu instid0(VALU_DEP_1) | instskip(NEXT) | instid1(VALU_DEP_1)
	v_sub_nc_u32_e32 v1, v1, v8
	v_add_nc_u32_e32 v7, s21, v1
	v_cmp_ge_i32_e64 s5, s31, v1
	s_delay_alu instid0(VALU_DEP_2) | instskip(NEXT) | instid1(VALU_DEP_1)
	v_sub_nc_u32_e32 v8, 0, v7
	v_max_i32_e32 v8, v7, v8
	v_ashrrev_i32_e32 v7, 31, v7
	s_delay_alu instid0(VALU_DEP_2) | instskip(NEXT) | instid1(VALU_DEP_1)
	v_mul_hi_u32 v9, v8, s41
	v_mul_lo_u32 v9, v9, s39
	s_delay_alu instid0(VALU_DEP_1) | instskip(NEXT) | instid1(VALU_DEP_1)
	v_sub_nc_u32_e32 v8, v8, v9
	v_subrev_nc_u32_e32 v9, s39, v8
	v_cmp_le_u32_e64 s4, s39, v8
	s_wait_alu 0xf1ff
	s_delay_alu instid0(VALU_DEP_1) | instskip(NEXT) | instid1(VALU_DEP_1)
	v_cndmask_b32_e64 v8, v8, v9, s4
	v_subrev_nc_u32_e32 v9, s39, v8
	v_cmp_le_u32_e64 s4, s39, v8
	s_wait_alu 0xf1ff
	s_delay_alu instid0(VALU_DEP_1) | instskip(NEXT) | instid1(VALU_DEP_1)
	v_cndmask_b32_e64 v8, v8, v9, s4
	v_xor_b32_e32 v8, v8, v7
	s_delay_alu instid0(VALU_DEP_1) | instskip(NEXT) | instid1(VALU_DEP_1)
	v_sub_nc_u32_e32 v7, v8, v7
	v_cmp_ne_u32_e64 s4, 0, v7
	s_and_b32 s4, s4, s5
	s_wait_alu 0xfffe
	s_and_saveexec_b32 s5, s4
	s_wait_alu 0xfffe
	s_xor_b32 s4, exec_lo, s5
	s_cbranch_execz .LBB262_17
; %bb.14:                               ;   in Loop: Header=BB262_13 Depth=1
	s_and_saveexec_b32 s5, s3
; %bb.15:                               ;   in Loop: Header=BB262_13 Depth=1
	ds_store_b32 v23, v24
; %bb.16:                               ;   in Loop: Header=BB262_13 Depth=1
	s_wait_alu 0xfffe
	s_or_b32 exec_lo, exec_lo, s5
.LBB262_17:                             ;   in Loop: Header=BB262_13 Depth=1
	s_wait_alu 0xfffe
	s_and_not1_saveexec_b32 s5, s4
	s_cbranch_execz .LBB262_12
; %bb.18:                               ;   in Loop: Header=BB262_13 Depth=1
	global_load_b32 v1, v[5:6], off
	v_dual_mov_b32 v27, 0 :: v_dual_mov_b32 v28, 0
	s_mov_b32 s42, exec_lo
	global_load_b32 v26, v27, s[8:9]
	s_wait_loadcnt 0x1
	v_mad_co_i64_i32 v[7:8], null, v1, s19, v[3:4]
	global_load_b32 v9, v[7:8], off
	s_wait_loadcnt 0x0
	v_and_b32_e32 v1, 0xff, v9
	s_delay_alu instid0(VALU_DEP_1)
	v_cmpx_ne_u16_e32 0, v1
	s_cbranch_execz .LBB262_26
; %bb.19:                               ;   in Loop: Header=BB262_13 Depth=1
	v_mov_b32_e32 v28, 0x8000
	s_mov_b32 s43, exec_lo
	v_cmpx_ne_u16_e32 0x80, v1
	s_cbranch_execz .LBB262_25
; %bb.20:                               ;   in Loop: Header=BB262_13 Depth=1
	v_and_b32_e32 v29, 0x7f, v9
	v_mov_b32_e32 v28, 0x7c01
	s_mov_b32 s44, exec_lo
	s_delay_alu instid0(VALU_DEP_2)
	v_cmpx_ne_u32_e32 0x7f, v29
	s_cbranch_execz .LBB262_24
; %bb.21:                               ;   in Loop: Header=BB262_13 Depth=1
	v_and_b32_e32 v1, 7, v9
	v_lshrrev_b32_e32 v28, 3, v29
	s_mov_b32 s45, exec_lo
	v_cmpx_gt_u32_e32 8, v29
; %bb.22:                               ;   in Loop: Header=BB262_13 Depth=1
	s_delay_alu instid0(VALU_DEP_3) | instskip(NEXT) | instid1(VALU_DEP_1)
	v_clz_i32_u32_e32 v1, v1
	v_min_u32_e32 v1, 32, v1
	s_delay_alu instid0(VALU_DEP_1) | instskip(NEXT) | instid1(VALU_DEP_1)
	v_subrev_nc_u32_e32 v28, 28, v1
	v_lshlrev_b64_e32 v[29:30], v28, v[9:10]
	v_sub_nc_u32_e32 v28, 29, v1
	s_delay_alu instid0(VALU_DEP_2)
	v_and_b32_e32 v1, 7, v29
; %bb.23:                               ;   in Loop: Header=BB262_13 Depth=1
	s_or_b32 exec_lo, exec_lo, s45
	v_lshlrev_b32_e32 v29, 8, v9
	s_delay_alu instid0(VALU_DEP_3) | instskip(NEXT) | instid1(VALU_DEP_3)
	v_lshl_add_u32 v28, v28, 10, 0x2000
	v_lshlrev_b32_e32 v1, 7, v1
	s_delay_alu instid0(VALU_DEP_3) | instskip(NEXT) | instid1(VALU_DEP_3)
	v_and_b32_e32 v29, 0x8000, v29
	v_and_b32_e32 v28, 0xfc00, v28
	s_delay_alu instid0(VALU_DEP_1)
	v_or3_b32 v28, v29, v28, v1
.LBB262_24:                             ;   in Loop: Header=BB262_13 Depth=1
	s_or_b32 exec_lo, exec_lo, s44
.LBB262_25:                             ;   in Loop: Header=BB262_13 Depth=1
	s_wait_alu 0xfffe
	s_or_b32 exec_lo, exec_lo, s43
.LBB262_26:                             ;   in Loop: Header=BB262_13 Depth=1
	s_wait_alu 0xfffe
	s_or_b32 exec_lo, exec_lo, s42
	v_lshrrev_b16 v1, 8, v9
	s_mov_b32 s42, exec_lo
	s_delay_alu instid0(VALU_DEP_1)
	v_cmpx_ne_u16_e32 0, v1
	s_cbranch_execz .LBB262_34
; %bb.27:                               ;   in Loop: Header=BB262_13 Depth=1
	v_bfrev_b32_e32 v27, 1
	s_mov_b32 s43, exec_lo
	v_cmpx_ne_u16_e32 0x80, v1
	s_cbranch_execz .LBB262_33
; %bb.28:                               ;   in Loop: Header=BB262_13 Depth=1
	v_and_b32_e32 v29, 0xffff, v1
	v_mov_b32_e32 v27, 0x7c010000
	s_mov_b32 s44, exec_lo
	s_delay_alu instid0(VALU_DEP_2) | instskip(NEXT) | instid1(VALU_DEP_1)
	v_and_b32_e32 v31, 0x7f, v29
	v_cmpx_ne_u32_e32 0x7f, v31
	s_cbranch_execz .LBB262_32
; %bb.29:                               ;   in Loop: Header=BB262_13 Depth=1
	v_and_b32_e32 v27, 7, v29
	v_lshrrev_b32_e32 v30, 3, v31
	s_mov_b32 s45, exec_lo
	v_cmpx_gt_u32_e32 8, v31
; %bb.30:                               ;   in Loop: Header=BB262_13 Depth=1
	s_delay_alu instid0(VALU_DEP_3) | instskip(NEXT) | instid1(VALU_DEP_1)
	v_clz_i32_u32_e32 v27, v27
	v_min_u32_e32 v27, 32, v27
	s_delay_alu instid0(VALU_DEP_1) | instskip(NEXT) | instid1(VALU_DEP_1)
	v_subrev_nc_u32_e32 v30, 28, v27
	v_lshlrev_b64_e32 v[31:32], v30, v[1:2]
	v_sub_nc_u32_e32 v30, 29, v27
	s_delay_alu instid0(VALU_DEP_2)
	v_and_b32_e32 v27, 7, v31
; %bb.31:                               ;   in Loop: Header=BB262_13 Depth=1
	s_or_b32 exec_lo, exec_lo, s45
	v_lshlrev_b32_e32 v1, 8, v29
	s_delay_alu instid0(VALU_DEP_3) | instskip(NEXT) | instid1(VALU_DEP_3)
	v_lshl_add_u32 v29, v30, 10, 0x2000
	v_lshlrev_b32_e32 v27, 23, v27
	s_delay_alu instid0(VALU_DEP_2) | instskip(NEXT) | instid1(VALU_DEP_1)
	v_and_or_b32 v1, 0x8000, v1, v29
	v_lshl_or_b32 v27, v1, 16, v27
.LBB262_32:                             ;   in Loop: Header=BB262_13 Depth=1
	s_or_b32 exec_lo, exec_lo, s44
.LBB262_33:                             ;   in Loop: Header=BB262_13 Depth=1
	s_wait_alu 0xfffe
	s_or_b32 exec_lo, exec_lo, s43
.LBB262_34:                             ;   in Loop: Header=BB262_13 Depth=1
	s_wait_alu 0xfffe
	s_or_b32 exec_lo, exec_lo, s42
	v_lshrrev_b32_e32 v1, 16, v9
	v_mov_b32_e32 v29, 0
	s_mov_b32 s42, exec_lo
	s_delay_alu instid0(VALU_DEP_2) | instskip(NEXT) | instid1(VALU_DEP_1)
	v_dual_mov_b32 v30, 0 :: v_dual_and_b32 v31, 0xff, v1
	v_cmpx_ne_u16_e32 0, v31
	s_cbranch_execz .LBB262_42
; %bb.35:                               ;   in Loop: Header=BB262_13 Depth=1
	v_mov_b32_e32 v30, 0x8000
	s_mov_b32 s43, exec_lo
	v_cmpx_ne_u16_e32 0x80, v31
	s_cbranch_execz .LBB262_41
; %bb.36:                               ;   in Loop: Header=BB262_13 Depth=1
	v_bfe_u32 v32, v9, 16, 7
	v_mov_b32_e32 v30, 0x7c01
	s_mov_b32 s44, exec_lo
	s_delay_alu instid0(VALU_DEP_2)
	v_cmpx_ne_u32_e32 0x7f, v32
	s_cbranch_execz .LBB262_40
; %bb.37:                               ;   in Loop: Header=BB262_13 Depth=1
	v_and_b32_e32 v30, 7, v1
	v_lshrrev_b32_e32 v31, 3, v32
	s_mov_b32 s45, exec_lo
	v_cmpx_gt_u32_e32 8, v32
; %bb.38:                               ;   in Loop: Header=BB262_13 Depth=1
	s_delay_alu instid0(VALU_DEP_3) | instskip(NEXT) | instid1(VALU_DEP_1)
	v_clz_i32_u32_e32 v30, v30
	v_min_u32_e32 v32, 32, v30
	s_delay_alu instid0(VALU_DEP_1) | instskip(NEXT) | instid1(VALU_DEP_1)
	v_subrev_nc_u32_e32 v30, 28, v32
	v_lshlrev_b64_e32 v[30:31], v30, v[1:2]
	v_sub_nc_u32_e32 v31, 29, v32
	s_delay_alu instid0(VALU_DEP_2)
	v_and_b32_e32 v30, 7, v30
; %bb.39:                               ;   in Loop: Header=BB262_13 Depth=1
	s_or_b32 exec_lo, exec_lo, s45
	v_lshlrev_b32_e32 v1, 8, v1
	s_delay_alu instid0(VALU_DEP_3) | instskip(NEXT) | instid1(VALU_DEP_3)
	v_lshl_add_u32 v31, v31, 10, 0x2000
	v_lshlrev_b32_e32 v30, 7, v30
	s_delay_alu instid0(VALU_DEP_3) | instskip(NEXT) | instid1(VALU_DEP_3)
	v_and_b32_e32 v1, 0x8000, v1
	v_and_b32_e32 v31, 0xfc00, v31
	s_delay_alu instid0(VALU_DEP_1)
	v_or3_b32 v30, v1, v31, v30
.LBB262_40:                             ;   in Loop: Header=BB262_13 Depth=1
	s_or_b32 exec_lo, exec_lo, s44
.LBB262_41:                             ;   in Loop: Header=BB262_13 Depth=1
	s_wait_alu 0xfffe
	s_or_b32 exec_lo, exec_lo, s43
.LBB262_42:                             ;   in Loop: Header=BB262_13 Depth=1
	s_wait_alu 0xfffe
	s_or_b32 exec_lo, exec_lo, s42
	s_delay_alu instid0(SALU_CYCLE_1)
	s_mov_b32 s42, exec_lo
	v_cmpx_lt_u32_e32 0xffffff, v9
	s_cbranch_execz .LBB262_50
; %bb.43:                               ;   in Loop: Header=BB262_13 Depth=1
	v_lshrrev_b32_e32 v1, 24, v9
	v_bfrev_b32_e32 v29, 1
	s_mov_b32 s43, exec_lo
	s_delay_alu instid0(VALU_DEP_2)
	v_cmpx_ne_u32_e32 0x80, v1
	s_cbranch_execz .LBB262_49
; %bb.44:                               ;   in Loop: Header=BB262_13 Depth=1
	v_and_b32_e32 v31, 0x7f, v1
	v_mov_b32_e32 v29, 0x7c010000
	s_mov_b32 s44, exec_lo
	s_delay_alu instid0(VALU_DEP_2)
	v_cmpx_ne_u32_e32 0x7f, v31
	s_cbranch_execz .LBB262_48
; %bb.45:                               ;   in Loop: Header=BB262_13 Depth=1
	v_and_b32_e32 v9, 7, v1
	v_lshrrev_b32_e32 v29, 3, v31
	s_mov_b32 s45, exec_lo
	v_cmpx_gt_u32_e32 8, v31
; %bb.46:                               ;   in Loop: Header=BB262_13 Depth=1
	s_delay_alu instid0(VALU_DEP_3) | instskip(NEXT) | instid1(VALU_DEP_1)
	v_clz_i32_u32_e32 v9, v9
	v_min_u32_e32 v9, 32, v9
	s_delay_alu instid0(VALU_DEP_1) | instskip(NEXT) | instid1(VALU_DEP_1)
	v_subrev_nc_u32_e32 v29, 28, v9
	v_lshlrev_b64_e32 v[31:32], v29, v[1:2]
	v_sub_nc_u32_e32 v29, 29, v9
	s_delay_alu instid0(VALU_DEP_2)
	v_and_b32_e32 v9, 7, v31
; %bb.47:                               ;   in Loop: Header=BB262_13 Depth=1
	s_or_b32 exec_lo, exec_lo, s45
	v_lshlrev_b32_e32 v1, 8, v1
	s_delay_alu instid0(VALU_DEP_3) | instskip(NEXT) | instid1(VALU_DEP_3)
	v_lshl_add_u32 v29, v29, 10, 0x2000
	v_lshlrev_b32_e32 v9, 23, v9
	s_delay_alu instid0(VALU_DEP_2) | instskip(NEXT) | instid1(VALU_DEP_1)
	v_and_or_b32 v1, 0x8000, v1, v29
	v_lshl_or_b32 v29, v1, 16, v9
.LBB262_48:                             ;   in Loop: Header=BB262_13 Depth=1
	s_or_b32 exec_lo, exec_lo, s44
.LBB262_49:                             ;   in Loop: Header=BB262_13 Depth=1
	s_wait_alu 0xfffe
	s_or_b32 exec_lo, exec_lo, s43
.LBB262_50:                             ;   in Loop: Header=BB262_13 Depth=1
	s_wait_alu 0xfffe
	s_or_b32 exec_lo, exec_lo, s42
	global_load_b32 v9, v[7:8], off offset:8
	v_mov_b32_e32 v31, 0
	s_mov_b32 s42, exec_lo
	s_wait_loadcnt 0x0
	v_dual_mov_b32 v32, 0 :: v_dual_and_b32 v1, 0xff, v9
	s_delay_alu instid0(VALU_DEP_1)
	v_cmpx_ne_u16_e32 0, v1
	s_cbranch_execz .LBB262_58
; %bb.51:                               ;   in Loop: Header=BB262_13 Depth=1
	v_mov_b32_e32 v32, 0x8000
	s_mov_b32 s43, exec_lo
	v_cmpx_ne_u16_e32 0x80, v1
	s_cbranch_execz .LBB262_57
; %bb.52:                               ;   in Loop: Header=BB262_13 Depth=1
	v_and_b32_e32 v33, 0x7f, v9
	v_mov_b32_e32 v32, 0x7c01
	s_mov_b32 s44, exec_lo
	s_delay_alu instid0(VALU_DEP_2)
	v_cmpx_ne_u32_e32 0x7f, v33
	s_cbranch_execz .LBB262_56
; %bb.53:                               ;   in Loop: Header=BB262_13 Depth=1
	v_and_b32_e32 v1, 7, v9
	v_lshrrev_b32_e32 v32, 3, v33
	s_mov_b32 s45, exec_lo
	v_cmpx_gt_u32_e32 8, v33
; %bb.54:                               ;   in Loop: Header=BB262_13 Depth=1
	s_delay_alu instid0(VALU_DEP_3) | instskip(NEXT) | instid1(VALU_DEP_1)
	v_clz_i32_u32_e32 v1, v1
	v_min_u32_e32 v1, 32, v1
	s_delay_alu instid0(VALU_DEP_1) | instskip(NEXT) | instid1(VALU_DEP_1)
	v_subrev_nc_u32_e32 v32, 28, v1
	v_lshlrev_b64_e32 v[33:34], v32, v[9:10]
	v_sub_nc_u32_e32 v32, 29, v1
	s_delay_alu instid0(VALU_DEP_2)
	v_and_b32_e32 v1, 7, v33
; %bb.55:                               ;   in Loop: Header=BB262_13 Depth=1
	s_or_b32 exec_lo, exec_lo, s45
	v_lshlrev_b32_e32 v33, 8, v9
	s_delay_alu instid0(VALU_DEP_3) | instskip(NEXT) | instid1(VALU_DEP_3)
	v_lshl_add_u32 v32, v32, 10, 0x2000
	v_lshlrev_b32_e32 v1, 7, v1
	s_delay_alu instid0(VALU_DEP_3) | instskip(NEXT) | instid1(VALU_DEP_3)
	v_and_b32_e32 v33, 0x8000, v33
	v_and_b32_e32 v32, 0xfc00, v32
	s_delay_alu instid0(VALU_DEP_1)
	v_or3_b32 v32, v33, v32, v1
.LBB262_56:                             ;   in Loop: Header=BB262_13 Depth=1
	s_or_b32 exec_lo, exec_lo, s44
.LBB262_57:                             ;   in Loop: Header=BB262_13 Depth=1
	s_wait_alu 0xfffe
	s_or_b32 exec_lo, exec_lo, s43
.LBB262_58:                             ;   in Loop: Header=BB262_13 Depth=1
	s_wait_alu 0xfffe
	s_or_b32 exec_lo, exec_lo, s42
	v_lshrrev_b16 v1, 8, v9
	s_mov_b32 s42, exec_lo
	s_delay_alu instid0(VALU_DEP_1)
	v_cmpx_ne_u16_e32 0, v1
	s_cbranch_execz .LBB262_66
; %bb.59:                               ;   in Loop: Header=BB262_13 Depth=1
	v_bfrev_b32_e32 v31, 1
	s_mov_b32 s43, exec_lo
	v_cmpx_ne_u16_e32 0x80, v1
	s_cbranch_execz .LBB262_65
; %bb.60:                               ;   in Loop: Header=BB262_13 Depth=1
	v_and_b32_e32 v33, 0xffff, v1
	v_mov_b32_e32 v31, 0x7c010000
	s_mov_b32 s44, exec_lo
	s_delay_alu instid0(VALU_DEP_2) | instskip(NEXT) | instid1(VALU_DEP_1)
	v_and_b32_e32 v35, 0x7f, v33
	v_cmpx_ne_u32_e32 0x7f, v35
	s_cbranch_execz .LBB262_64
; %bb.61:                               ;   in Loop: Header=BB262_13 Depth=1
	v_and_b32_e32 v31, 7, v33
	v_lshrrev_b32_e32 v34, 3, v35
	s_mov_b32 s45, exec_lo
	v_cmpx_gt_u32_e32 8, v35
; %bb.62:                               ;   in Loop: Header=BB262_13 Depth=1
	s_delay_alu instid0(VALU_DEP_3) | instskip(NEXT) | instid1(VALU_DEP_1)
	v_clz_i32_u32_e32 v31, v31
	v_min_u32_e32 v31, 32, v31
	s_delay_alu instid0(VALU_DEP_1) | instskip(NEXT) | instid1(VALU_DEP_1)
	v_subrev_nc_u32_e32 v34, 28, v31
	v_lshlrev_b64_e32 v[35:36], v34, v[1:2]
	v_sub_nc_u32_e32 v34, 29, v31
	s_delay_alu instid0(VALU_DEP_2)
	v_and_b32_e32 v31, 7, v35
; %bb.63:                               ;   in Loop: Header=BB262_13 Depth=1
	s_or_b32 exec_lo, exec_lo, s45
	v_lshlrev_b32_e32 v1, 8, v33
	s_delay_alu instid0(VALU_DEP_3) | instskip(NEXT) | instid1(VALU_DEP_3)
	v_lshl_add_u32 v33, v34, 10, 0x2000
	v_lshlrev_b32_e32 v31, 23, v31
	s_delay_alu instid0(VALU_DEP_2) | instskip(NEXT) | instid1(VALU_DEP_1)
	v_and_or_b32 v1, 0x8000, v1, v33
	v_lshl_or_b32 v31, v1, 16, v31
.LBB262_64:                             ;   in Loop: Header=BB262_13 Depth=1
	s_or_b32 exec_lo, exec_lo, s44
.LBB262_65:                             ;   in Loop: Header=BB262_13 Depth=1
	s_wait_alu 0xfffe
	s_or_b32 exec_lo, exec_lo, s43
.LBB262_66:                             ;   in Loop: Header=BB262_13 Depth=1
	s_wait_alu 0xfffe
	s_or_b32 exec_lo, exec_lo, s42
	v_lshrrev_b32_e32 v1, 16, v9
	v_mov_b32_e32 v33, 0
	s_mov_b32 s42, exec_lo
	s_delay_alu instid0(VALU_DEP_2) | instskip(NEXT) | instid1(VALU_DEP_1)
	v_dual_mov_b32 v34, 0 :: v_dual_and_b32 v35, 0xff, v1
	v_cmpx_ne_u16_e32 0, v35
	s_cbranch_execz .LBB262_74
; %bb.67:                               ;   in Loop: Header=BB262_13 Depth=1
	v_mov_b32_e32 v34, 0x8000
	s_mov_b32 s43, exec_lo
	v_cmpx_ne_u16_e32 0x80, v35
	s_cbranch_execz .LBB262_73
; %bb.68:                               ;   in Loop: Header=BB262_13 Depth=1
	v_bfe_u32 v36, v9, 16, 7
	v_mov_b32_e32 v34, 0x7c01
	s_mov_b32 s44, exec_lo
	s_delay_alu instid0(VALU_DEP_2)
	v_cmpx_ne_u32_e32 0x7f, v36
	s_cbranch_execz .LBB262_72
; %bb.69:                               ;   in Loop: Header=BB262_13 Depth=1
	v_and_b32_e32 v34, 7, v1
	v_lshrrev_b32_e32 v35, 3, v36
	s_mov_b32 s45, exec_lo
	v_cmpx_gt_u32_e32 8, v36
; %bb.70:                               ;   in Loop: Header=BB262_13 Depth=1
	s_delay_alu instid0(VALU_DEP_3) | instskip(NEXT) | instid1(VALU_DEP_1)
	v_clz_i32_u32_e32 v34, v34
	v_min_u32_e32 v36, 32, v34
	s_delay_alu instid0(VALU_DEP_1) | instskip(NEXT) | instid1(VALU_DEP_1)
	v_subrev_nc_u32_e32 v34, 28, v36
	v_lshlrev_b64_e32 v[34:35], v34, v[1:2]
	v_sub_nc_u32_e32 v35, 29, v36
	s_delay_alu instid0(VALU_DEP_2)
	v_and_b32_e32 v34, 7, v34
; %bb.71:                               ;   in Loop: Header=BB262_13 Depth=1
	s_or_b32 exec_lo, exec_lo, s45
	v_lshlrev_b32_e32 v1, 8, v1
	s_delay_alu instid0(VALU_DEP_3) | instskip(NEXT) | instid1(VALU_DEP_3)
	v_lshl_add_u32 v35, v35, 10, 0x2000
	v_lshlrev_b32_e32 v34, 7, v34
	s_delay_alu instid0(VALU_DEP_3) | instskip(NEXT) | instid1(VALU_DEP_3)
	v_and_b32_e32 v1, 0x8000, v1
	v_and_b32_e32 v35, 0xfc00, v35
	s_delay_alu instid0(VALU_DEP_1)
	v_or3_b32 v34, v1, v35, v34
.LBB262_72:                             ;   in Loop: Header=BB262_13 Depth=1
	s_or_b32 exec_lo, exec_lo, s44
.LBB262_73:                             ;   in Loop: Header=BB262_13 Depth=1
	s_wait_alu 0xfffe
	s_or_b32 exec_lo, exec_lo, s43
.LBB262_74:                             ;   in Loop: Header=BB262_13 Depth=1
	s_wait_alu 0xfffe
	s_or_b32 exec_lo, exec_lo, s42
	s_delay_alu instid0(SALU_CYCLE_1)
	s_mov_b32 s42, exec_lo
	v_cmpx_lt_u32_e32 0xffffff, v9
	s_cbranch_execz .LBB262_82
; %bb.75:                               ;   in Loop: Header=BB262_13 Depth=1
	v_lshrrev_b32_e32 v1, 24, v9
	v_bfrev_b32_e32 v33, 1
	s_mov_b32 s43, exec_lo
	s_delay_alu instid0(VALU_DEP_2)
	v_cmpx_ne_u32_e32 0x80, v1
	s_cbranch_execz .LBB262_81
; %bb.76:                               ;   in Loop: Header=BB262_13 Depth=1
	v_and_b32_e32 v35, 0x7f, v1
	v_mov_b32_e32 v33, 0x7c010000
	s_mov_b32 s44, exec_lo
	s_delay_alu instid0(VALU_DEP_2)
	v_cmpx_ne_u32_e32 0x7f, v35
	s_cbranch_execz .LBB262_80
; %bb.77:                               ;   in Loop: Header=BB262_13 Depth=1
	v_and_b32_e32 v9, 7, v1
	v_lshrrev_b32_e32 v33, 3, v35
	s_mov_b32 s45, exec_lo
	v_cmpx_gt_u32_e32 8, v35
; %bb.78:                               ;   in Loop: Header=BB262_13 Depth=1
	s_delay_alu instid0(VALU_DEP_3) | instskip(NEXT) | instid1(VALU_DEP_1)
	v_clz_i32_u32_e32 v9, v9
	v_min_u32_e32 v9, 32, v9
	s_delay_alu instid0(VALU_DEP_1) | instskip(NEXT) | instid1(VALU_DEP_1)
	v_subrev_nc_u32_e32 v33, 28, v9
	v_lshlrev_b64_e32 v[35:36], v33, v[1:2]
	v_sub_nc_u32_e32 v33, 29, v9
	s_delay_alu instid0(VALU_DEP_2)
	v_and_b32_e32 v9, 7, v35
; %bb.79:                               ;   in Loop: Header=BB262_13 Depth=1
	s_or_b32 exec_lo, exec_lo, s45
	v_lshlrev_b32_e32 v1, 8, v1
	s_delay_alu instid0(VALU_DEP_3) | instskip(NEXT) | instid1(VALU_DEP_3)
	v_lshl_add_u32 v33, v33, 10, 0x2000
	v_lshlrev_b32_e32 v9, 23, v9
	s_delay_alu instid0(VALU_DEP_2) | instskip(NEXT) | instid1(VALU_DEP_1)
	v_and_or_b32 v1, 0x8000, v1, v33
	v_lshl_or_b32 v33, v1, 16, v9
.LBB262_80:                             ;   in Loop: Header=BB262_13 Depth=1
	s_or_b32 exec_lo, exec_lo, s44
.LBB262_81:                             ;   in Loop: Header=BB262_13 Depth=1
	s_wait_alu 0xfffe
	s_or_b32 exec_lo, exec_lo, s43
.LBB262_82:                             ;   in Loop: Header=BB262_13 Depth=1
	s_wait_alu 0xfffe
	s_or_b32 exec_lo, exec_lo, s42
	global_load_b32 v9, v[7:8], off offset:256
	v_mov_b32_e32 v35, 0
	s_mov_b32 s42, exec_lo
	s_wait_loadcnt 0x0
	v_dual_mov_b32 v36, 0 :: v_dual_and_b32 v1, 0xff, v9
	s_delay_alu instid0(VALU_DEP_1)
	v_cmpx_ne_u16_e32 0, v1
	s_cbranch_execz .LBB262_90
; %bb.83:                               ;   in Loop: Header=BB262_13 Depth=1
	v_mov_b32_e32 v36, 0x8000
	s_mov_b32 s43, exec_lo
	v_cmpx_ne_u16_e32 0x80, v1
	s_cbranch_execz .LBB262_89
; %bb.84:                               ;   in Loop: Header=BB262_13 Depth=1
	v_and_b32_e32 v37, 0x7f, v9
	v_mov_b32_e32 v36, 0x7c01
	s_mov_b32 s44, exec_lo
	s_delay_alu instid0(VALU_DEP_2)
	v_cmpx_ne_u32_e32 0x7f, v37
	s_cbranch_execz .LBB262_88
; %bb.85:                               ;   in Loop: Header=BB262_13 Depth=1
	v_and_b32_e32 v1, 7, v9
	v_lshrrev_b32_e32 v36, 3, v37
	s_mov_b32 s45, exec_lo
	v_cmpx_gt_u32_e32 8, v37
; %bb.86:                               ;   in Loop: Header=BB262_13 Depth=1
	s_delay_alu instid0(VALU_DEP_3) | instskip(NEXT) | instid1(VALU_DEP_1)
	v_clz_i32_u32_e32 v1, v1
	v_min_u32_e32 v1, 32, v1
	s_delay_alu instid0(VALU_DEP_1) | instskip(NEXT) | instid1(VALU_DEP_1)
	v_subrev_nc_u32_e32 v36, 28, v1
	v_lshlrev_b64_e32 v[37:38], v36, v[9:10]
	v_sub_nc_u32_e32 v36, 29, v1
	s_delay_alu instid0(VALU_DEP_2)
	v_and_b32_e32 v1, 7, v37
; %bb.87:                               ;   in Loop: Header=BB262_13 Depth=1
	s_or_b32 exec_lo, exec_lo, s45
	v_lshlrev_b32_e32 v37, 8, v9
	s_delay_alu instid0(VALU_DEP_3) | instskip(NEXT) | instid1(VALU_DEP_3)
	v_lshl_add_u32 v36, v36, 10, 0x2000
	v_lshlrev_b32_e32 v1, 7, v1
	s_delay_alu instid0(VALU_DEP_3) | instskip(NEXT) | instid1(VALU_DEP_3)
	v_and_b32_e32 v37, 0x8000, v37
	v_and_b32_e32 v36, 0xfc00, v36
	s_delay_alu instid0(VALU_DEP_1)
	v_or3_b32 v36, v37, v36, v1
.LBB262_88:                             ;   in Loop: Header=BB262_13 Depth=1
	s_or_b32 exec_lo, exec_lo, s44
.LBB262_89:                             ;   in Loop: Header=BB262_13 Depth=1
	s_wait_alu 0xfffe
	s_or_b32 exec_lo, exec_lo, s43
.LBB262_90:                             ;   in Loop: Header=BB262_13 Depth=1
	s_wait_alu 0xfffe
	s_or_b32 exec_lo, exec_lo, s42
	v_lshrrev_b16 v1, 8, v9
	s_mov_b32 s42, exec_lo
	s_delay_alu instid0(VALU_DEP_1)
	v_cmpx_ne_u16_e32 0, v1
	s_cbranch_execz .LBB262_98
; %bb.91:                               ;   in Loop: Header=BB262_13 Depth=1
	v_bfrev_b32_e32 v35, 1
	s_mov_b32 s43, exec_lo
	v_cmpx_ne_u16_e32 0x80, v1
	s_cbranch_execz .LBB262_97
; %bb.92:                               ;   in Loop: Header=BB262_13 Depth=1
	v_and_b32_e32 v37, 0xffff, v1
	v_mov_b32_e32 v35, 0x7c010000
	s_mov_b32 s44, exec_lo
	s_delay_alu instid0(VALU_DEP_2) | instskip(NEXT) | instid1(VALU_DEP_1)
	v_and_b32_e32 v39, 0x7f, v37
	v_cmpx_ne_u32_e32 0x7f, v39
	s_cbranch_execz .LBB262_96
; %bb.93:                               ;   in Loop: Header=BB262_13 Depth=1
	v_and_b32_e32 v35, 7, v37
	v_lshrrev_b32_e32 v38, 3, v39
	s_mov_b32 s45, exec_lo
	v_cmpx_gt_u32_e32 8, v39
; %bb.94:                               ;   in Loop: Header=BB262_13 Depth=1
	s_delay_alu instid0(VALU_DEP_3) | instskip(NEXT) | instid1(VALU_DEP_1)
	v_clz_i32_u32_e32 v35, v35
	v_min_u32_e32 v35, 32, v35
	s_delay_alu instid0(VALU_DEP_1) | instskip(NEXT) | instid1(VALU_DEP_1)
	v_subrev_nc_u32_e32 v38, 28, v35
	v_lshlrev_b64_e32 v[39:40], v38, v[1:2]
	v_sub_nc_u32_e32 v38, 29, v35
	s_delay_alu instid0(VALU_DEP_2)
	v_and_b32_e32 v35, 7, v39
; %bb.95:                               ;   in Loop: Header=BB262_13 Depth=1
	s_or_b32 exec_lo, exec_lo, s45
	v_lshlrev_b32_e32 v1, 8, v37
	s_delay_alu instid0(VALU_DEP_3) | instskip(NEXT) | instid1(VALU_DEP_3)
	v_lshl_add_u32 v37, v38, 10, 0x2000
	v_lshlrev_b32_e32 v35, 23, v35
	s_delay_alu instid0(VALU_DEP_2) | instskip(NEXT) | instid1(VALU_DEP_1)
	v_and_or_b32 v1, 0x8000, v1, v37
	v_lshl_or_b32 v35, v1, 16, v35
.LBB262_96:                             ;   in Loop: Header=BB262_13 Depth=1
	s_or_b32 exec_lo, exec_lo, s44
.LBB262_97:                             ;   in Loop: Header=BB262_13 Depth=1
	s_wait_alu 0xfffe
	s_or_b32 exec_lo, exec_lo, s43
.LBB262_98:                             ;   in Loop: Header=BB262_13 Depth=1
	s_wait_alu 0xfffe
	s_or_b32 exec_lo, exec_lo, s42
	v_lshrrev_b32_e32 v1, 16, v9
	v_mov_b32_e32 v37, 0
	s_mov_b32 s42, exec_lo
	s_delay_alu instid0(VALU_DEP_2) | instskip(NEXT) | instid1(VALU_DEP_1)
	v_dual_mov_b32 v38, 0 :: v_dual_and_b32 v39, 0xff, v1
	v_cmpx_ne_u16_e32 0, v39
	s_cbranch_execz .LBB262_106
; %bb.99:                               ;   in Loop: Header=BB262_13 Depth=1
	v_mov_b32_e32 v38, 0x8000
	s_mov_b32 s43, exec_lo
	v_cmpx_ne_u16_e32 0x80, v39
	s_cbranch_execz .LBB262_105
; %bb.100:                              ;   in Loop: Header=BB262_13 Depth=1
	v_bfe_u32 v40, v9, 16, 7
	v_mov_b32_e32 v38, 0x7c01
	s_mov_b32 s44, exec_lo
	s_delay_alu instid0(VALU_DEP_2)
	v_cmpx_ne_u32_e32 0x7f, v40
	s_cbranch_execz .LBB262_104
; %bb.101:                              ;   in Loop: Header=BB262_13 Depth=1
	v_and_b32_e32 v38, 7, v1
	v_lshrrev_b32_e32 v39, 3, v40
	s_mov_b32 s45, exec_lo
	v_cmpx_gt_u32_e32 8, v40
; %bb.102:                              ;   in Loop: Header=BB262_13 Depth=1
	s_delay_alu instid0(VALU_DEP_3) | instskip(NEXT) | instid1(VALU_DEP_1)
	v_clz_i32_u32_e32 v38, v38
	v_min_u32_e32 v40, 32, v38
	s_delay_alu instid0(VALU_DEP_1) | instskip(NEXT) | instid1(VALU_DEP_1)
	v_subrev_nc_u32_e32 v38, 28, v40
	v_lshlrev_b64_e32 v[38:39], v38, v[1:2]
	v_sub_nc_u32_e32 v39, 29, v40
	s_delay_alu instid0(VALU_DEP_2)
	v_and_b32_e32 v38, 7, v38
; %bb.103:                              ;   in Loop: Header=BB262_13 Depth=1
	s_or_b32 exec_lo, exec_lo, s45
	v_lshlrev_b32_e32 v1, 8, v1
	s_delay_alu instid0(VALU_DEP_3) | instskip(NEXT) | instid1(VALU_DEP_3)
	v_lshl_add_u32 v39, v39, 10, 0x2000
	v_lshlrev_b32_e32 v38, 7, v38
	s_delay_alu instid0(VALU_DEP_3) | instskip(NEXT) | instid1(VALU_DEP_3)
	v_and_b32_e32 v1, 0x8000, v1
	v_and_b32_e32 v39, 0xfc00, v39
	s_delay_alu instid0(VALU_DEP_1)
	v_or3_b32 v38, v1, v39, v38
.LBB262_104:                            ;   in Loop: Header=BB262_13 Depth=1
	s_or_b32 exec_lo, exec_lo, s44
.LBB262_105:                            ;   in Loop: Header=BB262_13 Depth=1
	s_wait_alu 0xfffe
	s_or_b32 exec_lo, exec_lo, s43
.LBB262_106:                            ;   in Loop: Header=BB262_13 Depth=1
	s_wait_alu 0xfffe
	s_or_b32 exec_lo, exec_lo, s42
	s_delay_alu instid0(SALU_CYCLE_1)
	s_mov_b32 s42, exec_lo
	v_cmpx_lt_u32_e32 0xffffff, v9
	s_cbranch_execz .LBB262_114
; %bb.107:                              ;   in Loop: Header=BB262_13 Depth=1
	v_lshrrev_b32_e32 v1, 24, v9
	v_bfrev_b32_e32 v37, 1
	s_mov_b32 s43, exec_lo
	s_delay_alu instid0(VALU_DEP_2)
	v_cmpx_ne_u32_e32 0x80, v1
	s_cbranch_execz .LBB262_113
; %bb.108:                              ;   in Loop: Header=BB262_13 Depth=1
	v_and_b32_e32 v39, 0x7f, v1
	v_mov_b32_e32 v37, 0x7c010000
	s_mov_b32 s44, exec_lo
	s_delay_alu instid0(VALU_DEP_2)
	v_cmpx_ne_u32_e32 0x7f, v39
	s_cbranch_execz .LBB262_112
; %bb.109:                              ;   in Loop: Header=BB262_13 Depth=1
	v_and_b32_e32 v9, 7, v1
	v_lshrrev_b32_e32 v37, 3, v39
	s_mov_b32 s45, exec_lo
	v_cmpx_gt_u32_e32 8, v39
; %bb.110:                              ;   in Loop: Header=BB262_13 Depth=1
	s_delay_alu instid0(VALU_DEP_3) | instskip(NEXT) | instid1(VALU_DEP_1)
	v_clz_i32_u32_e32 v9, v9
	v_min_u32_e32 v9, 32, v9
	s_delay_alu instid0(VALU_DEP_1) | instskip(NEXT) | instid1(VALU_DEP_1)
	v_subrev_nc_u32_e32 v37, 28, v9
	v_lshlrev_b64_e32 v[39:40], v37, v[1:2]
	v_sub_nc_u32_e32 v37, 29, v9
	s_delay_alu instid0(VALU_DEP_2)
	v_and_b32_e32 v9, 7, v39
; %bb.111:                              ;   in Loop: Header=BB262_13 Depth=1
	s_or_b32 exec_lo, exec_lo, s45
	v_lshlrev_b32_e32 v1, 8, v1
	s_delay_alu instid0(VALU_DEP_3) | instskip(NEXT) | instid1(VALU_DEP_3)
	v_lshl_add_u32 v37, v37, 10, 0x2000
	v_lshlrev_b32_e32 v9, 23, v9
	s_delay_alu instid0(VALU_DEP_2) | instskip(NEXT) | instid1(VALU_DEP_1)
	v_and_or_b32 v1, 0x8000, v1, v37
	v_lshl_or_b32 v37, v1, 16, v9
.LBB262_112:                            ;   in Loop: Header=BB262_13 Depth=1
	s_or_b32 exec_lo, exec_lo, s44
.LBB262_113:                            ;   in Loop: Header=BB262_13 Depth=1
	s_wait_alu 0xfffe
	s_or_b32 exec_lo, exec_lo, s43
.LBB262_114:                            ;   in Loop: Header=BB262_13 Depth=1
	s_wait_alu 0xfffe
	s_or_b32 exec_lo, exec_lo, s42
	global_load_b32 v9, v[7:8], off offset:264
	v_mov_b32_e32 v39, 0
	s_mov_b32 s42, exec_lo
	s_wait_loadcnt 0x0
	v_dual_mov_b32 v40, 0 :: v_dual_and_b32 v1, 0xff, v9
	s_delay_alu instid0(VALU_DEP_1)
	v_cmpx_ne_u16_e32 0, v1
	s_cbranch_execz .LBB262_122
; %bb.115:                              ;   in Loop: Header=BB262_13 Depth=1
	v_mov_b32_e32 v40, 0x8000
	s_mov_b32 s43, exec_lo
	v_cmpx_ne_u16_e32 0x80, v1
	s_cbranch_execz .LBB262_121
; %bb.116:                              ;   in Loop: Header=BB262_13 Depth=1
	v_and_b32_e32 v41, 0x7f, v9
	v_mov_b32_e32 v40, 0x7c01
	s_mov_b32 s44, exec_lo
	s_delay_alu instid0(VALU_DEP_2)
	v_cmpx_ne_u32_e32 0x7f, v41
	s_cbranch_execz .LBB262_120
; %bb.117:                              ;   in Loop: Header=BB262_13 Depth=1
	v_and_b32_e32 v1, 7, v9
	v_lshrrev_b32_e32 v40, 3, v41
	s_mov_b32 s45, exec_lo
	v_cmpx_gt_u32_e32 8, v41
; %bb.118:                              ;   in Loop: Header=BB262_13 Depth=1
	s_delay_alu instid0(VALU_DEP_3) | instskip(NEXT) | instid1(VALU_DEP_1)
	v_clz_i32_u32_e32 v1, v1
	v_min_u32_e32 v1, 32, v1
	s_delay_alu instid0(VALU_DEP_1) | instskip(NEXT) | instid1(VALU_DEP_1)
	v_subrev_nc_u32_e32 v40, 28, v1
	v_lshlrev_b64_e32 v[41:42], v40, v[9:10]
	v_sub_nc_u32_e32 v40, 29, v1
	s_delay_alu instid0(VALU_DEP_2)
	v_and_b32_e32 v1, 7, v41
; %bb.119:                              ;   in Loop: Header=BB262_13 Depth=1
	s_or_b32 exec_lo, exec_lo, s45
	v_lshlrev_b32_e32 v41, 8, v9
	s_delay_alu instid0(VALU_DEP_3) | instskip(NEXT) | instid1(VALU_DEP_3)
	v_lshl_add_u32 v40, v40, 10, 0x2000
	v_lshlrev_b32_e32 v1, 7, v1
	s_delay_alu instid0(VALU_DEP_3) | instskip(NEXT) | instid1(VALU_DEP_3)
	v_and_b32_e32 v41, 0x8000, v41
	v_and_b32_e32 v40, 0xfc00, v40
	s_delay_alu instid0(VALU_DEP_1)
	v_or3_b32 v40, v41, v40, v1
.LBB262_120:                            ;   in Loop: Header=BB262_13 Depth=1
	s_or_b32 exec_lo, exec_lo, s44
.LBB262_121:                            ;   in Loop: Header=BB262_13 Depth=1
	s_wait_alu 0xfffe
	s_or_b32 exec_lo, exec_lo, s43
.LBB262_122:                            ;   in Loop: Header=BB262_13 Depth=1
	s_wait_alu 0xfffe
	s_or_b32 exec_lo, exec_lo, s42
	v_lshrrev_b16 v1, 8, v9
	s_mov_b32 s42, exec_lo
	s_delay_alu instid0(VALU_DEP_1)
	v_cmpx_ne_u16_e32 0, v1
	s_cbranch_execz .LBB262_130
; %bb.123:                              ;   in Loop: Header=BB262_13 Depth=1
	v_bfrev_b32_e32 v39, 1
	s_mov_b32 s43, exec_lo
	v_cmpx_ne_u16_e32 0x80, v1
	s_cbranch_execz .LBB262_129
; %bb.124:                              ;   in Loop: Header=BB262_13 Depth=1
	v_and_b32_e32 v41, 0xffff, v1
	v_mov_b32_e32 v39, 0x7c010000
	s_mov_b32 s44, exec_lo
	s_delay_alu instid0(VALU_DEP_2) | instskip(NEXT) | instid1(VALU_DEP_1)
	v_and_b32_e32 v43, 0x7f, v41
	v_cmpx_ne_u32_e32 0x7f, v43
	s_cbranch_execz .LBB262_128
; %bb.125:                              ;   in Loop: Header=BB262_13 Depth=1
	v_and_b32_e32 v39, 7, v41
	v_lshrrev_b32_e32 v42, 3, v43
	s_mov_b32 s45, exec_lo
	v_cmpx_gt_u32_e32 8, v43
; %bb.126:                              ;   in Loop: Header=BB262_13 Depth=1
	s_delay_alu instid0(VALU_DEP_3) | instskip(NEXT) | instid1(VALU_DEP_1)
	v_clz_i32_u32_e32 v39, v39
	v_min_u32_e32 v39, 32, v39
	s_delay_alu instid0(VALU_DEP_1) | instskip(NEXT) | instid1(VALU_DEP_1)
	v_subrev_nc_u32_e32 v42, 28, v39
	v_lshlrev_b64_e32 v[43:44], v42, v[1:2]
	v_sub_nc_u32_e32 v42, 29, v39
	s_delay_alu instid0(VALU_DEP_2)
	v_and_b32_e32 v39, 7, v43
; %bb.127:                              ;   in Loop: Header=BB262_13 Depth=1
	s_or_b32 exec_lo, exec_lo, s45
	v_lshlrev_b32_e32 v1, 8, v41
	s_delay_alu instid0(VALU_DEP_3) | instskip(NEXT) | instid1(VALU_DEP_3)
	v_lshl_add_u32 v41, v42, 10, 0x2000
	v_lshlrev_b32_e32 v39, 23, v39
	s_delay_alu instid0(VALU_DEP_2) | instskip(NEXT) | instid1(VALU_DEP_1)
	v_and_or_b32 v1, 0x8000, v1, v41
	v_lshl_or_b32 v39, v1, 16, v39
.LBB262_128:                            ;   in Loop: Header=BB262_13 Depth=1
	s_or_b32 exec_lo, exec_lo, s44
.LBB262_129:                            ;   in Loop: Header=BB262_13 Depth=1
	s_wait_alu 0xfffe
	s_or_b32 exec_lo, exec_lo, s43
.LBB262_130:                            ;   in Loop: Header=BB262_13 Depth=1
	s_wait_alu 0xfffe
	s_or_b32 exec_lo, exec_lo, s42
	v_lshrrev_b32_e32 v1, 16, v9
	v_mov_b32_e32 v41, 0
	s_mov_b32 s42, exec_lo
	s_delay_alu instid0(VALU_DEP_2) | instskip(NEXT) | instid1(VALU_DEP_1)
	v_dual_mov_b32 v42, 0 :: v_dual_and_b32 v43, 0xff, v1
	v_cmpx_ne_u16_e32 0, v43
	s_cbranch_execz .LBB262_138
; %bb.131:                              ;   in Loop: Header=BB262_13 Depth=1
	v_mov_b32_e32 v42, 0x8000
	s_mov_b32 s43, exec_lo
	v_cmpx_ne_u16_e32 0x80, v43
	s_cbranch_execz .LBB262_137
; %bb.132:                              ;   in Loop: Header=BB262_13 Depth=1
	v_bfe_u32 v44, v9, 16, 7
	v_mov_b32_e32 v42, 0x7c01
	s_mov_b32 s44, exec_lo
	s_delay_alu instid0(VALU_DEP_2)
	v_cmpx_ne_u32_e32 0x7f, v44
	s_cbranch_execz .LBB262_136
; %bb.133:                              ;   in Loop: Header=BB262_13 Depth=1
	v_and_b32_e32 v42, 7, v1
	v_lshrrev_b32_e32 v43, 3, v44
	s_mov_b32 s45, exec_lo
	v_cmpx_gt_u32_e32 8, v44
; %bb.134:                              ;   in Loop: Header=BB262_13 Depth=1
	s_delay_alu instid0(VALU_DEP_3) | instskip(NEXT) | instid1(VALU_DEP_1)
	v_clz_i32_u32_e32 v42, v42
	v_min_u32_e32 v44, 32, v42
	s_delay_alu instid0(VALU_DEP_1) | instskip(NEXT) | instid1(VALU_DEP_1)
	v_subrev_nc_u32_e32 v42, 28, v44
	v_lshlrev_b64_e32 v[42:43], v42, v[1:2]
	v_sub_nc_u32_e32 v43, 29, v44
	s_delay_alu instid0(VALU_DEP_2)
	v_and_b32_e32 v42, 7, v42
; %bb.135:                              ;   in Loop: Header=BB262_13 Depth=1
	s_or_b32 exec_lo, exec_lo, s45
	v_lshlrev_b32_e32 v1, 8, v1
	s_delay_alu instid0(VALU_DEP_3) | instskip(NEXT) | instid1(VALU_DEP_3)
	v_lshl_add_u32 v43, v43, 10, 0x2000
	v_lshlrev_b32_e32 v42, 7, v42
	s_delay_alu instid0(VALU_DEP_3) | instskip(NEXT) | instid1(VALU_DEP_3)
	v_and_b32_e32 v1, 0x8000, v1
	v_and_b32_e32 v43, 0xfc00, v43
	s_delay_alu instid0(VALU_DEP_1)
	v_or3_b32 v42, v1, v43, v42
.LBB262_136:                            ;   in Loop: Header=BB262_13 Depth=1
	s_or_b32 exec_lo, exec_lo, s44
.LBB262_137:                            ;   in Loop: Header=BB262_13 Depth=1
	s_wait_alu 0xfffe
	s_or_b32 exec_lo, exec_lo, s43
.LBB262_138:                            ;   in Loop: Header=BB262_13 Depth=1
	s_wait_alu 0xfffe
	s_or_b32 exec_lo, exec_lo, s42
	s_delay_alu instid0(SALU_CYCLE_1)
	s_mov_b32 s42, exec_lo
	v_cmpx_lt_u32_e32 0xffffff, v9
	s_cbranch_execz .LBB262_146
; %bb.139:                              ;   in Loop: Header=BB262_13 Depth=1
	v_lshrrev_b32_e32 v1, 24, v9
	v_bfrev_b32_e32 v41, 1
	s_mov_b32 s43, exec_lo
	s_delay_alu instid0(VALU_DEP_2)
	v_cmpx_ne_u32_e32 0x80, v1
	s_cbranch_execz .LBB262_145
; %bb.140:                              ;   in Loop: Header=BB262_13 Depth=1
	v_and_b32_e32 v43, 0x7f, v1
	v_mov_b32_e32 v41, 0x7c010000
	s_mov_b32 s44, exec_lo
	s_delay_alu instid0(VALU_DEP_2)
	v_cmpx_ne_u32_e32 0x7f, v43
	s_cbranch_execz .LBB262_144
; %bb.141:                              ;   in Loop: Header=BB262_13 Depth=1
	v_and_b32_e32 v9, 7, v1
	v_lshrrev_b32_e32 v41, 3, v43
	s_mov_b32 s45, exec_lo
	v_cmpx_gt_u32_e32 8, v43
; %bb.142:                              ;   in Loop: Header=BB262_13 Depth=1
	s_delay_alu instid0(VALU_DEP_3) | instskip(NEXT) | instid1(VALU_DEP_1)
	v_clz_i32_u32_e32 v9, v9
	v_min_u32_e32 v9, 32, v9
	s_delay_alu instid0(VALU_DEP_1) | instskip(NEXT) | instid1(VALU_DEP_1)
	v_subrev_nc_u32_e32 v41, 28, v9
	v_lshlrev_b64_e32 v[43:44], v41, v[1:2]
	v_sub_nc_u32_e32 v41, 29, v9
	s_delay_alu instid0(VALU_DEP_2)
	v_and_b32_e32 v9, 7, v43
; %bb.143:                              ;   in Loop: Header=BB262_13 Depth=1
	s_or_b32 exec_lo, exec_lo, s45
	v_lshlrev_b32_e32 v1, 8, v1
	s_delay_alu instid0(VALU_DEP_3) | instskip(NEXT) | instid1(VALU_DEP_3)
	v_lshl_add_u32 v41, v41, 10, 0x2000
	v_lshlrev_b32_e32 v9, 23, v9
	s_delay_alu instid0(VALU_DEP_2) | instskip(NEXT) | instid1(VALU_DEP_1)
	v_and_or_b32 v1, 0x8000, v1, v41
	v_lshl_or_b32 v41, v1, 16, v9
.LBB262_144:                            ;   in Loop: Header=BB262_13 Depth=1
	s_or_b32 exec_lo, exec_lo, s44
.LBB262_145:                            ;   in Loop: Header=BB262_13 Depth=1
	s_wait_alu 0xfffe
	s_or_b32 exec_lo, exec_lo, s43
.LBB262_146:                            ;   in Loop: Header=BB262_13 Depth=1
	s_wait_alu 0xfffe
	s_or_b32 exec_lo, exec_lo, s42
	global_load_b32 v9, v[7:8], off offset:512
	v_mov_b32_e32 v43, 0
	s_mov_b32 s42, exec_lo
	s_wait_loadcnt 0x0
	v_dual_mov_b32 v44, 0 :: v_dual_and_b32 v1, 0xff, v9
	s_delay_alu instid0(VALU_DEP_1)
	v_cmpx_ne_u16_e32 0, v1
	s_cbranch_execz .LBB262_154
; %bb.147:                              ;   in Loop: Header=BB262_13 Depth=1
	v_mov_b32_e32 v44, 0x8000
	s_mov_b32 s43, exec_lo
	v_cmpx_ne_u16_e32 0x80, v1
	s_cbranch_execz .LBB262_153
; %bb.148:                              ;   in Loop: Header=BB262_13 Depth=1
	v_and_b32_e32 v45, 0x7f, v9
	v_mov_b32_e32 v44, 0x7c01
	s_mov_b32 s44, exec_lo
	s_delay_alu instid0(VALU_DEP_2)
	v_cmpx_ne_u32_e32 0x7f, v45
	s_cbranch_execz .LBB262_152
; %bb.149:                              ;   in Loop: Header=BB262_13 Depth=1
	v_and_b32_e32 v1, 7, v9
	v_lshrrev_b32_e32 v44, 3, v45
	s_mov_b32 s45, exec_lo
	v_cmpx_gt_u32_e32 8, v45
; %bb.150:                              ;   in Loop: Header=BB262_13 Depth=1
	s_delay_alu instid0(VALU_DEP_3) | instskip(NEXT) | instid1(VALU_DEP_1)
	v_clz_i32_u32_e32 v1, v1
	v_min_u32_e32 v1, 32, v1
	s_delay_alu instid0(VALU_DEP_1) | instskip(NEXT) | instid1(VALU_DEP_1)
	v_subrev_nc_u32_e32 v44, 28, v1
	v_lshlrev_b64_e32 v[45:46], v44, v[9:10]
	v_sub_nc_u32_e32 v44, 29, v1
	s_delay_alu instid0(VALU_DEP_2)
	v_and_b32_e32 v1, 7, v45
; %bb.151:                              ;   in Loop: Header=BB262_13 Depth=1
	s_or_b32 exec_lo, exec_lo, s45
	v_lshlrev_b32_e32 v45, 8, v9
	s_delay_alu instid0(VALU_DEP_3) | instskip(NEXT) | instid1(VALU_DEP_3)
	v_lshl_add_u32 v44, v44, 10, 0x2000
	v_lshlrev_b32_e32 v1, 7, v1
	s_delay_alu instid0(VALU_DEP_3) | instskip(NEXT) | instid1(VALU_DEP_3)
	v_and_b32_e32 v45, 0x8000, v45
	v_and_b32_e32 v44, 0xfc00, v44
	s_delay_alu instid0(VALU_DEP_1)
	v_or3_b32 v44, v45, v44, v1
.LBB262_152:                            ;   in Loop: Header=BB262_13 Depth=1
	s_or_b32 exec_lo, exec_lo, s44
.LBB262_153:                            ;   in Loop: Header=BB262_13 Depth=1
	s_wait_alu 0xfffe
	s_or_b32 exec_lo, exec_lo, s43
.LBB262_154:                            ;   in Loop: Header=BB262_13 Depth=1
	s_wait_alu 0xfffe
	s_or_b32 exec_lo, exec_lo, s42
	v_lshrrev_b16 v1, 8, v9
	s_mov_b32 s42, exec_lo
	s_delay_alu instid0(VALU_DEP_1)
	v_cmpx_ne_u16_e32 0, v1
	s_cbranch_execz .LBB262_162
; %bb.155:                              ;   in Loop: Header=BB262_13 Depth=1
	v_bfrev_b32_e32 v43, 1
	s_mov_b32 s43, exec_lo
	v_cmpx_ne_u16_e32 0x80, v1
	s_cbranch_execz .LBB262_161
; %bb.156:                              ;   in Loop: Header=BB262_13 Depth=1
	v_and_b32_e32 v45, 0xffff, v1
	v_mov_b32_e32 v43, 0x7c010000
	s_mov_b32 s44, exec_lo
	s_delay_alu instid0(VALU_DEP_2) | instskip(NEXT) | instid1(VALU_DEP_1)
	v_and_b32_e32 v47, 0x7f, v45
	v_cmpx_ne_u32_e32 0x7f, v47
	s_cbranch_execz .LBB262_160
; %bb.157:                              ;   in Loop: Header=BB262_13 Depth=1
	v_and_b32_e32 v43, 7, v45
	v_lshrrev_b32_e32 v46, 3, v47
	s_mov_b32 s45, exec_lo
	v_cmpx_gt_u32_e32 8, v47
; %bb.158:                              ;   in Loop: Header=BB262_13 Depth=1
	s_delay_alu instid0(VALU_DEP_3) | instskip(NEXT) | instid1(VALU_DEP_1)
	v_clz_i32_u32_e32 v43, v43
	v_min_u32_e32 v43, 32, v43
	s_delay_alu instid0(VALU_DEP_1) | instskip(NEXT) | instid1(VALU_DEP_1)
	v_subrev_nc_u32_e32 v46, 28, v43
	v_lshlrev_b64_e32 v[47:48], v46, v[1:2]
	v_sub_nc_u32_e32 v46, 29, v43
	s_delay_alu instid0(VALU_DEP_2)
	v_and_b32_e32 v43, 7, v47
; %bb.159:                              ;   in Loop: Header=BB262_13 Depth=1
	s_or_b32 exec_lo, exec_lo, s45
	v_lshlrev_b32_e32 v1, 8, v45
	s_delay_alu instid0(VALU_DEP_3) | instskip(NEXT) | instid1(VALU_DEP_3)
	v_lshl_add_u32 v45, v46, 10, 0x2000
	v_lshlrev_b32_e32 v43, 23, v43
	s_delay_alu instid0(VALU_DEP_2) | instskip(NEXT) | instid1(VALU_DEP_1)
	v_and_or_b32 v1, 0x8000, v1, v45
	v_lshl_or_b32 v43, v1, 16, v43
.LBB262_160:                            ;   in Loop: Header=BB262_13 Depth=1
	s_or_b32 exec_lo, exec_lo, s44
.LBB262_161:                            ;   in Loop: Header=BB262_13 Depth=1
	s_wait_alu 0xfffe
	s_or_b32 exec_lo, exec_lo, s43
.LBB262_162:                            ;   in Loop: Header=BB262_13 Depth=1
	s_wait_alu 0xfffe
	s_or_b32 exec_lo, exec_lo, s42
	v_lshrrev_b32_e32 v1, 16, v9
	v_mov_b32_e32 v45, 0
	s_mov_b32 s42, exec_lo
	s_delay_alu instid0(VALU_DEP_2) | instskip(NEXT) | instid1(VALU_DEP_1)
	v_dual_mov_b32 v46, 0 :: v_dual_and_b32 v47, 0xff, v1
	v_cmpx_ne_u16_e32 0, v47
	s_cbranch_execz .LBB262_170
; %bb.163:                              ;   in Loop: Header=BB262_13 Depth=1
	v_mov_b32_e32 v46, 0x8000
	s_mov_b32 s43, exec_lo
	v_cmpx_ne_u16_e32 0x80, v47
	s_cbranch_execz .LBB262_169
; %bb.164:                              ;   in Loop: Header=BB262_13 Depth=1
	v_bfe_u32 v48, v9, 16, 7
	v_mov_b32_e32 v46, 0x7c01
	s_mov_b32 s44, exec_lo
	s_delay_alu instid0(VALU_DEP_2)
	v_cmpx_ne_u32_e32 0x7f, v48
	s_cbranch_execz .LBB262_168
; %bb.165:                              ;   in Loop: Header=BB262_13 Depth=1
	v_and_b32_e32 v46, 7, v1
	v_lshrrev_b32_e32 v47, 3, v48
	s_mov_b32 s45, exec_lo
	v_cmpx_gt_u32_e32 8, v48
; %bb.166:                              ;   in Loop: Header=BB262_13 Depth=1
	s_delay_alu instid0(VALU_DEP_3) | instskip(NEXT) | instid1(VALU_DEP_1)
	v_clz_i32_u32_e32 v46, v46
	v_min_u32_e32 v48, 32, v46
	s_delay_alu instid0(VALU_DEP_1) | instskip(NEXT) | instid1(VALU_DEP_1)
	v_subrev_nc_u32_e32 v46, 28, v48
	v_lshlrev_b64_e32 v[46:47], v46, v[1:2]
	v_sub_nc_u32_e32 v47, 29, v48
	s_delay_alu instid0(VALU_DEP_2)
	v_and_b32_e32 v46, 7, v46
; %bb.167:                              ;   in Loop: Header=BB262_13 Depth=1
	s_or_b32 exec_lo, exec_lo, s45
	v_lshlrev_b32_e32 v1, 8, v1
	s_delay_alu instid0(VALU_DEP_3) | instskip(NEXT) | instid1(VALU_DEP_3)
	v_lshl_add_u32 v47, v47, 10, 0x2000
	v_lshlrev_b32_e32 v46, 7, v46
	s_delay_alu instid0(VALU_DEP_3) | instskip(NEXT) | instid1(VALU_DEP_3)
	v_and_b32_e32 v1, 0x8000, v1
	v_and_b32_e32 v47, 0xfc00, v47
	s_delay_alu instid0(VALU_DEP_1)
	v_or3_b32 v46, v1, v47, v46
.LBB262_168:                            ;   in Loop: Header=BB262_13 Depth=1
	s_or_b32 exec_lo, exec_lo, s44
.LBB262_169:                            ;   in Loop: Header=BB262_13 Depth=1
	s_wait_alu 0xfffe
	s_or_b32 exec_lo, exec_lo, s43
.LBB262_170:                            ;   in Loop: Header=BB262_13 Depth=1
	s_wait_alu 0xfffe
	s_or_b32 exec_lo, exec_lo, s42
	s_delay_alu instid0(SALU_CYCLE_1)
	s_mov_b32 s42, exec_lo
	v_cmpx_lt_u32_e32 0xffffff, v9
	s_cbranch_execz .LBB262_178
; %bb.171:                              ;   in Loop: Header=BB262_13 Depth=1
	v_lshrrev_b32_e32 v1, 24, v9
	v_bfrev_b32_e32 v45, 1
	s_mov_b32 s43, exec_lo
	s_delay_alu instid0(VALU_DEP_2)
	v_cmpx_ne_u32_e32 0x80, v1
	s_cbranch_execz .LBB262_177
; %bb.172:                              ;   in Loop: Header=BB262_13 Depth=1
	v_and_b32_e32 v47, 0x7f, v1
	v_mov_b32_e32 v45, 0x7c010000
	s_mov_b32 s44, exec_lo
	s_delay_alu instid0(VALU_DEP_2)
	v_cmpx_ne_u32_e32 0x7f, v47
	s_cbranch_execz .LBB262_176
; %bb.173:                              ;   in Loop: Header=BB262_13 Depth=1
	v_and_b32_e32 v9, 7, v1
	v_lshrrev_b32_e32 v45, 3, v47
	s_mov_b32 s45, exec_lo
	v_cmpx_gt_u32_e32 8, v47
; %bb.174:                              ;   in Loop: Header=BB262_13 Depth=1
	s_delay_alu instid0(VALU_DEP_3) | instskip(NEXT) | instid1(VALU_DEP_1)
	v_clz_i32_u32_e32 v9, v9
	v_min_u32_e32 v9, 32, v9
	s_delay_alu instid0(VALU_DEP_1) | instskip(NEXT) | instid1(VALU_DEP_1)
	v_subrev_nc_u32_e32 v45, 28, v9
	v_lshlrev_b64_e32 v[47:48], v45, v[1:2]
	v_sub_nc_u32_e32 v45, 29, v9
	s_delay_alu instid0(VALU_DEP_2)
	v_and_b32_e32 v9, 7, v47
; %bb.175:                              ;   in Loop: Header=BB262_13 Depth=1
	s_or_b32 exec_lo, exec_lo, s45
	v_lshlrev_b32_e32 v1, 8, v1
	s_delay_alu instid0(VALU_DEP_3) | instskip(NEXT) | instid1(VALU_DEP_3)
	v_lshl_add_u32 v45, v45, 10, 0x2000
	v_lshlrev_b32_e32 v9, 23, v9
	s_delay_alu instid0(VALU_DEP_2) | instskip(NEXT) | instid1(VALU_DEP_1)
	v_and_or_b32 v1, 0x8000, v1, v45
	v_lshl_or_b32 v45, v1, 16, v9
.LBB262_176:                            ;   in Loop: Header=BB262_13 Depth=1
	s_or_b32 exec_lo, exec_lo, s44
.LBB262_177:                            ;   in Loop: Header=BB262_13 Depth=1
	s_wait_alu 0xfffe
	s_or_b32 exec_lo, exec_lo, s43
.LBB262_178:                            ;   in Loop: Header=BB262_13 Depth=1
	s_wait_alu 0xfffe
	s_or_b32 exec_lo, exec_lo, s42
	global_load_b32 v9, v[7:8], off offset:520
	v_mov_b32_e32 v47, 0
	s_mov_b32 s42, exec_lo
	s_wait_loadcnt 0x0
	v_dual_mov_b32 v48, 0 :: v_dual_and_b32 v1, 0xff, v9
	s_delay_alu instid0(VALU_DEP_1)
	v_cmpx_ne_u16_e32 0, v1
	s_cbranch_execz .LBB262_186
; %bb.179:                              ;   in Loop: Header=BB262_13 Depth=1
	v_mov_b32_e32 v48, 0x8000
	s_mov_b32 s43, exec_lo
	v_cmpx_ne_u16_e32 0x80, v1
	s_cbranch_execz .LBB262_185
; %bb.180:                              ;   in Loop: Header=BB262_13 Depth=1
	v_and_b32_e32 v49, 0x7f, v9
	v_mov_b32_e32 v48, 0x7c01
	s_mov_b32 s44, exec_lo
	s_delay_alu instid0(VALU_DEP_2)
	v_cmpx_ne_u32_e32 0x7f, v49
	s_cbranch_execz .LBB262_184
; %bb.181:                              ;   in Loop: Header=BB262_13 Depth=1
	v_and_b32_e32 v1, 7, v9
	v_lshrrev_b32_e32 v48, 3, v49
	s_mov_b32 s45, exec_lo
	v_cmpx_gt_u32_e32 8, v49
; %bb.182:                              ;   in Loop: Header=BB262_13 Depth=1
	s_delay_alu instid0(VALU_DEP_3) | instskip(NEXT) | instid1(VALU_DEP_1)
	v_clz_i32_u32_e32 v1, v1
	v_min_u32_e32 v1, 32, v1
	s_delay_alu instid0(VALU_DEP_1) | instskip(NEXT) | instid1(VALU_DEP_1)
	v_subrev_nc_u32_e32 v48, 28, v1
	v_lshlrev_b64_e32 v[49:50], v48, v[9:10]
	v_sub_nc_u32_e32 v48, 29, v1
	s_delay_alu instid0(VALU_DEP_2)
	v_and_b32_e32 v1, 7, v49
; %bb.183:                              ;   in Loop: Header=BB262_13 Depth=1
	s_or_b32 exec_lo, exec_lo, s45
	v_lshlrev_b32_e32 v49, 8, v9
	s_delay_alu instid0(VALU_DEP_3) | instskip(NEXT) | instid1(VALU_DEP_3)
	v_lshl_add_u32 v48, v48, 10, 0x2000
	v_lshlrev_b32_e32 v1, 7, v1
	s_delay_alu instid0(VALU_DEP_3) | instskip(NEXT) | instid1(VALU_DEP_3)
	v_and_b32_e32 v49, 0x8000, v49
	v_and_b32_e32 v48, 0xfc00, v48
	s_delay_alu instid0(VALU_DEP_1)
	v_or3_b32 v48, v49, v48, v1
.LBB262_184:                            ;   in Loop: Header=BB262_13 Depth=1
	s_or_b32 exec_lo, exec_lo, s44
.LBB262_185:                            ;   in Loop: Header=BB262_13 Depth=1
	s_wait_alu 0xfffe
	s_or_b32 exec_lo, exec_lo, s43
.LBB262_186:                            ;   in Loop: Header=BB262_13 Depth=1
	s_wait_alu 0xfffe
	s_or_b32 exec_lo, exec_lo, s42
	v_lshrrev_b16 v1, 8, v9
	s_mov_b32 s42, exec_lo
	s_delay_alu instid0(VALU_DEP_1)
	v_cmpx_ne_u16_e32 0, v1
	s_cbranch_execz .LBB262_194
; %bb.187:                              ;   in Loop: Header=BB262_13 Depth=1
	v_bfrev_b32_e32 v47, 1
	s_mov_b32 s43, exec_lo
	v_cmpx_ne_u16_e32 0x80, v1
	s_cbranch_execz .LBB262_193
; %bb.188:                              ;   in Loop: Header=BB262_13 Depth=1
	v_and_b32_e32 v49, 0xffff, v1
	v_mov_b32_e32 v47, 0x7c010000
	s_mov_b32 s44, exec_lo
	s_delay_alu instid0(VALU_DEP_2) | instskip(NEXT) | instid1(VALU_DEP_1)
	v_and_b32_e32 v51, 0x7f, v49
	v_cmpx_ne_u32_e32 0x7f, v51
	s_cbranch_execz .LBB262_192
; %bb.189:                              ;   in Loop: Header=BB262_13 Depth=1
	v_and_b32_e32 v47, 7, v49
	v_lshrrev_b32_e32 v50, 3, v51
	s_mov_b32 s45, exec_lo
	v_cmpx_gt_u32_e32 8, v51
; %bb.190:                              ;   in Loop: Header=BB262_13 Depth=1
	s_delay_alu instid0(VALU_DEP_3) | instskip(NEXT) | instid1(VALU_DEP_1)
	v_clz_i32_u32_e32 v47, v47
	v_min_u32_e32 v47, 32, v47
	s_delay_alu instid0(VALU_DEP_1) | instskip(NEXT) | instid1(VALU_DEP_1)
	v_subrev_nc_u32_e32 v50, 28, v47
	v_lshlrev_b64_e32 v[51:52], v50, v[1:2]
	v_sub_nc_u32_e32 v50, 29, v47
	s_delay_alu instid0(VALU_DEP_2)
	v_and_b32_e32 v47, 7, v51
; %bb.191:                              ;   in Loop: Header=BB262_13 Depth=1
	s_or_b32 exec_lo, exec_lo, s45
	v_lshlrev_b32_e32 v1, 8, v49
	s_delay_alu instid0(VALU_DEP_3) | instskip(NEXT) | instid1(VALU_DEP_3)
	v_lshl_add_u32 v49, v50, 10, 0x2000
	v_lshlrev_b32_e32 v47, 23, v47
	s_delay_alu instid0(VALU_DEP_2) | instskip(NEXT) | instid1(VALU_DEP_1)
	v_and_or_b32 v1, 0x8000, v1, v49
	v_lshl_or_b32 v47, v1, 16, v47
.LBB262_192:                            ;   in Loop: Header=BB262_13 Depth=1
	s_or_b32 exec_lo, exec_lo, s44
.LBB262_193:                            ;   in Loop: Header=BB262_13 Depth=1
	s_wait_alu 0xfffe
	s_or_b32 exec_lo, exec_lo, s43
.LBB262_194:                            ;   in Loop: Header=BB262_13 Depth=1
	s_wait_alu 0xfffe
	s_or_b32 exec_lo, exec_lo, s42
	v_lshrrev_b32_e32 v1, 16, v9
	v_mov_b32_e32 v49, 0
	s_mov_b32 s42, exec_lo
	s_delay_alu instid0(VALU_DEP_2) | instskip(NEXT) | instid1(VALU_DEP_1)
	v_dual_mov_b32 v50, 0 :: v_dual_and_b32 v51, 0xff, v1
	v_cmpx_ne_u16_e32 0, v51
	s_cbranch_execz .LBB262_202
; %bb.195:                              ;   in Loop: Header=BB262_13 Depth=1
	v_mov_b32_e32 v50, 0x8000
	s_mov_b32 s43, exec_lo
	v_cmpx_ne_u16_e32 0x80, v51
	s_cbranch_execz .LBB262_201
; %bb.196:                              ;   in Loop: Header=BB262_13 Depth=1
	v_bfe_u32 v52, v9, 16, 7
	v_mov_b32_e32 v50, 0x7c01
	s_mov_b32 s44, exec_lo
	s_delay_alu instid0(VALU_DEP_2)
	v_cmpx_ne_u32_e32 0x7f, v52
	s_cbranch_execz .LBB262_200
; %bb.197:                              ;   in Loop: Header=BB262_13 Depth=1
	v_and_b32_e32 v50, 7, v1
	v_lshrrev_b32_e32 v51, 3, v52
	s_mov_b32 s45, exec_lo
	v_cmpx_gt_u32_e32 8, v52
; %bb.198:                              ;   in Loop: Header=BB262_13 Depth=1
	s_delay_alu instid0(VALU_DEP_3) | instskip(NEXT) | instid1(VALU_DEP_1)
	v_clz_i32_u32_e32 v50, v50
	v_min_u32_e32 v52, 32, v50
	s_delay_alu instid0(VALU_DEP_1) | instskip(NEXT) | instid1(VALU_DEP_1)
	v_subrev_nc_u32_e32 v50, 28, v52
	v_lshlrev_b64_e32 v[50:51], v50, v[1:2]
	v_sub_nc_u32_e32 v51, 29, v52
	s_delay_alu instid0(VALU_DEP_2)
	v_and_b32_e32 v50, 7, v50
; %bb.199:                              ;   in Loop: Header=BB262_13 Depth=1
	s_or_b32 exec_lo, exec_lo, s45
	v_lshlrev_b32_e32 v1, 8, v1
	s_delay_alu instid0(VALU_DEP_3) | instskip(NEXT) | instid1(VALU_DEP_3)
	v_lshl_add_u32 v51, v51, 10, 0x2000
	v_lshlrev_b32_e32 v50, 7, v50
	s_delay_alu instid0(VALU_DEP_3) | instskip(NEXT) | instid1(VALU_DEP_3)
	v_and_b32_e32 v1, 0x8000, v1
	v_and_b32_e32 v51, 0xfc00, v51
	s_delay_alu instid0(VALU_DEP_1)
	v_or3_b32 v50, v1, v51, v50
.LBB262_200:                            ;   in Loop: Header=BB262_13 Depth=1
	s_or_b32 exec_lo, exec_lo, s44
.LBB262_201:                            ;   in Loop: Header=BB262_13 Depth=1
	s_wait_alu 0xfffe
	s_or_b32 exec_lo, exec_lo, s43
.LBB262_202:                            ;   in Loop: Header=BB262_13 Depth=1
	s_wait_alu 0xfffe
	s_or_b32 exec_lo, exec_lo, s42
	s_delay_alu instid0(SALU_CYCLE_1)
	s_mov_b32 s42, exec_lo
	v_cmpx_lt_u32_e32 0xffffff, v9
	s_cbranch_execz .LBB262_210
; %bb.203:                              ;   in Loop: Header=BB262_13 Depth=1
	v_lshrrev_b32_e32 v1, 24, v9
	v_bfrev_b32_e32 v49, 1
	s_mov_b32 s43, exec_lo
	s_delay_alu instid0(VALU_DEP_2)
	v_cmpx_ne_u32_e32 0x80, v1
	s_cbranch_execz .LBB262_209
; %bb.204:                              ;   in Loop: Header=BB262_13 Depth=1
	v_and_b32_e32 v51, 0x7f, v1
	v_mov_b32_e32 v49, 0x7c010000
	s_mov_b32 s44, exec_lo
	s_delay_alu instid0(VALU_DEP_2)
	v_cmpx_ne_u32_e32 0x7f, v51
	s_cbranch_execz .LBB262_208
; %bb.205:                              ;   in Loop: Header=BB262_13 Depth=1
	v_and_b32_e32 v9, 7, v1
	v_lshrrev_b32_e32 v49, 3, v51
	s_mov_b32 s45, exec_lo
	v_cmpx_gt_u32_e32 8, v51
; %bb.206:                              ;   in Loop: Header=BB262_13 Depth=1
	s_delay_alu instid0(VALU_DEP_3) | instskip(NEXT) | instid1(VALU_DEP_1)
	v_clz_i32_u32_e32 v9, v9
	v_min_u32_e32 v9, 32, v9
	s_delay_alu instid0(VALU_DEP_1) | instskip(NEXT) | instid1(VALU_DEP_1)
	v_subrev_nc_u32_e32 v49, 28, v9
	v_lshlrev_b64_e32 v[51:52], v49, v[1:2]
	v_sub_nc_u32_e32 v49, 29, v9
	s_delay_alu instid0(VALU_DEP_2)
	v_and_b32_e32 v9, 7, v51
; %bb.207:                              ;   in Loop: Header=BB262_13 Depth=1
	s_or_b32 exec_lo, exec_lo, s45
	v_lshlrev_b32_e32 v1, 8, v1
	s_delay_alu instid0(VALU_DEP_3) | instskip(NEXT) | instid1(VALU_DEP_3)
	v_lshl_add_u32 v49, v49, 10, 0x2000
	v_lshlrev_b32_e32 v9, 23, v9
	s_delay_alu instid0(VALU_DEP_2) | instskip(NEXT) | instid1(VALU_DEP_1)
	v_and_or_b32 v1, 0x8000, v1, v49
	v_lshl_or_b32 v49, v1, 16, v9
.LBB262_208:                            ;   in Loop: Header=BB262_13 Depth=1
	s_or_b32 exec_lo, exec_lo, s44
.LBB262_209:                            ;   in Loop: Header=BB262_13 Depth=1
	s_wait_alu 0xfffe
	s_or_b32 exec_lo, exec_lo, s43
.LBB262_210:                            ;   in Loop: Header=BB262_13 Depth=1
	s_wait_alu 0xfffe
	s_or_b32 exec_lo, exec_lo, s42
	global_load_b32 v9, v[7:8], off offset:768
	v_mov_b32_e32 v51, 0
	s_mov_b32 s42, exec_lo
	s_wait_loadcnt 0x0
	v_dual_mov_b32 v52, 0 :: v_dual_and_b32 v1, 0xff, v9
	s_delay_alu instid0(VALU_DEP_1)
	v_cmpx_ne_u16_e32 0, v1
	s_cbranch_execz .LBB262_218
; %bb.211:                              ;   in Loop: Header=BB262_13 Depth=1
	v_mov_b32_e32 v52, 0x8000
	s_mov_b32 s43, exec_lo
	v_cmpx_ne_u16_e32 0x80, v1
	s_cbranch_execz .LBB262_217
; %bb.212:                              ;   in Loop: Header=BB262_13 Depth=1
	v_and_b32_e32 v53, 0x7f, v9
	v_mov_b32_e32 v52, 0x7c01
	s_mov_b32 s44, exec_lo
	s_delay_alu instid0(VALU_DEP_2)
	v_cmpx_ne_u32_e32 0x7f, v53
	s_cbranch_execz .LBB262_216
; %bb.213:                              ;   in Loop: Header=BB262_13 Depth=1
	v_and_b32_e32 v1, 7, v9
	v_lshrrev_b32_e32 v52, 3, v53
	s_mov_b32 s45, exec_lo
	v_cmpx_gt_u32_e32 8, v53
; %bb.214:                              ;   in Loop: Header=BB262_13 Depth=1
	s_delay_alu instid0(VALU_DEP_3) | instskip(NEXT) | instid1(VALU_DEP_1)
	v_clz_i32_u32_e32 v1, v1
	v_min_u32_e32 v1, 32, v1
	s_delay_alu instid0(VALU_DEP_1) | instskip(NEXT) | instid1(VALU_DEP_1)
	v_subrev_nc_u32_e32 v52, 28, v1
	v_lshlrev_b64_e32 v[53:54], v52, v[9:10]
	v_sub_nc_u32_e32 v52, 29, v1
	s_delay_alu instid0(VALU_DEP_2)
	v_and_b32_e32 v1, 7, v53
; %bb.215:                              ;   in Loop: Header=BB262_13 Depth=1
	s_or_b32 exec_lo, exec_lo, s45
	v_lshlrev_b32_e32 v53, 8, v9
	s_delay_alu instid0(VALU_DEP_3) | instskip(NEXT) | instid1(VALU_DEP_3)
	v_lshl_add_u32 v52, v52, 10, 0x2000
	v_lshlrev_b32_e32 v1, 7, v1
	s_delay_alu instid0(VALU_DEP_3) | instskip(NEXT) | instid1(VALU_DEP_3)
	v_and_b32_e32 v53, 0x8000, v53
	v_and_b32_e32 v52, 0xfc00, v52
	s_delay_alu instid0(VALU_DEP_1)
	v_or3_b32 v52, v53, v52, v1
.LBB262_216:                            ;   in Loop: Header=BB262_13 Depth=1
	s_or_b32 exec_lo, exec_lo, s44
.LBB262_217:                            ;   in Loop: Header=BB262_13 Depth=1
	s_wait_alu 0xfffe
	s_or_b32 exec_lo, exec_lo, s43
.LBB262_218:                            ;   in Loop: Header=BB262_13 Depth=1
	s_wait_alu 0xfffe
	s_or_b32 exec_lo, exec_lo, s42
	v_lshrrev_b16 v1, 8, v9
	s_mov_b32 s42, exec_lo
	s_delay_alu instid0(VALU_DEP_1)
	v_cmpx_ne_u16_e32 0, v1
	s_cbranch_execz .LBB262_226
; %bb.219:                              ;   in Loop: Header=BB262_13 Depth=1
	v_bfrev_b32_e32 v51, 1
	s_mov_b32 s43, exec_lo
	v_cmpx_ne_u16_e32 0x80, v1
	s_cbranch_execz .LBB262_225
; %bb.220:                              ;   in Loop: Header=BB262_13 Depth=1
	v_and_b32_e32 v53, 0xffff, v1
	v_mov_b32_e32 v51, 0x7c010000
	s_mov_b32 s44, exec_lo
	s_delay_alu instid0(VALU_DEP_2) | instskip(NEXT) | instid1(VALU_DEP_1)
	v_and_b32_e32 v55, 0x7f, v53
	v_cmpx_ne_u32_e32 0x7f, v55
	s_cbranch_execz .LBB262_224
; %bb.221:                              ;   in Loop: Header=BB262_13 Depth=1
	v_and_b32_e32 v51, 7, v53
	v_lshrrev_b32_e32 v54, 3, v55
	s_mov_b32 s45, exec_lo
	v_cmpx_gt_u32_e32 8, v55
; %bb.222:                              ;   in Loop: Header=BB262_13 Depth=1
	s_delay_alu instid0(VALU_DEP_3) | instskip(NEXT) | instid1(VALU_DEP_1)
	v_clz_i32_u32_e32 v51, v51
	v_min_u32_e32 v51, 32, v51
	s_delay_alu instid0(VALU_DEP_1) | instskip(NEXT) | instid1(VALU_DEP_1)
	v_subrev_nc_u32_e32 v54, 28, v51
	v_lshlrev_b64_e32 v[55:56], v54, v[1:2]
	v_sub_nc_u32_e32 v54, 29, v51
	s_delay_alu instid0(VALU_DEP_2)
	v_and_b32_e32 v51, 7, v55
; %bb.223:                              ;   in Loop: Header=BB262_13 Depth=1
	s_or_b32 exec_lo, exec_lo, s45
	v_lshlrev_b32_e32 v1, 8, v53
	s_delay_alu instid0(VALU_DEP_3) | instskip(NEXT) | instid1(VALU_DEP_3)
	v_lshl_add_u32 v53, v54, 10, 0x2000
	v_lshlrev_b32_e32 v51, 23, v51
	s_delay_alu instid0(VALU_DEP_2) | instskip(NEXT) | instid1(VALU_DEP_1)
	v_and_or_b32 v1, 0x8000, v1, v53
	v_lshl_or_b32 v51, v1, 16, v51
.LBB262_224:                            ;   in Loop: Header=BB262_13 Depth=1
	s_or_b32 exec_lo, exec_lo, s44
.LBB262_225:                            ;   in Loop: Header=BB262_13 Depth=1
	s_wait_alu 0xfffe
	s_or_b32 exec_lo, exec_lo, s43
.LBB262_226:                            ;   in Loop: Header=BB262_13 Depth=1
	s_wait_alu 0xfffe
	s_or_b32 exec_lo, exec_lo, s42
	v_lshrrev_b32_e32 v1, 16, v9
	v_mov_b32_e32 v53, 0
	s_mov_b32 s42, exec_lo
	s_delay_alu instid0(VALU_DEP_2) | instskip(NEXT) | instid1(VALU_DEP_1)
	v_dual_mov_b32 v54, 0 :: v_dual_and_b32 v55, 0xff, v1
	v_cmpx_ne_u16_e32 0, v55
	s_cbranch_execz .LBB262_234
; %bb.227:                              ;   in Loop: Header=BB262_13 Depth=1
	v_mov_b32_e32 v54, 0x8000
	s_mov_b32 s43, exec_lo
	v_cmpx_ne_u16_e32 0x80, v55
	s_cbranch_execz .LBB262_233
; %bb.228:                              ;   in Loop: Header=BB262_13 Depth=1
	v_bfe_u32 v56, v9, 16, 7
	v_mov_b32_e32 v54, 0x7c01
	s_mov_b32 s44, exec_lo
	s_delay_alu instid0(VALU_DEP_2)
	v_cmpx_ne_u32_e32 0x7f, v56
	s_cbranch_execz .LBB262_232
; %bb.229:                              ;   in Loop: Header=BB262_13 Depth=1
	v_and_b32_e32 v54, 7, v1
	v_lshrrev_b32_e32 v55, 3, v56
	s_mov_b32 s45, exec_lo
	v_cmpx_gt_u32_e32 8, v56
; %bb.230:                              ;   in Loop: Header=BB262_13 Depth=1
	s_delay_alu instid0(VALU_DEP_3) | instskip(NEXT) | instid1(VALU_DEP_1)
	v_clz_i32_u32_e32 v54, v54
	v_min_u32_e32 v56, 32, v54
	s_delay_alu instid0(VALU_DEP_1) | instskip(NEXT) | instid1(VALU_DEP_1)
	v_subrev_nc_u32_e32 v54, 28, v56
	v_lshlrev_b64_e32 v[54:55], v54, v[1:2]
	v_sub_nc_u32_e32 v55, 29, v56
	s_delay_alu instid0(VALU_DEP_2)
	v_and_b32_e32 v54, 7, v54
; %bb.231:                              ;   in Loop: Header=BB262_13 Depth=1
	s_or_b32 exec_lo, exec_lo, s45
	v_lshlrev_b32_e32 v1, 8, v1
	s_delay_alu instid0(VALU_DEP_3) | instskip(NEXT) | instid1(VALU_DEP_3)
	v_lshl_add_u32 v55, v55, 10, 0x2000
	v_lshlrev_b32_e32 v54, 7, v54
	s_delay_alu instid0(VALU_DEP_3) | instskip(NEXT) | instid1(VALU_DEP_3)
	v_and_b32_e32 v1, 0x8000, v1
	v_and_b32_e32 v55, 0xfc00, v55
	s_delay_alu instid0(VALU_DEP_1)
	v_or3_b32 v54, v1, v55, v54
.LBB262_232:                            ;   in Loop: Header=BB262_13 Depth=1
	s_or_b32 exec_lo, exec_lo, s44
.LBB262_233:                            ;   in Loop: Header=BB262_13 Depth=1
	s_wait_alu 0xfffe
	s_or_b32 exec_lo, exec_lo, s43
.LBB262_234:                            ;   in Loop: Header=BB262_13 Depth=1
	s_wait_alu 0xfffe
	s_or_b32 exec_lo, exec_lo, s42
	s_delay_alu instid0(SALU_CYCLE_1)
	s_mov_b32 s42, exec_lo
	v_cmpx_lt_u32_e32 0xffffff, v9
	s_cbranch_execz .LBB262_242
; %bb.235:                              ;   in Loop: Header=BB262_13 Depth=1
	v_lshrrev_b32_e32 v1, 24, v9
	v_bfrev_b32_e32 v53, 1
	s_mov_b32 s43, exec_lo
	s_delay_alu instid0(VALU_DEP_2)
	v_cmpx_ne_u32_e32 0x80, v1
	s_cbranch_execz .LBB262_241
; %bb.236:                              ;   in Loop: Header=BB262_13 Depth=1
	v_and_b32_e32 v55, 0x7f, v1
	v_mov_b32_e32 v53, 0x7c010000
	s_mov_b32 s44, exec_lo
	s_delay_alu instid0(VALU_DEP_2)
	v_cmpx_ne_u32_e32 0x7f, v55
	s_cbranch_execz .LBB262_240
; %bb.237:                              ;   in Loop: Header=BB262_13 Depth=1
	v_and_b32_e32 v9, 7, v1
	v_lshrrev_b32_e32 v53, 3, v55
	s_mov_b32 s45, exec_lo
	v_cmpx_gt_u32_e32 8, v55
; %bb.238:                              ;   in Loop: Header=BB262_13 Depth=1
	s_delay_alu instid0(VALU_DEP_3) | instskip(NEXT) | instid1(VALU_DEP_1)
	v_clz_i32_u32_e32 v9, v9
	v_min_u32_e32 v9, 32, v9
	s_delay_alu instid0(VALU_DEP_1) | instskip(NEXT) | instid1(VALU_DEP_1)
	v_subrev_nc_u32_e32 v53, 28, v9
	v_lshlrev_b64_e32 v[55:56], v53, v[1:2]
	v_sub_nc_u32_e32 v53, 29, v9
	s_delay_alu instid0(VALU_DEP_2)
	v_and_b32_e32 v9, 7, v55
; %bb.239:                              ;   in Loop: Header=BB262_13 Depth=1
	s_or_b32 exec_lo, exec_lo, s45
	v_lshlrev_b32_e32 v1, 8, v1
	s_delay_alu instid0(VALU_DEP_3) | instskip(NEXT) | instid1(VALU_DEP_3)
	v_lshl_add_u32 v53, v53, 10, 0x2000
	v_lshlrev_b32_e32 v9, 23, v9
	s_delay_alu instid0(VALU_DEP_2) | instskip(NEXT) | instid1(VALU_DEP_1)
	v_and_or_b32 v1, 0x8000, v1, v53
	v_lshl_or_b32 v53, v1, 16, v9
.LBB262_240:                            ;   in Loop: Header=BB262_13 Depth=1
	s_or_b32 exec_lo, exec_lo, s44
.LBB262_241:                            ;   in Loop: Header=BB262_13 Depth=1
	s_wait_alu 0xfffe
	s_or_b32 exec_lo, exec_lo, s43
.LBB262_242:                            ;   in Loop: Header=BB262_13 Depth=1
	s_wait_alu 0xfffe
	s_or_b32 exec_lo, exec_lo, s42
	global_load_b32 v7, v[7:8], off offset:776
	v_mov_b32_e32 v9, 0
	s_mov_b32 s42, exec_lo
	s_wait_loadcnt 0x0
	v_dual_mov_b32 v8, 0 :: v_dual_and_b32 v1, 0xff, v7
	s_delay_alu instid0(VALU_DEP_1)
	v_cmpx_ne_u16_e32 0, v1
	s_cbranch_execz .LBB262_250
; %bb.243:                              ;   in Loop: Header=BB262_13 Depth=1
	v_mov_b32_e32 v9, 0x8000
	s_mov_b32 s43, exec_lo
	v_cmpx_ne_u16_e32 0x80, v1
	s_cbranch_execz .LBB262_249
; %bb.244:                              ;   in Loop: Header=BB262_13 Depth=1
	v_and_b32_e32 v55, 0x7f, v7
	v_mov_b32_e32 v9, 0x7c01
	s_mov_b32 s44, exec_lo
	s_delay_alu instid0(VALU_DEP_2)
	v_cmpx_ne_u32_e32 0x7f, v55
	s_cbranch_execz .LBB262_248
; %bb.245:                              ;   in Loop: Header=BB262_13 Depth=1
	v_and_b32_e32 v1, 7, v7
	v_lshrrev_b32_e32 v9, 3, v55
	s_mov_b32 s45, exec_lo
	v_cmpx_gt_u32_e32 8, v55
; %bb.246:                              ;   in Loop: Header=BB262_13 Depth=1
	s_delay_alu instid0(VALU_DEP_3) | instskip(NEXT) | instid1(VALU_DEP_1)
	v_clz_i32_u32_e32 v1, v1
	v_min_u32_e32 v1, 32, v1
	s_delay_alu instid0(VALU_DEP_1) | instskip(NEXT) | instid1(VALU_DEP_1)
	v_subrev_nc_u32_e32 v9, 28, v1
	v_lshlrev_b64_e32 v[55:56], v9, v[7:8]
	v_sub_nc_u32_e32 v9, 29, v1
	s_delay_alu instid0(VALU_DEP_2)
	v_and_b32_e32 v1, 7, v55
; %bb.247:                              ;   in Loop: Header=BB262_13 Depth=1
	s_or_b32 exec_lo, exec_lo, s45
	v_lshlrev_b32_e32 v55, 8, v7
	s_delay_alu instid0(VALU_DEP_3) | instskip(NEXT) | instid1(VALU_DEP_3)
	v_lshl_add_u32 v9, v9, 10, 0x2000
	v_lshlrev_b32_e32 v1, 7, v1
	s_delay_alu instid0(VALU_DEP_3) | instskip(NEXT) | instid1(VALU_DEP_3)
	v_and_b32_e32 v55, 0x8000, v55
	v_and_b32_e32 v9, 0xfc00, v9
	s_delay_alu instid0(VALU_DEP_1)
	v_or3_b32 v9, v55, v9, v1
.LBB262_248:                            ;   in Loop: Header=BB262_13 Depth=1
	s_or_b32 exec_lo, exec_lo, s44
.LBB262_249:                            ;   in Loop: Header=BB262_13 Depth=1
	s_wait_alu 0xfffe
	s_or_b32 exec_lo, exec_lo, s43
.LBB262_250:                            ;   in Loop: Header=BB262_13 Depth=1
	s_wait_alu 0xfffe
	s_or_b32 exec_lo, exec_lo, s42
	v_lshrrev_b16 v1, 8, v7
	s_mov_b32 s42, exec_lo
	s_delay_alu instid0(VALU_DEP_1)
	v_cmpx_ne_u16_e32 0, v1
	s_cbranch_execz .LBB262_258
; %bb.251:                              ;   in Loop: Header=BB262_13 Depth=1
	v_bfrev_b32_e32 v8, 1
	s_mov_b32 s43, exec_lo
	v_cmpx_ne_u16_e32 0x80, v1
	s_cbranch_execz .LBB262_257
; %bb.252:                              ;   in Loop: Header=BB262_13 Depth=1
	v_and_b32_e32 v55, 0xffff, v1
	v_mov_b32_e32 v8, 0x7c010000
	s_mov_b32 s44, exec_lo
	s_delay_alu instid0(VALU_DEP_2) | instskip(NEXT) | instid1(VALU_DEP_1)
	v_and_b32_e32 v57, 0x7f, v55
	v_cmpx_ne_u32_e32 0x7f, v57
	s_cbranch_execz .LBB262_256
; %bb.253:                              ;   in Loop: Header=BB262_13 Depth=1
	v_and_b32_e32 v8, 7, v55
	v_lshrrev_b32_e32 v56, 3, v57
	s_mov_b32 s45, exec_lo
	v_cmpx_gt_u32_e32 8, v57
; %bb.254:                              ;   in Loop: Header=BB262_13 Depth=1
	s_delay_alu instid0(VALU_DEP_3) | instskip(NEXT) | instid1(VALU_DEP_1)
	v_clz_i32_u32_e32 v8, v8
	v_min_u32_e32 v8, 32, v8
	s_delay_alu instid0(VALU_DEP_1) | instskip(NEXT) | instid1(VALU_DEP_1)
	v_subrev_nc_u32_e32 v56, 28, v8
	v_lshlrev_b64_e32 v[57:58], v56, v[1:2]
	v_sub_nc_u32_e32 v56, 29, v8
	s_delay_alu instid0(VALU_DEP_2)
	v_and_b32_e32 v8, 7, v57
; %bb.255:                              ;   in Loop: Header=BB262_13 Depth=1
	s_or_b32 exec_lo, exec_lo, s45
	v_lshlrev_b32_e32 v1, 8, v55
	s_delay_alu instid0(VALU_DEP_3) | instskip(NEXT) | instid1(VALU_DEP_3)
	v_lshl_add_u32 v55, v56, 10, 0x2000
	v_lshlrev_b32_e32 v8, 23, v8
	s_delay_alu instid0(VALU_DEP_2) | instskip(NEXT) | instid1(VALU_DEP_1)
	v_and_or_b32 v1, 0x8000, v1, v55
	v_lshl_or_b32 v8, v1, 16, v8
.LBB262_256:                            ;   in Loop: Header=BB262_13 Depth=1
	s_or_b32 exec_lo, exec_lo, s44
.LBB262_257:                            ;   in Loop: Header=BB262_13 Depth=1
	s_wait_alu 0xfffe
	s_or_b32 exec_lo, exec_lo, s43
.LBB262_258:                            ;   in Loop: Header=BB262_13 Depth=1
	s_wait_alu 0xfffe
	s_or_b32 exec_lo, exec_lo, s42
	v_lshrrev_b32_e32 v1, 16, v7
	v_mov_b32_e32 v55, 0
	s_mov_b32 s42, exec_lo
	s_delay_alu instid0(VALU_DEP_2) | instskip(NEXT) | instid1(VALU_DEP_1)
	v_dual_mov_b32 v56, 0 :: v_dual_and_b32 v57, 0xff, v1
	v_cmpx_ne_u16_e32 0, v57
	s_cbranch_execz .LBB262_266
; %bb.259:                              ;   in Loop: Header=BB262_13 Depth=1
	v_mov_b32_e32 v56, 0x8000
	s_mov_b32 s43, exec_lo
	v_cmpx_ne_u16_e32 0x80, v57
	s_cbranch_execz .LBB262_265
; %bb.260:                              ;   in Loop: Header=BB262_13 Depth=1
	v_bfe_u32 v58, v7, 16, 7
	v_mov_b32_e32 v56, 0x7c01
	s_mov_b32 s44, exec_lo
	s_delay_alu instid0(VALU_DEP_2)
	v_cmpx_ne_u32_e32 0x7f, v58
	s_cbranch_execz .LBB262_264
; %bb.261:                              ;   in Loop: Header=BB262_13 Depth=1
	v_and_b32_e32 v56, 7, v1
	v_lshrrev_b32_e32 v57, 3, v58
	s_mov_b32 s45, exec_lo
	v_cmpx_gt_u32_e32 8, v58
; %bb.262:                              ;   in Loop: Header=BB262_13 Depth=1
	s_delay_alu instid0(VALU_DEP_3) | instskip(NEXT) | instid1(VALU_DEP_1)
	v_clz_i32_u32_e32 v56, v56
	v_min_u32_e32 v58, 32, v56
	s_delay_alu instid0(VALU_DEP_1) | instskip(NEXT) | instid1(VALU_DEP_1)
	v_subrev_nc_u32_e32 v56, 28, v58
	v_lshlrev_b64_e32 v[56:57], v56, v[1:2]
	v_sub_nc_u32_e32 v57, 29, v58
	s_delay_alu instid0(VALU_DEP_2)
	v_and_b32_e32 v56, 7, v56
; %bb.263:                              ;   in Loop: Header=BB262_13 Depth=1
	s_or_b32 exec_lo, exec_lo, s45
	v_lshlrev_b32_e32 v1, 8, v1
	s_delay_alu instid0(VALU_DEP_3) | instskip(NEXT) | instid1(VALU_DEP_3)
	v_lshl_add_u32 v57, v57, 10, 0x2000
	v_lshlrev_b32_e32 v56, 7, v56
	s_delay_alu instid0(VALU_DEP_3) | instskip(NEXT) | instid1(VALU_DEP_3)
	v_and_b32_e32 v1, 0x8000, v1
	v_and_b32_e32 v57, 0xfc00, v57
	s_delay_alu instid0(VALU_DEP_1)
	v_or3_b32 v56, v1, v57, v56
.LBB262_264:                            ;   in Loop: Header=BB262_13 Depth=1
	s_or_b32 exec_lo, exec_lo, s44
.LBB262_265:                            ;   in Loop: Header=BB262_13 Depth=1
	s_wait_alu 0xfffe
	s_or_b32 exec_lo, exec_lo, s43
.LBB262_266:                            ;   in Loop: Header=BB262_13 Depth=1
	s_wait_alu 0xfffe
	s_or_b32 exec_lo, exec_lo, s42
	s_delay_alu instid0(SALU_CYCLE_1)
	s_mov_b32 s42, exec_lo
	v_cmpx_lt_u32_e32 0xffffff, v7
	s_cbranch_execz .LBB262_274
; %bb.267:                              ;   in Loop: Header=BB262_13 Depth=1
	v_lshrrev_b32_e32 v1, 24, v7
	v_bfrev_b32_e32 v55, 1
	s_mov_b32 s43, exec_lo
	s_delay_alu instid0(VALU_DEP_2)
	v_cmpx_ne_u32_e32 0x80, v1
	s_cbranch_execz .LBB262_273
; %bb.268:                              ;   in Loop: Header=BB262_13 Depth=1
	v_and_b32_e32 v57, 0x7f, v1
	v_mov_b32_e32 v55, 0x7c010000
	s_mov_b32 s44, exec_lo
	s_delay_alu instid0(VALU_DEP_2)
	v_cmpx_ne_u32_e32 0x7f, v57
	s_cbranch_execz .LBB262_272
; %bb.269:                              ;   in Loop: Header=BB262_13 Depth=1
	v_and_b32_e32 v7, 7, v1
	v_lshrrev_b32_e32 v55, 3, v57
	s_mov_b32 s45, exec_lo
	v_cmpx_gt_u32_e32 8, v57
; %bb.270:                              ;   in Loop: Header=BB262_13 Depth=1
	s_delay_alu instid0(VALU_DEP_3) | instskip(NEXT) | instid1(VALU_DEP_1)
	v_clz_i32_u32_e32 v7, v7
	v_min_u32_e32 v7, 32, v7
	s_delay_alu instid0(VALU_DEP_1) | instskip(NEXT) | instid1(VALU_DEP_1)
	v_subrev_nc_u32_e32 v55, 28, v7
	v_lshlrev_b64_e32 v[57:58], v55, v[1:2]
	v_sub_nc_u32_e32 v55, 29, v7
	s_delay_alu instid0(VALU_DEP_2)
	v_and_b32_e32 v7, 7, v57
; %bb.271:                              ;   in Loop: Header=BB262_13 Depth=1
	s_or_b32 exec_lo, exec_lo, s45
	v_lshlrev_b32_e32 v1, 8, v1
	s_delay_alu instid0(VALU_DEP_3) | instskip(NEXT) | instid1(VALU_DEP_3)
	v_lshl_add_u32 v55, v55, 10, 0x2000
	v_lshlrev_b32_e32 v7, 23, v7
	s_delay_alu instid0(VALU_DEP_2) | instskip(NEXT) | instid1(VALU_DEP_1)
	v_and_or_b32 v1, 0x8000, v1, v55
	v_lshl_or_b32 v55, v1, 16, v7
.LBB262_272:                            ;   in Loop: Header=BB262_13 Depth=1
	s_or_b32 exec_lo, exec_lo, s44
.LBB262_273:                            ;   in Loop: Header=BB262_13 Depth=1
	s_wait_alu 0xfffe
	s_or_b32 exec_lo, exec_lo, s43
.LBB262_274:                            ;   in Loop: Header=BB262_13 Depth=1
	s_wait_alu 0xfffe
	s_or_b32 exec_lo, exec_lo, s42
	ds_load_b64 v[57:58], v20
	v_or_b32_e32 v1, v27, v28
	v_or_b32_e32 v7, v29, v30
	v_fma_mixlo_f16 v27, v26, v27, 0 op_sel:[0,1,0] op_sel_hi:[0,1,0]
	v_fma_mixlo_f16 v28, v26, v29, 0 op_sel:[0,1,0] op_sel_hi:[0,1,0]
	v_or_b32_e32 v32, v31, v32
	v_fma_mixlo_f16 v1, v26, v1, 0 op_sel_hi:[0,1,0]
	v_fma_mixlo_f16 v7, v26, v7, 0 op_sel_hi:[0,1,0]
	v_and_b32_e32 v27, 0xffff, v27
	v_and_b32_e32 v28, 0xffff, v28
	v_fma_mixlo_f16 v31, v26, v31, 0 op_sel:[0,1,0] op_sel_hi:[0,1,0]
	v_and_b32_e32 v29, 0xffff, v1
	v_and_b32_e32 v59, 0xffff, v7
	v_or_b32_e32 v34, v33, v34
	v_fma_mixlo_f16 v33, v26, v33, 0 op_sel:[0,1,0] op_sel_hi:[0,1,0]
	v_fma_mixlo_f16 v32, v26, v32, 0 op_sel_hi:[0,1,0]
	v_and_b32_e32 v61, 0xffff, v31
	v_or_b32_e32 v36, v35, v36
	v_fma_mixlo_f16 v34, v26, v34, 0 op_sel_hi:[0,1,0]
	v_and_b32_e32 v64, 0xffff, v33
	s_wait_dscnt 0x0
	v_and_b32_e32 v1, 0xffff, v57
	v_lshrrev_b32_e32 v30, 16, v57
	v_lshrrev_b32_e32 v60, 16, v58
	v_and_b32_e32 v57, 0xffff, v58
	;;#ASMSTART
	v_cvt_f32_f16 v1, v1;
	;;#ASMEND
	;;#ASMSTART
	v_cvt_f32_f16 v7, v30;
	;;#ASMEND
	;;#ASMSTART
	v_cvt_f32_f16 v29, v29;
	;;#ASMEND
	;;#ASMSTART
	v_cvt_f32_f16 v30, v27;
	;;#ASMEND
	;;#ASMSTART
	v_cvt_f32_f16 v57, v57;
	;;#ASMEND
	;;#ASMSTART
	v_cvt_f32_f16 v58, v60;
	;;#ASMEND
	;;#ASMSTART
	v_cvt_f32_f16 v59, v59;
	;;#ASMEND
	;;#ASMSTART
	v_cvt_f32_f16 v60, v28;
	;;#ASMEND
	ds_load_b64 v[27:28], v20 offset:8
	v_and_b32_e32 v33, 0xffff, v32
	v_and_b32_e32 v63, 0xffff, v34
	v_or_b32_e32 v38, v37, v38
	v_fma_mixlo_f16 v35, v26, v35, 0 op_sel:[0,1,0] op_sel_hi:[0,1,0]
	v_fma_mixlo_f16 v37, v26, v37, 0 op_sel:[0,1,0] op_sel_hi:[0,1,0]
	v_fma_mixlo_f16 v36, v26, v36, 0 op_sel_hi:[0,1,0]
	v_or_b32_e32 v40, v39, v40
	v_fma_mixlo_f16 v38, v26, v38, 0 op_sel_hi:[0,1,0]
	v_and_b32_e32 v65, 0xffff, v35
	v_or_b32_e32 v42, v41, v42
	v_fma_mixlo_f16 v39, v26, v39, 0 op_sel:[0,1,0] op_sel_hi:[0,1,0]
	v_fma_mixlo_f16 v41, v26, v41, 0 op_sel:[0,1,0] op_sel_hi:[0,1,0]
	v_and_b32_e32 v67, 0xffff, v38
	v_fma_mixlo_f16 v40, v26, v40, 0 op_sel_hi:[0,1,0]
	v_fma_mixlo_f16 v42, v26, v42, 0 op_sel_hi:[0,1,0]
	v_and_b32_e32 v69, 0xffff, v39
	v_or_b32_e32 v44, v43, v44
	v_or_b32_e32 v46, v45, v46
	v_fma_mixlo_f16 v43, v26, v43, 0 op_sel:[0,1,0] op_sel_hi:[0,1,0]
	s_wait_dscnt 0x0
	v_and_b32_e32 v31, 0xffff, v27
	;;#ASMSTART
	v_cvt_f32_f16 v31, v31;
	;;#ASMEND
	v_lshrrev_b32_e32 v27, 16, v27
	;;#ASMSTART
	v_cvt_f32_f16 v32, v27;
	;;#ASMEND
	;;#ASMSTART
	v_cvt_f32_f16 v33, v33;
	;;#ASMEND
	v_mul_f32_e32 v31, v31, v33
	v_lshrrev_b32_e32 v62, 16, v28
	v_and_b32_e32 v28, 0xffff, v28
	;;#ASMSTART
	v_cvt_f32_f16 v34, v61;
	;;#ASMEND
	v_and_b32_e32 v71, 0xffff, v42
	v_fmac_f32_e32 v31, v1, v29
	;;#ASMSTART
	v_cvt_f32_f16 v61, v28;
	;;#ASMEND
	;;#ASMSTART
	v_cvt_f32_f16 v62, v62;
	;;#ASMEND
	;; [unrolled: 3-line block ×3, first 2 shown]
	v_mul_f32_e32 v33, v61, v63
	;;#ASMSTART
	v_cvt_f32_f16 v64, v64;
	;;#ASMEND
	ds_load_b64 v[27:28], v20 offset:16
	v_and_b32_e32 v68, 0xffff, v37
	v_and_b32_e32 v37, 0xffff, v36
	v_fmac_f32_e32 v33, v57, v59
	v_fma_mixlo_f16 v45, v26, v45, 0 op_sel:[0,1,0] op_sel_hi:[0,1,0]
	v_fma_mixlo_f16 v44, v26, v44, 0 op_sel_hi:[0,1,0]
	v_fma_mixlo_f16 v46, v26, v46, 0 op_sel_hi:[0,1,0]
	v_and_b32_e32 v73, 0xffff, v43
	v_or_b32_e32 v48, v47, v48
	v_or_b32_e32 v50, v49, v50
	v_fma_mixlo_f16 v47, v26, v47, 0 op_sel:[0,1,0] op_sel_hi:[0,1,0]
	v_and_b32_e32 v75, 0xffff, v46
	v_fma_mixlo_f16 v49, v26, v49, 0 op_sel:[0,1,0] op_sel_hi:[0,1,0]
	v_fma_mixlo_f16 v48, v26, v48, 0 op_sel_hi:[0,1,0]
	v_fma_mixlo_f16 v50, v26, v50, 0 op_sel_hi:[0,1,0]
	v_dual_mul_f32 v32, v32, v34 :: v_dual_and_b32 v77, 0xffff, v47
	v_or_b32_e32 v52, v51, v52
	v_or_b32_e32 v54, v53, v54
	s_delay_alu instid0(VALU_DEP_4)
	v_and_b32_e32 v79, 0xffff, v50
	s_wait_dscnt 0x0
	v_and_b32_e32 v35, 0xffff, v27
	v_lshrrev_b32_e32 v27, 16, v27
	v_lshrrev_b32_e32 v66, 16, v28
	;;#ASMSTART
	v_cvt_f32_f16 v35, v35;
	;;#ASMEND
	;;#ASMSTART
	v_cvt_f32_f16 v36, v27;
	;;#ASMEND
	;; [unrolled: 3-line block ×3, first 2 shown]
	v_dual_fmac_f32 v31, v35, v37 :: v_dual_and_b32 v28, 0xffff, v28
	;;#ASMSTART
	v_cvt_f32_f16 v38, v65;
	;;#ASMEND
	;;#ASMSTART
	v_cvt_f32_f16 v65, v28;
	;;#ASMEND
	;; [unrolled: 3-line block ×5, first 2 shown]
	ds_load_b64 v[27:28], v20 offset:24
	v_dual_fmac_f32 v33, v65, v67 :: v_dual_and_b32 v72, 0xffff, v41
	v_dual_fmac_f32 v32, v7, v30 :: v_dual_and_b32 v41, 0xffff, v40
	v_fma_mixlo_f16 v51, v26, v51, 0 op_sel:[0,1,0] op_sel_hi:[0,1,0]
	v_or_b32_e32 v9, v8, v9
	v_fma_mixlo_f16 v81, v26, v8, 0 op_sel:[0,1,0] op_sel_hi:[0,1,0]
	v_fma_mixlo_f16 v8, v26, v52, 0 op_sel_hi:[0,1,0]
	v_fma_mixlo_f16 v53, v26, v53, 0 op_sel:[0,1,0] op_sel_hi:[0,1,0]
	v_fma_mixlo_f16 v52, v26, v54, 0 op_sel_hi:[0,1,0]
	v_fmac_f32_e32 v32, v36, v38
	v_dual_mul_f32 v34, v62, v64 :: v_dual_and_b32 v51, 0xffff, v51
	s_delay_alu instid0(VALU_DEP_4) | instskip(SKIP_2) | instid1(VALU_DEP_4)
	v_and_b32_e32 v53, 0xffff, v53
	v_or_b32_e32 v56, v55, v56
	v_fma_mixlo_f16 v9, v26, v9, 0 op_sel_hi:[0,1,0]
	v_fmac_f32_e32 v34, v58, v60
	v_fma_mixlo_f16 v55, v26, v55, 0 op_sel:[0,1,0] op_sel_hi:[0,1,0]
	s_wait_dscnt 0x0
	v_and_b32_e32 v39, 0xffff, v27
	v_lshrrev_b32_e32 v27, 16, v27
	v_lshrrev_b32_e32 v70, 16, v28
	;;#ASMSTART
	v_cvt_f32_f16 v39, v39;
	;;#ASMEND
	;;#ASMSTART
	v_cvt_f32_f16 v40, v27;
	;;#ASMEND
	;; [unrolled: 3-line block ×3, first 2 shown]
	v_dual_fmac_f32 v31, v39, v41 :: v_dual_and_b32 v28, 0xffff, v28
	;;#ASMSTART
	v_cvt_f32_f16 v42, v69;
	;;#ASMEND
	;;#ASMSTART
	v_cvt_f32_f16 v69, v28;
	;;#ASMEND
	;; [unrolled: 3-line block ×5, first 2 shown]
	ds_load_b64 v[27:28], v20 offset:32
	v_dual_fmac_f32 v33, v69, v71 :: v_dual_and_b32 v76, 0xffff, v45
	v_dual_fmac_f32 v32, v40, v42 :: v_dual_and_b32 v45, 0xffff, v44
	v_fmac_f32_e32 v34, v66, v68
	v_fma_mixlo_f16 v26, v26, v56, 0 op_sel_hi:[0,1,0]
	s_delay_alu instid0(VALU_DEP_2)
	v_dual_fmac_f32 v34, v70, v72 :: v_dual_and_b32 v9, 0xffff, v9
	s_wait_dscnt 0x0
	v_and_b32_e32 v43, 0xffff, v27
	v_lshrrev_b32_e32 v27, 16, v27
	v_lshrrev_b32_e32 v74, 16, v28
	;;#ASMSTART
	v_cvt_f32_f16 v43, v43;
	;;#ASMEND
	;;#ASMSTART
	v_cvt_f32_f16 v44, v27;
	;;#ASMEND
	;; [unrolled: 3-line block ×3, first 2 shown]
	v_dual_fmac_f32 v31, v43, v45 :: v_dual_and_b32 v28, 0xffff, v28
	;;#ASMSTART
	v_cvt_f32_f16 v46, v73;
	;;#ASMEND
	;;#ASMSTART
	v_cvt_f32_f16 v73, v28;
	;;#ASMEND
	;; [unrolled: 3-line block ×5, first 2 shown]
	ds_load_b64 v[27:28], v20 offset:40
	v_dual_fmac_f32 v33, v73, v75 :: v_dual_and_b32 v80, 0xffff, v49
	v_dual_fmac_f32 v32, v44, v46 :: v_dual_and_b32 v49, 0xffff, v48
	s_wait_dscnt 0x0
	v_dual_fmac_f32 v34, v74, v76 :: v_dual_and_b32 v47, 0xffff, v27
	v_lshrrev_b32_e32 v27, 16, v27
	v_lshrrev_b32_e32 v78, 16, v28
	;;#ASMSTART
	v_cvt_f32_f16 v47, v47;
	;;#ASMEND
	;;#ASMSTART
	v_cvt_f32_f16 v48, v27;
	;;#ASMEND
	;; [unrolled: 3-line block ×3, first 2 shown]
	v_dual_fmac_f32 v31, v47, v49 :: v_dual_and_b32 v28, 0xffff, v28
	;;#ASMSTART
	v_cvt_f32_f16 v50, v77;
	;;#ASMEND
	;;#ASMSTART
	v_cvt_f32_f16 v77, v28;
	;;#ASMEND
	;;#ASMSTART
	v_cvt_f32_f16 v78, v78;
	;;#ASMEND
	;;#ASMSTART
	v_cvt_f32_f16 v79, v79;
	;;#ASMEND
	;;#ASMSTART
	v_cvt_f32_f16 v80, v80;
	;;#ASMEND
	ds_load_b64 v[27:28], v20 offset:48
	v_dual_fmac_f32 v33, v77, v79 :: v_dual_and_b32 v8, 0xffff, v8
	v_fmac_f32_e32 v32, v48, v50
	s_wait_dscnt 0x0
	v_dual_fmac_f32 v34, v78, v80 :: v_dual_and_b32 v1, 0xffff, v27
	v_lshrrev_b32_e32 v7, 16, v27
	v_lshrrev_b32_e32 v35, 16, v28
	v_and_b32_e32 v30, 0xffff, v28
	;;#ASMSTART
	v_cvt_f32_f16 v1, v1;
	;;#ASMEND
	;;#ASMSTART
	v_cvt_f32_f16 v27, v7;
	;;#ASMEND
	;;#ASMSTART
	v_cvt_f32_f16 v28, v8;
	;;#ASMEND
	;;#ASMSTART
	v_cvt_f32_f16 v29, v51;
	;;#ASMEND
	;;#ASMSTART
	v_cvt_f32_f16 v30, v30;
	;;#ASMEND
	v_and_b32_e32 v52, 0xffff, v52
	;;#ASMSTART
	v_cvt_f32_f16 v35, v35;
	;;#ASMEND
	;;#ASMSTART
	v_cvt_f32_f16 v37, v52;
	;;#ASMEND
	;; [unrolled: 3-line block ×3, first 2 shown]
	ds_load_b64 v[7:8], v20 offset:56
	v_dual_fmac_f32 v31, v1, v28 :: v_dual_and_b32 v36, 0xffff, v81
	v_fmac_f32_e32 v32, v27, v29
	v_dual_fmac_f32 v33, v30, v37 :: v_dual_fmac_f32 v34, v35, v51
	s_wait_dscnt 0x0
	v_and_b32_e32 v1, 0xffff, v7
	v_lshrrev_b32_e32 v7, 16, v7
	;;#ASMSTART
	v_cvt_f32_f16 v1, v1;
	;;#ASMEND
	;;#ASMSTART
	v_cvt_f32_f16 v7, v7;
	;;#ASMEND
	v_and_b32_e32 v28, 0xffff, v8
	v_lshrrev_b32_e32 v8, 16, v8
	;;#ASMSTART
	v_cvt_f32_f16 v9, v9;
	;;#ASMEND
	;;#ASMSTART
	v_cvt_f32_f16 v27, v36;
	;;#ASMEND
	v_dual_fmac_f32 v31, v1, v9 :: v_dual_fmac_f32 v32, v7, v27
	;;#ASMSTART
	v_cvt_f32_f16 v1, v28;
	;;#ASMEND
	v_and_b32_e32 v26, 0xffff, v26
	;;#ASMSTART
	v_cvt_f32_f16 v7, v8;
	;;#ASMEND
	;;#ASMSTART
	v_cvt_f32_f16 v8, v26;
	;;#ASMEND
	v_fmac_f32_e32 v33, v1, v8
	v_xor_b32_e32 v8, 1, v18
	v_add_f32_e32 v1, v31, v32
	v_and_b32_e32 v9, 0xffff, v55
	;;#ASMSTART
	v_cvt_f32_f16 v9, v9;
	;;#ASMEND
	s_delay_alu instid0(VALU_DEP_1) | instskip(SKIP_3) | instid1(VALU_DEP_2)
	v_fmac_f32_e32 v34, v7, v9
	v_cmp_gt_i32_e64 s4, 32, v8
	v_add_f32_e32 v1, v1, v33
	s_wait_alu 0xf1ff
	v_cndmask_b32_e64 v7, v18, v8, s4
	s_delay_alu instid0(VALU_DEP_2) | instskip(NEXT) | instid1(VALU_DEP_2)
	v_add_f32_e32 v1, v34, v1
	v_lshlrev_b32_e32 v7, 2, v7
	ds_bpermute_b32 v7, v7, v1
	s_and_saveexec_b32 s42, s3
	s_cbranch_execz .LBB262_11
; %bb.275:                              ;   in Loop: Header=BB262_13 Depth=1
	s_wait_dscnt 0x0
	v_dual_add_f32 v1, v1, v7 :: v_dual_add_nc_u32 v8, v22, v21
	s_delay_alu instid0(VALU_DEP_1) | instskip(NEXT) | instid1(VALU_DEP_1)
	v_cvt_f32_i32_e32 v8, v8
	v_mul_f32_e32 v8, s30, v8
	s_delay_alu instid0(VALU_DEP_1) | instskip(NEXT) | instid1(VALU_DEP_1)
	v_dual_cndmask_b32 v7, 0, v8 :: v_dual_max_num_f32 v8, v19, v19
	v_fmac_f32_e32 v7, s7, v1
	s_delay_alu instid0(VALU_DEP_1) | instskip(NEXT) | instid1(VALU_DEP_1)
	v_dual_max_num_f32 v8, v8, v7 :: v_dual_add_nc_u32 v1, v17, v21
	v_cmp_gt_i32_e64 s4, s34, v1
	s_wait_alu 0xf1ff
	s_delay_alu instid0(VALU_DEP_1) | instskip(NEXT) | instid1(VALU_DEP_3)
	v_cndmask_b32_e64 v1, 0, v7, s4
	v_cndmask_b32_e64 v19, v19, v8, s4
	ds_store_b32 v23, v1
	s_branch .LBB262_11
.LBB262_276:
	s_or_b32 exec_lo, exec_lo, s40
.LBB262_277:
	s_delay_alu instid0(SALU_CYCLE_1)
	s_or_b32 exec_lo, exec_lo, s6
	v_xor_b32_e32 v1, 16, v18
	v_xor_b32_e32 v2, 8, v18
	s_clause 0x2
	s_load_b128 s[4:7], s[0:1], 0x0
	s_load_b64 s[8:9], s[0:1], 0x10
	s_load_b64 s[30:31], s[0:1], 0x28
	v_and_b32_e32 v17, 31, v0
	s_wait_dscnt 0x0
	v_lshlrev_b32_e32 v7, 2, v13
	v_cmp_gt_i32_e32 vcc_lo, 32, v1
	s_wait_alu 0xfffd
	v_cndmask_b32_e32 v1, v18, v1, vcc_lo
	v_cmp_gt_i32_e32 vcc_lo, 32, v2
	s_wait_alu 0xfffd
	v_dual_max_num_f32 v5, v19, v19 :: v_dual_cndmask_b32 v2, v18, v2
	s_delay_alu instid0(VALU_DEP_1) | instskip(SKIP_4) | instid1(VALU_DEP_1)
	v_lshlrev_b32_e32 v4, 2, v2
	v_lshlrev_b32_e32 v3, 2, v1
	ds_bpermute_b32 v1, v3, v19
	s_wait_dscnt 0x0
	v_max_num_f32_e32 v1, v1, v1
	v_max_num_f32_e32 v1, v5, v1
	v_xor_b32_e32 v5, 4, v18
	ds_bpermute_b32 v2, v4, v1
	v_cmp_gt_i32_e32 vcc_lo, 32, v5
	s_wait_alu 0xfffd
	v_cndmask_b32_e32 v5, v18, v5, vcc_lo
	s_wait_dscnt 0x0
	v_max_num_f32_e32 v2, v2, v2
	s_delay_alu instid0(VALU_DEP_2) | instskip(SKIP_1) | instid1(VALU_DEP_3)
	v_lshlrev_b32_e32 v6, 2, v5
	v_xor_b32_e32 v5, 2, v18
	v_max_num_f32_e32 v1, v1, v2
	s_delay_alu instid0(VALU_DEP_2)
	v_cmp_gt_i32_e32 vcc_lo, 32, v5
	ds_bpermute_b32 v2, v6, v1
	s_wait_alu 0xfffd
	v_cndmask_b32_e32 v5, v18, v5, vcc_lo
	v_cmp_eq_u32_e32 vcc_lo, 0, v17
	s_wait_dscnt 0x0
	v_max_num_f32_e32 v2, v2, v2
	s_delay_alu instid0(VALU_DEP_1)
	v_dual_max_num_f32 v1, v1, v2 :: v_dual_lshlrev_b32 v2, 2, v5
	ds_bpermute_b32 v5, v2, v1
	s_and_saveexec_b32 s0, vcc_lo
	s_cbranch_execz .LBB262_279
; %bb.278:
	s_wait_dscnt 0x0
	v_max_num_f32_e32 v5, v5, v5
	v_max_num_f32_e32 v1, v1, v1
	s_delay_alu instid0(VALU_DEP_1)
	v_max_num_f32_e32 v1, v1, v5
	ds_store_b32 v7, v1 offset:128
.LBB262_279:
	s_or_b32 exec_lo, exec_lo, s0
	v_cmp_gt_u32_e64 s0, 4, v17
	v_dual_mov_b32 v1, 0xff7fffff :: v_dual_lshlrev_b32 v8, 2, v17
	s_wait_loadcnt_dscnt 0x0
	s_barrier_signal -1
	s_barrier_wait -1
	global_inv scope:SCOPE_SE
	s_and_saveexec_b32 s1, s0
; %bb.280:
	ds_load_b32 v1, v8 offset:128
; %bb.281:
	s_or_b32 exec_lo, exec_lo, s1
	s_wait_dscnt 0x0
	ds_bpermute_b32 v5, v2, v1
	v_xor_b32_e32 v9, 1, v18
	v_max_num_f32_e32 v1, v1, v1
	s_delay_alu instid0(VALU_DEP_2) | instskip(NEXT) | instid1(VALU_DEP_1)
	v_cmp_gt_i32_e64 s1, 32, v9
	v_cndmask_b32_e64 v9, v18, v9, s1
	s_sub_co_i32 s1, s23, s38
	s_wait_alu 0xfffe
	s_lshl_b32 s1, s1, 4
	s_delay_alu instid0(VALU_DEP_1)
	v_dual_mov_b32 v9, 0 :: v_dual_lshlrev_b32 v18, 2, v9
	s_wait_alu 0xfffe
	s_add_co_i32 s1, s1, s35
	s_wait_alu 0xfffe
	s_min_i32 s1, s1, s34
	s_wait_dscnt 0x0
	v_max_num_f32_e32 v5, v5, v5
	s_wait_alu 0xfffe
	s_sub_co_i32 s19, s1, s35
	s_wait_alu 0xfffe
	v_cmp_gt_i32_e64 s1, s19, v0
	v_max_num_f32_e32 v1, v1, v5
	ds_bpermute_b32 v5, v18, v1
	s_wait_dscnt 0x0
	v_max_num_f32_e32 v5, v5, v5
	s_delay_alu instid0(VALU_DEP_1)
	v_max_num_f32_e32 v1, v1, v5
	v_lshl_add_u32 v5, v0, 2, 0xa0
	ds_bpermute_b32 v1, v9, v1
	s_and_saveexec_b32 s35, s1
	s_cbranch_execz .LBB262_285
; %bb.282:
	v_lshl_add_u32 v19, v0, 2, 0xa0
	v_dual_mov_b32 v9, 0 :: v_dual_mov_b32 v20, v0
	s_mov_b32 s38, 0
.LBB262_283:                            ; =>This Inner Loop Header: Depth=1
	ds_load_b32 v21, v19
	v_add_nc_u32_e32 v20, 0x80, v20
	s_delay_alu instid0(VALU_DEP_1) | instskip(SKIP_4) | instid1(VALU_DEP_1)
	v_cmp_le_i32_e64 s3, s19, v20
	s_wait_alu 0xfffe
	s_or_b32 s38, s3, s38
	s_wait_dscnt 0x0
	v_sub_f32_e32 v21, v21, v1
	v_mul_f32_e32 v21, 0x3fb8aa3b, v21
	s_delay_alu instid0(VALU_DEP_1)
	v_exp_f32_e32 v21, v21
	ds_store_b32 v19, v21
	v_add_f32_e32 v9, v9, v21
	v_add_nc_u32_e32 v19, 0x200, v19
	s_wait_alu 0xfffe
	s_and_not1_b32 exec_lo, exec_lo, s38
	s_cbranch_execnz .LBB262_283
; %bb.284:
	s_or_b32 exec_lo, exec_lo, s38
.LBB262_285:
	s_wait_alu 0xfffe
	s_or_b32 exec_lo, exec_lo, s35
	ds_bpermute_b32 v3, v3, v9
	s_wait_dscnt 0x0
	v_add_f32_e32 v3, v9, v3
	ds_bpermute_b32 v4, v4, v3
	s_wait_dscnt 0x0
	v_add_f32_e32 v3, v3, v4
	ds_bpermute_b32 v4, v6, v3
	s_wait_dscnt 0x0
	v_add_f32_e32 v3, v3, v4
	ds_bpermute_b32 v4, v2, v3
	s_wait_dscnt 0x0
	v_add_f32_e32 v3, v3, v4
	ds_bpermute_b32 v4, v18, v3
	s_wait_dscnt 0x0
	v_add_f32_e32 v3, v3, v4
	s_and_saveexec_b32 s3, vcc_lo
; %bb.286:
	ds_store_b32 v7, v3 offset:144
; %bb.287:
	s_wait_alu 0xfffe
	s_or_b32 exec_lo, exec_lo, s3
	s_wait_loadcnt_dscnt 0x0
	s_barrier_signal -1
	s_barrier_wait -1
	global_inv scope:SCOPE_SE
	s_and_saveexec_b32 s3, s0
; %bb.288:
	ds_load_b32 v3, v8 offset:144
; %bb.289:
	s_wait_alu 0xfffe
	s_or_b32 exec_lo, exec_lo, s3
	s_wait_dscnt 0x0
	ds_bpermute_b32 v2, v2, v3
	s_wait_dscnt 0x0
	v_add_f32_e32 v2, v3, v2
	ds_bpermute_b32 v3, v18, v2
	s_wait_dscnt 0x0
	v_dual_add_f32 v2, v2, v3 :: v_dual_mov_b32 v3, 0
	ds_bpermute_b32 v2, v3, v2
	s_and_saveexec_b32 s0, s1
	s_cbranch_execz .LBB262_292
; %bb.290:
	s_wait_dscnt 0x0
	v_add_f32_e32 v3, 0x358637bd, v2
	s_mov_b32 s1, 0
	s_delay_alu instid0(VALU_DEP_1) | instskip(SKIP_1) | instid1(VALU_DEP_2)
	v_div_scale_f32 v4, null, v3, v3, 1.0
	v_div_scale_f32 v8, vcc_lo, 1.0, v3, 1.0
	v_rcp_f32_e32 v6, v4
	s_delay_alu instid0(TRANS32_DEP_1) | instskip(NEXT) | instid1(VALU_DEP_1)
	v_fma_f32 v7, -v4, v6, 1.0
	v_fmac_f32_e32 v6, v7, v6
	s_delay_alu instid0(VALU_DEP_1) | instskip(NEXT) | instid1(VALU_DEP_1)
	v_mul_f32_e32 v7, v8, v6
	v_fma_f32 v9, -v4, v7, v8
	s_delay_alu instid0(VALU_DEP_1) | instskip(NEXT) | instid1(VALU_DEP_1)
	v_fmac_f32_e32 v7, v9, v6
	v_fma_f32 v4, -v4, v7, v8
	s_wait_alu 0xfffd
	s_delay_alu instid0(VALU_DEP_1) | instskip(NEXT) | instid1(VALU_DEP_1)
	v_div_fmas_f32 v4, v4, v6, v7
	v_div_fixup_f32 v3, v4, v3, 1.0
	v_mov_b32_e32 v4, v0
.LBB262_291:                            ; =>This Inner Loop Header: Depth=1
	ds_load_b32 v6, v5
	v_add_nc_u32_e32 v4, 0x80, v4
	s_delay_alu instid0(VALU_DEP_1)
	v_cmp_le_i32_e32 vcc_lo, s19, v4
	s_wait_alu 0xfffe
	s_or_b32 s1, vcc_lo, s1
	s_wait_dscnt 0x0
	v_mul_f32_e32 v6, v3, v6
	ds_store_b32 v5, v6
	v_add_nc_u32_e32 v5, 0x200, v5
	s_wait_alu 0xfffe
	s_and_not1_b32 exec_lo, exec_lo, s1
	s_cbranch_execnz .LBB262_291
.LBB262_292:
	s_wait_alu 0xfffe
	s_or_b32 exec_lo, exec_lo, s0
	s_mul_i32 s0, s12, s28
	s_wait_loadcnt_dscnt 0x0
	s_wait_alu 0xfffe
	s_mul_i32 s28, s0, s29
	s_mov_b32 s0, exec_lo
	s_barrier_signal -1
	s_barrier_wait -1
	global_inv scope:SCOPE_SE
	v_cmpx_eq_u32_e32 0, v0
	s_cbranch_execz .LBB262_294
; %bb.293:
	s_ashr_i32 s29, s28, 31
	s_wait_alu 0xfffe
	s_mul_i32 s38, s12, ttmp9
	s_lshl_b32 s1, s33, 2
	s_lshl_b64 s[40:41], s[28:29], 2
	s_wait_alu 0xfffe
	s_ashr_i32 s39, s38, 31
	v_mov_b32_e32 v3, s1
	s_wait_kmcnt 0x0
	s_add_nc_u64 s[6:7], s[6:7], s[40:41]
	s_wait_alu 0xfffe
	s_lshl_b64 s[38:39], s[38:39], 2
	s_add_nc_u64 s[4:5], s[4:5], s[40:41]
	s_wait_alu 0xfffe
	s_add_nc_u64 s[6:7], s[6:7], s[38:39]
	s_add_nc_u64 s[4:5], s[4:5], s[38:39]
	s_clause 0x1
	global_store_b32 v3, v1, s[6:7]
	global_store_b32 v3, v2, s[4:5]
.LBB262_294:
	s_wait_alu 0xfffe
	s_or_b32 exec_lo, exec_lo, s0
	v_dual_mov_b32 v23, 0 :: v_dual_mov_b32 v22, 0
	v_mov_b32_e32 v21, 0
	v_mov_b32_e32 v19, 0
	s_and_saveexec_b32 s1, s2
	s_cbranch_execz .LBB262_564
; %bb.295:
	s_wait_kmcnt 0x0
	s_abs_i32 s4, s14
	v_dual_mov_b32 v21, 0 :: v_dual_lshlrev_b32 v6, 5, v12
	s_wait_alu 0xfffe
	s_cvt_f32_u32 s0, s4
	s_lshl_b64 s[26:27], s[26:27], 2
	v_dual_mov_b32 v2, 0 :: v_dual_and_b32 v5, 0xf8, v10
	s_wait_alu 0xfffe
	v_rcp_iflag_f32_e32 v1, s0
	s_ashr_i32 s19, s18, 31
	s_add_nc_u64 s[24:25], s[24:25], s[26:27]
	s_sub_co_i32 s5, s37, s13
	s_wait_alu 0xfffe
	s_add_nc_u64 s[18:19], s[30:31], s[18:19]
	v_add_co_u32 v3, s13, s24, v16
	s_sub_co_i32 s7, 0, s4
	v_add_co_ci_u32_e64 v4, null, s25, 0, s13
	s_delay_alu instid0(TRANS32_DEP_1)
	v_readfirstlane_b32 s0, v1
	v_lshl_or_b32 v1, v13, 6, v6
	s_wait_alu 0xfffe
	v_add_co_u32 v5, s13, s18, v5
	v_dual_mov_b32 v19, 0 :: v_dual_and_b32 v20, 8, v10
	s_mul_f32 s0, s0, 0x4f7ffffe
	v_add_co_ci_u32_e64 v6, null, s19, 0, s13
	v_dual_mov_b32 v23, 0 :: v_dual_add_nc_u32 v16, 0xa0, v1
	s_wait_alu 0xfffe
	s_cvt_u32_f32 s0, s0
	v_mov_b32_e32 v22, 0
	s_mov_b32 s2, -1
	s_mov_b32 s6, s17
	s_wait_alu 0xfffe
	s_mul_i32 s7, s7, s0
	s_mov_b32 s3, 0xffffff
	s_wait_alu 0xfffe
	s_mul_hi_u32 s13, s0, s7
	s_add_co_i32 s36, s36, -1
	s_mov_b32 s7, 0
	s_wait_alu 0xfffe
	s_add_co_i32 s13, s0, s13
	s_branch .LBB262_298
.LBB262_296:                            ;   in Loop: Header=BB262_298 Depth=1
	s_wait_alu 0xfffe
	s_or_b32 exec_lo, exec_lo, s0
	;;#ASMSTART
	v_pk_mul_f16 v24, v37, v42;

	;;#ASMEND
	;;#ASMSTART
	v_pk_mul_f16 v8, v36, v8;

	;;#ASMEND
	;; [unrolled: 4-line block ×4, first 2 shown]
	;;#ASMSTART
	v_pk_add_f16 v8, v24, v8;

	;;#ASMEND
	;;#ASMSTART
	v_pk_add_f16 v7, v8, v7;

	;;#ASMEND
	;; [unrolled: 4-line block ×3, first 2 shown]
	v_and_b32_e32 v24, 0xffff, v1
	v_lshrrev_b32_e32 v25, 16, v1
	v_add_f32_e32 v1, v9, v10
	;;#ASMSTART
	v_cvt_f32_f16 v9, v24;
	;;#ASMEND
	v_dual_add_f32 v7, v38, v39 :: v_dual_add_f32 v8, v32, v33
	;;#ASMSTART
	v_cvt_f32_f16 v10, v25;
	;;#ASMEND
	v_add_f32_e32 v9, v9, v10
	s_delay_alu instid0(VALU_DEP_2) | instskip(NEXT) | instid1(VALU_DEP_3)
	v_dual_add_f32 v21, v21, v1 :: v_dual_add_f32 v22, v22, v7
	v_add_f32_e32 v23, v23, v8
	s_delay_alu instid0(VALU_DEP_3)
	v_add_f32_e32 v19, v19, v9
.LBB262_297:                            ;   in Loop: Header=BB262_298 Depth=1
	s_wait_alu 0xfffe
	s_or_b32 exec_lo, exec_lo, s14
	v_add_nc_u32_e32 v15, 4, v15
	v_add_co_u32 v3, s0, v3, 16
	s_wait_alu 0xf1ff
	v_add_co_ci_u32_e64 v4, null, 0, v4, s0
	s_delay_alu instid0(VALU_DEP_3)
	v_cmp_le_i32_e32 vcc_lo, s23, v15
	v_add_nc_u32_e32 v14, 64, v14
	v_add_nc_u32_e32 v16, 0x100, v16
	s_or_b32 s7, vcc_lo, s7
	s_wait_alu 0xfffe
	s_and_not1_b32 exec_lo, exec_lo, s7
	s_cbranch_execz .LBB262_563
.LBB262_298:                            ; =>This Inner Loop Header: Depth=1
	v_sub_nc_u32_e32 v1, 0, v14
	s_delay_alu instid0(VALU_DEP_1) | instskip(NEXT) | instid1(VALU_DEP_1)
	v_max_i32_e32 v1, v14, v1
	v_mul_hi_u32 v7, v1, s22
	s_delay_alu instid0(VALU_DEP_1) | instskip(NEXT) | instid1(VALU_DEP_1)
	v_mul_lo_u32 v8, v7, s16
	v_sub_nc_u32_e32 v1, v1, v8
	s_delay_alu instid0(VALU_DEP_1) | instskip(SKIP_2) | instid1(VALU_DEP_2)
	v_subrev_nc_u32_e32 v9, s16, v1
	v_cmp_le_u32_e32 vcc_lo, s16, v1
	s_wait_alu 0xfffd
	v_dual_cndmask_b32 v1, v1, v9 :: v_dual_add_nc_u32 v8, 1, v7
	s_delay_alu instid0(VALU_DEP_1) | instskip(SKIP_1) | instid1(VALU_DEP_3)
	v_cndmask_b32_e32 v7, v7, v8, vcc_lo
	v_ashrrev_i32_e32 v8, 31, v14
	v_cmp_le_u32_e32 vcc_lo, s16, v1
	s_delay_alu instid0(VALU_DEP_3) | instskip(NEXT) | instid1(VALU_DEP_3)
	v_add_nc_u32_e32 v9, 1, v7
	v_xor_b32_e32 v8, s15, v8
	s_wait_alu 0xfffd
	s_delay_alu instid0(VALU_DEP_2) | instskip(NEXT) | instid1(VALU_DEP_1)
	v_cndmask_b32_e32 v1, v7, v9, vcc_lo
	v_xor_b32_e32 v1, v1, v8
	s_delay_alu instid0(VALU_DEP_1) | instskip(NEXT) | instid1(VALU_DEP_1)
	v_sub_nc_u32_e32 v1, v1, v8
	v_add_nc_u32_e32 v7, s21, v1
	v_cmp_lt_i32_e64 s0, s5, v1
	s_delay_alu instid0(VALU_DEP_2) | instskip(NEXT) | instid1(VALU_DEP_1)
	v_sub_nc_u32_e32 v8, 0, v7
	v_max_i32_e32 v8, v7, v8
	v_ashrrev_i32_e32 v7, 31, v7
	s_wait_alu 0xfffe
	s_delay_alu instid0(VALU_DEP_2) | instskip(NEXT) | instid1(VALU_DEP_1)
	v_mul_hi_u32 v9, v8, s13
	v_mul_lo_u32 v9, v9, s4
	s_delay_alu instid0(VALU_DEP_1) | instskip(NEXT) | instid1(VALU_DEP_1)
	v_sub_nc_u32_e32 v8, v8, v9
	v_subrev_nc_u32_e32 v9, s4, v8
	v_cmp_le_u32_e32 vcc_lo, s4, v8
	s_wait_alu 0xfffd
	s_delay_alu instid0(VALU_DEP_2) | instskip(NEXT) | instid1(VALU_DEP_1)
	v_cndmask_b32_e32 v8, v8, v9, vcc_lo
	v_subrev_nc_u32_e32 v9, s4, v8
	v_cmp_le_u32_e32 vcc_lo, s4, v8
	s_wait_alu 0xfffd
	s_delay_alu instid0(VALU_DEP_2) | instskip(NEXT) | instid1(VALU_DEP_1)
	v_cndmask_b32_e32 v8, v8, v9, vcc_lo
	v_xor_b32_e32 v8, v8, v7
	s_delay_alu instid0(VALU_DEP_1) | instskip(NEXT) | instid1(VALU_DEP_1)
	v_sub_nc_u32_e32 v7, v8, v7
	v_cmp_eq_u32_e32 vcc_lo, 0, v7
	s_or_b32 s0, vcc_lo, s0
	s_wait_alu 0xfffe
	s_and_saveexec_b32 s14, s0
	s_cbranch_execz .LBB262_297
; %bb.299:                              ;   in Loop: Header=BB262_298 Depth=1
	global_load_b32 v1, v[3:4], off
	ds_load_2addr_b64 v[24:27], v16 offset1:1
	ds_load_2addr_b64 v[28:31], v16 offset0:2 offset1:3
	s_mov_b32 s0, exec_lo
	s_wait_dscnt 0x1
	;;#ASMSTART
	v_cvt_f16_f32 v32, v24;

	;;#ASMEND
	;;#ASMSTART
	v_cvt_f16_f32 v33, v25;

	;;#ASMEND
	;; [unrolled: 4-line block ×4, first 2 shown]
	s_wait_dscnt 0x0
	;;#ASMSTART
	v_cvt_f16_f32 v37, v28;

	;;#ASMEND
	;;#ASMSTART
	v_cvt_f16_f32 v35, v29;

	;;#ASMEND
	;;#ASMSTART
	v_cvt_f16_f32 v39, v30;

	;;#ASMEND
	;;#ASMSTART
	v_cvt_f16_f32 v38, v31;

	;;#ASMEND
	v_mov_b32_e32 v27, 0
	s_wait_loadcnt 0x0
	v_mad_co_i64_i32 v[7:8], null, v1, s6, v[5:6]
	global_load_b64 v[9:10], v[7:8], off
	s_wait_loadcnt 0x0
	v_dual_mov_b32 v26, 0 :: v_dual_and_b32 v1, 0xff, v9
	global_load_b32 v25, v26, s[10:11]
	v_cmpx_ne_u16_e32 0, v1
	s_cbranch_execz .LBB262_307
; %bb.300:                              ;   in Loop: Header=BB262_298 Depth=1
	v_mov_b32_e32 v27, 0x8000
	s_mov_b32 s17, exec_lo
	v_cmpx_ne_u16_e32 0x80, v1
	s_cbranch_execz .LBB262_306
; %bb.301:                              ;   in Loop: Header=BB262_298 Depth=1
	v_and_b32_e32 v28, 0x7f, v9
	v_mov_b32_e32 v27, 0x7c01
	s_mov_b32 s18, exec_lo
	s_delay_alu instid0(VALU_DEP_2)
	v_cmpx_ne_u32_e32 0x7f, v28
	s_cbranch_execz .LBB262_305
; %bb.302:                              ;   in Loop: Header=BB262_298 Depth=1
	v_and_b32_e32 v1, 7, v9
	v_lshrrev_b32_e32 v24, 3, v28
	s_mov_b32 s19, exec_lo
	v_cmpx_gt_u32_e32 8, v28
; %bb.303:                              ;   in Loop: Header=BB262_298 Depth=1
	s_delay_alu instid0(VALU_DEP_3) | instskip(NEXT) | instid1(VALU_DEP_1)
	v_clz_i32_u32_e32 v1, v1
	v_min_u32_e32 v1, 32, v1
	s_delay_alu instid0(VALU_DEP_1) | instskip(NEXT) | instid1(VALU_DEP_1)
	v_subrev_nc_u32_e32 v24, 28, v1
	v_lshlrev_b64_e32 v[27:28], v24, v[9:10]
	v_sub_nc_u32_e32 v24, 29, v1
	s_delay_alu instid0(VALU_DEP_2)
	v_and_b32_e32 v1, 7, v27
; %bb.304:                              ;   in Loop: Header=BB262_298 Depth=1
	s_wait_alu 0xfffe
	s_or_b32 exec_lo, exec_lo, s19
	v_lshlrev_b32_e32 v27, 8, v9
	v_lshl_add_u32 v24, v24, 10, 0x2000
	v_lshlrev_b32_e32 v1, 7, v1
	s_delay_alu instid0(VALU_DEP_3) | instskip(NEXT) | instid1(VALU_DEP_3)
	v_and_b32_e32 v27, 0x8000, v27
	v_and_b32_e32 v24, 0xfc00, v24
	s_delay_alu instid0(VALU_DEP_1)
	v_or3_b32 v27, v27, v24, v1
.LBB262_305:                            ;   in Loop: Header=BB262_298 Depth=1
	s_wait_alu 0xfffe
	s_or_b32 exec_lo, exec_lo, s18
.LBB262_306:                            ;   in Loop: Header=BB262_298 Depth=1
	s_wait_alu 0xfffe
	s_or_b32 exec_lo, exec_lo, s17
.LBB262_307:                            ;   in Loop: Header=BB262_298 Depth=1
	s_wait_alu 0xfffe
	s_or_b32 exec_lo, exec_lo, s0
	v_lshrrev_b16 v1, 8, v9
	s_mov_b32 s0, exec_lo
	s_delay_alu instid0(VALU_DEP_1)
	v_cmpx_ne_u16_e32 0, v1
	s_cbranch_execz .LBB262_315
; %bb.308:                              ;   in Loop: Header=BB262_298 Depth=1
	v_bfrev_b32_e32 v26, 1
	s_mov_b32 s17, exec_lo
	v_cmpx_ne_u16_e32 0x80, v1
	s_cbranch_execz .LBB262_314
; %bb.309:                              ;   in Loop: Header=BB262_298 Depth=1
	v_and_b32_e32 v24, 0xffff, v1
	v_mov_b32_e32 v26, 0x7c010000
	s_mov_b32 s18, exec_lo
	s_delay_alu instid0(VALU_DEP_2) | instskip(NEXT) | instid1(VALU_DEP_1)
	v_and_b32_e32 v29, 0x7f, v24
	v_cmpx_ne_u32_e32 0x7f, v29
	s_cbranch_execz .LBB262_313
; %bb.310:                              ;   in Loop: Header=BB262_298 Depth=1
	v_and_b32_e32 v26, 7, v24
	v_lshrrev_b32_e32 v28, 3, v29
	s_mov_b32 s19, exec_lo
	v_cmpx_gt_u32_e32 8, v29
; %bb.311:                              ;   in Loop: Header=BB262_298 Depth=1
	s_delay_alu instid0(VALU_DEP_3) | instskip(NEXT) | instid1(VALU_DEP_1)
	v_clz_i32_u32_e32 v26, v26
	v_min_u32_e32 v26, 32, v26
	s_delay_alu instid0(VALU_DEP_1) | instskip(NEXT) | instid1(VALU_DEP_1)
	v_subrev_nc_u32_e32 v28, 28, v26
	v_lshlrev_b64_e32 v[29:30], v28, v[1:2]
	v_sub_nc_u32_e32 v28, 29, v26
	s_delay_alu instid0(VALU_DEP_2)
	v_and_b32_e32 v26, 7, v29
; %bb.312:                              ;   in Loop: Header=BB262_298 Depth=1
	s_wait_alu 0xfffe
	s_or_b32 exec_lo, exec_lo, s19
	v_lshlrev_b32_e32 v1, 8, v24
	v_lshl_add_u32 v24, v28, 10, 0x2000
	s_delay_alu instid0(VALU_DEP_1) | instskip(SKIP_1) | instid1(VALU_DEP_1)
	v_and_or_b32 v1, 0x8000, v1, v24
	v_lshlrev_b32_e32 v24, 23, v26
	v_lshl_or_b32 v26, v1, 16, v24
.LBB262_313:                            ;   in Loop: Header=BB262_298 Depth=1
	s_wait_alu 0xfffe
	s_or_b32 exec_lo, exec_lo, s18
.LBB262_314:                            ;   in Loop: Header=BB262_298 Depth=1
	s_wait_alu 0xfffe
	s_or_b32 exec_lo, exec_lo, s17
.LBB262_315:                            ;   in Loop: Header=BB262_298 Depth=1
	s_wait_alu 0xfffe
	s_or_b32 exec_lo, exec_lo, s0
	v_lshrrev_b32_e32 v1, 16, v9
	v_mov_b32_e32 v24, 0
	s_mov_b32 s0, exec_lo
	s_delay_alu instid0(VALU_DEP_2) | instskip(NEXT) | instid1(VALU_DEP_1)
	v_dual_mov_b32 v28, 0 :: v_dual_and_b32 v29, 0xff, v1
	v_cmpx_ne_u16_e32 0, v29
	s_cbranch_execz .LBB262_323
; %bb.316:                              ;   in Loop: Header=BB262_298 Depth=1
	v_mov_b32_e32 v24, 0x8000
	s_mov_b32 s17, exec_lo
	v_cmpx_ne_u16_e32 0x80, v29
	s_cbranch_execz .LBB262_322
; %bb.317:                              ;   in Loop: Header=BB262_298 Depth=1
	v_bfe_u32 v30, v9, 16, 7
	v_mov_b32_e32 v24, 0x7c01
	s_mov_b32 s18, exec_lo
	s_delay_alu instid0(VALU_DEP_2)
	v_cmpx_ne_u32_e32 0x7f, v30
	s_cbranch_execz .LBB262_321
; %bb.318:                              ;   in Loop: Header=BB262_298 Depth=1
	v_and_b32_e32 v24, 7, v1
	v_lshrrev_b32_e32 v29, 3, v30
	s_mov_b32 s19, exec_lo
	v_cmpx_gt_u32_e32 8, v30
; %bb.319:                              ;   in Loop: Header=BB262_298 Depth=1
	s_delay_alu instid0(VALU_DEP_3) | instskip(NEXT) | instid1(VALU_DEP_1)
	v_clz_i32_u32_e32 v24, v24
	v_min_u32_e32 v24, 32, v24
	s_delay_alu instid0(VALU_DEP_1) | instskip(NEXT) | instid1(VALU_DEP_1)
	v_subrev_nc_u32_e32 v29, 28, v24
	v_lshlrev_b64_e32 v[30:31], v29, v[1:2]
	v_sub_nc_u32_e32 v29, 29, v24
	s_delay_alu instid0(VALU_DEP_2)
	v_and_b32_e32 v24, 7, v30
; %bb.320:                              ;   in Loop: Header=BB262_298 Depth=1
	s_wait_alu 0xfffe
	s_or_b32 exec_lo, exec_lo, s19
	v_lshlrev_b32_e32 v1, 8, v1
	v_lshl_add_u32 v29, v29, 10, 0x2000
	v_lshlrev_b32_e32 v24, 7, v24
	s_delay_alu instid0(VALU_DEP_3) | instskip(NEXT) | instid1(VALU_DEP_3)
	v_and_b32_e32 v1, 0x8000, v1
	v_and_b32_e32 v29, 0xfc00, v29
	s_delay_alu instid0(VALU_DEP_1)
	v_or3_b32 v24, v1, v29, v24
.LBB262_321:                            ;   in Loop: Header=BB262_298 Depth=1
	s_wait_alu 0xfffe
	s_or_b32 exec_lo, exec_lo, s18
.LBB262_322:                            ;   in Loop: Header=BB262_298 Depth=1
	s_wait_alu 0xfffe
	s_or_b32 exec_lo, exec_lo, s17
.LBB262_323:                            ;   in Loop: Header=BB262_298 Depth=1
	s_wait_alu 0xfffe
	s_or_b32 exec_lo, exec_lo, s0
	s_delay_alu instid0(SALU_CYCLE_1)
	s_mov_b32 s0, exec_lo
	v_cmpx_lt_u32_e32 0xffffff, v9
	s_cbranch_execz .LBB262_331
; %bb.324:                              ;   in Loop: Header=BB262_298 Depth=1
	v_lshrrev_b32_e32 v1, 24, v9
	v_bfrev_b32_e32 v28, 1
	s_mov_b32 s17, exec_lo
	s_delay_alu instid0(VALU_DEP_2)
	v_cmpx_ne_u32_e32 0x80, v1
	s_cbranch_execz .LBB262_330
; %bb.325:                              ;   in Loop: Header=BB262_298 Depth=1
	v_and_b32_e32 v30, 0x7f, v1
	v_mov_b32_e32 v28, 0x7c010000
	s_mov_b32 s18, exec_lo
	s_delay_alu instid0(VALU_DEP_2)
	v_cmpx_ne_u32_e32 0x7f, v30
	s_cbranch_execz .LBB262_329
; %bb.326:                              ;   in Loop: Header=BB262_298 Depth=1
	v_and_b32_e32 v28, 7, v1
	v_lshrrev_b32_e32 v29, 3, v30
	s_mov_b32 s19, exec_lo
	v_cmpx_gt_u32_e32 8, v30
; %bb.327:                              ;   in Loop: Header=BB262_298 Depth=1
	s_delay_alu instid0(VALU_DEP_3) | instskip(NEXT) | instid1(VALU_DEP_1)
	v_clz_i32_u32_e32 v28, v28
	v_min_u32_e32 v30, 32, v28
	s_delay_alu instid0(VALU_DEP_1) | instskip(NEXT) | instid1(VALU_DEP_1)
	v_subrev_nc_u32_e32 v28, 28, v30
	v_lshlrev_b64_e32 v[28:29], v28, v[1:2]
	v_sub_nc_u32_e32 v29, 29, v30
	s_delay_alu instid0(VALU_DEP_2)
	v_and_b32_e32 v28, 7, v28
; %bb.328:                              ;   in Loop: Header=BB262_298 Depth=1
	s_wait_alu 0xfffe
	s_or_b32 exec_lo, exec_lo, s19
	v_lshlrev_b32_e32 v1, 8, v1
	v_lshl_add_u32 v29, v29, 10, 0x2000
	v_lshlrev_b32_e32 v28, 23, v28
	s_delay_alu instid0(VALU_DEP_2) | instskip(NEXT) | instid1(VALU_DEP_1)
	v_and_or_b32 v1, 0x8000, v1, v29
	v_lshl_or_b32 v28, v1, 16, v28
.LBB262_329:                            ;   in Loop: Header=BB262_298 Depth=1
	s_wait_alu 0xfffe
	s_or_b32 exec_lo, exec_lo, s18
.LBB262_330:                            ;   in Loop: Header=BB262_298 Depth=1
	s_wait_alu 0xfffe
	s_or_b32 exec_lo, exec_lo, s17
.LBB262_331:                            ;   in Loop: Header=BB262_298 Depth=1
	s_wait_alu 0xfffe
	s_or_b32 exec_lo, exec_lo, s0
	v_dual_mov_b32 v30, 0 :: v_dual_and_b32 v31, 0xff, v10
	v_mov_b32_e32 v1, v10
	v_mov_b32_e32 v29, 0
	s_mov_b32 s0, exec_lo
	s_delay_alu instid0(VALU_DEP_3)
	v_cmpx_ne_u16_e32 0, v31
	s_cbranch_execz .LBB262_339
; %bb.332:                              ;   in Loop: Header=BB262_298 Depth=1
	v_mov_b32_e32 v30, 0x8000
	s_mov_b32 s17, exec_lo
	v_cmpx_ne_u16_e32 0x80, v31
	s_cbranch_execz .LBB262_338
; %bb.333:                              ;   in Loop: Header=BB262_298 Depth=1
	v_and_b32_e32 v40, 0x7f, v10
	v_mov_b32_e32 v30, 0x7c01
	s_mov_b32 s18, exec_lo
	s_delay_alu instid0(VALU_DEP_2)
	v_cmpx_ne_u32_e32 0x7f, v40
	s_cbranch_execz .LBB262_337
; %bb.334:                              ;   in Loop: Header=BB262_298 Depth=1
	v_and_b32_e32 v30, 7, v10
	v_lshrrev_b32_e32 v31, 3, v40
	s_mov_b32 s19, exec_lo
	v_cmpx_gt_u32_e32 8, v40
; %bb.335:                              ;   in Loop: Header=BB262_298 Depth=1
	s_delay_alu instid0(VALU_DEP_3) | instskip(NEXT) | instid1(VALU_DEP_1)
	v_clz_i32_u32_e32 v30, v30
	v_min_u32_e32 v40, 32, v30
	s_delay_alu instid0(VALU_DEP_1) | instskip(NEXT) | instid1(VALU_DEP_1)
	v_subrev_nc_u32_e32 v30, 28, v40
	v_lshlrev_b64_e32 v[30:31], v30, v[1:2]
	v_sub_nc_u32_e32 v31, 29, v40
	s_delay_alu instid0(VALU_DEP_2)
	v_and_b32_e32 v30, 7, v30
; %bb.336:                              ;   in Loop: Header=BB262_298 Depth=1
	s_wait_alu 0xfffe
	s_or_b32 exec_lo, exec_lo, s19
	v_lshlrev_b32_e32 v40, 8, v10
	v_lshl_add_u32 v31, v31, 10, 0x2000
	v_lshlrev_b32_e32 v30, 7, v30
	s_delay_alu instid0(VALU_DEP_3) | instskip(NEXT) | instid1(VALU_DEP_3)
	v_and_b32_e32 v40, 0x8000, v40
	v_and_b32_e32 v31, 0xfc00, v31
	s_delay_alu instid0(VALU_DEP_1)
	v_or3_b32 v30, v40, v31, v30
.LBB262_337:                            ;   in Loop: Header=BB262_298 Depth=1
	s_wait_alu 0xfffe
	s_or_b32 exec_lo, exec_lo, s18
.LBB262_338:                            ;   in Loop: Header=BB262_298 Depth=1
	s_wait_alu 0xfffe
	s_or_b32 exec_lo, exec_lo, s17
.LBB262_339:                            ;   in Loop: Header=BB262_298 Depth=1
	s_wait_alu 0xfffe
	s_or_b32 exec_lo, exec_lo, s0
	v_lshrrev_b16 v1, 8, v1
	v_mov_b32_e32 v31, 0
	s_mov_b32 s0, exec_lo
	s_delay_alu instid0(VALU_DEP_2)
	v_cmpx_ne_u16_e32 0, v1
	s_cbranch_execz .LBB262_347
; %bb.340:                              ;   in Loop: Header=BB262_298 Depth=1
	v_bfrev_b32_e32 v31, 1
	s_mov_b32 s17, exec_lo
	v_cmpx_ne_u16_e32 0x80, v1
	s_cbranch_execz .LBB262_346
; %bb.341:                              ;   in Loop: Header=BB262_298 Depth=1
	v_and_b32_e32 v40, 0xffff, v1
	v_mov_b32_e32 v31, 0x7c010000
	s_mov_b32 s18, exec_lo
	s_delay_alu instid0(VALU_DEP_2) | instskip(NEXT) | instid1(VALU_DEP_1)
	v_and_b32_e32 v42, 0x7f, v40
	v_cmpx_ne_u32_e32 0x7f, v42
	s_cbranch_execz .LBB262_345
; %bb.342:                              ;   in Loop: Header=BB262_298 Depth=1
	v_and_b32_e32 v31, 7, v40
	v_lshrrev_b32_e32 v41, 3, v42
	s_mov_b32 s19, exec_lo
	v_cmpx_gt_u32_e32 8, v42
; %bb.343:                              ;   in Loop: Header=BB262_298 Depth=1
	s_delay_alu instid0(VALU_DEP_3) | instskip(NEXT) | instid1(VALU_DEP_1)
	v_clz_i32_u32_e32 v31, v31
	v_min_u32_e32 v31, 32, v31
	s_delay_alu instid0(VALU_DEP_1) | instskip(NEXT) | instid1(VALU_DEP_1)
	v_subrev_nc_u32_e32 v41, 28, v31
	v_lshlrev_b64_e32 v[42:43], v41, v[1:2]
	v_sub_nc_u32_e32 v41, 29, v31
	s_delay_alu instid0(VALU_DEP_2)
	v_and_b32_e32 v31, 7, v42
; %bb.344:                              ;   in Loop: Header=BB262_298 Depth=1
	s_wait_alu 0xfffe
	s_or_b32 exec_lo, exec_lo, s19
	v_lshlrev_b32_e32 v1, 8, v40
	v_lshl_add_u32 v40, v41, 10, 0x2000
	v_lshlrev_b32_e32 v31, 23, v31
	s_delay_alu instid0(VALU_DEP_2) | instskip(NEXT) | instid1(VALU_DEP_1)
	v_and_or_b32 v1, 0x8000, v1, v40
	v_lshl_or_b32 v31, v1, 16, v31
.LBB262_345:                            ;   in Loop: Header=BB262_298 Depth=1
	s_wait_alu 0xfffe
	s_or_b32 exec_lo, exec_lo, s18
.LBB262_346:                            ;   in Loop: Header=BB262_298 Depth=1
	s_wait_alu 0xfffe
	s_or_b32 exec_lo, exec_lo, s17
.LBB262_347:                            ;   in Loop: Header=BB262_298 Depth=1
	s_wait_alu 0xfffe
	s_or_b32 exec_lo, exec_lo, s0
	v_lshrrev_b32_e32 v1, 16, v10
	s_mov_b32 s0, exec_lo
	s_delay_alu instid0(VALU_DEP_1) | instskip(NEXT) | instid1(VALU_DEP_1)
	v_and_b32_e32 v40, 0xff, v1
	v_cmpx_ne_u16_e32 0, v40
	s_cbranch_execz .LBB262_355
; %bb.348:                              ;   in Loop: Header=BB262_298 Depth=1
	v_mov_b32_e32 v29, 0x8000
	s_mov_b32 s17, exec_lo
	v_cmpx_ne_u16_e32 0x80, v40
	s_cbranch_execz .LBB262_354
; %bb.349:                              ;   in Loop: Header=BB262_298 Depth=1
	v_bfe_u32 v41, v10, 16, 7
	v_mov_b32_e32 v29, 0x7c01
	s_mov_b32 s18, exec_lo
	s_delay_alu instid0(VALU_DEP_2)
	v_cmpx_ne_u32_e32 0x7f, v41
	s_cbranch_execz .LBB262_353
; %bb.350:                              ;   in Loop: Header=BB262_298 Depth=1
	v_and_b32_e32 v29, 7, v1
	v_lshrrev_b32_e32 v40, 3, v41
	s_mov_b32 s19, exec_lo
	v_cmpx_gt_u32_e32 8, v41
; %bb.351:                              ;   in Loop: Header=BB262_298 Depth=1
	s_delay_alu instid0(VALU_DEP_3) | instskip(NEXT) | instid1(VALU_DEP_1)
	v_clz_i32_u32_e32 v29, v29
	v_min_u32_e32 v29, 32, v29
	s_delay_alu instid0(VALU_DEP_1) | instskip(NEXT) | instid1(VALU_DEP_1)
	v_subrev_nc_u32_e32 v40, 28, v29
	v_lshlrev_b64_e32 v[41:42], v40, v[1:2]
	v_sub_nc_u32_e32 v40, 29, v29
	s_delay_alu instid0(VALU_DEP_2)
	v_and_b32_e32 v29, 7, v41
; %bb.352:                              ;   in Loop: Header=BB262_298 Depth=1
	s_wait_alu 0xfffe
	s_or_b32 exec_lo, exec_lo, s19
	v_lshlrev_b32_e32 v1, 8, v1
	v_lshl_add_u32 v40, v40, 10, 0x2000
	v_lshlrev_b32_e32 v29, 7, v29
	s_delay_alu instid0(VALU_DEP_3) | instskip(NEXT) | instid1(VALU_DEP_3)
	v_and_b32_e32 v1, 0x8000, v1
	v_and_b32_e32 v40, 0xfc00, v40
	s_delay_alu instid0(VALU_DEP_1)
	v_or3_b32 v29, v1, v40, v29
.LBB262_353:                            ;   in Loop: Header=BB262_298 Depth=1
	s_wait_alu 0xfffe
	s_or_b32 exec_lo, exec_lo, s18
.LBB262_354:                            ;   in Loop: Header=BB262_298 Depth=1
	s_wait_alu 0xfffe
	s_or_b32 exec_lo, exec_lo, s17
.LBB262_355:                            ;   in Loop: Header=BB262_298 Depth=1
	s_wait_alu 0xfffe
	s_or_b32 exec_lo, exec_lo, s0
	v_cmp_lt_u64_e32 vcc_lo, s[2:3], v[9:10]
	v_mov_b32_e32 v9, 0
	s_and_saveexec_b32 s0, vcc_lo
	s_cbranch_execz .LBB262_363
; %bb.356:                              ;   in Loop: Header=BB262_298 Depth=1
	v_lshrrev_b32_e32 v1, 24, v10
	v_bfrev_b32_e32 v9, 1
	s_mov_b32 s17, exec_lo
	s_delay_alu instid0(VALU_DEP_2)
	v_cmpx_ne_u32_e32 0x80, v1
	s_cbranch_execz .LBB262_362
; %bb.357:                              ;   in Loop: Header=BB262_298 Depth=1
	v_and_b32_e32 v40, 0x7f, v1
	v_mov_b32_e32 v9, 0x7c010000
	s_mov_b32 s18, exec_lo
	s_delay_alu instid0(VALU_DEP_2)
	v_cmpx_ne_u32_e32 0x7f, v40
	s_cbranch_execz .LBB262_361
; %bb.358:                              ;   in Loop: Header=BB262_298 Depth=1
	v_and_b32_e32 v9, 7, v1
	v_lshrrev_b32_e32 v10, 3, v40
	s_mov_b32 s19, exec_lo
	v_cmpx_gt_u32_e32 8, v40
; %bb.359:                              ;   in Loop: Header=BB262_298 Depth=1
	s_delay_alu instid0(VALU_DEP_3) | instskip(NEXT) | instid1(VALU_DEP_1)
	v_clz_i32_u32_e32 v9, v9
	v_min_u32_e32 v40, 32, v9
	s_delay_alu instid0(VALU_DEP_1) | instskip(NEXT) | instid1(VALU_DEP_1)
	v_subrev_nc_u32_e32 v9, 28, v40
	v_lshlrev_b64_e32 v[9:10], v9, v[1:2]
	v_sub_nc_u32_e32 v10, 29, v40
	s_delay_alu instid0(VALU_DEP_2)
	v_and_b32_e32 v9, 7, v9
; %bb.360:                              ;   in Loop: Header=BB262_298 Depth=1
	s_wait_alu 0xfffe
	s_or_b32 exec_lo, exec_lo, s19
	v_lshlrev_b32_e32 v1, 8, v1
	v_lshl_add_u32 v10, v10, 10, 0x2000
	v_lshlrev_b32_e32 v9, 23, v9
	s_delay_alu instid0(VALU_DEP_2) | instskip(NEXT) | instid1(VALU_DEP_1)
	v_and_or_b32 v1, 0x8000, v1, v10
	v_lshl_or_b32 v9, v1, 16, v9
.LBB262_361:                            ;   in Loop: Header=BB262_298 Depth=1
	s_wait_alu 0xfffe
	s_or_b32 exec_lo, exec_lo, s18
.LBB262_362:                            ;   in Loop: Header=BB262_298 Depth=1
	s_wait_alu 0xfffe
	s_or_b32 exec_lo, exec_lo, s17
.LBB262_363:                            ;   in Loop: Header=BB262_298 Depth=1
	s_wait_alu 0xfffe
	s_or_b32 exec_lo, exec_lo, s0
	v_or_b32_e32 v1, v28, v24
	s_wait_loadcnt 0x0
	v_fma_mixlo_f16 v10, v25, v28, 0 op_sel:[0,1,0] op_sel_hi:[0,1,0]
	v_or_b32_e32 v27, v26, v27
	v_fma_mixlo_f16 v26, v25, v26, 0 op_sel:[0,1,0] op_sel_hi:[0,1,0]
	v_or_b32_e32 v28, v31, v30
	v_fma_mixlo_f16 v1, v25, v1, 0 op_sel_hi:[0,1,0]
	v_or_b32_e32 v29, v9, v29
	v_fma_mixlo_f16 v9, v25, v9, 0 op_sel:[0,1,0] op_sel_hi:[0,1,0]
	v_lshlrev_b32_e32 v46, 16, v26
	v_fma_mixlo_f16 v26, v25, v31, 0 op_sel:[0,1,0] op_sel_hi:[0,1,0]
	v_and_b32_e32 v43, 0xffff, v1
	v_fma_mixlo_f16 v1, v25, v27, 0 op_sel_hi:[0,1,0]
	v_fma_mixlo_f16 v27, v25, v28, 0 op_sel_hi:[0,1,0]
	;; [unrolled: 1-line block ×3, first 2 shown]
	v_add_nc_u32_e32 v24, v20, v14
	v_lshlrev_b32_e32 v10, 16, v10
	v_and_b32_e32 v48, 0xffff, v1
	v_lshlrev_b32_e32 v44, 16, v26
	v_and_b32_e32 v47, 0xffff, v27
	;; [unrolled: 2-line block ×3, first 2 shown]
	v_cmp_eq_u32_e32 vcc_lo, s36, v15
	v_or_b32_e32 v1, v10, v43
	v_or_b32_e32 v9, v46, v48
	;; [unrolled: 1-line block ×4, first 2 shown]
	v_add_nc_u32_e32 v31, 1, v24
	v_add_nc_u32_e32 v30, 2, v24
	;; [unrolled: 1-line block ×7, first 2 shown]
	s_and_saveexec_b32 s17, vcc_lo
	s_cbranch_execz .LBB262_365
; %bb.364:                              ;   in Loop: Header=BB262_298 Depth=1
	v_cmp_gt_i32_e64 s0, s34, v24
	s_wait_alu 0xf1ff
	s_delay_alu instid0(VALU_DEP_1) | instskip(SKIP_2) | instid1(VALU_DEP_1)
	v_cndmask_b32_e64 v1, 0, v48, s0
	v_cmp_gt_i32_e64 s0, s34, v31
	s_wait_alu 0xf1ff
	v_cndmask_b32_e64 v9, 0, v46, s0
	v_cmp_gt_i32_e64 s0, s34, v30
	s_delay_alu instid0(VALU_DEP_2) | instskip(SKIP_1) | instid1(VALU_DEP_2)
	v_or_b32_e32 v9, v9, v1
	s_wait_alu 0xf1ff
	v_cndmask_b32_e64 v40, 0, v43, s0
	v_cmp_gt_i32_e64 s0, s34, v29
	s_wait_alu 0xf1ff
	s_delay_alu instid0(VALU_DEP_1) | instskip(SKIP_1) | instid1(VALU_DEP_2)
	v_cndmask_b32_e64 v10, 0, v10, s0
	v_cmp_gt_i32_e64 s0, s34, v28
	v_or_b32_e32 v1, v10, v40
	s_wait_alu 0xf1ff
	s_delay_alu instid0(VALU_DEP_2) | instskip(SKIP_2) | instid1(VALU_DEP_1)
	v_cndmask_b32_e64 v42, 0, v47, s0
	v_cmp_gt_i32_e64 s0, s34, v27
	s_wait_alu 0xf1ff
	v_cndmask_b32_e64 v43, 0, v44, s0
	v_cmp_gt_i32_e64 s0, s34, v26
	s_delay_alu instid0(VALU_DEP_2) | instskip(SKIP_1) | instid1(VALU_DEP_2)
	v_or_b32_e32 v40, v43, v42
	s_wait_alu 0xf1ff
	v_cndmask_b32_e64 v44, 0, v45, s0
	v_cmp_gt_i32_e64 s0, s34, v25
	s_wait_alu 0xf1ff
	s_delay_alu instid0(VALU_DEP_1) | instskip(NEXT) | instid1(VALU_DEP_1)
	v_cndmask_b32_e64 v41, 0, v41, s0
	v_or_b32_e32 v42, v41, v44
.LBB262_365:                            ;   in Loop: Header=BB262_298 Depth=1
	s_wait_alu 0xfffe
	s_or_b32 exec_lo, exec_lo, s17
	v_and_b32_e32 v10, 0xffff, v32
	v_and_b32_e32 v32, 0xffff, v36
	;; [unrolled: 1-line block ×4, first 2 shown]
	s_mov_b32 s17, exec_lo
	s_delay_alu instid0(VALU_DEP_3) | instskip(NEXT) | instid1(VALU_DEP_3)
	v_lshl_or_b32 v36, v34, 16, v32
	v_lshl_or_b32 v34, v38, 16, v39
	v_mov_b32_e32 v39, 0
	v_lshl_or_b32 v37, v33, 16, v10
	;;#ASMSTART
	v_pk_mul_f16 v9, v37, v9;

	;;#ASMEND
	;;#ASMSTART
	v_pk_mul_f16 v1, v36, v1;

	;;#ASMEND
	v_lshl_or_b32 v35, v35, 16, v41
	;;#ASMSTART
	v_pk_mul_f16 v10, v35, v40;

	;;#ASMEND
	;;#ASMSTART
	v_pk_mul_f16 v32, v34, v42;

	;;#ASMEND
	;;#ASMSTART
	v_pk_add_f16 v1, v9, v1;

	;;#ASMEND
	;;#ASMSTART
	v_pk_add_f16 v1, v1, v10;
	;; [unrolled: 4-line block ×3, first 2 shown]

	;;#ASMEND
	v_and_b32_e32 v9, 0xffff, v1
	v_lshrrev_b32_e32 v1, 16, v1
	;;#ASMSTART
	v_cvt_f32_f16 v32, v9;
	;;#ASMEND
	;;#ASMSTART
	v_cvt_f32_f16 v33, v1;
	;;#ASMEND
	global_load_b64 v[9:10], v[7:8], off offset:256
	global_load_b32 v38, v39, s[10:11]
	s_wait_loadcnt 0x1
	v_dual_mov_b32 v40, 0 :: v_dual_and_b32 v1, 0xff, v9
	s_delay_alu instid0(VALU_DEP_1)
	v_cmpx_ne_u16_e32 0, v1
	s_cbranch_execz .LBB262_373
; %bb.366:                              ;   in Loop: Header=BB262_298 Depth=1
	v_mov_b32_e32 v40, 0x8000
	s_mov_b32 s18, exec_lo
	v_cmpx_ne_u16_e32 0x80, v1
	s_cbranch_execz .LBB262_372
; %bb.367:                              ;   in Loop: Header=BB262_298 Depth=1
	v_and_b32_e32 v41, 0x7f, v9
	v_mov_b32_e32 v40, 0x7c01
	s_mov_b32 s19, exec_lo
	s_delay_alu instid0(VALU_DEP_2)
	v_cmpx_ne_u32_e32 0x7f, v41
	s_cbranch_execz .LBB262_371
; %bb.368:                              ;   in Loop: Header=BB262_298 Depth=1
	v_and_b32_e32 v1, 7, v9
	v_lshrrev_b32_e32 v40, 3, v41
	s_mov_b32 s24, exec_lo
	v_cmpx_gt_u32_e32 8, v41
; %bb.369:                              ;   in Loop: Header=BB262_298 Depth=1
	s_delay_alu instid0(VALU_DEP_3) | instskip(NEXT) | instid1(VALU_DEP_1)
	v_clz_i32_u32_e32 v1, v1
	v_min_u32_e32 v1, 32, v1
	s_delay_alu instid0(VALU_DEP_1) | instskip(NEXT) | instid1(VALU_DEP_1)
	v_subrev_nc_u32_e32 v40, 28, v1
	v_lshlrev_b64_e32 v[41:42], v40, v[9:10]
	v_sub_nc_u32_e32 v40, 29, v1
	s_delay_alu instid0(VALU_DEP_2)
	v_and_b32_e32 v1, 7, v41
; %bb.370:                              ;   in Loop: Header=BB262_298 Depth=1
	s_wait_alu 0xfffe
	s_or_b32 exec_lo, exec_lo, s24
	v_lshlrev_b32_e32 v41, 8, v9
	v_lshl_add_u32 v40, v40, 10, 0x2000
	v_lshlrev_b32_e32 v1, 7, v1
	s_delay_alu instid0(VALU_DEP_3) | instskip(NEXT) | instid1(VALU_DEP_3)
	v_and_b32_e32 v41, 0x8000, v41
	v_and_b32_e32 v40, 0xfc00, v40
	s_delay_alu instid0(VALU_DEP_1)
	v_or3_b32 v40, v41, v40, v1
.LBB262_371:                            ;   in Loop: Header=BB262_298 Depth=1
	s_wait_alu 0xfffe
	s_or_b32 exec_lo, exec_lo, s19
.LBB262_372:                            ;   in Loop: Header=BB262_298 Depth=1
	s_wait_alu 0xfffe
	s_or_b32 exec_lo, exec_lo, s18
.LBB262_373:                            ;   in Loop: Header=BB262_298 Depth=1
	s_wait_alu 0xfffe
	s_or_b32 exec_lo, exec_lo, s17
	v_lshrrev_b16 v1, 8, v9
	s_mov_b32 s17, exec_lo
	s_delay_alu instid0(VALU_DEP_1)
	v_cmpx_ne_u16_e32 0, v1
	s_cbranch_execz .LBB262_381
; %bb.374:                              ;   in Loop: Header=BB262_298 Depth=1
	v_bfrev_b32_e32 v39, 1
	s_mov_b32 s18, exec_lo
	v_cmpx_ne_u16_e32 0x80, v1
	s_cbranch_execz .LBB262_380
; %bb.375:                              ;   in Loop: Header=BB262_298 Depth=1
	v_and_b32_e32 v41, 0xffff, v1
	v_mov_b32_e32 v39, 0x7c010000
	s_mov_b32 s19, exec_lo
	s_delay_alu instid0(VALU_DEP_2) | instskip(NEXT) | instid1(VALU_DEP_1)
	v_and_b32_e32 v43, 0x7f, v41
	v_cmpx_ne_u32_e32 0x7f, v43
	s_cbranch_execz .LBB262_379
; %bb.376:                              ;   in Loop: Header=BB262_298 Depth=1
	v_and_b32_e32 v39, 7, v41
	v_lshrrev_b32_e32 v42, 3, v43
	s_mov_b32 s24, exec_lo
	v_cmpx_gt_u32_e32 8, v43
; %bb.377:                              ;   in Loop: Header=BB262_298 Depth=1
	s_delay_alu instid0(VALU_DEP_3) | instskip(NEXT) | instid1(VALU_DEP_1)
	v_clz_i32_u32_e32 v39, v39
	v_min_u32_e32 v39, 32, v39
	s_delay_alu instid0(VALU_DEP_1) | instskip(NEXT) | instid1(VALU_DEP_1)
	v_subrev_nc_u32_e32 v42, 28, v39
	v_lshlrev_b64_e32 v[43:44], v42, v[1:2]
	v_sub_nc_u32_e32 v42, 29, v39
	s_delay_alu instid0(VALU_DEP_2)
	v_and_b32_e32 v39, 7, v43
; %bb.378:                              ;   in Loop: Header=BB262_298 Depth=1
	s_wait_alu 0xfffe
	s_or_b32 exec_lo, exec_lo, s24
	v_lshlrev_b32_e32 v1, 8, v41
	v_lshl_add_u32 v41, v42, 10, 0x2000
	v_lshlrev_b32_e32 v39, 23, v39
	s_delay_alu instid0(VALU_DEP_2) | instskip(NEXT) | instid1(VALU_DEP_1)
	v_and_or_b32 v1, 0x8000, v1, v41
	v_lshl_or_b32 v39, v1, 16, v39
.LBB262_379:                            ;   in Loop: Header=BB262_298 Depth=1
	s_wait_alu 0xfffe
	s_or_b32 exec_lo, exec_lo, s19
.LBB262_380:                            ;   in Loop: Header=BB262_298 Depth=1
	s_wait_alu 0xfffe
	s_or_b32 exec_lo, exec_lo, s18
.LBB262_381:                            ;   in Loop: Header=BB262_298 Depth=1
	s_wait_alu 0xfffe
	s_or_b32 exec_lo, exec_lo, s17
	v_lshrrev_b32_e32 v1, 16, v9
	v_mov_b32_e32 v41, 0
	s_mov_b32 s17, exec_lo
	s_delay_alu instid0(VALU_DEP_2) | instskip(NEXT) | instid1(VALU_DEP_1)
	v_dual_mov_b32 v42, 0 :: v_dual_and_b32 v43, 0xff, v1
	v_cmpx_ne_u16_e32 0, v43
	s_cbranch_execz .LBB262_389
; %bb.382:                              ;   in Loop: Header=BB262_298 Depth=1
	v_mov_b32_e32 v42, 0x8000
	s_mov_b32 s18, exec_lo
	v_cmpx_ne_u16_e32 0x80, v43
	s_cbranch_execz .LBB262_388
; %bb.383:                              ;   in Loop: Header=BB262_298 Depth=1
	v_bfe_u32 v44, v9, 16, 7
	v_mov_b32_e32 v42, 0x7c01
	s_mov_b32 s19, exec_lo
	s_delay_alu instid0(VALU_DEP_2)
	v_cmpx_ne_u32_e32 0x7f, v44
	s_cbranch_execz .LBB262_387
; %bb.384:                              ;   in Loop: Header=BB262_298 Depth=1
	v_and_b32_e32 v42, 7, v1
	v_lshrrev_b32_e32 v43, 3, v44
	s_mov_b32 s24, exec_lo
	v_cmpx_gt_u32_e32 8, v44
; %bb.385:                              ;   in Loop: Header=BB262_298 Depth=1
	s_delay_alu instid0(VALU_DEP_3) | instskip(NEXT) | instid1(VALU_DEP_1)
	v_clz_i32_u32_e32 v42, v42
	v_min_u32_e32 v44, 32, v42
	s_delay_alu instid0(VALU_DEP_1) | instskip(NEXT) | instid1(VALU_DEP_1)
	v_subrev_nc_u32_e32 v42, 28, v44
	v_lshlrev_b64_e32 v[42:43], v42, v[1:2]
	v_sub_nc_u32_e32 v43, 29, v44
	s_delay_alu instid0(VALU_DEP_2)
	v_and_b32_e32 v42, 7, v42
; %bb.386:                              ;   in Loop: Header=BB262_298 Depth=1
	s_wait_alu 0xfffe
	s_or_b32 exec_lo, exec_lo, s24
	v_lshlrev_b32_e32 v1, 8, v1
	v_lshl_add_u32 v43, v43, 10, 0x2000
	v_lshlrev_b32_e32 v42, 7, v42
	s_delay_alu instid0(VALU_DEP_3) | instskip(NEXT) | instid1(VALU_DEP_3)
	v_and_b32_e32 v1, 0x8000, v1
	v_and_b32_e32 v43, 0xfc00, v43
	s_delay_alu instid0(VALU_DEP_1)
	v_or3_b32 v42, v1, v43, v42
.LBB262_387:                            ;   in Loop: Header=BB262_298 Depth=1
	s_wait_alu 0xfffe
	s_or_b32 exec_lo, exec_lo, s19
.LBB262_388:                            ;   in Loop: Header=BB262_298 Depth=1
	s_wait_alu 0xfffe
	s_or_b32 exec_lo, exec_lo, s18
.LBB262_389:                            ;   in Loop: Header=BB262_298 Depth=1
	s_wait_alu 0xfffe
	s_or_b32 exec_lo, exec_lo, s17
	s_delay_alu instid0(SALU_CYCLE_1)
	s_mov_b32 s17, exec_lo
	v_cmpx_lt_u32_e32 0xffffff, v9
	s_cbranch_execz .LBB262_397
; %bb.390:                              ;   in Loop: Header=BB262_298 Depth=1
	v_lshrrev_b32_e32 v1, 24, v9
	v_bfrev_b32_e32 v41, 1
	s_mov_b32 s18, exec_lo
	s_delay_alu instid0(VALU_DEP_2)
	v_cmpx_ne_u32_e32 0x80, v1
	s_cbranch_execz .LBB262_396
; %bb.391:                              ;   in Loop: Header=BB262_298 Depth=1
	v_and_b32_e32 v44, 0x7f, v1
	v_mov_b32_e32 v41, 0x7c010000
	s_mov_b32 s19, exec_lo
	s_delay_alu instid0(VALU_DEP_2)
	v_cmpx_ne_u32_e32 0x7f, v44
	s_cbranch_execz .LBB262_395
; %bb.392:                              ;   in Loop: Header=BB262_298 Depth=1
	v_and_b32_e32 v41, 7, v1
	v_lshrrev_b32_e32 v43, 3, v44
	s_mov_b32 s24, exec_lo
	v_cmpx_gt_u32_e32 8, v44
; %bb.393:                              ;   in Loop: Header=BB262_298 Depth=1
	s_delay_alu instid0(VALU_DEP_3) | instskip(NEXT) | instid1(VALU_DEP_1)
	v_clz_i32_u32_e32 v41, v41
	v_min_u32_e32 v41, 32, v41
	s_delay_alu instid0(VALU_DEP_1) | instskip(NEXT) | instid1(VALU_DEP_1)
	v_subrev_nc_u32_e32 v43, 28, v41
	v_lshlrev_b64_e32 v[44:45], v43, v[1:2]
	v_sub_nc_u32_e32 v43, 29, v41
	s_delay_alu instid0(VALU_DEP_2)
	v_and_b32_e32 v41, 7, v44
; %bb.394:                              ;   in Loop: Header=BB262_298 Depth=1
	s_wait_alu 0xfffe
	s_or_b32 exec_lo, exec_lo, s24
	v_lshlrev_b32_e32 v1, 8, v1
	v_lshl_add_u32 v43, v43, 10, 0x2000
	v_lshlrev_b32_e32 v41, 23, v41
	s_delay_alu instid0(VALU_DEP_2) | instskip(NEXT) | instid1(VALU_DEP_1)
	v_and_or_b32 v1, 0x8000, v1, v43
	v_lshl_or_b32 v41, v1, 16, v41
.LBB262_395:                            ;   in Loop: Header=BB262_298 Depth=1
	s_wait_alu 0xfffe
	s_or_b32 exec_lo, exec_lo, s19
.LBB262_396:                            ;   in Loop: Header=BB262_298 Depth=1
	s_wait_alu 0xfffe
	s_or_b32 exec_lo, exec_lo, s18
.LBB262_397:                            ;   in Loop: Header=BB262_298 Depth=1
	s_wait_alu 0xfffe
	s_or_b32 exec_lo, exec_lo, s17
	v_dual_mov_b32 v44, 0 :: v_dual_and_b32 v45, 0xff, v10
	v_mov_b32_e32 v1, v10
	v_mov_b32_e32 v43, 0
	s_mov_b32 s17, exec_lo
	s_delay_alu instid0(VALU_DEP_3)
	v_cmpx_ne_u16_e32 0, v45
	s_cbranch_execz .LBB262_405
; %bb.398:                              ;   in Loop: Header=BB262_298 Depth=1
	v_mov_b32_e32 v44, 0x8000
	s_mov_b32 s18, exec_lo
	v_cmpx_ne_u16_e32 0x80, v45
	s_cbranch_execz .LBB262_404
; %bb.399:                              ;   in Loop: Header=BB262_298 Depth=1
	v_and_b32_e32 v46, 0x7f, v10
	v_mov_b32_e32 v44, 0x7c01
	s_mov_b32 s19, exec_lo
	s_delay_alu instid0(VALU_DEP_2)
	v_cmpx_ne_u32_e32 0x7f, v46
	s_cbranch_execz .LBB262_403
; %bb.400:                              ;   in Loop: Header=BB262_298 Depth=1
	v_and_b32_e32 v44, 7, v10
	v_lshrrev_b32_e32 v45, 3, v46
	s_mov_b32 s24, exec_lo
	v_cmpx_gt_u32_e32 8, v46
; %bb.401:                              ;   in Loop: Header=BB262_298 Depth=1
	s_delay_alu instid0(VALU_DEP_3) | instskip(NEXT) | instid1(VALU_DEP_1)
	v_clz_i32_u32_e32 v44, v44
	v_min_u32_e32 v46, 32, v44
	s_delay_alu instid0(VALU_DEP_1) | instskip(NEXT) | instid1(VALU_DEP_1)
	v_subrev_nc_u32_e32 v44, 28, v46
	v_lshlrev_b64_e32 v[44:45], v44, v[1:2]
	v_sub_nc_u32_e32 v45, 29, v46
	s_delay_alu instid0(VALU_DEP_2)
	v_and_b32_e32 v44, 7, v44
; %bb.402:                              ;   in Loop: Header=BB262_298 Depth=1
	s_wait_alu 0xfffe
	s_or_b32 exec_lo, exec_lo, s24
	v_lshlrev_b32_e32 v46, 8, v10
	v_lshl_add_u32 v45, v45, 10, 0x2000
	v_lshlrev_b32_e32 v44, 7, v44
	s_delay_alu instid0(VALU_DEP_3) | instskip(NEXT) | instid1(VALU_DEP_3)
	v_and_b32_e32 v46, 0x8000, v46
	v_and_b32_e32 v45, 0xfc00, v45
	s_delay_alu instid0(VALU_DEP_1)
	v_or3_b32 v44, v46, v45, v44
.LBB262_403:                            ;   in Loop: Header=BB262_298 Depth=1
	s_wait_alu 0xfffe
	s_or_b32 exec_lo, exec_lo, s19
.LBB262_404:                            ;   in Loop: Header=BB262_298 Depth=1
	s_wait_alu 0xfffe
	s_or_b32 exec_lo, exec_lo, s18
.LBB262_405:                            ;   in Loop: Header=BB262_298 Depth=1
	s_wait_alu 0xfffe
	s_or_b32 exec_lo, exec_lo, s17
	v_lshrrev_b16 v1, 8, v1
	v_mov_b32_e32 v45, 0
	s_mov_b32 s17, exec_lo
	s_delay_alu instid0(VALU_DEP_2)
	v_cmpx_ne_u16_e32 0, v1
	s_cbranch_execz .LBB262_413
; %bb.406:                              ;   in Loop: Header=BB262_298 Depth=1
	v_bfrev_b32_e32 v45, 1
	s_mov_b32 s18, exec_lo
	v_cmpx_ne_u16_e32 0x80, v1
	s_cbranch_execz .LBB262_412
; %bb.407:                              ;   in Loop: Header=BB262_298 Depth=1
	v_and_b32_e32 v46, 0xffff, v1
	v_mov_b32_e32 v45, 0x7c010000
	s_mov_b32 s19, exec_lo
	s_delay_alu instid0(VALU_DEP_2) | instskip(NEXT) | instid1(VALU_DEP_1)
	v_and_b32_e32 v48, 0x7f, v46
	v_cmpx_ne_u32_e32 0x7f, v48
	s_cbranch_execz .LBB262_411
; %bb.408:                              ;   in Loop: Header=BB262_298 Depth=1
	v_and_b32_e32 v45, 7, v46
	v_lshrrev_b32_e32 v47, 3, v48
	s_mov_b32 s24, exec_lo
	v_cmpx_gt_u32_e32 8, v48
; %bb.409:                              ;   in Loop: Header=BB262_298 Depth=1
	s_delay_alu instid0(VALU_DEP_3) | instskip(NEXT) | instid1(VALU_DEP_1)
	v_clz_i32_u32_e32 v45, v45
	v_min_u32_e32 v45, 32, v45
	s_delay_alu instid0(VALU_DEP_1) | instskip(NEXT) | instid1(VALU_DEP_1)
	v_subrev_nc_u32_e32 v47, 28, v45
	v_lshlrev_b64_e32 v[48:49], v47, v[1:2]
	v_sub_nc_u32_e32 v47, 29, v45
	s_delay_alu instid0(VALU_DEP_2)
	v_and_b32_e32 v45, 7, v48
; %bb.410:                              ;   in Loop: Header=BB262_298 Depth=1
	s_wait_alu 0xfffe
	s_or_b32 exec_lo, exec_lo, s24
	v_lshlrev_b32_e32 v1, 8, v46
	v_lshl_add_u32 v46, v47, 10, 0x2000
	v_lshlrev_b32_e32 v45, 23, v45
	s_delay_alu instid0(VALU_DEP_2) | instskip(NEXT) | instid1(VALU_DEP_1)
	v_and_or_b32 v1, 0x8000, v1, v46
	v_lshl_or_b32 v45, v1, 16, v45
.LBB262_411:                            ;   in Loop: Header=BB262_298 Depth=1
	s_wait_alu 0xfffe
	s_or_b32 exec_lo, exec_lo, s19
.LBB262_412:                            ;   in Loop: Header=BB262_298 Depth=1
	s_wait_alu 0xfffe
	s_or_b32 exec_lo, exec_lo, s18
.LBB262_413:                            ;   in Loop: Header=BB262_298 Depth=1
	s_wait_alu 0xfffe
	s_or_b32 exec_lo, exec_lo, s17
	v_lshrrev_b32_e32 v1, 16, v10
	s_mov_b32 s17, exec_lo
	s_delay_alu instid0(VALU_DEP_1) | instskip(NEXT) | instid1(VALU_DEP_1)
	v_and_b32_e32 v46, 0xff, v1
	v_cmpx_ne_u16_e32 0, v46
	s_cbranch_execz .LBB262_421
; %bb.414:                              ;   in Loop: Header=BB262_298 Depth=1
	v_mov_b32_e32 v43, 0x8000
	s_mov_b32 s18, exec_lo
	v_cmpx_ne_u16_e32 0x80, v46
	s_cbranch_execz .LBB262_420
; %bb.415:                              ;   in Loop: Header=BB262_298 Depth=1
	v_bfe_u32 v47, v10, 16, 7
	v_mov_b32_e32 v43, 0x7c01
	s_mov_b32 s19, exec_lo
	s_delay_alu instid0(VALU_DEP_2)
	v_cmpx_ne_u32_e32 0x7f, v47
	s_cbranch_execz .LBB262_419
; %bb.416:                              ;   in Loop: Header=BB262_298 Depth=1
	v_and_b32_e32 v43, 7, v1
	v_lshrrev_b32_e32 v46, 3, v47
	s_mov_b32 s24, exec_lo
	v_cmpx_gt_u32_e32 8, v47
; %bb.417:                              ;   in Loop: Header=BB262_298 Depth=1
	s_delay_alu instid0(VALU_DEP_3) | instskip(NEXT) | instid1(VALU_DEP_1)
	v_clz_i32_u32_e32 v43, v43
	v_min_u32_e32 v43, 32, v43
	s_delay_alu instid0(VALU_DEP_1) | instskip(NEXT) | instid1(VALU_DEP_1)
	v_subrev_nc_u32_e32 v46, 28, v43
	v_lshlrev_b64_e32 v[47:48], v46, v[1:2]
	v_sub_nc_u32_e32 v46, 29, v43
	s_delay_alu instid0(VALU_DEP_2)
	v_and_b32_e32 v43, 7, v47
; %bb.418:                              ;   in Loop: Header=BB262_298 Depth=1
	s_wait_alu 0xfffe
	s_or_b32 exec_lo, exec_lo, s24
	v_lshlrev_b32_e32 v1, 8, v1
	v_lshl_add_u32 v46, v46, 10, 0x2000
	v_lshlrev_b32_e32 v43, 7, v43
	s_delay_alu instid0(VALU_DEP_3) | instskip(NEXT) | instid1(VALU_DEP_3)
	v_and_b32_e32 v1, 0x8000, v1
	v_and_b32_e32 v46, 0xfc00, v46
	s_delay_alu instid0(VALU_DEP_1)
	v_or3_b32 v43, v1, v46, v43
.LBB262_419:                            ;   in Loop: Header=BB262_298 Depth=1
	s_wait_alu 0xfffe
	s_or_b32 exec_lo, exec_lo, s19
.LBB262_420:                            ;   in Loop: Header=BB262_298 Depth=1
	s_wait_alu 0xfffe
	s_or_b32 exec_lo, exec_lo, s18
.LBB262_421:                            ;   in Loop: Header=BB262_298 Depth=1
	s_wait_alu 0xfffe
	s_or_b32 exec_lo, exec_lo, s17
	v_cmp_lt_u64_e64 s0, s[2:3], v[9:10]
	v_mov_b32_e32 v9, 0
	s_and_saveexec_b32 s17, s0
	s_cbranch_execz .LBB262_429
; %bb.422:                              ;   in Loop: Header=BB262_298 Depth=1
	v_lshrrev_b32_e32 v1, 24, v10
	v_bfrev_b32_e32 v9, 1
	s_mov_b32 s18, exec_lo
	s_delay_alu instid0(VALU_DEP_2)
	v_cmpx_ne_u32_e32 0x80, v1
	s_cbranch_execz .LBB262_428
; %bb.423:                              ;   in Loop: Header=BB262_298 Depth=1
	v_and_b32_e32 v46, 0x7f, v1
	v_mov_b32_e32 v9, 0x7c010000
	s_mov_b32 s19, exec_lo
	s_delay_alu instid0(VALU_DEP_2)
	v_cmpx_ne_u32_e32 0x7f, v46
	s_cbranch_execz .LBB262_427
; %bb.424:                              ;   in Loop: Header=BB262_298 Depth=1
	v_and_b32_e32 v9, 7, v1
	v_lshrrev_b32_e32 v10, 3, v46
	s_mov_b32 s24, exec_lo
	v_cmpx_gt_u32_e32 8, v46
; %bb.425:                              ;   in Loop: Header=BB262_298 Depth=1
	s_delay_alu instid0(VALU_DEP_3) | instskip(NEXT) | instid1(VALU_DEP_1)
	v_clz_i32_u32_e32 v9, v9
	v_min_u32_e32 v46, 32, v9
	s_delay_alu instid0(VALU_DEP_1) | instskip(NEXT) | instid1(VALU_DEP_1)
	v_subrev_nc_u32_e32 v9, 28, v46
	v_lshlrev_b64_e32 v[9:10], v9, v[1:2]
	v_sub_nc_u32_e32 v10, 29, v46
	s_delay_alu instid0(VALU_DEP_2)
	v_and_b32_e32 v9, 7, v9
; %bb.426:                              ;   in Loop: Header=BB262_298 Depth=1
	s_wait_alu 0xfffe
	s_or_b32 exec_lo, exec_lo, s24
	v_lshlrev_b32_e32 v1, 8, v1
	v_lshl_add_u32 v10, v10, 10, 0x2000
	v_lshlrev_b32_e32 v9, 23, v9
	s_delay_alu instid0(VALU_DEP_2) | instskip(NEXT) | instid1(VALU_DEP_1)
	v_and_or_b32 v1, 0x8000, v1, v10
	v_lshl_or_b32 v9, v1, 16, v9
.LBB262_427:                            ;   in Loop: Header=BB262_298 Depth=1
	s_wait_alu 0xfffe
	s_or_b32 exec_lo, exec_lo, s19
.LBB262_428:                            ;   in Loop: Header=BB262_298 Depth=1
	s_wait_alu 0xfffe
	s_or_b32 exec_lo, exec_lo, s18
.LBB262_429:                            ;   in Loop: Header=BB262_298 Depth=1
	s_wait_alu 0xfffe
	s_or_b32 exec_lo, exec_lo, s17
	v_or_b32_e32 v1, v41, v42
	s_wait_loadcnt 0x0
	v_fma_mixlo_f16 v10, v38, v41, 0 op_sel:[0,1,0] op_sel_hi:[0,1,0]
	v_or_b32_e32 v41, v39, v40
	v_fma_mixlo_f16 v39, v38, v39, 0 op_sel:[0,1,0] op_sel_hi:[0,1,0]
	v_or_b32_e32 v42, v45, v44
	v_or_b32_e32 v43, v9, v43
	v_fma_mixlo_f16 v44, v38, v1, 0 op_sel_hi:[0,1,0]
	v_fma_mixlo_f16 v9, v38, v9, 0 op_sel:[0,1,0] op_sel_hi:[0,1,0]
	v_lshlrev_b32_e32 v40, 16, v39
	v_fma_mixlo_f16 v39, v38, v41, 0 op_sel_hi:[0,1,0]
	v_fma_mixlo_f16 v41, v38, v45, 0 op_sel:[0,1,0] op_sel_hi:[0,1,0]
	v_fma_mixlo_f16 v42, v38, v42, 0 op_sel_hi:[0,1,0]
	v_fma_mixlo_f16 v43, v38, v43, 0 op_sel_hi:[0,1,0]
	v_lshlrev_b32_e32 v1, 16, v10
	v_and_b32_e32 v10, 0xffff, v44
	v_and_b32_e32 v46, 0xffff, v39
	v_lshlrev_b32_e32 v38, 16, v41
	v_and_b32_e32 v42, 0xffff, v42
	v_lshlrev_b32_e32 v9, 16, v9
	v_and_b32_e32 v39, 0xffff, v43
	v_or_b32_e32 v41, v1, v10
	v_or_b32_e32 v45, v40, v46
	;; [unrolled: 1-line block ×3, first 2 shown]
	s_delay_alu instid0(VALU_DEP_4)
	v_or_b32_e32 v43, v9, v39
	s_and_saveexec_b32 s17, vcc_lo
	s_cbranch_execz .LBB262_431
; %bb.430:                              ;   in Loop: Header=BB262_298 Depth=1
	v_cmp_gt_i32_e64 s0, s34, v24
	s_wait_alu 0xf1ff
	s_delay_alu instid0(VALU_DEP_1) | instskip(SKIP_2) | instid1(VALU_DEP_1)
	v_cndmask_b32_e64 v41, 0, v46, s0
	v_cmp_gt_i32_e64 s0, s34, v31
	s_wait_alu 0xf1ff
	v_cndmask_b32_e64 v40, 0, v40, s0
	v_cmp_gt_i32_e64 s0, s34, v30
	s_delay_alu instid0(VALU_DEP_2) | instskip(SKIP_1) | instid1(VALU_DEP_2)
	v_or_b32_e32 v45, v40, v41
	s_wait_alu 0xf1ff
	v_cndmask_b32_e64 v10, 0, v10, s0
	v_cmp_gt_i32_e64 s0, s34, v29
	s_wait_alu 0xf1ff
	s_delay_alu instid0(VALU_DEP_1) | instskip(SKIP_1) | instid1(VALU_DEP_2)
	v_cndmask_b32_e64 v1, 0, v1, s0
	v_cmp_gt_i32_e64 s0, s34, v28
	v_or_b32_e32 v41, v1, v10
	s_wait_alu 0xf1ff
	s_delay_alu instid0(VALU_DEP_2) | instskip(SKIP_2) | instid1(VALU_DEP_1)
	v_cndmask_b32_e64 v42, 0, v42, s0
	v_cmp_gt_i32_e64 s0, s34, v27
	s_wait_alu 0xf1ff
	v_cndmask_b32_e64 v38, 0, v38, s0
	v_cmp_gt_i32_e64 s0, s34, v26
	s_delay_alu instid0(VALU_DEP_2) | instskip(SKIP_1) | instid1(VALU_DEP_2)
	v_or_b32_e32 v44, v38, v42
	s_wait_alu 0xf1ff
	v_cndmask_b32_e64 v39, 0, v39, s0
	v_cmp_gt_i32_e64 s0, s34, v25
	s_wait_alu 0xf1ff
	s_delay_alu instid0(VALU_DEP_1) | instskip(NEXT) | instid1(VALU_DEP_1)
	v_cndmask_b32_e64 v9, 0, v9, s0
	v_or_b32_e32 v43, v9, v39
.LBB262_431:                            ;   in Loop: Header=BB262_298 Depth=1
	s_wait_alu 0xfffe
	s_or_b32 exec_lo, exec_lo, s17
	;;#ASMSTART
	v_pk_mul_f16 v1, v37, v45;

	;;#ASMEND
	;;#ASMSTART
	v_pk_mul_f16 v9, v36, v41;

	;;#ASMEND
	;;#ASMSTART
	v_pk_mul_f16 v10, v35, v44;

	;;#ASMEND
	;;#ASMSTART
	v_pk_mul_f16 v38, v34, v43;

	;;#ASMEND
	;;#ASMSTART
	v_pk_add_f16 v1, v1, v9;

	;;#ASMEND
	;;#ASMSTART
	v_pk_add_f16 v1, v1, v10;

	;;#ASMEND
	;; [unrolled: 4-line block ×3, first 2 shown]
	v_dual_mov_b32 v42, 0 :: v_dual_and_b32 v9, 0xffff, v1
	v_lshrrev_b32_e32 v1, 16, v1
	;;#ASMSTART
	v_cvt_f32_f16 v38, v9;
	;;#ASMEND
	;;#ASMSTART
	v_cvt_f32_f16 v39, v1;
	;;#ASMEND
	global_load_b64 v[9:10], v[7:8], off offset:512
	v_mov_b32_e32 v41, 0
	s_mov_b32 s17, exec_lo
	global_load_b32 v40, v41, s[10:11]
	s_wait_loadcnt 0x1
	v_and_b32_e32 v1, 0xff, v9
	s_delay_alu instid0(VALU_DEP_1)
	v_cmpx_ne_u16_e32 0, v1
	s_cbranch_execz .LBB262_439
; %bb.432:                              ;   in Loop: Header=BB262_298 Depth=1
	v_mov_b32_e32 v42, 0x8000
	s_mov_b32 s18, exec_lo
	v_cmpx_ne_u16_e32 0x80, v1
	s_cbranch_execz .LBB262_438
; %bb.433:                              ;   in Loop: Header=BB262_298 Depth=1
	v_and_b32_e32 v43, 0x7f, v9
	v_mov_b32_e32 v42, 0x7c01
	s_mov_b32 s19, exec_lo
	s_delay_alu instid0(VALU_DEP_2)
	v_cmpx_ne_u32_e32 0x7f, v43
	s_cbranch_execz .LBB262_437
; %bb.434:                              ;   in Loop: Header=BB262_298 Depth=1
	v_and_b32_e32 v1, 7, v9
	v_lshrrev_b32_e32 v42, 3, v43
	s_mov_b32 s24, exec_lo
	v_cmpx_gt_u32_e32 8, v43
; %bb.435:                              ;   in Loop: Header=BB262_298 Depth=1
	s_delay_alu instid0(VALU_DEP_3) | instskip(NEXT) | instid1(VALU_DEP_1)
	v_clz_i32_u32_e32 v1, v1
	v_min_u32_e32 v1, 32, v1
	s_delay_alu instid0(VALU_DEP_1) | instskip(NEXT) | instid1(VALU_DEP_1)
	v_subrev_nc_u32_e32 v42, 28, v1
	v_lshlrev_b64_e32 v[43:44], v42, v[9:10]
	v_sub_nc_u32_e32 v42, 29, v1
	s_delay_alu instid0(VALU_DEP_2)
	v_and_b32_e32 v1, 7, v43
; %bb.436:                              ;   in Loop: Header=BB262_298 Depth=1
	s_wait_alu 0xfffe
	s_or_b32 exec_lo, exec_lo, s24
	v_lshlrev_b32_e32 v43, 8, v9
	v_lshl_add_u32 v42, v42, 10, 0x2000
	v_lshlrev_b32_e32 v1, 7, v1
	s_delay_alu instid0(VALU_DEP_3) | instskip(NEXT) | instid1(VALU_DEP_3)
	v_and_b32_e32 v43, 0x8000, v43
	v_and_b32_e32 v42, 0xfc00, v42
	s_delay_alu instid0(VALU_DEP_1)
	v_or3_b32 v42, v43, v42, v1
.LBB262_437:                            ;   in Loop: Header=BB262_298 Depth=1
	s_wait_alu 0xfffe
	s_or_b32 exec_lo, exec_lo, s19
.LBB262_438:                            ;   in Loop: Header=BB262_298 Depth=1
	s_wait_alu 0xfffe
	s_or_b32 exec_lo, exec_lo, s18
.LBB262_439:                            ;   in Loop: Header=BB262_298 Depth=1
	s_wait_alu 0xfffe
	s_or_b32 exec_lo, exec_lo, s17
	v_lshrrev_b16 v1, 8, v9
	s_mov_b32 s17, exec_lo
	s_delay_alu instid0(VALU_DEP_1)
	v_cmpx_ne_u16_e32 0, v1
	s_cbranch_execz .LBB262_447
; %bb.440:                              ;   in Loop: Header=BB262_298 Depth=1
	v_bfrev_b32_e32 v41, 1
	s_mov_b32 s18, exec_lo
	v_cmpx_ne_u16_e32 0x80, v1
	s_cbranch_execz .LBB262_446
; %bb.441:                              ;   in Loop: Header=BB262_298 Depth=1
	v_and_b32_e32 v43, 0xffff, v1
	v_mov_b32_e32 v41, 0x7c010000
	s_mov_b32 s19, exec_lo
	s_delay_alu instid0(VALU_DEP_2) | instskip(NEXT) | instid1(VALU_DEP_1)
	v_and_b32_e32 v45, 0x7f, v43
	v_cmpx_ne_u32_e32 0x7f, v45
	s_cbranch_execz .LBB262_445
; %bb.442:                              ;   in Loop: Header=BB262_298 Depth=1
	v_and_b32_e32 v41, 7, v43
	v_lshrrev_b32_e32 v44, 3, v45
	s_mov_b32 s24, exec_lo
	v_cmpx_gt_u32_e32 8, v45
; %bb.443:                              ;   in Loop: Header=BB262_298 Depth=1
	s_delay_alu instid0(VALU_DEP_3) | instskip(NEXT) | instid1(VALU_DEP_1)
	v_clz_i32_u32_e32 v41, v41
	v_min_u32_e32 v41, 32, v41
	s_delay_alu instid0(VALU_DEP_1) | instskip(NEXT) | instid1(VALU_DEP_1)
	v_subrev_nc_u32_e32 v44, 28, v41
	v_lshlrev_b64_e32 v[45:46], v44, v[1:2]
	v_sub_nc_u32_e32 v44, 29, v41
	s_delay_alu instid0(VALU_DEP_2)
	v_and_b32_e32 v41, 7, v45
; %bb.444:                              ;   in Loop: Header=BB262_298 Depth=1
	s_wait_alu 0xfffe
	s_or_b32 exec_lo, exec_lo, s24
	v_lshlrev_b32_e32 v1, 8, v43
	v_lshl_add_u32 v43, v44, 10, 0x2000
	v_lshlrev_b32_e32 v41, 23, v41
	s_delay_alu instid0(VALU_DEP_2) | instskip(NEXT) | instid1(VALU_DEP_1)
	v_and_or_b32 v1, 0x8000, v1, v43
	v_lshl_or_b32 v41, v1, 16, v41
.LBB262_445:                            ;   in Loop: Header=BB262_298 Depth=1
	s_wait_alu 0xfffe
	s_or_b32 exec_lo, exec_lo, s19
.LBB262_446:                            ;   in Loop: Header=BB262_298 Depth=1
	s_wait_alu 0xfffe
	s_or_b32 exec_lo, exec_lo, s18
.LBB262_447:                            ;   in Loop: Header=BB262_298 Depth=1
	s_wait_alu 0xfffe
	s_or_b32 exec_lo, exec_lo, s17
	v_lshrrev_b32_e32 v1, 16, v9
	v_mov_b32_e32 v43, 0
	s_mov_b32 s17, exec_lo
	s_delay_alu instid0(VALU_DEP_2) | instskip(NEXT) | instid1(VALU_DEP_1)
	v_dual_mov_b32 v44, 0 :: v_dual_and_b32 v45, 0xff, v1
	v_cmpx_ne_u16_e32 0, v45
	s_cbranch_execz .LBB262_455
; %bb.448:                              ;   in Loop: Header=BB262_298 Depth=1
	v_mov_b32_e32 v44, 0x8000
	s_mov_b32 s18, exec_lo
	v_cmpx_ne_u16_e32 0x80, v45
	s_cbranch_execz .LBB262_454
; %bb.449:                              ;   in Loop: Header=BB262_298 Depth=1
	v_bfe_u32 v46, v9, 16, 7
	v_mov_b32_e32 v44, 0x7c01
	s_mov_b32 s19, exec_lo
	s_delay_alu instid0(VALU_DEP_2)
	v_cmpx_ne_u32_e32 0x7f, v46
	s_cbranch_execz .LBB262_453
; %bb.450:                              ;   in Loop: Header=BB262_298 Depth=1
	v_and_b32_e32 v44, 7, v1
	v_lshrrev_b32_e32 v45, 3, v46
	s_mov_b32 s24, exec_lo
	v_cmpx_gt_u32_e32 8, v46
; %bb.451:                              ;   in Loop: Header=BB262_298 Depth=1
	s_delay_alu instid0(VALU_DEP_3) | instskip(NEXT) | instid1(VALU_DEP_1)
	v_clz_i32_u32_e32 v44, v44
	v_min_u32_e32 v46, 32, v44
	s_delay_alu instid0(VALU_DEP_1) | instskip(NEXT) | instid1(VALU_DEP_1)
	v_subrev_nc_u32_e32 v44, 28, v46
	v_lshlrev_b64_e32 v[44:45], v44, v[1:2]
	v_sub_nc_u32_e32 v45, 29, v46
	s_delay_alu instid0(VALU_DEP_2)
	v_and_b32_e32 v44, 7, v44
; %bb.452:                              ;   in Loop: Header=BB262_298 Depth=1
	s_wait_alu 0xfffe
	s_or_b32 exec_lo, exec_lo, s24
	v_lshlrev_b32_e32 v1, 8, v1
	v_lshl_add_u32 v45, v45, 10, 0x2000
	v_lshlrev_b32_e32 v44, 7, v44
	s_delay_alu instid0(VALU_DEP_3) | instskip(NEXT) | instid1(VALU_DEP_3)
	v_and_b32_e32 v1, 0x8000, v1
	v_and_b32_e32 v45, 0xfc00, v45
	s_delay_alu instid0(VALU_DEP_1)
	v_or3_b32 v44, v1, v45, v44
.LBB262_453:                            ;   in Loop: Header=BB262_298 Depth=1
	s_wait_alu 0xfffe
	s_or_b32 exec_lo, exec_lo, s19
.LBB262_454:                            ;   in Loop: Header=BB262_298 Depth=1
	s_wait_alu 0xfffe
	s_or_b32 exec_lo, exec_lo, s18
.LBB262_455:                            ;   in Loop: Header=BB262_298 Depth=1
	s_wait_alu 0xfffe
	s_or_b32 exec_lo, exec_lo, s17
	s_delay_alu instid0(SALU_CYCLE_1)
	s_mov_b32 s17, exec_lo
	v_cmpx_lt_u32_e32 0xffffff, v9
	s_cbranch_execz .LBB262_463
; %bb.456:                              ;   in Loop: Header=BB262_298 Depth=1
	v_lshrrev_b32_e32 v1, 24, v9
	v_bfrev_b32_e32 v43, 1
	s_mov_b32 s18, exec_lo
	s_delay_alu instid0(VALU_DEP_2)
	v_cmpx_ne_u32_e32 0x80, v1
	s_cbranch_execz .LBB262_462
; %bb.457:                              ;   in Loop: Header=BB262_298 Depth=1
	v_and_b32_e32 v46, 0x7f, v1
	v_mov_b32_e32 v43, 0x7c010000
	s_mov_b32 s19, exec_lo
	s_delay_alu instid0(VALU_DEP_2)
	v_cmpx_ne_u32_e32 0x7f, v46
	s_cbranch_execz .LBB262_461
; %bb.458:                              ;   in Loop: Header=BB262_298 Depth=1
	v_and_b32_e32 v43, 7, v1
	v_lshrrev_b32_e32 v45, 3, v46
	s_mov_b32 s24, exec_lo
	v_cmpx_gt_u32_e32 8, v46
; %bb.459:                              ;   in Loop: Header=BB262_298 Depth=1
	s_delay_alu instid0(VALU_DEP_3) | instskip(NEXT) | instid1(VALU_DEP_1)
	v_clz_i32_u32_e32 v43, v43
	v_min_u32_e32 v43, 32, v43
	s_delay_alu instid0(VALU_DEP_1) | instskip(NEXT) | instid1(VALU_DEP_1)
	v_subrev_nc_u32_e32 v45, 28, v43
	v_lshlrev_b64_e32 v[46:47], v45, v[1:2]
	v_sub_nc_u32_e32 v45, 29, v43
	s_delay_alu instid0(VALU_DEP_2)
	v_and_b32_e32 v43, 7, v46
; %bb.460:                              ;   in Loop: Header=BB262_298 Depth=1
	s_wait_alu 0xfffe
	s_or_b32 exec_lo, exec_lo, s24
	v_lshlrev_b32_e32 v1, 8, v1
	v_lshl_add_u32 v45, v45, 10, 0x2000
	v_lshlrev_b32_e32 v43, 23, v43
	s_delay_alu instid0(VALU_DEP_2) | instskip(NEXT) | instid1(VALU_DEP_1)
	v_and_or_b32 v1, 0x8000, v1, v45
	v_lshl_or_b32 v43, v1, 16, v43
.LBB262_461:                            ;   in Loop: Header=BB262_298 Depth=1
	s_wait_alu 0xfffe
	s_or_b32 exec_lo, exec_lo, s19
.LBB262_462:                            ;   in Loop: Header=BB262_298 Depth=1
	s_wait_alu 0xfffe
	s_or_b32 exec_lo, exec_lo, s18
.LBB262_463:                            ;   in Loop: Header=BB262_298 Depth=1
	s_wait_alu 0xfffe
	s_or_b32 exec_lo, exec_lo, s17
	v_dual_mov_b32 v46, 0 :: v_dual_and_b32 v47, 0xff, v10
	v_mov_b32_e32 v1, v10
	v_mov_b32_e32 v45, 0
	s_mov_b32 s17, exec_lo
	s_delay_alu instid0(VALU_DEP_3)
	v_cmpx_ne_u16_e32 0, v47
	s_cbranch_execz .LBB262_471
; %bb.464:                              ;   in Loop: Header=BB262_298 Depth=1
	v_mov_b32_e32 v46, 0x8000
	s_mov_b32 s18, exec_lo
	v_cmpx_ne_u16_e32 0x80, v47
	s_cbranch_execz .LBB262_470
; %bb.465:                              ;   in Loop: Header=BB262_298 Depth=1
	v_and_b32_e32 v48, 0x7f, v10
	v_mov_b32_e32 v46, 0x7c01
	s_mov_b32 s19, exec_lo
	s_delay_alu instid0(VALU_DEP_2)
	v_cmpx_ne_u32_e32 0x7f, v48
	s_cbranch_execz .LBB262_469
; %bb.466:                              ;   in Loop: Header=BB262_298 Depth=1
	v_and_b32_e32 v46, 7, v10
	v_lshrrev_b32_e32 v47, 3, v48
	s_mov_b32 s24, exec_lo
	v_cmpx_gt_u32_e32 8, v48
; %bb.467:                              ;   in Loop: Header=BB262_298 Depth=1
	s_delay_alu instid0(VALU_DEP_3) | instskip(NEXT) | instid1(VALU_DEP_1)
	v_clz_i32_u32_e32 v46, v46
	v_min_u32_e32 v48, 32, v46
	s_delay_alu instid0(VALU_DEP_1) | instskip(NEXT) | instid1(VALU_DEP_1)
	v_subrev_nc_u32_e32 v46, 28, v48
	v_lshlrev_b64_e32 v[46:47], v46, v[1:2]
	v_sub_nc_u32_e32 v47, 29, v48
	s_delay_alu instid0(VALU_DEP_2)
	v_and_b32_e32 v46, 7, v46
; %bb.468:                              ;   in Loop: Header=BB262_298 Depth=1
	s_wait_alu 0xfffe
	s_or_b32 exec_lo, exec_lo, s24
	v_lshlrev_b32_e32 v48, 8, v10
	v_lshl_add_u32 v47, v47, 10, 0x2000
	v_lshlrev_b32_e32 v46, 7, v46
	s_delay_alu instid0(VALU_DEP_3) | instskip(NEXT) | instid1(VALU_DEP_3)
	v_and_b32_e32 v48, 0x8000, v48
	v_and_b32_e32 v47, 0xfc00, v47
	s_delay_alu instid0(VALU_DEP_1)
	v_or3_b32 v46, v48, v47, v46
.LBB262_469:                            ;   in Loop: Header=BB262_298 Depth=1
	s_wait_alu 0xfffe
	s_or_b32 exec_lo, exec_lo, s19
.LBB262_470:                            ;   in Loop: Header=BB262_298 Depth=1
	s_wait_alu 0xfffe
	s_or_b32 exec_lo, exec_lo, s18
.LBB262_471:                            ;   in Loop: Header=BB262_298 Depth=1
	s_wait_alu 0xfffe
	s_or_b32 exec_lo, exec_lo, s17
	v_lshrrev_b16 v1, 8, v1
	v_mov_b32_e32 v47, 0
	s_mov_b32 s17, exec_lo
	s_delay_alu instid0(VALU_DEP_2)
	v_cmpx_ne_u16_e32 0, v1
	s_cbranch_execz .LBB262_479
; %bb.472:                              ;   in Loop: Header=BB262_298 Depth=1
	v_bfrev_b32_e32 v47, 1
	s_mov_b32 s18, exec_lo
	v_cmpx_ne_u16_e32 0x80, v1
	s_cbranch_execz .LBB262_478
; %bb.473:                              ;   in Loop: Header=BB262_298 Depth=1
	v_and_b32_e32 v48, 0xffff, v1
	v_mov_b32_e32 v47, 0x7c010000
	s_mov_b32 s19, exec_lo
	s_delay_alu instid0(VALU_DEP_2) | instskip(NEXT) | instid1(VALU_DEP_1)
	v_and_b32_e32 v50, 0x7f, v48
	v_cmpx_ne_u32_e32 0x7f, v50
	s_cbranch_execz .LBB262_477
; %bb.474:                              ;   in Loop: Header=BB262_298 Depth=1
	v_and_b32_e32 v47, 7, v48
	v_lshrrev_b32_e32 v49, 3, v50
	s_mov_b32 s24, exec_lo
	v_cmpx_gt_u32_e32 8, v50
; %bb.475:                              ;   in Loop: Header=BB262_298 Depth=1
	s_delay_alu instid0(VALU_DEP_3) | instskip(NEXT) | instid1(VALU_DEP_1)
	v_clz_i32_u32_e32 v47, v47
	v_min_u32_e32 v47, 32, v47
	s_delay_alu instid0(VALU_DEP_1) | instskip(NEXT) | instid1(VALU_DEP_1)
	v_subrev_nc_u32_e32 v49, 28, v47
	v_lshlrev_b64_e32 v[50:51], v49, v[1:2]
	v_sub_nc_u32_e32 v49, 29, v47
	s_delay_alu instid0(VALU_DEP_2)
	v_and_b32_e32 v47, 7, v50
; %bb.476:                              ;   in Loop: Header=BB262_298 Depth=1
	s_wait_alu 0xfffe
	s_or_b32 exec_lo, exec_lo, s24
	v_lshlrev_b32_e32 v1, 8, v48
	v_lshl_add_u32 v48, v49, 10, 0x2000
	v_lshlrev_b32_e32 v47, 23, v47
	s_delay_alu instid0(VALU_DEP_2) | instskip(NEXT) | instid1(VALU_DEP_1)
	v_and_or_b32 v1, 0x8000, v1, v48
	v_lshl_or_b32 v47, v1, 16, v47
.LBB262_477:                            ;   in Loop: Header=BB262_298 Depth=1
	s_wait_alu 0xfffe
	s_or_b32 exec_lo, exec_lo, s19
.LBB262_478:                            ;   in Loop: Header=BB262_298 Depth=1
	s_wait_alu 0xfffe
	s_or_b32 exec_lo, exec_lo, s18
.LBB262_479:                            ;   in Loop: Header=BB262_298 Depth=1
	s_wait_alu 0xfffe
	s_or_b32 exec_lo, exec_lo, s17
	v_lshrrev_b32_e32 v1, 16, v10
	s_mov_b32 s17, exec_lo
	s_delay_alu instid0(VALU_DEP_1) | instskip(NEXT) | instid1(VALU_DEP_1)
	v_and_b32_e32 v48, 0xff, v1
	v_cmpx_ne_u16_e32 0, v48
	s_cbranch_execz .LBB262_487
; %bb.480:                              ;   in Loop: Header=BB262_298 Depth=1
	v_mov_b32_e32 v45, 0x8000
	s_mov_b32 s18, exec_lo
	v_cmpx_ne_u16_e32 0x80, v48
	s_cbranch_execz .LBB262_486
; %bb.481:                              ;   in Loop: Header=BB262_298 Depth=1
	v_bfe_u32 v49, v10, 16, 7
	v_mov_b32_e32 v45, 0x7c01
	s_mov_b32 s19, exec_lo
	s_delay_alu instid0(VALU_DEP_2)
	v_cmpx_ne_u32_e32 0x7f, v49
	s_cbranch_execz .LBB262_485
; %bb.482:                              ;   in Loop: Header=BB262_298 Depth=1
	v_and_b32_e32 v45, 7, v1
	v_lshrrev_b32_e32 v48, 3, v49
	s_mov_b32 s24, exec_lo
	v_cmpx_gt_u32_e32 8, v49
; %bb.483:                              ;   in Loop: Header=BB262_298 Depth=1
	s_delay_alu instid0(VALU_DEP_3) | instskip(NEXT) | instid1(VALU_DEP_1)
	v_clz_i32_u32_e32 v45, v45
	v_min_u32_e32 v45, 32, v45
	s_delay_alu instid0(VALU_DEP_1) | instskip(NEXT) | instid1(VALU_DEP_1)
	v_subrev_nc_u32_e32 v48, 28, v45
	v_lshlrev_b64_e32 v[49:50], v48, v[1:2]
	v_sub_nc_u32_e32 v48, 29, v45
	s_delay_alu instid0(VALU_DEP_2)
	v_and_b32_e32 v45, 7, v49
; %bb.484:                              ;   in Loop: Header=BB262_298 Depth=1
	s_wait_alu 0xfffe
	s_or_b32 exec_lo, exec_lo, s24
	v_lshlrev_b32_e32 v1, 8, v1
	v_lshl_add_u32 v48, v48, 10, 0x2000
	v_lshlrev_b32_e32 v45, 7, v45
	s_delay_alu instid0(VALU_DEP_3) | instskip(NEXT) | instid1(VALU_DEP_3)
	v_and_b32_e32 v1, 0x8000, v1
	v_and_b32_e32 v48, 0xfc00, v48
	s_delay_alu instid0(VALU_DEP_1)
	v_or3_b32 v45, v1, v48, v45
.LBB262_485:                            ;   in Loop: Header=BB262_298 Depth=1
	s_wait_alu 0xfffe
	s_or_b32 exec_lo, exec_lo, s19
.LBB262_486:                            ;   in Loop: Header=BB262_298 Depth=1
	s_wait_alu 0xfffe
	s_or_b32 exec_lo, exec_lo, s18
.LBB262_487:                            ;   in Loop: Header=BB262_298 Depth=1
	s_wait_alu 0xfffe
	s_or_b32 exec_lo, exec_lo, s17
	v_cmp_lt_u64_e64 s0, s[2:3], v[9:10]
	v_mov_b32_e32 v9, 0
	s_and_saveexec_b32 s17, s0
	s_cbranch_execz .LBB262_495
; %bb.488:                              ;   in Loop: Header=BB262_298 Depth=1
	v_lshrrev_b32_e32 v1, 24, v10
	v_bfrev_b32_e32 v9, 1
	s_mov_b32 s18, exec_lo
	s_delay_alu instid0(VALU_DEP_2)
	v_cmpx_ne_u32_e32 0x80, v1
	s_cbranch_execz .LBB262_494
; %bb.489:                              ;   in Loop: Header=BB262_298 Depth=1
	v_and_b32_e32 v48, 0x7f, v1
	v_mov_b32_e32 v9, 0x7c010000
	s_mov_b32 s19, exec_lo
	s_delay_alu instid0(VALU_DEP_2)
	v_cmpx_ne_u32_e32 0x7f, v48
	s_cbranch_execz .LBB262_493
; %bb.490:                              ;   in Loop: Header=BB262_298 Depth=1
	v_and_b32_e32 v9, 7, v1
	v_lshrrev_b32_e32 v10, 3, v48
	s_mov_b32 s24, exec_lo
	v_cmpx_gt_u32_e32 8, v48
; %bb.491:                              ;   in Loop: Header=BB262_298 Depth=1
	s_delay_alu instid0(VALU_DEP_3) | instskip(NEXT) | instid1(VALU_DEP_1)
	v_clz_i32_u32_e32 v9, v9
	v_min_u32_e32 v48, 32, v9
	s_delay_alu instid0(VALU_DEP_1) | instskip(NEXT) | instid1(VALU_DEP_1)
	v_subrev_nc_u32_e32 v9, 28, v48
	v_lshlrev_b64_e32 v[9:10], v9, v[1:2]
	v_sub_nc_u32_e32 v10, 29, v48
	s_delay_alu instid0(VALU_DEP_2)
	v_and_b32_e32 v9, 7, v9
; %bb.492:                              ;   in Loop: Header=BB262_298 Depth=1
	s_wait_alu 0xfffe
	s_or_b32 exec_lo, exec_lo, s24
	v_lshlrev_b32_e32 v1, 8, v1
	v_lshl_add_u32 v10, v10, 10, 0x2000
	v_lshlrev_b32_e32 v9, 23, v9
	s_delay_alu instid0(VALU_DEP_2) | instskip(NEXT) | instid1(VALU_DEP_1)
	v_and_or_b32 v1, 0x8000, v1, v10
	v_lshl_or_b32 v9, v1, 16, v9
.LBB262_493:                            ;   in Loop: Header=BB262_298 Depth=1
	s_wait_alu 0xfffe
	s_or_b32 exec_lo, exec_lo, s19
.LBB262_494:                            ;   in Loop: Header=BB262_298 Depth=1
	s_wait_alu 0xfffe
	s_or_b32 exec_lo, exec_lo, s18
.LBB262_495:                            ;   in Loop: Header=BB262_298 Depth=1
	s_wait_alu 0xfffe
	s_or_b32 exec_lo, exec_lo, s17
	v_or_b32_e32 v1, v43, v44
	s_wait_loadcnt 0x0
	v_fma_mixlo_f16 v10, v40, v43, 0 op_sel:[0,1,0] op_sel_hi:[0,1,0]
	v_or_b32_e32 v43, v41, v42
	v_fma_mixlo_f16 v41, v40, v41, 0 op_sel:[0,1,0] op_sel_hi:[0,1,0]
	v_or_b32_e32 v44, v47, v46
	v_or_b32_e32 v45, v9, v45
	v_fma_mixlo_f16 v46, v40, v1, 0 op_sel_hi:[0,1,0]
	v_fma_mixlo_f16 v9, v40, v9, 0 op_sel:[0,1,0] op_sel_hi:[0,1,0]
	v_lshlrev_b32_e32 v42, 16, v41
	v_fma_mixlo_f16 v41, v40, v43, 0 op_sel_hi:[0,1,0]
	v_fma_mixlo_f16 v43, v40, v47, 0 op_sel:[0,1,0] op_sel_hi:[0,1,0]
	v_fma_mixlo_f16 v44, v40, v44, 0 op_sel_hi:[0,1,0]
	v_fma_mixlo_f16 v45, v40, v45, 0 op_sel_hi:[0,1,0]
	v_lshlrev_b32_e32 v1, 16, v10
	v_and_b32_e32 v10, 0xffff, v46
	v_and_b32_e32 v48, 0xffff, v41
	v_lshlrev_b32_e32 v40, 16, v43
	v_and_b32_e32 v44, 0xffff, v44
	v_lshlrev_b32_e32 v9, 16, v9
	v_and_b32_e32 v41, 0xffff, v45
	v_or_b32_e32 v43, v1, v10
	v_or_b32_e32 v47, v42, v48
	;; [unrolled: 1-line block ×3, first 2 shown]
	s_delay_alu instid0(VALU_DEP_4)
	v_or_b32_e32 v45, v9, v41
	s_and_saveexec_b32 s17, vcc_lo
	s_cbranch_execz .LBB262_497
; %bb.496:                              ;   in Loop: Header=BB262_298 Depth=1
	v_cmp_gt_i32_e64 s0, s34, v24
	s_wait_alu 0xf1ff
	s_delay_alu instid0(VALU_DEP_1) | instskip(SKIP_2) | instid1(VALU_DEP_1)
	v_cndmask_b32_e64 v43, 0, v48, s0
	v_cmp_gt_i32_e64 s0, s34, v31
	s_wait_alu 0xf1ff
	v_cndmask_b32_e64 v42, 0, v42, s0
	v_cmp_gt_i32_e64 s0, s34, v30
	s_delay_alu instid0(VALU_DEP_2) | instskip(SKIP_1) | instid1(VALU_DEP_2)
	v_or_b32_e32 v47, v42, v43
	s_wait_alu 0xf1ff
	v_cndmask_b32_e64 v10, 0, v10, s0
	v_cmp_gt_i32_e64 s0, s34, v29
	s_wait_alu 0xf1ff
	s_delay_alu instid0(VALU_DEP_1) | instskip(SKIP_1) | instid1(VALU_DEP_2)
	v_cndmask_b32_e64 v1, 0, v1, s0
	v_cmp_gt_i32_e64 s0, s34, v28
	v_or_b32_e32 v43, v1, v10
	s_wait_alu 0xf1ff
	s_delay_alu instid0(VALU_DEP_2) | instskip(SKIP_2) | instid1(VALU_DEP_1)
	v_cndmask_b32_e64 v44, 0, v44, s0
	v_cmp_gt_i32_e64 s0, s34, v27
	s_wait_alu 0xf1ff
	v_cndmask_b32_e64 v40, 0, v40, s0
	v_cmp_gt_i32_e64 s0, s34, v26
	s_delay_alu instid0(VALU_DEP_2) | instskip(SKIP_1) | instid1(VALU_DEP_2)
	v_or_b32_e32 v46, v40, v44
	s_wait_alu 0xf1ff
	v_cndmask_b32_e64 v41, 0, v41, s0
	v_cmp_gt_i32_e64 s0, s34, v25
	s_wait_alu 0xf1ff
	s_delay_alu instid0(VALU_DEP_1) | instskip(NEXT) | instid1(VALU_DEP_1)
	v_cndmask_b32_e64 v9, 0, v9, s0
	v_or_b32_e32 v45, v9, v41
.LBB262_497:                            ;   in Loop: Header=BB262_298 Depth=1
	s_wait_alu 0xfffe
	s_or_b32 exec_lo, exec_lo, s17
	;;#ASMSTART
	v_pk_mul_f16 v1, v37, v47;

	;;#ASMEND
	;;#ASMSTART
	v_pk_mul_f16 v9, v36, v43;

	;;#ASMEND
	;; [unrolled: 4-line block ×4, first 2 shown]
	;;#ASMSTART
	v_pk_add_f16 v1, v1, v9;

	;;#ASMEND
	;;#ASMSTART
	v_pk_add_f16 v1, v1, v10;

	;;#ASMEND
	;; [unrolled: 4-line block ×3, first 2 shown]
	v_dual_mov_b32 v42, 0 :: v_dual_and_b32 v9, 0xffff, v1
	v_lshrrev_b32_e32 v1, 16, v1
	;;#ASMSTART
	v_cvt_f32_f16 v9, v9;
	;;#ASMEND
	;;#ASMSTART
	v_cvt_f32_f16 v10, v1;
	;;#ASMEND
	global_load_b64 v[7:8], v[7:8], off offset:768
	v_mov_b32_e32 v41, 0
	s_mov_b32 s17, exec_lo
	global_load_b32 v40, v41, s[10:11]
	s_wait_loadcnt 0x1
	v_and_b32_e32 v1, 0xff, v7
	s_delay_alu instid0(VALU_DEP_1)
	v_cmpx_ne_u16_e32 0, v1
	s_cbranch_execz .LBB262_505
; %bb.498:                              ;   in Loop: Header=BB262_298 Depth=1
	v_mov_b32_e32 v42, 0x8000
	s_mov_b32 s18, exec_lo
	v_cmpx_ne_u16_e32 0x80, v1
	s_cbranch_execz .LBB262_504
; %bb.499:                              ;   in Loop: Header=BB262_298 Depth=1
	v_and_b32_e32 v43, 0x7f, v7
	v_mov_b32_e32 v42, 0x7c01
	s_mov_b32 s19, exec_lo
	s_delay_alu instid0(VALU_DEP_2)
	v_cmpx_ne_u32_e32 0x7f, v43
	s_cbranch_execz .LBB262_503
; %bb.500:                              ;   in Loop: Header=BB262_298 Depth=1
	v_and_b32_e32 v1, 7, v7
	v_lshrrev_b32_e32 v42, 3, v43
	s_mov_b32 s24, exec_lo
	v_cmpx_gt_u32_e32 8, v43
; %bb.501:                              ;   in Loop: Header=BB262_298 Depth=1
	s_delay_alu instid0(VALU_DEP_3) | instskip(NEXT) | instid1(VALU_DEP_1)
	v_clz_i32_u32_e32 v1, v1
	v_min_u32_e32 v1, 32, v1
	s_delay_alu instid0(VALU_DEP_1) | instskip(NEXT) | instid1(VALU_DEP_1)
	v_subrev_nc_u32_e32 v42, 28, v1
	v_lshlrev_b64_e32 v[43:44], v42, v[7:8]
	v_sub_nc_u32_e32 v42, 29, v1
	s_delay_alu instid0(VALU_DEP_2)
	v_and_b32_e32 v1, 7, v43
; %bb.502:                              ;   in Loop: Header=BB262_298 Depth=1
	s_wait_alu 0xfffe
	s_or_b32 exec_lo, exec_lo, s24
	v_lshlrev_b32_e32 v43, 8, v7
	v_lshl_add_u32 v42, v42, 10, 0x2000
	v_lshlrev_b32_e32 v1, 7, v1
	s_delay_alu instid0(VALU_DEP_3) | instskip(NEXT) | instid1(VALU_DEP_3)
	v_and_b32_e32 v43, 0x8000, v43
	v_and_b32_e32 v42, 0xfc00, v42
	s_delay_alu instid0(VALU_DEP_1)
	v_or3_b32 v42, v43, v42, v1
.LBB262_503:                            ;   in Loop: Header=BB262_298 Depth=1
	s_wait_alu 0xfffe
	s_or_b32 exec_lo, exec_lo, s19
.LBB262_504:                            ;   in Loop: Header=BB262_298 Depth=1
	s_wait_alu 0xfffe
	s_or_b32 exec_lo, exec_lo, s18
.LBB262_505:                            ;   in Loop: Header=BB262_298 Depth=1
	s_wait_alu 0xfffe
	s_or_b32 exec_lo, exec_lo, s17
	v_lshrrev_b16 v1, 8, v7
	s_mov_b32 s17, exec_lo
	s_delay_alu instid0(VALU_DEP_1)
	v_cmpx_ne_u16_e32 0, v1
	s_cbranch_execz .LBB262_513
; %bb.506:                              ;   in Loop: Header=BB262_298 Depth=1
	v_bfrev_b32_e32 v41, 1
	s_mov_b32 s18, exec_lo
	v_cmpx_ne_u16_e32 0x80, v1
	s_cbranch_execz .LBB262_512
; %bb.507:                              ;   in Loop: Header=BB262_298 Depth=1
	v_and_b32_e32 v43, 0xffff, v1
	v_mov_b32_e32 v41, 0x7c010000
	s_mov_b32 s19, exec_lo
	s_delay_alu instid0(VALU_DEP_2) | instskip(NEXT) | instid1(VALU_DEP_1)
	v_and_b32_e32 v45, 0x7f, v43
	v_cmpx_ne_u32_e32 0x7f, v45
	s_cbranch_execz .LBB262_511
; %bb.508:                              ;   in Loop: Header=BB262_298 Depth=1
	v_and_b32_e32 v41, 7, v43
	v_lshrrev_b32_e32 v44, 3, v45
	s_mov_b32 s24, exec_lo
	v_cmpx_gt_u32_e32 8, v45
; %bb.509:                              ;   in Loop: Header=BB262_298 Depth=1
	s_delay_alu instid0(VALU_DEP_3) | instskip(NEXT) | instid1(VALU_DEP_1)
	v_clz_i32_u32_e32 v41, v41
	v_min_u32_e32 v41, 32, v41
	s_delay_alu instid0(VALU_DEP_1) | instskip(NEXT) | instid1(VALU_DEP_1)
	v_subrev_nc_u32_e32 v44, 28, v41
	v_lshlrev_b64_e32 v[45:46], v44, v[1:2]
	v_sub_nc_u32_e32 v44, 29, v41
	s_delay_alu instid0(VALU_DEP_2)
	v_and_b32_e32 v41, 7, v45
; %bb.510:                              ;   in Loop: Header=BB262_298 Depth=1
	s_wait_alu 0xfffe
	s_or_b32 exec_lo, exec_lo, s24
	v_lshlrev_b32_e32 v1, 8, v43
	v_lshl_add_u32 v43, v44, 10, 0x2000
	v_lshlrev_b32_e32 v41, 23, v41
	s_delay_alu instid0(VALU_DEP_2) | instskip(NEXT) | instid1(VALU_DEP_1)
	v_and_or_b32 v1, 0x8000, v1, v43
	v_lshl_or_b32 v41, v1, 16, v41
.LBB262_511:                            ;   in Loop: Header=BB262_298 Depth=1
	s_wait_alu 0xfffe
	s_or_b32 exec_lo, exec_lo, s19
.LBB262_512:                            ;   in Loop: Header=BB262_298 Depth=1
	s_wait_alu 0xfffe
	s_or_b32 exec_lo, exec_lo, s18
.LBB262_513:                            ;   in Loop: Header=BB262_298 Depth=1
	s_wait_alu 0xfffe
	s_or_b32 exec_lo, exec_lo, s17
	v_lshrrev_b32_e32 v1, 16, v7
	v_mov_b32_e32 v43, 0
	s_mov_b32 s17, exec_lo
	s_delay_alu instid0(VALU_DEP_2) | instskip(NEXT) | instid1(VALU_DEP_1)
	v_dual_mov_b32 v44, 0 :: v_dual_and_b32 v45, 0xff, v1
	v_cmpx_ne_u16_e32 0, v45
	s_cbranch_execz .LBB262_521
; %bb.514:                              ;   in Loop: Header=BB262_298 Depth=1
	v_mov_b32_e32 v44, 0x8000
	s_mov_b32 s18, exec_lo
	v_cmpx_ne_u16_e32 0x80, v45
	s_cbranch_execz .LBB262_520
; %bb.515:                              ;   in Loop: Header=BB262_298 Depth=1
	v_bfe_u32 v46, v7, 16, 7
	v_mov_b32_e32 v44, 0x7c01
	s_mov_b32 s19, exec_lo
	s_delay_alu instid0(VALU_DEP_2)
	v_cmpx_ne_u32_e32 0x7f, v46
	s_cbranch_execz .LBB262_519
; %bb.516:                              ;   in Loop: Header=BB262_298 Depth=1
	v_and_b32_e32 v44, 7, v1
	v_lshrrev_b32_e32 v45, 3, v46
	s_mov_b32 s24, exec_lo
	v_cmpx_gt_u32_e32 8, v46
; %bb.517:                              ;   in Loop: Header=BB262_298 Depth=1
	s_delay_alu instid0(VALU_DEP_3) | instskip(NEXT) | instid1(VALU_DEP_1)
	v_clz_i32_u32_e32 v44, v44
	v_min_u32_e32 v46, 32, v44
	s_delay_alu instid0(VALU_DEP_1) | instskip(NEXT) | instid1(VALU_DEP_1)
	v_subrev_nc_u32_e32 v44, 28, v46
	v_lshlrev_b64_e32 v[44:45], v44, v[1:2]
	v_sub_nc_u32_e32 v45, 29, v46
	s_delay_alu instid0(VALU_DEP_2)
	v_and_b32_e32 v44, 7, v44
; %bb.518:                              ;   in Loop: Header=BB262_298 Depth=1
	s_wait_alu 0xfffe
	s_or_b32 exec_lo, exec_lo, s24
	v_lshlrev_b32_e32 v1, 8, v1
	v_lshl_add_u32 v45, v45, 10, 0x2000
	v_lshlrev_b32_e32 v44, 7, v44
	s_delay_alu instid0(VALU_DEP_3) | instskip(NEXT) | instid1(VALU_DEP_3)
	v_and_b32_e32 v1, 0x8000, v1
	v_and_b32_e32 v45, 0xfc00, v45
	s_delay_alu instid0(VALU_DEP_1)
	v_or3_b32 v44, v1, v45, v44
.LBB262_519:                            ;   in Loop: Header=BB262_298 Depth=1
	s_wait_alu 0xfffe
	s_or_b32 exec_lo, exec_lo, s19
.LBB262_520:                            ;   in Loop: Header=BB262_298 Depth=1
	s_wait_alu 0xfffe
	s_or_b32 exec_lo, exec_lo, s18
.LBB262_521:                            ;   in Loop: Header=BB262_298 Depth=1
	s_wait_alu 0xfffe
	s_or_b32 exec_lo, exec_lo, s17
	s_delay_alu instid0(SALU_CYCLE_1)
	s_mov_b32 s17, exec_lo
	v_cmpx_lt_u32_e32 0xffffff, v7
	s_cbranch_execz .LBB262_529
; %bb.522:                              ;   in Loop: Header=BB262_298 Depth=1
	v_lshrrev_b32_e32 v1, 24, v7
	v_bfrev_b32_e32 v43, 1
	s_mov_b32 s18, exec_lo
	s_delay_alu instid0(VALU_DEP_2)
	v_cmpx_ne_u32_e32 0x80, v1
	s_cbranch_execz .LBB262_528
; %bb.523:                              ;   in Loop: Header=BB262_298 Depth=1
	v_and_b32_e32 v46, 0x7f, v1
	v_mov_b32_e32 v43, 0x7c010000
	s_mov_b32 s19, exec_lo
	s_delay_alu instid0(VALU_DEP_2)
	v_cmpx_ne_u32_e32 0x7f, v46
	s_cbranch_execz .LBB262_527
; %bb.524:                              ;   in Loop: Header=BB262_298 Depth=1
	v_and_b32_e32 v43, 7, v1
	v_lshrrev_b32_e32 v45, 3, v46
	s_mov_b32 s24, exec_lo
	v_cmpx_gt_u32_e32 8, v46
; %bb.525:                              ;   in Loop: Header=BB262_298 Depth=1
	s_delay_alu instid0(VALU_DEP_3) | instskip(NEXT) | instid1(VALU_DEP_1)
	v_clz_i32_u32_e32 v43, v43
	v_min_u32_e32 v43, 32, v43
	s_delay_alu instid0(VALU_DEP_1) | instskip(NEXT) | instid1(VALU_DEP_1)
	v_subrev_nc_u32_e32 v45, 28, v43
	v_lshlrev_b64_e32 v[46:47], v45, v[1:2]
	v_sub_nc_u32_e32 v45, 29, v43
	s_delay_alu instid0(VALU_DEP_2)
	v_and_b32_e32 v43, 7, v46
; %bb.526:                              ;   in Loop: Header=BB262_298 Depth=1
	s_wait_alu 0xfffe
	s_or_b32 exec_lo, exec_lo, s24
	v_lshlrev_b32_e32 v1, 8, v1
	v_lshl_add_u32 v45, v45, 10, 0x2000
	v_lshlrev_b32_e32 v43, 23, v43
	s_delay_alu instid0(VALU_DEP_2) | instskip(NEXT) | instid1(VALU_DEP_1)
	v_and_or_b32 v1, 0x8000, v1, v45
	v_lshl_or_b32 v43, v1, 16, v43
.LBB262_527:                            ;   in Loop: Header=BB262_298 Depth=1
	s_wait_alu 0xfffe
	s_or_b32 exec_lo, exec_lo, s19
.LBB262_528:                            ;   in Loop: Header=BB262_298 Depth=1
	s_wait_alu 0xfffe
	s_or_b32 exec_lo, exec_lo, s18
.LBB262_529:                            ;   in Loop: Header=BB262_298 Depth=1
	s_wait_alu 0xfffe
	s_or_b32 exec_lo, exec_lo, s17
	v_dual_mov_b32 v46, 0 :: v_dual_and_b32 v47, 0xff, v8
	v_mov_b32_e32 v1, v8
	v_mov_b32_e32 v45, 0
	s_mov_b32 s17, exec_lo
	s_delay_alu instid0(VALU_DEP_3)
	v_cmpx_ne_u16_e32 0, v47
	s_cbranch_execz .LBB262_537
; %bb.530:                              ;   in Loop: Header=BB262_298 Depth=1
	v_mov_b32_e32 v46, 0x8000
	s_mov_b32 s18, exec_lo
	v_cmpx_ne_u16_e32 0x80, v47
	s_cbranch_execz .LBB262_536
; %bb.531:                              ;   in Loop: Header=BB262_298 Depth=1
	v_and_b32_e32 v48, 0x7f, v8
	v_mov_b32_e32 v46, 0x7c01
	s_mov_b32 s19, exec_lo
	s_delay_alu instid0(VALU_DEP_2)
	v_cmpx_ne_u32_e32 0x7f, v48
	s_cbranch_execz .LBB262_535
; %bb.532:                              ;   in Loop: Header=BB262_298 Depth=1
	v_and_b32_e32 v46, 7, v8
	v_lshrrev_b32_e32 v47, 3, v48
	s_mov_b32 s24, exec_lo
	v_cmpx_gt_u32_e32 8, v48
; %bb.533:                              ;   in Loop: Header=BB262_298 Depth=1
	s_delay_alu instid0(VALU_DEP_3) | instskip(NEXT) | instid1(VALU_DEP_1)
	v_clz_i32_u32_e32 v46, v46
	v_min_u32_e32 v48, 32, v46
	s_delay_alu instid0(VALU_DEP_1) | instskip(NEXT) | instid1(VALU_DEP_1)
	v_subrev_nc_u32_e32 v46, 28, v48
	v_lshlrev_b64_e32 v[46:47], v46, v[1:2]
	v_sub_nc_u32_e32 v47, 29, v48
	s_delay_alu instid0(VALU_DEP_2)
	v_and_b32_e32 v46, 7, v46
; %bb.534:                              ;   in Loop: Header=BB262_298 Depth=1
	s_wait_alu 0xfffe
	s_or_b32 exec_lo, exec_lo, s24
	v_lshlrev_b32_e32 v48, 8, v8
	v_lshl_add_u32 v47, v47, 10, 0x2000
	v_lshlrev_b32_e32 v46, 7, v46
	s_delay_alu instid0(VALU_DEP_3) | instskip(NEXT) | instid1(VALU_DEP_3)
	v_and_b32_e32 v48, 0x8000, v48
	v_and_b32_e32 v47, 0xfc00, v47
	s_delay_alu instid0(VALU_DEP_1)
	v_or3_b32 v46, v48, v47, v46
.LBB262_535:                            ;   in Loop: Header=BB262_298 Depth=1
	s_wait_alu 0xfffe
	s_or_b32 exec_lo, exec_lo, s19
.LBB262_536:                            ;   in Loop: Header=BB262_298 Depth=1
	s_wait_alu 0xfffe
	s_or_b32 exec_lo, exec_lo, s18
.LBB262_537:                            ;   in Loop: Header=BB262_298 Depth=1
	s_wait_alu 0xfffe
	s_or_b32 exec_lo, exec_lo, s17
	v_lshrrev_b16 v1, 8, v1
	v_mov_b32_e32 v47, 0
	s_mov_b32 s17, exec_lo
	s_delay_alu instid0(VALU_DEP_2)
	v_cmpx_ne_u16_e32 0, v1
	s_cbranch_execz .LBB262_545
; %bb.538:                              ;   in Loop: Header=BB262_298 Depth=1
	v_bfrev_b32_e32 v47, 1
	s_mov_b32 s18, exec_lo
	v_cmpx_ne_u16_e32 0x80, v1
	s_cbranch_execz .LBB262_544
; %bb.539:                              ;   in Loop: Header=BB262_298 Depth=1
	v_and_b32_e32 v48, 0xffff, v1
	v_mov_b32_e32 v47, 0x7c010000
	s_mov_b32 s19, exec_lo
	s_delay_alu instid0(VALU_DEP_2) | instskip(NEXT) | instid1(VALU_DEP_1)
	v_and_b32_e32 v50, 0x7f, v48
	v_cmpx_ne_u32_e32 0x7f, v50
	s_cbranch_execz .LBB262_543
; %bb.540:                              ;   in Loop: Header=BB262_298 Depth=1
	v_and_b32_e32 v47, 7, v48
	v_lshrrev_b32_e32 v49, 3, v50
	s_mov_b32 s24, exec_lo
	v_cmpx_gt_u32_e32 8, v50
; %bb.541:                              ;   in Loop: Header=BB262_298 Depth=1
	s_delay_alu instid0(VALU_DEP_3) | instskip(NEXT) | instid1(VALU_DEP_1)
	v_clz_i32_u32_e32 v47, v47
	v_min_u32_e32 v47, 32, v47
	s_delay_alu instid0(VALU_DEP_1) | instskip(NEXT) | instid1(VALU_DEP_1)
	v_subrev_nc_u32_e32 v49, 28, v47
	v_lshlrev_b64_e32 v[50:51], v49, v[1:2]
	v_sub_nc_u32_e32 v49, 29, v47
	s_delay_alu instid0(VALU_DEP_2)
	v_and_b32_e32 v47, 7, v50
; %bb.542:                              ;   in Loop: Header=BB262_298 Depth=1
	s_wait_alu 0xfffe
	s_or_b32 exec_lo, exec_lo, s24
	v_lshlrev_b32_e32 v1, 8, v48
	v_lshl_add_u32 v48, v49, 10, 0x2000
	v_lshlrev_b32_e32 v47, 23, v47
	s_delay_alu instid0(VALU_DEP_2) | instskip(NEXT) | instid1(VALU_DEP_1)
	v_and_or_b32 v1, 0x8000, v1, v48
	v_lshl_or_b32 v47, v1, 16, v47
.LBB262_543:                            ;   in Loop: Header=BB262_298 Depth=1
	s_wait_alu 0xfffe
	s_or_b32 exec_lo, exec_lo, s19
.LBB262_544:                            ;   in Loop: Header=BB262_298 Depth=1
	s_wait_alu 0xfffe
	s_or_b32 exec_lo, exec_lo, s18
.LBB262_545:                            ;   in Loop: Header=BB262_298 Depth=1
	s_wait_alu 0xfffe
	s_or_b32 exec_lo, exec_lo, s17
	v_lshrrev_b32_e32 v1, 16, v8
	s_mov_b32 s17, exec_lo
	s_delay_alu instid0(VALU_DEP_1) | instskip(NEXT) | instid1(VALU_DEP_1)
	v_and_b32_e32 v48, 0xff, v1
	v_cmpx_ne_u16_e32 0, v48
	s_cbranch_execz .LBB262_553
; %bb.546:                              ;   in Loop: Header=BB262_298 Depth=1
	v_mov_b32_e32 v45, 0x8000
	s_mov_b32 s18, exec_lo
	v_cmpx_ne_u16_e32 0x80, v48
	s_cbranch_execz .LBB262_552
; %bb.547:                              ;   in Loop: Header=BB262_298 Depth=1
	v_bfe_u32 v49, v8, 16, 7
	v_mov_b32_e32 v45, 0x7c01
	s_mov_b32 s19, exec_lo
	s_delay_alu instid0(VALU_DEP_2)
	v_cmpx_ne_u32_e32 0x7f, v49
	s_cbranch_execz .LBB262_551
; %bb.548:                              ;   in Loop: Header=BB262_298 Depth=1
	v_and_b32_e32 v45, 7, v1
	v_lshrrev_b32_e32 v48, 3, v49
	s_mov_b32 s24, exec_lo
	v_cmpx_gt_u32_e32 8, v49
; %bb.549:                              ;   in Loop: Header=BB262_298 Depth=1
	s_delay_alu instid0(VALU_DEP_3) | instskip(NEXT) | instid1(VALU_DEP_1)
	v_clz_i32_u32_e32 v45, v45
	v_min_u32_e32 v45, 32, v45
	s_delay_alu instid0(VALU_DEP_1) | instskip(NEXT) | instid1(VALU_DEP_1)
	v_subrev_nc_u32_e32 v48, 28, v45
	v_lshlrev_b64_e32 v[49:50], v48, v[1:2]
	v_sub_nc_u32_e32 v48, 29, v45
	s_delay_alu instid0(VALU_DEP_2)
	v_and_b32_e32 v45, 7, v49
; %bb.550:                              ;   in Loop: Header=BB262_298 Depth=1
	s_wait_alu 0xfffe
	s_or_b32 exec_lo, exec_lo, s24
	v_lshlrev_b32_e32 v1, 8, v1
	v_lshl_add_u32 v48, v48, 10, 0x2000
	v_lshlrev_b32_e32 v45, 7, v45
	s_delay_alu instid0(VALU_DEP_3) | instskip(NEXT) | instid1(VALU_DEP_3)
	v_and_b32_e32 v1, 0x8000, v1
	v_and_b32_e32 v48, 0xfc00, v48
	s_delay_alu instid0(VALU_DEP_1)
	v_or3_b32 v45, v1, v48, v45
.LBB262_551:                            ;   in Loop: Header=BB262_298 Depth=1
	s_wait_alu 0xfffe
	s_or_b32 exec_lo, exec_lo, s19
.LBB262_552:                            ;   in Loop: Header=BB262_298 Depth=1
	s_wait_alu 0xfffe
	s_or_b32 exec_lo, exec_lo, s18
.LBB262_553:                            ;   in Loop: Header=BB262_298 Depth=1
	s_wait_alu 0xfffe
	s_or_b32 exec_lo, exec_lo, s17
	v_cmp_lt_u64_e64 s0, s[2:3], v[7:8]
	v_mov_b32_e32 v7, 0
	s_and_saveexec_b32 s17, s0
	s_cbranch_execz .LBB262_561
; %bb.554:                              ;   in Loop: Header=BB262_298 Depth=1
	v_lshrrev_b32_e32 v1, 24, v8
	v_bfrev_b32_e32 v7, 1
	s_mov_b32 s18, exec_lo
	s_delay_alu instid0(VALU_DEP_2)
	v_cmpx_ne_u32_e32 0x80, v1
	s_cbranch_execz .LBB262_560
; %bb.555:                              ;   in Loop: Header=BB262_298 Depth=1
	v_and_b32_e32 v48, 0x7f, v1
	v_mov_b32_e32 v7, 0x7c010000
	s_mov_b32 s19, exec_lo
	s_delay_alu instid0(VALU_DEP_2)
	v_cmpx_ne_u32_e32 0x7f, v48
	s_cbranch_execz .LBB262_559
; %bb.556:                              ;   in Loop: Header=BB262_298 Depth=1
	v_and_b32_e32 v7, 7, v1
	v_lshrrev_b32_e32 v8, 3, v48
	s_mov_b32 s24, exec_lo
	v_cmpx_gt_u32_e32 8, v48
; %bb.557:                              ;   in Loop: Header=BB262_298 Depth=1
	s_delay_alu instid0(VALU_DEP_3) | instskip(NEXT) | instid1(VALU_DEP_1)
	v_clz_i32_u32_e32 v7, v7
	v_min_u32_e32 v48, 32, v7
	s_delay_alu instid0(VALU_DEP_1) | instskip(NEXT) | instid1(VALU_DEP_1)
	v_subrev_nc_u32_e32 v7, 28, v48
	v_lshlrev_b64_e32 v[7:8], v7, v[1:2]
	v_sub_nc_u32_e32 v8, 29, v48
	s_delay_alu instid0(VALU_DEP_2)
	v_and_b32_e32 v7, 7, v7
; %bb.558:                              ;   in Loop: Header=BB262_298 Depth=1
	s_wait_alu 0xfffe
	s_or_b32 exec_lo, exec_lo, s24
	v_lshlrev_b32_e32 v1, 8, v1
	v_lshl_add_u32 v8, v8, 10, 0x2000
	v_lshlrev_b32_e32 v7, 23, v7
	s_delay_alu instid0(VALU_DEP_2) | instskip(NEXT) | instid1(VALU_DEP_1)
	v_and_or_b32 v1, 0x8000, v1, v8
	v_lshl_or_b32 v7, v1, 16, v7
.LBB262_559:                            ;   in Loop: Header=BB262_298 Depth=1
	s_wait_alu 0xfffe
	s_or_b32 exec_lo, exec_lo, s19
.LBB262_560:                            ;   in Loop: Header=BB262_298 Depth=1
	s_wait_alu 0xfffe
	s_or_b32 exec_lo, exec_lo, s18
.LBB262_561:                            ;   in Loop: Header=BB262_298 Depth=1
	s_wait_alu 0xfffe
	s_or_b32 exec_lo, exec_lo, s17
	v_or_b32_e32 v1, v43, v44
	s_wait_loadcnt 0x0
	v_fma_mixlo_f16 v8, v40, v43, 0 op_sel:[0,1,0] op_sel_hi:[0,1,0]
	v_or_b32_e32 v42, v41, v42
	v_fma_mixlo_f16 v43, v40, v41, 0 op_sel:[0,1,0] op_sel_hi:[0,1,0]
	v_or_b32_e32 v44, v47, v46
	v_fma_mixlo_f16 v1, v40, v1, 0 op_sel_hi:[0,1,0]
	v_or_b32_e32 v45, v7, v45
	v_lshlrev_b32_e32 v41, 16, v8
	v_lshlrev_b32_e32 v46, 16, v43
	v_fma_mixlo_f16 v8, v40, v42, 0 op_sel_hi:[0,1,0]
	v_and_b32_e32 v43, 0xffff, v1
	v_fma_mixlo_f16 v1, v40, v47, 0 op_sel:[0,1,0] op_sel_hi:[0,1,0]
	v_fma_mixlo_f16 v42, v40, v44, 0 op_sel_hi:[0,1,0]
	v_fma_mixlo_f16 v7, v40, v7, 0 op_sel:[0,1,0] op_sel_hi:[0,1,0]
	v_fma_mixlo_f16 v45, v40, v45, 0 op_sel_hi:[0,1,0]
	v_and_b32_e32 v48, 0xffff, v8
	v_lshlrev_b32_e32 v44, 16, v1
	v_and_b32_e32 v47, 0xffff, v42
	v_lshlrev_b32_e32 v40, 16, v7
	v_and_b32_e32 v45, 0xffff, v45
	v_or_b32_e32 v8, v41, v43
	v_or_b32_e32 v42, v46, v48
	;; [unrolled: 1-line block ×3, first 2 shown]
	s_delay_alu instid0(VALU_DEP_4)
	v_or_b32_e32 v1, v40, v45
	s_and_saveexec_b32 s0, vcc_lo
	s_cbranch_execz .LBB262_296
; %bb.562:                              ;   in Loop: Header=BB262_298 Depth=1
	v_cmp_gt_i32_e32 vcc_lo, s34, v24
	s_wait_alu 0xfffd
	v_cndmask_b32_e32 v1, 0, v48, vcc_lo
	v_cmp_gt_i32_e32 vcc_lo, s34, v31
	s_wait_alu 0xfffd
	v_cndmask_b32_e32 v7, 0, v46, vcc_lo
	;; [unrolled: 3-line block ×4, first 2 shown]
	v_cmp_gt_i32_e32 vcc_lo, s34, v28
	v_or_b32_e32 v42, v7, v1
	s_delay_alu instid0(VALU_DEP_3)
	v_or_b32_e32 v8, v24, v8
	s_wait_alu 0xfffd
	v_cndmask_b32_e32 v28, 0, v47, vcc_lo
	v_cmp_gt_i32_e32 vcc_lo, s34, v27
	s_wait_alu 0xfffd
	v_cndmask_b32_e32 v27, 0, v44, vcc_lo
	v_cmp_gt_i32_e32 vcc_lo, s34, v26
	s_delay_alu instid0(VALU_DEP_2)
	v_or_b32_e32 v7, v27, v28
	s_wait_alu 0xfffd
	v_cndmask_b32_e32 v26, 0, v45, vcc_lo
	v_cmp_gt_i32_e32 vcc_lo, s34, v25
	s_wait_alu 0xfffd
	v_cndmask_b32_e32 v25, 0, v40, vcc_lo
	s_delay_alu instid0(VALU_DEP_1)
	v_or_b32_e32 v1, v25, v26
	s_branch .LBB262_296
.LBB262_563:
	s_or_b32 exec_lo, exec_lo, s7
.LBB262_564:
	s_wait_alu 0xfffe
	s_or_b32 exec_lo, exec_lo, s1
	ds_bpermute_b32 v1, v18, v23
	ds_bpermute_b32 v2, v18, v22
	;; [unrolled: 1-line block ×4, first 2 shown]
	v_lshrrev_b32_e32 v5, 1, v17
	v_lshlrev_b32_e32 v7, 8, v13
	v_and_b32_e32 v10, 0x3c1, v0
	s_mov_b32 s0, exec_lo
	s_wait_storecnt 0x0
	s_wait_loadcnt_dscnt 0x0
	v_lshl_add_u32 v6, v5, 2, 0xa0
	s_barrier_signal -1
	s_barrier_wait -1
	global_inv scope:SCOPE_SE
	v_dual_add_f32 v4, v23, v1 :: v_dual_add_f32 v3, v22, v2
	v_dual_add_f32 v2, v21, v8 :: v_dual_add_f32 v1, v19, v9
	v_cmpx_eq_u32_e32 64, v10
	s_cbranch_execz .LBB262_566
; %bb.565:
	v_add_nc_u32_e32 v8, v6, v7
	s_delay_alu instid0(VALU_DEP_1)
	v_add_nc_u32_e32 v9, 0xfffffe00, v8
	v_add_nc_u32_e32 v10, 0xfffffe40, v8
	;; [unrolled: 1-line block ×4, first 2 shown]
	ds_store_b32 v9, v4
	ds_store_b32 v10, v3
	ds_store_b32 v13, v2
	ds_store_b32 v8, v1
.LBB262_566:
	s_wait_alu 0xfffe
	s_or_b32 exec_lo, exec_lo, s0
	v_lshlrev_b32_e32 v5, 2, v5
	s_mov_b32 s1, exec_lo
	v_cmp_eq_u32_e32 vcc_lo, 0, v12
	s_wait_loadcnt_dscnt 0x0
	s_barrier_signal -1
	v_add3_u32 v5, 0xa0, v7, v5
	s_barrier_wait -1
	global_inv scope:SCOPE_SE
	v_cmpx_gt_u32_e32 64, v0
	s_cbranch_execz .LBB262_573
; %bb.567:
	s_and_saveexec_b32 s0, vcc_lo
	s_cbranch_execnz .LBB262_585
; %bb.568:
	s_wait_alu 0xfffe
	s_or_b32 exec_lo, exec_lo, s0
	s_and_saveexec_b32 s0, vcc_lo
	s_cbranch_execnz .LBB262_586
.LBB262_569:
	s_wait_alu 0xfffe
	s_or_b32 exec_lo, exec_lo, s0
	s_and_saveexec_b32 s0, vcc_lo
	s_cbranch_execnz .LBB262_587
.LBB262_570:
	s_wait_alu 0xfffe
	s_or_b32 exec_lo, exec_lo, s0
	s_and_saveexec_b32 s0, vcc_lo
	s_cbranch_execz .LBB262_572
.LBB262_571:
	ds_load_b32 v7, v5 offset:192
	s_wait_dscnt 0x0
	v_add_f32_e32 v1, v1, v7
.LBB262_572:
	s_wait_alu 0xfffe
	s_or_b32 exec_lo, exec_lo, s0
.LBB262_573:
	s_wait_alu 0xfffe
	s_or_b32 exec_lo, exec_lo, s1
	v_and_b32_e32 v7, 0x3e1, v0
	s_mov_b32 s1, exec_lo
	s_wait_loadcnt 0x0
	s_barrier_signal -1
	s_barrier_wait -1
	global_inv scope:SCOPE_SE
	v_cmpx_eq_u32_e32 32, v7
	s_cbranch_execz .LBB262_575
; %bb.574:
	ds_store_2addr_b32 v6, v4, v3 offset1:16
	ds_store_2addr_b32 v6, v2, v1 offset0:32 offset1:48
.LBB262_575:
	s_wait_alu 0xfffe
	s_or_b32 exec_lo, exec_lo, s1
	s_delay_alu instid0(SALU_CYCLE_1)
	s_mov_b32 s1, exec_lo
	s_wait_loadcnt_dscnt 0x0
	s_barrier_signal -1
	s_barrier_wait -1
	global_inv scope:SCOPE_SE
	v_cmpx_gt_u32_e32 32, v0
	s_cbranch_execz .LBB262_582
; %bb.576:
	s_and_saveexec_b32 s0, vcc_lo
	s_cbranch_execnz .LBB262_588
; %bb.577:
	s_wait_alu 0xfffe
	s_or_b32 exec_lo, exec_lo, s0
	s_and_saveexec_b32 s0, vcc_lo
	s_cbranch_execnz .LBB262_589
.LBB262_578:
	s_wait_alu 0xfffe
	s_or_b32 exec_lo, exec_lo, s0
	s_and_saveexec_b32 s0, vcc_lo
	s_cbranch_execnz .LBB262_590
.LBB262_579:
	s_wait_alu 0xfffe
	s_or_b32 exec_lo, exec_lo, s0
	s_and_saveexec_b32 s0, vcc_lo
	s_cbranch_execz .LBB262_581
.LBB262_580:
	ds_load_b32 v0, v5 offset:192
	s_wait_dscnt 0x0
	v_add_f32_e32 v1, v1, v0
.LBB262_581:
	s_wait_alu 0xfffe
	s_or_b32 exec_lo, exec_lo, s0
.LBB262_582:
	s_wait_alu 0xfffe
	s_or_b32 exec_lo, exec_lo, s1
	s_mov_b32 s1, 0
	s_wait_loadcnt 0x0
	s_barrier_signal -1
	s_barrier_wait -1
	global_inv scope:SCOPE_SE
	s_mov_b32 s0, exec_lo
	v_cmpx_eq_u32_e32 0, v7
	s_cbranch_execz .LBB262_584
; %bb.583:
	s_lshl_b32 s2, s28, 6
	s_wait_kmcnt 0x0
	s_mul_i32 s4, s12, s20
	s_wait_alu 0xfffe
	s_ashr_i32 s3, s2, 31
	s_ashr_i32 s5, s4, 31
	s_wait_alu 0xfffe
	s_lshl_b64 s[2:3], s[2:3], 1
	s_lshl_b64 s[4:5], s[4:5], 1
	s_wait_alu 0xfffe
	s_add_nc_u64 s[2:3], s[8:9], s[2:3]
	v_lshlrev_b32_e32 v0, 1, v11
	s_lshl_b32 s0, s33, 7
	s_wait_alu 0xfffe
	s_add_nc_u64 s[2:3], s[2:3], s[4:5]
	;;#ASMSTART
	v_cvt_f16_f32 v4, v4;

	;;#ASMEND
	s_wait_alu 0xfffe
	s_add_nc_u64 s[0:1], s[2:3], s[0:1]
	global_store_b16 v0, v4, s[0:1]
	;;#ASMSTART
	v_cvt_f16_f32 v3, v3;

	;;#ASMEND
	global_store_b16 v0, v3, s[0:1] offset:32
	;;#ASMSTART
	v_cvt_f16_f32 v2, v2;

	;;#ASMEND
	global_store_b16 v0, v2, s[0:1] offset:64
	;;#ASMSTART
	v_cvt_f16_f32 v1, v1;

	;;#ASMEND
	global_store_b16 v0, v1, s[0:1] offset:96
.LBB262_584:
	s_endpgm
.LBB262_585:
	ds_load_b32 v7, v5
	s_wait_dscnt 0x0
	v_add_f32_e32 v4, v4, v7
	s_wait_alu 0xfffe
	s_or_b32 exec_lo, exec_lo, s0
	s_and_saveexec_b32 s0, vcc_lo
	s_cbranch_execz .LBB262_569
.LBB262_586:
	ds_load_b32 v7, v5 offset:64
	s_wait_dscnt 0x0
	v_add_f32_e32 v3, v3, v7
	s_wait_alu 0xfffe
	s_or_b32 exec_lo, exec_lo, s0
	s_and_saveexec_b32 s0, vcc_lo
	s_cbranch_execz .LBB262_570
.LBB262_587:
	ds_load_b32 v7, v5 offset:128
	s_wait_dscnt 0x0
	v_add_f32_e32 v2, v2, v7
	s_wait_alu 0xfffe
	s_or_b32 exec_lo, exec_lo, s0
	s_and_saveexec_b32 s0, vcc_lo
	s_cbranch_execnz .LBB262_571
	s_branch .LBB262_572
.LBB262_588:
	ds_load_b32 v0, v5
	s_wait_dscnt 0x0
	v_add_f32_e32 v4, v4, v0
	s_wait_alu 0xfffe
	s_or_b32 exec_lo, exec_lo, s0
	s_and_saveexec_b32 s0, vcc_lo
	s_cbranch_execz .LBB262_578
.LBB262_589:
	ds_load_b32 v0, v5 offset:64
	s_wait_dscnt 0x0
	v_add_f32_e32 v3, v3, v0
	s_wait_alu 0xfffe
	s_or_b32 exec_lo, exec_lo, s0
	s_and_saveexec_b32 s0, vcc_lo
	s_cbranch_execz .LBB262_579
.LBB262_590:
	ds_load_b32 v0, v5 offset:128
	s_wait_dscnt 0x0
	v_add_f32_e32 v2, v2, v0
	s_wait_alu 0xfffe
	s_or_b32 exec_lo, exec_lo, s0
	s_and_saveexec_b32 s0, vcc_lo
	s_cbranch_execnz .LBB262_580
	s_branch .LBB262_581
	.section	.rodata,"a",@progbits
	.p2align	6, 0x0
	.amdhsa_kernel _ZN4vllm25paged_attention_v2_kernelIthLi64ELi16ELi128ELNS_18Fp8KVCacheDataTypeE1ELb1ELi512EEEvPfS2_PT_PKS3_PKT0_S9_ifPKiSB_iPKfiiiSD_SD_iiiii
		.amdhsa_group_segment_fixed_size 160
		.amdhsa_private_segment_fixed_size 0
		.amdhsa_kernarg_size 400
		.amdhsa_user_sgpr_count 2
		.amdhsa_user_sgpr_dispatch_ptr 0
		.amdhsa_user_sgpr_queue_ptr 0
		.amdhsa_user_sgpr_kernarg_segment_ptr 1
		.amdhsa_user_sgpr_dispatch_id 0
		.amdhsa_user_sgpr_private_segment_size 0
		.amdhsa_wavefront_size32 1
		.amdhsa_uses_dynamic_stack 0
		.amdhsa_enable_private_segment 0
		.amdhsa_system_sgpr_workgroup_id_x 1
		.amdhsa_system_sgpr_workgroup_id_y 1
		.amdhsa_system_sgpr_workgroup_id_z 1
		.amdhsa_system_sgpr_workgroup_info 0
		.amdhsa_system_vgpr_workitem_id 0
		.amdhsa_next_free_vgpr 82
		.amdhsa_next_free_sgpr 46
		.amdhsa_reserve_vcc 1
		.amdhsa_float_round_mode_32 0
		.amdhsa_float_round_mode_16_64 0
		.amdhsa_float_denorm_mode_32 3
		.amdhsa_float_denorm_mode_16_64 3
		.amdhsa_fp16_overflow 0
		.amdhsa_workgroup_processor_mode 1
		.amdhsa_memory_ordered 1
		.amdhsa_forward_progress 1
		.amdhsa_inst_pref_size 168
		.amdhsa_round_robin_scheduling 0
		.amdhsa_exception_fp_ieee_invalid_op 0
		.amdhsa_exception_fp_denorm_src 0
		.amdhsa_exception_fp_ieee_div_zero 0
		.amdhsa_exception_fp_ieee_overflow 0
		.amdhsa_exception_fp_ieee_underflow 0
		.amdhsa_exception_fp_ieee_inexact 0
		.amdhsa_exception_int_div_zero 0
	.end_amdhsa_kernel
	.section	.text._ZN4vllm25paged_attention_v2_kernelIthLi64ELi16ELi128ELNS_18Fp8KVCacheDataTypeE1ELb1ELi512EEEvPfS2_PT_PKS3_PKT0_S9_ifPKiSB_iPKfiiiSD_SD_iiiii,"axG",@progbits,_ZN4vllm25paged_attention_v2_kernelIthLi64ELi16ELi128ELNS_18Fp8KVCacheDataTypeE1ELb1ELi512EEEvPfS2_PT_PKS3_PKT0_S9_ifPKiSB_iPKfiiiSD_SD_iiiii,comdat
.Lfunc_end262:
	.size	_ZN4vllm25paged_attention_v2_kernelIthLi64ELi16ELi128ELNS_18Fp8KVCacheDataTypeE1ELb1ELi512EEEvPfS2_PT_PKS3_PKT0_S9_ifPKiSB_iPKfiiiSD_SD_iiiii, .Lfunc_end262-_ZN4vllm25paged_attention_v2_kernelIthLi64ELi16ELi128ELNS_18Fp8KVCacheDataTypeE1ELb1ELi512EEEvPfS2_PT_PKS3_PKT0_S9_ifPKiSB_iPKfiiiSD_SD_iiiii
                                        ; -- End function
	.set _ZN4vllm25paged_attention_v2_kernelIthLi64ELi16ELi128ELNS_18Fp8KVCacheDataTypeE1ELb1ELi512EEEvPfS2_PT_PKS3_PKT0_S9_ifPKiSB_iPKfiiiSD_SD_iiiii.num_vgpr, 82
	.set _ZN4vllm25paged_attention_v2_kernelIthLi64ELi16ELi128ELNS_18Fp8KVCacheDataTypeE1ELb1ELi512EEEvPfS2_PT_PKS3_PKT0_S9_ifPKiSB_iPKfiiiSD_SD_iiiii.num_agpr, 0
	.set _ZN4vllm25paged_attention_v2_kernelIthLi64ELi16ELi128ELNS_18Fp8KVCacheDataTypeE1ELb1ELi512EEEvPfS2_PT_PKS3_PKT0_S9_ifPKiSB_iPKfiiiSD_SD_iiiii.numbered_sgpr, 46
	.set _ZN4vllm25paged_attention_v2_kernelIthLi64ELi16ELi128ELNS_18Fp8KVCacheDataTypeE1ELb1ELi512EEEvPfS2_PT_PKS3_PKT0_S9_ifPKiSB_iPKfiiiSD_SD_iiiii.num_named_barrier, 0
	.set _ZN4vllm25paged_attention_v2_kernelIthLi64ELi16ELi128ELNS_18Fp8KVCacheDataTypeE1ELb1ELi512EEEvPfS2_PT_PKS3_PKT0_S9_ifPKiSB_iPKfiiiSD_SD_iiiii.private_seg_size, 0
	.set _ZN4vllm25paged_attention_v2_kernelIthLi64ELi16ELi128ELNS_18Fp8KVCacheDataTypeE1ELb1ELi512EEEvPfS2_PT_PKS3_PKT0_S9_ifPKiSB_iPKfiiiSD_SD_iiiii.uses_vcc, 1
	.set _ZN4vllm25paged_attention_v2_kernelIthLi64ELi16ELi128ELNS_18Fp8KVCacheDataTypeE1ELb1ELi512EEEvPfS2_PT_PKS3_PKT0_S9_ifPKiSB_iPKfiiiSD_SD_iiiii.uses_flat_scratch, 0
	.set _ZN4vllm25paged_attention_v2_kernelIthLi64ELi16ELi128ELNS_18Fp8KVCacheDataTypeE1ELb1ELi512EEEvPfS2_PT_PKS3_PKT0_S9_ifPKiSB_iPKfiiiSD_SD_iiiii.has_dyn_sized_stack, 0
	.set _ZN4vllm25paged_attention_v2_kernelIthLi64ELi16ELi128ELNS_18Fp8KVCacheDataTypeE1ELb1ELi512EEEvPfS2_PT_PKS3_PKT0_S9_ifPKiSB_iPKfiiiSD_SD_iiiii.has_recursion, 0
	.set _ZN4vllm25paged_attention_v2_kernelIthLi64ELi16ELi128ELNS_18Fp8KVCacheDataTypeE1ELb1ELi512EEEvPfS2_PT_PKS3_PKT0_S9_ifPKiSB_iPKfiiiSD_SD_iiiii.has_indirect_call, 0
	.section	.AMDGPU.csdata,"",@progbits
; Kernel info:
; codeLenInByte = 21444
; TotalNumSgprs: 48
; NumVgprs: 82
; ScratchSize: 0
; MemoryBound: 0
; FloatMode: 240
; IeeeMode: 1
; LDSByteSize: 160 bytes/workgroup (compile time only)
; SGPRBlocks: 0
; VGPRBlocks: 10
; NumSGPRsForWavesPerEU: 48
; NumVGPRsForWavesPerEU: 82
; Occupancy: 16
; WaveLimiterHint : 1
; COMPUTE_PGM_RSRC2:SCRATCH_EN: 0
; COMPUTE_PGM_RSRC2:USER_SGPR: 2
; COMPUTE_PGM_RSRC2:TRAP_HANDLER: 0
; COMPUTE_PGM_RSRC2:TGID_X_EN: 1
; COMPUTE_PGM_RSRC2:TGID_Y_EN: 1
; COMPUTE_PGM_RSRC2:TGID_Z_EN: 1
; COMPUTE_PGM_RSRC2:TIDIG_COMP_CNT: 0
	.section	.text._ZN4vllm25paged_attention_v2_kernelIthLi80ELi16ELi128ELNS_18Fp8KVCacheDataTypeE1ELb1ELi512EEEvPfS2_PT_PKS3_PKT0_S9_ifPKiSB_iPKfiiiSD_SD_iiiii,"axG",@progbits,_ZN4vllm25paged_attention_v2_kernelIthLi80ELi16ELi128ELNS_18Fp8KVCacheDataTypeE1ELb1ELi512EEEvPfS2_PT_PKS3_PKT0_S9_ifPKiSB_iPKfiiiSD_SD_iiiii,comdat
	.protected	_ZN4vllm25paged_attention_v2_kernelIthLi80ELi16ELi128ELNS_18Fp8KVCacheDataTypeE1ELb1ELi512EEEvPfS2_PT_PKS3_PKT0_S9_ifPKiSB_iPKfiiiSD_SD_iiiii ; -- Begin function _ZN4vllm25paged_attention_v2_kernelIthLi80ELi16ELi128ELNS_18Fp8KVCacheDataTypeE1ELb1ELi512EEEvPfS2_PT_PKS3_PKT0_S9_ifPKiSB_iPKfiiiSD_SD_iiiii
	.globl	_ZN4vllm25paged_attention_v2_kernelIthLi80ELi16ELi128ELNS_18Fp8KVCacheDataTypeE1ELb1ELi512EEEvPfS2_PT_PKS3_PKT0_S9_ifPKiSB_iPKfiiiSD_SD_iiiii
	.p2align	8
	.type	_ZN4vllm25paged_attention_v2_kernelIthLi80ELi16ELi128ELNS_18Fp8KVCacheDataTypeE1ELb1ELi512EEEvPfS2_PT_PKS3_PKT0_S9_ifPKiSB_iPKfiiiSD_SD_iiiii,@function
_ZN4vllm25paged_attention_v2_kernelIthLi80ELi16ELi128ELNS_18Fp8KVCacheDataTypeE1ELb1ELi512EEEvPfS2_PT_PKS3_PKT0_S9_ifPKiSB_iPKfiiiSD_SD_iiiii: ; @_ZN4vllm25paged_attention_v2_kernelIthLi80ELi16ELi128ELNS_18Fp8KVCacheDataTypeE1ELb1ELi512EEEvPfS2_PT_PKS3_PKT0_S9_ifPKiSB_iPKfiiiSD_SD_iiiii
; %bb.0:
	s_load_b64 s[2:3], s[0:1], 0x40
	s_and_b32 s28, ttmp7, 0xffff
	s_lshr_b32 s33, ttmp7, 16
	s_lshl_b32 s4, s28, 2
	s_lshl_b32 s35, s33, 9
	s_wait_kmcnt 0x0
	s_load_b32 s34, s[2:3], s4 offset:0x0
	s_wait_kmcnt 0x0
	s_cmp_ge_i32 s35, s34
	s_cbranch_scc1 .LBB263_716
; %bb.1:
	s_clause 0x1
	s_load_b32 s29, s[0:1], 0x90
	s_load_b64 s[6:7], s[0:1], 0x30
	s_wait_kmcnt 0x0
	s_abs_i32 s5, s29
	s_abs_i32 s2, s6
	s_delay_alu instid0(SALU_CYCLE_1) | instskip(SKIP_1) | instid1(SALU_CYCLE_2)
	s_cvt_f32_u32 s3, s2
	s_sub_co_i32 s4, 0, s2
	v_rcp_iflag_f32_e32 v1, s3
	s_delay_alu instid0(TRANS32_DEP_1) | instskip(SKIP_2) | instid1(SALU_CYCLE_2)
	v_readfirstlane_b32 s3, v1
	s_mul_f32 s3, s3, 0x4f7ffffe
	s_wait_alu 0xfffe
	s_cvt_u32_f32 s3, s3
	s_wait_alu 0xfffe
	s_delay_alu instid0(SALU_CYCLE_2) | instskip(NEXT) | instid1(SALU_CYCLE_1)
	s_mul_i32 s4, s4, s3
	s_mul_hi_u32 s4, s3, s4
	s_delay_alu instid0(SALU_CYCLE_1)
	s_add_co_i32 s3, s3, s4
	s_xor_b32 s4, s29, s6
	s_wait_alu 0xfffe
	s_mul_hi_u32 s3, s5, s3
	s_ashr_i32 s4, s4, 31
	s_wait_alu 0xfffe
	s_mul_i32 s8, s3, s2
	s_delay_alu instid0(SALU_CYCLE_1)
	s_sub_co_i32 s5, s5, s8
	s_add_co_i32 s8, s3, 1
	s_sub_co_i32 s9, s5, s2
	s_cmp_ge_u32 s5, s2
	s_cselect_b32 s3, s8, s3
	s_cselect_b32 s5, s9, s5
	s_wait_alu 0xfffe
	s_add_co_i32 s8, s3, 1
	s_cmp_ge_u32 s5, s2
	s_cselect_b32 s2, s8, s3
	s_load_b64 s[8:9], s[0:1], 0x50
	s_xor_b32 s2, s2, s4
	s_mov_b32 s3, 0
	s_wait_alu 0xfffe
	s_sub_co_i32 s11, s2, s4
	s_mov_b32 s30, s3
	s_abs_i32 s10, s11
	s_delay_alu instid0(SALU_CYCLE_1) | instskip(SKIP_1) | instid1(SALU_CYCLE_2)
	s_cvt_f32_u32 s2, s10
	s_wait_alu 0xfffe
	v_rcp_iflag_f32_e32 v1, s2
	s_delay_alu instid0(TRANS32_DEP_1) | instskip(SKIP_2) | instid1(SALU_CYCLE_2)
	v_readfirstlane_b32 s2, v1
	s_mul_f32 s2, s2, 0x4f7ffffe
	s_wait_alu 0xfffe
	s_cvt_u32_f32 s4, s2
	s_sub_co_i32 s2, 0, s10
	s_wait_alu 0xfffe
	s_delay_alu instid0(SALU_CYCLE_1)
	s_mul_i32 s2, s2, s4
	s_wait_alu 0xfffe
	s_mul_hi_u32 s5, s4, s2
	s_abs_i32 s2, ttmp9
	s_add_co_i32 s4, s4, s5
	s_mov_b32 s5, s3
	s_wait_kmcnt 0x0
	s_cmp_eq_u64 s[8:9], 0
	s_cbranch_scc1 .LBB263_3
; %bb.2:
	s_mov_b32 s12, ttmp9
	s_ashr_i32 s13, ttmp9, 31
	s_delay_alu instid0(SALU_CYCLE_1) | instskip(NEXT) | instid1(SALU_CYCLE_1)
	s_lshl_b64 s[12:13], s[12:13], 2
	s_add_nc_u64 s[8:9], s[8:9], s[12:13]
	s_load_b32 s30, s[8:9], 0x0
.LBB263_3:
	s_load_b96 s[16:18], s[0:1], 0x58
	v_lshrrev_b32_e32 v11, 1, v0
	v_and_b32_e32 v12, 1, v0
	v_lshlrev_b32_e32 v10, 3, v0
	s_mul_u64 s[4:5], s[2:3], s[4:5]
	s_ashr_i32 s3, ttmp9, 31
	s_ashr_i32 s4, s11, 31
	s_mul_i32 s20, ttmp9, 0x50
	s_mov_b32 s8, exec_lo
	v_cmpx_gt_u32_e32 20, v0
	s_cbranch_execz .LBB263_5
; %bb.4:
	s_load_b64 s[12:13], s[0:1], 0x18
	s_wait_kmcnt 0x0
	s_mul_i32 s14, s16, s28
	s_ashr_i32 s21, s20, 31
	s_ashr_i32 s15, s14, 31
	v_lshlrev_b32_e32 v3, 3, v11
	s_lshl_b64 s[14:15], s[14:15], 1
	s_delay_alu instid0(VALU_DEP_1) | instskip(SKIP_2) | instid1(SALU_CYCLE_1)
	v_mad_u32_u24 v3, 0x50, v12, v3
	s_add_nc_u64 s[12:13], s[12:13], s[14:15]
	s_lshl_b64 s[14:15], s[20:21], 1
	s_add_nc_u64 s[12:13], s[12:13], s[14:15]
	global_load_b64 v[1:2], v10, s[12:13]
	s_wait_loadcnt 0x0
	ds_store_b64 v3, v[1:2]
.LBB263_5:
	s_or_b32 exec_lo, exec_lo, s8
	s_load_b128 s[12:15], s[0:1], 0x78
	s_mul_i32 s8, s5, s10
	s_xor_b32 s3, s3, s4
	s_sub_co_i32 s2, s2, s8
	s_add_co_i32 s4, s5, 1
	s_wait_alu 0xfffe
	s_sub_co_i32 s8, s2, s10
	s_cmp_ge_u32 s2, s10
                                        ; implicit-def: $sgpr21
	s_cselect_b32 s4, s4, s5
	s_cselect_b32 s2, s8, s2
	s_add_co_i32 s5, s4, 1
	s_wait_alu 0xfffe
	s_cmp_ge_u32 s2, s10
	s_load_b32 s8, s[0:1], 0x88
	s_cselect_b32 s2, s5, s4
	s_add_co_i32 s9, s34, -1
	s_wait_alu 0xfffe
	s_xor_b32 s2, s2, s3
	s_mov_b32 s10, -1
	s_wait_alu 0xfffe
	s_sub_co_i32 s19, s2, s3
	s_wait_dscnt 0x0
	s_barrier_signal -1
	s_wait_kmcnt 0x0
	s_abs_i32 s16, s15
	s_barrier_wait -1
	s_cvt_f32_u32 s4, s16
	global_inv scope:SCOPE_SE
	v_rcp_iflag_f32_e32 v1, s4
	s_delay_alu instid0(TRANS32_DEP_1) | instskip(SKIP_2) | instid1(SALU_CYCLE_2)
	v_readfirstlane_b32 s4, v1
	s_mul_f32 s2, s4, 0x4f7ffffe
	s_wait_alu 0xfffe
	s_cvt_u32_f32 s4, s2
	s_sub_co_i32 s2, 0, s16
	s_wait_alu 0xfffe
	s_delay_alu instid0(SALU_CYCLE_1)
	s_mul_i32 s3, s2, s4
	s_abs_i32 s2, s9
	s_wait_alu 0xfffe
	s_mul_hi_u32 s5, s4, s3
	s_mov_b32 s3, 0
	s_wait_alu 0xfffe
	s_add_co_i32 s22, s4, s5
	s_cmp_lt_i32 s8, 0
	s_mov_b32 s23, s3
	s_cbranch_scc0 .LBB263_7
; %bb.6:
	s_mul_i32 s4, s12, s6
	s_mov_b32 s10, s3
	s_wait_alu 0xfffe
	s_add_co_i32 s4, s19, s4
	s_wait_alu 0xfffe
	s_mul_i32 s4, s4, s8
	s_wait_alu 0xfffe
	s_sub_co_i32 s21, 1, s4
.LBB263_7:
	s_mul_u64 s[4:5], s[2:3], s[22:23]
	s_ashr_i32 s3, s9, 31
	s_and_not1_b32 vcc_lo, exec_lo, s10
	s_ashr_i32 s15, s15, 31
	s_cbranch_vccnz .LBB263_9
; %bb.8:
	s_mul_i32 s4, s29, s12
	s_wait_alu 0xfffe
	s_add_co_i32 s4, s4, ttmp9
	s_wait_alu 0xfffe
	s_mul_i32 s4, s4, s8
	s_wait_alu 0xfffe
	s_add_co_i32 s21, s4, 1
.LBB263_9:
	s_clause 0x3
	s_load_b32 s4, s[0:1], 0x48
	s_load_b64 s[24:25], s[0:1], 0x38
	s_load_b32 s12, s[0:1], 0x98
	s_load_b128 s[8:11], s[0:1], 0x68
	s_mul_i32 s6, s5, s16
	s_xor_b32 s3, s3, s15
	s_sub_co_i32 s2, s2, s6
	s_add_co_i32 s23, s5, 1
	v_lshrrev_b32_e32 v13, 5, v0
	v_mbcnt_lo_u32_b32 v18, -1, 0
	s_mul_i32 s18, s19, s18
	s_delay_alu instid0(VALU_DEP_2)
	v_lshl_add_u32 v14, v13, 4, s35
	s_wait_kmcnt 0x0
	s_mul_i32 s26, s4, s28
	s_wait_alu 0xfffe
	s_sub_co_i32 s4, s2, s16
	s_ashr_i32 s27, s26, 31
	s_cmp_ge_u32 s2, s16
	s_cselect_b32 s5, s23, s5
	s_wait_alu 0xfffe
	s_cselect_b32 s2, s4, s2
	s_add_co_i32 s4, s5, 1
	s_wait_alu 0xfffe
	s_cmp_ge_u32 s2, s16
	s_cselect_b32 s2, s4, s5
	s_add_co_i32 s4, s34, 15
	s_lshl_b32 s38, s33, 5
	s_wait_alu 0xfffe
	s_ashr_i32 s5, s4, 31
	v_or_b32_e32 v15, s38, v13
	s_wait_alu 0xfffe
	s_lshr_b32 s5, s5, 28
	v_mov_b32_e32 v19, 0xff7fffff
	s_wait_alu 0xfffe
	s_add_co_i32 s4, s4, s5
	s_add_co_i32 s5, s38, 32
	s_wait_alu 0xfffe
	s_ashr_i32 s36, s4, 4
	s_xor_b32 s4, s2, s3
	s_min_i32 s23, s5, s36
	v_lshlrev_b32_e32 v16, 2, v15
	v_cmp_gt_i32_e64 s2, s23, v15
	s_wait_alu 0xfffe
	s_sub_co_i32 s37, s4, s3
	s_and_saveexec_b32 s6, s2
	s_cbranch_execz .LBB263_341
; %bb.10:
	s_sub_co_i32 s31, s37, s13
	s_ashr_i32 s19, s18, 31
	s_cmp_neq_f32 s30, 0
	s_load_b64 s[4:5], s[0:1], 0x20
	v_bfe_u32 v17, v0, 1, 4
	v_dual_mov_b32 v2, 0 :: v_dual_lshlrev_b32 v3, 2, v12
	s_cselect_b32 vcc_lo, -1, 0
	s_abs_i32 s39, s14
	s_delay_alu instid0(VALU_DEP_2)
	v_dual_mov_b32 v19, 0xff7fffff :: v_dual_lshlrev_b32 v4, 4, v17
	s_wait_alu 0xfffe
	s_cvt_f32_u32 s3, s39
	v_dual_mov_b32 v24, 0xff7fffff :: v_dual_lshlrev_b32 v5, 2, v17
	s_lshl_b64 s[42:43], s[26:27], 2
	s_wait_alu 0xfffe
	v_rcp_iflag_f32_e32 v1, s3
	v_subrev_nc_u32_e32 v7, s34, v17
	s_add_nc_u64 s[42:43], s[24:25], s[42:43]
	s_sub_co_i32 s44, 0, s39
	v_cmp_eq_u32_e64 s3, 0, v12
	v_mul_u32_u24_e32 v20, 0x50, v12
	v_lshl_add_u32 v21, v13, 4, s35
	v_dual_mov_b32 v25, v15 :: v_dual_add_nc_u32 v22, 1, v7
	s_wait_kmcnt 0x0
	s_add_nc_u64 s[4:5], s[4:5], s[18:19]
	v_readfirstlane_b32 s41, v1
	s_wait_alu 0xfffe
	v_add_co_u32 v4, s4, s4, v4
	v_lshl_or_b32 v1, v13, 6, v5
	s_wait_alu 0xf1ff
	v_add_co_ci_u32_e64 v5, null, s5, 0, s4
	s_mul_f32 s19, s41, 0x4f7ffffe
	v_add_co_u32 v3, s4, v4, v3
	s_wait_alu 0xf1ff
	v_add_co_ci_u32_e64 v4, null, 0, v5, s4
	s_cvt_u32_f32 s5, s19
	v_add_co_u32 v5, s4, s42, v16
	s_wait_alu 0xf1ff
	v_add_co_ci_u32_e64 v6, null, s43, 0, s4
	s_wait_alu 0xfffe
	s_mul_i32 s44, s44, s5
	v_add_nc_u32_e32 v23, 0xc0, v1
	s_mul_hi_u32 s4, s5, s44
	s_mov_b32 s40, 0
	s_mov_b32 s19, s17
	s_wait_alu 0xfffe
	s_add_co_i32 s41, s5, s4
	s_branch .LBB263_13
.LBB263_11:                             ;   in Loop: Header=BB263_13 Depth=1
	s_wait_alu 0xfffe
	s_or_b32 exec_lo, exec_lo, s42
.LBB263_12:                             ;   in Loop: Header=BB263_13 Depth=1
	s_wait_alu 0xfffe
	s_or_b32 exec_lo, exec_lo, s5
	v_add_nc_u32_e32 v25, 4, v25
	v_add_co_u32 v5, s5, v5, 16
	s_wait_alu 0xf1ff
	v_add_co_ci_u32_e64 v6, null, 0, v6, s5
	s_delay_alu instid0(VALU_DEP_3)
	v_cmp_le_i32_e64 s4, s23, v25
	v_add_nc_u32_e32 v21, 64, v21
	v_add_nc_u32_e32 v23, 0x100, v23
	s_or_b32 s40, s4, s40
	s_wait_alu 0xfffe
	s_and_not1_b32 exec_lo, exec_lo, s40
	s_cbranch_execz .LBB263_340
.LBB263_13:                             ; =>This Inner Loop Header: Depth=1
	v_sub_nc_u32_e32 v1, 0, v21
	s_delay_alu instid0(VALU_DEP_1) | instskip(SKIP_1) | instid1(VALU_DEP_1)
	v_max_i32_e32 v1, v21, v1
	s_wait_dscnt 0x0
	v_mul_hi_u32 v7, v1, s22
	s_delay_alu instid0(VALU_DEP_1) | instskip(NEXT) | instid1(VALU_DEP_1)
	v_mul_lo_u32 v8, v7, s16
	v_sub_nc_u32_e32 v1, v1, v8
	v_add_nc_u32_e32 v8, 1, v7
	s_delay_alu instid0(VALU_DEP_2) | instskip(SKIP_2) | instid1(VALU_DEP_1)
	v_subrev_nc_u32_e32 v9, s16, v1
	v_cmp_le_u32_e64 s4, s16, v1
	s_wait_alu 0xf1ff
	v_cndmask_b32_e64 v7, v7, v8, s4
	s_delay_alu instid0(VALU_DEP_3) | instskip(SKIP_1) | instid1(VALU_DEP_3)
	v_cndmask_b32_e64 v1, v1, v9, s4
	v_ashrrev_i32_e32 v8, 31, v21
	v_add_nc_u32_e32 v9, 1, v7
	s_delay_alu instid0(VALU_DEP_3) | instskip(NEXT) | instid1(VALU_DEP_3)
	v_cmp_le_u32_e64 s4, s16, v1
	v_xor_b32_e32 v8, s15, v8
	s_wait_alu 0xf1ff
	s_delay_alu instid0(VALU_DEP_2) | instskip(NEXT) | instid1(VALU_DEP_1)
	v_cndmask_b32_e64 v1, v7, v9, s4
	v_xor_b32_e32 v1, v1, v8
	s_delay_alu instid0(VALU_DEP_1) | instskip(NEXT) | instid1(VALU_DEP_1)
	v_sub_nc_u32_e32 v1, v1, v8
	v_add_nc_u32_e32 v7, s21, v1
	v_cmp_ge_i32_e64 s5, s31, v1
	s_delay_alu instid0(VALU_DEP_2) | instskip(NEXT) | instid1(VALU_DEP_1)
	v_sub_nc_u32_e32 v8, 0, v7
	v_max_i32_e32 v8, v7, v8
	v_ashrrev_i32_e32 v7, 31, v7
	s_delay_alu instid0(VALU_DEP_2) | instskip(NEXT) | instid1(VALU_DEP_1)
	v_mul_hi_u32 v9, v8, s41
	v_mul_lo_u32 v9, v9, s39
	s_delay_alu instid0(VALU_DEP_1) | instskip(NEXT) | instid1(VALU_DEP_1)
	v_sub_nc_u32_e32 v8, v8, v9
	v_subrev_nc_u32_e32 v9, s39, v8
	v_cmp_le_u32_e64 s4, s39, v8
	s_wait_alu 0xf1ff
	s_delay_alu instid0(VALU_DEP_1) | instskip(NEXT) | instid1(VALU_DEP_1)
	v_cndmask_b32_e64 v8, v8, v9, s4
	v_subrev_nc_u32_e32 v9, s39, v8
	v_cmp_le_u32_e64 s4, s39, v8
	s_wait_alu 0xf1ff
	s_delay_alu instid0(VALU_DEP_1) | instskip(NEXT) | instid1(VALU_DEP_1)
	v_cndmask_b32_e64 v8, v8, v9, s4
	v_xor_b32_e32 v8, v8, v7
	s_delay_alu instid0(VALU_DEP_1) | instskip(NEXT) | instid1(VALU_DEP_1)
	v_sub_nc_u32_e32 v7, v8, v7
	v_cmp_ne_u32_e64 s4, 0, v7
	s_and_b32 s4, s4, s5
	s_wait_alu 0xfffe
	s_and_saveexec_b32 s5, s4
	s_wait_alu 0xfffe
	s_xor_b32 s4, exec_lo, s5
	s_cbranch_execz .LBB263_17
; %bb.14:                               ;   in Loop: Header=BB263_13 Depth=1
	s_and_saveexec_b32 s5, s3
; %bb.15:                               ;   in Loop: Header=BB263_13 Depth=1
	ds_store_b32 v23, v24
; %bb.16:                               ;   in Loop: Header=BB263_13 Depth=1
	s_wait_alu 0xfffe
	s_or_b32 exec_lo, exec_lo, s5
.LBB263_17:                             ;   in Loop: Header=BB263_13 Depth=1
	s_wait_alu 0xfffe
	s_and_not1_saveexec_b32 s5, s4
	s_cbranch_execz .LBB263_12
; %bb.18:                               ;   in Loop: Header=BB263_13 Depth=1
	global_load_b32 v1, v[5:6], off
	v_dual_mov_b32 v27, 0 :: v_dual_mov_b32 v28, 0
	s_mov_b32 s42, exec_lo
	global_load_b32 v26, v27, s[8:9]
	s_wait_loadcnt 0x1
	v_mad_co_i64_i32 v[7:8], null, v1, s19, v[3:4]
	global_load_b32 v9, v[7:8], off
	s_wait_loadcnt 0x0
	v_and_b32_e32 v1, 0xff, v9
	s_delay_alu instid0(VALU_DEP_1)
	v_cmpx_ne_u16_e32 0, v1
	s_cbranch_execz .LBB263_26
; %bb.19:                               ;   in Loop: Header=BB263_13 Depth=1
	v_mov_b32_e32 v28, 0x8000
	s_mov_b32 s43, exec_lo
	v_cmpx_ne_u16_e32 0x80, v1
	s_cbranch_execz .LBB263_25
; %bb.20:                               ;   in Loop: Header=BB263_13 Depth=1
	v_and_b32_e32 v29, 0x7f, v9
	v_mov_b32_e32 v28, 0x7c01
	s_mov_b32 s44, exec_lo
	s_delay_alu instid0(VALU_DEP_2)
	v_cmpx_ne_u32_e32 0x7f, v29
	s_cbranch_execz .LBB263_24
; %bb.21:                               ;   in Loop: Header=BB263_13 Depth=1
	v_and_b32_e32 v1, 7, v9
	v_lshrrev_b32_e32 v28, 3, v29
	s_mov_b32 s45, exec_lo
	v_cmpx_gt_u32_e32 8, v29
; %bb.22:                               ;   in Loop: Header=BB263_13 Depth=1
	s_delay_alu instid0(VALU_DEP_3) | instskip(NEXT) | instid1(VALU_DEP_1)
	v_clz_i32_u32_e32 v1, v1
	v_min_u32_e32 v1, 32, v1
	s_delay_alu instid0(VALU_DEP_1) | instskip(NEXT) | instid1(VALU_DEP_1)
	v_subrev_nc_u32_e32 v28, 28, v1
	v_lshlrev_b64_e32 v[29:30], v28, v[9:10]
	v_sub_nc_u32_e32 v28, 29, v1
	s_delay_alu instid0(VALU_DEP_2)
	v_and_b32_e32 v1, 7, v29
; %bb.23:                               ;   in Loop: Header=BB263_13 Depth=1
	s_or_b32 exec_lo, exec_lo, s45
	v_lshlrev_b32_e32 v29, 8, v9
	s_delay_alu instid0(VALU_DEP_3) | instskip(NEXT) | instid1(VALU_DEP_3)
	v_lshl_add_u32 v28, v28, 10, 0x2000
	v_lshlrev_b32_e32 v1, 7, v1
	s_delay_alu instid0(VALU_DEP_3) | instskip(NEXT) | instid1(VALU_DEP_3)
	v_and_b32_e32 v29, 0x8000, v29
	v_and_b32_e32 v28, 0xfc00, v28
	s_delay_alu instid0(VALU_DEP_1)
	v_or3_b32 v28, v29, v28, v1
.LBB263_24:                             ;   in Loop: Header=BB263_13 Depth=1
	s_or_b32 exec_lo, exec_lo, s44
.LBB263_25:                             ;   in Loop: Header=BB263_13 Depth=1
	s_wait_alu 0xfffe
	s_or_b32 exec_lo, exec_lo, s43
.LBB263_26:                             ;   in Loop: Header=BB263_13 Depth=1
	s_wait_alu 0xfffe
	s_or_b32 exec_lo, exec_lo, s42
	v_lshrrev_b16 v1, 8, v9
	s_mov_b32 s42, exec_lo
	s_delay_alu instid0(VALU_DEP_1)
	v_cmpx_ne_u16_e32 0, v1
	s_cbranch_execz .LBB263_34
; %bb.27:                               ;   in Loop: Header=BB263_13 Depth=1
	v_bfrev_b32_e32 v27, 1
	s_mov_b32 s43, exec_lo
	v_cmpx_ne_u16_e32 0x80, v1
	s_cbranch_execz .LBB263_33
; %bb.28:                               ;   in Loop: Header=BB263_13 Depth=1
	v_and_b32_e32 v29, 0xffff, v1
	v_mov_b32_e32 v27, 0x7c010000
	s_mov_b32 s44, exec_lo
	s_delay_alu instid0(VALU_DEP_2) | instskip(NEXT) | instid1(VALU_DEP_1)
	v_and_b32_e32 v31, 0x7f, v29
	v_cmpx_ne_u32_e32 0x7f, v31
	s_cbranch_execz .LBB263_32
; %bb.29:                               ;   in Loop: Header=BB263_13 Depth=1
	v_and_b32_e32 v27, 7, v29
	v_lshrrev_b32_e32 v30, 3, v31
	s_mov_b32 s45, exec_lo
	v_cmpx_gt_u32_e32 8, v31
; %bb.30:                               ;   in Loop: Header=BB263_13 Depth=1
	s_delay_alu instid0(VALU_DEP_3) | instskip(NEXT) | instid1(VALU_DEP_1)
	v_clz_i32_u32_e32 v27, v27
	v_min_u32_e32 v27, 32, v27
	s_delay_alu instid0(VALU_DEP_1) | instskip(NEXT) | instid1(VALU_DEP_1)
	v_subrev_nc_u32_e32 v30, 28, v27
	v_lshlrev_b64_e32 v[31:32], v30, v[1:2]
	v_sub_nc_u32_e32 v30, 29, v27
	s_delay_alu instid0(VALU_DEP_2)
	v_and_b32_e32 v27, 7, v31
; %bb.31:                               ;   in Loop: Header=BB263_13 Depth=1
	s_or_b32 exec_lo, exec_lo, s45
	v_lshlrev_b32_e32 v1, 8, v29
	s_delay_alu instid0(VALU_DEP_3) | instskip(NEXT) | instid1(VALU_DEP_3)
	v_lshl_add_u32 v29, v30, 10, 0x2000
	v_lshlrev_b32_e32 v27, 23, v27
	s_delay_alu instid0(VALU_DEP_2) | instskip(NEXT) | instid1(VALU_DEP_1)
	v_and_or_b32 v1, 0x8000, v1, v29
	v_lshl_or_b32 v27, v1, 16, v27
.LBB263_32:                             ;   in Loop: Header=BB263_13 Depth=1
	s_or_b32 exec_lo, exec_lo, s44
.LBB263_33:                             ;   in Loop: Header=BB263_13 Depth=1
	s_wait_alu 0xfffe
	s_or_b32 exec_lo, exec_lo, s43
.LBB263_34:                             ;   in Loop: Header=BB263_13 Depth=1
	s_wait_alu 0xfffe
	s_or_b32 exec_lo, exec_lo, s42
	v_lshrrev_b32_e32 v1, 16, v9
	v_mov_b32_e32 v29, 0
	s_mov_b32 s42, exec_lo
	s_delay_alu instid0(VALU_DEP_2) | instskip(NEXT) | instid1(VALU_DEP_1)
	v_dual_mov_b32 v30, 0 :: v_dual_and_b32 v31, 0xff, v1
	v_cmpx_ne_u16_e32 0, v31
	s_cbranch_execz .LBB263_42
; %bb.35:                               ;   in Loop: Header=BB263_13 Depth=1
	v_mov_b32_e32 v30, 0x8000
	s_mov_b32 s43, exec_lo
	v_cmpx_ne_u16_e32 0x80, v31
	s_cbranch_execz .LBB263_41
; %bb.36:                               ;   in Loop: Header=BB263_13 Depth=1
	v_bfe_u32 v32, v9, 16, 7
	v_mov_b32_e32 v30, 0x7c01
	s_mov_b32 s44, exec_lo
	s_delay_alu instid0(VALU_DEP_2)
	v_cmpx_ne_u32_e32 0x7f, v32
	s_cbranch_execz .LBB263_40
; %bb.37:                               ;   in Loop: Header=BB263_13 Depth=1
	v_and_b32_e32 v30, 7, v1
	v_lshrrev_b32_e32 v31, 3, v32
	s_mov_b32 s45, exec_lo
	v_cmpx_gt_u32_e32 8, v32
; %bb.38:                               ;   in Loop: Header=BB263_13 Depth=1
	s_delay_alu instid0(VALU_DEP_3) | instskip(NEXT) | instid1(VALU_DEP_1)
	v_clz_i32_u32_e32 v30, v30
	v_min_u32_e32 v32, 32, v30
	s_delay_alu instid0(VALU_DEP_1) | instskip(NEXT) | instid1(VALU_DEP_1)
	v_subrev_nc_u32_e32 v30, 28, v32
	v_lshlrev_b64_e32 v[30:31], v30, v[1:2]
	v_sub_nc_u32_e32 v31, 29, v32
	s_delay_alu instid0(VALU_DEP_2)
	v_and_b32_e32 v30, 7, v30
; %bb.39:                               ;   in Loop: Header=BB263_13 Depth=1
	s_or_b32 exec_lo, exec_lo, s45
	v_lshlrev_b32_e32 v1, 8, v1
	s_delay_alu instid0(VALU_DEP_3) | instskip(NEXT) | instid1(VALU_DEP_3)
	v_lshl_add_u32 v31, v31, 10, 0x2000
	v_lshlrev_b32_e32 v30, 7, v30
	s_delay_alu instid0(VALU_DEP_3) | instskip(NEXT) | instid1(VALU_DEP_3)
	v_and_b32_e32 v1, 0x8000, v1
	v_and_b32_e32 v31, 0xfc00, v31
	s_delay_alu instid0(VALU_DEP_1)
	v_or3_b32 v30, v1, v31, v30
.LBB263_40:                             ;   in Loop: Header=BB263_13 Depth=1
	s_or_b32 exec_lo, exec_lo, s44
.LBB263_41:                             ;   in Loop: Header=BB263_13 Depth=1
	s_wait_alu 0xfffe
	s_or_b32 exec_lo, exec_lo, s43
.LBB263_42:                             ;   in Loop: Header=BB263_13 Depth=1
	s_wait_alu 0xfffe
	s_or_b32 exec_lo, exec_lo, s42
	s_delay_alu instid0(SALU_CYCLE_1)
	s_mov_b32 s42, exec_lo
	v_cmpx_lt_u32_e32 0xffffff, v9
	s_cbranch_execz .LBB263_50
; %bb.43:                               ;   in Loop: Header=BB263_13 Depth=1
	v_lshrrev_b32_e32 v1, 24, v9
	v_bfrev_b32_e32 v29, 1
	s_mov_b32 s43, exec_lo
	s_delay_alu instid0(VALU_DEP_2)
	v_cmpx_ne_u32_e32 0x80, v1
	s_cbranch_execz .LBB263_49
; %bb.44:                               ;   in Loop: Header=BB263_13 Depth=1
	v_and_b32_e32 v31, 0x7f, v1
	v_mov_b32_e32 v29, 0x7c010000
	s_mov_b32 s44, exec_lo
	s_delay_alu instid0(VALU_DEP_2)
	v_cmpx_ne_u32_e32 0x7f, v31
	s_cbranch_execz .LBB263_48
; %bb.45:                               ;   in Loop: Header=BB263_13 Depth=1
	v_and_b32_e32 v9, 7, v1
	v_lshrrev_b32_e32 v29, 3, v31
	s_mov_b32 s45, exec_lo
	v_cmpx_gt_u32_e32 8, v31
; %bb.46:                               ;   in Loop: Header=BB263_13 Depth=1
	s_delay_alu instid0(VALU_DEP_3) | instskip(NEXT) | instid1(VALU_DEP_1)
	v_clz_i32_u32_e32 v9, v9
	v_min_u32_e32 v9, 32, v9
	s_delay_alu instid0(VALU_DEP_1) | instskip(NEXT) | instid1(VALU_DEP_1)
	v_subrev_nc_u32_e32 v29, 28, v9
	v_lshlrev_b64_e32 v[31:32], v29, v[1:2]
	v_sub_nc_u32_e32 v29, 29, v9
	s_delay_alu instid0(VALU_DEP_2)
	v_and_b32_e32 v9, 7, v31
; %bb.47:                               ;   in Loop: Header=BB263_13 Depth=1
	s_or_b32 exec_lo, exec_lo, s45
	v_lshlrev_b32_e32 v1, 8, v1
	s_delay_alu instid0(VALU_DEP_3) | instskip(NEXT) | instid1(VALU_DEP_3)
	v_lshl_add_u32 v29, v29, 10, 0x2000
	v_lshlrev_b32_e32 v9, 23, v9
	s_delay_alu instid0(VALU_DEP_2) | instskip(NEXT) | instid1(VALU_DEP_1)
	v_and_or_b32 v1, 0x8000, v1, v29
	v_lshl_or_b32 v29, v1, 16, v9
.LBB263_48:                             ;   in Loop: Header=BB263_13 Depth=1
	s_or_b32 exec_lo, exec_lo, s44
.LBB263_49:                             ;   in Loop: Header=BB263_13 Depth=1
	s_wait_alu 0xfffe
	s_or_b32 exec_lo, exec_lo, s43
.LBB263_50:                             ;   in Loop: Header=BB263_13 Depth=1
	s_wait_alu 0xfffe
	s_or_b32 exec_lo, exec_lo, s42
	global_load_b32 v9, v[7:8], off offset:8
	v_mov_b32_e32 v31, 0
	s_mov_b32 s42, exec_lo
	s_wait_loadcnt 0x0
	v_dual_mov_b32 v32, 0 :: v_dual_and_b32 v1, 0xff, v9
	s_delay_alu instid0(VALU_DEP_1)
	v_cmpx_ne_u16_e32 0, v1
	s_cbranch_execz .LBB263_58
; %bb.51:                               ;   in Loop: Header=BB263_13 Depth=1
	v_mov_b32_e32 v32, 0x8000
	s_mov_b32 s43, exec_lo
	v_cmpx_ne_u16_e32 0x80, v1
	s_cbranch_execz .LBB263_57
; %bb.52:                               ;   in Loop: Header=BB263_13 Depth=1
	v_and_b32_e32 v33, 0x7f, v9
	v_mov_b32_e32 v32, 0x7c01
	s_mov_b32 s44, exec_lo
	s_delay_alu instid0(VALU_DEP_2)
	v_cmpx_ne_u32_e32 0x7f, v33
	s_cbranch_execz .LBB263_56
; %bb.53:                               ;   in Loop: Header=BB263_13 Depth=1
	v_and_b32_e32 v1, 7, v9
	v_lshrrev_b32_e32 v32, 3, v33
	s_mov_b32 s45, exec_lo
	v_cmpx_gt_u32_e32 8, v33
; %bb.54:                               ;   in Loop: Header=BB263_13 Depth=1
	s_delay_alu instid0(VALU_DEP_3) | instskip(NEXT) | instid1(VALU_DEP_1)
	v_clz_i32_u32_e32 v1, v1
	v_min_u32_e32 v1, 32, v1
	s_delay_alu instid0(VALU_DEP_1) | instskip(NEXT) | instid1(VALU_DEP_1)
	v_subrev_nc_u32_e32 v32, 28, v1
	v_lshlrev_b64_e32 v[33:34], v32, v[9:10]
	v_sub_nc_u32_e32 v32, 29, v1
	s_delay_alu instid0(VALU_DEP_2)
	v_and_b32_e32 v1, 7, v33
; %bb.55:                               ;   in Loop: Header=BB263_13 Depth=1
	s_or_b32 exec_lo, exec_lo, s45
	v_lshlrev_b32_e32 v33, 8, v9
	s_delay_alu instid0(VALU_DEP_3) | instskip(NEXT) | instid1(VALU_DEP_3)
	v_lshl_add_u32 v32, v32, 10, 0x2000
	v_lshlrev_b32_e32 v1, 7, v1
	s_delay_alu instid0(VALU_DEP_3) | instskip(NEXT) | instid1(VALU_DEP_3)
	v_and_b32_e32 v33, 0x8000, v33
	v_and_b32_e32 v32, 0xfc00, v32
	s_delay_alu instid0(VALU_DEP_1)
	v_or3_b32 v32, v33, v32, v1
.LBB263_56:                             ;   in Loop: Header=BB263_13 Depth=1
	s_or_b32 exec_lo, exec_lo, s44
.LBB263_57:                             ;   in Loop: Header=BB263_13 Depth=1
	s_wait_alu 0xfffe
	s_or_b32 exec_lo, exec_lo, s43
.LBB263_58:                             ;   in Loop: Header=BB263_13 Depth=1
	s_wait_alu 0xfffe
	s_or_b32 exec_lo, exec_lo, s42
	v_lshrrev_b16 v1, 8, v9
	s_mov_b32 s42, exec_lo
	s_delay_alu instid0(VALU_DEP_1)
	v_cmpx_ne_u16_e32 0, v1
	s_cbranch_execz .LBB263_66
; %bb.59:                               ;   in Loop: Header=BB263_13 Depth=1
	v_bfrev_b32_e32 v31, 1
	s_mov_b32 s43, exec_lo
	v_cmpx_ne_u16_e32 0x80, v1
	s_cbranch_execz .LBB263_65
; %bb.60:                               ;   in Loop: Header=BB263_13 Depth=1
	v_and_b32_e32 v33, 0xffff, v1
	v_mov_b32_e32 v31, 0x7c010000
	s_mov_b32 s44, exec_lo
	s_delay_alu instid0(VALU_DEP_2) | instskip(NEXT) | instid1(VALU_DEP_1)
	v_and_b32_e32 v35, 0x7f, v33
	v_cmpx_ne_u32_e32 0x7f, v35
	s_cbranch_execz .LBB263_64
; %bb.61:                               ;   in Loop: Header=BB263_13 Depth=1
	v_and_b32_e32 v31, 7, v33
	v_lshrrev_b32_e32 v34, 3, v35
	s_mov_b32 s45, exec_lo
	v_cmpx_gt_u32_e32 8, v35
; %bb.62:                               ;   in Loop: Header=BB263_13 Depth=1
	s_delay_alu instid0(VALU_DEP_3) | instskip(NEXT) | instid1(VALU_DEP_1)
	v_clz_i32_u32_e32 v31, v31
	v_min_u32_e32 v31, 32, v31
	s_delay_alu instid0(VALU_DEP_1) | instskip(NEXT) | instid1(VALU_DEP_1)
	v_subrev_nc_u32_e32 v34, 28, v31
	v_lshlrev_b64_e32 v[35:36], v34, v[1:2]
	v_sub_nc_u32_e32 v34, 29, v31
	s_delay_alu instid0(VALU_DEP_2)
	v_and_b32_e32 v31, 7, v35
; %bb.63:                               ;   in Loop: Header=BB263_13 Depth=1
	s_or_b32 exec_lo, exec_lo, s45
	v_lshlrev_b32_e32 v1, 8, v33
	s_delay_alu instid0(VALU_DEP_3) | instskip(NEXT) | instid1(VALU_DEP_3)
	v_lshl_add_u32 v33, v34, 10, 0x2000
	v_lshlrev_b32_e32 v31, 23, v31
	s_delay_alu instid0(VALU_DEP_2) | instskip(NEXT) | instid1(VALU_DEP_1)
	v_and_or_b32 v1, 0x8000, v1, v33
	v_lshl_or_b32 v31, v1, 16, v31
.LBB263_64:                             ;   in Loop: Header=BB263_13 Depth=1
	s_or_b32 exec_lo, exec_lo, s44
.LBB263_65:                             ;   in Loop: Header=BB263_13 Depth=1
	s_wait_alu 0xfffe
	s_or_b32 exec_lo, exec_lo, s43
.LBB263_66:                             ;   in Loop: Header=BB263_13 Depth=1
	s_wait_alu 0xfffe
	s_or_b32 exec_lo, exec_lo, s42
	v_lshrrev_b32_e32 v1, 16, v9
	v_mov_b32_e32 v33, 0
	s_mov_b32 s42, exec_lo
	s_delay_alu instid0(VALU_DEP_2) | instskip(NEXT) | instid1(VALU_DEP_1)
	v_dual_mov_b32 v34, 0 :: v_dual_and_b32 v35, 0xff, v1
	v_cmpx_ne_u16_e32 0, v35
	s_cbranch_execz .LBB263_74
; %bb.67:                               ;   in Loop: Header=BB263_13 Depth=1
	v_mov_b32_e32 v34, 0x8000
	s_mov_b32 s43, exec_lo
	v_cmpx_ne_u16_e32 0x80, v35
	s_cbranch_execz .LBB263_73
; %bb.68:                               ;   in Loop: Header=BB263_13 Depth=1
	v_bfe_u32 v36, v9, 16, 7
	v_mov_b32_e32 v34, 0x7c01
	s_mov_b32 s44, exec_lo
	s_delay_alu instid0(VALU_DEP_2)
	v_cmpx_ne_u32_e32 0x7f, v36
	s_cbranch_execz .LBB263_72
; %bb.69:                               ;   in Loop: Header=BB263_13 Depth=1
	v_and_b32_e32 v34, 7, v1
	v_lshrrev_b32_e32 v35, 3, v36
	s_mov_b32 s45, exec_lo
	v_cmpx_gt_u32_e32 8, v36
; %bb.70:                               ;   in Loop: Header=BB263_13 Depth=1
	s_delay_alu instid0(VALU_DEP_3) | instskip(NEXT) | instid1(VALU_DEP_1)
	v_clz_i32_u32_e32 v34, v34
	v_min_u32_e32 v36, 32, v34
	s_delay_alu instid0(VALU_DEP_1) | instskip(NEXT) | instid1(VALU_DEP_1)
	v_subrev_nc_u32_e32 v34, 28, v36
	v_lshlrev_b64_e32 v[34:35], v34, v[1:2]
	v_sub_nc_u32_e32 v35, 29, v36
	s_delay_alu instid0(VALU_DEP_2)
	v_and_b32_e32 v34, 7, v34
; %bb.71:                               ;   in Loop: Header=BB263_13 Depth=1
	s_or_b32 exec_lo, exec_lo, s45
	v_lshlrev_b32_e32 v1, 8, v1
	s_delay_alu instid0(VALU_DEP_3) | instskip(NEXT) | instid1(VALU_DEP_3)
	v_lshl_add_u32 v35, v35, 10, 0x2000
	v_lshlrev_b32_e32 v34, 7, v34
	s_delay_alu instid0(VALU_DEP_3) | instskip(NEXT) | instid1(VALU_DEP_3)
	v_and_b32_e32 v1, 0x8000, v1
	v_and_b32_e32 v35, 0xfc00, v35
	s_delay_alu instid0(VALU_DEP_1)
	v_or3_b32 v34, v1, v35, v34
.LBB263_72:                             ;   in Loop: Header=BB263_13 Depth=1
	s_or_b32 exec_lo, exec_lo, s44
.LBB263_73:                             ;   in Loop: Header=BB263_13 Depth=1
	s_wait_alu 0xfffe
	s_or_b32 exec_lo, exec_lo, s43
.LBB263_74:                             ;   in Loop: Header=BB263_13 Depth=1
	s_wait_alu 0xfffe
	s_or_b32 exec_lo, exec_lo, s42
	s_delay_alu instid0(SALU_CYCLE_1)
	s_mov_b32 s42, exec_lo
	v_cmpx_lt_u32_e32 0xffffff, v9
	s_cbranch_execz .LBB263_82
; %bb.75:                               ;   in Loop: Header=BB263_13 Depth=1
	v_lshrrev_b32_e32 v1, 24, v9
	v_bfrev_b32_e32 v33, 1
	s_mov_b32 s43, exec_lo
	s_delay_alu instid0(VALU_DEP_2)
	v_cmpx_ne_u32_e32 0x80, v1
	s_cbranch_execz .LBB263_81
; %bb.76:                               ;   in Loop: Header=BB263_13 Depth=1
	v_and_b32_e32 v35, 0x7f, v1
	v_mov_b32_e32 v33, 0x7c010000
	s_mov_b32 s44, exec_lo
	s_delay_alu instid0(VALU_DEP_2)
	v_cmpx_ne_u32_e32 0x7f, v35
	s_cbranch_execz .LBB263_80
; %bb.77:                               ;   in Loop: Header=BB263_13 Depth=1
	v_and_b32_e32 v9, 7, v1
	v_lshrrev_b32_e32 v33, 3, v35
	s_mov_b32 s45, exec_lo
	v_cmpx_gt_u32_e32 8, v35
; %bb.78:                               ;   in Loop: Header=BB263_13 Depth=1
	s_delay_alu instid0(VALU_DEP_3) | instskip(NEXT) | instid1(VALU_DEP_1)
	v_clz_i32_u32_e32 v9, v9
	v_min_u32_e32 v9, 32, v9
	s_delay_alu instid0(VALU_DEP_1) | instskip(NEXT) | instid1(VALU_DEP_1)
	v_subrev_nc_u32_e32 v33, 28, v9
	v_lshlrev_b64_e32 v[35:36], v33, v[1:2]
	v_sub_nc_u32_e32 v33, 29, v9
	s_delay_alu instid0(VALU_DEP_2)
	v_and_b32_e32 v9, 7, v35
; %bb.79:                               ;   in Loop: Header=BB263_13 Depth=1
	s_or_b32 exec_lo, exec_lo, s45
	v_lshlrev_b32_e32 v1, 8, v1
	s_delay_alu instid0(VALU_DEP_3) | instskip(NEXT) | instid1(VALU_DEP_3)
	v_lshl_add_u32 v33, v33, 10, 0x2000
	v_lshlrev_b32_e32 v9, 23, v9
	s_delay_alu instid0(VALU_DEP_2) | instskip(NEXT) | instid1(VALU_DEP_1)
	v_and_or_b32 v1, 0x8000, v1, v33
	v_lshl_or_b32 v33, v1, 16, v9
.LBB263_80:                             ;   in Loop: Header=BB263_13 Depth=1
	s_or_b32 exec_lo, exec_lo, s44
.LBB263_81:                             ;   in Loop: Header=BB263_13 Depth=1
	s_wait_alu 0xfffe
	s_or_b32 exec_lo, exec_lo, s43
.LBB263_82:                             ;   in Loop: Header=BB263_13 Depth=1
	s_wait_alu 0xfffe
	s_or_b32 exec_lo, exec_lo, s42
	global_load_b32 v9, v[7:8], off offset:256
	v_mov_b32_e32 v35, 0
	s_mov_b32 s42, exec_lo
	s_wait_loadcnt 0x0
	v_dual_mov_b32 v36, 0 :: v_dual_and_b32 v1, 0xff, v9
	s_delay_alu instid0(VALU_DEP_1)
	v_cmpx_ne_u16_e32 0, v1
	s_cbranch_execz .LBB263_90
; %bb.83:                               ;   in Loop: Header=BB263_13 Depth=1
	v_mov_b32_e32 v36, 0x8000
	s_mov_b32 s43, exec_lo
	v_cmpx_ne_u16_e32 0x80, v1
	s_cbranch_execz .LBB263_89
; %bb.84:                               ;   in Loop: Header=BB263_13 Depth=1
	v_and_b32_e32 v37, 0x7f, v9
	v_mov_b32_e32 v36, 0x7c01
	s_mov_b32 s44, exec_lo
	s_delay_alu instid0(VALU_DEP_2)
	v_cmpx_ne_u32_e32 0x7f, v37
	s_cbranch_execz .LBB263_88
; %bb.85:                               ;   in Loop: Header=BB263_13 Depth=1
	v_and_b32_e32 v1, 7, v9
	v_lshrrev_b32_e32 v36, 3, v37
	s_mov_b32 s45, exec_lo
	v_cmpx_gt_u32_e32 8, v37
; %bb.86:                               ;   in Loop: Header=BB263_13 Depth=1
	s_delay_alu instid0(VALU_DEP_3) | instskip(NEXT) | instid1(VALU_DEP_1)
	v_clz_i32_u32_e32 v1, v1
	v_min_u32_e32 v1, 32, v1
	s_delay_alu instid0(VALU_DEP_1) | instskip(NEXT) | instid1(VALU_DEP_1)
	v_subrev_nc_u32_e32 v36, 28, v1
	v_lshlrev_b64_e32 v[37:38], v36, v[9:10]
	v_sub_nc_u32_e32 v36, 29, v1
	s_delay_alu instid0(VALU_DEP_2)
	v_and_b32_e32 v1, 7, v37
; %bb.87:                               ;   in Loop: Header=BB263_13 Depth=1
	s_or_b32 exec_lo, exec_lo, s45
	v_lshlrev_b32_e32 v37, 8, v9
	s_delay_alu instid0(VALU_DEP_3) | instskip(NEXT) | instid1(VALU_DEP_3)
	v_lshl_add_u32 v36, v36, 10, 0x2000
	v_lshlrev_b32_e32 v1, 7, v1
	s_delay_alu instid0(VALU_DEP_3) | instskip(NEXT) | instid1(VALU_DEP_3)
	v_and_b32_e32 v37, 0x8000, v37
	v_and_b32_e32 v36, 0xfc00, v36
	s_delay_alu instid0(VALU_DEP_1)
	v_or3_b32 v36, v37, v36, v1
.LBB263_88:                             ;   in Loop: Header=BB263_13 Depth=1
	s_or_b32 exec_lo, exec_lo, s44
.LBB263_89:                             ;   in Loop: Header=BB263_13 Depth=1
	s_wait_alu 0xfffe
	s_or_b32 exec_lo, exec_lo, s43
.LBB263_90:                             ;   in Loop: Header=BB263_13 Depth=1
	s_wait_alu 0xfffe
	s_or_b32 exec_lo, exec_lo, s42
	v_lshrrev_b16 v1, 8, v9
	s_mov_b32 s42, exec_lo
	s_delay_alu instid0(VALU_DEP_1)
	v_cmpx_ne_u16_e32 0, v1
	s_cbranch_execz .LBB263_98
; %bb.91:                               ;   in Loop: Header=BB263_13 Depth=1
	v_bfrev_b32_e32 v35, 1
	s_mov_b32 s43, exec_lo
	v_cmpx_ne_u16_e32 0x80, v1
	s_cbranch_execz .LBB263_97
; %bb.92:                               ;   in Loop: Header=BB263_13 Depth=1
	v_and_b32_e32 v37, 0xffff, v1
	v_mov_b32_e32 v35, 0x7c010000
	s_mov_b32 s44, exec_lo
	s_delay_alu instid0(VALU_DEP_2) | instskip(NEXT) | instid1(VALU_DEP_1)
	v_and_b32_e32 v39, 0x7f, v37
	v_cmpx_ne_u32_e32 0x7f, v39
	s_cbranch_execz .LBB263_96
; %bb.93:                               ;   in Loop: Header=BB263_13 Depth=1
	v_and_b32_e32 v35, 7, v37
	v_lshrrev_b32_e32 v38, 3, v39
	s_mov_b32 s45, exec_lo
	v_cmpx_gt_u32_e32 8, v39
; %bb.94:                               ;   in Loop: Header=BB263_13 Depth=1
	s_delay_alu instid0(VALU_DEP_3) | instskip(NEXT) | instid1(VALU_DEP_1)
	v_clz_i32_u32_e32 v35, v35
	v_min_u32_e32 v35, 32, v35
	s_delay_alu instid0(VALU_DEP_1) | instskip(NEXT) | instid1(VALU_DEP_1)
	v_subrev_nc_u32_e32 v38, 28, v35
	v_lshlrev_b64_e32 v[39:40], v38, v[1:2]
	v_sub_nc_u32_e32 v38, 29, v35
	s_delay_alu instid0(VALU_DEP_2)
	v_and_b32_e32 v35, 7, v39
; %bb.95:                               ;   in Loop: Header=BB263_13 Depth=1
	s_or_b32 exec_lo, exec_lo, s45
	v_lshlrev_b32_e32 v1, 8, v37
	s_delay_alu instid0(VALU_DEP_3) | instskip(NEXT) | instid1(VALU_DEP_3)
	v_lshl_add_u32 v37, v38, 10, 0x2000
	v_lshlrev_b32_e32 v35, 23, v35
	s_delay_alu instid0(VALU_DEP_2) | instskip(NEXT) | instid1(VALU_DEP_1)
	v_and_or_b32 v1, 0x8000, v1, v37
	v_lshl_or_b32 v35, v1, 16, v35
.LBB263_96:                             ;   in Loop: Header=BB263_13 Depth=1
	s_or_b32 exec_lo, exec_lo, s44
.LBB263_97:                             ;   in Loop: Header=BB263_13 Depth=1
	s_wait_alu 0xfffe
	s_or_b32 exec_lo, exec_lo, s43
.LBB263_98:                             ;   in Loop: Header=BB263_13 Depth=1
	s_wait_alu 0xfffe
	s_or_b32 exec_lo, exec_lo, s42
	v_lshrrev_b32_e32 v1, 16, v9
	v_mov_b32_e32 v37, 0
	s_mov_b32 s42, exec_lo
	s_delay_alu instid0(VALU_DEP_2) | instskip(NEXT) | instid1(VALU_DEP_1)
	v_dual_mov_b32 v38, 0 :: v_dual_and_b32 v39, 0xff, v1
	v_cmpx_ne_u16_e32 0, v39
	s_cbranch_execz .LBB263_106
; %bb.99:                               ;   in Loop: Header=BB263_13 Depth=1
	v_mov_b32_e32 v38, 0x8000
	s_mov_b32 s43, exec_lo
	v_cmpx_ne_u16_e32 0x80, v39
	s_cbranch_execz .LBB263_105
; %bb.100:                              ;   in Loop: Header=BB263_13 Depth=1
	v_bfe_u32 v40, v9, 16, 7
	v_mov_b32_e32 v38, 0x7c01
	s_mov_b32 s44, exec_lo
	s_delay_alu instid0(VALU_DEP_2)
	v_cmpx_ne_u32_e32 0x7f, v40
	s_cbranch_execz .LBB263_104
; %bb.101:                              ;   in Loop: Header=BB263_13 Depth=1
	v_and_b32_e32 v38, 7, v1
	v_lshrrev_b32_e32 v39, 3, v40
	s_mov_b32 s45, exec_lo
	v_cmpx_gt_u32_e32 8, v40
; %bb.102:                              ;   in Loop: Header=BB263_13 Depth=1
	s_delay_alu instid0(VALU_DEP_3) | instskip(NEXT) | instid1(VALU_DEP_1)
	v_clz_i32_u32_e32 v38, v38
	v_min_u32_e32 v40, 32, v38
	s_delay_alu instid0(VALU_DEP_1) | instskip(NEXT) | instid1(VALU_DEP_1)
	v_subrev_nc_u32_e32 v38, 28, v40
	v_lshlrev_b64_e32 v[38:39], v38, v[1:2]
	v_sub_nc_u32_e32 v39, 29, v40
	s_delay_alu instid0(VALU_DEP_2)
	v_and_b32_e32 v38, 7, v38
; %bb.103:                              ;   in Loop: Header=BB263_13 Depth=1
	s_or_b32 exec_lo, exec_lo, s45
	v_lshlrev_b32_e32 v1, 8, v1
	s_delay_alu instid0(VALU_DEP_3) | instskip(NEXT) | instid1(VALU_DEP_3)
	v_lshl_add_u32 v39, v39, 10, 0x2000
	v_lshlrev_b32_e32 v38, 7, v38
	s_delay_alu instid0(VALU_DEP_3) | instskip(NEXT) | instid1(VALU_DEP_3)
	v_and_b32_e32 v1, 0x8000, v1
	v_and_b32_e32 v39, 0xfc00, v39
	s_delay_alu instid0(VALU_DEP_1)
	v_or3_b32 v38, v1, v39, v38
.LBB263_104:                            ;   in Loop: Header=BB263_13 Depth=1
	s_or_b32 exec_lo, exec_lo, s44
.LBB263_105:                            ;   in Loop: Header=BB263_13 Depth=1
	s_wait_alu 0xfffe
	s_or_b32 exec_lo, exec_lo, s43
.LBB263_106:                            ;   in Loop: Header=BB263_13 Depth=1
	s_wait_alu 0xfffe
	s_or_b32 exec_lo, exec_lo, s42
	s_delay_alu instid0(SALU_CYCLE_1)
	s_mov_b32 s42, exec_lo
	v_cmpx_lt_u32_e32 0xffffff, v9
	s_cbranch_execz .LBB263_114
; %bb.107:                              ;   in Loop: Header=BB263_13 Depth=1
	v_lshrrev_b32_e32 v1, 24, v9
	v_bfrev_b32_e32 v37, 1
	s_mov_b32 s43, exec_lo
	s_delay_alu instid0(VALU_DEP_2)
	v_cmpx_ne_u32_e32 0x80, v1
	s_cbranch_execz .LBB263_113
; %bb.108:                              ;   in Loop: Header=BB263_13 Depth=1
	v_and_b32_e32 v39, 0x7f, v1
	v_mov_b32_e32 v37, 0x7c010000
	s_mov_b32 s44, exec_lo
	s_delay_alu instid0(VALU_DEP_2)
	v_cmpx_ne_u32_e32 0x7f, v39
	s_cbranch_execz .LBB263_112
; %bb.109:                              ;   in Loop: Header=BB263_13 Depth=1
	v_and_b32_e32 v9, 7, v1
	v_lshrrev_b32_e32 v37, 3, v39
	s_mov_b32 s45, exec_lo
	v_cmpx_gt_u32_e32 8, v39
; %bb.110:                              ;   in Loop: Header=BB263_13 Depth=1
	s_delay_alu instid0(VALU_DEP_3) | instskip(NEXT) | instid1(VALU_DEP_1)
	v_clz_i32_u32_e32 v9, v9
	v_min_u32_e32 v9, 32, v9
	s_delay_alu instid0(VALU_DEP_1) | instskip(NEXT) | instid1(VALU_DEP_1)
	v_subrev_nc_u32_e32 v37, 28, v9
	v_lshlrev_b64_e32 v[39:40], v37, v[1:2]
	v_sub_nc_u32_e32 v37, 29, v9
	s_delay_alu instid0(VALU_DEP_2)
	v_and_b32_e32 v9, 7, v39
; %bb.111:                              ;   in Loop: Header=BB263_13 Depth=1
	s_or_b32 exec_lo, exec_lo, s45
	v_lshlrev_b32_e32 v1, 8, v1
	s_delay_alu instid0(VALU_DEP_3) | instskip(NEXT) | instid1(VALU_DEP_3)
	v_lshl_add_u32 v37, v37, 10, 0x2000
	v_lshlrev_b32_e32 v9, 23, v9
	s_delay_alu instid0(VALU_DEP_2) | instskip(NEXT) | instid1(VALU_DEP_1)
	v_and_or_b32 v1, 0x8000, v1, v37
	v_lshl_or_b32 v37, v1, 16, v9
.LBB263_112:                            ;   in Loop: Header=BB263_13 Depth=1
	s_or_b32 exec_lo, exec_lo, s44
.LBB263_113:                            ;   in Loop: Header=BB263_13 Depth=1
	s_wait_alu 0xfffe
	s_or_b32 exec_lo, exec_lo, s43
.LBB263_114:                            ;   in Loop: Header=BB263_13 Depth=1
	s_wait_alu 0xfffe
	s_or_b32 exec_lo, exec_lo, s42
	global_load_b32 v9, v[7:8], off offset:264
	v_mov_b32_e32 v39, 0
	s_mov_b32 s42, exec_lo
	s_wait_loadcnt 0x0
	v_dual_mov_b32 v40, 0 :: v_dual_and_b32 v1, 0xff, v9
	s_delay_alu instid0(VALU_DEP_1)
	v_cmpx_ne_u16_e32 0, v1
	s_cbranch_execz .LBB263_122
; %bb.115:                              ;   in Loop: Header=BB263_13 Depth=1
	v_mov_b32_e32 v40, 0x8000
	s_mov_b32 s43, exec_lo
	v_cmpx_ne_u16_e32 0x80, v1
	s_cbranch_execz .LBB263_121
; %bb.116:                              ;   in Loop: Header=BB263_13 Depth=1
	v_and_b32_e32 v41, 0x7f, v9
	v_mov_b32_e32 v40, 0x7c01
	s_mov_b32 s44, exec_lo
	s_delay_alu instid0(VALU_DEP_2)
	v_cmpx_ne_u32_e32 0x7f, v41
	s_cbranch_execz .LBB263_120
; %bb.117:                              ;   in Loop: Header=BB263_13 Depth=1
	v_and_b32_e32 v1, 7, v9
	v_lshrrev_b32_e32 v40, 3, v41
	s_mov_b32 s45, exec_lo
	v_cmpx_gt_u32_e32 8, v41
; %bb.118:                              ;   in Loop: Header=BB263_13 Depth=1
	s_delay_alu instid0(VALU_DEP_3) | instskip(NEXT) | instid1(VALU_DEP_1)
	v_clz_i32_u32_e32 v1, v1
	v_min_u32_e32 v1, 32, v1
	s_delay_alu instid0(VALU_DEP_1) | instskip(NEXT) | instid1(VALU_DEP_1)
	v_subrev_nc_u32_e32 v40, 28, v1
	v_lshlrev_b64_e32 v[41:42], v40, v[9:10]
	v_sub_nc_u32_e32 v40, 29, v1
	s_delay_alu instid0(VALU_DEP_2)
	v_and_b32_e32 v1, 7, v41
; %bb.119:                              ;   in Loop: Header=BB263_13 Depth=1
	s_or_b32 exec_lo, exec_lo, s45
	v_lshlrev_b32_e32 v41, 8, v9
	s_delay_alu instid0(VALU_DEP_3) | instskip(NEXT) | instid1(VALU_DEP_3)
	v_lshl_add_u32 v40, v40, 10, 0x2000
	v_lshlrev_b32_e32 v1, 7, v1
	s_delay_alu instid0(VALU_DEP_3) | instskip(NEXT) | instid1(VALU_DEP_3)
	v_and_b32_e32 v41, 0x8000, v41
	v_and_b32_e32 v40, 0xfc00, v40
	s_delay_alu instid0(VALU_DEP_1)
	v_or3_b32 v40, v41, v40, v1
.LBB263_120:                            ;   in Loop: Header=BB263_13 Depth=1
	s_or_b32 exec_lo, exec_lo, s44
.LBB263_121:                            ;   in Loop: Header=BB263_13 Depth=1
	s_wait_alu 0xfffe
	s_or_b32 exec_lo, exec_lo, s43
.LBB263_122:                            ;   in Loop: Header=BB263_13 Depth=1
	s_wait_alu 0xfffe
	s_or_b32 exec_lo, exec_lo, s42
	v_lshrrev_b16 v1, 8, v9
	s_mov_b32 s42, exec_lo
	s_delay_alu instid0(VALU_DEP_1)
	v_cmpx_ne_u16_e32 0, v1
	s_cbranch_execz .LBB263_130
; %bb.123:                              ;   in Loop: Header=BB263_13 Depth=1
	v_bfrev_b32_e32 v39, 1
	s_mov_b32 s43, exec_lo
	v_cmpx_ne_u16_e32 0x80, v1
	s_cbranch_execz .LBB263_129
; %bb.124:                              ;   in Loop: Header=BB263_13 Depth=1
	v_and_b32_e32 v41, 0xffff, v1
	v_mov_b32_e32 v39, 0x7c010000
	s_mov_b32 s44, exec_lo
	s_delay_alu instid0(VALU_DEP_2) | instskip(NEXT) | instid1(VALU_DEP_1)
	v_and_b32_e32 v43, 0x7f, v41
	v_cmpx_ne_u32_e32 0x7f, v43
	s_cbranch_execz .LBB263_128
; %bb.125:                              ;   in Loop: Header=BB263_13 Depth=1
	v_and_b32_e32 v39, 7, v41
	v_lshrrev_b32_e32 v42, 3, v43
	s_mov_b32 s45, exec_lo
	v_cmpx_gt_u32_e32 8, v43
; %bb.126:                              ;   in Loop: Header=BB263_13 Depth=1
	s_delay_alu instid0(VALU_DEP_3) | instskip(NEXT) | instid1(VALU_DEP_1)
	v_clz_i32_u32_e32 v39, v39
	v_min_u32_e32 v39, 32, v39
	s_delay_alu instid0(VALU_DEP_1) | instskip(NEXT) | instid1(VALU_DEP_1)
	v_subrev_nc_u32_e32 v42, 28, v39
	v_lshlrev_b64_e32 v[43:44], v42, v[1:2]
	v_sub_nc_u32_e32 v42, 29, v39
	s_delay_alu instid0(VALU_DEP_2)
	v_and_b32_e32 v39, 7, v43
; %bb.127:                              ;   in Loop: Header=BB263_13 Depth=1
	s_or_b32 exec_lo, exec_lo, s45
	v_lshlrev_b32_e32 v1, 8, v41
	s_delay_alu instid0(VALU_DEP_3) | instskip(NEXT) | instid1(VALU_DEP_3)
	v_lshl_add_u32 v41, v42, 10, 0x2000
	v_lshlrev_b32_e32 v39, 23, v39
	s_delay_alu instid0(VALU_DEP_2) | instskip(NEXT) | instid1(VALU_DEP_1)
	v_and_or_b32 v1, 0x8000, v1, v41
	v_lshl_or_b32 v39, v1, 16, v39
.LBB263_128:                            ;   in Loop: Header=BB263_13 Depth=1
	s_or_b32 exec_lo, exec_lo, s44
.LBB263_129:                            ;   in Loop: Header=BB263_13 Depth=1
	s_wait_alu 0xfffe
	s_or_b32 exec_lo, exec_lo, s43
.LBB263_130:                            ;   in Loop: Header=BB263_13 Depth=1
	s_wait_alu 0xfffe
	s_or_b32 exec_lo, exec_lo, s42
	v_lshrrev_b32_e32 v1, 16, v9
	v_mov_b32_e32 v41, 0
	s_mov_b32 s42, exec_lo
	s_delay_alu instid0(VALU_DEP_2) | instskip(NEXT) | instid1(VALU_DEP_1)
	v_dual_mov_b32 v42, 0 :: v_dual_and_b32 v43, 0xff, v1
	v_cmpx_ne_u16_e32 0, v43
	s_cbranch_execz .LBB263_138
; %bb.131:                              ;   in Loop: Header=BB263_13 Depth=1
	v_mov_b32_e32 v42, 0x8000
	s_mov_b32 s43, exec_lo
	v_cmpx_ne_u16_e32 0x80, v43
	s_cbranch_execz .LBB263_137
; %bb.132:                              ;   in Loop: Header=BB263_13 Depth=1
	v_bfe_u32 v44, v9, 16, 7
	v_mov_b32_e32 v42, 0x7c01
	s_mov_b32 s44, exec_lo
	s_delay_alu instid0(VALU_DEP_2)
	v_cmpx_ne_u32_e32 0x7f, v44
	s_cbranch_execz .LBB263_136
; %bb.133:                              ;   in Loop: Header=BB263_13 Depth=1
	v_and_b32_e32 v42, 7, v1
	v_lshrrev_b32_e32 v43, 3, v44
	s_mov_b32 s45, exec_lo
	v_cmpx_gt_u32_e32 8, v44
; %bb.134:                              ;   in Loop: Header=BB263_13 Depth=1
	s_delay_alu instid0(VALU_DEP_3) | instskip(NEXT) | instid1(VALU_DEP_1)
	v_clz_i32_u32_e32 v42, v42
	v_min_u32_e32 v44, 32, v42
	s_delay_alu instid0(VALU_DEP_1) | instskip(NEXT) | instid1(VALU_DEP_1)
	v_subrev_nc_u32_e32 v42, 28, v44
	v_lshlrev_b64_e32 v[42:43], v42, v[1:2]
	v_sub_nc_u32_e32 v43, 29, v44
	s_delay_alu instid0(VALU_DEP_2)
	v_and_b32_e32 v42, 7, v42
; %bb.135:                              ;   in Loop: Header=BB263_13 Depth=1
	s_or_b32 exec_lo, exec_lo, s45
	v_lshlrev_b32_e32 v1, 8, v1
	s_delay_alu instid0(VALU_DEP_3) | instskip(NEXT) | instid1(VALU_DEP_3)
	v_lshl_add_u32 v43, v43, 10, 0x2000
	v_lshlrev_b32_e32 v42, 7, v42
	s_delay_alu instid0(VALU_DEP_3) | instskip(NEXT) | instid1(VALU_DEP_3)
	v_and_b32_e32 v1, 0x8000, v1
	v_and_b32_e32 v43, 0xfc00, v43
	s_delay_alu instid0(VALU_DEP_1)
	v_or3_b32 v42, v1, v43, v42
.LBB263_136:                            ;   in Loop: Header=BB263_13 Depth=1
	s_or_b32 exec_lo, exec_lo, s44
.LBB263_137:                            ;   in Loop: Header=BB263_13 Depth=1
	s_wait_alu 0xfffe
	s_or_b32 exec_lo, exec_lo, s43
.LBB263_138:                            ;   in Loop: Header=BB263_13 Depth=1
	s_wait_alu 0xfffe
	s_or_b32 exec_lo, exec_lo, s42
	s_delay_alu instid0(SALU_CYCLE_1)
	s_mov_b32 s42, exec_lo
	v_cmpx_lt_u32_e32 0xffffff, v9
	s_cbranch_execz .LBB263_146
; %bb.139:                              ;   in Loop: Header=BB263_13 Depth=1
	v_lshrrev_b32_e32 v1, 24, v9
	v_bfrev_b32_e32 v41, 1
	s_mov_b32 s43, exec_lo
	s_delay_alu instid0(VALU_DEP_2)
	v_cmpx_ne_u32_e32 0x80, v1
	s_cbranch_execz .LBB263_145
; %bb.140:                              ;   in Loop: Header=BB263_13 Depth=1
	v_and_b32_e32 v43, 0x7f, v1
	v_mov_b32_e32 v41, 0x7c010000
	s_mov_b32 s44, exec_lo
	s_delay_alu instid0(VALU_DEP_2)
	v_cmpx_ne_u32_e32 0x7f, v43
	s_cbranch_execz .LBB263_144
; %bb.141:                              ;   in Loop: Header=BB263_13 Depth=1
	v_and_b32_e32 v9, 7, v1
	v_lshrrev_b32_e32 v41, 3, v43
	s_mov_b32 s45, exec_lo
	v_cmpx_gt_u32_e32 8, v43
; %bb.142:                              ;   in Loop: Header=BB263_13 Depth=1
	s_delay_alu instid0(VALU_DEP_3) | instskip(NEXT) | instid1(VALU_DEP_1)
	v_clz_i32_u32_e32 v9, v9
	v_min_u32_e32 v9, 32, v9
	s_delay_alu instid0(VALU_DEP_1) | instskip(NEXT) | instid1(VALU_DEP_1)
	v_subrev_nc_u32_e32 v41, 28, v9
	v_lshlrev_b64_e32 v[43:44], v41, v[1:2]
	v_sub_nc_u32_e32 v41, 29, v9
	s_delay_alu instid0(VALU_DEP_2)
	v_and_b32_e32 v9, 7, v43
; %bb.143:                              ;   in Loop: Header=BB263_13 Depth=1
	s_or_b32 exec_lo, exec_lo, s45
	v_lshlrev_b32_e32 v1, 8, v1
	s_delay_alu instid0(VALU_DEP_3) | instskip(NEXT) | instid1(VALU_DEP_3)
	v_lshl_add_u32 v41, v41, 10, 0x2000
	v_lshlrev_b32_e32 v9, 23, v9
	s_delay_alu instid0(VALU_DEP_2) | instskip(NEXT) | instid1(VALU_DEP_1)
	v_and_or_b32 v1, 0x8000, v1, v41
	v_lshl_or_b32 v41, v1, 16, v9
.LBB263_144:                            ;   in Loop: Header=BB263_13 Depth=1
	s_or_b32 exec_lo, exec_lo, s44
.LBB263_145:                            ;   in Loop: Header=BB263_13 Depth=1
	s_wait_alu 0xfffe
	s_or_b32 exec_lo, exec_lo, s43
.LBB263_146:                            ;   in Loop: Header=BB263_13 Depth=1
	s_wait_alu 0xfffe
	s_or_b32 exec_lo, exec_lo, s42
	global_load_b32 v9, v[7:8], off offset:512
	v_mov_b32_e32 v43, 0
	s_mov_b32 s42, exec_lo
	s_wait_loadcnt 0x0
	v_dual_mov_b32 v44, 0 :: v_dual_and_b32 v1, 0xff, v9
	s_delay_alu instid0(VALU_DEP_1)
	v_cmpx_ne_u16_e32 0, v1
	s_cbranch_execz .LBB263_154
; %bb.147:                              ;   in Loop: Header=BB263_13 Depth=1
	v_mov_b32_e32 v44, 0x8000
	s_mov_b32 s43, exec_lo
	v_cmpx_ne_u16_e32 0x80, v1
	s_cbranch_execz .LBB263_153
; %bb.148:                              ;   in Loop: Header=BB263_13 Depth=1
	v_and_b32_e32 v45, 0x7f, v9
	v_mov_b32_e32 v44, 0x7c01
	s_mov_b32 s44, exec_lo
	s_delay_alu instid0(VALU_DEP_2)
	v_cmpx_ne_u32_e32 0x7f, v45
	s_cbranch_execz .LBB263_152
; %bb.149:                              ;   in Loop: Header=BB263_13 Depth=1
	v_and_b32_e32 v1, 7, v9
	v_lshrrev_b32_e32 v44, 3, v45
	s_mov_b32 s45, exec_lo
	v_cmpx_gt_u32_e32 8, v45
; %bb.150:                              ;   in Loop: Header=BB263_13 Depth=1
	s_delay_alu instid0(VALU_DEP_3) | instskip(NEXT) | instid1(VALU_DEP_1)
	v_clz_i32_u32_e32 v1, v1
	v_min_u32_e32 v1, 32, v1
	s_delay_alu instid0(VALU_DEP_1) | instskip(NEXT) | instid1(VALU_DEP_1)
	v_subrev_nc_u32_e32 v44, 28, v1
	v_lshlrev_b64_e32 v[45:46], v44, v[9:10]
	v_sub_nc_u32_e32 v44, 29, v1
	s_delay_alu instid0(VALU_DEP_2)
	v_and_b32_e32 v1, 7, v45
; %bb.151:                              ;   in Loop: Header=BB263_13 Depth=1
	s_or_b32 exec_lo, exec_lo, s45
	v_lshlrev_b32_e32 v45, 8, v9
	s_delay_alu instid0(VALU_DEP_3) | instskip(NEXT) | instid1(VALU_DEP_3)
	v_lshl_add_u32 v44, v44, 10, 0x2000
	v_lshlrev_b32_e32 v1, 7, v1
	s_delay_alu instid0(VALU_DEP_3) | instskip(NEXT) | instid1(VALU_DEP_3)
	v_and_b32_e32 v45, 0x8000, v45
	v_and_b32_e32 v44, 0xfc00, v44
	s_delay_alu instid0(VALU_DEP_1)
	v_or3_b32 v44, v45, v44, v1
.LBB263_152:                            ;   in Loop: Header=BB263_13 Depth=1
	s_or_b32 exec_lo, exec_lo, s44
.LBB263_153:                            ;   in Loop: Header=BB263_13 Depth=1
	s_wait_alu 0xfffe
	s_or_b32 exec_lo, exec_lo, s43
.LBB263_154:                            ;   in Loop: Header=BB263_13 Depth=1
	s_wait_alu 0xfffe
	s_or_b32 exec_lo, exec_lo, s42
	v_lshrrev_b16 v1, 8, v9
	s_mov_b32 s42, exec_lo
	s_delay_alu instid0(VALU_DEP_1)
	v_cmpx_ne_u16_e32 0, v1
	s_cbranch_execz .LBB263_162
; %bb.155:                              ;   in Loop: Header=BB263_13 Depth=1
	v_bfrev_b32_e32 v43, 1
	s_mov_b32 s43, exec_lo
	v_cmpx_ne_u16_e32 0x80, v1
	s_cbranch_execz .LBB263_161
; %bb.156:                              ;   in Loop: Header=BB263_13 Depth=1
	v_and_b32_e32 v45, 0xffff, v1
	v_mov_b32_e32 v43, 0x7c010000
	s_mov_b32 s44, exec_lo
	s_delay_alu instid0(VALU_DEP_2) | instskip(NEXT) | instid1(VALU_DEP_1)
	v_and_b32_e32 v47, 0x7f, v45
	v_cmpx_ne_u32_e32 0x7f, v47
	s_cbranch_execz .LBB263_160
; %bb.157:                              ;   in Loop: Header=BB263_13 Depth=1
	v_and_b32_e32 v43, 7, v45
	v_lshrrev_b32_e32 v46, 3, v47
	s_mov_b32 s45, exec_lo
	v_cmpx_gt_u32_e32 8, v47
; %bb.158:                              ;   in Loop: Header=BB263_13 Depth=1
	s_delay_alu instid0(VALU_DEP_3) | instskip(NEXT) | instid1(VALU_DEP_1)
	v_clz_i32_u32_e32 v43, v43
	v_min_u32_e32 v43, 32, v43
	s_delay_alu instid0(VALU_DEP_1) | instskip(NEXT) | instid1(VALU_DEP_1)
	v_subrev_nc_u32_e32 v46, 28, v43
	v_lshlrev_b64_e32 v[47:48], v46, v[1:2]
	v_sub_nc_u32_e32 v46, 29, v43
	s_delay_alu instid0(VALU_DEP_2)
	v_and_b32_e32 v43, 7, v47
; %bb.159:                              ;   in Loop: Header=BB263_13 Depth=1
	s_or_b32 exec_lo, exec_lo, s45
	v_lshlrev_b32_e32 v1, 8, v45
	s_delay_alu instid0(VALU_DEP_3) | instskip(NEXT) | instid1(VALU_DEP_3)
	v_lshl_add_u32 v45, v46, 10, 0x2000
	v_lshlrev_b32_e32 v43, 23, v43
	s_delay_alu instid0(VALU_DEP_2) | instskip(NEXT) | instid1(VALU_DEP_1)
	v_and_or_b32 v1, 0x8000, v1, v45
	v_lshl_or_b32 v43, v1, 16, v43
.LBB263_160:                            ;   in Loop: Header=BB263_13 Depth=1
	s_or_b32 exec_lo, exec_lo, s44
.LBB263_161:                            ;   in Loop: Header=BB263_13 Depth=1
	s_wait_alu 0xfffe
	s_or_b32 exec_lo, exec_lo, s43
.LBB263_162:                            ;   in Loop: Header=BB263_13 Depth=1
	s_wait_alu 0xfffe
	s_or_b32 exec_lo, exec_lo, s42
	v_lshrrev_b32_e32 v1, 16, v9
	v_mov_b32_e32 v45, 0
	s_mov_b32 s42, exec_lo
	s_delay_alu instid0(VALU_DEP_2) | instskip(NEXT) | instid1(VALU_DEP_1)
	v_dual_mov_b32 v46, 0 :: v_dual_and_b32 v47, 0xff, v1
	v_cmpx_ne_u16_e32 0, v47
	s_cbranch_execz .LBB263_170
; %bb.163:                              ;   in Loop: Header=BB263_13 Depth=1
	v_mov_b32_e32 v46, 0x8000
	s_mov_b32 s43, exec_lo
	v_cmpx_ne_u16_e32 0x80, v47
	s_cbranch_execz .LBB263_169
; %bb.164:                              ;   in Loop: Header=BB263_13 Depth=1
	v_bfe_u32 v48, v9, 16, 7
	v_mov_b32_e32 v46, 0x7c01
	s_mov_b32 s44, exec_lo
	s_delay_alu instid0(VALU_DEP_2)
	v_cmpx_ne_u32_e32 0x7f, v48
	s_cbranch_execz .LBB263_168
; %bb.165:                              ;   in Loop: Header=BB263_13 Depth=1
	v_and_b32_e32 v46, 7, v1
	v_lshrrev_b32_e32 v47, 3, v48
	s_mov_b32 s45, exec_lo
	v_cmpx_gt_u32_e32 8, v48
; %bb.166:                              ;   in Loop: Header=BB263_13 Depth=1
	s_delay_alu instid0(VALU_DEP_3) | instskip(NEXT) | instid1(VALU_DEP_1)
	v_clz_i32_u32_e32 v46, v46
	v_min_u32_e32 v48, 32, v46
	s_delay_alu instid0(VALU_DEP_1) | instskip(NEXT) | instid1(VALU_DEP_1)
	v_subrev_nc_u32_e32 v46, 28, v48
	v_lshlrev_b64_e32 v[46:47], v46, v[1:2]
	v_sub_nc_u32_e32 v47, 29, v48
	s_delay_alu instid0(VALU_DEP_2)
	v_and_b32_e32 v46, 7, v46
; %bb.167:                              ;   in Loop: Header=BB263_13 Depth=1
	s_or_b32 exec_lo, exec_lo, s45
	v_lshlrev_b32_e32 v1, 8, v1
	s_delay_alu instid0(VALU_DEP_3) | instskip(NEXT) | instid1(VALU_DEP_3)
	v_lshl_add_u32 v47, v47, 10, 0x2000
	v_lshlrev_b32_e32 v46, 7, v46
	s_delay_alu instid0(VALU_DEP_3) | instskip(NEXT) | instid1(VALU_DEP_3)
	v_and_b32_e32 v1, 0x8000, v1
	v_and_b32_e32 v47, 0xfc00, v47
	s_delay_alu instid0(VALU_DEP_1)
	v_or3_b32 v46, v1, v47, v46
.LBB263_168:                            ;   in Loop: Header=BB263_13 Depth=1
	s_or_b32 exec_lo, exec_lo, s44
.LBB263_169:                            ;   in Loop: Header=BB263_13 Depth=1
	s_wait_alu 0xfffe
	s_or_b32 exec_lo, exec_lo, s43
.LBB263_170:                            ;   in Loop: Header=BB263_13 Depth=1
	s_wait_alu 0xfffe
	s_or_b32 exec_lo, exec_lo, s42
	s_delay_alu instid0(SALU_CYCLE_1)
	s_mov_b32 s42, exec_lo
	v_cmpx_lt_u32_e32 0xffffff, v9
	s_cbranch_execz .LBB263_178
; %bb.171:                              ;   in Loop: Header=BB263_13 Depth=1
	v_lshrrev_b32_e32 v1, 24, v9
	v_bfrev_b32_e32 v45, 1
	s_mov_b32 s43, exec_lo
	s_delay_alu instid0(VALU_DEP_2)
	v_cmpx_ne_u32_e32 0x80, v1
	s_cbranch_execz .LBB263_177
; %bb.172:                              ;   in Loop: Header=BB263_13 Depth=1
	v_and_b32_e32 v47, 0x7f, v1
	v_mov_b32_e32 v45, 0x7c010000
	s_mov_b32 s44, exec_lo
	s_delay_alu instid0(VALU_DEP_2)
	v_cmpx_ne_u32_e32 0x7f, v47
	s_cbranch_execz .LBB263_176
; %bb.173:                              ;   in Loop: Header=BB263_13 Depth=1
	v_and_b32_e32 v9, 7, v1
	v_lshrrev_b32_e32 v45, 3, v47
	s_mov_b32 s45, exec_lo
	v_cmpx_gt_u32_e32 8, v47
; %bb.174:                              ;   in Loop: Header=BB263_13 Depth=1
	s_delay_alu instid0(VALU_DEP_3) | instskip(NEXT) | instid1(VALU_DEP_1)
	v_clz_i32_u32_e32 v9, v9
	v_min_u32_e32 v9, 32, v9
	s_delay_alu instid0(VALU_DEP_1) | instskip(NEXT) | instid1(VALU_DEP_1)
	v_subrev_nc_u32_e32 v45, 28, v9
	v_lshlrev_b64_e32 v[47:48], v45, v[1:2]
	v_sub_nc_u32_e32 v45, 29, v9
	s_delay_alu instid0(VALU_DEP_2)
	v_and_b32_e32 v9, 7, v47
; %bb.175:                              ;   in Loop: Header=BB263_13 Depth=1
	s_or_b32 exec_lo, exec_lo, s45
	v_lshlrev_b32_e32 v1, 8, v1
	s_delay_alu instid0(VALU_DEP_3) | instskip(NEXT) | instid1(VALU_DEP_3)
	v_lshl_add_u32 v45, v45, 10, 0x2000
	v_lshlrev_b32_e32 v9, 23, v9
	s_delay_alu instid0(VALU_DEP_2) | instskip(NEXT) | instid1(VALU_DEP_1)
	v_and_or_b32 v1, 0x8000, v1, v45
	v_lshl_or_b32 v45, v1, 16, v9
.LBB263_176:                            ;   in Loop: Header=BB263_13 Depth=1
	s_or_b32 exec_lo, exec_lo, s44
.LBB263_177:                            ;   in Loop: Header=BB263_13 Depth=1
	s_wait_alu 0xfffe
	s_or_b32 exec_lo, exec_lo, s43
.LBB263_178:                            ;   in Loop: Header=BB263_13 Depth=1
	s_wait_alu 0xfffe
	s_or_b32 exec_lo, exec_lo, s42
	global_load_b32 v9, v[7:8], off offset:520
	v_mov_b32_e32 v47, 0
	s_mov_b32 s42, exec_lo
	s_wait_loadcnt 0x0
	v_dual_mov_b32 v48, 0 :: v_dual_and_b32 v1, 0xff, v9
	s_delay_alu instid0(VALU_DEP_1)
	v_cmpx_ne_u16_e32 0, v1
	s_cbranch_execz .LBB263_186
; %bb.179:                              ;   in Loop: Header=BB263_13 Depth=1
	v_mov_b32_e32 v48, 0x8000
	s_mov_b32 s43, exec_lo
	v_cmpx_ne_u16_e32 0x80, v1
	s_cbranch_execz .LBB263_185
; %bb.180:                              ;   in Loop: Header=BB263_13 Depth=1
	v_and_b32_e32 v49, 0x7f, v9
	v_mov_b32_e32 v48, 0x7c01
	s_mov_b32 s44, exec_lo
	s_delay_alu instid0(VALU_DEP_2)
	v_cmpx_ne_u32_e32 0x7f, v49
	s_cbranch_execz .LBB263_184
; %bb.181:                              ;   in Loop: Header=BB263_13 Depth=1
	v_and_b32_e32 v1, 7, v9
	v_lshrrev_b32_e32 v48, 3, v49
	s_mov_b32 s45, exec_lo
	v_cmpx_gt_u32_e32 8, v49
; %bb.182:                              ;   in Loop: Header=BB263_13 Depth=1
	s_delay_alu instid0(VALU_DEP_3) | instskip(NEXT) | instid1(VALU_DEP_1)
	v_clz_i32_u32_e32 v1, v1
	v_min_u32_e32 v1, 32, v1
	s_delay_alu instid0(VALU_DEP_1) | instskip(NEXT) | instid1(VALU_DEP_1)
	v_subrev_nc_u32_e32 v48, 28, v1
	v_lshlrev_b64_e32 v[49:50], v48, v[9:10]
	v_sub_nc_u32_e32 v48, 29, v1
	s_delay_alu instid0(VALU_DEP_2)
	v_and_b32_e32 v1, 7, v49
; %bb.183:                              ;   in Loop: Header=BB263_13 Depth=1
	s_or_b32 exec_lo, exec_lo, s45
	v_lshlrev_b32_e32 v49, 8, v9
	s_delay_alu instid0(VALU_DEP_3) | instskip(NEXT) | instid1(VALU_DEP_3)
	v_lshl_add_u32 v48, v48, 10, 0x2000
	v_lshlrev_b32_e32 v1, 7, v1
	s_delay_alu instid0(VALU_DEP_3) | instskip(NEXT) | instid1(VALU_DEP_3)
	v_and_b32_e32 v49, 0x8000, v49
	v_and_b32_e32 v48, 0xfc00, v48
	s_delay_alu instid0(VALU_DEP_1)
	v_or3_b32 v48, v49, v48, v1
.LBB263_184:                            ;   in Loop: Header=BB263_13 Depth=1
	s_or_b32 exec_lo, exec_lo, s44
.LBB263_185:                            ;   in Loop: Header=BB263_13 Depth=1
	s_wait_alu 0xfffe
	s_or_b32 exec_lo, exec_lo, s43
.LBB263_186:                            ;   in Loop: Header=BB263_13 Depth=1
	s_wait_alu 0xfffe
	s_or_b32 exec_lo, exec_lo, s42
	v_lshrrev_b16 v1, 8, v9
	s_mov_b32 s42, exec_lo
	s_delay_alu instid0(VALU_DEP_1)
	v_cmpx_ne_u16_e32 0, v1
	s_cbranch_execz .LBB263_194
; %bb.187:                              ;   in Loop: Header=BB263_13 Depth=1
	v_bfrev_b32_e32 v47, 1
	s_mov_b32 s43, exec_lo
	v_cmpx_ne_u16_e32 0x80, v1
	s_cbranch_execz .LBB263_193
; %bb.188:                              ;   in Loop: Header=BB263_13 Depth=1
	v_and_b32_e32 v49, 0xffff, v1
	v_mov_b32_e32 v47, 0x7c010000
	s_mov_b32 s44, exec_lo
	s_delay_alu instid0(VALU_DEP_2) | instskip(NEXT) | instid1(VALU_DEP_1)
	v_and_b32_e32 v51, 0x7f, v49
	v_cmpx_ne_u32_e32 0x7f, v51
	s_cbranch_execz .LBB263_192
; %bb.189:                              ;   in Loop: Header=BB263_13 Depth=1
	v_and_b32_e32 v47, 7, v49
	v_lshrrev_b32_e32 v50, 3, v51
	s_mov_b32 s45, exec_lo
	v_cmpx_gt_u32_e32 8, v51
; %bb.190:                              ;   in Loop: Header=BB263_13 Depth=1
	s_delay_alu instid0(VALU_DEP_3) | instskip(NEXT) | instid1(VALU_DEP_1)
	v_clz_i32_u32_e32 v47, v47
	v_min_u32_e32 v47, 32, v47
	s_delay_alu instid0(VALU_DEP_1) | instskip(NEXT) | instid1(VALU_DEP_1)
	v_subrev_nc_u32_e32 v50, 28, v47
	v_lshlrev_b64_e32 v[51:52], v50, v[1:2]
	v_sub_nc_u32_e32 v50, 29, v47
	s_delay_alu instid0(VALU_DEP_2)
	v_and_b32_e32 v47, 7, v51
; %bb.191:                              ;   in Loop: Header=BB263_13 Depth=1
	s_or_b32 exec_lo, exec_lo, s45
	v_lshlrev_b32_e32 v1, 8, v49
	s_delay_alu instid0(VALU_DEP_3) | instskip(NEXT) | instid1(VALU_DEP_3)
	v_lshl_add_u32 v49, v50, 10, 0x2000
	v_lshlrev_b32_e32 v47, 23, v47
	s_delay_alu instid0(VALU_DEP_2) | instskip(NEXT) | instid1(VALU_DEP_1)
	v_and_or_b32 v1, 0x8000, v1, v49
	v_lshl_or_b32 v47, v1, 16, v47
.LBB263_192:                            ;   in Loop: Header=BB263_13 Depth=1
	s_or_b32 exec_lo, exec_lo, s44
.LBB263_193:                            ;   in Loop: Header=BB263_13 Depth=1
	s_wait_alu 0xfffe
	s_or_b32 exec_lo, exec_lo, s43
.LBB263_194:                            ;   in Loop: Header=BB263_13 Depth=1
	s_wait_alu 0xfffe
	s_or_b32 exec_lo, exec_lo, s42
	v_lshrrev_b32_e32 v1, 16, v9
	v_mov_b32_e32 v49, 0
	s_mov_b32 s42, exec_lo
	s_delay_alu instid0(VALU_DEP_2) | instskip(NEXT) | instid1(VALU_DEP_1)
	v_dual_mov_b32 v50, 0 :: v_dual_and_b32 v51, 0xff, v1
	v_cmpx_ne_u16_e32 0, v51
	s_cbranch_execz .LBB263_202
; %bb.195:                              ;   in Loop: Header=BB263_13 Depth=1
	v_mov_b32_e32 v50, 0x8000
	s_mov_b32 s43, exec_lo
	v_cmpx_ne_u16_e32 0x80, v51
	s_cbranch_execz .LBB263_201
; %bb.196:                              ;   in Loop: Header=BB263_13 Depth=1
	v_bfe_u32 v52, v9, 16, 7
	v_mov_b32_e32 v50, 0x7c01
	s_mov_b32 s44, exec_lo
	s_delay_alu instid0(VALU_DEP_2)
	v_cmpx_ne_u32_e32 0x7f, v52
	s_cbranch_execz .LBB263_200
; %bb.197:                              ;   in Loop: Header=BB263_13 Depth=1
	v_and_b32_e32 v50, 7, v1
	v_lshrrev_b32_e32 v51, 3, v52
	s_mov_b32 s45, exec_lo
	v_cmpx_gt_u32_e32 8, v52
; %bb.198:                              ;   in Loop: Header=BB263_13 Depth=1
	s_delay_alu instid0(VALU_DEP_3) | instskip(NEXT) | instid1(VALU_DEP_1)
	v_clz_i32_u32_e32 v50, v50
	v_min_u32_e32 v52, 32, v50
	s_delay_alu instid0(VALU_DEP_1) | instskip(NEXT) | instid1(VALU_DEP_1)
	v_subrev_nc_u32_e32 v50, 28, v52
	v_lshlrev_b64_e32 v[50:51], v50, v[1:2]
	v_sub_nc_u32_e32 v51, 29, v52
	s_delay_alu instid0(VALU_DEP_2)
	v_and_b32_e32 v50, 7, v50
; %bb.199:                              ;   in Loop: Header=BB263_13 Depth=1
	s_or_b32 exec_lo, exec_lo, s45
	v_lshlrev_b32_e32 v1, 8, v1
	s_delay_alu instid0(VALU_DEP_3) | instskip(NEXT) | instid1(VALU_DEP_3)
	v_lshl_add_u32 v51, v51, 10, 0x2000
	v_lshlrev_b32_e32 v50, 7, v50
	s_delay_alu instid0(VALU_DEP_3) | instskip(NEXT) | instid1(VALU_DEP_3)
	v_and_b32_e32 v1, 0x8000, v1
	v_and_b32_e32 v51, 0xfc00, v51
	s_delay_alu instid0(VALU_DEP_1)
	v_or3_b32 v50, v1, v51, v50
.LBB263_200:                            ;   in Loop: Header=BB263_13 Depth=1
	s_or_b32 exec_lo, exec_lo, s44
.LBB263_201:                            ;   in Loop: Header=BB263_13 Depth=1
	s_wait_alu 0xfffe
	s_or_b32 exec_lo, exec_lo, s43
.LBB263_202:                            ;   in Loop: Header=BB263_13 Depth=1
	s_wait_alu 0xfffe
	s_or_b32 exec_lo, exec_lo, s42
	s_delay_alu instid0(SALU_CYCLE_1)
	s_mov_b32 s42, exec_lo
	v_cmpx_lt_u32_e32 0xffffff, v9
	s_cbranch_execz .LBB263_210
; %bb.203:                              ;   in Loop: Header=BB263_13 Depth=1
	v_lshrrev_b32_e32 v1, 24, v9
	v_bfrev_b32_e32 v49, 1
	s_mov_b32 s43, exec_lo
	s_delay_alu instid0(VALU_DEP_2)
	v_cmpx_ne_u32_e32 0x80, v1
	s_cbranch_execz .LBB263_209
; %bb.204:                              ;   in Loop: Header=BB263_13 Depth=1
	v_and_b32_e32 v51, 0x7f, v1
	v_mov_b32_e32 v49, 0x7c010000
	s_mov_b32 s44, exec_lo
	s_delay_alu instid0(VALU_DEP_2)
	v_cmpx_ne_u32_e32 0x7f, v51
	s_cbranch_execz .LBB263_208
; %bb.205:                              ;   in Loop: Header=BB263_13 Depth=1
	v_and_b32_e32 v9, 7, v1
	v_lshrrev_b32_e32 v49, 3, v51
	s_mov_b32 s45, exec_lo
	v_cmpx_gt_u32_e32 8, v51
; %bb.206:                              ;   in Loop: Header=BB263_13 Depth=1
	s_delay_alu instid0(VALU_DEP_3) | instskip(NEXT) | instid1(VALU_DEP_1)
	v_clz_i32_u32_e32 v9, v9
	v_min_u32_e32 v9, 32, v9
	s_delay_alu instid0(VALU_DEP_1) | instskip(NEXT) | instid1(VALU_DEP_1)
	v_subrev_nc_u32_e32 v49, 28, v9
	v_lshlrev_b64_e32 v[51:52], v49, v[1:2]
	v_sub_nc_u32_e32 v49, 29, v9
	s_delay_alu instid0(VALU_DEP_2)
	v_and_b32_e32 v9, 7, v51
; %bb.207:                              ;   in Loop: Header=BB263_13 Depth=1
	s_or_b32 exec_lo, exec_lo, s45
	v_lshlrev_b32_e32 v1, 8, v1
	s_delay_alu instid0(VALU_DEP_3) | instskip(NEXT) | instid1(VALU_DEP_3)
	v_lshl_add_u32 v49, v49, 10, 0x2000
	v_lshlrev_b32_e32 v9, 23, v9
	s_delay_alu instid0(VALU_DEP_2) | instskip(NEXT) | instid1(VALU_DEP_1)
	v_and_or_b32 v1, 0x8000, v1, v49
	v_lshl_or_b32 v49, v1, 16, v9
.LBB263_208:                            ;   in Loop: Header=BB263_13 Depth=1
	s_or_b32 exec_lo, exec_lo, s44
.LBB263_209:                            ;   in Loop: Header=BB263_13 Depth=1
	s_wait_alu 0xfffe
	s_or_b32 exec_lo, exec_lo, s43
.LBB263_210:                            ;   in Loop: Header=BB263_13 Depth=1
	s_wait_alu 0xfffe
	s_or_b32 exec_lo, exec_lo, s42
	global_load_b32 v9, v[7:8], off offset:768
	v_mov_b32_e32 v51, 0
	s_mov_b32 s42, exec_lo
	s_wait_loadcnt 0x0
	v_dual_mov_b32 v52, 0 :: v_dual_and_b32 v1, 0xff, v9
	s_delay_alu instid0(VALU_DEP_1)
	v_cmpx_ne_u16_e32 0, v1
	s_cbranch_execz .LBB263_218
; %bb.211:                              ;   in Loop: Header=BB263_13 Depth=1
	v_mov_b32_e32 v52, 0x8000
	s_mov_b32 s43, exec_lo
	v_cmpx_ne_u16_e32 0x80, v1
	s_cbranch_execz .LBB263_217
; %bb.212:                              ;   in Loop: Header=BB263_13 Depth=1
	v_and_b32_e32 v53, 0x7f, v9
	v_mov_b32_e32 v52, 0x7c01
	s_mov_b32 s44, exec_lo
	s_delay_alu instid0(VALU_DEP_2)
	v_cmpx_ne_u32_e32 0x7f, v53
	s_cbranch_execz .LBB263_216
; %bb.213:                              ;   in Loop: Header=BB263_13 Depth=1
	v_and_b32_e32 v1, 7, v9
	v_lshrrev_b32_e32 v52, 3, v53
	s_mov_b32 s45, exec_lo
	v_cmpx_gt_u32_e32 8, v53
; %bb.214:                              ;   in Loop: Header=BB263_13 Depth=1
	s_delay_alu instid0(VALU_DEP_3) | instskip(NEXT) | instid1(VALU_DEP_1)
	v_clz_i32_u32_e32 v1, v1
	v_min_u32_e32 v1, 32, v1
	s_delay_alu instid0(VALU_DEP_1) | instskip(NEXT) | instid1(VALU_DEP_1)
	v_subrev_nc_u32_e32 v52, 28, v1
	v_lshlrev_b64_e32 v[53:54], v52, v[9:10]
	v_sub_nc_u32_e32 v52, 29, v1
	s_delay_alu instid0(VALU_DEP_2)
	v_and_b32_e32 v1, 7, v53
; %bb.215:                              ;   in Loop: Header=BB263_13 Depth=1
	s_or_b32 exec_lo, exec_lo, s45
	v_lshlrev_b32_e32 v53, 8, v9
	s_delay_alu instid0(VALU_DEP_3) | instskip(NEXT) | instid1(VALU_DEP_3)
	v_lshl_add_u32 v52, v52, 10, 0x2000
	v_lshlrev_b32_e32 v1, 7, v1
	s_delay_alu instid0(VALU_DEP_3) | instskip(NEXT) | instid1(VALU_DEP_3)
	v_and_b32_e32 v53, 0x8000, v53
	v_and_b32_e32 v52, 0xfc00, v52
	s_delay_alu instid0(VALU_DEP_1)
	v_or3_b32 v52, v53, v52, v1
.LBB263_216:                            ;   in Loop: Header=BB263_13 Depth=1
	s_or_b32 exec_lo, exec_lo, s44
.LBB263_217:                            ;   in Loop: Header=BB263_13 Depth=1
	s_wait_alu 0xfffe
	s_or_b32 exec_lo, exec_lo, s43
.LBB263_218:                            ;   in Loop: Header=BB263_13 Depth=1
	s_wait_alu 0xfffe
	s_or_b32 exec_lo, exec_lo, s42
	v_lshrrev_b16 v1, 8, v9
	s_mov_b32 s42, exec_lo
	s_delay_alu instid0(VALU_DEP_1)
	v_cmpx_ne_u16_e32 0, v1
	s_cbranch_execz .LBB263_226
; %bb.219:                              ;   in Loop: Header=BB263_13 Depth=1
	v_bfrev_b32_e32 v51, 1
	s_mov_b32 s43, exec_lo
	v_cmpx_ne_u16_e32 0x80, v1
	s_cbranch_execz .LBB263_225
; %bb.220:                              ;   in Loop: Header=BB263_13 Depth=1
	v_and_b32_e32 v53, 0xffff, v1
	v_mov_b32_e32 v51, 0x7c010000
	s_mov_b32 s44, exec_lo
	s_delay_alu instid0(VALU_DEP_2) | instskip(NEXT) | instid1(VALU_DEP_1)
	v_and_b32_e32 v55, 0x7f, v53
	v_cmpx_ne_u32_e32 0x7f, v55
	s_cbranch_execz .LBB263_224
; %bb.221:                              ;   in Loop: Header=BB263_13 Depth=1
	v_and_b32_e32 v51, 7, v53
	v_lshrrev_b32_e32 v54, 3, v55
	s_mov_b32 s45, exec_lo
	v_cmpx_gt_u32_e32 8, v55
; %bb.222:                              ;   in Loop: Header=BB263_13 Depth=1
	s_delay_alu instid0(VALU_DEP_3) | instskip(NEXT) | instid1(VALU_DEP_1)
	v_clz_i32_u32_e32 v51, v51
	v_min_u32_e32 v51, 32, v51
	s_delay_alu instid0(VALU_DEP_1) | instskip(NEXT) | instid1(VALU_DEP_1)
	v_subrev_nc_u32_e32 v54, 28, v51
	v_lshlrev_b64_e32 v[55:56], v54, v[1:2]
	v_sub_nc_u32_e32 v54, 29, v51
	s_delay_alu instid0(VALU_DEP_2)
	v_and_b32_e32 v51, 7, v55
; %bb.223:                              ;   in Loop: Header=BB263_13 Depth=1
	s_or_b32 exec_lo, exec_lo, s45
	v_lshlrev_b32_e32 v1, 8, v53
	s_delay_alu instid0(VALU_DEP_3) | instskip(NEXT) | instid1(VALU_DEP_3)
	v_lshl_add_u32 v53, v54, 10, 0x2000
	v_lshlrev_b32_e32 v51, 23, v51
	s_delay_alu instid0(VALU_DEP_2) | instskip(NEXT) | instid1(VALU_DEP_1)
	v_and_or_b32 v1, 0x8000, v1, v53
	v_lshl_or_b32 v51, v1, 16, v51
.LBB263_224:                            ;   in Loop: Header=BB263_13 Depth=1
	s_or_b32 exec_lo, exec_lo, s44
.LBB263_225:                            ;   in Loop: Header=BB263_13 Depth=1
	s_wait_alu 0xfffe
	s_or_b32 exec_lo, exec_lo, s43
.LBB263_226:                            ;   in Loop: Header=BB263_13 Depth=1
	s_wait_alu 0xfffe
	s_or_b32 exec_lo, exec_lo, s42
	v_lshrrev_b32_e32 v1, 16, v9
	v_mov_b32_e32 v53, 0
	s_mov_b32 s42, exec_lo
	s_delay_alu instid0(VALU_DEP_2) | instskip(NEXT) | instid1(VALU_DEP_1)
	v_dual_mov_b32 v54, 0 :: v_dual_and_b32 v55, 0xff, v1
	v_cmpx_ne_u16_e32 0, v55
	s_cbranch_execz .LBB263_234
; %bb.227:                              ;   in Loop: Header=BB263_13 Depth=1
	v_mov_b32_e32 v54, 0x8000
	s_mov_b32 s43, exec_lo
	v_cmpx_ne_u16_e32 0x80, v55
	s_cbranch_execz .LBB263_233
; %bb.228:                              ;   in Loop: Header=BB263_13 Depth=1
	v_bfe_u32 v56, v9, 16, 7
	v_mov_b32_e32 v54, 0x7c01
	s_mov_b32 s44, exec_lo
	s_delay_alu instid0(VALU_DEP_2)
	v_cmpx_ne_u32_e32 0x7f, v56
	s_cbranch_execz .LBB263_232
; %bb.229:                              ;   in Loop: Header=BB263_13 Depth=1
	v_and_b32_e32 v54, 7, v1
	v_lshrrev_b32_e32 v55, 3, v56
	s_mov_b32 s45, exec_lo
	v_cmpx_gt_u32_e32 8, v56
; %bb.230:                              ;   in Loop: Header=BB263_13 Depth=1
	s_delay_alu instid0(VALU_DEP_3) | instskip(NEXT) | instid1(VALU_DEP_1)
	v_clz_i32_u32_e32 v54, v54
	v_min_u32_e32 v56, 32, v54
	s_delay_alu instid0(VALU_DEP_1) | instskip(NEXT) | instid1(VALU_DEP_1)
	v_subrev_nc_u32_e32 v54, 28, v56
	v_lshlrev_b64_e32 v[54:55], v54, v[1:2]
	v_sub_nc_u32_e32 v55, 29, v56
	s_delay_alu instid0(VALU_DEP_2)
	v_and_b32_e32 v54, 7, v54
; %bb.231:                              ;   in Loop: Header=BB263_13 Depth=1
	s_or_b32 exec_lo, exec_lo, s45
	v_lshlrev_b32_e32 v1, 8, v1
	s_delay_alu instid0(VALU_DEP_3) | instskip(NEXT) | instid1(VALU_DEP_3)
	v_lshl_add_u32 v55, v55, 10, 0x2000
	v_lshlrev_b32_e32 v54, 7, v54
	s_delay_alu instid0(VALU_DEP_3) | instskip(NEXT) | instid1(VALU_DEP_3)
	v_and_b32_e32 v1, 0x8000, v1
	v_and_b32_e32 v55, 0xfc00, v55
	s_delay_alu instid0(VALU_DEP_1)
	v_or3_b32 v54, v1, v55, v54
.LBB263_232:                            ;   in Loop: Header=BB263_13 Depth=1
	s_or_b32 exec_lo, exec_lo, s44
.LBB263_233:                            ;   in Loop: Header=BB263_13 Depth=1
	s_wait_alu 0xfffe
	s_or_b32 exec_lo, exec_lo, s43
.LBB263_234:                            ;   in Loop: Header=BB263_13 Depth=1
	s_wait_alu 0xfffe
	s_or_b32 exec_lo, exec_lo, s42
	s_delay_alu instid0(SALU_CYCLE_1)
	s_mov_b32 s42, exec_lo
	v_cmpx_lt_u32_e32 0xffffff, v9
	s_cbranch_execz .LBB263_242
; %bb.235:                              ;   in Loop: Header=BB263_13 Depth=1
	v_lshrrev_b32_e32 v1, 24, v9
	v_bfrev_b32_e32 v53, 1
	s_mov_b32 s43, exec_lo
	s_delay_alu instid0(VALU_DEP_2)
	v_cmpx_ne_u32_e32 0x80, v1
	s_cbranch_execz .LBB263_241
; %bb.236:                              ;   in Loop: Header=BB263_13 Depth=1
	v_and_b32_e32 v55, 0x7f, v1
	v_mov_b32_e32 v53, 0x7c010000
	s_mov_b32 s44, exec_lo
	s_delay_alu instid0(VALU_DEP_2)
	v_cmpx_ne_u32_e32 0x7f, v55
	s_cbranch_execz .LBB263_240
; %bb.237:                              ;   in Loop: Header=BB263_13 Depth=1
	v_and_b32_e32 v9, 7, v1
	v_lshrrev_b32_e32 v53, 3, v55
	s_mov_b32 s45, exec_lo
	v_cmpx_gt_u32_e32 8, v55
; %bb.238:                              ;   in Loop: Header=BB263_13 Depth=1
	s_delay_alu instid0(VALU_DEP_3) | instskip(NEXT) | instid1(VALU_DEP_1)
	v_clz_i32_u32_e32 v9, v9
	v_min_u32_e32 v9, 32, v9
	s_delay_alu instid0(VALU_DEP_1) | instskip(NEXT) | instid1(VALU_DEP_1)
	v_subrev_nc_u32_e32 v53, 28, v9
	v_lshlrev_b64_e32 v[55:56], v53, v[1:2]
	v_sub_nc_u32_e32 v53, 29, v9
	s_delay_alu instid0(VALU_DEP_2)
	v_and_b32_e32 v9, 7, v55
; %bb.239:                              ;   in Loop: Header=BB263_13 Depth=1
	s_or_b32 exec_lo, exec_lo, s45
	v_lshlrev_b32_e32 v1, 8, v1
	s_delay_alu instid0(VALU_DEP_3) | instskip(NEXT) | instid1(VALU_DEP_3)
	v_lshl_add_u32 v53, v53, 10, 0x2000
	v_lshlrev_b32_e32 v9, 23, v9
	s_delay_alu instid0(VALU_DEP_2) | instskip(NEXT) | instid1(VALU_DEP_1)
	v_and_or_b32 v1, 0x8000, v1, v53
	v_lshl_or_b32 v53, v1, 16, v9
.LBB263_240:                            ;   in Loop: Header=BB263_13 Depth=1
	s_or_b32 exec_lo, exec_lo, s44
.LBB263_241:                            ;   in Loop: Header=BB263_13 Depth=1
	s_wait_alu 0xfffe
	s_or_b32 exec_lo, exec_lo, s43
.LBB263_242:                            ;   in Loop: Header=BB263_13 Depth=1
	s_wait_alu 0xfffe
	s_or_b32 exec_lo, exec_lo, s42
	global_load_b32 v9, v[7:8], off offset:776
	v_mov_b32_e32 v55, 0
	s_mov_b32 s42, exec_lo
	s_wait_loadcnt 0x0
	v_dual_mov_b32 v56, 0 :: v_dual_and_b32 v1, 0xff, v9
	s_delay_alu instid0(VALU_DEP_1)
	v_cmpx_ne_u16_e32 0, v1
	s_cbranch_execz .LBB263_250
; %bb.243:                              ;   in Loop: Header=BB263_13 Depth=1
	v_mov_b32_e32 v56, 0x8000
	s_mov_b32 s43, exec_lo
	v_cmpx_ne_u16_e32 0x80, v1
	s_cbranch_execz .LBB263_249
; %bb.244:                              ;   in Loop: Header=BB263_13 Depth=1
	v_and_b32_e32 v57, 0x7f, v9
	v_mov_b32_e32 v56, 0x7c01
	s_mov_b32 s44, exec_lo
	s_delay_alu instid0(VALU_DEP_2)
	v_cmpx_ne_u32_e32 0x7f, v57
	s_cbranch_execz .LBB263_248
; %bb.245:                              ;   in Loop: Header=BB263_13 Depth=1
	v_and_b32_e32 v1, 7, v9
	v_lshrrev_b32_e32 v56, 3, v57
	s_mov_b32 s45, exec_lo
	v_cmpx_gt_u32_e32 8, v57
; %bb.246:                              ;   in Loop: Header=BB263_13 Depth=1
	s_delay_alu instid0(VALU_DEP_3) | instskip(NEXT) | instid1(VALU_DEP_1)
	v_clz_i32_u32_e32 v1, v1
	v_min_u32_e32 v1, 32, v1
	s_delay_alu instid0(VALU_DEP_1) | instskip(NEXT) | instid1(VALU_DEP_1)
	v_subrev_nc_u32_e32 v56, 28, v1
	v_lshlrev_b64_e32 v[57:58], v56, v[9:10]
	v_sub_nc_u32_e32 v56, 29, v1
	s_delay_alu instid0(VALU_DEP_2)
	v_and_b32_e32 v1, 7, v57
; %bb.247:                              ;   in Loop: Header=BB263_13 Depth=1
	s_or_b32 exec_lo, exec_lo, s45
	v_lshlrev_b32_e32 v57, 8, v9
	s_delay_alu instid0(VALU_DEP_3) | instskip(NEXT) | instid1(VALU_DEP_3)
	v_lshl_add_u32 v56, v56, 10, 0x2000
	v_lshlrev_b32_e32 v1, 7, v1
	s_delay_alu instid0(VALU_DEP_3) | instskip(NEXT) | instid1(VALU_DEP_3)
	v_and_b32_e32 v57, 0x8000, v57
	v_and_b32_e32 v56, 0xfc00, v56
	s_delay_alu instid0(VALU_DEP_1)
	v_or3_b32 v56, v57, v56, v1
.LBB263_248:                            ;   in Loop: Header=BB263_13 Depth=1
	s_or_b32 exec_lo, exec_lo, s44
.LBB263_249:                            ;   in Loop: Header=BB263_13 Depth=1
	s_wait_alu 0xfffe
	s_or_b32 exec_lo, exec_lo, s43
.LBB263_250:                            ;   in Loop: Header=BB263_13 Depth=1
	s_wait_alu 0xfffe
	s_or_b32 exec_lo, exec_lo, s42
	v_lshrrev_b16 v1, 8, v9
	s_mov_b32 s42, exec_lo
	s_delay_alu instid0(VALU_DEP_1)
	v_cmpx_ne_u16_e32 0, v1
	s_cbranch_execz .LBB263_258
; %bb.251:                              ;   in Loop: Header=BB263_13 Depth=1
	v_bfrev_b32_e32 v55, 1
	s_mov_b32 s43, exec_lo
	v_cmpx_ne_u16_e32 0x80, v1
	s_cbranch_execz .LBB263_257
; %bb.252:                              ;   in Loop: Header=BB263_13 Depth=1
	v_and_b32_e32 v57, 0xffff, v1
	v_mov_b32_e32 v55, 0x7c010000
	s_mov_b32 s44, exec_lo
	s_delay_alu instid0(VALU_DEP_2) | instskip(NEXT) | instid1(VALU_DEP_1)
	v_and_b32_e32 v59, 0x7f, v57
	v_cmpx_ne_u32_e32 0x7f, v59
	s_cbranch_execz .LBB263_256
; %bb.253:                              ;   in Loop: Header=BB263_13 Depth=1
	v_and_b32_e32 v55, 7, v57
	v_lshrrev_b32_e32 v58, 3, v59
	s_mov_b32 s45, exec_lo
	v_cmpx_gt_u32_e32 8, v59
; %bb.254:                              ;   in Loop: Header=BB263_13 Depth=1
	s_delay_alu instid0(VALU_DEP_3) | instskip(NEXT) | instid1(VALU_DEP_1)
	v_clz_i32_u32_e32 v55, v55
	v_min_u32_e32 v55, 32, v55
	s_delay_alu instid0(VALU_DEP_1) | instskip(NEXT) | instid1(VALU_DEP_1)
	v_subrev_nc_u32_e32 v58, 28, v55
	v_lshlrev_b64_e32 v[59:60], v58, v[1:2]
	v_sub_nc_u32_e32 v58, 29, v55
	s_delay_alu instid0(VALU_DEP_2)
	v_and_b32_e32 v55, 7, v59
; %bb.255:                              ;   in Loop: Header=BB263_13 Depth=1
	s_or_b32 exec_lo, exec_lo, s45
	v_lshlrev_b32_e32 v1, 8, v57
	s_delay_alu instid0(VALU_DEP_3) | instskip(NEXT) | instid1(VALU_DEP_3)
	v_lshl_add_u32 v57, v58, 10, 0x2000
	v_lshlrev_b32_e32 v55, 23, v55
	s_delay_alu instid0(VALU_DEP_2) | instskip(NEXT) | instid1(VALU_DEP_1)
	v_and_or_b32 v1, 0x8000, v1, v57
	v_lshl_or_b32 v55, v1, 16, v55
.LBB263_256:                            ;   in Loop: Header=BB263_13 Depth=1
	s_or_b32 exec_lo, exec_lo, s44
.LBB263_257:                            ;   in Loop: Header=BB263_13 Depth=1
	s_wait_alu 0xfffe
	s_or_b32 exec_lo, exec_lo, s43
.LBB263_258:                            ;   in Loop: Header=BB263_13 Depth=1
	s_wait_alu 0xfffe
	s_or_b32 exec_lo, exec_lo, s42
	v_lshrrev_b32_e32 v1, 16, v9
	v_mov_b32_e32 v57, 0
	s_mov_b32 s42, exec_lo
	s_delay_alu instid0(VALU_DEP_2) | instskip(NEXT) | instid1(VALU_DEP_1)
	v_dual_mov_b32 v58, 0 :: v_dual_and_b32 v59, 0xff, v1
	v_cmpx_ne_u16_e32 0, v59
	s_cbranch_execz .LBB263_266
; %bb.259:                              ;   in Loop: Header=BB263_13 Depth=1
	v_mov_b32_e32 v58, 0x8000
	s_mov_b32 s43, exec_lo
	v_cmpx_ne_u16_e32 0x80, v59
	s_cbranch_execz .LBB263_265
; %bb.260:                              ;   in Loop: Header=BB263_13 Depth=1
	v_bfe_u32 v60, v9, 16, 7
	v_mov_b32_e32 v58, 0x7c01
	s_mov_b32 s44, exec_lo
	s_delay_alu instid0(VALU_DEP_2)
	v_cmpx_ne_u32_e32 0x7f, v60
	s_cbranch_execz .LBB263_264
; %bb.261:                              ;   in Loop: Header=BB263_13 Depth=1
	v_and_b32_e32 v58, 7, v1
	v_lshrrev_b32_e32 v59, 3, v60
	s_mov_b32 s45, exec_lo
	v_cmpx_gt_u32_e32 8, v60
; %bb.262:                              ;   in Loop: Header=BB263_13 Depth=1
	s_delay_alu instid0(VALU_DEP_3) | instskip(NEXT) | instid1(VALU_DEP_1)
	v_clz_i32_u32_e32 v58, v58
	v_min_u32_e32 v60, 32, v58
	s_delay_alu instid0(VALU_DEP_1) | instskip(NEXT) | instid1(VALU_DEP_1)
	v_subrev_nc_u32_e32 v58, 28, v60
	v_lshlrev_b64_e32 v[58:59], v58, v[1:2]
	v_sub_nc_u32_e32 v59, 29, v60
	s_delay_alu instid0(VALU_DEP_2)
	v_and_b32_e32 v58, 7, v58
; %bb.263:                              ;   in Loop: Header=BB263_13 Depth=1
	s_or_b32 exec_lo, exec_lo, s45
	v_lshlrev_b32_e32 v1, 8, v1
	s_delay_alu instid0(VALU_DEP_3) | instskip(NEXT) | instid1(VALU_DEP_3)
	v_lshl_add_u32 v59, v59, 10, 0x2000
	v_lshlrev_b32_e32 v58, 7, v58
	s_delay_alu instid0(VALU_DEP_3) | instskip(NEXT) | instid1(VALU_DEP_3)
	v_and_b32_e32 v1, 0x8000, v1
	v_and_b32_e32 v59, 0xfc00, v59
	s_delay_alu instid0(VALU_DEP_1)
	v_or3_b32 v58, v1, v59, v58
.LBB263_264:                            ;   in Loop: Header=BB263_13 Depth=1
	s_or_b32 exec_lo, exec_lo, s44
.LBB263_265:                            ;   in Loop: Header=BB263_13 Depth=1
	s_wait_alu 0xfffe
	s_or_b32 exec_lo, exec_lo, s43
.LBB263_266:                            ;   in Loop: Header=BB263_13 Depth=1
	s_wait_alu 0xfffe
	s_or_b32 exec_lo, exec_lo, s42
	s_delay_alu instid0(SALU_CYCLE_1)
	s_mov_b32 s42, exec_lo
	v_cmpx_lt_u32_e32 0xffffff, v9
	s_cbranch_execz .LBB263_274
; %bb.267:                              ;   in Loop: Header=BB263_13 Depth=1
	v_lshrrev_b32_e32 v1, 24, v9
	v_bfrev_b32_e32 v57, 1
	s_mov_b32 s43, exec_lo
	s_delay_alu instid0(VALU_DEP_2)
	v_cmpx_ne_u32_e32 0x80, v1
	s_cbranch_execz .LBB263_273
; %bb.268:                              ;   in Loop: Header=BB263_13 Depth=1
	v_and_b32_e32 v59, 0x7f, v1
	v_mov_b32_e32 v57, 0x7c010000
	s_mov_b32 s44, exec_lo
	s_delay_alu instid0(VALU_DEP_2)
	v_cmpx_ne_u32_e32 0x7f, v59
	s_cbranch_execz .LBB263_272
; %bb.269:                              ;   in Loop: Header=BB263_13 Depth=1
	v_and_b32_e32 v9, 7, v1
	v_lshrrev_b32_e32 v57, 3, v59
	s_mov_b32 s45, exec_lo
	v_cmpx_gt_u32_e32 8, v59
; %bb.270:                              ;   in Loop: Header=BB263_13 Depth=1
	s_delay_alu instid0(VALU_DEP_3) | instskip(NEXT) | instid1(VALU_DEP_1)
	v_clz_i32_u32_e32 v9, v9
	v_min_u32_e32 v9, 32, v9
	s_delay_alu instid0(VALU_DEP_1) | instskip(NEXT) | instid1(VALU_DEP_1)
	v_subrev_nc_u32_e32 v57, 28, v9
	v_lshlrev_b64_e32 v[59:60], v57, v[1:2]
	v_sub_nc_u32_e32 v57, 29, v9
	s_delay_alu instid0(VALU_DEP_2)
	v_and_b32_e32 v9, 7, v59
; %bb.271:                              ;   in Loop: Header=BB263_13 Depth=1
	s_or_b32 exec_lo, exec_lo, s45
	v_lshlrev_b32_e32 v1, 8, v1
	s_delay_alu instid0(VALU_DEP_3) | instskip(NEXT) | instid1(VALU_DEP_3)
	v_lshl_add_u32 v57, v57, 10, 0x2000
	v_lshlrev_b32_e32 v9, 23, v9
	s_delay_alu instid0(VALU_DEP_2) | instskip(NEXT) | instid1(VALU_DEP_1)
	v_and_or_b32 v1, 0x8000, v1, v57
	v_lshl_or_b32 v57, v1, 16, v9
.LBB263_272:                            ;   in Loop: Header=BB263_13 Depth=1
	s_or_b32 exec_lo, exec_lo, s44
.LBB263_273:                            ;   in Loop: Header=BB263_13 Depth=1
	s_wait_alu 0xfffe
	s_or_b32 exec_lo, exec_lo, s43
.LBB263_274:                            ;   in Loop: Header=BB263_13 Depth=1
	s_wait_alu 0xfffe
	s_or_b32 exec_lo, exec_lo, s42
	global_load_b32 v9, v[7:8], off offset:1024
	v_mov_b32_e32 v59, 0
	s_mov_b32 s42, exec_lo
	s_wait_loadcnt 0x0
	v_dual_mov_b32 v60, 0 :: v_dual_and_b32 v1, 0xff, v9
	s_delay_alu instid0(VALU_DEP_1)
	v_cmpx_ne_u16_e32 0, v1
	s_cbranch_execz .LBB263_282
; %bb.275:                              ;   in Loop: Header=BB263_13 Depth=1
	v_mov_b32_e32 v60, 0x8000
	s_mov_b32 s43, exec_lo
	v_cmpx_ne_u16_e32 0x80, v1
	s_cbranch_execz .LBB263_281
; %bb.276:                              ;   in Loop: Header=BB263_13 Depth=1
	v_and_b32_e32 v61, 0x7f, v9
	v_mov_b32_e32 v60, 0x7c01
	s_mov_b32 s44, exec_lo
	s_delay_alu instid0(VALU_DEP_2)
	v_cmpx_ne_u32_e32 0x7f, v61
	s_cbranch_execz .LBB263_280
; %bb.277:                              ;   in Loop: Header=BB263_13 Depth=1
	v_and_b32_e32 v1, 7, v9
	v_lshrrev_b32_e32 v60, 3, v61
	s_mov_b32 s45, exec_lo
	v_cmpx_gt_u32_e32 8, v61
; %bb.278:                              ;   in Loop: Header=BB263_13 Depth=1
	s_delay_alu instid0(VALU_DEP_3) | instskip(NEXT) | instid1(VALU_DEP_1)
	v_clz_i32_u32_e32 v1, v1
	v_min_u32_e32 v1, 32, v1
	s_delay_alu instid0(VALU_DEP_1) | instskip(NEXT) | instid1(VALU_DEP_1)
	v_subrev_nc_u32_e32 v60, 28, v1
	v_lshlrev_b64_e32 v[61:62], v60, v[9:10]
	v_sub_nc_u32_e32 v60, 29, v1
	s_delay_alu instid0(VALU_DEP_2)
	v_and_b32_e32 v1, 7, v61
; %bb.279:                              ;   in Loop: Header=BB263_13 Depth=1
	s_or_b32 exec_lo, exec_lo, s45
	v_lshlrev_b32_e32 v61, 8, v9
	s_delay_alu instid0(VALU_DEP_3) | instskip(NEXT) | instid1(VALU_DEP_3)
	v_lshl_add_u32 v60, v60, 10, 0x2000
	v_lshlrev_b32_e32 v1, 7, v1
	s_delay_alu instid0(VALU_DEP_3) | instskip(NEXT) | instid1(VALU_DEP_3)
	v_and_b32_e32 v61, 0x8000, v61
	v_and_b32_e32 v60, 0xfc00, v60
	s_delay_alu instid0(VALU_DEP_1)
	v_or3_b32 v60, v61, v60, v1
.LBB263_280:                            ;   in Loop: Header=BB263_13 Depth=1
	s_or_b32 exec_lo, exec_lo, s44
.LBB263_281:                            ;   in Loop: Header=BB263_13 Depth=1
	s_wait_alu 0xfffe
	s_or_b32 exec_lo, exec_lo, s43
.LBB263_282:                            ;   in Loop: Header=BB263_13 Depth=1
	s_wait_alu 0xfffe
	s_or_b32 exec_lo, exec_lo, s42
	v_lshrrev_b16 v1, 8, v9
	s_mov_b32 s42, exec_lo
	s_delay_alu instid0(VALU_DEP_1)
	v_cmpx_ne_u16_e32 0, v1
	s_cbranch_execz .LBB263_290
; %bb.283:                              ;   in Loop: Header=BB263_13 Depth=1
	v_bfrev_b32_e32 v59, 1
	s_mov_b32 s43, exec_lo
	v_cmpx_ne_u16_e32 0x80, v1
	s_cbranch_execz .LBB263_289
; %bb.284:                              ;   in Loop: Header=BB263_13 Depth=1
	v_and_b32_e32 v61, 0xffff, v1
	v_mov_b32_e32 v59, 0x7c010000
	s_mov_b32 s44, exec_lo
	s_delay_alu instid0(VALU_DEP_2) | instskip(NEXT) | instid1(VALU_DEP_1)
	v_and_b32_e32 v63, 0x7f, v61
	v_cmpx_ne_u32_e32 0x7f, v63
	s_cbranch_execz .LBB263_288
; %bb.285:                              ;   in Loop: Header=BB263_13 Depth=1
	v_and_b32_e32 v59, 7, v61
	v_lshrrev_b32_e32 v62, 3, v63
	s_mov_b32 s45, exec_lo
	v_cmpx_gt_u32_e32 8, v63
; %bb.286:                              ;   in Loop: Header=BB263_13 Depth=1
	s_delay_alu instid0(VALU_DEP_3) | instskip(NEXT) | instid1(VALU_DEP_1)
	v_clz_i32_u32_e32 v59, v59
	v_min_u32_e32 v59, 32, v59
	s_delay_alu instid0(VALU_DEP_1) | instskip(NEXT) | instid1(VALU_DEP_1)
	v_subrev_nc_u32_e32 v62, 28, v59
	v_lshlrev_b64_e32 v[63:64], v62, v[1:2]
	v_sub_nc_u32_e32 v62, 29, v59
	s_delay_alu instid0(VALU_DEP_2)
	v_and_b32_e32 v59, 7, v63
; %bb.287:                              ;   in Loop: Header=BB263_13 Depth=1
	s_or_b32 exec_lo, exec_lo, s45
	v_lshlrev_b32_e32 v1, 8, v61
	s_delay_alu instid0(VALU_DEP_3) | instskip(NEXT) | instid1(VALU_DEP_3)
	v_lshl_add_u32 v61, v62, 10, 0x2000
	v_lshlrev_b32_e32 v59, 23, v59
	s_delay_alu instid0(VALU_DEP_2) | instskip(NEXT) | instid1(VALU_DEP_1)
	v_and_or_b32 v1, 0x8000, v1, v61
	v_lshl_or_b32 v59, v1, 16, v59
.LBB263_288:                            ;   in Loop: Header=BB263_13 Depth=1
	s_or_b32 exec_lo, exec_lo, s44
.LBB263_289:                            ;   in Loop: Header=BB263_13 Depth=1
	s_wait_alu 0xfffe
	s_or_b32 exec_lo, exec_lo, s43
.LBB263_290:                            ;   in Loop: Header=BB263_13 Depth=1
	s_wait_alu 0xfffe
	s_or_b32 exec_lo, exec_lo, s42
	v_lshrrev_b32_e32 v1, 16, v9
	v_mov_b32_e32 v61, 0
	s_mov_b32 s42, exec_lo
	s_delay_alu instid0(VALU_DEP_2) | instskip(NEXT) | instid1(VALU_DEP_1)
	v_dual_mov_b32 v62, 0 :: v_dual_and_b32 v63, 0xff, v1
	v_cmpx_ne_u16_e32 0, v63
	s_cbranch_execz .LBB263_298
; %bb.291:                              ;   in Loop: Header=BB263_13 Depth=1
	v_mov_b32_e32 v62, 0x8000
	s_mov_b32 s43, exec_lo
	v_cmpx_ne_u16_e32 0x80, v63
	s_cbranch_execz .LBB263_297
; %bb.292:                              ;   in Loop: Header=BB263_13 Depth=1
	v_bfe_u32 v64, v9, 16, 7
	v_mov_b32_e32 v62, 0x7c01
	s_mov_b32 s44, exec_lo
	s_delay_alu instid0(VALU_DEP_2)
	v_cmpx_ne_u32_e32 0x7f, v64
	s_cbranch_execz .LBB263_296
; %bb.293:                              ;   in Loop: Header=BB263_13 Depth=1
	v_and_b32_e32 v62, 7, v1
	v_lshrrev_b32_e32 v63, 3, v64
	s_mov_b32 s45, exec_lo
	v_cmpx_gt_u32_e32 8, v64
; %bb.294:                              ;   in Loop: Header=BB263_13 Depth=1
	s_delay_alu instid0(VALU_DEP_3) | instskip(NEXT) | instid1(VALU_DEP_1)
	v_clz_i32_u32_e32 v62, v62
	v_min_u32_e32 v64, 32, v62
	s_delay_alu instid0(VALU_DEP_1) | instskip(NEXT) | instid1(VALU_DEP_1)
	v_subrev_nc_u32_e32 v62, 28, v64
	v_lshlrev_b64_e32 v[62:63], v62, v[1:2]
	v_sub_nc_u32_e32 v63, 29, v64
	s_delay_alu instid0(VALU_DEP_2)
	v_and_b32_e32 v62, 7, v62
; %bb.295:                              ;   in Loop: Header=BB263_13 Depth=1
	s_or_b32 exec_lo, exec_lo, s45
	v_lshlrev_b32_e32 v1, 8, v1
	s_delay_alu instid0(VALU_DEP_3) | instskip(NEXT) | instid1(VALU_DEP_3)
	v_lshl_add_u32 v63, v63, 10, 0x2000
	v_lshlrev_b32_e32 v62, 7, v62
	s_delay_alu instid0(VALU_DEP_3) | instskip(NEXT) | instid1(VALU_DEP_3)
	v_and_b32_e32 v1, 0x8000, v1
	v_and_b32_e32 v63, 0xfc00, v63
	s_delay_alu instid0(VALU_DEP_1)
	v_or3_b32 v62, v1, v63, v62
.LBB263_296:                            ;   in Loop: Header=BB263_13 Depth=1
	s_or_b32 exec_lo, exec_lo, s44
.LBB263_297:                            ;   in Loop: Header=BB263_13 Depth=1
	s_wait_alu 0xfffe
	s_or_b32 exec_lo, exec_lo, s43
.LBB263_298:                            ;   in Loop: Header=BB263_13 Depth=1
	s_wait_alu 0xfffe
	s_or_b32 exec_lo, exec_lo, s42
	s_delay_alu instid0(SALU_CYCLE_1)
	s_mov_b32 s42, exec_lo
	v_cmpx_lt_u32_e32 0xffffff, v9
	s_cbranch_execz .LBB263_306
; %bb.299:                              ;   in Loop: Header=BB263_13 Depth=1
	v_lshrrev_b32_e32 v1, 24, v9
	v_bfrev_b32_e32 v61, 1
	s_mov_b32 s43, exec_lo
	s_delay_alu instid0(VALU_DEP_2)
	v_cmpx_ne_u32_e32 0x80, v1
	s_cbranch_execz .LBB263_305
; %bb.300:                              ;   in Loop: Header=BB263_13 Depth=1
	v_and_b32_e32 v63, 0x7f, v1
	v_mov_b32_e32 v61, 0x7c010000
	s_mov_b32 s44, exec_lo
	s_delay_alu instid0(VALU_DEP_2)
	v_cmpx_ne_u32_e32 0x7f, v63
	s_cbranch_execz .LBB263_304
; %bb.301:                              ;   in Loop: Header=BB263_13 Depth=1
	v_and_b32_e32 v9, 7, v1
	v_lshrrev_b32_e32 v61, 3, v63
	s_mov_b32 s45, exec_lo
	v_cmpx_gt_u32_e32 8, v63
; %bb.302:                              ;   in Loop: Header=BB263_13 Depth=1
	s_delay_alu instid0(VALU_DEP_3) | instskip(NEXT) | instid1(VALU_DEP_1)
	v_clz_i32_u32_e32 v9, v9
	v_min_u32_e32 v9, 32, v9
	s_delay_alu instid0(VALU_DEP_1) | instskip(NEXT) | instid1(VALU_DEP_1)
	v_subrev_nc_u32_e32 v61, 28, v9
	v_lshlrev_b64_e32 v[63:64], v61, v[1:2]
	v_sub_nc_u32_e32 v61, 29, v9
	s_delay_alu instid0(VALU_DEP_2)
	v_and_b32_e32 v9, 7, v63
; %bb.303:                              ;   in Loop: Header=BB263_13 Depth=1
	s_or_b32 exec_lo, exec_lo, s45
	v_lshlrev_b32_e32 v1, 8, v1
	s_delay_alu instid0(VALU_DEP_3) | instskip(NEXT) | instid1(VALU_DEP_3)
	v_lshl_add_u32 v61, v61, 10, 0x2000
	v_lshlrev_b32_e32 v9, 23, v9
	s_delay_alu instid0(VALU_DEP_2) | instskip(NEXT) | instid1(VALU_DEP_1)
	v_and_or_b32 v1, 0x8000, v1, v61
	v_lshl_or_b32 v61, v1, 16, v9
.LBB263_304:                            ;   in Loop: Header=BB263_13 Depth=1
	s_or_b32 exec_lo, exec_lo, s44
.LBB263_305:                            ;   in Loop: Header=BB263_13 Depth=1
	s_wait_alu 0xfffe
	s_or_b32 exec_lo, exec_lo, s43
.LBB263_306:                            ;   in Loop: Header=BB263_13 Depth=1
	s_wait_alu 0xfffe
	s_or_b32 exec_lo, exec_lo, s42
	global_load_b32 v7, v[7:8], off offset:1032
	v_mov_b32_e32 v9, 0
	s_mov_b32 s42, exec_lo
	s_wait_loadcnt 0x0
	v_dual_mov_b32 v8, 0 :: v_dual_and_b32 v1, 0xff, v7
	s_delay_alu instid0(VALU_DEP_1)
	v_cmpx_ne_u16_e32 0, v1
	s_cbranch_execz .LBB263_314
; %bb.307:                              ;   in Loop: Header=BB263_13 Depth=1
	v_mov_b32_e32 v9, 0x8000
	s_mov_b32 s43, exec_lo
	v_cmpx_ne_u16_e32 0x80, v1
	s_cbranch_execz .LBB263_313
; %bb.308:                              ;   in Loop: Header=BB263_13 Depth=1
	v_and_b32_e32 v63, 0x7f, v7
	v_mov_b32_e32 v9, 0x7c01
	s_mov_b32 s44, exec_lo
	s_delay_alu instid0(VALU_DEP_2)
	v_cmpx_ne_u32_e32 0x7f, v63
	s_cbranch_execz .LBB263_312
; %bb.309:                              ;   in Loop: Header=BB263_13 Depth=1
	v_and_b32_e32 v1, 7, v7
	v_lshrrev_b32_e32 v9, 3, v63
	s_mov_b32 s45, exec_lo
	v_cmpx_gt_u32_e32 8, v63
; %bb.310:                              ;   in Loop: Header=BB263_13 Depth=1
	s_delay_alu instid0(VALU_DEP_3) | instskip(NEXT) | instid1(VALU_DEP_1)
	v_clz_i32_u32_e32 v1, v1
	v_min_u32_e32 v1, 32, v1
	s_delay_alu instid0(VALU_DEP_1) | instskip(NEXT) | instid1(VALU_DEP_1)
	v_subrev_nc_u32_e32 v9, 28, v1
	v_lshlrev_b64_e32 v[63:64], v9, v[7:8]
	v_sub_nc_u32_e32 v9, 29, v1
	s_delay_alu instid0(VALU_DEP_2)
	v_and_b32_e32 v1, 7, v63
; %bb.311:                              ;   in Loop: Header=BB263_13 Depth=1
	s_or_b32 exec_lo, exec_lo, s45
	v_lshlrev_b32_e32 v63, 8, v7
	s_delay_alu instid0(VALU_DEP_3) | instskip(NEXT) | instid1(VALU_DEP_3)
	v_lshl_add_u32 v9, v9, 10, 0x2000
	v_lshlrev_b32_e32 v1, 7, v1
	s_delay_alu instid0(VALU_DEP_3) | instskip(NEXT) | instid1(VALU_DEP_3)
	v_and_b32_e32 v63, 0x8000, v63
	v_and_b32_e32 v9, 0xfc00, v9
	s_delay_alu instid0(VALU_DEP_1)
	v_or3_b32 v9, v63, v9, v1
.LBB263_312:                            ;   in Loop: Header=BB263_13 Depth=1
	s_or_b32 exec_lo, exec_lo, s44
.LBB263_313:                            ;   in Loop: Header=BB263_13 Depth=1
	s_wait_alu 0xfffe
	s_or_b32 exec_lo, exec_lo, s43
.LBB263_314:                            ;   in Loop: Header=BB263_13 Depth=1
	s_wait_alu 0xfffe
	s_or_b32 exec_lo, exec_lo, s42
	v_lshrrev_b16 v1, 8, v7
	s_mov_b32 s42, exec_lo
	s_delay_alu instid0(VALU_DEP_1)
	v_cmpx_ne_u16_e32 0, v1
	s_cbranch_execz .LBB263_322
; %bb.315:                              ;   in Loop: Header=BB263_13 Depth=1
	v_bfrev_b32_e32 v8, 1
	s_mov_b32 s43, exec_lo
	v_cmpx_ne_u16_e32 0x80, v1
	s_cbranch_execz .LBB263_321
; %bb.316:                              ;   in Loop: Header=BB263_13 Depth=1
	v_and_b32_e32 v63, 0xffff, v1
	v_mov_b32_e32 v8, 0x7c010000
	s_mov_b32 s44, exec_lo
	s_delay_alu instid0(VALU_DEP_2) | instskip(NEXT) | instid1(VALU_DEP_1)
	v_and_b32_e32 v65, 0x7f, v63
	v_cmpx_ne_u32_e32 0x7f, v65
	s_cbranch_execz .LBB263_320
; %bb.317:                              ;   in Loop: Header=BB263_13 Depth=1
	v_and_b32_e32 v8, 7, v63
	v_lshrrev_b32_e32 v64, 3, v65
	s_mov_b32 s45, exec_lo
	v_cmpx_gt_u32_e32 8, v65
; %bb.318:                              ;   in Loop: Header=BB263_13 Depth=1
	s_delay_alu instid0(VALU_DEP_3) | instskip(NEXT) | instid1(VALU_DEP_1)
	v_clz_i32_u32_e32 v8, v8
	v_min_u32_e32 v8, 32, v8
	s_delay_alu instid0(VALU_DEP_1) | instskip(NEXT) | instid1(VALU_DEP_1)
	v_subrev_nc_u32_e32 v64, 28, v8
	v_lshlrev_b64_e32 v[65:66], v64, v[1:2]
	v_sub_nc_u32_e32 v64, 29, v8
	s_delay_alu instid0(VALU_DEP_2)
	v_and_b32_e32 v8, 7, v65
; %bb.319:                              ;   in Loop: Header=BB263_13 Depth=1
	s_or_b32 exec_lo, exec_lo, s45
	v_lshlrev_b32_e32 v1, 8, v63
	s_delay_alu instid0(VALU_DEP_3) | instskip(NEXT) | instid1(VALU_DEP_3)
	v_lshl_add_u32 v63, v64, 10, 0x2000
	v_lshlrev_b32_e32 v8, 23, v8
	s_delay_alu instid0(VALU_DEP_2) | instskip(NEXT) | instid1(VALU_DEP_1)
	v_and_or_b32 v1, 0x8000, v1, v63
	v_lshl_or_b32 v8, v1, 16, v8
.LBB263_320:                            ;   in Loop: Header=BB263_13 Depth=1
	s_or_b32 exec_lo, exec_lo, s44
.LBB263_321:                            ;   in Loop: Header=BB263_13 Depth=1
	s_wait_alu 0xfffe
	s_or_b32 exec_lo, exec_lo, s43
.LBB263_322:                            ;   in Loop: Header=BB263_13 Depth=1
	s_wait_alu 0xfffe
	s_or_b32 exec_lo, exec_lo, s42
	v_lshrrev_b32_e32 v1, 16, v7
	v_mov_b32_e32 v63, 0
	s_mov_b32 s42, exec_lo
	s_delay_alu instid0(VALU_DEP_2) | instskip(NEXT) | instid1(VALU_DEP_1)
	v_dual_mov_b32 v64, 0 :: v_dual_and_b32 v65, 0xff, v1
	v_cmpx_ne_u16_e32 0, v65
	s_cbranch_execz .LBB263_330
; %bb.323:                              ;   in Loop: Header=BB263_13 Depth=1
	v_mov_b32_e32 v64, 0x8000
	s_mov_b32 s43, exec_lo
	v_cmpx_ne_u16_e32 0x80, v65
	s_cbranch_execz .LBB263_329
; %bb.324:                              ;   in Loop: Header=BB263_13 Depth=1
	v_bfe_u32 v66, v7, 16, 7
	v_mov_b32_e32 v64, 0x7c01
	s_mov_b32 s44, exec_lo
	s_delay_alu instid0(VALU_DEP_2)
	v_cmpx_ne_u32_e32 0x7f, v66
	s_cbranch_execz .LBB263_328
; %bb.325:                              ;   in Loop: Header=BB263_13 Depth=1
	v_and_b32_e32 v64, 7, v1
	v_lshrrev_b32_e32 v65, 3, v66
	s_mov_b32 s45, exec_lo
	v_cmpx_gt_u32_e32 8, v66
; %bb.326:                              ;   in Loop: Header=BB263_13 Depth=1
	s_delay_alu instid0(VALU_DEP_3) | instskip(NEXT) | instid1(VALU_DEP_1)
	v_clz_i32_u32_e32 v64, v64
	v_min_u32_e32 v66, 32, v64
	s_delay_alu instid0(VALU_DEP_1) | instskip(NEXT) | instid1(VALU_DEP_1)
	v_subrev_nc_u32_e32 v64, 28, v66
	v_lshlrev_b64_e32 v[64:65], v64, v[1:2]
	v_sub_nc_u32_e32 v65, 29, v66
	s_delay_alu instid0(VALU_DEP_2)
	v_and_b32_e32 v64, 7, v64
; %bb.327:                              ;   in Loop: Header=BB263_13 Depth=1
	s_or_b32 exec_lo, exec_lo, s45
	v_lshlrev_b32_e32 v1, 8, v1
	s_delay_alu instid0(VALU_DEP_3) | instskip(NEXT) | instid1(VALU_DEP_3)
	v_lshl_add_u32 v65, v65, 10, 0x2000
	v_lshlrev_b32_e32 v64, 7, v64
	s_delay_alu instid0(VALU_DEP_3) | instskip(NEXT) | instid1(VALU_DEP_3)
	v_and_b32_e32 v1, 0x8000, v1
	v_and_b32_e32 v65, 0xfc00, v65
	s_delay_alu instid0(VALU_DEP_1)
	v_or3_b32 v64, v1, v65, v64
.LBB263_328:                            ;   in Loop: Header=BB263_13 Depth=1
	s_or_b32 exec_lo, exec_lo, s44
.LBB263_329:                            ;   in Loop: Header=BB263_13 Depth=1
	s_wait_alu 0xfffe
	s_or_b32 exec_lo, exec_lo, s43
.LBB263_330:                            ;   in Loop: Header=BB263_13 Depth=1
	s_wait_alu 0xfffe
	s_or_b32 exec_lo, exec_lo, s42
	s_delay_alu instid0(SALU_CYCLE_1)
	s_mov_b32 s42, exec_lo
	v_cmpx_lt_u32_e32 0xffffff, v7
	s_cbranch_execz .LBB263_338
; %bb.331:                              ;   in Loop: Header=BB263_13 Depth=1
	v_lshrrev_b32_e32 v1, 24, v7
	v_bfrev_b32_e32 v63, 1
	s_mov_b32 s43, exec_lo
	s_delay_alu instid0(VALU_DEP_2)
	v_cmpx_ne_u32_e32 0x80, v1
	s_cbranch_execz .LBB263_337
; %bb.332:                              ;   in Loop: Header=BB263_13 Depth=1
	v_and_b32_e32 v65, 0x7f, v1
	v_mov_b32_e32 v63, 0x7c010000
	s_mov_b32 s44, exec_lo
	s_delay_alu instid0(VALU_DEP_2)
	v_cmpx_ne_u32_e32 0x7f, v65
	s_cbranch_execz .LBB263_336
; %bb.333:                              ;   in Loop: Header=BB263_13 Depth=1
	v_and_b32_e32 v7, 7, v1
	v_lshrrev_b32_e32 v63, 3, v65
	s_mov_b32 s45, exec_lo
	v_cmpx_gt_u32_e32 8, v65
; %bb.334:                              ;   in Loop: Header=BB263_13 Depth=1
	s_delay_alu instid0(VALU_DEP_3) | instskip(NEXT) | instid1(VALU_DEP_1)
	v_clz_i32_u32_e32 v7, v7
	v_min_u32_e32 v7, 32, v7
	s_delay_alu instid0(VALU_DEP_1) | instskip(NEXT) | instid1(VALU_DEP_1)
	v_subrev_nc_u32_e32 v63, 28, v7
	v_lshlrev_b64_e32 v[65:66], v63, v[1:2]
	v_sub_nc_u32_e32 v63, 29, v7
	s_delay_alu instid0(VALU_DEP_2)
	v_and_b32_e32 v7, 7, v65
; %bb.335:                              ;   in Loop: Header=BB263_13 Depth=1
	s_or_b32 exec_lo, exec_lo, s45
	v_lshlrev_b32_e32 v1, 8, v1
	s_delay_alu instid0(VALU_DEP_3) | instskip(NEXT) | instid1(VALU_DEP_3)
	v_lshl_add_u32 v63, v63, 10, 0x2000
	v_lshlrev_b32_e32 v7, 23, v7
	s_delay_alu instid0(VALU_DEP_2) | instskip(NEXT) | instid1(VALU_DEP_1)
	v_and_or_b32 v1, 0x8000, v1, v63
	v_lshl_or_b32 v63, v1, 16, v7
.LBB263_336:                            ;   in Loop: Header=BB263_13 Depth=1
	s_or_b32 exec_lo, exec_lo, s44
.LBB263_337:                            ;   in Loop: Header=BB263_13 Depth=1
	s_wait_alu 0xfffe
	s_or_b32 exec_lo, exec_lo, s43
.LBB263_338:                            ;   in Loop: Header=BB263_13 Depth=1
	s_wait_alu 0xfffe
	s_or_b32 exec_lo, exec_lo, s42
	ds_load_b64 v[65:66], v20
	v_or_b32_e32 v1, v27, v28
	v_or_b32_e32 v7, v29, v30
	v_fma_mixlo_f16 v27, v26, v27, 0 op_sel:[0,1,0] op_sel_hi:[0,1,0]
	v_fma_mixlo_f16 v28, v26, v29, 0 op_sel:[0,1,0] op_sel_hi:[0,1,0]
	v_or_b32_e32 v32, v31, v32
	v_fma_mixlo_f16 v1, v26, v1, 0 op_sel_hi:[0,1,0]
	v_fma_mixlo_f16 v7, v26, v7, 0 op_sel_hi:[0,1,0]
	v_and_b32_e32 v27, 0xffff, v27
	v_and_b32_e32 v28, 0xffff, v28
	v_or_b32_e32 v34, v33, v34
	v_and_b32_e32 v1, 0xffff, v1
	v_and_b32_e32 v67, 0xffff, v7
	v_fma_mixlo_f16 v31, v26, v31, 0 op_sel:[0,1,0] op_sel_hi:[0,1,0]
	v_fma_mixlo_f16 v33, v26, v33, 0 op_sel:[0,1,0] op_sel_hi:[0,1,0]
	v_fma_mixlo_f16 v32, v26, v32, 0 op_sel_hi:[0,1,0]
	v_fma_mixlo_f16 v34, v26, v34, 0 op_sel_hi:[0,1,0]
	v_or_b32_e32 v36, v35, v36
	v_and_b32_e32 v31, 0xffff, v31
	v_and_b32_e32 v72, 0xffff, v33
	s_wait_dscnt 0x0
	v_and_b32_e32 v29, 0xffff, v65
	v_lshrrev_b32_e32 v30, 16, v65
	v_lshrrev_b32_e32 v7, 16, v66
	v_and_b32_e32 v68, 0xffff, v66
	;;#ASMSTART
	v_cvt_f32_f16 v29, v29;
	;;#ASMEND
	;;#ASMSTART
	v_cvt_f32_f16 v30, v30;
	;;#ASMEND
	;; [unrolled: 3-line block ×8, first 2 shown]
	ds_load_b64 v[67:68], v20 offset:8
	v_and_b32_e32 v32, 0xffff, v32
	v_and_b32_e32 v71, 0xffff, v34
	v_or_b32_e32 v38, v37, v38
	v_fma_mixlo_f16 v35, v26, v35, 0 op_sel:[0,1,0] op_sel_hi:[0,1,0]
	v_fma_mixlo_f16 v37, v26, v37, 0 op_sel:[0,1,0] op_sel_hi:[0,1,0]
	v_fma_mixlo_f16 v36, v26, v36, 0 op_sel_hi:[0,1,0]
	v_or_b32_e32 v40, v39, v40
	v_fma_mixlo_f16 v38, v26, v38, 0 op_sel_hi:[0,1,0]
	v_and_b32_e32 v73, 0xffff, v35
	v_and_b32_e32 v76, 0xffff, v37
	v_and_b32_e32 v37, 0xffff, v36
	v_or_b32_e32 v42, v41, v42
	v_and_b32_e32 v75, 0xffff, v38
	v_fma_mixlo_f16 v39, v26, v39, 0 op_sel:[0,1,0] op_sel_hi:[0,1,0]
	v_fma_mixlo_f16 v41, v26, v41, 0 op_sel:[0,1,0] op_sel_hi:[0,1,0]
	v_fma_mixlo_f16 v40, v26, v40, 0 op_sel_hi:[0,1,0]
	v_fma_mixlo_f16 v42, v26, v42, 0 op_sel_hi:[0,1,0]
	v_or_b32_e32 v44, v43, v44
	v_and_b32_e32 v77, 0xffff, v39
	s_wait_dscnt 0x0
	v_and_b32_e32 v33, 0xffff, v67
	v_lshrrev_b32_e32 v67, 16, v67
	v_lshrrev_b32_e32 v70, 16, v68
	v_and_b32_e32 v69, 0xffff, v68
	;;#ASMSTART
	v_cvt_f32_f16 v33, v33;
	;;#ASMEND
	;;#ASMSTART
	v_cvt_f32_f16 v34, v67;
	;;#ASMEND
	;; [unrolled: 3-line block ×8, first 2 shown]
	ds_load_b64 v[31:32], v20 offset:16
	v_mul_f32_e32 v69, v69, v71
	v_mul_f32_e32 v33, v33, v67
	v_and_b32_e32 v79, 0xffff, v42
	v_or_b32_e32 v46, v45, v46
	v_fma_mixlo_f16 v43, v26, v43, 0 op_sel:[0,1,0] op_sel_hi:[0,1,0]
	v_fmac_f32_e32 v69, v1, v27
	v_fmac_f32_e32 v33, v29, v65
	v_fma_mixlo_f16 v45, v26, v45, 0 op_sel:[0,1,0] op_sel_hi:[0,1,0]
	v_fma_mixlo_f16 v44, v26, v44, 0 op_sel_hi:[0,1,0]
	v_fma_mixlo_f16 v46, v26, v46, 0 op_sel_hi:[0,1,0]
	v_and_b32_e32 v81, 0xffff, v43
	v_or_b32_e32 v48, v47, v48
	v_or_b32_e32 v50, v49, v50
	v_fma_mixlo_f16 v47, v26, v47, 0 op_sel:[0,1,0] op_sel_hi:[0,1,0]
	v_and_b32_e32 v83, 0xffff, v46
	v_fma_mixlo_f16 v49, v26, v49, 0 op_sel:[0,1,0] op_sel_hi:[0,1,0]
	v_fma_mixlo_f16 v48, v26, v48, 0 op_sel_hi:[0,1,0]
	v_fma_mixlo_f16 v50, v26, v50, 0 op_sel_hi:[0,1,0]
	v_and_b32_e32 v85, 0xffff, v47
	s_wait_dscnt 0x0
	v_and_b32_e32 v35, 0xffff, v31
	v_lshrrev_b32_e32 v31, 16, v31
	v_lshrrev_b32_e32 v74, 16, v32
	v_and_b32_e32 v32, 0xffff, v32
	;;#ASMSTART
	v_cvt_f32_f16 v35, v35;
	;;#ASMEND
	;;#ASMSTART
	v_cvt_f32_f16 v36, v31;
	;;#ASMEND
	;; [unrolled: 3-line block ×8, first 2 shown]
	ds_load_b64 v[31:32], v20 offset:24
	v_and_b32_e32 v80, 0xffff, v41
	v_and_b32_e32 v41, 0xffff, v40
	v_fmac_f32_e32 v33, v35, v37
	v_dual_fmac_f32 v69, v73, v75 :: v_dual_and_b32 v84, 0xffff, v45
	v_and_b32_e32 v45, 0xffff, v44
	v_and_b32_e32 v87, 0xffff, v50
	v_or_b32_e32 v52, v51, v52
	v_or_b32_e32 v54, v53, v54
	v_fma_mixlo_f16 v51, v26, v51, 0 op_sel:[0,1,0] op_sel_hi:[0,1,0]
	v_fma_mixlo_f16 v53, v26, v53, 0 op_sel:[0,1,0] op_sel_hi:[0,1,0]
	v_or_b32_e32 v56, v55, v56
	v_fma_mixlo_f16 v52, v26, v52, 0 op_sel_hi:[0,1,0]
	v_fma_mixlo_f16 v54, v26, v54, 0 op_sel_hi:[0,1,0]
	v_and_b32_e32 v89, 0xffff, v51
	v_or_b32_e32 v58, v57, v58
	v_fma_mixlo_f16 v55, v26, v55, 0 op_sel:[0,1,0] op_sel_hi:[0,1,0]
	v_or_b32_e32 v9, v8, v9
	v_and_b32_e32 v91, 0xffff, v54
	s_wait_dscnt 0x0
	v_and_b32_e32 v39, 0xffff, v31
	v_lshrrev_b32_e32 v31, 16, v31
	v_lshrrev_b32_e32 v78, 16, v32
	v_and_b32_e32 v32, 0xffff, v32
	;;#ASMSTART
	v_cvt_f32_f16 v39, v39;
	;;#ASMEND
	;;#ASMSTART
	v_cvt_f32_f16 v40, v31;
	;;#ASMEND
	;; [unrolled: 3-line block ×8, first 2 shown]
	ds_load_b64 v[31:32], v20 offset:32
	v_fmac_f32_e32 v33, v39, v41
	v_and_b32_e32 v88, 0xffff, v49
	v_and_b32_e32 v49, 0xffff, v48
	v_fmac_f32_e32 v69, v77, v79
	v_fma_mixlo_f16 v93, v26, v8, 0 op_sel:[0,1,0] op_sel_hi:[0,1,0]
	v_fma_mixlo_f16 v8, v26, v56, 0 op_sel_hi:[0,1,0]
	v_fma_mixlo_f16 v56, v26, v58, 0 op_sel_hi:[0,1,0]
	;; [unrolled: 1-line block ×3, first 2 shown]
	v_and_b32_e32 v9, 0xffff, v55
	v_or_b32_e32 v60, v59, v60
	v_fma_mixlo_f16 v59, v26, v59, 0 op_sel:[0,1,0] op_sel_hi:[0,1,0]
	v_fma_mixlo_f16 v57, v26, v57, 0 op_sel:[0,1,0] op_sel_hi:[0,1,0]
	v_or_b32_e32 v62, v61, v62
	v_mul_f32_e32 v70, v70, v72
	v_fma_mixlo_f16 v60, v26, v60, 0 op_sel_hi:[0,1,0]
	v_and_b32_e32 v95, 0xffff, v59
	v_fma_mixlo_f16 v61, v26, v61, 0 op_sel:[0,1,0] op_sel_hi:[0,1,0]
	v_fma_mixlo_f16 v62, v26, v62, 0 op_sel_hi:[0,1,0]
	s_wait_dscnt 0x0
	v_dual_fmac_f32 v70, v7, v28 :: v_dual_and_b32 v43, 0xffff, v31
	v_lshrrev_b32_e32 v31, 16, v31
	v_lshrrev_b32_e32 v82, 16, v32
	v_and_b32_e32 v32, 0xffff, v32
	;;#ASMSTART
	v_cvt_f32_f16 v43, v43;
	;;#ASMEND
	;;#ASMSTART
	v_cvt_f32_f16 v44, v31;
	;;#ASMEND
	;; [unrolled: 3-line block ×8, first 2 shown]
	ds_load_b64 v[31:32], v20 offset:40
	v_and_b32_e32 v92, 0xffff, v53
	v_and_b32_e32 v53, 0xffff, v52
	v_fmac_f32_e32 v33, v43, v45
	v_dual_fmac_f32 v69, v81, v83 :: v_dual_and_b32 v94, 0xffff, v57
	v_and_b32_e32 v7, 0xffff, v60
	v_and_b32_e32 v35, 0xffff, v62
	v_dual_fmac_f32 v70, v74, v76 :: v_dual_and_b32 v61, 0xffff, v61
	v_or_b32_e32 v37, v63, v64
	s_delay_alu instid0(VALU_DEP_2) | instskip(NEXT) | instid1(VALU_DEP_2)
	v_fmac_f32_e32 v70, v78, v80
	v_fma_mixlo_f16 v37, v26, v37, 0 op_sel_hi:[0,1,0]
	v_fma_mixlo_f16 v26, v26, v63, 0 op_sel:[0,1,0] op_sel_hi:[0,1,0]
	s_wait_dscnt 0x0
	s_delay_alu instid0(VALU_DEP_3)
	v_dual_fmac_f32 v70, v82, v84 :: v_dual_and_b32 v47, 0xffff, v31
	v_lshrrev_b32_e32 v31, 16, v31
	v_lshrrev_b32_e32 v86, 16, v32
	v_and_b32_e32 v32, 0xffff, v32
	;;#ASMSTART
	v_cvt_f32_f16 v47, v47;
	;;#ASMEND
	;;#ASMSTART
	v_cvt_f32_f16 v48, v31;
	;;#ASMEND
	;; [unrolled: 3-line block ×8, first 2 shown]
	ds_load_b64 v[31:32], v20 offset:48
	v_and_b32_e32 v96, 0xffff, v56
	v_dual_fmac_f32 v33, v47, v49 :: v_dual_and_b32 v8, 0xffff, v8
	s_wait_dscnt 0x0
	v_dual_fmac_f32 v70, v86, v88 :: v_dual_and_b32 v51, 0xffff, v31
	v_lshrrev_b32_e32 v31, 16, v31
	v_lshrrev_b32_e32 v90, 16, v32
	v_and_b32_e32 v32, 0xffff, v32
	;;#ASMSTART
	v_cvt_f32_f16 v51, v51;
	;;#ASMEND
	;;#ASMSTART
	v_cvt_f32_f16 v52, v31;
	;;#ASMEND
	;; [unrolled: 3-line block ×8, first 2 shown]
	ds_load_b64 v[31:32], v20 offset:56
	v_dual_fmac_f32 v33, v51, v53 :: v_dual_fmac_f32 v70, v90, v92
	s_wait_dscnt 0x0
	v_and_b32_e32 v55, 0xffff, v31
	v_lshrrev_b32_e32 v56, 16, v31
	v_mul_f32_e32 v31, v34, v68
	v_lshrrev_b32_e32 v59, 16, v32
	v_and_b32_e32 v57, 0xffff, v32
	;;#ASMSTART
	v_cvt_f32_f16 v32, v55;
	;;#ASMEND
	;;#ASMSTART
	v_cvt_f32_f16 v34, v56;
	;;#ASMEND
	v_fmac_f32_e32 v31, v30, v66
	;;#ASMSTART
	v_cvt_f32_f16 v55, v8;
	;;#ASMEND
	;;#ASMSTART
	v_cvt_f32_f16 v56, v9;
	;;#ASMEND
	;;#ASMSTART
	v_cvt_f32_f16 v57, v57;
	;;#ASMEND
	;;#ASMSTART
	v_cvt_f32_f16 v59, v59;
	;;#ASMEND
	v_fmac_f32_e32 v31, v36, v38
	v_fmac_f32_e32 v33, v32, v55
	s_delay_alu instid0(VALU_DEP_2) | instskip(NEXT) | instid1(VALU_DEP_1)
	v_fmac_f32_e32 v31, v40, v42
	v_fmac_f32_e32 v31, v44, v46
	s_delay_alu instid0(VALU_DEP_1) | instskip(SKIP_4) | instid1(VALU_DEP_1)
	v_fmac_f32_e32 v31, v48, v50
	;;#ASMSTART
	v_cvt_f32_f16 v67, v96;
	;;#ASMEND
	;;#ASMSTART
	v_cvt_f32_f16 v68, v94;
	;;#ASMEND
	ds_load_b64 v[8:9], v20 offset:64
	v_dual_fmac_f32 v70, v59, v68 :: v_dual_fmac_f32 v31, v52, v54
	v_fmac_f32_e32 v31, v34, v56
	s_wait_dscnt 0x0
	v_and_b32_e32 v1, 0xffff, v8
	v_lshrrev_b32_e32 v8, 16, v8
	v_lshrrev_b32_e32 v30, 16, v9
	v_and_b32_e32 v29, 0xffff, v9
	;;#ASMSTART
	v_cvt_f32_f16 v1, v1;
	;;#ASMEND
	;;#ASMSTART
	v_cvt_f32_f16 v9, v8;
	;;#ASMEND
	;; [unrolled: 3-line block ×8, first 2 shown]
	ds_load_b64 v[7:8], v20 offset:72
	v_fmac_f32_e32 v69, v85, v87
	v_fmac_f32_e32 v31, v9, v28
	;; [unrolled: 1-line block ×3, first 2 shown]
	v_and_b32_e32 v9, 0xffff, v58
	v_dual_fmac_f32 v70, v30, v36 :: v_dual_and_b32 v27, 0xffff, v93
	s_wait_dscnt 0x0
	v_dual_fmac_f32 v69, v89, v91 :: v_dual_and_b32 v28, 0xffff, v8
	v_and_b32_e32 v1, 0xffff, v7
	v_lshrrev_b32_e32 v7, 16, v7
	;;#ASMSTART
	v_cvt_f32_f16 v1, v1;
	;;#ASMEND
	;;#ASMSTART
	v_cvt_f32_f16 v7, v7;
	;;#ASMEND
	v_fmac_f32_e32 v69, v57, v67
	v_lshrrev_b32_e32 v8, 16, v8
	;;#ASMSTART
	v_cvt_f32_f16 v9, v9;
	;;#ASMEND
	;;#ASMSTART
	v_cvt_f32_f16 v27, v27;
	;;#ASMEND
	v_fmac_f32_e32 v33, v1, v9
	v_fmac_f32_e32 v69, v29, v35
	v_and_b32_e32 v29, 0xffff, v37
	v_fmac_f32_e32 v31, v7, v27
	;;#ASMSTART
	v_cvt_f32_f16 v1, v28;
	;;#ASMEND
	;;#ASMSTART
	v_cvt_f32_f16 v7, v8;
	;;#ASMEND
	;; [unrolled: 3-line block ×3, first 2 shown]
	v_fmac_f32_e32 v69, v1, v8
	v_xor_b32_e32 v8, 1, v18
	v_add_f32_e32 v1, v33, v31
	v_and_b32_e32 v9, 0xffff, v26
	;;#ASMSTART
	v_cvt_f32_f16 v9, v9;
	;;#ASMEND
	s_delay_alu instid0(VALU_DEP_1) | instskip(SKIP_3) | instid1(VALU_DEP_2)
	v_fmac_f32_e32 v70, v7, v9
	v_cmp_gt_i32_e64 s4, 32, v8
	v_add_f32_e32 v1, v1, v69
	s_wait_alu 0xf1ff
	v_cndmask_b32_e64 v7, v18, v8, s4
	s_delay_alu instid0(VALU_DEP_2) | instskip(NEXT) | instid1(VALU_DEP_2)
	v_add_f32_e32 v1, v70, v1
	v_lshlrev_b32_e32 v7, 2, v7
	ds_bpermute_b32 v7, v7, v1
	s_and_saveexec_b32 s42, s3
	s_cbranch_execz .LBB263_11
; %bb.339:                              ;   in Loop: Header=BB263_13 Depth=1
	s_wait_dscnt 0x0
	v_dual_add_f32 v1, v1, v7 :: v_dual_add_nc_u32 v8, v22, v21
	s_delay_alu instid0(VALU_DEP_1) | instskip(NEXT) | instid1(VALU_DEP_1)
	v_cvt_f32_i32_e32 v8, v8
	v_mul_f32_e32 v8, s30, v8
	s_delay_alu instid0(VALU_DEP_1) | instskip(NEXT) | instid1(VALU_DEP_1)
	v_dual_cndmask_b32 v7, 0, v8 :: v_dual_max_num_f32 v8, v19, v19
	v_fmac_f32_e32 v7, s7, v1
	s_delay_alu instid0(VALU_DEP_1) | instskip(NEXT) | instid1(VALU_DEP_1)
	v_dual_max_num_f32 v8, v8, v7 :: v_dual_add_nc_u32 v1, v17, v21
	v_cmp_gt_i32_e64 s4, s34, v1
	s_wait_alu 0xf1ff
	s_delay_alu instid0(VALU_DEP_1) | instskip(NEXT) | instid1(VALU_DEP_3)
	v_cndmask_b32_e64 v1, 0, v7, s4
	v_cndmask_b32_e64 v19, v19, v8, s4
	ds_store_b32 v23, v1
	s_branch .LBB263_11
.LBB263_340:
	s_or_b32 exec_lo, exec_lo, s40
.LBB263_341:
	s_delay_alu instid0(SALU_CYCLE_1)
	s_or_b32 exec_lo, exec_lo, s6
	v_xor_b32_e32 v1, 16, v18
	v_xor_b32_e32 v2, 8, v18
	s_clause 0x2
	s_load_b128 s[4:7], s[0:1], 0x0
	s_load_b64 s[8:9], s[0:1], 0x10
	s_load_b64 s[30:31], s[0:1], 0x28
	v_and_b32_e32 v17, 31, v0
	s_wait_dscnt 0x0
	v_lshlrev_b32_e32 v7, 2, v13
	v_cmp_gt_i32_e32 vcc_lo, 32, v1
	s_wait_alu 0xfffd
	v_cndmask_b32_e32 v1, v18, v1, vcc_lo
	v_cmp_gt_i32_e32 vcc_lo, 32, v2
	s_wait_alu 0xfffd
	v_dual_max_num_f32 v5, v19, v19 :: v_dual_cndmask_b32 v2, v18, v2
	s_delay_alu instid0(VALU_DEP_1) | instskip(SKIP_4) | instid1(VALU_DEP_1)
	v_lshlrev_b32_e32 v4, 2, v2
	v_lshlrev_b32_e32 v3, 2, v1
	ds_bpermute_b32 v1, v3, v19
	s_wait_dscnt 0x0
	v_max_num_f32_e32 v1, v1, v1
	v_max_num_f32_e32 v1, v5, v1
	v_xor_b32_e32 v5, 4, v18
	ds_bpermute_b32 v2, v4, v1
	v_cmp_gt_i32_e32 vcc_lo, 32, v5
	s_wait_alu 0xfffd
	v_cndmask_b32_e32 v5, v18, v5, vcc_lo
	s_wait_dscnt 0x0
	v_max_num_f32_e32 v2, v2, v2
	s_delay_alu instid0(VALU_DEP_2) | instskip(SKIP_1) | instid1(VALU_DEP_3)
	v_lshlrev_b32_e32 v6, 2, v5
	v_xor_b32_e32 v5, 2, v18
	v_max_num_f32_e32 v1, v1, v2
	s_delay_alu instid0(VALU_DEP_2)
	v_cmp_gt_i32_e32 vcc_lo, 32, v5
	ds_bpermute_b32 v2, v6, v1
	s_wait_alu 0xfffd
	v_cndmask_b32_e32 v5, v18, v5, vcc_lo
	v_cmp_eq_u32_e32 vcc_lo, 0, v17
	s_wait_dscnt 0x0
	v_max_num_f32_e32 v2, v2, v2
	s_delay_alu instid0(VALU_DEP_1)
	v_dual_max_num_f32 v1, v1, v2 :: v_dual_lshlrev_b32 v2, 2, v5
	ds_bpermute_b32 v5, v2, v1
	s_and_saveexec_b32 s0, vcc_lo
	s_cbranch_execz .LBB263_343
; %bb.342:
	s_wait_dscnt 0x0
	v_max_num_f32_e32 v5, v5, v5
	v_max_num_f32_e32 v1, v1, v1
	s_delay_alu instid0(VALU_DEP_1)
	v_max_num_f32_e32 v1, v1, v5
	ds_store_b32 v7, v1 offset:160
.LBB263_343:
	s_or_b32 exec_lo, exec_lo, s0
	v_cmp_gt_u32_e64 s0, 4, v17
	v_dual_mov_b32 v1, 0xff7fffff :: v_dual_lshlrev_b32 v8, 2, v17
	s_wait_loadcnt_dscnt 0x0
	s_barrier_signal -1
	s_barrier_wait -1
	global_inv scope:SCOPE_SE
	s_and_saveexec_b32 s1, s0
; %bb.344:
	ds_load_b32 v1, v8 offset:160
; %bb.345:
	s_or_b32 exec_lo, exec_lo, s1
	s_wait_dscnt 0x0
	ds_bpermute_b32 v5, v2, v1
	v_xor_b32_e32 v9, 1, v18
	v_max_num_f32_e32 v1, v1, v1
	s_delay_alu instid0(VALU_DEP_2) | instskip(NEXT) | instid1(VALU_DEP_1)
	v_cmp_gt_i32_e64 s1, 32, v9
	v_cndmask_b32_e64 v9, v18, v9, s1
	s_sub_co_i32 s1, s23, s38
	s_wait_alu 0xfffe
	s_lshl_b32 s1, s1, 4
	s_delay_alu instid0(VALU_DEP_1)
	v_dual_mov_b32 v9, 0 :: v_dual_lshlrev_b32 v18, 2, v9
	s_wait_alu 0xfffe
	s_add_co_i32 s1, s1, s35
	s_wait_alu 0xfffe
	s_min_i32 s1, s1, s34
	s_wait_dscnt 0x0
	v_max_num_f32_e32 v5, v5, v5
	s_wait_alu 0xfffe
	s_sub_co_i32 s19, s1, s35
	s_wait_alu 0xfffe
	v_cmp_gt_i32_e64 s1, s19, v0
	v_max_num_f32_e32 v1, v1, v5
	ds_bpermute_b32 v5, v18, v1
	s_wait_dscnt 0x0
	v_max_num_f32_e32 v5, v5, v5
	s_delay_alu instid0(VALU_DEP_1)
	v_max_num_f32_e32 v1, v1, v5
	v_lshl_add_u32 v5, v0, 2, 0xc0
	ds_bpermute_b32 v1, v9, v1
	s_and_saveexec_b32 s35, s1
	s_cbranch_execz .LBB263_349
; %bb.346:
	v_lshl_add_u32 v19, v0, 2, 0xc0
	v_dual_mov_b32 v9, 0 :: v_dual_mov_b32 v20, v0
	s_mov_b32 s38, 0
.LBB263_347:                            ; =>This Inner Loop Header: Depth=1
	ds_load_b32 v21, v19
	v_add_nc_u32_e32 v20, 0x80, v20
	s_delay_alu instid0(VALU_DEP_1) | instskip(SKIP_4) | instid1(VALU_DEP_1)
	v_cmp_le_i32_e64 s3, s19, v20
	s_wait_alu 0xfffe
	s_or_b32 s38, s3, s38
	s_wait_dscnt 0x0
	v_sub_f32_e32 v21, v21, v1
	v_mul_f32_e32 v21, 0x3fb8aa3b, v21
	s_delay_alu instid0(VALU_DEP_1)
	v_exp_f32_e32 v21, v21
	ds_store_b32 v19, v21
	v_add_f32_e32 v9, v9, v21
	v_add_nc_u32_e32 v19, 0x200, v19
	s_wait_alu 0xfffe
	s_and_not1_b32 exec_lo, exec_lo, s38
	s_cbranch_execnz .LBB263_347
; %bb.348:
	s_or_b32 exec_lo, exec_lo, s38
.LBB263_349:
	s_wait_alu 0xfffe
	s_or_b32 exec_lo, exec_lo, s35
	ds_bpermute_b32 v3, v3, v9
	s_wait_dscnt 0x0
	v_add_f32_e32 v3, v9, v3
	ds_bpermute_b32 v4, v4, v3
	s_wait_dscnt 0x0
	v_add_f32_e32 v3, v3, v4
	;; [unrolled: 3-line block ×5, first 2 shown]
	s_and_saveexec_b32 s3, vcc_lo
; %bb.350:
	ds_store_b32 v7, v3 offset:176
; %bb.351:
	s_wait_alu 0xfffe
	s_or_b32 exec_lo, exec_lo, s3
	s_wait_loadcnt_dscnt 0x0
	s_barrier_signal -1
	s_barrier_wait -1
	global_inv scope:SCOPE_SE
	s_and_saveexec_b32 s3, s0
; %bb.352:
	ds_load_b32 v3, v8 offset:176
; %bb.353:
	s_wait_alu 0xfffe
	s_or_b32 exec_lo, exec_lo, s3
	s_wait_dscnt 0x0
	ds_bpermute_b32 v2, v2, v3
	s_wait_dscnt 0x0
	v_add_f32_e32 v2, v3, v2
	ds_bpermute_b32 v3, v18, v2
	s_wait_dscnt 0x0
	v_dual_add_f32 v2, v2, v3 :: v_dual_mov_b32 v3, 0
	ds_bpermute_b32 v2, v3, v2
	s_and_saveexec_b32 s0, s1
	s_cbranch_execz .LBB263_356
; %bb.354:
	s_wait_dscnt 0x0
	v_add_f32_e32 v3, 0x358637bd, v2
	s_mov_b32 s1, 0
	s_delay_alu instid0(VALU_DEP_1) | instskip(SKIP_1) | instid1(VALU_DEP_2)
	v_div_scale_f32 v4, null, v3, v3, 1.0
	v_div_scale_f32 v8, vcc_lo, 1.0, v3, 1.0
	v_rcp_f32_e32 v6, v4
	s_delay_alu instid0(TRANS32_DEP_1) | instskip(NEXT) | instid1(VALU_DEP_1)
	v_fma_f32 v7, -v4, v6, 1.0
	v_fmac_f32_e32 v6, v7, v6
	s_delay_alu instid0(VALU_DEP_1) | instskip(NEXT) | instid1(VALU_DEP_1)
	v_mul_f32_e32 v7, v8, v6
	v_fma_f32 v9, -v4, v7, v8
	s_delay_alu instid0(VALU_DEP_1) | instskip(NEXT) | instid1(VALU_DEP_1)
	v_fmac_f32_e32 v7, v9, v6
	v_fma_f32 v4, -v4, v7, v8
	s_wait_alu 0xfffd
	s_delay_alu instid0(VALU_DEP_1) | instskip(NEXT) | instid1(VALU_DEP_1)
	v_div_fmas_f32 v4, v4, v6, v7
	v_div_fixup_f32 v3, v4, v3, 1.0
	v_mov_b32_e32 v4, v0
.LBB263_355:                            ; =>This Inner Loop Header: Depth=1
	ds_load_b32 v6, v5
	v_add_nc_u32_e32 v4, 0x80, v4
	s_delay_alu instid0(VALU_DEP_1)
	v_cmp_le_i32_e32 vcc_lo, s19, v4
	s_wait_alu 0xfffe
	s_or_b32 s1, vcc_lo, s1
	s_wait_dscnt 0x0
	v_mul_f32_e32 v6, v3, v6
	ds_store_b32 v5, v6
	v_add_nc_u32_e32 v5, 0x200, v5
	s_wait_alu 0xfffe
	s_and_not1_b32 exec_lo, exec_lo, s1
	s_cbranch_execnz .LBB263_355
.LBB263_356:
	s_wait_alu 0xfffe
	s_or_b32 exec_lo, exec_lo, s0
	s_mul_i32 s0, s12, s28
	s_wait_loadcnt_dscnt 0x0
	s_wait_alu 0xfffe
	s_mul_i32 s28, s0, s29
	s_mov_b32 s0, exec_lo
	s_barrier_signal -1
	s_barrier_wait -1
	global_inv scope:SCOPE_SE
	v_cmpx_eq_u32_e32 0, v0
	s_cbranch_execz .LBB263_358
; %bb.357:
	s_ashr_i32 s29, s28, 31
	s_wait_alu 0xfffe
	s_mul_i32 s38, s12, ttmp9
	s_lshl_b32 s1, s33, 2
	s_lshl_b64 s[40:41], s[28:29], 2
	s_wait_alu 0xfffe
	s_ashr_i32 s39, s38, 31
	v_mov_b32_e32 v3, s1
	s_wait_kmcnt 0x0
	s_add_nc_u64 s[6:7], s[6:7], s[40:41]
	s_wait_alu 0xfffe
	s_lshl_b64 s[38:39], s[38:39], 2
	s_add_nc_u64 s[4:5], s[4:5], s[40:41]
	s_wait_alu 0xfffe
	s_add_nc_u64 s[6:7], s[6:7], s[38:39]
	s_add_nc_u64 s[4:5], s[4:5], s[38:39]
	s_clause 0x1
	global_store_b32 v3, v1, s[6:7]
	global_store_b32 v3, v2, s[4:5]
.LBB263_358:
	s_wait_alu 0xfffe
	s_or_b32 exec_lo, exec_lo, s0
	v_dual_mov_b32 v24, 0 :: v_dual_mov_b32 v23, 0
	v_dual_mov_b32 v22, 0 :: v_dual_mov_b32 v19, 0
	v_mov_b32_e32 v20, 0
	s_and_saveexec_b32 s1, s2
	s_cbranch_execz .LBB263_694
; %bb.359:
	s_wait_kmcnt 0x0
	s_abs_i32 s4, s14
	v_dual_mov_b32 v19, 0 :: v_dual_lshlrev_b32 v6, 5, v12
	s_wait_alu 0xfffe
	s_cvt_f32_u32 s0, s4
	s_lshl_b64 s[26:27], s[26:27], 2
	v_dual_mov_b32 v20, 0 :: v_dual_and_b32 v5, 0xf8, v10
	s_wait_alu 0xfffe
	v_rcp_iflag_f32_e32 v1, s0
	s_ashr_i32 s19, s18, 31
	s_add_nc_u64 s[24:25], s[24:25], s[26:27]
	s_sub_co_i32 s5, s37, s13
	s_wait_alu 0xfffe
	s_add_nc_u64 s[18:19], s[30:31], s[18:19]
	v_add_co_u32 v3, s13, s24, v16
	s_sub_co_i32 s7, 0, s4
	v_add_co_ci_u32_e64 v4, null, s25, 0, s13
	s_delay_alu instid0(TRANS32_DEP_1)
	v_readfirstlane_b32 s0, v1
	v_lshl_or_b32 v1, v13, 6, v6
	s_wait_alu 0xfffe
	v_add_co_u32 v5, s13, s18, v5
	v_dual_mov_b32 v2, 0 :: v_dual_and_b32 v21, 8, v10
	s_mul_f32 s0, s0, 0x4f7ffffe
	v_add_co_ci_u32_e64 v6, null, s19, 0, s13
	v_dual_mov_b32 v23, 0 :: v_dual_add_nc_u32 v16, 0xc0, v1
	s_wait_alu 0xfffe
	s_cvt_u32_f32 s0, s0
	v_mov_b32_e32 v22, 0
	v_mov_b32_e32 v24, 0
	s_mov_b32 s2, -1
	s_wait_alu 0xfffe
	s_mul_i32 s7, s7, s0
	s_mov_b32 s6, s17
	s_wait_alu 0xfffe
	s_mul_hi_u32 s13, s0, s7
	s_mov_b32 s3, 0xffffff
	s_add_co_i32 s36, s36, -1
	s_mov_b32 s7, 0
	s_wait_alu 0xfffe
	s_add_co_i32 s13, s0, s13
	s_branch .LBB263_362
.LBB263_360:                            ;   in Loop: Header=BB263_362 Depth=1
	s_wait_alu 0xfffe
	s_or_b32 exec_lo, exec_lo, s0
	v_add_f32_e32 v9, v9, v10
	;;#ASMSTART
	v_pk_mul_f16 v10, v38, v43;

	;;#ASMEND
	;;#ASMSTART
	v_pk_mul_f16 v8, v37, v8;

	;;#ASMEND
	;; [unrolled: 4-line block ×4, first 2 shown]
	;;#ASMSTART
	v_pk_add_f16 v8, v10, v8;

	;;#ASMEND
	;;#ASMSTART
	v_pk_add_f16 v7, v8, v7;

	;;#ASMEND
	;; [unrolled: 4-line block ×3, first 2 shown]
	v_and_b32_e32 v10, 0xffff, v1
	v_lshrrev_b32_e32 v25, 16, v1
	;;#ASMSTART
	v_cvt_f32_f16 v10, v10;
	;;#ASMEND
	v_dual_add_f32 v7, v39, v40 :: v_dual_add_f32 v8, v33, v34
	;;#ASMSTART
	v_cvt_f32_f16 v25, v25;
	;;#ASMEND
	s_delay_alu instid0(VALU_DEP_2) | instskip(NEXT) | instid1(VALU_DEP_2)
	v_dual_add_f32 v1, v41, v42 :: v_dual_add_f32 v10, v10, v25
	v_dual_add_f32 v20, v20, v9 :: v_dual_add_f32 v23, v23, v7
	s_delay_alu instid0(VALU_DEP_3) | instskip(NEXT) | instid1(VALU_DEP_3)
	v_add_f32_e32 v24, v24, v8
	v_dual_add_f32 v22, v22, v1 :: v_dual_add_f32 v19, v19, v10
.LBB263_361:                            ;   in Loop: Header=BB263_362 Depth=1
	s_wait_alu 0xfffe
	s_or_b32 exec_lo, exec_lo, s14
	v_add_nc_u32_e32 v15, 4, v15
	v_add_co_u32 v3, s0, v3, 16
	s_wait_alu 0xf1ff
	v_add_co_ci_u32_e64 v4, null, 0, v4, s0
	s_delay_alu instid0(VALU_DEP_3)
	v_cmp_le_i32_e32 vcc_lo, s23, v15
	v_add_nc_u32_e32 v14, 64, v14
	v_add_nc_u32_e32 v16, 0x100, v16
	s_or_b32 s7, vcc_lo, s7
	s_wait_alu 0xfffe
	s_and_not1_b32 exec_lo, exec_lo, s7
	s_cbranch_execz .LBB263_693
.LBB263_362:                            ; =>This Inner Loop Header: Depth=1
	v_sub_nc_u32_e32 v1, 0, v14
	s_delay_alu instid0(VALU_DEP_1) | instskip(NEXT) | instid1(VALU_DEP_1)
	v_max_i32_e32 v1, v14, v1
	v_mul_hi_u32 v7, v1, s22
	s_delay_alu instid0(VALU_DEP_1) | instskip(NEXT) | instid1(VALU_DEP_1)
	v_mul_lo_u32 v8, v7, s16
	v_sub_nc_u32_e32 v1, v1, v8
	s_delay_alu instid0(VALU_DEP_1) | instskip(SKIP_2) | instid1(VALU_DEP_2)
	v_subrev_nc_u32_e32 v9, s16, v1
	v_cmp_le_u32_e32 vcc_lo, s16, v1
	s_wait_alu 0xfffd
	v_dual_cndmask_b32 v1, v1, v9 :: v_dual_add_nc_u32 v8, 1, v7
	s_delay_alu instid0(VALU_DEP_1) | instskip(SKIP_1) | instid1(VALU_DEP_3)
	v_cndmask_b32_e32 v7, v7, v8, vcc_lo
	v_ashrrev_i32_e32 v8, 31, v14
	v_cmp_le_u32_e32 vcc_lo, s16, v1
	s_delay_alu instid0(VALU_DEP_3) | instskip(NEXT) | instid1(VALU_DEP_3)
	v_add_nc_u32_e32 v9, 1, v7
	v_xor_b32_e32 v8, s15, v8
	s_wait_alu 0xfffd
	s_delay_alu instid0(VALU_DEP_2) | instskip(NEXT) | instid1(VALU_DEP_1)
	v_cndmask_b32_e32 v1, v7, v9, vcc_lo
	v_xor_b32_e32 v1, v1, v8
	s_delay_alu instid0(VALU_DEP_1) | instskip(NEXT) | instid1(VALU_DEP_1)
	v_sub_nc_u32_e32 v1, v1, v8
	v_add_nc_u32_e32 v7, s21, v1
	v_cmp_lt_i32_e64 s0, s5, v1
	s_delay_alu instid0(VALU_DEP_2) | instskip(NEXT) | instid1(VALU_DEP_1)
	v_sub_nc_u32_e32 v8, 0, v7
	v_max_i32_e32 v8, v7, v8
	v_ashrrev_i32_e32 v7, 31, v7
	s_wait_alu 0xfffe
	s_delay_alu instid0(VALU_DEP_2) | instskip(NEXT) | instid1(VALU_DEP_1)
	v_mul_hi_u32 v9, v8, s13
	v_mul_lo_u32 v9, v9, s4
	s_delay_alu instid0(VALU_DEP_1) | instskip(NEXT) | instid1(VALU_DEP_1)
	v_sub_nc_u32_e32 v8, v8, v9
	v_subrev_nc_u32_e32 v9, s4, v8
	v_cmp_le_u32_e32 vcc_lo, s4, v8
	s_wait_alu 0xfffd
	s_delay_alu instid0(VALU_DEP_2) | instskip(NEXT) | instid1(VALU_DEP_1)
	v_cndmask_b32_e32 v8, v8, v9, vcc_lo
	v_subrev_nc_u32_e32 v9, s4, v8
	v_cmp_le_u32_e32 vcc_lo, s4, v8
	s_wait_alu 0xfffd
	s_delay_alu instid0(VALU_DEP_2) | instskip(NEXT) | instid1(VALU_DEP_1)
	v_cndmask_b32_e32 v8, v8, v9, vcc_lo
	v_xor_b32_e32 v8, v8, v7
	s_delay_alu instid0(VALU_DEP_1) | instskip(NEXT) | instid1(VALU_DEP_1)
	v_sub_nc_u32_e32 v7, v8, v7
	v_cmp_eq_u32_e32 vcc_lo, 0, v7
	s_or_b32 s0, vcc_lo, s0
	s_wait_alu 0xfffe
	s_and_saveexec_b32 s14, s0
	s_cbranch_execz .LBB263_361
; %bb.363:                              ;   in Loop: Header=BB263_362 Depth=1
	global_load_b32 v1, v[3:4], off
	ds_load_2addr_b64 v[25:28], v16 offset1:1
	ds_load_2addr_b64 v[29:32], v16 offset0:2 offset1:3
	s_mov_b32 s0, exec_lo
	s_wait_dscnt 0x1
	;;#ASMSTART
	v_cvt_f16_f32 v33, v25;

	;;#ASMEND
	;;#ASMSTART
	v_cvt_f16_f32 v34, v26;

	;;#ASMEND
	;; [unrolled: 4-line block ×4, first 2 shown]
	s_wait_dscnt 0x0
	;;#ASMSTART
	v_cvt_f16_f32 v38, v29;

	;;#ASMEND
	;;#ASMSTART
	v_cvt_f16_f32 v36, v30;

	;;#ASMEND
	;; [unrolled: 4-line block ×4, first 2 shown]
	v_dual_mov_b32 v27, 0 :: v_dual_mov_b32 v28, 0
	global_load_b32 v26, v27, s[10:11]
	s_wait_loadcnt 0x1
	v_mad_co_i64_i32 v[7:8], null, v1, s6, v[5:6]
	global_load_b64 v[9:10], v[7:8], off
	s_wait_loadcnt 0x0
	v_and_b32_e32 v1, 0xff, v9
	s_delay_alu instid0(VALU_DEP_1)
	v_cmpx_ne_u16_e32 0, v1
	s_cbranch_execz .LBB263_371
; %bb.364:                              ;   in Loop: Header=BB263_362 Depth=1
	v_mov_b32_e32 v28, 0x8000
	s_mov_b32 s17, exec_lo
	v_cmpx_ne_u16_e32 0x80, v1
	s_cbranch_execz .LBB263_370
; %bb.365:                              ;   in Loop: Header=BB263_362 Depth=1
	v_and_b32_e32 v29, 0x7f, v9
	v_mov_b32_e32 v28, 0x7c01
	s_mov_b32 s18, exec_lo
	s_delay_alu instid0(VALU_DEP_2)
	v_cmpx_ne_u32_e32 0x7f, v29
	s_cbranch_execz .LBB263_369
; %bb.366:                              ;   in Loop: Header=BB263_362 Depth=1
	v_and_b32_e32 v1, 7, v9
	v_lshrrev_b32_e32 v25, 3, v29
	s_mov_b32 s19, exec_lo
	v_cmpx_gt_u32_e32 8, v29
; %bb.367:                              ;   in Loop: Header=BB263_362 Depth=1
	s_delay_alu instid0(VALU_DEP_3) | instskip(NEXT) | instid1(VALU_DEP_1)
	v_clz_i32_u32_e32 v1, v1
	v_min_u32_e32 v1, 32, v1
	s_delay_alu instid0(VALU_DEP_1) | instskip(NEXT) | instid1(VALU_DEP_1)
	v_subrev_nc_u32_e32 v25, 28, v1
	v_lshlrev_b64_e32 v[28:29], v25, v[9:10]
	v_sub_nc_u32_e32 v25, 29, v1
	s_delay_alu instid0(VALU_DEP_2)
	v_and_b32_e32 v1, 7, v28
; %bb.368:                              ;   in Loop: Header=BB263_362 Depth=1
	s_wait_alu 0xfffe
	s_or_b32 exec_lo, exec_lo, s19
	v_lshlrev_b32_e32 v28, 8, v9
	v_lshl_add_u32 v25, v25, 10, 0x2000
	v_lshlrev_b32_e32 v1, 7, v1
	s_delay_alu instid0(VALU_DEP_3) | instskip(NEXT) | instid1(VALU_DEP_3)
	v_and_b32_e32 v28, 0x8000, v28
	v_and_b32_e32 v25, 0xfc00, v25
	s_delay_alu instid0(VALU_DEP_1)
	v_or3_b32 v28, v28, v25, v1
.LBB263_369:                            ;   in Loop: Header=BB263_362 Depth=1
	s_wait_alu 0xfffe
	s_or_b32 exec_lo, exec_lo, s18
.LBB263_370:                            ;   in Loop: Header=BB263_362 Depth=1
	s_wait_alu 0xfffe
	s_or_b32 exec_lo, exec_lo, s17
.LBB263_371:                            ;   in Loop: Header=BB263_362 Depth=1
	s_wait_alu 0xfffe
	s_or_b32 exec_lo, exec_lo, s0
	v_lshrrev_b16 v1, 8, v9
	s_mov_b32 s0, exec_lo
	s_delay_alu instid0(VALU_DEP_1)
	v_cmpx_ne_u16_e32 0, v1
	s_cbranch_execz .LBB263_379
; %bb.372:                              ;   in Loop: Header=BB263_362 Depth=1
	v_bfrev_b32_e32 v27, 1
	s_mov_b32 s17, exec_lo
	v_cmpx_ne_u16_e32 0x80, v1
	s_cbranch_execz .LBB263_378
; %bb.373:                              ;   in Loop: Header=BB263_362 Depth=1
	v_and_b32_e32 v25, 0xffff, v1
	v_mov_b32_e32 v27, 0x7c010000
	s_mov_b32 s18, exec_lo
	s_delay_alu instid0(VALU_DEP_2) | instskip(NEXT) | instid1(VALU_DEP_1)
	v_and_b32_e32 v30, 0x7f, v25
	v_cmpx_ne_u32_e32 0x7f, v30
	s_cbranch_execz .LBB263_377
; %bb.374:                              ;   in Loop: Header=BB263_362 Depth=1
	v_and_b32_e32 v27, 7, v25
	v_lshrrev_b32_e32 v29, 3, v30
	s_mov_b32 s19, exec_lo
	v_cmpx_gt_u32_e32 8, v30
; %bb.375:                              ;   in Loop: Header=BB263_362 Depth=1
	s_delay_alu instid0(VALU_DEP_3) | instskip(NEXT) | instid1(VALU_DEP_1)
	v_clz_i32_u32_e32 v27, v27
	v_min_u32_e32 v27, 32, v27
	s_delay_alu instid0(VALU_DEP_1) | instskip(NEXT) | instid1(VALU_DEP_1)
	v_subrev_nc_u32_e32 v29, 28, v27
	v_lshlrev_b64_e32 v[30:31], v29, v[1:2]
	v_sub_nc_u32_e32 v29, 29, v27
	s_delay_alu instid0(VALU_DEP_2)
	v_and_b32_e32 v27, 7, v30
; %bb.376:                              ;   in Loop: Header=BB263_362 Depth=1
	s_wait_alu 0xfffe
	s_or_b32 exec_lo, exec_lo, s19
	v_lshlrev_b32_e32 v1, 8, v25
	v_lshl_add_u32 v25, v29, 10, 0x2000
	s_delay_alu instid0(VALU_DEP_1) | instskip(SKIP_1) | instid1(VALU_DEP_1)
	v_and_or_b32 v1, 0x8000, v1, v25
	v_lshlrev_b32_e32 v25, 23, v27
	v_lshl_or_b32 v27, v1, 16, v25
.LBB263_377:                            ;   in Loop: Header=BB263_362 Depth=1
	s_wait_alu 0xfffe
	s_or_b32 exec_lo, exec_lo, s18
.LBB263_378:                            ;   in Loop: Header=BB263_362 Depth=1
	s_wait_alu 0xfffe
	s_or_b32 exec_lo, exec_lo, s17
.LBB263_379:                            ;   in Loop: Header=BB263_362 Depth=1
	s_wait_alu 0xfffe
	s_or_b32 exec_lo, exec_lo, s0
	v_lshrrev_b32_e32 v1, 16, v9
	v_mov_b32_e32 v25, 0
	s_mov_b32 s0, exec_lo
	s_delay_alu instid0(VALU_DEP_2) | instskip(NEXT) | instid1(VALU_DEP_1)
	v_dual_mov_b32 v29, 0 :: v_dual_and_b32 v30, 0xff, v1
	v_cmpx_ne_u16_e32 0, v30
	s_cbranch_execz .LBB263_387
; %bb.380:                              ;   in Loop: Header=BB263_362 Depth=1
	v_mov_b32_e32 v25, 0x8000
	s_mov_b32 s17, exec_lo
	v_cmpx_ne_u16_e32 0x80, v30
	s_cbranch_execz .LBB263_386
; %bb.381:                              ;   in Loop: Header=BB263_362 Depth=1
	v_bfe_u32 v31, v9, 16, 7
	v_mov_b32_e32 v25, 0x7c01
	s_mov_b32 s18, exec_lo
	s_delay_alu instid0(VALU_DEP_2)
	v_cmpx_ne_u32_e32 0x7f, v31
	s_cbranch_execz .LBB263_385
; %bb.382:                              ;   in Loop: Header=BB263_362 Depth=1
	v_and_b32_e32 v25, 7, v1
	v_lshrrev_b32_e32 v30, 3, v31
	s_mov_b32 s19, exec_lo
	v_cmpx_gt_u32_e32 8, v31
; %bb.383:                              ;   in Loop: Header=BB263_362 Depth=1
	s_delay_alu instid0(VALU_DEP_3) | instskip(NEXT) | instid1(VALU_DEP_1)
	v_clz_i32_u32_e32 v25, v25
	v_min_u32_e32 v25, 32, v25
	s_delay_alu instid0(VALU_DEP_1) | instskip(NEXT) | instid1(VALU_DEP_1)
	v_subrev_nc_u32_e32 v30, 28, v25
	v_lshlrev_b64_e32 v[31:32], v30, v[1:2]
	v_sub_nc_u32_e32 v30, 29, v25
	s_delay_alu instid0(VALU_DEP_2)
	v_and_b32_e32 v25, 7, v31
; %bb.384:                              ;   in Loop: Header=BB263_362 Depth=1
	s_wait_alu 0xfffe
	s_or_b32 exec_lo, exec_lo, s19
	v_lshlrev_b32_e32 v1, 8, v1
	v_lshl_add_u32 v30, v30, 10, 0x2000
	v_lshlrev_b32_e32 v25, 7, v25
	s_delay_alu instid0(VALU_DEP_3) | instskip(NEXT) | instid1(VALU_DEP_3)
	v_and_b32_e32 v1, 0x8000, v1
	v_and_b32_e32 v30, 0xfc00, v30
	s_delay_alu instid0(VALU_DEP_1)
	v_or3_b32 v25, v1, v30, v25
.LBB263_385:                            ;   in Loop: Header=BB263_362 Depth=1
	s_wait_alu 0xfffe
	s_or_b32 exec_lo, exec_lo, s18
.LBB263_386:                            ;   in Loop: Header=BB263_362 Depth=1
	s_wait_alu 0xfffe
	s_or_b32 exec_lo, exec_lo, s17
.LBB263_387:                            ;   in Loop: Header=BB263_362 Depth=1
	s_wait_alu 0xfffe
	s_or_b32 exec_lo, exec_lo, s0
	s_delay_alu instid0(SALU_CYCLE_1)
	s_mov_b32 s0, exec_lo
	v_cmpx_lt_u32_e32 0xffffff, v9
	s_cbranch_execz .LBB263_395
; %bb.388:                              ;   in Loop: Header=BB263_362 Depth=1
	v_lshrrev_b32_e32 v1, 24, v9
	v_bfrev_b32_e32 v29, 1
	s_mov_b32 s17, exec_lo
	s_delay_alu instid0(VALU_DEP_2)
	v_cmpx_ne_u32_e32 0x80, v1
	s_cbranch_execz .LBB263_394
; %bb.389:                              ;   in Loop: Header=BB263_362 Depth=1
	v_and_b32_e32 v31, 0x7f, v1
	v_mov_b32_e32 v29, 0x7c010000
	s_mov_b32 s18, exec_lo
	s_delay_alu instid0(VALU_DEP_2)
	v_cmpx_ne_u32_e32 0x7f, v31
	s_cbranch_execz .LBB263_393
; %bb.390:                              ;   in Loop: Header=BB263_362 Depth=1
	v_and_b32_e32 v29, 7, v1
	v_lshrrev_b32_e32 v30, 3, v31
	s_mov_b32 s19, exec_lo
	v_cmpx_gt_u32_e32 8, v31
; %bb.391:                              ;   in Loop: Header=BB263_362 Depth=1
	s_delay_alu instid0(VALU_DEP_3) | instskip(NEXT) | instid1(VALU_DEP_1)
	v_clz_i32_u32_e32 v29, v29
	v_min_u32_e32 v31, 32, v29
	s_delay_alu instid0(VALU_DEP_1) | instskip(NEXT) | instid1(VALU_DEP_1)
	v_subrev_nc_u32_e32 v29, 28, v31
	v_lshlrev_b64_e32 v[29:30], v29, v[1:2]
	v_sub_nc_u32_e32 v30, 29, v31
	s_delay_alu instid0(VALU_DEP_2)
	v_and_b32_e32 v29, 7, v29
; %bb.392:                              ;   in Loop: Header=BB263_362 Depth=1
	s_wait_alu 0xfffe
	s_or_b32 exec_lo, exec_lo, s19
	v_lshlrev_b32_e32 v1, 8, v1
	v_lshl_add_u32 v30, v30, 10, 0x2000
	v_lshlrev_b32_e32 v29, 23, v29
	s_delay_alu instid0(VALU_DEP_2) | instskip(NEXT) | instid1(VALU_DEP_1)
	v_and_or_b32 v1, 0x8000, v1, v30
	v_lshl_or_b32 v29, v1, 16, v29
.LBB263_393:                            ;   in Loop: Header=BB263_362 Depth=1
	s_wait_alu 0xfffe
	s_or_b32 exec_lo, exec_lo, s18
.LBB263_394:                            ;   in Loop: Header=BB263_362 Depth=1
	s_wait_alu 0xfffe
	s_or_b32 exec_lo, exec_lo, s17
.LBB263_395:                            ;   in Loop: Header=BB263_362 Depth=1
	s_wait_alu 0xfffe
	s_or_b32 exec_lo, exec_lo, s0
	v_dual_mov_b32 v1, v10 :: v_dual_and_b32 v32, 0xff, v10
	v_dual_mov_b32 v30, 0 :: v_dual_mov_b32 v31, 0
	s_mov_b32 s0, exec_lo
	s_delay_alu instid0(VALU_DEP_2)
	v_cmpx_ne_u16_e32 0, v32
	s_cbranch_execz .LBB263_403
; %bb.396:                              ;   in Loop: Header=BB263_362 Depth=1
	v_mov_b32_e32 v31, 0x8000
	s_mov_b32 s17, exec_lo
	v_cmpx_ne_u16_e32 0x80, v32
	s_cbranch_execz .LBB263_402
; %bb.397:                              ;   in Loop: Header=BB263_362 Depth=1
	v_and_b32_e32 v41, 0x7f, v10
	v_mov_b32_e32 v31, 0x7c01
	s_mov_b32 s18, exec_lo
	s_delay_alu instid0(VALU_DEP_2)
	v_cmpx_ne_u32_e32 0x7f, v41
	s_cbranch_execz .LBB263_401
; %bb.398:                              ;   in Loop: Header=BB263_362 Depth=1
	v_and_b32_e32 v31, 7, v10
	v_lshrrev_b32_e32 v32, 3, v41
	s_mov_b32 s19, exec_lo
	v_cmpx_gt_u32_e32 8, v41
; %bb.399:                              ;   in Loop: Header=BB263_362 Depth=1
	s_delay_alu instid0(VALU_DEP_3) | instskip(NEXT) | instid1(VALU_DEP_1)
	v_clz_i32_u32_e32 v31, v31
	v_min_u32_e32 v41, 32, v31
	s_delay_alu instid0(VALU_DEP_1) | instskip(NEXT) | instid1(VALU_DEP_1)
	v_subrev_nc_u32_e32 v31, 28, v41
	v_lshlrev_b64_e32 v[31:32], v31, v[1:2]
	v_sub_nc_u32_e32 v32, 29, v41
	s_delay_alu instid0(VALU_DEP_2)
	v_and_b32_e32 v31, 7, v31
; %bb.400:                              ;   in Loop: Header=BB263_362 Depth=1
	s_wait_alu 0xfffe
	s_or_b32 exec_lo, exec_lo, s19
	v_lshlrev_b32_e32 v41, 8, v10
	v_lshl_add_u32 v32, v32, 10, 0x2000
	v_lshlrev_b32_e32 v31, 7, v31
	s_delay_alu instid0(VALU_DEP_3) | instskip(NEXT) | instid1(VALU_DEP_3)
	v_and_b32_e32 v41, 0x8000, v41
	v_and_b32_e32 v32, 0xfc00, v32
	s_delay_alu instid0(VALU_DEP_1)
	v_or3_b32 v31, v41, v32, v31
.LBB263_401:                            ;   in Loop: Header=BB263_362 Depth=1
	s_wait_alu 0xfffe
	s_or_b32 exec_lo, exec_lo, s18
.LBB263_402:                            ;   in Loop: Header=BB263_362 Depth=1
	s_wait_alu 0xfffe
	s_or_b32 exec_lo, exec_lo, s17
.LBB263_403:                            ;   in Loop: Header=BB263_362 Depth=1
	s_wait_alu 0xfffe
	s_or_b32 exec_lo, exec_lo, s0
	v_lshrrev_b16 v1, 8, v1
	v_mov_b32_e32 v32, 0
	s_mov_b32 s0, exec_lo
	s_delay_alu instid0(VALU_DEP_2)
	v_cmpx_ne_u16_e32 0, v1
	s_cbranch_execz .LBB263_411
; %bb.404:                              ;   in Loop: Header=BB263_362 Depth=1
	v_bfrev_b32_e32 v32, 1
	s_mov_b32 s17, exec_lo
	v_cmpx_ne_u16_e32 0x80, v1
	s_cbranch_execz .LBB263_410
; %bb.405:                              ;   in Loop: Header=BB263_362 Depth=1
	v_and_b32_e32 v41, 0xffff, v1
	v_mov_b32_e32 v32, 0x7c010000
	s_mov_b32 s18, exec_lo
	s_delay_alu instid0(VALU_DEP_2) | instskip(NEXT) | instid1(VALU_DEP_1)
	v_and_b32_e32 v43, 0x7f, v41
	v_cmpx_ne_u32_e32 0x7f, v43
	s_cbranch_execz .LBB263_409
; %bb.406:                              ;   in Loop: Header=BB263_362 Depth=1
	v_and_b32_e32 v32, 7, v41
	v_lshrrev_b32_e32 v42, 3, v43
	s_mov_b32 s19, exec_lo
	v_cmpx_gt_u32_e32 8, v43
; %bb.407:                              ;   in Loop: Header=BB263_362 Depth=1
	s_delay_alu instid0(VALU_DEP_3) | instskip(NEXT) | instid1(VALU_DEP_1)
	v_clz_i32_u32_e32 v32, v32
	v_min_u32_e32 v32, 32, v32
	s_delay_alu instid0(VALU_DEP_1) | instskip(NEXT) | instid1(VALU_DEP_1)
	v_subrev_nc_u32_e32 v42, 28, v32
	v_lshlrev_b64_e32 v[43:44], v42, v[1:2]
	v_sub_nc_u32_e32 v42, 29, v32
	s_delay_alu instid0(VALU_DEP_2)
	v_and_b32_e32 v32, 7, v43
; %bb.408:                              ;   in Loop: Header=BB263_362 Depth=1
	s_wait_alu 0xfffe
	s_or_b32 exec_lo, exec_lo, s19
	v_lshlrev_b32_e32 v1, 8, v41
	v_lshl_add_u32 v41, v42, 10, 0x2000
	v_lshlrev_b32_e32 v32, 23, v32
	s_delay_alu instid0(VALU_DEP_2) | instskip(NEXT) | instid1(VALU_DEP_1)
	v_and_or_b32 v1, 0x8000, v1, v41
	v_lshl_or_b32 v32, v1, 16, v32
.LBB263_409:                            ;   in Loop: Header=BB263_362 Depth=1
	s_wait_alu 0xfffe
	s_or_b32 exec_lo, exec_lo, s18
.LBB263_410:                            ;   in Loop: Header=BB263_362 Depth=1
	s_wait_alu 0xfffe
	s_or_b32 exec_lo, exec_lo, s17
.LBB263_411:                            ;   in Loop: Header=BB263_362 Depth=1
	s_wait_alu 0xfffe
	s_or_b32 exec_lo, exec_lo, s0
	v_lshrrev_b32_e32 v1, 16, v10
	s_mov_b32 s0, exec_lo
	s_delay_alu instid0(VALU_DEP_1) | instskip(NEXT) | instid1(VALU_DEP_1)
	v_and_b32_e32 v41, 0xff, v1
	v_cmpx_ne_u16_e32 0, v41
	s_cbranch_execz .LBB263_419
; %bb.412:                              ;   in Loop: Header=BB263_362 Depth=1
	v_mov_b32_e32 v30, 0x8000
	s_mov_b32 s17, exec_lo
	v_cmpx_ne_u16_e32 0x80, v41
	s_cbranch_execz .LBB263_418
; %bb.413:                              ;   in Loop: Header=BB263_362 Depth=1
	v_bfe_u32 v42, v10, 16, 7
	v_mov_b32_e32 v30, 0x7c01
	s_mov_b32 s18, exec_lo
	s_delay_alu instid0(VALU_DEP_2)
	v_cmpx_ne_u32_e32 0x7f, v42
	s_cbranch_execz .LBB263_417
; %bb.414:                              ;   in Loop: Header=BB263_362 Depth=1
	v_and_b32_e32 v30, 7, v1
	v_lshrrev_b32_e32 v41, 3, v42
	s_mov_b32 s19, exec_lo
	v_cmpx_gt_u32_e32 8, v42
; %bb.415:                              ;   in Loop: Header=BB263_362 Depth=1
	s_delay_alu instid0(VALU_DEP_3) | instskip(NEXT) | instid1(VALU_DEP_1)
	v_clz_i32_u32_e32 v30, v30
	v_min_u32_e32 v30, 32, v30
	s_delay_alu instid0(VALU_DEP_1) | instskip(NEXT) | instid1(VALU_DEP_1)
	v_subrev_nc_u32_e32 v41, 28, v30
	v_lshlrev_b64_e32 v[42:43], v41, v[1:2]
	v_sub_nc_u32_e32 v41, 29, v30
	s_delay_alu instid0(VALU_DEP_2)
	v_and_b32_e32 v30, 7, v42
; %bb.416:                              ;   in Loop: Header=BB263_362 Depth=1
	s_wait_alu 0xfffe
	s_or_b32 exec_lo, exec_lo, s19
	v_lshlrev_b32_e32 v1, 8, v1
	v_lshl_add_u32 v41, v41, 10, 0x2000
	v_lshlrev_b32_e32 v30, 7, v30
	s_delay_alu instid0(VALU_DEP_3) | instskip(NEXT) | instid1(VALU_DEP_3)
	v_and_b32_e32 v1, 0x8000, v1
	v_and_b32_e32 v41, 0xfc00, v41
	s_delay_alu instid0(VALU_DEP_1)
	v_or3_b32 v30, v1, v41, v30
.LBB263_417:                            ;   in Loop: Header=BB263_362 Depth=1
	s_wait_alu 0xfffe
	s_or_b32 exec_lo, exec_lo, s18
.LBB263_418:                            ;   in Loop: Header=BB263_362 Depth=1
	s_wait_alu 0xfffe
	s_or_b32 exec_lo, exec_lo, s17
.LBB263_419:                            ;   in Loop: Header=BB263_362 Depth=1
	s_wait_alu 0xfffe
	s_or_b32 exec_lo, exec_lo, s0
	v_cmp_lt_u64_e32 vcc_lo, s[2:3], v[9:10]
	v_mov_b32_e32 v9, 0
	s_and_saveexec_b32 s0, vcc_lo
	s_cbranch_execz .LBB263_427
; %bb.420:                              ;   in Loop: Header=BB263_362 Depth=1
	v_lshrrev_b32_e32 v1, 24, v10
	v_bfrev_b32_e32 v9, 1
	s_mov_b32 s17, exec_lo
	s_delay_alu instid0(VALU_DEP_2)
	v_cmpx_ne_u32_e32 0x80, v1
	s_cbranch_execz .LBB263_426
; %bb.421:                              ;   in Loop: Header=BB263_362 Depth=1
	v_and_b32_e32 v41, 0x7f, v1
	v_mov_b32_e32 v9, 0x7c010000
	s_mov_b32 s18, exec_lo
	s_delay_alu instid0(VALU_DEP_2)
	v_cmpx_ne_u32_e32 0x7f, v41
	s_cbranch_execz .LBB263_425
; %bb.422:                              ;   in Loop: Header=BB263_362 Depth=1
	v_and_b32_e32 v9, 7, v1
	v_lshrrev_b32_e32 v10, 3, v41
	s_mov_b32 s19, exec_lo
	v_cmpx_gt_u32_e32 8, v41
; %bb.423:                              ;   in Loop: Header=BB263_362 Depth=1
	s_delay_alu instid0(VALU_DEP_3) | instskip(NEXT) | instid1(VALU_DEP_1)
	v_clz_i32_u32_e32 v9, v9
	v_min_u32_e32 v41, 32, v9
	s_delay_alu instid0(VALU_DEP_1) | instskip(NEXT) | instid1(VALU_DEP_1)
	v_subrev_nc_u32_e32 v9, 28, v41
	v_lshlrev_b64_e32 v[9:10], v9, v[1:2]
	v_sub_nc_u32_e32 v10, 29, v41
	s_delay_alu instid0(VALU_DEP_2)
	v_and_b32_e32 v9, 7, v9
; %bb.424:                              ;   in Loop: Header=BB263_362 Depth=1
	s_wait_alu 0xfffe
	s_or_b32 exec_lo, exec_lo, s19
	v_lshlrev_b32_e32 v1, 8, v1
	v_lshl_add_u32 v10, v10, 10, 0x2000
	v_lshlrev_b32_e32 v9, 23, v9
	s_delay_alu instid0(VALU_DEP_2) | instskip(NEXT) | instid1(VALU_DEP_1)
	v_and_or_b32 v1, 0x8000, v1, v10
	v_lshl_or_b32 v9, v1, 16, v9
.LBB263_425:                            ;   in Loop: Header=BB263_362 Depth=1
	s_wait_alu 0xfffe
	s_or_b32 exec_lo, exec_lo, s18
.LBB263_426:                            ;   in Loop: Header=BB263_362 Depth=1
	s_wait_alu 0xfffe
	s_or_b32 exec_lo, exec_lo, s17
.LBB263_427:                            ;   in Loop: Header=BB263_362 Depth=1
	s_wait_alu 0xfffe
	s_or_b32 exec_lo, exec_lo, s0
	v_or_b32_e32 v1, v29, v25
	v_fma_mixlo_f16 v10, v26, v29, 0 op_sel:[0,1,0] op_sel_hi:[0,1,0]
	v_or_b32_e32 v28, v27, v28
	v_fma_mixlo_f16 v27, v26, v27, 0 op_sel:[0,1,0] op_sel_hi:[0,1,0]
	v_or_b32_e32 v29, v32, v31
	v_fma_mixlo_f16 v1, v26, v1, 0 op_sel_hi:[0,1,0]
	v_or_b32_e32 v30, v9, v30
	v_fma_mixlo_f16 v9, v26, v9, 0 op_sel:[0,1,0] op_sel_hi:[0,1,0]
	v_lshlrev_b32_e32 v47, 16, v27
	v_fma_mixlo_f16 v27, v26, v32, 0 op_sel:[0,1,0] op_sel_hi:[0,1,0]
	v_and_b32_e32 v44, 0xffff, v1
	v_fma_mixlo_f16 v1, v26, v28, 0 op_sel_hi:[0,1,0]
	v_fma_mixlo_f16 v28, v26, v29, 0 op_sel_hi:[0,1,0]
	;; [unrolled: 1-line block ×3, first 2 shown]
	v_add_nc_u32_e32 v25, v21, v14
	v_lshlrev_b32_e32 v10, 16, v10
	v_and_b32_e32 v49, 0xffff, v1
	v_lshlrev_b32_e32 v45, 16, v27
	v_and_b32_e32 v48, 0xffff, v28
	;; [unrolled: 2-line block ×3, first 2 shown]
	v_cmp_eq_u32_e32 vcc_lo, s36, v15
	v_or_b32_e32 v1, v10, v44
	v_or_b32_e32 v9, v47, v49
	;; [unrolled: 1-line block ×4, first 2 shown]
	v_add_nc_u32_e32 v32, 1, v25
	v_add_nc_u32_e32 v31, 2, v25
	;; [unrolled: 1-line block ×7, first 2 shown]
	s_and_saveexec_b32 s17, vcc_lo
	s_cbranch_execz .LBB263_429
; %bb.428:                              ;   in Loop: Header=BB263_362 Depth=1
	v_cmp_gt_i32_e64 s0, s34, v25
	s_wait_alu 0xf1ff
	s_delay_alu instid0(VALU_DEP_1) | instskip(SKIP_2) | instid1(VALU_DEP_1)
	v_cndmask_b32_e64 v1, 0, v49, s0
	v_cmp_gt_i32_e64 s0, s34, v32
	s_wait_alu 0xf1ff
	v_cndmask_b32_e64 v9, 0, v47, s0
	v_cmp_gt_i32_e64 s0, s34, v31
	s_delay_alu instid0(VALU_DEP_2) | instskip(SKIP_1) | instid1(VALU_DEP_2)
	v_or_b32_e32 v9, v9, v1
	s_wait_alu 0xf1ff
	v_cndmask_b32_e64 v41, 0, v44, s0
	v_cmp_gt_i32_e64 s0, s34, v30
	s_wait_alu 0xf1ff
	s_delay_alu instid0(VALU_DEP_1) | instskip(SKIP_1) | instid1(VALU_DEP_2)
	v_cndmask_b32_e64 v10, 0, v10, s0
	v_cmp_gt_i32_e64 s0, s34, v29
	v_or_b32_e32 v1, v10, v41
	s_wait_alu 0xf1ff
	s_delay_alu instid0(VALU_DEP_2) | instskip(SKIP_2) | instid1(VALU_DEP_1)
	v_cndmask_b32_e64 v43, 0, v48, s0
	v_cmp_gt_i32_e64 s0, s34, v28
	s_wait_alu 0xf1ff
	v_cndmask_b32_e64 v44, 0, v45, s0
	v_cmp_gt_i32_e64 s0, s34, v27
	s_delay_alu instid0(VALU_DEP_2) | instskip(SKIP_1) | instid1(VALU_DEP_2)
	v_or_b32_e32 v41, v44, v43
	s_wait_alu 0xf1ff
	v_cndmask_b32_e64 v45, 0, v46, s0
	v_cmp_gt_i32_e64 s0, s34, v26
	s_wait_alu 0xf1ff
	s_delay_alu instid0(VALU_DEP_1) | instskip(NEXT) | instid1(VALU_DEP_1)
	v_cndmask_b32_e64 v42, 0, v42, s0
	v_or_b32_e32 v43, v42, v45
.LBB263_429:                            ;   in Loop: Header=BB263_362 Depth=1
	s_wait_alu 0xfffe
	s_or_b32 exec_lo, exec_lo, s17
	v_and_b32_e32 v10, 0xffff, v33
	v_and_b32_e32 v33, 0xffff, v37
	;; [unrolled: 1-line block ×4, first 2 shown]
	s_mov_b32 s17, exec_lo
	v_lshl_or_b32 v38, v34, 16, v10
	v_lshl_or_b32 v37, v35, 16, v33
	;;#ASMSTART
	v_pk_mul_f16 v9, v38, v9;

	;;#ASMEND
	;;#ASMSTART
	v_pk_mul_f16 v1, v37, v1;

	;;#ASMEND
	v_lshl_or_b32 v36, v36, 16, v42
	v_lshl_or_b32 v35, v39, 16, v40
	;;#ASMSTART
	v_pk_mul_f16 v10, v36, v41;

	;;#ASMEND
	;;#ASMSTART
	v_pk_mul_f16 v33, v35, v43;

	;;#ASMEND
	;;#ASMSTART
	v_pk_add_f16 v1, v9, v1;

	;;#ASMEND
	;;#ASMSTART
	v_pk_add_f16 v1, v1, v10;
	;; [unrolled: 4-line block ×3, first 2 shown]

	;;#ASMEND
	v_and_b32_e32 v9, 0xffff, v1
	v_lshrrev_b32_e32 v1, 16, v1
	;;#ASMSTART
	v_cvt_f32_f16 v33, v9;
	;;#ASMEND
	;;#ASMSTART
	v_cvt_f32_f16 v34, v1;
	;;#ASMEND
	global_load_b64 v[9:10], v[7:8], off offset:256
	v_dual_mov_b32 v40, 0 :: v_dual_mov_b32 v41, 0
	global_load_b32 v39, v40, s[10:11]
	s_wait_loadcnt 0x1
	v_and_b32_e32 v1, 0xff, v9
	s_delay_alu instid0(VALU_DEP_1)
	v_cmpx_ne_u16_e32 0, v1
	s_cbranch_execz .LBB263_437
; %bb.430:                              ;   in Loop: Header=BB263_362 Depth=1
	v_mov_b32_e32 v41, 0x8000
	s_mov_b32 s18, exec_lo
	v_cmpx_ne_u16_e32 0x80, v1
	s_cbranch_execz .LBB263_436
; %bb.431:                              ;   in Loop: Header=BB263_362 Depth=1
	v_and_b32_e32 v42, 0x7f, v9
	v_mov_b32_e32 v41, 0x7c01
	s_mov_b32 s19, exec_lo
	s_delay_alu instid0(VALU_DEP_2)
	v_cmpx_ne_u32_e32 0x7f, v42
	s_cbranch_execz .LBB263_435
; %bb.432:                              ;   in Loop: Header=BB263_362 Depth=1
	v_and_b32_e32 v1, 7, v9
	v_lshrrev_b32_e32 v41, 3, v42
	s_mov_b32 s24, exec_lo
	v_cmpx_gt_u32_e32 8, v42
; %bb.433:                              ;   in Loop: Header=BB263_362 Depth=1
	s_delay_alu instid0(VALU_DEP_3) | instskip(NEXT) | instid1(VALU_DEP_1)
	v_clz_i32_u32_e32 v1, v1
	v_min_u32_e32 v1, 32, v1
	s_delay_alu instid0(VALU_DEP_1) | instskip(NEXT) | instid1(VALU_DEP_1)
	v_subrev_nc_u32_e32 v41, 28, v1
	v_lshlrev_b64_e32 v[42:43], v41, v[9:10]
	v_sub_nc_u32_e32 v41, 29, v1
	s_delay_alu instid0(VALU_DEP_2)
	v_and_b32_e32 v1, 7, v42
; %bb.434:                              ;   in Loop: Header=BB263_362 Depth=1
	s_wait_alu 0xfffe
	s_or_b32 exec_lo, exec_lo, s24
	v_lshlrev_b32_e32 v42, 8, v9
	v_lshl_add_u32 v41, v41, 10, 0x2000
	v_lshlrev_b32_e32 v1, 7, v1
	s_delay_alu instid0(VALU_DEP_3) | instskip(NEXT) | instid1(VALU_DEP_3)
	v_and_b32_e32 v42, 0x8000, v42
	v_and_b32_e32 v41, 0xfc00, v41
	s_delay_alu instid0(VALU_DEP_1)
	v_or3_b32 v41, v42, v41, v1
.LBB263_435:                            ;   in Loop: Header=BB263_362 Depth=1
	s_wait_alu 0xfffe
	s_or_b32 exec_lo, exec_lo, s19
.LBB263_436:                            ;   in Loop: Header=BB263_362 Depth=1
	s_wait_alu 0xfffe
	s_or_b32 exec_lo, exec_lo, s18
.LBB263_437:                            ;   in Loop: Header=BB263_362 Depth=1
	s_wait_alu 0xfffe
	s_or_b32 exec_lo, exec_lo, s17
	v_lshrrev_b16 v1, 8, v9
	s_mov_b32 s17, exec_lo
	s_delay_alu instid0(VALU_DEP_1)
	v_cmpx_ne_u16_e32 0, v1
	s_cbranch_execz .LBB263_445
; %bb.438:                              ;   in Loop: Header=BB263_362 Depth=1
	v_bfrev_b32_e32 v40, 1
	s_mov_b32 s18, exec_lo
	v_cmpx_ne_u16_e32 0x80, v1
	s_cbranch_execz .LBB263_444
; %bb.439:                              ;   in Loop: Header=BB263_362 Depth=1
	v_and_b32_e32 v42, 0xffff, v1
	v_mov_b32_e32 v40, 0x7c010000
	s_mov_b32 s19, exec_lo
	s_delay_alu instid0(VALU_DEP_2) | instskip(NEXT) | instid1(VALU_DEP_1)
	v_and_b32_e32 v44, 0x7f, v42
	v_cmpx_ne_u32_e32 0x7f, v44
	s_cbranch_execz .LBB263_443
; %bb.440:                              ;   in Loop: Header=BB263_362 Depth=1
	v_and_b32_e32 v40, 7, v42
	v_lshrrev_b32_e32 v43, 3, v44
	s_mov_b32 s24, exec_lo
	v_cmpx_gt_u32_e32 8, v44
; %bb.441:                              ;   in Loop: Header=BB263_362 Depth=1
	s_delay_alu instid0(VALU_DEP_3) | instskip(NEXT) | instid1(VALU_DEP_1)
	v_clz_i32_u32_e32 v40, v40
	v_min_u32_e32 v40, 32, v40
	s_delay_alu instid0(VALU_DEP_1) | instskip(NEXT) | instid1(VALU_DEP_1)
	v_subrev_nc_u32_e32 v43, 28, v40
	v_lshlrev_b64_e32 v[44:45], v43, v[1:2]
	v_sub_nc_u32_e32 v43, 29, v40
	s_delay_alu instid0(VALU_DEP_2)
	v_and_b32_e32 v40, 7, v44
; %bb.442:                              ;   in Loop: Header=BB263_362 Depth=1
	s_wait_alu 0xfffe
	s_or_b32 exec_lo, exec_lo, s24
	v_lshlrev_b32_e32 v1, 8, v42
	v_lshl_add_u32 v42, v43, 10, 0x2000
	v_lshlrev_b32_e32 v40, 23, v40
	s_delay_alu instid0(VALU_DEP_2) | instskip(NEXT) | instid1(VALU_DEP_1)
	v_and_or_b32 v1, 0x8000, v1, v42
	v_lshl_or_b32 v40, v1, 16, v40
.LBB263_443:                            ;   in Loop: Header=BB263_362 Depth=1
	s_wait_alu 0xfffe
	s_or_b32 exec_lo, exec_lo, s19
.LBB263_444:                            ;   in Loop: Header=BB263_362 Depth=1
	s_wait_alu 0xfffe
	s_or_b32 exec_lo, exec_lo, s18
.LBB263_445:                            ;   in Loop: Header=BB263_362 Depth=1
	s_wait_alu 0xfffe
	s_or_b32 exec_lo, exec_lo, s17
	v_lshrrev_b32_e32 v1, 16, v9
	v_mov_b32_e32 v42, 0
	s_mov_b32 s17, exec_lo
	s_delay_alu instid0(VALU_DEP_2) | instskip(NEXT) | instid1(VALU_DEP_1)
	v_dual_mov_b32 v43, 0 :: v_dual_and_b32 v44, 0xff, v1
	v_cmpx_ne_u16_e32 0, v44
	s_cbranch_execz .LBB263_453
; %bb.446:                              ;   in Loop: Header=BB263_362 Depth=1
	v_mov_b32_e32 v43, 0x8000
	s_mov_b32 s18, exec_lo
	v_cmpx_ne_u16_e32 0x80, v44
	s_cbranch_execz .LBB263_452
; %bb.447:                              ;   in Loop: Header=BB263_362 Depth=1
	v_bfe_u32 v45, v9, 16, 7
	v_mov_b32_e32 v43, 0x7c01
	s_mov_b32 s19, exec_lo
	s_delay_alu instid0(VALU_DEP_2)
	v_cmpx_ne_u32_e32 0x7f, v45
	s_cbranch_execz .LBB263_451
; %bb.448:                              ;   in Loop: Header=BB263_362 Depth=1
	v_and_b32_e32 v43, 7, v1
	v_lshrrev_b32_e32 v44, 3, v45
	s_mov_b32 s24, exec_lo
	v_cmpx_gt_u32_e32 8, v45
; %bb.449:                              ;   in Loop: Header=BB263_362 Depth=1
	s_delay_alu instid0(VALU_DEP_3) | instskip(NEXT) | instid1(VALU_DEP_1)
	v_clz_i32_u32_e32 v43, v43
	v_min_u32_e32 v45, 32, v43
	s_delay_alu instid0(VALU_DEP_1) | instskip(NEXT) | instid1(VALU_DEP_1)
	v_subrev_nc_u32_e32 v43, 28, v45
	v_lshlrev_b64_e32 v[43:44], v43, v[1:2]
	v_sub_nc_u32_e32 v44, 29, v45
	s_delay_alu instid0(VALU_DEP_2)
	v_and_b32_e32 v43, 7, v43
; %bb.450:                              ;   in Loop: Header=BB263_362 Depth=1
	s_wait_alu 0xfffe
	s_or_b32 exec_lo, exec_lo, s24
	v_lshlrev_b32_e32 v1, 8, v1
	v_lshl_add_u32 v44, v44, 10, 0x2000
	v_lshlrev_b32_e32 v43, 7, v43
	s_delay_alu instid0(VALU_DEP_3) | instskip(NEXT) | instid1(VALU_DEP_3)
	v_and_b32_e32 v1, 0x8000, v1
	v_and_b32_e32 v44, 0xfc00, v44
	s_delay_alu instid0(VALU_DEP_1)
	v_or3_b32 v43, v1, v44, v43
.LBB263_451:                            ;   in Loop: Header=BB263_362 Depth=1
	s_wait_alu 0xfffe
	s_or_b32 exec_lo, exec_lo, s19
.LBB263_452:                            ;   in Loop: Header=BB263_362 Depth=1
	s_wait_alu 0xfffe
	s_or_b32 exec_lo, exec_lo, s18
.LBB263_453:                            ;   in Loop: Header=BB263_362 Depth=1
	s_wait_alu 0xfffe
	s_or_b32 exec_lo, exec_lo, s17
	s_delay_alu instid0(SALU_CYCLE_1)
	s_mov_b32 s17, exec_lo
	v_cmpx_lt_u32_e32 0xffffff, v9
	s_cbranch_execz .LBB263_461
; %bb.454:                              ;   in Loop: Header=BB263_362 Depth=1
	v_lshrrev_b32_e32 v1, 24, v9
	v_bfrev_b32_e32 v42, 1
	s_mov_b32 s18, exec_lo
	s_delay_alu instid0(VALU_DEP_2)
	v_cmpx_ne_u32_e32 0x80, v1
	s_cbranch_execz .LBB263_460
; %bb.455:                              ;   in Loop: Header=BB263_362 Depth=1
	v_and_b32_e32 v45, 0x7f, v1
	v_mov_b32_e32 v42, 0x7c010000
	s_mov_b32 s19, exec_lo
	s_delay_alu instid0(VALU_DEP_2)
	v_cmpx_ne_u32_e32 0x7f, v45
	s_cbranch_execz .LBB263_459
; %bb.456:                              ;   in Loop: Header=BB263_362 Depth=1
	v_and_b32_e32 v42, 7, v1
	v_lshrrev_b32_e32 v44, 3, v45
	s_mov_b32 s24, exec_lo
	v_cmpx_gt_u32_e32 8, v45
; %bb.457:                              ;   in Loop: Header=BB263_362 Depth=1
	s_delay_alu instid0(VALU_DEP_3) | instskip(NEXT) | instid1(VALU_DEP_1)
	v_clz_i32_u32_e32 v42, v42
	v_min_u32_e32 v42, 32, v42
	s_delay_alu instid0(VALU_DEP_1) | instskip(NEXT) | instid1(VALU_DEP_1)
	v_subrev_nc_u32_e32 v44, 28, v42
	v_lshlrev_b64_e32 v[45:46], v44, v[1:2]
	v_sub_nc_u32_e32 v44, 29, v42
	s_delay_alu instid0(VALU_DEP_2)
	v_and_b32_e32 v42, 7, v45
; %bb.458:                              ;   in Loop: Header=BB263_362 Depth=1
	s_wait_alu 0xfffe
	s_or_b32 exec_lo, exec_lo, s24
	v_lshlrev_b32_e32 v1, 8, v1
	v_lshl_add_u32 v44, v44, 10, 0x2000
	v_lshlrev_b32_e32 v42, 23, v42
	s_delay_alu instid0(VALU_DEP_2) | instskip(NEXT) | instid1(VALU_DEP_1)
	v_and_or_b32 v1, 0x8000, v1, v44
	v_lshl_or_b32 v42, v1, 16, v42
.LBB263_459:                            ;   in Loop: Header=BB263_362 Depth=1
	s_wait_alu 0xfffe
	s_or_b32 exec_lo, exec_lo, s19
.LBB263_460:                            ;   in Loop: Header=BB263_362 Depth=1
	s_wait_alu 0xfffe
	s_or_b32 exec_lo, exec_lo, s18
.LBB263_461:                            ;   in Loop: Header=BB263_362 Depth=1
	s_wait_alu 0xfffe
	s_or_b32 exec_lo, exec_lo, s17
	v_dual_mov_b32 v1, v10 :: v_dual_and_b32 v46, 0xff, v10
	v_dual_mov_b32 v44, 0 :: v_dual_mov_b32 v45, 0
	s_mov_b32 s17, exec_lo
	s_delay_alu instid0(VALU_DEP_2)
	v_cmpx_ne_u16_e32 0, v46
	s_cbranch_execz .LBB263_469
; %bb.462:                              ;   in Loop: Header=BB263_362 Depth=1
	v_mov_b32_e32 v45, 0x8000
	s_mov_b32 s18, exec_lo
	v_cmpx_ne_u16_e32 0x80, v46
	s_cbranch_execz .LBB263_468
; %bb.463:                              ;   in Loop: Header=BB263_362 Depth=1
	v_and_b32_e32 v47, 0x7f, v10
	v_mov_b32_e32 v45, 0x7c01
	s_mov_b32 s19, exec_lo
	s_delay_alu instid0(VALU_DEP_2)
	v_cmpx_ne_u32_e32 0x7f, v47
	s_cbranch_execz .LBB263_467
; %bb.464:                              ;   in Loop: Header=BB263_362 Depth=1
	v_and_b32_e32 v45, 7, v10
	v_lshrrev_b32_e32 v46, 3, v47
	s_mov_b32 s24, exec_lo
	v_cmpx_gt_u32_e32 8, v47
; %bb.465:                              ;   in Loop: Header=BB263_362 Depth=1
	s_delay_alu instid0(VALU_DEP_3) | instskip(NEXT) | instid1(VALU_DEP_1)
	v_clz_i32_u32_e32 v45, v45
	v_min_u32_e32 v47, 32, v45
	s_delay_alu instid0(VALU_DEP_1) | instskip(NEXT) | instid1(VALU_DEP_1)
	v_subrev_nc_u32_e32 v45, 28, v47
	v_lshlrev_b64_e32 v[45:46], v45, v[1:2]
	v_sub_nc_u32_e32 v46, 29, v47
	s_delay_alu instid0(VALU_DEP_2)
	v_and_b32_e32 v45, 7, v45
; %bb.466:                              ;   in Loop: Header=BB263_362 Depth=1
	s_wait_alu 0xfffe
	s_or_b32 exec_lo, exec_lo, s24
	v_lshlrev_b32_e32 v47, 8, v10
	v_lshl_add_u32 v46, v46, 10, 0x2000
	v_lshlrev_b32_e32 v45, 7, v45
	s_delay_alu instid0(VALU_DEP_3) | instskip(NEXT) | instid1(VALU_DEP_3)
	v_and_b32_e32 v47, 0x8000, v47
	v_and_b32_e32 v46, 0xfc00, v46
	s_delay_alu instid0(VALU_DEP_1)
	v_or3_b32 v45, v47, v46, v45
.LBB263_467:                            ;   in Loop: Header=BB263_362 Depth=1
	s_wait_alu 0xfffe
	s_or_b32 exec_lo, exec_lo, s19
.LBB263_468:                            ;   in Loop: Header=BB263_362 Depth=1
	s_wait_alu 0xfffe
	s_or_b32 exec_lo, exec_lo, s18
.LBB263_469:                            ;   in Loop: Header=BB263_362 Depth=1
	s_wait_alu 0xfffe
	s_or_b32 exec_lo, exec_lo, s17
	v_lshrrev_b16 v1, 8, v1
	v_mov_b32_e32 v46, 0
	s_mov_b32 s17, exec_lo
	s_delay_alu instid0(VALU_DEP_2)
	v_cmpx_ne_u16_e32 0, v1
	s_cbranch_execz .LBB263_477
; %bb.470:                              ;   in Loop: Header=BB263_362 Depth=1
	v_bfrev_b32_e32 v46, 1
	s_mov_b32 s18, exec_lo
	v_cmpx_ne_u16_e32 0x80, v1
	s_cbranch_execz .LBB263_476
; %bb.471:                              ;   in Loop: Header=BB263_362 Depth=1
	v_and_b32_e32 v47, 0xffff, v1
	v_mov_b32_e32 v46, 0x7c010000
	s_mov_b32 s19, exec_lo
	s_delay_alu instid0(VALU_DEP_2) | instskip(NEXT) | instid1(VALU_DEP_1)
	v_and_b32_e32 v49, 0x7f, v47
	v_cmpx_ne_u32_e32 0x7f, v49
	s_cbranch_execz .LBB263_475
; %bb.472:                              ;   in Loop: Header=BB263_362 Depth=1
	v_and_b32_e32 v46, 7, v47
	v_lshrrev_b32_e32 v48, 3, v49
	s_mov_b32 s24, exec_lo
	v_cmpx_gt_u32_e32 8, v49
; %bb.473:                              ;   in Loop: Header=BB263_362 Depth=1
	s_delay_alu instid0(VALU_DEP_3) | instskip(NEXT) | instid1(VALU_DEP_1)
	v_clz_i32_u32_e32 v46, v46
	v_min_u32_e32 v46, 32, v46
	s_delay_alu instid0(VALU_DEP_1) | instskip(NEXT) | instid1(VALU_DEP_1)
	v_subrev_nc_u32_e32 v48, 28, v46
	v_lshlrev_b64_e32 v[49:50], v48, v[1:2]
	v_sub_nc_u32_e32 v48, 29, v46
	s_delay_alu instid0(VALU_DEP_2)
	v_and_b32_e32 v46, 7, v49
; %bb.474:                              ;   in Loop: Header=BB263_362 Depth=1
	s_wait_alu 0xfffe
	s_or_b32 exec_lo, exec_lo, s24
	v_lshlrev_b32_e32 v1, 8, v47
	v_lshl_add_u32 v47, v48, 10, 0x2000
	v_lshlrev_b32_e32 v46, 23, v46
	s_delay_alu instid0(VALU_DEP_2) | instskip(NEXT) | instid1(VALU_DEP_1)
	v_and_or_b32 v1, 0x8000, v1, v47
	v_lshl_or_b32 v46, v1, 16, v46
.LBB263_475:                            ;   in Loop: Header=BB263_362 Depth=1
	s_wait_alu 0xfffe
	s_or_b32 exec_lo, exec_lo, s19
.LBB263_476:                            ;   in Loop: Header=BB263_362 Depth=1
	s_wait_alu 0xfffe
	s_or_b32 exec_lo, exec_lo, s18
.LBB263_477:                            ;   in Loop: Header=BB263_362 Depth=1
	s_wait_alu 0xfffe
	s_or_b32 exec_lo, exec_lo, s17
	v_lshrrev_b32_e32 v1, 16, v10
	s_mov_b32 s17, exec_lo
	s_delay_alu instid0(VALU_DEP_1) | instskip(NEXT) | instid1(VALU_DEP_1)
	v_and_b32_e32 v47, 0xff, v1
	v_cmpx_ne_u16_e32 0, v47
	s_cbranch_execz .LBB263_485
; %bb.478:                              ;   in Loop: Header=BB263_362 Depth=1
	v_mov_b32_e32 v44, 0x8000
	s_mov_b32 s18, exec_lo
	v_cmpx_ne_u16_e32 0x80, v47
	s_cbranch_execz .LBB263_484
; %bb.479:                              ;   in Loop: Header=BB263_362 Depth=1
	v_bfe_u32 v48, v10, 16, 7
	v_mov_b32_e32 v44, 0x7c01
	s_mov_b32 s19, exec_lo
	s_delay_alu instid0(VALU_DEP_2)
	v_cmpx_ne_u32_e32 0x7f, v48
	s_cbranch_execz .LBB263_483
; %bb.480:                              ;   in Loop: Header=BB263_362 Depth=1
	v_and_b32_e32 v44, 7, v1
	v_lshrrev_b32_e32 v47, 3, v48
	s_mov_b32 s24, exec_lo
	v_cmpx_gt_u32_e32 8, v48
; %bb.481:                              ;   in Loop: Header=BB263_362 Depth=1
	s_delay_alu instid0(VALU_DEP_3) | instskip(NEXT) | instid1(VALU_DEP_1)
	v_clz_i32_u32_e32 v44, v44
	v_min_u32_e32 v44, 32, v44
	s_delay_alu instid0(VALU_DEP_1) | instskip(NEXT) | instid1(VALU_DEP_1)
	v_subrev_nc_u32_e32 v47, 28, v44
	v_lshlrev_b64_e32 v[48:49], v47, v[1:2]
	v_sub_nc_u32_e32 v47, 29, v44
	s_delay_alu instid0(VALU_DEP_2)
	v_and_b32_e32 v44, 7, v48
; %bb.482:                              ;   in Loop: Header=BB263_362 Depth=1
	s_wait_alu 0xfffe
	s_or_b32 exec_lo, exec_lo, s24
	v_lshlrev_b32_e32 v1, 8, v1
	v_lshl_add_u32 v47, v47, 10, 0x2000
	v_lshlrev_b32_e32 v44, 7, v44
	s_delay_alu instid0(VALU_DEP_3) | instskip(NEXT) | instid1(VALU_DEP_3)
	v_and_b32_e32 v1, 0x8000, v1
	v_and_b32_e32 v47, 0xfc00, v47
	s_delay_alu instid0(VALU_DEP_1)
	v_or3_b32 v44, v1, v47, v44
.LBB263_483:                            ;   in Loop: Header=BB263_362 Depth=1
	s_wait_alu 0xfffe
	s_or_b32 exec_lo, exec_lo, s19
.LBB263_484:                            ;   in Loop: Header=BB263_362 Depth=1
	s_wait_alu 0xfffe
	s_or_b32 exec_lo, exec_lo, s18
.LBB263_485:                            ;   in Loop: Header=BB263_362 Depth=1
	s_wait_alu 0xfffe
	s_or_b32 exec_lo, exec_lo, s17
	v_cmp_lt_u64_e64 s0, s[2:3], v[9:10]
	v_mov_b32_e32 v9, 0
	s_and_saveexec_b32 s17, s0
	s_cbranch_execz .LBB263_493
; %bb.486:                              ;   in Loop: Header=BB263_362 Depth=1
	v_lshrrev_b32_e32 v1, 24, v10
	v_bfrev_b32_e32 v9, 1
	s_mov_b32 s18, exec_lo
	s_delay_alu instid0(VALU_DEP_2)
	v_cmpx_ne_u32_e32 0x80, v1
	s_cbranch_execz .LBB263_492
; %bb.487:                              ;   in Loop: Header=BB263_362 Depth=1
	v_and_b32_e32 v47, 0x7f, v1
	v_mov_b32_e32 v9, 0x7c010000
	s_mov_b32 s19, exec_lo
	s_delay_alu instid0(VALU_DEP_2)
	v_cmpx_ne_u32_e32 0x7f, v47
	s_cbranch_execz .LBB263_491
; %bb.488:                              ;   in Loop: Header=BB263_362 Depth=1
	v_and_b32_e32 v9, 7, v1
	v_lshrrev_b32_e32 v10, 3, v47
	s_mov_b32 s24, exec_lo
	v_cmpx_gt_u32_e32 8, v47
; %bb.489:                              ;   in Loop: Header=BB263_362 Depth=1
	s_delay_alu instid0(VALU_DEP_3) | instskip(NEXT) | instid1(VALU_DEP_1)
	v_clz_i32_u32_e32 v9, v9
	v_min_u32_e32 v47, 32, v9
	s_delay_alu instid0(VALU_DEP_1) | instskip(NEXT) | instid1(VALU_DEP_1)
	v_subrev_nc_u32_e32 v9, 28, v47
	v_lshlrev_b64_e32 v[9:10], v9, v[1:2]
	v_sub_nc_u32_e32 v10, 29, v47
	s_delay_alu instid0(VALU_DEP_2)
	v_and_b32_e32 v9, 7, v9
; %bb.490:                              ;   in Loop: Header=BB263_362 Depth=1
	s_wait_alu 0xfffe
	s_or_b32 exec_lo, exec_lo, s24
	v_lshlrev_b32_e32 v1, 8, v1
	v_lshl_add_u32 v10, v10, 10, 0x2000
	v_lshlrev_b32_e32 v9, 23, v9
	s_delay_alu instid0(VALU_DEP_2) | instskip(NEXT) | instid1(VALU_DEP_1)
	v_and_or_b32 v1, 0x8000, v1, v10
	v_lshl_or_b32 v9, v1, 16, v9
.LBB263_491:                            ;   in Loop: Header=BB263_362 Depth=1
	s_wait_alu 0xfffe
	s_or_b32 exec_lo, exec_lo, s19
.LBB263_492:                            ;   in Loop: Header=BB263_362 Depth=1
	s_wait_alu 0xfffe
	s_or_b32 exec_lo, exec_lo, s18
.LBB263_493:                            ;   in Loop: Header=BB263_362 Depth=1
	s_wait_alu 0xfffe
	s_or_b32 exec_lo, exec_lo, s17
	v_or_b32_e32 v1, v42, v43
	s_wait_loadcnt 0x0
	v_fma_mixlo_f16 v10, v39, v42, 0 op_sel:[0,1,0] op_sel_hi:[0,1,0]
	v_or_b32_e32 v42, v40, v41
	v_fma_mixlo_f16 v40, v39, v40, 0 op_sel:[0,1,0] op_sel_hi:[0,1,0]
	v_or_b32_e32 v43, v46, v45
	v_or_b32_e32 v44, v9, v44
	v_fma_mixlo_f16 v45, v39, v1, 0 op_sel_hi:[0,1,0]
	v_fma_mixlo_f16 v9, v39, v9, 0 op_sel:[0,1,0] op_sel_hi:[0,1,0]
	v_lshlrev_b32_e32 v41, 16, v40
	v_fma_mixlo_f16 v40, v39, v42, 0 op_sel_hi:[0,1,0]
	v_fma_mixlo_f16 v42, v39, v46, 0 op_sel:[0,1,0] op_sel_hi:[0,1,0]
	v_fma_mixlo_f16 v43, v39, v43, 0 op_sel_hi:[0,1,0]
	v_fma_mixlo_f16 v44, v39, v44, 0 op_sel_hi:[0,1,0]
	v_lshlrev_b32_e32 v1, 16, v10
	v_and_b32_e32 v10, 0xffff, v45
	v_and_b32_e32 v47, 0xffff, v40
	v_lshlrev_b32_e32 v39, 16, v42
	v_and_b32_e32 v43, 0xffff, v43
	v_lshlrev_b32_e32 v9, 16, v9
	v_and_b32_e32 v40, 0xffff, v44
	v_or_b32_e32 v42, v1, v10
	v_or_b32_e32 v46, v41, v47
	;; [unrolled: 1-line block ×3, first 2 shown]
	s_delay_alu instid0(VALU_DEP_4)
	v_or_b32_e32 v44, v9, v40
	s_and_saveexec_b32 s17, vcc_lo
	s_cbranch_execz .LBB263_495
; %bb.494:                              ;   in Loop: Header=BB263_362 Depth=1
	v_cmp_gt_i32_e64 s0, s34, v25
	s_wait_alu 0xf1ff
	s_delay_alu instid0(VALU_DEP_1) | instskip(SKIP_2) | instid1(VALU_DEP_1)
	v_cndmask_b32_e64 v42, 0, v47, s0
	v_cmp_gt_i32_e64 s0, s34, v32
	s_wait_alu 0xf1ff
	v_cndmask_b32_e64 v41, 0, v41, s0
	v_cmp_gt_i32_e64 s0, s34, v31
	s_delay_alu instid0(VALU_DEP_2) | instskip(SKIP_1) | instid1(VALU_DEP_2)
	v_or_b32_e32 v46, v41, v42
	s_wait_alu 0xf1ff
	v_cndmask_b32_e64 v10, 0, v10, s0
	v_cmp_gt_i32_e64 s0, s34, v30
	s_wait_alu 0xf1ff
	s_delay_alu instid0(VALU_DEP_1) | instskip(SKIP_1) | instid1(VALU_DEP_2)
	v_cndmask_b32_e64 v1, 0, v1, s0
	v_cmp_gt_i32_e64 s0, s34, v29
	v_or_b32_e32 v42, v1, v10
	s_wait_alu 0xf1ff
	s_delay_alu instid0(VALU_DEP_2) | instskip(SKIP_2) | instid1(VALU_DEP_1)
	v_cndmask_b32_e64 v43, 0, v43, s0
	v_cmp_gt_i32_e64 s0, s34, v28
	s_wait_alu 0xf1ff
	v_cndmask_b32_e64 v39, 0, v39, s0
	v_cmp_gt_i32_e64 s0, s34, v27
	s_delay_alu instid0(VALU_DEP_2) | instskip(SKIP_1) | instid1(VALU_DEP_2)
	v_or_b32_e32 v45, v39, v43
	s_wait_alu 0xf1ff
	v_cndmask_b32_e64 v40, 0, v40, s0
	v_cmp_gt_i32_e64 s0, s34, v26
	s_wait_alu 0xf1ff
	s_delay_alu instid0(VALU_DEP_1) | instskip(NEXT) | instid1(VALU_DEP_1)
	v_cndmask_b32_e64 v9, 0, v9, s0
	v_or_b32_e32 v44, v9, v40
.LBB263_495:                            ;   in Loop: Header=BB263_362 Depth=1
	s_wait_alu 0xfffe
	s_or_b32 exec_lo, exec_lo, s17
	;;#ASMSTART
	v_pk_mul_f16 v1, v38, v46;

	;;#ASMEND
	;;#ASMSTART
	v_pk_mul_f16 v9, v37, v42;

	;;#ASMEND
	;; [unrolled: 4-line block ×4, first 2 shown]
	;;#ASMSTART
	v_pk_add_f16 v1, v1, v9;

	;;#ASMEND
	;;#ASMSTART
	v_pk_add_f16 v1, v1, v10;

	;;#ASMEND
	;; [unrolled: 4-line block ×3, first 2 shown]
	v_dual_mov_b32 v42, 0 :: v_dual_and_b32 v9, 0xffff, v1
	v_lshrrev_b32_e32 v1, 16, v1
	;;#ASMSTART
	v_cvt_f32_f16 v39, v9;
	;;#ASMEND
	;;#ASMSTART
	v_cvt_f32_f16 v40, v1;
	;;#ASMEND
	global_load_b64 v[9:10], v[7:8], off offset:512
	global_load_b32 v41, v42, s[10:11]
	v_mov_b32_e32 v43, 0
	s_mov_b32 s17, exec_lo
	s_wait_loadcnt 0x1
	v_and_b32_e32 v1, 0xff, v9
	s_delay_alu instid0(VALU_DEP_1)
	v_cmpx_ne_u16_e32 0, v1
	s_cbranch_execz .LBB263_503
; %bb.496:                              ;   in Loop: Header=BB263_362 Depth=1
	v_mov_b32_e32 v43, 0x8000
	s_mov_b32 s18, exec_lo
	v_cmpx_ne_u16_e32 0x80, v1
	s_cbranch_execz .LBB263_502
; %bb.497:                              ;   in Loop: Header=BB263_362 Depth=1
	v_and_b32_e32 v44, 0x7f, v9
	v_mov_b32_e32 v43, 0x7c01
	s_mov_b32 s19, exec_lo
	s_delay_alu instid0(VALU_DEP_2)
	v_cmpx_ne_u32_e32 0x7f, v44
	s_cbranch_execz .LBB263_501
; %bb.498:                              ;   in Loop: Header=BB263_362 Depth=1
	v_and_b32_e32 v1, 7, v9
	v_lshrrev_b32_e32 v43, 3, v44
	s_mov_b32 s24, exec_lo
	v_cmpx_gt_u32_e32 8, v44
; %bb.499:                              ;   in Loop: Header=BB263_362 Depth=1
	s_delay_alu instid0(VALU_DEP_3) | instskip(NEXT) | instid1(VALU_DEP_1)
	v_clz_i32_u32_e32 v1, v1
	v_min_u32_e32 v1, 32, v1
	s_delay_alu instid0(VALU_DEP_1) | instskip(NEXT) | instid1(VALU_DEP_1)
	v_subrev_nc_u32_e32 v43, 28, v1
	v_lshlrev_b64_e32 v[44:45], v43, v[9:10]
	v_sub_nc_u32_e32 v43, 29, v1
	s_delay_alu instid0(VALU_DEP_2)
	v_and_b32_e32 v1, 7, v44
; %bb.500:                              ;   in Loop: Header=BB263_362 Depth=1
	s_wait_alu 0xfffe
	s_or_b32 exec_lo, exec_lo, s24
	v_lshlrev_b32_e32 v44, 8, v9
	v_lshl_add_u32 v43, v43, 10, 0x2000
	v_lshlrev_b32_e32 v1, 7, v1
	s_delay_alu instid0(VALU_DEP_3) | instskip(NEXT) | instid1(VALU_DEP_3)
	v_and_b32_e32 v44, 0x8000, v44
	v_and_b32_e32 v43, 0xfc00, v43
	s_delay_alu instid0(VALU_DEP_1)
	v_or3_b32 v43, v44, v43, v1
.LBB263_501:                            ;   in Loop: Header=BB263_362 Depth=1
	s_wait_alu 0xfffe
	s_or_b32 exec_lo, exec_lo, s19
.LBB263_502:                            ;   in Loop: Header=BB263_362 Depth=1
	s_wait_alu 0xfffe
	s_or_b32 exec_lo, exec_lo, s18
.LBB263_503:                            ;   in Loop: Header=BB263_362 Depth=1
	s_wait_alu 0xfffe
	s_or_b32 exec_lo, exec_lo, s17
	v_lshrrev_b16 v1, 8, v9
	s_mov_b32 s17, exec_lo
	s_delay_alu instid0(VALU_DEP_1)
	v_cmpx_ne_u16_e32 0, v1
	s_cbranch_execz .LBB263_511
; %bb.504:                              ;   in Loop: Header=BB263_362 Depth=1
	v_bfrev_b32_e32 v42, 1
	s_mov_b32 s18, exec_lo
	v_cmpx_ne_u16_e32 0x80, v1
	s_cbranch_execz .LBB263_510
; %bb.505:                              ;   in Loop: Header=BB263_362 Depth=1
	v_and_b32_e32 v44, 0xffff, v1
	v_mov_b32_e32 v42, 0x7c010000
	s_mov_b32 s19, exec_lo
	s_delay_alu instid0(VALU_DEP_2) | instskip(NEXT) | instid1(VALU_DEP_1)
	v_and_b32_e32 v46, 0x7f, v44
	v_cmpx_ne_u32_e32 0x7f, v46
	s_cbranch_execz .LBB263_509
; %bb.506:                              ;   in Loop: Header=BB263_362 Depth=1
	v_and_b32_e32 v42, 7, v44
	v_lshrrev_b32_e32 v45, 3, v46
	s_mov_b32 s24, exec_lo
	v_cmpx_gt_u32_e32 8, v46
; %bb.507:                              ;   in Loop: Header=BB263_362 Depth=1
	s_delay_alu instid0(VALU_DEP_3) | instskip(NEXT) | instid1(VALU_DEP_1)
	v_clz_i32_u32_e32 v42, v42
	v_min_u32_e32 v42, 32, v42
	s_delay_alu instid0(VALU_DEP_1) | instskip(NEXT) | instid1(VALU_DEP_1)
	v_subrev_nc_u32_e32 v45, 28, v42
	v_lshlrev_b64_e32 v[46:47], v45, v[1:2]
	v_sub_nc_u32_e32 v45, 29, v42
	s_delay_alu instid0(VALU_DEP_2)
	v_and_b32_e32 v42, 7, v46
; %bb.508:                              ;   in Loop: Header=BB263_362 Depth=1
	s_wait_alu 0xfffe
	s_or_b32 exec_lo, exec_lo, s24
	v_lshlrev_b32_e32 v1, 8, v44
	v_lshl_add_u32 v44, v45, 10, 0x2000
	v_lshlrev_b32_e32 v42, 23, v42
	s_delay_alu instid0(VALU_DEP_2) | instskip(NEXT) | instid1(VALU_DEP_1)
	v_and_or_b32 v1, 0x8000, v1, v44
	v_lshl_or_b32 v42, v1, 16, v42
.LBB263_509:                            ;   in Loop: Header=BB263_362 Depth=1
	s_wait_alu 0xfffe
	s_or_b32 exec_lo, exec_lo, s19
.LBB263_510:                            ;   in Loop: Header=BB263_362 Depth=1
	s_wait_alu 0xfffe
	s_or_b32 exec_lo, exec_lo, s18
.LBB263_511:                            ;   in Loop: Header=BB263_362 Depth=1
	s_wait_alu 0xfffe
	s_or_b32 exec_lo, exec_lo, s17
	v_lshrrev_b32_e32 v1, 16, v9
	v_mov_b32_e32 v44, 0
	s_mov_b32 s17, exec_lo
	s_delay_alu instid0(VALU_DEP_2) | instskip(NEXT) | instid1(VALU_DEP_1)
	v_dual_mov_b32 v45, 0 :: v_dual_and_b32 v46, 0xff, v1
	v_cmpx_ne_u16_e32 0, v46
	s_cbranch_execz .LBB263_519
; %bb.512:                              ;   in Loop: Header=BB263_362 Depth=1
	v_mov_b32_e32 v45, 0x8000
	s_mov_b32 s18, exec_lo
	v_cmpx_ne_u16_e32 0x80, v46
	s_cbranch_execz .LBB263_518
; %bb.513:                              ;   in Loop: Header=BB263_362 Depth=1
	v_bfe_u32 v47, v9, 16, 7
	v_mov_b32_e32 v45, 0x7c01
	s_mov_b32 s19, exec_lo
	s_delay_alu instid0(VALU_DEP_2)
	v_cmpx_ne_u32_e32 0x7f, v47
	s_cbranch_execz .LBB263_517
; %bb.514:                              ;   in Loop: Header=BB263_362 Depth=1
	v_and_b32_e32 v45, 7, v1
	v_lshrrev_b32_e32 v46, 3, v47
	s_mov_b32 s24, exec_lo
	v_cmpx_gt_u32_e32 8, v47
; %bb.515:                              ;   in Loop: Header=BB263_362 Depth=1
	s_delay_alu instid0(VALU_DEP_3) | instskip(NEXT) | instid1(VALU_DEP_1)
	v_clz_i32_u32_e32 v45, v45
	v_min_u32_e32 v47, 32, v45
	s_delay_alu instid0(VALU_DEP_1) | instskip(NEXT) | instid1(VALU_DEP_1)
	v_subrev_nc_u32_e32 v45, 28, v47
	v_lshlrev_b64_e32 v[45:46], v45, v[1:2]
	v_sub_nc_u32_e32 v46, 29, v47
	s_delay_alu instid0(VALU_DEP_2)
	v_and_b32_e32 v45, 7, v45
; %bb.516:                              ;   in Loop: Header=BB263_362 Depth=1
	s_wait_alu 0xfffe
	s_or_b32 exec_lo, exec_lo, s24
	v_lshlrev_b32_e32 v1, 8, v1
	v_lshl_add_u32 v46, v46, 10, 0x2000
	v_lshlrev_b32_e32 v45, 7, v45
	s_delay_alu instid0(VALU_DEP_3) | instskip(NEXT) | instid1(VALU_DEP_3)
	v_and_b32_e32 v1, 0x8000, v1
	v_and_b32_e32 v46, 0xfc00, v46
	s_delay_alu instid0(VALU_DEP_1)
	v_or3_b32 v45, v1, v46, v45
.LBB263_517:                            ;   in Loop: Header=BB263_362 Depth=1
	s_wait_alu 0xfffe
	s_or_b32 exec_lo, exec_lo, s19
.LBB263_518:                            ;   in Loop: Header=BB263_362 Depth=1
	s_wait_alu 0xfffe
	s_or_b32 exec_lo, exec_lo, s18
.LBB263_519:                            ;   in Loop: Header=BB263_362 Depth=1
	s_wait_alu 0xfffe
	s_or_b32 exec_lo, exec_lo, s17
	s_delay_alu instid0(SALU_CYCLE_1)
	s_mov_b32 s17, exec_lo
	v_cmpx_lt_u32_e32 0xffffff, v9
	s_cbranch_execz .LBB263_527
; %bb.520:                              ;   in Loop: Header=BB263_362 Depth=1
	v_lshrrev_b32_e32 v1, 24, v9
	v_bfrev_b32_e32 v44, 1
	s_mov_b32 s18, exec_lo
	s_delay_alu instid0(VALU_DEP_2)
	v_cmpx_ne_u32_e32 0x80, v1
	s_cbranch_execz .LBB263_526
; %bb.521:                              ;   in Loop: Header=BB263_362 Depth=1
	v_and_b32_e32 v47, 0x7f, v1
	v_mov_b32_e32 v44, 0x7c010000
	s_mov_b32 s19, exec_lo
	s_delay_alu instid0(VALU_DEP_2)
	v_cmpx_ne_u32_e32 0x7f, v47
	s_cbranch_execz .LBB263_525
; %bb.522:                              ;   in Loop: Header=BB263_362 Depth=1
	v_and_b32_e32 v44, 7, v1
	v_lshrrev_b32_e32 v46, 3, v47
	s_mov_b32 s24, exec_lo
	v_cmpx_gt_u32_e32 8, v47
; %bb.523:                              ;   in Loop: Header=BB263_362 Depth=1
	s_delay_alu instid0(VALU_DEP_3) | instskip(NEXT) | instid1(VALU_DEP_1)
	v_clz_i32_u32_e32 v44, v44
	v_min_u32_e32 v44, 32, v44
	s_delay_alu instid0(VALU_DEP_1) | instskip(NEXT) | instid1(VALU_DEP_1)
	v_subrev_nc_u32_e32 v46, 28, v44
	v_lshlrev_b64_e32 v[47:48], v46, v[1:2]
	v_sub_nc_u32_e32 v46, 29, v44
	s_delay_alu instid0(VALU_DEP_2)
	v_and_b32_e32 v44, 7, v47
; %bb.524:                              ;   in Loop: Header=BB263_362 Depth=1
	s_wait_alu 0xfffe
	s_or_b32 exec_lo, exec_lo, s24
	v_lshlrev_b32_e32 v1, 8, v1
	v_lshl_add_u32 v46, v46, 10, 0x2000
	v_lshlrev_b32_e32 v44, 23, v44
	s_delay_alu instid0(VALU_DEP_2) | instskip(NEXT) | instid1(VALU_DEP_1)
	v_and_or_b32 v1, 0x8000, v1, v46
	v_lshl_or_b32 v44, v1, 16, v44
.LBB263_525:                            ;   in Loop: Header=BB263_362 Depth=1
	s_wait_alu 0xfffe
	s_or_b32 exec_lo, exec_lo, s19
.LBB263_526:                            ;   in Loop: Header=BB263_362 Depth=1
	s_wait_alu 0xfffe
	s_or_b32 exec_lo, exec_lo, s18
.LBB263_527:                            ;   in Loop: Header=BB263_362 Depth=1
	s_wait_alu 0xfffe
	s_or_b32 exec_lo, exec_lo, s17
	v_dual_mov_b32 v1, v10 :: v_dual_and_b32 v48, 0xff, v10
	v_dual_mov_b32 v46, 0 :: v_dual_mov_b32 v47, 0
	s_mov_b32 s17, exec_lo
	s_delay_alu instid0(VALU_DEP_2)
	v_cmpx_ne_u16_e32 0, v48
	s_cbranch_execz .LBB263_535
; %bb.528:                              ;   in Loop: Header=BB263_362 Depth=1
	v_mov_b32_e32 v47, 0x8000
	s_mov_b32 s18, exec_lo
	v_cmpx_ne_u16_e32 0x80, v48
	s_cbranch_execz .LBB263_534
; %bb.529:                              ;   in Loop: Header=BB263_362 Depth=1
	v_and_b32_e32 v49, 0x7f, v10
	v_mov_b32_e32 v47, 0x7c01
	s_mov_b32 s19, exec_lo
	s_delay_alu instid0(VALU_DEP_2)
	v_cmpx_ne_u32_e32 0x7f, v49
	s_cbranch_execz .LBB263_533
; %bb.530:                              ;   in Loop: Header=BB263_362 Depth=1
	v_and_b32_e32 v47, 7, v10
	v_lshrrev_b32_e32 v48, 3, v49
	s_mov_b32 s24, exec_lo
	v_cmpx_gt_u32_e32 8, v49
; %bb.531:                              ;   in Loop: Header=BB263_362 Depth=1
	s_delay_alu instid0(VALU_DEP_3) | instskip(NEXT) | instid1(VALU_DEP_1)
	v_clz_i32_u32_e32 v47, v47
	v_min_u32_e32 v49, 32, v47
	s_delay_alu instid0(VALU_DEP_1) | instskip(NEXT) | instid1(VALU_DEP_1)
	v_subrev_nc_u32_e32 v47, 28, v49
	v_lshlrev_b64_e32 v[47:48], v47, v[1:2]
	v_sub_nc_u32_e32 v48, 29, v49
	s_delay_alu instid0(VALU_DEP_2)
	v_and_b32_e32 v47, 7, v47
; %bb.532:                              ;   in Loop: Header=BB263_362 Depth=1
	s_wait_alu 0xfffe
	s_or_b32 exec_lo, exec_lo, s24
	v_lshlrev_b32_e32 v49, 8, v10
	v_lshl_add_u32 v48, v48, 10, 0x2000
	v_lshlrev_b32_e32 v47, 7, v47
	s_delay_alu instid0(VALU_DEP_3) | instskip(NEXT) | instid1(VALU_DEP_3)
	v_and_b32_e32 v49, 0x8000, v49
	v_and_b32_e32 v48, 0xfc00, v48
	s_delay_alu instid0(VALU_DEP_1)
	v_or3_b32 v47, v49, v48, v47
.LBB263_533:                            ;   in Loop: Header=BB263_362 Depth=1
	s_wait_alu 0xfffe
	s_or_b32 exec_lo, exec_lo, s19
.LBB263_534:                            ;   in Loop: Header=BB263_362 Depth=1
	s_wait_alu 0xfffe
	s_or_b32 exec_lo, exec_lo, s18
.LBB263_535:                            ;   in Loop: Header=BB263_362 Depth=1
	s_wait_alu 0xfffe
	s_or_b32 exec_lo, exec_lo, s17
	v_lshrrev_b16 v1, 8, v1
	v_mov_b32_e32 v48, 0
	s_mov_b32 s17, exec_lo
	s_delay_alu instid0(VALU_DEP_2)
	v_cmpx_ne_u16_e32 0, v1
	s_cbranch_execz .LBB263_543
; %bb.536:                              ;   in Loop: Header=BB263_362 Depth=1
	v_bfrev_b32_e32 v48, 1
	s_mov_b32 s18, exec_lo
	v_cmpx_ne_u16_e32 0x80, v1
	s_cbranch_execz .LBB263_542
; %bb.537:                              ;   in Loop: Header=BB263_362 Depth=1
	v_and_b32_e32 v49, 0xffff, v1
	v_mov_b32_e32 v48, 0x7c010000
	s_mov_b32 s19, exec_lo
	s_delay_alu instid0(VALU_DEP_2) | instskip(NEXT) | instid1(VALU_DEP_1)
	v_and_b32_e32 v51, 0x7f, v49
	v_cmpx_ne_u32_e32 0x7f, v51
	s_cbranch_execz .LBB263_541
; %bb.538:                              ;   in Loop: Header=BB263_362 Depth=1
	v_and_b32_e32 v48, 7, v49
	v_lshrrev_b32_e32 v50, 3, v51
	s_mov_b32 s24, exec_lo
	v_cmpx_gt_u32_e32 8, v51
; %bb.539:                              ;   in Loop: Header=BB263_362 Depth=1
	s_delay_alu instid0(VALU_DEP_3) | instskip(NEXT) | instid1(VALU_DEP_1)
	v_clz_i32_u32_e32 v48, v48
	v_min_u32_e32 v48, 32, v48
	s_delay_alu instid0(VALU_DEP_1) | instskip(NEXT) | instid1(VALU_DEP_1)
	v_subrev_nc_u32_e32 v50, 28, v48
	v_lshlrev_b64_e32 v[51:52], v50, v[1:2]
	v_sub_nc_u32_e32 v50, 29, v48
	s_delay_alu instid0(VALU_DEP_2)
	v_and_b32_e32 v48, 7, v51
; %bb.540:                              ;   in Loop: Header=BB263_362 Depth=1
	s_wait_alu 0xfffe
	s_or_b32 exec_lo, exec_lo, s24
	v_lshlrev_b32_e32 v1, 8, v49
	v_lshl_add_u32 v49, v50, 10, 0x2000
	v_lshlrev_b32_e32 v48, 23, v48
	s_delay_alu instid0(VALU_DEP_2) | instskip(NEXT) | instid1(VALU_DEP_1)
	v_and_or_b32 v1, 0x8000, v1, v49
	v_lshl_or_b32 v48, v1, 16, v48
.LBB263_541:                            ;   in Loop: Header=BB263_362 Depth=1
	s_wait_alu 0xfffe
	s_or_b32 exec_lo, exec_lo, s19
.LBB263_542:                            ;   in Loop: Header=BB263_362 Depth=1
	s_wait_alu 0xfffe
	s_or_b32 exec_lo, exec_lo, s18
.LBB263_543:                            ;   in Loop: Header=BB263_362 Depth=1
	s_wait_alu 0xfffe
	s_or_b32 exec_lo, exec_lo, s17
	v_lshrrev_b32_e32 v1, 16, v10
	s_mov_b32 s17, exec_lo
	s_delay_alu instid0(VALU_DEP_1) | instskip(NEXT) | instid1(VALU_DEP_1)
	v_and_b32_e32 v49, 0xff, v1
	v_cmpx_ne_u16_e32 0, v49
	s_cbranch_execz .LBB263_551
; %bb.544:                              ;   in Loop: Header=BB263_362 Depth=1
	v_mov_b32_e32 v46, 0x8000
	s_mov_b32 s18, exec_lo
	v_cmpx_ne_u16_e32 0x80, v49
	s_cbranch_execz .LBB263_550
; %bb.545:                              ;   in Loop: Header=BB263_362 Depth=1
	v_bfe_u32 v50, v10, 16, 7
	v_mov_b32_e32 v46, 0x7c01
	s_mov_b32 s19, exec_lo
	s_delay_alu instid0(VALU_DEP_2)
	v_cmpx_ne_u32_e32 0x7f, v50
	s_cbranch_execz .LBB263_549
; %bb.546:                              ;   in Loop: Header=BB263_362 Depth=1
	v_and_b32_e32 v46, 7, v1
	v_lshrrev_b32_e32 v49, 3, v50
	s_mov_b32 s24, exec_lo
	v_cmpx_gt_u32_e32 8, v50
; %bb.547:                              ;   in Loop: Header=BB263_362 Depth=1
	s_delay_alu instid0(VALU_DEP_3) | instskip(NEXT) | instid1(VALU_DEP_1)
	v_clz_i32_u32_e32 v46, v46
	v_min_u32_e32 v46, 32, v46
	s_delay_alu instid0(VALU_DEP_1) | instskip(NEXT) | instid1(VALU_DEP_1)
	v_subrev_nc_u32_e32 v49, 28, v46
	v_lshlrev_b64_e32 v[50:51], v49, v[1:2]
	v_sub_nc_u32_e32 v49, 29, v46
	s_delay_alu instid0(VALU_DEP_2)
	v_and_b32_e32 v46, 7, v50
; %bb.548:                              ;   in Loop: Header=BB263_362 Depth=1
	s_wait_alu 0xfffe
	s_or_b32 exec_lo, exec_lo, s24
	v_lshlrev_b32_e32 v1, 8, v1
	v_lshl_add_u32 v49, v49, 10, 0x2000
	v_lshlrev_b32_e32 v46, 7, v46
	s_delay_alu instid0(VALU_DEP_3) | instskip(NEXT) | instid1(VALU_DEP_3)
	v_and_b32_e32 v1, 0x8000, v1
	v_and_b32_e32 v49, 0xfc00, v49
	s_delay_alu instid0(VALU_DEP_1)
	v_or3_b32 v46, v1, v49, v46
.LBB263_549:                            ;   in Loop: Header=BB263_362 Depth=1
	s_wait_alu 0xfffe
	s_or_b32 exec_lo, exec_lo, s19
.LBB263_550:                            ;   in Loop: Header=BB263_362 Depth=1
	s_wait_alu 0xfffe
	s_or_b32 exec_lo, exec_lo, s18
.LBB263_551:                            ;   in Loop: Header=BB263_362 Depth=1
	s_wait_alu 0xfffe
	s_or_b32 exec_lo, exec_lo, s17
	v_cmp_lt_u64_e64 s0, s[2:3], v[9:10]
	v_mov_b32_e32 v9, 0
	s_and_saveexec_b32 s17, s0
	s_cbranch_execz .LBB263_559
; %bb.552:                              ;   in Loop: Header=BB263_362 Depth=1
	v_lshrrev_b32_e32 v1, 24, v10
	v_bfrev_b32_e32 v9, 1
	s_mov_b32 s18, exec_lo
	s_delay_alu instid0(VALU_DEP_2)
	v_cmpx_ne_u32_e32 0x80, v1
	s_cbranch_execz .LBB263_558
; %bb.553:                              ;   in Loop: Header=BB263_362 Depth=1
	v_and_b32_e32 v49, 0x7f, v1
	v_mov_b32_e32 v9, 0x7c010000
	s_mov_b32 s19, exec_lo
	s_delay_alu instid0(VALU_DEP_2)
	v_cmpx_ne_u32_e32 0x7f, v49
	s_cbranch_execz .LBB263_557
; %bb.554:                              ;   in Loop: Header=BB263_362 Depth=1
	v_and_b32_e32 v9, 7, v1
	v_lshrrev_b32_e32 v10, 3, v49
	s_mov_b32 s24, exec_lo
	v_cmpx_gt_u32_e32 8, v49
; %bb.555:                              ;   in Loop: Header=BB263_362 Depth=1
	s_delay_alu instid0(VALU_DEP_3) | instskip(NEXT) | instid1(VALU_DEP_1)
	v_clz_i32_u32_e32 v9, v9
	v_min_u32_e32 v49, 32, v9
	s_delay_alu instid0(VALU_DEP_1) | instskip(NEXT) | instid1(VALU_DEP_1)
	v_subrev_nc_u32_e32 v9, 28, v49
	v_lshlrev_b64_e32 v[9:10], v9, v[1:2]
	v_sub_nc_u32_e32 v10, 29, v49
	s_delay_alu instid0(VALU_DEP_2)
	v_and_b32_e32 v9, 7, v9
; %bb.556:                              ;   in Loop: Header=BB263_362 Depth=1
	s_wait_alu 0xfffe
	s_or_b32 exec_lo, exec_lo, s24
	v_lshlrev_b32_e32 v1, 8, v1
	v_lshl_add_u32 v10, v10, 10, 0x2000
	v_lshlrev_b32_e32 v9, 23, v9
	s_delay_alu instid0(VALU_DEP_2) | instskip(NEXT) | instid1(VALU_DEP_1)
	v_and_or_b32 v1, 0x8000, v1, v10
	v_lshl_or_b32 v9, v1, 16, v9
.LBB263_557:                            ;   in Loop: Header=BB263_362 Depth=1
	s_wait_alu 0xfffe
	s_or_b32 exec_lo, exec_lo, s19
.LBB263_558:                            ;   in Loop: Header=BB263_362 Depth=1
	s_wait_alu 0xfffe
	s_or_b32 exec_lo, exec_lo, s18
.LBB263_559:                            ;   in Loop: Header=BB263_362 Depth=1
	s_wait_alu 0xfffe
	s_or_b32 exec_lo, exec_lo, s17
	v_or_b32_e32 v1, v44, v45
	s_wait_loadcnt 0x0
	v_fma_mixlo_f16 v10, v41, v44, 0 op_sel:[0,1,0] op_sel_hi:[0,1,0]
	v_or_b32_e32 v44, v42, v43
	v_fma_mixlo_f16 v42, v41, v42, 0 op_sel:[0,1,0] op_sel_hi:[0,1,0]
	v_or_b32_e32 v45, v48, v47
	v_or_b32_e32 v46, v9, v46
	v_fma_mixlo_f16 v47, v41, v1, 0 op_sel_hi:[0,1,0]
	v_fma_mixlo_f16 v9, v41, v9, 0 op_sel:[0,1,0] op_sel_hi:[0,1,0]
	v_lshlrev_b32_e32 v43, 16, v42
	v_fma_mixlo_f16 v42, v41, v44, 0 op_sel_hi:[0,1,0]
	v_fma_mixlo_f16 v44, v41, v48, 0 op_sel:[0,1,0] op_sel_hi:[0,1,0]
	v_fma_mixlo_f16 v45, v41, v45, 0 op_sel_hi:[0,1,0]
	v_fma_mixlo_f16 v46, v41, v46, 0 op_sel_hi:[0,1,0]
	v_lshlrev_b32_e32 v1, 16, v10
	v_and_b32_e32 v10, 0xffff, v47
	v_and_b32_e32 v49, 0xffff, v42
	v_lshlrev_b32_e32 v41, 16, v44
	v_and_b32_e32 v45, 0xffff, v45
	v_lshlrev_b32_e32 v9, 16, v9
	v_and_b32_e32 v42, 0xffff, v46
	v_or_b32_e32 v44, v1, v10
	v_or_b32_e32 v48, v43, v49
	;; [unrolled: 1-line block ×3, first 2 shown]
	s_delay_alu instid0(VALU_DEP_4)
	v_or_b32_e32 v46, v9, v42
	s_and_saveexec_b32 s17, vcc_lo
	s_cbranch_execz .LBB263_561
; %bb.560:                              ;   in Loop: Header=BB263_362 Depth=1
	v_cmp_gt_i32_e64 s0, s34, v25
	s_wait_alu 0xf1ff
	s_delay_alu instid0(VALU_DEP_1) | instskip(SKIP_2) | instid1(VALU_DEP_1)
	v_cndmask_b32_e64 v44, 0, v49, s0
	v_cmp_gt_i32_e64 s0, s34, v32
	s_wait_alu 0xf1ff
	v_cndmask_b32_e64 v43, 0, v43, s0
	v_cmp_gt_i32_e64 s0, s34, v31
	s_delay_alu instid0(VALU_DEP_2) | instskip(SKIP_1) | instid1(VALU_DEP_2)
	v_or_b32_e32 v48, v43, v44
	s_wait_alu 0xf1ff
	v_cndmask_b32_e64 v10, 0, v10, s0
	v_cmp_gt_i32_e64 s0, s34, v30
	s_wait_alu 0xf1ff
	s_delay_alu instid0(VALU_DEP_1) | instskip(SKIP_1) | instid1(VALU_DEP_2)
	v_cndmask_b32_e64 v1, 0, v1, s0
	v_cmp_gt_i32_e64 s0, s34, v29
	v_or_b32_e32 v44, v1, v10
	s_wait_alu 0xf1ff
	s_delay_alu instid0(VALU_DEP_2) | instskip(SKIP_2) | instid1(VALU_DEP_1)
	v_cndmask_b32_e64 v45, 0, v45, s0
	v_cmp_gt_i32_e64 s0, s34, v28
	s_wait_alu 0xf1ff
	v_cndmask_b32_e64 v41, 0, v41, s0
	v_cmp_gt_i32_e64 s0, s34, v27
	s_delay_alu instid0(VALU_DEP_2) | instskip(SKIP_1) | instid1(VALU_DEP_2)
	v_or_b32_e32 v47, v41, v45
	s_wait_alu 0xf1ff
	v_cndmask_b32_e64 v42, 0, v42, s0
	v_cmp_gt_i32_e64 s0, s34, v26
	s_wait_alu 0xf1ff
	s_delay_alu instid0(VALU_DEP_1) | instskip(NEXT) | instid1(VALU_DEP_1)
	v_cndmask_b32_e64 v9, 0, v9, s0
	v_or_b32_e32 v46, v9, v42
.LBB263_561:                            ;   in Loop: Header=BB263_362 Depth=1
	s_wait_alu 0xfffe
	s_or_b32 exec_lo, exec_lo, s17
	;;#ASMSTART
	v_pk_mul_f16 v1, v38, v48;

	;;#ASMEND
	;;#ASMSTART
	v_pk_mul_f16 v9, v37, v44;

	;;#ASMEND
	;; [unrolled: 4-line block ×4, first 2 shown]
	;;#ASMSTART
	v_pk_add_f16 v1, v1, v9;

	;;#ASMEND
	;;#ASMSTART
	v_pk_add_f16 v1, v1, v10;

	;;#ASMEND
	;; [unrolled: 4-line block ×3, first 2 shown]
	v_dual_mov_b32 v44, 0 :: v_dual_and_b32 v9, 0xffff, v1
	v_lshrrev_b32_e32 v1, 16, v1
	;;#ASMSTART
	v_cvt_f32_f16 v41, v9;
	;;#ASMEND
	;;#ASMSTART
	v_cvt_f32_f16 v42, v1;
	;;#ASMEND
	global_load_b64 v[9:10], v[7:8], off offset:768
	global_load_b32 v43, v44, s[10:11]
	v_mov_b32_e32 v45, 0
	s_mov_b32 s17, exec_lo
	s_wait_loadcnt 0x1
	v_and_b32_e32 v1, 0xff, v9
	s_delay_alu instid0(VALU_DEP_1)
	v_cmpx_ne_u16_e32 0, v1
	s_cbranch_execz .LBB263_569
; %bb.562:                              ;   in Loop: Header=BB263_362 Depth=1
	v_mov_b32_e32 v45, 0x8000
	s_mov_b32 s18, exec_lo
	v_cmpx_ne_u16_e32 0x80, v1
	s_cbranch_execz .LBB263_568
; %bb.563:                              ;   in Loop: Header=BB263_362 Depth=1
	v_and_b32_e32 v46, 0x7f, v9
	v_mov_b32_e32 v45, 0x7c01
	s_mov_b32 s19, exec_lo
	s_delay_alu instid0(VALU_DEP_2)
	v_cmpx_ne_u32_e32 0x7f, v46
	s_cbranch_execz .LBB263_567
; %bb.564:                              ;   in Loop: Header=BB263_362 Depth=1
	v_and_b32_e32 v1, 7, v9
	v_lshrrev_b32_e32 v45, 3, v46
	s_mov_b32 s24, exec_lo
	v_cmpx_gt_u32_e32 8, v46
; %bb.565:                              ;   in Loop: Header=BB263_362 Depth=1
	s_delay_alu instid0(VALU_DEP_3) | instskip(NEXT) | instid1(VALU_DEP_1)
	v_clz_i32_u32_e32 v1, v1
	v_min_u32_e32 v1, 32, v1
	s_delay_alu instid0(VALU_DEP_1) | instskip(NEXT) | instid1(VALU_DEP_1)
	v_subrev_nc_u32_e32 v45, 28, v1
	v_lshlrev_b64_e32 v[46:47], v45, v[9:10]
	v_sub_nc_u32_e32 v45, 29, v1
	s_delay_alu instid0(VALU_DEP_2)
	v_and_b32_e32 v1, 7, v46
; %bb.566:                              ;   in Loop: Header=BB263_362 Depth=1
	s_wait_alu 0xfffe
	s_or_b32 exec_lo, exec_lo, s24
	v_lshlrev_b32_e32 v46, 8, v9
	v_lshl_add_u32 v45, v45, 10, 0x2000
	v_lshlrev_b32_e32 v1, 7, v1
	s_delay_alu instid0(VALU_DEP_3) | instskip(NEXT) | instid1(VALU_DEP_3)
	v_and_b32_e32 v46, 0x8000, v46
	v_and_b32_e32 v45, 0xfc00, v45
	s_delay_alu instid0(VALU_DEP_1)
	v_or3_b32 v45, v46, v45, v1
.LBB263_567:                            ;   in Loop: Header=BB263_362 Depth=1
	s_wait_alu 0xfffe
	s_or_b32 exec_lo, exec_lo, s19
.LBB263_568:                            ;   in Loop: Header=BB263_362 Depth=1
	s_wait_alu 0xfffe
	s_or_b32 exec_lo, exec_lo, s18
.LBB263_569:                            ;   in Loop: Header=BB263_362 Depth=1
	s_wait_alu 0xfffe
	s_or_b32 exec_lo, exec_lo, s17
	v_lshrrev_b16 v1, 8, v9
	s_mov_b32 s17, exec_lo
	s_delay_alu instid0(VALU_DEP_1)
	v_cmpx_ne_u16_e32 0, v1
	s_cbranch_execz .LBB263_577
; %bb.570:                              ;   in Loop: Header=BB263_362 Depth=1
	v_bfrev_b32_e32 v44, 1
	s_mov_b32 s18, exec_lo
	v_cmpx_ne_u16_e32 0x80, v1
	s_cbranch_execz .LBB263_576
; %bb.571:                              ;   in Loop: Header=BB263_362 Depth=1
	v_and_b32_e32 v46, 0xffff, v1
	v_mov_b32_e32 v44, 0x7c010000
	s_mov_b32 s19, exec_lo
	s_delay_alu instid0(VALU_DEP_2) | instskip(NEXT) | instid1(VALU_DEP_1)
	v_and_b32_e32 v48, 0x7f, v46
	v_cmpx_ne_u32_e32 0x7f, v48
	s_cbranch_execz .LBB263_575
; %bb.572:                              ;   in Loop: Header=BB263_362 Depth=1
	v_and_b32_e32 v44, 7, v46
	v_lshrrev_b32_e32 v47, 3, v48
	s_mov_b32 s24, exec_lo
	v_cmpx_gt_u32_e32 8, v48
; %bb.573:                              ;   in Loop: Header=BB263_362 Depth=1
	s_delay_alu instid0(VALU_DEP_3) | instskip(NEXT) | instid1(VALU_DEP_1)
	v_clz_i32_u32_e32 v44, v44
	v_min_u32_e32 v44, 32, v44
	s_delay_alu instid0(VALU_DEP_1) | instskip(NEXT) | instid1(VALU_DEP_1)
	v_subrev_nc_u32_e32 v47, 28, v44
	v_lshlrev_b64_e32 v[48:49], v47, v[1:2]
	v_sub_nc_u32_e32 v47, 29, v44
	s_delay_alu instid0(VALU_DEP_2)
	v_and_b32_e32 v44, 7, v48
; %bb.574:                              ;   in Loop: Header=BB263_362 Depth=1
	s_wait_alu 0xfffe
	s_or_b32 exec_lo, exec_lo, s24
	v_lshlrev_b32_e32 v1, 8, v46
	v_lshl_add_u32 v46, v47, 10, 0x2000
	v_lshlrev_b32_e32 v44, 23, v44
	s_delay_alu instid0(VALU_DEP_2) | instskip(NEXT) | instid1(VALU_DEP_1)
	v_and_or_b32 v1, 0x8000, v1, v46
	v_lshl_or_b32 v44, v1, 16, v44
.LBB263_575:                            ;   in Loop: Header=BB263_362 Depth=1
	s_wait_alu 0xfffe
	s_or_b32 exec_lo, exec_lo, s19
.LBB263_576:                            ;   in Loop: Header=BB263_362 Depth=1
	s_wait_alu 0xfffe
	s_or_b32 exec_lo, exec_lo, s18
.LBB263_577:                            ;   in Loop: Header=BB263_362 Depth=1
	s_wait_alu 0xfffe
	s_or_b32 exec_lo, exec_lo, s17
	v_lshrrev_b32_e32 v1, 16, v9
	v_mov_b32_e32 v46, 0
	s_mov_b32 s17, exec_lo
	s_delay_alu instid0(VALU_DEP_2) | instskip(NEXT) | instid1(VALU_DEP_1)
	v_dual_mov_b32 v47, 0 :: v_dual_and_b32 v48, 0xff, v1
	v_cmpx_ne_u16_e32 0, v48
	s_cbranch_execz .LBB263_585
; %bb.578:                              ;   in Loop: Header=BB263_362 Depth=1
	v_mov_b32_e32 v47, 0x8000
	s_mov_b32 s18, exec_lo
	v_cmpx_ne_u16_e32 0x80, v48
	s_cbranch_execz .LBB263_584
; %bb.579:                              ;   in Loop: Header=BB263_362 Depth=1
	v_bfe_u32 v49, v9, 16, 7
	v_mov_b32_e32 v47, 0x7c01
	s_mov_b32 s19, exec_lo
	s_delay_alu instid0(VALU_DEP_2)
	v_cmpx_ne_u32_e32 0x7f, v49
	s_cbranch_execz .LBB263_583
; %bb.580:                              ;   in Loop: Header=BB263_362 Depth=1
	v_and_b32_e32 v47, 7, v1
	v_lshrrev_b32_e32 v48, 3, v49
	s_mov_b32 s24, exec_lo
	v_cmpx_gt_u32_e32 8, v49
; %bb.581:                              ;   in Loop: Header=BB263_362 Depth=1
	s_delay_alu instid0(VALU_DEP_3) | instskip(NEXT) | instid1(VALU_DEP_1)
	v_clz_i32_u32_e32 v47, v47
	v_min_u32_e32 v49, 32, v47
	s_delay_alu instid0(VALU_DEP_1) | instskip(NEXT) | instid1(VALU_DEP_1)
	v_subrev_nc_u32_e32 v47, 28, v49
	v_lshlrev_b64_e32 v[47:48], v47, v[1:2]
	v_sub_nc_u32_e32 v48, 29, v49
	s_delay_alu instid0(VALU_DEP_2)
	v_and_b32_e32 v47, 7, v47
; %bb.582:                              ;   in Loop: Header=BB263_362 Depth=1
	s_wait_alu 0xfffe
	s_or_b32 exec_lo, exec_lo, s24
	v_lshlrev_b32_e32 v1, 8, v1
	v_lshl_add_u32 v48, v48, 10, 0x2000
	v_lshlrev_b32_e32 v47, 7, v47
	s_delay_alu instid0(VALU_DEP_3) | instskip(NEXT) | instid1(VALU_DEP_3)
	v_and_b32_e32 v1, 0x8000, v1
	v_and_b32_e32 v48, 0xfc00, v48
	s_delay_alu instid0(VALU_DEP_1)
	v_or3_b32 v47, v1, v48, v47
.LBB263_583:                            ;   in Loop: Header=BB263_362 Depth=1
	s_wait_alu 0xfffe
	s_or_b32 exec_lo, exec_lo, s19
.LBB263_584:                            ;   in Loop: Header=BB263_362 Depth=1
	s_wait_alu 0xfffe
	s_or_b32 exec_lo, exec_lo, s18
.LBB263_585:                            ;   in Loop: Header=BB263_362 Depth=1
	s_wait_alu 0xfffe
	s_or_b32 exec_lo, exec_lo, s17
	s_delay_alu instid0(SALU_CYCLE_1)
	s_mov_b32 s17, exec_lo
	v_cmpx_lt_u32_e32 0xffffff, v9
	s_cbranch_execz .LBB263_593
; %bb.586:                              ;   in Loop: Header=BB263_362 Depth=1
	v_lshrrev_b32_e32 v1, 24, v9
	v_bfrev_b32_e32 v46, 1
	s_mov_b32 s18, exec_lo
	s_delay_alu instid0(VALU_DEP_2)
	v_cmpx_ne_u32_e32 0x80, v1
	s_cbranch_execz .LBB263_592
; %bb.587:                              ;   in Loop: Header=BB263_362 Depth=1
	v_and_b32_e32 v49, 0x7f, v1
	v_mov_b32_e32 v46, 0x7c010000
	s_mov_b32 s19, exec_lo
	s_delay_alu instid0(VALU_DEP_2)
	v_cmpx_ne_u32_e32 0x7f, v49
	s_cbranch_execz .LBB263_591
; %bb.588:                              ;   in Loop: Header=BB263_362 Depth=1
	v_and_b32_e32 v46, 7, v1
	v_lshrrev_b32_e32 v48, 3, v49
	s_mov_b32 s24, exec_lo
	v_cmpx_gt_u32_e32 8, v49
; %bb.589:                              ;   in Loop: Header=BB263_362 Depth=1
	s_delay_alu instid0(VALU_DEP_3) | instskip(NEXT) | instid1(VALU_DEP_1)
	v_clz_i32_u32_e32 v46, v46
	v_min_u32_e32 v46, 32, v46
	s_delay_alu instid0(VALU_DEP_1) | instskip(NEXT) | instid1(VALU_DEP_1)
	v_subrev_nc_u32_e32 v48, 28, v46
	v_lshlrev_b64_e32 v[49:50], v48, v[1:2]
	v_sub_nc_u32_e32 v48, 29, v46
	s_delay_alu instid0(VALU_DEP_2)
	v_and_b32_e32 v46, 7, v49
; %bb.590:                              ;   in Loop: Header=BB263_362 Depth=1
	s_wait_alu 0xfffe
	s_or_b32 exec_lo, exec_lo, s24
	v_lshlrev_b32_e32 v1, 8, v1
	v_lshl_add_u32 v48, v48, 10, 0x2000
	v_lshlrev_b32_e32 v46, 23, v46
	s_delay_alu instid0(VALU_DEP_2) | instskip(NEXT) | instid1(VALU_DEP_1)
	v_and_or_b32 v1, 0x8000, v1, v48
	v_lshl_or_b32 v46, v1, 16, v46
.LBB263_591:                            ;   in Loop: Header=BB263_362 Depth=1
	s_wait_alu 0xfffe
	s_or_b32 exec_lo, exec_lo, s19
.LBB263_592:                            ;   in Loop: Header=BB263_362 Depth=1
	s_wait_alu 0xfffe
	s_or_b32 exec_lo, exec_lo, s18
.LBB263_593:                            ;   in Loop: Header=BB263_362 Depth=1
	s_wait_alu 0xfffe
	s_or_b32 exec_lo, exec_lo, s17
	v_dual_mov_b32 v1, v10 :: v_dual_and_b32 v50, 0xff, v10
	v_dual_mov_b32 v48, 0 :: v_dual_mov_b32 v49, 0
	s_mov_b32 s17, exec_lo
	s_delay_alu instid0(VALU_DEP_2)
	v_cmpx_ne_u16_e32 0, v50
	s_cbranch_execz .LBB263_601
; %bb.594:                              ;   in Loop: Header=BB263_362 Depth=1
	v_mov_b32_e32 v49, 0x8000
	s_mov_b32 s18, exec_lo
	v_cmpx_ne_u16_e32 0x80, v50
	s_cbranch_execz .LBB263_600
; %bb.595:                              ;   in Loop: Header=BB263_362 Depth=1
	v_and_b32_e32 v51, 0x7f, v10
	v_mov_b32_e32 v49, 0x7c01
	s_mov_b32 s19, exec_lo
	s_delay_alu instid0(VALU_DEP_2)
	v_cmpx_ne_u32_e32 0x7f, v51
	s_cbranch_execz .LBB263_599
; %bb.596:                              ;   in Loop: Header=BB263_362 Depth=1
	v_and_b32_e32 v49, 7, v10
	v_lshrrev_b32_e32 v50, 3, v51
	s_mov_b32 s24, exec_lo
	v_cmpx_gt_u32_e32 8, v51
; %bb.597:                              ;   in Loop: Header=BB263_362 Depth=1
	s_delay_alu instid0(VALU_DEP_3) | instskip(NEXT) | instid1(VALU_DEP_1)
	v_clz_i32_u32_e32 v49, v49
	v_min_u32_e32 v51, 32, v49
	s_delay_alu instid0(VALU_DEP_1) | instskip(NEXT) | instid1(VALU_DEP_1)
	v_subrev_nc_u32_e32 v49, 28, v51
	v_lshlrev_b64_e32 v[49:50], v49, v[1:2]
	v_sub_nc_u32_e32 v50, 29, v51
	s_delay_alu instid0(VALU_DEP_2)
	v_and_b32_e32 v49, 7, v49
; %bb.598:                              ;   in Loop: Header=BB263_362 Depth=1
	s_wait_alu 0xfffe
	s_or_b32 exec_lo, exec_lo, s24
	v_lshlrev_b32_e32 v51, 8, v10
	v_lshl_add_u32 v50, v50, 10, 0x2000
	v_lshlrev_b32_e32 v49, 7, v49
	s_delay_alu instid0(VALU_DEP_3) | instskip(NEXT) | instid1(VALU_DEP_3)
	v_and_b32_e32 v51, 0x8000, v51
	v_and_b32_e32 v50, 0xfc00, v50
	s_delay_alu instid0(VALU_DEP_1)
	v_or3_b32 v49, v51, v50, v49
.LBB263_599:                            ;   in Loop: Header=BB263_362 Depth=1
	s_wait_alu 0xfffe
	s_or_b32 exec_lo, exec_lo, s19
.LBB263_600:                            ;   in Loop: Header=BB263_362 Depth=1
	s_wait_alu 0xfffe
	s_or_b32 exec_lo, exec_lo, s18
.LBB263_601:                            ;   in Loop: Header=BB263_362 Depth=1
	s_wait_alu 0xfffe
	s_or_b32 exec_lo, exec_lo, s17
	v_lshrrev_b16 v1, 8, v1
	v_mov_b32_e32 v50, 0
	s_mov_b32 s17, exec_lo
	s_delay_alu instid0(VALU_DEP_2)
	v_cmpx_ne_u16_e32 0, v1
	s_cbranch_execz .LBB263_609
; %bb.602:                              ;   in Loop: Header=BB263_362 Depth=1
	v_bfrev_b32_e32 v50, 1
	s_mov_b32 s18, exec_lo
	v_cmpx_ne_u16_e32 0x80, v1
	s_cbranch_execz .LBB263_608
; %bb.603:                              ;   in Loop: Header=BB263_362 Depth=1
	v_and_b32_e32 v51, 0xffff, v1
	v_mov_b32_e32 v50, 0x7c010000
	s_mov_b32 s19, exec_lo
	s_delay_alu instid0(VALU_DEP_2) | instskip(NEXT) | instid1(VALU_DEP_1)
	v_and_b32_e32 v53, 0x7f, v51
	v_cmpx_ne_u32_e32 0x7f, v53
	s_cbranch_execz .LBB263_607
; %bb.604:                              ;   in Loop: Header=BB263_362 Depth=1
	v_and_b32_e32 v50, 7, v51
	v_lshrrev_b32_e32 v52, 3, v53
	s_mov_b32 s24, exec_lo
	v_cmpx_gt_u32_e32 8, v53
; %bb.605:                              ;   in Loop: Header=BB263_362 Depth=1
	s_delay_alu instid0(VALU_DEP_3) | instskip(NEXT) | instid1(VALU_DEP_1)
	v_clz_i32_u32_e32 v50, v50
	v_min_u32_e32 v50, 32, v50
	s_delay_alu instid0(VALU_DEP_1) | instskip(NEXT) | instid1(VALU_DEP_1)
	v_subrev_nc_u32_e32 v52, 28, v50
	v_lshlrev_b64_e32 v[53:54], v52, v[1:2]
	v_sub_nc_u32_e32 v52, 29, v50
	s_delay_alu instid0(VALU_DEP_2)
	v_and_b32_e32 v50, 7, v53
; %bb.606:                              ;   in Loop: Header=BB263_362 Depth=1
	s_wait_alu 0xfffe
	s_or_b32 exec_lo, exec_lo, s24
	v_lshlrev_b32_e32 v1, 8, v51
	v_lshl_add_u32 v51, v52, 10, 0x2000
	v_lshlrev_b32_e32 v50, 23, v50
	s_delay_alu instid0(VALU_DEP_2) | instskip(NEXT) | instid1(VALU_DEP_1)
	v_and_or_b32 v1, 0x8000, v1, v51
	v_lshl_or_b32 v50, v1, 16, v50
.LBB263_607:                            ;   in Loop: Header=BB263_362 Depth=1
	s_wait_alu 0xfffe
	s_or_b32 exec_lo, exec_lo, s19
.LBB263_608:                            ;   in Loop: Header=BB263_362 Depth=1
	s_wait_alu 0xfffe
	s_or_b32 exec_lo, exec_lo, s18
.LBB263_609:                            ;   in Loop: Header=BB263_362 Depth=1
	s_wait_alu 0xfffe
	s_or_b32 exec_lo, exec_lo, s17
	v_lshrrev_b32_e32 v1, 16, v10
	s_mov_b32 s17, exec_lo
	s_delay_alu instid0(VALU_DEP_1) | instskip(NEXT) | instid1(VALU_DEP_1)
	v_and_b32_e32 v51, 0xff, v1
	v_cmpx_ne_u16_e32 0, v51
	s_cbranch_execz .LBB263_617
; %bb.610:                              ;   in Loop: Header=BB263_362 Depth=1
	v_mov_b32_e32 v48, 0x8000
	s_mov_b32 s18, exec_lo
	v_cmpx_ne_u16_e32 0x80, v51
	s_cbranch_execz .LBB263_616
; %bb.611:                              ;   in Loop: Header=BB263_362 Depth=1
	v_bfe_u32 v52, v10, 16, 7
	v_mov_b32_e32 v48, 0x7c01
	s_mov_b32 s19, exec_lo
	s_delay_alu instid0(VALU_DEP_2)
	v_cmpx_ne_u32_e32 0x7f, v52
	s_cbranch_execz .LBB263_615
; %bb.612:                              ;   in Loop: Header=BB263_362 Depth=1
	v_and_b32_e32 v48, 7, v1
	v_lshrrev_b32_e32 v51, 3, v52
	s_mov_b32 s24, exec_lo
	v_cmpx_gt_u32_e32 8, v52
; %bb.613:                              ;   in Loop: Header=BB263_362 Depth=1
	s_delay_alu instid0(VALU_DEP_3) | instskip(NEXT) | instid1(VALU_DEP_1)
	v_clz_i32_u32_e32 v48, v48
	v_min_u32_e32 v48, 32, v48
	s_delay_alu instid0(VALU_DEP_1) | instskip(NEXT) | instid1(VALU_DEP_1)
	v_subrev_nc_u32_e32 v51, 28, v48
	v_lshlrev_b64_e32 v[52:53], v51, v[1:2]
	v_sub_nc_u32_e32 v51, 29, v48
	s_delay_alu instid0(VALU_DEP_2)
	v_and_b32_e32 v48, 7, v52
; %bb.614:                              ;   in Loop: Header=BB263_362 Depth=1
	s_wait_alu 0xfffe
	s_or_b32 exec_lo, exec_lo, s24
	v_lshlrev_b32_e32 v1, 8, v1
	v_lshl_add_u32 v51, v51, 10, 0x2000
	v_lshlrev_b32_e32 v48, 7, v48
	s_delay_alu instid0(VALU_DEP_3) | instskip(NEXT) | instid1(VALU_DEP_3)
	v_and_b32_e32 v1, 0x8000, v1
	v_and_b32_e32 v51, 0xfc00, v51
	s_delay_alu instid0(VALU_DEP_1)
	v_or3_b32 v48, v1, v51, v48
.LBB263_615:                            ;   in Loop: Header=BB263_362 Depth=1
	s_wait_alu 0xfffe
	s_or_b32 exec_lo, exec_lo, s19
.LBB263_616:                            ;   in Loop: Header=BB263_362 Depth=1
	s_wait_alu 0xfffe
	s_or_b32 exec_lo, exec_lo, s18
.LBB263_617:                            ;   in Loop: Header=BB263_362 Depth=1
	s_wait_alu 0xfffe
	s_or_b32 exec_lo, exec_lo, s17
	v_cmp_lt_u64_e64 s0, s[2:3], v[9:10]
	v_mov_b32_e32 v9, 0
	s_and_saveexec_b32 s17, s0
	s_cbranch_execz .LBB263_625
; %bb.618:                              ;   in Loop: Header=BB263_362 Depth=1
	v_lshrrev_b32_e32 v1, 24, v10
	v_bfrev_b32_e32 v9, 1
	s_mov_b32 s18, exec_lo
	s_delay_alu instid0(VALU_DEP_2)
	v_cmpx_ne_u32_e32 0x80, v1
	s_cbranch_execz .LBB263_624
; %bb.619:                              ;   in Loop: Header=BB263_362 Depth=1
	v_and_b32_e32 v51, 0x7f, v1
	v_mov_b32_e32 v9, 0x7c010000
	s_mov_b32 s19, exec_lo
	s_delay_alu instid0(VALU_DEP_2)
	v_cmpx_ne_u32_e32 0x7f, v51
	s_cbranch_execz .LBB263_623
; %bb.620:                              ;   in Loop: Header=BB263_362 Depth=1
	v_and_b32_e32 v9, 7, v1
	v_lshrrev_b32_e32 v10, 3, v51
	s_mov_b32 s24, exec_lo
	v_cmpx_gt_u32_e32 8, v51
; %bb.621:                              ;   in Loop: Header=BB263_362 Depth=1
	s_delay_alu instid0(VALU_DEP_3) | instskip(NEXT) | instid1(VALU_DEP_1)
	v_clz_i32_u32_e32 v9, v9
	v_min_u32_e32 v51, 32, v9
	s_delay_alu instid0(VALU_DEP_1) | instskip(NEXT) | instid1(VALU_DEP_1)
	v_subrev_nc_u32_e32 v9, 28, v51
	v_lshlrev_b64_e32 v[9:10], v9, v[1:2]
	v_sub_nc_u32_e32 v10, 29, v51
	s_delay_alu instid0(VALU_DEP_2)
	v_and_b32_e32 v9, 7, v9
; %bb.622:                              ;   in Loop: Header=BB263_362 Depth=1
	s_wait_alu 0xfffe
	s_or_b32 exec_lo, exec_lo, s24
	v_lshlrev_b32_e32 v1, 8, v1
	v_lshl_add_u32 v10, v10, 10, 0x2000
	v_lshlrev_b32_e32 v9, 23, v9
	s_delay_alu instid0(VALU_DEP_2) | instskip(NEXT) | instid1(VALU_DEP_1)
	v_and_or_b32 v1, 0x8000, v1, v10
	v_lshl_or_b32 v9, v1, 16, v9
.LBB263_623:                            ;   in Loop: Header=BB263_362 Depth=1
	s_wait_alu 0xfffe
	s_or_b32 exec_lo, exec_lo, s19
.LBB263_624:                            ;   in Loop: Header=BB263_362 Depth=1
	s_wait_alu 0xfffe
	s_or_b32 exec_lo, exec_lo, s18
.LBB263_625:                            ;   in Loop: Header=BB263_362 Depth=1
	s_wait_alu 0xfffe
	s_or_b32 exec_lo, exec_lo, s17
	v_or_b32_e32 v1, v46, v47
	s_wait_loadcnt 0x0
	v_fma_mixlo_f16 v10, v43, v46, 0 op_sel:[0,1,0] op_sel_hi:[0,1,0]
	v_or_b32_e32 v46, v44, v45
	v_fma_mixlo_f16 v44, v43, v44, 0 op_sel:[0,1,0] op_sel_hi:[0,1,0]
	v_or_b32_e32 v47, v50, v49
	v_or_b32_e32 v48, v9, v48
	v_fma_mixlo_f16 v49, v43, v1, 0 op_sel_hi:[0,1,0]
	v_fma_mixlo_f16 v9, v43, v9, 0 op_sel:[0,1,0] op_sel_hi:[0,1,0]
	v_lshlrev_b32_e32 v45, 16, v44
	v_fma_mixlo_f16 v44, v43, v46, 0 op_sel_hi:[0,1,0]
	v_fma_mixlo_f16 v46, v43, v50, 0 op_sel:[0,1,0] op_sel_hi:[0,1,0]
	v_fma_mixlo_f16 v47, v43, v47, 0 op_sel_hi:[0,1,0]
	v_fma_mixlo_f16 v48, v43, v48, 0 op_sel_hi:[0,1,0]
	v_lshlrev_b32_e32 v1, 16, v10
	v_and_b32_e32 v10, 0xffff, v49
	v_and_b32_e32 v51, 0xffff, v44
	v_lshlrev_b32_e32 v43, 16, v46
	v_and_b32_e32 v47, 0xffff, v47
	v_lshlrev_b32_e32 v9, 16, v9
	v_and_b32_e32 v44, 0xffff, v48
	v_or_b32_e32 v46, v1, v10
	v_or_b32_e32 v50, v45, v51
	v_or_b32_e32 v49, v43, v47
	s_delay_alu instid0(VALU_DEP_4)
	v_or_b32_e32 v48, v9, v44
	s_and_saveexec_b32 s17, vcc_lo
	s_cbranch_execz .LBB263_627
; %bb.626:                              ;   in Loop: Header=BB263_362 Depth=1
	v_cmp_gt_i32_e64 s0, s34, v25
	s_wait_alu 0xf1ff
	s_delay_alu instid0(VALU_DEP_1) | instskip(SKIP_2) | instid1(VALU_DEP_1)
	v_cndmask_b32_e64 v46, 0, v51, s0
	v_cmp_gt_i32_e64 s0, s34, v32
	s_wait_alu 0xf1ff
	v_cndmask_b32_e64 v45, 0, v45, s0
	v_cmp_gt_i32_e64 s0, s34, v31
	s_delay_alu instid0(VALU_DEP_2) | instskip(SKIP_1) | instid1(VALU_DEP_2)
	v_or_b32_e32 v50, v45, v46
	s_wait_alu 0xf1ff
	v_cndmask_b32_e64 v10, 0, v10, s0
	v_cmp_gt_i32_e64 s0, s34, v30
	s_wait_alu 0xf1ff
	s_delay_alu instid0(VALU_DEP_1) | instskip(SKIP_1) | instid1(VALU_DEP_2)
	v_cndmask_b32_e64 v1, 0, v1, s0
	v_cmp_gt_i32_e64 s0, s34, v29
	v_or_b32_e32 v46, v1, v10
	s_wait_alu 0xf1ff
	s_delay_alu instid0(VALU_DEP_2) | instskip(SKIP_2) | instid1(VALU_DEP_1)
	v_cndmask_b32_e64 v47, 0, v47, s0
	v_cmp_gt_i32_e64 s0, s34, v28
	s_wait_alu 0xf1ff
	v_cndmask_b32_e64 v43, 0, v43, s0
	v_cmp_gt_i32_e64 s0, s34, v27
	s_delay_alu instid0(VALU_DEP_2) | instskip(SKIP_1) | instid1(VALU_DEP_2)
	v_or_b32_e32 v49, v43, v47
	s_wait_alu 0xf1ff
	v_cndmask_b32_e64 v44, 0, v44, s0
	v_cmp_gt_i32_e64 s0, s34, v26
	s_wait_alu 0xf1ff
	s_delay_alu instid0(VALU_DEP_1) | instskip(NEXT) | instid1(VALU_DEP_1)
	v_cndmask_b32_e64 v9, 0, v9, s0
	v_or_b32_e32 v48, v9, v44
.LBB263_627:                            ;   in Loop: Header=BB263_362 Depth=1
	s_wait_alu 0xfffe
	s_or_b32 exec_lo, exec_lo, s17
	;;#ASMSTART
	v_pk_mul_f16 v1, v38, v50;

	;;#ASMEND
	;;#ASMSTART
	v_pk_mul_f16 v9, v37, v46;

	;;#ASMEND
	;; [unrolled: 4-line block ×4, first 2 shown]
	;;#ASMSTART
	v_pk_add_f16 v1, v1, v9;

	;;#ASMEND
	;;#ASMSTART
	v_pk_add_f16 v1, v1, v10;

	;;#ASMEND
	;; [unrolled: 4-line block ×3, first 2 shown]
	v_dual_mov_b32 v44, 0 :: v_dual_and_b32 v9, 0xffff, v1
	v_lshrrev_b32_e32 v1, 16, v1
	;;#ASMSTART
	v_cvt_f32_f16 v9, v9;
	;;#ASMEND
	;;#ASMSTART
	v_cvt_f32_f16 v10, v1;
	;;#ASMEND
	global_load_b64 v[7:8], v[7:8], off offset:1024
	global_load_b32 v43, v44, s[10:11]
	v_mov_b32_e32 v45, 0
	s_mov_b32 s17, exec_lo
	s_wait_loadcnt 0x1
	v_and_b32_e32 v1, 0xff, v7
	s_delay_alu instid0(VALU_DEP_1)
	v_cmpx_ne_u16_e32 0, v1
	s_cbranch_execz .LBB263_635
; %bb.628:                              ;   in Loop: Header=BB263_362 Depth=1
	v_mov_b32_e32 v45, 0x8000
	s_mov_b32 s18, exec_lo
	v_cmpx_ne_u16_e32 0x80, v1
	s_cbranch_execz .LBB263_634
; %bb.629:                              ;   in Loop: Header=BB263_362 Depth=1
	v_and_b32_e32 v46, 0x7f, v7
	v_mov_b32_e32 v45, 0x7c01
	s_mov_b32 s19, exec_lo
	s_delay_alu instid0(VALU_DEP_2)
	v_cmpx_ne_u32_e32 0x7f, v46
	s_cbranch_execz .LBB263_633
; %bb.630:                              ;   in Loop: Header=BB263_362 Depth=1
	v_and_b32_e32 v1, 7, v7
	v_lshrrev_b32_e32 v45, 3, v46
	s_mov_b32 s24, exec_lo
	v_cmpx_gt_u32_e32 8, v46
; %bb.631:                              ;   in Loop: Header=BB263_362 Depth=1
	s_delay_alu instid0(VALU_DEP_3) | instskip(NEXT) | instid1(VALU_DEP_1)
	v_clz_i32_u32_e32 v1, v1
	v_min_u32_e32 v1, 32, v1
	s_delay_alu instid0(VALU_DEP_1) | instskip(NEXT) | instid1(VALU_DEP_1)
	v_subrev_nc_u32_e32 v45, 28, v1
	v_lshlrev_b64_e32 v[46:47], v45, v[7:8]
	v_sub_nc_u32_e32 v45, 29, v1
	s_delay_alu instid0(VALU_DEP_2)
	v_and_b32_e32 v1, 7, v46
; %bb.632:                              ;   in Loop: Header=BB263_362 Depth=1
	s_wait_alu 0xfffe
	s_or_b32 exec_lo, exec_lo, s24
	v_lshlrev_b32_e32 v46, 8, v7
	v_lshl_add_u32 v45, v45, 10, 0x2000
	v_lshlrev_b32_e32 v1, 7, v1
	s_delay_alu instid0(VALU_DEP_3) | instskip(NEXT) | instid1(VALU_DEP_3)
	v_and_b32_e32 v46, 0x8000, v46
	v_and_b32_e32 v45, 0xfc00, v45
	s_delay_alu instid0(VALU_DEP_1)
	v_or3_b32 v45, v46, v45, v1
.LBB263_633:                            ;   in Loop: Header=BB263_362 Depth=1
	s_wait_alu 0xfffe
	s_or_b32 exec_lo, exec_lo, s19
.LBB263_634:                            ;   in Loop: Header=BB263_362 Depth=1
	s_wait_alu 0xfffe
	s_or_b32 exec_lo, exec_lo, s18
.LBB263_635:                            ;   in Loop: Header=BB263_362 Depth=1
	s_wait_alu 0xfffe
	s_or_b32 exec_lo, exec_lo, s17
	v_lshrrev_b16 v1, 8, v7
	s_mov_b32 s17, exec_lo
	s_delay_alu instid0(VALU_DEP_1)
	v_cmpx_ne_u16_e32 0, v1
	s_cbranch_execz .LBB263_643
; %bb.636:                              ;   in Loop: Header=BB263_362 Depth=1
	v_bfrev_b32_e32 v44, 1
	s_mov_b32 s18, exec_lo
	v_cmpx_ne_u16_e32 0x80, v1
	s_cbranch_execz .LBB263_642
; %bb.637:                              ;   in Loop: Header=BB263_362 Depth=1
	v_and_b32_e32 v46, 0xffff, v1
	v_mov_b32_e32 v44, 0x7c010000
	s_mov_b32 s19, exec_lo
	s_delay_alu instid0(VALU_DEP_2) | instskip(NEXT) | instid1(VALU_DEP_1)
	v_and_b32_e32 v48, 0x7f, v46
	v_cmpx_ne_u32_e32 0x7f, v48
	s_cbranch_execz .LBB263_641
; %bb.638:                              ;   in Loop: Header=BB263_362 Depth=1
	v_and_b32_e32 v44, 7, v46
	v_lshrrev_b32_e32 v47, 3, v48
	s_mov_b32 s24, exec_lo
	v_cmpx_gt_u32_e32 8, v48
; %bb.639:                              ;   in Loop: Header=BB263_362 Depth=1
	s_delay_alu instid0(VALU_DEP_3) | instskip(NEXT) | instid1(VALU_DEP_1)
	v_clz_i32_u32_e32 v44, v44
	v_min_u32_e32 v44, 32, v44
	s_delay_alu instid0(VALU_DEP_1) | instskip(NEXT) | instid1(VALU_DEP_1)
	v_subrev_nc_u32_e32 v47, 28, v44
	v_lshlrev_b64_e32 v[48:49], v47, v[1:2]
	v_sub_nc_u32_e32 v47, 29, v44
	s_delay_alu instid0(VALU_DEP_2)
	v_and_b32_e32 v44, 7, v48
; %bb.640:                              ;   in Loop: Header=BB263_362 Depth=1
	s_wait_alu 0xfffe
	s_or_b32 exec_lo, exec_lo, s24
	v_lshlrev_b32_e32 v1, 8, v46
	v_lshl_add_u32 v46, v47, 10, 0x2000
	v_lshlrev_b32_e32 v44, 23, v44
	s_delay_alu instid0(VALU_DEP_2) | instskip(NEXT) | instid1(VALU_DEP_1)
	v_and_or_b32 v1, 0x8000, v1, v46
	v_lshl_or_b32 v44, v1, 16, v44
.LBB263_641:                            ;   in Loop: Header=BB263_362 Depth=1
	s_wait_alu 0xfffe
	s_or_b32 exec_lo, exec_lo, s19
.LBB263_642:                            ;   in Loop: Header=BB263_362 Depth=1
	s_wait_alu 0xfffe
	s_or_b32 exec_lo, exec_lo, s18
.LBB263_643:                            ;   in Loop: Header=BB263_362 Depth=1
	s_wait_alu 0xfffe
	s_or_b32 exec_lo, exec_lo, s17
	v_lshrrev_b32_e32 v1, 16, v7
	v_mov_b32_e32 v46, 0
	s_mov_b32 s17, exec_lo
	s_delay_alu instid0(VALU_DEP_2) | instskip(NEXT) | instid1(VALU_DEP_1)
	v_dual_mov_b32 v47, 0 :: v_dual_and_b32 v48, 0xff, v1
	v_cmpx_ne_u16_e32 0, v48
	s_cbranch_execz .LBB263_651
; %bb.644:                              ;   in Loop: Header=BB263_362 Depth=1
	v_mov_b32_e32 v47, 0x8000
	s_mov_b32 s18, exec_lo
	v_cmpx_ne_u16_e32 0x80, v48
	s_cbranch_execz .LBB263_650
; %bb.645:                              ;   in Loop: Header=BB263_362 Depth=1
	v_bfe_u32 v49, v7, 16, 7
	v_mov_b32_e32 v47, 0x7c01
	s_mov_b32 s19, exec_lo
	s_delay_alu instid0(VALU_DEP_2)
	v_cmpx_ne_u32_e32 0x7f, v49
	s_cbranch_execz .LBB263_649
; %bb.646:                              ;   in Loop: Header=BB263_362 Depth=1
	v_and_b32_e32 v47, 7, v1
	v_lshrrev_b32_e32 v48, 3, v49
	s_mov_b32 s24, exec_lo
	v_cmpx_gt_u32_e32 8, v49
; %bb.647:                              ;   in Loop: Header=BB263_362 Depth=1
	s_delay_alu instid0(VALU_DEP_3) | instskip(NEXT) | instid1(VALU_DEP_1)
	v_clz_i32_u32_e32 v47, v47
	v_min_u32_e32 v49, 32, v47
	s_delay_alu instid0(VALU_DEP_1) | instskip(NEXT) | instid1(VALU_DEP_1)
	v_subrev_nc_u32_e32 v47, 28, v49
	v_lshlrev_b64_e32 v[47:48], v47, v[1:2]
	v_sub_nc_u32_e32 v48, 29, v49
	s_delay_alu instid0(VALU_DEP_2)
	v_and_b32_e32 v47, 7, v47
; %bb.648:                              ;   in Loop: Header=BB263_362 Depth=1
	s_wait_alu 0xfffe
	s_or_b32 exec_lo, exec_lo, s24
	v_lshlrev_b32_e32 v1, 8, v1
	v_lshl_add_u32 v48, v48, 10, 0x2000
	v_lshlrev_b32_e32 v47, 7, v47
	s_delay_alu instid0(VALU_DEP_3) | instskip(NEXT) | instid1(VALU_DEP_3)
	v_and_b32_e32 v1, 0x8000, v1
	v_and_b32_e32 v48, 0xfc00, v48
	s_delay_alu instid0(VALU_DEP_1)
	v_or3_b32 v47, v1, v48, v47
.LBB263_649:                            ;   in Loop: Header=BB263_362 Depth=1
	s_wait_alu 0xfffe
	s_or_b32 exec_lo, exec_lo, s19
.LBB263_650:                            ;   in Loop: Header=BB263_362 Depth=1
	s_wait_alu 0xfffe
	s_or_b32 exec_lo, exec_lo, s18
.LBB263_651:                            ;   in Loop: Header=BB263_362 Depth=1
	s_wait_alu 0xfffe
	s_or_b32 exec_lo, exec_lo, s17
	s_delay_alu instid0(SALU_CYCLE_1)
	s_mov_b32 s17, exec_lo
	v_cmpx_lt_u32_e32 0xffffff, v7
	s_cbranch_execz .LBB263_659
; %bb.652:                              ;   in Loop: Header=BB263_362 Depth=1
	v_lshrrev_b32_e32 v1, 24, v7
	v_bfrev_b32_e32 v46, 1
	s_mov_b32 s18, exec_lo
	s_delay_alu instid0(VALU_DEP_2)
	v_cmpx_ne_u32_e32 0x80, v1
	s_cbranch_execz .LBB263_658
; %bb.653:                              ;   in Loop: Header=BB263_362 Depth=1
	v_and_b32_e32 v49, 0x7f, v1
	v_mov_b32_e32 v46, 0x7c010000
	s_mov_b32 s19, exec_lo
	s_delay_alu instid0(VALU_DEP_2)
	v_cmpx_ne_u32_e32 0x7f, v49
	s_cbranch_execz .LBB263_657
; %bb.654:                              ;   in Loop: Header=BB263_362 Depth=1
	v_and_b32_e32 v46, 7, v1
	v_lshrrev_b32_e32 v48, 3, v49
	s_mov_b32 s24, exec_lo
	v_cmpx_gt_u32_e32 8, v49
; %bb.655:                              ;   in Loop: Header=BB263_362 Depth=1
	s_delay_alu instid0(VALU_DEP_3) | instskip(NEXT) | instid1(VALU_DEP_1)
	v_clz_i32_u32_e32 v46, v46
	v_min_u32_e32 v46, 32, v46
	s_delay_alu instid0(VALU_DEP_1) | instskip(NEXT) | instid1(VALU_DEP_1)
	v_subrev_nc_u32_e32 v48, 28, v46
	v_lshlrev_b64_e32 v[49:50], v48, v[1:2]
	v_sub_nc_u32_e32 v48, 29, v46
	s_delay_alu instid0(VALU_DEP_2)
	v_and_b32_e32 v46, 7, v49
; %bb.656:                              ;   in Loop: Header=BB263_362 Depth=1
	s_wait_alu 0xfffe
	s_or_b32 exec_lo, exec_lo, s24
	v_lshlrev_b32_e32 v1, 8, v1
	v_lshl_add_u32 v48, v48, 10, 0x2000
	v_lshlrev_b32_e32 v46, 23, v46
	s_delay_alu instid0(VALU_DEP_2) | instskip(NEXT) | instid1(VALU_DEP_1)
	v_and_or_b32 v1, 0x8000, v1, v48
	v_lshl_or_b32 v46, v1, 16, v46
.LBB263_657:                            ;   in Loop: Header=BB263_362 Depth=1
	s_wait_alu 0xfffe
	s_or_b32 exec_lo, exec_lo, s19
.LBB263_658:                            ;   in Loop: Header=BB263_362 Depth=1
	s_wait_alu 0xfffe
	s_or_b32 exec_lo, exec_lo, s18
.LBB263_659:                            ;   in Loop: Header=BB263_362 Depth=1
	s_wait_alu 0xfffe
	s_or_b32 exec_lo, exec_lo, s17
	v_dual_mov_b32 v1, v8 :: v_dual_and_b32 v50, 0xff, v8
	v_dual_mov_b32 v48, 0 :: v_dual_mov_b32 v49, 0
	s_mov_b32 s17, exec_lo
	s_delay_alu instid0(VALU_DEP_2)
	v_cmpx_ne_u16_e32 0, v50
	s_cbranch_execz .LBB263_667
; %bb.660:                              ;   in Loop: Header=BB263_362 Depth=1
	v_mov_b32_e32 v49, 0x8000
	s_mov_b32 s18, exec_lo
	v_cmpx_ne_u16_e32 0x80, v50
	s_cbranch_execz .LBB263_666
; %bb.661:                              ;   in Loop: Header=BB263_362 Depth=1
	v_and_b32_e32 v51, 0x7f, v8
	v_mov_b32_e32 v49, 0x7c01
	s_mov_b32 s19, exec_lo
	s_delay_alu instid0(VALU_DEP_2)
	v_cmpx_ne_u32_e32 0x7f, v51
	s_cbranch_execz .LBB263_665
; %bb.662:                              ;   in Loop: Header=BB263_362 Depth=1
	v_and_b32_e32 v49, 7, v8
	v_lshrrev_b32_e32 v50, 3, v51
	s_mov_b32 s24, exec_lo
	v_cmpx_gt_u32_e32 8, v51
; %bb.663:                              ;   in Loop: Header=BB263_362 Depth=1
	s_delay_alu instid0(VALU_DEP_3) | instskip(NEXT) | instid1(VALU_DEP_1)
	v_clz_i32_u32_e32 v49, v49
	v_min_u32_e32 v51, 32, v49
	s_delay_alu instid0(VALU_DEP_1) | instskip(NEXT) | instid1(VALU_DEP_1)
	v_subrev_nc_u32_e32 v49, 28, v51
	v_lshlrev_b64_e32 v[49:50], v49, v[1:2]
	v_sub_nc_u32_e32 v50, 29, v51
	s_delay_alu instid0(VALU_DEP_2)
	v_and_b32_e32 v49, 7, v49
; %bb.664:                              ;   in Loop: Header=BB263_362 Depth=1
	s_wait_alu 0xfffe
	s_or_b32 exec_lo, exec_lo, s24
	v_lshlrev_b32_e32 v51, 8, v8
	v_lshl_add_u32 v50, v50, 10, 0x2000
	v_lshlrev_b32_e32 v49, 7, v49
	s_delay_alu instid0(VALU_DEP_3) | instskip(NEXT) | instid1(VALU_DEP_3)
	v_and_b32_e32 v51, 0x8000, v51
	v_and_b32_e32 v50, 0xfc00, v50
	s_delay_alu instid0(VALU_DEP_1)
	v_or3_b32 v49, v51, v50, v49
.LBB263_665:                            ;   in Loop: Header=BB263_362 Depth=1
	s_wait_alu 0xfffe
	s_or_b32 exec_lo, exec_lo, s19
.LBB263_666:                            ;   in Loop: Header=BB263_362 Depth=1
	s_wait_alu 0xfffe
	s_or_b32 exec_lo, exec_lo, s18
.LBB263_667:                            ;   in Loop: Header=BB263_362 Depth=1
	s_wait_alu 0xfffe
	s_or_b32 exec_lo, exec_lo, s17
	v_lshrrev_b16 v1, 8, v1
	v_mov_b32_e32 v50, 0
	s_mov_b32 s17, exec_lo
	s_delay_alu instid0(VALU_DEP_2)
	v_cmpx_ne_u16_e32 0, v1
	s_cbranch_execz .LBB263_675
; %bb.668:                              ;   in Loop: Header=BB263_362 Depth=1
	v_bfrev_b32_e32 v50, 1
	s_mov_b32 s18, exec_lo
	v_cmpx_ne_u16_e32 0x80, v1
	s_cbranch_execz .LBB263_674
; %bb.669:                              ;   in Loop: Header=BB263_362 Depth=1
	v_and_b32_e32 v51, 0xffff, v1
	v_mov_b32_e32 v50, 0x7c010000
	s_mov_b32 s19, exec_lo
	s_delay_alu instid0(VALU_DEP_2) | instskip(NEXT) | instid1(VALU_DEP_1)
	v_and_b32_e32 v53, 0x7f, v51
	v_cmpx_ne_u32_e32 0x7f, v53
	s_cbranch_execz .LBB263_673
; %bb.670:                              ;   in Loop: Header=BB263_362 Depth=1
	v_and_b32_e32 v50, 7, v51
	v_lshrrev_b32_e32 v52, 3, v53
	s_mov_b32 s24, exec_lo
	v_cmpx_gt_u32_e32 8, v53
; %bb.671:                              ;   in Loop: Header=BB263_362 Depth=1
	s_delay_alu instid0(VALU_DEP_3) | instskip(NEXT) | instid1(VALU_DEP_1)
	v_clz_i32_u32_e32 v50, v50
	v_min_u32_e32 v50, 32, v50
	s_delay_alu instid0(VALU_DEP_1) | instskip(NEXT) | instid1(VALU_DEP_1)
	v_subrev_nc_u32_e32 v52, 28, v50
	v_lshlrev_b64_e32 v[53:54], v52, v[1:2]
	v_sub_nc_u32_e32 v52, 29, v50
	s_delay_alu instid0(VALU_DEP_2)
	v_and_b32_e32 v50, 7, v53
; %bb.672:                              ;   in Loop: Header=BB263_362 Depth=1
	s_wait_alu 0xfffe
	s_or_b32 exec_lo, exec_lo, s24
	v_lshlrev_b32_e32 v1, 8, v51
	v_lshl_add_u32 v51, v52, 10, 0x2000
	v_lshlrev_b32_e32 v50, 23, v50
	s_delay_alu instid0(VALU_DEP_2) | instskip(NEXT) | instid1(VALU_DEP_1)
	v_and_or_b32 v1, 0x8000, v1, v51
	v_lshl_or_b32 v50, v1, 16, v50
.LBB263_673:                            ;   in Loop: Header=BB263_362 Depth=1
	s_wait_alu 0xfffe
	s_or_b32 exec_lo, exec_lo, s19
.LBB263_674:                            ;   in Loop: Header=BB263_362 Depth=1
	s_wait_alu 0xfffe
	s_or_b32 exec_lo, exec_lo, s18
.LBB263_675:                            ;   in Loop: Header=BB263_362 Depth=1
	s_wait_alu 0xfffe
	s_or_b32 exec_lo, exec_lo, s17
	v_lshrrev_b32_e32 v1, 16, v8
	s_mov_b32 s17, exec_lo
	s_delay_alu instid0(VALU_DEP_1) | instskip(NEXT) | instid1(VALU_DEP_1)
	v_and_b32_e32 v51, 0xff, v1
	v_cmpx_ne_u16_e32 0, v51
	s_cbranch_execz .LBB263_683
; %bb.676:                              ;   in Loop: Header=BB263_362 Depth=1
	v_mov_b32_e32 v48, 0x8000
	s_mov_b32 s18, exec_lo
	v_cmpx_ne_u16_e32 0x80, v51
	s_cbranch_execz .LBB263_682
; %bb.677:                              ;   in Loop: Header=BB263_362 Depth=1
	v_bfe_u32 v52, v8, 16, 7
	v_mov_b32_e32 v48, 0x7c01
	s_mov_b32 s19, exec_lo
	s_delay_alu instid0(VALU_DEP_2)
	v_cmpx_ne_u32_e32 0x7f, v52
	s_cbranch_execz .LBB263_681
; %bb.678:                              ;   in Loop: Header=BB263_362 Depth=1
	v_and_b32_e32 v48, 7, v1
	v_lshrrev_b32_e32 v51, 3, v52
	s_mov_b32 s24, exec_lo
	v_cmpx_gt_u32_e32 8, v52
; %bb.679:                              ;   in Loop: Header=BB263_362 Depth=1
	s_delay_alu instid0(VALU_DEP_3) | instskip(NEXT) | instid1(VALU_DEP_1)
	v_clz_i32_u32_e32 v48, v48
	v_min_u32_e32 v48, 32, v48
	s_delay_alu instid0(VALU_DEP_1) | instskip(NEXT) | instid1(VALU_DEP_1)
	v_subrev_nc_u32_e32 v51, 28, v48
	v_lshlrev_b64_e32 v[52:53], v51, v[1:2]
	v_sub_nc_u32_e32 v51, 29, v48
	s_delay_alu instid0(VALU_DEP_2)
	v_and_b32_e32 v48, 7, v52
; %bb.680:                              ;   in Loop: Header=BB263_362 Depth=1
	s_wait_alu 0xfffe
	s_or_b32 exec_lo, exec_lo, s24
	v_lshlrev_b32_e32 v1, 8, v1
	v_lshl_add_u32 v51, v51, 10, 0x2000
	v_lshlrev_b32_e32 v48, 7, v48
	s_delay_alu instid0(VALU_DEP_3) | instskip(NEXT) | instid1(VALU_DEP_3)
	v_and_b32_e32 v1, 0x8000, v1
	v_and_b32_e32 v51, 0xfc00, v51
	s_delay_alu instid0(VALU_DEP_1)
	v_or3_b32 v48, v1, v51, v48
.LBB263_681:                            ;   in Loop: Header=BB263_362 Depth=1
	s_wait_alu 0xfffe
	s_or_b32 exec_lo, exec_lo, s19
.LBB263_682:                            ;   in Loop: Header=BB263_362 Depth=1
	s_wait_alu 0xfffe
	s_or_b32 exec_lo, exec_lo, s18
.LBB263_683:                            ;   in Loop: Header=BB263_362 Depth=1
	s_wait_alu 0xfffe
	s_or_b32 exec_lo, exec_lo, s17
	v_cmp_lt_u64_e64 s0, s[2:3], v[7:8]
	v_mov_b32_e32 v7, 0
	s_and_saveexec_b32 s17, s0
	s_cbranch_execz .LBB263_691
; %bb.684:                              ;   in Loop: Header=BB263_362 Depth=1
	v_lshrrev_b32_e32 v1, 24, v8
	v_bfrev_b32_e32 v7, 1
	s_mov_b32 s18, exec_lo
	s_delay_alu instid0(VALU_DEP_2)
	v_cmpx_ne_u32_e32 0x80, v1
	s_cbranch_execz .LBB263_690
; %bb.685:                              ;   in Loop: Header=BB263_362 Depth=1
	v_and_b32_e32 v51, 0x7f, v1
	v_mov_b32_e32 v7, 0x7c010000
	s_mov_b32 s19, exec_lo
	s_delay_alu instid0(VALU_DEP_2)
	v_cmpx_ne_u32_e32 0x7f, v51
	s_cbranch_execz .LBB263_689
; %bb.686:                              ;   in Loop: Header=BB263_362 Depth=1
	v_and_b32_e32 v7, 7, v1
	v_lshrrev_b32_e32 v8, 3, v51
	s_mov_b32 s24, exec_lo
	v_cmpx_gt_u32_e32 8, v51
; %bb.687:                              ;   in Loop: Header=BB263_362 Depth=1
	s_delay_alu instid0(VALU_DEP_3) | instskip(NEXT) | instid1(VALU_DEP_1)
	v_clz_i32_u32_e32 v7, v7
	v_min_u32_e32 v51, 32, v7
	s_delay_alu instid0(VALU_DEP_1) | instskip(NEXT) | instid1(VALU_DEP_1)
	v_subrev_nc_u32_e32 v7, 28, v51
	v_lshlrev_b64_e32 v[7:8], v7, v[1:2]
	v_sub_nc_u32_e32 v8, 29, v51
	s_delay_alu instid0(VALU_DEP_2)
	v_and_b32_e32 v7, 7, v7
; %bb.688:                              ;   in Loop: Header=BB263_362 Depth=1
	s_wait_alu 0xfffe
	s_or_b32 exec_lo, exec_lo, s24
	v_lshlrev_b32_e32 v1, 8, v1
	v_lshl_add_u32 v8, v8, 10, 0x2000
	v_lshlrev_b32_e32 v7, 23, v7
	s_delay_alu instid0(VALU_DEP_2) | instskip(NEXT) | instid1(VALU_DEP_1)
	v_and_or_b32 v1, 0x8000, v1, v8
	v_lshl_or_b32 v7, v1, 16, v7
.LBB263_689:                            ;   in Loop: Header=BB263_362 Depth=1
	s_wait_alu 0xfffe
	s_or_b32 exec_lo, exec_lo, s19
.LBB263_690:                            ;   in Loop: Header=BB263_362 Depth=1
	s_wait_alu 0xfffe
	s_or_b32 exec_lo, exec_lo, s18
.LBB263_691:                            ;   in Loop: Header=BB263_362 Depth=1
	s_wait_alu 0xfffe
	s_or_b32 exec_lo, exec_lo, s17
	v_or_b32_e32 v1, v46, v47
	s_wait_loadcnt 0x0
	v_fma_mixlo_f16 v8, v43, v46, 0 op_sel:[0,1,0] op_sel_hi:[0,1,0]
	v_or_b32_e32 v45, v44, v45
	v_fma_mixlo_f16 v46, v43, v44, 0 op_sel:[0,1,0] op_sel_hi:[0,1,0]
	v_or_b32_e32 v47, v50, v49
	v_fma_mixlo_f16 v1, v43, v1, 0 op_sel_hi:[0,1,0]
	v_or_b32_e32 v48, v7, v48
	v_lshlrev_b32_e32 v44, 16, v8
	v_lshlrev_b32_e32 v49, 16, v46
	v_fma_mixlo_f16 v8, v43, v45, 0 op_sel_hi:[0,1,0]
	v_and_b32_e32 v46, 0xffff, v1
	v_fma_mixlo_f16 v1, v43, v50, 0 op_sel:[0,1,0] op_sel_hi:[0,1,0]
	v_fma_mixlo_f16 v45, v43, v47, 0 op_sel_hi:[0,1,0]
	v_fma_mixlo_f16 v7, v43, v7, 0 op_sel:[0,1,0] op_sel_hi:[0,1,0]
	v_fma_mixlo_f16 v43, v43, v48, 0 op_sel_hi:[0,1,0]
	v_and_b32_e32 v51, 0xffff, v8
	v_lshlrev_b32_e32 v47, 16, v1
	v_and_b32_e32 v50, 0xffff, v45
	v_lshlrev_b32_e32 v45, 16, v7
	v_and_b32_e32 v48, 0xffff, v43
	v_or_b32_e32 v8, v44, v46
	v_or_b32_e32 v43, v49, v51
	;; [unrolled: 1-line block ×3, first 2 shown]
	s_delay_alu instid0(VALU_DEP_4)
	v_or_b32_e32 v1, v45, v48
	s_and_saveexec_b32 s0, vcc_lo
	s_cbranch_execz .LBB263_360
; %bb.692:                              ;   in Loop: Header=BB263_362 Depth=1
	v_cmp_gt_i32_e32 vcc_lo, s34, v25
	s_wait_alu 0xfffd
	v_cndmask_b32_e32 v1, 0, v51, vcc_lo
	v_cmp_gt_i32_e32 vcc_lo, s34, v32
	s_wait_alu 0xfffd
	v_cndmask_b32_e32 v7, 0, v49, vcc_lo
	;; [unrolled: 3-line block ×6, first 2 shown]
	v_cmp_gt_i32_e32 vcc_lo, s34, v27
	v_or_b32_e32 v43, v7, v1
	s_delay_alu instid0(VALU_DEP_3)
	v_or_b32_e32 v7, v28, v29
	s_wait_alu 0xfffd
	v_cndmask_b32_e32 v27, 0, v48, vcc_lo
	v_cmp_gt_i32_e32 vcc_lo, s34, v26
	s_wait_alu 0xfffd
	v_cndmask_b32_e32 v26, 0, v45, vcc_lo
	v_or_b32_e32 v8, v25, v8
	s_delay_alu instid0(VALU_DEP_2)
	v_or_b32_e32 v1, v26, v27
	s_branch .LBB263_360
.LBB263_693:
	s_or_b32 exec_lo, exec_lo, s7
.LBB263_694:
	s_wait_alu 0xfffe
	s_or_b32 exec_lo, exec_lo, s1
	ds_bpermute_b32 v1, v18, v24
	ds_bpermute_b32 v2, v18, v23
	;; [unrolled: 1-line block ×5, first 2 shown]
	v_lshrrev_b32_e32 v6, 1, v17
	v_mul_u32_u24_e32 v8, 0x140, v13
	v_and_b32_e32 v13, 0x3c1, v0
	s_mov_b32 s0, exec_lo
	s_wait_storecnt 0x0
	s_wait_loadcnt_dscnt 0x0
	v_lshl_add_u32 v7, v6, 2, 0xc0
	s_barrier_signal -1
	s_barrier_wait -1
	global_inv scope:SCOPE_SE
	v_dual_add_f32 v5, v24, v1 :: v_dual_add_f32 v4, v23, v2
	v_dual_add_f32 v3, v22, v3 :: v_dual_add_f32 v2, v20, v9
	v_add_f32_e32 v1, v19, v10
	v_cmpx_eq_u32_e32 64, v13
	s_cbranch_execz .LBB263_696
; %bb.695:
	v_add_nc_u32_e32 v9, v7, v8
	s_delay_alu instid0(VALU_DEP_1)
	v_add_nc_u32_e32 v10, 0xfffffd80, v9
	v_add_nc_u32_e32 v13, 0xfffffdc0, v9
	;; [unrolled: 1-line block ×5, first 2 shown]
	ds_store_b32 v10, v5
	ds_store_b32 v13, v4
	;; [unrolled: 1-line block ×5, first 2 shown]
.LBB263_696:
	s_wait_alu 0xfffe
	s_or_b32 exec_lo, exec_lo, s0
	v_lshlrev_b32_e32 v6, 2, v6
	s_mov_b32 s1, exec_lo
	v_cmp_eq_u32_e32 vcc_lo, 0, v12
	s_wait_loadcnt_dscnt 0x0
	s_barrier_signal -1
	v_add3_u32 v6, 0xc0, v8, v6
	s_barrier_wait -1
	global_inv scope:SCOPE_SE
	v_cmpx_gt_u32_e32 64, v0
	s_cbranch_execz .LBB263_704
; %bb.697:
	s_and_saveexec_b32 s0, vcc_lo
	s_cbranch_execnz .LBB263_717
; %bb.698:
	s_wait_alu 0xfffe
	s_or_b32 exec_lo, exec_lo, s0
	s_and_saveexec_b32 s0, vcc_lo
	s_cbranch_execnz .LBB263_718
.LBB263_699:
	s_wait_alu 0xfffe
	s_or_b32 exec_lo, exec_lo, s0
	s_and_saveexec_b32 s0, vcc_lo
	s_cbranch_execnz .LBB263_719
.LBB263_700:
	s_wait_alu 0xfffe
	s_or_b32 exec_lo, exec_lo, s0
	s_and_saveexec_b32 s0, vcc_lo
	s_cbranch_execnz .LBB263_720
.LBB263_701:
	s_wait_alu 0xfffe
	s_or_b32 exec_lo, exec_lo, s0
	s_and_saveexec_b32 s0, vcc_lo
	s_cbranch_execz .LBB263_703
.LBB263_702:
	ds_load_b32 v8, v6 offset:256
	s_wait_dscnt 0x0
	v_add_f32_e32 v1, v1, v8
.LBB263_703:
	s_wait_alu 0xfffe
	s_or_b32 exec_lo, exec_lo, s0
.LBB263_704:
	s_wait_alu 0xfffe
	s_or_b32 exec_lo, exec_lo, s1
	v_and_b32_e32 v8, 0x3e1, v0
	s_mov_b32 s1, exec_lo
	s_wait_loadcnt 0x0
	s_barrier_signal -1
	s_barrier_wait -1
	global_inv scope:SCOPE_SE
	v_cmpx_eq_u32_e32 32, v8
	s_cbranch_execz .LBB263_706
; %bb.705:
	ds_store_2addr_b32 v7, v5, v4 offset1:16
	ds_store_2addr_b32 v7, v3, v2 offset0:32 offset1:48
	ds_store_b32 v7, v1 offset:256
.LBB263_706:
	s_wait_alu 0xfffe
	s_or_b32 exec_lo, exec_lo, s1
	s_delay_alu instid0(SALU_CYCLE_1)
	s_mov_b32 s1, exec_lo
	s_wait_loadcnt_dscnt 0x0
	s_barrier_signal -1
	s_barrier_wait -1
	global_inv scope:SCOPE_SE
	v_cmpx_gt_u32_e32 32, v0
	s_cbranch_execz .LBB263_714
; %bb.707:
	s_and_saveexec_b32 s0, vcc_lo
	s_cbranch_execnz .LBB263_721
; %bb.708:
	s_wait_alu 0xfffe
	s_or_b32 exec_lo, exec_lo, s0
	s_and_saveexec_b32 s0, vcc_lo
	s_cbranch_execnz .LBB263_722
.LBB263_709:
	s_wait_alu 0xfffe
	s_or_b32 exec_lo, exec_lo, s0
	s_and_saveexec_b32 s0, vcc_lo
	s_cbranch_execnz .LBB263_723
.LBB263_710:
	s_wait_alu 0xfffe
	s_or_b32 exec_lo, exec_lo, s0
	s_and_saveexec_b32 s0, vcc_lo
	s_cbranch_execnz .LBB263_724
.LBB263_711:
	s_wait_alu 0xfffe
	s_or_b32 exec_lo, exec_lo, s0
	s_and_saveexec_b32 s0, vcc_lo
	s_cbranch_execz .LBB263_713
.LBB263_712:
	ds_load_b32 v0, v6 offset:256
	s_wait_dscnt 0x0
	v_add_f32_e32 v1, v1, v0
.LBB263_713:
	s_wait_alu 0xfffe
	s_or_b32 exec_lo, exec_lo, s0
.LBB263_714:
	s_wait_alu 0xfffe
	s_or_b32 exec_lo, exec_lo, s1
	s_mov_b32 s1, 0
	s_wait_loadcnt 0x0
	s_barrier_signal -1
	s_barrier_wait -1
	global_inv scope:SCOPE_SE
	s_mov_b32 s0, exec_lo
	v_cmpx_eq_u32_e32 0, v8
	s_cbranch_execz .LBB263_716
; %bb.715:
	s_mul_i32 s2, s28, 0x50
	s_wait_kmcnt 0x0
	s_mul_i32 s4, s12, s20
	s_wait_alu 0xfffe
	s_ashr_i32 s3, s2, 31
	s_ashr_i32 s5, s4, 31
	s_wait_alu 0xfffe
	s_lshl_b64 s[2:3], s[2:3], 1
	s_lshl_b64 s[4:5], s[4:5], 1
	s_wait_alu 0xfffe
	s_add_nc_u64 s[2:3], s[8:9], s[2:3]
	v_lshlrev_b32_e32 v0, 1, v11
	s_mul_i32 s0, s33, 0xa0
	s_wait_alu 0xfffe
	s_add_nc_u64 s[2:3], s[2:3], s[4:5]
	;;#ASMSTART
	v_cvt_f16_f32 v5, v5;

	;;#ASMEND
	s_wait_alu 0xfffe
	s_add_nc_u64 s[0:1], s[2:3], s[0:1]
	global_store_b16 v0, v5, s[0:1]
	;;#ASMSTART
	v_cvt_f16_f32 v4, v4;

	;;#ASMEND
	global_store_b16 v0, v4, s[0:1] offset:32
	;;#ASMSTART
	v_cvt_f16_f32 v3, v3;

	;;#ASMEND
	global_store_b16 v0, v3, s[0:1] offset:64
	;; [unrolled: 5-line block ×4, first 2 shown]
.LBB263_716:
	s_nop 0
	s_sendmsg sendmsg(MSG_DEALLOC_VGPRS)
	s_endpgm
.LBB263_717:
	ds_load_b32 v8, v6
	s_wait_dscnt 0x0
	v_add_f32_e32 v5, v5, v8
	s_wait_alu 0xfffe
	s_or_b32 exec_lo, exec_lo, s0
	s_and_saveexec_b32 s0, vcc_lo
	s_cbranch_execz .LBB263_699
.LBB263_718:
	ds_load_b32 v8, v6 offset:64
	s_wait_dscnt 0x0
	v_add_f32_e32 v4, v4, v8
	s_wait_alu 0xfffe
	s_or_b32 exec_lo, exec_lo, s0
	s_and_saveexec_b32 s0, vcc_lo
	s_cbranch_execz .LBB263_700
.LBB263_719:
	ds_load_b32 v8, v6 offset:128
	s_wait_dscnt 0x0
	v_add_f32_e32 v3, v3, v8
	s_wait_alu 0xfffe
	s_or_b32 exec_lo, exec_lo, s0
	s_and_saveexec_b32 s0, vcc_lo
	s_cbranch_execz .LBB263_701
.LBB263_720:
	ds_load_b32 v8, v6 offset:192
	s_wait_dscnt 0x0
	v_add_f32_e32 v2, v2, v8
	s_wait_alu 0xfffe
	s_or_b32 exec_lo, exec_lo, s0
	s_and_saveexec_b32 s0, vcc_lo
	s_cbranch_execnz .LBB263_702
	s_branch .LBB263_703
.LBB263_721:
	ds_load_b32 v0, v6
	s_wait_dscnt 0x0
	v_add_f32_e32 v5, v5, v0
	s_wait_alu 0xfffe
	s_or_b32 exec_lo, exec_lo, s0
	s_and_saveexec_b32 s0, vcc_lo
	s_cbranch_execz .LBB263_709
.LBB263_722:
	ds_load_b32 v0, v6 offset:64
	s_wait_dscnt 0x0
	v_add_f32_e32 v4, v4, v0
	s_wait_alu 0xfffe
	s_or_b32 exec_lo, exec_lo, s0
	s_and_saveexec_b32 s0, vcc_lo
	s_cbranch_execz .LBB263_710
.LBB263_723:
	ds_load_b32 v0, v6 offset:128
	s_wait_dscnt 0x0
	v_add_f32_e32 v3, v3, v0
	s_wait_alu 0xfffe
	s_or_b32 exec_lo, exec_lo, s0
	s_and_saveexec_b32 s0, vcc_lo
	s_cbranch_execz .LBB263_711
.LBB263_724:
	ds_load_b32 v0, v6 offset:192
	s_wait_dscnt 0x0
	v_add_f32_e32 v2, v2, v0
	s_wait_alu 0xfffe
	s_or_b32 exec_lo, exec_lo, s0
	s_and_saveexec_b32 s0, vcc_lo
	s_cbranch_execnz .LBB263_712
	s_branch .LBB263_713
	.section	.rodata,"a",@progbits
	.p2align	6, 0x0
	.amdhsa_kernel _ZN4vllm25paged_attention_v2_kernelIthLi80ELi16ELi128ELNS_18Fp8KVCacheDataTypeE1ELb1ELi512EEEvPfS2_PT_PKS3_PKT0_S9_ifPKiSB_iPKfiiiSD_SD_iiiii
		.amdhsa_group_segment_fixed_size 192
		.amdhsa_private_segment_fixed_size 0
		.amdhsa_kernarg_size 400
		.amdhsa_user_sgpr_count 2
		.amdhsa_user_sgpr_dispatch_ptr 0
		.amdhsa_user_sgpr_queue_ptr 0
		.amdhsa_user_sgpr_kernarg_segment_ptr 1
		.amdhsa_user_sgpr_dispatch_id 0
		.amdhsa_user_sgpr_private_segment_size 0
		.amdhsa_wavefront_size32 1
		.amdhsa_uses_dynamic_stack 0
		.amdhsa_enable_private_segment 0
		.amdhsa_system_sgpr_workgroup_id_x 1
		.amdhsa_system_sgpr_workgroup_id_y 1
		.amdhsa_system_sgpr_workgroup_id_z 1
		.amdhsa_system_sgpr_workgroup_info 0
		.amdhsa_system_vgpr_workitem_id 0
		.amdhsa_next_free_vgpr 97
		.amdhsa_next_free_sgpr 46
		.amdhsa_reserve_vcc 1
		.amdhsa_float_round_mode_32 0
		.amdhsa_float_round_mode_16_64 0
		.amdhsa_float_denorm_mode_32 3
		.amdhsa_float_denorm_mode_16_64 3
		.amdhsa_fp16_overflow 0
		.amdhsa_workgroup_processor_mode 1
		.amdhsa_memory_ordered 1
		.amdhsa_forward_progress 1
		.amdhsa_inst_pref_size 202
		.amdhsa_round_robin_scheduling 0
		.amdhsa_exception_fp_ieee_invalid_op 0
		.amdhsa_exception_fp_denorm_src 0
		.amdhsa_exception_fp_ieee_div_zero 0
		.amdhsa_exception_fp_ieee_overflow 0
		.amdhsa_exception_fp_ieee_underflow 0
		.amdhsa_exception_fp_ieee_inexact 0
		.amdhsa_exception_int_div_zero 0
	.end_amdhsa_kernel
	.section	.text._ZN4vllm25paged_attention_v2_kernelIthLi80ELi16ELi128ELNS_18Fp8KVCacheDataTypeE1ELb1ELi512EEEvPfS2_PT_PKS3_PKT0_S9_ifPKiSB_iPKfiiiSD_SD_iiiii,"axG",@progbits,_ZN4vllm25paged_attention_v2_kernelIthLi80ELi16ELi128ELNS_18Fp8KVCacheDataTypeE1ELb1ELi512EEEvPfS2_PT_PKS3_PKT0_S9_ifPKiSB_iPKfiiiSD_SD_iiiii,comdat
.Lfunc_end263:
	.size	_ZN4vllm25paged_attention_v2_kernelIthLi80ELi16ELi128ELNS_18Fp8KVCacheDataTypeE1ELb1ELi512EEEvPfS2_PT_PKS3_PKT0_S9_ifPKiSB_iPKfiiiSD_SD_iiiii, .Lfunc_end263-_ZN4vllm25paged_attention_v2_kernelIthLi80ELi16ELi128ELNS_18Fp8KVCacheDataTypeE1ELb1ELi512EEEvPfS2_PT_PKS3_PKT0_S9_ifPKiSB_iPKfiiiSD_SD_iiiii
                                        ; -- End function
	.set _ZN4vllm25paged_attention_v2_kernelIthLi80ELi16ELi128ELNS_18Fp8KVCacheDataTypeE1ELb1ELi512EEEvPfS2_PT_PKS3_PKT0_S9_ifPKiSB_iPKfiiiSD_SD_iiiii.num_vgpr, 97
	.set _ZN4vllm25paged_attention_v2_kernelIthLi80ELi16ELi128ELNS_18Fp8KVCacheDataTypeE1ELb1ELi512EEEvPfS2_PT_PKS3_PKT0_S9_ifPKiSB_iPKfiiiSD_SD_iiiii.num_agpr, 0
	.set _ZN4vllm25paged_attention_v2_kernelIthLi80ELi16ELi128ELNS_18Fp8KVCacheDataTypeE1ELb1ELi512EEEvPfS2_PT_PKS3_PKT0_S9_ifPKiSB_iPKfiiiSD_SD_iiiii.numbered_sgpr, 46
	.set _ZN4vllm25paged_attention_v2_kernelIthLi80ELi16ELi128ELNS_18Fp8KVCacheDataTypeE1ELb1ELi512EEEvPfS2_PT_PKS3_PKT0_S9_ifPKiSB_iPKfiiiSD_SD_iiiii.num_named_barrier, 0
	.set _ZN4vllm25paged_attention_v2_kernelIthLi80ELi16ELi128ELNS_18Fp8KVCacheDataTypeE1ELb1ELi512EEEvPfS2_PT_PKS3_PKT0_S9_ifPKiSB_iPKfiiiSD_SD_iiiii.private_seg_size, 0
	.set _ZN4vllm25paged_attention_v2_kernelIthLi80ELi16ELi128ELNS_18Fp8KVCacheDataTypeE1ELb1ELi512EEEvPfS2_PT_PKS3_PKT0_S9_ifPKiSB_iPKfiiiSD_SD_iiiii.uses_vcc, 1
	.set _ZN4vllm25paged_attention_v2_kernelIthLi80ELi16ELi128ELNS_18Fp8KVCacheDataTypeE1ELb1ELi512EEEvPfS2_PT_PKS3_PKT0_S9_ifPKiSB_iPKfiiiSD_SD_iiiii.uses_flat_scratch, 0
	.set _ZN4vllm25paged_attention_v2_kernelIthLi80ELi16ELi128ELNS_18Fp8KVCacheDataTypeE1ELb1ELi512EEEvPfS2_PT_PKS3_PKT0_S9_ifPKiSB_iPKfiiiSD_SD_iiiii.has_dyn_sized_stack, 0
	.set _ZN4vllm25paged_attention_v2_kernelIthLi80ELi16ELi128ELNS_18Fp8KVCacheDataTypeE1ELb1ELi512EEEvPfS2_PT_PKS3_PKT0_S9_ifPKiSB_iPKfiiiSD_SD_iiiii.has_recursion, 0
	.set _ZN4vllm25paged_attention_v2_kernelIthLi80ELi16ELi128ELNS_18Fp8KVCacheDataTypeE1ELb1ELi512EEEvPfS2_PT_PKS3_PKT0_S9_ifPKiSB_iPKfiiiSD_SD_iiiii.has_indirect_call, 0
	.section	.AMDGPU.csdata,"",@progbits
; Kernel info:
; codeLenInByte = 25840
; TotalNumSgprs: 48
; NumVgprs: 97
; ScratchSize: 0
; MemoryBound: 0
; FloatMode: 240
; IeeeMode: 1
; LDSByteSize: 192 bytes/workgroup (compile time only)
; SGPRBlocks: 0
; VGPRBlocks: 12
; NumSGPRsForWavesPerEU: 48
; NumVGPRsForWavesPerEU: 97
; Occupancy: 12
; WaveLimiterHint : 1
; COMPUTE_PGM_RSRC2:SCRATCH_EN: 0
; COMPUTE_PGM_RSRC2:USER_SGPR: 2
; COMPUTE_PGM_RSRC2:TRAP_HANDLER: 0
; COMPUTE_PGM_RSRC2:TGID_X_EN: 1
; COMPUTE_PGM_RSRC2:TGID_Y_EN: 1
; COMPUTE_PGM_RSRC2:TGID_Z_EN: 1
; COMPUTE_PGM_RSRC2:TIDIG_COMP_CNT: 0
	.section	.text._ZN4vllm25paged_attention_v2_kernelIthLi96ELi16ELi128ELNS_18Fp8KVCacheDataTypeE1ELb1ELi512EEEvPfS2_PT_PKS3_PKT0_S9_ifPKiSB_iPKfiiiSD_SD_iiiii,"axG",@progbits,_ZN4vllm25paged_attention_v2_kernelIthLi96ELi16ELi128ELNS_18Fp8KVCacheDataTypeE1ELb1ELi512EEEvPfS2_PT_PKS3_PKT0_S9_ifPKiSB_iPKfiiiSD_SD_iiiii,comdat
	.protected	_ZN4vllm25paged_attention_v2_kernelIthLi96ELi16ELi128ELNS_18Fp8KVCacheDataTypeE1ELb1ELi512EEEvPfS2_PT_PKS3_PKT0_S9_ifPKiSB_iPKfiiiSD_SD_iiiii ; -- Begin function _ZN4vllm25paged_attention_v2_kernelIthLi96ELi16ELi128ELNS_18Fp8KVCacheDataTypeE1ELb1ELi512EEEvPfS2_PT_PKS3_PKT0_S9_ifPKiSB_iPKfiiiSD_SD_iiiii
	.globl	_ZN4vllm25paged_attention_v2_kernelIthLi96ELi16ELi128ELNS_18Fp8KVCacheDataTypeE1ELb1ELi512EEEvPfS2_PT_PKS3_PKT0_S9_ifPKiSB_iPKfiiiSD_SD_iiiii
	.p2align	8
	.type	_ZN4vllm25paged_attention_v2_kernelIthLi96ELi16ELi128ELNS_18Fp8KVCacheDataTypeE1ELb1ELi512EEEvPfS2_PT_PKS3_PKT0_S9_ifPKiSB_iPKfiiiSD_SD_iiiii,@function
_ZN4vllm25paged_attention_v2_kernelIthLi96ELi16ELi128ELNS_18Fp8KVCacheDataTypeE1ELb1ELi512EEEvPfS2_PT_PKS3_PKT0_S9_ifPKiSB_iPKfiiiSD_SD_iiiii: ; @_ZN4vllm25paged_attention_v2_kernelIthLi96ELi16ELi128ELNS_18Fp8KVCacheDataTypeE1ELb1ELi512EEEvPfS2_PT_PKS3_PKT0_S9_ifPKiSB_iPKfiiiSD_SD_iiiii
; %bb.0:
	s_load_b64 s[2:3], s[0:1], 0x40
	s_and_b32 s28, ttmp7, 0xffff
	s_lshr_b32 s33, ttmp7, 16
	s_lshl_b32 s4, s28, 2
	s_lshl_b32 s35, s33, 9
	s_wait_kmcnt 0x0
	s_load_b32 s34, s[2:3], s4 offset:0x0
	s_wait_kmcnt 0x0
	s_cmp_ge_i32 s35, s34
	s_cbranch_scc1 .LBB264_848
; %bb.1:
	s_clause 0x1
	s_load_b32 s29, s[0:1], 0x90
	s_load_b64 s[6:7], s[0:1], 0x30
	s_wait_kmcnt 0x0
	s_abs_i32 s5, s29
	s_abs_i32 s2, s6
	s_delay_alu instid0(SALU_CYCLE_1) | instskip(SKIP_1) | instid1(SALU_CYCLE_2)
	s_cvt_f32_u32 s3, s2
	s_sub_co_i32 s4, 0, s2
	v_rcp_iflag_f32_e32 v1, s3
	s_delay_alu instid0(TRANS32_DEP_1) | instskip(SKIP_2) | instid1(SALU_CYCLE_2)
	v_readfirstlane_b32 s3, v1
	s_mul_f32 s3, s3, 0x4f7ffffe
	s_wait_alu 0xfffe
	s_cvt_u32_f32 s3, s3
	s_wait_alu 0xfffe
	s_delay_alu instid0(SALU_CYCLE_2) | instskip(NEXT) | instid1(SALU_CYCLE_1)
	s_mul_i32 s4, s4, s3
	s_mul_hi_u32 s4, s3, s4
	s_delay_alu instid0(SALU_CYCLE_1)
	s_add_co_i32 s3, s3, s4
	s_xor_b32 s4, s29, s6
	s_wait_alu 0xfffe
	s_mul_hi_u32 s3, s5, s3
	s_ashr_i32 s4, s4, 31
	s_wait_alu 0xfffe
	s_mul_i32 s8, s3, s2
	s_delay_alu instid0(SALU_CYCLE_1)
	s_sub_co_i32 s5, s5, s8
	s_add_co_i32 s8, s3, 1
	s_sub_co_i32 s9, s5, s2
	s_cmp_ge_u32 s5, s2
	s_cselect_b32 s3, s8, s3
	s_cselect_b32 s5, s9, s5
	s_wait_alu 0xfffe
	s_add_co_i32 s8, s3, 1
	s_cmp_ge_u32 s5, s2
	s_cselect_b32 s2, s8, s3
	s_load_b64 s[8:9], s[0:1], 0x50
	s_xor_b32 s2, s2, s4
	s_mov_b32 s3, 0
	s_wait_alu 0xfffe
	s_sub_co_i32 s11, s2, s4
	s_mov_b32 s30, s3
	s_abs_i32 s10, s11
	s_delay_alu instid0(SALU_CYCLE_1) | instskip(SKIP_1) | instid1(SALU_CYCLE_2)
	s_cvt_f32_u32 s2, s10
	s_wait_alu 0xfffe
	v_rcp_iflag_f32_e32 v1, s2
	s_delay_alu instid0(TRANS32_DEP_1) | instskip(SKIP_2) | instid1(SALU_CYCLE_2)
	v_readfirstlane_b32 s2, v1
	s_mul_f32 s2, s2, 0x4f7ffffe
	s_wait_alu 0xfffe
	s_cvt_u32_f32 s4, s2
	s_sub_co_i32 s2, 0, s10
	s_wait_alu 0xfffe
	s_delay_alu instid0(SALU_CYCLE_1)
	s_mul_i32 s2, s2, s4
	s_wait_alu 0xfffe
	s_mul_hi_u32 s5, s4, s2
	s_abs_i32 s2, ttmp9
	s_add_co_i32 s4, s4, s5
	s_mov_b32 s5, s3
	s_wait_kmcnt 0x0
	s_cmp_eq_u64 s[8:9], 0
	s_cbranch_scc1 .LBB264_3
; %bb.2:
	s_mov_b32 s12, ttmp9
	s_ashr_i32 s13, ttmp9, 31
	s_delay_alu instid0(SALU_CYCLE_1) | instskip(NEXT) | instid1(SALU_CYCLE_1)
	s_lshl_b64 s[12:13], s[12:13], 2
	s_add_nc_u64 s[8:9], s[8:9], s[12:13]
	s_load_b32 s30, s[8:9], 0x0
.LBB264_3:
	s_load_b96 s[16:18], s[0:1], 0x58
	v_lshrrev_b32_e32 v11, 1, v0
	v_and_b32_e32 v12, 1, v0
	v_lshlrev_b32_e32 v10, 3, v0
	s_mul_u64 s[4:5], s[2:3], s[4:5]
	s_ashr_i32 s3, ttmp9, 31
	s_ashr_i32 s4, s11, 31
	s_mul_i32 s20, ttmp9, 0x60
	s_mov_b32 s8, exec_lo
	v_cmpx_gt_u32_e32 24, v0
	s_cbranch_execz .LBB264_5
; %bb.4:
	s_load_b64 s[12:13], s[0:1], 0x18
	s_wait_kmcnt 0x0
	s_mul_i32 s14, s16, s28
	s_ashr_i32 s21, s20, 31
	s_ashr_i32 s15, s14, 31
	v_lshlrev_b32_e32 v3, 3, v11
	s_lshl_b64 s[14:15], s[14:15], 1
	s_delay_alu instid0(VALU_DEP_1) | instskip(SKIP_2) | instid1(SALU_CYCLE_1)
	v_mad_u32_u24 v3, 0x60, v12, v3
	s_add_nc_u64 s[12:13], s[12:13], s[14:15]
	s_lshl_b64 s[14:15], s[20:21], 1
	s_add_nc_u64 s[12:13], s[12:13], s[14:15]
	global_load_b64 v[1:2], v10, s[12:13]
	s_wait_loadcnt 0x0
	ds_store_b64 v3, v[1:2]
.LBB264_5:
	s_or_b32 exec_lo, exec_lo, s8
	s_load_b128 s[12:15], s[0:1], 0x78
	s_mul_i32 s8, s5, s10
	s_xor_b32 s3, s3, s4
	s_sub_co_i32 s2, s2, s8
	s_add_co_i32 s4, s5, 1
	s_wait_alu 0xfffe
	s_sub_co_i32 s8, s2, s10
	s_cmp_ge_u32 s2, s10
                                        ; implicit-def: $sgpr21
	s_cselect_b32 s4, s4, s5
	s_cselect_b32 s2, s8, s2
	s_add_co_i32 s5, s4, 1
	s_wait_alu 0xfffe
	s_cmp_ge_u32 s2, s10
	s_load_b32 s8, s[0:1], 0x88
	s_cselect_b32 s2, s5, s4
	s_add_co_i32 s9, s34, -1
	s_wait_alu 0xfffe
	s_xor_b32 s2, s2, s3
	s_mov_b32 s10, -1
	s_wait_alu 0xfffe
	s_sub_co_i32 s19, s2, s3
	s_wait_dscnt 0x0
	s_barrier_signal -1
	s_wait_kmcnt 0x0
	s_abs_i32 s16, s15
	s_barrier_wait -1
	s_cvt_f32_u32 s4, s16
	global_inv scope:SCOPE_SE
	v_rcp_iflag_f32_e32 v1, s4
	s_delay_alu instid0(TRANS32_DEP_1) | instskip(SKIP_2) | instid1(SALU_CYCLE_2)
	v_readfirstlane_b32 s4, v1
	s_mul_f32 s2, s4, 0x4f7ffffe
	s_wait_alu 0xfffe
	s_cvt_u32_f32 s4, s2
	s_sub_co_i32 s2, 0, s16
	s_wait_alu 0xfffe
	s_delay_alu instid0(SALU_CYCLE_1)
	s_mul_i32 s3, s2, s4
	s_abs_i32 s2, s9
	s_wait_alu 0xfffe
	s_mul_hi_u32 s5, s4, s3
	s_mov_b32 s3, 0
	s_wait_alu 0xfffe
	s_add_co_i32 s22, s4, s5
	s_cmp_lt_i32 s8, 0
	s_mov_b32 s23, s3
	s_cbranch_scc0 .LBB264_7
; %bb.6:
	s_mul_i32 s4, s12, s6
	s_mov_b32 s10, s3
	s_wait_alu 0xfffe
	s_add_co_i32 s4, s19, s4
	s_wait_alu 0xfffe
	s_mul_i32 s4, s4, s8
	s_wait_alu 0xfffe
	s_sub_co_i32 s21, 1, s4
.LBB264_7:
	s_mul_u64 s[4:5], s[2:3], s[22:23]
	s_ashr_i32 s3, s9, 31
	s_and_not1_b32 vcc_lo, exec_lo, s10
	s_ashr_i32 s15, s15, 31
	s_cbranch_vccnz .LBB264_9
; %bb.8:
	s_mul_i32 s4, s29, s12
	s_wait_alu 0xfffe
	s_add_co_i32 s4, s4, ttmp9
	s_wait_alu 0xfffe
	s_mul_i32 s4, s4, s8
	s_wait_alu 0xfffe
	s_add_co_i32 s21, s4, 1
.LBB264_9:
	s_clause 0x3
	s_load_b32 s4, s[0:1], 0x48
	s_load_b64 s[24:25], s[0:1], 0x38
	s_load_b32 s12, s[0:1], 0x98
	s_load_b128 s[8:11], s[0:1], 0x68
	s_mul_i32 s6, s5, s16
	s_xor_b32 s3, s3, s15
	s_sub_co_i32 s2, s2, s6
	s_add_co_i32 s23, s5, 1
	v_lshrrev_b32_e32 v13, 5, v0
	v_mbcnt_lo_u32_b32 v18, -1, 0
	s_mul_i32 s18, s19, s18
	s_delay_alu instid0(VALU_DEP_2)
	v_lshl_add_u32 v14, v13, 4, s35
	s_wait_kmcnt 0x0
	s_mul_i32 s26, s4, s28
	s_wait_alu 0xfffe
	s_sub_co_i32 s4, s2, s16
	s_ashr_i32 s27, s26, 31
	s_cmp_ge_u32 s2, s16
	s_cselect_b32 s5, s23, s5
	s_wait_alu 0xfffe
	s_cselect_b32 s2, s4, s2
	s_add_co_i32 s4, s5, 1
	s_wait_alu 0xfffe
	s_cmp_ge_u32 s2, s16
	s_cselect_b32 s2, s4, s5
	s_add_co_i32 s4, s34, 15
	s_lshl_b32 s38, s33, 5
	s_wait_alu 0xfffe
	s_ashr_i32 s5, s4, 31
	v_or_b32_e32 v15, s38, v13
	s_wait_alu 0xfffe
	s_lshr_b32 s5, s5, 28
	v_mov_b32_e32 v19, 0xff7fffff
	s_wait_alu 0xfffe
	s_add_co_i32 s4, s4, s5
	s_add_co_i32 s5, s38, 32
	s_wait_alu 0xfffe
	s_ashr_i32 s36, s4, 4
	s_xor_b32 s4, s2, s3
	s_min_i32 s23, s5, s36
	v_lshlrev_b32_e32 v16, 2, v15
	v_cmp_gt_i32_e64 s2, s23, v15
	s_wait_alu 0xfffe
	s_sub_co_i32 s37, s4, s3
	s_and_saveexec_b32 s6, s2
	s_cbranch_execz .LBB264_405
; %bb.10:
	s_sub_co_i32 s31, s37, s13
	s_ashr_i32 s19, s18, 31
	s_cmp_neq_f32 s30, 0
	s_load_b64 s[4:5], s[0:1], 0x20
	v_bfe_u32 v17, v0, 1, 4
	v_dual_mov_b32 v2, 0 :: v_dual_lshlrev_b32 v3, 2, v12
	s_cselect_b32 vcc_lo, -1, 0
	s_abs_i32 s39, s14
	s_delay_alu instid0(VALU_DEP_2)
	v_dual_mov_b32 v19, 0xff7fffff :: v_dual_lshlrev_b32 v4, 4, v17
	s_wait_alu 0xfffe
	s_cvt_f32_u32 s3, s39
	v_dual_mov_b32 v24, 0xff7fffff :: v_dual_lshlrev_b32 v5, 2, v17
	s_lshl_b64 s[42:43], s[26:27], 2
	s_wait_alu 0xfffe
	v_rcp_iflag_f32_e32 v1, s3
	v_subrev_nc_u32_e32 v7, s34, v17
	s_add_nc_u64 s[42:43], s[24:25], s[42:43]
	s_sub_co_i32 s44, 0, s39
	v_cmp_eq_u32_e64 s3, 0, v12
	v_mul_u32_u24_e32 v20, 0x60, v12
	v_lshl_add_u32 v21, v13, 4, s35
	v_dual_mov_b32 v25, v15 :: v_dual_add_nc_u32 v22, 1, v7
	s_wait_kmcnt 0x0
	s_add_nc_u64 s[4:5], s[4:5], s[18:19]
	v_readfirstlane_b32 s41, v1
	s_wait_alu 0xfffe
	v_add_co_u32 v4, s4, s4, v4
	v_lshl_or_b32 v1, v13, 6, v5
	s_wait_alu 0xf1ff
	v_add_co_ci_u32_e64 v5, null, s5, 0, s4
	s_mul_f32 s19, s41, 0x4f7ffffe
	v_add_co_u32 v3, s4, v4, v3
	s_wait_alu 0xf1ff
	v_add_co_ci_u32_e64 v4, null, 0, v5, s4
	s_cvt_u32_f32 s5, s19
	v_add_co_u32 v5, s4, s42, v16
	s_wait_alu 0xf1ff
	v_add_co_ci_u32_e64 v6, null, s43, 0, s4
	s_wait_alu 0xfffe
	s_mul_i32 s44, s44, s5
	v_add_nc_u32_e32 v23, 0xe0, v1
	s_mul_hi_u32 s4, s5, s44
	s_mov_b32 s40, 0
	s_mov_b32 s19, s17
	s_wait_alu 0xfffe
	s_add_co_i32 s41, s5, s4
	s_branch .LBB264_13
.LBB264_11:                             ;   in Loop: Header=BB264_13 Depth=1
	s_wait_alu 0xfffe
	s_or_b32 exec_lo, exec_lo, s42
.LBB264_12:                             ;   in Loop: Header=BB264_13 Depth=1
	s_wait_alu 0xfffe
	s_or_b32 exec_lo, exec_lo, s5
	v_add_nc_u32_e32 v25, 4, v25
	v_add_co_u32 v5, s5, v5, 16
	s_wait_alu 0xf1ff
	v_add_co_ci_u32_e64 v6, null, 0, v6, s5
	s_delay_alu instid0(VALU_DEP_3)
	v_cmp_le_i32_e64 s4, s23, v25
	v_add_nc_u32_e32 v21, 64, v21
	v_add_nc_u32_e32 v23, 0x100, v23
	s_or_b32 s40, s4, s40
	s_wait_alu 0xfffe
	s_and_not1_b32 exec_lo, exec_lo, s40
	s_cbranch_execz .LBB264_404
.LBB264_13:                             ; =>This Inner Loop Header: Depth=1
	v_sub_nc_u32_e32 v1, 0, v21
	s_delay_alu instid0(VALU_DEP_1) | instskip(SKIP_1) | instid1(VALU_DEP_1)
	v_max_i32_e32 v1, v21, v1
	s_wait_dscnt 0x0
	v_mul_hi_u32 v7, v1, s22
	s_delay_alu instid0(VALU_DEP_1) | instskip(NEXT) | instid1(VALU_DEP_1)
	v_mul_lo_u32 v8, v7, s16
	v_sub_nc_u32_e32 v1, v1, v8
	v_add_nc_u32_e32 v8, 1, v7
	s_delay_alu instid0(VALU_DEP_2) | instskip(SKIP_2) | instid1(VALU_DEP_1)
	v_subrev_nc_u32_e32 v9, s16, v1
	v_cmp_le_u32_e64 s4, s16, v1
	s_wait_alu 0xf1ff
	v_cndmask_b32_e64 v7, v7, v8, s4
	s_delay_alu instid0(VALU_DEP_3) | instskip(SKIP_1) | instid1(VALU_DEP_3)
	v_cndmask_b32_e64 v1, v1, v9, s4
	v_ashrrev_i32_e32 v8, 31, v21
	v_add_nc_u32_e32 v9, 1, v7
	s_delay_alu instid0(VALU_DEP_3) | instskip(NEXT) | instid1(VALU_DEP_3)
	v_cmp_le_u32_e64 s4, s16, v1
	v_xor_b32_e32 v8, s15, v8
	s_wait_alu 0xf1ff
	s_delay_alu instid0(VALU_DEP_2) | instskip(NEXT) | instid1(VALU_DEP_1)
	v_cndmask_b32_e64 v1, v7, v9, s4
	v_xor_b32_e32 v1, v1, v8
	s_delay_alu instid0(VALU_DEP_1) | instskip(NEXT) | instid1(VALU_DEP_1)
	v_sub_nc_u32_e32 v1, v1, v8
	v_add_nc_u32_e32 v7, s21, v1
	v_cmp_ge_i32_e64 s5, s31, v1
	s_delay_alu instid0(VALU_DEP_2) | instskip(NEXT) | instid1(VALU_DEP_1)
	v_sub_nc_u32_e32 v8, 0, v7
	v_max_i32_e32 v8, v7, v8
	v_ashrrev_i32_e32 v7, 31, v7
	s_delay_alu instid0(VALU_DEP_2) | instskip(NEXT) | instid1(VALU_DEP_1)
	v_mul_hi_u32 v9, v8, s41
	v_mul_lo_u32 v9, v9, s39
	s_delay_alu instid0(VALU_DEP_1) | instskip(NEXT) | instid1(VALU_DEP_1)
	v_sub_nc_u32_e32 v8, v8, v9
	v_subrev_nc_u32_e32 v9, s39, v8
	v_cmp_le_u32_e64 s4, s39, v8
	s_wait_alu 0xf1ff
	s_delay_alu instid0(VALU_DEP_1) | instskip(NEXT) | instid1(VALU_DEP_1)
	v_cndmask_b32_e64 v8, v8, v9, s4
	v_subrev_nc_u32_e32 v9, s39, v8
	v_cmp_le_u32_e64 s4, s39, v8
	s_wait_alu 0xf1ff
	s_delay_alu instid0(VALU_DEP_1) | instskip(NEXT) | instid1(VALU_DEP_1)
	v_cndmask_b32_e64 v8, v8, v9, s4
	v_xor_b32_e32 v8, v8, v7
	s_delay_alu instid0(VALU_DEP_1) | instskip(NEXT) | instid1(VALU_DEP_1)
	v_sub_nc_u32_e32 v7, v8, v7
	v_cmp_ne_u32_e64 s4, 0, v7
	s_and_b32 s4, s4, s5
	s_wait_alu 0xfffe
	s_and_saveexec_b32 s5, s4
	s_wait_alu 0xfffe
	s_xor_b32 s4, exec_lo, s5
	s_cbranch_execz .LBB264_17
; %bb.14:                               ;   in Loop: Header=BB264_13 Depth=1
	s_and_saveexec_b32 s5, s3
; %bb.15:                               ;   in Loop: Header=BB264_13 Depth=1
	ds_store_b32 v23, v24
; %bb.16:                               ;   in Loop: Header=BB264_13 Depth=1
	s_wait_alu 0xfffe
	s_or_b32 exec_lo, exec_lo, s5
.LBB264_17:                             ;   in Loop: Header=BB264_13 Depth=1
	s_wait_alu 0xfffe
	s_and_not1_saveexec_b32 s5, s4
	s_cbranch_execz .LBB264_12
; %bb.18:                               ;   in Loop: Header=BB264_13 Depth=1
	global_load_b32 v1, v[5:6], off
	v_dual_mov_b32 v27, 0 :: v_dual_mov_b32 v28, 0
	s_mov_b32 s42, exec_lo
	global_load_b32 v26, v27, s[8:9]
	s_wait_loadcnt 0x1
	v_mad_co_i64_i32 v[7:8], null, v1, s19, v[3:4]
	global_load_b32 v9, v[7:8], off
	s_wait_loadcnt 0x0
	v_and_b32_e32 v1, 0xff, v9
	s_delay_alu instid0(VALU_DEP_1)
	v_cmpx_ne_u16_e32 0, v1
	s_cbranch_execz .LBB264_26
; %bb.19:                               ;   in Loop: Header=BB264_13 Depth=1
	v_mov_b32_e32 v28, 0x8000
	s_mov_b32 s43, exec_lo
	v_cmpx_ne_u16_e32 0x80, v1
	s_cbranch_execz .LBB264_25
; %bb.20:                               ;   in Loop: Header=BB264_13 Depth=1
	v_and_b32_e32 v29, 0x7f, v9
	v_mov_b32_e32 v28, 0x7c01
	s_mov_b32 s44, exec_lo
	s_delay_alu instid0(VALU_DEP_2)
	v_cmpx_ne_u32_e32 0x7f, v29
	s_cbranch_execz .LBB264_24
; %bb.21:                               ;   in Loop: Header=BB264_13 Depth=1
	v_and_b32_e32 v1, 7, v9
	v_lshrrev_b32_e32 v28, 3, v29
	s_mov_b32 s45, exec_lo
	v_cmpx_gt_u32_e32 8, v29
; %bb.22:                               ;   in Loop: Header=BB264_13 Depth=1
	s_delay_alu instid0(VALU_DEP_3) | instskip(NEXT) | instid1(VALU_DEP_1)
	v_clz_i32_u32_e32 v1, v1
	v_min_u32_e32 v1, 32, v1
	s_delay_alu instid0(VALU_DEP_1) | instskip(NEXT) | instid1(VALU_DEP_1)
	v_subrev_nc_u32_e32 v28, 28, v1
	v_lshlrev_b64_e32 v[29:30], v28, v[9:10]
	v_sub_nc_u32_e32 v28, 29, v1
	s_delay_alu instid0(VALU_DEP_2)
	v_and_b32_e32 v1, 7, v29
; %bb.23:                               ;   in Loop: Header=BB264_13 Depth=1
	s_or_b32 exec_lo, exec_lo, s45
	v_lshlrev_b32_e32 v29, 8, v9
	s_delay_alu instid0(VALU_DEP_3) | instskip(NEXT) | instid1(VALU_DEP_3)
	v_lshl_add_u32 v28, v28, 10, 0x2000
	v_lshlrev_b32_e32 v1, 7, v1
	s_delay_alu instid0(VALU_DEP_3) | instskip(NEXT) | instid1(VALU_DEP_3)
	v_and_b32_e32 v29, 0x8000, v29
	v_and_b32_e32 v28, 0xfc00, v28
	s_delay_alu instid0(VALU_DEP_1)
	v_or3_b32 v28, v29, v28, v1
.LBB264_24:                             ;   in Loop: Header=BB264_13 Depth=1
	s_or_b32 exec_lo, exec_lo, s44
.LBB264_25:                             ;   in Loop: Header=BB264_13 Depth=1
	s_wait_alu 0xfffe
	s_or_b32 exec_lo, exec_lo, s43
.LBB264_26:                             ;   in Loop: Header=BB264_13 Depth=1
	s_wait_alu 0xfffe
	s_or_b32 exec_lo, exec_lo, s42
	v_lshrrev_b16 v1, 8, v9
	s_mov_b32 s42, exec_lo
	s_delay_alu instid0(VALU_DEP_1)
	v_cmpx_ne_u16_e32 0, v1
	s_cbranch_execz .LBB264_34
; %bb.27:                               ;   in Loop: Header=BB264_13 Depth=1
	v_bfrev_b32_e32 v27, 1
	s_mov_b32 s43, exec_lo
	v_cmpx_ne_u16_e32 0x80, v1
	s_cbranch_execz .LBB264_33
; %bb.28:                               ;   in Loop: Header=BB264_13 Depth=1
	v_and_b32_e32 v29, 0xffff, v1
	v_mov_b32_e32 v27, 0x7c010000
	s_mov_b32 s44, exec_lo
	s_delay_alu instid0(VALU_DEP_2) | instskip(NEXT) | instid1(VALU_DEP_1)
	v_and_b32_e32 v31, 0x7f, v29
	v_cmpx_ne_u32_e32 0x7f, v31
	s_cbranch_execz .LBB264_32
; %bb.29:                               ;   in Loop: Header=BB264_13 Depth=1
	v_and_b32_e32 v27, 7, v29
	v_lshrrev_b32_e32 v30, 3, v31
	s_mov_b32 s45, exec_lo
	v_cmpx_gt_u32_e32 8, v31
; %bb.30:                               ;   in Loop: Header=BB264_13 Depth=1
	s_delay_alu instid0(VALU_DEP_3) | instskip(NEXT) | instid1(VALU_DEP_1)
	v_clz_i32_u32_e32 v27, v27
	v_min_u32_e32 v27, 32, v27
	s_delay_alu instid0(VALU_DEP_1) | instskip(NEXT) | instid1(VALU_DEP_1)
	v_subrev_nc_u32_e32 v30, 28, v27
	v_lshlrev_b64_e32 v[31:32], v30, v[1:2]
	v_sub_nc_u32_e32 v30, 29, v27
	s_delay_alu instid0(VALU_DEP_2)
	v_and_b32_e32 v27, 7, v31
; %bb.31:                               ;   in Loop: Header=BB264_13 Depth=1
	s_or_b32 exec_lo, exec_lo, s45
	v_lshlrev_b32_e32 v1, 8, v29
	s_delay_alu instid0(VALU_DEP_3) | instskip(NEXT) | instid1(VALU_DEP_3)
	v_lshl_add_u32 v29, v30, 10, 0x2000
	v_lshlrev_b32_e32 v27, 23, v27
	s_delay_alu instid0(VALU_DEP_2) | instskip(NEXT) | instid1(VALU_DEP_1)
	v_and_or_b32 v1, 0x8000, v1, v29
	v_lshl_or_b32 v27, v1, 16, v27
.LBB264_32:                             ;   in Loop: Header=BB264_13 Depth=1
	s_or_b32 exec_lo, exec_lo, s44
.LBB264_33:                             ;   in Loop: Header=BB264_13 Depth=1
	s_wait_alu 0xfffe
	s_or_b32 exec_lo, exec_lo, s43
.LBB264_34:                             ;   in Loop: Header=BB264_13 Depth=1
	s_wait_alu 0xfffe
	s_or_b32 exec_lo, exec_lo, s42
	v_lshrrev_b32_e32 v1, 16, v9
	v_mov_b32_e32 v29, 0
	s_mov_b32 s42, exec_lo
	s_delay_alu instid0(VALU_DEP_2) | instskip(NEXT) | instid1(VALU_DEP_1)
	v_dual_mov_b32 v30, 0 :: v_dual_and_b32 v31, 0xff, v1
	v_cmpx_ne_u16_e32 0, v31
	s_cbranch_execz .LBB264_42
; %bb.35:                               ;   in Loop: Header=BB264_13 Depth=1
	v_mov_b32_e32 v30, 0x8000
	s_mov_b32 s43, exec_lo
	v_cmpx_ne_u16_e32 0x80, v31
	s_cbranch_execz .LBB264_41
; %bb.36:                               ;   in Loop: Header=BB264_13 Depth=1
	v_bfe_u32 v32, v9, 16, 7
	v_mov_b32_e32 v30, 0x7c01
	s_mov_b32 s44, exec_lo
	s_delay_alu instid0(VALU_DEP_2)
	v_cmpx_ne_u32_e32 0x7f, v32
	s_cbranch_execz .LBB264_40
; %bb.37:                               ;   in Loop: Header=BB264_13 Depth=1
	v_and_b32_e32 v30, 7, v1
	v_lshrrev_b32_e32 v31, 3, v32
	s_mov_b32 s45, exec_lo
	v_cmpx_gt_u32_e32 8, v32
; %bb.38:                               ;   in Loop: Header=BB264_13 Depth=1
	s_delay_alu instid0(VALU_DEP_3) | instskip(NEXT) | instid1(VALU_DEP_1)
	v_clz_i32_u32_e32 v30, v30
	v_min_u32_e32 v32, 32, v30
	s_delay_alu instid0(VALU_DEP_1) | instskip(NEXT) | instid1(VALU_DEP_1)
	v_subrev_nc_u32_e32 v30, 28, v32
	v_lshlrev_b64_e32 v[30:31], v30, v[1:2]
	v_sub_nc_u32_e32 v31, 29, v32
	s_delay_alu instid0(VALU_DEP_2)
	v_and_b32_e32 v30, 7, v30
; %bb.39:                               ;   in Loop: Header=BB264_13 Depth=1
	s_or_b32 exec_lo, exec_lo, s45
	v_lshlrev_b32_e32 v1, 8, v1
	s_delay_alu instid0(VALU_DEP_3) | instskip(NEXT) | instid1(VALU_DEP_3)
	v_lshl_add_u32 v31, v31, 10, 0x2000
	v_lshlrev_b32_e32 v30, 7, v30
	s_delay_alu instid0(VALU_DEP_3) | instskip(NEXT) | instid1(VALU_DEP_3)
	v_and_b32_e32 v1, 0x8000, v1
	v_and_b32_e32 v31, 0xfc00, v31
	s_delay_alu instid0(VALU_DEP_1)
	v_or3_b32 v30, v1, v31, v30
.LBB264_40:                             ;   in Loop: Header=BB264_13 Depth=1
	s_or_b32 exec_lo, exec_lo, s44
.LBB264_41:                             ;   in Loop: Header=BB264_13 Depth=1
	s_wait_alu 0xfffe
	s_or_b32 exec_lo, exec_lo, s43
.LBB264_42:                             ;   in Loop: Header=BB264_13 Depth=1
	s_wait_alu 0xfffe
	s_or_b32 exec_lo, exec_lo, s42
	s_delay_alu instid0(SALU_CYCLE_1)
	s_mov_b32 s42, exec_lo
	v_cmpx_lt_u32_e32 0xffffff, v9
	s_cbranch_execz .LBB264_50
; %bb.43:                               ;   in Loop: Header=BB264_13 Depth=1
	v_lshrrev_b32_e32 v1, 24, v9
	v_bfrev_b32_e32 v29, 1
	s_mov_b32 s43, exec_lo
	s_delay_alu instid0(VALU_DEP_2)
	v_cmpx_ne_u32_e32 0x80, v1
	s_cbranch_execz .LBB264_49
; %bb.44:                               ;   in Loop: Header=BB264_13 Depth=1
	v_and_b32_e32 v31, 0x7f, v1
	v_mov_b32_e32 v29, 0x7c010000
	s_mov_b32 s44, exec_lo
	s_delay_alu instid0(VALU_DEP_2)
	v_cmpx_ne_u32_e32 0x7f, v31
	s_cbranch_execz .LBB264_48
; %bb.45:                               ;   in Loop: Header=BB264_13 Depth=1
	v_and_b32_e32 v9, 7, v1
	v_lshrrev_b32_e32 v29, 3, v31
	s_mov_b32 s45, exec_lo
	v_cmpx_gt_u32_e32 8, v31
; %bb.46:                               ;   in Loop: Header=BB264_13 Depth=1
	s_delay_alu instid0(VALU_DEP_3) | instskip(NEXT) | instid1(VALU_DEP_1)
	v_clz_i32_u32_e32 v9, v9
	v_min_u32_e32 v9, 32, v9
	s_delay_alu instid0(VALU_DEP_1) | instskip(NEXT) | instid1(VALU_DEP_1)
	v_subrev_nc_u32_e32 v29, 28, v9
	v_lshlrev_b64_e32 v[31:32], v29, v[1:2]
	v_sub_nc_u32_e32 v29, 29, v9
	s_delay_alu instid0(VALU_DEP_2)
	v_and_b32_e32 v9, 7, v31
; %bb.47:                               ;   in Loop: Header=BB264_13 Depth=1
	s_or_b32 exec_lo, exec_lo, s45
	v_lshlrev_b32_e32 v1, 8, v1
	s_delay_alu instid0(VALU_DEP_3) | instskip(NEXT) | instid1(VALU_DEP_3)
	v_lshl_add_u32 v29, v29, 10, 0x2000
	v_lshlrev_b32_e32 v9, 23, v9
	s_delay_alu instid0(VALU_DEP_2) | instskip(NEXT) | instid1(VALU_DEP_1)
	v_and_or_b32 v1, 0x8000, v1, v29
	v_lshl_or_b32 v29, v1, 16, v9
.LBB264_48:                             ;   in Loop: Header=BB264_13 Depth=1
	s_or_b32 exec_lo, exec_lo, s44
.LBB264_49:                             ;   in Loop: Header=BB264_13 Depth=1
	s_wait_alu 0xfffe
	s_or_b32 exec_lo, exec_lo, s43
.LBB264_50:                             ;   in Loop: Header=BB264_13 Depth=1
	s_wait_alu 0xfffe
	s_or_b32 exec_lo, exec_lo, s42
	global_load_b32 v9, v[7:8], off offset:8
	v_mov_b32_e32 v31, 0
	s_mov_b32 s42, exec_lo
	s_wait_loadcnt 0x0
	v_dual_mov_b32 v32, 0 :: v_dual_and_b32 v1, 0xff, v9
	s_delay_alu instid0(VALU_DEP_1)
	v_cmpx_ne_u16_e32 0, v1
	s_cbranch_execz .LBB264_58
; %bb.51:                               ;   in Loop: Header=BB264_13 Depth=1
	v_mov_b32_e32 v32, 0x8000
	s_mov_b32 s43, exec_lo
	v_cmpx_ne_u16_e32 0x80, v1
	s_cbranch_execz .LBB264_57
; %bb.52:                               ;   in Loop: Header=BB264_13 Depth=1
	v_and_b32_e32 v33, 0x7f, v9
	v_mov_b32_e32 v32, 0x7c01
	s_mov_b32 s44, exec_lo
	s_delay_alu instid0(VALU_DEP_2)
	v_cmpx_ne_u32_e32 0x7f, v33
	s_cbranch_execz .LBB264_56
; %bb.53:                               ;   in Loop: Header=BB264_13 Depth=1
	v_and_b32_e32 v1, 7, v9
	v_lshrrev_b32_e32 v32, 3, v33
	s_mov_b32 s45, exec_lo
	v_cmpx_gt_u32_e32 8, v33
; %bb.54:                               ;   in Loop: Header=BB264_13 Depth=1
	s_delay_alu instid0(VALU_DEP_3) | instskip(NEXT) | instid1(VALU_DEP_1)
	v_clz_i32_u32_e32 v1, v1
	v_min_u32_e32 v1, 32, v1
	s_delay_alu instid0(VALU_DEP_1) | instskip(NEXT) | instid1(VALU_DEP_1)
	v_subrev_nc_u32_e32 v32, 28, v1
	v_lshlrev_b64_e32 v[33:34], v32, v[9:10]
	v_sub_nc_u32_e32 v32, 29, v1
	s_delay_alu instid0(VALU_DEP_2)
	v_and_b32_e32 v1, 7, v33
; %bb.55:                               ;   in Loop: Header=BB264_13 Depth=1
	s_or_b32 exec_lo, exec_lo, s45
	v_lshlrev_b32_e32 v33, 8, v9
	s_delay_alu instid0(VALU_DEP_3) | instskip(NEXT) | instid1(VALU_DEP_3)
	v_lshl_add_u32 v32, v32, 10, 0x2000
	v_lshlrev_b32_e32 v1, 7, v1
	s_delay_alu instid0(VALU_DEP_3) | instskip(NEXT) | instid1(VALU_DEP_3)
	v_and_b32_e32 v33, 0x8000, v33
	v_and_b32_e32 v32, 0xfc00, v32
	s_delay_alu instid0(VALU_DEP_1)
	v_or3_b32 v32, v33, v32, v1
.LBB264_56:                             ;   in Loop: Header=BB264_13 Depth=1
	s_or_b32 exec_lo, exec_lo, s44
.LBB264_57:                             ;   in Loop: Header=BB264_13 Depth=1
	s_wait_alu 0xfffe
	s_or_b32 exec_lo, exec_lo, s43
.LBB264_58:                             ;   in Loop: Header=BB264_13 Depth=1
	s_wait_alu 0xfffe
	s_or_b32 exec_lo, exec_lo, s42
	v_lshrrev_b16 v1, 8, v9
	s_mov_b32 s42, exec_lo
	s_delay_alu instid0(VALU_DEP_1)
	v_cmpx_ne_u16_e32 0, v1
	s_cbranch_execz .LBB264_66
; %bb.59:                               ;   in Loop: Header=BB264_13 Depth=1
	v_bfrev_b32_e32 v31, 1
	s_mov_b32 s43, exec_lo
	v_cmpx_ne_u16_e32 0x80, v1
	s_cbranch_execz .LBB264_65
; %bb.60:                               ;   in Loop: Header=BB264_13 Depth=1
	v_and_b32_e32 v33, 0xffff, v1
	v_mov_b32_e32 v31, 0x7c010000
	s_mov_b32 s44, exec_lo
	s_delay_alu instid0(VALU_DEP_2) | instskip(NEXT) | instid1(VALU_DEP_1)
	v_and_b32_e32 v35, 0x7f, v33
	v_cmpx_ne_u32_e32 0x7f, v35
	s_cbranch_execz .LBB264_64
; %bb.61:                               ;   in Loop: Header=BB264_13 Depth=1
	v_and_b32_e32 v31, 7, v33
	v_lshrrev_b32_e32 v34, 3, v35
	s_mov_b32 s45, exec_lo
	v_cmpx_gt_u32_e32 8, v35
; %bb.62:                               ;   in Loop: Header=BB264_13 Depth=1
	s_delay_alu instid0(VALU_DEP_3) | instskip(NEXT) | instid1(VALU_DEP_1)
	v_clz_i32_u32_e32 v31, v31
	v_min_u32_e32 v31, 32, v31
	s_delay_alu instid0(VALU_DEP_1) | instskip(NEXT) | instid1(VALU_DEP_1)
	v_subrev_nc_u32_e32 v34, 28, v31
	v_lshlrev_b64_e32 v[35:36], v34, v[1:2]
	v_sub_nc_u32_e32 v34, 29, v31
	s_delay_alu instid0(VALU_DEP_2)
	v_and_b32_e32 v31, 7, v35
; %bb.63:                               ;   in Loop: Header=BB264_13 Depth=1
	s_or_b32 exec_lo, exec_lo, s45
	v_lshlrev_b32_e32 v1, 8, v33
	s_delay_alu instid0(VALU_DEP_3) | instskip(NEXT) | instid1(VALU_DEP_3)
	v_lshl_add_u32 v33, v34, 10, 0x2000
	v_lshlrev_b32_e32 v31, 23, v31
	s_delay_alu instid0(VALU_DEP_2) | instskip(NEXT) | instid1(VALU_DEP_1)
	v_and_or_b32 v1, 0x8000, v1, v33
	v_lshl_or_b32 v31, v1, 16, v31
.LBB264_64:                             ;   in Loop: Header=BB264_13 Depth=1
	s_or_b32 exec_lo, exec_lo, s44
.LBB264_65:                             ;   in Loop: Header=BB264_13 Depth=1
	s_wait_alu 0xfffe
	s_or_b32 exec_lo, exec_lo, s43
.LBB264_66:                             ;   in Loop: Header=BB264_13 Depth=1
	s_wait_alu 0xfffe
	s_or_b32 exec_lo, exec_lo, s42
	v_lshrrev_b32_e32 v1, 16, v9
	v_mov_b32_e32 v33, 0
	s_mov_b32 s42, exec_lo
	s_delay_alu instid0(VALU_DEP_2) | instskip(NEXT) | instid1(VALU_DEP_1)
	v_dual_mov_b32 v34, 0 :: v_dual_and_b32 v35, 0xff, v1
	v_cmpx_ne_u16_e32 0, v35
	s_cbranch_execz .LBB264_74
; %bb.67:                               ;   in Loop: Header=BB264_13 Depth=1
	v_mov_b32_e32 v34, 0x8000
	s_mov_b32 s43, exec_lo
	v_cmpx_ne_u16_e32 0x80, v35
	s_cbranch_execz .LBB264_73
; %bb.68:                               ;   in Loop: Header=BB264_13 Depth=1
	v_bfe_u32 v36, v9, 16, 7
	v_mov_b32_e32 v34, 0x7c01
	s_mov_b32 s44, exec_lo
	s_delay_alu instid0(VALU_DEP_2)
	v_cmpx_ne_u32_e32 0x7f, v36
	s_cbranch_execz .LBB264_72
; %bb.69:                               ;   in Loop: Header=BB264_13 Depth=1
	v_and_b32_e32 v34, 7, v1
	v_lshrrev_b32_e32 v35, 3, v36
	s_mov_b32 s45, exec_lo
	v_cmpx_gt_u32_e32 8, v36
; %bb.70:                               ;   in Loop: Header=BB264_13 Depth=1
	s_delay_alu instid0(VALU_DEP_3) | instskip(NEXT) | instid1(VALU_DEP_1)
	v_clz_i32_u32_e32 v34, v34
	v_min_u32_e32 v36, 32, v34
	s_delay_alu instid0(VALU_DEP_1) | instskip(NEXT) | instid1(VALU_DEP_1)
	v_subrev_nc_u32_e32 v34, 28, v36
	v_lshlrev_b64_e32 v[34:35], v34, v[1:2]
	v_sub_nc_u32_e32 v35, 29, v36
	s_delay_alu instid0(VALU_DEP_2)
	v_and_b32_e32 v34, 7, v34
; %bb.71:                               ;   in Loop: Header=BB264_13 Depth=1
	s_or_b32 exec_lo, exec_lo, s45
	v_lshlrev_b32_e32 v1, 8, v1
	s_delay_alu instid0(VALU_DEP_3) | instskip(NEXT) | instid1(VALU_DEP_3)
	v_lshl_add_u32 v35, v35, 10, 0x2000
	v_lshlrev_b32_e32 v34, 7, v34
	s_delay_alu instid0(VALU_DEP_3) | instskip(NEXT) | instid1(VALU_DEP_3)
	v_and_b32_e32 v1, 0x8000, v1
	v_and_b32_e32 v35, 0xfc00, v35
	s_delay_alu instid0(VALU_DEP_1)
	v_or3_b32 v34, v1, v35, v34
.LBB264_72:                             ;   in Loop: Header=BB264_13 Depth=1
	s_or_b32 exec_lo, exec_lo, s44
.LBB264_73:                             ;   in Loop: Header=BB264_13 Depth=1
	s_wait_alu 0xfffe
	s_or_b32 exec_lo, exec_lo, s43
.LBB264_74:                             ;   in Loop: Header=BB264_13 Depth=1
	s_wait_alu 0xfffe
	s_or_b32 exec_lo, exec_lo, s42
	s_delay_alu instid0(SALU_CYCLE_1)
	s_mov_b32 s42, exec_lo
	v_cmpx_lt_u32_e32 0xffffff, v9
	s_cbranch_execz .LBB264_82
; %bb.75:                               ;   in Loop: Header=BB264_13 Depth=1
	v_lshrrev_b32_e32 v1, 24, v9
	v_bfrev_b32_e32 v33, 1
	s_mov_b32 s43, exec_lo
	s_delay_alu instid0(VALU_DEP_2)
	v_cmpx_ne_u32_e32 0x80, v1
	s_cbranch_execz .LBB264_81
; %bb.76:                               ;   in Loop: Header=BB264_13 Depth=1
	v_and_b32_e32 v35, 0x7f, v1
	v_mov_b32_e32 v33, 0x7c010000
	s_mov_b32 s44, exec_lo
	s_delay_alu instid0(VALU_DEP_2)
	v_cmpx_ne_u32_e32 0x7f, v35
	s_cbranch_execz .LBB264_80
; %bb.77:                               ;   in Loop: Header=BB264_13 Depth=1
	v_and_b32_e32 v9, 7, v1
	v_lshrrev_b32_e32 v33, 3, v35
	s_mov_b32 s45, exec_lo
	v_cmpx_gt_u32_e32 8, v35
; %bb.78:                               ;   in Loop: Header=BB264_13 Depth=1
	s_delay_alu instid0(VALU_DEP_3) | instskip(NEXT) | instid1(VALU_DEP_1)
	v_clz_i32_u32_e32 v9, v9
	v_min_u32_e32 v9, 32, v9
	s_delay_alu instid0(VALU_DEP_1) | instskip(NEXT) | instid1(VALU_DEP_1)
	v_subrev_nc_u32_e32 v33, 28, v9
	v_lshlrev_b64_e32 v[35:36], v33, v[1:2]
	v_sub_nc_u32_e32 v33, 29, v9
	s_delay_alu instid0(VALU_DEP_2)
	v_and_b32_e32 v9, 7, v35
; %bb.79:                               ;   in Loop: Header=BB264_13 Depth=1
	s_or_b32 exec_lo, exec_lo, s45
	v_lshlrev_b32_e32 v1, 8, v1
	s_delay_alu instid0(VALU_DEP_3) | instskip(NEXT) | instid1(VALU_DEP_3)
	v_lshl_add_u32 v33, v33, 10, 0x2000
	v_lshlrev_b32_e32 v9, 23, v9
	s_delay_alu instid0(VALU_DEP_2) | instskip(NEXT) | instid1(VALU_DEP_1)
	v_and_or_b32 v1, 0x8000, v1, v33
	v_lshl_or_b32 v33, v1, 16, v9
.LBB264_80:                             ;   in Loop: Header=BB264_13 Depth=1
	s_or_b32 exec_lo, exec_lo, s44
.LBB264_81:                             ;   in Loop: Header=BB264_13 Depth=1
	s_wait_alu 0xfffe
	s_or_b32 exec_lo, exec_lo, s43
.LBB264_82:                             ;   in Loop: Header=BB264_13 Depth=1
	s_wait_alu 0xfffe
	s_or_b32 exec_lo, exec_lo, s42
	global_load_b32 v9, v[7:8], off offset:256
	v_mov_b32_e32 v35, 0
	s_mov_b32 s42, exec_lo
	s_wait_loadcnt 0x0
	v_dual_mov_b32 v36, 0 :: v_dual_and_b32 v1, 0xff, v9
	s_delay_alu instid0(VALU_DEP_1)
	v_cmpx_ne_u16_e32 0, v1
	s_cbranch_execz .LBB264_90
; %bb.83:                               ;   in Loop: Header=BB264_13 Depth=1
	v_mov_b32_e32 v36, 0x8000
	s_mov_b32 s43, exec_lo
	v_cmpx_ne_u16_e32 0x80, v1
	s_cbranch_execz .LBB264_89
; %bb.84:                               ;   in Loop: Header=BB264_13 Depth=1
	v_and_b32_e32 v37, 0x7f, v9
	v_mov_b32_e32 v36, 0x7c01
	s_mov_b32 s44, exec_lo
	s_delay_alu instid0(VALU_DEP_2)
	v_cmpx_ne_u32_e32 0x7f, v37
	s_cbranch_execz .LBB264_88
; %bb.85:                               ;   in Loop: Header=BB264_13 Depth=1
	v_and_b32_e32 v1, 7, v9
	v_lshrrev_b32_e32 v36, 3, v37
	s_mov_b32 s45, exec_lo
	v_cmpx_gt_u32_e32 8, v37
; %bb.86:                               ;   in Loop: Header=BB264_13 Depth=1
	s_delay_alu instid0(VALU_DEP_3) | instskip(NEXT) | instid1(VALU_DEP_1)
	v_clz_i32_u32_e32 v1, v1
	v_min_u32_e32 v1, 32, v1
	s_delay_alu instid0(VALU_DEP_1) | instskip(NEXT) | instid1(VALU_DEP_1)
	v_subrev_nc_u32_e32 v36, 28, v1
	v_lshlrev_b64_e32 v[37:38], v36, v[9:10]
	v_sub_nc_u32_e32 v36, 29, v1
	s_delay_alu instid0(VALU_DEP_2)
	v_and_b32_e32 v1, 7, v37
; %bb.87:                               ;   in Loop: Header=BB264_13 Depth=1
	s_or_b32 exec_lo, exec_lo, s45
	v_lshlrev_b32_e32 v37, 8, v9
	s_delay_alu instid0(VALU_DEP_3) | instskip(NEXT) | instid1(VALU_DEP_3)
	v_lshl_add_u32 v36, v36, 10, 0x2000
	v_lshlrev_b32_e32 v1, 7, v1
	s_delay_alu instid0(VALU_DEP_3) | instskip(NEXT) | instid1(VALU_DEP_3)
	v_and_b32_e32 v37, 0x8000, v37
	v_and_b32_e32 v36, 0xfc00, v36
	s_delay_alu instid0(VALU_DEP_1)
	v_or3_b32 v36, v37, v36, v1
.LBB264_88:                             ;   in Loop: Header=BB264_13 Depth=1
	s_or_b32 exec_lo, exec_lo, s44
.LBB264_89:                             ;   in Loop: Header=BB264_13 Depth=1
	s_wait_alu 0xfffe
	s_or_b32 exec_lo, exec_lo, s43
.LBB264_90:                             ;   in Loop: Header=BB264_13 Depth=1
	s_wait_alu 0xfffe
	s_or_b32 exec_lo, exec_lo, s42
	v_lshrrev_b16 v1, 8, v9
	s_mov_b32 s42, exec_lo
	s_delay_alu instid0(VALU_DEP_1)
	v_cmpx_ne_u16_e32 0, v1
	s_cbranch_execz .LBB264_98
; %bb.91:                               ;   in Loop: Header=BB264_13 Depth=1
	v_bfrev_b32_e32 v35, 1
	s_mov_b32 s43, exec_lo
	v_cmpx_ne_u16_e32 0x80, v1
	s_cbranch_execz .LBB264_97
; %bb.92:                               ;   in Loop: Header=BB264_13 Depth=1
	v_and_b32_e32 v37, 0xffff, v1
	v_mov_b32_e32 v35, 0x7c010000
	s_mov_b32 s44, exec_lo
	s_delay_alu instid0(VALU_DEP_2) | instskip(NEXT) | instid1(VALU_DEP_1)
	v_and_b32_e32 v39, 0x7f, v37
	v_cmpx_ne_u32_e32 0x7f, v39
	s_cbranch_execz .LBB264_96
; %bb.93:                               ;   in Loop: Header=BB264_13 Depth=1
	v_and_b32_e32 v35, 7, v37
	v_lshrrev_b32_e32 v38, 3, v39
	s_mov_b32 s45, exec_lo
	v_cmpx_gt_u32_e32 8, v39
; %bb.94:                               ;   in Loop: Header=BB264_13 Depth=1
	s_delay_alu instid0(VALU_DEP_3) | instskip(NEXT) | instid1(VALU_DEP_1)
	v_clz_i32_u32_e32 v35, v35
	v_min_u32_e32 v35, 32, v35
	s_delay_alu instid0(VALU_DEP_1) | instskip(NEXT) | instid1(VALU_DEP_1)
	v_subrev_nc_u32_e32 v38, 28, v35
	v_lshlrev_b64_e32 v[39:40], v38, v[1:2]
	v_sub_nc_u32_e32 v38, 29, v35
	s_delay_alu instid0(VALU_DEP_2)
	v_and_b32_e32 v35, 7, v39
; %bb.95:                               ;   in Loop: Header=BB264_13 Depth=1
	s_or_b32 exec_lo, exec_lo, s45
	v_lshlrev_b32_e32 v1, 8, v37
	s_delay_alu instid0(VALU_DEP_3) | instskip(NEXT) | instid1(VALU_DEP_3)
	v_lshl_add_u32 v37, v38, 10, 0x2000
	v_lshlrev_b32_e32 v35, 23, v35
	s_delay_alu instid0(VALU_DEP_2) | instskip(NEXT) | instid1(VALU_DEP_1)
	v_and_or_b32 v1, 0x8000, v1, v37
	v_lshl_or_b32 v35, v1, 16, v35
.LBB264_96:                             ;   in Loop: Header=BB264_13 Depth=1
	s_or_b32 exec_lo, exec_lo, s44
.LBB264_97:                             ;   in Loop: Header=BB264_13 Depth=1
	s_wait_alu 0xfffe
	s_or_b32 exec_lo, exec_lo, s43
.LBB264_98:                             ;   in Loop: Header=BB264_13 Depth=1
	s_wait_alu 0xfffe
	s_or_b32 exec_lo, exec_lo, s42
	v_lshrrev_b32_e32 v1, 16, v9
	v_mov_b32_e32 v37, 0
	s_mov_b32 s42, exec_lo
	s_delay_alu instid0(VALU_DEP_2) | instskip(NEXT) | instid1(VALU_DEP_1)
	v_dual_mov_b32 v38, 0 :: v_dual_and_b32 v39, 0xff, v1
	v_cmpx_ne_u16_e32 0, v39
	s_cbranch_execz .LBB264_106
; %bb.99:                               ;   in Loop: Header=BB264_13 Depth=1
	v_mov_b32_e32 v38, 0x8000
	s_mov_b32 s43, exec_lo
	v_cmpx_ne_u16_e32 0x80, v39
	s_cbranch_execz .LBB264_105
; %bb.100:                              ;   in Loop: Header=BB264_13 Depth=1
	v_bfe_u32 v40, v9, 16, 7
	v_mov_b32_e32 v38, 0x7c01
	s_mov_b32 s44, exec_lo
	s_delay_alu instid0(VALU_DEP_2)
	v_cmpx_ne_u32_e32 0x7f, v40
	s_cbranch_execz .LBB264_104
; %bb.101:                              ;   in Loop: Header=BB264_13 Depth=1
	v_and_b32_e32 v38, 7, v1
	v_lshrrev_b32_e32 v39, 3, v40
	s_mov_b32 s45, exec_lo
	v_cmpx_gt_u32_e32 8, v40
; %bb.102:                              ;   in Loop: Header=BB264_13 Depth=1
	s_delay_alu instid0(VALU_DEP_3) | instskip(NEXT) | instid1(VALU_DEP_1)
	v_clz_i32_u32_e32 v38, v38
	v_min_u32_e32 v40, 32, v38
	s_delay_alu instid0(VALU_DEP_1) | instskip(NEXT) | instid1(VALU_DEP_1)
	v_subrev_nc_u32_e32 v38, 28, v40
	v_lshlrev_b64_e32 v[38:39], v38, v[1:2]
	v_sub_nc_u32_e32 v39, 29, v40
	s_delay_alu instid0(VALU_DEP_2)
	v_and_b32_e32 v38, 7, v38
; %bb.103:                              ;   in Loop: Header=BB264_13 Depth=1
	s_or_b32 exec_lo, exec_lo, s45
	v_lshlrev_b32_e32 v1, 8, v1
	s_delay_alu instid0(VALU_DEP_3) | instskip(NEXT) | instid1(VALU_DEP_3)
	v_lshl_add_u32 v39, v39, 10, 0x2000
	v_lshlrev_b32_e32 v38, 7, v38
	s_delay_alu instid0(VALU_DEP_3) | instskip(NEXT) | instid1(VALU_DEP_3)
	v_and_b32_e32 v1, 0x8000, v1
	v_and_b32_e32 v39, 0xfc00, v39
	s_delay_alu instid0(VALU_DEP_1)
	v_or3_b32 v38, v1, v39, v38
.LBB264_104:                            ;   in Loop: Header=BB264_13 Depth=1
	s_or_b32 exec_lo, exec_lo, s44
.LBB264_105:                            ;   in Loop: Header=BB264_13 Depth=1
	s_wait_alu 0xfffe
	s_or_b32 exec_lo, exec_lo, s43
.LBB264_106:                            ;   in Loop: Header=BB264_13 Depth=1
	s_wait_alu 0xfffe
	s_or_b32 exec_lo, exec_lo, s42
	s_delay_alu instid0(SALU_CYCLE_1)
	s_mov_b32 s42, exec_lo
	v_cmpx_lt_u32_e32 0xffffff, v9
	s_cbranch_execz .LBB264_114
; %bb.107:                              ;   in Loop: Header=BB264_13 Depth=1
	v_lshrrev_b32_e32 v1, 24, v9
	v_bfrev_b32_e32 v37, 1
	s_mov_b32 s43, exec_lo
	s_delay_alu instid0(VALU_DEP_2)
	v_cmpx_ne_u32_e32 0x80, v1
	s_cbranch_execz .LBB264_113
; %bb.108:                              ;   in Loop: Header=BB264_13 Depth=1
	v_and_b32_e32 v39, 0x7f, v1
	v_mov_b32_e32 v37, 0x7c010000
	s_mov_b32 s44, exec_lo
	s_delay_alu instid0(VALU_DEP_2)
	v_cmpx_ne_u32_e32 0x7f, v39
	s_cbranch_execz .LBB264_112
; %bb.109:                              ;   in Loop: Header=BB264_13 Depth=1
	v_and_b32_e32 v9, 7, v1
	v_lshrrev_b32_e32 v37, 3, v39
	s_mov_b32 s45, exec_lo
	v_cmpx_gt_u32_e32 8, v39
; %bb.110:                              ;   in Loop: Header=BB264_13 Depth=1
	s_delay_alu instid0(VALU_DEP_3) | instskip(NEXT) | instid1(VALU_DEP_1)
	v_clz_i32_u32_e32 v9, v9
	v_min_u32_e32 v9, 32, v9
	s_delay_alu instid0(VALU_DEP_1) | instskip(NEXT) | instid1(VALU_DEP_1)
	v_subrev_nc_u32_e32 v37, 28, v9
	v_lshlrev_b64_e32 v[39:40], v37, v[1:2]
	v_sub_nc_u32_e32 v37, 29, v9
	s_delay_alu instid0(VALU_DEP_2)
	v_and_b32_e32 v9, 7, v39
; %bb.111:                              ;   in Loop: Header=BB264_13 Depth=1
	s_or_b32 exec_lo, exec_lo, s45
	v_lshlrev_b32_e32 v1, 8, v1
	s_delay_alu instid0(VALU_DEP_3) | instskip(NEXT) | instid1(VALU_DEP_3)
	v_lshl_add_u32 v37, v37, 10, 0x2000
	v_lshlrev_b32_e32 v9, 23, v9
	s_delay_alu instid0(VALU_DEP_2) | instskip(NEXT) | instid1(VALU_DEP_1)
	v_and_or_b32 v1, 0x8000, v1, v37
	v_lshl_or_b32 v37, v1, 16, v9
.LBB264_112:                            ;   in Loop: Header=BB264_13 Depth=1
	s_or_b32 exec_lo, exec_lo, s44
.LBB264_113:                            ;   in Loop: Header=BB264_13 Depth=1
	s_wait_alu 0xfffe
	s_or_b32 exec_lo, exec_lo, s43
.LBB264_114:                            ;   in Loop: Header=BB264_13 Depth=1
	s_wait_alu 0xfffe
	s_or_b32 exec_lo, exec_lo, s42
	global_load_b32 v9, v[7:8], off offset:264
	v_mov_b32_e32 v39, 0
	s_mov_b32 s42, exec_lo
	s_wait_loadcnt 0x0
	v_dual_mov_b32 v40, 0 :: v_dual_and_b32 v1, 0xff, v9
	s_delay_alu instid0(VALU_DEP_1)
	v_cmpx_ne_u16_e32 0, v1
	s_cbranch_execz .LBB264_122
; %bb.115:                              ;   in Loop: Header=BB264_13 Depth=1
	v_mov_b32_e32 v40, 0x8000
	s_mov_b32 s43, exec_lo
	v_cmpx_ne_u16_e32 0x80, v1
	s_cbranch_execz .LBB264_121
; %bb.116:                              ;   in Loop: Header=BB264_13 Depth=1
	v_and_b32_e32 v41, 0x7f, v9
	v_mov_b32_e32 v40, 0x7c01
	s_mov_b32 s44, exec_lo
	s_delay_alu instid0(VALU_DEP_2)
	v_cmpx_ne_u32_e32 0x7f, v41
	s_cbranch_execz .LBB264_120
; %bb.117:                              ;   in Loop: Header=BB264_13 Depth=1
	v_and_b32_e32 v1, 7, v9
	v_lshrrev_b32_e32 v40, 3, v41
	s_mov_b32 s45, exec_lo
	v_cmpx_gt_u32_e32 8, v41
; %bb.118:                              ;   in Loop: Header=BB264_13 Depth=1
	s_delay_alu instid0(VALU_DEP_3) | instskip(NEXT) | instid1(VALU_DEP_1)
	v_clz_i32_u32_e32 v1, v1
	v_min_u32_e32 v1, 32, v1
	s_delay_alu instid0(VALU_DEP_1) | instskip(NEXT) | instid1(VALU_DEP_1)
	v_subrev_nc_u32_e32 v40, 28, v1
	v_lshlrev_b64_e32 v[41:42], v40, v[9:10]
	v_sub_nc_u32_e32 v40, 29, v1
	s_delay_alu instid0(VALU_DEP_2)
	v_and_b32_e32 v1, 7, v41
; %bb.119:                              ;   in Loop: Header=BB264_13 Depth=1
	s_or_b32 exec_lo, exec_lo, s45
	v_lshlrev_b32_e32 v41, 8, v9
	s_delay_alu instid0(VALU_DEP_3) | instskip(NEXT) | instid1(VALU_DEP_3)
	v_lshl_add_u32 v40, v40, 10, 0x2000
	v_lshlrev_b32_e32 v1, 7, v1
	s_delay_alu instid0(VALU_DEP_3) | instskip(NEXT) | instid1(VALU_DEP_3)
	v_and_b32_e32 v41, 0x8000, v41
	v_and_b32_e32 v40, 0xfc00, v40
	s_delay_alu instid0(VALU_DEP_1)
	v_or3_b32 v40, v41, v40, v1
.LBB264_120:                            ;   in Loop: Header=BB264_13 Depth=1
	s_or_b32 exec_lo, exec_lo, s44
.LBB264_121:                            ;   in Loop: Header=BB264_13 Depth=1
	s_wait_alu 0xfffe
	s_or_b32 exec_lo, exec_lo, s43
.LBB264_122:                            ;   in Loop: Header=BB264_13 Depth=1
	s_wait_alu 0xfffe
	s_or_b32 exec_lo, exec_lo, s42
	v_lshrrev_b16 v1, 8, v9
	s_mov_b32 s42, exec_lo
	s_delay_alu instid0(VALU_DEP_1)
	v_cmpx_ne_u16_e32 0, v1
	s_cbranch_execz .LBB264_130
; %bb.123:                              ;   in Loop: Header=BB264_13 Depth=1
	v_bfrev_b32_e32 v39, 1
	s_mov_b32 s43, exec_lo
	v_cmpx_ne_u16_e32 0x80, v1
	s_cbranch_execz .LBB264_129
; %bb.124:                              ;   in Loop: Header=BB264_13 Depth=1
	v_and_b32_e32 v41, 0xffff, v1
	v_mov_b32_e32 v39, 0x7c010000
	s_mov_b32 s44, exec_lo
	s_delay_alu instid0(VALU_DEP_2) | instskip(NEXT) | instid1(VALU_DEP_1)
	v_and_b32_e32 v43, 0x7f, v41
	v_cmpx_ne_u32_e32 0x7f, v43
	s_cbranch_execz .LBB264_128
; %bb.125:                              ;   in Loop: Header=BB264_13 Depth=1
	v_and_b32_e32 v39, 7, v41
	v_lshrrev_b32_e32 v42, 3, v43
	s_mov_b32 s45, exec_lo
	v_cmpx_gt_u32_e32 8, v43
; %bb.126:                              ;   in Loop: Header=BB264_13 Depth=1
	s_delay_alu instid0(VALU_DEP_3) | instskip(NEXT) | instid1(VALU_DEP_1)
	v_clz_i32_u32_e32 v39, v39
	v_min_u32_e32 v39, 32, v39
	s_delay_alu instid0(VALU_DEP_1) | instskip(NEXT) | instid1(VALU_DEP_1)
	v_subrev_nc_u32_e32 v42, 28, v39
	v_lshlrev_b64_e32 v[43:44], v42, v[1:2]
	v_sub_nc_u32_e32 v42, 29, v39
	s_delay_alu instid0(VALU_DEP_2)
	v_and_b32_e32 v39, 7, v43
; %bb.127:                              ;   in Loop: Header=BB264_13 Depth=1
	s_or_b32 exec_lo, exec_lo, s45
	v_lshlrev_b32_e32 v1, 8, v41
	s_delay_alu instid0(VALU_DEP_3) | instskip(NEXT) | instid1(VALU_DEP_3)
	v_lshl_add_u32 v41, v42, 10, 0x2000
	v_lshlrev_b32_e32 v39, 23, v39
	s_delay_alu instid0(VALU_DEP_2) | instskip(NEXT) | instid1(VALU_DEP_1)
	v_and_or_b32 v1, 0x8000, v1, v41
	v_lshl_or_b32 v39, v1, 16, v39
.LBB264_128:                            ;   in Loop: Header=BB264_13 Depth=1
	s_or_b32 exec_lo, exec_lo, s44
.LBB264_129:                            ;   in Loop: Header=BB264_13 Depth=1
	s_wait_alu 0xfffe
	s_or_b32 exec_lo, exec_lo, s43
.LBB264_130:                            ;   in Loop: Header=BB264_13 Depth=1
	s_wait_alu 0xfffe
	s_or_b32 exec_lo, exec_lo, s42
	v_lshrrev_b32_e32 v1, 16, v9
	v_mov_b32_e32 v41, 0
	s_mov_b32 s42, exec_lo
	s_delay_alu instid0(VALU_DEP_2) | instskip(NEXT) | instid1(VALU_DEP_1)
	v_dual_mov_b32 v42, 0 :: v_dual_and_b32 v43, 0xff, v1
	v_cmpx_ne_u16_e32 0, v43
	s_cbranch_execz .LBB264_138
; %bb.131:                              ;   in Loop: Header=BB264_13 Depth=1
	v_mov_b32_e32 v42, 0x8000
	s_mov_b32 s43, exec_lo
	v_cmpx_ne_u16_e32 0x80, v43
	s_cbranch_execz .LBB264_137
; %bb.132:                              ;   in Loop: Header=BB264_13 Depth=1
	v_bfe_u32 v44, v9, 16, 7
	v_mov_b32_e32 v42, 0x7c01
	s_mov_b32 s44, exec_lo
	s_delay_alu instid0(VALU_DEP_2)
	v_cmpx_ne_u32_e32 0x7f, v44
	s_cbranch_execz .LBB264_136
; %bb.133:                              ;   in Loop: Header=BB264_13 Depth=1
	v_and_b32_e32 v42, 7, v1
	v_lshrrev_b32_e32 v43, 3, v44
	s_mov_b32 s45, exec_lo
	v_cmpx_gt_u32_e32 8, v44
; %bb.134:                              ;   in Loop: Header=BB264_13 Depth=1
	s_delay_alu instid0(VALU_DEP_3) | instskip(NEXT) | instid1(VALU_DEP_1)
	v_clz_i32_u32_e32 v42, v42
	v_min_u32_e32 v44, 32, v42
	s_delay_alu instid0(VALU_DEP_1) | instskip(NEXT) | instid1(VALU_DEP_1)
	v_subrev_nc_u32_e32 v42, 28, v44
	v_lshlrev_b64_e32 v[42:43], v42, v[1:2]
	v_sub_nc_u32_e32 v43, 29, v44
	s_delay_alu instid0(VALU_DEP_2)
	v_and_b32_e32 v42, 7, v42
; %bb.135:                              ;   in Loop: Header=BB264_13 Depth=1
	s_or_b32 exec_lo, exec_lo, s45
	v_lshlrev_b32_e32 v1, 8, v1
	s_delay_alu instid0(VALU_DEP_3) | instskip(NEXT) | instid1(VALU_DEP_3)
	v_lshl_add_u32 v43, v43, 10, 0x2000
	v_lshlrev_b32_e32 v42, 7, v42
	s_delay_alu instid0(VALU_DEP_3) | instskip(NEXT) | instid1(VALU_DEP_3)
	v_and_b32_e32 v1, 0x8000, v1
	v_and_b32_e32 v43, 0xfc00, v43
	s_delay_alu instid0(VALU_DEP_1)
	v_or3_b32 v42, v1, v43, v42
.LBB264_136:                            ;   in Loop: Header=BB264_13 Depth=1
	s_or_b32 exec_lo, exec_lo, s44
.LBB264_137:                            ;   in Loop: Header=BB264_13 Depth=1
	s_wait_alu 0xfffe
	s_or_b32 exec_lo, exec_lo, s43
.LBB264_138:                            ;   in Loop: Header=BB264_13 Depth=1
	s_wait_alu 0xfffe
	s_or_b32 exec_lo, exec_lo, s42
	s_delay_alu instid0(SALU_CYCLE_1)
	s_mov_b32 s42, exec_lo
	v_cmpx_lt_u32_e32 0xffffff, v9
	s_cbranch_execz .LBB264_146
; %bb.139:                              ;   in Loop: Header=BB264_13 Depth=1
	v_lshrrev_b32_e32 v1, 24, v9
	v_bfrev_b32_e32 v41, 1
	s_mov_b32 s43, exec_lo
	s_delay_alu instid0(VALU_DEP_2)
	v_cmpx_ne_u32_e32 0x80, v1
	s_cbranch_execz .LBB264_145
; %bb.140:                              ;   in Loop: Header=BB264_13 Depth=1
	v_and_b32_e32 v43, 0x7f, v1
	v_mov_b32_e32 v41, 0x7c010000
	s_mov_b32 s44, exec_lo
	s_delay_alu instid0(VALU_DEP_2)
	v_cmpx_ne_u32_e32 0x7f, v43
	s_cbranch_execz .LBB264_144
; %bb.141:                              ;   in Loop: Header=BB264_13 Depth=1
	v_and_b32_e32 v9, 7, v1
	v_lshrrev_b32_e32 v41, 3, v43
	s_mov_b32 s45, exec_lo
	v_cmpx_gt_u32_e32 8, v43
; %bb.142:                              ;   in Loop: Header=BB264_13 Depth=1
	s_delay_alu instid0(VALU_DEP_3) | instskip(NEXT) | instid1(VALU_DEP_1)
	v_clz_i32_u32_e32 v9, v9
	v_min_u32_e32 v9, 32, v9
	s_delay_alu instid0(VALU_DEP_1) | instskip(NEXT) | instid1(VALU_DEP_1)
	v_subrev_nc_u32_e32 v41, 28, v9
	v_lshlrev_b64_e32 v[43:44], v41, v[1:2]
	v_sub_nc_u32_e32 v41, 29, v9
	s_delay_alu instid0(VALU_DEP_2)
	v_and_b32_e32 v9, 7, v43
; %bb.143:                              ;   in Loop: Header=BB264_13 Depth=1
	s_or_b32 exec_lo, exec_lo, s45
	v_lshlrev_b32_e32 v1, 8, v1
	s_delay_alu instid0(VALU_DEP_3) | instskip(NEXT) | instid1(VALU_DEP_3)
	v_lshl_add_u32 v41, v41, 10, 0x2000
	v_lshlrev_b32_e32 v9, 23, v9
	s_delay_alu instid0(VALU_DEP_2) | instskip(NEXT) | instid1(VALU_DEP_1)
	v_and_or_b32 v1, 0x8000, v1, v41
	v_lshl_or_b32 v41, v1, 16, v9
.LBB264_144:                            ;   in Loop: Header=BB264_13 Depth=1
	s_or_b32 exec_lo, exec_lo, s44
.LBB264_145:                            ;   in Loop: Header=BB264_13 Depth=1
	s_wait_alu 0xfffe
	s_or_b32 exec_lo, exec_lo, s43
.LBB264_146:                            ;   in Loop: Header=BB264_13 Depth=1
	s_wait_alu 0xfffe
	s_or_b32 exec_lo, exec_lo, s42
	global_load_b32 v9, v[7:8], off offset:512
	v_mov_b32_e32 v43, 0
	s_mov_b32 s42, exec_lo
	s_wait_loadcnt 0x0
	v_dual_mov_b32 v44, 0 :: v_dual_and_b32 v1, 0xff, v9
	s_delay_alu instid0(VALU_DEP_1)
	v_cmpx_ne_u16_e32 0, v1
	s_cbranch_execz .LBB264_154
; %bb.147:                              ;   in Loop: Header=BB264_13 Depth=1
	v_mov_b32_e32 v44, 0x8000
	s_mov_b32 s43, exec_lo
	v_cmpx_ne_u16_e32 0x80, v1
	s_cbranch_execz .LBB264_153
; %bb.148:                              ;   in Loop: Header=BB264_13 Depth=1
	v_and_b32_e32 v45, 0x7f, v9
	v_mov_b32_e32 v44, 0x7c01
	s_mov_b32 s44, exec_lo
	s_delay_alu instid0(VALU_DEP_2)
	v_cmpx_ne_u32_e32 0x7f, v45
	s_cbranch_execz .LBB264_152
; %bb.149:                              ;   in Loop: Header=BB264_13 Depth=1
	v_and_b32_e32 v1, 7, v9
	v_lshrrev_b32_e32 v44, 3, v45
	s_mov_b32 s45, exec_lo
	v_cmpx_gt_u32_e32 8, v45
; %bb.150:                              ;   in Loop: Header=BB264_13 Depth=1
	s_delay_alu instid0(VALU_DEP_3) | instskip(NEXT) | instid1(VALU_DEP_1)
	v_clz_i32_u32_e32 v1, v1
	v_min_u32_e32 v1, 32, v1
	s_delay_alu instid0(VALU_DEP_1) | instskip(NEXT) | instid1(VALU_DEP_1)
	v_subrev_nc_u32_e32 v44, 28, v1
	v_lshlrev_b64_e32 v[45:46], v44, v[9:10]
	v_sub_nc_u32_e32 v44, 29, v1
	s_delay_alu instid0(VALU_DEP_2)
	v_and_b32_e32 v1, 7, v45
; %bb.151:                              ;   in Loop: Header=BB264_13 Depth=1
	s_or_b32 exec_lo, exec_lo, s45
	v_lshlrev_b32_e32 v45, 8, v9
	s_delay_alu instid0(VALU_DEP_3) | instskip(NEXT) | instid1(VALU_DEP_3)
	v_lshl_add_u32 v44, v44, 10, 0x2000
	v_lshlrev_b32_e32 v1, 7, v1
	s_delay_alu instid0(VALU_DEP_3) | instskip(NEXT) | instid1(VALU_DEP_3)
	v_and_b32_e32 v45, 0x8000, v45
	v_and_b32_e32 v44, 0xfc00, v44
	s_delay_alu instid0(VALU_DEP_1)
	v_or3_b32 v44, v45, v44, v1
.LBB264_152:                            ;   in Loop: Header=BB264_13 Depth=1
	s_or_b32 exec_lo, exec_lo, s44
.LBB264_153:                            ;   in Loop: Header=BB264_13 Depth=1
	s_wait_alu 0xfffe
	s_or_b32 exec_lo, exec_lo, s43
.LBB264_154:                            ;   in Loop: Header=BB264_13 Depth=1
	s_wait_alu 0xfffe
	s_or_b32 exec_lo, exec_lo, s42
	v_lshrrev_b16 v1, 8, v9
	s_mov_b32 s42, exec_lo
	s_delay_alu instid0(VALU_DEP_1)
	v_cmpx_ne_u16_e32 0, v1
	s_cbranch_execz .LBB264_162
; %bb.155:                              ;   in Loop: Header=BB264_13 Depth=1
	v_bfrev_b32_e32 v43, 1
	s_mov_b32 s43, exec_lo
	v_cmpx_ne_u16_e32 0x80, v1
	s_cbranch_execz .LBB264_161
; %bb.156:                              ;   in Loop: Header=BB264_13 Depth=1
	v_and_b32_e32 v45, 0xffff, v1
	v_mov_b32_e32 v43, 0x7c010000
	s_mov_b32 s44, exec_lo
	s_delay_alu instid0(VALU_DEP_2) | instskip(NEXT) | instid1(VALU_DEP_1)
	v_and_b32_e32 v47, 0x7f, v45
	v_cmpx_ne_u32_e32 0x7f, v47
	s_cbranch_execz .LBB264_160
; %bb.157:                              ;   in Loop: Header=BB264_13 Depth=1
	v_and_b32_e32 v43, 7, v45
	v_lshrrev_b32_e32 v46, 3, v47
	s_mov_b32 s45, exec_lo
	v_cmpx_gt_u32_e32 8, v47
; %bb.158:                              ;   in Loop: Header=BB264_13 Depth=1
	s_delay_alu instid0(VALU_DEP_3) | instskip(NEXT) | instid1(VALU_DEP_1)
	v_clz_i32_u32_e32 v43, v43
	v_min_u32_e32 v43, 32, v43
	s_delay_alu instid0(VALU_DEP_1) | instskip(NEXT) | instid1(VALU_DEP_1)
	v_subrev_nc_u32_e32 v46, 28, v43
	v_lshlrev_b64_e32 v[47:48], v46, v[1:2]
	v_sub_nc_u32_e32 v46, 29, v43
	s_delay_alu instid0(VALU_DEP_2)
	v_and_b32_e32 v43, 7, v47
; %bb.159:                              ;   in Loop: Header=BB264_13 Depth=1
	s_or_b32 exec_lo, exec_lo, s45
	v_lshlrev_b32_e32 v1, 8, v45
	s_delay_alu instid0(VALU_DEP_3) | instskip(NEXT) | instid1(VALU_DEP_3)
	v_lshl_add_u32 v45, v46, 10, 0x2000
	v_lshlrev_b32_e32 v43, 23, v43
	s_delay_alu instid0(VALU_DEP_2) | instskip(NEXT) | instid1(VALU_DEP_1)
	v_and_or_b32 v1, 0x8000, v1, v45
	v_lshl_or_b32 v43, v1, 16, v43
.LBB264_160:                            ;   in Loop: Header=BB264_13 Depth=1
	s_or_b32 exec_lo, exec_lo, s44
.LBB264_161:                            ;   in Loop: Header=BB264_13 Depth=1
	s_wait_alu 0xfffe
	s_or_b32 exec_lo, exec_lo, s43
.LBB264_162:                            ;   in Loop: Header=BB264_13 Depth=1
	s_wait_alu 0xfffe
	s_or_b32 exec_lo, exec_lo, s42
	v_lshrrev_b32_e32 v1, 16, v9
	v_mov_b32_e32 v45, 0
	s_mov_b32 s42, exec_lo
	s_delay_alu instid0(VALU_DEP_2) | instskip(NEXT) | instid1(VALU_DEP_1)
	v_dual_mov_b32 v46, 0 :: v_dual_and_b32 v47, 0xff, v1
	v_cmpx_ne_u16_e32 0, v47
	s_cbranch_execz .LBB264_170
; %bb.163:                              ;   in Loop: Header=BB264_13 Depth=1
	v_mov_b32_e32 v46, 0x8000
	s_mov_b32 s43, exec_lo
	v_cmpx_ne_u16_e32 0x80, v47
	s_cbranch_execz .LBB264_169
; %bb.164:                              ;   in Loop: Header=BB264_13 Depth=1
	v_bfe_u32 v48, v9, 16, 7
	v_mov_b32_e32 v46, 0x7c01
	s_mov_b32 s44, exec_lo
	s_delay_alu instid0(VALU_DEP_2)
	v_cmpx_ne_u32_e32 0x7f, v48
	s_cbranch_execz .LBB264_168
; %bb.165:                              ;   in Loop: Header=BB264_13 Depth=1
	v_and_b32_e32 v46, 7, v1
	v_lshrrev_b32_e32 v47, 3, v48
	s_mov_b32 s45, exec_lo
	v_cmpx_gt_u32_e32 8, v48
; %bb.166:                              ;   in Loop: Header=BB264_13 Depth=1
	s_delay_alu instid0(VALU_DEP_3) | instskip(NEXT) | instid1(VALU_DEP_1)
	v_clz_i32_u32_e32 v46, v46
	v_min_u32_e32 v48, 32, v46
	s_delay_alu instid0(VALU_DEP_1) | instskip(NEXT) | instid1(VALU_DEP_1)
	v_subrev_nc_u32_e32 v46, 28, v48
	v_lshlrev_b64_e32 v[46:47], v46, v[1:2]
	v_sub_nc_u32_e32 v47, 29, v48
	s_delay_alu instid0(VALU_DEP_2)
	v_and_b32_e32 v46, 7, v46
; %bb.167:                              ;   in Loop: Header=BB264_13 Depth=1
	s_or_b32 exec_lo, exec_lo, s45
	v_lshlrev_b32_e32 v1, 8, v1
	s_delay_alu instid0(VALU_DEP_3) | instskip(NEXT) | instid1(VALU_DEP_3)
	v_lshl_add_u32 v47, v47, 10, 0x2000
	v_lshlrev_b32_e32 v46, 7, v46
	s_delay_alu instid0(VALU_DEP_3) | instskip(NEXT) | instid1(VALU_DEP_3)
	v_and_b32_e32 v1, 0x8000, v1
	v_and_b32_e32 v47, 0xfc00, v47
	s_delay_alu instid0(VALU_DEP_1)
	v_or3_b32 v46, v1, v47, v46
.LBB264_168:                            ;   in Loop: Header=BB264_13 Depth=1
	s_or_b32 exec_lo, exec_lo, s44
.LBB264_169:                            ;   in Loop: Header=BB264_13 Depth=1
	s_wait_alu 0xfffe
	s_or_b32 exec_lo, exec_lo, s43
.LBB264_170:                            ;   in Loop: Header=BB264_13 Depth=1
	s_wait_alu 0xfffe
	s_or_b32 exec_lo, exec_lo, s42
	s_delay_alu instid0(SALU_CYCLE_1)
	s_mov_b32 s42, exec_lo
	v_cmpx_lt_u32_e32 0xffffff, v9
	s_cbranch_execz .LBB264_178
; %bb.171:                              ;   in Loop: Header=BB264_13 Depth=1
	v_lshrrev_b32_e32 v1, 24, v9
	v_bfrev_b32_e32 v45, 1
	s_mov_b32 s43, exec_lo
	s_delay_alu instid0(VALU_DEP_2)
	v_cmpx_ne_u32_e32 0x80, v1
	s_cbranch_execz .LBB264_177
; %bb.172:                              ;   in Loop: Header=BB264_13 Depth=1
	v_and_b32_e32 v47, 0x7f, v1
	v_mov_b32_e32 v45, 0x7c010000
	s_mov_b32 s44, exec_lo
	s_delay_alu instid0(VALU_DEP_2)
	v_cmpx_ne_u32_e32 0x7f, v47
	s_cbranch_execz .LBB264_176
; %bb.173:                              ;   in Loop: Header=BB264_13 Depth=1
	v_and_b32_e32 v9, 7, v1
	v_lshrrev_b32_e32 v45, 3, v47
	s_mov_b32 s45, exec_lo
	v_cmpx_gt_u32_e32 8, v47
; %bb.174:                              ;   in Loop: Header=BB264_13 Depth=1
	s_delay_alu instid0(VALU_DEP_3) | instskip(NEXT) | instid1(VALU_DEP_1)
	v_clz_i32_u32_e32 v9, v9
	v_min_u32_e32 v9, 32, v9
	s_delay_alu instid0(VALU_DEP_1) | instskip(NEXT) | instid1(VALU_DEP_1)
	v_subrev_nc_u32_e32 v45, 28, v9
	v_lshlrev_b64_e32 v[47:48], v45, v[1:2]
	v_sub_nc_u32_e32 v45, 29, v9
	s_delay_alu instid0(VALU_DEP_2)
	v_and_b32_e32 v9, 7, v47
; %bb.175:                              ;   in Loop: Header=BB264_13 Depth=1
	s_or_b32 exec_lo, exec_lo, s45
	v_lshlrev_b32_e32 v1, 8, v1
	s_delay_alu instid0(VALU_DEP_3) | instskip(NEXT) | instid1(VALU_DEP_3)
	v_lshl_add_u32 v45, v45, 10, 0x2000
	v_lshlrev_b32_e32 v9, 23, v9
	s_delay_alu instid0(VALU_DEP_2) | instskip(NEXT) | instid1(VALU_DEP_1)
	v_and_or_b32 v1, 0x8000, v1, v45
	v_lshl_or_b32 v45, v1, 16, v9
.LBB264_176:                            ;   in Loop: Header=BB264_13 Depth=1
	s_or_b32 exec_lo, exec_lo, s44
.LBB264_177:                            ;   in Loop: Header=BB264_13 Depth=1
	s_wait_alu 0xfffe
	s_or_b32 exec_lo, exec_lo, s43
.LBB264_178:                            ;   in Loop: Header=BB264_13 Depth=1
	s_wait_alu 0xfffe
	s_or_b32 exec_lo, exec_lo, s42
	global_load_b32 v9, v[7:8], off offset:520
	v_mov_b32_e32 v47, 0
	s_mov_b32 s42, exec_lo
	s_wait_loadcnt 0x0
	v_dual_mov_b32 v48, 0 :: v_dual_and_b32 v1, 0xff, v9
	s_delay_alu instid0(VALU_DEP_1)
	v_cmpx_ne_u16_e32 0, v1
	s_cbranch_execz .LBB264_186
; %bb.179:                              ;   in Loop: Header=BB264_13 Depth=1
	v_mov_b32_e32 v48, 0x8000
	s_mov_b32 s43, exec_lo
	v_cmpx_ne_u16_e32 0x80, v1
	s_cbranch_execz .LBB264_185
; %bb.180:                              ;   in Loop: Header=BB264_13 Depth=1
	v_and_b32_e32 v49, 0x7f, v9
	v_mov_b32_e32 v48, 0x7c01
	s_mov_b32 s44, exec_lo
	s_delay_alu instid0(VALU_DEP_2)
	v_cmpx_ne_u32_e32 0x7f, v49
	s_cbranch_execz .LBB264_184
; %bb.181:                              ;   in Loop: Header=BB264_13 Depth=1
	v_and_b32_e32 v1, 7, v9
	v_lshrrev_b32_e32 v48, 3, v49
	s_mov_b32 s45, exec_lo
	v_cmpx_gt_u32_e32 8, v49
; %bb.182:                              ;   in Loop: Header=BB264_13 Depth=1
	s_delay_alu instid0(VALU_DEP_3) | instskip(NEXT) | instid1(VALU_DEP_1)
	v_clz_i32_u32_e32 v1, v1
	v_min_u32_e32 v1, 32, v1
	s_delay_alu instid0(VALU_DEP_1) | instskip(NEXT) | instid1(VALU_DEP_1)
	v_subrev_nc_u32_e32 v48, 28, v1
	v_lshlrev_b64_e32 v[49:50], v48, v[9:10]
	v_sub_nc_u32_e32 v48, 29, v1
	s_delay_alu instid0(VALU_DEP_2)
	v_and_b32_e32 v1, 7, v49
; %bb.183:                              ;   in Loop: Header=BB264_13 Depth=1
	s_or_b32 exec_lo, exec_lo, s45
	v_lshlrev_b32_e32 v49, 8, v9
	s_delay_alu instid0(VALU_DEP_3) | instskip(NEXT) | instid1(VALU_DEP_3)
	v_lshl_add_u32 v48, v48, 10, 0x2000
	v_lshlrev_b32_e32 v1, 7, v1
	s_delay_alu instid0(VALU_DEP_3) | instskip(NEXT) | instid1(VALU_DEP_3)
	v_and_b32_e32 v49, 0x8000, v49
	v_and_b32_e32 v48, 0xfc00, v48
	s_delay_alu instid0(VALU_DEP_1)
	v_or3_b32 v48, v49, v48, v1
.LBB264_184:                            ;   in Loop: Header=BB264_13 Depth=1
	s_or_b32 exec_lo, exec_lo, s44
.LBB264_185:                            ;   in Loop: Header=BB264_13 Depth=1
	s_wait_alu 0xfffe
	s_or_b32 exec_lo, exec_lo, s43
.LBB264_186:                            ;   in Loop: Header=BB264_13 Depth=1
	s_wait_alu 0xfffe
	s_or_b32 exec_lo, exec_lo, s42
	v_lshrrev_b16 v1, 8, v9
	s_mov_b32 s42, exec_lo
	s_delay_alu instid0(VALU_DEP_1)
	v_cmpx_ne_u16_e32 0, v1
	s_cbranch_execz .LBB264_194
; %bb.187:                              ;   in Loop: Header=BB264_13 Depth=1
	v_bfrev_b32_e32 v47, 1
	s_mov_b32 s43, exec_lo
	v_cmpx_ne_u16_e32 0x80, v1
	s_cbranch_execz .LBB264_193
; %bb.188:                              ;   in Loop: Header=BB264_13 Depth=1
	v_and_b32_e32 v49, 0xffff, v1
	v_mov_b32_e32 v47, 0x7c010000
	s_mov_b32 s44, exec_lo
	s_delay_alu instid0(VALU_DEP_2) | instskip(NEXT) | instid1(VALU_DEP_1)
	v_and_b32_e32 v51, 0x7f, v49
	v_cmpx_ne_u32_e32 0x7f, v51
	s_cbranch_execz .LBB264_192
; %bb.189:                              ;   in Loop: Header=BB264_13 Depth=1
	v_and_b32_e32 v47, 7, v49
	v_lshrrev_b32_e32 v50, 3, v51
	s_mov_b32 s45, exec_lo
	v_cmpx_gt_u32_e32 8, v51
; %bb.190:                              ;   in Loop: Header=BB264_13 Depth=1
	s_delay_alu instid0(VALU_DEP_3) | instskip(NEXT) | instid1(VALU_DEP_1)
	v_clz_i32_u32_e32 v47, v47
	v_min_u32_e32 v47, 32, v47
	s_delay_alu instid0(VALU_DEP_1) | instskip(NEXT) | instid1(VALU_DEP_1)
	v_subrev_nc_u32_e32 v50, 28, v47
	v_lshlrev_b64_e32 v[51:52], v50, v[1:2]
	v_sub_nc_u32_e32 v50, 29, v47
	s_delay_alu instid0(VALU_DEP_2)
	v_and_b32_e32 v47, 7, v51
; %bb.191:                              ;   in Loop: Header=BB264_13 Depth=1
	s_or_b32 exec_lo, exec_lo, s45
	v_lshlrev_b32_e32 v1, 8, v49
	s_delay_alu instid0(VALU_DEP_3) | instskip(NEXT) | instid1(VALU_DEP_3)
	v_lshl_add_u32 v49, v50, 10, 0x2000
	v_lshlrev_b32_e32 v47, 23, v47
	s_delay_alu instid0(VALU_DEP_2) | instskip(NEXT) | instid1(VALU_DEP_1)
	v_and_or_b32 v1, 0x8000, v1, v49
	v_lshl_or_b32 v47, v1, 16, v47
.LBB264_192:                            ;   in Loop: Header=BB264_13 Depth=1
	s_or_b32 exec_lo, exec_lo, s44
.LBB264_193:                            ;   in Loop: Header=BB264_13 Depth=1
	s_wait_alu 0xfffe
	s_or_b32 exec_lo, exec_lo, s43
.LBB264_194:                            ;   in Loop: Header=BB264_13 Depth=1
	s_wait_alu 0xfffe
	s_or_b32 exec_lo, exec_lo, s42
	v_lshrrev_b32_e32 v1, 16, v9
	v_mov_b32_e32 v49, 0
	s_mov_b32 s42, exec_lo
	s_delay_alu instid0(VALU_DEP_2) | instskip(NEXT) | instid1(VALU_DEP_1)
	v_dual_mov_b32 v50, 0 :: v_dual_and_b32 v51, 0xff, v1
	v_cmpx_ne_u16_e32 0, v51
	s_cbranch_execz .LBB264_202
; %bb.195:                              ;   in Loop: Header=BB264_13 Depth=1
	v_mov_b32_e32 v50, 0x8000
	s_mov_b32 s43, exec_lo
	v_cmpx_ne_u16_e32 0x80, v51
	s_cbranch_execz .LBB264_201
; %bb.196:                              ;   in Loop: Header=BB264_13 Depth=1
	v_bfe_u32 v52, v9, 16, 7
	v_mov_b32_e32 v50, 0x7c01
	s_mov_b32 s44, exec_lo
	s_delay_alu instid0(VALU_DEP_2)
	v_cmpx_ne_u32_e32 0x7f, v52
	s_cbranch_execz .LBB264_200
; %bb.197:                              ;   in Loop: Header=BB264_13 Depth=1
	v_and_b32_e32 v50, 7, v1
	v_lshrrev_b32_e32 v51, 3, v52
	s_mov_b32 s45, exec_lo
	v_cmpx_gt_u32_e32 8, v52
; %bb.198:                              ;   in Loop: Header=BB264_13 Depth=1
	s_delay_alu instid0(VALU_DEP_3) | instskip(NEXT) | instid1(VALU_DEP_1)
	v_clz_i32_u32_e32 v50, v50
	v_min_u32_e32 v52, 32, v50
	s_delay_alu instid0(VALU_DEP_1) | instskip(NEXT) | instid1(VALU_DEP_1)
	v_subrev_nc_u32_e32 v50, 28, v52
	v_lshlrev_b64_e32 v[50:51], v50, v[1:2]
	v_sub_nc_u32_e32 v51, 29, v52
	s_delay_alu instid0(VALU_DEP_2)
	v_and_b32_e32 v50, 7, v50
; %bb.199:                              ;   in Loop: Header=BB264_13 Depth=1
	s_or_b32 exec_lo, exec_lo, s45
	v_lshlrev_b32_e32 v1, 8, v1
	s_delay_alu instid0(VALU_DEP_3) | instskip(NEXT) | instid1(VALU_DEP_3)
	v_lshl_add_u32 v51, v51, 10, 0x2000
	v_lshlrev_b32_e32 v50, 7, v50
	s_delay_alu instid0(VALU_DEP_3) | instskip(NEXT) | instid1(VALU_DEP_3)
	v_and_b32_e32 v1, 0x8000, v1
	v_and_b32_e32 v51, 0xfc00, v51
	s_delay_alu instid0(VALU_DEP_1)
	v_or3_b32 v50, v1, v51, v50
.LBB264_200:                            ;   in Loop: Header=BB264_13 Depth=1
	s_or_b32 exec_lo, exec_lo, s44
.LBB264_201:                            ;   in Loop: Header=BB264_13 Depth=1
	s_wait_alu 0xfffe
	s_or_b32 exec_lo, exec_lo, s43
.LBB264_202:                            ;   in Loop: Header=BB264_13 Depth=1
	s_wait_alu 0xfffe
	s_or_b32 exec_lo, exec_lo, s42
	s_delay_alu instid0(SALU_CYCLE_1)
	s_mov_b32 s42, exec_lo
	v_cmpx_lt_u32_e32 0xffffff, v9
	s_cbranch_execz .LBB264_210
; %bb.203:                              ;   in Loop: Header=BB264_13 Depth=1
	v_lshrrev_b32_e32 v1, 24, v9
	v_bfrev_b32_e32 v49, 1
	s_mov_b32 s43, exec_lo
	s_delay_alu instid0(VALU_DEP_2)
	v_cmpx_ne_u32_e32 0x80, v1
	s_cbranch_execz .LBB264_209
; %bb.204:                              ;   in Loop: Header=BB264_13 Depth=1
	v_and_b32_e32 v51, 0x7f, v1
	v_mov_b32_e32 v49, 0x7c010000
	s_mov_b32 s44, exec_lo
	s_delay_alu instid0(VALU_DEP_2)
	v_cmpx_ne_u32_e32 0x7f, v51
	s_cbranch_execz .LBB264_208
; %bb.205:                              ;   in Loop: Header=BB264_13 Depth=1
	v_and_b32_e32 v9, 7, v1
	v_lshrrev_b32_e32 v49, 3, v51
	s_mov_b32 s45, exec_lo
	v_cmpx_gt_u32_e32 8, v51
; %bb.206:                              ;   in Loop: Header=BB264_13 Depth=1
	s_delay_alu instid0(VALU_DEP_3) | instskip(NEXT) | instid1(VALU_DEP_1)
	v_clz_i32_u32_e32 v9, v9
	v_min_u32_e32 v9, 32, v9
	s_delay_alu instid0(VALU_DEP_1) | instskip(NEXT) | instid1(VALU_DEP_1)
	v_subrev_nc_u32_e32 v49, 28, v9
	v_lshlrev_b64_e32 v[51:52], v49, v[1:2]
	v_sub_nc_u32_e32 v49, 29, v9
	s_delay_alu instid0(VALU_DEP_2)
	v_and_b32_e32 v9, 7, v51
; %bb.207:                              ;   in Loop: Header=BB264_13 Depth=1
	s_or_b32 exec_lo, exec_lo, s45
	v_lshlrev_b32_e32 v1, 8, v1
	s_delay_alu instid0(VALU_DEP_3) | instskip(NEXT) | instid1(VALU_DEP_3)
	v_lshl_add_u32 v49, v49, 10, 0x2000
	v_lshlrev_b32_e32 v9, 23, v9
	s_delay_alu instid0(VALU_DEP_2) | instskip(NEXT) | instid1(VALU_DEP_1)
	v_and_or_b32 v1, 0x8000, v1, v49
	v_lshl_or_b32 v49, v1, 16, v9
.LBB264_208:                            ;   in Loop: Header=BB264_13 Depth=1
	s_or_b32 exec_lo, exec_lo, s44
.LBB264_209:                            ;   in Loop: Header=BB264_13 Depth=1
	s_wait_alu 0xfffe
	s_or_b32 exec_lo, exec_lo, s43
.LBB264_210:                            ;   in Loop: Header=BB264_13 Depth=1
	s_wait_alu 0xfffe
	s_or_b32 exec_lo, exec_lo, s42
	global_load_b32 v9, v[7:8], off offset:768
	v_mov_b32_e32 v51, 0
	s_mov_b32 s42, exec_lo
	s_wait_loadcnt 0x0
	v_dual_mov_b32 v52, 0 :: v_dual_and_b32 v1, 0xff, v9
	s_delay_alu instid0(VALU_DEP_1)
	v_cmpx_ne_u16_e32 0, v1
	s_cbranch_execz .LBB264_218
; %bb.211:                              ;   in Loop: Header=BB264_13 Depth=1
	v_mov_b32_e32 v52, 0x8000
	s_mov_b32 s43, exec_lo
	v_cmpx_ne_u16_e32 0x80, v1
	s_cbranch_execz .LBB264_217
; %bb.212:                              ;   in Loop: Header=BB264_13 Depth=1
	v_and_b32_e32 v53, 0x7f, v9
	v_mov_b32_e32 v52, 0x7c01
	s_mov_b32 s44, exec_lo
	s_delay_alu instid0(VALU_DEP_2)
	v_cmpx_ne_u32_e32 0x7f, v53
	s_cbranch_execz .LBB264_216
; %bb.213:                              ;   in Loop: Header=BB264_13 Depth=1
	v_and_b32_e32 v1, 7, v9
	v_lshrrev_b32_e32 v52, 3, v53
	s_mov_b32 s45, exec_lo
	v_cmpx_gt_u32_e32 8, v53
; %bb.214:                              ;   in Loop: Header=BB264_13 Depth=1
	s_delay_alu instid0(VALU_DEP_3) | instskip(NEXT) | instid1(VALU_DEP_1)
	v_clz_i32_u32_e32 v1, v1
	v_min_u32_e32 v1, 32, v1
	s_delay_alu instid0(VALU_DEP_1) | instskip(NEXT) | instid1(VALU_DEP_1)
	v_subrev_nc_u32_e32 v52, 28, v1
	v_lshlrev_b64_e32 v[53:54], v52, v[9:10]
	v_sub_nc_u32_e32 v52, 29, v1
	s_delay_alu instid0(VALU_DEP_2)
	v_and_b32_e32 v1, 7, v53
; %bb.215:                              ;   in Loop: Header=BB264_13 Depth=1
	s_or_b32 exec_lo, exec_lo, s45
	v_lshlrev_b32_e32 v53, 8, v9
	s_delay_alu instid0(VALU_DEP_3) | instskip(NEXT) | instid1(VALU_DEP_3)
	v_lshl_add_u32 v52, v52, 10, 0x2000
	v_lshlrev_b32_e32 v1, 7, v1
	s_delay_alu instid0(VALU_DEP_3) | instskip(NEXT) | instid1(VALU_DEP_3)
	v_and_b32_e32 v53, 0x8000, v53
	v_and_b32_e32 v52, 0xfc00, v52
	s_delay_alu instid0(VALU_DEP_1)
	v_or3_b32 v52, v53, v52, v1
.LBB264_216:                            ;   in Loop: Header=BB264_13 Depth=1
	s_or_b32 exec_lo, exec_lo, s44
.LBB264_217:                            ;   in Loop: Header=BB264_13 Depth=1
	s_wait_alu 0xfffe
	s_or_b32 exec_lo, exec_lo, s43
.LBB264_218:                            ;   in Loop: Header=BB264_13 Depth=1
	s_wait_alu 0xfffe
	s_or_b32 exec_lo, exec_lo, s42
	v_lshrrev_b16 v1, 8, v9
	s_mov_b32 s42, exec_lo
	s_delay_alu instid0(VALU_DEP_1)
	v_cmpx_ne_u16_e32 0, v1
	s_cbranch_execz .LBB264_226
; %bb.219:                              ;   in Loop: Header=BB264_13 Depth=1
	v_bfrev_b32_e32 v51, 1
	s_mov_b32 s43, exec_lo
	v_cmpx_ne_u16_e32 0x80, v1
	s_cbranch_execz .LBB264_225
; %bb.220:                              ;   in Loop: Header=BB264_13 Depth=1
	v_and_b32_e32 v53, 0xffff, v1
	v_mov_b32_e32 v51, 0x7c010000
	s_mov_b32 s44, exec_lo
	s_delay_alu instid0(VALU_DEP_2) | instskip(NEXT) | instid1(VALU_DEP_1)
	v_and_b32_e32 v55, 0x7f, v53
	v_cmpx_ne_u32_e32 0x7f, v55
	s_cbranch_execz .LBB264_224
; %bb.221:                              ;   in Loop: Header=BB264_13 Depth=1
	v_and_b32_e32 v51, 7, v53
	v_lshrrev_b32_e32 v54, 3, v55
	s_mov_b32 s45, exec_lo
	v_cmpx_gt_u32_e32 8, v55
; %bb.222:                              ;   in Loop: Header=BB264_13 Depth=1
	s_delay_alu instid0(VALU_DEP_3) | instskip(NEXT) | instid1(VALU_DEP_1)
	v_clz_i32_u32_e32 v51, v51
	v_min_u32_e32 v51, 32, v51
	s_delay_alu instid0(VALU_DEP_1) | instskip(NEXT) | instid1(VALU_DEP_1)
	v_subrev_nc_u32_e32 v54, 28, v51
	v_lshlrev_b64_e32 v[55:56], v54, v[1:2]
	v_sub_nc_u32_e32 v54, 29, v51
	s_delay_alu instid0(VALU_DEP_2)
	v_and_b32_e32 v51, 7, v55
; %bb.223:                              ;   in Loop: Header=BB264_13 Depth=1
	s_or_b32 exec_lo, exec_lo, s45
	v_lshlrev_b32_e32 v1, 8, v53
	s_delay_alu instid0(VALU_DEP_3) | instskip(NEXT) | instid1(VALU_DEP_3)
	v_lshl_add_u32 v53, v54, 10, 0x2000
	v_lshlrev_b32_e32 v51, 23, v51
	s_delay_alu instid0(VALU_DEP_2) | instskip(NEXT) | instid1(VALU_DEP_1)
	v_and_or_b32 v1, 0x8000, v1, v53
	v_lshl_or_b32 v51, v1, 16, v51
.LBB264_224:                            ;   in Loop: Header=BB264_13 Depth=1
	s_or_b32 exec_lo, exec_lo, s44
.LBB264_225:                            ;   in Loop: Header=BB264_13 Depth=1
	s_wait_alu 0xfffe
	s_or_b32 exec_lo, exec_lo, s43
.LBB264_226:                            ;   in Loop: Header=BB264_13 Depth=1
	s_wait_alu 0xfffe
	s_or_b32 exec_lo, exec_lo, s42
	v_lshrrev_b32_e32 v1, 16, v9
	v_mov_b32_e32 v53, 0
	s_mov_b32 s42, exec_lo
	s_delay_alu instid0(VALU_DEP_2) | instskip(NEXT) | instid1(VALU_DEP_1)
	v_dual_mov_b32 v54, 0 :: v_dual_and_b32 v55, 0xff, v1
	v_cmpx_ne_u16_e32 0, v55
	s_cbranch_execz .LBB264_234
; %bb.227:                              ;   in Loop: Header=BB264_13 Depth=1
	v_mov_b32_e32 v54, 0x8000
	s_mov_b32 s43, exec_lo
	v_cmpx_ne_u16_e32 0x80, v55
	s_cbranch_execz .LBB264_233
; %bb.228:                              ;   in Loop: Header=BB264_13 Depth=1
	v_bfe_u32 v56, v9, 16, 7
	v_mov_b32_e32 v54, 0x7c01
	s_mov_b32 s44, exec_lo
	s_delay_alu instid0(VALU_DEP_2)
	v_cmpx_ne_u32_e32 0x7f, v56
	s_cbranch_execz .LBB264_232
; %bb.229:                              ;   in Loop: Header=BB264_13 Depth=1
	v_and_b32_e32 v54, 7, v1
	v_lshrrev_b32_e32 v55, 3, v56
	s_mov_b32 s45, exec_lo
	v_cmpx_gt_u32_e32 8, v56
; %bb.230:                              ;   in Loop: Header=BB264_13 Depth=1
	s_delay_alu instid0(VALU_DEP_3) | instskip(NEXT) | instid1(VALU_DEP_1)
	v_clz_i32_u32_e32 v54, v54
	v_min_u32_e32 v56, 32, v54
	s_delay_alu instid0(VALU_DEP_1) | instskip(NEXT) | instid1(VALU_DEP_1)
	v_subrev_nc_u32_e32 v54, 28, v56
	v_lshlrev_b64_e32 v[54:55], v54, v[1:2]
	v_sub_nc_u32_e32 v55, 29, v56
	s_delay_alu instid0(VALU_DEP_2)
	v_and_b32_e32 v54, 7, v54
; %bb.231:                              ;   in Loop: Header=BB264_13 Depth=1
	s_or_b32 exec_lo, exec_lo, s45
	v_lshlrev_b32_e32 v1, 8, v1
	s_delay_alu instid0(VALU_DEP_3) | instskip(NEXT) | instid1(VALU_DEP_3)
	v_lshl_add_u32 v55, v55, 10, 0x2000
	v_lshlrev_b32_e32 v54, 7, v54
	s_delay_alu instid0(VALU_DEP_3) | instskip(NEXT) | instid1(VALU_DEP_3)
	v_and_b32_e32 v1, 0x8000, v1
	v_and_b32_e32 v55, 0xfc00, v55
	s_delay_alu instid0(VALU_DEP_1)
	v_or3_b32 v54, v1, v55, v54
.LBB264_232:                            ;   in Loop: Header=BB264_13 Depth=1
	s_or_b32 exec_lo, exec_lo, s44
.LBB264_233:                            ;   in Loop: Header=BB264_13 Depth=1
	s_wait_alu 0xfffe
	s_or_b32 exec_lo, exec_lo, s43
.LBB264_234:                            ;   in Loop: Header=BB264_13 Depth=1
	s_wait_alu 0xfffe
	s_or_b32 exec_lo, exec_lo, s42
	s_delay_alu instid0(SALU_CYCLE_1)
	s_mov_b32 s42, exec_lo
	v_cmpx_lt_u32_e32 0xffffff, v9
	s_cbranch_execz .LBB264_242
; %bb.235:                              ;   in Loop: Header=BB264_13 Depth=1
	v_lshrrev_b32_e32 v1, 24, v9
	v_bfrev_b32_e32 v53, 1
	s_mov_b32 s43, exec_lo
	s_delay_alu instid0(VALU_DEP_2)
	v_cmpx_ne_u32_e32 0x80, v1
	s_cbranch_execz .LBB264_241
; %bb.236:                              ;   in Loop: Header=BB264_13 Depth=1
	v_and_b32_e32 v55, 0x7f, v1
	v_mov_b32_e32 v53, 0x7c010000
	s_mov_b32 s44, exec_lo
	s_delay_alu instid0(VALU_DEP_2)
	v_cmpx_ne_u32_e32 0x7f, v55
	s_cbranch_execz .LBB264_240
; %bb.237:                              ;   in Loop: Header=BB264_13 Depth=1
	v_and_b32_e32 v9, 7, v1
	v_lshrrev_b32_e32 v53, 3, v55
	s_mov_b32 s45, exec_lo
	v_cmpx_gt_u32_e32 8, v55
; %bb.238:                              ;   in Loop: Header=BB264_13 Depth=1
	s_delay_alu instid0(VALU_DEP_3) | instskip(NEXT) | instid1(VALU_DEP_1)
	v_clz_i32_u32_e32 v9, v9
	v_min_u32_e32 v9, 32, v9
	s_delay_alu instid0(VALU_DEP_1) | instskip(NEXT) | instid1(VALU_DEP_1)
	v_subrev_nc_u32_e32 v53, 28, v9
	v_lshlrev_b64_e32 v[55:56], v53, v[1:2]
	v_sub_nc_u32_e32 v53, 29, v9
	s_delay_alu instid0(VALU_DEP_2)
	v_and_b32_e32 v9, 7, v55
; %bb.239:                              ;   in Loop: Header=BB264_13 Depth=1
	s_or_b32 exec_lo, exec_lo, s45
	v_lshlrev_b32_e32 v1, 8, v1
	s_delay_alu instid0(VALU_DEP_3) | instskip(NEXT) | instid1(VALU_DEP_3)
	v_lshl_add_u32 v53, v53, 10, 0x2000
	v_lshlrev_b32_e32 v9, 23, v9
	s_delay_alu instid0(VALU_DEP_2) | instskip(NEXT) | instid1(VALU_DEP_1)
	v_and_or_b32 v1, 0x8000, v1, v53
	v_lshl_or_b32 v53, v1, 16, v9
.LBB264_240:                            ;   in Loop: Header=BB264_13 Depth=1
	s_or_b32 exec_lo, exec_lo, s44
.LBB264_241:                            ;   in Loop: Header=BB264_13 Depth=1
	s_wait_alu 0xfffe
	s_or_b32 exec_lo, exec_lo, s43
.LBB264_242:                            ;   in Loop: Header=BB264_13 Depth=1
	s_wait_alu 0xfffe
	s_or_b32 exec_lo, exec_lo, s42
	global_load_b32 v9, v[7:8], off offset:776
	v_mov_b32_e32 v55, 0
	s_mov_b32 s42, exec_lo
	s_wait_loadcnt 0x0
	v_dual_mov_b32 v56, 0 :: v_dual_and_b32 v1, 0xff, v9
	s_delay_alu instid0(VALU_DEP_1)
	v_cmpx_ne_u16_e32 0, v1
	s_cbranch_execz .LBB264_250
; %bb.243:                              ;   in Loop: Header=BB264_13 Depth=1
	v_mov_b32_e32 v56, 0x8000
	s_mov_b32 s43, exec_lo
	v_cmpx_ne_u16_e32 0x80, v1
	s_cbranch_execz .LBB264_249
; %bb.244:                              ;   in Loop: Header=BB264_13 Depth=1
	v_and_b32_e32 v57, 0x7f, v9
	v_mov_b32_e32 v56, 0x7c01
	s_mov_b32 s44, exec_lo
	s_delay_alu instid0(VALU_DEP_2)
	v_cmpx_ne_u32_e32 0x7f, v57
	s_cbranch_execz .LBB264_248
; %bb.245:                              ;   in Loop: Header=BB264_13 Depth=1
	v_and_b32_e32 v1, 7, v9
	v_lshrrev_b32_e32 v56, 3, v57
	s_mov_b32 s45, exec_lo
	v_cmpx_gt_u32_e32 8, v57
; %bb.246:                              ;   in Loop: Header=BB264_13 Depth=1
	s_delay_alu instid0(VALU_DEP_3) | instskip(NEXT) | instid1(VALU_DEP_1)
	v_clz_i32_u32_e32 v1, v1
	v_min_u32_e32 v1, 32, v1
	s_delay_alu instid0(VALU_DEP_1) | instskip(NEXT) | instid1(VALU_DEP_1)
	v_subrev_nc_u32_e32 v56, 28, v1
	v_lshlrev_b64_e32 v[57:58], v56, v[9:10]
	v_sub_nc_u32_e32 v56, 29, v1
	s_delay_alu instid0(VALU_DEP_2)
	v_and_b32_e32 v1, 7, v57
; %bb.247:                              ;   in Loop: Header=BB264_13 Depth=1
	s_or_b32 exec_lo, exec_lo, s45
	v_lshlrev_b32_e32 v57, 8, v9
	s_delay_alu instid0(VALU_DEP_3) | instskip(NEXT) | instid1(VALU_DEP_3)
	v_lshl_add_u32 v56, v56, 10, 0x2000
	v_lshlrev_b32_e32 v1, 7, v1
	s_delay_alu instid0(VALU_DEP_3) | instskip(NEXT) | instid1(VALU_DEP_3)
	v_and_b32_e32 v57, 0x8000, v57
	v_and_b32_e32 v56, 0xfc00, v56
	s_delay_alu instid0(VALU_DEP_1)
	v_or3_b32 v56, v57, v56, v1
.LBB264_248:                            ;   in Loop: Header=BB264_13 Depth=1
	s_or_b32 exec_lo, exec_lo, s44
.LBB264_249:                            ;   in Loop: Header=BB264_13 Depth=1
	s_wait_alu 0xfffe
	s_or_b32 exec_lo, exec_lo, s43
.LBB264_250:                            ;   in Loop: Header=BB264_13 Depth=1
	s_wait_alu 0xfffe
	s_or_b32 exec_lo, exec_lo, s42
	v_lshrrev_b16 v1, 8, v9
	s_mov_b32 s42, exec_lo
	s_delay_alu instid0(VALU_DEP_1)
	v_cmpx_ne_u16_e32 0, v1
	s_cbranch_execz .LBB264_258
; %bb.251:                              ;   in Loop: Header=BB264_13 Depth=1
	v_bfrev_b32_e32 v55, 1
	s_mov_b32 s43, exec_lo
	v_cmpx_ne_u16_e32 0x80, v1
	s_cbranch_execz .LBB264_257
; %bb.252:                              ;   in Loop: Header=BB264_13 Depth=1
	v_and_b32_e32 v57, 0xffff, v1
	v_mov_b32_e32 v55, 0x7c010000
	s_mov_b32 s44, exec_lo
	s_delay_alu instid0(VALU_DEP_2) | instskip(NEXT) | instid1(VALU_DEP_1)
	v_and_b32_e32 v59, 0x7f, v57
	v_cmpx_ne_u32_e32 0x7f, v59
	s_cbranch_execz .LBB264_256
; %bb.253:                              ;   in Loop: Header=BB264_13 Depth=1
	v_and_b32_e32 v55, 7, v57
	v_lshrrev_b32_e32 v58, 3, v59
	s_mov_b32 s45, exec_lo
	v_cmpx_gt_u32_e32 8, v59
; %bb.254:                              ;   in Loop: Header=BB264_13 Depth=1
	s_delay_alu instid0(VALU_DEP_3) | instskip(NEXT) | instid1(VALU_DEP_1)
	v_clz_i32_u32_e32 v55, v55
	v_min_u32_e32 v55, 32, v55
	s_delay_alu instid0(VALU_DEP_1) | instskip(NEXT) | instid1(VALU_DEP_1)
	v_subrev_nc_u32_e32 v58, 28, v55
	v_lshlrev_b64_e32 v[59:60], v58, v[1:2]
	v_sub_nc_u32_e32 v58, 29, v55
	s_delay_alu instid0(VALU_DEP_2)
	v_and_b32_e32 v55, 7, v59
; %bb.255:                              ;   in Loop: Header=BB264_13 Depth=1
	s_or_b32 exec_lo, exec_lo, s45
	v_lshlrev_b32_e32 v1, 8, v57
	s_delay_alu instid0(VALU_DEP_3) | instskip(NEXT) | instid1(VALU_DEP_3)
	v_lshl_add_u32 v57, v58, 10, 0x2000
	v_lshlrev_b32_e32 v55, 23, v55
	s_delay_alu instid0(VALU_DEP_2) | instskip(NEXT) | instid1(VALU_DEP_1)
	v_and_or_b32 v1, 0x8000, v1, v57
	v_lshl_or_b32 v55, v1, 16, v55
.LBB264_256:                            ;   in Loop: Header=BB264_13 Depth=1
	s_or_b32 exec_lo, exec_lo, s44
.LBB264_257:                            ;   in Loop: Header=BB264_13 Depth=1
	s_wait_alu 0xfffe
	s_or_b32 exec_lo, exec_lo, s43
.LBB264_258:                            ;   in Loop: Header=BB264_13 Depth=1
	s_wait_alu 0xfffe
	s_or_b32 exec_lo, exec_lo, s42
	v_lshrrev_b32_e32 v1, 16, v9
	v_mov_b32_e32 v57, 0
	s_mov_b32 s42, exec_lo
	s_delay_alu instid0(VALU_DEP_2) | instskip(NEXT) | instid1(VALU_DEP_1)
	v_dual_mov_b32 v58, 0 :: v_dual_and_b32 v59, 0xff, v1
	v_cmpx_ne_u16_e32 0, v59
	s_cbranch_execz .LBB264_266
; %bb.259:                              ;   in Loop: Header=BB264_13 Depth=1
	v_mov_b32_e32 v58, 0x8000
	s_mov_b32 s43, exec_lo
	v_cmpx_ne_u16_e32 0x80, v59
	s_cbranch_execz .LBB264_265
; %bb.260:                              ;   in Loop: Header=BB264_13 Depth=1
	v_bfe_u32 v60, v9, 16, 7
	v_mov_b32_e32 v58, 0x7c01
	s_mov_b32 s44, exec_lo
	s_delay_alu instid0(VALU_DEP_2)
	v_cmpx_ne_u32_e32 0x7f, v60
	s_cbranch_execz .LBB264_264
; %bb.261:                              ;   in Loop: Header=BB264_13 Depth=1
	v_and_b32_e32 v58, 7, v1
	v_lshrrev_b32_e32 v59, 3, v60
	s_mov_b32 s45, exec_lo
	v_cmpx_gt_u32_e32 8, v60
; %bb.262:                              ;   in Loop: Header=BB264_13 Depth=1
	s_delay_alu instid0(VALU_DEP_3) | instskip(NEXT) | instid1(VALU_DEP_1)
	v_clz_i32_u32_e32 v58, v58
	v_min_u32_e32 v60, 32, v58
	s_delay_alu instid0(VALU_DEP_1) | instskip(NEXT) | instid1(VALU_DEP_1)
	v_subrev_nc_u32_e32 v58, 28, v60
	v_lshlrev_b64_e32 v[58:59], v58, v[1:2]
	v_sub_nc_u32_e32 v59, 29, v60
	s_delay_alu instid0(VALU_DEP_2)
	v_and_b32_e32 v58, 7, v58
; %bb.263:                              ;   in Loop: Header=BB264_13 Depth=1
	s_or_b32 exec_lo, exec_lo, s45
	v_lshlrev_b32_e32 v1, 8, v1
	s_delay_alu instid0(VALU_DEP_3) | instskip(NEXT) | instid1(VALU_DEP_3)
	v_lshl_add_u32 v59, v59, 10, 0x2000
	v_lshlrev_b32_e32 v58, 7, v58
	s_delay_alu instid0(VALU_DEP_3) | instskip(NEXT) | instid1(VALU_DEP_3)
	v_and_b32_e32 v1, 0x8000, v1
	v_and_b32_e32 v59, 0xfc00, v59
	s_delay_alu instid0(VALU_DEP_1)
	v_or3_b32 v58, v1, v59, v58
.LBB264_264:                            ;   in Loop: Header=BB264_13 Depth=1
	s_or_b32 exec_lo, exec_lo, s44
.LBB264_265:                            ;   in Loop: Header=BB264_13 Depth=1
	s_wait_alu 0xfffe
	s_or_b32 exec_lo, exec_lo, s43
.LBB264_266:                            ;   in Loop: Header=BB264_13 Depth=1
	s_wait_alu 0xfffe
	s_or_b32 exec_lo, exec_lo, s42
	s_delay_alu instid0(SALU_CYCLE_1)
	s_mov_b32 s42, exec_lo
	v_cmpx_lt_u32_e32 0xffffff, v9
	s_cbranch_execz .LBB264_274
; %bb.267:                              ;   in Loop: Header=BB264_13 Depth=1
	v_lshrrev_b32_e32 v1, 24, v9
	v_bfrev_b32_e32 v57, 1
	s_mov_b32 s43, exec_lo
	s_delay_alu instid0(VALU_DEP_2)
	v_cmpx_ne_u32_e32 0x80, v1
	s_cbranch_execz .LBB264_273
; %bb.268:                              ;   in Loop: Header=BB264_13 Depth=1
	v_and_b32_e32 v59, 0x7f, v1
	v_mov_b32_e32 v57, 0x7c010000
	s_mov_b32 s44, exec_lo
	s_delay_alu instid0(VALU_DEP_2)
	v_cmpx_ne_u32_e32 0x7f, v59
	s_cbranch_execz .LBB264_272
; %bb.269:                              ;   in Loop: Header=BB264_13 Depth=1
	v_and_b32_e32 v9, 7, v1
	v_lshrrev_b32_e32 v57, 3, v59
	s_mov_b32 s45, exec_lo
	v_cmpx_gt_u32_e32 8, v59
; %bb.270:                              ;   in Loop: Header=BB264_13 Depth=1
	s_delay_alu instid0(VALU_DEP_3) | instskip(NEXT) | instid1(VALU_DEP_1)
	v_clz_i32_u32_e32 v9, v9
	v_min_u32_e32 v9, 32, v9
	s_delay_alu instid0(VALU_DEP_1) | instskip(NEXT) | instid1(VALU_DEP_1)
	v_subrev_nc_u32_e32 v57, 28, v9
	v_lshlrev_b64_e32 v[59:60], v57, v[1:2]
	v_sub_nc_u32_e32 v57, 29, v9
	s_delay_alu instid0(VALU_DEP_2)
	v_and_b32_e32 v9, 7, v59
; %bb.271:                              ;   in Loop: Header=BB264_13 Depth=1
	s_or_b32 exec_lo, exec_lo, s45
	v_lshlrev_b32_e32 v1, 8, v1
	s_delay_alu instid0(VALU_DEP_3) | instskip(NEXT) | instid1(VALU_DEP_3)
	v_lshl_add_u32 v57, v57, 10, 0x2000
	v_lshlrev_b32_e32 v9, 23, v9
	s_delay_alu instid0(VALU_DEP_2) | instskip(NEXT) | instid1(VALU_DEP_1)
	v_and_or_b32 v1, 0x8000, v1, v57
	v_lshl_or_b32 v57, v1, 16, v9
.LBB264_272:                            ;   in Loop: Header=BB264_13 Depth=1
	s_or_b32 exec_lo, exec_lo, s44
.LBB264_273:                            ;   in Loop: Header=BB264_13 Depth=1
	s_wait_alu 0xfffe
	s_or_b32 exec_lo, exec_lo, s43
.LBB264_274:                            ;   in Loop: Header=BB264_13 Depth=1
	s_wait_alu 0xfffe
	s_or_b32 exec_lo, exec_lo, s42
	global_load_b32 v9, v[7:8], off offset:1024
	v_mov_b32_e32 v59, 0
	s_mov_b32 s42, exec_lo
	s_wait_loadcnt 0x0
	v_dual_mov_b32 v60, 0 :: v_dual_and_b32 v1, 0xff, v9
	s_delay_alu instid0(VALU_DEP_1)
	v_cmpx_ne_u16_e32 0, v1
	s_cbranch_execz .LBB264_282
; %bb.275:                              ;   in Loop: Header=BB264_13 Depth=1
	v_mov_b32_e32 v60, 0x8000
	s_mov_b32 s43, exec_lo
	v_cmpx_ne_u16_e32 0x80, v1
	s_cbranch_execz .LBB264_281
; %bb.276:                              ;   in Loop: Header=BB264_13 Depth=1
	v_and_b32_e32 v61, 0x7f, v9
	v_mov_b32_e32 v60, 0x7c01
	s_mov_b32 s44, exec_lo
	s_delay_alu instid0(VALU_DEP_2)
	v_cmpx_ne_u32_e32 0x7f, v61
	s_cbranch_execz .LBB264_280
; %bb.277:                              ;   in Loop: Header=BB264_13 Depth=1
	v_and_b32_e32 v1, 7, v9
	v_lshrrev_b32_e32 v60, 3, v61
	s_mov_b32 s45, exec_lo
	v_cmpx_gt_u32_e32 8, v61
; %bb.278:                              ;   in Loop: Header=BB264_13 Depth=1
	s_delay_alu instid0(VALU_DEP_3) | instskip(NEXT) | instid1(VALU_DEP_1)
	v_clz_i32_u32_e32 v1, v1
	v_min_u32_e32 v1, 32, v1
	s_delay_alu instid0(VALU_DEP_1) | instskip(NEXT) | instid1(VALU_DEP_1)
	v_subrev_nc_u32_e32 v60, 28, v1
	v_lshlrev_b64_e32 v[61:62], v60, v[9:10]
	v_sub_nc_u32_e32 v60, 29, v1
	s_delay_alu instid0(VALU_DEP_2)
	v_and_b32_e32 v1, 7, v61
; %bb.279:                              ;   in Loop: Header=BB264_13 Depth=1
	s_or_b32 exec_lo, exec_lo, s45
	v_lshlrev_b32_e32 v61, 8, v9
	s_delay_alu instid0(VALU_DEP_3) | instskip(NEXT) | instid1(VALU_DEP_3)
	v_lshl_add_u32 v60, v60, 10, 0x2000
	v_lshlrev_b32_e32 v1, 7, v1
	s_delay_alu instid0(VALU_DEP_3) | instskip(NEXT) | instid1(VALU_DEP_3)
	v_and_b32_e32 v61, 0x8000, v61
	v_and_b32_e32 v60, 0xfc00, v60
	s_delay_alu instid0(VALU_DEP_1)
	v_or3_b32 v60, v61, v60, v1
.LBB264_280:                            ;   in Loop: Header=BB264_13 Depth=1
	s_or_b32 exec_lo, exec_lo, s44
.LBB264_281:                            ;   in Loop: Header=BB264_13 Depth=1
	s_wait_alu 0xfffe
	s_or_b32 exec_lo, exec_lo, s43
.LBB264_282:                            ;   in Loop: Header=BB264_13 Depth=1
	s_wait_alu 0xfffe
	s_or_b32 exec_lo, exec_lo, s42
	v_lshrrev_b16 v1, 8, v9
	s_mov_b32 s42, exec_lo
	s_delay_alu instid0(VALU_DEP_1)
	v_cmpx_ne_u16_e32 0, v1
	s_cbranch_execz .LBB264_290
; %bb.283:                              ;   in Loop: Header=BB264_13 Depth=1
	v_bfrev_b32_e32 v59, 1
	s_mov_b32 s43, exec_lo
	v_cmpx_ne_u16_e32 0x80, v1
	s_cbranch_execz .LBB264_289
; %bb.284:                              ;   in Loop: Header=BB264_13 Depth=1
	v_and_b32_e32 v61, 0xffff, v1
	v_mov_b32_e32 v59, 0x7c010000
	s_mov_b32 s44, exec_lo
	s_delay_alu instid0(VALU_DEP_2) | instskip(NEXT) | instid1(VALU_DEP_1)
	v_and_b32_e32 v63, 0x7f, v61
	v_cmpx_ne_u32_e32 0x7f, v63
	s_cbranch_execz .LBB264_288
; %bb.285:                              ;   in Loop: Header=BB264_13 Depth=1
	v_and_b32_e32 v59, 7, v61
	v_lshrrev_b32_e32 v62, 3, v63
	s_mov_b32 s45, exec_lo
	v_cmpx_gt_u32_e32 8, v63
; %bb.286:                              ;   in Loop: Header=BB264_13 Depth=1
	s_delay_alu instid0(VALU_DEP_3) | instskip(NEXT) | instid1(VALU_DEP_1)
	v_clz_i32_u32_e32 v59, v59
	v_min_u32_e32 v59, 32, v59
	s_delay_alu instid0(VALU_DEP_1) | instskip(NEXT) | instid1(VALU_DEP_1)
	v_subrev_nc_u32_e32 v62, 28, v59
	v_lshlrev_b64_e32 v[63:64], v62, v[1:2]
	v_sub_nc_u32_e32 v62, 29, v59
	s_delay_alu instid0(VALU_DEP_2)
	v_and_b32_e32 v59, 7, v63
; %bb.287:                              ;   in Loop: Header=BB264_13 Depth=1
	s_or_b32 exec_lo, exec_lo, s45
	v_lshlrev_b32_e32 v1, 8, v61
	s_delay_alu instid0(VALU_DEP_3) | instskip(NEXT) | instid1(VALU_DEP_3)
	v_lshl_add_u32 v61, v62, 10, 0x2000
	v_lshlrev_b32_e32 v59, 23, v59
	s_delay_alu instid0(VALU_DEP_2) | instskip(NEXT) | instid1(VALU_DEP_1)
	v_and_or_b32 v1, 0x8000, v1, v61
	v_lshl_or_b32 v59, v1, 16, v59
.LBB264_288:                            ;   in Loop: Header=BB264_13 Depth=1
	s_or_b32 exec_lo, exec_lo, s44
.LBB264_289:                            ;   in Loop: Header=BB264_13 Depth=1
	s_wait_alu 0xfffe
	s_or_b32 exec_lo, exec_lo, s43
.LBB264_290:                            ;   in Loop: Header=BB264_13 Depth=1
	s_wait_alu 0xfffe
	s_or_b32 exec_lo, exec_lo, s42
	v_lshrrev_b32_e32 v1, 16, v9
	v_mov_b32_e32 v61, 0
	s_mov_b32 s42, exec_lo
	s_delay_alu instid0(VALU_DEP_2) | instskip(NEXT) | instid1(VALU_DEP_1)
	v_dual_mov_b32 v62, 0 :: v_dual_and_b32 v63, 0xff, v1
	v_cmpx_ne_u16_e32 0, v63
	s_cbranch_execz .LBB264_298
; %bb.291:                              ;   in Loop: Header=BB264_13 Depth=1
	v_mov_b32_e32 v62, 0x8000
	s_mov_b32 s43, exec_lo
	v_cmpx_ne_u16_e32 0x80, v63
	s_cbranch_execz .LBB264_297
; %bb.292:                              ;   in Loop: Header=BB264_13 Depth=1
	v_bfe_u32 v64, v9, 16, 7
	v_mov_b32_e32 v62, 0x7c01
	s_mov_b32 s44, exec_lo
	s_delay_alu instid0(VALU_DEP_2)
	v_cmpx_ne_u32_e32 0x7f, v64
	s_cbranch_execz .LBB264_296
; %bb.293:                              ;   in Loop: Header=BB264_13 Depth=1
	v_and_b32_e32 v62, 7, v1
	v_lshrrev_b32_e32 v63, 3, v64
	s_mov_b32 s45, exec_lo
	v_cmpx_gt_u32_e32 8, v64
; %bb.294:                              ;   in Loop: Header=BB264_13 Depth=1
	s_delay_alu instid0(VALU_DEP_3) | instskip(NEXT) | instid1(VALU_DEP_1)
	v_clz_i32_u32_e32 v62, v62
	v_min_u32_e32 v64, 32, v62
	s_delay_alu instid0(VALU_DEP_1) | instskip(NEXT) | instid1(VALU_DEP_1)
	v_subrev_nc_u32_e32 v62, 28, v64
	v_lshlrev_b64_e32 v[62:63], v62, v[1:2]
	v_sub_nc_u32_e32 v63, 29, v64
	s_delay_alu instid0(VALU_DEP_2)
	v_and_b32_e32 v62, 7, v62
; %bb.295:                              ;   in Loop: Header=BB264_13 Depth=1
	s_or_b32 exec_lo, exec_lo, s45
	v_lshlrev_b32_e32 v1, 8, v1
	s_delay_alu instid0(VALU_DEP_3) | instskip(NEXT) | instid1(VALU_DEP_3)
	v_lshl_add_u32 v63, v63, 10, 0x2000
	v_lshlrev_b32_e32 v62, 7, v62
	s_delay_alu instid0(VALU_DEP_3) | instskip(NEXT) | instid1(VALU_DEP_3)
	v_and_b32_e32 v1, 0x8000, v1
	v_and_b32_e32 v63, 0xfc00, v63
	s_delay_alu instid0(VALU_DEP_1)
	v_or3_b32 v62, v1, v63, v62
.LBB264_296:                            ;   in Loop: Header=BB264_13 Depth=1
	s_or_b32 exec_lo, exec_lo, s44
.LBB264_297:                            ;   in Loop: Header=BB264_13 Depth=1
	s_wait_alu 0xfffe
	s_or_b32 exec_lo, exec_lo, s43
.LBB264_298:                            ;   in Loop: Header=BB264_13 Depth=1
	s_wait_alu 0xfffe
	s_or_b32 exec_lo, exec_lo, s42
	s_delay_alu instid0(SALU_CYCLE_1)
	s_mov_b32 s42, exec_lo
	v_cmpx_lt_u32_e32 0xffffff, v9
	s_cbranch_execz .LBB264_306
; %bb.299:                              ;   in Loop: Header=BB264_13 Depth=1
	v_lshrrev_b32_e32 v1, 24, v9
	v_bfrev_b32_e32 v61, 1
	s_mov_b32 s43, exec_lo
	s_delay_alu instid0(VALU_DEP_2)
	v_cmpx_ne_u32_e32 0x80, v1
	s_cbranch_execz .LBB264_305
; %bb.300:                              ;   in Loop: Header=BB264_13 Depth=1
	v_and_b32_e32 v63, 0x7f, v1
	v_mov_b32_e32 v61, 0x7c010000
	s_mov_b32 s44, exec_lo
	s_delay_alu instid0(VALU_DEP_2)
	v_cmpx_ne_u32_e32 0x7f, v63
	s_cbranch_execz .LBB264_304
; %bb.301:                              ;   in Loop: Header=BB264_13 Depth=1
	v_and_b32_e32 v9, 7, v1
	v_lshrrev_b32_e32 v61, 3, v63
	s_mov_b32 s45, exec_lo
	v_cmpx_gt_u32_e32 8, v63
; %bb.302:                              ;   in Loop: Header=BB264_13 Depth=1
	s_delay_alu instid0(VALU_DEP_3) | instskip(NEXT) | instid1(VALU_DEP_1)
	v_clz_i32_u32_e32 v9, v9
	v_min_u32_e32 v9, 32, v9
	s_delay_alu instid0(VALU_DEP_1) | instskip(NEXT) | instid1(VALU_DEP_1)
	v_subrev_nc_u32_e32 v61, 28, v9
	v_lshlrev_b64_e32 v[63:64], v61, v[1:2]
	v_sub_nc_u32_e32 v61, 29, v9
	s_delay_alu instid0(VALU_DEP_2)
	v_and_b32_e32 v9, 7, v63
; %bb.303:                              ;   in Loop: Header=BB264_13 Depth=1
	s_or_b32 exec_lo, exec_lo, s45
	v_lshlrev_b32_e32 v1, 8, v1
	s_delay_alu instid0(VALU_DEP_3) | instskip(NEXT) | instid1(VALU_DEP_3)
	v_lshl_add_u32 v61, v61, 10, 0x2000
	v_lshlrev_b32_e32 v9, 23, v9
	s_delay_alu instid0(VALU_DEP_2) | instskip(NEXT) | instid1(VALU_DEP_1)
	v_and_or_b32 v1, 0x8000, v1, v61
	v_lshl_or_b32 v61, v1, 16, v9
.LBB264_304:                            ;   in Loop: Header=BB264_13 Depth=1
	s_or_b32 exec_lo, exec_lo, s44
.LBB264_305:                            ;   in Loop: Header=BB264_13 Depth=1
	s_wait_alu 0xfffe
	s_or_b32 exec_lo, exec_lo, s43
.LBB264_306:                            ;   in Loop: Header=BB264_13 Depth=1
	s_wait_alu 0xfffe
	s_or_b32 exec_lo, exec_lo, s42
	global_load_b32 v9, v[7:8], off offset:1032
	v_mov_b32_e32 v63, 0
	s_mov_b32 s42, exec_lo
	s_wait_loadcnt 0x0
	v_dual_mov_b32 v64, 0 :: v_dual_and_b32 v1, 0xff, v9
	s_delay_alu instid0(VALU_DEP_1)
	v_cmpx_ne_u16_e32 0, v1
	s_cbranch_execz .LBB264_314
; %bb.307:                              ;   in Loop: Header=BB264_13 Depth=1
	v_mov_b32_e32 v64, 0x8000
	s_mov_b32 s43, exec_lo
	v_cmpx_ne_u16_e32 0x80, v1
	s_cbranch_execz .LBB264_313
; %bb.308:                              ;   in Loop: Header=BB264_13 Depth=1
	v_and_b32_e32 v65, 0x7f, v9
	v_mov_b32_e32 v64, 0x7c01
	s_mov_b32 s44, exec_lo
	s_delay_alu instid0(VALU_DEP_2)
	v_cmpx_ne_u32_e32 0x7f, v65
	s_cbranch_execz .LBB264_312
; %bb.309:                              ;   in Loop: Header=BB264_13 Depth=1
	v_and_b32_e32 v1, 7, v9
	v_lshrrev_b32_e32 v64, 3, v65
	s_mov_b32 s45, exec_lo
	v_cmpx_gt_u32_e32 8, v65
; %bb.310:                              ;   in Loop: Header=BB264_13 Depth=1
	s_delay_alu instid0(VALU_DEP_3) | instskip(NEXT) | instid1(VALU_DEP_1)
	v_clz_i32_u32_e32 v1, v1
	v_min_u32_e32 v1, 32, v1
	s_delay_alu instid0(VALU_DEP_1) | instskip(NEXT) | instid1(VALU_DEP_1)
	v_subrev_nc_u32_e32 v64, 28, v1
	v_lshlrev_b64_e32 v[65:66], v64, v[9:10]
	v_sub_nc_u32_e32 v64, 29, v1
	s_delay_alu instid0(VALU_DEP_2)
	v_and_b32_e32 v1, 7, v65
; %bb.311:                              ;   in Loop: Header=BB264_13 Depth=1
	s_or_b32 exec_lo, exec_lo, s45
	v_lshlrev_b32_e32 v65, 8, v9
	s_delay_alu instid0(VALU_DEP_3) | instskip(NEXT) | instid1(VALU_DEP_3)
	v_lshl_add_u32 v64, v64, 10, 0x2000
	v_lshlrev_b32_e32 v1, 7, v1
	s_delay_alu instid0(VALU_DEP_3) | instskip(NEXT) | instid1(VALU_DEP_3)
	v_and_b32_e32 v65, 0x8000, v65
	v_and_b32_e32 v64, 0xfc00, v64
	s_delay_alu instid0(VALU_DEP_1)
	v_or3_b32 v64, v65, v64, v1
.LBB264_312:                            ;   in Loop: Header=BB264_13 Depth=1
	s_or_b32 exec_lo, exec_lo, s44
.LBB264_313:                            ;   in Loop: Header=BB264_13 Depth=1
	s_wait_alu 0xfffe
	s_or_b32 exec_lo, exec_lo, s43
.LBB264_314:                            ;   in Loop: Header=BB264_13 Depth=1
	s_wait_alu 0xfffe
	s_or_b32 exec_lo, exec_lo, s42
	v_lshrrev_b16 v1, 8, v9
	s_mov_b32 s42, exec_lo
	s_delay_alu instid0(VALU_DEP_1)
	v_cmpx_ne_u16_e32 0, v1
	s_cbranch_execz .LBB264_322
; %bb.315:                              ;   in Loop: Header=BB264_13 Depth=1
	v_bfrev_b32_e32 v63, 1
	s_mov_b32 s43, exec_lo
	v_cmpx_ne_u16_e32 0x80, v1
	s_cbranch_execz .LBB264_321
; %bb.316:                              ;   in Loop: Header=BB264_13 Depth=1
	v_and_b32_e32 v65, 0xffff, v1
	v_mov_b32_e32 v63, 0x7c010000
	s_mov_b32 s44, exec_lo
	s_delay_alu instid0(VALU_DEP_2) | instskip(NEXT) | instid1(VALU_DEP_1)
	v_and_b32_e32 v67, 0x7f, v65
	v_cmpx_ne_u32_e32 0x7f, v67
	s_cbranch_execz .LBB264_320
; %bb.317:                              ;   in Loop: Header=BB264_13 Depth=1
	v_and_b32_e32 v63, 7, v65
	v_lshrrev_b32_e32 v66, 3, v67
	s_mov_b32 s45, exec_lo
	v_cmpx_gt_u32_e32 8, v67
; %bb.318:                              ;   in Loop: Header=BB264_13 Depth=1
	s_delay_alu instid0(VALU_DEP_3) | instskip(NEXT) | instid1(VALU_DEP_1)
	v_clz_i32_u32_e32 v63, v63
	v_min_u32_e32 v63, 32, v63
	s_delay_alu instid0(VALU_DEP_1) | instskip(NEXT) | instid1(VALU_DEP_1)
	v_subrev_nc_u32_e32 v66, 28, v63
	v_lshlrev_b64_e32 v[67:68], v66, v[1:2]
	v_sub_nc_u32_e32 v66, 29, v63
	s_delay_alu instid0(VALU_DEP_2)
	v_and_b32_e32 v63, 7, v67
; %bb.319:                              ;   in Loop: Header=BB264_13 Depth=1
	s_or_b32 exec_lo, exec_lo, s45
	v_lshlrev_b32_e32 v1, 8, v65
	s_delay_alu instid0(VALU_DEP_3) | instskip(NEXT) | instid1(VALU_DEP_3)
	v_lshl_add_u32 v65, v66, 10, 0x2000
	v_lshlrev_b32_e32 v63, 23, v63
	s_delay_alu instid0(VALU_DEP_2) | instskip(NEXT) | instid1(VALU_DEP_1)
	v_and_or_b32 v1, 0x8000, v1, v65
	v_lshl_or_b32 v63, v1, 16, v63
.LBB264_320:                            ;   in Loop: Header=BB264_13 Depth=1
	s_or_b32 exec_lo, exec_lo, s44
.LBB264_321:                            ;   in Loop: Header=BB264_13 Depth=1
	s_wait_alu 0xfffe
	s_or_b32 exec_lo, exec_lo, s43
.LBB264_322:                            ;   in Loop: Header=BB264_13 Depth=1
	s_wait_alu 0xfffe
	s_or_b32 exec_lo, exec_lo, s42
	v_lshrrev_b32_e32 v1, 16, v9
	v_mov_b32_e32 v65, 0
	s_mov_b32 s42, exec_lo
	s_delay_alu instid0(VALU_DEP_2) | instskip(NEXT) | instid1(VALU_DEP_1)
	v_dual_mov_b32 v66, 0 :: v_dual_and_b32 v67, 0xff, v1
	v_cmpx_ne_u16_e32 0, v67
	s_cbranch_execz .LBB264_330
; %bb.323:                              ;   in Loop: Header=BB264_13 Depth=1
	v_mov_b32_e32 v66, 0x8000
	s_mov_b32 s43, exec_lo
	v_cmpx_ne_u16_e32 0x80, v67
	s_cbranch_execz .LBB264_329
; %bb.324:                              ;   in Loop: Header=BB264_13 Depth=1
	v_bfe_u32 v68, v9, 16, 7
	v_mov_b32_e32 v66, 0x7c01
	s_mov_b32 s44, exec_lo
	s_delay_alu instid0(VALU_DEP_2)
	v_cmpx_ne_u32_e32 0x7f, v68
	s_cbranch_execz .LBB264_328
; %bb.325:                              ;   in Loop: Header=BB264_13 Depth=1
	v_and_b32_e32 v66, 7, v1
	v_lshrrev_b32_e32 v67, 3, v68
	s_mov_b32 s45, exec_lo
	v_cmpx_gt_u32_e32 8, v68
; %bb.326:                              ;   in Loop: Header=BB264_13 Depth=1
	s_delay_alu instid0(VALU_DEP_3) | instskip(NEXT) | instid1(VALU_DEP_1)
	v_clz_i32_u32_e32 v66, v66
	v_min_u32_e32 v68, 32, v66
	s_delay_alu instid0(VALU_DEP_1) | instskip(NEXT) | instid1(VALU_DEP_1)
	v_subrev_nc_u32_e32 v66, 28, v68
	v_lshlrev_b64_e32 v[66:67], v66, v[1:2]
	v_sub_nc_u32_e32 v67, 29, v68
	s_delay_alu instid0(VALU_DEP_2)
	v_and_b32_e32 v66, 7, v66
; %bb.327:                              ;   in Loop: Header=BB264_13 Depth=1
	s_or_b32 exec_lo, exec_lo, s45
	v_lshlrev_b32_e32 v1, 8, v1
	s_delay_alu instid0(VALU_DEP_3) | instskip(NEXT) | instid1(VALU_DEP_3)
	v_lshl_add_u32 v67, v67, 10, 0x2000
	v_lshlrev_b32_e32 v66, 7, v66
	s_delay_alu instid0(VALU_DEP_3) | instskip(NEXT) | instid1(VALU_DEP_3)
	v_and_b32_e32 v1, 0x8000, v1
	v_and_b32_e32 v67, 0xfc00, v67
	s_delay_alu instid0(VALU_DEP_1)
	v_or3_b32 v66, v1, v67, v66
.LBB264_328:                            ;   in Loop: Header=BB264_13 Depth=1
	s_or_b32 exec_lo, exec_lo, s44
.LBB264_329:                            ;   in Loop: Header=BB264_13 Depth=1
	s_wait_alu 0xfffe
	s_or_b32 exec_lo, exec_lo, s43
.LBB264_330:                            ;   in Loop: Header=BB264_13 Depth=1
	s_wait_alu 0xfffe
	s_or_b32 exec_lo, exec_lo, s42
	s_delay_alu instid0(SALU_CYCLE_1)
	s_mov_b32 s42, exec_lo
	v_cmpx_lt_u32_e32 0xffffff, v9
	s_cbranch_execz .LBB264_338
; %bb.331:                              ;   in Loop: Header=BB264_13 Depth=1
	v_lshrrev_b32_e32 v1, 24, v9
	v_bfrev_b32_e32 v65, 1
	s_mov_b32 s43, exec_lo
	s_delay_alu instid0(VALU_DEP_2)
	v_cmpx_ne_u32_e32 0x80, v1
	s_cbranch_execz .LBB264_337
; %bb.332:                              ;   in Loop: Header=BB264_13 Depth=1
	v_and_b32_e32 v67, 0x7f, v1
	v_mov_b32_e32 v65, 0x7c010000
	s_mov_b32 s44, exec_lo
	s_delay_alu instid0(VALU_DEP_2)
	v_cmpx_ne_u32_e32 0x7f, v67
	s_cbranch_execz .LBB264_336
; %bb.333:                              ;   in Loop: Header=BB264_13 Depth=1
	v_and_b32_e32 v9, 7, v1
	v_lshrrev_b32_e32 v65, 3, v67
	s_mov_b32 s45, exec_lo
	v_cmpx_gt_u32_e32 8, v67
; %bb.334:                              ;   in Loop: Header=BB264_13 Depth=1
	s_delay_alu instid0(VALU_DEP_3) | instskip(NEXT) | instid1(VALU_DEP_1)
	v_clz_i32_u32_e32 v9, v9
	v_min_u32_e32 v9, 32, v9
	s_delay_alu instid0(VALU_DEP_1) | instskip(NEXT) | instid1(VALU_DEP_1)
	v_subrev_nc_u32_e32 v65, 28, v9
	v_lshlrev_b64_e32 v[67:68], v65, v[1:2]
	v_sub_nc_u32_e32 v65, 29, v9
	s_delay_alu instid0(VALU_DEP_2)
	v_and_b32_e32 v9, 7, v67
; %bb.335:                              ;   in Loop: Header=BB264_13 Depth=1
	s_or_b32 exec_lo, exec_lo, s45
	v_lshlrev_b32_e32 v1, 8, v1
	s_delay_alu instid0(VALU_DEP_3) | instskip(NEXT) | instid1(VALU_DEP_3)
	v_lshl_add_u32 v65, v65, 10, 0x2000
	v_lshlrev_b32_e32 v9, 23, v9
	s_delay_alu instid0(VALU_DEP_2) | instskip(NEXT) | instid1(VALU_DEP_1)
	v_and_or_b32 v1, 0x8000, v1, v65
	v_lshl_or_b32 v65, v1, 16, v9
.LBB264_336:                            ;   in Loop: Header=BB264_13 Depth=1
	s_or_b32 exec_lo, exec_lo, s44
.LBB264_337:                            ;   in Loop: Header=BB264_13 Depth=1
	s_wait_alu 0xfffe
	s_or_b32 exec_lo, exec_lo, s43
.LBB264_338:                            ;   in Loop: Header=BB264_13 Depth=1
	s_wait_alu 0xfffe
	s_or_b32 exec_lo, exec_lo, s42
	global_load_b32 v9, v[7:8], off offset:1280
	v_mov_b32_e32 v67, 0
	s_mov_b32 s42, exec_lo
	s_wait_loadcnt 0x0
	v_dual_mov_b32 v68, 0 :: v_dual_and_b32 v1, 0xff, v9
	s_delay_alu instid0(VALU_DEP_1)
	v_cmpx_ne_u16_e32 0, v1
	s_cbranch_execz .LBB264_346
; %bb.339:                              ;   in Loop: Header=BB264_13 Depth=1
	v_mov_b32_e32 v68, 0x8000
	s_mov_b32 s43, exec_lo
	v_cmpx_ne_u16_e32 0x80, v1
	s_cbranch_execz .LBB264_345
; %bb.340:                              ;   in Loop: Header=BB264_13 Depth=1
	v_and_b32_e32 v69, 0x7f, v9
	v_mov_b32_e32 v68, 0x7c01
	s_mov_b32 s44, exec_lo
	s_delay_alu instid0(VALU_DEP_2)
	v_cmpx_ne_u32_e32 0x7f, v69
	s_cbranch_execz .LBB264_344
; %bb.341:                              ;   in Loop: Header=BB264_13 Depth=1
	v_and_b32_e32 v1, 7, v9
	v_lshrrev_b32_e32 v68, 3, v69
	s_mov_b32 s45, exec_lo
	v_cmpx_gt_u32_e32 8, v69
; %bb.342:                              ;   in Loop: Header=BB264_13 Depth=1
	s_delay_alu instid0(VALU_DEP_3) | instskip(NEXT) | instid1(VALU_DEP_1)
	v_clz_i32_u32_e32 v1, v1
	v_min_u32_e32 v1, 32, v1
	s_delay_alu instid0(VALU_DEP_1) | instskip(NEXT) | instid1(VALU_DEP_1)
	v_subrev_nc_u32_e32 v68, 28, v1
	v_lshlrev_b64_e32 v[69:70], v68, v[9:10]
	v_sub_nc_u32_e32 v68, 29, v1
	s_delay_alu instid0(VALU_DEP_2)
	v_and_b32_e32 v1, 7, v69
; %bb.343:                              ;   in Loop: Header=BB264_13 Depth=1
	s_or_b32 exec_lo, exec_lo, s45
	v_lshlrev_b32_e32 v69, 8, v9
	s_delay_alu instid0(VALU_DEP_3) | instskip(NEXT) | instid1(VALU_DEP_3)
	v_lshl_add_u32 v68, v68, 10, 0x2000
	v_lshlrev_b32_e32 v1, 7, v1
	s_delay_alu instid0(VALU_DEP_3) | instskip(NEXT) | instid1(VALU_DEP_3)
	v_and_b32_e32 v69, 0x8000, v69
	v_and_b32_e32 v68, 0xfc00, v68
	s_delay_alu instid0(VALU_DEP_1)
	v_or3_b32 v68, v69, v68, v1
.LBB264_344:                            ;   in Loop: Header=BB264_13 Depth=1
	s_or_b32 exec_lo, exec_lo, s44
.LBB264_345:                            ;   in Loop: Header=BB264_13 Depth=1
	s_wait_alu 0xfffe
	s_or_b32 exec_lo, exec_lo, s43
.LBB264_346:                            ;   in Loop: Header=BB264_13 Depth=1
	s_wait_alu 0xfffe
	s_or_b32 exec_lo, exec_lo, s42
	v_lshrrev_b16 v1, 8, v9
	s_mov_b32 s42, exec_lo
	s_delay_alu instid0(VALU_DEP_1)
	v_cmpx_ne_u16_e32 0, v1
	s_cbranch_execz .LBB264_354
; %bb.347:                              ;   in Loop: Header=BB264_13 Depth=1
	v_bfrev_b32_e32 v67, 1
	s_mov_b32 s43, exec_lo
	v_cmpx_ne_u16_e32 0x80, v1
	s_cbranch_execz .LBB264_353
; %bb.348:                              ;   in Loop: Header=BB264_13 Depth=1
	v_and_b32_e32 v69, 0xffff, v1
	v_mov_b32_e32 v67, 0x7c010000
	s_mov_b32 s44, exec_lo
	s_delay_alu instid0(VALU_DEP_2) | instskip(NEXT) | instid1(VALU_DEP_1)
	v_and_b32_e32 v71, 0x7f, v69
	v_cmpx_ne_u32_e32 0x7f, v71
	s_cbranch_execz .LBB264_352
; %bb.349:                              ;   in Loop: Header=BB264_13 Depth=1
	v_and_b32_e32 v67, 7, v69
	v_lshrrev_b32_e32 v70, 3, v71
	s_mov_b32 s45, exec_lo
	v_cmpx_gt_u32_e32 8, v71
; %bb.350:                              ;   in Loop: Header=BB264_13 Depth=1
	s_delay_alu instid0(VALU_DEP_3) | instskip(NEXT) | instid1(VALU_DEP_1)
	v_clz_i32_u32_e32 v67, v67
	v_min_u32_e32 v67, 32, v67
	s_delay_alu instid0(VALU_DEP_1) | instskip(NEXT) | instid1(VALU_DEP_1)
	v_subrev_nc_u32_e32 v70, 28, v67
	v_lshlrev_b64_e32 v[71:72], v70, v[1:2]
	v_sub_nc_u32_e32 v70, 29, v67
	s_delay_alu instid0(VALU_DEP_2)
	v_and_b32_e32 v67, 7, v71
; %bb.351:                              ;   in Loop: Header=BB264_13 Depth=1
	s_or_b32 exec_lo, exec_lo, s45
	v_lshlrev_b32_e32 v1, 8, v69
	s_delay_alu instid0(VALU_DEP_3) | instskip(NEXT) | instid1(VALU_DEP_3)
	v_lshl_add_u32 v69, v70, 10, 0x2000
	v_lshlrev_b32_e32 v67, 23, v67
	s_delay_alu instid0(VALU_DEP_2) | instskip(NEXT) | instid1(VALU_DEP_1)
	v_and_or_b32 v1, 0x8000, v1, v69
	v_lshl_or_b32 v67, v1, 16, v67
.LBB264_352:                            ;   in Loop: Header=BB264_13 Depth=1
	s_or_b32 exec_lo, exec_lo, s44
.LBB264_353:                            ;   in Loop: Header=BB264_13 Depth=1
	s_wait_alu 0xfffe
	s_or_b32 exec_lo, exec_lo, s43
.LBB264_354:                            ;   in Loop: Header=BB264_13 Depth=1
	s_wait_alu 0xfffe
	s_or_b32 exec_lo, exec_lo, s42
	v_lshrrev_b32_e32 v1, 16, v9
	v_mov_b32_e32 v69, 0
	s_mov_b32 s42, exec_lo
	s_delay_alu instid0(VALU_DEP_2) | instskip(NEXT) | instid1(VALU_DEP_1)
	v_dual_mov_b32 v70, 0 :: v_dual_and_b32 v71, 0xff, v1
	v_cmpx_ne_u16_e32 0, v71
	s_cbranch_execz .LBB264_362
; %bb.355:                              ;   in Loop: Header=BB264_13 Depth=1
	v_mov_b32_e32 v70, 0x8000
	s_mov_b32 s43, exec_lo
	v_cmpx_ne_u16_e32 0x80, v71
	s_cbranch_execz .LBB264_361
; %bb.356:                              ;   in Loop: Header=BB264_13 Depth=1
	v_bfe_u32 v72, v9, 16, 7
	v_mov_b32_e32 v70, 0x7c01
	s_mov_b32 s44, exec_lo
	s_delay_alu instid0(VALU_DEP_2)
	v_cmpx_ne_u32_e32 0x7f, v72
	s_cbranch_execz .LBB264_360
; %bb.357:                              ;   in Loop: Header=BB264_13 Depth=1
	v_and_b32_e32 v70, 7, v1
	v_lshrrev_b32_e32 v71, 3, v72
	s_mov_b32 s45, exec_lo
	v_cmpx_gt_u32_e32 8, v72
; %bb.358:                              ;   in Loop: Header=BB264_13 Depth=1
	s_delay_alu instid0(VALU_DEP_3) | instskip(NEXT) | instid1(VALU_DEP_1)
	v_clz_i32_u32_e32 v70, v70
	v_min_u32_e32 v72, 32, v70
	s_delay_alu instid0(VALU_DEP_1) | instskip(NEXT) | instid1(VALU_DEP_1)
	v_subrev_nc_u32_e32 v70, 28, v72
	v_lshlrev_b64_e32 v[70:71], v70, v[1:2]
	v_sub_nc_u32_e32 v71, 29, v72
	s_delay_alu instid0(VALU_DEP_2)
	v_and_b32_e32 v70, 7, v70
; %bb.359:                              ;   in Loop: Header=BB264_13 Depth=1
	s_or_b32 exec_lo, exec_lo, s45
	v_lshlrev_b32_e32 v1, 8, v1
	s_delay_alu instid0(VALU_DEP_3) | instskip(NEXT) | instid1(VALU_DEP_3)
	v_lshl_add_u32 v71, v71, 10, 0x2000
	v_lshlrev_b32_e32 v70, 7, v70
	s_delay_alu instid0(VALU_DEP_3) | instskip(NEXT) | instid1(VALU_DEP_3)
	v_and_b32_e32 v1, 0x8000, v1
	v_and_b32_e32 v71, 0xfc00, v71
	s_delay_alu instid0(VALU_DEP_1)
	v_or3_b32 v70, v1, v71, v70
.LBB264_360:                            ;   in Loop: Header=BB264_13 Depth=1
	s_or_b32 exec_lo, exec_lo, s44
.LBB264_361:                            ;   in Loop: Header=BB264_13 Depth=1
	s_wait_alu 0xfffe
	s_or_b32 exec_lo, exec_lo, s43
.LBB264_362:                            ;   in Loop: Header=BB264_13 Depth=1
	s_wait_alu 0xfffe
	s_or_b32 exec_lo, exec_lo, s42
	s_delay_alu instid0(SALU_CYCLE_1)
	s_mov_b32 s42, exec_lo
	v_cmpx_lt_u32_e32 0xffffff, v9
	s_cbranch_execz .LBB264_370
; %bb.363:                              ;   in Loop: Header=BB264_13 Depth=1
	v_lshrrev_b32_e32 v1, 24, v9
	v_bfrev_b32_e32 v69, 1
	s_mov_b32 s43, exec_lo
	s_delay_alu instid0(VALU_DEP_2)
	v_cmpx_ne_u32_e32 0x80, v1
	s_cbranch_execz .LBB264_369
; %bb.364:                              ;   in Loop: Header=BB264_13 Depth=1
	v_and_b32_e32 v71, 0x7f, v1
	v_mov_b32_e32 v69, 0x7c010000
	s_mov_b32 s44, exec_lo
	s_delay_alu instid0(VALU_DEP_2)
	v_cmpx_ne_u32_e32 0x7f, v71
	s_cbranch_execz .LBB264_368
; %bb.365:                              ;   in Loop: Header=BB264_13 Depth=1
	v_and_b32_e32 v9, 7, v1
	v_lshrrev_b32_e32 v69, 3, v71
	s_mov_b32 s45, exec_lo
	v_cmpx_gt_u32_e32 8, v71
; %bb.366:                              ;   in Loop: Header=BB264_13 Depth=1
	s_delay_alu instid0(VALU_DEP_3) | instskip(NEXT) | instid1(VALU_DEP_1)
	v_clz_i32_u32_e32 v9, v9
	v_min_u32_e32 v9, 32, v9
	s_delay_alu instid0(VALU_DEP_1) | instskip(NEXT) | instid1(VALU_DEP_1)
	v_subrev_nc_u32_e32 v69, 28, v9
	v_lshlrev_b64_e32 v[71:72], v69, v[1:2]
	v_sub_nc_u32_e32 v69, 29, v9
	s_delay_alu instid0(VALU_DEP_2)
	v_and_b32_e32 v9, 7, v71
; %bb.367:                              ;   in Loop: Header=BB264_13 Depth=1
	s_or_b32 exec_lo, exec_lo, s45
	v_lshlrev_b32_e32 v1, 8, v1
	s_delay_alu instid0(VALU_DEP_3) | instskip(NEXT) | instid1(VALU_DEP_3)
	v_lshl_add_u32 v69, v69, 10, 0x2000
	v_lshlrev_b32_e32 v9, 23, v9
	s_delay_alu instid0(VALU_DEP_2) | instskip(NEXT) | instid1(VALU_DEP_1)
	v_and_or_b32 v1, 0x8000, v1, v69
	v_lshl_or_b32 v69, v1, 16, v9
.LBB264_368:                            ;   in Loop: Header=BB264_13 Depth=1
	s_or_b32 exec_lo, exec_lo, s44
.LBB264_369:                            ;   in Loop: Header=BB264_13 Depth=1
	s_wait_alu 0xfffe
	s_or_b32 exec_lo, exec_lo, s43
.LBB264_370:                            ;   in Loop: Header=BB264_13 Depth=1
	s_wait_alu 0xfffe
	s_or_b32 exec_lo, exec_lo, s42
	global_load_b32 v7, v[7:8], off offset:1288
	v_mov_b32_e32 v9, 0
	s_mov_b32 s42, exec_lo
	s_wait_loadcnt 0x0
	v_dual_mov_b32 v8, 0 :: v_dual_and_b32 v1, 0xff, v7
	s_delay_alu instid0(VALU_DEP_1)
	v_cmpx_ne_u16_e32 0, v1
	s_cbranch_execz .LBB264_378
; %bb.371:                              ;   in Loop: Header=BB264_13 Depth=1
	v_mov_b32_e32 v9, 0x8000
	s_mov_b32 s43, exec_lo
	v_cmpx_ne_u16_e32 0x80, v1
	s_cbranch_execz .LBB264_377
; %bb.372:                              ;   in Loop: Header=BB264_13 Depth=1
	v_and_b32_e32 v71, 0x7f, v7
	v_mov_b32_e32 v9, 0x7c01
	s_mov_b32 s44, exec_lo
	s_delay_alu instid0(VALU_DEP_2)
	v_cmpx_ne_u32_e32 0x7f, v71
	s_cbranch_execz .LBB264_376
; %bb.373:                              ;   in Loop: Header=BB264_13 Depth=1
	v_and_b32_e32 v1, 7, v7
	v_lshrrev_b32_e32 v9, 3, v71
	s_mov_b32 s45, exec_lo
	v_cmpx_gt_u32_e32 8, v71
; %bb.374:                              ;   in Loop: Header=BB264_13 Depth=1
	s_delay_alu instid0(VALU_DEP_3) | instskip(NEXT) | instid1(VALU_DEP_1)
	v_clz_i32_u32_e32 v1, v1
	v_min_u32_e32 v1, 32, v1
	s_delay_alu instid0(VALU_DEP_1) | instskip(NEXT) | instid1(VALU_DEP_1)
	v_subrev_nc_u32_e32 v9, 28, v1
	v_lshlrev_b64_e32 v[71:72], v9, v[7:8]
	v_sub_nc_u32_e32 v9, 29, v1
	s_delay_alu instid0(VALU_DEP_2)
	v_and_b32_e32 v1, 7, v71
; %bb.375:                              ;   in Loop: Header=BB264_13 Depth=1
	s_or_b32 exec_lo, exec_lo, s45
	v_lshlrev_b32_e32 v71, 8, v7
	s_delay_alu instid0(VALU_DEP_3) | instskip(NEXT) | instid1(VALU_DEP_3)
	v_lshl_add_u32 v9, v9, 10, 0x2000
	v_lshlrev_b32_e32 v1, 7, v1
	s_delay_alu instid0(VALU_DEP_3) | instskip(NEXT) | instid1(VALU_DEP_3)
	v_and_b32_e32 v71, 0x8000, v71
	v_and_b32_e32 v9, 0xfc00, v9
	s_delay_alu instid0(VALU_DEP_1)
	v_or3_b32 v9, v71, v9, v1
.LBB264_376:                            ;   in Loop: Header=BB264_13 Depth=1
	s_or_b32 exec_lo, exec_lo, s44
.LBB264_377:                            ;   in Loop: Header=BB264_13 Depth=1
	s_wait_alu 0xfffe
	s_or_b32 exec_lo, exec_lo, s43
.LBB264_378:                            ;   in Loop: Header=BB264_13 Depth=1
	s_wait_alu 0xfffe
	s_or_b32 exec_lo, exec_lo, s42
	v_lshrrev_b16 v1, 8, v7
	s_mov_b32 s42, exec_lo
	s_delay_alu instid0(VALU_DEP_1)
	v_cmpx_ne_u16_e32 0, v1
	s_cbranch_execz .LBB264_386
; %bb.379:                              ;   in Loop: Header=BB264_13 Depth=1
	v_bfrev_b32_e32 v8, 1
	s_mov_b32 s43, exec_lo
	v_cmpx_ne_u16_e32 0x80, v1
	s_cbranch_execz .LBB264_385
; %bb.380:                              ;   in Loop: Header=BB264_13 Depth=1
	v_and_b32_e32 v71, 0xffff, v1
	v_mov_b32_e32 v8, 0x7c010000
	s_mov_b32 s44, exec_lo
	s_delay_alu instid0(VALU_DEP_2) | instskip(NEXT) | instid1(VALU_DEP_1)
	v_and_b32_e32 v73, 0x7f, v71
	v_cmpx_ne_u32_e32 0x7f, v73
	s_cbranch_execz .LBB264_384
; %bb.381:                              ;   in Loop: Header=BB264_13 Depth=1
	v_and_b32_e32 v8, 7, v71
	v_lshrrev_b32_e32 v72, 3, v73
	s_mov_b32 s45, exec_lo
	v_cmpx_gt_u32_e32 8, v73
; %bb.382:                              ;   in Loop: Header=BB264_13 Depth=1
	s_delay_alu instid0(VALU_DEP_3) | instskip(NEXT) | instid1(VALU_DEP_1)
	v_clz_i32_u32_e32 v8, v8
	v_min_u32_e32 v8, 32, v8
	s_delay_alu instid0(VALU_DEP_1) | instskip(NEXT) | instid1(VALU_DEP_1)
	v_subrev_nc_u32_e32 v72, 28, v8
	v_lshlrev_b64_e32 v[73:74], v72, v[1:2]
	v_sub_nc_u32_e32 v72, 29, v8
	s_delay_alu instid0(VALU_DEP_2)
	v_and_b32_e32 v8, 7, v73
; %bb.383:                              ;   in Loop: Header=BB264_13 Depth=1
	s_or_b32 exec_lo, exec_lo, s45
	v_lshlrev_b32_e32 v1, 8, v71
	s_delay_alu instid0(VALU_DEP_3) | instskip(NEXT) | instid1(VALU_DEP_3)
	v_lshl_add_u32 v71, v72, 10, 0x2000
	v_lshlrev_b32_e32 v8, 23, v8
	s_delay_alu instid0(VALU_DEP_2) | instskip(NEXT) | instid1(VALU_DEP_1)
	v_and_or_b32 v1, 0x8000, v1, v71
	v_lshl_or_b32 v8, v1, 16, v8
.LBB264_384:                            ;   in Loop: Header=BB264_13 Depth=1
	s_or_b32 exec_lo, exec_lo, s44
.LBB264_385:                            ;   in Loop: Header=BB264_13 Depth=1
	s_wait_alu 0xfffe
	s_or_b32 exec_lo, exec_lo, s43
.LBB264_386:                            ;   in Loop: Header=BB264_13 Depth=1
	s_wait_alu 0xfffe
	s_or_b32 exec_lo, exec_lo, s42
	v_lshrrev_b32_e32 v1, 16, v7
	v_mov_b32_e32 v71, 0
	s_mov_b32 s42, exec_lo
	s_delay_alu instid0(VALU_DEP_2) | instskip(NEXT) | instid1(VALU_DEP_1)
	v_dual_mov_b32 v72, 0 :: v_dual_and_b32 v73, 0xff, v1
	v_cmpx_ne_u16_e32 0, v73
	s_cbranch_execz .LBB264_394
; %bb.387:                              ;   in Loop: Header=BB264_13 Depth=1
	v_mov_b32_e32 v72, 0x8000
	s_mov_b32 s43, exec_lo
	v_cmpx_ne_u16_e32 0x80, v73
	s_cbranch_execz .LBB264_393
; %bb.388:                              ;   in Loop: Header=BB264_13 Depth=1
	v_bfe_u32 v74, v7, 16, 7
	v_mov_b32_e32 v72, 0x7c01
	s_mov_b32 s44, exec_lo
	s_delay_alu instid0(VALU_DEP_2)
	v_cmpx_ne_u32_e32 0x7f, v74
	s_cbranch_execz .LBB264_392
; %bb.389:                              ;   in Loop: Header=BB264_13 Depth=1
	v_and_b32_e32 v72, 7, v1
	v_lshrrev_b32_e32 v73, 3, v74
	s_mov_b32 s45, exec_lo
	v_cmpx_gt_u32_e32 8, v74
; %bb.390:                              ;   in Loop: Header=BB264_13 Depth=1
	s_delay_alu instid0(VALU_DEP_3) | instskip(NEXT) | instid1(VALU_DEP_1)
	v_clz_i32_u32_e32 v72, v72
	v_min_u32_e32 v74, 32, v72
	s_delay_alu instid0(VALU_DEP_1) | instskip(NEXT) | instid1(VALU_DEP_1)
	v_subrev_nc_u32_e32 v72, 28, v74
	v_lshlrev_b64_e32 v[72:73], v72, v[1:2]
	v_sub_nc_u32_e32 v73, 29, v74
	s_delay_alu instid0(VALU_DEP_2)
	v_and_b32_e32 v72, 7, v72
; %bb.391:                              ;   in Loop: Header=BB264_13 Depth=1
	s_or_b32 exec_lo, exec_lo, s45
	v_lshlrev_b32_e32 v1, 8, v1
	s_delay_alu instid0(VALU_DEP_3) | instskip(NEXT) | instid1(VALU_DEP_3)
	v_lshl_add_u32 v73, v73, 10, 0x2000
	v_lshlrev_b32_e32 v72, 7, v72
	s_delay_alu instid0(VALU_DEP_3) | instskip(NEXT) | instid1(VALU_DEP_3)
	v_and_b32_e32 v1, 0x8000, v1
	v_and_b32_e32 v73, 0xfc00, v73
	s_delay_alu instid0(VALU_DEP_1)
	v_or3_b32 v72, v1, v73, v72
.LBB264_392:                            ;   in Loop: Header=BB264_13 Depth=1
	s_or_b32 exec_lo, exec_lo, s44
.LBB264_393:                            ;   in Loop: Header=BB264_13 Depth=1
	s_wait_alu 0xfffe
	s_or_b32 exec_lo, exec_lo, s43
.LBB264_394:                            ;   in Loop: Header=BB264_13 Depth=1
	s_wait_alu 0xfffe
	s_or_b32 exec_lo, exec_lo, s42
	s_delay_alu instid0(SALU_CYCLE_1)
	s_mov_b32 s42, exec_lo
	v_cmpx_lt_u32_e32 0xffffff, v7
	s_cbranch_execz .LBB264_402
; %bb.395:                              ;   in Loop: Header=BB264_13 Depth=1
	v_lshrrev_b32_e32 v1, 24, v7
	v_bfrev_b32_e32 v71, 1
	s_mov_b32 s43, exec_lo
	s_delay_alu instid0(VALU_DEP_2)
	v_cmpx_ne_u32_e32 0x80, v1
	s_cbranch_execz .LBB264_401
; %bb.396:                              ;   in Loop: Header=BB264_13 Depth=1
	v_and_b32_e32 v73, 0x7f, v1
	v_mov_b32_e32 v71, 0x7c010000
	s_mov_b32 s44, exec_lo
	s_delay_alu instid0(VALU_DEP_2)
	v_cmpx_ne_u32_e32 0x7f, v73
	s_cbranch_execz .LBB264_400
; %bb.397:                              ;   in Loop: Header=BB264_13 Depth=1
	v_and_b32_e32 v7, 7, v1
	v_lshrrev_b32_e32 v71, 3, v73
	s_mov_b32 s45, exec_lo
	v_cmpx_gt_u32_e32 8, v73
; %bb.398:                              ;   in Loop: Header=BB264_13 Depth=1
	s_delay_alu instid0(VALU_DEP_3) | instskip(NEXT) | instid1(VALU_DEP_1)
	v_clz_i32_u32_e32 v7, v7
	v_min_u32_e32 v7, 32, v7
	s_delay_alu instid0(VALU_DEP_1) | instskip(NEXT) | instid1(VALU_DEP_1)
	v_subrev_nc_u32_e32 v71, 28, v7
	v_lshlrev_b64_e32 v[73:74], v71, v[1:2]
	v_sub_nc_u32_e32 v71, 29, v7
	s_delay_alu instid0(VALU_DEP_2)
	v_and_b32_e32 v7, 7, v73
; %bb.399:                              ;   in Loop: Header=BB264_13 Depth=1
	s_or_b32 exec_lo, exec_lo, s45
	v_lshlrev_b32_e32 v1, 8, v1
	s_delay_alu instid0(VALU_DEP_3) | instskip(NEXT) | instid1(VALU_DEP_3)
	v_lshl_add_u32 v71, v71, 10, 0x2000
	v_lshlrev_b32_e32 v7, 23, v7
	s_delay_alu instid0(VALU_DEP_2) | instskip(NEXT) | instid1(VALU_DEP_1)
	v_and_or_b32 v1, 0x8000, v1, v71
	v_lshl_or_b32 v71, v1, 16, v7
.LBB264_400:                            ;   in Loop: Header=BB264_13 Depth=1
	s_or_b32 exec_lo, exec_lo, s44
.LBB264_401:                            ;   in Loop: Header=BB264_13 Depth=1
	s_wait_alu 0xfffe
	s_or_b32 exec_lo, exec_lo, s43
.LBB264_402:                            ;   in Loop: Header=BB264_13 Depth=1
	s_wait_alu 0xfffe
	s_or_b32 exec_lo, exec_lo, s42
	ds_load_b64 v[73:74], v20
	v_or_b32_e32 v1, v27, v28
	v_or_b32_e32 v7, v29, v30
	v_fma_mixlo_f16 v27, v26, v27, 0 op_sel:[0,1,0] op_sel_hi:[0,1,0]
	v_fma_mixlo_f16 v28, v26, v29, 0 op_sel:[0,1,0] op_sel_hi:[0,1,0]
	v_or_b32_e32 v32, v31, v32
	v_fma_mixlo_f16 v1, v26, v1, 0 op_sel_hi:[0,1,0]
	v_fma_mixlo_f16 v7, v26, v7, 0 op_sel_hi:[0,1,0]
	v_and_b32_e32 v27, 0xffff, v27
	v_and_b32_e32 v75, 0xffff, v28
	v_or_b32_e32 v34, v33, v34
	v_and_b32_e32 v28, 0xffff, v1
	v_fma_mixlo_f16 v31, v26, v31, 0 op_sel:[0,1,0] op_sel_hi:[0,1,0]
	v_fma_mixlo_f16 v33, v26, v33, 0 op_sel:[0,1,0] op_sel_hi:[0,1,0]
	v_fma_mixlo_f16 v32, v26, v32, 0 op_sel_hi:[0,1,0]
	v_fma_mixlo_f16 v34, v26, v34, 0 op_sel_hi:[0,1,0]
	v_or_b32_e32 v36, v35, v36
	v_and_b32_e32 v77, 0xffff, v31
	v_and_b32_e32 v78, 0xffff, v33
	;; [unrolled: 1-line block ×3, first 2 shown]
	s_wait_dscnt 0x0
	v_and_b32_e32 v1, 0xffff, v73
	v_lshrrev_b32_e32 v29, 16, v73
	v_and_b32_e32 v73, 0xffff, v7
	v_lshrrev_b32_e32 v76, 16, v74
	v_and_b32_e32 v74, 0xffff, v74
	;;#ASMSTART
	v_cvt_f32_f16 v7, v1;
	;;#ASMEND
	;;#ASMSTART
	v_cvt_f32_f16 v1, v29;
	;;#ASMEND
	;; [unrolled: 3-line block ×8, first 2 shown]
	ds_load_b64 v[75:76], v20 offset:8
	v_and_b32_e32 v79, 0xffff, v34
	v_or_b32_e32 v38, v37, v38
	v_fma_mixlo_f16 v36, v26, v36, 0 op_sel_hi:[0,1,0]
	v_fma_mixlo_f16 v35, v26, v35, 0 op_sel:[0,1,0] op_sel_hi:[0,1,0]
	v_fma_mixlo_f16 v37, v26, v37, 0 op_sel:[0,1,0] op_sel_hi:[0,1,0]
	v_or_b32_e32 v40, v39, v40
	v_fma_mixlo_f16 v38, v26, v38, 0 op_sel_hi:[0,1,0]
	v_or_b32_e32 v42, v41, v42
	v_and_b32_e32 v35, 0xffff, v35
	v_and_b32_e32 v85, 0xffff, v37
	v_fma_mixlo_f16 v39, v26, v39, 0 op_sel:[0,1,0] op_sel_hi:[0,1,0]
	v_fma_mixlo_f16 v41, v26, v41, 0 op_sel:[0,1,0] op_sel_hi:[0,1,0]
	v_fma_mixlo_f16 v40, v26, v40, 0 op_sel_hi:[0,1,0]
	v_fma_mixlo_f16 v42, v26, v42, 0 op_sel_hi:[0,1,0]
	v_or_b32_e32 v44, v43, v44
	v_and_b32_e32 v39, 0xffff, v39
	v_or_b32_e32 v46, v45, v46
	v_and_b32_e32 v40, 0xffff, v40
	v_and_b32_e32 v87, 0xffff, v42
	s_wait_dscnt 0x0
	v_and_b32_e32 v31, 0xffff, v75
	v_lshrrev_b32_e32 v75, 16, v75
	v_lshrrev_b32_e32 v80, 16, v76
	v_and_b32_e32 v34, 0xffff, v76
	;;#ASMSTART
	v_cvt_f32_f16 v32, v31;
	;;#ASMEND
	;;#ASMSTART
	v_cvt_f32_f16 v31, v75;
	;;#ASMEND
	;; [unrolled: 3-line block ×8, first 2 shown]
	ds_load_b64 v[79:80], v20 offset:16
	v_dual_mul_f32 v31, v31, v33 :: v_dual_and_b32 v36, 0xffff, v36
	v_mul_f32_e32 v33, v34, v77
	v_fma_mixlo_f16 v43, v26, v43, 0 op_sel:[0,1,0] op_sel_hi:[0,1,0]
	v_fma_mixlo_f16 v45, v26, v45, 0 op_sel:[0,1,0] op_sel_hi:[0,1,0]
	v_fma_mixlo_f16 v44, v26, v44, 0 op_sel_hi:[0,1,0]
	v_fmac_f32_e32 v31, v1, v27
	v_fmac_f32_e32 v33, v28, v73
	v_fma_mixlo_f16 v46, v26, v46, 0 op_sel_hi:[0,1,0]
	v_and_b32_e32 v89, 0xffff, v43
	v_or_b32_e32 v48, v47, v48
	v_or_b32_e32 v50, v49, v50
	v_fma_mixlo_f16 v47, v26, v47, 0 op_sel:[0,1,0] op_sel_hi:[0,1,0]
	v_and_b32_e32 v91, 0xffff, v46
	v_fma_mixlo_f16 v49, v26, v49, 0 op_sel:[0,1,0] op_sel_hi:[0,1,0]
	v_fma_mixlo_f16 v48, v26, v48, 0 op_sel_hi:[0,1,0]
	v_fma_mixlo_f16 v50, v26, v50, 0 op_sel_hi:[0,1,0]
	v_and_b32_e32 v93, 0xffff, v47
	v_or_b32_e32 v52, v51, v52
	s_wait_dscnt 0x0
	v_and_b32_e32 v37, 0xffff, v79
	v_lshrrev_b32_e32 v79, 16, v79
	v_lshrrev_b32_e32 v86, 16, v80
	v_and_b32_e32 v80, 0xffff, v80
	;;#ASMSTART
	v_cvt_f32_f16 v81, v37;
	;;#ASMEND
	;;#ASMSTART
	v_cvt_f32_f16 v82, v79;
	;;#ASMEND
	;; [unrolled: 3-line block ×5, first 2 shown]
	v_and_b32_e32 v38, 0xffff, v38
	;;#ASMSTART
	v_cvt_f32_f16 v36, v86;
	;;#ASMEND
	;;#ASMSTART
	v_cvt_f32_f16 v37, v38;
	;;#ASMEND
	;; [unrolled: 3-line block ×3, first 2 shown]
	ds_load_b64 v[79:80], v20 offset:24
	v_dual_fmac_f32 v31, v82, v84 :: v_dual_and_b32 v88, 0xffff, v41
	v_fmac_f32_e32 v33, v35, v37
	v_and_b32_e32 v95, 0xffff, v50
	v_or_b32_e32 v54, v53, v54
	v_fma_mixlo_f16 v51, v26, v51, 0 op_sel:[0,1,0] op_sel_hi:[0,1,0]
	v_fma_mixlo_f16 v53, v26, v53, 0 op_sel:[0,1,0] op_sel_hi:[0,1,0]
	v_fma_mixlo_f16 v52, v26, v52, 0 op_sel_hi:[0,1,0]
	v_or_b32_e32 v56, v55, v56
	v_fma_mixlo_f16 v54, v26, v54, 0 op_sel_hi:[0,1,0]
	v_and_b32_e32 v97, 0xffff, v51
	v_or_b32_e32 v58, v57, v58
	v_fma_mixlo_f16 v55, v26, v55, 0 op_sel:[0,1,0] op_sel_hi:[0,1,0]
	v_fma_mixlo_f16 v57, v26, v57, 0 op_sel:[0,1,0] op_sel_hi:[0,1,0]
	v_and_b32_e32 v99, 0xffff, v54
	v_fma_mixlo_f16 v56, v26, v56, 0 op_sel_hi:[0,1,0]
	v_fma_mixlo_f16 v58, v26, v58, 0 op_sel_hi:[0,1,0]
	v_and_b32_e32 v101, 0xffff, v55
	v_or_b32_e32 v60, v59, v60
	s_wait_dscnt 0x0
	v_and_b32_e32 v41, 0xffff, v79
	v_lshrrev_b32_e32 v79, 16, v79
	v_lshrrev_b32_e32 v86, 16, v80
	v_and_b32_e32 v85, 0xffff, v80
	;;#ASMSTART
	v_cvt_f32_f16 v41, v41;
	;;#ASMEND
	;;#ASMSTART
	v_cvt_f32_f16 v42, v79;
	;;#ASMEND
	;; [unrolled: 3-line block ×7, first 2 shown]
	v_fmac_f32_e32 v31, v42, v80
	;;#ASMSTART
	v_cvt_f32_f16 v88, v88;
	;;#ASMEND
	ds_load_b64 v[39:40], v20 offset:32
	v_dual_fmac_f32 v33, v85, v87 :: v_dual_and_b32 v92, 0xffff, v45
	v_and_b32_e32 v45, 0xffff, v44
	v_and_b32_e32 v103, 0xffff, v58
	v_or_b32_e32 v62, v61, v62
	v_fma_mixlo_f16 v59, v26, v59, 0 op_sel:[0,1,0] op_sel_hi:[0,1,0]
	v_fma_mixlo_f16 v61, v26, v61, 0 op_sel:[0,1,0] op_sel_hi:[0,1,0]
	v_fma_mixlo_f16 v60, v26, v60, 0 op_sel_hi:[0,1,0]
	v_mul_f32_e32 v32, v32, v76
	v_fma_mixlo_f16 v62, v26, v62, 0 op_sel_hi:[0,1,0]
	v_and_b32_e32 v105, 0xffff, v59
	v_or_b32_e32 v64, v63, v64
	v_or_b32_e32 v66, v65, v66
	v_fmac_f32_e32 v32, v7, v30
	v_and_b32_e32 v107, 0xffff, v62
	v_fma_mixlo_f16 v63, v26, v63, 0 op_sel:[0,1,0] op_sel_hi:[0,1,0]
	v_or_b32_e32 v9, v8, v9
	v_fma_mixlo_f16 v109, v26, v8, 0 op_sel:[0,1,0] op_sel_hi:[0,1,0]
	v_fma_mixlo_f16 v8, v26, v64, 0 op_sel_hi:[0,1,0]
	s_wait_dscnt 0x0
	v_and_b32_e32 v43, 0xffff, v39
	v_lshrrev_b32_e32 v39, 16, v39
	v_lshrrev_b32_e32 v90, 16, v40
	;;#ASMSTART
	v_cvt_f32_f16 v43, v43;
	;;#ASMEND
	;;#ASMSTART
	v_cvt_f32_f16 v44, v39;
	;;#ASMEND
	;; [unrolled: 3-line block ×4, first 2 shown]
	v_dual_fmac_f32 v31, v44, v46 :: v_dual_and_b32 v40, 0xffff, v40
	;;#ASMSTART
	v_cvt_f32_f16 v89, v40;
	;;#ASMEND
	;;#ASMSTART
	v_cvt_f32_f16 v90, v90;
	;;#ASMEND
	;; [unrolled: 3-line block ×3, first 2 shown]
	v_fmac_f32_e32 v33, v89, v91
	;;#ASMSTART
	v_cvt_f32_f16 v92, v92;
	;;#ASMEND
	ds_load_b64 v[39:40], v20 offset:40
	v_and_b32_e32 v96, 0xffff, v49
	v_and_b32_e32 v49, 0xffff, v48
	v_fma_mixlo_f16 v64, v26, v66, 0 op_sel_hi:[0,1,0]
	v_fma_mixlo_f16 v65, v26, v65, 0 op_sel:[0,1,0] op_sel_hi:[0,1,0]
	v_mul_f32_e32 v34, v75, v78
	v_fmac_f32_e32 v32, v81, v83
	v_and_b32_e32 v63, 0xffff, v63
	v_and_b32_e32 v8, 0xffff, v8
	;; [unrolled: 1-line block ×3, first 2 shown]
	v_dual_fmac_f32 v34, v29, v74 :: v_dual_and_b32 v65, 0xffff, v65
	v_fmac_f32_e32 v32, v41, v79
	v_or_b32_e32 v68, v67, v68
	v_or_b32_e32 v70, v69, v70
	v_fma_mixlo_f16 v67, v26, v67, 0 op_sel:[0,1,0] op_sel_hi:[0,1,0]
	v_fmac_f32_e32 v34, v36, v38
	v_fmac_f32_e32 v32, v43, v45
	v_fma_mixlo_f16 v68, v26, v68, 0 op_sel_hi:[0,1,0]
	v_fma_mixlo_f16 v69, v26, v69, 0 op_sel:[0,1,0] op_sel_hi:[0,1,0]
	s_wait_dscnt 0x0
	v_and_b32_e32 v47, 0xffff, v39
	v_lshrrev_b32_e32 v39, 16, v39
	v_lshrrev_b32_e32 v94, 16, v40
	;;#ASMSTART
	v_cvt_f32_f16 v47, v47;
	;;#ASMEND
	;;#ASMSTART
	v_cvt_f32_f16 v48, v39;
	;;#ASMEND
	;; [unrolled: 3-line block ×4, first 2 shown]
	v_dual_fmac_f32 v31, v48, v50 :: v_dual_and_b32 v40, 0xffff, v40
	;;#ASMSTART
	v_cvt_f32_f16 v93, v40;
	;;#ASMEND
	;;#ASMSTART
	v_cvt_f32_f16 v94, v94;
	;;#ASMEND
	;; [unrolled: 3-line block ×3, first 2 shown]
	v_fmac_f32_e32 v33, v93, v95
	;;#ASMSTART
	v_cvt_f32_f16 v96, v96;
	;;#ASMEND
	ds_load_b64 v[39:40], v20 offset:48
	v_and_b32_e32 v100, 0xffff, v53
	v_dual_fmac_f32 v32, v47, v49 :: v_dual_and_b32 v53, 0xffff, v52
	v_fma_mixlo_f16 v70, v26, v70, 0 op_sel_hi:[0,1,0]
	v_fmac_f32_e32 v34, v86, v88
	v_and_b32_e32 v37, 0xffff, v68
	v_and_b32_e32 v44, 0xffff, v69
	v_or_b32_e32 v45, v71, v72
	v_fma_mixlo_f16 v9, v26, v9, 0 op_sel_hi:[0,1,0]
	v_fmac_f32_e32 v34, v90, v92
	s_delay_alu instid0(VALU_DEP_3) | instskip(SKIP_1) | instid1(VALU_DEP_2)
	v_fma_mixlo_f16 v45, v26, v45, 0 op_sel_hi:[0,1,0]
	s_wait_dscnt 0x0
	v_dual_fmac_f32 v34, v94, v96 :: v_dual_and_b32 v51, 0xffff, v39
	v_lshrrev_b32_e32 v39, 16, v39
	v_lshrrev_b32_e32 v98, 16, v40
	;;#ASMSTART
	v_cvt_f32_f16 v51, v51;
	;;#ASMEND
	;;#ASMSTART
	v_cvt_f32_f16 v52, v39;
	;;#ASMEND
	;; [unrolled: 3-line block ×4, first 2 shown]
	v_dual_fmac_f32 v31, v52, v54 :: v_dual_and_b32 v40, 0xffff, v40
	;;#ASMSTART
	v_cvt_f32_f16 v97, v40;
	;;#ASMEND
	;;#ASMSTART
	v_cvt_f32_f16 v98, v98;
	;;#ASMEND
	;; [unrolled: 3-line block ×3, first 2 shown]
	v_fmac_f32_e32 v33, v97, v99
	;;#ASMSTART
	v_cvt_f32_f16 v100, v100;
	;;#ASMEND
	ds_load_b64 v[39:40], v20 offset:56
	v_and_b32_e32 v104, 0xffff, v57
	v_dual_fmac_f32 v32, v51, v53 :: v_dual_and_b32 v57, 0xffff, v56
	s_wait_dscnt 0x0
	v_dual_fmac_f32 v34, v98, v100 :: v_dual_and_b32 v55, 0xffff, v39
	v_lshrrev_b32_e32 v39, 16, v39
	v_lshrrev_b32_e32 v102, 16, v40
	;;#ASMSTART
	v_cvt_f32_f16 v55, v55;
	;;#ASMEND
	;;#ASMSTART
	v_cvt_f32_f16 v56, v39;
	;;#ASMEND
	;; [unrolled: 3-line block ×4, first 2 shown]
	v_dual_fmac_f32 v31, v56, v58 :: v_dual_and_b32 v40, 0xffff, v40
	;;#ASMSTART
	v_cvt_f32_f16 v101, v40;
	;;#ASMEND
	;;#ASMSTART
	v_cvt_f32_f16 v102, v102;
	;;#ASMEND
	;; [unrolled: 3-line block ×3, first 2 shown]
	v_fmac_f32_e32 v33, v101, v103
	;;#ASMSTART
	v_cvt_f32_f16 v104, v104;
	;;#ASMEND
	ds_load_b64 v[39:40], v20 offset:64
	v_and_b32_e32 v108, 0xffff, v61
	v_dual_fmac_f32 v32, v55, v57 :: v_dual_and_b32 v61, 0xffff, v60
	s_wait_dscnt 0x0
	v_dual_fmac_f32 v34, v102, v104 :: v_dual_and_b32 v59, 0xffff, v39
	v_lshrrev_b32_e32 v39, 16, v39
	v_lshrrev_b32_e32 v106, 16, v40
	;;#ASMSTART
	v_cvt_f32_f16 v59, v59;
	;;#ASMEND
	;;#ASMSTART
	v_cvt_f32_f16 v60, v39;
	;;#ASMEND
	;; [unrolled: 3-line block ×4, first 2 shown]
	v_dual_fmac_f32 v31, v60, v62 :: v_dual_and_b32 v40, 0xffff, v40
	;;#ASMSTART
	v_cvt_f32_f16 v105, v40;
	;;#ASMEND
	;;#ASMSTART
	v_cvt_f32_f16 v106, v106;
	;;#ASMEND
	;; [unrolled: 3-line block ×3, first 2 shown]
	v_fmac_f32_e32 v33, v105, v107
	;;#ASMSTART
	v_cvt_f32_f16 v108, v108;
	;;#ASMEND
	ds_load_b64 v[39:40], v20 offset:72
	v_fmac_f32_e32 v32, v59, v61
	s_wait_dscnt 0x0
	v_dual_fmac_f32 v34, v106, v108 :: v_dual_and_b32 v1, 0xffff, v39
	v_lshrrev_b32_e32 v27, 16, v39
	v_lshrrev_b32_e32 v39, 16, v40
	v_and_b32_e32 v30, 0xffff, v40
	;;#ASMSTART
	v_cvt_f32_f16 v1, v1;
	;;#ASMEND
	;;#ASMSTART
	v_cvt_f32_f16 v27, v27;
	;;#ASMEND
	;; [unrolled: 3-line block ×8, first 2 shown]
	ds_load_b64 v[7:8], v20 offset:80
	v_dual_fmac_f32 v31, v27, v29 :: v_dual_and_b32 v38, 0xffff, v67
	v_fmac_f32_e32 v33, v30, v40
	v_fmac_f32_e32 v32, v1, v28
	v_fma_mixlo_f16 v1, v26, v71, 0 op_sel:[0,1,0] op_sel_hi:[0,1,0]
	v_and_b32_e32 v28, 0xffff, v9
	v_dual_fmac_f32 v34, v39, v63 :: v_dual_and_b32 v29, 0xffff, v109
	s_wait_dscnt 0x0
	v_and_b32_e32 v35, 0xffff, v7
	v_lshrrev_b32_e32 v7, 16, v7
	v_lshrrev_b32_e32 v42, 16, v8
	;;#ASMSTART
	v_cvt_f32_f16 v35, v35;
	;;#ASMEND
	;;#ASMSTART
	v_cvt_f32_f16 v36, v7;
	;;#ASMEND
	;;#ASMSTART
	v_cvt_f32_f16 v37, v37;
	;;#ASMEND
	v_and_b32_e32 v7, 0xffff, v70
	;;#ASMSTART
	v_cvt_f32_f16 v38, v38;
	;;#ASMEND
	v_dual_fmac_f32 v31, v36, v38 :: v_dual_and_b32 v8, 0xffff, v8
	;;#ASMSTART
	v_cvt_f32_f16 v41, v8;
	;;#ASMEND
	;;#ASMSTART
	v_cvt_f32_f16 v42, v42;
	;;#ASMEND
	;; [unrolled: 3-line block ×4, first 2 shown]
	ds_load_b64 v[7:8], v20 offset:88
	v_dual_fmac_f32 v32, v35, v37 :: v_dual_fmac_f32 v33, v41, v43
	v_fmac_f32_e32 v34, v42, v44
	s_wait_dscnt 0x0
	v_and_b32_e32 v26, 0xffff, v7
	v_lshrrev_b32_e32 v27, 16, v7
	;;#ASMSTART
	v_cvt_f32_f16 v7, v26;
	;;#ASMEND
	;;#ASMSTART
	v_cvt_f32_f16 v9, v27;
	;;#ASMEND
	;;#ASMSTART
	v_cvt_f32_f16 v26, v28;
	;;#ASMEND
	;;#ASMSTART
	v_cvt_f32_f16 v27, v29;
	;;#ASMEND
	v_dual_fmac_f32 v32, v7, v26 :: v_dual_fmac_f32 v31, v9, v27
	v_and_b32_e32 v26, 0xffff, v1
	v_and_b32_e32 v29, 0xffff, v45
	s_delay_alu instid0(VALU_DEP_3)
	v_dual_add_f32 v1, v32, v31 :: v_dual_and_b32 v28, 0xffff, v8
	v_lshrrev_b32_e32 v8, 16, v8
	;;#ASMSTART
	v_cvt_f32_f16 v7, v28;
	;;#ASMEND
	;;#ASMSTART
	v_cvt_f32_f16 v8, v8;
	;;#ASMEND
	;; [unrolled: 3-line block ×3, first 2 shown]
	v_fmac_f32_e32 v33, v7, v9
	v_xor_b32_e32 v7, 1, v18
	;;#ASMSTART
	v_cvt_f32_f16 v9, v26;
	;;#ASMEND
	v_fmac_f32_e32 v34, v8, v9
	s_delay_alu instid0(VALU_DEP_3) | instskip(NEXT) | instid1(VALU_DEP_3)
	v_add_f32_e32 v1, v1, v33
	v_cmp_gt_i32_e64 s4, 32, v7
	s_delay_alu instid0(VALU_DEP_2) | instskip(SKIP_1) | instid1(VALU_DEP_2)
	v_add_f32_e32 v1, v34, v1
	s_wait_alu 0xf1ff
	v_cndmask_b32_e64 v7, v18, v7, s4
	s_delay_alu instid0(VALU_DEP_1)
	v_lshlrev_b32_e32 v7, 2, v7
	ds_bpermute_b32 v7, v7, v1
	s_and_saveexec_b32 s42, s3
	s_cbranch_execz .LBB264_11
; %bb.403:                              ;   in Loop: Header=BB264_13 Depth=1
	s_wait_dscnt 0x0
	v_dual_add_f32 v1, v1, v7 :: v_dual_add_nc_u32 v8, v22, v21
	s_delay_alu instid0(VALU_DEP_1) | instskip(NEXT) | instid1(VALU_DEP_1)
	v_cvt_f32_i32_e32 v8, v8
	v_mul_f32_e32 v8, s30, v8
	s_delay_alu instid0(VALU_DEP_1) | instskip(NEXT) | instid1(VALU_DEP_1)
	v_dual_cndmask_b32 v7, 0, v8 :: v_dual_max_num_f32 v8, v19, v19
	v_fmac_f32_e32 v7, s7, v1
	s_delay_alu instid0(VALU_DEP_1) | instskip(NEXT) | instid1(VALU_DEP_1)
	v_dual_max_num_f32 v8, v8, v7 :: v_dual_add_nc_u32 v1, v17, v21
	v_cmp_gt_i32_e64 s4, s34, v1
	s_wait_alu 0xf1ff
	s_delay_alu instid0(VALU_DEP_1) | instskip(NEXT) | instid1(VALU_DEP_3)
	v_cndmask_b32_e64 v1, 0, v7, s4
	v_cndmask_b32_e64 v19, v19, v8, s4
	ds_store_b32 v23, v1
	s_branch .LBB264_11
.LBB264_404:
	s_or_b32 exec_lo, exec_lo, s40
.LBB264_405:
	s_delay_alu instid0(SALU_CYCLE_1)
	s_or_b32 exec_lo, exec_lo, s6
	v_xor_b32_e32 v1, 16, v18
	v_xor_b32_e32 v2, 8, v18
	s_clause 0x2
	s_load_b128 s[4:7], s[0:1], 0x0
	s_load_b64 s[8:9], s[0:1], 0x10
	s_load_b64 s[30:31], s[0:1], 0x28
	v_and_b32_e32 v17, 31, v0
	s_wait_dscnt 0x0
	v_lshlrev_b32_e32 v7, 2, v13
	v_cmp_gt_i32_e32 vcc_lo, 32, v1
	s_wait_alu 0xfffd
	v_cndmask_b32_e32 v1, v18, v1, vcc_lo
	v_cmp_gt_i32_e32 vcc_lo, 32, v2
	s_wait_alu 0xfffd
	v_dual_max_num_f32 v5, v19, v19 :: v_dual_cndmask_b32 v2, v18, v2
	s_delay_alu instid0(VALU_DEP_1) | instskip(SKIP_4) | instid1(VALU_DEP_1)
	v_lshlrev_b32_e32 v4, 2, v2
	v_lshlrev_b32_e32 v3, 2, v1
	ds_bpermute_b32 v1, v3, v19
	s_wait_dscnt 0x0
	v_max_num_f32_e32 v1, v1, v1
	v_max_num_f32_e32 v1, v5, v1
	v_xor_b32_e32 v5, 4, v18
	ds_bpermute_b32 v2, v4, v1
	v_cmp_gt_i32_e32 vcc_lo, 32, v5
	s_wait_alu 0xfffd
	v_cndmask_b32_e32 v5, v18, v5, vcc_lo
	s_wait_dscnt 0x0
	v_max_num_f32_e32 v2, v2, v2
	s_delay_alu instid0(VALU_DEP_2) | instskip(SKIP_1) | instid1(VALU_DEP_3)
	v_lshlrev_b32_e32 v6, 2, v5
	v_xor_b32_e32 v5, 2, v18
	v_max_num_f32_e32 v1, v1, v2
	s_delay_alu instid0(VALU_DEP_2)
	v_cmp_gt_i32_e32 vcc_lo, 32, v5
	ds_bpermute_b32 v2, v6, v1
	s_wait_alu 0xfffd
	v_cndmask_b32_e32 v5, v18, v5, vcc_lo
	v_cmp_eq_u32_e32 vcc_lo, 0, v17
	s_wait_dscnt 0x0
	v_max_num_f32_e32 v2, v2, v2
	s_delay_alu instid0(VALU_DEP_1)
	v_dual_max_num_f32 v1, v1, v2 :: v_dual_lshlrev_b32 v2, 2, v5
	ds_bpermute_b32 v5, v2, v1
	s_and_saveexec_b32 s0, vcc_lo
	s_cbranch_execz .LBB264_407
; %bb.406:
	s_wait_dscnt 0x0
	v_max_num_f32_e32 v5, v5, v5
	v_max_num_f32_e32 v1, v1, v1
	s_delay_alu instid0(VALU_DEP_1)
	v_max_num_f32_e32 v1, v1, v5
	ds_store_b32 v7, v1 offset:192
.LBB264_407:
	s_or_b32 exec_lo, exec_lo, s0
	v_cmp_gt_u32_e64 s0, 4, v17
	v_dual_mov_b32 v1, 0xff7fffff :: v_dual_lshlrev_b32 v8, 2, v17
	s_wait_loadcnt_dscnt 0x0
	s_barrier_signal -1
	s_barrier_wait -1
	global_inv scope:SCOPE_SE
	s_and_saveexec_b32 s1, s0
; %bb.408:
	ds_load_b32 v1, v8 offset:192
; %bb.409:
	s_or_b32 exec_lo, exec_lo, s1
	s_wait_dscnt 0x0
	ds_bpermute_b32 v5, v2, v1
	v_xor_b32_e32 v9, 1, v18
	v_max_num_f32_e32 v1, v1, v1
	s_delay_alu instid0(VALU_DEP_2) | instskip(NEXT) | instid1(VALU_DEP_1)
	v_cmp_gt_i32_e64 s1, 32, v9
	v_cndmask_b32_e64 v9, v18, v9, s1
	s_sub_co_i32 s1, s23, s38
	s_wait_alu 0xfffe
	s_lshl_b32 s1, s1, 4
	s_delay_alu instid0(VALU_DEP_1)
	v_dual_mov_b32 v9, 0 :: v_dual_lshlrev_b32 v18, 2, v9
	s_wait_alu 0xfffe
	s_add_co_i32 s1, s1, s35
	s_wait_alu 0xfffe
	s_min_i32 s1, s1, s34
	s_wait_dscnt 0x0
	v_max_num_f32_e32 v5, v5, v5
	s_wait_alu 0xfffe
	s_sub_co_i32 s19, s1, s35
	s_wait_alu 0xfffe
	v_cmp_gt_i32_e64 s1, s19, v0
	v_max_num_f32_e32 v1, v1, v5
	ds_bpermute_b32 v5, v18, v1
	s_wait_dscnt 0x0
	v_max_num_f32_e32 v5, v5, v5
	s_delay_alu instid0(VALU_DEP_1)
	v_max_num_f32_e32 v1, v1, v5
	v_lshl_add_u32 v5, v0, 2, 0xe0
	ds_bpermute_b32 v1, v9, v1
	s_and_saveexec_b32 s35, s1
	s_cbranch_execz .LBB264_413
; %bb.410:
	v_lshl_add_u32 v19, v0, 2, 0xe0
	v_dual_mov_b32 v9, 0 :: v_dual_mov_b32 v20, v0
	s_mov_b32 s38, 0
.LBB264_411:                            ; =>This Inner Loop Header: Depth=1
	ds_load_b32 v21, v19
	v_add_nc_u32_e32 v20, 0x80, v20
	s_delay_alu instid0(VALU_DEP_1) | instskip(SKIP_4) | instid1(VALU_DEP_1)
	v_cmp_le_i32_e64 s3, s19, v20
	s_wait_alu 0xfffe
	s_or_b32 s38, s3, s38
	s_wait_dscnt 0x0
	v_sub_f32_e32 v21, v21, v1
	v_mul_f32_e32 v21, 0x3fb8aa3b, v21
	s_delay_alu instid0(VALU_DEP_1)
	v_exp_f32_e32 v21, v21
	ds_store_b32 v19, v21
	v_add_f32_e32 v9, v9, v21
	v_add_nc_u32_e32 v19, 0x200, v19
	s_wait_alu 0xfffe
	s_and_not1_b32 exec_lo, exec_lo, s38
	s_cbranch_execnz .LBB264_411
; %bb.412:
	s_or_b32 exec_lo, exec_lo, s38
.LBB264_413:
	s_wait_alu 0xfffe
	s_or_b32 exec_lo, exec_lo, s35
	ds_bpermute_b32 v3, v3, v9
	s_wait_dscnt 0x0
	v_add_f32_e32 v3, v9, v3
	ds_bpermute_b32 v4, v4, v3
	s_wait_dscnt 0x0
	v_add_f32_e32 v3, v3, v4
	;; [unrolled: 3-line block ×5, first 2 shown]
	s_and_saveexec_b32 s3, vcc_lo
; %bb.414:
	ds_store_b32 v7, v3 offset:208
; %bb.415:
	s_wait_alu 0xfffe
	s_or_b32 exec_lo, exec_lo, s3
	s_wait_loadcnt_dscnt 0x0
	s_barrier_signal -1
	s_barrier_wait -1
	global_inv scope:SCOPE_SE
	s_and_saveexec_b32 s3, s0
; %bb.416:
	ds_load_b32 v3, v8 offset:208
; %bb.417:
	s_wait_alu 0xfffe
	s_or_b32 exec_lo, exec_lo, s3
	s_wait_dscnt 0x0
	ds_bpermute_b32 v2, v2, v3
	s_wait_dscnt 0x0
	v_add_f32_e32 v2, v3, v2
	ds_bpermute_b32 v3, v18, v2
	s_wait_dscnt 0x0
	v_dual_add_f32 v2, v2, v3 :: v_dual_mov_b32 v3, 0
	ds_bpermute_b32 v2, v3, v2
	s_and_saveexec_b32 s0, s1
	s_cbranch_execz .LBB264_420
; %bb.418:
	s_wait_dscnt 0x0
	v_add_f32_e32 v3, 0x358637bd, v2
	s_mov_b32 s1, 0
	s_delay_alu instid0(VALU_DEP_1) | instskip(SKIP_1) | instid1(VALU_DEP_2)
	v_div_scale_f32 v4, null, v3, v3, 1.0
	v_div_scale_f32 v8, vcc_lo, 1.0, v3, 1.0
	v_rcp_f32_e32 v6, v4
	s_delay_alu instid0(TRANS32_DEP_1) | instskip(NEXT) | instid1(VALU_DEP_1)
	v_fma_f32 v7, -v4, v6, 1.0
	v_fmac_f32_e32 v6, v7, v6
	s_delay_alu instid0(VALU_DEP_1) | instskip(NEXT) | instid1(VALU_DEP_1)
	v_mul_f32_e32 v7, v8, v6
	v_fma_f32 v9, -v4, v7, v8
	s_delay_alu instid0(VALU_DEP_1) | instskip(NEXT) | instid1(VALU_DEP_1)
	v_fmac_f32_e32 v7, v9, v6
	v_fma_f32 v4, -v4, v7, v8
	s_wait_alu 0xfffd
	s_delay_alu instid0(VALU_DEP_1) | instskip(NEXT) | instid1(VALU_DEP_1)
	v_div_fmas_f32 v4, v4, v6, v7
	v_div_fixup_f32 v3, v4, v3, 1.0
	v_mov_b32_e32 v4, v0
.LBB264_419:                            ; =>This Inner Loop Header: Depth=1
	ds_load_b32 v6, v5
	v_add_nc_u32_e32 v4, 0x80, v4
	s_delay_alu instid0(VALU_DEP_1)
	v_cmp_le_i32_e32 vcc_lo, s19, v4
	s_wait_alu 0xfffe
	s_or_b32 s1, vcc_lo, s1
	s_wait_dscnt 0x0
	v_mul_f32_e32 v6, v3, v6
	ds_store_b32 v5, v6
	v_add_nc_u32_e32 v5, 0x200, v5
	s_wait_alu 0xfffe
	s_and_not1_b32 exec_lo, exec_lo, s1
	s_cbranch_execnz .LBB264_419
.LBB264_420:
	s_wait_alu 0xfffe
	s_or_b32 exec_lo, exec_lo, s0
	s_mul_i32 s0, s12, s28
	s_wait_loadcnt_dscnt 0x0
	s_wait_alu 0xfffe
	s_mul_i32 s28, s0, s29
	s_mov_b32 s0, exec_lo
	s_barrier_signal -1
	s_barrier_wait -1
	global_inv scope:SCOPE_SE
	v_cmpx_eq_u32_e32 0, v0
	s_cbranch_execz .LBB264_422
; %bb.421:
	s_ashr_i32 s29, s28, 31
	s_wait_alu 0xfffe
	s_mul_i32 s38, s12, ttmp9
	s_lshl_b32 s1, s33, 2
	s_lshl_b64 s[40:41], s[28:29], 2
	s_wait_alu 0xfffe
	s_ashr_i32 s39, s38, 31
	v_mov_b32_e32 v3, s1
	s_wait_kmcnt 0x0
	s_add_nc_u64 s[6:7], s[6:7], s[40:41]
	s_wait_alu 0xfffe
	s_lshl_b64 s[38:39], s[38:39], 2
	s_add_nc_u64 s[4:5], s[4:5], s[40:41]
	s_wait_alu 0xfffe
	s_add_nc_u64 s[6:7], s[6:7], s[38:39]
	s_add_nc_u64 s[4:5], s[4:5], s[38:39]
	s_clause 0x1
	global_store_b32 v3, v1, s[6:7]
	global_store_b32 v3, v2, s[4:5]
.LBB264_422:
	s_wait_alu 0xfffe
	s_or_b32 exec_lo, exec_lo, s0
	v_dual_mov_b32 v24, 0 :: v_dual_mov_b32 v23, 0
	v_dual_mov_b32 v22, 0 :: v_dual_mov_b32 v21, 0
	;; [unrolled: 1-line block ×3, first 2 shown]
	s_and_saveexec_b32 s1, s2
	s_cbranch_execz .LBB264_824
; %bb.423:
	s_wait_kmcnt 0x0
	s_abs_i32 s4, s14
	v_dual_mov_b32 v19, 0 :: v_dual_lshlrev_b32 v6, 5, v12
	s_wait_alu 0xfffe
	s_cvt_f32_u32 s0, s4
	s_lshl_b64 s[26:27], s[26:27], 2
	v_dual_mov_b32 v20, 0 :: v_dual_and_b32 v5, 0xf8, v10
	s_wait_alu 0xfffe
	v_rcp_iflag_f32_e32 v1, s0
	s_ashr_i32 s19, s18, 31
	s_add_nc_u64 s[24:25], s[24:25], s[26:27]
	s_sub_co_i32 s5, s37, s13
	s_wait_alu 0xfffe
	s_add_nc_u64 s[18:19], s[30:31], s[18:19]
	v_add_co_u32 v3, s13, s24, v16
	s_sub_co_i32 s7, 0, s4
	v_add_co_ci_u32_e64 v4, null, s25, 0, s13
	s_delay_alu instid0(TRANS32_DEP_1)
	v_readfirstlane_b32 s0, v1
	v_lshl_or_b32 v1, v13, 6, v6
	s_wait_alu 0xfffe
	v_add_co_u32 v5, s13, s18, v5
	v_dual_mov_b32 v2, 0 :: v_dual_and_b32 v25, 8, v10
	s_mul_f32 s0, s0, 0x4f7ffffe
	v_add_co_ci_u32_e64 v6, null, s19, 0, s13
	v_dual_mov_b32 v21, 0 :: v_dual_add_nc_u32 v16, 0xe0, v1
	s_wait_alu 0xfffe
	s_cvt_u32_f32 s0, s0
	v_dual_mov_b32 v22, 0 :: v_dual_mov_b32 v23, 0
	v_mov_b32_e32 v24, 0
	s_wait_alu 0xfffe
	s_mul_i32 s7, s7, s0
	s_mov_b32 s2, -1
	s_wait_alu 0xfffe
	s_mul_hi_u32 s13, s0, s7
	s_mov_b32 s6, s17
	s_mov_b32 s3, 0xffffff
	s_add_co_i32 s36, s36, -1
	s_mov_b32 s7, 0
	s_wait_alu 0xfffe
	s_add_co_i32 s13, s0, s13
	s_branch .LBB264_426
.LBB264_424:                            ;   in Loop: Header=BB264_426 Depth=1
	s_wait_alu 0xfffe
	s_or_b32 exec_lo, exec_lo, s0
	v_dual_add_f32 v9, v9, v10 :: v_dual_add_f32 v10, v44, v45
	;;#ASMSTART
	v_pk_mul_f16 v26, v39, v46;

	;;#ASMEND
	;;#ASMSTART
	v_pk_mul_f16 v8, v38, v8;

	;;#ASMEND
	;;#ASMSTART
	v_pk_mul_f16 v7, v37, v7;

	;;#ASMEND
	;;#ASMSTART
	v_pk_mul_f16 v1, v36, v1;

	;;#ASMEND
	v_add_f32_e32 v20, v20, v9
	;;#ASMSTART
	v_pk_add_f16 v8, v26, v8;

	;;#ASMEND
	;;#ASMSTART
	v_pk_add_f16 v7, v8, v7;

	;;#ASMEND
	;; [unrolled: 4-line block ×3, first 2 shown]
	v_dual_add_f32 v8, v34, v35 :: v_dual_and_b32 v9, 0xffff, v1
	v_lshrrev_b32_e32 v26, 16, v1
	;;#ASMSTART
	v_cvt_f32_f16 v9, v9;
	;;#ASMEND
	v_add_f32_e32 v1, v42, v43
	v_add_f32_e32 v7, v40, v41
	;;#ASMSTART
	v_cvt_f32_f16 v26, v26;
	;;#ASMEND
	v_add_f32_e32 v9, v9, v26
	v_dual_add_f32 v21, v21, v10 :: v_dual_add_f32 v24, v24, v8
	s_delay_alu instid0(VALU_DEP_3) | instskip(NEXT) | instid1(VALU_DEP_3)
	v_dual_add_f32 v22, v22, v1 :: v_dual_add_f32 v23, v23, v7
	v_add_f32_e32 v19, v19, v9
.LBB264_425:                            ;   in Loop: Header=BB264_426 Depth=1
	s_wait_alu 0xfffe
	s_or_b32 exec_lo, exec_lo, s14
	v_add_nc_u32_e32 v15, 4, v15
	v_add_co_u32 v3, s0, v3, 16
	s_wait_alu 0xf1ff
	v_add_co_ci_u32_e64 v4, null, 0, v4, s0
	s_delay_alu instid0(VALU_DEP_3)
	v_cmp_le_i32_e32 vcc_lo, s23, v15
	v_add_nc_u32_e32 v14, 64, v14
	v_add_nc_u32_e32 v16, 0x100, v16
	s_or_b32 s7, vcc_lo, s7
	s_wait_alu 0xfffe
	s_and_not1_b32 exec_lo, exec_lo, s7
	s_cbranch_execz .LBB264_823
.LBB264_426:                            ; =>This Inner Loop Header: Depth=1
	v_sub_nc_u32_e32 v1, 0, v14
	s_delay_alu instid0(VALU_DEP_1) | instskip(NEXT) | instid1(VALU_DEP_1)
	v_max_i32_e32 v1, v14, v1
	v_mul_hi_u32 v7, v1, s22
	s_delay_alu instid0(VALU_DEP_1) | instskip(NEXT) | instid1(VALU_DEP_1)
	v_mul_lo_u32 v8, v7, s16
	v_sub_nc_u32_e32 v1, v1, v8
	s_delay_alu instid0(VALU_DEP_1) | instskip(SKIP_2) | instid1(VALU_DEP_2)
	v_subrev_nc_u32_e32 v9, s16, v1
	v_cmp_le_u32_e32 vcc_lo, s16, v1
	s_wait_alu 0xfffd
	v_dual_cndmask_b32 v1, v1, v9 :: v_dual_add_nc_u32 v8, 1, v7
	s_delay_alu instid0(VALU_DEP_1) | instskip(SKIP_1) | instid1(VALU_DEP_3)
	v_cndmask_b32_e32 v7, v7, v8, vcc_lo
	v_ashrrev_i32_e32 v8, 31, v14
	v_cmp_le_u32_e32 vcc_lo, s16, v1
	s_delay_alu instid0(VALU_DEP_3) | instskip(NEXT) | instid1(VALU_DEP_3)
	v_add_nc_u32_e32 v9, 1, v7
	v_xor_b32_e32 v8, s15, v8
	s_wait_alu 0xfffd
	s_delay_alu instid0(VALU_DEP_2) | instskip(NEXT) | instid1(VALU_DEP_1)
	v_cndmask_b32_e32 v1, v7, v9, vcc_lo
	v_xor_b32_e32 v1, v1, v8
	s_delay_alu instid0(VALU_DEP_1) | instskip(NEXT) | instid1(VALU_DEP_1)
	v_sub_nc_u32_e32 v1, v1, v8
	v_add_nc_u32_e32 v7, s21, v1
	v_cmp_lt_i32_e64 s0, s5, v1
	s_delay_alu instid0(VALU_DEP_2) | instskip(NEXT) | instid1(VALU_DEP_1)
	v_sub_nc_u32_e32 v8, 0, v7
	v_max_i32_e32 v8, v7, v8
	v_ashrrev_i32_e32 v7, 31, v7
	s_wait_alu 0xfffe
	s_delay_alu instid0(VALU_DEP_2) | instskip(NEXT) | instid1(VALU_DEP_1)
	v_mul_hi_u32 v9, v8, s13
	v_mul_lo_u32 v9, v9, s4
	s_delay_alu instid0(VALU_DEP_1) | instskip(NEXT) | instid1(VALU_DEP_1)
	v_sub_nc_u32_e32 v8, v8, v9
	v_subrev_nc_u32_e32 v9, s4, v8
	v_cmp_le_u32_e32 vcc_lo, s4, v8
	s_wait_alu 0xfffd
	s_delay_alu instid0(VALU_DEP_2) | instskip(NEXT) | instid1(VALU_DEP_1)
	v_cndmask_b32_e32 v8, v8, v9, vcc_lo
	v_subrev_nc_u32_e32 v9, s4, v8
	v_cmp_le_u32_e32 vcc_lo, s4, v8
	s_wait_alu 0xfffd
	s_delay_alu instid0(VALU_DEP_2) | instskip(NEXT) | instid1(VALU_DEP_1)
	v_cndmask_b32_e32 v8, v8, v9, vcc_lo
	v_xor_b32_e32 v8, v8, v7
	s_delay_alu instid0(VALU_DEP_1) | instskip(NEXT) | instid1(VALU_DEP_1)
	v_sub_nc_u32_e32 v7, v8, v7
	v_cmp_eq_u32_e32 vcc_lo, 0, v7
	s_or_b32 s0, vcc_lo, s0
	s_wait_alu 0xfffe
	s_and_saveexec_b32 s14, s0
	s_cbranch_execz .LBB264_425
; %bb.427:                              ;   in Loop: Header=BB264_426 Depth=1
	global_load_b32 v1, v[3:4], off
	ds_load_2addr_b64 v[26:29], v16 offset1:1
	ds_load_2addr_b64 v[30:33], v16 offset0:2 offset1:3
	s_mov_b32 s0, exec_lo
	s_wait_dscnt 0x1
	;;#ASMSTART
	v_cvt_f16_f32 v34, v26;

	;;#ASMEND
	;;#ASMSTART
	v_cvt_f16_f32 v35, v27;

	;;#ASMEND
	;;#ASMSTART
	v_cvt_f16_f32 v38, v28;

	;;#ASMEND
	;;#ASMSTART
	v_cvt_f16_f32 v36, v29;

	;;#ASMEND
	s_wait_dscnt 0x0
	;;#ASMSTART
	v_cvt_f16_f32 v39, v30;

	;;#ASMEND
	;;#ASMSTART
	v_cvt_f16_f32 v37, v31;

	;;#ASMEND
	;;#ASMSTART
	v_cvt_f16_f32 v41, v32;

	;;#ASMEND
	;;#ASMSTART
	v_cvt_f16_f32 v40, v33;

	;;#ASMEND
	v_mov_b32_e32 v29, 0
	s_wait_loadcnt 0x0
	v_mad_co_i64_i32 v[7:8], null, v1, s6, v[5:6]
	global_load_b64 v[9:10], v[7:8], off
	s_wait_loadcnt 0x0
	v_dual_mov_b32 v28, 0 :: v_dual_and_b32 v1, 0xff, v9
	global_load_b32 v27, v28, s[10:11]
	v_cmpx_ne_u16_e32 0, v1
	s_cbranch_execz .LBB264_435
; %bb.428:                              ;   in Loop: Header=BB264_426 Depth=1
	v_mov_b32_e32 v29, 0x8000
	s_mov_b32 s17, exec_lo
	v_cmpx_ne_u16_e32 0x80, v1
	s_cbranch_execz .LBB264_434
; %bb.429:                              ;   in Loop: Header=BB264_426 Depth=1
	v_and_b32_e32 v30, 0x7f, v9
	v_mov_b32_e32 v29, 0x7c01
	s_mov_b32 s18, exec_lo
	s_delay_alu instid0(VALU_DEP_2)
	v_cmpx_ne_u32_e32 0x7f, v30
	s_cbranch_execz .LBB264_433
; %bb.430:                              ;   in Loop: Header=BB264_426 Depth=1
	v_and_b32_e32 v1, 7, v9
	v_lshrrev_b32_e32 v26, 3, v30
	s_mov_b32 s19, exec_lo
	v_cmpx_gt_u32_e32 8, v30
; %bb.431:                              ;   in Loop: Header=BB264_426 Depth=1
	s_delay_alu instid0(VALU_DEP_3) | instskip(NEXT) | instid1(VALU_DEP_1)
	v_clz_i32_u32_e32 v1, v1
	v_min_u32_e32 v1, 32, v1
	s_delay_alu instid0(VALU_DEP_1) | instskip(NEXT) | instid1(VALU_DEP_1)
	v_subrev_nc_u32_e32 v26, 28, v1
	v_lshlrev_b64_e32 v[29:30], v26, v[9:10]
	v_sub_nc_u32_e32 v26, 29, v1
	s_delay_alu instid0(VALU_DEP_2)
	v_and_b32_e32 v1, 7, v29
; %bb.432:                              ;   in Loop: Header=BB264_426 Depth=1
	s_wait_alu 0xfffe
	s_or_b32 exec_lo, exec_lo, s19
	v_lshlrev_b32_e32 v29, 8, v9
	v_lshl_add_u32 v26, v26, 10, 0x2000
	v_lshlrev_b32_e32 v1, 7, v1
	s_delay_alu instid0(VALU_DEP_3) | instskip(NEXT) | instid1(VALU_DEP_3)
	v_and_b32_e32 v29, 0x8000, v29
	v_and_b32_e32 v26, 0xfc00, v26
	s_delay_alu instid0(VALU_DEP_1)
	v_or3_b32 v29, v29, v26, v1
.LBB264_433:                            ;   in Loop: Header=BB264_426 Depth=1
	s_wait_alu 0xfffe
	s_or_b32 exec_lo, exec_lo, s18
.LBB264_434:                            ;   in Loop: Header=BB264_426 Depth=1
	s_wait_alu 0xfffe
	s_or_b32 exec_lo, exec_lo, s17
.LBB264_435:                            ;   in Loop: Header=BB264_426 Depth=1
	s_wait_alu 0xfffe
	s_or_b32 exec_lo, exec_lo, s0
	v_lshrrev_b16 v1, 8, v9
	s_mov_b32 s0, exec_lo
	s_delay_alu instid0(VALU_DEP_1)
	v_cmpx_ne_u16_e32 0, v1
	s_cbranch_execz .LBB264_443
; %bb.436:                              ;   in Loop: Header=BB264_426 Depth=1
	v_bfrev_b32_e32 v28, 1
	s_mov_b32 s17, exec_lo
	v_cmpx_ne_u16_e32 0x80, v1
	s_cbranch_execz .LBB264_442
; %bb.437:                              ;   in Loop: Header=BB264_426 Depth=1
	v_and_b32_e32 v26, 0xffff, v1
	v_mov_b32_e32 v28, 0x7c010000
	s_mov_b32 s18, exec_lo
	s_delay_alu instid0(VALU_DEP_2) | instskip(NEXT) | instid1(VALU_DEP_1)
	v_and_b32_e32 v31, 0x7f, v26
	v_cmpx_ne_u32_e32 0x7f, v31
	s_cbranch_execz .LBB264_441
; %bb.438:                              ;   in Loop: Header=BB264_426 Depth=1
	v_and_b32_e32 v28, 7, v26
	v_lshrrev_b32_e32 v30, 3, v31
	s_mov_b32 s19, exec_lo
	v_cmpx_gt_u32_e32 8, v31
; %bb.439:                              ;   in Loop: Header=BB264_426 Depth=1
	s_delay_alu instid0(VALU_DEP_3) | instskip(NEXT) | instid1(VALU_DEP_1)
	v_clz_i32_u32_e32 v28, v28
	v_min_u32_e32 v28, 32, v28
	s_delay_alu instid0(VALU_DEP_1) | instskip(NEXT) | instid1(VALU_DEP_1)
	v_subrev_nc_u32_e32 v30, 28, v28
	v_lshlrev_b64_e32 v[31:32], v30, v[1:2]
	v_sub_nc_u32_e32 v30, 29, v28
	s_delay_alu instid0(VALU_DEP_2)
	v_and_b32_e32 v28, 7, v31
; %bb.440:                              ;   in Loop: Header=BB264_426 Depth=1
	s_wait_alu 0xfffe
	s_or_b32 exec_lo, exec_lo, s19
	v_lshlrev_b32_e32 v1, 8, v26
	v_lshl_add_u32 v26, v30, 10, 0x2000
	s_delay_alu instid0(VALU_DEP_1) | instskip(SKIP_1) | instid1(VALU_DEP_1)
	v_and_or_b32 v1, 0x8000, v1, v26
	v_lshlrev_b32_e32 v26, 23, v28
	v_lshl_or_b32 v28, v1, 16, v26
.LBB264_441:                            ;   in Loop: Header=BB264_426 Depth=1
	s_wait_alu 0xfffe
	s_or_b32 exec_lo, exec_lo, s18
.LBB264_442:                            ;   in Loop: Header=BB264_426 Depth=1
	s_wait_alu 0xfffe
	s_or_b32 exec_lo, exec_lo, s17
.LBB264_443:                            ;   in Loop: Header=BB264_426 Depth=1
	s_wait_alu 0xfffe
	s_or_b32 exec_lo, exec_lo, s0
	v_lshrrev_b32_e32 v1, 16, v9
	v_mov_b32_e32 v26, 0
	s_mov_b32 s0, exec_lo
	s_delay_alu instid0(VALU_DEP_2) | instskip(NEXT) | instid1(VALU_DEP_1)
	v_dual_mov_b32 v30, 0 :: v_dual_and_b32 v31, 0xff, v1
	v_cmpx_ne_u16_e32 0, v31
	s_cbranch_execz .LBB264_451
; %bb.444:                              ;   in Loop: Header=BB264_426 Depth=1
	v_mov_b32_e32 v26, 0x8000
	s_mov_b32 s17, exec_lo
	v_cmpx_ne_u16_e32 0x80, v31
	s_cbranch_execz .LBB264_450
; %bb.445:                              ;   in Loop: Header=BB264_426 Depth=1
	v_bfe_u32 v32, v9, 16, 7
	v_mov_b32_e32 v26, 0x7c01
	s_mov_b32 s18, exec_lo
	s_delay_alu instid0(VALU_DEP_2)
	v_cmpx_ne_u32_e32 0x7f, v32
	s_cbranch_execz .LBB264_449
; %bb.446:                              ;   in Loop: Header=BB264_426 Depth=1
	v_and_b32_e32 v26, 7, v1
	v_lshrrev_b32_e32 v31, 3, v32
	s_mov_b32 s19, exec_lo
	v_cmpx_gt_u32_e32 8, v32
; %bb.447:                              ;   in Loop: Header=BB264_426 Depth=1
	s_delay_alu instid0(VALU_DEP_3) | instskip(NEXT) | instid1(VALU_DEP_1)
	v_clz_i32_u32_e32 v26, v26
	v_min_u32_e32 v26, 32, v26
	s_delay_alu instid0(VALU_DEP_1) | instskip(NEXT) | instid1(VALU_DEP_1)
	v_subrev_nc_u32_e32 v31, 28, v26
	v_lshlrev_b64_e32 v[32:33], v31, v[1:2]
	v_sub_nc_u32_e32 v31, 29, v26
	s_delay_alu instid0(VALU_DEP_2)
	v_and_b32_e32 v26, 7, v32
; %bb.448:                              ;   in Loop: Header=BB264_426 Depth=1
	s_wait_alu 0xfffe
	s_or_b32 exec_lo, exec_lo, s19
	v_lshlrev_b32_e32 v1, 8, v1
	v_lshl_add_u32 v31, v31, 10, 0x2000
	v_lshlrev_b32_e32 v26, 7, v26
	s_delay_alu instid0(VALU_DEP_3) | instskip(NEXT) | instid1(VALU_DEP_3)
	v_and_b32_e32 v1, 0x8000, v1
	v_and_b32_e32 v31, 0xfc00, v31
	s_delay_alu instid0(VALU_DEP_1)
	v_or3_b32 v26, v1, v31, v26
.LBB264_449:                            ;   in Loop: Header=BB264_426 Depth=1
	s_wait_alu 0xfffe
	s_or_b32 exec_lo, exec_lo, s18
.LBB264_450:                            ;   in Loop: Header=BB264_426 Depth=1
	s_wait_alu 0xfffe
	s_or_b32 exec_lo, exec_lo, s17
.LBB264_451:                            ;   in Loop: Header=BB264_426 Depth=1
	s_wait_alu 0xfffe
	s_or_b32 exec_lo, exec_lo, s0
	s_delay_alu instid0(SALU_CYCLE_1)
	s_mov_b32 s0, exec_lo
	v_cmpx_lt_u32_e32 0xffffff, v9
	s_cbranch_execz .LBB264_459
; %bb.452:                              ;   in Loop: Header=BB264_426 Depth=1
	v_lshrrev_b32_e32 v1, 24, v9
	v_bfrev_b32_e32 v30, 1
	s_mov_b32 s17, exec_lo
	s_delay_alu instid0(VALU_DEP_2)
	v_cmpx_ne_u32_e32 0x80, v1
	s_cbranch_execz .LBB264_458
; %bb.453:                              ;   in Loop: Header=BB264_426 Depth=1
	v_and_b32_e32 v32, 0x7f, v1
	v_mov_b32_e32 v30, 0x7c010000
	s_mov_b32 s18, exec_lo
	s_delay_alu instid0(VALU_DEP_2)
	v_cmpx_ne_u32_e32 0x7f, v32
	s_cbranch_execz .LBB264_457
; %bb.454:                              ;   in Loop: Header=BB264_426 Depth=1
	v_and_b32_e32 v30, 7, v1
	v_lshrrev_b32_e32 v31, 3, v32
	s_mov_b32 s19, exec_lo
	v_cmpx_gt_u32_e32 8, v32
; %bb.455:                              ;   in Loop: Header=BB264_426 Depth=1
	s_delay_alu instid0(VALU_DEP_3) | instskip(NEXT) | instid1(VALU_DEP_1)
	v_clz_i32_u32_e32 v30, v30
	v_min_u32_e32 v32, 32, v30
	s_delay_alu instid0(VALU_DEP_1) | instskip(NEXT) | instid1(VALU_DEP_1)
	v_subrev_nc_u32_e32 v30, 28, v32
	v_lshlrev_b64_e32 v[30:31], v30, v[1:2]
	v_sub_nc_u32_e32 v31, 29, v32
	s_delay_alu instid0(VALU_DEP_2)
	v_and_b32_e32 v30, 7, v30
; %bb.456:                              ;   in Loop: Header=BB264_426 Depth=1
	s_wait_alu 0xfffe
	s_or_b32 exec_lo, exec_lo, s19
	v_lshlrev_b32_e32 v1, 8, v1
	v_lshl_add_u32 v31, v31, 10, 0x2000
	v_lshlrev_b32_e32 v30, 23, v30
	s_delay_alu instid0(VALU_DEP_2) | instskip(NEXT) | instid1(VALU_DEP_1)
	v_and_or_b32 v1, 0x8000, v1, v31
	v_lshl_or_b32 v30, v1, 16, v30
.LBB264_457:                            ;   in Loop: Header=BB264_426 Depth=1
	s_wait_alu 0xfffe
	s_or_b32 exec_lo, exec_lo, s18
.LBB264_458:                            ;   in Loop: Header=BB264_426 Depth=1
	s_wait_alu 0xfffe
	s_or_b32 exec_lo, exec_lo, s17
.LBB264_459:                            ;   in Loop: Header=BB264_426 Depth=1
	s_wait_alu 0xfffe
	s_or_b32 exec_lo, exec_lo, s0
	v_dual_mov_b32 v32, 0 :: v_dual_and_b32 v33, 0xff, v10
	v_mov_b32_e32 v1, v10
	v_mov_b32_e32 v31, 0
	s_mov_b32 s0, exec_lo
	s_delay_alu instid0(VALU_DEP_3)
	v_cmpx_ne_u16_e32 0, v33
	s_cbranch_execz .LBB264_467
; %bb.460:                              ;   in Loop: Header=BB264_426 Depth=1
	v_mov_b32_e32 v32, 0x8000
	s_mov_b32 s17, exec_lo
	v_cmpx_ne_u16_e32 0x80, v33
	s_cbranch_execz .LBB264_466
; %bb.461:                              ;   in Loop: Header=BB264_426 Depth=1
	v_and_b32_e32 v42, 0x7f, v10
	v_mov_b32_e32 v32, 0x7c01
	s_mov_b32 s18, exec_lo
	s_delay_alu instid0(VALU_DEP_2)
	v_cmpx_ne_u32_e32 0x7f, v42
	s_cbranch_execz .LBB264_465
; %bb.462:                              ;   in Loop: Header=BB264_426 Depth=1
	v_and_b32_e32 v32, 7, v10
	v_lshrrev_b32_e32 v33, 3, v42
	s_mov_b32 s19, exec_lo
	v_cmpx_gt_u32_e32 8, v42
; %bb.463:                              ;   in Loop: Header=BB264_426 Depth=1
	s_delay_alu instid0(VALU_DEP_3) | instskip(NEXT) | instid1(VALU_DEP_1)
	v_clz_i32_u32_e32 v32, v32
	v_min_u32_e32 v42, 32, v32
	s_delay_alu instid0(VALU_DEP_1) | instskip(NEXT) | instid1(VALU_DEP_1)
	v_subrev_nc_u32_e32 v32, 28, v42
	v_lshlrev_b64_e32 v[32:33], v32, v[1:2]
	v_sub_nc_u32_e32 v33, 29, v42
	s_delay_alu instid0(VALU_DEP_2)
	v_and_b32_e32 v32, 7, v32
; %bb.464:                              ;   in Loop: Header=BB264_426 Depth=1
	s_wait_alu 0xfffe
	s_or_b32 exec_lo, exec_lo, s19
	v_lshlrev_b32_e32 v42, 8, v10
	v_lshl_add_u32 v33, v33, 10, 0x2000
	v_lshlrev_b32_e32 v32, 7, v32
	s_delay_alu instid0(VALU_DEP_3) | instskip(NEXT) | instid1(VALU_DEP_3)
	v_and_b32_e32 v42, 0x8000, v42
	v_and_b32_e32 v33, 0xfc00, v33
	s_delay_alu instid0(VALU_DEP_1)
	v_or3_b32 v32, v42, v33, v32
.LBB264_465:                            ;   in Loop: Header=BB264_426 Depth=1
	s_wait_alu 0xfffe
	s_or_b32 exec_lo, exec_lo, s18
.LBB264_466:                            ;   in Loop: Header=BB264_426 Depth=1
	s_wait_alu 0xfffe
	s_or_b32 exec_lo, exec_lo, s17
.LBB264_467:                            ;   in Loop: Header=BB264_426 Depth=1
	s_wait_alu 0xfffe
	s_or_b32 exec_lo, exec_lo, s0
	v_lshrrev_b16 v1, 8, v1
	v_mov_b32_e32 v33, 0
	s_mov_b32 s0, exec_lo
	s_delay_alu instid0(VALU_DEP_2)
	v_cmpx_ne_u16_e32 0, v1
	s_cbranch_execz .LBB264_475
; %bb.468:                              ;   in Loop: Header=BB264_426 Depth=1
	v_bfrev_b32_e32 v33, 1
	s_mov_b32 s17, exec_lo
	v_cmpx_ne_u16_e32 0x80, v1
	s_cbranch_execz .LBB264_474
; %bb.469:                              ;   in Loop: Header=BB264_426 Depth=1
	v_and_b32_e32 v42, 0xffff, v1
	v_mov_b32_e32 v33, 0x7c010000
	s_mov_b32 s18, exec_lo
	s_delay_alu instid0(VALU_DEP_2) | instskip(NEXT) | instid1(VALU_DEP_1)
	v_and_b32_e32 v44, 0x7f, v42
	v_cmpx_ne_u32_e32 0x7f, v44
	s_cbranch_execz .LBB264_473
; %bb.470:                              ;   in Loop: Header=BB264_426 Depth=1
	v_and_b32_e32 v33, 7, v42
	v_lshrrev_b32_e32 v43, 3, v44
	s_mov_b32 s19, exec_lo
	v_cmpx_gt_u32_e32 8, v44
; %bb.471:                              ;   in Loop: Header=BB264_426 Depth=1
	s_delay_alu instid0(VALU_DEP_3) | instskip(NEXT) | instid1(VALU_DEP_1)
	v_clz_i32_u32_e32 v33, v33
	v_min_u32_e32 v33, 32, v33
	s_delay_alu instid0(VALU_DEP_1) | instskip(NEXT) | instid1(VALU_DEP_1)
	v_subrev_nc_u32_e32 v43, 28, v33
	v_lshlrev_b64_e32 v[44:45], v43, v[1:2]
	v_sub_nc_u32_e32 v43, 29, v33
	s_delay_alu instid0(VALU_DEP_2)
	v_and_b32_e32 v33, 7, v44
; %bb.472:                              ;   in Loop: Header=BB264_426 Depth=1
	s_wait_alu 0xfffe
	s_or_b32 exec_lo, exec_lo, s19
	v_lshlrev_b32_e32 v1, 8, v42
	v_lshl_add_u32 v42, v43, 10, 0x2000
	v_lshlrev_b32_e32 v33, 23, v33
	s_delay_alu instid0(VALU_DEP_2) | instskip(NEXT) | instid1(VALU_DEP_1)
	v_and_or_b32 v1, 0x8000, v1, v42
	v_lshl_or_b32 v33, v1, 16, v33
.LBB264_473:                            ;   in Loop: Header=BB264_426 Depth=1
	s_wait_alu 0xfffe
	s_or_b32 exec_lo, exec_lo, s18
.LBB264_474:                            ;   in Loop: Header=BB264_426 Depth=1
	s_wait_alu 0xfffe
	s_or_b32 exec_lo, exec_lo, s17
.LBB264_475:                            ;   in Loop: Header=BB264_426 Depth=1
	s_wait_alu 0xfffe
	s_or_b32 exec_lo, exec_lo, s0
	v_lshrrev_b32_e32 v1, 16, v10
	s_mov_b32 s0, exec_lo
	s_delay_alu instid0(VALU_DEP_1) | instskip(NEXT) | instid1(VALU_DEP_1)
	v_and_b32_e32 v42, 0xff, v1
	v_cmpx_ne_u16_e32 0, v42
	s_cbranch_execz .LBB264_483
; %bb.476:                              ;   in Loop: Header=BB264_426 Depth=1
	v_mov_b32_e32 v31, 0x8000
	s_mov_b32 s17, exec_lo
	v_cmpx_ne_u16_e32 0x80, v42
	s_cbranch_execz .LBB264_482
; %bb.477:                              ;   in Loop: Header=BB264_426 Depth=1
	v_bfe_u32 v43, v10, 16, 7
	v_mov_b32_e32 v31, 0x7c01
	s_mov_b32 s18, exec_lo
	s_delay_alu instid0(VALU_DEP_2)
	v_cmpx_ne_u32_e32 0x7f, v43
	s_cbranch_execz .LBB264_481
; %bb.478:                              ;   in Loop: Header=BB264_426 Depth=1
	v_and_b32_e32 v31, 7, v1
	v_lshrrev_b32_e32 v42, 3, v43
	s_mov_b32 s19, exec_lo
	v_cmpx_gt_u32_e32 8, v43
; %bb.479:                              ;   in Loop: Header=BB264_426 Depth=1
	s_delay_alu instid0(VALU_DEP_3) | instskip(NEXT) | instid1(VALU_DEP_1)
	v_clz_i32_u32_e32 v31, v31
	v_min_u32_e32 v31, 32, v31
	s_delay_alu instid0(VALU_DEP_1) | instskip(NEXT) | instid1(VALU_DEP_1)
	v_subrev_nc_u32_e32 v42, 28, v31
	v_lshlrev_b64_e32 v[43:44], v42, v[1:2]
	v_sub_nc_u32_e32 v42, 29, v31
	s_delay_alu instid0(VALU_DEP_2)
	v_and_b32_e32 v31, 7, v43
; %bb.480:                              ;   in Loop: Header=BB264_426 Depth=1
	s_wait_alu 0xfffe
	s_or_b32 exec_lo, exec_lo, s19
	v_lshlrev_b32_e32 v1, 8, v1
	v_lshl_add_u32 v42, v42, 10, 0x2000
	v_lshlrev_b32_e32 v31, 7, v31
	s_delay_alu instid0(VALU_DEP_3) | instskip(NEXT) | instid1(VALU_DEP_3)
	v_and_b32_e32 v1, 0x8000, v1
	v_and_b32_e32 v42, 0xfc00, v42
	s_delay_alu instid0(VALU_DEP_1)
	v_or3_b32 v31, v1, v42, v31
.LBB264_481:                            ;   in Loop: Header=BB264_426 Depth=1
	s_wait_alu 0xfffe
	s_or_b32 exec_lo, exec_lo, s18
.LBB264_482:                            ;   in Loop: Header=BB264_426 Depth=1
	s_wait_alu 0xfffe
	s_or_b32 exec_lo, exec_lo, s17
.LBB264_483:                            ;   in Loop: Header=BB264_426 Depth=1
	s_wait_alu 0xfffe
	s_or_b32 exec_lo, exec_lo, s0
	v_cmp_lt_u64_e32 vcc_lo, s[2:3], v[9:10]
	v_mov_b32_e32 v9, 0
	s_and_saveexec_b32 s0, vcc_lo
	s_cbranch_execz .LBB264_491
; %bb.484:                              ;   in Loop: Header=BB264_426 Depth=1
	v_lshrrev_b32_e32 v1, 24, v10
	v_bfrev_b32_e32 v9, 1
	s_mov_b32 s17, exec_lo
	s_delay_alu instid0(VALU_DEP_2)
	v_cmpx_ne_u32_e32 0x80, v1
	s_cbranch_execz .LBB264_490
; %bb.485:                              ;   in Loop: Header=BB264_426 Depth=1
	v_and_b32_e32 v42, 0x7f, v1
	v_mov_b32_e32 v9, 0x7c010000
	s_mov_b32 s18, exec_lo
	s_delay_alu instid0(VALU_DEP_2)
	v_cmpx_ne_u32_e32 0x7f, v42
	s_cbranch_execz .LBB264_489
; %bb.486:                              ;   in Loop: Header=BB264_426 Depth=1
	v_and_b32_e32 v9, 7, v1
	v_lshrrev_b32_e32 v10, 3, v42
	s_mov_b32 s19, exec_lo
	v_cmpx_gt_u32_e32 8, v42
; %bb.487:                              ;   in Loop: Header=BB264_426 Depth=1
	s_delay_alu instid0(VALU_DEP_3) | instskip(NEXT) | instid1(VALU_DEP_1)
	v_clz_i32_u32_e32 v9, v9
	v_min_u32_e32 v42, 32, v9
	s_delay_alu instid0(VALU_DEP_1) | instskip(NEXT) | instid1(VALU_DEP_1)
	v_subrev_nc_u32_e32 v9, 28, v42
	v_lshlrev_b64_e32 v[9:10], v9, v[1:2]
	v_sub_nc_u32_e32 v10, 29, v42
	s_delay_alu instid0(VALU_DEP_2)
	v_and_b32_e32 v9, 7, v9
; %bb.488:                              ;   in Loop: Header=BB264_426 Depth=1
	s_wait_alu 0xfffe
	s_or_b32 exec_lo, exec_lo, s19
	v_lshlrev_b32_e32 v1, 8, v1
	v_lshl_add_u32 v10, v10, 10, 0x2000
	v_lshlrev_b32_e32 v9, 23, v9
	s_delay_alu instid0(VALU_DEP_2) | instskip(NEXT) | instid1(VALU_DEP_1)
	v_and_or_b32 v1, 0x8000, v1, v10
	v_lshl_or_b32 v9, v1, 16, v9
.LBB264_489:                            ;   in Loop: Header=BB264_426 Depth=1
	s_wait_alu 0xfffe
	s_or_b32 exec_lo, exec_lo, s18
.LBB264_490:                            ;   in Loop: Header=BB264_426 Depth=1
	s_wait_alu 0xfffe
	s_or_b32 exec_lo, exec_lo, s17
.LBB264_491:                            ;   in Loop: Header=BB264_426 Depth=1
	s_wait_alu 0xfffe
	s_or_b32 exec_lo, exec_lo, s0
	v_or_b32_e32 v1, v30, v26
	s_wait_loadcnt 0x0
	v_fma_mixlo_f16 v10, v27, v30, 0 op_sel:[0,1,0] op_sel_hi:[0,1,0]
	v_or_b32_e32 v29, v28, v29
	v_fma_mixlo_f16 v28, v27, v28, 0 op_sel:[0,1,0] op_sel_hi:[0,1,0]
	v_or_b32_e32 v30, v33, v32
	v_fma_mixlo_f16 v1, v27, v1, 0 op_sel_hi:[0,1,0]
	v_or_b32_e32 v31, v9, v31
	v_fma_mixlo_f16 v9, v27, v9, 0 op_sel:[0,1,0] op_sel_hi:[0,1,0]
	v_lshlrev_b32_e32 v48, 16, v28
	v_fma_mixlo_f16 v28, v27, v33, 0 op_sel:[0,1,0] op_sel_hi:[0,1,0]
	v_and_b32_e32 v45, 0xffff, v1
	v_fma_mixlo_f16 v1, v27, v29, 0 op_sel_hi:[0,1,0]
	v_fma_mixlo_f16 v29, v27, v30, 0 op_sel_hi:[0,1,0]
	v_fma_mixlo_f16 v27, v27, v31, 0 op_sel_hi:[0,1,0]
	v_add_nc_u32_e32 v26, v25, v14
	v_lshlrev_b32_e32 v10, 16, v10
	v_and_b32_e32 v50, 0xffff, v1
	v_lshlrev_b32_e32 v46, 16, v28
	v_and_b32_e32 v49, 0xffff, v29
	;; [unrolled: 2-line block ×3, first 2 shown]
	v_cmp_eq_u32_e32 vcc_lo, s36, v15
	v_or_b32_e32 v1, v10, v45
	v_or_b32_e32 v9, v48, v50
	;; [unrolled: 1-line block ×4, first 2 shown]
	v_add_nc_u32_e32 v33, 1, v26
	v_add_nc_u32_e32 v32, 2, v26
	;; [unrolled: 1-line block ×7, first 2 shown]
	s_and_saveexec_b32 s17, vcc_lo
	s_cbranch_execz .LBB264_493
; %bb.492:                              ;   in Loop: Header=BB264_426 Depth=1
	v_cmp_gt_i32_e64 s0, s34, v26
	s_wait_alu 0xf1ff
	s_delay_alu instid0(VALU_DEP_1) | instskip(SKIP_2) | instid1(VALU_DEP_1)
	v_cndmask_b32_e64 v1, 0, v50, s0
	v_cmp_gt_i32_e64 s0, s34, v33
	s_wait_alu 0xf1ff
	v_cndmask_b32_e64 v9, 0, v48, s0
	v_cmp_gt_i32_e64 s0, s34, v32
	s_delay_alu instid0(VALU_DEP_2) | instskip(SKIP_1) | instid1(VALU_DEP_2)
	v_or_b32_e32 v9, v9, v1
	s_wait_alu 0xf1ff
	v_cndmask_b32_e64 v42, 0, v45, s0
	v_cmp_gt_i32_e64 s0, s34, v31
	s_wait_alu 0xf1ff
	s_delay_alu instid0(VALU_DEP_1) | instskip(SKIP_1) | instid1(VALU_DEP_2)
	v_cndmask_b32_e64 v10, 0, v10, s0
	v_cmp_gt_i32_e64 s0, s34, v30
	v_or_b32_e32 v1, v10, v42
	s_wait_alu 0xf1ff
	s_delay_alu instid0(VALU_DEP_2) | instskip(SKIP_2) | instid1(VALU_DEP_1)
	v_cndmask_b32_e64 v44, 0, v49, s0
	v_cmp_gt_i32_e64 s0, s34, v29
	s_wait_alu 0xf1ff
	v_cndmask_b32_e64 v45, 0, v46, s0
	v_cmp_gt_i32_e64 s0, s34, v28
	s_delay_alu instid0(VALU_DEP_2) | instskip(SKIP_1) | instid1(VALU_DEP_2)
	v_or_b32_e32 v42, v45, v44
	s_wait_alu 0xf1ff
	v_cndmask_b32_e64 v46, 0, v47, s0
	v_cmp_gt_i32_e64 s0, s34, v27
	s_wait_alu 0xf1ff
	s_delay_alu instid0(VALU_DEP_1) | instskip(NEXT) | instid1(VALU_DEP_1)
	v_cndmask_b32_e64 v43, 0, v43, s0
	v_or_b32_e32 v44, v43, v46
.LBB264_493:                            ;   in Loop: Header=BB264_426 Depth=1
	s_wait_alu 0xfffe
	s_or_b32 exec_lo, exec_lo, s17
	v_and_b32_e32 v10, 0xffff, v34
	v_and_b32_e32 v34, 0xffff, v38
	;; [unrolled: 1-line block ×4, first 2 shown]
	s_mov_b32 s17, exec_lo
	s_delay_alu instid0(VALU_DEP_3) | instskip(NEXT) | instid1(VALU_DEP_3)
	v_lshl_or_b32 v38, v36, 16, v34
	v_lshl_or_b32 v36, v40, 16, v41
	v_mov_b32_e32 v41, 0
	v_lshl_or_b32 v39, v35, 16, v10
	;;#ASMSTART
	v_pk_mul_f16 v9, v39, v9;

	;;#ASMEND
	;;#ASMSTART
	v_pk_mul_f16 v1, v38, v1;

	;;#ASMEND
	v_lshl_or_b32 v37, v37, 16, v43
	;;#ASMSTART
	v_pk_mul_f16 v10, v37, v42;

	;;#ASMEND
	;;#ASMSTART
	v_pk_mul_f16 v34, v36, v44;

	;;#ASMEND
	;;#ASMSTART
	v_pk_add_f16 v1, v9, v1;

	;;#ASMEND
	;;#ASMSTART
	v_pk_add_f16 v1, v1, v10;

	;;#ASMEND
	;;#ASMSTART
	v_pk_add_f16 v1, v1, v34;

	;;#ASMEND
	v_and_b32_e32 v9, 0xffff, v1
	v_lshrrev_b32_e32 v1, 16, v1
	;;#ASMSTART
	v_cvt_f32_f16 v34, v9;
	;;#ASMEND
	;;#ASMSTART
	v_cvt_f32_f16 v35, v1;
	;;#ASMEND
	global_load_b64 v[9:10], v[7:8], off offset:256
	global_load_b32 v40, v41, s[10:11]
	s_wait_loadcnt 0x1
	v_dual_mov_b32 v42, 0 :: v_dual_and_b32 v1, 0xff, v9
	s_delay_alu instid0(VALU_DEP_1)
	v_cmpx_ne_u16_e32 0, v1
	s_cbranch_execz .LBB264_501
; %bb.494:                              ;   in Loop: Header=BB264_426 Depth=1
	v_mov_b32_e32 v42, 0x8000
	s_mov_b32 s18, exec_lo
	v_cmpx_ne_u16_e32 0x80, v1
	s_cbranch_execz .LBB264_500
; %bb.495:                              ;   in Loop: Header=BB264_426 Depth=1
	v_and_b32_e32 v43, 0x7f, v9
	v_mov_b32_e32 v42, 0x7c01
	s_mov_b32 s19, exec_lo
	s_delay_alu instid0(VALU_DEP_2)
	v_cmpx_ne_u32_e32 0x7f, v43
	s_cbranch_execz .LBB264_499
; %bb.496:                              ;   in Loop: Header=BB264_426 Depth=1
	v_and_b32_e32 v1, 7, v9
	v_lshrrev_b32_e32 v42, 3, v43
	s_mov_b32 s24, exec_lo
	v_cmpx_gt_u32_e32 8, v43
; %bb.497:                              ;   in Loop: Header=BB264_426 Depth=1
	s_delay_alu instid0(VALU_DEP_3) | instskip(NEXT) | instid1(VALU_DEP_1)
	v_clz_i32_u32_e32 v1, v1
	v_min_u32_e32 v1, 32, v1
	s_delay_alu instid0(VALU_DEP_1) | instskip(NEXT) | instid1(VALU_DEP_1)
	v_subrev_nc_u32_e32 v42, 28, v1
	v_lshlrev_b64_e32 v[43:44], v42, v[9:10]
	v_sub_nc_u32_e32 v42, 29, v1
	s_delay_alu instid0(VALU_DEP_2)
	v_and_b32_e32 v1, 7, v43
; %bb.498:                              ;   in Loop: Header=BB264_426 Depth=1
	s_wait_alu 0xfffe
	s_or_b32 exec_lo, exec_lo, s24
	v_lshlrev_b32_e32 v43, 8, v9
	v_lshl_add_u32 v42, v42, 10, 0x2000
	v_lshlrev_b32_e32 v1, 7, v1
	s_delay_alu instid0(VALU_DEP_3) | instskip(NEXT) | instid1(VALU_DEP_3)
	v_and_b32_e32 v43, 0x8000, v43
	v_and_b32_e32 v42, 0xfc00, v42
	s_delay_alu instid0(VALU_DEP_1)
	v_or3_b32 v42, v43, v42, v1
.LBB264_499:                            ;   in Loop: Header=BB264_426 Depth=1
	s_wait_alu 0xfffe
	s_or_b32 exec_lo, exec_lo, s19
.LBB264_500:                            ;   in Loop: Header=BB264_426 Depth=1
	s_wait_alu 0xfffe
	s_or_b32 exec_lo, exec_lo, s18
.LBB264_501:                            ;   in Loop: Header=BB264_426 Depth=1
	s_wait_alu 0xfffe
	s_or_b32 exec_lo, exec_lo, s17
	v_lshrrev_b16 v1, 8, v9
	s_mov_b32 s17, exec_lo
	s_delay_alu instid0(VALU_DEP_1)
	v_cmpx_ne_u16_e32 0, v1
	s_cbranch_execz .LBB264_509
; %bb.502:                              ;   in Loop: Header=BB264_426 Depth=1
	v_bfrev_b32_e32 v41, 1
	s_mov_b32 s18, exec_lo
	v_cmpx_ne_u16_e32 0x80, v1
	s_cbranch_execz .LBB264_508
; %bb.503:                              ;   in Loop: Header=BB264_426 Depth=1
	v_and_b32_e32 v43, 0xffff, v1
	v_mov_b32_e32 v41, 0x7c010000
	s_mov_b32 s19, exec_lo
	s_delay_alu instid0(VALU_DEP_2) | instskip(NEXT) | instid1(VALU_DEP_1)
	v_and_b32_e32 v45, 0x7f, v43
	v_cmpx_ne_u32_e32 0x7f, v45
	s_cbranch_execz .LBB264_507
; %bb.504:                              ;   in Loop: Header=BB264_426 Depth=1
	v_and_b32_e32 v41, 7, v43
	v_lshrrev_b32_e32 v44, 3, v45
	s_mov_b32 s24, exec_lo
	v_cmpx_gt_u32_e32 8, v45
; %bb.505:                              ;   in Loop: Header=BB264_426 Depth=1
	s_delay_alu instid0(VALU_DEP_3) | instskip(NEXT) | instid1(VALU_DEP_1)
	v_clz_i32_u32_e32 v41, v41
	v_min_u32_e32 v41, 32, v41
	s_delay_alu instid0(VALU_DEP_1) | instskip(NEXT) | instid1(VALU_DEP_1)
	v_subrev_nc_u32_e32 v44, 28, v41
	v_lshlrev_b64_e32 v[45:46], v44, v[1:2]
	v_sub_nc_u32_e32 v44, 29, v41
	s_delay_alu instid0(VALU_DEP_2)
	v_and_b32_e32 v41, 7, v45
; %bb.506:                              ;   in Loop: Header=BB264_426 Depth=1
	s_wait_alu 0xfffe
	s_or_b32 exec_lo, exec_lo, s24
	v_lshlrev_b32_e32 v1, 8, v43
	v_lshl_add_u32 v43, v44, 10, 0x2000
	v_lshlrev_b32_e32 v41, 23, v41
	s_delay_alu instid0(VALU_DEP_2) | instskip(NEXT) | instid1(VALU_DEP_1)
	v_and_or_b32 v1, 0x8000, v1, v43
	v_lshl_or_b32 v41, v1, 16, v41
.LBB264_507:                            ;   in Loop: Header=BB264_426 Depth=1
	s_wait_alu 0xfffe
	s_or_b32 exec_lo, exec_lo, s19
.LBB264_508:                            ;   in Loop: Header=BB264_426 Depth=1
	s_wait_alu 0xfffe
	s_or_b32 exec_lo, exec_lo, s18
.LBB264_509:                            ;   in Loop: Header=BB264_426 Depth=1
	s_wait_alu 0xfffe
	s_or_b32 exec_lo, exec_lo, s17
	v_lshrrev_b32_e32 v1, 16, v9
	v_mov_b32_e32 v43, 0
	s_mov_b32 s17, exec_lo
	s_delay_alu instid0(VALU_DEP_2) | instskip(NEXT) | instid1(VALU_DEP_1)
	v_dual_mov_b32 v44, 0 :: v_dual_and_b32 v45, 0xff, v1
	v_cmpx_ne_u16_e32 0, v45
	s_cbranch_execz .LBB264_517
; %bb.510:                              ;   in Loop: Header=BB264_426 Depth=1
	v_mov_b32_e32 v44, 0x8000
	s_mov_b32 s18, exec_lo
	v_cmpx_ne_u16_e32 0x80, v45
	s_cbranch_execz .LBB264_516
; %bb.511:                              ;   in Loop: Header=BB264_426 Depth=1
	v_bfe_u32 v46, v9, 16, 7
	v_mov_b32_e32 v44, 0x7c01
	s_mov_b32 s19, exec_lo
	s_delay_alu instid0(VALU_DEP_2)
	v_cmpx_ne_u32_e32 0x7f, v46
	s_cbranch_execz .LBB264_515
; %bb.512:                              ;   in Loop: Header=BB264_426 Depth=1
	v_and_b32_e32 v44, 7, v1
	v_lshrrev_b32_e32 v45, 3, v46
	s_mov_b32 s24, exec_lo
	v_cmpx_gt_u32_e32 8, v46
; %bb.513:                              ;   in Loop: Header=BB264_426 Depth=1
	s_delay_alu instid0(VALU_DEP_3) | instskip(NEXT) | instid1(VALU_DEP_1)
	v_clz_i32_u32_e32 v44, v44
	v_min_u32_e32 v46, 32, v44
	s_delay_alu instid0(VALU_DEP_1) | instskip(NEXT) | instid1(VALU_DEP_1)
	v_subrev_nc_u32_e32 v44, 28, v46
	v_lshlrev_b64_e32 v[44:45], v44, v[1:2]
	v_sub_nc_u32_e32 v45, 29, v46
	s_delay_alu instid0(VALU_DEP_2)
	v_and_b32_e32 v44, 7, v44
; %bb.514:                              ;   in Loop: Header=BB264_426 Depth=1
	s_wait_alu 0xfffe
	s_or_b32 exec_lo, exec_lo, s24
	v_lshlrev_b32_e32 v1, 8, v1
	v_lshl_add_u32 v45, v45, 10, 0x2000
	v_lshlrev_b32_e32 v44, 7, v44
	s_delay_alu instid0(VALU_DEP_3) | instskip(NEXT) | instid1(VALU_DEP_3)
	v_and_b32_e32 v1, 0x8000, v1
	v_and_b32_e32 v45, 0xfc00, v45
	s_delay_alu instid0(VALU_DEP_1)
	v_or3_b32 v44, v1, v45, v44
.LBB264_515:                            ;   in Loop: Header=BB264_426 Depth=1
	s_wait_alu 0xfffe
	s_or_b32 exec_lo, exec_lo, s19
.LBB264_516:                            ;   in Loop: Header=BB264_426 Depth=1
	s_wait_alu 0xfffe
	s_or_b32 exec_lo, exec_lo, s18
.LBB264_517:                            ;   in Loop: Header=BB264_426 Depth=1
	s_wait_alu 0xfffe
	s_or_b32 exec_lo, exec_lo, s17
	s_delay_alu instid0(SALU_CYCLE_1)
	s_mov_b32 s17, exec_lo
	v_cmpx_lt_u32_e32 0xffffff, v9
	s_cbranch_execz .LBB264_525
; %bb.518:                              ;   in Loop: Header=BB264_426 Depth=1
	v_lshrrev_b32_e32 v1, 24, v9
	v_bfrev_b32_e32 v43, 1
	s_mov_b32 s18, exec_lo
	s_delay_alu instid0(VALU_DEP_2)
	v_cmpx_ne_u32_e32 0x80, v1
	s_cbranch_execz .LBB264_524
; %bb.519:                              ;   in Loop: Header=BB264_426 Depth=1
	v_and_b32_e32 v46, 0x7f, v1
	v_mov_b32_e32 v43, 0x7c010000
	s_mov_b32 s19, exec_lo
	s_delay_alu instid0(VALU_DEP_2)
	v_cmpx_ne_u32_e32 0x7f, v46
	s_cbranch_execz .LBB264_523
; %bb.520:                              ;   in Loop: Header=BB264_426 Depth=1
	v_and_b32_e32 v43, 7, v1
	v_lshrrev_b32_e32 v45, 3, v46
	s_mov_b32 s24, exec_lo
	v_cmpx_gt_u32_e32 8, v46
; %bb.521:                              ;   in Loop: Header=BB264_426 Depth=1
	s_delay_alu instid0(VALU_DEP_3) | instskip(NEXT) | instid1(VALU_DEP_1)
	v_clz_i32_u32_e32 v43, v43
	v_min_u32_e32 v43, 32, v43
	s_delay_alu instid0(VALU_DEP_1) | instskip(NEXT) | instid1(VALU_DEP_1)
	v_subrev_nc_u32_e32 v45, 28, v43
	v_lshlrev_b64_e32 v[46:47], v45, v[1:2]
	v_sub_nc_u32_e32 v45, 29, v43
	s_delay_alu instid0(VALU_DEP_2)
	v_and_b32_e32 v43, 7, v46
; %bb.522:                              ;   in Loop: Header=BB264_426 Depth=1
	s_wait_alu 0xfffe
	s_or_b32 exec_lo, exec_lo, s24
	v_lshlrev_b32_e32 v1, 8, v1
	v_lshl_add_u32 v45, v45, 10, 0x2000
	v_lshlrev_b32_e32 v43, 23, v43
	s_delay_alu instid0(VALU_DEP_2) | instskip(NEXT) | instid1(VALU_DEP_1)
	v_and_or_b32 v1, 0x8000, v1, v45
	v_lshl_or_b32 v43, v1, 16, v43
.LBB264_523:                            ;   in Loop: Header=BB264_426 Depth=1
	s_wait_alu 0xfffe
	s_or_b32 exec_lo, exec_lo, s19
.LBB264_524:                            ;   in Loop: Header=BB264_426 Depth=1
	s_wait_alu 0xfffe
	s_or_b32 exec_lo, exec_lo, s18
.LBB264_525:                            ;   in Loop: Header=BB264_426 Depth=1
	s_wait_alu 0xfffe
	s_or_b32 exec_lo, exec_lo, s17
	v_dual_mov_b32 v46, 0 :: v_dual_and_b32 v47, 0xff, v10
	v_mov_b32_e32 v1, v10
	v_mov_b32_e32 v45, 0
	s_mov_b32 s17, exec_lo
	s_delay_alu instid0(VALU_DEP_3)
	v_cmpx_ne_u16_e32 0, v47
	s_cbranch_execz .LBB264_533
; %bb.526:                              ;   in Loop: Header=BB264_426 Depth=1
	v_mov_b32_e32 v46, 0x8000
	s_mov_b32 s18, exec_lo
	v_cmpx_ne_u16_e32 0x80, v47
	s_cbranch_execz .LBB264_532
; %bb.527:                              ;   in Loop: Header=BB264_426 Depth=1
	v_and_b32_e32 v48, 0x7f, v10
	v_mov_b32_e32 v46, 0x7c01
	s_mov_b32 s19, exec_lo
	s_delay_alu instid0(VALU_DEP_2)
	v_cmpx_ne_u32_e32 0x7f, v48
	s_cbranch_execz .LBB264_531
; %bb.528:                              ;   in Loop: Header=BB264_426 Depth=1
	v_and_b32_e32 v46, 7, v10
	v_lshrrev_b32_e32 v47, 3, v48
	s_mov_b32 s24, exec_lo
	v_cmpx_gt_u32_e32 8, v48
; %bb.529:                              ;   in Loop: Header=BB264_426 Depth=1
	s_delay_alu instid0(VALU_DEP_3) | instskip(NEXT) | instid1(VALU_DEP_1)
	v_clz_i32_u32_e32 v46, v46
	v_min_u32_e32 v48, 32, v46
	s_delay_alu instid0(VALU_DEP_1) | instskip(NEXT) | instid1(VALU_DEP_1)
	v_subrev_nc_u32_e32 v46, 28, v48
	v_lshlrev_b64_e32 v[46:47], v46, v[1:2]
	v_sub_nc_u32_e32 v47, 29, v48
	s_delay_alu instid0(VALU_DEP_2)
	v_and_b32_e32 v46, 7, v46
; %bb.530:                              ;   in Loop: Header=BB264_426 Depth=1
	s_wait_alu 0xfffe
	s_or_b32 exec_lo, exec_lo, s24
	v_lshlrev_b32_e32 v48, 8, v10
	v_lshl_add_u32 v47, v47, 10, 0x2000
	v_lshlrev_b32_e32 v46, 7, v46
	s_delay_alu instid0(VALU_DEP_3) | instskip(NEXT) | instid1(VALU_DEP_3)
	v_and_b32_e32 v48, 0x8000, v48
	v_and_b32_e32 v47, 0xfc00, v47
	s_delay_alu instid0(VALU_DEP_1)
	v_or3_b32 v46, v48, v47, v46
.LBB264_531:                            ;   in Loop: Header=BB264_426 Depth=1
	s_wait_alu 0xfffe
	s_or_b32 exec_lo, exec_lo, s19
.LBB264_532:                            ;   in Loop: Header=BB264_426 Depth=1
	s_wait_alu 0xfffe
	s_or_b32 exec_lo, exec_lo, s18
.LBB264_533:                            ;   in Loop: Header=BB264_426 Depth=1
	s_wait_alu 0xfffe
	s_or_b32 exec_lo, exec_lo, s17
	v_lshrrev_b16 v1, 8, v1
	v_mov_b32_e32 v47, 0
	s_mov_b32 s17, exec_lo
	s_delay_alu instid0(VALU_DEP_2)
	v_cmpx_ne_u16_e32 0, v1
	s_cbranch_execz .LBB264_541
; %bb.534:                              ;   in Loop: Header=BB264_426 Depth=1
	v_bfrev_b32_e32 v47, 1
	s_mov_b32 s18, exec_lo
	v_cmpx_ne_u16_e32 0x80, v1
	s_cbranch_execz .LBB264_540
; %bb.535:                              ;   in Loop: Header=BB264_426 Depth=1
	v_and_b32_e32 v48, 0xffff, v1
	v_mov_b32_e32 v47, 0x7c010000
	s_mov_b32 s19, exec_lo
	s_delay_alu instid0(VALU_DEP_2) | instskip(NEXT) | instid1(VALU_DEP_1)
	v_and_b32_e32 v50, 0x7f, v48
	v_cmpx_ne_u32_e32 0x7f, v50
	s_cbranch_execz .LBB264_539
; %bb.536:                              ;   in Loop: Header=BB264_426 Depth=1
	v_and_b32_e32 v47, 7, v48
	v_lshrrev_b32_e32 v49, 3, v50
	s_mov_b32 s24, exec_lo
	v_cmpx_gt_u32_e32 8, v50
; %bb.537:                              ;   in Loop: Header=BB264_426 Depth=1
	s_delay_alu instid0(VALU_DEP_3) | instskip(NEXT) | instid1(VALU_DEP_1)
	v_clz_i32_u32_e32 v47, v47
	v_min_u32_e32 v47, 32, v47
	s_delay_alu instid0(VALU_DEP_1) | instskip(NEXT) | instid1(VALU_DEP_1)
	v_subrev_nc_u32_e32 v49, 28, v47
	v_lshlrev_b64_e32 v[50:51], v49, v[1:2]
	v_sub_nc_u32_e32 v49, 29, v47
	s_delay_alu instid0(VALU_DEP_2)
	v_and_b32_e32 v47, 7, v50
; %bb.538:                              ;   in Loop: Header=BB264_426 Depth=1
	s_wait_alu 0xfffe
	s_or_b32 exec_lo, exec_lo, s24
	v_lshlrev_b32_e32 v1, 8, v48
	v_lshl_add_u32 v48, v49, 10, 0x2000
	v_lshlrev_b32_e32 v47, 23, v47
	s_delay_alu instid0(VALU_DEP_2) | instskip(NEXT) | instid1(VALU_DEP_1)
	v_and_or_b32 v1, 0x8000, v1, v48
	v_lshl_or_b32 v47, v1, 16, v47
.LBB264_539:                            ;   in Loop: Header=BB264_426 Depth=1
	s_wait_alu 0xfffe
	s_or_b32 exec_lo, exec_lo, s19
.LBB264_540:                            ;   in Loop: Header=BB264_426 Depth=1
	s_wait_alu 0xfffe
	s_or_b32 exec_lo, exec_lo, s18
.LBB264_541:                            ;   in Loop: Header=BB264_426 Depth=1
	s_wait_alu 0xfffe
	s_or_b32 exec_lo, exec_lo, s17
	v_lshrrev_b32_e32 v1, 16, v10
	s_mov_b32 s17, exec_lo
	s_delay_alu instid0(VALU_DEP_1) | instskip(NEXT) | instid1(VALU_DEP_1)
	v_and_b32_e32 v48, 0xff, v1
	v_cmpx_ne_u16_e32 0, v48
	s_cbranch_execz .LBB264_549
; %bb.542:                              ;   in Loop: Header=BB264_426 Depth=1
	v_mov_b32_e32 v45, 0x8000
	s_mov_b32 s18, exec_lo
	v_cmpx_ne_u16_e32 0x80, v48
	s_cbranch_execz .LBB264_548
; %bb.543:                              ;   in Loop: Header=BB264_426 Depth=1
	v_bfe_u32 v49, v10, 16, 7
	v_mov_b32_e32 v45, 0x7c01
	s_mov_b32 s19, exec_lo
	s_delay_alu instid0(VALU_DEP_2)
	v_cmpx_ne_u32_e32 0x7f, v49
	s_cbranch_execz .LBB264_547
; %bb.544:                              ;   in Loop: Header=BB264_426 Depth=1
	v_and_b32_e32 v45, 7, v1
	v_lshrrev_b32_e32 v48, 3, v49
	s_mov_b32 s24, exec_lo
	v_cmpx_gt_u32_e32 8, v49
; %bb.545:                              ;   in Loop: Header=BB264_426 Depth=1
	s_delay_alu instid0(VALU_DEP_3) | instskip(NEXT) | instid1(VALU_DEP_1)
	v_clz_i32_u32_e32 v45, v45
	v_min_u32_e32 v45, 32, v45
	s_delay_alu instid0(VALU_DEP_1) | instskip(NEXT) | instid1(VALU_DEP_1)
	v_subrev_nc_u32_e32 v48, 28, v45
	v_lshlrev_b64_e32 v[49:50], v48, v[1:2]
	v_sub_nc_u32_e32 v48, 29, v45
	s_delay_alu instid0(VALU_DEP_2)
	v_and_b32_e32 v45, 7, v49
; %bb.546:                              ;   in Loop: Header=BB264_426 Depth=1
	s_wait_alu 0xfffe
	s_or_b32 exec_lo, exec_lo, s24
	v_lshlrev_b32_e32 v1, 8, v1
	v_lshl_add_u32 v48, v48, 10, 0x2000
	v_lshlrev_b32_e32 v45, 7, v45
	s_delay_alu instid0(VALU_DEP_3) | instskip(NEXT) | instid1(VALU_DEP_3)
	v_and_b32_e32 v1, 0x8000, v1
	v_and_b32_e32 v48, 0xfc00, v48
	s_delay_alu instid0(VALU_DEP_1)
	v_or3_b32 v45, v1, v48, v45
.LBB264_547:                            ;   in Loop: Header=BB264_426 Depth=1
	s_wait_alu 0xfffe
	s_or_b32 exec_lo, exec_lo, s19
.LBB264_548:                            ;   in Loop: Header=BB264_426 Depth=1
	s_wait_alu 0xfffe
	s_or_b32 exec_lo, exec_lo, s18
.LBB264_549:                            ;   in Loop: Header=BB264_426 Depth=1
	s_wait_alu 0xfffe
	s_or_b32 exec_lo, exec_lo, s17
	v_cmp_lt_u64_e64 s0, s[2:3], v[9:10]
	v_mov_b32_e32 v9, 0
	s_and_saveexec_b32 s17, s0
	s_cbranch_execz .LBB264_557
; %bb.550:                              ;   in Loop: Header=BB264_426 Depth=1
	v_lshrrev_b32_e32 v1, 24, v10
	v_bfrev_b32_e32 v9, 1
	s_mov_b32 s18, exec_lo
	s_delay_alu instid0(VALU_DEP_2)
	v_cmpx_ne_u32_e32 0x80, v1
	s_cbranch_execz .LBB264_556
; %bb.551:                              ;   in Loop: Header=BB264_426 Depth=1
	v_and_b32_e32 v48, 0x7f, v1
	v_mov_b32_e32 v9, 0x7c010000
	s_mov_b32 s19, exec_lo
	s_delay_alu instid0(VALU_DEP_2)
	v_cmpx_ne_u32_e32 0x7f, v48
	s_cbranch_execz .LBB264_555
; %bb.552:                              ;   in Loop: Header=BB264_426 Depth=1
	v_and_b32_e32 v9, 7, v1
	v_lshrrev_b32_e32 v10, 3, v48
	s_mov_b32 s24, exec_lo
	v_cmpx_gt_u32_e32 8, v48
; %bb.553:                              ;   in Loop: Header=BB264_426 Depth=1
	s_delay_alu instid0(VALU_DEP_3) | instskip(NEXT) | instid1(VALU_DEP_1)
	v_clz_i32_u32_e32 v9, v9
	v_min_u32_e32 v48, 32, v9
	s_delay_alu instid0(VALU_DEP_1) | instskip(NEXT) | instid1(VALU_DEP_1)
	v_subrev_nc_u32_e32 v9, 28, v48
	v_lshlrev_b64_e32 v[9:10], v9, v[1:2]
	v_sub_nc_u32_e32 v10, 29, v48
	s_delay_alu instid0(VALU_DEP_2)
	v_and_b32_e32 v9, 7, v9
; %bb.554:                              ;   in Loop: Header=BB264_426 Depth=1
	s_wait_alu 0xfffe
	s_or_b32 exec_lo, exec_lo, s24
	v_lshlrev_b32_e32 v1, 8, v1
	v_lshl_add_u32 v10, v10, 10, 0x2000
	v_lshlrev_b32_e32 v9, 23, v9
	s_delay_alu instid0(VALU_DEP_2) | instskip(NEXT) | instid1(VALU_DEP_1)
	v_and_or_b32 v1, 0x8000, v1, v10
	v_lshl_or_b32 v9, v1, 16, v9
.LBB264_555:                            ;   in Loop: Header=BB264_426 Depth=1
	s_wait_alu 0xfffe
	s_or_b32 exec_lo, exec_lo, s19
.LBB264_556:                            ;   in Loop: Header=BB264_426 Depth=1
	s_wait_alu 0xfffe
	s_or_b32 exec_lo, exec_lo, s18
.LBB264_557:                            ;   in Loop: Header=BB264_426 Depth=1
	s_wait_alu 0xfffe
	s_or_b32 exec_lo, exec_lo, s17
	v_or_b32_e32 v1, v43, v44
	s_wait_loadcnt 0x0
	v_fma_mixlo_f16 v10, v40, v43, 0 op_sel:[0,1,0] op_sel_hi:[0,1,0]
	v_or_b32_e32 v43, v41, v42
	v_fma_mixlo_f16 v41, v40, v41, 0 op_sel:[0,1,0] op_sel_hi:[0,1,0]
	v_or_b32_e32 v44, v47, v46
	v_or_b32_e32 v45, v9, v45
	v_fma_mixlo_f16 v46, v40, v1, 0 op_sel_hi:[0,1,0]
	v_fma_mixlo_f16 v9, v40, v9, 0 op_sel:[0,1,0] op_sel_hi:[0,1,0]
	v_lshlrev_b32_e32 v42, 16, v41
	v_fma_mixlo_f16 v41, v40, v43, 0 op_sel_hi:[0,1,0]
	v_fma_mixlo_f16 v43, v40, v47, 0 op_sel:[0,1,0] op_sel_hi:[0,1,0]
	v_fma_mixlo_f16 v44, v40, v44, 0 op_sel_hi:[0,1,0]
	v_fma_mixlo_f16 v45, v40, v45, 0 op_sel_hi:[0,1,0]
	v_lshlrev_b32_e32 v1, 16, v10
	v_and_b32_e32 v10, 0xffff, v46
	v_and_b32_e32 v48, 0xffff, v41
	v_lshlrev_b32_e32 v40, 16, v43
	v_and_b32_e32 v44, 0xffff, v44
	v_lshlrev_b32_e32 v9, 16, v9
	v_and_b32_e32 v41, 0xffff, v45
	v_or_b32_e32 v43, v1, v10
	v_or_b32_e32 v47, v42, v48
	;; [unrolled: 1-line block ×3, first 2 shown]
	s_delay_alu instid0(VALU_DEP_4)
	v_or_b32_e32 v45, v9, v41
	s_and_saveexec_b32 s17, vcc_lo
	s_cbranch_execz .LBB264_559
; %bb.558:                              ;   in Loop: Header=BB264_426 Depth=1
	v_cmp_gt_i32_e64 s0, s34, v26
	s_wait_alu 0xf1ff
	s_delay_alu instid0(VALU_DEP_1) | instskip(SKIP_2) | instid1(VALU_DEP_1)
	v_cndmask_b32_e64 v43, 0, v48, s0
	v_cmp_gt_i32_e64 s0, s34, v33
	s_wait_alu 0xf1ff
	v_cndmask_b32_e64 v42, 0, v42, s0
	v_cmp_gt_i32_e64 s0, s34, v32
	s_delay_alu instid0(VALU_DEP_2) | instskip(SKIP_1) | instid1(VALU_DEP_2)
	v_or_b32_e32 v47, v42, v43
	s_wait_alu 0xf1ff
	v_cndmask_b32_e64 v10, 0, v10, s0
	v_cmp_gt_i32_e64 s0, s34, v31
	s_wait_alu 0xf1ff
	s_delay_alu instid0(VALU_DEP_1) | instskip(SKIP_1) | instid1(VALU_DEP_2)
	v_cndmask_b32_e64 v1, 0, v1, s0
	v_cmp_gt_i32_e64 s0, s34, v30
	v_or_b32_e32 v43, v1, v10
	s_wait_alu 0xf1ff
	s_delay_alu instid0(VALU_DEP_2) | instskip(SKIP_2) | instid1(VALU_DEP_1)
	v_cndmask_b32_e64 v44, 0, v44, s0
	v_cmp_gt_i32_e64 s0, s34, v29
	s_wait_alu 0xf1ff
	v_cndmask_b32_e64 v40, 0, v40, s0
	v_cmp_gt_i32_e64 s0, s34, v28
	s_delay_alu instid0(VALU_DEP_2) | instskip(SKIP_1) | instid1(VALU_DEP_2)
	v_or_b32_e32 v46, v40, v44
	s_wait_alu 0xf1ff
	v_cndmask_b32_e64 v41, 0, v41, s0
	v_cmp_gt_i32_e64 s0, s34, v27
	s_wait_alu 0xf1ff
	s_delay_alu instid0(VALU_DEP_1) | instskip(NEXT) | instid1(VALU_DEP_1)
	v_cndmask_b32_e64 v9, 0, v9, s0
	v_or_b32_e32 v45, v9, v41
.LBB264_559:                            ;   in Loop: Header=BB264_426 Depth=1
	s_wait_alu 0xfffe
	s_or_b32 exec_lo, exec_lo, s17
	;;#ASMSTART
	v_pk_mul_f16 v1, v39, v47;

	;;#ASMEND
	;;#ASMSTART
	v_pk_mul_f16 v9, v38, v43;

	;;#ASMEND
	;; [unrolled: 4-line block ×4, first 2 shown]
	;;#ASMSTART
	v_pk_add_f16 v1, v1, v9;

	;;#ASMEND
	;;#ASMSTART
	v_pk_add_f16 v1, v1, v10;

	;;#ASMEND
	;; [unrolled: 4-line block ×3, first 2 shown]
	v_dual_mov_b32 v44, 0 :: v_dual_and_b32 v9, 0xffff, v1
	v_lshrrev_b32_e32 v1, 16, v1
	;;#ASMSTART
	v_cvt_f32_f16 v40, v9;
	;;#ASMEND
	;;#ASMSTART
	v_cvt_f32_f16 v41, v1;
	;;#ASMEND
	global_load_b64 v[9:10], v[7:8], off offset:512
	v_mov_b32_e32 v43, 0
	s_mov_b32 s17, exec_lo
	global_load_b32 v42, v43, s[10:11]
	s_wait_loadcnt 0x1
	v_and_b32_e32 v1, 0xff, v9
	s_delay_alu instid0(VALU_DEP_1)
	v_cmpx_ne_u16_e32 0, v1
	s_cbranch_execz .LBB264_567
; %bb.560:                              ;   in Loop: Header=BB264_426 Depth=1
	v_mov_b32_e32 v44, 0x8000
	s_mov_b32 s18, exec_lo
	v_cmpx_ne_u16_e32 0x80, v1
	s_cbranch_execz .LBB264_566
; %bb.561:                              ;   in Loop: Header=BB264_426 Depth=1
	v_and_b32_e32 v45, 0x7f, v9
	v_mov_b32_e32 v44, 0x7c01
	s_mov_b32 s19, exec_lo
	s_delay_alu instid0(VALU_DEP_2)
	v_cmpx_ne_u32_e32 0x7f, v45
	s_cbranch_execz .LBB264_565
; %bb.562:                              ;   in Loop: Header=BB264_426 Depth=1
	v_and_b32_e32 v1, 7, v9
	v_lshrrev_b32_e32 v44, 3, v45
	s_mov_b32 s24, exec_lo
	v_cmpx_gt_u32_e32 8, v45
; %bb.563:                              ;   in Loop: Header=BB264_426 Depth=1
	s_delay_alu instid0(VALU_DEP_3) | instskip(NEXT) | instid1(VALU_DEP_1)
	v_clz_i32_u32_e32 v1, v1
	v_min_u32_e32 v1, 32, v1
	s_delay_alu instid0(VALU_DEP_1) | instskip(NEXT) | instid1(VALU_DEP_1)
	v_subrev_nc_u32_e32 v44, 28, v1
	v_lshlrev_b64_e32 v[45:46], v44, v[9:10]
	v_sub_nc_u32_e32 v44, 29, v1
	s_delay_alu instid0(VALU_DEP_2)
	v_and_b32_e32 v1, 7, v45
; %bb.564:                              ;   in Loop: Header=BB264_426 Depth=1
	s_wait_alu 0xfffe
	s_or_b32 exec_lo, exec_lo, s24
	v_lshlrev_b32_e32 v45, 8, v9
	v_lshl_add_u32 v44, v44, 10, 0x2000
	v_lshlrev_b32_e32 v1, 7, v1
	s_delay_alu instid0(VALU_DEP_3) | instskip(NEXT) | instid1(VALU_DEP_3)
	v_and_b32_e32 v45, 0x8000, v45
	v_and_b32_e32 v44, 0xfc00, v44
	s_delay_alu instid0(VALU_DEP_1)
	v_or3_b32 v44, v45, v44, v1
.LBB264_565:                            ;   in Loop: Header=BB264_426 Depth=1
	s_wait_alu 0xfffe
	s_or_b32 exec_lo, exec_lo, s19
.LBB264_566:                            ;   in Loop: Header=BB264_426 Depth=1
	s_wait_alu 0xfffe
	s_or_b32 exec_lo, exec_lo, s18
.LBB264_567:                            ;   in Loop: Header=BB264_426 Depth=1
	s_wait_alu 0xfffe
	s_or_b32 exec_lo, exec_lo, s17
	v_lshrrev_b16 v1, 8, v9
	s_mov_b32 s17, exec_lo
	s_delay_alu instid0(VALU_DEP_1)
	v_cmpx_ne_u16_e32 0, v1
	s_cbranch_execz .LBB264_575
; %bb.568:                              ;   in Loop: Header=BB264_426 Depth=1
	v_bfrev_b32_e32 v43, 1
	s_mov_b32 s18, exec_lo
	v_cmpx_ne_u16_e32 0x80, v1
	s_cbranch_execz .LBB264_574
; %bb.569:                              ;   in Loop: Header=BB264_426 Depth=1
	v_and_b32_e32 v45, 0xffff, v1
	v_mov_b32_e32 v43, 0x7c010000
	s_mov_b32 s19, exec_lo
	s_delay_alu instid0(VALU_DEP_2) | instskip(NEXT) | instid1(VALU_DEP_1)
	v_and_b32_e32 v47, 0x7f, v45
	v_cmpx_ne_u32_e32 0x7f, v47
	s_cbranch_execz .LBB264_573
; %bb.570:                              ;   in Loop: Header=BB264_426 Depth=1
	v_and_b32_e32 v43, 7, v45
	v_lshrrev_b32_e32 v46, 3, v47
	s_mov_b32 s24, exec_lo
	v_cmpx_gt_u32_e32 8, v47
; %bb.571:                              ;   in Loop: Header=BB264_426 Depth=1
	s_delay_alu instid0(VALU_DEP_3) | instskip(NEXT) | instid1(VALU_DEP_1)
	v_clz_i32_u32_e32 v43, v43
	v_min_u32_e32 v43, 32, v43
	s_delay_alu instid0(VALU_DEP_1) | instskip(NEXT) | instid1(VALU_DEP_1)
	v_subrev_nc_u32_e32 v46, 28, v43
	v_lshlrev_b64_e32 v[47:48], v46, v[1:2]
	v_sub_nc_u32_e32 v46, 29, v43
	s_delay_alu instid0(VALU_DEP_2)
	v_and_b32_e32 v43, 7, v47
; %bb.572:                              ;   in Loop: Header=BB264_426 Depth=1
	s_wait_alu 0xfffe
	s_or_b32 exec_lo, exec_lo, s24
	v_lshlrev_b32_e32 v1, 8, v45
	v_lshl_add_u32 v45, v46, 10, 0x2000
	v_lshlrev_b32_e32 v43, 23, v43
	s_delay_alu instid0(VALU_DEP_2) | instskip(NEXT) | instid1(VALU_DEP_1)
	v_and_or_b32 v1, 0x8000, v1, v45
	v_lshl_or_b32 v43, v1, 16, v43
.LBB264_573:                            ;   in Loop: Header=BB264_426 Depth=1
	s_wait_alu 0xfffe
	s_or_b32 exec_lo, exec_lo, s19
.LBB264_574:                            ;   in Loop: Header=BB264_426 Depth=1
	s_wait_alu 0xfffe
	s_or_b32 exec_lo, exec_lo, s18
.LBB264_575:                            ;   in Loop: Header=BB264_426 Depth=1
	s_wait_alu 0xfffe
	s_or_b32 exec_lo, exec_lo, s17
	v_lshrrev_b32_e32 v1, 16, v9
	v_mov_b32_e32 v45, 0
	s_mov_b32 s17, exec_lo
	s_delay_alu instid0(VALU_DEP_2) | instskip(NEXT) | instid1(VALU_DEP_1)
	v_dual_mov_b32 v46, 0 :: v_dual_and_b32 v47, 0xff, v1
	v_cmpx_ne_u16_e32 0, v47
	s_cbranch_execz .LBB264_583
; %bb.576:                              ;   in Loop: Header=BB264_426 Depth=1
	v_mov_b32_e32 v46, 0x8000
	s_mov_b32 s18, exec_lo
	v_cmpx_ne_u16_e32 0x80, v47
	s_cbranch_execz .LBB264_582
; %bb.577:                              ;   in Loop: Header=BB264_426 Depth=1
	v_bfe_u32 v48, v9, 16, 7
	v_mov_b32_e32 v46, 0x7c01
	s_mov_b32 s19, exec_lo
	s_delay_alu instid0(VALU_DEP_2)
	v_cmpx_ne_u32_e32 0x7f, v48
	s_cbranch_execz .LBB264_581
; %bb.578:                              ;   in Loop: Header=BB264_426 Depth=1
	v_and_b32_e32 v46, 7, v1
	v_lshrrev_b32_e32 v47, 3, v48
	s_mov_b32 s24, exec_lo
	v_cmpx_gt_u32_e32 8, v48
; %bb.579:                              ;   in Loop: Header=BB264_426 Depth=1
	s_delay_alu instid0(VALU_DEP_3) | instskip(NEXT) | instid1(VALU_DEP_1)
	v_clz_i32_u32_e32 v46, v46
	v_min_u32_e32 v48, 32, v46
	s_delay_alu instid0(VALU_DEP_1) | instskip(NEXT) | instid1(VALU_DEP_1)
	v_subrev_nc_u32_e32 v46, 28, v48
	v_lshlrev_b64_e32 v[46:47], v46, v[1:2]
	v_sub_nc_u32_e32 v47, 29, v48
	s_delay_alu instid0(VALU_DEP_2)
	v_and_b32_e32 v46, 7, v46
; %bb.580:                              ;   in Loop: Header=BB264_426 Depth=1
	s_wait_alu 0xfffe
	s_or_b32 exec_lo, exec_lo, s24
	v_lshlrev_b32_e32 v1, 8, v1
	v_lshl_add_u32 v47, v47, 10, 0x2000
	v_lshlrev_b32_e32 v46, 7, v46
	s_delay_alu instid0(VALU_DEP_3) | instskip(NEXT) | instid1(VALU_DEP_3)
	v_and_b32_e32 v1, 0x8000, v1
	v_and_b32_e32 v47, 0xfc00, v47
	s_delay_alu instid0(VALU_DEP_1)
	v_or3_b32 v46, v1, v47, v46
.LBB264_581:                            ;   in Loop: Header=BB264_426 Depth=1
	s_wait_alu 0xfffe
	s_or_b32 exec_lo, exec_lo, s19
.LBB264_582:                            ;   in Loop: Header=BB264_426 Depth=1
	s_wait_alu 0xfffe
	s_or_b32 exec_lo, exec_lo, s18
.LBB264_583:                            ;   in Loop: Header=BB264_426 Depth=1
	s_wait_alu 0xfffe
	s_or_b32 exec_lo, exec_lo, s17
	s_delay_alu instid0(SALU_CYCLE_1)
	s_mov_b32 s17, exec_lo
	v_cmpx_lt_u32_e32 0xffffff, v9
	s_cbranch_execz .LBB264_591
; %bb.584:                              ;   in Loop: Header=BB264_426 Depth=1
	v_lshrrev_b32_e32 v1, 24, v9
	v_bfrev_b32_e32 v45, 1
	s_mov_b32 s18, exec_lo
	s_delay_alu instid0(VALU_DEP_2)
	v_cmpx_ne_u32_e32 0x80, v1
	s_cbranch_execz .LBB264_590
; %bb.585:                              ;   in Loop: Header=BB264_426 Depth=1
	v_and_b32_e32 v48, 0x7f, v1
	v_mov_b32_e32 v45, 0x7c010000
	s_mov_b32 s19, exec_lo
	s_delay_alu instid0(VALU_DEP_2)
	v_cmpx_ne_u32_e32 0x7f, v48
	s_cbranch_execz .LBB264_589
; %bb.586:                              ;   in Loop: Header=BB264_426 Depth=1
	v_and_b32_e32 v45, 7, v1
	v_lshrrev_b32_e32 v47, 3, v48
	s_mov_b32 s24, exec_lo
	v_cmpx_gt_u32_e32 8, v48
; %bb.587:                              ;   in Loop: Header=BB264_426 Depth=1
	s_delay_alu instid0(VALU_DEP_3) | instskip(NEXT) | instid1(VALU_DEP_1)
	v_clz_i32_u32_e32 v45, v45
	v_min_u32_e32 v45, 32, v45
	s_delay_alu instid0(VALU_DEP_1) | instskip(NEXT) | instid1(VALU_DEP_1)
	v_subrev_nc_u32_e32 v47, 28, v45
	v_lshlrev_b64_e32 v[48:49], v47, v[1:2]
	v_sub_nc_u32_e32 v47, 29, v45
	s_delay_alu instid0(VALU_DEP_2)
	v_and_b32_e32 v45, 7, v48
; %bb.588:                              ;   in Loop: Header=BB264_426 Depth=1
	s_wait_alu 0xfffe
	s_or_b32 exec_lo, exec_lo, s24
	v_lshlrev_b32_e32 v1, 8, v1
	v_lshl_add_u32 v47, v47, 10, 0x2000
	v_lshlrev_b32_e32 v45, 23, v45
	s_delay_alu instid0(VALU_DEP_2) | instskip(NEXT) | instid1(VALU_DEP_1)
	v_and_or_b32 v1, 0x8000, v1, v47
	v_lshl_or_b32 v45, v1, 16, v45
.LBB264_589:                            ;   in Loop: Header=BB264_426 Depth=1
	s_wait_alu 0xfffe
	s_or_b32 exec_lo, exec_lo, s19
.LBB264_590:                            ;   in Loop: Header=BB264_426 Depth=1
	s_wait_alu 0xfffe
	s_or_b32 exec_lo, exec_lo, s18
.LBB264_591:                            ;   in Loop: Header=BB264_426 Depth=1
	s_wait_alu 0xfffe
	s_or_b32 exec_lo, exec_lo, s17
	v_dual_mov_b32 v48, 0 :: v_dual_and_b32 v49, 0xff, v10
	v_mov_b32_e32 v1, v10
	v_mov_b32_e32 v47, 0
	s_mov_b32 s17, exec_lo
	s_delay_alu instid0(VALU_DEP_3)
	v_cmpx_ne_u16_e32 0, v49
	s_cbranch_execz .LBB264_599
; %bb.592:                              ;   in Loop: Header=BB264_426 Depth=1
	v_mov_b32_e32 v48, 0x8000
	s_mov_b32 s18, exec_lo
	v_cmpx_ne_u16_e32 0x80, v49
	s_cbranch_execz .LBB264_598
; %bb.593:                              ;   in Loop: Header=BB264_426 Depth=1
	v_and_b32_e32 v50, 0x7f, v10
	v_mov_b32_e32 v48, 0x7c01
	s_mov_b32 s19, exec_lo
	s_delay_alu instid0(VALU_DEP_2)
	v_cmpx_ne_u32_e32 0x7f, v50
	s_cbranch_execz .LBB264_597
; %bb.594:                              ;   in Loop: Header=BB264_426 Depth=1
	v_and_b32_e32 v48, 7, v10
	v_lshrrev_b32_e32 v49, 3, v50
	s_mov_b32 s24, exec_lo
	v_cmpx_gt_u32_e32 8, v50
; %bb.595:                              ;   in Loop: Header=BB264_426 Depth=1
	s_delay_alu instid0(VALU_DEP_3) | instskip(NEXT) | instid1(VALU_DEP_1)
	v_clz_i32_u32_e32 v48, v48
	v_min_u32_e32 v50, 32, v48
	s_delay_alu instid0(VALU_DEP_1) | instskip(NEXT) | instid1(VALU_DEP_1)
	v_subrev_nc_u32_e32 v48, 28, v50
	v_lshlrev_b64_e32 v[48:49], v48, v[1:2]
	v_sub_nc_u32_e32 v49, 29, v50
	s_delay_alu instid0(VALU_DEP_2)
	v_and_b32_e32 v48, 7, v48
; %bb.596:                              ;   in Loop: Header=BB264_426 Depth=1
	s_wait_alu 0xfffe
	s_or_b32 exec_lo, exec_lo, s24
	v_lshlrev_b32_e32 v50, 8, v10
	v_lshl_add_u32 v49, v49, 10, 0x2000
	v_lshlrev_b32_e32 v48, 7, v48
	s_delay_alu instid0(VALU_DEP_3) | instskip(NEXT) | instid1(VALU_DEP_3)
	v_and_b32_e32 v50, 0x8000, v50
	v_and_b32_e32 v49, 0xfc00, v49
	s_delay_alu instid0(VALU_DEP_1)
	v_or3_b32 v48, v50, v49, v48
.LBB264_597:                            ;   in Loop: Header=BB264_426 Depth=1
	s_wait_alu 0xfffe
	s_or_b32 exec_lo, exec_lo, s19
.LBB264_598:                            ;   in Loop: Header=BB264_426 Depth=1
	s_wait_alu 0xfffe
	s_or_b32 exec_lo, exec_lo, s18
.LBB264_599:                            ;   in Loop: Header=BB264_426 Depth=1
	s_wait_alu 0xfffe
	s_or_b32 exec_lo, exec_lo, s17
	v_lshrrev_b16 v1, 8, v1
	v_mov_b32_e32 v49, 0
	s_mov_b32 s17, exec_lo
	s_delay_alu instid0(VALU_DEP_2)
	v_cmpx_ne_u16_e32 0, v1
	s_cbranch_execz .LBB264_607
; %bb.600:                              ;   in Loop: Header=BB264_426 Depth=1
	v_bfrev_b32_e32 v49, 1
	s_mov_b32 s18, exec_lo
	v_cmpx_ne_u16_e32 0x80, v1
	s_cbranch_execz .LBB264_606
; %bb.601:                              ;   in Loop: Header=BB264_426 Depth=1
	v_and_b32_e32 v50, 0xffff, v1
	v_mov_b32_e32 v49, 0x7c010000
	s_mov_b32 s19, exec_lo
	s_delay_alu instid0(VALU_DEP_2) | instskip(NEXT) | instid1(VALU_DEP_1)
	v_and_b32_e32 v52, 0x7f, v50
	v_cmpx_ne_u32_e32 0x7f, v52
	s_cbranch_execz .LBB264_605
; %bb.602:                              ;   in Loop: Header=BB264_426 Depth=1
	v_and_b32_e32 v49, 7, v50
	v_lshrrev_b32_e32 v51, 3, v52
	s_mov_b32 s24, exec_lo
	v_cmpx_gt_u32_e32 8, v52
; %bb.603:                              ;   in Loop: Header=BB264_426 Depth=1
	s_delay_alu instid0(VALU_DEP_3) | instskip(NEXT) | instid1(VALU_DEP_1)
	v_clz_i32_u32_e32 v49, v49
	v_min_u32_e32 v49, 32, v49
	s_delay_alu instid0(VALU_DEP_1) | instskip(NEXT) | instid1(VALU_DEP_1)
	v_subrev_nc_u32_e32 v51, 28, v49
	v_lshlrev_b64_e32 v[52:53], v51, v[1:2]
	v_sub_nc_u32_e32 v51, 29, v49
	s_delay_alu instid0(VALU_DEP_2)
	v_and_b32_e32 v49, 7, v52
; %bb.604:                              ;   in Loop: Header=BB264_426 Depth=1
	s_wait_alu 0xfffe
	s_or_b32 exec_lo, exec_lo, s24
	v_lshlrev_b32_e32 v1, 8, v50
	v_lshl_add_u32 v50, v51, 10, 0x2000
	v_lshlrev_b32_e32 v49, 23, v49
	s_delay_alu instid0(VALU_DEP_2) | instskip(NEXT) | instid1(VALU_DEP_1)
	v_and_or_b32 v1, 0x8000, v1, v50
	v_lshl_or_b32 v49, v1, 16, v49
.LBB264_605:                            ;   in Loop: Header=BB264_426 Depth=1
	s_wait_alu 0xfffe
	s_or_b32 exec_lo, exec_lo, s19
.LBB264_606:                            ;   in Loop: Header=BB264_426 Depth=1
	s_wait_alu 0xfffe
	s_or_b32 exec_lo, exec_lo, s18
.LBB264_607:                            ;   in Loop: Header=BB264_426 Depth=1
	s_wait_alu 0xfffe
	s_or_b32 exec_lo, exec_lo, s17
	v_lshrrev_b32_e32 v1, 16, v10
	s_mov_b32 s17, exec_lo
	s_delay_alu instid0(VALU_DEP_1) | instskip(NEXT) | instid1(VALU_DEP_1)
	v_and_b32_e32 v50, 0xff, v1
	v_cmpx_ne_u16_e32 0, v50
	s_cbranch_execz .LBB264_615
; %bb.608:                              ;   in Loop: Header=BB264_426 Depth=1
	v_mov_b32_e32 v47, 0x8000
	s_mov_b32 s18, exec_lo
	v_cmpx_ne_u16_e32 0x80, v50
	s_cbranch_execz .LBB264_614
; %bb.609:                              ;   in Loop: Header=BB264_426 Depth=1
	v_bfe_u32 v51, v10, 16, 7
	v_mov_b32_e32 v47, 0x7c01
	s_mov_b32 s19, exec_lo
	s_delay_alu instid0(VALU_DEP_2)
	v_cmpx_ne_u32_e32 0x7f, v51
	s_cbranch_execz .LBB264_613
; %bb.610:                              ;   in Loop: Header=BB264_426 Depth=1
	v_and_b32_e32 v47, 7, v1
	v_lshrrev_b32_e32 v50, 3, v51
	s_mov_b32 s24, exec_lo
	v_cmpx_gt_u32_e32 8, v51
; %bb.611:                              ;   in Loop: Header=BB264_426 Depth=1
	s_delay_alu instid0(VALU_DEP_3) | instskip(NEXT) | instid1(VALU_DEP_1)
	v_clz_i32_u32_e32 v47, v47
	v_min_u32_e32 v47, 32, v47
	s_delay_alu instid0(VALU_DEP_1) | instskip(NEXT) | instid1(VALU_DEP_1)
	v_subrev_nc_u32_e32 v50, 28, v47
	v_lshlrev_b64_e32 v[51:52], v50, v[1:2]
	v_sub_nc_u32_e32 v50, 29, v47
	s_delay_alu instid0(VALU_DEP_2)
	v_and_b32_e32 v47, 7, v51
; %bb.612:                              ;   in Loop: Header=BB264_426 Depth=1
	s_wait_alu 0xfffe
	s_or_b32 exec_lo, exec_lo, s24
	v_lshlrev_b32_e32 v1, 8, v1
	v_lshl_add_u32 v50, v50, 10, 0x2000
	v_lshlrev_b32_e32 v47, 7, v47
	s_delay_alu instid0(VALU_DEP_3) | instskip(NEXT) | instid1(VALU_DEP_3)
	v_and_b32_e32 v1, 0x8000, v1
	v_and_b32_e32 v50, 0xfc00, v50
	s_delay_alu instid0(VALU_DEP_1)
	v_or3_b32 v47, v1, v50, v47
.LBB264_613:                            ;   in Loop: Header=BB264_426 Depth=1
	s_wait_alu 0xfffe
	s_or_b32 exec_lo, exec_lo, s19
.LBB264_614:                            ;   in Loop: Header=BB264_426 Depth=1
	s_wait_alu 0xfffe
	s_or_b32 exec_lo, exec_lo, s18
.LBB264_615:                            ;   in Loop: Header=BB264_426 Depth=1
	s_wait_alu 0xfffe
	s_or_b32 exec_lo, exec_lo, s17
	v_cmp_lt_u64_e64 s0, s[2:3], v[9:10]
	v_mov_b32_e32 v9, 0
	s_and_saveexec_b32 s17, s0
	s_cbranch_execz .LBB264_623
; %bb.616:                              ;   in Loop: Header=BB264_426 Depth=1
	v_lshrrev_b32_e32 v1, 24, v10
	v_bfrev_b32_e32 v9, 1
	s_mov_b32 s18, exec_lo
	s_delay_alu instid0(VALU_DEP_2)
	v_cmpx_ne_u32_e32 0x80, v1
	s_cbranch_execz .LBB264_622
; %bb.617:                              ;   in Loop: Header=BB264_426 Depth=1
	v_and_b32_e32 v50, 0x7f, v1
	v_mov_b32_e32 v9, 0x7c010000
	s_mov_b32 s19, exec_lo
	s_delay_alu instid0(VALU_DEP_2)
	v_cmpx_ne_u32_e32 0x7f, v50
	s_cbranch_execz .LBB264_621
; %bb.618:                              ;   in Loop: Header=BB264_426 Depth=1
	v_and_b32_e32 v9, 7, v1
	v_lshrrev_b32_e32 v10, 3, v50
	s_mov_b32 s24, exec_lo
	v_cmpx_gt_u32_e32 8, v50
; %bb.619:                              ;   in Loop: Header=BB264_426 Depth=1
	s_delay_alu instid0(VALU_DEP_3) | instskip(NEXT) | instid1(VALU_DEP_1)
	v_clz_i32_u32_e32 v9, v9
	v_min_u32_e32 v50, 32, v9
	s_delay_alu instid0(VALU_DEP_1) | instskip(NEXT) | instid1(VALU_DEP_1)
	v_subrev_nc_u32_e32 v9, 28, v50
	v_lshlrev_b64_e32 v[9:10], v9, v[1:2]
	v_sub_nc_u32_e32 v10, 29, v50
	s_delay_alu instid0(VALU_DEP_2)
	v_and_b32_e32 v9, 7, v9
; %bb.620:                              ;   in Loop: Header=BB264_426 Depth=1
	s_wait_alu 0xfffe
	s_or_b32 exec_lo, exec_lo, s24
	v_lshlrev_b32_e32 v1, 8, v1
	v_lshl_add_u32 v10, v10, 10, 0x2000
	v_lshlrev_b32_e32 v9, 23, v9
	s_delay_alu instid0(VALU_DEP_2) | instskip(NEXT) | instid1(VALU_DEP_1)
	v_and_or_b32 v1, 0x8000, v1, v10
	v_lshl_or_b32 v9, v1, 16, v9
.LBB264_621:                            ;   in Loop: Header=BB264_426 Depth=1
	s_wait_alu 0xfffe
	s_or_b32 exec_lo, exec_lo, s19
.LBB264_622:                            ;   in Loop: Header=BB264_426 Depth=1
	s_wait_alu 0xfffe
	s_or_b32 exec_lo, exec_lo, s18
.LBB264_623:                            ;   in Loop: Header=BB264_426 Depth=1
	s_wait_alu 0xfffe
	s_or_b32 exec_lo, exec_lo, s17
	v_or_b32_e32 v1, v45, v46
	s_wait_loadcnt 0x0
	v_fma_mixlo_f16 v10, v42, v45, 0 op_sel:[0,1,0] op_sel_hi:[0,1,0]
	v_or_b32_e32 v45, v43, v44
	v_fma_mixlo_f16 v43, v42, v43, 0 op_sel:[0,1,0] op_sel_hi:[0,1,0]
	v_or_b32_e32 v46, v49, v48
	v_or_b32_e32 v47, v9, v47
	v_fma_mixlo_f16 v48, v42, v1, 0 op_sel_hi:[0,1,0]
	v_fma_mixlo_f16 v9, v42, v9, 0 op_sel:[0,1,0] op_sel_hi:[0,1,0]
	v_lshlrev_b32_e32 v44, 16, v43
	v_fma_mixlo_f16 v43, v42, v45, 0 op_sel_hi:[0,1,0]
	v_fma_mixlo_f16 v45, v42, v49, 0 op_sel:[0,1,0] op_sel_hi:[0,1,0]
	v_fma_mixlo_f16 v46, v42, v46, 0 op_sel_hi:[0,1,0]
	v_fma_mixlo_f16 v47, v42, v47, 0 op_sel_hi:[0,1,0]
	v_lshlrev_b32_e32 v1, 16, v10
	v_and_b32_e32 v10, 0xffff, v48
	v_and_b32_e32 v50, 0xffff, v43
	v_lshlrev_b32_e32 v42, 16, v45
	v_and_b32_e32 v46, 0xffff, v46
	v_lshlrev_b32_e32 v9, 16, v9
	v_and_b32_e32 v43, 0xffff, v47
	v_or_b32_e32 v45, v1, v10
	v_or_b32_e32 v49, v44, v50
	;; [unrolled: 1-line block ×3, first 2 shown]
	s_delay_alu instid0(VALU_DEP_4)
	v_or_b32_e32 v47, v9, v43
	s_and_saveexec_b32 s17, vcc_lo
	s_cbranch_execz .LBB264_625
; %bb.624:                              ;   in Loop: Header=BB264_426 Depth=1
	v_cmp_gt_i32_e64 s0, s34, v26
	s_wait_alu 0xf1ff
	s_delay_alu instid0(VALU_DEP_1) | instskip(SKIP_2) | instid1(VALU_DEP_1)
	v_cndmask_b32_e64 v45, 0, v50, s0
	v_cmp_gt_i32_e64 s0, s34, v33
	s_wait_alu 0xf1ff
	v_cndmask_b32_e64 v44, 0, v44, s0
	v_cmp_gt_i32_e64 s0, s34, v32
	s_delay_alu instid0(VALU_DEP_2) | instskip(SKIP_1) | instid1(VALU_DEP_2)
	v_or_b32_e32 v49, v44, v45
	s_wait_alu 0xf1ff
	v_cndmask_b32_e64 v10, 0, v10, s0
	v_cmp_gt_i32_e64 s0, s34, v31
	s_wait_alu 0xf1ff
	s_delay_alu instid0(VALU_DEP_1) | instskip(SKIP_1) | instid1(VALU_DEP_2)
	v_cndmask_b32_e64 v1, 0, v1, s0
	v_cmp_gt_i32_e64 s0, s34, v30
	v_or_b32_e32 v45, v1, v10
	s_wait_alu 0xf1ff
	s_delay_alu instid0(VALU_DEP_2) | instskip(SKIP_2) | instid1(VALU_DEP_1)
	v_cndmask_b32_e64 v46, 0, v46, s0
	v_cmp_gt_i32_e64 s0, s34, v29
	s_wait_alu 0xf1ff
	v_cndmask_b32_e64 v42, 0, v42, s0
	v_cmp_gt_i32_e64 s0, s34, v28
	s_delay_alu instid0(VALU_DEP_2) | instskip(SKIP_1) | instid1(VALU_DEP_2)
	v_or_b32_e32 v48, v42, v46
	s_wait_alu 0xf1ff
	v_cndmask_b32_e64 v43, 0, v43, s0
	v_cmp_gt_i32_e64 s0, s34, v27
	s_wait_alu 0xf1ff
	s_delay_alu instid0(VALU_DEP_1) | instskip(NEXT) | instid1(VALU_DEP_1)
	v_cndmask_b32_e64 v9, 0, v9, s0
	v_or_b32_e32 v47, v9, v43
.LBB264_625:                            ;   in Loop: Header=BB264_426 Depth=1
	s_wait_alu 0xfffe
	s_or_b32 exec_lo, exec_lo, s17
	;;#ASMSTART
	v_pk_mul_f16 v1, v39, v49;

	;;#ASMEND
	;;#ASMSTART
	v_pk_mul_f16 v9, v38, v45;

	;;#ASMEND
	;; [unrolled: 4-line block ×4, first 2 shown]
	;;#ASMSTART
	v_pk_add_f16 v1, v1, v9;

	;;#ASMEND
	;;#ASMSTART
	v_pk_add_f16 v1, v1, v10;

	;;#ASMEND
	;; [unrolled: 4-line block ×3, first 2 shown]
	v_dual_mov_b32 v46, 0 :: v_dual_and_b32 v9, 0xffff, v1
	v_lshrrev_b32_e32 v1, 16, v1
	;;#ASMSTART
	v_cvt_f32_f16 v42, v9;
	;;#ASMEND
	;;#ASMSTART
	v_cvt_f32_f16 v43, v1;
	;;#ASMEND
	global_load_b64 v[9:10], v[7:8], off offset:768
	v_mov_b32_e32 v45, 0
	s_mov_b32 s17, exec_lo
	global_load_b32 v44, v45, s[10:11]
	s_wait_loadcnt 0x1
	v_and_b32_e32 v1, 0xff, v9
	s_delay_alu instid0(VALU_DEP_1)
	v_cmpx_ne_u16_e32 0, v1
	s_cbranch_execz .LBB264_633
; %bb.626:                              ;   in Loop: Header=BB264_426 Depth=1
	v_mov_b32_e32 v46, 0x8000
	s_mov_b32 s18, exec_lo
	v_cmpx_ne_u16_e32 0x80, v1
	s_cbranch_execz .LBB264_632
; %bb.627:                              ;   in Loop: Header=BB264_426 Depth=1
	v_and_b32_e32 v47, 0x7f, v9
	v_mov_b32_e32 v46, 0x7c01
	s_mov_b32 s19, exec_lo
	s_delay_alu instid0(VALU_DEP_2)
	v_cmpx_ne_u32_e32 0x7f, v47
	s_cbranch_execz .LBB264_631
; %bb.628:                              ;   in Loop: Header=BB264_426 Depth=1
	v_and_b32_e32 v1, 7, v9
	v_lshrrev_b32_e32 v46, 3, v47
	s_mov_b32 s24, exec_lo
	v_cmpx_gt_u32_e32 8, v47
; %bb.629:                              ;   in Loop: Header=BB264_426 Depth=1
	s_delay_alu instid0(VALU_DEP_3) | instskip(NEXT) | instid1(VALU_DEP_1)
	v_clz_i32_u32_e32 v1, v1
	v_min_u32_e32 v1, 32, v1
	s_delay_alu instid0(VALU_DEP_1) | instskip(NEXT) | instid1(VALU_DEP_1)
	v_subrev_nc_u32_e32 v46, 28, v1
	v_lshlrev_b64_e32 v[47:48], v46, v[9:10]
	v_sub_nc_u32_e32 v46, 29, v1
	s_delay_alu instid0(VALU_DEP_2)
	v_and_b32_e32 v1, 7, v47
; %bb.630:                              ;   in Loop: Header=BB264_426 Depth=1
	s_wait_alu 0xfffe
	s_or_b32 exec_lo, exec_lo, s24
	v_lshlrev_b32_e32 v47, 8, v9
	v_lshl_add_u32 v46, v46, 10, 0x2000
	v_lshlrev_b32_e32 v1, 7, v1
	s_delay_alu instid0(VALU_DEP_3) | instskip(NEXT) | instid1(VALU_DEP_3)
	v_and_b32_e32 v47, 0x8000, v47
	v_and_b32_e32 v46, 0xfc00, v46
	s_delay_alu instid0(VALU_DEP_1)
	v_or3_b32 v46, v47, v46, v1
.LBB264_631:                            ;   in Loop: Header=BB264_426 Depth=1
	s_wait_alu 0xfffe
	s_or_b32 exec_lo, exec_lo, s19
.LBB264_632:                            ;   in Loop: Header=BB264_426 Depth=1
	s_wait_alu 0xfffe
	s_or_b32 exec_lo, exec_lo, s18
.LBB264_633:                            ;   in Loop: Header=BB264_426 Depth=1
	s_wait_alu 0xfffe
	s_or_b32 exec_lo, exec_lo, s17
	v_lshrrev_b16 v1, 8, v9
	s_mov_b32 s17, exec_lo
	s_delay_alu instid0(VALU_DEP_1)
	v_cmpx_ne_u16_e32 0, v1
	s_cbranch_execz .LBB264_641
; %bb.634:                              ;   in Loop: Header=BB264_426 Depth=1
	v_bfrev_b32_e32 v45, 1
	s_mov_b32 s18, exec_lo
	v_cmpx_ne_u16_e32 0x80, v1
	s_cbranch_execz .LBB264_640
; %bb.635:                              ;   in Loop: Header=BB264_426 Depth=1
	v_and_b32_e32 v47, 0xffff, v1
	v_mov_b32_e32 v45, 0x7c010000
	s_mov_b32 s19, exec_lo
	s_delay_alu instid0(VALU_DEP_2) | instskip(NEXT) | instid1(VALU_DEP_1)
	v_and_b32_e32 v49, 0x7f, v47
	v_cmpx_ne_u32_e32 0x7f, v49
	s_cbranch_execz .LBB264_639
; %bb.636:                              ;   in Loop: Header=BB264_426 Depth=1
	v_and_b32_e32 v45, 7, v47
	v_lshrrev_b32_e32 v48, 3, v49
	s_mov_b32 s24, exec_lo
	v_cmpx_gt_u32_e32 8, v49
; %bb.637:                              ;   in Loop: Header=BB264_426 Depth=1
	s_delay_alu instid0(VALU_DEP_3) | instskip(NEXT) | instid1(VALU_DEP_1)
	v_clz_i32_u32_e32 v45, v45
	v_min_u32_e32 v45, 32, v45
	s_delay_alu instid0(VALU_DEP_1) | instskip(NEXT) | instid1(VALU_DEP_1)
	v_subrev_nc_u32_e32 v48, 28, v45
	v_lshlrev_b64_e32 v[49:50], v48, v[1:2]
	v_sub_nc_u32_e32 v48, 29, v45
	s_delay_alu instid0(VALU_DEP_2)
	v_and_b32_e32 v45, 7, v49
; %bb.638:                              ;   in Loop: Header=BB264_426 Depth=1
	s_wait_alu 0xfffe
	s_or_b32 exec_lo, exec_lo, s24
	v_lshlrev_b32_e32 v1, 8, v47
	v_lshl_add_u32 v47, v48, 10, 0x2000
	v_lshlrev_b32_e32 v45, 23, v45
	s_delay_alu instid0(VALU_DEP_2) | instskip(NEXT) | instid1(VALU_DEP_1)
	v_and_or_b32 v1, 0x8000, v1, v47
	v_lshl_or_b32 v45, v1, 16, v45
.LBB264_639:                            ;   in Loop: Header=BB264_426 Depth=1
	s_wait_alu 0xfffe
	s_or_b32 exec_lo, exec_lo, s19
.LBB264_640:                            ;   in Loop: Header=BB264_426 Depth=1
	s_wait_alu 0xfffe
	s_or_b32 exec_lo, exec_lo, s18
.LBB264_641:                            ;   in Loop: Header=BB264_426 Depth=1
	s_wait_alu 0xfffe
	s_or_b32 exec_lo, exec_lo, s17
	v_lshrrev_b32_e32 v1, 16, v9
	v_mov_b32_e32 v47, 0
	s_mov_b32 s17, exec_lo
	s_delay_alu instid0(VALU_DEP_2) | instskip(NEXT) | instid1(VALU_DEP_1)
	v_dual_mov_b32 v48, 0 :: v_dual_and_b32 v49, 0xff, v1
	v_cmpx_ne_u16_e32 0, v49
	s_cbranch_execz .LBB264_649
; %bb.642:                              ;   in Loop: Header=BB264_426 Depth=1
	v_mov_b32_e32 v48, 0x8000
	s_mov_b32 s18, exec_lo
	v_cmpx_ne_u16_e32 0x80, v49
	s_cbranch_execz .LBB264_648
; %bb.643:                              ;   in Loop: Header=BB264_426 Depth=1
	v_bfe_u32 v50, v9, 16, 7
	v_mov_b32_e32 v48, 0x7c01
	s_mov_b32 s19, exec_lo
	s_delay_alu instid0(VALU_DEP_2)
	v_cmpx_ne_u32_e32 0x7f, v50
	s_cbranch_execz .LBB264_647
; %bb.644:                              ;   in Loop: Header=BB264_426 Depth=1
	v_and_b32_e32 v48, 7, v1
	v_lshrrev_b32_e32 v49, 3, v50
	s_mov_b32 s24, exec_lo
	v_cmpx_gt_u32_e32 8, v50
; %bb.645:                              ;   in Loop: Header=BB264_426 Depth=1
	s_delay_alu instid0(VALU_DEP_3) | instskip(NEXT) | instid1(VALU_DEP_1)
	v_clz_i32_u32_e32 v48, v48
	v_min_u32_e32 v50, 32, v48
	s_delay_alu instid0(VALU_DEP_1) | instskip(NEXT) | instid1(VALU_DEP_1)
	v_subrev_nc_u32_e32 v48, 28, v50
	v_lshlrev_b64_e32 v[48:49], v48, v[1:2]
	v_sub_nc_u32_e32 v49, 29, v50
	s_delay_alu instid0(VALU_DEP_2)
	v_and_b32_e32 v48, 7, v48
; %bb.646:                              ;   in Loop: Header=BB264_426 Depth=1
	s_wait_alu 0xfffe
	s_or_b32 exec_lo, exec_lo, s24
	v_lshlrev_b32_e32 v1, 8, v1
	v_lshl_add_u32 v49, v49, 10, 0x2000
	v_lshlrev_b32_e32 v48, 7, v48
	s_delay_alu instid0(VALU_DEP_3) | instskip(NEXT) | instid1(VALU_DEP_3)
	v_and_b32_e32 v1, 0x8000, v1
	v_and_b32_e32 v49, 0xfc00, v49
	s_delay_alu instid0(VALU_DEP_1)
	v_or3_b32 v48, v1, v49, v48
.LBB264_647:                            ;   in Loop: Header=BB264_426 Depth=1
	s_wait_alu 0xfffe
	s_or_b32 exec_lo, exec_lo, s19
.LBB264_648:                            ;   in Loop: Header=BB264_426 Depth=1
	s_wait_alu 0xfffe
	s_or_b32 exec_lo, exec_lo, s18
.LBB264_649:                            ;   in Loop: Header=BB264_426 Depth=1
	s_wait_alu 0xfffe
	s_or_b32 exec_lo, exec_lo, s17
	s_delay_alu instid0(SALU_CYCLE_1)
	s_mov_b32 s17, exec_lo
	v_cmpx_lt_u32_e32 0xffffff, v9
	s_cbranch_execz .LBB264_657
; %bb.650:                              ;   in Loop: Header=BB264_426 Depth=1
	v_lshrrev_b32_e32 v1, 24, v9
	v_bfrev_b32_e32 v47, 1
	s_mov_b32 s18, exec_lo
	s_delay_alu instid0(VALU_DEP_2)
	v_cmpx_ne_u32_e32 0x80, v1
	s_cbranch_execz .LBB264_656
; %bb.651:                              ;   in Loop: Header=BB264_426 Depth=1
	v_and_b32_e32 v50, 0x7f, v1
	v_mov_b32_e32 v47, 0x7c010000
	s_mov_b32 s19, exec_lo
	s_delay_alu instid0(VALU_DEP_2)
	v_cmpx_ne_u32_e32 0x7f, v50
	s_cbranch_execz .LBB264_655
; %bb.652:                              ;   in Loop: Header=BB264_426 Depth=1
	v_and_b32_e32 v47, 7, v1
	v_lshrrev_b32_e32 v49, 3, v50
	s_mov_b32 s24, exec_lo
	v_cmpx_gt_u32_e32 8, v50
; %bb.653:                              ;   in Loop: Header=BB264_426 Depth=1
	s_delay_alu instid0(VALU_DEP_3) | instskip(NEXT) | instid1(VALU_DEP_1)
	v_clz_i32_u32_e32 v47, v47
	v_min_u32_e32 v47, 32, v47
	s_delay_alu instid0(VALU_DEP_1) | instskip(NEXT) | instid1(VALU_DEP_1)
	v_subrev_nc_u32_e32 v49, 28, v47
	v_lshlrev_b64_e32 v[50:51], v49, v[1:2]
	v_sub_nc_u32_e32 v49, 29, v47
	s_delay_alu instid0(VALU_DEP_2)
	v_and_b32_e32 v47, 7, v50
; %bb.654:                              ;   in Loop: Header=BB264_426 Depth=1
	s_wait_alu 0xfffe
	s_or_b32 exec_lo, exec_lo, s24
	v_lshlrev_b32_e32 v1, 8, v1
	v_lshl_add_u32 v49, v49, 10, 0x2000
	v_lshlrev_b32_e32 v47, 23, v47
	s_delay_alu instid0(VALU_DEP_2) | instskip(NEXT) | instid1(VALU_DEP_1)
	v_and_or_b32 v1, 0x8000, v1, v49
	v_lshl_or_b32 v47, v1, 16, v47
.LBB264_655:                            ;   in Loop: Header=BB264_426 Depth=1
	s_wait_alu 0xfffe
	s_or_b32 exec_lo, exec_lo, s19
.LBB264_656:                            ;   in Loop: Header=BB264_426 Depth=1
	s_wait_alu 0xfffe
	s_or_b32 exec_lo, exec_lo, s18
.LBB264_657:                            ;   in Loop: Header=BB264_426 Depth=1
	s_wait_alu 0xfffe
	s_or_b32 exec_lo, exec_lo, s17
	v_dual_mov_b32 v50, 0 :: v_dual_and_b32 v51, 0xff, v10
	v_mov_b32_e32 v1, v10
	v_mov_b32_e32 v49, 0
	s_mov_b32 s17, exec_lo
	s_delay_alu instid0(VALU_DEP_3)
	v_cmpx_ne_u16_e32 0, v51
	s_cbranch_execz .LBB264_665
; %bb.658:                              ;   in Loop: Header=BB264_426 Depth=1
	v_mov_b32_e32 v50, 0x8000
	s_mov_b32 s18, exec_lo
	v_cmpx_ne_u16_e32 0x80, v51
	s_cbranch_execz .LBB264_664
; %bb.659:                              ;   in Loop: Header=BB264_426 Depth=1
	v_and_b32_e32 v52, 0x7f, v10
	v_mov_b32_e32 v50, 0x7c01
	s_mov_b32 s19, exec_lo
	s_delay_alu instid0(VALU_DEP_2)
	v_cmpx_ne_u32_e32 0x7f, v52
	s_cbranch_execz .LBB264_663
; %bb.660:                              ;   in Loop: Header=BB264_426 Depth=1
	v_and_b32_e32 v50, 7, v10
	v_lshrrev_b32_e32 v51, 3, v52
	s_mov_b32 s24, exec_lo
	v_cmpx_gt_u32_e32 8, v52
; %bb.661:                              ;   in Loop: Header=BB264_426 Depth=1
	s_delay_alu instid0(VALU_DEP_3) | instskip(NEXT) | instid1(VALU_DEP_1)
	v_clz_i32_u32_e32 v50, v50
	v_min_u32_e32 v52, 32, v50
	s_delay_alu instid0(VALU_DEP_1) | instskip(NEXT) | instid1(VALU_DEP_1)
	v_subrev_nc_u32_e32 v50, 28, v52
	v_lshlrev_b64_e32 v[50:51], v50, v[1:2]
	v_sub_nc_u32_e32 v51, 29, v52
	s_delay_alu instid0(VALU_DEP_2)
	v_and_b32_e32 v50, 7, v50
; %bb.662:                              ;   in Loop: Header=BB264_426 Depth=1
	s_wait_alu 0xfffe
	s_or_b32 exec_lo, exec_lo, s24
	v_lshlrev_b32_e32 v52, 8, v10
	v_lshl_add_u32 v51, v51, 10, 0x2000
	v_lshlrev_b32_e32 v50, 7, v50
	s_delay_alu instid0(VALU_DEP_3) | instskip(NEXT) | instid1(VALU_DEP_3)
	v_and_b32_e32 v52, 0x8000, v52
	v_and_b32_e32 v51, 0xfc00, v51
	s_delay_alu instid0(VALU_DEP_1)
	v_or3_b32 v50, v52, v51, v50
.LBB264_663:                            ;   in Loop: Header=BB264_426 Depth=1
	s_wait_alu 0xfffe
	s_or_b32 exec_lo, exec_lo, s19
.LBB264_664:                            ;   in Loop: Header=BB264_426 Depth=1
	s_wait_alu 0xfffe
	s_or_b32 exec_lo, exec_lo, s18
.LBB264_665:                            ;   in Loop: Header=BB264_426 Depth=1
	s_wait_alu 0xfffe
	s_or_b32 exec_lo, exec_lo, s17
	v_lshrrev_b16 v1, 8, v1
	v_mov_b32_e32 v51, 0
	s_mov_b32 s17, exec_lo
	s_delay_alu instid0(VALU_DEP_2)
	v_cmpx_ne_u16_e32 0, v1
	s_cbranch_execz .LBB264_673
; %bb.666:                              ;   in Loop: Header=BB264_426 Depth=1
	v_bfrev_b32_e32 v51, 1
	s_mov_b32 s18, exec_lo
	v_cmpx_ne_u16_e32 0x80, v1
	s_cbranch_execz .LBB264_672
; %bb.667:                              ;   in Loop: Header=BB264_426 Depth=1
	v_and_b32_e32 v52, 0xffff, v1
	v_mov_b32_e32 v51, 0x7c010000
	s_mov_b32 s19, exec_lo
	s_delay_alu instid0(VALU_DEP_2) | instskip(NEXT) | instid1(VALU_DEP_1)
	v_and_b32_e32 v54, 0x7f, v52
	v_cmpx_ne_u32_e32 0x7f, v54
	s_cbranch_execz .LBB264_671
; %bb.668:                              ;   in Loop: Header=BB264_426 Depth=1
	v_and_b32_e32 v51, 7, v52
	v_lshrrev_b32_e32 v53, 3, v54
	s_mov_b32 s24, exec_lo
	v_cmpx_gt_u32_e32 8, v54
; %bb.669:                              ;   in Loop: Header=BB264_426 Depth=1
	s_delay_alu instid0(VALU_DEP_3) | instskip(NEXT) | instid1(VALU_DEP_1)
	v_clz_i32_u32_e32 v51, v51
	v_min_u32_e32 v51, 32, v51
	s_delay_alu instid0(VALU_DEP_1) | instskip(NEXT) | instid1(VALU_DEP_1)
	v_subrev_nc_u32_e32 v53, 28, v51
	v_lshlrev_b64_e32 v[54:55], v53, v[1:2]
	v_sub_nc_u32_e32 v53, 29, v51
	s_delay_alu instid0(VALU_DEP_2)
	v_and_b32_e32 v51, 7, v54
; %bb.670:                              ;   in Loop: Header=BB264_426 Depth=1
	s_wait_alu 0xfffe
	s_or_b32 exec_lo, exec_lo, s24
	v_lshlrev_b32_e32 v1, 8, v52
	v_lshl_add_u32 v52, v53, 10, 0x2000
	v_lshlrev_b32_e32 v51, 23, v51
	s_delay_alu instid0(VALU_DEP_2) | instskip(NEXT) | instid1(VALU_DEP_1)
	v_and_or_b32 v1, 0x8000, v1, v52
	v_lshl_or_b32 v51, v1, 16, v51
.LBB264_671:                            ;   in Loop: Header=BB264_426 Depth=1
	s_wait_alu 0xfffe
	s_or_b32 exec_lo, exec_lo, s19
.LBB264_672:                            ;   in Loop: Header=BB264_426 Depth=1
	s_wait_alu 0xfffe
	s_or_b32 exec_lo, exec_lo, s18
.LBB264_673:                            ;   in Loop: Header=BB264_426 Depth=1
	s_wait_alu 0xfffe
	s_or_b32 exec_lo, exec_lo, s17
	v_lshrrev_b32_e32 v1, 16, v10
	s_mov_b32 s17, exec_lo
	s_delay_alu instid0(VALU_DEP_1) | instskip(NEXT) | instid1(VALU_DEP_1)
	v_and_b32_e32 v52, 0xff, v1
	v_cmpx_ne_u16_e32 0, v52
	s_cbranch_execz .LBB264_681
; %bb.674:                              ;   in Loop: Header=BB264_426 Depth=1
	v_mov_b32_e32 v49, 0x8000
	s_mov_b32 s18, exec_lo
	v_cmpx_ne_u16_e32 0x80, v52
	s_cbranch_execz .LBB264_680
; %bb.675:                              ;   in Loop: Header=BB264_426 Depth=1
	v_bfe_u32 v53, v10, 16, 7
	v_mov_b32_e32 v49, 0x7c01
	s_mov_b32 s19, exec_lo
	s_delay_alu instid0(VALU_DEP_2)
	v_cmpx_ne_u32_e32 0x7f, v53
	s_cbranch_execz .LBB264_679
; %bb.676:                              ;   in Loop: Header=BB264_426 Depth=1
	v_and_b32_e32 v49, 7, v1
	v_lshrrev_b32_e32 v52, 3, v53
	s_mov_b32 s24, exec_lo
	v_cmpx_gt_u32_e32 8, v53
; %bb.677:                              ;   in Loop: Header=BB264_426 Depth=1
	s_delay_alu instid0(VALU_DEP_3) | instskip(NEXT) | instid1(VALU_DEP_1)
	v_clz_i32_u32_e32 v49, v49
	v_min_u32_e32 v49, 32, v49
	s_delay_alu instid0(VALU_DEP_1) | instskip(NEXT) | instid1(VALU_DEP_1)
	v_subrev_nc_u32_e32 v52, 28, v49
	v_lshlrev_b64_e32 v[53:54], v52, v[1:2]
	v_sub_nc_u32_e32 v52, 29, v49
	s_delay_alu instid0(VALU_DEP_2)
	v_and_b32_e32 v49, 7, v53
; %bb.678:                              ;   in Loop: Header=BB264_426 Depth=1
	s_wait_alu 0xfffe
	s_or_b32 exec_lo, exec_lo, s24
	v_lshlrev_b32_e32 v1, 8, v1
	v_lshl_add_u32 v52, v52, 10, 0x2000
	v_lshlrev_b32_e32 v49, 7, v49
	s_delay_alu instid0(VALU_DEP_3) | instskip(NEXT) | instid1(VALU_DEP_3)
	v_and_b32_e32 v1, 0x8000, v1
	v_and_b32_e32 v52, 0xfc00, v52
	s_delay_alu instid0(VALU_DEP_1)
	v_or3_b32 v49, v1, v52, v49
.LBB264_679:                            ;   in Loop: Header=BB264_426 Depth=1
	s_wait_alu 0xfffe
	s_or_b32 exec_lo, exec_lo, s19
.LBB264_680:                            ;   in Loop: Header=BB264_426 Depth=1
	s_wait_alu 0xfffe
	s_or_b32 exec_lo, exec_lo, s18
.LBB264_681:                            ;   in Loop: Header=BB264_426 Depth=1
	s_wait_alu 0xfffe
	s_or_b32 exec_lo, exec_lo, s17
	v_cmp_lt_u64_e64 s0, s[2:3], v[9:10]
	v_mov_b32_e32 v9, 0
	s_and_saveexec_b32 s17, s0
	s_cbranch_execz .LBB264_689
; %bb.682:                              ;   in Loop: Header=BB264_426 Depth=1
	v_lshrrev_b32_e32 v1, 24, v10
	v_bfrev_b32_e32 v9, 1
	s_mov_b32 s18, exec_lo
	s_delay_alu instid0(VALU_DEP_2)
	v_cmpx_ne_u32_e32 0x80, v1
	s_cbranch_execz .LBB264_688
; %bb.683:                              ;   in Loop: Header=BB264_426 Depth=1
	v_and_b32_e32 v52, 0x7f, v1
	v_mov_b32_e32 v9, 0x7c010000
	s_mov_b32 s19, exec_lo
	s_delay_alu instid0(VALU_DEP_2)
	v_cmpx_ne_u32_e32 0x7f, v52
	s_cbranch_execz .LBB264_687
; %bb.684:                              ;   in Loop: Header=BB264_426 Depth=1
	v_and_b32_e32 v9, 7, v1
	v_lshrrev_b32_e32 v10, 3, v52
	s_mov_b32 s24, exec_lo
	v_cmpx_gt_u32_e32 8, v52
; %bb.685:                              ;   in Loop: Header=BB264_426 Depth=1
	s_delay_alu instid0(VALU_DEP_3) | instskip(NEXT) | instid1(VALU_DEP_1)
	v_clz_i32_u32_e32 v9, v9
	v_min_u32_e32 v52, 32, v9
	s_delay_alu instid0(VALU_DEP_1) | instskip(NEXT) | instid1(VALU_DEP_1)
	v_subrev_nc_u32_e32 v9, 28, v52
	v_lshlrev_b64_e32 v[9:10], v9, v[1:2]
	v_sub_nc_u32_e32 v10, 29, v52
	s_delay_alu instid0(VALU_DEP_2)
	v_and_b32_e32 v9, 7, v9
; %bb.686:                              ;   in Loop: Header=BB264_426 Depth=1
	s_wait_alu 0xfffe
	s_or_b32 exec_lo, exec_lo, s24
	v_lshlrev_b32_e32 v1, 8, v1
	v_lshl_add_u32 v10, v10, 10, 0x2000
	v_lshlrev_b32_e32 v9, 23, v9
	s_delay_alu instid0(VALU_DEP_2) | instskip(NEXT) | instid1(VALU_DEP_1)
	v_and_or_b32 v1, 0x8000, v1, v10
	v_lshl_or_b32 v9, v1, 16, v9
.LBB264_687:                            ;   in Loop: Header=BB264_426 Depth=1
	s_wait_alu 0xfffe
	s_or_b32 exec_lo, exec_lo, s19
.LBB264_688:                            ;   in Loop: Header=BB264_426 Depth=1
	s_wait_alu 0xfffe
	s_or_b32 exec_lo, exec_lo, s18
.LBB264_689:                            ;   in Loop: Header=BB264_426 Depth=1
	s_wait_alu 0xfffe
	s_or_b32 exec_lo, exec_lo, s17
	v_or_b32_e32 v1, v47, v48
	s_wait_loadcnt 0x0
	v_fma_mixlo_f16 v10, v44, v47, 0 op_sel:[0,1,0] op_sel_hi:[0,1,0]
	v_or_b32_e32 v47, v45, v46
	v_fma_mixlo_f16 v45, v44, v45, 0 op_sel:[0,1,0] op_sel_hi:[0,1,0]
	v_or_b32_e32 v48, v51, v50
	v_or_b32_e32 v49, v9, v49
	v_fma_mixlo_f16 v50, v44, v1, 0 op_sel_hi:[0,1,0]
	v_fma_mixlo_f16 v9, v44, v9, 0 op_sel:[0,1,0] op_sel_hi:[0,1,0]
	v_lshlrev_b32_e32 v46, 16, v45
	v_fma_mixlo_f16 v45, v44, v47, 0 op_sel_hi:[0,1,0]
	v_fma_mixlo_f16 v47, v44, v51, 0 op_sel:[0,1,0] op_sel_hi:[0,1,0]
	v_fma_mixlo_f16 v48, v44, v48, 0 op_sel_hi:[0,1,0]
	v_fma_mixlo_f16 v49, v44, v49, 0 op_sel_hi:[0,1,0]
	v_lshlrev_b32_e32 v1, 16, v10
	v_and_b32_e32 v10, 0xffff, v50
	v_and_b32_e32 v52, 0xffff, v45
	v_lshlrev_b32_e32 v44, 16, v47
	v_and_b32_e32 v48, 0xffff, v48
	v_lshlrev_b32_e32 v9, 16, v9
	v_and_b32_e32 v45, 0xffff, v49
	v_or_b32_e32 v47, v1, v10
	v_or_b32_e32 v51, v46, v52
	;; [unrolled: 1-line block ×3, first 2 shown]
	s_delay_alu instid0(VALU_DEP_4)
	v_or_b32_e32 v49, v9, v45
	s_and_saveexec_b32 s17, vcc_lo
	s_cbranch_execz .LBB264_691
; %bb.690:                              ;   in Loop: Header=BB264_426 Depth=1
	v_cmp_gt_i32_e64 s0, s34, v26
	s_wait_alu 0xf1ff
	s_delay_alu instid0(VALU_DEP_1) | instskip(SKIP_2) | instid1(VALU_DEP_1)
	v_cndmask_b32_e64 v47, 0, v52, s0
	v_cmp_gt_i32_e64 s0, s34, v33
	s_wait_alu 0xf1ff
	v_cndmask_b32_e64 v46, 0, v46, s0
	v_cmp_gt_i32_e64 s0, s34, v32
	s_delay_alu instid0(VALU_DEP_2) | instskip(SKIP_1) | instid1(VALU_DEP_2)
	v_or_b32_e32 v51, v46, v47
	s_wait_alu 0xf1ff
	v_cndmask_b32_e64 v10, 0, v10, s0
	v_cmp_gt_i32_e64 s0, s34, v31
	s_wait_alu 0xf1ff
	s_delay_alu instid0(VALU_DEP_1) | instskip(SKIP_1) | instid1(VALU_DEP_2)
	v_cndmask_b32_e64 v1, 0, v1, s0
	v_cmp_gt_i32_e64 s0, s34, v30
	v_or_b32_e32 v47, v1, v10
	s_wait_alu 0xf1ff
	s_delay_alu instid0(VALU_DEP_2) | instskip(SKIP_2) | instid1(VALU_DEP_1)
	v_cndmask_b32_e64 v48, 0, v48, s0
	v_cmp_gt_i32_e64 s0, s34, v29
	s_wait_alu 0xf1ff
	v_cndmask_b32_e64 v44, 0, v44, s0
	v_cmp_gt_i32_e64 s0, s34, v28
	s_delay_alu instid0(VALU_DEP_2) | instskip(SKIP_1) | instid1(VALU_DEP_2)
	v_or_b32_e32 v50, v44, v48
	s_wait_alu 0xf1ff
	v_cndmask_b32_e64 v45, 0, v45, s0
	v_cmp_gt_i32_e64 s0, s34, v27
	s_wait_alu 0xf1ff
	s_delay_alu instid0(VALU_DEP_1) | instskip(NEXT) | instid1(VALU_DEP_1)
	v_cndmask_b32_e64 v9, 0, v9, s0
	v_or_b32_e32 v49, v9, v45
.LBB264_691:                            ;   in Loop: Header=BB264_426 Depth=1
	s_wait_alu 0xfffe
	s_or_b32 exec_lo, exec_lo, s17
	;;#ASMSTART
	v_pk_mul_f16 v1, v39, v51;

	;;#ASMEND
	;;#ASMSTART
	v_pk_mul_f16 v9, v38, v47;

	;;#ASMEND
	;; [unrolled: 4-line block ×4, first 2 shown]
	;;#ASMSTART
	v_pk_add_f16 v1, v1, v9;

	;;#ASMEND
	;;#ASMSTART
	v_pk_add_f16 v1, v1, v10;

	;;#ASMEND
	;; [unrolled: 4-line block ×3, first 2 shown]
	v_dual_mov_b32 v48, 0 :: v_dual_and_b32 v9, 0xffff, v1
	v_lshrrev_b32_e32 v1, 16, v1
	;;#ASMSTART
	v_cvt_f32_f16 v44, v9;
	;;#ASMEND
	;;#ASMSTART
	v_cvt_f32_f16 v45, v1;
	;;#ASMEND
	global_load_b64 v[9:10], v[7:8], off offset:1024
	v_mov_b32_e32 v47, 0
	s_mov_b32 s17, exec_lo
	global_load_b32 v46, v47, s[10:11]
	s_wait_loadcnt 0x1
	v_and_b32_e32 v1, 0xff, v9
	s_delay_alu instid0(VALU_DEP_1)
	v_cmpx_ne_u16_e32 0, v1
	s_cbranch_execz .LBB264_699
; %bb.692:                              ;   in Loop: Header=BB264_426 Depth=1
	v_mov_b32_e32 v48, 0x8000
	s_mov_b32 s18, exec_lo
	v_cmpx_ne_u16_e32 0x80, v1
	s_cbranch_execz .LBB264_698
; %bb.693:                              ;   in Loop: Header=BB264_426 Depth=1
	v_and_b32_e32 v49, 0x7f, v9
	v_mov_b32_e32 v48, 0x7c01
	s_mov_b32 s19, exec_lo
	s_delay_alu instid0(VALU_DEP_2)
	v_cmpx_ne_u32_e32 0x7f, v49
	s_cbranch_execz .LBB264_697
; %bb.694:                              ;   in Loop: Header=BB264_426 Depth=1
	v_and_b32_e32 v1, 7, v9
	v_lshrrev_b32_e32 v48, 3, v49
	s_mov_b32 s24, exec_lo
	v_cmpx_gt_u32_e32 8, v49
; %bb.695:                              ;   in Loop: Header=BB264_426 Depth=1
	s_delay_alu instid0(VALU_DEP_3) | instskip(NEXT) | instid1(VALU_DEP_1)
	v_clz_i32_u32_e32 v1, v1
	v_min_u32_e32 v1, 32, v1
	s_delay_alu instid0(VALU_DEP_1) | instskip(NEXT) | instid1(VALU_DEP_1)
	v_subrev_nc_u32_e32 v48, 28, v1
	v_lshlrev_b64_e32 v[49:50], v48, v[9:10]
	v_sub_nc_u32_e32 v48, 29, v1
	s_delay_alu instid0(VALU_DEP_2)
	v_and_b32_e32 v1, 7, v49
; %bb.696:                              ;   in Loop: Header=BB264_426 Depth=1
	s_wait_alu 0xfffe
	s_or_b32 exec_lo, exec_lo, s24
	v_lshlrev_b32_e32 v49, 8, v9
	v_lshl_add_u32 v48, v48, 10, 0x2000
	v_lshlrev_b32_e32 v1, 7, v1
	s_delay_alu instid0(VALU_DEP_3) | instskip(NEXT) | instid1(VALU_DEP_3)
	v_and_b32_e32 v49, 0x8000, v49
	v_and_b32_e32 v48, 0xfc00, v48
	s_delay_alu instid0(VALU_DEP_1)
	v_or3_b32 v48, v49, v48, v1
.LBB264_697:                            ;   in Loop: Header=BB264_426 Depth=1
	s_wait_alu 0xfffe
	s_or_b32 exec_lo, exec_lo, s19
.LBB264_698:                            ;   in Loop: Header=BB264_426 Depth=1
	s_wait_alu 0xfffe
	s_or_b32 exec_lo, exec_lo, s18
.LBB264_699:                            ;   in Loop: Header=BB264_426 Depth=1
	s_wait_alu 0xfffe
	s_or_b32 exec_lo, exec_lo, s17
	v_lshrrev_b16 v1, 8, v9
	s_mov_b32 s17, exec_lo
	s_delay_alu instid0(VALU_DEP_1)
	v_cmpx_ne_u16_e32 0, v1
	s_cbranch_execz .LBB264_707
; %bb.700:                              ;   in Loop: Header=BB264_426 Depth=1
	v_bfrev_b32_e32 v47, 1
	s_mov_b32 s18, exec_lo
	v_cmpx_ne_u16_e32 0x80, v1
	s_cbranch_execz .LBB264_706
; %bb.701:                              ;   in Loop: Header=BB264_426 Depth=1
	v_and_b32_e32 v49, 0xffff, v1
	v_mov_b32_e32 v47, 0x7c010000
	s_mov_b32 s19, exec_lo
	s_delay_alu instid0(VALU_DEP_2) | instskip(NEXT) | instid1(VALU_DEP_1)
	v_and_b32_e32 v51, 0x7f, v49
	v_cmpx_ne_u32_e32 0x7f, v51
	s_cbranch_execz .LBB264_705
; %bb.702:                              ;   in Loop: Header=BB264_426 Depth=1
	v_and_b32_e32 v47, 7, v49
	v_lshrrev_b32_e32 v50, 3, v51
	s_mov_b32 s24, exec_lo
	v_cmpx_gt_u32_e32 8, v51
; %bb.703:                              ;   in Loop: Header=BB264_426 Depth=1
	s_delay_alu instid0(VALU_DEP_3) | instskip(NEXT) | instid1(VALU_DEP_1)
	v_clz_i32_u32_e32 v47, v47
	v_min_u32_e32 v47, 32, v47
	s_delay_alu instid0(VALU_DEP_1) | instskip(NEXT) | instid1(VALU_DEP_1)
	v_subrev_nc_u32_e32 v50, 28, v47
	v_lshlrev_b64_e32 v[51:52], v50, v[1:2]
	v_sub_nc_u32_e32 v50, 29, v47
	s_delay_alu instid0(VALU_DEP_2)
	v_and_b32_e32 v47, 7, v51
; %bb.704:                              ;   in Loop: Header=BB264_426 Depth=1
	s_wait_alu 0xfffe
	s_or_b32 exec_lo, exec_lo, s24
	v_lshlrev_b32_e32 v1, 8, v49
	v_lshl_add_u32 v49, v50, 10, 0x2000
	v_lshlrev_b32_e32 v47, 23, v47
	s_delay_alu instid0(VALU_DEP_2) | instskip(NEXT) | instid1(VALU_DEP_1)
	v_and_or_b32 v1, 0x8000, v1, v49
	v_lshl_or_b32 v47, v1, 16, v47
.LBB264_705:                            ;   in Loop: Header=BB264_426 Depth=1
	s_wait_alu 0xfffe
	s_or_b32 exec_lo, exec_lo, s19
.LBB264_706:                            ;   in Loop: Header=BB264_426 Depth=1
	s_wait_alu 0xfffe
	s_or_b32 exec_lo, exec_lo, s18
.LBB264_707:                            ;   in Loop: Header=BB264_426 Depth=1
	s_wait_alu 0xfffe
	s_or_b32 exec_lo, exec_lo, s17
	v_lshrrev_b32_e32 v1, 16, v9
	v_mov_b32_e32 v49, 0
	s_mov_b32 s17, exec_lo
	s_delay_alu instid0(VALU_DEP_2) | instskip(NEXT) | instid1(VALU_DEP_1)
	v_dual_mov_b32 v50, 0 :: v_dual_and_b32 v51, 0xff, v1
	v_cmpx_ne_u16_e32 0, v51
	s_cbranch_execz .LBB264_715
; %bb.708:                              ;   in Loop: Header=BB264_426 Depth=1
	v_mov_b32_e32 v50, 0x8000
	s_mov_b32 s18, exec_lo
	v_cmpx_ne_u16_e32 0x80, v51
	s_cbranch_execz .LBB264_714
; %bb.709:                              ;   in Loop: Header=BB264_426 Depth=1
	v_bfe_u32 v52, v9, 16, 7
	v_mov_b32_e32 v50, 0x7c01
	s_mov_b32 s19, exec_lo
	s_delay_alu instid0(VALU_DEP_2)
	v_cmpx_ne_u32_e32 0x7f, v52
	s_cbranch_execz .LBB264_713
; %bb.710:                              ;   in Loop: Header=BB264_426 Depth=1
	v_and_b32_e32 v50, 7, v1
	v_lshrrev_b32_e32 v51, 3, v52
	s_mov_b32 s24, exec_lo
	v_cmpx_gt_u32_e32 8, v52
; %bb.711:                              ;   in Loop: Header=BB264_426 Depth=1
	s_delay_alu instid0(VALU_DEP_3) | instskip(NEXT) | instid1(VALU_DEP_1)
	v_clz_i32_u32_e32 v50, v50
	v_min_u32_e32 v52, 32, v50
	s_delay_alu instid0(VALU_DEP_1) | instskip(NEXT) | instid1(VALU_DEP_1)
	v_subrev_nc_u32_e32 v50, 28, v52
	v_lshlrev_b64_e32 v[50:51], v50, v[1:2]
	v_sub_nc_u32_e32 v51, 29, v52
	s_delay_alu instid0(VALU_DEP_2)
	v_and_b32_e32 v50, 7, v50
; %bb.712:                              ;   in Loop: Header=BB264_426 Depth=1
	s_wait_alu 0xfffe
	s_or_b32 exec_lo, exec_lo, s24
	v_lshlrev_b32_e32 v1, 8, v1
	v_lshl_add_u32 v51, v51, 10, 0x2000
	v_lshlrev_b32_e32 v50, 7, v50
	s_delay_alu instid0(VALU_DEP_3) | instskip(NEXT) | instid1(VALU_DEP_3)
	v_and_b32_e32 v1, 0x8000, v1
	v_and_b32_e32 v51, 0xfc00, v51
	s_delay_alu instid0(VALU_DEP_1)
	v_or3_b32 v50, v1, v51, v50
.LBB264_713:                            ;   in Loop: Header=BB264_426 Depth=1
	s_wait_alu 0xfffe
	s_or_b32 exec_lo, exec_lo, s19
.LBB264_714:                            ;   in Loop: Header=BB264_426 Depth=1
	s_wait_alu 0xfffe
	s_or_b32 exec_lo, exec_lo, s18
.LBB264_715:                            ;   in Loop: Header=BB264_426 Depth=1
	s_wait_alu 0xfffe
	s_or_b32 exec_lo, exec_lo, s17
	s_delay_alu instid0(SALU_CYCLE_1)
	s_mov_b32 s17, exec_lo
	v_cmpx_lt_u32_e32 0xffffff, v9
	s_cbranch_execz .LBB264_723
; %bb.716:                              ;   in Loop: Header=BB264_426 Depth=1
	v_lshrrev_b32_e32 v1, 24, v9
	v_bfrev_b32_e32 v49, 1
	s_mov_b32 s18, exec_lo
	s_delay_alu instid0(VALU_DEP_2)
	v_cmpx_ne_u32_e32 0x80, v1
	s_cbranch_execz .LBB264_722
; %bb.717:                              ;   in Loop: Header=BB264_426 Depth=1
	v_and_b32_e32 v52, 0x7f, v1
	v_mov_b32_e32 v49, 0x7c010000
	s_mov_b32 s19, exec_lo
	s_delay_alu instid0(VALU_DEP_2)
	v_cmpx_ne_u32_e32 0x7f, v52
	s_cbranch_execz .LBB264_721
; %bb.718:                              ;   in Loop: Header=BB264_426 Depth=1
	v_and_b32_e32 v49, 7, v1
	v_lshrrev_b32_e32 v51, 3, v52
	s_mov_b32 s24, exec_lo
	v_cmpx_gt_u32_e32 8, v52
; %bb.719:                              ;   in Loop: Header=BB264_426 Depth=1
	s_delay_alu instid0(VALU_DEP_3) | instskip(NEXT) | instid1(VALU_DEP_1)
	v_clz_i32_u32_e32 v49, v49
	v_min_u32_e32 v49, 32, v49
	s_delay_alu instid0(VALU_DEP_1) | instskip(NEXT) | instid1(VALU_DEP_1)
	v_subrev_nc_u32_e32 v51, 28, v49
	v_lshlrev_b64_e32 v[52:53], v51, v[1:2]
	v_sub_nc_u32_e32 v51, 29, v49
	s_delay_alu instid0(VALU_DEP_2)
	v_and_b32_e32 v49, 7, v52
; %bb.720:                              ;   in Loop: Header=BB264_426 Depth=1
	s_wait_alu 0xfffe
	s_or_b32 exec_lo, exec_lo, s24
	v_lshlrev_b32_e32 v1, 8, v1
	v_lshl_add_u32 v51, v51, 10, 0x2000
	v_lshlrev_b32_e32 v49, 23, v49
	s_delay_alu instid0(VALU_DEP_2) | instskip(NEXT) | instid1(VALU_DEP_1)
	v_and_or_b32 v1, 0x8000, v1, v51
	v_lshl_or_b32 v49, v1, 16, v49
.LBB264_721:                            ;   in Loop: Header=BB264_426 Depth=1
	s_wait_alu 0xfffe
	s_or_b32 exec_lo, exec_lo, s19
.LBB264_722:                            ;   in Loop: Header=BB264_426 Depth=1
	s_wait_alu 0xfffe
	s_or_b32 exec_lo, exec_lo, s18
.LBB264_723:                            ;   in Loop: Header=BB264_426 Depth=1
	s_wait_alu 0xfffe
	s_or_b32 exec_lo, exec_lo, s17
	v_dual_mov_b32 v52, 0 :: v_dual_and_b32 v53, 0xff, v10
	v_mov_b32_e32 v1, v10
	v_mov_b32_e32 v51, 0
	s_mov_b32 s17, exec_lo
	s_delay_alu instid0(VALU_DEP_3)
	v_cmpx_ne_u16_e32 0, v53
	s_cbranch_execz .LBB264_731
; %bb.724:                              ;   in Loop: Header=BB264_426 Depth=1
	v_mov_b32_e32 v52, 0x8000
	s_mov_b32 s18, exec_lo
	v_cmpx_ne_u16_e32 0x80, v53
	s_cbranch_execz .LBB264_730
; %bb.725:                              ;   in Loop: Header=BB264_426 Depth=1
	v_and_b32_e32 v54, 0x7f, v10
	v_mov_b32_e32 v52, 0x7c01
	s_mov_b32 s19, exec_lo
	s_delay_alu instid0(VALU_DEP_2)
	v_cmpx_ne_u32_e32 0x7f, v54
	s_cbranch_execz .LBB264_729
; %bb.726:                              ;   in Loop: Header=BB264_426 Depth=1
	v_and_b32_e32 v52, 7, v10
	v_lshrrev_b32_e32 v53, 3, v54
	s_mov_b32 s24, exec_lo
	v_cmpx_gt_u32_e32 8, v54
; %bb.727:                              ;   in Loop: Header=BB264_426 Depth=1
	s_delay_alu instid0(VALU_DEP_3) | instskip(NEXT) | instid1(VALU_DEP_1)
	v_clz_i32_u32_e32 v52, v52
	v_min_u32_e32 v54, 32, v52
	s_delay_alu instid0(VALU_DEP_1) | instskip(NEXT) | instid1(VALU_DEP_1)
	v_subrev_nc_u32_e32 v52, 28, v54
	v_lshlrev_b64_e32 v[52:53], v52, v[1:2]
	v_sub_nc_u32_e32 v53, 29, v54
	s_delay_alu instid0(VALU_DEP_2)
	v_and_b32_e32 v52, 7, v52
; %bb.728:                              ;   in Loop: Header=BB264_426 Depth=1
	s_wait_alu 0xfffe
	s_or_b32 exec_lo, exec_lo, s24
	v_lshlrev_b32_e32 v54, 8, v10
	v_lshl_add_u32 v53, v53, 10, 0x2000
	v_lshlrev_b32_e32 v52, 7, v52
	s_delay_alu instid0(VALU_DEP_3) | instskip(NEXT) | instid1(VALU_DEP_3)
	v_and_b32_e32 v54, 0x8000, v54
	v_and_b32_e32 v53, 0xfc00, v53
	s_delay_alu instid0(VALU_DEP_1)
	v_or3_b32 v52, v54, v53, v52
.LBB264_729:                            ;   in Loop: Header=BB264_426 Depth=1
	s_wait_alu 0xfffe
	s_or_b32 exec_lo, exec_lo, s19
.LBB264_730:                            ;   in Loop: Header=BB264_426 Depth=1
	s_wait_alu 0xfffe
	s_or_b32 exec_lo, exec_lo, s18
.LBB264_731:                            ;   in Loop: Header=BB264_426 Depth=1
	s_wait_alu 0xfffe
	s_or_b32 exec_lo, exec_lo, s17
	v_lshrrev_b16 v1, 8, v1
	v_mov_b32_e32 v53, 0
	s_mov_b32 s17, exec_lo
	s_delay_alu instid0(VALU_DEP_2)
	v_cmpx_ne_u16_e32 0, v1
	s_cbranch_execz .LBB264_739
; %bb.732:                              ;   in Loop: Header=BB264_426 Depth=1
	v_bfrev_b32_e32 v53, 1
	s_mov_b32 s18, exec_lo
	v_cmpx_ne_u16_e32 0x80, v1
	s_cbranch_execz .LBB264_738
; %bb.733:                              ;   in Loop: Header=BB264_426 Depth=1
	v_and_b32_e32 v54, 0xffff, v1
	v_mov_b32_e32 v53, 0x7c010000
	s_mov_b32 s19, exec_lo
	s_delay_alu instid0(VALU_DEP_2) | instskip(NEXT) | instid1(VALU_DEP_1)
	v_and_b32_e32 v56, 0x7f, v54
	v_cmpx_ne_u32_e32 0x7f, v56
	s_cbranch_execz .LBB264_737
; %bb.734:                              ;   in Loop: Header=BB264_426 Depth=1
	v_and_b32_e32 v53, 7, v54
	v_lshrrev_b32_e32 v55, 3, v56
	s_mov_b32 s24, exec_lo
	v_cmpx_gt_u32_e32 8, v56
; %bb.735:                              ;   in Loop: Header=BB264_426 Depth=1
	s_delay_alu instid0(VALU_DEP_3) | instskip(NEXT) | instid1(VALU_DEP_1)
	v_clz_i32_u32_e32 v53, v53
	v_min_u32_e32 v53, 32, v53
	s_delay_alu instid0(VALU_DEP_1) | instskip(NEXT) | instid1(VALU_DEP_1)
	v_subrev_nc_u32_e32 v55, 28, v53
	v_lshlrev_b64_e32 v[56:57], v55, v[1:2]
	v_sub_nc_u32_e32 v55, 29, v53
	s_delay_alu instid0(VALU_DEP_2)
	v_and_b32_e32 v53, 7, v56
; %bb.736:                              ;   in Loop: Header=BB264_426 Depth=1
	s_wait_alu 0xfffe
	s_or_b32 exec_lo, exec_lo, s24
	v_lshlrev_b32_e32 v1, 8, v54
	v_lshl_add_u32 v54, v55, 10, 0x2000
	v_lshlrev_b32_e32 v53, 23, v53
	s_delay_alu instid0(VALU_DEP_2) | instskip(NEXT) | instid1(VALU_DEP_1)
	v_and_or_b32 v1, 0x8000, v1, v54
	v_lshl_or_b32 v53, v1, 16, v53
.LBB264_737:                            ;   in Loop: Header=BB264_426 Depth=1
	s_wait_alu 0xfffe
	s_or_b32 exec_lo, exec_lo, s19
.LBB264_738:                            ;   in Loop: Header=BB264_426 Depth=1
	s_wait_alu 0xfffe
	s_or_b32 exec_lo, exec_lo, s18
.LBB264_739:                            ;   in Loop: Header=BB264_426 Depth=1
	s_wait_alu 0xfffe
	s_or_b32 exec_lo, exec_lo, s17
	v_lshrrev_b32_e32 v1, 16, v10
	s_mov_b32 s17, exec_lo
	s_delay_alu instid0(VALU_DEP_1) | instskip(NEXT) | instid1(VALU_DEP_1)
	v_and_b32_e32 v54, 0xff, v1
	v_cmpx_ne_u16_e32 0, v54
	s_cbranch_execz .LBB264_747
; %bb.740:                              ;   in Loop: Header=BB264_426 Depth=1
	v_mov_b32_e32 v51, 0x8000
	s_mov_b32 s18, exec_lo
	v_cmpx_ne_u16_e32 0x80, v54
	s_cbranch_execz .LBB264_746
; %bb.741:                              ;   in Loop: Header=BB264_426 Depth=1
	v_bfe_u32 v55, v10, 16, 7
	v_mov_b32_e32 v51, 0x7c01
	s_mov_b32 s19, exec_lo
	s_delay_alu instid0(VALU_DEP_2)
	v_cmpx_ne_u32_e32 0x7f, v55
	s_cbranch_execz .LBB264_745
; %bb.742:                              ;   in Loop: Header=BB264_426 Depth=1
	v_and_b32_e32 v51, 7, v1
	v_lshrrev_b32_e32 v54, 3, v55
	s_mov_b32 s24, exec_lo
	v_cmpx_gt_u32_e32 8, v55
; %bb.743:                              ;   in Loop: Header=BB264_426 Depth=1
	s_delay_alu instid0(VALU_DEP_3) | instskip(NEXT) | instid1(VALU_DEP_1)
	v_clz_i32_u32_e32 v51, v51
	v_min_u32_e32 v51, 32, v51
	s_delay_alu instid0(VALU_DEP_1) | instskip(NEXT) | instid1(VALU_DEP_1)
	v_subrev_nc_u32_e32 v54, 28, v51
	v_lshlrev_b64_e32 v[55:56], v54, v[1:2]
	v_sub_nc_u32_e32 v54, 29, v51
	s_delay_alu instid0(VALU_DEP_2)
	v_and_b32_e32 v51, 7, v55
; %bb.744:                              ;   in Loop: Header=BB264_426 Depth=1
	s_wait_alu 0xfffe
	s_or_b32 exec_lo, exec_lo, s24
	v_lshlrev_b32_e32 v1, 8, v1
	v_lshl_add_u32 v54, v54, 10, 0x2000
	v_lshlrev_b32_e32 v51, 7, v51
	s_delay_alu instid0(VALU_DEP_3) | instskip(NEXT) | instid1(VALU_DEP_3)
	v_and_b32_e32 v1, 0x8000, v1
	v_and_b32_e32 v54, 0xfc00, v54
	s_delay_alu instid0(VALU_DEP_1)
	v_or3_b32 v51, v1, v54, v51
.LBB264_745:                            ;   in Loop: Header=BB264_426 Depth=1
	s_wait_alu 0xfffe
	s_or_b32 exec_lo, exec_lo, s19
.LBB264_746:                            ;   in Loop: Header=BB264_426 Depth=1
	s_wait_alu 0xfffe
	s_or_b32 exec_lo, exec_lo, s18
.LBB264_747:                            ;   in Loop: Header=BB264_426 Depth=1
	s_wait_alu 0xfffe
	s_or_b32 exec_lo, exec_lo, s17
	v_cmp_lt_u64_e64 s0, s[2:3], v[9:10]
	v_mov_b32_e32 v9, 0
	s_and_saveexec_b32 s17, s0
	s_cbranch_execz .LBB264_755
; %bb.748:                              ;   in Loop: Header=BB264_426 Depth=1
	v_lshrrev_b32_e32 v1, 24, v10
	v_bfrev_b32_e32 v9, 1
	s_mov_b32 s18, exec_lo
	s_delay_alu instid0(VALU_DEP_2)
	v_cmpx_ne_u32_e32 0x80, v1
	s_cbranch_execz .LBB264_754
; %bb.749:                              ;   in Loop: Header=BB264_426 Depth=1
	v_and_b32_e32 v54, 0x7f, v1
	v_mov_b32_e32 v9, 0x7c010000
	s_mov_b32 s19, exec_lo
	s_delay_alu instid0(VALU_DEP_2)
	v_cmpx_ne_u32_e32 0x7f, v54
	s_cbranch_execz .LBB264_753
; %bb.750:                              ;   in Loop: Header=BB264_426 Depth=1
	v_and_b32_e32 v9, 7, v1
	v_lshrrev_b32_e32 v10, 3, v54
	s_mov_b32 s24, exec_lo
	v_cmpx_gt_u32_e32 8, v54
; %bb.751:                              ;   in Loop: Header=BB264_426 Depth=1
	s_delay_alu instid0(VALU_DEP_3) | instskip(NEXT) | instid1(VALU_DEP_1)
	v_clz_i32_u32_e32 v9, v9
	v_min_u32_e32 v54, 32, v9
	s_delay_alu instid0(VALU_DEP_1) | instskip(NEXT) | instid1(VALU_DEP_1)
	v_subrev_nc_u32_e32 v9, 28, v54
	v_lshlrev_b64_e32 v[9:10], v9, v[1:2]
	v_sub_nc_u32_e32 v10, 29, v54
	s_delay_alu instid0(VALU_DEP_2)
	v_and_b32_e32 v9, 7, v9
; %bb.752:                              ;   in Loop: Header=BB264_426 Depth=1
	s_wait_alu 0xfffe
	s_or_b32 exec_lo, exec_lo, s24
	v_lshlrev_b32_e32 v1, 8, v1
	v_lshl_add_u32 v10, v10, 10, 0x2000
	v_lshlrev_b32_e32 v9, 23, v9
	s_delay_alu instid0(VALU_DEP_2) | instskip(NEXT) | instid1(VALU_DEP_1)
	v_and_or_b32 v1, 0x8000, v1, v10
	v_lshl_or_b32 v9, v1, 16, v9
.LBB264_753:                            ;   in Loop: Header=BB264_426 Depth=1
	s_wait_alu 0xfffe
	s_or_b32 exec_lo, exec_lo, s19
.LBB264_754:                            ;   in Loop: Header=BB264_426 Depth=1
	s_wait_alu 0xfffe
	s_or_b32 exec_lo, exec_lo, s18
.LBB264_755:                            ;   in Loop: Header=BB264_426 Depth=1
	s_wait_alu 0xfffe
	s_or_b32 exec_lo, exec_lo, s17
	v_or_b32_e32 v1, v49, v50
	s_wait_loadcnt 0x0
	v_fma_mixlo_f16 v10, v46, v49, 0 op_sel:[0,1,0] op_sel_hi:[0,1,0]
	v_or_b32_e32 v49, v47, v48
	v_fma_mixlo_f16 v47, v46, v47, 0 op_sel:[0,1,0] op_sel_hi:[0,1,0]
	v_or_b32_e32 v50, v53, v52
	v_or_b32_e32 v51, v9, v51
	v_fma_mixlo_f16 v52, v46, v1, 0 op_sel_hi:[0,1,0]
	v_fma_mixlo_f16 v9, v46, v9, 0 op_sel:[0,1,0] op_sel_hi:[0,1,0]
	v_lshlrev_b32_e32 v48, 16, v47
	v_fma_mixlo_f16 v47, v46, v49, 0 op_sel_hi:[0,1,0]
	v_fma_mixlo_f16 v49, v46, v53, 0 op_sel:[0,1,0] op_sel_hi:[0,1,0]
	v_fma_mixlo_f16 v50, v46, v50, 0 op_sel_hi:[0,1,0]
	v_fma_mixlo_f16 v51, v46, v51, 0 op_sel_hi:[0,1,0]
	v_lshlrev_b32_e32 v1, 16, v10
	v_and_b32_e32 v10, 0xffff, v52
	v_and_b32_e32 v54, 0xffff, v47
	v_lshlrev_b32_e32 v46, 16, v49
	v_and_b32_e32 v50, 0xffff, v50
	v_lshlrev_b32_e32 v9, 16, v9
	v_and_b32_e32 v47, 0xffff, v51
	v_or_b32_e32 v49, v1, v10
	v_or_b32_e32 v53, v48, v54
	;; [unrolled: 1-line block ×3, first 2 shown]
	s_delay_alu instid0(VALU_DEP_4)
	v_or_b32_e32 v51, v9, v47
	s_and_saveexec_b32 s17, vcc_lo
	s_cbranch_execz .LBB264_757
; %bb.756:                              ;   in Loop: Header=BB264_426 Depth=1
	v_cmp_gt_i32_e64 s0, s34, v26
	s_wait_alu 0xf1ff
	s_delay_alu instid0(VALU_DEP_1) | instskip(SKIP_2) | instid1(VALU_DEP_1)
	v_cndmask_b32_e64 v49, 0, v54, s0
	v_cmp_gt_i32_e64 s0, s34, v33
	s_wait_alu 0xf1ff
	v_cndmask_b32_e64 v48, 0, v48, s0
	v_cmp_gt_i32_e64 s0, s34, v32
	s_delay_alu instid0(VALU_DEP_2) | instskip(SKIP_1) | instid1(VALU_DEP_2)
	v_or_b32_e32 v53, v48, v49
	s_wait_alu 0xf1ff
	v_cndmask_b32_e64 v10, 0, v10, s0
	v_cmp_gt_i32_e64 s0, s34, v31
	s_wait_alu 0xf1ff
	s_delay_alu instid0(VALU_DEP_1) | instskip(SKIP_1) | instid1(VALU_DEP_2)
	v_cndmask_b32_e64 v1, 0, v1, s0
	v_cmp_gt_i32_e64 s0, s34, v30
	v_or_b32_e32 v49, v1, v10
	s_wait_alu 0xf1ff
	s_delay_alu instid0(VALU_DEP_2) | instskip(SKIP_2) | instid1(VALU_DEP_1)
	v_cndmask_b32_e64 v50, 0, v50, s0
	v_cmp_gt_i32_e64 s0, s34, v29
	s_wait_alu 0xf1ff
	v_cndmask_b32_e64 v46, 0, v46, s0
	v_cmp_gt_i32_e64 s0, s34, v28
	s_delay_alu instid0(VALU_DEP_2) | instskip(SKIP_1) | instid1(VALU_DEP_2)
	v_or_b32_e32 v52, v46, v50
	s_wait_alu 0xf1ff
	v_cndmask_b32_e64 v47, 0, v47, s0
	v_cmp_gt_i32_e64 s0, s34, v27
	s_wait_alu 0xf1ff
	s_delay_alu instid0(VALU_DEP_1) | instskip(NEXT) | instid1(VALU_DEP_1)
	v_cndmask_b32_e64 v9, 0, v9, s0
	v_or_b32_e32 v51, v9, v47
.LBB264_757:                            ;   in Loop: Header=BB264_426 Depth=1
	s_wait_alu 0xfffe
	s_or_b32 exec_lo, exec_lo, s17
	;;#ASMSTART
	v_pk_mul_f16 v1, v39, v53;

	;;#ASMEND
	;;#ASMSTART
	v_pk_mul_f16 v9, v38, v49;

	;;#ASMEND
	;; [unrolled: 4-line block ×4, first 2 shown]
	;;#ASMSTART
	v_pk_add_f16 v1, v1, v9;

	;;#ASMEND
	;;#ASMSTART
	v_pk_add_f16 v1, v1, v10;

	;;#ASMEND
	;; [unrolled: 4-line block ×3, first 2 shown]
	v_dual_mov_b32 v48, 0 :: v_dual_and_b32 v9, 0xffff, v1
	v_lshrrev_b32_e32 v1, 16, v1
	;;#ASMSTART
	v_cvt_f32_f16 v9, v9;
	;;#ASMEND
	;;#ASMSTART
	v_cvt_f32_f16 v10, v1;
	;;#ASMEND
	global_load_b64 v[7:8], v[7:8], off offset:1280
	v_mov_b32_e32 v47, 0
	s_mov_b32 s17, exec_lo
	global_load_b32 v46, v47, s[10:11]
	s_wait_loadcnt 0x1
	v_and_b32_e32 v1, 0xff, v7
	s_delay_alu instid0(VALU_DEP_1)
	v_cmpx_ne_u16_e32 0, v1
	s_cbranch_execz .LBB264_765
; %bb.758:                              ;   in Loop: Header=BB264_426 Depth=1
	v_mov_b32_e32 v48, 0x8000
	s_mov_b32 s18, exec_lo
	v_cmpx_ne_u16_e32 0x80, v1
	s_cbranch_execz .LBB264_764
; %bb.759:                              ;   in Loop: Header=BB264_426 Depth=1
	v_and_b32_e32 v49, 0x7f, v7
	v_mov_b32_e32 v48, 0x7c01
	s_mov_b32 s19, exec_lo
	s_delay_alu instid0(VALU_DEP_2)
	v_cmpx_ne_u32_e32 0x7f, v49
	s_cbranch_execz .LBB264_763
; %bb.760:                              ;   in Loop: Header=BB264_426 Depth=1
	v_and_b32_e32 v1, 7, v7
	v_lshrrev_b32_e32 v48, 3, v49
	s_mov_b32 s24, exec_lo
	v_cmpx_gt_u32_e32 8, v49
; %bb.761:                              ;   in Loop: Header=BB264_426 Depth=1
	s_delay_alu instid0(VALU_DEP_3) | instskip(NEXT) | instid1(VALU_DEP_1)
	v_clz_i32_u32_e32 v1, v1
	v_min_u32_e32 v1, 32, v1
	s_delay_alu instid0(VALU_DEP_1) | instskip(NEXT) | instid1(VALU_DEP_1)
	v_subrev_nc_u32_e32 v48, 28, v1
	v_lshlrev_b64_e32 v[49:50], v48, v[7:8]
	v_sub_nc_u32_e32 v48, 29, v1
	s_delay_alu instid0(VALU_DEP_2)
	v_and_b32_e32 v1, 7, v49
; %bb.762:                              ;   in Loop: Header=BB264_426 Depth=1
	s_wait_alu 0xfffe
	s_or_b32 exec_lo, exec_lo, s24
	v_lshlrev_b32_e32 v49, 8, v7
	v_lshl_add_u32 v48, v48, 10, 0x2000
	v_lshlrev_b32_e32 v1, 7, v1
	s_delay_alu instid0(VALU_DEP_3) | instskip(NEXT) | instid1(VALU_DEP_3)
	v_and_b32_e32 v49, 0x8000, v49
	v_and_b32_e32 v48, 0xfc00, v48
	s_delay_alu instid0(VALU_DEP_1)
	v_or3_b32 v48, v49, v48, v1
.LBB264_763:                            ;   in Loop: Header=BB264_426 Depth=1
	s_wait_alu 0xfffe
	s_or_b32 exec_lo, exec_lo, s19
.LBB264_764:                            ;   in Loop: Header=BB264_426 Depth=1
	s_wait_alu 0xfffe
	s_or_b32 exec_lo, exec_lo, s18
.LBB264_765:                            ;   in Loop: Header=BB264_426 Depth=1
	s_wait_alu 0xfffe
	s_or_b32 exec_lo, exec_lo, s17
	v_lshrrev_b16 v1, 8, v7
	s_mov_b32 s17, exec_lo
	s_delay_alu instid0(VALU_DEP_1)
	v_cmpx_ne_u16_e32 0, v1
	s_cbranch_execz .LBB264_773
; %bb.766:                              ;   in Loop: Header=BB264_426 Depth=1
	v_bfrev_b32_e32 v47, 1
	s_mov_b32 s18, exec_lo
	v_cmpx_ne_u16_e32 0x80, v1
	s_cbranch_execz .LBB264_772
; %bb.767:                              ;   in Loop: Header=BB264_426 Depth=1
	v_and_b32_e32 v49, 0xffff, v1
	v_mov_b32_e32 v47, 0x7c010000
	s_mov_b32 s19, exec_lo
	s_delay_alu instid0(VALU_DEP_2) | instskip(NEXT) | instid1(VALU_DEP_1)
	v_and_b32_e32 v51, 0x7f, v49
	v_cmpx_ne_u32_e32 0x7f, v51
	s_cbranch_execz .LBB264_771
; %bb.768:                              ;   in Loop: Header=BB264_426 Depth=1
	v_and_b32_e32 v47, 7, v49
	v_lshrrev_b32_e32 v50, 3, v51
	s_mov_b32 s24, exec_lo
	v_cmpx_gt_u32_e32 8, v51
; %bb.769:                              ;   in Loop: Header=BB264_426 Depth=1
	s_delay_alu instid0(VALU_DEP_3) | instskip(NEXT) | instid1(VALU_DEP_1)
	v_clz_i32_u32_e32 v47, v47
	v_min_u32_e32 v47, 32, v47
	s_delay_alu instid0(VALU_DEP_1) | instskip(NEXT) | instid1(VALU_DEP_1)
	v_subrev_nc_u32_e32 v50, 28, v47
	v_lshlrev_b64_e32 v[51:52], v50, v[1:2]
	v_sub_nc_u32_e32 v50, 29, v47
	s_delay_alu instid0(VALU_DEP_2)
	v_and_b32_e32 v47, 7, v51
; %bb.770:                              ;   in Loop: Header=BB264_426 Depth=1
	s_wait_alu 0xfffe
	s_or_b32 exec_lo, exec_lo, s24
	v_lshlrev_b32_e32 v1, 8, v49
	v_lshl_add_u32 v49, v50, 10, 0x2000
	v_lshlrev_b32_e32 v47, 23, v47
	s_delay_alu instid0(VALU_DEP_2) | instskip(NEXT) | instid1(VALU_DEP_1)
	v_and_or_b32 v1, 0x8000, v1, v49
	v_lshl_or_b32 v47, v1, 16, v47
.LBB264_771:                            ;   in Loop: Header=BB264_426 Depth=1
	s_wait_alu 0xfffe
	s_or_b32 exec_lo, exec_lo, s19
.LBB264_772:                            ;   in Loop: Header=BB264_426 Depth=1
	s_wait_alu 0xfffe
	s_or_b32 exec_lo, exec_lo, s18
.LBB264_773:                            ;   in Loop: Header=BB264_426 Depth=1
	s_wait_alu 0xfffe
	s_or_b32 exec_lo, exec_lo, s17
	v_lshrrev_b32_e32 v1, 16, v7
	v_mov_b32_e32 v49, 0
	s_mov_b32 s17, exec_lo
	s_delay_alu instid0(VALU_DEP_2) | instskip(NEXT) | instid1(VALU_DEP_1)
	v_dual_mov_b32 v50, 0 :: v_dual_and_b32 v51, 0xff, v1
	v_cmpx_ne_u16_e32 0, v51
	s_cbranch_execz .LBB264_781
; %bb.774:                              ;   in Loop: Header=BB264_426 Depth=1
	v_mov_b32_e32 v50, 0x8000
	s_mov_b32 s18, exec_lo
	v_cmpx_ne_u16_e32 0x80, v51
	s_cbranch_execz .LBB264_780
; %bb.775:                              ;   in Loop: Header=BB264_426 Depth=1
	v_bfe_u32 v52, v7, 16, 7
	v_mov_b32_e32 v50, 0x7c01
	s_mov_b32 s19, exec_lo
	s_delay_alu instid0(VALU_DEP_2)
	v_cmpx_ne_u32_e32 0x7f, v52
	s_cbranch_execz .LBB264_779
; %bb.776:                              ;   in Loop: Header=BB264_426 Depth=1
	v_and_b32_e32 v50, 7, v1
	v_lshrrev_b32_e32 v51, 3, v52
	s_mov_b32 s24, exec_lo
	v_cmpx_gt_u32_e32 8, v52
; %bb.777:                              ;   in Loop: Header=BB264_426 Depth=1
	s_delay_alu instid0(VALU_DEP_3) | instskip(NEXT) | instid1(VALU_DEP_1)
	v_clz_i32_u32_e32 v50, v50
	v_min_u32_e32 v52, 32, v50
	s_delay_alu instid0(VALU_DEP_1) | instskip(NEXT) | instid1(VALU_DEP_1)
	v_subrev_nc_u32_e32 v50, 28, v52
	v_lshlrev_b64_e32 v[50:51], v50, v[1:2]
	v_sub_nc_u32_e32 v51, 29, v52
	s_delay_alu instid0(VALU_DEP_2)
	v_and_b32_e32 v50, 7, v50
; %bb.778:                              ;   in Loop: Header=BB264_426 Depth=1
	s_wait_alu 0xfffe
	s_or_b32 exec_lo, exec_lo, s24
	v_lshlrev_b32_e32 v1, 8, v1
	v_lshl_add_u32 v51, v51, 10, 0x2000
	v_lshlrev_b32_e32 v50, 7, v50
	s_delay_alu instid0(VALU_DEP_3) | instskip(NEXT) | instid1(VALU_DEP_3)
	v_and_b32_e32 v1, 0x8000, v1
	v_and_b32_e32 v51, 0xfc00, v51
	s_delay_alu instid0(VALU_DEP_1)
	v_or3_b32 v50, v1, v51, v50
.LBB264_779:                            ;   in Loop: Header=BB264_426 Depth=1
	s_wait_alu 0xfffe
	s_or_b32 exec_lo, exec_lo, s19
.LBB264_780:                            ;   in Loop: Header=BB264_426 Depth=1
	s_wait_alu 0xfffe
	s_or_b32 exec_lo, exec_lo, s18
.LBB264_781:                            ;   in Loop: Header=BB264_426 Depth=1
	s_wait_alu 0xfffe
	s_or_b32 exec_lo, exec_lo, s17
	s_delay_alu instid0(SALU_CYCLE_1)
	s_mov_b32 s17, exec_lo
	v_cmpx_lt_u32_e32 0xffffff, v7
	s_cbranch_execz .LBB264_789
; %bb.782:                              ;   in Loop: Header=BB264_426 Depth=1
	v_lshrrev_b32_e32 v1, 24, v7
	v_bfrev_b32_e32 v49, 1
	s_mov_b32 s18, exec_lo
	s_delay_alu instid0(VALU_DEP_2)
	v_cmpx_ne_u32_e32 0x80, v1
	s_cbranch_execz .LBB264_788
; %bb.783:                              ;   in Loop: Header=BB264_426 Depth=1
	v_and_b32_e32 v52, 0x7f, v1
	v_mov_b32_e32 v49, 0x7c010000
	s_mov_b32 s19, exec_lo
	s_delay_alu instid0(VALU_DEP_2)
	v_cmpx_ne_u32_e32 0x7f, v52
	s_cbranch_execz .LBB264_787
; %bb.784:                              ;   in Loop: Header=BB264_426 Depth=1
	v_and_b32_e32 v49, 7, v1
	v_lshrrev_b32_e32 v51, 3, v52
	s_mov_b32 s24, exec_lo
	v_cmpx_gt_u32_e32 8, v52
; %bb.785:                              ;   in Loop: Header=BB264_426 Depth=1
	s_delay_alu instid0(VALU_DEP_3) | instskip(NEXT) | instid1(VALU_DEP_1)
	v_clz_i32_u32_e32 v49, v49
	v_min_u32_e32 v49, 32, v49
	s_delay_alu instid0(VALU_DEP_1) | instskip(NEXT) | instid1(VALU_DEP_1)
	v_subrev_nc_u32_e32 v51, 28, v49
	v_lshlrev_b64_e32 v[52:53], v51, v[1:2]
	v_sub_nc_u32_e32 v51, 29, v49
	s_delay_alu instid0(VALU_DEP_2)
	v_and_b32_e32 v49, 7, v52
; %bb.786:                              ;   in Loop: Header=BB264_426 Depth=1
	s_wait_alu 0xfffe
	s_or_b32 exec_lo, exec_lo, s24
	v_lshlrev_b32_e32 v1, 8, v1
	v_lshl_add_u32 v51, v51, 10, 0x2000
	v_lshlrev_b32_e32 v49, 23, v49
	s_delay_alu instid0(VALU_DEP_2) | instskip(NEXT) | instid1(VALU_DEP_1)
	v_and_or_b32 v1, 0x8000, v1, v51
	v_lshl_or_b32 v49, v1, 16, v49
.LBB264_787:                            ;   in Loop: Header=BB264_426 Depth=1
	s_wait_alu 0xfffe
	s_or_b32 exec_lo, exec_lo, s19
.LBB264_788:                            ;   in Loop: Header=BB264_426 Depth=1
	s_wait_alu 0xfffe
	s_or_b32 exec_lo, exec_lo, s18
.LBB264_789:                            ;   in Loop: Header=BB264_426 Depth=1
	s_wait_alu 0xfffe
	s_or_b32 exec_lo, exec_lo, s17
	v_dual_mov_b32 v52, 0 :: v_dual_and_b32 v53, 0xff, v8
	v_mov_b32_e32 v1, v8
	v_mov_b32_e32 v51, 0
	s_mov_b32 s17, exec_lo
	s_delay_alu instid0(VALU_DEP_3)
	v_cmpx_ne_u16_e32 0, v53
	s_cbranch_execz .LBB264_797
; %bb.790:                              ;   in Loop: Header=BB264_426 Depth=1
	v_mov_b32_e32 v52, 0x8000
	s_mov_b32 s18, exec_lo
	v_cmpx_ne_u16_e32 0x80, v53
	s_cbranch_execz .LBB264_796
; %bb.791:                              ;   in Loop: Header=BB264_426 Depth=1
	v_and_b32_e32 v54, 0x7f, v8
	v_mov_b32_e32 v52, 0x7c01
	s_mov_b32 s19, exec_lo
	s_delay_alu instid0(VALU_DEP_2)
	v_cmpx_ne_u32_e32 0x7f, v54
	s_cbranch_execz .LBB264_795
; %bb.792:                              ;   in Loop: Header=BB264_426 Depth=1
	v_and_b32_e32 v52, 7, v8
	v_lshrrev_b32_e32 v53, 3, v54
	s_mov_b32 s24, exec_lo
	v_cmpx_gt_u32_e32 8, v54
; %bb.793:                              ;   in Loop: Header=BB264_426 Depth=1
	s_delay_alu instid0(VALU_DEP_3) | instskip(NEXT) | instid1(VALU_DEP_1)
	v_clz_i32_u32_e32 v52, v52
	v_min_u32_e32 v54, 32, v52
	s_delay_alu instid0(VALU_DEP_1) | instskip(NEXT) | instid1(VALU_DEP_1)
	v_subrev_nc_u32_e32 v52, 28, v54
	v_lshlrev_b64_e32 v[52:53], v52, v[1:2]
	v_sub_nc_u32_e32 v53, 29, v54
	s_delay_alu instid0(VALU_DEP_2)
	v_and_b32_e32 v52, 7, v52
; %bb.794:                              ;   in Loop: Header=BB264_426 Depth=1
	s_wait_alu 0xfffe
	s_or_b32 exec_lo, exec_lo, s24
	v_lshlrev_b32_e32 v54, 8, v8
	v_lshl_add_u32 v53, v53, 10, 0x2000
	v_lshlrev_b32_e32 v52, 7, v52
	s_delay_alu instid0(VALU_DEP_3) | instskip(NEXT) | instid1(VALU_DEP_3)
	v_and_b32_e32 v54, 0x8000, v54
	v_and_b32_e32 v53, 0xfc00, v53
	s_delay_alu instid0(VALU_DEP_1)
	v_or3_b32 v52, v54, v53, v52
.LBB264_795:                            ;   in Loop: Header=BB264_426 Depth=1
	s_wait_alu 0xfffe
	s_or_b32 exec_lo, exec_lo, s19
.LBB264_796:                            ;   in Loop: Header=BB264_426 Depth=1
	s_wait_alu 0xfffe
	s_or_b32 exec_lo, exec_lo, s18
.LBB264_797:                            ;   in Loop: Header=BB264_426 Depth=1
	s_wait_alu 0xfffe
	s_or_b32 exec_lo, exec_lo, s17
	v_lshrrev_b16 v1, 8, v1
	v_mov_b32_e32 v53, 0
	s_mov_b32 s17, exec_lo
	s_delay_alu instid0(VALU_DEP_2)
	v_cmpx_ne_u16_e32 0, v1
	s_cbranch_execz .LBB264_805
; %bb.798:                              ;   in Loop: Header=BB264_426 Depth=1
	v_bfrev_b32_e32 v53, 1
	s_mov_b32 s18, exec_lo
	v_cmpx_ne_u16_e32 0x80, v1
	s_cbranch_execz .LBB264_804
; %bb.799:                              ;   in Loop: Header=BB264_426 Depth=1
	v_and_b32_e32 v54, 0xffff, v1
	v_mov_b32_e32 v53, 0x7c010000
	s_mov_b32 s19, exec_lo
	s_delay_alu instid0(VALU_DEP_2) | instskip(NEXT) | instid1(VALU_DEP_1)
	v_and_b32_e32 v56, 0x7f, v54
	v_cmpx_ne_u32_e32 0x7f, v56
	s_cbranch_execz .LBB264_803
; %bb.800:                              ;   in Loop: Header=BB264_426 Depth=1
	v_and_b32_e32 v53, 7, v54
	v_lshrrev_b32_e32 v55, 3, v56
	s_mov_b32 s24, exec_lo
	v_cmpx_gt_u32_e32 8, v56
; %bb.801:                              ;   in Loop: Header=BB264_426 Depth=1
	s_delay_alu instid0(VALU_DEP_3) | instskip(NEXT) | instid1(VALU_DEP_1)
	v_clz_i32_u32_e32 v53, v53
	v_min_u32_e32 v53, 32, v53
	s_delay_alu instid0(VALU_DEP_1) | instskip(NEXT) | instid1(VALU_DEP_1)
	v_subrev_nc_u32_e32 v55, 28, v53
	v_lshlrev_b64_e32 v[56:57], v55, v[1:2]
	v_sub_nc_u32_e32 v55, 29, v53
	s_delay_alu instid0(VALU_DEP_2)
	v_and_b32_e32 v53, 7, v56
; %bb.802:                              ;   in Loop: Header=BB264_426 Depth=1
	s_wait_alu 0xfffe
	s_or_b32 exec_lo, exec_lo, s24
	v_lshlrev_b32_e32 v1, 8, v54
	v_lshl_add_u32 v54, v55, 10, 0x2000
	v_lshlrev_b32_e32 v53, 23, v53
	s_delay_alu instid0(VALU_DEP_2) | instskip(NEXT) | instid1(VALU_DEP_1)
	v_and_or_b32 v1, 0x8000, v1, v54
	v_lshl_or_b32 v53, v1, 16, v53
.LBB264_803:                            ;   in Loop: Header=BB264_426 Depth=1
	s_wait_alu 0xfffe
	s_or_b32 exec_lo, exec_lo, s19
.LBB264_804:                            ;   in Loop: Header=BB264_426 Depth=1
	s_wait_alu 0xfffe
	s_or_b32 exec_lo, exec_lo, s18
.LBB264_805:                            ;   in Loop: Header=BB264_426 Depth=1
	s_wait_alu 0xfffe
	s_or_b32 exec_lo, exec_lo, s17
	v_lshrrev_b32_e32 v1, 16, v8
	s_mov_b32 s17, exec_lo
	s_delay_alu instid0(VALU_DEP_1) | instskip(NEXT) | instid1(VALU_DEP_1)
	v_and_b32_e32 v54, 0xff, v1
	v_cmpx_ne_u16_e32 0, v54
	s_cbranch_execz .LBB264_813
; %bb.806:                              ;   in Loop: Header=BB264_426 Depth=1
	v_mov_b32_e32 v51, 0x8000
	s_mov_b32 s18, exec_lo
	v_cmpx_ne_u16_e32 0x80, v54
	s_cbranch_execz .LBB264_812
; %bb.807:                              ;   in Loop: Header=BB264_426 Depth=1
	v_bfe_u32 v55, v8, 16, 7
	v_mov_b32_e32 v51, 0x7c01
	s_mov_b32 s19, exec_lo
	s_delay_alu instid0(VALU_DEP_2)
	v_cmpx_ne_u32_e32 0x7f, v55
	s_cbranch_execz .LBB264_811
; %bb.808:                              ;   in Loop: Header=BB264_426 Depth=1
	v_and_b32_e32 v51, 7, v1
	v_lshrrev_b32_e32 v54, 3, v55
	s_mov_b32 s24, exec_lo
	v_cmpx_gt_u32_e32 8, v55
; %bb.809:                              ;   in Loop: Header=BB264_426 Depth=1
	s_delay_alu instid0(VALU_DEP_3) | instskip(NEXT) | instid1(VALU_DEP_1)
	v_clz_i32_u32_e32 v51, v51
	v_min_u32_e32 v51, 32, v51
	s_delay_alu instid0(VALU_DEP_1) | instskip(NEXT) | instid1(VALU_DEP_1)
	v_subrev_nc_u32_e32 v54, 28, v51
	v_lshlrev_b64_e32 v[55:56], v54, v[1:2]
	v_sub_nc_u32_e32 v54, 29, v51
	s_delay_alu instid0(VALU_DEP_2)
	v_and_b32_e32 v51, 7, v55
; %bb.810:                              ;   in Loop: Header=BB264_426 Depth=1
	s_wait_alu 0xfffe
	s_or_b32 exec_lo, exec_lo, s24
	v_lshlrev_b32_e32 v1, 8, v1
	v_lshl_add_u32 v54, v54, 10, 0x2000
	v_lshlrev_b32_e32 v51, 7, v51
	s_delay_alu instid0(VALU_DEP_3) | instskip(NEXT) | instid1(VALU_DEP_3)
	v_and_b32_e32 v1, 0x8000, v1
	v_and_b32_e32 v54, 0xfc00, v54
	s_delay_alu instid0(VALU_DEP_1)
	v_or3_b32 v51, v1, v54, v51
.LBB264_811:                            ;   in Loop: Header=BB264_426 Depth=1
	s_wait_alu 0xfffe
	s_or_b32 exec_lo, exec_lo, s19
.LBB264_812:                            ;   in Loop: Header=BB264_426 Depth=1
	s_wait_alu 0xfffe
	s_or_b32 exec_lo, exec_lo, s18
.LBB264_813:                            ;   in Loop: Header=BB264_426 Depth=1
	s_wait_alu 0xfffe
	s_or_b32 exec_lo, exec_lo, s17
	v_cmp_lt_u64_e64 s0, s[2:3], v[7:8]
	v_mov_b32_e32 v7, 0
	s_and_saveexec_b32 s17, s0
	s_cbranch_execz .LBB264_821
; %bb.814:                              ;   in Loop: Header=BB264_426 Depth=1
	v_lshrrev_b32_e32 v1, 24, v8
	v_bfrev_b32_e32 v7, 1
	s_mov_b32 s18, exec_lo
	s_delay_alu instid0(VALU_DEP_2)
	v_cmpx_ne_u32_e32 0x80, v1
	s_cbranch_execz .LBB264_820
; %bb.815:                              ;   in Loop: Header=BB264_426 Depth=1
	v_and_b32_e32 v54, 0x7f, v1
	v_mov_b32_e32 v7, 0x7c010000
	s_mov_b32 s19, exec_lo
	s_delay_alu instid0(VALU_DEP_2)
	v_cmpx_ne_u32_e32 0x7f, v54
	s_cbranch_execz .LBB264_819
; %bb.816:                              ;   in Loop: Header=BB264_426 Depth=1
	v_and_b32_e32 v7, 7, v1
	v_lshrrev_b32_e32 v8, 3, v54
	s_mov_b32 s24, exec_lo
	v_cmpx_gt_u32_e32 8, v54
; %bb.817:                              ;   in Loop: Header=BB264_426 Depth=1
	s_delay_alu instid0(VALU_DEP_3) | instskip(NEXT) | instid1(VALU_DEP_1)
	v_clz_i32_u32_e32 v7, v7
	v_min_u32_e32 v54, 32, v7
	s_delay_alu instid0(VALU_DEP_1) | instskip(NEXT) | instid1(VALU_DEP_1)
	v_subrev_nc_u32_e32 v7, 28, v54
	v_lshlrev_b64_e32 v[7:8], v7, v[1:2]
	v_sub_nc_u32_e32 v8, 29, v54
	s_delay_alu instid0(VALU_DEP_2)
	v_and_b32_e32 v7, 7, v7
; %bb.818:                              ;   in Loop: Header=BB264_426 Depth=1
	s_wait_alu 0xfffe
	s_or_b32 exec_lo, exec_lo, s24
	v_lshlrev_b32_e32 v1, 8, v1
	v_lshl_add_u32 v8, v8, 10, 0x2000
	v_lshlrev_b32_e32 v7, 23, v7
	s_delay_alu instid0(VALU_DEP_2) | instskip(NEXT) | instid1(VALU_DEP_1)
	v_and_or_b32 v1, 0x8000, v1, v8
	v_lshl_or_b32 v7, v1, 16, v7
.LBB264_819:                            ;   in Loop: Header=BB264_426 Depth=1
	s_wait_alu 0xfffe
	s_or_b32 exec_lo, exec_lo, s19
.LBB264_820:                            ;   in Loop: Header=BB264_426 Depth=1
	s_wait_alu 0xfffe
	s_or_b32 exec_lo, exec_lo, s18
.LBB264_821:                            ;   in Loop: Header=BB264_426 Depth=1
	s_wait_alu 0xfffe
	s_or_b32 exec_lo, exec_lo, s17
	v_or_b32_e32 v1, v49, v50
	s_wait_loadcnt 0x0
	v_fma_mixlo_f16 v8, v46, v49, 0 op_sel:[0,1,0] op_sel_hi:[0,1,0]
	v_or_b32_e32 v48, v47, v48
	v_fma_mixlo_f16 v49, v46, v47, 0 op_sel:[0,1,0] op_sel_hi:[0,1,0]
	v_or_b32_e32 v50, v53, v52
	v_fma_mixlo_f16 v1, v46, v1, 0 op_sel_hi:[0,1,0]
	v_or_b32_e32 v51, v7, v51
	v_lshlrev_b32_e32 v47, 16, v8
	v_lshlrev_b32_e32 v52, 16, v49
	v_fma_mixlo_f16 v8, v46, v48, 0 op_sel_hi:[0,1,0]
	v_and_b32_e32 v49, 0xffff, v1
	v_fma_mixlo_f16 v1, v46, v53, 0 op_sel:[0,1,0] op_sel_hi:[0,1,0]
	v_fma_mixlo_f16 v48, v46, v50, 0 op_sel_hi:[0,1,0]
	v_fma_mixlo_f16 v7, v46, v7, 0 op_sel:[0,1,0] op_sel_hi:[0,1,0]
	v_fma_mixlo_f16 v46, v46, v51, 0 op_sel_hi:[0,1,0]
	v_and_b32_e32 v54, 0xffff, v8
	v_lshlrev_b32_e32 v50, 16, v1
	v_and_b32_e32 v53, 0xffff, v48
	v_lshlrev_b32_e32 v48, 16, v7
	v_and_b32_e32 v51, 0xffff, v46
	v_or_b32_e32 v8, v47, v49
	v_or_b32_e32 v46, v52, v54
	;; [unrolled: 1-line block ×3, first 2 shown]
	s_delay_alu instid0(VALU_DEP_4)
	v_or_b32_e32 v1, v48, v51
	s_and_saveexec_b32 s0, vcc_lo
	s_cbranch_execz .LBB264_424
; %bb.822:                              ;   in Loop: Header=BB264_426 Depth=1
	v_cmp_gt_i32_e32 vcc_lo, s34, v26
	s_wait_alu 0xfffd
	v_cndmask_b32_e32 v1, 0, v54, vcc_lo
	v_cmp_gt_i32_e32 vcc_lo, s34, v33
	s_wait_alu 0xfffd
	v_cndmask_b32_e32 v7, 0, v52, vcc_lo
	;; [unrolled: 3-line block ×4, first 2 shown]
	v_cmp_gt_i32_e32 vcc_lo, s34, v30
	v_or_b32_e32 v46, v7, v1
	s_delay_alu instid0(VALU_DEP_3)
	v_or_b32_e32 v8, v26, v8
	s_wait_alu 0xfffd
	v_cndmask_b32_e32 v30, 0, v53, vcc_lo
	v_cmp_gt_i32_e32 vcc_lo, s34, v29
	s_wait_alu 0xfffd
	v_cndmask_b32_e32 v29, 0, v50, vcc_lo
	v_cmp_gt_i32_e32 vcc_lo, s34, v28
	s_delay_alu instid0(VALU_DEP_2)
	v_or_b32_e32 v7, v29, v30
	s_wait_alu 0xfffd
	v_cndmask_b32_e32 v28, 0, v51, vcc_lo
	v_cmp_gt_i32_e32 vcc_lo, s34, v27
	s_wait_alu 0xfffd
	v_cndmask_b32_e32 v27, 0, v48, vcc_lo
	s_delay_alu instid0(VALU_DEP_1)
	v_or_b32_e32 v1, v27, v28
	s_branch .LBB264_424
.LBB264_823:
	s_or_b32 exec_lo, exec_lo, s7
.LBB264_824:
	s_wait_alu 0xfffe
	s_or_b32 exec_lo, exec_lo, s1
	ds_bpermute_b32 v1, v18, v24
	ds_bpermute_b32 v2, v18, v23
	ds_bpermute_b32 v3, v18, v22
	ds_bpermute_b32 v10, v18, v21
	ds_bpermute_b32 v14, v18, v20
	ds_bpermute_b32 v15, v18, v19
	v_lshrrev_b32_e32 v7, 1, v17
	v_mul_u32_u24_e32 v9, 0x180, v13
	v_and_b32_e32 v13, 0x3c1, v0
	s_mov_b32 s0, exec_lo
	s_wait_storecnt 0x0
	s_wait_loadcnt_dscnt 0x0
	v_lshl_add_u32 v8, v7, 2, 0xe0
	s_barrier_signal -1
	s_barrier_wait -1
	global_inv scope:SCOPE_SE
	v_dual_add_f32 v6, v24, v1 :: v_dual_add_f32 v5, v23, v2
	v_dual_add_f32 v4, v22, v3 :: v_dual_add_f32 v3, v21, v10
	;; [unrolled: 1-line block ×3, first 2 shown]
	v_cmpx_eq_u32_e32 64, v13
	s_cbranch_execz .LBB264_826
; %bb.825:
	v_add_nc_u32_e32 v10, v8, v9
	s_delay_alu instid0(VALU_DEP_1)
	v_add_nc_u32_e32 v13, 0xfffffd00, v10
	v_add_nc_u32_e32 v14, 0xfffffd40, v10
	;; [unrolled: 1-line block ×6, first 2 shown]
	ds_store_b32 v13, v6
	ds_store_b32 v14, v5
	;; [unrolled: 1-line block ×6, first 2 shown]
.LBB264_826:
	s_wait_alu 0xfffe
	s_or_b32 exec_lo, exec_lo, s0
	v_lshlrev_b32_e32 v7, 2, v7
	s_mov_b32 s1, exec_lo
	v_cmp_eq_u32_e32 vcc_lo, 0, v12
	s_wait_loadcnt_dscnt 0x0
	s_barrier_signal -1
	v_add3_u32 v7, 0xe0, v9, v7
	s_barrier_wait -1
	global_inv scope:SCOPE_SE
	v_cmpx_gt_u32_e32 64, v0
	s_cbranch_execz .LBB264_835
; %bb.827:
	s_and_saveexec_b32 s0, vcc_lo
	s_cbranch_execnz .LBB264_849
; %bb.828:
	s_wait_alu 0xfffe
	s_or_b32 exec_lo, exec_lo, s0
	s_and_saveexec_b32 s0, vcc_lo
	s_cbranch_execnz .LBB264_850
.LBB264_829:
	s_wait_alu 0xfffe
	s_or_b32 exec_lo, exec_lo, s0
	s_and_saveexec_b32 s0, vcc_lo
	s_cbranch_execnz .LBB264_851
.LBB264_830:
	s_wait_alu 0xfffe
	s_or_b32 exec_lo, exec_lo, s0
	s_and_saveexec_b32 s0, vcc_lo
	s_cbranch_execnz .LBB264_852
.LBB264_831:
	s_wait_alu 0xfffe
	s_or_b32 exec_lo, exec_lo, s0
	s_and_saveexec_b32 s0, vcc_lo
	s_cbranch_execnz .LBB264_853
.LBB264_832:
	s_wait_alu 0xfffe
	s_or_b32 exec_lo, exec_lo, s0
	s_and_saveexec_b32 s0, vcc_lo
	s_cbranch_execz .LBB264_834
.LBB264_833:
	ds_load_b32 v9, v7 offset:320
	s_wait_dscnt 0x0
	v_add_f32_e32 v1, v1, v9
.LBB264_834:
	s_wait_alu 0xfffe
	s_or_b32 exec_lo, exec_lo, s0
.LBB264_835:
	s_wait_alu 0xfffe
	s_or_b32 exec_lo, exec_lo, s1
	v_and_b32_e32 v9, 0x3e1, v0
	s_mov_b32 s1, exec_lo
	s_wait_loadcnt 0x0
	s_barrier_signal -1
	s_barrier_wait -1
	global_inv scope:SCOPE_SE
	v_cmpx_eq_u32_e32 32, v9
	s_cbranch_execz .LBB264_837
; %bb.836:
	ds_store_2addr_b32 v8, v6, v5 offset1:16
	ds_store_2addr_b32 v8, v4, v3 offset0:32 offset1:48
	ds_store_2addr_b32 v8, v2, v1 offset0:64 offset1:80
.LBB264_837:
	s_wait_alu 0xfffe
	s_or_b32 exec_lo, exec_lo, s1
	s_delay_alu instid0(SALU_CYCLE_1)
	s_mov_b32 s1, exec_lo
	s_wait_loadcnt_dscnt 0x0
	s_barrier_signal -1
	s_barrier_wait -1
	global_inv scope:SCOPE_SE
	v_cmpx_gt_u32_e32 32, v0
	s_cbranch_execz .LBB264_846
; %bb.838:
	s_and_saveexec_b32 s0, vcc_lo
	s_cbranch_execnz .LBB264_854
; %bb.839:
	s_wait_alu 0xfffe
	s_or_b32 exec_lo, exec_lo, s0
	s_and_saveexec_b32 s0, vcc_lo
	s_cbranch_execnz .LBB264_855
.LBB264_840:
	s_wait_alu 0xfffe
	s_or_b32 exec_lo, exec_lo, s0
	s_and_saveexec_b32 s0, vcc_lo
	s_cbranch_execnz .LBB264_856
.LBB264_841:
	s_wait_alu 0xfffe
	s_or_b32 exec_lo, exec_lo, s0
	s_and_saveexec_b32 s0, vcc_lo
	s_cbranch_execnz .LBB264_857
.LBB264_842:
	s_wait_alu 0xfffe
	s_or_b32 exec_lo, exec_lo, s0
	s_and_saveexec_b32 s0, vcc_lo
	s_cbranch_execnz .LBB264_858
.LBB264_843:
	s_wait_alu 0xfffe
	s_or_b32 exec_lo, exec_lo, s0
	s_and_saveexec_b32 s0, vcc_lo
	s_cbranch_execz .LBB264_845
.LBB264_844:
	ds_load_b32 v0, v7 offset:320
	s_wait_dscnt 0x0
	v_add_f32_e32 v1, v1, v0
.LBB264_845:
	s_wait_alu 0xfffe
	s_or_b32 exec_lo, exec_lo, s0
.LBB264_846:
	s_wait_alu 0xfffe
	s_or_b32 exec_lo, exec_lo, s1
	s_mov_b32 s1, 0
	s_wait_loadcnt 0x0
	s_barrier_signal -1
	s_barrier_wait -1
	global_inv scope:SCOPE_SE
	s_mov_b32 s0, exec_lo
	v_cmpx_eq_u32_e32 0, v9
	s_cbranch_execz .LBB264_848
; %bb.847:
	s_mul_i32 s2, s28, 0x60
	s_wait_kmcnt 0x0
	s_mul_i32 s4, s12, s20
	s_wait_alu 0xfffe
	s_ashr_i32 s3, s2, 31
	s_ashr_i32 s5, s4, 31
	s_wait_alu 0xfffe
	s_lshl_b64 s[2:3], s[2:3], 1
	s_lshl_b64 s[4:5], s[4:5], 1
	s_wait_alu 0xfffe
	s_add_nc_u64 s[2:3], s[8:9], s[2:3]
	v_lshlrev_b32_e32 v0, 1, v11
	s_mul_i32 s0, s33, 0xc0
	s_wait_alu 0xfffe
	s_add_nc_u64 s[2:3], s[2:3], s[4:5]
	;;#ASMSTART
	v_cvt_f16_f32 v6, v6;

	;;#ASMEND
	s_wait_alu 0xfffe
	s_add_nc_u64 s[0:1], s[2:3], s[0:1]
	global_store_b16 v0, v6, s[0:1]
	;;#ASMSTART
	v_cvt_f16_f32 v5, v5;

	;;#ASMEND
	global_store_b16 v0, v5, s[0:1] offset:32
	;;#ASMSTART
	v_cvt_f16_f32 v4, v4;

	;;#ASMEND
	global_store_b16 v0, v4, s[0:1] offset:64
	;; [unrolled: 5-line block ×5, first 2 shown]
.LBB264_848:
	s_nop 0
	s_sendmsg sendmsg(MSG_DEALLOC_VGPRS)
	s_endpgm
.LBB264_849:
	ds_load_b32 v9, v7
	s_wait_dscnt 0x0
	v_add_f32_e32 v6, v6, v9
	s_wait_alu 0xfffe
	s_or_b32 exec_lo, exec_lo, s0
	s_and_saveexec_b32 s0, vcc_lo
	s_cbranch_execz .LBB264_829
.LBB264_850:
	ds_load_b32 v9, v7 offset:64
	s_wait_dscnt 0x0
	v_add_f32_e32 v5, v5, v9
	s_wait_alu 0xfffe
	s_or_b32 exec_lo, exec_lo, s0
	s_and_saveexec_b32 s0, vcc_lo
	s_cbranch_execz .LBB264_830
.LBB264_851:
	ds_load_b32 v9, v7 offset:128
	s_wait_dscnt 0x0
	v_add_f32_e32 v4, v4, v9
	s_wait_alu 0xfffe
	s_or_b32 exec_lo, exec_lo, s0
	s_and_saveexec_b32 s0, vcc_lo
	s_cbranch_execz .LBB264_831
.LBB264_852:
	ds_load_b32 v9, v7 offset:192
	s_wait_dscnt 0x0
	v_add_f32_e32 v3, v3, v9
	s_wait_alu 0xfffe
	s_or_b32 exec_lo, exec_lo, s0
	s_and_saveexec_b32 s0, vcc_lo
	s_cbranch_execz .LBB264_832
.LBB264_853:
	ds_load_b32 v9, v7 offset:256
	s_wait_dscnt 0x0
	v_add_f32_e32 v2, v2, v9
	s_wait_alu 0xfffe
	s_or_b32 exec_lo, exec_lo, s0
	s_and_saveexec_b32 s0, vcc_lo
	s_cbranch_execnz .LBB264_833
	s_branch .LBB264_834
.LBB264_854:
	ds_load_b32 v0, v7
	s_wait_dscnt 0x0
	v_add_f32_e32 v6, v6, v0
	s_wait_alu 0xfffe
	s_or_b32 exec_lo, exec_lo, s0
	s_and_saveexec_b32 s0, vcc_lo
	s_cbranch_execz .LBB264_840
.LBB264_855:
	ds_load_b32 v0, v7 offset:64
	s_wait_dscnt 0x0
	v_add_f32_e32 v5, v5, v0
	s_wait_alu 0xfffe
	s_or_b32 exec_lo, exec_lo, s0
	s_and_saveexec_b32 s0, vcc_lo
	s_cbranch_execz .LBB264_841
.LBB264_856:
	ds_load_b32 v0, v7 offset:128
	s_wait_dscnt 0x0
	v_add_f32_e32 v4, v4, v0
	s_wait_alu 0xfffe
	s_or_b32 exec_lo, exec_lo, s0
	s_and_saveexec_b32 s0, vcc_lo
	s_cbranch_execz .LBB264_842
.LBB264_857:
	ds_load_b32 v0, v7 offset:192
	s_wait_dscnt 0x0
	v_add_f32_e32 v3, v3, v0
	s_wait_alu 0xfffe
	s_or_b32 exec_lo, exec_lo, s0
	s_and_saveexec_b32 s0, vcc_lo
	s_cbranch_execz .LBB264_843
.LBB264_858:
	ds_load_b32 v0, v7 offset:256
	s_wait_dscnt 0x0
	v_add_f32_e32 v2, v2, v0
	s_wait_alu 0xfffe
	s_or_b32 exec_lo, exec_lo, s0
	s_and_saveexec_b32 s0, vcc_lo
	s_cbranch_execnz .LBB264_844
	s_branch .LBB264_845
	.section	.rodata,"a",@progbits
	.p2align	6, 0x0
	.amdhsa_kernel _ZN4vllm25paged_attention_v2_kernelIthLi96ELi16ELi128ELNS_18Fp8KVCacheDataTypeE1ELb1ELi512EEEvPfS2_PT_PKS3_PKT0_S9_ifPKiSB_iPKfiiiSD_SD_iiiii
		.amdhsa_group_segment_fixed_size 224
		.amdhsa_private_segment_fixed_size 0
		.amdhsa_kernarg_size 400
		.amdhsa_user_sgpr_count 2
		.amdhsa_user_sgpr_dispatch_ptr 0
		.amdhsa_user_sgpr_queue_ptr 0
		.amdhsa_user_sgpr_kernarg_segment_ptr 1
		.amdhsa_user_sgpr_dispatch_id 0
		.amdhsa_user_sgpr_private_segment_size 0
		.amdhsa_wavefront_size32 1
		.amdhsa_uses_dynamic_stack 0
		.amdhsa_enable_private_segment 0
		.amdhsa_system_sgpr_workgroup_id_x 1
		.amdhsa_system_sgpr_workgroup_id_y 1
		.amdhsa_system_sgpr_workgroup_id_z 1
		.amdhsa_system_sgpr_workgroup_info 0
		.amdhsa_system_vgpr_workitem_id 0
		.amdhsa_next_free_vgpr 110
		.amdhsa_next_free_sgpr 46
		.amdhsa_reserve_vcc 1
		.amdhsa_float_round_mode_32 0
		.amdhsa_float_round_mode_16_64 0
		.amdhsa_float_denorm_mode_32 3
		.amdhsa_float_denorm_mode_16_64 3
		.amdhsa_fp16_overflow 0
		.amdhsa_workgroup_processor_mode 1
		.amdhsa_memory_ordered 1
		.amdhsa_forward_progress 1
		.amdhsa_inst_pref_size 236
		.amdhsa_round_robin_scheduling 0
		.amdhsa_exception_fp_ieee_invalid_op 0
		.amdhsa_exception_fp_denorm_src 0
		.amdhsa_exception_fp_ieee_div_zero 0
		.amdhsa_exception_fp_ieee_overflow 0
		.amdhsa_exception_fp_ieee_underflow 0
		.amdhsa_exception_fp_ieee_inexact 0
		.amdhsa_exception_int_div_zero 0
	.end_amdhsa_kernel
	.section	.text._ZN4vllm25paged_attention_v2_kernelIthLi96ELi16ELi128ELNS_18Fp8KVCacheDataTypeE1ELb1ELi512EEEvPfS2_PT_PKS3_PKT0_S9_ifPKiSB_iPKfiiiSD_SD_iiiii,"axG",@progbits,_ZN4vllm25paged_attention_v2_kernelIthLi96ELi16ELi128ELNS_18Fp8KVCacheDataTypeE1ELb1ELi512EEEvPfS2_PT_PKS3_PKT0_S9_ifPKiSB_iPKfiiiSD_SD_iiiii,comdat
.Lfunc_end264:
	.size	_ZN4vllm25paged_attention_v2_kernelIthLi96ELi16ELi128ELNS_18Fp8KVCacheDataTypeE1ELb1ELi512EEEvPfS2_PT_PKS3_PKT0_S9_ifPKiSB_iPKfiiiSD_SD_iiiii, .Lfunc_end264-_ZN4vllm25paged_attention_v2_kernelIthLi96ELi16ELi128ELNS_18Fp8KVCacheDataTypeE1ELb1ELi512EEEvPfS2_PT_PKS3_PKT0_S9_ifPKiSB_iPKfiiiSD_SD_iiiii
                                        ; -- End function
	.set _ZN4vllm25paged_attention_v2_kernelIthLi96ELi16ELi128ELNS_18Fp8KVCacheDataTypeE1ELb1ELi512EEEvPfS2_PT_PKS3_PKT0_S9_ifPKiSB_iPKfiiiSD_SD_iiiii.num_vgpr, 110
	.set _ZN4vllm25paged_attention_v2_kernelIthLi96ELi16ELi128ELNS_18Fp8KVCacheDataTypeE1ELb1ELi512EEEvPfS2_PT_PKS3_PKT0_S9_ifPKiSB_iPKfiiiSD_SD_iiiii.num_agpr, 0
	.set _ZN4vllm25paged_attention_v2_kernelIthLi96ELi16ELi128ELNS_18Fp8KVCacheDataTypeE1ELb1ELi512EEEvPfS2_PT_PKS3_PKT0_S9_ifPKiSB_iPKfiiiSD_SD_iiiii.numbered_sgpr, 46
	.set _ZN4vllm25paged_attention_v2_kernelIthLi96ELi16ELi128ELNS_18Fp8KVCacheDataTypeE1ELb1ELi512EEEvPfS2_PT_PKS3_PKT0_S9_ifPKiSB_iPKfiiiSD_SD_iiiii.num_named_barrier, 0
	.set _ZN4vllm25paged_attention_v2_kernelIthLi96ELi16ELi128ELNS_18Fp8KVCacheDataTypeE1ELb1ELi512EEEvPfS2_PT_PKS3_PKT0_S9_ifPKiSB_iPKfiiiSD_SD_iiiii.private_seg_size, 0
	.set _ZN4vllm25paged_attention_v2_kernelIthLi96ELi16ELi128ELNS_18Fp8KVCacheDataTypeE1ELb1ELi512EEEvPfS2_PT_PKS3_PKT0_S9_ifPKiSB_iPKfiiiSD_SD_iiiii.uses_vcc, 1
	.set _ZN4vllm25paged_attention_v2_kernelIthLi96ELi16ELi128ELNS_18Fp8KVCacheDataTypeE1ELb1ELi512EEEvPfS2_PT_PKS3_PKT0_S9_ifPKiSB_iPKfiiiSD_SD_iiiii.uses_flat_scratch, 0
	.set _ZN4vllm25paged_attention_v2_kernelIthLi96ELi16ELi128ELNS_18Fp8KVCacheDataTypeE1ELb1ELi512EEEvPfS2_PT_PKS3_PKT0_S9_ifPKiSB_iPKfiiiSD_SD_iiiii.has_dyn_sized_stack, 0
	.set _ZN4vllm25paged_attention_v2_kernelIthLi96ELi16ELi128ELNS_18Fp8KVCacheDataTypeE1ELb1ELi512EEEvPfS2_PT_PKS3_PKT0_S9_ifPKiSB_iPKfiiiSD_SD_iiiii.has_recursion, 0
	.set _ZN4vllm25paged_attention_v2_kernelIthLi96ELi16ELi128ELNS_18Fp8KVCacheDataTypeE1ELb1ELi512EEEvPfS2_PT_PKS3_PKT0_S9_ifPKiSB_iPKfiiiSD_SD_iiiii.has_indirect_call, 0
	.section	.AMDGPU.csdata,"",@progbits
; Kernel info:
; codeLenInByte = 30200
; TotalNumSgprs: 48
; NumVgprs: 110
; ScratchSize: 0
; MemoryBound: 0
; FloatMode: 240
; IeeeMode: 1
; LDSByteSize: 224 bytes/workgroup (compile time only)
; SGPRBlocks: 0
; VGPRBlocks: 13
; NumSGPRsForWavesPerEU: 48
; NumVGPRsForWavesPerEU: 110
; Occupancy: 12
; WaveLimiterHint : 1
; COMPUTE_PGM_RSRC2:SCRATCH_EN: 0
; COMPUTE_PGM_RSRC2:USER_SGPR: 2
; COMPUTE_PGM_RSRC2:TRAP_HANDLER: 0
; COMPUTE_PGM_RSRC2:TGID_X_EN: 1
; COMPUTE_PGM_RSRC2:TGID_Y_EN: 1
; COMPUTE_PGM_RSRC2:TGID_Z_EN: 1
; COMPUTE_PGM_RSRC2:TIDIG_COMP_CNT: 0
	.section	.text._ZN4vllm25paged_attention_v2_kernelIthLi112ELi16ELi128ELNS_18Fp8KVCacheDataTypeE1ELb1ELi512EEEvPfS2_PT_PKS3_PKT0_S9_ifPKiSB_iPKfiiiSD_SD_iiiii,"axG",@progbits,_ZN4vllm25paged_attention_v2_kernelIthLi112ELi16ELi128ELNS_18Fp8KVCacheDataTypeE1ELb1ELi512EEEvPfS2_PT_PKS3_PKT0_S9_ifPKiSB_iPKfiiiSD_SD_iiiii,comdat
	.protected	_ZN4vllm25paged_attention_v2_kernelIthLi112ELi16ELi128ELNS_18Fp8KVCacheDataTypeE1ELb1ELi512EEEvPfS2_PT_PKS3_PKT0_S9_ifPKiSB_iPKfiiiSD_SD_iiiii ; -- Begin function _ZN4vllm25paged_attention_v2_kernelIthLi112ELi16ELi128ELNS_18Fp8KVCacheDataTypeE1ELb1ELi512EEEvPfS2_PT_PKS3_PKT0_S9_ifPKiSB_iPKfiiiSD_SD_iiiii
	.globl	_ZN4vllm25paged_attention_v2_kernelIthLi112ELi16ELi128ELNS_18Fp8KVCacheDataTypeE1ELb1ELi512EEEvPfS2_PT_PKS3_PKT0_S9_ifPKiSB_iPKfiiiSD_SD_iiiii
	.p2align	8
	.type	_ZN4vllm25paged_attention_v2_kernelIthLi112ELi16ELi128ELNS_18Fp8KVCacheDataTypeE1ELb1ELi512EEEvPfS2_PT_PKS3_PKT0_S9_ifPKiSB_iPKfiiiSD_SD_iiiii,@function
_ZN4vllm25paged_attention_v2_kernelIthLi112ELi16ELi128ELNS_18Fp8KVCacheDataTypeE1ELb1ELi512EEEvPfS2_PT_PKS3_PKT0_S9_ifPKiSB_iPKfiiiSD_SD_iiiii: ; @_ZN4vllm25paged_attention_v2_kernelIthLi112ELi16ELi128ELNS_18Fp8KVCacheDataTypeE1ELb1ELi512EEEvPfS2_PT_PKS3_PKT0_S9_ifPKiSB_iPKfiiiSD_SD_iiiii
; %bb.0:
	s_load_b64 s[2:3], s[0:1], 0x40
	s_and_b32 s28, ttmp7, 0xffff
	s_lshr_b32 s33, ttmp7, 16
	s_lshl_b32 s4, s28, 2
	s_lshl_b32 s35, s33, 9
	s_wait_kmcnt 0x0
	s_load_b32 s34, s[2:3], s4 offset:0x0
	s_wait_kmcnt 0x0
	s_cmp_ge_i32 s35, s34
	s_cbranch_scc1 .LBB265_980
; %bb.1:
	s_clause 0x1
	s_load_b32 s29, s[0:1], 0x90
	s_load_b64 s[6:7], s[0:1], 0x30
	s_wait_kmcnt 0x0
	s_abs_i32 s5, s29
	s_abs_i32 s2, s6
	s_delay_alu instid0(SALU_CYCLE_1) | instskip(SKIP_1) | instid1(SALU_CYCLE_2)
	s_cvt_f32_u32 s3, s2
	s_sub_co_i32 s4, 0, s2
	v_rcp_iflag_f32_e32 v1, s3
	s_delay_alu instid0(TRANS32_DEP_1) | instskip(SKIP_2) | instid1(SALU_CYCLE_2)
	v_readfirstlane_b32 s3, v1
	s_mul_f32 s3, s3, 0x4f7ffffe
	s_wait_alu 0xfffe
	s_cvt_u32_f32 s3, s3
	s_wait_alu 0xfffe
	s_delay_alu instid0(SALU_CYCLE_2) | instskip(NEXT) | instid1(SALU_CYCLE_1)
	s_mul_i32 s4, s4, s3
	s_mul_hi_u32 s4, s3, s4
	s_delay_alu instid0(SALU_CYCLE_1)
	s_add_co_i32 s3, s3, s4
	s_xor_b32 s4, s29, s6
	s_wait_alu 0xfffe
	s_mul_hi_u32 s3, s5, s3
	s_ashr_i32 s4, s4, 31
	s_wait_alu 0xfffe
	s_mul_i32 s8, s3, s2
	s_delay_alu instid0(SALU_CYCLE_1)
	s_sub_co_i32 s5, s5, s8
	s_add_co_i32 s8, s3, 1
	s_sub_co_i32 s9, s5, s2
	s_cmp_ge_u32 s5, s2
	s_cselect_b32 s3, s8, s3
	s_cselect_b32 s5, s9, s5
	s_wait_alu 0xfffe
	s_add_co_i32 s8, s3, 1
	s_cmp_ge_u32 s5, s2
	s_cselect_b32 s2, s8, s3
	s_load_b64 s[8:9], s[0:1], 0x50
	s_xor_b32 s2, s2, s4
	s_mov_b32 s3, 0
	s_wait_alu 0xfffe
	s_sub_co_i32 s11, s2, s4
	s_mov_b32 s30, s3
	s_abs_i32 s10, s11
	s_delay_alu instid0(SALU_CYCLE_1) | instskip(SKIP_1) | instid1(SALU_CYCLE_2)
	s_cvt_f32_u32 s2, s10
	s_wait_alu 0xfffe
	v_rcp_iflag_f32_e32 v1, s2
	s_delay_alu instid0(TRANS32_DEP_1) | instskip(SKIP_2) | instid1(SALU_CYCLE_2)
	v_readfirstlane_b32 s2, v1
	s_mul_f32 s2, s2, 0x4f7ffffe
	s_wait_alu 0xfffe
	s_cvt_u32_f32 s4, s2
	s_sub_co_i32 s2, 0, s10
	s_wait_alu 0xfffe
	s_delay_alu instid0(SALU_CYCLE_1)
	s_mul_i32 s2, s2, s4
	s_wait_alu 0xfffe
	s_mul_hi_u32 s5, s4, s2
	s_abs_i32 s2, ttmp9
	s_add_co_i32 s4, s4, s5
	s_mov_b32 s5, s3
	s_wait_kmcnt 0x0
	s_cmp_eq_u64 s[8:9], 0
	s_cbranch_scc1 .LBB265_3
; %bb.2:
	s_mov_b32 s12, ttmp9
	s_ashr_i32 s13, ttmp9, 31
	s_delay_alu instid0(SALU_CYCLE_1) | instskip(NEXT) | instid1(SALU_CYCLE_1)
	s_lshl_b64 s[12:13], s[12:13], 2
	s_add_nc_u64 s[8:9], s[8:9], s[12:13]
	s_load_b32 s30, s[8:9], 0x0
.LBB265_3:
	s_load_b96 s[16:18], s[0:1], 0x58
	v_lshrrev_b32_e32 v11, 1, v0
	v_and_b32_e32 v12, 1, v0
	v_lshlrev_b32_e32 v10, 3, v0
	s_mul_u64 s[4:5], s[2:3], s[4:5]
	s_ashr_i32 s3, ttmp9, 31
	s_ashr_i32 s4, s11, 31
	s_mul_i32 s20, ttmp9, 0x70
	s_mov_b32 s8, exec_lo
	v_cmpx_gt_u32_e32 28, v0
	s_cbranch_execz .LBB265_5
; %bb.4:
	s_load_b64 s[12:13], s[0:1], 0x18
	s_wait_kmcnt 0x0
	s_mul_i32 s14, s16, s28
	s_ashr_i32 s21, s20, 31
	s_ashr_i32 s15, s14, 31
	v_lshlrev_b32_e32 v3, 3, v11
	s_lshl_b64 s[14:15], s[14:15], 1
	s_delay_alu instid0(VALU_DEP_1) | instskip(SKIP_2) | instid1(SALU_CYCLE_1)
	v_mad_u32_u24 v3, 0x70, v12, v3
	s_add_nc_u64 s[12:13], s[12:13], s[14:15]
	s_lshl_b64 s[14:15], s[20:21], 1
	s_add_nc_u64 s[12:13], s[12:13], s[14:15]
	global_load_b64 v[1:2], v10, s[12:13]
	s_wait_loadcnt 0x0
	ds_store_b64 v3, v[1:2]
.LBB265_5:
	s_or_b32 exec_lo, exec_lo, s8
	s_load_b128 s[12:15], s[0:1], 0x78
	s_mul_i32 s8, s5, s10
	s_xor_b32 s3, s3, s4
	s_sub_co_i32 s2, s2, s8
	s_add_co_i32 s4, s5, 1
	s_wait_alu 0xfffe
	s_sub_co_i32 s8, s2, s10
	s_cmp_ge_u32 s2, s10
                                        ; implicit-def: $sgpr21
	s_cselect_b32 s4, s4, s5
	s_cselect_b32 s2, s8, s2
	s_add_co_i32 s5, s4, 1
	s_wait_alu 0xfffe
	s_cmp_ge_u32 s2, s10
	s_load_b32 s8, s[0:1], 0x88
	s_cselect_b32 s2, s5, s4
	s_add_co_i32 s9, s34, -1
	s_wait_alu 0xfffe
	s_xor_b32 s2, s2, s3
	s_mov_b32 s10, -1
	s_wait_alu 0xfffe
	s_sub_co_i32 s19, s2, s3
	s_wait_dscnt 0x0
	s_barrier_signal -1
	s_wait_kmcnt 0x0
	s_abs_i32 s16, s15
	s_barrier_wait -1
	s_cvt_f32_u32 s4, s16
	global_inv scope:SCOPE_SE
	v_rcp_iflag_f32_e32 v1, s4
	s_delay_alu instid0(TRANS32_DEP_1) | instskip(SKIP_2) | instid1(SALU_CYCLE_2)
	v_readfirstlane_b32 s4, v1
	s_mul_f32 s2, s4, 0x4f7ffffe
	s_wait_alu 0xfffe
	s_cvt_u32_f32 s4, s2
	s_sub_co_i32 s2, 0, s16
	s_wait_alu 0xfffe
	s_delay_alu instid0(SALU_CYCLE_1)
	s_mul_i32 s3, s2, s4
	s_abs_i32 s2, s9
	s_wait_alu 0xfffe
	s_mul_hi_u32 s5, s4, s3
	s_mov_b32 s3, 0
	s_wait_alu 0xfffe
	s_add_co_i32 s22, s4, s5
	s_cmp_lt_i32 s8, 0
	s_mov_b32 s23, s3
	s_cbranch_scc0 .LBB265_7
; %bb.6:
	s_mul_i32 s4, s12, s6
	s_mov_b32 s10, s3
	s_wait_alu 0xfffe
	s_add_co_i32 s4, s19, s4
	s_wait_alu 0xfffe
	s_mul_i32 s4, s4, s8
	s_wait_alu 0xfffe
	s_sub_co_i32 s21, 1, s4
.LBB265_7:
	s_mul_u64 s[4:5], s[2:3], s[22:23]
	s_ashr_i32 s3, s9, 31
	s_and_not1_b32 vcc_lo, exec_lo, s10
	s_ashr_i32 s15, s15, 31
	s_cbranch_vccnz .LBB265_9
; %bb.8:
	s_mul_i32 s4, s29, s12
	s_wait_alu 0xfffe
	s_add_co_i32 s4, s4, ttmp9
	s_wait_alu 0xfffe
	s_mul_i32 s4, s4, s8
	s_wait_alu 0xfffe
	s_add_co_i32 s21, s4, 1
.LBB265_9:
	s_clause 0x3
	s_load_b32 s4, s[0:1], 0x48
	s_load_b64 s[24:25], s[0:1], 0x38
	s_load_b32 s12, s[0:1], 0x98
	s_load_b128 s[8:11], s[0:1], 0x68
	s_mul_i32 s6, s5, s16
	s_xor_b32 s3, s3, s15
	s_sub_co_i32 s2, s2, s6
	s_add_co_i32 s23, s5, 1
	v_lshrrev_b32_e32 v13, 5, v0
	v_mbcnt_lo_u32_b32 v17, -1, 0
	s_mul_i32 s18, s19, s18
	s_delay_alu instid0(VALU_DEP_2)
	v_lshl_add_u32 v14, v13, 4, s35
	s_wait_kmcnt 0x0
	s_mul_i32 s26, s4, s28
	s_wait_alu 0xfffe
	s_sub_co_i32 s4, s2, s16
	s_ashr_i32 s27, s26, 31
	s_cmp_ge_u32 s2, s16
	s_cselect_b32 s5, s23, s5
	s_wait_alu 0xfffe
	s_cselect_b32 s2, s4, s2
	s_add_co_i32 s4, s5, 1
	s_wait_alu 0xfffe
	s_cmp_ge_u32 s2, s16
	s_cselect_b32 s2, s4, s5
	s_add_co_i32 s4, s34, 15
	s_lshl_b32 s38, s33, 5
	s_wait_alu 0xfffe
	s_ashr_i32 s5, s4, 31
	v_or_b32_e32 v15, s38, v13
	s_wait_alu 0xfffe
	s_lshr_b32 s5, s5, 28
	v_mov_b32_e32 v19, 0xff7fffff
	s_wait_alu 0xfffe
	s_add_co_i32 s4, s4, s5
	s_add_co_i32 s5, s38, 32
	s_wait_alu 0xfffe
	s_ashr_i32 s36, s4, 4
	s_xor_b32 s4, s2, s3
	s_min_i32 s23, s5, s36
	v_lshlrev_b32_e32 v16, 2, v15
	v_cmp_gt_i32_e64 s2, s23, v15
	s_wait_alu 0xfffe
	s_sub_co_i32 s37, s4, s3
	s_and_saveexec_b32 s6, s2
	s_cbranch_execz .LBB265_469
; %bb.10:
	s_sub_co_i32 s31, s37, s13
	s_ashr_i32 s19, s18, 31
	s_cmp_neq_f32 s30, 0
	s_load_b64 s[4:5], s[0:1], 0x20
	v_bfe_u32 v18, v0, 1, 4
	v_dual_mov_b32 v2, 0 :: v_dual_lshlrev_b32 v3, 2, v12
	s_cselect_b32 vcc_lo, -1, 0
	s_abs_i32 s39, s14
	s_delay_alu instid0(VALU_DEP_2)
	v_dual_mov_b32 v19, 0xff7fffff :: v_dual_lshlrev_b32 v4, 4, v18
	s_wait_alu 0xfffe
	s_cvt_f32_u32 s3, s39
	v_dual_mov_b32 v24, 0xff7fffff :: v_dual_lshlrev_b32 v5, 2, v18
	s_lshl_b64 s[42:43], s[26:27], 2
	s_wait_alu 0xfffe
	v_rcp_iflag_f32_e32 v1, s3
	v_subrev_nc_u32_e32 v7, s34, v18
	s_add_nc_u64 s[42:43], s[24:25], s[42:43]
	s_sub_co_i32 s44, 0, s39
	v_cmp_eq_u32_e64 s3, 0, v12
	v_mul_u32_u24_e32 v20, 0x70, v12
	v_lshl_add_u32 v21, v13, 4, s35
	v_dual_mov_b32 v25, v15 :: v_dual_add_nc_u32 v22, 1, v7
	s_wait_kmcnt 0x0
	s_add_nc_u64 s[4:5], s[4:5], s[18:19]
	v_readfirstlane_b32 s41, v1
	s_wait_alu 0xfffe
	v_add_co_u32 v4, s4, s4, v4
	v_lshl_or_b32 v1, v13, 6, v5
	s_wait_alu 0xf1ff
	v_add_co_ci_u32_e64 v5, null, s5, 0, s4
	s_mul_f32 s19, s41, 0x4f7ffffe
	v_add_co_u32 v3, s4, v4, v3
	s_wait_alu 0xf1ff
	v_add_co_ci_u32_e64 v4, null, 0, v5, s4
	s_cvt_u32_f32 s5, s19
	v_add_co_u32 v5, s4, s42, v16
	s_wait_alu 0xf1ff
	v_add_co_ci_u32_e64 v6, null, s43, 0, s4
	s_wait_alu 0xfffe
	s_mul_i32 s44, s44, s5
	v_add_nc_u32_e32 v23, 0x100, v1
	s_mul_hi_u32 s4, s5, s44
	s_mov_b32 s40, 0
	s_mov_b32 s19, s17
	s_wait_alu 0xfffe
	s_add_co_i32 s41, s5, s4
	s_branch .LBB265_13
.LBB265_11:                             ;   in Loop: Header=BB265_13 Depth=1
	s_wait_alu 0xfffe
	s_or_b32 exec_lo, exec_lo, s42
.LBB265_12:                             ;   in Loop: Header=BB265_13 Depth=1
	s_wait_alu 0xfffe
	s_or_b32 exec_lo, exec_lo, s5
	v_add_nc_u32_e32 v25, 4, v25
	v_add_co_u32 v5, s5, v5, 16
	s_wait_alu 0xf1ff
	v_add_co_ci_u32_e64 v6, null, 0, v6, s5
	s_delay_alu instid0(VALU_DEP_3)
	v_cmp_le_i32_e64 s4, s23, v25
	v_add_nc_u32_e32 v21, 64, v21
	v_add_nc_u32_e32 v23, 0x100, v23
	s_or_b32 s40, s4, s40
	s_wait_alu 0xfffe
	s_and_not1_b32 exec_lo, exec_lo, s40
	s_cbranch_execz .LBB265_468
.LBB265_13:                             ; =>This Inner Loop Header: Depth=1
	v_sub_nc_u32_e32 v1, 0, v21
	s_delay_alu instid0(VALU_DEP_1) | instskip(SKIP_1) | instid1(VALU_DEP_1)
	v_max_i32_e32 v1, v21, v1
	s_wait_dscnt 0x0
	v_mul_hi_u32 v7, v1, s22
	s_delay_alu instid0(VALU_DEP_1) | instskip(NEXT) | instid1(VALU_DEP_1)
	v_mul_lo_u32 v8, v7, s16
	v_sub_nc_u32_e32 v1, v1, v8
	v_add_nc_u32_e32 v8, 1, v7
	s_delay_alu instid0(VALU_DEP_2) | instskip(SKIP_2) | instid1(VALU_DEP_1)
	v_subrev_nc_u32_e32 v9, s16, v1
	v_cmp_le_u32_e64 s4, s16, v1
	s_wait_alu 0xf1ff
	v_cndmask_b32_e64 v7, v7, v8, s4
	s_delay_alu instid0(VALU_DEP_3) | instskip(SKIP_1) | instid1(VALU_DEP_3)
	v_cndmask_b32_e64 v1, v1, v9, s4
	v_ashrrev_i32_e32 v8, 31, v21
	v_add_nc_u32_e32 v9, 1, v7
	s_delay_alu instid0(VALU_DEP_3) | instskip(NEXT) | instid1(VALU_DEP_3)
	v_cmp_le_u32_e64 s4, s16, v1
	v_xor_b32_e32 v8, s15, v8
	s_wait_alu 0xf1ff
	s_delay_alu instid0(VALU_DEP_2) | instskip(NEXT) | instid1(VALU_DEP_1)
	v_cndmask_b32_e64 v1, v7, v9, s4
	v_xor_b32_e32 v1, v1, v8
	s_delay_alu instid0(VALU_DEP_1) | instskip(NEXT) | instid1(VALU_DEP_1)
	v_sub_nc_u32_e32 v1, v1, v8
	v_add_nc_u32_e32 v7, s21, v1
	v_cmp_ge_i32_e64 s5, s31, v1
	s_delay_alu instid0(VALU_DEP_2) | instskip(NEXT) | instid1(VALU_DEP_1)
	v_sub_nc_u32_e32 v8, 0, v7
	v_max_i32_e32 v8, v7, v8
	v_ashrrev_i32_e32 v7, 31, v7
	s_delay_alu instid0(VALU_DEP_2) | instskip(NEXT) | instid1(VALU_DEP_1)
	v_mul_hi_u32 v9, v8, s41
	v_mul_lo_u32 v9, v9, s39
	s_delay_alu instid0(VALU_DEP_1) | instskip(NEXT) | instid1(VALU_DEP_1)
	v_sub_nc_u32_e32 v8, v8, v9
	v_subrev_nc_u32_e32 v9, s39, v8
	v_cmp_le_u32_e64 s4, s39, v8
	s_wait_alu 0xf1ff
	s_delay_alu instid0(VALU_DEP_1) | instskip(NEXT) | instid1(VALU_DEP_1)
	v_cndmask_b32_e64 v8, v8, v9, s4
	v_subrev_nc_u32_e32 v9, s39, v8
	v_cmp_le_u32_e64 s4, s39, v8
	s_wait_alu 0xf1ff
	s_delay_alu instid0(VALU_DEP_1) | instskip(NEXT) | instid1(VALU_DEP_1)
	v_cndmask_b32_e64 v8, v8, v9, s4
	v_xor_b32_e32 v8, v8, v7
	s_delay_alu instid0(VALU_DEP_1) | instskip(NEXT) | instid1(VALU_DEP_1)
	v_sub_nc_u32_e32 v7, v8, v7
	v_cmp_ne_u32_e64 s4, 0, v7
	s_and_b32 s4, s4, s5
	s_wait_alu 0xfffe
	s_and_saveexec_b32 s5, s4
	s_wait_alu 0xfffe
	s_xor_b32 s4, exec_lo, s5
	s_cbranch_execz .LBB265_17
; %bb.14:                               ;   in Loop: Header=BB265_13 Depth=1
	s_and_saveexec_b32 s5, s3
; %bb.15:                               ;   in Loop: Header=BB265_13 Depth=1
	ds_store_b32 v23, v24
; %bb.16:                               ;   in Loop: Header=BB265_13 Depth=1
	s_wait_alu 0xfffe
	s_or_b32 exec_lo, exec_lo, s5
.LBB265_17:                             ;   in Loop: Header=BB265_13 Depth=1
	s_wait_alu 0xfffe
	s_and_not1_saveexec_b32 s5, s4
	s_cbranch_execz .LBB265_12
; %bb.18:                               ;   in Loop: Header=BB265_13 Depth=1
	global_load_b32 v1, v[5:6], off
	v_dual_mov_b32 v27, 0 :: v_dual_mov_b32 v28, 0
	s_mov_b32 s42, exec_lo
	global_load_b32 v26, v27, s[8:9]
	s_wait_loadcnt 0x1
	v_mad_co_i64_i32 v[7:8], null, v1, s19, v[3:4]
	global_load_b32 v9, v[7:8], off
	s_wait_loadcnt 0x0
	v_and_b32_e32 v1, 0xff, v9
	s_delay_alu instid0(VALU_DEP_1)
	v_cmpx_ne_u16_e32 0, v1
	s_cbranch_execz .LBB265_26
; %bb.19:                               ;   in Loop: Header=BB265_13 Depth=1
	v_mov_b32_e32 v28, 0x8000
	s_mov_b32 s43, exec_lo
	v_cmpx_ne_u16_e32 0x80, v1
	s_cbranch_execz .LBB265_25
; %bb.20:                               ;   in Loop: Header=BB265_13 Depth=1
	v_and_b32_e32 v29, 0x7f, v9
	v_mov_b32_e32 v28, 0x7c01
	s_mov_b32 s44, exec_lo
	s_delay_alu instid0(VALU_DEP_2)
	v_cmpx_ne_u32_e32 0x7f, v29
	s_cbranch_execz .LBB265_24
; %bb.21:                               ;   in Loop: Header=BB265_13 Depth=1
	v_and_b32_e32 v1, 7, v9
	v_lshrrev_b32_e32 v28, 3, v29
	s_mov_b32 s45, exec_lo
	v_cmpx_gt_u32_e32 8, v29
; %bb.22:                               ;   in Loop: Header=BB265_13 Depth=1
	s_delay_alu instid0(VALU_DEP_3) | instskip(NEXT) | instid1(VALU_DEP_1)
	v_clz_i32_u32_e32 v1, v1
	v_min_u32_e32 v1, 32, v1
	s_delay_alu instid0(VALU_DEP_1) | instskip(NEXT) | instid1(VALU_DEP_1)
	v_subrev_nc_u32_e32 v28, 28, v1
	v_lshlrev_b64_e32 v[29:30], v28, v[9:10]
	v_sub_nc_u32_e32 v28, 29, v1
	s_delay_alu instid0(VALU_DEP_2)
	v_and_b32_e32 v1, 7, v29
; %bb.23:                               ;   in Loop: Header=BB265_13 Depth=1
	s_or_b32 exec_lo, exec_lo, s45
	v_lshlrev_b32_e32 v29, 8, v9
	s_delay_alu instid0(VALU_DEP_3) | instskip(NEXT) | instid1(VALU_DEP_3)
	v_lshl_add_u32 v28, v28, 10, 0x2000
	v_lshlrev_b32_e32 v1, 7, v1
	s_delay_alu instid0(VALU_DEP_3) | instskip(NEXT) | instid1(VALU_DEP_3)
	v_and_b32_e32 v29, 0x8000, v29
	v_and_b32_e32 v28, 0xfc00, v28
	s_delay_alu instid0(VALU_DEP_1)
	v_or3_b32 v28, v29, v28, v1
.LBB265_24:                             ;   in Loop: Header=BB265_13 Depth=1
	s_or_b32 exec_lo, exec_lo, s44
.LBB265_25:                             ;   in Loop: Header=BB265_13 Depth=1
	s_wait_alu 0xfffe
	s_or_b32 exec_lo, exec_lo, s43
.LBB265_26:                             ;   in Loop: Header=BB265_13 Depth=1
	s_wait_alu 0xfffe
	s_or_b32 exec_lo, exec_lo, s42
	v_lshrrev_b16 v1, 8, v9
	s_mov_b32 s42, exec_lo
	s_delay_alu instid0(VALU_DEP_1)
	v_cmpx_ne_u16_e32 0, v1
	s_cbranch_execz .LBB265_34
; %bb.27:                               ;   in Loop: Header=BB265_13 Depth=1
	v_bfrev_b32_e32 v27, 1
	s_mov_b32 s43, exec_lo
	v_cmpx_ne_u16_e32 0x80, v1
	s_cbranch_execz .LBB265_33
; %bb.28:                               ;   in Loop: Header=BB265_13 Depth=1
	v_and_b32_e32 v29, 0xffff, v1
	v_mov_b32_e32 v27, 0x7c010000
	s_mov_b32 s44, exec_lo
	s_delay_alu instid0(VALU_DEP_2) | instskip(NEXT) | instid1(VALU_DEP_1)
	v_and_b32_e32 v31, 0x7f, v29
	v_cmpx_ne_u32_e32 0x7f, v31
	s_cbranch_execz .LBB265_32
; %bb.29:                               ;   in Loop: Header=BB265_13 Depth=1
	v_and_b32_e32 v27, 7, v29
	v_lshrrev_b32_e32 v30, 3, v31
	s_mov_b32 s45, exec_lo
	v_cmpx_gt_u32_e32 8, v31
; %bb.30:                               ;   in Loop: Header=BB265_13 Depth=1
	s_delay_alu instid0(VALU_DEP_3) | instskip(NEXT) | instid1(VALU_DEP_1)
	v_clz_i32_u32_e32 v27, v27
	v_min_u32_e32 v27, 32, v27
	s_delay_alu instid0(VALU_DEP_1) | instskip(NEXT) | instid1(VALU_DEP_1)
	v_subrev_nc_u32_e32 v30, 28, v27
	v_lshlrev_b64_e32 v[31:32], v30, v[1:2]
	v_sub_nc_u32_e32 v30, 29, v27
	s_delay_alu instid0(VALU_DEP_2)
	v_and_b32_e32 v27, 7, v31
; %bb.31:                               ;   in Loop: Header=BB265_13 Depth=1
	s_or_b32 exec_lo, exec_lo, s45
	v_lshlrev_b32_e32 v1, 8, v29
	s_delay_alu instid0(VALU_DEP_3) | instskip(NEXT) | instid1(VALU_DEP_3)
	v_lshl_add_u32 v29, v30, 10, 0x2000
	v_lshlrev_b32_e32 v27, 23, v27
	s_delay_alu instid0(VALU_DEP_2) | instskip(NEXT) | instid1(VALU_DEP_1)
	v_and_or_b32 v1, 0x8000, v1, v29
	v_lshl_or_b32 v27, v1, 16, v27
.LBB265_32:                             ;   in Loop: Header=BB265_13 Depth=1
	s_or_b32 exec_lo, exec_lo, s44
.LBB265_33:                             ;   in Loop: Header=BB265_13 Depth=1
	s_wait_alu 0xfffe
	s_or_b32 exec_lo, exec_lo, s43
.LBB265_34:                             ;   in Loop: Header=BB265_13 Depth=1
	s_wait_alu 0xfffe
	s_or_b32 exec_lo, exec_lo, s42
	v_lshrrev_b32_e32 v1, 16, v9
	v_mov_b32_e32 v29, 0
	s_mov_b32 s42, exec_lo
	s_delay_alu instid0(VALU_DEP_2) | instskip(NEXT) | instid1(VALU_DEP_1)
	v_dual_mov_b32 v30, 0 :: v_dual_and_b32 v31, 0xff, v1
	v_cmpx_ne_u16_e32 0, v31
	s_cbranch_execz .LBB265_42
; %bb.35:                               ;   in Loop: Header=BB265_13 Depth=1
	v_mov_b32_e32 v30, 0x8000
	s_mov_b32 s43, exec_lo
	v_cmpx_ne_u16_e32 0x80, v31
	s_cbranch_execz .LBB265_41
; %bb.36:                               ;   in Loop: Header=BB265_13 Depth=1
	v_bfe_u32 v32, v9, 16, 7
	v_mov_b32_e32 v30, 0x7c01
	s_mov_b32 s44, exec_lo
	s_delay_alu instid0(VALU_DEP_2)
	v_cmpx_ne_u32_e32 0x7f, v32
	s_cbranch_execz .LBB265_40
; %bb.37:                               ;   in Loop: Header=BB265_13 Depth=1
	v_and_b32_e32 v30, 7, v1
	v_lshrrev_b32_e32 v31, 3, v32
	s_mov_b32 s45, exec_lo
	v_cmpx_gt_u32_e32 8, v32
; %bb.38:                               ;   in Loop: Header=BB265_13 Depth=1
	s_delay_alu instid0(VALU_DEP_3) | instskip(NEXT) | instid1(VALU_DEP_1)
	v_clz_i32_u32_e32 v30, v30
	v_min_u32_e32 v32, 32, v30
	s_delay_alu instid0(VALU_DEP_1) | instskip(NEXT) | instid1(VALU_DEP_1)
	v_subrev_nc_u32_e32 v30, 28, v32
	v_lshlrev_b64_e32 v[30:31], v30, v[1:2]
	v_sub_nc_u32_e32 v31, 29, v32
	s_delay_alu instid0(VALU_DEP_2)
	v_and_b32_e32 v30, 7, v30
; %bb.39:                               ;   in Loop: Header=BB265_13 Depth=1
	s_or_b32 exec_lo, exec_lo, s45
	v_lshlrev_b32_e32 v1, 8, v1
	s_delay_alu instid0(VALU_DEP_3) | instskip(NEXT) | instid1(VALU_DEP_3)
	v_lshl_add_u32 v31, v31, 10, 0x2000
	v_lshlrev_b32_e32 v30, 7, v30
	s_delay_alu instid0(VALU_DEP_3) | instskip(NEXT) | instid1(VALU_DEP_3)
	v_and_b32_e32 v1, 0x8000, v1
	v_and_b32_e32 v31, 0xfc00, v31
	s_delay_alu instid0(VALU_DEP_1)
	v_or3_b32 v30, v1, v31, v30
.LBB265_40:                             ;   in Loop: Header=BB265_13 Depth=1
	s_or_b32 exec_lo, exec_lo, s44
.LBB265_41:                             ;   in Loop: Header=BB265_13 Depth=1
	s_wait_alu 0xfffe
	s_or_b32 exec_lo, exec_lo, s43
.LBB265_42:                             ;   in Loop: Header=BB265_13 Depth=1
	s_wait_alu 0xfffe
	s_or_b32 exec_lo, exec_lo, s42
	s_delay_alu instid0(SALU_CYCLE_1)
	s_mov_b32 s42, exec_lo
	v_cmpx_lt_u32_e32 0xffffff, v9
	s_cbranch_execz .LBB265_50
; %bb.43:                               ;   in Loop: Header=BB265_13 Depth=1
	v_lshrrev_b32_e32 v1, 24, v9
	v_bfrev_b32_e32 v29, 1
	s_mov_b32 s43, exec_lo
	s_delay_alu instid0(VALU_DEP_2)
	v_cmpx_ne_u32_e32 0x80, v1
	s_cbranch_execz .LBB265_49
; %bb.44:                               ;   in Loop: Header=BB265_13 Depth=1
	v_and_b32_e32 v31, 0x7f, v1
	v_mov_b32_e32 v29, 0x7c010000
	s_mov_b32 s44, exec_lo
	s_delay_alu instid0(VALU_DEP_2)
	v_cmpx_ne_u32_e32 0x7f, v31
	s_cbranch_execz .LBB265_48
; %bb.45:                               ;   in Loop: Header=BB265_13 Depth=1
	v_and_b32_e32 v9, 7, v1
	v_lshrrev_b32_e32 v29, 3, v31
	s_mov_b32 s45, exec_lo
	v_cmpx_gt_u32_e32 8, v31
; %bb.46:                               ;   in Loop: Header=BB265_13 Depth=1
	s_delay_alu instid0(VALU_DEP_3) | instskip(NEXT) | instid1(VALU_DEP_1)
	v_clz_i32_u32_e32 v9, v9
	v_min_u32_e32 v9, 32, v9
	s_delay_alu instid0(VALU_DEP_1) | instskip(NEXT) | instid1(VALU_DEP_1)
	v_subrev_nc_u32_e32 v29, 28, v9
	v_lshlrev_b64_e32 v[31:32], v29, v[1:2]
	v_sub_nc_u32_e32 v29, 29, v9
	s_delay_alu instid0(VALU_DEP_2)
	v_and_b32_e32 v9, 7, v31
; %bb.47:                               ;   in Loop: Header=BB265_13 Depth=1
	s_or_b32 exec_lo, exec_lo, s45
	v_lshlrev_b32_e32 v1, 8, v1
	s_delay_alu instid0(VALU_DEP_3) | instskip(NEXT) | instid1(VALU_DEP_3)
	v_lshl_add_u32 v29, v29, 10, 0x2000
	v_lshlrev_b32_e32 v9, 23, v9
	s_delay_alu instid0(VALU_DEP_2) | instskip(NEXT) | instid1(VALU_DEP_1)
	v_and_or_b32 v1, 0x8000, v1, v29
	v_lshl_or_b32 v29, v1, 16, v9
.LBB265_48:                             ;   in Loop: Header=BB265_13 Depth=1
	s_or_b32 exec_lo, exec_lo, s44
.LBB265_49:                             ;   in Loop: Header=BB265_13 Depth=1
	s_wait_alu 0xfffe
	s_or_b32 exec_lo, exec_lo, s43
.LBB265_50:                             ;   in Loop: Header=BB265_13 Depth=1
	s_wait_alu 0xfffe
	s_or_b32 exec_lo, exec_lo, s42
	global_load_b32 v9, v[7:8], off offset:8
	v_mov_b32_e32 v31, 0
	s_mov_b32 s42, exec_lo
	s_wait_loadcnt 0x0
	v_dual_mov_b32 v32, 0 :: v_dual_and_b32 v1, 0xff, v9
	s_delay_alu instid0(VALU_DEP_1)
	v_cmpx_ne_u16_e32 0, v1
	s_cbranch_execz .LBB265_58
; %bb.51:                               ;   in Loop: Header=BB265_13 Depth=1
	v_mov_b32_e32 v32, 0x8000
	s_mov_b32 s43, exec_lo
	v_cmpx_ne_u16_e32 0x80, v1
	s_cbranch_execz .LBB265_57
; %bb.52:                               ;   in Loop: Header=BB265_13 Depth=1
	v_and_b32_e32 v33, 0x7f, v9
	v_mov_b32_e32 v32, 0x7c01
	s_mov_b32 s44, exec_lo
	s_delay_alu instid0(VALU_DEP_2)
	v_cmpx_ne_u32_e32 0x7f, v33
	s_cbranch_execz .LBB265_56
; %bb.53:                               ;   in Loop: Header=BB265_13 Depth=1
	v_and_b32_e32 v1, 7, v9
	v_lshrrev_b32_e32 v32, 3, v33
	s_mov_b32 s45, exec_lo
	v_cmpx_gt_u32_e32 8, v33
; %bb.54:                               ;   in Loop: Header=BB265_13 Depth=1
	s_delay_alu instid0(VALU_DEP_3) | instskip(NEXT) | instid1(VALU_DEP_1)
	v_clz_i32_u32_e32 v1, v1
	v_min_u32_e32 v1, 32, v1
	s_delay_alu instid0(VALU_DEP_1) | instskip(NEXT) | instid1(VALU_DEP_1)
	v_subrev_nc_u32_e32 v32, 28, v1
	v_lshlrev_b64_e32 v[33:34], v32, v[9:10]
	v_sub_nc_u32_e32 v32, 29, v1
	s_delay_alu instid0(VALU_DEP_2)
	v_and_b32_e32 v1, 7, v33
; %bb.55:                               ;   in Loop: Header=BB265_13 Depth=1
	s_or_b32 exec_lo, exec_lo, s45
	v_lshlrev_b32_e32 v33, 8, v9
	s_delay_alu instid0(VALU_DEP_3) | instskip(NEXT) | instid1(VALU_DEP_3)
	v_lshl_add_u32 v32, v32, 10, 0x2000
	v_lshlrev_b32_e32 v1, 7, v1
	s_delay_alu instid0(VALU_DEP_3) | instskip(NEXT) | instid1(VALU_DEP_3)
	v_and_b32_e32 v33, 0x8000, v33
	v_and_b32_e32 v32, 0xfc00, v32
	s_delay_alu instid0(VALU_DEP_1)
	v_or3_b32 v32, v33, v32, v1
.LBB265_56:                             ;   in Loop: Header=BB265_13 Depth=1
	s_or_b32 exec_lo, exec_lo, s44
.LBB265_57:                             ;   in Loop: Header=BB265_13 Depth=1
	s_wait_alu 0xfffe
	s_or_b32 exec_lo, exec_lo, s43
.LBB265_58:                             ;   in Loop: Header=BB265_13 Depth=1
	s_wait_alu 0xfffe
	s_or_b32 exec_lo, exec_lo, s42
	v_lshrrev_b16 v1, 8, v9
	s_mov_b32 s42, exec_lo
	s_delay_alu instid0(VALU_DEP_1)
	v_cmpx_ne_u16_e32 0, v1
	s_cbranch_execz .LBB265_66
; %bb.59:                               ;   in Loop: Header=BB265_13 Depth=1
	v_bfrev_b32_e32 v31, 1
	s_mov_b32 s43, exec_lo
	v_cmpx_ne_u16_e32 0x80, v1
	s_cbranch_execz .LBB265_65
; %bb.60:                               ;   in Loop: Header=BB265_13 Depth=1
	v_and_b32_e32 v33, 0xffff, v1
	v_mov_b32_e32 v31, 0x7c010000
	s_mov_b32 s44, exec_lo
	s_delay_alu instid0(VALU_DEP_2) | instskip(NEXT) | instid1(VALU_DEP_1)
	v_and_b32_e32 v35, 0x7f, v33
	v_cmpx_ne_u32_e32 0x7f, v35
	s_cbranch_execz .LBB265_64
; %bb.61:                               ;   in Loop: Header=BB265_13 Depth=1
	v_and_b32_e32 v31, 7, v33
	v_lshrrev_b32_e32 v34, 3, v35
	s_mov_b32 s45, exec_lo
	v_cmpx_gt_u32_e32 8, v35
; %bb.62:                               ;   in Loop: Header=BB265_13 Depth=1
	s_delay_alu instid0(VALU_DEP_3) | instskip(NEXT) | instid1(VALU_DEP_1)
	v_clz_i32_u32_e32 v31, v31
	v_min_u32_e32 v31, 32, v31
	s_delay_alu instid0(VALU_DEP_1) | instskip(NEXT) | instid1(VALU_DEP_1)
	v_subrev_nc_u32_e32 v34, 28, v31
	v_lshlrev_b64_e32 v[35:36], v34, v[1:2]
	v_sub_nc_u32_e32 v34, 29, v31
	s_delay_alu instid0(VALU_DEP_2)
	v_and_b32_e32 v31, 7, v35
; %bb.63:                               ;   in Loop: Header=BB265_13 Depth=1
	s_or_b32 exec_lo, exec_lo, s45
	v_lshlrev_b32_e32 v1, 8, v33
	s_delay_alu instid0(VALU_DEP_3) | instskip(NEXT) | instid1(VALU_DEP_3)
	v_lshl_add_u32 v33, v34, 10, 0x2000
	v_lshlrev_b32_e32 v31, 23, v31
	s_delay_alu instid0(VALU_DEP_2) | instskip(NEXT) | instid1(VALU_DEP_1)
	v_and_or_b32 v1, 0x8000, v1, v33
	v_lshl_or_b32 v31, v1, 16, v31
.LBB265_64:                             ;   in Loop: Header=BB265_13 Depth=1
	s_or_b32 exec_lo, exec_lo, s44
.LBB265_65:                             ;   in Loop: Header=BB265_13 Depth=1
	s_wait_alu 0xfffe
	s_or_b32 exec_lo, exec_lo, s43
.LBB265_66:                             ;   in Loop: Header=BB265_13 Depth=1
	s_wait_alu 0xfffe
	s_or_b32 exec_lo, exec_lo, s42
	v_lshrrev_b32_e32 v1, 16, v9
	v_mov_b32_e32 v33, 0
	s_mov_b32 s42, exec_lo
	s_delay_alu instid0(VALU_DEP_2) | instskip(NEXT) | instid1(VALU_DEP_1)
	v_dual_mov_b32 v34, 0 :: v_dual_and_b32 v35, 0xff, v1
	v_cmpx_ne_u16_e32 0, v35
	s_cbranch_execz .LBB265_74
; %bb.67:                               ;   in Loop: Header=BB265_13 Depth=1
	v_mov_b32_e32 v34, 0x8000
	s_mov_b32 s43, exec_lo
	v_cmpx_ne_u16_e32 0x80, v35
	s_cbranch_execz .LBB265_73
; %bb.68:                               ;   in Loop: Header=BB265_13 Depth=1
	v_bfe_u32 v36, v9, 16, 7
	v_mov_b32_e32 v34, 0x7c01
	s_mov_b32 s44, exec_lo
	s_delay_alu instid0(VALU_DEP_2)
	v_cmpx_ne_u32_e32 0x7f, v36
	s_cbranch_execz .LBB265_72
; %bb.69:                               ;   in Loop: Header=BB265_13 Depth=1
	v_and_b32_e32 v34, 7, v1
	v_lshrrev_b32_e32 v35, 3, v36
	s_mov_b32 s45, exec_lo
	v_cmpx_gt_u32_e32 8, v36
; %bb.70:                               ;   in Loop: Header=BB265_13 Depth=1
	s_delay_alu instid0(VALU_DEP_3) | instskip(NEXT) | instid1(VALU_DEP_1)
	v_clz_i32_u32_e32 v34, v34
	v_min_u32_e32 v36, 32, v34
	s_delay_alu instid0(VALU_DEP_1) | instskip(NEXT) | instid1(VALU_DEP_1)
	v_subrev_nc_u32_e32 v34, 28, v36
	v_lshlrev_b64_e32 v[34:35], v34, v[1:2]
	v_sub_nc_u32_e32 v35, 29, v36
	s_delay_alu instid0(VALU_DEP_2)
	v_and_b32_e32 v34, 7, v34
; %bb.71:                               ;   in Loop: Header=BB265_13 Depth=1
	s_or_b32 exec_lo, exec_lo, s45
	v_lshlrev_b32_e32 v1, 8, v1
	s_delay_alu instid0(VALU_DEP_3) | instskip(NEXT) | instid1(VALU_DEP_3)
	v_lshl_add_u32 v35, v35, 10, 0x2000
	v_lshlrev_b32_e32 v34, 7, v34
	s_delay_alu instid0(VALU_DEP_3) | instskip(NEXT) | instid1(VALU_DEP_3)
	v_and_b32_e32 v1, 0x8000, v1
	v_and_b32_e32 v35, 0xfc00, v35
	s_delay_alu instid0(VALU_DEP_1)
	v_or3_b32 v34, v1, v35, v34
.LBB265_72:                             ;   in Loop: Header=BB265_13 Depth=1
	s_or_b32 exec_lo, exec_lo, s44
.LBB265_73:                             ;   in Loop: Header=BB265_13 Depth=1
	s_wait_alu 0xfffe
	s_or_b32 exec_lo, exec_lo, s43
.LBB265_74:                             ;   in Loop: Header=BB265_13 Depth=1
	s_wait_alu 0xfffe
	s_or_b32 exec_lo, exec_lo, s42
	s_delay_alu instid0(SALU_CYCLE_1)
	s_mov_b32 s42, exec_lo
	v_cmpx_lt_u32_e32 0xffffff, v9
	s_cbranch_execz .LBB265_82
; %bb.75:                               ;   in Loop: Header=BB265_13 Depth=1
	v_lshrrev_b32_e32 v1, 24, v9
	v_bfrev_b32_e32 v33, 1
	s_mov_b32 s43, exec_lo
	s_delay_alu instid0(VALU_DEP_2)
	v_cmpx_ne_u32_e32 0x80, v1
	s_cbranch_execz .LBB265_81
; %bb.76:                               ;   in Loop: Header=BB265_13 Depth=1
	v_and_b32_e32 v35, 0x7f, v1
	v_mov_b32_e32 v33, 0x7c010000
	s_mov_b32 s44, exec_lo
	s_delay_alu instid0(VALU_DEP_2)
	v_cmpx_ne_u32_e32 0x7f, v35
	s_cbranch_execz .LBB265_80
; %bb.77:                               ;   in Loop: Header=BB265_13 Depth=1
	v_and_b32_e32 v9, 7, v1
	v_lshrrev_b32_e32 v33, 3, v35
	s_mov_b32 s45, exec_lo
	v_cmpx_gt_u32_e32 8, v35
; %bb.78:                               ;   in Loop: Header=BB265_13 Depth=1
	s_delay_alu instid0(VALU_DEP_3) | instskip(NEXT) | instid1(VALU_DEP_1)
	v_clz_i32_u32_e32 v9, v9
	v_min_u32_e32 v9, 32, v9
	s_delay_alu instid0(VALU_DEP_1) | instskip(NEXT) | instid1(VALU_DEP_1)
	v_subrev_nc_u32_e32 v33, 28, v9
	v_lshlrev_b64_e32 v[35:36], v33, v[1:2]
	v_sub_nc_u32_e32 v33, 29, v9
	s_delay_alu instid0(VALU_DEP_2)
	v_and_b32_e32 v9, 7, v35
; %bb.79:                               ;   in Loop: Header=BB265_13 Depth=1
	s_or_b32 exec_lo, exec_lo, s45
	v_lshlrev_b32_e32 v1, 8, v1
	s_delay_alu instid0(VALU_DEP_3) | instskip(NEXT) | instid1(VALU_DEP_3)
	v_lshl_add_u32 v33, v33, 10, 0x2000
	v_lshlrev_b32_e32 v9, 23, v9
	s_delay_alu instid0(VALU_DEP_2) | instskip(NEXT) | instid1(VALU_DEP_1)
	v_and_or_b32 v1, 0x8000, v1, v33
	v_lshl_or_b32 v33, v1, 16, v9
.LBB265_80:                             ;   in Loop: Header=BB265_13 Depth=1
	s_or_b32 exec_lo, exec_lo, s44
.LBB265_81:                             ;   in Loop: Header=BB265_13 Depth=1
	s_wait_alu 0xfffe
	s_or_b32 exec_lo, exec_lo, s43
.LBB265_82:                             ;   in Loop: Header=BB265_13 Depth=1
	s_wait_alu 0xfffe
	s_or_b32 exec_lo, exec_lo, s42
	global_load_b32 v9, v[7:8], off offset:256
	v_mov_b32_e32 v35, 0
	s_mov_b32 s42, exec_lo
	s_wait_loadcnt 0x0
	v_dual_mov_b32 v36, 0 :: v_dual_and_b32 v1, 0xff, v9
	s_delay_alu instid0(VALU_DEP_1)
	v_cmpx_ne_u16_e32 0, v1
	s_cbranch_execz .LBB265_90
; %bb.83:                               ;   in Loop: Header=BB265_13 Depth=1
	v_mov_b32_e32 v36, 0x8000
	s_mov_b32 s43, exec_lo
	v_cmpx_ne_u16_e32 0x80, v1
	s_cbranch_execz .LBB265_89
; %bb.84:                               ;   in Loop: Header=BB265_13 Depth=1
	v_and_b32_e32 v37, 0x7f, v9
	v_mov_b32_e32 v36, 0x7c01
	s_mov_b32 s44, exec_lo
	s_delay_alu instid0(VALU_DEP_2)
	v_cmpx_ne_u32_e32 0x7f, v37
	s_cbranch_execz .LBB265_88
; %bb.85:                               ;   in Loop: Header=BB265_13 Depth=1
	v_and_b32_e32 v1, 7, v9
	v_lshrrev_b32_e32 v36, 3, v37
	s_mov_b32 s45, exec_lo
	v_cmpx_gt_u32_e32 8, v37
; %bb.86:                               ;   in Loop: Header=BB265_13 Depth=1
	s_delay_alu instid0(VALU_DEP_3) | instskip(NEXT) | instid1(VALU_DEP_1)
	v_clz_i32_u32_e32 v1, v1
	v_min_u32_e32 v1, 32, v1
	s_delay_alu instid0(VALU_DEP_1) | instskip(NEXT) | instid1(VALU_DEP_1)
	v_subrev_nc_u32_e32 v36, 28, v1
	v_lshlrev_b64_e32 v[37:38], v36, v[9:10]
	v_sub_nc_u32_e32 v36, 29, v1
	s_delay_alu instid0(VALU_DEP_2)
	v_and_b32_e32 v1, 7, v37
; %bb.87:                               ;   in Loop: Header=BB265_13 Depth=1
	s_or_b32 exec_lo, exec_lo, s45
	v_lshlrev_b32_e32 v37, 8, v9
	s_delay_alu instid0(VALU_DEP_3) | instskip(NEXT) | instid1(VALU_DEP_3)
	v_lshl_add_u32 v36, v36, 10, 0x2000
	v_lshlrev_b32_e32 v1, 7, v1
	s_delay_alu instid0(VALU_DEP_3) | instskip(NEXT) | instid1(VALU_DEP_3)
	v_and_b32_e32 v37, 0x8000, v37
	v_and_b32_e32 v36, 0xfc00, v36
	s_delay_alu instid0(VALU_DEP_1)
	v_or3_b32 v36, v37, v36, v1
.LBB265_88:                             ;   in Loop: Header=BB265_13 Depth=1
	s_or_b32 exec_lo, exec_lo, s44
.LBB265_89:                             ;   in Loop: Header=BB265_13 Depth=1
	s_wait_alu 0xfffe
	s_or_b32 exec_lo, exec_lo, s43
.LBB265_90:                             ;   in Loop: Header=BB265_13 Depth=1
	s_wait_alu 0xfffe
	s_or_b32 exec_lo, exec_lo, s42
	v_lshrrev_b16 v1, 8, v9
	s_mov_b32 s42, exec_lo
	s_delay_alu instid0(VALU_DEP_1)
	v_cmpx_ne_u16_e32 0, v1
	s_cbranch_execz .LBB265_98
; %bb.91:                               ;   in Loop: Header=BB265_13 Depth=1
	v_bfrev_b32_e32 v35, 1
	s_mov_b32 s43, exec_lo
	v_cmpx_ne_u16_e32 0x80, v1
	s_cbranch_execz .LBB265_97
; %bb.92:                               ;   in Loop: Header=BB265_13 Depth=1
	v_and_b32_e32 v37, 0xffff, v1
	v_mov_b32_e32 v35, 0x7c010000
	s_mov_b32 s44, exec_lo
	s_delay_alu instid0(VALU_DEP_2) | instskip(NEXT) | instid1(VALU_DEP_1)
	v_and_b32_e32 v39, 0x7f, v37
	v_cmpx_ne_u32_e32 0x7f, v39
	s_cbranch_execz .LBB265_96
; %bb.93:                               ;   in Loop: Header=BB265_13 Depth=1
	v_and_b32_e32 v35, 7, v37
	v_lshrrev_b32_e32 v38, 3, v39
	s_mov_b32 s45, exec_lo
	v_cmpx_gt_u32_e32 8, v39
; %bb.94:                               ;   in Loop: Header=BB265_13 Depth=1
	s_delay_alu instid0(VALU_DEP_3) | instskip(NEXT) | instid1(VALU_DEP_1)
	v_clz_i32_u32_e32 v35, v35
	v_min_u32_e32 v35, 32, v35
	s_delay_alu instid0(VALU_DEP_1) | instskip(NEXT) | instid1(VALU_DEP_1)
	v_subrev_nc_u32_e32 v38, 28, v35
	v_lshlrev_b64_e32 v[39:40], v38, v[1:2]
	v_sub_nc_u32_e32 v38, 29, v35
	s_delay_alu instid0(VALU_DEP_2)
	v_and_b32_e32 v35, 7, v39
; %bb.95:                               ;   in Loop: Header=BB265_13 Depth=1
	s_or_b32 exec_lo, exec_lo, s45
	v_lshlrev_b32_e32 v1, 8, v37
	s_delay_alu instid0(VALU_DEP_3) | instskip(NEXT) | instid1(VALU_DEP_3)
	v_lshl_add_u32 v37, v38, 10, 0x2000
	v_lshlrev_b32_e32 v35, 23, v35
	s_delay_alu instid0(VALU_DEP_2) | instskip(NEXT) | instid1(VALU_DEP_1)
	v_and_or_b32 v1, 0x8000, v1, v37
	v_lshl_or_b32 v35, v1, 16, v35
.LBB265_96:                             ;   in Loop: Header=BB265_13 Depth=1
	s_or_b32 exec_lo, exec_lo, s44
.LBB265_97:                             ;   in Loop: Header=BB265_13 Depth=1
	s_wait_alu 0xfffe
	s_or_b32 exec_lo, exec_lo, s43
.LBB265_98:                             ;   in Loop: Header=BB265_13 Depth=1
	s_wait_alu 0xfffe
	s_or_b32 exec_lo, exec_lo, s42
	v_lshrrev_b32_e32 v1, 16, v9
	v_mov_b32_e32 v37, 0
	s_mov_b32 s42, exec_lo
	s_delay_alu instid0(VALU_DEP_2) | instskip(NEXT) | instid1(VALU_DEP_1)
	v_dual_mov_b32 v38, 0 :: v_dual_and_b32 v39, 0xff, v1
	v_cmpx_ne_u16_e32 0, v39
	s_cbranch_execz .LBB265_106
; %bb.99:                               ;   in Loop: Header=BB265_13 Depth=1
	v_mov_b32_e32 v38, 0x8000
	s_mov_b32 s43, exec_lo
	v_cmpx_ne_u16_e32 0x80, v39
	s_cbranch_execz .LBB265_105
; %bb.100:                              ;   in Loop: Header=BB265_13 Depth=1
	v_bfe_u32 v40, v9, 16, 7
	v_mov_b32_e32 v38, 0x7c01
	s_mov_b32 s44, exec_lo
	s_delay_alu instid0(VALU_DEP_2)
	v_cmpx_ne_u32_e32 0x7f, v40
	s_cbranch_execz .LBB265_104
; %bb.101:                              ;   in Loop: Header=BB265_13 Depth=1
	v_and_b32_e32 v38, 7, v1
	v_lshrrev_b32_e32 v39, 3, v40
	s_mov_b32 s45, exec_lo
	v_cmpx_gt_u32_e32 8, v40
; %bb.102:                              ;   in Loop: Header=BB265_13 Depth=1
	s_delay_alu instid0(VALU_DEP_3) | instskip(NEXT) | instid1(VALU_DEP_1)
	v_clz_i32_u32_e32 v38, v38
	v_min_u32_e32 v40, 32, v38
	s_delay_alu instid0(VALU_DEP_1) | instskip(NEXT) | instid1(VALU_DEP_1)
	v_subrev_nc_u32_e32 v38, 28, v40
	v_lshlrev_b64_e32 v[38:39], v38, v[1:2]
	v_sub_nc_u32_e32 v39, 29, v40
	s_delay_alu instid0(VALU_DEP_2)
	v_and_b32_e32 v38, 7, v38
; %bb.103:                              ;   in Loop: Header=BB265_13 Depth=1
	s_or_b32 exec_lo, exec_lo, s45
	v_lshlrev_b32_e32 v1, 8, v1
	s_delay_alu instid0(VALU_DEP_3) | instskip(NEXT) | instid1(VALU_DEP_3)
	v_lshl_add_u32 v39, v39, 10, 0x2000
	v_lshlrev_b32_e32 v38, 7, v38
	s_delay_alu instid0(VALU_DEP_3) | instskip(NEXT) | instid1(VALU_DEP_3)
	v_and_b32_e32 v1, 0x8000, v1
	v_and_b32_e32 v39, 0xfc00, v39
	s_delay_alu instid0(VALU_DEP_1)
	v_or3_b32 v38, v1, v39, v38
.LBB265_104:                            ;   in Loop: Header=BB265_13 Depth=1
	s_or_b32 exec_lo, exec_lo, s44
.LBB265_105:                            ;   in Loop: Header=BB265_13 Depth=1
	s_wait_alu 0xfffe
	s_or_b32 exec_lo, exec_lo, s43
.LBB265_106:                            ;   in Loop: Header=BB265_13 Depth=1
	s_wait_alu 0xfffe
	s_or_b32 exec_lo, exec_lo, s42
	s_delay_alu instid0(SALU_CYCLE_1)
	s_mov_b32 s42, exec_lo
	v_cmpx_lt_u32_e32 0xffffff, v9
	s_cbranch_execz .LBB265_114
; %bb.107:                              ;   in Loop: Header=BB265_13 Depth=1
	v_lshrrev_b32_e32 v1, 24, v9
	v_bfrev_b32_e32 v37, 1
	s_mov_b32 s43, exec_lo
	s_delay_alu instid0(VALU_DEP_2)
	v_cmpx_ne_u32_e32 0x80, v1
	s_cbranch_execz .LBB265_113
; %bb.108:                              ;   in Loop: Header=BB265_13 Depth=1
	v_and_b32_e32 v39, 0x7f, v1
	v_mov_b32_e32 v37, 0x7c010000
	s_mov_b32 s44, exec_lo
	s_delay_alu instid0(VALU_DEP_2)
	v_cmpx_ne_u32_e32 0x7f, v39
	s_cbranch_execz .LBB265_112
; %bb.109:                              ;   in Loop: Header=BB265_13 Depth=1
	v_and_b32_e32 v9, 7, v1
	v_lshrrev_b32_e32 v37, 3, v39
	s_mov_b32 s45, exec_lo
	v_cmpx_gt_u32_e32 8, v39
; %bb.110:                              ;   in Loop: Header=BB265_13 Depth=1
	s_delay_alu instid0(VALU_DEP_3) | instskip(NEXT) | instid1(VALU_DEP_1)
	v_clz_i32_u32_e32 v9, v9
	v_min_u32_e32 v9, 32, v9
	s_delay_alu instid0(VALU_DEP_1) | instskip(NEXT) | instid1(VALU_DEP_1)
	v_subrev_nc_u32_e32 v37, 28, v9
	v_lshlrev_b64_e32 v[39:40], v37, v[1:2]
	v_sub_nc_u32_e32 v37, 29, v9
	s_delay_alu instid0(VALU_DEP_2)
	v_and_b32_e32 v9, 7, v39
; %bb.111:                              ;   in Loop: Header=BB265_13 Depth=1
	s_or_b32 exec_lo, exec_lo, s45
	v_lshlrev_b32_e32 v1, 8, v1
	s_delay_alu instid0(VALU_DEP_3) | instskip(NEXT) | instid1(VALU_DEP_3)
	v_lshl_add_u32 v37, v37, 10, 0x2000
	v_lshlrev_b32_e32 v9, 23, v9
	s_delay_alu instid0(VALU_DEP_2) | instskip(NEXT) | instid1(VALU_DEP_1)
	v_and_or_b32 v1, 0x8000, v1, v37
	v_lshl_or_b32 v37, v1, 16, v9
.LBB265_112:                            ;   in Loop: Header=BB265_13 Depth=1
	s_or_b32 exec_lo, exec_lo, s44
.LBB265_113:                            ;   in Loop: Header=BB265_13 Depth=1
	s_wait_alu 0xfffe
	s_or_b32 exec_lo, exec_lo, s43
.LBB265_114:                            ;   in Loop: Header=BB265_13 Depth=1
	s_wait_alu 0xfffe
	s_or_b32 exec_lo, exec_lo, s42
	global_load_b32 v9, v[7:8], off offset:264
	v_mov_b32_e32 v39, 0
	s_mov_b32 s42, exec_lo
	s_wait_loadcnt 0x0
	v_dual_mov_b32 v40, 0 :: v_dual_and_b32 v1, 0xff, v9
	s_delay_alu instid0(VALU_DEP_1)
	v_cmpx_ne_u16_e32 0, v1
	s_cbranch_execz .LBB265_122
; %bb.115:                              ;   in Loop: Header=BB265_13 Depth=1
	v_mov_b32_e32 v40, 0x8000
	s_mov_b32 s43, exec_lo
	v_cmpx_ne_u16_e32 0x80, v1
	s_cbranch_execz .LBB265_121
; %bb.116:                              ;   in Loop: Header=BB265_13 Depth=1
	v_and_b32_e32 v41, 0x7f, v9
	v_mov_b32_e32 v40, 0x7c01
	s_mov_b32 s44, exec_lo
	s_delay_alu instid0(VALU_DEP_2)
	v_cmpx_ne_u32_e32 0x7f, v41
	s_cbranch_execz .LBB265_120
; %bb.117:                              ;   in Loop: Header=BB265_13 Depth=1
	v_and_b32_e32 v1, 7, v9
	v_lshrrev_b32_e32 v40, 3, v41
	s_mov_b32 s45, exec_lo
	v_cmpx_gt_u32_e32 8, v41
; %bb.118:                              ;   in Loop: Header=BB265_13 Depth=1
	s_delay_alu instid0(VALU_DEP_3) | instskip(NEXT) | instid1(VALU_DEP_1)
	v_clz_i32_u32_e32 v1, v1
	v_min_u32_e32 v1, 32, v1
	s_delay_alu instid0(VALU_DEP_1) | instskip(NEXT) | instid1(VALU_DEP_1)
	v_subrev_nc_u32_e32 v40, 28, v1
	v_lshlrev_b64_e32 v[41:42], v40, v[9:10]
	v_sub_nc_u32_e32 v40, 29, v1
	s_delay_alu instid0(VALU_DEP_2)
	v_and_b32_e32 v1, 7, v41
; %bb.119:                              ;   in Loop: Header=BB265_13 Depth=1
	s_or_b32 exec_lo, exec_lo, s45
	v_lshlrev_b32_e32 v41, 8, v9
	s_delay_alu instid0(VALU_DEP_3) | instskip(NEXT) | instid1(VALU_DEP_3)
	v_lshl_add_u32 v40, v40, 10, 0x2000
	v_lshlrev_b32_e32 v1, 7, v1
	s_delay_alu instid0(VALU_DEP_3) | instskip(NEXT) | instid1(VALU_DEP_3)
	v_and_b32_e32 v41, 0x8000, v41
	v_and_b32_e32 v40, 0xfc00, v40
	s_delay_alu instid0(VALU_DEP_1)
	v_or3_b32 v40, v41, v40, v1
.LBB265_120:                            ;   in Loop: Header=BB265_13 Depth=1
	s_or_b32 exec_lo, exec_lo, s44
.LBB265_121:                            ;   in Loop: Header=BB265_13 Depth=1
	s_wait_alu 0xfffe
	s_or_b32 exec_lo, exec_lo, s43
.LBB265_122:                            ;   in Loop: Header=BB265_13 Depth=1
	s_wait_alu 0xfffe
	s_or_b32 exec_lo, exec_lo, s42
	v_lshrrev_b16 v1, 8, v9
	s_mov_b32 s42, exec_lo
	s_delay_alu instid0(VALU_DEP_1)
	v_cmpx_ne_u16_e32 0, v1
	s_cbranch_execz .LBB265_130
; %bb.123:                              ;   in Loop: Header=BB265_13 Depth=1
	v_bfrev_b32_e32 v39, 1
	s_mov_b32 s43, exec_lo
	v_cmpx_ne_u16_e32 0x80, v1
	s_cbranch_execz .LBB265_129
; %bb.124:                              ;   in Loop: Header=BB265_13 Depth=1
	v_and_b32_e32 v41, 0xffff, v1
	v_mov_b32_e32 v39, 0x7c010000
	s_mov_b32 s44, exec_lo
	s_delay_alu instid0(VALU_DEP_2) | instskip(NEXT) | instid1(VALU_DEP_1)
	v_and_b32_e32 v43, 0x7f, v41
	v_cmpx_ne_u32_e32 0x7f, v43
	s_cbranch_execz .LBB265_128
; %bb.125:                              ;   in Loop: Header=BB265_13 Depth=1
	v_and_b32_e32 v39, 7, v41
	v_lshrrev_b32_e32 v42, 3, v43
	s_mov_b32 s45, exec_lo
	v_cmpx_gt_u32_e32 8, v43
; %bb.126:                              ;   in Loop: Header=BB265_13 Depth=1
	s_delay_alu instid0(VALU_DEP_3) | instskip(NEXT) | instid1(VALU_DEP_1)
	v_clz_i32_u32_e32 v39, v39
	v_min_u32_e32 v39, 32, v39
	s_delay_alu instid0(VALU_DEP_1) | instskip(NEXT) | instid1(VALU_DEP_1)
	v_subrev_nc_u32_e32 v42, 28, v39
	v_lshlrev_b64_e32 v[43:44], v42, v[1:2]
	v_sub_nc_u32_e32 v42, 29, v39
	s_delay_alu instid0(VALU_DEP_2)
	v_and_b32_e32 v39, 7, v43
; %bb.127:                              ;   in Loop: Header=BB265_13 Depth=1
	s_or_b32 exec_lo, exec_lo, s45
	v_lshlrev_b32_e32 v1, 8, v41
	s_delay_alu instid0(VALU_DEP_3) | instskip(NEXT) | instid1(VALU_DEP_3)
	v_lshl_add_u32 v41, v42, 10, 0x2000
	v_lshlrev_b32_e32 v39, 23, v39
	s_delay_alu instid0(VALU_DEP_2) | instskip(NEXT) | instid1(VALU_DEP_1)
	v_and_or_b32 v1, 0x8000, v1, v41
	v_lshl_or_b32 v39, v1, 16, v39
.LBB265_128:                            ;   in Loop: Header=BB265_13 Depth=1
	s_or_b32 exec_lo, exec_lo, s44
.LBB265_129:                            ;   in Loop: Header=BB265_13 Depth=1
	s_wait_alu 0xfffe
	s_or_b32 exec_lo, exec_lo, s43
.LBB265_130:                            ;   in Loop: Header=BB265_13 Depth=1
	s_wait_alu 0xfffe
	s_or_b32 exec_lo, exec_lo, s42
	v_lshrrev_b32_e32 v1, 16, v9
	v_mov_b32_e32 v41, 0
	s_mov_b32 s42, exec_lo
	s_delay_alu instid0(VALU_DEP_2) | instskip(NEXT) | instid1(VALU_DEP_1)
	v_dual_mov_b32 v42, 0 :: v_dual_and_b32 v43, 0xff, v1
	v_cmpx_ne_u16_e32 0, v43
	s_cbranch_execz .LBB265_138
; %bb.131:                              ;   in Loop: Header=BB265_13 Depth=1
	v_mov_b32_e32 v42, 0x8000
	s_mov_b32 s43, exec_lo
	v_cmpx_ne_u16_e32 0x80, v43
	s_cbranch_execz .LBB265_137
; %bb.132:                              ;   in Loop: Header=BB265_13 Depth=1
	v_bfe_u32 v44, v9, 16, 7
	v_mov_b32_e32 v42, 0x7c01
	s_mov_b32 s44, exec_lo
	s_delay_alu instid0(VALU_DEP_2)
	v_cmpx_ne_u32_e32 0x7f, v44
	s_cbranch_execz .LBB265_136
; %bb.133:                              ;   in Loop: Header=BB265_13 Depth=1
	v_and_b32_e32 v42, 7, v1
	v_lshrrev_b32_e32 v43, 3, v44
	s_mov_b32 s45, exec_lo
	v_cmpx_gt_u32_e32 8, v44
; %bb.134:                              ;   in Loop: Header=BB265_13 Depth=1
	s_delay_alu instid0(VALU_DEP_3) | instskip(NEXT) | instid1(VALU_DEP_1)
	v_clz_i32_u32_e32 v42, v42
	v_min_u32_e32 v44, 32, v42
	s_delay_alu instid0(VALU_DEP_1) | instskip(NEXT) | instid1(VALU_DEP_1)
	v_subrev_nc_u32_e32 v42, 28, v44
	v_lshlrev_b64_e32 v[42:43], v42, v[1:2]
	v_sub_nc_u32_e32 v43, 29, v44
	s_delay_alu instid0(VALU_DEP_2)
	v_and_b32_e32 v42, 7, v42
; %bb.135:                              ;   in Loop: Header=BB265_13 Depth=1
	s_or_b32 exec_lo, exec_lo, s45
	v_lshlrev_b32_e32 v1, 8, v1
	s_delay_alu instid0(VALU_DEP_3) | instskip(NEXT) | instid1(VALU_DEP_3)
	v_lshl_add_u32 v43, v43, 10, 0x2000
	v_lshlrev_b32_e32 v42, 7, v42
	s_delay_alu instid0(VALU_DEP_3) | instskip(NEXT) | instid1(VALU_DEP_3)
	v_and_b32_e32 v1, 0x8000, v1
	v_and_b32_e32 v43, 0xfc00, v43
	s_delay_alu instid0(VALU_DEP_1)
	v_or3_b32 v42, v1, v43, v42
.LBB265_136:                            ;   in Loop: Header=BB265_13 Depth=1
	s_or_b32 exec_lo, exec_lo, s44
.LBB265_137:                            ;   in Loop: Header=BB265_13 Depth=1
	s_wait_alu 0xfffe
	s_or_b32 exec_lo, exec_lo, s43
.LBB265_138:                            ;   in Loop: Header=BB265_13 Depth=1
	s_wait_alu 0xfffe
	s_or_b32 exec_lo, exec_lo, s42
	s_delay_alu instid0(SALU_CYCLE_1)
	s_mov_b32 s42, exec_lo
	v_cmpx_lt_u32_e32 0xffffff, v9
	s_cbranch_execz .LBB265_146
; %bb.139:                              ;   in Loop: Header=BB265_13 Depth=1
	v_lshrrev_b32_e32 v1, 24, v9
	v_bfrev_b32_e32 v41, 1
	s_mov_b32 s43, exec_lo
	s_delay_alu instid0(VALU_DEP_2)
	v_cmpx_ne_u32_e32 0x80, v1
	s_cbranch_execz .LBB265_145
; %bb.140:                              ;   in Loop: Header=BB265_13 Depth=1
	v_and_b32_e32 v43, 0x7f, v1
	v_mov_b32_e32 v41, 0x7c010000
	s_mov_b32 s44, exec_lo
	s_delay_alu instid0(VALU_DEP_2)
	v_cmpx_ne_u32_e32 0x7f, v43
	s_cbranch_execz .LBB265_144
; %bb.141:                              ;   in Loop: Header=BB265_13 Depth=1
	v_and_b32_e32 v9, 7, v1
	v_lshrrev_b32_e32 v41, 3, v43
	s_mov_b32 s45, exec_lo
	v_cmpx_gt_u32_e32 8, v43
; %bb.142:                              ;   in Loop: Header=BB265_13 Depth=1
	s_delay_alu instid0(VALU_DEP_3) | instskip(NEXT) | instid1(VALU_DEP_1)
	v_clz_i32_u32_e32 v9, v9
	v_min_u32_e32 v9, 32, v9
	s_delay_alu instid0(VALU_DEP_1) | instskip(NEXT) | instid1(VALU_DEP_1)
	v_subrev_nc_u32_e32 v41, 28, v9
	v_lshlrev_b64_e32 v[43:44], v41, v[1:2]
	v_sub_nc_u32_e32 v41, 29, v9
	s_delay_alu instid0(VALU_DEP_2)
	v_and_b32_e32 v9, 7, v43
; %bb.143:                              ;   in Loop: Header=BB265_13 Depth=1
	s_or_b32 exec_lo, exec_lo, s45
	v_lshlrev_b32_e32 v1, 8, v1
	s_delay_alu instid0(VALU_DEP_3) | instskip(NEXT) | instid1(VALU_DEP_3)
	v_lshl_add_u32 v41, v41, 10, 0x2000
	v_lshlrev_b32_e32 v9, 23, v9
	s_delay_alu instid0(VALU_DEP_2) | instskip(NEXT) | instid1(VALU_DEP_1)
	v_and_or_b32 v1, 0x8000, v1, v41
	v_lshl_or_b32 v41, v1, 16, v9
.LBB265_144:                            ;   in Loop: Header=BB265_13 Depth=1
	s_or_b32 exec_lo, exec_lo, s44
.LBB265_145:                            ;   in Loop: Header=BB265_13 Depth=1
	s_wait_alu 0xfffe
	s_or_b32 exec_lo, exec_lo, s43
.LBB265_146:                            ;   in Loop: Header=BB265_13 Depth=1
	s_wait_alu 0xfffe
	s_or_b32 exec_lo, exec_lo, s42
	global_load_b32 v9, v[7:8], off offset:512
	v_mov_b32_e32 v43, 0
	s_mov_b32 s42, exec_lo
	s_wait_loadcnt 0x0
	v_dual_mov_b32 v44, 0 :: v_dual_and_b32 v1, 0xff, v9
	s_delay_alu instid0(VALU_DEP_1)
	v_cmpx_ne_u16_e32 0, v1
	s_cbranch_execz .LBB265_154
; %bb.147:                              ;   in Loop: Header=BB265_13 Depth=1
	v_mov_b32_e32 v44, 0x8000
	s_mov_b32 s43, exec_lo
	v_cmpx_ne_u16_e32 0x80, v1
	s_cbranch_execz .LBB265_153
; %bb.148:                              ;   in Loop: Header=BB265_13 Depth=1
	v_and_b32_e32 v45, 0x7f, v9
	v_mov_b32_e32 v44, 0x7c01
	s_mov_b32 s44, exec_lo
	s_delay_alu instid0(VALU_DEP_2)
	v_cmpx_ne_u32_e32 0x7f, v45
	s_cbranch_execz .LBB265_152
; %bb.149:                              ;   in Loop: Header=BB265_13 Depth=1
	v_and_b32_e32 v1, 7, v9
	v_lshrrev_b32_e32 v44, 3, v45
	s_mov_b32 s45, exec_lo
	v_cmpx_gt_u32_e32 8, v45
; %bb.150:                              ;   in Loop: Header=BB265_13 Depth=1
	s_delay_alu instid0(VALU_DEP_3) | instskip(NEXT) | instid1(VALU_DEP_1)
	v_clz_i32_u32_e32 v1, v1
	v_min_u32_e32 v1, 32, v1
	s_delay_alu instid0(VALU_DEP_1) | instskip(NEXT) | instid1(VALU_DEP_1)
	v_subrev_nc_u32_e32 v44, 28, v1
	v_lshlrev_b64_e32 v[45:46], v44, v[9:10]
	v_sub_nc_u32_e32 v44, 29, v1
	s_delay_alu instid0(VALU_DEP_2)
	v_and_b32_e32 v1, 7, v45
; %bb.151:                              ;   in Loop: Header=BB265_13 Depth=1
	s_or_b32 exec_lo, exec_lo, s45
	v_lshlrev_b32_e32 v45, 8, v9
	s_delay_alu instid0(VALU_DEP_3) | instskip(NEXT) | instid1(VALU_DEP_3)
	v_lshl_add_u32 v44, v44, 10, 0x2000
	v_lshlrev_b32_e32 v1, 7, v1
	s_delay_alu instid0(VALU_DEP_3) | instskip(NEXT) | instid1(VALU_DEP_3)
	v_and_b32_e32 v45, 0x8000, v45
	v_and_b32_e32 v44, 0xfc00, v44
	s_delay_alu instid0(VALU_DEP_1)
	v_or3_b32 v44, v45, v44, v1
.LBB265_152:                            ;   in Loop: Header=BB265_13 Depth=1
	s_or_b32 exec_lo, exec_lo, s44
.LBB265_153:                            ;   in Loop: Header=BB265_13 Depth=1
	s_wait_alu 0xfffe
	s_or_b32 exec_lo, exec_lo, s43
.LBB265_154:                            ;   in Loop: Header=BB265_13 Depth=1
	s_wait_alu 0xfffe
	s_or_b32 exec_lo, exec_lo, s42
	v_lshrrev_b16 v1, 8, v9
	s_mov_b32 s42, exec_lo
	s_delay_alu instid0(VALU_DEP_1)
	v_cmpx_ne_u16_e32 0, v1
	s_cbranch_execz .LBB265_162
; %bb.155:                              ;   in Loop: Header=BB265_13 Depth=1
	v_bfrev_b32_e32 v43, 1
	s_mov_b32 s43, exec_lo
	v_cmpx_ne_u16_e32 0x80, v1
	s_cbranch_execz .LBB265_161
; %bb.156:                              ;   in Loop: Header=BB265_13 Depth=1
	v_and_b32_e32 v45, 0xffff, v1
	v_mov_b32_e32 v43, 0x7c010000
	s_mov_b32 s44, exec_lo
	s_delay_alu instid0(VALU_DEP_2) | instskip(NEXT) | instid1(VALU_DEP_1)
	v_and_b32_e32 v47, 0x7f, v45
	v_cmpx_ne_u32_e32 0x7f, v47
	s_cbranch_execz .LBB265_160
; %bb.157:                              ;   in Loop: Header=BB265_13 Depth=1
	v_and_b32_e32 v43, 7, v45
	v_lshrrev_b32_e32 v46, 3, v47
	s_mov_b32 s45, exec_lo
	v_cmpx_gt_u32_e32 8, v47
; %bb.158:                              ;   in Loop: Header=BB265_13 Depth=1
	s_delay_alu instid0(VALU_DEP_3) | instskip(NEXT) | instid1(VALU_DEP_1)
	v_clz_i32_u32_e32 v43, v43
	v_min_u32_e32 v43, 32, v43
	s_delay_alu instid0(VALU_DEP_1) | instskip(NEXT) | instid1(VALU_DEP_1)
	v_subrev_nc_u32_e32 v46, 28, v43
	v_lshlrev_b64_e32 v[47:48], v46, v[1:2]
	v_sub_nc_u32_e32 v46, 29, v43
	s_delay_alu instid0(VALU_DEP_2)
	v_and_b32_e32 v43, 7, v47
; %bb.159:                              ;   in Loop: Header=BB265_13 Depth=1
	s_or_b32 exec_lo, exec_lo, s45
	v_lshlrev_b32_e32 v1, 8, v45
	s_delay_alu instid0(VALU_DEP_3) | instskip(NEXT) | instid1(VALU_DEP_3)
	v_lshl_add_u32 v45, v46, 10, 0x2000
	v_lshlrev_b32_e32 v43, 23, v43
	s_delay_alu instid0(VALU_DEP_2) | instskip(NEXT) | instid1(VALU_DEP_1)
	v_and_or_b32 v1, 0x8000, v1, v45
	v_lshl_or_b32 v43, v1, 16, v43
.LBB265_160:                            ;   in Loop: Header=BB265_13 Depth=1
	s_or_b32 exec_lo, exec_lo, s44
.LBB265_161:                            ;   in Loop: Header=BB265_13 Depth=1
	s_wait_alu 0xfffe
	s_or_b32 exec_lo, exec_lo, s43
.LBB265_162:                            ;   in Loop: Header=BB265_13 Depth=1
	s_wait_alu 0xfffe
	s_or_b32 exec_lo, exec_lo, s42
	v_lshrrev_b32_e32 v1, 16, v9
	v_mov_b32_e32 v45, 0
	s_mov_b32 s42, exec_lo
	s_delay_alu instid0(VALU_DEP_2) | instskip(NEXT) | instid1(VALU_DEP_1)
	v_dual_mov_b32 v46, 0 :: v_dual_and_b32 v47, 0xff, v1
	v_cmpx_ne_u16_e32 0, v47
	s_cbranch_execz .LBB265_170
; %bb.163:                              ;   in Loop: Header=BB265_13 Depth=1
	v_mov_b32_e32 v46, 0x8000
	s_mov_b32 s43, exec_lo
	v_cmpx_ne_u16_e32 0x80, v47
	s_cbranch_execz .LBB265_169
; %bb.164:                              ;   in Loop: Header=BB265_13 Depth=1
	v_bfe_u32 v48, v9, 16, 7
	v_mov_b32_e32 v46, 0x7c01
	s_mov_b32 s44, exec_lo
	s_delay_alu instid0(VALU_DEP_2)
	v_cmpx_ne_u32_e32 0x7f, v48
	s_cbranch_execz .LBB265_168
; %bb.165:                              ;   in Loop: Header=BB265_13 Depth=1
	v_and_b32_e32 v46, 7, v1
	v_lshrrev_b32_e32 v47, 3, v48
	s_mov_b32 s45, exec_lo
	v_cmpx_gt_u32_e32 8, v48
; %bb.166:                              ;   in Loop: Header=BB265_13 Depth=1
	s_delay_alu instid0(VALU_DEP_3) | instskip(NEXT) | instid1(VALU_DEP_1)
	v_clz_i32_u32_e32 v46, v46
	v_min_u32_e32 v48, 32, v46
	s_delay_alu instid0(VALU_DEP_1) | instskip(NEXT) | instid1(VALU_DEP_1)
	v_subrev_nc_u32_e32 v46, 28, v48
	v_lshlrev_b64_e32 v[46:47], v46, v[1:2]
	v_sub_nc_u32_e32 v47, 29, v48
	s_delay_alu instid0(VALU_DEP_2)
	v_and_b32_e32 v46, 7, v46
; %bb.167:                              ;   in Loop: Header=BB265_13 Depth=1
	s_or_b32 exec_lo, exec_lo, s45
	v_lshlrev_b32_e32 v1, 8, v1
	s_delay_alu instid0(VALU_DEP_3) | instskip(NEXT) | instid1(VALU_DEP_3)
	v_lshl_add_u32 v47, v47, 10, 0x2000
	v_lshlrev_b32_e32 v46, 7, v46
	s_delay_alu instid0(VALU_DEP_3) | instskip(NEXT) | instid1(VALU_DEP_3)
	v_and_b32_e32 v1, 0x8000, v1
	v_and_b32_e32 v47, 0xfc00, v47
	s_delay_alu instid0(VALU_DEP_1)
	v_or3_b32 v46, v1, v47, v46
.LBB265_168:                            ;   in Loop: Header=BB265_13 Depth=1
	s_or_b32 exec_lo, exec_lo, s44
.LBB265_169:                            ;   in Loop: Header=BB265_13 Depth=1
	s_wait_alu 0xfffe
	s_or_b32 exec_lo, exec_lo, s43
.LBB265_170:                            ;   in Loop: Header=BB265_13 Depth=1
	s_wait_alu 0xfffe
	s_or_b32 exec_lo, exec_lo, s42
	s_delay_alu instid0(SALU_CYCLE_1)
	s_mov_b32 s42, exec_lo
	v_cmpx_lt_u32_e32 0xffffff, v9
	s_cbranch_execz .LBB265_178
; %bb.171:                              ;   in Loop: Header=BB265_13 Depth=1
	v_lshrrev_b32_e32 v1, 24, v9
	v_bfrev_b32_e32 v45, 1
	s_mov_b32 s43, exec_lo
	s_delay_alu instid0(VALU_DEP_2)
	v_cmpx_ne_u32_e32 0x80, v1
	s_cbranch_execz .LBB265_177
; %bb.172:                              ;   in Loop: Header=BB265_13 Depth=1
	v_and_b32_e32 v47, 0x7f, v1
	v_mov_b32_e32 v45, 0x7c010000
	s_mov_b32 s44, exec_lo
	s_delay_alu instid0(VALU_DEP_2)
	v_cmpx_ne_u32_e32 0x7f, v47
	s_cbranch_execz .LBB265_176
; %bb.173:                              ;   in Loop: Header=BB265_13 Depth=1
	v_and_b32_e32 v9, 7, v1
	v_lshrrev_b32_e32 v45, 3, v47
	s_mov_b32 s45, exec_lo
	v_cmpx_gt_u32_e32 8, v47
; %bb.174:                              ;   in Loop: Header=BB265_13 Depth=1
	s_delay_alu instid0(VALU_DEP_3) | instskip(NEXT) | instid1(VALU_DEP_1)
	v_clz_i32_u32_e32 v9, v9
	v_min_u32_e32 v9, 32, v9
	s_delay_alu instid0(VALU_DEP_1) | instskip(NEXT) | instid1(VALU_DEP_1)
	v_subrev_nc_u32_e32 v45, 28, v9
	v_lshlrev_b64_e32 v[47:48], v45, v[1:2]
	v_sub_nc_u32_e32 v45, 29, v9
	s_delay_alu instid0(VALU_DEP_2)
	v_and_b32_e32 v9, 7, v47
; %bb.175:                              ;   in Loop: Header=BB265_13 Depth=1
	s_or_b32 exec_lo, exec_lo, s45
	v_lshlrev_b32_e32 v1, 8, v1
	s_delay_alu instid0(VALU_DEP_3) | instskip(NEXT) | instid1(VALU_DEP_3)
	v_lshl_add_u32 v45, v45, 10, 0x2000
	v_lshlrev_b32_e32 v9, 23, v9
	s_delay_alu instid0(VALU_DEP_2) | instskip(NEXT) | instid1(VALU_DEP_1)
	v_and_or_b32 v1, 0x8000, v1, v45
	v_lshl_or_b32 v45, v1, 16, v9
.LBB265_176:                            ;   in Loop: Header=BB265_13 Depth=1
	s_or_b32 exec_lo, exec_lo, s44
.LBB265_177:                            ;   in Loop: Header=BB265_13 Depth=1
	s_wait_alu 0xfffe
	s_or_b32 exec_lo, exec_lo, s43
.LBB265_178:                            ;   in Loop: Header=BB265_13 Depth=1
	s_wait_alu 0xfffe
	s_or_b32 exec_lo, exec_lo, s42
	global_load_b32 v9, v[7:8], off offset:520
	v_mov_b32_e32 v47, 0
	s_mov_b32 s42, exec_lo
	s_wait_loadcnt 0x0
	v_dual_mov_b32 v48, 0 :: v_dual_and_b32 v1, 0xff, v9
	s_delay_alu instid0(VALU_DEP_1)
	v_cmpx_ne_u16_e32 0, v1
	s_cbranch_execz .LBB265_186
; %bb.179:                              ;   in Loop: Header=BB265_13 Depth=1
	v_mov_b32_e32 v48, 0x8000
	s_mov_b32 s43, exec_lo
	v_cmpx_ne_u16_e32 0x80, v1
	s_cbranch_execz .LBB265_185
; %bb.180:                              ;   in Loop: Header=BB265_13 Depth=1
	v_and_b32_e32 v49, 0x7f, v9
	v_mov_b32_e32 v48, 0x7c01
	s_mov_b32 s44, exec_lo
	s_delay_alu instid0(VALU_DEP_2)
	v_cmpx_ne_u32_e32 0x7f, v49
	s_cbranch_execz .LBB265_184
; %bb.181:                              ;   in Loop: Header=BB265_13 Depth=1
	v_and_b32_e32 v1, 7, v9
	v_lshrrev_b32_e32 v48, 3, v49
	s_mov_b32 s45, exec_lo
	v_cmpx_gt_u32_e32 8, v49
; %bb.182:                              ;   in Loop: Header=BB265_13 Depth=1
	s_delay_alu instid0(VALU_DEP_3) | instskip(NEXT) | instid1(VALU_DEP_1)
	v_clz_i32_u32_e32 v1, v1
	v_min_u32_e32 v1, 32, v1
	s_delay_alu instid0(VALU_DEP_1) | instskip(NEXT) | instid1(VALU_DEP_1)
	v_subrev_nc_u32_e32 v48, 28, v1
	v_lshlrev_b64_e32 v[49:50], v48, v[9:10]
	v_sub_nc_u32_e32 v48, 29, v1
	s_delay_alu instid0(VALU_DEP_2)
	v_and_b32_e32 v1, 7, v49
; %bb.183:                              ;   in Loop: Header=BB265_13 Depth=1
	s_or_b32 exec_lo, exec_lo, s45
	v_lshlrev_b32_e32 v49, 8, v9
	s_delay_alu instid0(VALU_DEP_3) | instskip(NEXT) | instid1(VALU_DEP_3)
	v_lshl_add_u32 v48, v48, 10, 0x2000
	v_lshlrev_b32_e32 v1, 7, v1
	s_delay_alu instid0(VALU_DEP_3) | instskip(NEXT) | instid1(VALU_DEP_3)
	v_and_b32_e32 v49, 0x8000, v49
	v_and_b32_e32 v48, 0xfc00, v48
	s_delay_alu instid0(VALU_DEP_1)
	v_or3_b32 v48, v49, v48, v1
.LBB265_184:                            ;   in Loop: Header=BB265_13 Depth=1
	s_or_b32 exec_lo, exec_lo, s44
.LBB265_185:                            ;   in Loop: Header=BB265_13 Depth=1
	s_wait_alu 0xfffe
	s_or_b32 exec_lo, exec_lo, s43
.LBB265_186:                            ;   in Loop: Header=BB265_13 Depth=1
	s_wait_alu 0xfffe
	s_or_b32 exec_lo, exec_lo, s42
	v_lshrrev_b16 v1, 8, v9
	s_mov_b32 s42, exec_lo
	s_delay_alu instid0(VALU_DEP_1)
	v_cmpx_ne_u16_e32 0, v1
	s_cbranch_execz .LBB265_194
; %bb.187:                              ;   in Loop: Header=BB265_13 Depth=1
	v_bfrev_b32_e32 v47, 1
	s_mov_b32 s43, exec_lo
	v_cmpx_ne_u16_e32 0x80, v1
	s_cbranch_execz .LBB265_193
; %bb.188:                              ;   in Loop: Header=BB265_13 Depth=1
	v_and_b32_e32 v49, 0xffff, v1
	v_mov_b32_e32 v47, 0x7c010000
	s_mov_b32 s44, exec_lo
	s_delay_alu instid0(VALU_DEP_2) | instskip(NEXT) | instid1(VALU_DEP_1)
	v_and_b32_e32 v51, 0x7f, v49
	v_cmpx_ne_u32_e32 0x7f, v51
	s_cbranch_execz .LBB265_192
; %bb.189:                              ;   in Loop: Header=BB265_13 Depth=1
	v_and_b32_e32 v47, 7, v49
	v_lshrrev_b32_e32 v50, 3, v51
	s_mov_b32 s45, exec_lo
	v_cmpx_gt_u32_e32 8, v51
; %bb.190:                              ;   in Loop: Header=BB265_13 Depth=1
	s_delay_alu instid0(VALU_DEP_3) | instskip(NEXT) | instid1(VALU_DEP_1)
	v_clz_i32_u32_e32 v47, v47
	v_min_u32_e32 v47, 32, v47
	s_delay_alu instid0(VALU_DEP_1) | instskip(NEXT) | instid1(VALU_DEP_1)
	v_subrev_nc_u32_e32 v50, 28, v47
	v_lshlrev_b64_e32 v[51:52], v50, v[1:2]
	v_sub_nc_u32_e32 v50, 29, v47
	s_delay_alu instid0(VALU_DEP_2)
	v_and_b32_e32 v47, 7, v51
; %bb.191:                              ;   in Loop: Header=BB265_13 Depth=1
	s_or_b32 exec_lo, exec_lo, s45
	v_lshlrev_b32_e32 v1, 8, v49
	s_delay_alu instid0(VALU_DEP_3) | instskip(NEXT) | instid1(VALU_DEP_3)
	v_lshl_add_u32 v49, v50, 10, 0x2000
	v_lshlrev_b32_e32 v47, 23, v47
	s_delay_alu instid0(VALU_DEP_2) | instskip(NEXT) | instid1(VALU_DEP_1)
	v_and_or_b32 v1, 0x8000, v1, v49
	v_lshl_or_b32 v47, v1, 16, v47
.LBB265_192:                            ;   in Loop: Header=BB265_13 Depth=1
	s_or_b32 exec_lo, exec_lo, s44
.LBB265_193:                            ;   in Loop: Header=BB265_13 Depth=1
	s_wait_alu 0xfffe
	s_or_b32 exec_lo, exec_lo, s43
.LBB265_194:                            ;   in Loop: Header=BB265_13 Depth=1
	s_wait_alu 0xfffe
	s_or_b32 exec_lo, exec_lo, s42
	v_lshrrev_b32_e32 v1, 16, v9
	v_mov_b32_e32 v49, 0
	s_mov_b32 s42, exec_lo
	s_delay_alu instid0(VALU_DEP_2) | instskip(NEXT) | instid1(VALU_DEP_1)
	v_dual_mov_b32 v50, 0 :: v_dual_and_b32 v51, 0xff, v1
	v_cmpx_ne_u16_e32 0, v51
	s_cbranch_execz .LBB265_202
; %bb.195:                              ;   in Loop: Header=BB265_13 Depth=1
	v_mov_b32_e32 v50, 0x8000
	s_mov_b32 s43, exec_lo
	v_cmpx_ne_u16_e32 0x80, v51
	s_cbranch_execz .LBB265_201
; %bb.196:                              ;   in Loop: Header=BB265_13 Depth=1
	v_bfe_u32 v52, v9, 16, 7
	v_mov_b32_e32 v50, 0x7c01
	s_mov_b32 s44, exec_lo
	s_delay_alu instid0(VALU_DEP_2)
	v_cmpx_ne_u32_e32 0x7f, v52
	s_cbranch_execz .LBB265_200
; %bb.197:                              ;   in Loop: Header=BB265_13 Depth=1
	v_and_b32_e32 v50, 7, v1
	v_lshrrev_b32_e32 v51, 3, v52
	s_mov_b32 s45, exec_lo
	v_cmpx_gt_u32_e32 8, v52
; %bb.198:                              ;   in Loop: Header=BB265_13 Depth=1
	s_delay_alu instid0(VALU_DEP_3) | instskip(NEXT) | instid1(VALU_DEP_1)
	v_clz_i32_u32_e32 v50, v50
	v_min_u32_e32 v52, 32, v50
	s_delay_alu instid0(VALU_DEP_1) | instskip(NEXT) | instid1(VALU_DEP_1)
	v_subrev_nc_u32_e32 v50, 28, v52
	v_lshlrev_b64_e32 v[50:51], v50, v[1:2]
	v_sub_nc_u32_e32 v51, 29, v52
	s_delay_alu instid0(VALU_DEP_2)
	v_and_b32_e32 v50, 7, v50
; %bb.199:                              ;   in Loop: Header=BB265_13 Depth=1
	s_or_b32 exec_lo, exec_lo, s45
	v_lshlrev_b32_e32 v1, 8, v1
	s_delay_alu instid0(VALU_DEP_3) | instskip(NEXT) | instid1(VALU_DEP_3)
	v_lshl_add_u32 v51, v51, 10, 0x2000
	v_lshlrev_b32_e32 v50, 7, v50
	s_delay_alu instid0(VALU_DEP_3) | instskip(NEXT) | instid1(VALU_DEP_3)
	v_and_b32_e32 v1, 0x8000, v1
	v_and_b32_e32 v51, 0xfc00, v51
	s_delay_alu instid0(VALU_DEP_1)
	v_or3_b32 v50, v1, v51, v50
.LBB265_200:                            ;   in Loop: Header=BB265_13 Depth=1
	s_or_b32 exec_lo, exec_lo, s44
.LBB265_201:                            ;   in Loop: Header=BB265_13 Depth=1
	s_wait_alu 0xfffe
	s_or_b32 exec_lo, exec_lo, s43
.LBB265_202:                            ;   in Loop: Header=BB265_13 Depth=1
	s_wait_alu 0xfffe
	s_or_b32 exec_lo, exec_lo, s42
	s_delay_alu instid0(SALU_CYCLE_1)
	s_mov_b32 s42, exec_lo
	v_cmpx_lt_u32_e32 0xffffff, v9
	s_cbranch_execz .LBB265_210
; %bb.203:                              ;   in Loop: Header=BB265_13 Depth=1
	v_lshrrev_b32_e32 v1, 24, v9
	v_bfrev_b32_e32 v49, 1
	s_mov_b32 s43, exec_lo
	s_delay_alu instid0(VALU_DEP_2)
	v_cmpx_ne_u32_e32 0x80, v1
	s_cbranch_execz .LBB265_209
; %bb.204:                              ;   in Loop: Header=BB265_13 Depth=1
	v_and_b32_e32 v51, 0x7f, v1
	v_mov_b32_e32 v49, 0x7c010000
	s_mov_b32 s44, exec_lo
	s_delay_alu instid0(VALU_DEP_2)
	v_cmpx_ne_u32_e32 0x7f, v51
	s_cbranch_execz .LBB265_208
; %bb.205:                              ;   in Loop: Header=BB265_13 Depth=1
	v_and_b32_e32 v9, 7, v1
	v_lshrrev_b32_e32 v49, 3, v51
	s_mov_b32 s45, exec_lo
	v_cmpx_gt_u32_e32 8, v51
; %bb.206:                              ;   in Loop: Header=BB265_13 Depth=1
	s_delay_alu instid0(VALU_DEP_3) | instskip(NEXT) | instid1(VALU_DEP_1)
	v_clz_i32_u32_e32 v9, v9
	v_min_u32_e32 v9, 32, v9
	s_delay_alu instid0(VALU_DEP_1) | instskip(NEXT) | instid1(VALU_DEP_1)
	v_subrev_nc_u32_e32 v49, 28, v9
	v_lshlrev_b64_e32 v[51:52], v49, v[1:2]
	v_sub_nc_u32_e32 v49, 29, v9
	s_delay_alu instid0(VALU_DEP_2)
	v_and_b32_e32 v9, 7, v51
; %bb.207:                              ;   in Loop: Header=BB265_13 Depth=1
	s_or_b32 exec_lo, exec_lo, s45
	v_lshlrev_b32_e32 v1, 8, v1
	s_delay_alu instid0(VALU_DEP_3) | instskip(NEXT) | instid1(VALU_DEP_3)
	v_lshl_add_u32 v49, v49, 10, 0x2000
	v_lshlrev_b32_e32 v9, 23, v9
	s_delay_alu instid0(VALU_DEP_2) | instskip(NEXT) | instid1(VALU_DEP_1)
	v_and_or_b32 v1, 0x8000, v1, v49
	v_lshl_or_b32 v49, v1, 16, v9
.LBB265_208:                            ;   in Loop: Header=BB265_13 Depth=1
	s_or_b32 exec_lo, exec_lo, s44
.LBB265_209:                            ;   in Loop: Header=BB265_13 Depth=1
	s_wait_alu 0xfffe
	s_or_b32 exec_lo, exec_lo, s43
.LBB265_210:                            ;   in Loop: Header=BB265_13 Depth=1
	s_wait_alu 0xfffe
	s_or_b32 exec_lo, exec_lo, s42
	global_load_b32 v9, v[7:8], off offset:768
	v_mov_b32_e32 v51, 0
	s_mov_b32 s42, exec_lo
	s_wait_loadcnt 0x0
	v_dual_mov_b32 v52, 0 :: v_dual_and_b32 v1, 0xff, v9
	s_delay_alu instid0(VALU_DEP_1)
	v_cmpx_ne_u16_e32 0, v1
	s_cbranch_execz .LBB265_218
; %bb.211:                              ;   in Loop: Header=BB265_13 Depth=1
	v_mov_b32_e32 v52, 0x8000
	s_mov_b32 s43, exec_lo
	v_cmpx_ne_u16_e32 0x80, v1
	s_cbranch_execz .LBB265_217
; %bb.212:                              ;   in Loop: Header=BB265_13 Depth=1
	v_and_b32_e32 v53, 0x7f, v9
	v_mov_b32_e32 v52, 0x7c01
	s_mov_b32 s44, exec_lo
	s_delay_alu instid0(VALU_DEP_2)
	v_cmpx_ne_u32_e32 0x7f, v53
	s_cbranch_execz .LBB265_216
; %bb.213:                              ;   in Loop: Header=BB265_13 Depth=1
	v_and_b32_e32 v1, 7, v9
	v_lshrrev_b32_e32 v52, 3, v53
	s_mov_b32 s45, exec_lo
	v_cmpx_gt_u32_e32 8, v53
; %bb.214:                              ;   in Loop: Header=BB265_13 Depth=1
	s_delay_alu instid0(VALU_DEP_3) | instskip(NEXT) | instid1(VALU_DEP_1)
	v_clz_i32_u32_e32 v1, v1
	v_min_u32_e32 v1, 32, v1
	s_delay_alu instid0(VALU_DEP_1) | instskip(NEXT) | instid1(VALU_DEP_1)
	v_subrev_nc_u32_e32 v52, 28, v1
	v_lshlrev_b64_e32 v[53:54], v52, v[9:10]
	v_sub_nc_u32_e32 v52, 29, v1
	s_delay_alu instid0(VALU_DEP_2)
	v_and_b32_e32 v1, 7, v53
; %bb.215:                              ;   in Loop: Header=BB265_13 Depth=1
	s_or_b32 exec_lo, exec_lo, s45
	v_lshlrev_b32_e32 v53, 8, v9
	s_delay_alu instid0(VALU_DEP_3) | instskip(NEXT) | instid1(VALU_DEP_3)
	v_lshl_add_u32 v52, v52, 10, 0x2000
	v_lshlrev_b32_e32 v1, 7, v1
	s_delay_alu instid0(VALU_DEP_3) | instskip(NEXT) | instid1(VALU_DEP_3)
	v_and_b32_e32 v53, 0x8000, v53
	v_and_b32_e32 v52, 0xfc00, v52
	s_delay_alu instid0(VALU_DEP_1)
	v_or3_b32 v52, v53, v52, v1
.LBB265_216:                            ;   in Loop: Header=BB265_13 Depth=1
	s_or_b32 exec_lo, exec_lo, s44
.LBB265_217:                            ;   in Loop: Header=BB265_13 Depth=1
	s_wait_alu 0xfffe
	s_or_b32 exec_lo, exec_lo, s43
.LBB265_218:                            ;   in Loop: Header=BB265_13 Depth=1
	s_wait_alu 0xfffe
	s_or_b32 exec_lo, exec_lo, s42
	v_lshrrev_b16 v1, 8, v9
	s_mov_b32 s42, exec_lo
	s_delay_alu instid0(VALU_DEP_1)
	v_cmpx_ne_u16_e32 0, v1
	s_cbranch_execz .LBB265_226
; %bb.219:                              ;   in Loop: Header=BB265_13 Depth=1
	v_bfrev_b32_e32 v51, 1
	s_mov_b32 s43, exec_lo
	v_cmpx_ne_u16_e32 0x80, v1
	s_cbranch_execz .LBB265_225
; %bb.220:                              ;   in Loop: Header=BB265_13 Depth=1
	v_and_b32_e32 v53, 0xffff, v1
	v_mov_b32_e32 v51, 0x7c010000
	s_mov_b32 s44, exec_lo
	s_delay_alu instid0(VALU_DEP_2) | instskip(NEXT) | instid1(VALU_DEP_1)
	v_and_b32_e32 v55, 0x7f, v53
	v_cmpx_ne_u32_e32 0x7f, v55
	s_cbranch_execz .LBB265_224
; %bb.221:                              ;   in Loop: Header=BB265_13 Depth=1
	v_and_b32_e32 v51, 7, v53
	v_lshrrev_b32_e32 v54, 3, v55
	s_mov_b32 s45, exec_lo
	v_cmpx_gt_u32_e32 8, v55
; %bb.222:                              ;   in Loop: Header=BB265_13 Depth=1
	s_delay_alu instid0(VALU_DEP_3) | instskip(NEXT) | instid1(VALU_DEP_1)
	v_clz_i32_u32_e32 v51, v51
	v_min_u32_e32 v51, 32, v51
	s_delay_alu instid0(VALU_DEP_1) | instskip(NEXT) | instid1(VALU_DEP_1)
	v_subrev_nc_u32_e32 v54, 28, v51
	v_lshlrev_b64_e32 v[55:56], v54, v[1:2]
	v_sub_nc_u32_e32 v54, 29, v51
	s_delay_alu instid0(VALU_DEP_2)
	v_and_b32_e32 v51, 7, v55
; %bb.223:                              ;   in Loop: Header=BB265_13 Depth=1
	s_or_b32 exec_lo, exec_lo, s45
	v_lshlrev_b32_e32 v1, 8, v53
	s_delay_alu instid0(VALU_DEP_3) | instskip(NEXT) | instid1(VALU_DEP_3)
	v_lshl_add_u32 v53, v54, 10, 0x2000
	v_lshlrev_b32_e32 v51, 23, v51
	s_delay_alu instid0(VALU_DEP_2) | instskip(NEXT) | instid1(VALU_DEP_1)
	v_and_or_b32 v1, 0x8000, v1, v53
	v_lshl_or_b32 v51, v1, 16, v51
.LBB265_224:                            ;   in Loop: Header=BB265_13 Depth=1
	s_or_b32 exec_lo, exec_lo, s44
.LBB265_225:                            ;   in Loop: Header=BB265_13 Depth=1
	s_wait_alu 0xfffe
	s_or_b32 exec_lo, exec_lo, s43
.LBB265_226:                            ;   in Loop: Header=BB265_13 Depth=1
	s_wait_alu 0xfffe
	s_or_b32 exec_lo, exec_lo, s42
	v_lshrrev_b32_e32 v1, 16, v9
	v_mov_b32_e32 v55, 0
	s_mov_b32 s42, exec_lo
	s_delay_alu instid0(VALU_DEP_2) | instskip(NEXT) | instid1(VALU_DEP_1)
	v_dual_mov_b32 v56, 0 :: v_dual_and_b32 v53, 0xff, v1
	v_cmpx_ne_u16_e32 0, v53
	s_cbranch_execz .LBB265_234
; %bb.227:                              ;   in Loop: Header=BB265_13 Depth=1
	v_mov_b32_e32 v56, 0x8000
	s_mov_b32 s43, exec_lo
	v_cmpx_ne_u16_e32 0x80, v53
	s_cbranch_execz .LBB265_233
; %bb.228:                              ;   in Loop: Header=BB265_13 Depth=1
	v_bfe_u32 v57, v9, 16, 7
	v_mov_b32_e32 v56, 0x7c01
	s_mov_b32 s44, exec_lo
	s_delay_alu instid0(VALU_DEP_2)
	v_cmpx_ne_u32_e32 0x7f, v57
	s_cbranch_execz .LBB265_232
; %bb.229:                              ;   in Loop: Header=BB265_13 Depth=1
	v_and_b32_e32 v53, 7, v1
	v_lshrrev_b32_e32 v54, 3, v57
	s_mov_b32 s45, exec_lo
	v_cmpx_gt_u32_e32 8, v57
; %bb.230:                              ;   in Loop: Header=BB265_13 Depth=1
	s_delay_alu instid0(VALU_DEP_3) | instskip(NEXT) | instid1(VALU_DEP_1)
	v_clz_i32_u32_e32 v53, v53
	v_min_u32_e32 v56, 32, v53
	s_delay_alu instid0(VALU_DEP_1) | instskip(NEXT) | instid1(VALU_DEP_1)
	v_subrev_nc_u32_e32 v53, 28, v56
	v_lshlrev_b64_e32 v[53:54], v53, v[1:2]
	v_sub_nc_u32_e32 v54, 29, v56
	s_delay_alu instid0(VALU_DEP_2)
	v_and_b32_e32 v53, 7, v53
; %bb.231:                              ;   in Loop: Header=BB265_13 Depth=1
	s_or_b32 exec_lo, exec_lo, s45
	v_lshlrev_b32_e32 v1, 8, v1
	s_delay_alu instid0(VALU_DEP_3) | instskip(NEXT) | instid1(VALU_DEP_3)
	v_lshl_add_u32 v54, v54, 10, 0x2000
	v_lshlrev_b32_e32 v53, 7, v53
	s_delay_alu instid0(VALU_DEP_3) | instskip(NEXT) | instid1(VALU_DEP_3)
	v_and_b32_e32 v1, 0x8000, v1
	v_and_b32_e32 v54, 0xfc00, v54
	s_delay_alu instid0(VALU_DEP_1)
	v_or3_b32 v56, v1, v54, v53
.LBB265_232:                            ;   in Loop: Header=BB265_13 Depth=1
	s_or_b32 exec_lo, exec_lo, s44
.LBB265_233:                            ;   in Loop: Header=BB265_13 Depth=1
	s_wait_alu 0xfffe
	s_or_b32 exec_lo, exec_lo, s43
.LBB265_234:                            ;   in Loop: Header=BB265_13 Depth=1
	s_wait_alu 0xfffe
	s_or_b32 exec_lo, exec_lo, s42
	s_delay_alu instid0(SALU_CYCLE_1)
	s_mov_b32 s42, exec_lo
	v_cmpx_lt_u32_e32 0xffffff, v9
	s_cbranch_execz .LBB265_242
; %bb.235:                              ;   in Loop: Header=BB265_13 Depth=1
	v_lshrrev_b32_e32 v1, 24, v9
	v_bfrev_b32_e32 v55, 1
	s_mov_b32 s43, exec_lo
	s_delay_alu instid0(VALU_DEP_2)
	v_cmpx_ne_u32_e32 0x80, v1
	s_cbranch_execz .LBB265_241
; %bb.236:                              ;   in Loop: Header=BB265_13 Depth=1
	v_and_b32_e32 v54, 0x7f, v1
	v_mov_b32_e32 v55, 0x7c010000
	s_mov_b32 s44, exec_lo
	s_delay_alu instid0(VALU_DEP_2)
	v_cmpx_ne_u32_e32 0x7f, v54
	s_cbranch_execz .LBB265_240
; %bb.237:                              ;   in Loop: Header=BB265_13 Depth=1
	v_and_b32_e32 v9, 7, v1
	v_lshrrev_b32_e32 v53, 3, v54
	s_mov_b32 s45, exec_lo
	v_cmpx_gt_u32_e32 8, v54
; %bb.238:                              ;   in Loop: Header=BB265_13 Depth=1
	s_delay_alu instid0(VALU_DEP_3) | instskip(NEXT) | instid1(VALU_DEP_1)
	v_clz_i32_u32_e32 v9, v9
	v_min_u32_e32 v9, 32, v9
	s_delay_alu instid0(VALU_DEP_1) | instskip(NEXT) | instid1(VALU_DEP_1)
	v_subrev_nc_u32_e32 v53, 28, v9
	v_lshlrev_b64_e32 v[54:55], v53, v[1:2]
	v_sub_nc_u32_e32 v53, 29, v9
	s_delay_alu instid0(VALU_DEP_2)
	v_and_b32_e32 v9, 7, v54
; %bb.239:                              ;   in Loop: Header=BB265_13 Depth=1
	s_or_b32 exec_lo, exec_lo, s45
	v_lshlrev_b32_e32 v1, 8, v1
	s_delay_alu instid0(VALU_DEP_3) | instskip(NEXT) | instid1(VALU_DEP_3)
	v_lshl_add_u32 v53, v53, 10, 0x2000
	v_lshlrev_b32_e32 v9, 23, v9
	s_delay_alu instid0(VALU_DEP_2) | instskip(NEXT) | instid1(VALU_DEP_1)
	v_and_or_b32 v1, 0x8000, v1, v53
	v_lshl_or_b32 v55, v1, 16, v9
.LBB265_240:                            ;   in Loop: Header=BB265_13 Depth=1
	s_or_b32 exec_lo, exec_lo, s44
.LBB265_241:                            ;   in Loop: Header=BB265_13 Depth=1
	s_wait_alu 0xfffe
	s_or_b32 exec_lo, exec_lo, s43
.LBB265_242:                            ;   in Loop: Header=BB265_13 Depth=1
	s_wait_alu 0xfffe
	s_or_b32 exec_lo, exec_lo, s42
	global_load_b32 v9, v[7:8], off offset:776
	v_mov_b32_e32 v53, 0
	s_mov_b32 s42, exec_lo
	s_wait_loadcnt 0x0
	v_dual_mov_b32 v54, 0 :: v_dual_and_b32 v1, 0xff, v9
	s_delay_alu instid0(VALU_DEP_1)
	v_cmpx_ne_u16_e32 0, v1
	s_cbranch_execz .LBB265_250
; %bb.243:                              ;   in Loop: Header=BB265_13 Depth=1
	v_mov_b32_e32 v54, 0x8000
	s_mov_b32 s43, exec_lo
	v_cmpx_ne_u16_e32 0x80, v1
	s_cbranch_execz .LBB265_249
; %bb.244:                              ;   in Loop: Header=BB265_13 Depth=1
	v_and_b32_e32 v57, 0x7f, v9
	v_mov_b32_e32 v54, 0x7c01
	s_mov_b32 s44, exec_lo
	s_delay_alu instid0(VALU_DEP_2)
	v_cmpx_ne_u32_e32 0x7f, v57
	s_cbranch_execz .LBB265_248
; %bb.245:                              ;   in Loop: Header=BB265_13 Depth=1
	v_and_b32_e32 v1, 7, v9
	v_lshrrev_b32_e32 v54, 3, v57
	s_mov_b32 s45, exec_lo
	v_cmpx_gt_u32_e32 8, v57
; %bb.246:                              ;   in Loop: Header=BB265_13 Depth=1
	s_delay_alu instid0(VALU_DEP_3) | instskip(NEXT) | instid1(VALU_DEP_1)
	v_clz_i32_u32_e32 v1, v1
	v_min_u32_e32 v1, 32, v1
	s_delay_alu instid0(VALU_DEP_1) | instskip(NEXT) | instid1(VALU_DEP_1)
	v_subrev_nc_u32_e32 v54, 28, v1
	v_lshlrev_b64_e32 v[57:58], v54, v[9:10]
	v_sub_nc_u32_e32 v54, 29, v1
	s_delay_alu instid0(VALU_DEP_2)
	v_and_b32_e32 v1, 7, v57
; %bb.247:                              ;   in Loop: Header=BB265_13 Depth=1
	s_or_b32 exec_lo, exec_lo, s45
	v_lshlrev_b32_e32 v57, 8, v9
	s_delay_alu instid0(VALU_DEP_3) | instskip(NEXT) | instid1(VALU_DEP_3)
	v_lshl_add_u32 v54, v54, 10, 0x2000
	v_lshlrev_b32_e32 v1, 7, v1
	s_delay_alu instid0(VALU_DEP_3) | instskip(NEXT) | instid1(VALU_DEP_3)
	v_and_b32_e32 v57, 0x8000, v57
	v_and_b32_e32 v54, 0xfc00, v54
	s_delay_alu instid0(VALU_DEP_1)
	v_or3_b32 v54, v57, v54, v1
.LBB265_248:                            ;   in Loop: Header=BB265_13 Depth=1
	s_or_b32 exec_lo, exec_lo, s44
.LBB265_249:                            ;   in Loop: Header=BB265_13 Depth=1
	s_wait_alu 0xfffe
	s_or_b32 exec_lo, exec_lo, s43
.LBB265_250:                            ;   in Loop: Header=BB265_13 Depth=1
	s_wait_alu 0xfffe
	s_or_b32 exec_lo, exec_lo, s42
	v_lshrrev_b16 v1, 8, v9
	s_mov_b32 s42, exec_lo
	s_delay_alu instid0(VALU_DEP_1)
	v_cmpx_ne_u16_e32 0, v1
	s_cbranch_execz .LBB265_258
; %bb.251:                              ;   in Loop: Header=BB265_13 Depth=1
	v_bfrev_b32_e32 v53, 1
	s_mov_b32 s43, exec_lo
	v_cmpx_ne_u16_e32 0x80, v1
	s_cbranch_execz .LBB265_257
; %bb.252:                              ;   in Loop: Header=BB265_13 Depth=1
	v_and_b32_e32 v57, 0xffff, v1
	v_mov_b32_e32 v53, 0x7c010000
	s_mov_b32 s44, exec_lo
	s_delay_alu instid0(VALU_DEP_2) | instskip(NEXT) | instid1(VALU_DEP_1)
	v_and_b32_e32 v59, 0x7f, v57
	v_cmpx_ne_u32_e32 0x7f, v59
	s_cbranch_execz .LBB265_256
; %bb.253:                              ;   in Loop: Header=BB265_13 Depth=1
	v_and_b32_e32 v53, 7, v57
	v_lshrrev_b32_e32 v58, 3, v59
	s_mov_b32 s45, exec_lo
	v_cmpx_gt_u32_e32 8, v59
; %bb.254:                              ;   in Loop: Header=BB265_13 Depth=1
	s_delay_alu instid0(VALU_DEP_3) | instskip(NEXT) | instid1(VALU_DEP_1)
	v_clz_i32_u32_e32 v53, v53
	v_min_u32_e32 v53, 32, v53
	s_delay_alu instid0(VALU_DEP_1) | instskip(NEXT) | instid1(VALU_DEP_1)
	v_subrev_nc_u32_e32 v58, 28, v53
	v_lshlrev_b64_e32 v[59:60], v58, v[1:2]
	v_sub_nc_u32_e32 v58, 29, v53
	s_delay_alu instid0(VALU_DEP_2)
	v_and_b32_e32 v53, 7, v59
; %bb.255:                              ;   in Loop: Header=BB265_13 Depth=1
	s_or_b32 exec_lo, exec_lo, s45
	v_lshlrev_b32_e32 v1, 8, v57
	s_delay_alu instid0(VALU_DEP_3) | instskip(NEXT) | instid1(VALU_DEP_3)
	v_lshl_add_u32 v57, v58, 10, 0x2000
	v_lshlrev_b32_e32 v53, 23, v53
	s_delay_alu instid0(VALU_DEP_2) | instskip(NEXT) | instid1(VALU_DEP_1)
	v_and_or_b32 v1, 0x8000, v1, v57
	v_lshl_or_b32 v53, v1, 16, v53
.LBB265_256:                            ;   in Loop: Header=BB265_13 Depth=1
	s_or_b32 exec_lo, exec_lo, s44
.LBB265_257:                            ;   in Loop: Header=BB265_13 Depth=1
	s_wait_alu 0xfffe
	s_or_b32 exec_lo, exec_lo, s43
.LBB265_258:                            ;   in Loop: Header=BB265_13 Depth=1
	s_wait_alu 0xfffe
	s_or_b32 exec_lo, exec_lo, s42
	v_lshrrev_b32_e32 v1, 16, v9
	v_mov_b32_e32 v57, 0
	s_mov_b32 s42, exec_lo
	s_delay_alu instid0(VALU_DEP_2) | instskip(NEXT) | instid1(VALU_DEP_1)
	v_dual_mov_b32 v58, 0 :: v_dual_and_b32 v59, 0xff, v1
	v_cmpx_ne_u16_e32 0, v59
	s_cbranch_execz .LBB265_266
; %bb.259:                              ;   in Loop: Header=BB265_13 Depth=1
	v_mov_b32_e32 v58, 0x8000
	s_mov_b32 s43, exec_lo
	v_cmpx_ne_u16_e32 0x80, v59
	s_cbranch_execz .LBB265_265
; %bb.260:                              ;   in Loop: Header=BB265_13 Depth=1
	v_bfe_u32 v60, v9, 16, 7
	v_mov_b32_e32 v58, 0x7c01
	s_mov_b32 s44, exec_lo
	s_delay_alu instid0(VALU_DEP_2)
	v_cmpx_ne_u32_e32 0x7f, v60
	s_cbranch_execz .LBB265_264
; %bb.261:                              ;   in Loop: Header=BB265_13 Depth=1
	v_and_b32_e32 v58, 7, v1
	v_lshrrev_b32_e32 v59, 3, v60
	s_mov_b32 s45, exec_lo
	v_cmpx_gt_u32_e32 8, v60
; %bb.262:                              ;   in Loop: Header=BB265_13 Depth=1
	s_delay_alu instid0(VALU_DEP_3) | instskip(NEXT) | instid1(VALU_DEP_1)
	v_clz_i32_u32_e32 v58, v58
	v_min_u32_e32 v60, 32, v58
	s_delay_alu instid0(VALU_DEP_1) | instskip(NEXT) | instid1(VALU_DEP_1)
	v_subrev_nc_u32_e32 v58, 28, v60
	v_lshlrev_b64_e32 v[58:59], v58, v[1:2]
	v_sub_nc_u32_e32 v59, 29, v60
	s_delay_alu instid0(VALU_DEP_2)
	v_and_b32_e32 v58, 7, v58
; %bb.263:                              ;   in Loop: Header=BB265_13 Depth=1
	s_or_b32 exec_lo, exec_lo, s45
	v_lshlrev_b32_e32 v1, 8, v1
	s_delay_alu instid0(VALU_DEP_3) | instskip(NEXT) | instid1(VALU_DEP_3)
	v_lshl_add_u32 v59, v59, 10, 0x2000
	v_lshlrev_b32_e32 v58, 7, v58
	s_delay_alu instid0(VALU_DEP_3) | instskip(NEXT) | instid1(VALU_DEP_3)
	v_and_b32_e32 v1, 0x8000, v1
	v_and_b32_e32 v59, 0xfc00, v59
	s_delay_alu instid0(VALU_DEP_1)
	v_or3_b32 v58, v1, v59, v58
.LBB265_264:                            ;   in Loop: Header=BB265_13 Depth=1
	s_or_b32 exec_lo, exec_lo, s44
.LBB265_265:                            ;   in Loop: Header=BB265_13 Depth=1
	s_wait_alu 0xfffe
	s_or_b32 exec_lo, exec_lo, s43
.LBB265_266:                            ;   in Loop: Header=BB265_13 Depth=1
	s_wait_alu 0xfffe
	s_or_b32 exec_lo, exec_lo, s42
	s_delay_alu instid0(SALU_CYCLE_1)
	s_mov_b32 s42, exec_lo
	v_cmpx_lt_u32_e32 0xffffff, v9
	s_cbranch_execz .LBB265_274
; %bb.267:                              ;   in Loop: Header=BB265_13 Depth=1
	v_lshrrev_b32_e32 v1, 24, v9
	v_bfrev_b32_e32 v57, 1
	s_mov_b32 s43, exec_lo
	s_delay_alu instid0(VALU_DEP_2)
	v_cmpx_ne_u32_e32 0x80, v1
	s_cbranch_execz .LBB265_273
; %bb.268:                              ;   in Loop: Header=BB265_13 Depth=1
	v_and_b32_e32 v59, 0x7f, v1
	v_mov_b32_e32 v57, 0x7c010000
	s_mov_b32 s44, exec_lo
	s_delay_alu instid0(VALU_DEP_2)
	v_cmpx_ne_u32_e32 0x7f, v59
	s_cbranch_execz .LBB265_272
; %bb.269:                              ;   in Loop: Header=BB265_13 Depth=1
	v_and_b32_e32 v9, 7, v1
	v_lshrrev_b32_e32 v57, 3, v59
	s_mov_b32 s45, exec_lo
	v_cmpx_gt_u32_e32 8, v59
; %bb.270:                              ;   in Loop: Header=BB265_13 Depth=1
	s_delay_alu instid0(VALU_DEP_3) | instskip(NEXT) | instid1(VALU_DEP_1)
	v_clz_i32_u32_e32 v9, v9
	v_min_u32_e32 v9, 32, v9
	s_delay_alu instid0(VALU_DEP_1) | instskip(NEXT) | instid1(VALU_DEP_1)
	v_subrev_nc_u32_e32 v57, 28, v9
	v_lshlrev_b64_e32 v[59:60], v57, v[1:2]
	v_sub_nc_u32_e32 v57, 29, v9
	s_delay_alu instid0(VALU_DEP_2)
	v_and_b32_e32 v9, 7, v59
; %bb.271:                              ;   in Loop: Header=BB265_13 Depth=1
	s_or_b32 exec_lo, exec_lo, s45
	v_lshlrev_b32_e32 v1, 8, v1
	s_delay_alu instid0(VALU_DEP_3) | instskip(NEXT) | instid1(VALU_DEP_3)
	v_lshl_add_u32 v57, v57, 10, 0x2000
	v_lshlrev_b32_e32 v9, 23, v9
	s_delay_alu instid0(VALU_DEP_2) | instskip(NEXT) | instid1(VALU_DEP_1)
	v_and_or_b32 v1, 0x8000, v1, v57
	v_lshl_or_b32 v57, v1, 16, v9
.LBB265_272:                            ;   in Loop: Header=BB265_13 Depth=1
	s_or_b32 exec_lo, exec_lo, s44
.LBB265_273:                            ;   in Loop: Header=BB265_13 Depth=1
	s_wait_alu 0xfffe
	s_or_b32 exec_lo, exec_lo, s43
.LBB265_274:                            ;   in Loop: Header=BB265_13 Depth=1
	s_wait_alu 0xfffe
	s_or_b32 exec_lo, exec_lo, s42
	global_load_b32 v9, v[7:8], off offset:1024
	v_mov_b32_e32 v59, 0
	s_mov_b32 s42, exec_lo
	s_wait_loadcnt 0x0
	v_dual_mov_b32 v60, 0 :: v_dual_and_b32 v1, 0xff, v9
	s_delay_alu instid0(VALU_DEP_1)
	v_cmpx_ne_u16_e32 0, v1
	s_cbranch_execz .LBB265_282
; %bb.275:                              ;   in Loop: Header=BB265_13 Depth=1
	v_mov_b32_e32 v60, 0x8000
	s_mov_b32 s43, exec_lo
	v_cmpx_ne_u16_e32 0x80, v1
	s_cbranch_execz .LBB265_281
; %bb.276:                              ;   in Loop: Header=BB265_13 Depth=1
	v_and_b32_e32 v61, 0x7f, v9
	v_mov_b32_e32 v60, 0x7c01
	s_mov_b32 s44, exec_lo
	s_delay_alu instid0(VALU_DEP_2)
	v_cmpx_ne_u32_e32 0x7f, v61
	s_cbranch_execz .LBB265_280
; %bb.277:                              ;   in Loop: Header=BB265_13 Depth=1
	v_and_b32_e32 v1, 7, v9
	v_lshrrev_b32_e32 v60, 3, v61
	s_mov_b32 s45, exec_lo
	v_cmpx_gt_u32_e32 8, v61
; %bb.278:                              ;   in Loop: Header=BB265_13 Depth=1
	s_delay_alu instid0(VALU_DEP_3) | instskip(NEXT) | instid1(VALU_DEP_1)
	v_clz_i32_u32_e32 v1, v1
	v_min_u32_e32 v1, 32, v1
	s_delay_alu instid0(VALU_DEP_1) | instskip(NEXT) | instid1(VALU_DEP_1)
	v_subrev_nc_u32_e32 v60, 28, v1
	v_lshlrev_b64_e32 v[61:62], v60, v[9:10]
	v_sub_nc_u32_e32 v60, 29, v1
	s_delay_alu instid0(VALU_DEP_2)
	v_and_b32_e32 v1, 7, v61
; %bb.279:                              ;   in Loop: Header=BB265_13 Depth=1
	s_or_b32 exec_lo, exec_lo, s45
	v_lshlrev_b32_e32 v61, 8, v9
	s_delay_alu instid0(VALU_DEP_3) | instskip(NEXT) | instid1(VALU_DEP_3)
	v_lshl_add_u32 v60, v60, 10, 0x2000
	v_lshlrev_b32_e32 v1, 7, v1
	s_delay_alu instid0(VALU_DEP_3) | instskip(NEXT) | instid1(VALU_DEP_3)
	v_and_b32_e32 v61, 0x8000, v61
	v_and_b32_e32 v60, 0xfc00, v60
	s_delay_alu instid0(VALU_DEP_1)
	v_or3_b32 v60, v61, v60, v1
.LBB265_280:                            ;   in Loop: Header=BB265_13 Depth=1
	s_or_b32 exec_lo, exec_lo, s44
.LBB265_281:                            ;   in Loop: Header=BB265_13 Depth=1
	s_wait_alu 0xfffe
	s_or_b32 exec_lo, exec_lo, s43
.LBB265_282:                            ;   in Loop: Header=BB265_13 Depth=1
	s_wait_alu 0xfffe
	s_or_b32 exec_lo, exec_lo, s42
	v_lshrrev_b16 v1, 8, v9
	s_mov_b32 s42, exec_lo
	s_delay_alu instid0(VALU_DEP_1)
	v_cmpx_ne_u16_e32 0, v1
	s_cbranch_execz .LBB265_290
; %bb.283:                              ;   in Loop: Header=BB265_13 Depth=1
	v_bfrev_b32_e32 v59, 1
	s_mov_b32 s43, exec_lo
	v_cmpx_ne_u16_e32 0x80, v1
	s_cbranch_execz .LBB265_289
; %bb.284:                              ;   in Loop: Header=BB265_13 Depth=1
	v_and_b32_e32 v61, 0xffff, v1
	v_mov_b32_e32 v59, 0x7c010000
	s_mov_b32 s44, exec_lo
	s_delay_alu instid0(VALU_DEP_2) | instskip(NEXT) | instid1(VALU_DEP_1)
	v_and_b32_e32 v63, 0x7f, v61
	v_cmpx_ne_u32_e32 0x7f, v63
	s_cbranch_execz .LBB265_288
; %bb.285:                              ;   in Loop: Header=BB265_13 Depth=1
	v_and_b32_e32 v59, 7, v61
	v_lshrrev_b32_e32 v62, 3, v63
	s_mov_b32 s45, exec_lo
	v_cmpx_gt_u32_e32 8, v63
; %bb.286:                              ;   in Loop: Header=BB265_13 Depth=1
	s_delay_alu instid0(VALU_DEP_3) | instskip(NEXT) | instid1(VALU_DEP_1)
	v_clz_i32_u32_e32 v59, v59
	v_min_u32_e32 v59, 32, v59
	s_delay_alu instid0(VALU_DEP_1) | instskip(NEXT) | instid1(VALU_DEP_1)
	v_subrev_nc_u32_e32 v62, 28, v59
	v_lshlrev_b64_e32 v[63:64], v62, v[1:2]
	v_sub_nc_u32_e32 v62, 29, v59
	s_delay_alu instid0(VALU_DEP_2)
	v_and_b32_e32 v59, 7, v63
; %bb.287:                              ;   in Loop: Header=BB265_13 Depth=1
	s_or_b32 exec_lo, exec_lo, s45
	v_lshlrev_b32_e32 v1, 8, v61
	s_delay_alu instid0(VALU_DEP_3) | instskip(NEXT) | instid1(VALU_DEP_3)
	v_lshl_add_u32 v61, v62, 10, 0x2000
	v_lshlrev_b32_e32 v59, 23, v59
	s_delay_alu instid0(VALU_DEP_2) | instskip(NEXT) | instid1(VALU_DEP_1)
	v_and_or_b32 v1, 0x8000, v1, v61
	v_lshl_or_b32 v59, v1, 16, v59
.LBB265_288:                            ;   in Loop: Header=BB265_13 Depth=1
	s_or_b32 exec_lo, exec_lo, s44
.LBB265_289:                            ;   in Loop: Header=BB265_13 Depth=1
	s_wait_alu 0xfffe
	s_or_b32 exec_lo, exec_lo, s43
.LBB265_290:                            ;   in Loop: Header=BB265_13 Depth=1
	s_wait_alu 0xfffe
	s_or_b32 exec_lo, exec_lo, s42
	v_lshrrev_b32_e32 v1, 16, v9
	v_mov_b32_e32 v61, 0
	s_mov_b32 s42, exec_lo
	s_delay_alu instid0(VALU_DEP_2) | instskip(NEXT) | instid1(VALU_DEP_1)
	v_dual_mov_b32 v62, 0 :: v_dual_and_b32 v63, 0xff, v1
	v_cmpx_ne_u16_e32 0, v63
	s_cbranch_execz .LBB265_298
; %bb.291:                              ;   in Loop: Header=BB265_13 Depth=1
	v_mov_b32_e32 v62, 0x8000
	s_mov_b32 s43, exec_lo
	v_cmpx_ne_u16_e32 0x80, v63
	s_cbranch_execz .LBB265_297
; %bb.292:                              ;   in Loop: Header=BB265_13 Depth=1
	v_bfe_u32 v64, v9, 16, 7
	v_mov_b32_e32 v62, 0x7c01
	s_mov_b32 s44, exec_lo
	s_delay_alu instid0(VALU_DEP_2)
	v_cmpx_ne_u32_e32 0x7f, v64
	s_cbranch_execz .LBB265_296
; %bb.293:                              ;   in Loop: Header=BB265_13 Depth=1
	v_and_b32_e32 v62, 7, v1
	v_lshrrev_b32_e32 v63, 3, v64
	s_mov_b32 s45, exec_lo
	v_cmpx_gt_u32_e32 8, v64
; %bb.294:                              ;   in Loop: Header=BB265_13 Depth=1
	s_delay_alu instid0(VALU_DEP_3) | instskip(NEXT) | instid1(VALU_DEP_1)
	v_clz_i32_u32_e32 v62, v62
	v_min_u32_e32 v64, 32, v62
	s_delay_alu instid0(VALU_DEP_1) | instskip(NEXT) | instid1(VALU_DEP_1)
	v_subrev_nc_u32_e32 v62, 28, v64
	v_lshlrev_b64_e32 v[62:63], v62, v[1:2]
	v_sub_nc_u32_e32 v63, 29, v64
	s_delay_alu instid0(VALU_DEP_2)
	v_and_b32_e32 v62, 7, v62
; %bb.295:                              ;   in Loop: Header=BB265_13 Depth=1
	s_or_b32 exec_lo, exec_lo, s45
	v_lshlrev_b32_e32 v1, 8, v1
	s_delay_alu instid0(VALU_DEP_3) | instskip(NEXT) | instid1(VALU_DEP_3)
	v_lshl_add_u32 v63, v63, 10, 0x2000
	v_lshlrev_b32_e32 v62, 7, v62
	s_delay_alu instid0(VALU_DEP_3) | instskip(NEXT) | instid1(VALU_DEP_3)
	v_and_b32_e32 v1, 0x8000, v1
	v_and_b32_e32 v63, 0xfc00, v63
	s_delay_alu instid0(VALU_DEP_1)
	v_or3_b32 v62, v1, v63, v62
.LBB265_296:                            ;   in Loop: Header=BB265_13 Depth=1
	s_or_b32 exec_lo, exec_lo, s44
.LBB265_297:                            ;   in Loop: Header=BB265_13 Depth=1
	s_wait_alu 0xfffe
	s_or_b32 exec_lo, exec_lo, s43
.LBB265_298:                            ;   in Loop: Header=BB265_13 Depth=1
	s_wait_alu 0xfffe
	s_or_b32 exec_lo, exec_lo, s42
	s_delay_alu instid0(SALU_CYCLE_1)
	s_mov_b32 s42, exec_lo
	v_cmpx_lt_u32_e32 0xffffff, v9
	s_cbranch_execz .LBB265_306
; %bb.299:                              ;   in Loop: Header=BB265_13 Depth=1
	v_lshrrev_b32_e32 v1, 24, v9
	v_bfrev_b32_e32 v61, 1
	s_mov_b32 s43, exec_lo
	s_delay_alu instid0(VALU_DEP_2)
	v_cmpx_ne_u32_e32 0x80, v1
	s_cbranch_execz .LBB265_305
; %bb.300:                              ;   in Loop: Header=BB265_13 Depth=1
	v_and_b32_e32 v63, 0x7f, v1
	v_mov_b32_e32 v61, 0x7c010000
	s_mov_b32 s44, exec_lo
	s_delay_alu instid0(VALU_DEP_2)
	v_cmpx_ne_u32_e32 0x7f, v63
	s_cbranch_execz .LBB265_304
; %bb.301:                              ;   in Loop: Header=BB265_13 Depth=1
	v_and_b32_e32 v9, 7, v1
	v_lshrrev_b32_e32 v61, 3, v63
	s_mov_b32 s45, exec_lo
	v_cmpx_gt_u32_e32 8, v63
; %bb.302:                              ;   in Loop: Header=BB265_13 Depth=1
	s_delay_alu instid0(VALU_DEP_3) | instskip(NEXT) | instid1(VALU_DEP_1)
	v_clz_i32_u32_e32 v9, v9
	v_min_u32_e32 v9, 32, v9
	s_delay_alu instid0(VALU_DEP_1) | instskip(NEXT) | instid1(VALU_DEP_1)
	v_subrev_nc_u32_e32 v61, 28, v9
	v_lshlrev_b64_e32 v[63:64], v61, v[1:2]
	v_sub_nc_u32_e32 v61, 29, v9
	s_delay_alu instid0(VALU_DEP_2)
	v_and_b32_e32 v9, 7, v63
; %bb.303:                              ;   in Loop: Header=BB265_13 Depth=1
	s_or_b32 exec_lo, exec_lo, s45
	v_lshlrev_b32_e32 v1, 8, v1
	s_delay_alu instid0(VALU_DEP_3) | instskip(NEXT) | instid1(VALU_DEP_3)
	v_lshl_add_u32 v61, v61, 10, 0x2000
	v_lshlrev_b32_e32 v9, 23, v9
	s_delay_alu instid0(VALU_DEP_2) | instskip(NEXT) | instid1(VALU_DEP_1)
	v_and_or_b32 v1, 0x8000, v1, v61
	v_lshl_or_b32 v61, v1, 16, v9
.LBB265_304:                            ;   in Loop: Header=BB265_13 Depth=1
	s_or_b32 exec_lo, exec_lo, s44
.LBB265_305:                            ;   in Loop: Header=BB265_13 Depth=1
	s_wait_alu 0xfffe
	s_or_b32 exec_lo, exec_lo, s43
.LBB265_306:                            ;   in Loop: Header=BB265_13 Depth=1
	s_wait_alu 0xfffe
	s_or_b32 exec_lo, exec_lo, s42
	global_load_b32 v9, v[7:8], off offset:1032
	v_mov_b32_e32 v63, 0
	s_mov_b32 s42, exec_lo
	s_wait_loadcnt 0x0
	v_dual_mov_b32 v64, 0 :: v_dual_and_b32 v1, 0xff, v9
	s_delay_alu instid0(VALU_DEP_1)
	v_cmpx_ne_u16_e32 0, v1
	s_cbranch_execz .LBB265_314
; %bb.307:                              ;   in Loop: Header=BB265_13 Depth=1
	v_mov_b32_e32 v64, 0x8000
	s_mov_b32 s43, exec_lo
	v_cmpx_ne_u16_e32 0x80, v1
	s_cbranch_execz .LBB265_313
; %bb.308:                              ;   in Loop: Header=BB265_13 Depth=1
	v_and_b32_e32 v65, 0x7f, v9
	v_mov_b32_e32 v64, 0x7c01
	s_mov_b32 s44, exec_lo
	s_delay_alu instid0(VALU_DEP_2)
	v_cmpx_ne_u32_e32 0x7f, v65
	s_cbranch_execz .LBB265_312
; %bb.309:                              ;   in Loop: Header=BB265_13 Depth=1
	v_and_b32_e32 v1, 7, v9
	v_lshrrev_b32_e32 v64, 3, v65
	s_mov_b32 s45, exec_lo
	v_cmpx_gt_u32_e32 8, v65
; %bb.310:                              ;   in Loop: Header=BB265_13 Depth=1
	s_delay_alu instid0(VALU_DEP_3) | instskip(NEXT) | instid1(VALU_DEP_1)
	v_clz_i32_u32_e32 v1, v1
	v_min_u32_e32 v1, 32, v1
	s_delay_alu instid0(VALU_DEP_1) | instskip(NEXT) | instid1(VALU_DEP_1)
	v_subrev_nc_u32_e32 v64, 28, v1
	v_lshlrev_b64_e32 v[65:66], v64, v[9:10]
	v_sub_nc_u32_e32 v64, 29, v1
	s_delay_alu instid0(VALU_DEP_2)
	v_and_b32_e32 v1, 7, v65
; %bb.311:                              ;   in Loop: Header=BB265_13 Depth=1
	s_or_b32 exec_lo, exec_lo, s45
	v_lshlrev_b32_e32 v65, 8, v9
	s_delay_alu instid0(VALU_DEP_3) | instskip(NEXT) | instid1(VALU_DEP_3)
	v_lshl_add_u32 v64, v64, 10, 0x2000
	v_lshlrev_b32_e32 v1, 7, v1
	s_delay_alu instid0(VALU_DEP_3) | instskip(NEXT) | instid1(VALU_DEP_3)
	v_and_b32_e32 v65, 0x8000, v65
	v_and_b32_e32 v64, 0xfc00, v64
	s_delay_alu instid0(VALU_DEP_1)
	v_or3_b32 v64, v65, v64, v1
.LBB265_312:                            ;   in Loop: Header=BB265_13 Depth=1
	s_or_b32 exec_lo, exec_lo, s44
.LBB265_313:                            ;   in Loop: Header=BB265_13 Depth=1
	s_wait_alu 0xfffe
	s_or_b32 exec_lo, exec_lo, s43
.LBB265_314:                            ;   in Loop: Header=BB265_13 Depth=1
	s_wait_alu 0xfffe
	s_or_b32 exec_lo, exec_lo, s42
	v_lshrrev_b16 v1, 8, v9
	s_mov_b32 s42, exec_lo
	s_delay_alu instid0(VALU_DEP_1)
	v_cmpx_ne_u16_e32 0, v1
	s_cbranch_execz .LBB265_322
; %bb.315:                              ;   in Loop: Header=BB265_13 Depth=1
	v_bfrev_b32_e32 v63, 1
	s_mov_b32 s43, exec_lo
	v_cmpx_ne_u16_e32 0x80, v1
	s_cbranch_execz .LBB265_321
; %bb.316:                              ;   in Loop: Header=BB265_13 Depth=1
	v_and_b32_e32 v65, 0xffff, v1
	v_mov_b32_e32 v63, 0x7c010000
	s_mov_b32 s44, exec_lo
	s_delay_alu instid0(VALU_DEP_2) | instskip(NEXT) | instid1(VALU_DEP_1)
	v_and_b32_e32 v67, 0x7f, v65
	v_cmpx_ne_u32_e32 0x7f, v67
	s_cbranch_execz .LBB265_320
; %bb.317:                              ;   in Loop: Header=BB265_13 Depth=1
	v_and_b32_e32 v63, 7, v65
	v_lshrrev_b32_e32 v66, 3, v67
	s_mov_b32 s45, exec_lo
	v_cmpx_gt_u32_e32 8, v67
; %bb.318:                              ;   in Loop: Header=BB265_13 Depth=1
	s_delay_alu instid0(VALU_DEP_3) | instskip(NEXT) | instid1(VALU_DEP_1)
	v_clz_i32_u32_e32 v63, v63
	v_min_u32_e32 v63, 32, v63
	s_delay_alu instid0(VALU_DEP_1) | instskip(NEXT) | instid1(VALU_DEP_1)
	v_subrev_nc_u32_e32 v66, 28, v63
	v_lshlrev_b64_e32 v[67:68], v66, v[1:2]
	v_sub_nc_u32_e32 v66, 29, v63
	s_delay_alu instid0(VALU_DEP_2)
	v_and_b32_e32 v63, 7, v67
; %bb.319:                              ;   in Loop: Header=BB265_13 Depth=1
	s_or_b32 exec_lo, exec_lo, s45
	v_lshlrev_b32_e32 v1, 8, v65
	s_delay_alu instid0(VALU_DEP_3) | instskip(NEXT) | instid1(VALU_DEP_3)
	v_lshl_add_u32 v65, v66, 10, 0x2000
	v_lshlrev_b32_e32 v63, 23, v63
	s_delay_alu instid0(VALU_DEP_2) | instskip(NEXT) | instid1(VALU_DEP_1)
	v_and_or_b32 v1, 0x8000, v1, v65
	v_lshl_or_b32 v63, v1, 16, v63
.LBB265_320:                            ;   in Loop: Header=BB265_13 Depth=1
	s_or_b32 exec_lo, exec_lo, s44
.LBB265_321:                            ;   in Loop: Header=BB265_13 Depth=1
	s_wait_alu 0xfffe
	s_or_b32 exec_lo, exec_lo, s43
.LBB265_322:                            ;   in Loop: Header=BB265_13 Depth=1
	s_wait_alu 0xfffe
	s_or_b32 exec_lo, exec_lo, s42
	v_lshrrev_b32_e32 v1, 16, v9
	v_mov_b32_e32 v65, 0
	s_mov_b32 s42, exec_lo
	s_delay_alu instid0(VALU_DEP_2) | instskip(NEXT) | instid1(VALU_DEP_1)
	v_dual_mov_b32 v66, 0 :: v_dual_and_b32 v67, 0xff, v1
	v_cmpx_ne_u16_e32 0, v67
	s_cbranch_execz .LBB265_330
; %bb.323:                              ;   in Loop: Header=BB265_13 Depth=1
	v_mov_b32_e32 v66, 0x8000
	s_mov_b32 s43, exec_lo
	v_cmpx_ne_u16_e32 0x80, v67
	s_cbranch_execz .LBB265_329
; %bb.324:                              ;   in Loop: Header=BB265_13 Depth=1
	v_bfe_u32 v68, v9, 16, 7
	v_mov_b32_e32 v66, 0x7c01
	s_mov_b32 s44, exec_lo
	s_delay_alu instid0(VALU_DEP_2)
	v_cmpx_ne_u32_e32 0x7f, v68
	s_cbranch_execz .LBB265_328
; %bb.325:                              ;   in Loop: Header=BB265_13 Depth=1
	v_and_b32_e32 v66, 7, v1
	v_lshrrev_b32_e32 v67, 3, v68
	s_mov_b32 s45, exec_lo
	v_cmpx_gt_u32_e32 8, v68
; %bb.326:                              ;   in Loop: Header=BB265_13 Depth=1
	s_delay_alu instid0(VALU_DEP_3) | instskip(NEXT) | instid1(VALU_DEP_1)
	v_clz_i32_u32_e32 v66, v66
	v_min_u32_e32 v68, 32, v66
	s_delay_alu instid0(VALU_DEP_1) | instskip(NEXT) | instid1(VALU_DEP_1)
	v_subrev_nc_u32_e32 v66, 28, v68
	v_lshlrev_b64_e32 v[66:67], v66, v[1:2]
	v_sub_nc_u32_e32 v67, 29, v68
	s_delay_alu instid0(VALU_DEP_2)
	v_and_b32_e32 v66, 7, v66
; %bb.327:                              ;   in Loop: Header=BB265_13 Depth=1
	s_or_b32 exec_lo, exec_lo, s45
	v_lshlrev_b32_e32 v1, 8, v1
	s_delay_alu instid0(VALU_DEP_3) | instskip(NEXT) | instid1(VALU_DEP_3)
	v_lshl_add_u32 v67, v67, 10, 0x2000
	v_lshlrev_b32_e32 v66, 7, v66
	s_delay_alu instid0(VALU_DEP_3) | instskip(NEXT) | instid1(VALU_DEP_3)
	v_and_b32_e32 v1, 0x8000, v1
	v_and_b32_e32 v67, 0xfc00, v67
	s_delay_alu instid0(VALU_DEP_1)
	v_or3_b32 v66, v1, v67, v66
.LBB265_328:                            ;   in Loop: Header=BB265_13 Depth=1
	s_or_b32 exec_lo, exec_lo, s44
.LBB265_329:                            ;   in Loop: Header=BB265_13 Depth=1
	s_wait_alu 0xfffe
	s_or_b32 exec_lo, exec_lo, s43
.LBB265_330:                            ;   in Loop: Header=BB265_13 Depth=1
	s_wait_alu 0xfffe
	s_or_b32 exec_lo, exec_lo, s42
	s_delay_alu instid0(SALU_CYCLE_1)
	s_mov_b32 s42, exec_lo
	v_cmpx_lt_u32_e32 0xffffff, v9
	s_cbranch_execz .LBB265_338
; %bb.331:                              ;   in Loop: Header=BB265_13 Depth=1
	v_lshrrev_b32_e32 v1, 24, v9
	v_bfrev_b32_e32 v65, 1
	s_mov_b32 s43, exec_lo
	s_delay_alu instid0(VALU_DEP_2)
	v_cmpx_ne_u32_e32 0x80, v1
	s_cbranch_execz .LBB265_337
; %bb.332:                              ;   in Loop: Header=BB265_13 Depth=1
	v_and_b32_e32 v67, 0x7f, v1
	v_mov_b32_e32 v65, 0x7c010000
	s_mov_b32 s44, exec_lo
	s_delay_alu instid0(VALU_DEP_2)
	v_cmpx_ne_u32_e32 0x7f, v67
	s_cbranch_execz .LBB265_336
; %bb.333:                              ;   in Loop: Header=BB265_13 Depth=1
	v_and_b32_e32 v9, 7, v1
	v_lshrrev_b32_e32 v65, 3, v67
	s_mov_b32 s45, exec_lo
	v_cmpx_gt_u32_e32 8, v67
; %bb.334:                              ;   in Loop: Header=BB265_13 Depth=1
	s_delay_alu instid0(VALU_DEP_3) | instskip(NEXT) | instid1(VALU_DEP_1)
	v_clz_i32_u32_e32 v9, v9
	v_min_u32_e32 v9, 32, v9
	s_delay_alu instid0(VALU_DEP_1) | instskip(NEXT) | instid1(VALU_DEP_1)
	v_subrev_nc_u32_e32 v65, 28, v9
	v_lshlrev_b64_e32 v[67:68], v65, v[1:2]
	v_sub_nc_u32_e32 v65, 29, v9
	s_delay_alu instid0(VALU_DEP_2)
	v_and_b32_e32 v9, 7, v67
; %bb.335:                              ;   in Loop: Header=BB265_13 Depth=1
	s_or_b32 exec_lo, exec_lo, s45
	v_lshlrev_b32_e32 v1, 8, v1
	s_delay_alu instid0(VALU_DEP_3) | instskip(NEXT) | instid1(VALU_DEP_3)
	v_lshl_add_u32 v65, v65, 10, 0x2000
	v_lshlrev_b32_e32 v9, 23, v9
	s_delay_alu instid0(VALU_DEP_2) | instskip(NEXT) | instid1(VALU_DEP_1)
	v_and_or_b32 v1, 0x8000, v1, v65
	v_lshl_or_b32 v65, v1, 16, v9
.LBB265_336:                            ;   in Loop: Header=BB265_13 Depth=1
	s_or_b32 exec_lo, exec_lo, s44
.LBB265_337:                            ;   in Loop: Header=BB265_13 Depth=1
	s_wait_alu 0xfffe
	s_or_b32 exec_lo, exec_lo, s43
.LBB265_338:                            ;   in Loop: Header=BB265_13 Depth=1
	s_wait_alu 0xfffe
	s_or_b32 exec_lo, exec_lo, s42
	global_load_b32 v9, v[7:8], off offset:1280
	v_mov_b32_e32 v67, 0
	s_mov_b32 s42, exec_lo
	s_wait_loadcnt 0x0
	v_dual_mov_b32 v68, 0 :: v_dual_and_b32 v1, 0xff, v9
	s_delay_alu instid0(VALU_DEP_1)
	v_cmpx_ne_u16_e32 0, v1
	s_cbranch_execz .LBB265_346
; %bb.339:                              ;   in Loop: Header=BB265_13 Depth=1
	v_mov_b32_e32 v68, 0x8000
	s_mov_b32 s43, exec_lo
	v_cmpx_ne_u16_e32 0x80, v1
	s_cbranch_execz .LBB265_345
; %bb.340:                              ;   in Loop: Header=BB265_13 Depth=1
	v_and_b32_e32 v69, 0x7f, v9
	v_mov_b32_e32 v68, 0x7c01
	s_mov_b32 s44, exec_lo
	s_delay_alu instid0(VALU_DEP_2)
	v_cmpx_ne_u32_e32 0x7f, v69
	s_cbranch_execz .LBB265_344
; %bb.341:                              ;   in Loop: Header=BB265_13 Depth=1
	v_and_b32_e32 v1, 7, v9
	v_lshrrev_b32_e32 v68, 3, v69
	s_mov_b32 s45, exec_lo
	v_cmpx_gt_u32_e32 8, v69
; %bb.342:                              ;   in Loop: Header=BB265_13 Depth=1
	s_delay_alu instid0(VALU_DEP_3) | instskip(NEXT) | instid1(VALU_DEP_1)
	v_clz_i32_u32_e32 v1, v1
	v_min_u32_e32 v1, 32, v1
	s_delay_alu instid0(VALU_DEP_1) | instskip(NEXT) | instid1(VALU_DEP_1)
	v_subrev_nc_u32_e32 v68, 28, v1
	v_lshlrev_b64_e32 v[69:70], v68, v[9:10]
	v_sub_nc_u32_e32 v68, 29, v1
	s_delay_alu instid0(VALU_DEP_2)
	v_and_b32_e32 v1, 7, v69
; %bb.343:                              ;   in Loop: Header=BB265_13 Depth=1
	s_or_b32 exec_lo, exec_lo, s45
	v_lshlrev_b32_e32 v69, 8, v9
	s_delay_alu instid0(VALU_DEP_3) | instskip(NEXT) | instid1(VALU_DEP_3)
	v_lshl_add_u32 v68, v68, 10, 0x2000
	v_lshlrev_b32_e32 v1, 7, v1
	s_delay_alu instid0(VALU_DEP_3) | instskip(NEXT) | instid1(VALU_DEP_3)
	v_and_b32_e32 v69, 0x8000, v69
	v_and_b32_e32 v68, 0xfc00, v68
	s_delay_alu instid0(VALU_DEP_1)
	v_or3_b32 v68, v69, v68, v1
.LBB265_344:                            ;   in Loop: Header=BB265_13 Depth=1
	s_or_b32 exec_lo, exec_lo, s44
.LBB265_345:                            ;   in Loop: Header=BB265_13 Depth=1
	s_wait_alu 0xfffe
	s_or_b32 exec_lo, exec_lo, s43
.LBB265_346:                            ;   in Loop: Header=BB265_13 Depth=1
	s_wait_alu 0xfffe
	s_or_b32 exec_lo, exec_lo, s42
	v_lshrrev_b16 v1, 8, v9
	s_mov_b32 s42, exec_lo
	s_delay_alu instid0(VALU_DEP_1)
	v_cmpx_ne_u16_e32 0, v1
	s_cbranch_execz .LBB265_354
; %bb.347:                              ;   in Loop: Header=BB265_13 Depth=1
	v_bfrev_b32_e32 v67, 1
	s_mov_b32 s43, exec_lo
	v_cmpx_ne_u16_e32 0x80, v1
	s_cbranch_execz .LBB265_353
; %bb.348:                              ;   in Loop: Header=BB265_13 Depth=1
	v_and_b32_e32 v69, 0xffff, v1
	v_mov_b32_e32 v67, 0x7c010000
	s_mov_b32 s44, exec_lo
	s_delay_alu instid0(VALU_DEP_2) | instskip(NEXT) | instid1(VALU_DEP_1)
	v_and_b32_e32 v71, 0x7f, v69
	v_cmpx_ne_u32_e32 0x7f, v71
	s_cbranch_execz .LBB265_352
; %bb.349:                              ;   in Loop: Header=BB265_13 Depth=1
	v_and_b32_e32 v67, 7, v69
	v_lshrrev_b32_e32 v70, 3, v71
	s_mov_b32 s45, exec_lo
	v_cmpx_gt_u32_e32 8, v71
; %bb.350:                              ;   in Loop: Header=BB265_13 Depth=1
	s_delay_alu instid0(VALU_DEP_3) | instskip(NEXT) | instid1(VALU_DEP_1)
	v_clz_i32_u32_e32 v67, v67
	v_min_u32_e32 v67, 32, v67
	s_delay_alu instid0(VALU_DEP_1) | instskip(NEXT) | instid1(VALU_DEP_1)
	v_subrev_nc_u32_e32 v70, 28, v67
	v_lshlrev_b64_e32 v[71:72], v70, v[1:2]
	v_sub_nc_u32_e32 v70, 29, v67
	s_delay_alu instid0(VALU_DEP_2)
	v_and_b32_e32 v67, 7, v71
; %bb.351:                              ;   in Loop: Header=BB265_13 Depth=1
	s_or_b32 exec_lo, exec_lo, s45
	v_lshlrev_b32_e32 v1, 8, v69
	s_delay_alu instid0(VALU_DEP_3) | instskip(NEXT) | instid1(VALU_DEP_3)
	v_lshl_add_u32 v69, v70, 10, 0x2000
	v_lshlrev_b32_e32 v67, 23, v67
	s_delay_alu instid0(VALU_DEP_2) | instskip(NEXT) | instid1(VALU_DEP_1)
	v_and_or_b32 v1, 0x8000, v1, v69
	v_lshl_or_b32 v67, v1, 16, v67
.LBB265_352:                            ;   in Loop: Header=BB265_13 Depth=1
	s_or_b32 exec_lo, exec_lo, s44
.LBB265_353:                            ;   in Loop: Header=BB265_13 Depth=1
	s_wait_alu 0xfffe
	s_or_b32 exec_lo, exec_lo, s43
.LBB265_354:                            ;   in Loop: Header=BB265_13 Depth=1
	s_wait_alu 0xfffe
	s_or_b32 exec_lo, exec_lo, s42
	v_lshrrev_b32_e32 v1, 16, v9
	v_mov_b32_e32 v69, 0
	s_mov_b32 s42, exec_lo
	s_delay_alu instid0(VALU_DEP_2) | instskip(NEXT) | instid1(VALU_DEP_1)
	v_dual_mov_b32 v70, 0 :: v_dual_and_b32 v71, 0xff, v1
	v_cmpx_ne_u16_e32 0, v71
	s_cbranch_execz .LBB265_362
; %bb.355:                              ;   in Loop: Header=BB265_13 Depth=1
	v_mov_b32_e32 v70, 0x8000
	s_mov_b32 s43, exec_lo
	v_cmpx_ne_u16_e32 0x80, v71
	s_cbranch_execz .LBB265_361
; %bb.356:                              ;   in Loop: Header=BB265_13 Depth=1
	v_bfe_u32 v72, v9, 16, 7
	v_mov_b32_e32 v70, 0x7c01
	s_mov_b32 s44, exec_lo
	s_delay_alu instid0(VALU_DEP_2)
	v_cmpx_ne_u32_e32 0x7f, v72
	s_cbranch_execz .LBB265_360
; %bb.357:                              ;   in Loop: Header=BB265_13 Depth=1
	v_and_b32_e32 v70, 7, v1
	v_lshrrev_b32_e32 v71, 3, v72
	s_mov_b32 s45, exec_lo
	v_cmpx_gt_u32_e32 8, v72
; %bb.358:                              ;   in Loop: Header=BB265_13 Depth=1
	s_delay_alu instid0(VALU_DEP_3) | instskip(NEXT) | instid1(VALU_DEP_1)
	v_clz_i32_u32_e32 v70, v70
	v_min_u32_e32 v72, 32, v70
	s_delay_alu instid0(VALU_DEP_1) | instskip(NEXT) | instid1(VALU_DEP_1)
	v_subrev_nc_u32_e32 v70, 28, v72
	v_lshlrev_b64_e32 v[70:71], v70, v[1:2]
	v_sub_nc_u32_e32 v71, 29, v72
	s_delay_alu instid0(VALU_DEP_2)
	v_and_b32_e32 v70, 7, v70
; %bb.359:                              ;   in Loop: Header=BB265_13 Depth=1
	s_or_b32 exec_lo, exec_lo, s45
	v_lshlrev_b32_e32 v1, 8, v1
	s_delay_alu instid0(VALU_DEP_3) | instskip(NEXT) | instid1(VALU_DEP_3)
	v_lshl_add_u32 v71, v71, 10, 0x2000
	v_lshlrev_b32_e32 v70, 7, v70
	s_delay_alu instid0(VALU_DEP_3) | instskip(NEXT) | instid1(VALU_DEP_3)
	v_and_b32_e32 v1, 0x8000, v1
	v_and_b32_e32 v71, 0xfc00, v71
	s_delay_alu instid0(VALU_DEP_1)
	v_or3_b32 v70, v1, v71, v70
.LBB265_360:                            ;   in Loop: Header=BB265_13 Depth=1
	s_or_b32 exec_lo, exec_lo, s44
.LBB265_361:                            ;   in Loop: Header=BB265_13 Depth=1
	s_wait_alu 0xfffe
	s_or_b32 exec_lo, exec_lo, s43
.LBB265_362:                            ;   in Loop: Header=BB265_13 Depth=1
	s_wait_alu 0xfffe
	s_or_b32 exec_lo, exec_lo, s42
	s_delay_alu instid0(SALU_CYCLE_1)
	s_mov_b32 s42, exec_lo
	v_cmpx_lt_u32_e32 0xffffff, v9
	s_cbranch_execz .LBB265_370
; %bb.363:                              ;   in Loop: Header=BB265_13 Depth=1
	v_lshrrev_b32_e32 v1, 24, v9
	v_bfrev_b32_e32 v69, 1
	s_mov_b32 s43, exec_lo
	s_delay_alu instid0(VALU_DEP_2)
	v_cmpx_ne_u32_e32 0x80, v1
	s_cbranch_execz .LBB265_369
; %bb.364:                              ;   in Loop: Header=BB265_13 Depth=1
	v_and_b32_e32 v71, 0x7f, v1
	v_mov_b32_e32 v69, 0x7c010000
	s_mov_b32 s44, exec_lo
	s_delay_alu instid0(VALU_DEP_2)
	v_cmpx_ne_u32_e32 0x7f, v71
	s_cbranch_execz .LBB265_368
; %bb.365:                              ;   in Loop: Header=BB265_13 Depth=1
	v_and_b32_e32 v9, 7, v1
	v_lshrrev_b32_e32 v69, 3, v71
	s_mov_b32 s45, exec_lo
	v_cmpx_gt_u32_e32 8, v71
; %bb.366:                              ;   in Loop: Header=BB265_13 Depth=1
	s_delay_alu instid0(VALU_DEP_3) | instskip(NEXT) | instid1(VALU_DEP_1)
	v_clz_i32_u32_e32 v9, v9
	v_min_u32_e32 v9, 32, v9
	s_delay_alu instid0(VALU_DEP_1) | instskip(NEXT) | instid1(VALU_DEP_1)
	v_subrev_nc_u32_e32 v69, 28, v9
	v_lshlrev_b64_e32 v[71:72], v69, v[1:2]
	v_sub_nc_u32_e32 v69, 29, v9
	s_delay_alu instid0(VALU_DEP_2)
	v_and_b32_e32 v9, 7, v71
; %bb.367:                              ;   in Loop: Header=BB265_13 Depth=1
	s_or_b32 exec_lo, exec_lo, s45
	v_lshlrev_b32_e32 v1, 8, v1
	s_delay_alu instid0(VALU_DEP_3) | instskip(NEXT) | instid1(VALU_DEP_3)
	v_lshl_add_u32 v69, v69, 10, 0x2000
	v_lshlrev_b32_e32 v9, 23, v9
	s_delay_alu instid0(VALU_DEP_2) | instskip(NEXT) | instid1(VALU_DEP_1)
	v_and_or_b32 v1, 0x8000, v1, v69
	v_lshl_or_b32 v69, v1, 16, v9
.LBB265_368:                            ;   in Loop: Header=BB265_13 Depth=1
	s_or_b32 exec_lo, exec_lo, s44
.LBB265_369:                            ;   in Loop: Header=BB265_13 Depth=1
	s_wait_alu 0xfffe
	s_or_b32 exec_lo, exec_lo, s43
.LBB265_370:                            ;   in Loop: Header=BB265_13 Depth=1
	s_wait_alu 0xfffe
	s_or_b32 exec_lo, exec_lo, s42
	global_load_b32 v9, v[7:8], off offset:1288
	v_mov_b32_e32 v71, 0
	s_mov_b32 s42, exec_lo
	s_wait_loadcnt 0x0
	v_dual_mov_b32 v72, 0 :: v_dual_and_b32 v1, 0xff, v9
	s_delay_alu instid0(VALU_DEP_1)
	v_cmpx_ne_u16_e32 0, v1
	s_cbranch_execz .LBB265_378
; %bb.371:                              ;   in Loop: Header=BB265_13 Depth=1
	v_mov_b32_e32 v72, 0x8000
	s_mov_b32 s43, exec_lo
	v_cmpx_ne_u16_e32 0x80, v1
	s_cbranch_execz .LBB265_377
; %bb.372:                              ;   in Loop: Header=BB265_13 Depth=1
	v_and_b32_e32 v73, 0x7f, v9
	v_mov_b32_e32 v72, 0x7c01
	s_mov_b32 s44, exec_lo
	s_delay_alu instid0(VALU_DEP_2)
	v_cmpx_ne_u32_e32 0x7f, v73
	s_cbranch_execz .LBB265_376
; %bb.373:                              ;   in Loop: Header=BB265_13 Depth=1
	v_and_b32_e32 v1, 7, v9
	v_lshrrev_b32_e32 v72, 3, v73
	s_mov_b32 s45, exec_lo
	v_cmpx_gt_u32_e32 8, v73
; %bb.374:                              ;   in Loop: Header=BB265_13 Depth=1
	s_delay_alu instid0(VALU_DEP_3) | instskip(NEXT) | instid1(VALU_DEP_1)
	v_clz_i32_u32_e32 v1, v1
	v_min_u32_e32 v1, 32, v1
	s_delay_alu instid0(VALU_DEP_1) | instskip(NEXT) | instid1(VALU_DEP_1)
	v_subrev_nc_u32_e32 v72, 28, v1
	v_lshlrev_b64_e32 v[73:74], v72, v[9:10]
	v_sub_nc_u32_e32 v72, 29, v1
	s_delay_alu instid0(VALU_DEP_2)
	v_and_b32_e32 v1, 7, v73
; %bb.375:                              ;   in Loop: Header=BB265_13 Depth=1
	s_or_b32 exec_lo, exec_lo, s45
	v_lshlrev_b32_e32 v73, 8, v9
	s_delay_alu instid0(VALU_DEP_3) | instskip(NEXT) | instid1(VALU_DEP_3)
	v_lshl_add_u32 v72, v72, 10, 0x2000
	v_lshlrev_b32_e32 v1, 7, v1
	s_delay_alu instid0(VALU_DEP_3) | instskip(NEXT) | instid1(VALU_DEP_3)
	v_and_b32_e32 v73, 0x8000, v73
	v_and_b32_e32 v72, 0xfc00, v72
	s_delay_alu instid0(VALU_DEP_1)
	v_or3_b32 v72, v73, v72, v1
.LBB265_376:                            ;   in Loop: Header=BB265_13 Depth=1
	s_or_b32 exec_lo, exec_lo, s44
.LBB265_377:                            ;   in Loop: Header=BB265_13 Depth=1
	s_wait_alu 0xfffe
	s_or_b32 exec_lo, exec_lo, s43
.LBB265_378:                            ;   in Loop: Header=BB265_13 Depth=1
	s_wait_alu 0xfffe
	s_or_b32 exec_lo, exec_lo, s42
	v_lshrrev_b16 v1, 8, v9
	s_mov_b32 s42, exec_lo
	s_delay_alu instid0(VALU_DEP_1)
	v_cmpx_ne_u16_e32 0, v1
	s_cbranch_execz .LBB265_386
; %bb.379:                              ;   in Loop: Header=BB265_13 Depth=1
	v_bfrev_b32_e32 v71, 1
	s_mov_b32 s43, exec_lo
	v_cmpx_ne_u16_e32 0x80, v1
	s_cbranch_execz .LBB265_385
; %bb.380:                              ;   in Loop: Header=BB265_13 Depth=1
	v_and_b32_e32 v73, 0xffff, v1
	v_mov_b32_e32 v71, 0x7c010000
	s_mov_b32 s44, exec_lo
	s_delay_alu instid0(VALU_DEP_2) | instskip(NEXT) | instid1(VALU_DEP_1)
	v_and_b32_e32 v75, 0x7f, v73
	v_cmpx_ne_u32_e32 0x7f, v75
	s_cbranch_execz .LBB265_384
; %bb.381:                              ;   in Loop: Header=BB265_13 Depth=1
	v_and_b32_e32 v71, 7, v73
	v_lshrrev_b32_e32 v74, 3, v75
	s_mov_b32 s45, exec_lo
	v_cmpx_gt_u32_e32 8, v75
; %bb.382:                              ;   in Loop: Header=BB265_13 Depth=1
	s_delay_alu instid0(VALU_DEP_3) | instskip(NEXT) | instid1(VALU_DEP_1)
	v_clz_i32_u32_e32 v71, v71
	v_min_u32_e32 v71, 32, v71
	s_delay_alu instid0(VALU_DEP_1) | instskip(NEXT) | instid1(VALU_DEP_1)
	v_subrev_nc_u32_e32 v74, 28, v71
	v_lshlrev_b64_e32 v[75:76], v74, v[1:2]
	v_sub_nc_u32_e32 v74, 29, v71
	s_delay_alu instid0(VALU_DEP_2)
	v_and_b32_e32 v71, 7, v75
; %bb.383:                              ;   in Loop: Header=BB265_13 Depth=1
	s_or_b32 exec_lo, exec_lo, s45
	v_lshlrev_b32_e32 v1, 8, v73
	s_delay_alu instid0(VALU_DEP_3) | instskip(NEXT) | instid1(VALU_DEP_3)
	v_lshl_add_u32 v73, v74, 10, 0x2000
	v_lshlrev_b32_e32 v71, 23, v71
	s_delay_alu instid0(VALU_DEP_2) | instskip(NEXT) | instid1(VALU_DEP_1)
	v_and_or_b32 v1, 0x8000, v1, v73
	v_lshl_or_b32 v71, v1, 16, v71
.LBB265_384:                            ;   in Loop: Header=BB265_13 Depth=1
	s_or_b32 exec_lo, exec_lo, s44
.LBB265_385:                            ;   in Loop: Header=BB265_13 Depth=1
	s_wait_alu 0xfffe
	s_or_b32 exec_lo, exec_lo, s43
.LBB265_386:                            ;   in Loop: Header=BB265_13 Depth=1
	s_wait_alu 0xfffe
	s_or_b32 exec_lo, exec_lo, s42
	v_lshrrev_b32_e32 v1, 16, v9
	v_mov_b32_e32 v73, 0
	s_mov_b32 s42, exec_lo
	s_delay_alu instid0(VALU_DEP_2) | instskip(NEXT) | instid1(VALU_DEP_1)
	v_dual_mov_b32 v74, 0 :: v_dual_and_b32 v75, 0xff, v1
	v_cmpx_ne_u16_e32 0, v75
	s_cbranch_execz .LBB265_394
; %bb.387:                              ;   in Loop: Header=BB265_13 Depth=1
	v_mov_b32_e32 v74, 0x8000
	s_mov_b32 s43, exec_lo
	v_cmpx_ne_u16_e32 0x80, v75
	s_cbranch_execz .LBB265_393
; %bb.388:                              ;   in Loop: Header=BB265_13 Depth=1
	v_bfe_u32 v76, v9, 16, 7
	v_mov_b32_e32 v74, 0x7c01
	s_mov_b32 s44, exec_lo
	s_delay_alu instid0(VALU_DEP_2)
	v_cmpx_ne_u32_e32 0x7f, v76
	s_cbranch_execz .LBB265_392
; %bb.389:                              ;   in Loop: Header=BB265_13 Depth=1
	v_and_b32_e32 v74, 7, v1
	v_lshrrev_b32_e32 v75, 3, v76
	s_mov_b32 s45, exec_lo
	v_cmpx_gt_u32_e32 8, v76
; %bb.390:                              ;   in Loop: Header=BB265_13 Depth=1
	s_delay_alu instid0(VALU_DEP_3) | instskip(NEXT) | instid1(VALU_DEP_1)
	v_clz_i32_u32_e32 v74, v74
	v_min_u32_e32 v76, 32, v74
	s_delay_alu instid0(VALU_DEP_1) | instskip(NEXT) | instid1(VALU_DEP_1)
	v_subrev_nc_u32_e32 v74, 28, v76
	v_lshlrev_b64_e32 v[74:75], v74, v[1:2]
	v_sub_nc_u32_e32 v75, 29, v76
	s_delay_alu instid0(VALU_DEP_2)
	v_and_b32_e32 v74, 7, v74
; %bb.391:                              ;   in Loop: Header=BB265_13 Depth=1
	s_or_b32 exec_lo, exec_lo, s45
	v_lshlrev_b32_e32 v1, 8, v1
	s_delay_alu instid0(VALU_DEP_3) | instskip(NEXT) | instid1(VALU_DEP_3)
	v_lshl_add_u32 v75, v75, 10, 0x2000
	v_lshlrev_b32_e32 v74, 7, v74
	s_delay_alu instid0(VALU_DEP_3) | instskip(NEXT) | instid1(VALU_DEP_3)
	v_and_b32_e32 v1, 0x8000, v1
	v_and_b32_e32 v75, 0xfc00, v75
	s_delay_alu instid0(VALU_DEP_1)
	v_or3_b32 v74, v1, v75, v74
.LBB265_392:                            ;   in Loop: Header=BB265_13 Depth=1
	s_or_b32 exec_lo, exec_lo, s44
.LBB265_393:                            ;   in Loop: Header=BB265_13 Depth=1
	s_wait_alu 0xfffe
	s_or_b32 exec_lo, exec_lo, s43
.LBB265_394:                            ;   in Loop: Header=BB265_13 Depth=1
	s_wait_alu 0xfffe
	s_or_b32 exec_lo, exec_lo, s42
	s_delay_alu instid0(SALU_CYCLE_1)
	s_mov_b32 s42, exec_lo
	v_cmpx_lt_u32_e32 0xffffff, v9
	s_cbranch_execz .LBB265_402
; %bb.395:                              ;   in Loop: Header=BB265_13 Depth=1
	v_lshrrev_b32_e32 v1, 24, v9
	v_bfrev_b32_e32 v73, 1
	s_mov_b32 s43, exec_lo
	s_delay_alu instid0(VALU_DEP_2)
	v_cmpx_ne_u32_e32 0x80, v1
	s_cbranch_execz .LBB265_401
; %bb.396:                              ;   in Loop: Header=BB265_13 Depth=1
	v_and_b32_e32 v75, 0x7f, v1
	v_mov_b32_e32 v73, 0x7c010000
	s_mov_b32 s44, exec_lo
	s_delay_alu instid0(VALU_DEP_2)
	v_cmpx_ne_u32_e32 0x7f, v75
	s_cbranch_execz .LBB265_400
; %bb.397:                              ;   in Loop: Header=BB265_13 Depth=1
	v_and_b32_e32 v9, 7, v1
	v_lshrrev_b32_e32 v73, 3, v75
	s_mov_b32 s45, exec_lo
	v_cmpx_gt_u32_e32 8, v75
; %bb.398:                              ;   in Loop: Header=BB265_13 Depth=1
	s_delay_alu instid0(VALU_DEP_3) | instskip(NEXT) | instid1(VALU_DEP_1)
	v_clz_i32_u32_e32 v9, v9
	v_min_u32_e32 v9, 32, v9
	s_delay_alu instid0(VALU_DEP_1) | instskip(NEXT) | instid1(VALU_DEP_1)
	v_subrev_nc_u32_e32 v73, 28, v9
	v_lshlrev_b64_e32 v[75:76], v73, v[1:2]
	v_sub_nc_u32_e32 v73, 29, v9
	s_delay_alu instid0(VALU_DEP_2)
	v_and_b32_e32 v9, 7, v75
; %bb.399:                              ;   in Loop: Header=BB265_13 Depth=1
	s_or_b32 exec_lo, exec_lo, s45
	v_lshlrev_b32_e32 v1, 8, v1
	s_delay_alu instid0(VALU_DEP_3) | instskip(NEXT) | instid1(VALU_DEP_3)
	v_lshl_add_u32 v73, v73, 10, 0x2000
	v_lshlrev_b32_e32 v9, 23, v9
	s_delay_alu instid0(VALU_DEP_2) | instskip(NEXT) | instid1(VALU_DEP_1)
	v_and_or_b32 v1, 0x8000, v1, v73
	v_lshl_or_b32 v73, v1, 16, v9
.LBB265_400:                            ;   in Loop: Header=BB265_13 Depth=1
	s_or_b32 exec_lo, exec_lo, s44
.LBB265_401:                            ;   in Loop: Header=BB265_13 Depth=1
	s_wait_alu 0xfffe
	s_or_b32 exec_lo, exec_lo, s43
.LBB265_402:                            ;   in Loop: Header=BB265_13 Depth=1
	s_wait_alu 0xfffe
	s_or_b32 exec_lo, exec_lo, s42
	global_load_b32 v9, v[7:8], off offset:1536
	v_mov_b32_e32 v75, 0
	s_mov_b32 s42, exec_lo
	s_wait_loadcnt 0x0
	v_dual_mov_b32 v76, 0 :: v_dual_and_b32 v1, 0xff, v9
	s_delay_alu instid0(VALU_DEP_1)
	v_cmpx_ne_u16_e32 0, v1
	s_cbranch_execz .LBB265_410
; %bb.403:                              ;   in Loop: Header=BB265_13 Depth=1
	v_mov_b32_e32 v76, 0x8000
	s_mov_b32 s43, exec_lo
	v_cmpx_ne_u16_e32 0x80, v1
	s_cbranch_execz .LBB265_409
; %bb.404:                              ;   in Loop: Header=BB265_13 Depth=1
	v_and_b32_e32 v77, 0x7f, v9
	v_mov_b32_e32 v76, 0x7c01
	s_mov_b32 s44, exec_lo
	s_delay_alu instid0(VALU_DEP_2)
	v_cmpx_ne_u32_e32 0x7f, v77
	s_cbranch_execz .LBB265_408
; %bb.405:                              ;   in Loop: Header=BB265_13 Depth=1
	v_and_b32_e32 v1, 7, v9
	v_lshrrev_b32_e32 v76, 3, v77
	s_mov_b32 s45, exec_lo
	v_cmpx_gt_u32_e32 8, v77
; %bb.406:                              ;   in Loop: Header=BB265_13 Depth=1
	s_delay_alu instid0(VALU_DEP_3) | instskip(NEXT) | instid1(VALU_DEP_1)
	v_clz_i32_u32_e32 v1, v1
	v_min_u32_e32 v1, 32, v1
	s_delay_alu instid0(VALU_DEP_1) | instskip(NEXT) | instid1(VALU_DEP_1)
	v_subrev_nc_u32_e32 v76, 28, v1
	v_lshlrev_b64_e32 v[77:78], v76, v[9:10]
	v_sub_nc_u32_e32 v76, 29, v1
	s_delay_alu instid0(VALU_DEP_2)
	v_and_b32_e32 v1, 7, v77
; %bb.407:                              ;   in Loop: Header=BB265_13 Depth=1
	s_or_b32 exec_lo, exec_lo, s45
	v_lshlrev_b32_e32 v77, 8, v9
	s_delay_alu instid0(VALU_DEP_3) | instskip(NEXT) | instid1(VALU_DEP_3)
	v_lshl_add_u32 v76, v76, 10, 0x2000
	v_lshlrev_b32_e32 v1, 7, v1
	s_delay_alu instid0(VALU_DEP_3) | instskip(NEXT) | instid1(VALU_DEP_3)
	v_and_b32_e32 v77, 0x8000, v77
	v_and_b32_e32 v76, 0xfc00, v76
	s_delay_alu instid0(VALU_DEP_1)
	v_or3_b32 v76, v77, v76, v1
.LBB265_408:                            ;   in Loop: Header=BB265_13 Depth=1
	s_or_b32 exec_lo, exec_lo, s44
.LBB265_409:                            ;   in Loop: Header=BB265_13 Depth=1
	s_wait_alu 0xfffe
	s_or_b32 exec_lo, exec_lo, s43
.LBB265_410:                            ;   in Loop: Header=BB265_13 Depth=1
	s_wait_alu 0xfffe
	s_or_b32 exec_lo, exec_lo, s42
	v_lshrrev_b16 v1, 8, v9
	s_mov_b32 s42, exec_lo
	s_delay_alu instid0(VALU_DEP_1)
	v_cmpx_ne_u16_e32 0, v1
	s_cbranch_execz .LBB265_418
; %bb.411:                              ;   in Loop: Header=BB265_13 Depth=1
	v_bfrev_b32_e32 v75, 1
	s_mov_b32 s43, exec_lo
	v_cmpx_ne_u16_e32 0x80, v1
	s_cbranch_execz .LBB265_417
; %bb.412:                              ;   in Loop: Header=BB265_13 Depth=1
	v_and_b32_e32 v77, 0xffff, v1
	v_mov_b32_e32 v75, 0x7c010000
	s_mov_b32 s44, exec_lo
	s_delay_alu instid0(VALU_DEP_2) | instskip(NEXT) | instid1(VALU_DEP_1)
	v_and_b32_e32 v79, 0x7f, v77
	v_cmpx_ne_u32_e32 0x7f, v79
	s_cbranch_execz .LBB265_416
; %bb.413:                              ;   in Loop: Header=BB265_13 Depth=1
	v_and_b32_e32 v75, 7, v77
	v_lshrrev_b32_e32 v78, 3, v79
	s_mov_b32 s45, exec_lo
	v_cmpx_gt_u32_e32 8, v79
; %bb.414:                              ;   in Loop: Header=BB265_13 Depth=1
	s_delay_alu instid0(VALU_DEP_3) | instskip(NEXT) | instid1(VALU_DEP_1)
	v_clz_i32_u32_e32 v75, v75
	v_min_u32_e32 v75, 32, v75
	s_delay_alu instid0(VALU_DEP_1) | instskip(NEXT) | instid1(VALU_DEP_1)
	v_subrev_nc_u32_e32 v78, 28, v75
	v_lshlrev_b64_e32 v[79:80], v78, v[1:2]
	v_sub_nc_u32_e32 v78, 29, v75
	s_delay_alu instid0(VALU_DEP_2)
	v_and_b32_e32 v75, 7, v79
; %bb.415:                              ;   in Loop: Header=BB265_13 Depth=1
	s_or_b32 exec_lo, exec_lo, s45
	v_lshlrev_b32_e32 v1, 8, v77
	s_delay_alu instid0(VALU_DEP_3) | instskip(NEXT) | instid1(VALU_DEP_3)
	v_lshl_add_u32 v77, v78, 10, 0x2000
	v_lshlrev_b32_e32 v75, 23, v75
	s_delay_alu instid0(VALU_DEP_2) | instskip(NEXT) | instid1(VALU_DEP_1)
	v_and_or_b32 v1, 0x8000, v1, v77
	v_lshl_or_b32 v75, v1, 16, v75
.LBB265_416:                            ;   in Loop: Header=BB265_13 Depth=1
	s_or_b32 exec_lo, exec_lo, s44
.LBB265_417:                            ;   in Loop: Header=BB265_13 Depth=1
	s_wait_alu 0xfffe
	s_or_b32 exec_lo, exec_lo, s43
.LBB265_418:                            ;   in Loop: Header=BB265_13 Depth=1
	s_wait_alu 0xfffe
	s_or_b32 exec_lo, exec_lo, s42
	v_lshrrev_b32_e32 v1, 16, v9
	v_mov_b32_e32 v77, 0
	s_mov_b32 s42, exec_lo
	s_delay_alu instid0(VALU_DEP_2) | instskip(NEXT) | instid1(VALU_DEP_1)
	v_dual_mov_b32 v78, 0 :: v_dual_and_b32 v79, 0xff, v1
	v_cmpx_ne_u16_e32 0, v79
	s_cbranch_execz .LBB265_426
; %bb.419:                              ;   in Loop: Header=BB265_13 Depth=1
	v_mov_b32_e32 v78, 0x8000
	s_mov_b32 s43, exec_lo
	v_cmpx_ne_u16_e32 0x80, v79
	s_cbranch_execz .LBB265_425
; %bb.420:                              ;   in Loop: Header=BB265_13 Depth=1
	v_bfe_u32 v80, v9, 16, 7
	v_mov_b32_e32 v78, 0x7c01
	s_mov_b32 s44, exec_lo
	s_delay_alu instid0(VALU_DEP_2)
	v_cmpx_ne_u32_e32 0x7f, v80
	s_cbranch_execz .LBB265_424
; %bb.421:                              ;   in Loop: Header=BB265_13 Depth=1
	v_and_b32_e32 v78, 7, v1
	v_lshrrev_b32_e32 v79, 3, v80
	s_mov_b32 s45, exec_lo
	v_cmpx_gt_u32_e32 8, v80
; %bb.422:                              ;   in Loop: Header=BB265_13 Depth=1
	s_delay_alu instid0(VALU_DEP_3) | instskip(NEXT) | instid1(VALU_DEP_1)
	v_clz_i32_u32_e32 v78, v78
	v_min_u32_e32 v80, 32, v78
	s_delay_alu instid0(VALU_DEP_1) | instskip(NEXT) | instid1(VALU_DEP_1)
	v_subrev_nc_u32_e32 v78, 28, v80
	v_lshlrev_b64_e32 v[78:79], v78, v[1:2]
	v_sub_nc_u32_e32 v79, 29, v80
	s_delay_alu instid0(VALU_DEP_2)
	v_and_b32_e32 v78, 7, v78
; %bb.423:                              ;   in Loop: Header=BB265_13 Depth=1
	s_or_b32 exec_lo, exec_lo, s45
	v_lshlrev_b32_e32 v1, 8, v1
	s_delay_alu instid0(VALU_DEP_3) | instskip(NEXT) | instid1(VALU_DEP_3)
	v_lshl_add_u32 v79, v79, 10, 0x2000
	v_lshlrev_b32_e32 v78, 7, v78
	s_delay_alu instid0(VALU_DEP_3) | instskip(NEXT) | instid1(VALU_DEP_3)
	v_and_b32_e32 v1, 0x8000, v1
	v_and_b32_e32 v79, 0xfc00, v79
	s_delay_alu instid0(VALU_DEP_1)
	v_or3_b32 v78, v1, v79, v78
.LBB265_424:                            ;   in Loop: Header=BB265_13 Depth=1
	s_or_b32 exec_lo, exec_lo, s44
.LBB265_425:                            ;   in Loop: Header=BB265_13 Depth=1
	s_wait_alu 0xfffe
	s_or_b32 exec_lo, exec_lo, s43
.LBB265_426:                            ;   in Loop: Header=BB265_13 Depth=1
	s_wait_alu 0xfffe
	s_or_b32 exec_lo, exec_lo, s42
	s_delay_alu instid0(SALU_CYCLE_1)
	s_mov_b32 s42, exec_lo
	v_cmpx_lt_u32_e32 0xffffff, v9
	s_cbranch_execz .LBB265_434
; %bb.427:                              ;   in Loop: Header=BB265_13 Depth=1
	v_lshrrev_b32_e32 v1, 24, v9
	v_bfrev_b32_e32 v77, 1
	s_mov_b32 s43, exec_lo
	s_delay_alu instid0(VALU_DEP_2)
	v_cmpx_ne_u32_e32 0x80, v1
	s_cbranch_execz .LBB265_433
; %bb.428:                              ;   in Loop: Header=BB265_13 Depth=1
	v_and_b32_e32 v79, 0x7f, v1
	v_mov_b32_e32 v77, 0x7c010000
	s_mov_b32 s44, exec_lo
	s_delay_alu instid0(VALU_DEP_2)
	v_cmpx_ne_u32_e32 0x7f, v79
	s_cbranch_execz .LBB265_432
; %bb.429:                              ;   in Loop: Header=BB265_13 Depth=1
	v_and_b32_e32 v9, 7, v1
	v_lshrrev_b32_e32 v77, 3, v79
	s_mov_b32 s45, exec_lo
	v_cmpx_gt_u32_e32 8, v79
; %bb.430:                              ;   in Loop: Header=BB265_13 Depth=1
	s_delay_alu instid0(VALU_DEP_3) | instskip(NEXT) | instid1(VALU_DEP_1)
	v_clz_i32_u32_e32 v9, v9
	v_min_u32_e32 v9, 32, v9
	s_delay_alu instid0(VALU_DEP_1) | instskip(NEXT) | instid1(VALU_DEP_1)
	v_subrev_nc_u32_e32 v77, 28, v9
	v_lshlrev_b64_e32 v[79:80], v77, v[1:2]
	v_sub_nc_u32_e32 v77, 29, v9
	s_delay_alu instid0(VALU_DEP_2)
	v_and_b32_e32 v9, 7, v79
; %bb.431:                              ;   in Loop: Header=BB265_13 Depth=1
	s_or_b32 exec_lo, exec_lo, s45
	v_lshlrev_b32_e32 v1, 8, v1
	s_delay_alu instid0(VALU_DEP_3) | instskip(NEXT) | instid1(VALU_DEP_3)
	v_lshl_add_u32 v77, v77, 10, 0x2000
	v_lshlrev_b32_e32 v9, 23, v9
	s_delay_alu instid0(VALU_DEP_2) | instskip(NEXT) | instid1(VALU_DEP_1)
	v_and_or_b32 v1, 0x8000, v1, v77
	v_lshl_or_b32 v77, v1, 16, v9
.LBB265_432:                            ;   in Loop: Header=BB265_13 Depth=1
	s_or_b32 exec_lo, exec_lo, s44
.LBB265_433:                            ;   in Loop: Header=BB265_13 Depth=1
	s_wait_alu 0xfffe
	s_or_b32 exec_lo, exec_lo, s43
.LBB265_434:                            ;   in Loop: Header=BB265_13 Depth=1
	s_wait_alu 0xfffe
	s_or_b32 exec_lo, exec_lo, s42
	global_load_b32 v7, v[7:8], off offset:1544
	v_mov_b32_e32 v9, 0
	s_mov_b32 s42, exec_lo
	s_wait_loadcnt 0x0
	v_dual_mov_b32 v8, 0 :: v_dual_and_b32 v1, 0xff, v7
	s_delay_alu instid0(VALU_DEP_1)
	v_cmpx_ne_u16_e32 0, v1
	s_cbranch_execz .LBB265_442
; %bb.435:                              ;   in Loop: Header=BB265_13 Depth=1
	v_mov_b32_e32 v9, 0x8000
	s_mov_b32 s43, exec_lo
	v_cmpx_ne_u16_e32 0x80, v1
	s_cbranch_execz .LBB265_441
; %bb.436:                              ;   in Loop: Header=BB265_13 Depth=1
	v_and_b32_e32 v79, 0x7f, v7
	v_mov_b32_e32 v9, 0x7c01
	s_mov_b32 s44, exec_lo
	s_delay_alu instid0(VALU_DEP_2)
	v_cmpx_ne_u32_e32 0x7f, v79
	s_cbranch_execz .LBB265_440
; %bb.437:                              ;   in Loop: Header=BB265_13 Depth=1
	v_and_b32_e32 v1, 7, v7
	v_lshrrev_b32_e32 v9, 3, v79
	s_mov_b32 s45, exec_lo
	v_cmpx_gt_u32_e32 8, v79
; %bb.438:                              ;   in Loop: Header=BB265_13 Depth=1
	s_delay_alu instid0(VALU_DEP_3) | instskip(NEXT) | instid1(VALU_DEP_1)
	v_clz_i32_u32_e32 v1, v1
	v_min_u32_e32 v1, 32, v1
	s_delay_alu instid0(VALU_DEP_1) | instskip(NEXT) | instid1(VALU_DEP_1)
	v_subrev_nc_u32_e32 v9, 28, v1
	v_lshlrev_b64_e32 v[79:80], v9, v[7:8]
	v_sub_nc_u32_e32 v9, 29, v1
	s_delay_alu instid0(VALU_DEP_2)
	v_and_b32_e32 v1, 7, v79
; %bb.439:                              ;   in Loop: Header=BB265_13 Depth=1
	s_or_b32 exec_lo, exec_lo, s45
	v_lshlrev_b32_e32 v79, 8, v7
	s_delay_alu instid0(VALU_DEP_3) | instskip(NEXT) | instid1(VALU_DEP_3)
	v_lshl_add_u32 v9, v9, 10, 0x2000
	v_lshlrev_b32_e32 v1, 7, v1
	s_delay_alu instid0(VALU_DEP_3) | instskip(NEXT) | instid1(VALU_DEP_3)
	v_and_b32_e32 v79, 0x8000, v79
	v_and_b32_e32 v9, 0xfc00, v9
	s_delay_alu instid0(VALU_DEP_1)
	v_or3_b32 v9, v79, v9, v1
.LBB265_440:                            ;   in Loop: Header=BB265_13 Depth=1
	s_or_b32 exec_lo, exec_lo, s44
.LBB265_441:                            ;   in Loop: Header=BB265_13 Depth=1
	s_wait_alu 0xfffe
	s_or_b32 exec_lo, exec_lo, s43
.LBB265_442:                            ;   in Loop: Header=BB265_13 Depth=1
	s_wait_alu 0xfffe
	s_or_b32 exec_lo, exec_lo, s42
	v_lshrrev_b16 v1, 8, v7
	s_mov_b32 s42, exec_lo
	s_delay_alu instid0(VALU_DEP_1)
	v_cmpx_ne_u16_e32 0, v1
	s_cbranch_execz .LBB265_450
; %bb.443:                              ;   in Loop: Header=BB265_13 Depth=1
	v_bfrev_b32_e32 v8, 1
	s_mov_b32 s43, exec_lo
	v_cmpx_ne_u16_e32 0x80, v1
	s_cbranch_execz .LBB265_449
; %bb.444:                              ;   in Loop: Header=BB265_13 Depth=1
	v_and_b32_e32 v79, 0xffff, v1
	v_mov_b32_e32 v8, 0x7c010000
	s_mov_b32 s44, exec_lo
	s_delay_alu instid0(VALU_DEP_2) | instskip(NEXT) | instid1(VALU_DEP_1)
	v_and_b32_e32 v81, 0x7f, v79
	v_cmpx_ne_u32_e32 0x7f, v81
	s_cbranch_execz .LBB265_448
; %bb.445:                              ;   in Loop: Header=BB265_13 Depth=1
	v_and_b32_e32 v8, 7, v79
	v_lshrrev_b32_e32 v80, 3, v81
	s_mov_b32 s45, exec_lo
	v_cmpx_gt_u32_e32 8, v81
; %bb.446:                              ;   in Loop: Header=BB265_13 Depth=1
	s_delay_alu instid0(VALU_DEP_3) | instskip(NEXT) | instid1(VALU_DEP_1)
	v_clz_i32_u32_e32 v8, v8
	v_min_u32_e32 v8, 32, v8
	s_delay_alu instid0(VALU_DEP_1) | instskip(NEXT) | instid1(VALU_DEP_1)
	v_subrev_nc_u32_e32 v80, 28, v8
	v_lshlrev_b64_e32 v[81:82], v80, v[1:2]
	v_sub_nc_u32_e32 v80, 29, v8
	s_delay_alu instid0(VALU_DEP_2)
	v_and_b32_e32 v8, 7, v81
; %bb.447:                              ;   in Loop: Header=BB265_13 Depth=1
	s_or_b32 exec_lo, exec_lo, s45
	v_lshlrev_b32_e32 v1, 8, v79
	s_delay_alu instid0(VALU_DEP_3) | instskip(NEXT) | instid1(VALU_DEP_3)
	v_lshl_add_u32 v79, v80, 10, 0x2000
	v_lshlrev_b32_e32 v8, 23, v8
	s_delay_alu instid0(VALU_DEP_2) | instskip(NEXT) | instid1(VALU_DEP_1)
	v_and_or_b32 v1, 0x8000, v1, v79
	v_lshl_or_b32 v8, v1, 16, v8
.LBB265_448:                            ;   in Loop: Header=BB265_13 Depth=1
	s_or_b32 exec_lo, exec_lo, s44
.LBB265_449:                            ;   in Loop: Header=BB265_13 Depth=1
	s_wait_alu 0xfffe
	s_or_b32 exec_lo, exec_lo, s43
.LBB265_450:                            ;   in Loop: Header=BB265_13 Depth=1
	s_wait_alu 0xfffe
	s_or_b32 exec_lo, exec_lo, s42
	v_lshrrev_b32_e32 v1, 16, v7
	v_mov_b32_e32 v79, 0
	s_mov_b32 s42, exec_lo
	s_delay_alu instid0(VALU_DEP_2) | instskip(NEXT) | instid1(VALU_DEP_1)
	v_dual_mov_b32 v80, 0 :: v_dual_and_b32 v81, 0xff, v1
	v_cmpx_ne_u16_e32 0, v81
	s_cbranch_execz .LBB265_458
; %bb.451:                              ;   in Loop: Header=BB265_13 Depth=1
	v_mov_b32_e32 v80, 0x8000
	s_mov_b32 s43, exec_lo
	v_cmpx_ne_u16_e32 0x80, v81
	s_cbranch_execz .LBB265_457
; %bb.452:                              ;   in Loop: Header=BB265_13 Depth=1
	v_bfe_u32 v82, v7, 16, 7
	v_mov_b32_e32 v80, 0x7c01
	s_mov_b32 s44, exec_lo
	s_delay_alu instid0(VALU_DEP_2)
	v_cmpx_ne_u32_e32 0x7f, v82
	s_cbranch_execz .LBB265_456
; %bb.453:                              ;   in Loop: Header=BB265_13 Depth=1
	v_and_b32_e32 v80, 7, v1
	v_lshrrev_b32_e32 v81, 3, v82
	s_mov_b32 s45, exec_lo
	v_cmpx_gt_u32_e32 8, v82
; %bb.454:                              ;   in Loop: Header=BB265_13 Depth=1
	s_delay_alu instid0(VALU_DEP_3) | instskip(NEXT) | instid1(VALU_DEP_1)
	v_clz_i32_u32_e32 v80, v80
	v_min_u32_e32 v82, 32, v80
	s_delay_alu instid0(VALU_DEP_1) | instskip(NEXT) | instid1(VALU_DEP_1)
	v_subrev_nc_u32_e32 v80, 28, v82
	v_lshlrev_b64_e32 v[80:81], v80, v[1:2]
	v_sub_nc_u32_e32 v81, 29, v82
	s_delay_alu instid0(VALU_DEP_2)
	v_and_b32_e32 v80, 7, v80
; %bb.455:                              ;   in Loop: Header=BB265_13 Depth=1
	s_or_b32 exec_lo, exec_lo, s45
	v_lshlrev_b32_e32 v1, 8, v1
	s_delay_alu instid0(VALU_DEP_3) | instskip(NEXT) | instid1(VALU_DEP_3)
	v_lshl_add_u32 v81, v81, 10, 0x2000
	v_lshlrev_b32_e32 v80, 7, v80
	s_delay_alu instid0(VALU_DEP_3) | instskip(NEXT) | instid1(VALU_DEP_3)
	v_and_b32_e32 v1, 0x8000, v1
	v_and_b32_e32 v81, 0xfc00, v81
	s_delay_alu instid0(VALU_DEP_1)
	v_or3_b32 v80, v1, v81, v80
.LBB265_456:                            ;   in Loop: Header=BB265_13 Depth=1
	s_or_b32 exec_lo, exec_lo, s44
.LBB265_457:                            ;   in Loop: Header=BB265_13 Depth=1
	s_wait_alu 0xfffe
	s_or_b32 exec_lo, exec_lo, s43
.LBB265_458:                            ;   in Loop: Header=BB265_13 Depth=1
	s_wait_alu 0xfffe
	s_or_b32 exec_lo, exec_lo, s42
	s_delay_alu instid0(SALU_CYCLE_1)
	s_mov_b32 s42, exec_lo
	v_cmpx_lt_u32_e32 0xffffff, v7
	s_cbranch_execz .LBB265_466
; %bb.459:                              ;   in Loop: Header=BB265_13 Depth=1
	v_lshrrev_b32_e32 v1, 24, v7
	v_bfrev_b32_e32 v79, 1
	s_mov_b32 s43, exec_lo
	s_delay_alu instid0(VALU_DEP_2)
	v_cmpx_ne_u32_e32 0x80, v1
	s_cbranch_execz .LBB265_465
; %bb.460:                              ;   in Loop: Header=BB265_13 Depth=1
	v_and_b32_e32 v81, 0x7f, v1
	v_mov_b32_e32 v79, 0x7c010000
	s_mov_b32 s44, exec_lo
	s_delay_alu instid0(VALU_DEP_2)
	v_cmpx_ne_u32_e32 0x7f, v81
	s_cbranch_execz .LBB265_464
; %bb.461:                              ;   in Loop: Header=BB265_13 Depth=1
	v_and_b32_e32 v7, 7, v1
	v_lshrrev_b32_e32 v79, 3, v81
	s_mov_b32 s45, exec_lo
	v_cmpx_gt_u32_e32 8, v81
; %bb.462:                              ;   in Loop: Header=BB265_13 Depth=1
	s_delay_alu instid0(VALU_DEP_3) | instskip(NEXT) | instid1(VALU_DEP_1)
	v_clz_i32_u32_e32 v7, v7
	v_min_u32_e32 v7, 32, v7
	s_delay_alu instid0(VALU_DEP_1) | instskip(NEXT) | instid1(VALU_DEP_1)
	v_subrev_nc_u32_e32 v79, 28, v7
	v_lshlrev_b64_e32 v[81:82], v79, v[1:2]
	v_sub_nc_u32_e32 v79, 29, v7
	s_delay_alu instid0(VALU_DEP_2)
	v_and_b32_e32 v7, 7, v81
; %bb.463:                              ;   in Loop: Header=BB265_13 Depth=1
	s_or_b32 exec_lo, exec_lo, s45
	v_lshlrev_b32_e32 v1, 8, v1
	s_delay_alu instid0(VALU_DEP_3) | instskip(NEXT) | instid1(VALU_DEP_3)
	v_lshl_add_u32 v79, v79, 10, 0x2000
	v_lshlrev_b32_e32 v7, 23, v7
	s_delay_alu instid0(VALU_DEP_2) | instskip(NEXT) | instid1(VALU_DEP_1)
	v_and_or_b32 v1, 0x8000, v1, v79
	v_lshl_or_b32 v79, v1, 16, v7
.LBB265_464:                            ;   in Loop: Header=BB265_13 Depth=1
	s_or_b32 exec_lo, exec_lo, s44
.LBB265_465:                            ;   in Loop: Header=BB265_13 Depth=1
	s_wait_alu 0xfffe
	s_or_b32 exec_lo, exec_lo, s43
.LBB265_466:                            ;   in Loop: Header=BB265_13 Depth=1
	s_wait_alu 0xfffe
	s_or_b32 exec_lo, exec_lo, s42
	ds_load_b64 v[81:82], v20
	v_or_b32_e32 v1, v27, v28
	v_or_b32_e32 v7, v29, v30
	v_fma_mixlo_f16 v28, v26, v29, 0 op_sel:[0,1,0] op_sel_hi:[0,1,0]
	v_fma_mixlo_f16 v27, v26, v27, 0 op_sel:[0,1,0] op_sel_hi:[0,1,0]
	v_or_b32_e32 v32, v31, v32
	v_fma_mixlo_f16 v1, v26, v1, 0 op_sel_hi:[0,1,0]
	v_fma_mixlo_f16 v7, v26, v7, 0 op_sel_hi:[0,1,0]
	v_and_b32_e32 v83, 0xffff, v28
	v_and_b32_e32 v27, 0xffff, v27
	v_or_b32_e32 v34, v33, v34
	v_and_b32_e32 v28, 0xffff, v1
	v_fma_mixlo_f16 v31, v26, v31, 0 op_sel:[0,1,0] op_sel_hi:[0,1,0]
	v_fma_mixlo_f16 v33, v26, v33, 0 op_sel:[0,1,0] op_sel_hi:[0,1,0]
	v_fma_mixlo_f16 v32, v26, v32, 0 op_sel_hi:[0,1,0]
	v_fma_mixlo_f16 v34, v26, v34, 0 op_sel_hi:[0,1,0]
	v_or_b32_e32 v36, v35, v36
	v_or_b32_e32 v38, v37, v38
	v_fma_mixlo_f16 v35, v26, v35, 0 op_sel:[0,1,0] op_sel_hi:[0,1,0]
	v_fma_mixlo_f16 v37, v26, v37, 0 op_sel:[0,1,0] op_sel_hi:[0,1,0]
	s_wait_dscnt 0x0
	v_and_b32_e32 v1, 0xffff, v81
	v_lshrrev_b32_e32 v29, 16, v81
	v_and_b32_e32 v81, 0xffff, v7
	v_lshrrev_b32_e32 v84, 16, v82
	;;#ASMSTART
	v_cvt_f32_f16 v1, v1;
	;;#ASMEND
	;;#ASMSTART
	v_cvt_f32_f16 v7, v29;
	;;#ASMEND
	;; [unrolled: 3-line block ×3, first 2 shown]
	v_and_b32_e32 v30, 0xffff, v82
	;;#ASMSTART
	v_cvt_f32_f16 v29, v27;
	;;#ASMEND
	;;#ASMSTART
	v_cvt_f32_f16 v30, v30;
	;;#ASMEND
	;; [unrolled: 3-line block ×5, first 2 shown]
	ds_load_b64 v[83:84], v20 offset:8
	v_and_b32_e32 v85, 0xffff, v31
	v_and_b32_e32 v86, 0xffff, v33
	;; [unrolled: 1-line block ×4, first 2 shown]
	v_fma_mixlo_f16 v36, v26, v36, 0 op_sel_hi:[0,1,0]
	v_fma_mixlo_f16 v38, v26, v38, 0 op_sel_hi:[0,1,0]
	v_and_b32_e32 v89, 0xffff, v35
	v_or_b32_e32 v40, v39, v40
	v_or_b32_e32 v42, v41, v42
	v_fma_mixlo_f16 v39, v26, v39, 0 op_sel:[0,1,0] op_sel_hi:[0,1,0]
	v_and_b32_e32 v91, 0xffff, v38
	v_fma_mixlo_f16 v41, v26, v41, 0 op_sel:[0,1,0] op_sel_hi:[0,1,0]
	v_fma_mixlo_f16 v40, v26, v40, 0 op_sel_hi:[0,1,0]
	v_fma_mixlo_f16 v42, v26, v42, 0 op_sel_hi:[0,1,0]
	v_and_b32_e32 v93, 0xffff, v39
	v_or_b32_e32 v44, v43, v44
	v_and_b32_e32 v95, 0xffff, v41
	v_and_b32_e32 v41, 0xffff, v40
	v_or_b32_e32 v46, v45, v46
	s_wait_dscnt 0x0
	v_and_b32_e32 v31, 0xffff, v83
	v_lshrrev_b32_e32 v32, 16, v83
	v_lshrrev_b32_e32 v88, 16, v84
	v_and_b32_e32 v84, 0xffff, v84
	;;#ASMSTART
	v_cvt_f32_f16 v31, v31;
	;;#ASMEND
	;;#ASMSTART
	v_cvt_f32_f16 v32, v32;
	;;#ASMEND
	;; [unrolled: 3-line block ×8, first 2 shown]
	ds_load_b64 v[87:88], v20 offset:16
	v_mul_f32_e32 v31, v31, v34
	v_mul_f32_e32 v33, v33, v86
	v_fma_mixlo_f16 v43, v26, v43, 0 op_sel:[0,1,0] op_sel_hi:[0,1,0]
	v_fma_mixlo_f16 v45, v26, v45, 0 op_sel:[0,1,0] op_sel_hi:[0,1,0]
	v_fma_mixlo_f16 v44, v26, v44, 0 op_sel_hi:[0,1,0]
	v_fmac_f32_e32 v31, v1, v28
	v_fmac_f32_e32 v33, v27, v82
	v_fma_mixlo_f16 v46, v26, v46, 0 op_sel_hi:[0,1,0]
	v_and_b32_e32 v97, 0xffff, v43
	v_and_b32_e32 v98, 0xffff, v45
	;; [unrolled: 1-line block ×3, first 2 shown]
	v_or_b32_e32 v48, v47, v48
	v_and_b32_e32 v99, 0xffff, v46
	v_or_b32_e32 v50, v49, v50
	v_fma_mixlo_f16 v47, v26, v47, 0 op_sel:[0,1,0] op_sel_hi:[0,1,0]
	v_fma_mixlo_f16 v49, v26, v49, 0 op_sel:[0,1,0] op_sel_hi:[0,1,0]
	v_fma_mixlo_f16 v48, v26, v48, 0 op_sel_hi:[0,1,0]
	v_or_b32_e32 v52, v51, v52
	v_fma_mixlo_f16 v50, v26, v50, 0 op_sel_hi:[0,1,0]
	s_wait_dscnt 0x0
	v_and_b32_e32 v35, 0xffff, v87
	v_lshrrev_b32_e32 v92, 16, v88
	v_and_b32_e32 v88, 0xffff, v88
	;;#ASMSTART
	v_cvt_f32_f16 v35, v35;
	;;#ASMEND
	v_and_b32_e32 v90, 0xffff, v37
	v_and_b32_e32 v37, 0xffff, v36
	v_lshrrev_b32_e32 v36, 16, v87
	;;#ASMSTART
	v_cvt_f32_f16 v36, v36;
	;;#ASMEND
	;;#ASMSTART
	v_cvt_f32_f16 v38, v37;
	;;#ASMEND
	;; [unrolled: 3-line block ×6, first 2 shown]
	v_fmac_f32_e32 v31, v35, v38
	;;#ASMSTART
	v_cvt_f32_f16 v90, v90;
	;;#ASMEND
	ds_load_b64 v[91:92], v20 offset:24
	v_fmac_f32_e32 v33, v37, v90
	v_and_b32_e32 v94, 0xffff, v42
	v_and_b32_e32 v101, 0xffff, v47
	v_and_b32_e32 v103, 0xffff, v50
	v_or_b32_e32 v56, v55, v56
	v_fma_mixlo_f16 v55, v26, v55, 0 op_sel:[0,1,0] op_sel_hi:[0,1,0]
	v_fma_mixlo_f16 v51, v26, v51, 0 op_sel:[0,1,0] op_sel_hi:[0,1,0]
	v_fma_mixlo_f16 v52, v26, v52, 0 op_sel_hi:[0,1,0]
	v_or_b32_e32 v54, v53, v54
	v_fma_mixlo_f16 v56, v26, v56, 0 op_sel_hi:[0,1,0]
	v_or_b32_e32 v58, v57, v58
	v_and_b32_e32 v51, 0xffff, v51
	v_fma_mixlo_f16 v57, v26, v57, 0 op_sel:[0,1,0] op_sel_hi:[0,1,0]
	v_fma_mixlo_f16 v53, v26, v53, 0 op_sel:[0,1,0] op_sel_hi:[0,1,0]
	v_and_b32_e32 v107, 0xffff, v56
	v_fma_mixlo_f16 v54, v26, v54, 0 op_sel_hi:[0,1,0]
	v_fma_mixlo_f16 v58, v26, v58, 0 op_sel_hi:[0,1,0]
	v_or_b32_e32 v60, v59, v60
	v_and_b32_e32 v109, 0xffff, v53
	s_wait_dscnt 0x0
	v_and_b32_e32 v39, 0xffff, v91
	v_lshrrev_b32_e32 v40, 16, v91
	v_lshrrev_b32_e32 v96, 16, v92
	;;#ASMSTART
	v_cvt_f32_f16 v39, v39;
	;;#ASMEND
	;;#ASMSTART
	v_cvt_f32_f16 v40, v40;
	;;#ASMEND
	;; [unrolled: 3-line block ×3, first 2 shown]
	v_dual_fmac_f32 v31, v39, v42 :: v_dual_and_b32 v92, 0xffff, v92
	;;#ASMSTART
	v_cvt_f32_f16 v91, v93;
	;;#ASMEND
	;;#ASMSTART
	v_cvt_f32_f16 v92, v92;
	;;#ASMEND
	;; [unrolled: 3-line block ×5, first 2 shown]
	ds_load_b64 v[95:96], v20 offset:32
	v_fmac_f32_e32 v33, v41, v93
	v_and_b32_e32 v111, 0xffff, v58
	v_or_b32_e32 v62, v61, v62
	v_fma_mixlo_f16 v59, v26, v59, 0 op_sel:[0,1,0] op_sel_hi:[0,1,0]
	v_fma_mixlo_f16 v61, v26, v61, 0 op_sel:[0,1,0] op_sel_hi:[0,1,0]
	v_fma_mixlo_f16 v60, v26, v60, 0 op_sel_hi:[0,1,0]
	v_or_b32_e32 v64, v63, v64
	v_fma_mixlo_f16 v62, v26, v62, 0 op_sel_hi:[0,1,0]
	v_and_b32_e32 v113, 0xffff, v59
	v_or_b32_e32 v66, v65, v66
	v_fma_mixlo_f16 v63, v26, v63, 0 op_sel:[0,1,0] op_sel_hi:[0,1,0]
	v_fma_mixlo_f16 v65, v26, v65, 0 op_sel:[0,1,0] op_sel_hi:[0,1,0]
	v_and_b32_e32 v115, 0xffff, v62
	v_fma_mixlo_f16 v64, v26, v64, 0 op_sel_hi:[0,1,0]
	v_fma_mixlo_f16 v66, v26, v66, 0 op_sel_hi:[0,1,0]
	v_and_b32_e32 v117, 0xffff, v63
	v_or_b32_e32 v68, v67, v68
	v_or_b32_e32 v70, v69, v70
	v_fma_mixlo_f16 v69, v26, v69, 0 op_sel:[0,1,0] op_sel_hi:[0,1,0]
	s_wait_dscnt 0x0
	v_and_b32_e32 v43, 0xffff, v95
	v_lshrrev_b32_e32 v44, 16, v95
	v_lshrrev_b32_e32 v100, 16, v96
	v_and_b32_e32 v95, 0xffff, v96
	;;#ASMSTART
	v_cvt_f32_f16 v43, v43;
	;;#ASMEND
	;;#ASMSTART
	v_cvt_f32_f16 v44, v44;
	;;#ASMEND
	;; [unrolled: 3-line block ×8, first 2 shown]
	ds_load_b64 v[99:100], v20 offset:40
	v_dual_fmac_f32 v33, v96, v98 :: v_dual_and_b32 v102, 0xffff, v49
	v_and_b32_e32 v49, 0xffff, v48
	v_dual_fmac_f32 v31, v43, v45 :: v_dual_and_b32 v108, 0xffff, v55
	v_and_b32_e32 v119, 0xffff, v66
	v_fma_mixlo_f16 v67, v26, v67, 0 op_sel:[0,1,0] op_sel_hi:[0,1,0]
	v_or_b32_e32 v76, v75, v76
	v_or_b32_e32 v72, v71, v72
	;; [unrolled: 1-line block ×4, first 2 shown]
	v_fma_mixlo_f16 v122, v26, v8, 0 op_sel:[0,1,0] op_sel_hi:[0,1,0]
	v_fma_mixlo_f16 v8, v26, v68, 0 op_sel_hi:[0,1,0]
	v_fma_mixlo_f16 v9, v26, v70, 0 op_sel_hi:[0,1,0]
	v_and_b32_e32 v123, 0xffff, v67
	v_fma_mixlo_f16 v67, v26, v72, 0 op_sel_hi:[0,1,0]
	v_fma_mixlo_f16 v68, v26, v74, 0 op_sel_hi:[0,1,0]
	s_delay_alu instid0(VALU_DEP_4)
	v_dual_mul_f32 v32, v32, v83 :: v_dual_and_b32 v9, 0xffff, v9
	s_wait_dscnt 0x0
	v_and_b32_e32 v47, 0xffff, v99
	v_lshrrev_b32_e32 v48, 16, v99
	v_lshrrev_b32_e32 v104, 16, v100
	v_and_b32_e32 v99, 0xffff, v100
	;;#ASMSTART
	v_cvt_f32_f16 v47, v47;
	;;#ASMEND
	;;#ASMSTART
	v_cvt_f32_f16 v48, v48;
	;;#ASMEND
	;;#ASMSTART
	v_cvt_f32_f16 v49, v49;
	;;#ASMEND
	;;#ASMSTART
	v_cvt_f32_f16 v50, v101;
	;;#ASMEND
	;;#ASMSTART
	v_cvt_f32_f16 v99, v99;
	;;#ASMEND
	;;#ASMSTART
	v_cvt_f32_f16 v100, v104;
	;;#ASMEND
	;;#ASMSTART
	v_cvt_f32_f16 v101, v103;
	;;#ASMEND
	;;#ASMSTART
	v_cvt_f32_f16 v102, v102;
	;;#ASMEND
	ds_load_b64 v[103:104], v20 offset:48
	v_dual_fmac_f32 v31, v47, v49 :: v_dual_and_b32 v52, 0xffff, v52
	v_fmac_f32_e32 v33, v100, v102
	v_mul_f32_e32 v34, v84, v85
	v_fmac_f32_e32 v32, v7, v29
	v_fma_mixlo_f16 v71, v26, v71, 0 op_sel:[0,1,0] op_sel_hi:[0,1,0]
	v_fma_mixlo_f16 v73, v26, v73, 0 op_sel:[0,1,0] op_sel_hi:[0,1,0]
	s_delay_alu instid0(VALU_DEP_4) | instskip(NEXT) | instid1(VALU_DEP_4)
	v_dual_fmac_f32 v34, v30, v81 :: v_dual_and_b32 v7, 0xffff, v67
	v_dual_fmac_f32 v32, v36, v87 :: v_dual_and_b32 v35, 0xffff, v68
	s_delay_alu instid0(VALU_DEP_4) | instskip(NEXT) | instid1(VALU_DEP_4)
	v_and_b32_e32 v71, 0xffff, v71
	v_and_b32_e32 v73, 0xffff, v73
	s_delay_alu instid0(VALU_DEP_4) | instskip(NEXT) | instid1(VALU_DEP_4)
	v_fmac_f32_e32 v34, v88, v89
	v_fmac_f32_e32 v32, v40, v91
	v_or_b32_e32 v78, v77, v78
	v_fma_mixlo_f16 v75, v26, v75, 0 op_sel:[0,1,0] op_sel_hi:[0,1,0]
	v_fma_mixlo_f16 v77, v26, v77, 0 op_sel:[0,1,0] op_sel_hi:[0,1,0]
	s_wait_dscnt 0x0
	v_dual_fmac_f32 v34, v92, v94 :: v_dual_and_b32 v55, 0xffff, v103
	v_lshrrev_b32_e32 v103, 16, v103
	v_lshrrev_b32_e32 v106, 16, v104
	v_and_b32_e32 v105, 0xffff, v104
	;;#ASMSTART
	v_cvt_f32_f16 v55, v55;
	;;#ASMEND
	;;#ASMSTART
	v_cvt_f32_f16 v56, v103;
	;;#ASMEND
	;; [unrolled: 3-line block ×8, first 2 shown]
	ds_load_b64 v[51:52], v20 offset:56
	v_dual_fmac_f32 v31, v55, v103 :: v_dual_and_b32 v112, 0xffff, v57
	v_and_b32_e32 v57, 0xffff, v54
	v_dual_fmac_f32 v33, v106, v108 :: v_dual_and_b32 v116, 0xffff, v61
	v_dual_fmac_f32 v32, v44, v46 :: v_dual_and_b32 v61, 0xffff, v60
	v_fmac_f32_e32 v34, v95, v97
	v_fma_mixlo_f16 v37, v26, v78, 0 op_sel_hi:[0,1,0]
	v_and_b32_e32 v45, 0xffff, v77
	v_or_b32_e32 v46, v79, v80
	v_fmac_f32_e32 v32, v48, v50
	v_fmac_f32_e32 v34, v99, v101
	v_fma_mixlo_f16 v38, v26, v121, 0 op_sel_hi:[0,1,0]
	s_delay_alu instid0(VALU_DEP_4) | instskip(NEXT) | instid1(VALU_DEP_4)
	v_fma_mixlo_f16 v46, v26, v46, 0 op_sel_hi:[0,1,0]
	v_fmac_f32_e32 v32, v56, v104
	s_delay_alu instid0(VALU_DEP_4)
	v_fmac_f32_e32 v34, v105, v107
	s_wait_dscnt 0x0
	v_and_b32_e32 v53, 0xffff, v51
	v_lshrrev_b32_e32 v51, 16, v51
	v_lshrrev_b32_e32 v110, 16, v52
	;;#ASMSTART
	v_cvt_f32_f16 v53, v53;
	;;#ASMEND
	;;#ASMSTART
	v_cvt_f32_f16 v54, v51;
	;;#ASMEND
	;; [unrolled: 3-line block ×3, first 2 shown]
	v_dual_fmac_f32 v31, v53, v57 :: v_dual_and_b32 v52, 0xffff, v52
	;;#ASMSTART
	v_cvt_f32_f16 v58, v109;
	;;#ASMEND
	;;#ASMSTART
	v_cvt_f32_f16 v109, v52;
	;;#ASMEND
	;; [unrolled: 3-line block ×5, first 2 shown]
	ds_load_b64 v[51:52], v20 offset:64
	v_dual_fmac_f32 v33, v110, v112 :: v_dual_and_b32 v120, 0xffff, v65
	v_dual_fmac_f32 v32, v54, v58 :: v_dual_and_b32 v65, 0xffff, v64
	v_fmac_f32_e32 v34, v109, v111
	s_wait_dscnt 0x0
	v_and_b32_e32 v59, 0xffff, v51
	v_lshrrev_b32_e32 v51, 16, v51
	v_lshrrev_b32_e32 v114, 16, v52
	;;#ASMSTART
	v_cvt_f32_f16 v59, v59;
	;;#ASMEND
	;;#ASMSTART
	v_cvt_f32_f16 v60, v51;
	;;#ASMEND
	;; [unrolled: 3-line block ×3, first 2 shown]
	v_dual_fmac_f32 v31, v59, v61 :: v_dual_and_b32 v52, 0xffff, v52
	;;#ASMSTART
	v_cvt_f32_f16 v62, v113;
	;;#ASMEND
	;;#ASMSTART
	v_cvt_f32_f16 v113, v52;
	;;#ASMEND
	;; [unrolled: 3-line block ×5, first 2 shown]
	ds_load_b64 v[51:52], v20 offset:72
	v_dual_fmac_f32 v33, v114, v116 :: v_dual_and_b32 v124, 0xffff, v69
	v_fma_mixlo_f16 v69, v26, v76, 0 op_sel_hi:[0,1,0]
	v_fmac_f32_e32 v32, v60, v62
	s_delay_alu instid0(VALU_DEP_2)
	v_dual_fmac_f32 v34, v113, v115 :: v_dual_and_b32 v41, 0xffff, v69
	s_wait_dscnt 0x0
	v_and_b32_e32 v63, 0xffff, v51
	v_lshrrev_b32_e32 v51, 16, v51
	v_lshrrev_b32_e32 v118, 16, v52
	;;#ASMSTART
	v_cvt_f32_f16 v63, v63;
	;;#ASMEND
	;;#ASMSTART
	v_cvt_f32_f16 v64, v51;
	;;#ASMEND
	;; [unrolled: 3-line block ×3, first 2 shown]
	v_dual_fmac_f32 v31, v63, v65 :: v_dual_and_b32 v52, 0xffff, v52
	;;#ASMSTART
	v_cvt_f32_f16 v66, v117;
	;;#ASMEND
	;;#ASMSTART
	v_cvt_f32_f16 v117, v52;
	;;#ASMEND
	;; [unrolled: 3-line block ×5, first 2 shown]
	ds_load_b64 v[51:52], v20 offset:80
	v_dual_fmac_f32 v33, v118, v120 :: v_dual_fmac_f32 v32, v64, v66
	v_fmac_f32_e32 v34, v117, v119
	s_wait_dscnt 0x0
	v_and_b32_e32 v70, 0xffff, v51
	v_lshrrev_b32_e32 v72, 16, v51
	v_lshrrev_b32_e32 v76, 16, v52
	v_and_b32_e32 v74, 0xffff, v52
	;;#ASMSTART
	v_cvt_f32_f16 v51, v70;
	;;#ASMEND
	v_and_b32_e32 v8, 0xffff, v8
	;;#ASMSTART
	v_cvt_f32_f16 v52, v72;
	;;#ASMEND
	;;#ASMSTART
	v_cvt_f32_f16 v70, v8;
	;;#ASMEND
	;;#ASMSTART
	v_cvt_f32_f16 v72, v123;
	;;#ASMEND
	;;#ASMSTART
	v_cvt_f32_f16 v74, v74;
	;;#ASMEND
	;;#ASMSTART
	v_cvt_f32_f16 v76, v76;
	;;#ASMEND
	;;#ASMSTART
	v_cvt_f32_f16 v123, v9;
	;;#ASMEND
	;;#ASMSTART
	v_cvt_f32_f16 v124, v124;
	;;#ASMEND
	ds_load_b64 v[8:9], v20 offset:88
	v_dual_fmac_f32 v31, v51, v70 :: v_dual_and_b32 v44, 0xffff, v37
	v_fmac_f32_e32 v33, v76, v124
	v_fmac_f32_e32 v32, v52, v72
	s_wait_dscnt 0x0
	v_dual_fmac_f32 v34, v74, v123 :: v_dual_and_b32 v1, 0xffff, v8
	v_lshrrev_b32_e32 v8, 16, v8
	v_lshrrev_b32_e32 v30, 16, v9
	v_and_b32_e32 v29, 0xffff, v9
	;;#ASMSTART
	v_cvt_f32_f16 v1, v1;
	;;#ASMEND
	;;#ASMSTART
	v_cvt_f32_f16 v9, v8;
	;;#ASMEND
	;; [unrolled: 3-line block ×8, first 2 shown]
	ds_load_b64 v[7:8], v20 offset:96
	v_fmac_f32_e32 v31, v1, v27
	v_fmac_f32_e32 v32, v9, v28
	v_dual_fmac_f32 v34, v29, v35 :: v_dual_fmac_f32 v33, v30, v36
	v_and_b32_e32 v28, 0xffff, v122
	v_fma_mixlo_f16 v1, v26, v79, 0 op_sel:[0,1,0] op_sel_hi:[0,1,0]
	v_and_b32_e32 v27, 0xffff, v38
	v_and_b32_e32 v29, 0xffff, v46
	s_wait_dscnt 0x0
	v_and_b32_e32 v39, 0xffff, v7
	v_lshrrev_b32_e32 v7, 16, v7
	;;#ASMSTART
	v_cvt_f32_f16 v39, v39;
	;;#ASMEND
	;;#ASMSTART
	v_cvt_f32_f16 v40, v7;
	;;#ASMEND
	;; [unrolled: 3-line block ×3, first 2 shown]
	v_and_b32_e32 v7, 0xffff, v75
	v_dual_fmac_f32 v31, v39, v41 :: v_dual_and_b32 v42, 0xffff, v8
	v_lshrrev_b32_e32 v8, 16, v8
	;;#ASMSTART
	v_cvt_f32_f16 v37, v7;
	;;#ASMEND
	;;#ASMSTART
	v_cvt_f32_f16 v42, v42;
	;;#ASMEND
	;; [unrolled: 3-line block ×5, first 2 shown]
	ds_load_b64 v[7:8], v20 offset:104
	v_fmac_f32_e32 v32, v40, v37
	v_dual_fmac_f32 v34, v42, v44 :: v_dual_fmac_f32 v33, v43, v45
	s_wait_dscnt 0x0
	v_and_b32_e32 v9, 0xffff, v7
	v_lshrrev_b32_e32 v26, 16, v7
	;;#ASMSTART
	v_cvt_f32_f16 v7, v9;
	;;#ASMEND
	;;#ASMSTART
	v_cvt_f32_f16 v9, v26;
	;;#ASMEND
	;;#ASMSTART
	v_cvt_f32_f16 v26, v27;
	;;#ASMEND
	;;#ASMSTART
	v_cvt_f32_f16 v27, v28;
	;;#ASMEND
	v_and_b32_e32 v28, 0xffff, v8
	v_lshrrev_b32_e32 v8, 16, v8
	v_dual_fmac_f32 v31, v7, v26 :: v_dual_and_b32 v26, 0xffff, v1
	;;#ASMSTART
	v_cvt_f32_f16 v7, v28;
	;;#ASMEND
	v_fmac_f32_e32 v32, v9, v27
	;;#ASMSTART
	v_cvt_f32_f16 v8, v8;
	;;#ASMEND
	;;#ASMSTART
	v_cvt_f32_f16 v9, v29;
	;;#ASMEND
	v_fmac_f32_e32 v34, v7, v9
	v_xor_b32_e32 v7, 1, v17
	v_add_f32_e32 v1, v31, v32
	;;#ASMSTART
	v_cvt_f32_f16 v9, v26;
	;;#ASMEND
	v_fmac_f32_e32 v33, v8, v9
	s_delay_alu instid0(VALU_DEP_3) | instskip(NEXT) | instid1(VALU_DEP_3)
	v_cmp_gt_i32_e64 s4, 32, v7
	v_add_f32_e32 v1, v1, v34
	s_wait_alu 0xf1ff
	s_delay_alu instid0(VALU_DEP_2) | instskip(NEXT) | instid1(VALU_DEP_2)
	v_cndmask_b32_e64 v7, v17, v7, s4
	v_add_f32_e32 v1, v33, v1
	s_delay_alu instid0(VALU_DEP_2)
	v_lshlrev_b32_e32 v7, 2, v7
	ds_bpermute_b32 v7, v7, v1
	s_and_saveexec_b32 s42, s3
	s_cbranch_execz .LBB265_11
; %bb.467:                              ;   in Loop: Header=BB265_13 Depth=1
	s_wait_dscnt 0x0
	v_dual_add_f32 v1, v1, v7 :: v_dual_add_nc_u32 v8, v22, v21
	s_delay_alu instid0(VALU_DEP_1) | instskip(NEXT) | instid1(VALU_DEP_1)
	v_cvt_f32_i32_e32 v8, v8
	v_mul_f32_e32 v8, s30, v8
	s_delay_alu instid0(VALU_DEP_1) | instskip(NEXT) | instid1(VALU_DEP_1)
	v_dual_cndmask_b32 v7, 0, v8 :: v_dual_max_num_f32 v8, v19, v19
	v_fmac_f32_e32 v7, s7, v1
	s_delay_alu instid0(VALU_DEP_1) | instskip(NEXT) | instid1(VALU_DEP_1)
	v_dual_max_num_f32 v8, v8, v7 :: v_dual_add_nc_u32 v1, v18, v21
	v_cmp_gt_i32_e64 s4, s34, v1
	s_wait_alu 0xf1ff
	s_delay_alu instid0(VALU_DEP_1) | instskip(NEXT) | instid1(VALU_DEP_3)
	v_cndmask_b32_e64 v1, 0, v7, s4
	v_cndmask_b32_e64 v19, v19, v8, s4
	ds_store_b32 v23, v1
	s_branch .LBB265_11
.LBB265_468:
	s_or_b32 exec_lo, exec_lo, s40
.LBB265_469:
	s_delay_alu instid0(SALU_CYCLE_1)
	s_or_b32 exec_lo, exec_lo, s6
	v_xor_b32_e32 v1, 16, v17
	v_xor_b32_e32 v2, 8, v17
	s_clause 0x2
	s_load_b128 s[4:7], s[0:1], 0x0
	s_load_b64 s[8:9], s[0:1], 0x10
	s_load_b64 s[30:31], s[0:1], 0x28
	s_wait_dscnt 0x0
	v_lshlrev_b32_e32 v7, 2, v13
	v_and_b32_e32 v18, 31, v0
	v_cmp_gt_i32_e32 vcc_lo, 32, v1
	s_wait_alu 0xfffd
	v_cndmask_b32_e32 v1, v17, v1, vcc_lo
	v_cmp_gt_i32_e32 vcc_lo, 32, v2
	s_wait_alu 0xfffd
	v_dual_max_num_f32 v5, v19, v19 :: v_dual_cndmask_b32 v2, v17, v2
	s_delay_alu instid0(VALU_DEP_1) | instskip(SKIP_4) | instid1(VALU_DEP_1)
	v_lshlrev_b32_e32 v4, 2, v2
	v_lshlrev_b32_e32 v3, 2, v1
	ds_bpermute_b32 v1, v3, v19
	s_wait_dscnt 0x0
	v_max_num_f32_e32 v1, v1, v1
	v_max_num_f32_e32 v1, v5, v1
	v_xor_b32_e32 v5, 4, v17
	ds_bpermute_b32 v2, v4, v1
	v_cmp_gt_i32_e32 vcc_lo, 32, v5
	s_wait_dscnt 0x0
	s_wait_alu 0xfffd
	v_dual_cndmask_b32 v5, v17, v5 :: v_dual_max_num_f32 v2, v2, v2
	s_delay_alu instid0(VALU_DEP_1) | instskip(SKIP_1) | instid1(VALU_DEP_3)
	v_lshlrev_b32_e32 v6, 2, v5
	v_xor_b32_e32 v5, 2, v17
	v_max_num_f32_e32 v1, v1, v2
	s_delay_alu instid0(VALU_DEP_2)
	v_cmp_gt_i32_e32 vcc_lo, 32, v5
	ds_bpermute_b32 v2, v6, v1
	s_wait_alu 0xfffd
	v_cndmask_b32_e32 v5, v17, v5, vcc_lo
	v_cmp_eq_u32_e32 vcc_lo, 0, v18
	s_wait_dscnt 0x0
	v_max_num_f32_e32 v2, v2, v2
	s_delay_alu instid0(VALU_DEP_1)
	v_dual_max_num_f32 v1, v1, v2 :: v_dual_lshlrev_b32 v2, 2, v5
	ds_bpermute_b32 v5, v2, v1
	s_and_saveexec_b32 s0, vcc_lo
	s_cbranch_execz .LBB265_471
; %bb.470:
	s_wait_dscnt 0x0
	v_max_num_f32_e32 v5, v5, v5
	v_max_num_f32_e32 v1, v1, v1
	s_delay_alu instid0(VALU_DEP_1)
	v_max_num_f32_e32 v1, v1, v5
	ds_store_b32 v7, v1 offset:224
.LBB265_471:
	s_or_b32 exec_lo, exec_lo, s0
	v_cmp_gt_u32_e64 s0, 4, v18
	v_dual_mov_b32 v1, 0xff7fffff :: v_dual_lshlrev_b32 v8, 2, v18
	s_wait_loadcnt_dscnt 0x0
	s_barrier_signal -1
	s_barrier_wait -1
	global_inv scope:SCOPE_SE
	s_and_saveexec_b32 s1, s0
; %bb.472:
	ds_load_b32 v1, v8 offset:224
; %bb.473:
	s_or_b32 exec_lo, exec_lo, s1
	s_wait_dscnt 0x0
	ds_bpermute_b32 v5, v2, v1
	v_xor_b32_e32 v9, 1, v17
	v_max_num_f32_e32 v1, v1, v1
	s_delay_alu instid0(VALU_DEP_2) | instskip(NEXT) | instid1(VALU_DEP_1)
	v_cmp_gt_i32_e64 s1, 32, v9
	v_cndmask_b32_e64 v9, v17, v9, s1
	s_sub_co_i32 s1, s23, s38
	s_wait_alu 0xfffe
	s_lshl_b32 s1, s1, 4
	s_delay_alu instid0(VALU_DEP_1)
	v_lshlrev_b32_e32 v17, 2, v9
	v_mov_b32_e32 v9, 0
	s_wait_alu 0xfffe
	s_add_co_i32 s1, s1, s35
	s_wait_alu 0xfffe
	s_min_i32 s1, s1, s34
	s_wait_dscnt 0x0
	v_max_num_f32_e32 v5, v5, v5
	s_wait_alu 0xfffe
	s_sub_co_i32 s19, s1, s35
	s_wait_alu 0xfffe
	v_cmp_gt_i32_e64 s1, s19, v0
	v_max_num_f32_e32 v1, v1, v5
	ds_bpermute_b32 v5, v17, v1
	s_wait_dscnt 0x0
	v_max_num_f32_e32 v5, v5, v5
	s_delay_alu instid0(VALU_DEP_1)
	v_max_num_f32_e32 v1, v1, v5
	v_lshl_add_u32 v5, v0, 2, 0x100
	ds_bpermute_b32 v1, v9, v1
	s_and_saveexec_b32 s35, s1
	s_cbranch_execz .LBB265_477
; %bb.474:
	v_lshl_add_u32 v19, v0, 2, 0x100
	v_dual_mov_b32 v9, 0 :: v_dual_mov_b32 v20, v0
	s_mov_b32 s38, 0
.LBB265_475:                            ; =>This Inner Loop Header: Depth=1
	ds_load_b32 v21, v19
	v_add_nc_u32_e32 v20, 0x80, v20
	s_delay_alu instid0(VALU_DEP_1) | instskip(SKIP_4) | instid1(VALU_DEP_1)
	v_cmp_le_i32_e64 s3, s19, v20
	s_wait_alu 0xfffe
	s_or_b32 s38, s3, s38
	s_wait_dscnt 0x0
	v_sub_f32_e32 v21, v21, v1
	v_mul_f32_e32 v21, 0x3fb8aa3b, v21
	s_delay_alu instid0(VALU_DEP_1)
	v_exp_f32_e32 v21, v21
	ds_store_b32 v19, v21
	v_add_f32_e32 v9, v9, v21
	v_add_nc_u32_e32 v19, 0x200, v19
	s_wait_alu 0xfffe
	s_and_not1_b32 exec_lo, exec_lo, s38
	s_cbranch_execnz .LBB265_475
; %bb.476:
	s_or_b32 exec_lo, exec_lo, s38
.LBB265_477:
	s_wait_alu 0xfffe
	s_or_b32 exec_lo, exec_lo, s35
	ds_bpermute_b32 v3, v3, v9
	s_wait_dscnt 0x0
	v_add_f32_e32 v3, v9, v3
	ds_bpermute_b32 v4, v4, v3
	s_wait_dscnt 0x0
	v_add_f32_e32 v3, v3, v4
	;; [unrolled: 3-line block ×5, first 2 shown]
	s_and_saveexec_b32 s3, vcc_lo
; %bb.478:
	ds_store_b32 v7, v3 offset:240
; %bb.479:
	s_wait_alu 0xfffe
	s_or_b32 exec_lo, exec_lo, s3
	s_wait_loadcnt_dscnt 0x0
	s_barrier_signal -1
	s_barrier_wait -1
	global_inv scope:SCOPE_SE
	s_and_saveexec_b32 s3, s0
; %bb.480:
	ds_load_b32 v3, v8 offset:240
; %bb.481:
	s_wait_alu 0xfffe
	s_or_b32 exec_lo, exec_lo, s3
	s_wait_dscnt 0x0
	ds_bpermute_b32 v2, v2, v3
	s_wait_dscnt 0x0
	v_add_f32_e32 v2, v3, v2
	ds_bpermute_b32 v3, v17, v2
	s_wait_dscnt 0x0
	v_dual_add_f32 v2, v2, v3 :: v_dual_mov_b32 v3, 0
	ds_bpermute_b32 v2, v3, v2
	s_and_saveexec_b32 s0, s1
	s_cbranch_execz .LBB265_484
; %bb.482:
	s_wait_dscnt 0x0
	v_add_f32_e32 v3, 0x358637bd, v2
	s_mov_b32 s1, 0
	s_delay_alu instid0(VALU_DEP_1) | instskip(SKIP_1) | instid1(VALU_DEP_2)
	v_div_scale_f32 v4, null, v3, v3, 1.0
	v_div_scale_f32 v8, vcc_lo, 1.0, v3, 1.0
	v_rcp_f32_e32 v6, v4
	s_delay_alu instid0(TRANS32_DEP_1) | instskip(NEXT) | instid1(VALU_DEP_1)
	v_fma_f32 v7, -v4, v6, 1.0
	v_fmac_f32_e32 v6, v7, v6
	s_delay_alu instid0(VALU_DEP_1) | instskip(NEXT) | instid1(VALU_DEP_1)
	v_mul_f32_e32 v7, v8, v6
	v_fma_f32 v9, -v4, v7, v8
	s_delay_alu instid0(VALU_DEP_1) | instskip(NEXT) | instid1(VALU_DEP_1)
	v_fmac_f32_e32 v7, v9, v6
	v_fma_f32 v4, -v4, v7, v8
	s_wait_alu 0xfffd
	s_delay_alu instid0(VALU_DEP_1) | instskip(NEXT) | instid1(VALU_DEP_1)
	v_div_fmas_f32 v4, v4, v6, v7
	v_div_fixup_f32 v3, v4, v3, 1.0
	v_mov_b32_e32 v4, v0
.LBB265_483:                            ; =>This Inner Loop Header: Depth=1
	ds_load_b32 v6, v5
	v_add_nc_u32_e32 v4, 0x80, v4
	s_delay_alu instid0(VALU_DEP_1)
	v_cmp_le_i32_e32 vcc_lo, s19, v4
	s_wait_alu 0xfffe
	s_or_b32 s1, vcc_lo, s1
	s_wait_dscnt 0x0
	v_mul_f32_e32 v6, v3, v6
	ds_store_b32 v5, v6
	v_add_nc_u32_e32 v5, 0x200, v5
	s_wait_alu 0xfffe
	s_and_not1_b32 exec_lo, exec_lo, s1
	s_cbranch_execnz .LBB265_483
.LBB265_484:
	s_wait_alu 0xfffe
	s_or_b32 exec_lo, exec_lo, s0
	s_mul_i32 s0, s12, s28
	s_wait_loadcnt_dscnt 0x0
	s_wait_alu 0xfffe
	s_mul_i32 s28, s0, s29
	s_mov_b32 s0, exec_lo
	s_barrier_signal -1
	s_barrier_wait -1
	global_inv scope:SCOPE_SE
	v_cmpx_eq_u32_e32 0, v0
	s_cbranch_execz .LBB265_486
; %bb.485:
	s_ashr_i32 s29, s28, 31
	s_wait_alu 0xfffe
	s_mul_i32 s38, s12, ttmp9
	s_lshl_b32 s1, s33, 2
	s_lshl_b64 s[40:41], s[28:29], 2
	s_wait_alu 0xfffe
	s_ashr_i32 s39, s38, 31
	v_mov_b32_e32 v3, s1
	s_wait_kmcnt 0x0
	s_add_nc_u64 s[6:7], s[6:7], s[40:41]
	s_wait_alu 0xfffe
	s_lshl_b64 s[38:39], s[38:39], 2
	s_add_nc_u64 s[4:5], s[4:5], s[40:41]
	s_wait_alu 0xfffe
	s_add_nc_u64 s[6:7], s[6:7], s[38:39]
	s_add_nc_u64 s[4:5], s[4:5], s[38:39]
	s_clause 0x1
	global_store_b32 v3, v1, s[6:7]
	global_store_b32 v3, v2, s[4:5]
.LBB265_486:
	s_wait_alu 0xfffe
	s_or_b32 exec_lo, exec_lo, s0
	v_dual_mov_b32 v25, 0 :: v_dual_mov_b32 v24, 0
	v_dual_mov_b32 v23, 0 :: v_dual_mov_b32 v22, 0
	;; [unrolled: 1-line block ×3, first 2 shown]
	v_mov_b32_e32 v19, 0
	s_and_saveexec_b32 s1, s2
	s_cbranch_execz .LBB265_954
; %bb.487:
	s_wait_kmcnt 0x0
	s_abs_i32 s4, s14
	v_dual_mov_b32 v21, 0 :: v_dual_lshlrev_b32 v6, 5, v12
	s_wait_alu 0xfffe
	s_cvt_f32_u32 s0, s4
	s_lshl_b64 s[26:27], s[26:27], 2
	v_dual_mov_b32 v2, 0 :: v_dual_and_b32 v5, 0xf8, v10
	s_wait_alu 0xfffe
	v_rcp_iflag_f32_e32 v1, s0
	s_ashr_i32 s19, s18, 31
	s_add_nc_u64 s[24:25], s[24:25], s[26:27]
	s_sub_co_i32 s5, s37, s13
	s_wait_alu 0xfffe
	s_add_nc_u64 s[18:19], s[30:31], s[18:19]
	v_add_co_u32 v3, s13, s24, v16
	s_sub_co_i32 s7, 0, s4
	v_add_co_ci_u32_e64 v4, null, s25, 0, s13
	s_delay_alu instid0(TRANS32_DEP_1)
	v_readfirstlane_b32 s0, v1
	v_lshl_or_b32 v1, v13, 6, v6
	s_wait_alu 0xfffe
	v_add_co_u32 v5, s13, s18, v5
	v_dual_mov_b32 v19, 0 :: v_dual_and_b32 v26, 8, v10
	s_mul_f32 s0, s0, 0x4f7ffffe
	v_add_co_ci_u32_e64 v6, null, s19, 0, s13
	v_dual_mov_b32 v23, 0 :: v_dual_add_nc_u32 v16, 0x100, v1
	s_wait_alu 0xfffe
	s_cvt_u32_f32 s0, s0
	v_dual_mov_b32 v20, 0 :: v_dual_mov_b32 v25, 0
	v_mov_b32_e32 v22, 0
	s_wait_alu 0xfffe
	s_mul_i32 s7, s7, s0
	v_mov_b32_e32 v24, 0
	s_wait_alu 0xfffe
	s_mul_hi_u32 s13, s0, s7
	s_mov_b32 s2, -1
	s_mov_b32 s6, s17
	s_mov_b32 s3, 0xffffff
	s_add_co_i32 s36, s36, -1
	s_mov_b32 s7, 0
	s_wait_alu 0xfffe
	s_add_co_i32 s13, s0, s13
	s_branch .LBB265_490
.LBB265_488:                            ;   in Loop: Header=BB265_490 Depth=1
	s_wait_alu 0xfffe
	s_or_b32 exec_lo, exec_lo, s0
	v_dual_add_f32 v9, v9, v10 :: v_dual_add_f32 v10, v47, v48
	v_add_f32_e32 v27, v45, v46
	;;#ASMSTART
	v_pk_mul_f16 v28, v40, v49;

	;;#ASMEND
	;;#ASMSTART
	v_pk_mul_f16 v8, v39, v8;

	;;#ASMEND
	;;#ASMSTART
	v_pk_mul_f16 v7, v38, v7;

	;;#ASMEND
	;;#ASMSTART
	v_pk_mul_f16 v1, v37, v1;

	;;#ASMEND
	v_add_f32_e32 v20, v20, v9
	;;#ASMSTART
	v_pk_add_f16 v8, v28, v8;

	;;#ASMEND
	;;#ASMSTART
	v_pk_add_f16 v7, v8, v7;

	;;#ASMEND
	;; [unrolled: 4-line block ×3, first 2 shown]
	v_dual_add_f32 v22, v22, v27 :: v_dual_and_b32 v9, 0xffff, v1
	v_dual_add_f32 v21, v21, v10 :: v_dual_add_f32 v8, v35, v36
	v_lshrrev_b32_e32 v10, 16, v1
	;;#ASMSTART
	v_cvt_f32_f16 v9, v9;
	;;#ASMEND
	v_add_f32_e32 v7, v41, v42
	v_add_f32_e32 v1, v43, v44
	;;#ASMSTART
	v_cvt_f32_f16 v10, v10;
	;;#ASMEND
	v_add_f32_e32 v9, v9, v10
	s_delay_alu instid0(VALU_DEP_3) | instskip(NEXT) | instid1(VALU_DEP_3)
	v_dual_add_f32 v25, v25, v8 :: v_dual_add_f32 v24, v24, v7
	v_add_f32_e32 v23, v23, v1
	s_delay_alu instid0(VALU_DEP_3)
	v_add_f32_e32 v19, v19, v9
.LBB265_489:                            ;   in Loop: Header=BB265_490 Depth=1
	s_wait_alu 0xfffe
	s_or_b32 exec_lo, exec_lo, s14
	v_add_nc_u32_e32 v15, 4, v15
	v_add_co_u32 v3, s0, v3, 16
	s_wait_alu 0xf1ff
	v_add_co_ci_u32_e64 v4, null, 0, v4, s0
	s_delay_alu instid0(VALU_DEP_3)
	v_cmp_le_i32_e32 vcc_lo, s23, v15
	v_add_nc_u32_e32 v14, 64, v14
	v_add_nc_u32_e32 v16, 0x100, v16
	s_or_b32 s7, vcc_lo, s7
	s_wait_alu 0xfffe
	s_and_not1_b32 exec_lo, exec_lo, s7
	s_cbranch_execz .LBB265_953
.LBB265_490:                            ; =>This Inner Loop Header: Depth=1
	v_sub_nc_u32_e32 v1, 0, v14
	s_delay_alu instid0(VALU_DEP_1) | instskip(NEXT) | instid1(VALU_DEP_1)
	v_max_i32_e32 v1, v14, v1
	v_mul_hi_u32 v7, v1, s22
	s_delay_alu instid0(VALU_DEP_1) | instskip(NEXT) | instid1(VALU_DEP_1)
	v_mul_lo_u32 v8, v7, s16
	v_sub_nc_u32_e32 v1, v1, v8
	s_delay_alu instid0(VALU_DEP_1) | instskip(SKIP_2) | instid1(VALU_DEP_2)
	v_subrev_nc_u32_e32 v9, s16, v1
	v_cmp_le_u32_e32 vcc_lo, s16, v1
	s_wait_alu 0xfffd
	v_dual_cndmask_b32 v1, v1, v9 :: v_dual_add_nc_u32 v8, 1, v7
	s_delay_alu instid0(VALU_DEP_1) | instskip(SKIP_1) | instid1(VALU_DEP_3)
	v_cndmask_b32_e32 v7, v7, v8, vcc_lo
	v_ashrrev_i32_e32 v8, 31, v14
	v_cmp_le_u32_e32 vcc_lo, s16, v1
	s_delay_alu instid0(VALU_DEP_3) | instskip(NEXT) | instid1(VALU_DEP_3)
	v_add_nc_u32_e32 v9, 1, v7
	v_xor_b32_e32 v8, s15, v8
	s_wait_alu 0xfffd
	s_delay_alu instid0(VALU_DEP_2) | instskip(NEXT) | instid1(VALU_DEP_1)
	v_cndmask_b32_e32 v1, v7, v9, vcc_lo
	v_xor_b32_e32 v1, v1, v8
	s_delay_alu instid0(VALU_DEP_1) | instskip(NEXT) | instid1(VALU_DEP_1)
	v_sub_nc_u32_e32 v1, v1, v8
	v_add_nc_u32_e32 v7, s21, v1
	v_cmp_lt_i32_e64 s0, s5, v1
	s_delay_alu instid0(VALU_DEP_2) | instskip(NEXT) | instid1(VALU_DEP_1)
	v_sub_nc_u32_e32 v8, 0, v7
	v_max_i32_e32 v8, v7, v8
	v_ashrrev_i32_e32 v7, 31, v7
	s_wait_alu 0xfffe
	s_delay_alu instid0(VALU_DEP_2) | instskip(NEXT) | instid1(VALU_DEP_1)
	v_mul_hi_u32 v9, v8, s13
	v_mul_lo_u32 v9, v9, s4
	s_delay_alu instid0(VALU_DEP_1) | instskip(NEXT) | instid1(VALU_DEP_1)
	v_sub_nc_u32_e32 v8, v8, v9
	v_subrev_nc_u32_e32 v9, s4, v8
	v_cmp_le_u32_e32 vcc_lo, s4, v8
	s_wait_alu 0xfffd
	s_delay_alu instid0(VALU_DEP_2) | instskip(NEXT) | instid1(VALU_DEP_1)
	v_cndmask_b32_e32 v8, v8, v9, vcc_lo
	v_subrev_nc_u32_e32 v9, s4, v8
	v_cmp_le_u32_e32 vcc_lo, s4, v8
	s_wait_alu 0xfffd
	s_delay_alu instid0(VALU_DEP_2) | instskip(NEXT) | instid1(VALU_DEP_1)
	v_cndmask_b32_e32 v8, v8, v9, vcc_lo
	v_xor_b32_e32 v8, v8, v7
	s_delay_alu instid0(VALU_DEP_1) | instskip(NEXT) | instid1(VALU_DEP_1)
	v_sub_nc_u32_e32 v7, v8, v7
	v_cmp_eq_u32_e32 vcc_lo, 0, v7
	s_or_b32 s0, vcc_lo, s0
	s_wait_alu 0xfffe
	s_and_saveexec_b32 s14, s0
	s_cbranch_execz .LBB265_489
; %bb.491:                              ;   in Loop: Header=BB265_490 Depth=1
	global_load_b32 v1, v[3:4], off
	ds_load_2addr_b64 v[27:30], v16 offset1:1
	ds_load_2addr_b64 v[31:34], v16 offset0:2 offset1:3
	s_mov_b32 s0, exec_lo
	s_wait_dscnt 0x1
	;;#ASMSTART
	v_cvt_f16_f32 v35, v27;

	;;#ASMEND
	;;#ASMSTART
	v_cvt_f16_f32 v36, v28;

	;;#ASMEND
	;;#ASMSTART
	v_cvt_f16_f32 v39, v29;

	;;#ASMEND
	;;#ASMSTART
	v_cvt_f16_f32 v37, v30;

	;;#ASMEND
	s_wait_dscnt 0x0
	;;#ASMSTART
	v_cvt_f16_f32 v40, v31;

	;;#ASMEND
	;;#ASMSTART
	v_cvt_f16_f32 v38, v32;

	;;#ASMEND
	;; [unrolled: 4-line block ×4, first 2 shown]
	v_dual_mov_b32 v29, 0 :: v_dual_mov_b32 v30, 0
	global_load_b32 v28, v29, s[10:11]
	s_wait_loadcnt 0x1
	v_mad_co_i64_i32 v[7:8], null, v1, s6, v[5:6]
	global_load_b64 v[9:10], v[7:8], off
	s_wait_loadcnt 0x0
	v_and_b32_e32 v1, 0xff, v9
	s_delay_alu instid0(VALU_DEP_1)
	v_cmpx_ne_u16_e32 0, v1
	s_cbranch_execz .LBB265_499
; %bb.492:                              ;   in Loop: Header=BB265_490 Depth=1
	v_mov_b32_e32 v30, 0x8000
	s_mov_b32 s17, exec_lo
	v_cmpx_ne_u16_e32 0x80, v1
	s_cbranch_execz .LBB265_498
; %bb.493:                              ;   in Loop: Header=BB265_490 Depth=1
	v_and_b32_e32 v31, 0x7f, v9
	v_mov_b32_e32 v30, 0x7c01
	s_mov_b32 s18, exec_lo
	s_delay_alu instid0(VALU_DEP_2)
	v_cmpx_ne_u32_e32 0x7f, v31
	s_cbranch_execz .LBB265_497
; %bb.494:                              ;   in Loop: Header=BB265_490 Depth=1
	v_and_b32_e32 v1, 7, v9
	v_lshrrev_b32_e32 v27, 3, v31
	s_mov_b32 s19, exec_lo
	v_cmpx_gt_u32_e32 8, v31
; %bb.495:                              ;   in Loop: Header=BB265_490 Depth=1
	s_delay_alu instid0(VALU_DEP_3) | instskip(NEXT) | instid1(VALU_DEP_1)
	v_clz_i32_u32_e32 v1, v1
	v_min_u32_e32 v1, 32, v1
	s_delay_alu instid0(VALU_DEP_1) | instskip(NEXT) | instid1(VALU_DEP_1)
	v_subrev_nc_u32_e32 v27, 28, v1
	v_lshlrev_b64_e32 v[30:31], v27, v[9:10]
	v_sub_nc_u32_e32 v27, 29, v1
	s_delay_alu instid0(VALU_DEP_2)
	v_and_b32_e32 v1, 7, v30
; %bb.496:                              ;   in Loop: Header=BB265_490 Depth=1
	s_wait_alu 0xfffe
	s_or_b32 exec_lo, exec_lo, s19
	v_lshlrev_b32_e32 v30, 8, v9
	v_lshl_add_u32 v27, v27, 10, 0x2000
	v_lshlrev_b32_e32 v1, 7, v1
	s_delay_alu instid0(VALU_DEP_3) | instskip(NEXT) | instid1(VALU_DEP_3)
	v_and_b32_e32 v30, 0x8000, v30
	v_and_b32_e32 v27, 0xfc00, v27
	s_delay_alu instid0(VALU_DEP_1)
	v_or3_b32 v30, v30, v27, v1
.LBB265_497:                            ;   in Loop: Header=BB265_490 Depth=1
	s_wait_alu 0xfffe
	s_or_b32 exec_lo, exec_lo, s18
.LBB265_498:                            ;   in Loop: Header=BB265_490 Depth=1
	s_wait_alu 0xfffe
	s_or_b32 exec_lo, exec_lo, s17
.LBB265_499:                            ;   in Loop: Header=BB265_490 Depth=1
	s_wait_alu 0xfffe
	s_or_b32 exec_lo, exec_lo, s0
	v_lshrrev_b16 v1, 8, v9
	s_mov_b32 s0, exec_lo
	s_delay_alu instid0(VALU_DEP_1)
	v_cmpx_ne_u16_e32 0, v1
	s_cbranch_execz .LBB265_507
; %bb.500:                              ;   in Loop: Header=BB265_490 Depth=1
	v_bfrev_b32_e32 v29, 1
	s_mov_b32 s17, exec_lo
	v_cmpx_ne_u16_e32 0x80, v1
	s_cbranch_execz .LBB265_506
; %bb.501:                              ;   in Loop: Header=BB265_490 Depth=1
	v_and_b32_e32 v27, 0xffff, v1
	v_mov_b32_e32 v29, 0x7c010000
	s_mov_b32 s18, exec_lo
	s_delay_alu instid0(VALU_DEP_2) | instskip(NEXT) | instid1(VALU_DEP_1)
	v_and_b32_e32 v32, 0x7f, v27
	v_cmpx_ne_u32_e32 0x7f, v32
	s_cbranch_execz .LBB265_505
; %bb.502:                              ;   in Loop: Header=BB265_490 Depth=1
	v_and_b32_e32 v29, 7, v27
	v_lshrrev_b32_e32 v31, 3, v32
	s_mov_b32 s19, exec_lo
	v_cmpx_gt_u32_e32 8, v32
; %bb.503:                              ;   in Loop: Header=BB265_490 Depth=1
	s_delay_alu instid0(VALU_DEP_3) | instskip(NEXT) | instid1(VALU_DEP_1)
	v_clz_i32_u32_e32 v29, v29
	v_min_u32_e32 v29, 32, v29
	s_delay_alu instid0(VALU_DEP_1) | instskip(NEXT) | instid1(VALU_DEP_1)
	v_subrev_nc_u32_e32 v31, 28, v29
	v_lshlrev_b64_e32 v[32:33], v31, v[1:2]
	v_sub_nc_u32_e32 v31, 29, v29
	s_delay_alu instid0(VALU_DEP_2)
	v_and_b32_e32 v29, 7, v32
; %bb.504:                              ;   in Loop: Header=BB265_490 Depth=1
	s_wait_alu 0xfffe
	s_or_b32 exec_lo, exec_lo, s19
	v_lshlrev_b32_e32 v1, 8, v27
	v_lshl_add_u32 v27, v31, 10, 0x2000
	s_delay_alu instid0(VALU_DEP_1) | instskip(SKIP_1) | instid1(VALU_DEP_1)
	v_and_or_b32 v1, 0x8000, v1, v27
	v_lshlrev_b32_e32 v27, 23, v29
	v_lshl_or_b32 v29, v1, 16, v27
.LBB265_505:                            ;   in Loop: Header=BB265_490 Depth=1
	s_wait_alu 0xfffe
	s_or_b32 exec_lo, exec_lo, s18
.LBB265_506:                            ;   in Loop: Header=BB265_490 Depth=1
	s_wait_alu 0xfffe
	s_or_b32 exec_lo, exec_lo, s17
.LBB265_507:                            ;   in Loop: Header=BB265_490 Depth=1
	s_wait_alu 0xfffe
	s_or_b32 exec_lo, exec_lo, s0
	v_lshrrev_b32_e32 v1, 16, v9
	v_mov_b32_e32 v27, 0
	s_mov_b32 s0, exec_lo
	s_delay_alu instid0(VALU_DEP_2) | instskip(NEXT) | instid1(VALU_DEP_1)
	v_dual_mov_b32 v31, 0 :: v_dual_and_b32 v32, 0xff, v1
	v_cmpx_ne_u16_e32 0, v32
	s_cbranch_execz .LBB265_515
; %bb.508:                              ;   in Loop: Header=BB265_490 Depth=1
	v_mov_b32_e32 v27, 0x8000
	s_mov_b32 s17, exec_lo
	v_cmpx_ne_u16_e32 0x80, v32
	s_cbranch_execz .LBB265_514
; %bb.509:                              ;   in Loop: Header=BB265_490 Depth=1
	v_bfe_u32 v33, v9, 16, 7
	v_mov_b32_e32 v27, 0x7c01
	s_mov_b32 s18, exec_lo
	s_delay_alu instid0(VALU_DEP_2)
	v_cmpx_ne_u32_e32 0x7f, v33
	s_cbranch_execz .LBB265_513
; %bb.510:                              ;   in Loop: Header=BB265_490 Depth=1
	v_and_b32_e32 v27, 7, v1
	v_lshrrev_b32_e32 v32, 3, v33
	s_mov_b32 s19, exec_lo
	v_cmpx_gt_u32_e32 8, v33
; %bb.511:                              ;   in Loop: Header=BB265_490 Depth=1
	s_delay_alu instid0(VALU_DEP_3) | instskip(NEXT) | instid1(VALU_DEP_1)
	v_clz_i32_u32_e32 v27, v27
	v_min_u32_e32 v27, 32, v27
	s_delay_alu instid0(VALU_DEP_1) | instskip(NEXT) | instid1(VALU_DEP_1)
	v_subrev_nc_u32_e32 v32, 28, v27
	v_lshlrev_b64_e32 v[33:34], v32, v[1:2]
	v_sub_nc_u32_e32 v32, 29, v27
	s_delay_alu instid0(VALU_DEP_2)
	v_and_b32_e32 v27, 7, v33
; %bb.512:                              ;   in Loop: Header=BB265_490 Depth=1
	s_wait_alu 0xfffe
	s_or_b32 exec_lo, exec_lo, s19
	v_lshlrev_b32_e32 v1, 8, v1
	v_lshl_add_u32 v32, v32, 10, 0x2000
	v_lshlrev_b32_e32 v27, 7, v27
	s_delay_alu instid0(VALU_DEP_3) | instskip(NEXT) | instid1(VALU_DEP_3)
	v_and_b32_e32 v1, 0x8000, v1
	v_and_b32_e32 v32, 0xfc00, v32
	s_delay_alu instid0(VALU_DEP_1)
	v_or3_b32 v27, v1, v32, v27
.LBB265_513:                            ;   in Loop: Header=BB265_490 Depth=1
	s_wait_alu 0xfffe
	s_or_b32 exec_lo, exec_lo, s18
.LBB265_514:                            ;   in Loop: Header=BB265_490 Depth=1
	s_wait_alu 0xfffe
	s_or_b32 exec_lo, exec_lo, s17
.LBB265_515:                            ;   in Loop: Header=BB265_490 Depth=1
	s_wait_alu 0xfffe
	s_or_b32 exec_lo, exec_lo, s0
	s_delay_alu instid0(SALU_CYCLE_1)
	s_mov_b32 s0, exec_lo
	v_cmpx_lt_u32_e32 0xffffff, v9
	s_cbranch_execz .LBB265_523
; %bb.516:                              ;   in Loop: Header=BB265_490 Depth=1
	v_lshrrev_b32_e32 v1, 24, v9
	v_bfrev_b32_e32 v31, 1
	s_mov_b32 s17, exec_lo
	s_delay_alu instid0(VALU_DEP_2)
	v_cmpx_ne_u32_e32 0x80, v1
	s_cbranch_execz .LBB265_522
; %bb.517:                              ;   in Loop: Header=BB265_490 Depth=1
	v_and_b32_e32 v33, 0x7f, v1
	v_mov_b32_e32 v31, 0x7c010000
	s_mov_b32 s18, exec_lo
	s_delay_alu instid0(VALU_DEP_2)
	v_cmpx_ne_u32_e32 0x7f, v33
	s_cbranch_execz .LBB265_521
; %bb.518:                              ;   in Loop: Header=BB265_490 Depth=1
	v_and_b32_e32 v31, 7, v1
	v_lshrrev_b32_e32 v32, 3, v33
	s_mov_b32 s19, exec_lo
	v_cmpx_gt_u32_e32 8, v33
; %bb.519:                              ;   in Loop: Header=BB265_490 Depth=1
	s_delay_alu instid0(VALU_DEP_3) | instskip(NEXT) | instid1(VALU_DEP_1)
	v_clz_i32_u32_e32 v31, v31
	v_min_u32_e32 v33, 32, v31
	s_delay_alu instid0(VALU_DEP_1) | instskip(NEXT) | instid1(VALU_DEP_1)
	v_subrev_nc_u32_e32 v31, 28, v33
	v_lshlrev_b64_e32 v[31:32], v31, v[1:2]
	v_sub_nc_u32_e32 v32, 29, v33
	s_delay_alu instid0(VALU_DEP_2)
	v_and_b32_e32 v31, 7, v31
; %bb.520:                              ;   in Loop: Header=BB265_490 Depth=1
	s_wait_alu 0xfffe
	s_or_b32 exec_lo, exec_lo, s19
	v_lshlrev_b32_e32 v1, 8, v1
	v_lshl_add_u32 v32, v32, 10, 0x2000
	v_lshlrev_b32_e32 v31, 23, v31
	s_delay_alu instid0(VALU_DEP_2) | instskip(NEXT) | instid1(VALU_DEP_1)
	v_and_or_b32 v1, 0x8000, v1, v32
	v_lshl_or_b32 v31, v1, 16, v31
.LBB265_521:                            ;   in Loop: Header=BB265_490 Depth=1
	s_wait_alu 0xfffe
	s_or_b32 exec_lo, exec_lo, s18
.LBB265_522:                            ;   in Loop: Header=BB265_490 Depth=1
	s_wait_alu 0xfffe
	s_or_b32 exec_lo, exec_lo, s17
.LBB265_523:                            ;   in Loop: Header=BB265_490 Depth=1
	s_wait_alu 0xfffe
	s_or_b32 exec_lo, exec_lo, s0
	v_dual_mov_b32 v1, v10 :: v_dual_and_b32 v34, 0xff, v10
	v_dual_mov_b32 v32, 0 :: v_dual_mov_b32 v33, 0
	s_mov_b32 s0, exec_lo
	s_delay_alu instid0(VALU_DEP_2)
	v_cmpx_ne_u16_e32 0, v34
	s_cbranch_execz .LBB265_531
; %bb.524:                              ;   in Loop: Header=BB265_490 Depth=1
	v_mov_b32_e32 v33, 0x8000
	s_mov_b32 s17, exec_lo
	v_cmpx_ne_u16_e32 0x80, v34
	s_cbranch_execz .LBB265_530
; %bb.525:                              ;   in Loop: Header=BB265_490 Depth=1
	v_and_b32_e32 v43, 0x7f, v10
	v_mov_b32_e32 v33, 0x7c01
	s_mov_b32 s18, exec_lo
	s_delay_alu instid0(VALU_DEP_2)
	v_cmpx_ne_u32_e32 0x7f, v43
	s_cbranch_execz .LBB265_529
; %bb.526:                              ;   in Loop: Header=BB265_490 Depth=1
	v_and_b32_e32 v33, 7, v10
	v_lshrrev_b32_e32 v34, 3, v43
	s_mov_b32 s19, exec_lo
	v_cmpx_gt_u32_e32 8, v43
; %bb.527:                              ;   in Loop: Header=BB265_490 Depth=1
	s_delay_alu instid0(VALU_DEP_3) | instskip(NEXT) | instid1(VALU_DEP_1)
	v_clz_i32_u32_e32 v33, v33
	v_min_u32_e32 v43, 32, v33
	s_delay_alu instid0(VALU_DEP_1) | instskip(NEXT) | instid1(VALU_DEP_1)
	v_subrev_nc_u32_e32 v33, 28, v43
	v_lshlrev_b64_e32 v[33:34], v33, v[1:2]
	v_sub_nc_u32_e32 v34, 29, v43
	s_delay_alu instid0(VALU_DEP_2)
	v_and_b32_e32 v33, 7, v33
; %bb.528:                              ;   in Loop: Header=BB265_490 Depth=1
	s_wait_alu 0xfffe
	s_or_b32 exec_lo, exec_lo, s19
	v_lshlrev_b32_e32 v43, 8, v10
	v_lshl_add_u32 v34, v34, 10, 0x2000
	v_lshlrev_b32_e32 v33, 7, v33
	s_delay_alu instid0(VALU_DEP_3) | instskip(NEXT) | instid1(VALU_DEP_3)
	v_and_b32_e32 v43, 0x8000, v43
	v_and_b32_e32 v34, 0xfc00, v34
	s_delay_alu instid0(VALU_DEP_1)
	v_or3_b32 v33, v43, v34, v33
.LBB265_529:                            ;   in Loop: Header=BB265_490 Depth=1
	s_wait_alu 0xfffe
	s_or_b32 exec_lo, exec_lo, s18
.LBB265_530:                            ;   in Loop: Header=BB265_490 Depth=1
	s_wait_alu 0xfffe
	s_or_b32 exec_lo, exec_lo, s17
.LBB265_531:                            ;   in Loop: Header=BB265_490 Depth=1
	s_wait_alu 0xfffe
	s_or_b32 exec_lo, exec_lo, s0
	v_lshrrev_b16 v1, 8, v1
	v_mov_b32_e32 v34, 0
	s_mov_b32 s0, exec_lo
	s_delay_alu instid0(VALU_DEP_2)
	v_cmpx_ne_u16_e32 0, v1
	s_cbranch_execz .LBB265_539
; %bb.532:                              ;   in Loop: Header=BB265_490 Depth=1
	v_bfrev_b32_e32 v34, 1
	s_mov_b32 s17, exec_lo
	v_cmpx_ne_u16_e32 0x80, v1
	s_cbranch_execz .LBB265_538
; %bb.533:                              ;   in Loop: Header=BB265_490 Depth=1
	v_and_b32_e32 v43, 0xffff, v1
	v_mov_b32_e32 v34, 0x7c010000
	s_mov_b32 s18, exec_lo
	s_delay_alu instid0(VALU_DEP_2) | instskip(NEXT) | instid1(VALU_DEP_1)
	v_and_b32_e32 v45, 0x7f, v43
	v_cmpx_ne_u32_e32 0x7f, v45
	s_cbranch_execz .LBB265_537
; %bb.534:                              ;   in Loop: Header=BB265_490 Depth=1
	v_and_b32_e32 v34, 7, v43
	v_lshrrev_b32_e32 v44, 3, v45
	s_mov_b32 s19, exec_lo
	v_cmpx_gt_u32_e32 8, v45
; %bb.535:                              ;   in Loop: Header=BB265_490 Depth=1
	s_delay_alu instid0(VALU_DEP_3) | instskip(NEXT) | instid1(VALU_DEP_1)
	v_clz_i32_u32_e32 v34, v34
	v_min_u32_e32 v34, 32, v34
	s_delay_alu instid0(VALU_DEP_1) | instskip(NEXT) | instid1(VALU_DEP_1)
	v_subrev_nc_u32_e32 v44, 28, v34
	v_lshlrev_b64_e32 v[45:46], v44, v[1:2]
	v_sub_nc_u32_e32 v44, 29, v34
	s_delay_alu instid0(VALU_DEP_2)
	v_and_b32_e32 v34, 7, v45
; %bb.536:                              ;   in Loop: Header=BB265_490 Depth=1
	s_wait_alu 0xfffe
	s_or_b32 exec_lo, exec_lo, s19
	v_lshlrev_b32_e32 v1, 8, v43
	v_lshl_add_u32 v43, v44, 10, 0x2000
	v_lshlrev_b32_e32 v34, 23, v34
	s_delay_alu instid0(VALU_DEP_2) | instskip(NEXT) | instid1(VALU_DEP_1)
	v_and_or_b32 v1, 0x8000, v1, v43
	v_lshl_or_b32 v34, v1, 16, v34
.LBB265_537:                            ;   in Loop: Header=BB265_490 Depth=1
	s_wait_alu 0xfffe
	s_or_b32 exec_lo, exec_lo, s18
.LBB265_538:                            ;   in Loop: Header=BB265_490 Depth=1
	s_wait_alu 0xfffe
	s_or_b32 exec_lo, exec_lo, s17
.LBB265_539:                            ;   in Loop: Header=BB265_490 Depth=1
	s_wait_alu 0xfffe
	s_or_b32 exec_lo, exec_lo, s0
	v_lshrrev_b32_e32 v1, 16, v10
	s_mov_b32 s0, exec_lo
	s_delay_alu instid0(VALU_DEP_1) | instskip(NEXT) | instid1(VALU_DEP_1)
	v_and_b32_e32 v43, 0xff, v1
	v_cmpx_ne_u16_e32 0, v43
	s_cbranch_execz .LBB265_547
; %bb.540:                              ;   in Loop: Header=BB265_490 Depth=1
	v_mov_b32_e32 v32, 0x8000
	s_mov_b32 s17, exec_lo
	v_cmpx_ne_u16_e32 0x80, v43
	s_cbranch_execz .LBB265_546
; %bb.541:                              ;   in Loop: Header=BB265_490 Depth=1
	v_bfe_u32 v44, v10, 16, 7
	v_mov_b32_e32 v32, 0x7c01
	s_mov_b32 s18, exec_lo
	s_delay_alu instid0(VALU_DEP_2)
	v_cmpx_ne_u32_e32 0x7f, v44
	s_cbranch_execz .LBB265_545
; %bb.542:                              ;   in Loop: Header=BB265_490 Depth=1
	v_and_b32_e32 v32, 7, v1
	v_lshrrev_b32_e32 v43, 3, v44
	s_mov_b32 s19, exec_lo
	v_cmpx_gt_u32_e32 8, v44
; %bb.543:                              ;   in Loop: Header=BB265_490 Depth=1
	s_delay_alu instid0(VALU_DEP_3) | instskip(NEXT) | instid1(VALU_DEP_1)
	v_clz_i32_u32_e32 v32, v32
	v_min_u32_e32 v32, 32, v32
	s_delay_alu instid0(VALU_DEP_1) | instskip(NEXT) | instid1(VALU_DEP_1)
	v_subrev_nc_u32_e32 v43, 28, v32
	v_lshlrev_b64_e32 v[44:45], v43, v[1:2]
	v_sub_nc_u32_e32 v43, 29, v32
	s_delay_alu instid0(VALU_DEP_2)
	v_and_b32_e32 v32, 7, v44
; %bb.544:                              ;   in Loop: Header=BB265_490 Depth=1
	s_wait_alu 0xfffe
	s_or_b32 exec_lo, exec_lo, s19
	v_lshlrev_b32_e32 v1, 8, v1
	v_lshl_add_u32 v43, v43, 10, 0x2000
	v_lshlrev_b32_e32 v32, 7, v32
	s_delay_alu instid0(VALU_DEP_3) | instskip(NEXT) | instid1(VALU_DEP_3)
	v_and_b32_e32 v1, 0x8000, v1
	v_and_b32_e32 v43, 0xfc00, v43
	s_delay_alu instid0(VALU_DEP_1)
	v_or3_b32 v32, v1, v43, v32
.LBB265_545:                            ;   in Loop: Header=BB265_490 Depth=1
	s_wait_alu 0xfffe
	s_or_b32 exec_lo, exec_lo, s18
.LBB265_546:                            ;   in Loop: Header=BB265_490 Depth=1
	s_wait_alu 0xfffe
	s_or_b32 exec_lo, exec_lo, s17
.LBB265_547:                            ;   in Loop: Header=BB265_490 Depth=1
	s_wait_alu 0xfffe
	s_or_b32 exec_lo, exec_lo, s0
	v_cmp_lt_u64_e32 vcc_lo, s[2:3], v[9:10]
	v_mov_b32_e32 v9, 0
	s_and_saveexec_b32 s0, vcc_lo
	s_cbranch_execz .LBB265_555
; %bb.548:                              ;   in Loop: Header=BB265_490 Depth=1
	v_lshrrev_b32_e32 v1, 24, v10
	v_bfrev_b32_e32 v9, 1
	s_mov_b32 s17, exec_lo
	s_delay_alu instid0(VALU_DEP_2)
	v_cmpx_ne_u32_e32 0x80, v1
	s_cbranch_execz .LBB265_554
; %bb.549:                              ;   in Loop: Header=BB265_490 Depth=1
	v_and_b32_e32 v43, 0x7f, v1
	v_mov_b32_e32 v9, 0x7c010000
	s_mov_b32 s18, exec_lo
	s_delay_alu instid0(VALU_DEP_2)
	v_cmpx_ne_u32_e32 0x7f, v43
	s_cbranch_execz .LBB265_553
; %bb.550:                              ;   in Loop: Header=BB265_490 Depth=1
	v_and_b32_e32 v9, 7, v1
	v_lshrrev_b32_e32 v10, 3, v43
	s_mov_b32 s19, exec_lo
	v_cmpx_gt_u32_e32 8, v43
; %bb.551:                              ;   in Loop: Header=BB265_490 Depth=1
	s_delay_alu instid0(VALU_DEP_3) | instskip(NEXT) | instid1(VALU_DEP_1)
	v_clz_i32_u32_e32 v9, v9
	v_min_u32_e32 v43, 32, v9
	s_delay_alu instid0(VALU_DEP_1) | instskip(NEXT) | instid1(VALU_DEP_1)
	v_subrev_nc_u32_e32 v9, 28, v43
	v_lshlrev_b64_e32 v[9:10], v9, v[1:2]
	v_sub_nc_u32_e32 v10, 29, v43
	s_delay_alu instid0(VALU_DEP_2)
	v_and_b32_e32 v9, 7, v9
; %bb.552:                              ;   in Loop: Header=BB265_490 Depth=1
	s_wait_alu 0xfffe
	s_or_b32 exec_lo, exec_lo, s19
	v_lshlrev_b32_e32 v1, 8, v1
	v_lshl_add_u32 v10, v10, 10, 0x2000
	v_lshlrev_b32_e32 v9, 23, v9
	s_delay_alu instid0(VALU_DEP_2) | instskip(NEXT) | instid1(VALU_DEP_1)
	v_and_or_b32 v1, 0x8000, v1, v10
	v_lshl_or_b32 v9, v1, 16, v9
.LBB265_553:                            ;   in Loop: Header=BB265_490 Depth=1
	s_wait_alu 0xfffe
	s_or_b32 exec_lo, exec_lo, s18
.LBB265_554:                            ;   in Loop: Header=BB265_490 Depth=1
	s_wait_alu 0xfffe
	s_or_b32 exec_lo, exec_lo, s17
.LBB265_555:                            ;   in Loop: Header=BB265_490 Depth=1
	s_wait_alu 0xfffe
	s_or_b32 exec_lo, exec_lo, s0
	v_or_b32_e32 v1, v31, v27
	v_fma_mixlo_f16 v10, v28, v31, 0 op_sel:[0,1,0] op_sel_hi:[0,1,0]
	v_or_b32_e32 v30, v29, v30
	v_fma_mixlo_f16 v29, v28, v29, 0 op_sel:[0,1,0] op_sel_hi:[0,1,0]
	v_or_b32_e32 v31, v34, v33
	v_fma_mixlo_f16 v1, v28, v1, 0 op_sel_hi:[0,1,0]
	v_or_b32_e32 v32, v9, v32
	v_fma_mixlo_f16 v9, v28, v9, 0 op_sel:[0,1,0] op_sel_hi:[0,1,0]
	v_lshlrev_b32_e32 v49, 16, v29
	v_fma_mixlo_f16 v29, v28, v34, 0 op_sel:[0,1,0] op_sel_hi:[0,1,0]
	v_and_b32_e32 v46, 0xffff, v1
	v_fma_mixlo_f16 v1, v28, v30, 0 op_sel_hi:[0,1,0]
	v_fma_mixlo_f16 v30, v28, v31, 0 op_sel_hi:[0,1,0]
	;; [unrolled: 1-line block ×3, first 2 shown]
	v_add_nc_u32_e32 v27, v26, v14
	v_lshlrev_b32_e32 v10, 16, v10
	v_and_b32_e32 v51, 0xffff, v1
	v_lshlrev_b32_e32 v47, 16, v29
	v_and_b32_e32 v50, 0xffff, v30
	;; [unrolled: 2-line block ×3, first 2 shown]
	v_cmp_eq_u32_e32 vcc_lo, s36, v15
	v_or_b32_e32 v1, v10, v46
	v_or_b32_e32 v9, v49, v51
	;; [unrolled: 1-line block ×4, first 2 shown]
	v_add_nc_u32_e32 v34, 1, v27
	v_add_nc_u32_e32 v33, 2, v27
	;; [unrolled: 1-line block ×7, first 2 shown]
	s_and_saveexec_b32 s17, vcc_lo
	s_cbranch_execz .LBB265_557
; %bb.556:                              ;   in Loop: Header=BB265_490 Depth=1
	v_cmp_gt_i32_e64 s0, s34, v27
	s_wait_alu 0xf1ff
	s_delay_alu instid0(VALU_DEP_1) | instskip(SKIP_2) | instid1(VALU_DEP_1)
	v_cndmask_b32_e64 v1, 0, v51, s0
	v_cmp_gt_i32_e64 s0, s34, v34
	s_wait_alu 0xf1ff
	v_cndmask_b32_e64 v9, 0, v49, s0
	v_cmp_gt_i32_e64 s0, s34, v33
	s_delay_alu instid0(VALU_DEP_2) | instskip(SKIP_1) | instid1(VALU_DEP_2)
	v_or_b32_e32 v9, v9, v1
	s_wait_alu 0xf1ff
	v_cndmask_b32_e64 v43, 0, v46, s0
	v_cmp_gt_i32_e64 s0, s34, v32
	s_wait_alu 0xf1ff
	s_delay_alu instid0(VALU_DEP_1) | instskip(SKIP_1) | instid1(VALU_DEP_2)
	v_cndmask_b32_e64 v10, 0, v10, s0
	v_cmp_gt_i32_e64 s0, s34, v31
	v_or_b32_e32 v1, v10, v43
	s_wait_alu 0xf1ff
	s_delay_alu instid0(VALU_DEP_2) | instskip(SKIP_2) | instid1(VALU_DEP_1)
	v_cndmask_b32_e64 v45, 0, v50, s0
	v_cmp_gt_i32_e64 s0, s34, v30
	s_wait_alu 0xf1ff
	v_cndmask_b32_e64 v46, 0, v47, s0
	v_cmp_gt_i32_e64 s0, s34, v29
	s_delay_alu instid0(VALU_DEP_2) | instskip(SKIP_1) | instid1(VALU_DEP_2)
	v_or_b32_e32 v43, v46, v45
	s_wait_alu 0xf1ff
	v_cndmask_b32_e64 v47, 0, v48, s0
	v_cmp_gt_i32_e64 s0, s34, v28
	s_wait_alu 0xf1ff
	s_delay_alu instid0(VALU_DEP_1) | instskip(NEXT) | instid1(VALU_DEP_1)
	v_cndmask_b32_e64 v44, 0, v44, s0
	v_or_b32_e32 v45, v44, v47
.LBB265_557:                            ;   in Loop: Header=BB265_490 Depth=1
	s_wait_alu 0xfffe
	s_or_b32 exec_lo, exec_lo, s17
	v_and_b32_e32 v10, 0xffff, v35
	v_and_b32_e32 v35, 0xffff, v39
	;; [unrolled: 1-line block ×4, first 2 shown]
	s_mov_b32 s17, exec_lo
	v_lshl_or_b32 v40, v36, 16, v10
	v_lshl_or_b32 v39, v37, 16, v35
	;;#ASMSTART
	v_pk_mul_f16 v9, v40, v9;

	;;#ASMEND
	;;#ASMSTART
	v_pk_mul_f16 v1, v39, v1;

	;;#ASMEND
	v_lshl_or_b32 v38, v38, 16, v44
	v_lshl_or_b32 v37, v41, 16, v42
	;;#ASMSTART
	v_pk_mul_f16 v10, v38, v43;

	;;#ASMEND
	;;#ASMSTART
	v_pk_mul_f16 v35, v37, v45;

	;;#ASMEND
	;;#ASMSTART
	v_pk_add_f16 v1, v9, v1;

	;;#ASMEND
	;;#ASMSTART
	v_pk_add_f16 v1, v1, v10;

	;;#ASMEND
	;;#ASMSTART
	v_pk_add_f16 v1, v1, v35;

	;;#ASMEND
	v_and_b32_e32 v9, 0xffff, v1
	v_lshrrev_b32_e32 v1, 16, v1
	;;#ASMSTART
	v_cvt_f32_f16 v35, v9;
	;;#ASMEND
	;;#ASMSTART
	v_cvt_f32_f16 v36, v1;
	;;#ASMEND
	global_load_b64 v[9:10], v[7:8], off offset:256
	v_dual_mov_b32 v42, 0 :: v_dual_mov_b32 v43, 0
	global_load_b32 v41, v42, s[10:11]
	s_wait_loadcnt 0x1
	v_and_b32_e32 v1, 0xff, v9
	s_delay_alu instid0(VALU_DEP_1)
	v_cmpx_ne_u16_e32 0, v1
	s_cbranch_execz .LBB265_565
; %bb.558:                              ;   in Loop: Header=BB265_490 Depth=1
	v_mov_b32_e32 v43, 0x8000
	s_mov_b32 s18, exec_lo
	v_cmpx_ne_u16_e32 0x80, v1
	s_cbranch_execz .LBB265_564
; %bb.559:                              ;   in Loop: Header=BB265_490 Depth=1
	v_and_b32_e32 v44, 0x7f, v9
	v_mov_b32_e32 v43, 0x7c01
	s_mov_b32 s19, exec_lo
	s_delay_alu instid0(VALU_DEP_2)
	v_cmpx_ne_u32_e32 0x7f, v44
	s_cbranch_execz .LBB265_563
; %bb.560:                              ;   in Loop: Header=BB265_490 Depth=1
	v_and_b32_e32 v1, 7, v9
	v_lshrrev_b32_e32 v43, 3, v44
	s_mov_b32 s24, exec_lo
	v_cmpx_gt_u32_e32 8, v44
; %bb.561:                              ;   in Loop: Header=BB265_490 Depth=1
	s_delay_alu instid0(VALU_DEP_3) | instskip(NEXT) | instid1(VALU_DEP_1)
	v_clz_i32_u32_e32 v1, v1
	v_min_u32_e32 v1, 32, v1
	s_delay_alu instid0(VALU_DEP_1) | instskip(NEXT) | instid1(VALU_DEP_1)
	v_subrev_nc_u32_e32 v43, 28, v1
	v_lshlrev_b64_e32 v[44:45], v43, v[9:10]
	v_sub_nc_u32_e32 v43, 29, v1
	s_delay_alu instid0(VALU_DEP_2)
	v_and_b32_e32 v1, 7, v44
; %bb.562:                              ;   in Loop: Header=BB265_490 Depth=1
	s_wait_alu 0xfffe
	s_or_b32 exec_lo, exec_lo, s24
	v_lshlrev_b32_e32 v44, 8, v9
	v_lshl_add_u32 v43, v43, 10, 0x2000
	v_lshlrev_b32_e32 v1, 7, v1
	s_delay_alu instid0(VALU_DEP_3) | instskip(NEXT) | instid1(VALU_DEP_3)
	v_and_b32_e32 v44, 0x8000, v44
	v_and_b32_e32 v43, 0xfc00, v43
	s_delay_alu instid0(VALU_DEP_1)
	v_or3_b32 v43, v44, v43, v1
.LBB265_563:                            ;   in Loop: Header=BB265_490 Depth=1
	s_wait_alu 0xfffe
	s_or_b32 exec_lo, exec_lo, s19
.LBB265_564:                            ;   in Loop: Header=BB265_490 Depth=1
	s_wait_alu 0xfffe
	s_or_b32 exec_lo, exec_lo, s18
.LBB265_565:                            ;   in Loop: Header=BB265_490 Depth=1
	s_wait_alu 0xfffe
	s_or_b32 exec_lo, exec_lo, s17
	v_lshrrev_b16 v1, 8, v9
	s_mov_b32 s17, exec_lo
	s_delay_alu instid0(VALU_DEP_1)
	v_cmpx_ne_u16_e32 0, v1
	s_cbranch_execz .LBB265_573
; %bb.566:                              ;   in Loop: Header=BB265_490 Depth=1
	v_bfrev_b32_e32 v42, 1
	s_mov_b32 s18, exec_lo
	v_cmpx_ne_u16_e32 0x80, v1
	s_cbranch_execz .LBB265_572
; %bb.567:                              ;   in Loop: Header=BB265_490 Depth=1
	v_and_b32_e32 v44, 0xffff, v1
	v_mov_b32_e32 v42, 0x7c010000
	s_mov_b32 s19, exec_lo
	s_delay_alu instid0(VALU_DEP_2) | instskip(NEXT) | instid1(VALU_DEP_1)
	v_and_b32_e32 v46, 0x7f, v44
	v_cmpx_ne_u32_e32 0x7f, v46
	s_cbranch_execz .LBB265_571
; %bb.568:                              ;   in Loop: Header=BB265_490 Depth=1
	v_and_b32_e32 v42, 7, v44
	v_lshrrev_b32_e32 v45, 3, v46
	s_mov_b32 s24, exec_lo
	v_cmpx_gt_u32_e32 8, v46
; %bb.569:                              ;   in Loop: Header=BB265_490 Depth=1
	s_delay_alu instid0(VALU_DEP_3) | instskip(NEXT) | instid1(VALU_DEP_1)
	v_clz_i32_u32_e32 v42, v42
	v_min_u32_e32 v42, 32, v42
	s_delay_alu instid0(VALU_DEP_1) | instskip(NEXT) | instid1(VALU_DEP_1)
	v_subrev_nc_u32_e32 v45, 28, v42
	v_lshlrev_b64_e32 v[46:47], v45, v[1:2]
	v_sub_nc_u32_e32 v45, 29, v42
	s_delay_alu instid0(VALU_DEP_2)
	v_and_b32_e32 v42, 7, v46
; %bb.570:                              ;   in Loop: Header=BB265_490 Depth=1
	s_wait_alu 0xfffe
	s_or_b32 exec_lo, exec_lo, s24
	v_lshlrev_b32_e32 v1, 8, v44
	v_lshl_add_u32 v44, v45, 10, 0x2000
	v_lshlrev_b32_e32 v42, 23, v42
	s_delay_alu instid0(VALU_DEP_2) | instskip(NEXT) | instid1(VALU_DEP_1)
	v_and_or_b32 v1, 0x8000, v1, v44
	v_lshl_or_b32 v42, v1, 16, v42
.LBB265_571:                            ;   in Loop: Header=BB265_490 Depth=1
	s_wait_alu 0xfffe
	s_or_b32 exec_lo, exec_lo, s19
.LBB265_572:                            ;   in Loop: Header=BB265_490 Depth=1
	s_wait_alu 0xfffe
	s_or_b32 exec_lo, exec_lo, s18
.LBB265_573:                            ;   in Loop: Header=BB265_490 Depth=1
	s_wait_alu 0xfffe
	s_or_b32 exec_lo, exec_lo, s17
	v_lshrrev_b32_e32 v1, 16, v9
	v_mov_b32_e32 v44, 0
	s_mov_b32 s17, exec_lo
	s_delay_alu instid0(VALU_DEP_2) | instskip(NEXT) | instid1(VALU_DEP_1)
	v_dual_mov_b32 v45, 0 :: v_dual_and_b32 v46, 0xff, v1
	v_cmpx_ne_u16_e32 0, v46
	s_cbranch_execz .LBB265_581
; %bb.574:                              ;   in Loop: Header=BB265_490 Depth=1
	v_mov_b32_e32 v45, 0x8000
	s_mov_b32 s18, exec_lo
	v_cmpx_ne_u16_e32 0x80, v46
	s_cbranch_execz .LBB265_580
; %bb.575:                              ;   in Loop: Header=BB265_490 Depth=1
	v_bfe_u32 v47, v9, 16, 7
	v_mov_b32_e32 v45, 0x7c01
	s_mov_b32 s19, exec_lo
	s_delay_alu instid0(VALU_DEP_2)
	v_cmpx_ne_u32_e32 0x7f, v47
	s_cbranch_execz .LBB265_579
; %bb.576:                              ;   in Loop: Header=BB265_490 Depth=1
	v_and_b32_e32 v45, 7, v1
	v_lshrrev_b32_e32 v46, 3, v47
	s_mov_b32 s24, exec_lo
	v_cmpx_gt_u32_e32 8, v47
; %bb.577:                              ;   in Loop: Header=BB265_490 Depth=1
	s_delay_alu instid0(VALU_DEP_3) | instskip(NEXT) | instid1(VALU_DEP_1)
	v_clz_i32_u32_e32 v45, v45
	v_min_u32_e32 v47, 32, v45
	s_delay_alu instid0(VALU_DEP_1) | instskip(NEXT) | instid1(VALU_DEP_1)
	v_subrev_nc_u32_e32 v45, 28, v47
	v_lshlrev_b64_e32 v[45:46], v45, v[1:2]
	v_sub_nc_u32_e32 v46, 29, v47
	s_delay_alu instid0(VALU_DEP_2)
	v_and_b32_e32 v45, 7, v45
; %bb.578:                              ;   in Loop: Header=BB265_490 Depth=1
	s_wait_alu 0xfffe
	s_or_b32 exec_lo, exec_lo, s24
	v_lshlrev_b32_e32 v1, 8, v1
	v_lshl_add_u32 v46, v46, 10, 0x2000
	v_lshlrev_b32_e32 v45, 7, v45
	s_delay_alu instid0(VALU_DEP_3) | instskip(NEXT) | instid1(VALU_DEP_3)
	v_and_b32_e32 v1, 0x8000, v1
	v_and_b32_e32 v46, 0xfc00, v46
	s_delay_alu instid0(VALU_DEP_1)
	v_or3_b32 v45, v1, v46, v45
.LBB265_579:                            ;   in Loop: Header=BB265_490 Depth=1
	s_wait_alu 0xfffe
	s_or_b32 exec_lo, exec_lo, s19
.LBB265_580:                            ;   in Loop: Header=BB265_490 Depth=1
	s_wait_alu 0xfffe
	s_or_b32 exec_lo, exec_lo, s18
.LBB265_581:                            ;   in Loop: Header=BB265_490 Depth=1
	s_wait_alu 0xfffe
	s_or_b32 exec_lo, exec_lo, s17
	s_delay_alu instid0(SALU_CYCLE_1)
	s_mov_b32 s17, exec_lo
	v_cmpx_lt_u32_e32 0xffffff, v9
	s_cbranch_execz .LBB265_589
; %bb.582:                              ;   in Loop: Header=BB265_490 Depth=1
	v_lshrrev_b32_e32 v1, 24, v9
	v_bfrev_b32_e32 v44, 1
	s_mov_b32 s18, exec_lo
	s_delay_alu instid0(VALU_DEP_2)
	v_cmpx_ne_u32_e32 0x80, v1
	s_cbranch_execz .LBB265_588
; %bb.583:                              ;   in Loop: Header=BB265_490 Depth=1
	v_and_b32_e32 v47, 0x7f, v1
	v_mov_b32_e32 v44, 0x7c010000
	s_mov_b32 s19, exec_lo
	s_delay_alu instid0(VALU_DEP_2)
	v_cmpx_ne_u32_e32 0x7f, v47
	s_cbranch_execz .LBB265_587
; %bb.584:                              ;   in Loop: Header=BB265_490 Depth=1
	v_and_b32_e32 v44, 7, v1
	v_lshrrev_b32_e32 v46, 3, v47
	s_mov_b32 s24, exec_lo
	v_cmpx_gt_u32_e32 8, v47
; %bb.585:                              ;   in Loop: Header=BB265_490 Depth=1
	s_delay_alu instid0(VALU_DEP_3) | instskip(NEXT) | instid1(VALU_DEP_1)
	v_clz_i32_u32_e32 v44, v44
	v_min_u32_e32 v44, 32, v44
	s_delay_alu instid0(VALU_DEP_1) | instskip(NEXT) | instid1(VALU_DEP_1)
	v_subrev_nc_u32_e32 v46, 28, v44
	v_lshlrev_b64_e32 v[47:48], v46, v[1:2]
	v_sub_nc_u32_e32 v46, 29, v44
	s_delay_alu instid0(VALU_DEP_2)
	v_and_b32_e32 v44, 7, v47
; %bb.586:                              ;   in Loop: Header=BB265_490 Depth=1
	s_wait_alu 0xfffe
	s_or_b32 exec_lo, exec_lo, s24
	v_lshlrev_b32_e32 v1, 8, v1
	v_lshl_add_u32 v46, v46, 10, 0x2000
	v_lshlrev_b32_e32 v44, 23, v44
	s_delay_alu instid0(VALU_DEP_2) | instskip(NEXT) | instid1(VALU_DEP_1)
	v_and_or_b32 v1, 0x8000, v1, v46
	v_lshl_or_b32 v44, v1, 16, v44
.LBB265_587:                            ;   in Loop: Header=BB265_490 Depth=1
	s_wait_alu 0xfffe
	s_or_b32 exec_lo, exec_lo, s19
.LBB265_588:                            ;   in Loop: Header=BB265_490 Depth=1
	s_wait_alu 0xfffe
	s_or_b32 exec_lo, exec_lo, s18
.LBB265_589:                            ;   in Loop: Header=BB265_490 Depth=1
	s_wait_alu 0xfffe
	s_or_b32 exec_lo, exec_lo, s17
	v_dual_mov_b32 v1, v10 :: v_dual_and_b32 v48, 0xff, v10
	v_dual_mov_b32 v46, 0 :: v_dual_mov_b32 v47, 0
	s_mov_b32 s17, exec_lo
	s_delay_alu instid0(VALU_DEP_2)
	v_cmpx_ne_u16_e32 0, v48
	s_cbranch_execz .LBB265_597
; %bb.590:                              ;   in Loop: Header=BB265_490 Depth=1
	v_mov_b32_e32 v47, 0x8000
	s_mov_b32 s18, exec_lo
	v_cmpx_ne_u16_e32 0x80, v48
	s_cbranch_execz .LBB265_596
; %bb.591:                              ;   in Loop: Header=BB265_490 Depth=1
	v_and_b32_e32 v49, 0x7f, v10
	v_mov_b32_e32 v47, 0x7c01
	s_mov_b32 s19, exec_lo
	s_delay_alu instid0(VALU_DEP_2)
	v_cmpx_ne_u32_e32 0x7f, v49
	s_cbranch_execz .LBB265_595
; %bb.592:                              ;   in Loop: Header=BB265_490 Depth=1
	v_and_b32_e32 v47, 7, v10
	v_lshrrev_b32_e32 v48, 3, v49
	s_mov_b32 s24, exec_lo
	v_cmpx_gt_u32_e32 8, v49
; %bb.593:                              ;   in Loop: Header=BB265_490 Depth=1
	s_delay_alu instid0(VALU_DEP_3) | instskip(NEXT) | instid1(VALU_DEP_1)
	v_clz_i32_u32_e32 v47, v47
	v_min_u32_e32 v49, 32, v47
	s_delay_alu instid0(VALU_DEP_1) | instskip(NEXT) | instid1(VALU_DEP_1)
	v_subrev_nc_u32_e32 v47, 28, v49
	v_lshlrev_b64_e32 v[47:48], v47, v[1:2]
	v_sub_nc_u32_e32 v48, 29, v49
	s_delay_alu instid0(VALU_DEP_2)
	v_and_b32_e32 v47, 7, v47
; %bb.594:                              ;   in Loop: Header=BB265_490 Depth=1
	s_wait_alu 0xfffe
	s_or_b32 exec_lo, exec_lo, s24
	v_lshlrev_b32_e32 v49, 8, v10
	v_lshl_add_u32 v48, v48, 10, 0x2000
	v_lshlrev_b32_e32 v47, 7, v47
	s_delay_alu instid0(VALU_DEP_3) | instskip(NEXT) | instid1(VALU_DEP_3)
	v_and_b32_e32 v49, 0x8000, v49
	v_and_b32_e32 v48, 0xfc00, v48
	s_delay_alu instid0(VALU_DEP_1)
	v_or3_b32 v47, v49, v48, v47
.LBB265_595:                            ;   in Loop: Header=BB265_490 Depth=1
	s_wait_alu 0xfffe
	s_or_b32 exec_lo, exec_lo, s19
.LBB265_596:                            ;   in Loop: Header=BB265_490 Depth=1
	s_wait_alu 0xfffe
	s_or_b32 exec_lo, exec_lo, s18
.LBB265_597:                            ;   in Loop: Header=BB265_490 Depth=1
	s_wait_alu 0xfffe
	s_or_b32 exec_lo, exec_lo, s17
	v_lshrrev_b16 v1, 8, v1
	v_mov_b32_e32 v48, 0
	s_mov_b32 s17, exec_lo
	s_delay_alu instid0(VALU_DEP_2)
	v_cmpx_ne_u16_e32 0, v1
	s_cbranch_execz .LBB265_605
; %bb.598:                              ;   in Loop: Header=BB265_490 Depth=1
	v_bfrev_b32_e32 v48, 1
	s_mov_b32 s18, exec_lo
	v_cmpx_ne_u16_e32 0x80, v1
	s_cbranch_execz .LBB265_604
; %bb.599:                              ;   in Loop: Header=BB265_490 Depth=1
	v_and_b32_e32 v49, 0xffff, v1
	v_mov_b32_e32 v48, 0x7c010000
	s_mov_b32 s19, exec_lo
	s_delay_alu instid0(VALU_DEP_2) | instskip(NEXT) | instid1(VALU_DEP_1)
	v_and_b32_e32 v51, 0x7f, v49
	v_cmpx_ne_u32_e32 0x7f, v51
	s_cbranch_execz .LBB265_603
; %bb.600:                              ;   in Loop: Header=BB265_490 Depth=1
	v_and_b32_e32 v48, 7, v49
	v_lshrrev_b32_e32 v50, 3, v51
	s_mov_b32 s24, exec_lo
	v_cmpx_gt_u32_e32 8, v51
; %bb.601:                              ;   in Loop: Header=BB265_490 Depth=1
	s_delay_alu instid0(VALU_DEP_3) | instskip(NEXT) | instid1(VALU_DEP_1)
	v_clz_i32_u32_e32 v48, v48
	v_min_u32_e32 v48, 32, v48
	s_delay_alu instid0(VALU_DEP_1) | instskip(NEXT) | instid1(VALU_DEP_1)
	v_subrev_nc_u32_e32 v50, 28, v48
	v_lshlrev_b64_e32 v[51:52], v50, v[1:2]
	v_sub_nc_u32_e32 v50, 29, v48
	s_delay_alu instid0(VALU_DEP_2)
	v_and_b32_e32 v48, 7, v51
; %bb.602:                              ;   in Loop: Header=BB265_490 Depth=1
	s_wait_alu 0xfffe
	s_or_b32 exec_lo, exec_lo, s24
	v_lshlrev_b32_e32 v1, 8, v49
	v_lshl_add_u32 v49, v50, 10, 0x2000
	v_lshlrev_b32_e32 v48, 23, v48
	s_delay_alu instid0(VALU_DEP_2) | instskip(NEXT) | instid1(VALU_DEP_1)
	v_and_or_b32 v1, 0x8000, v1, v49
	v_lshl_or_b32 v48, v1, 16, v48
.LBB265_603:                            ;   in Loop: Header=BB265_490 Depth=1
	s_wait_alu 0xfffe
	s_or_b32 exec_lo, exec_lo, s19
.LBB265_604:                            ;   in Loop: Header=BB265_490 Depth=1
	s_wait_alu 0xfffe
	s_or_b32 exec_lo, exec_lo, s18
.LBB265_605:                            ;   in Loop: Header=BB265_490 Depth=1
	s_wait_alu 0xfffe
	s_or_b32 exec_lo, exec_lo, s17
	v_lshrrev_b32_e32 v1, 16, v10
	s_mov_b32 s17, exec_lo
	s_delay_alu instid0(VALU_DEP_1) | instskip(NEXT) | instid1(VALU_DEP_1)
	v_and_b32_e32 v49, 0xff, v1
	v_cmpx_ne_u16_e32 0, v49
	s_cbranch_execz .LBB265_613
; %bb.606:                              ;   in Loop: Header=BB265_490 Depth=1
	v_mov_b32_e32 v46, 0x8000
	s_mov_b32 s18, exec_lo
	v_cmpx_ne_u16_e32 0x80, v49
	s_cbranch_execz .LBB265_612
; %bb.607:                              ;   in Loop: Header=BB265_490 Depth=1
	v_bfe_u32 v50, v10, 16, 7
	v_mov_b32_e32 v46, 0x7c01
	s_mov_b32 s19, exec_lo
	s_delay_alu instid0(VALU_DEP_2)
	v_cmpx_ne_u32_e32 0x7f, v50
	s_cbranch_execz .LBB265_611
; %bb.608:                              ;   in Loop: Header=BB265_490 Depth=1
	v_and_b32_e32 v46, 7, v1
	v_lshrrev_b32_e32 v49, 3, v50
	s_mov_b32 s24, exec_lo
	v_cmpx_gt_u32_e32 8, v50
; %bb.609:                              ;   in Loop: Header=BB265_490 Depth=1
	s_delay_alu instid0(VALU_DEP_3) | instskip(NEXT) | instid1(VALU_DEP_1)
	v_clz_i32_u32_e32 v46, v46
	v_min_u32_e32 v46, 32, v46
	s_delay_alu instid0(VALU_DEP_1) | instskip(NEXT) | instid1(VALU_DEP_1)
	v_subrev_nc_u32_e32 v49, 28, v46
	v_lshlrev_b64_e32 v[50:51], v49, v[1:2]
	v_sub_nc_u32_e32 v49, 29, v46
	s_delay_alu instid0(VALU_DEP_2)
	v_and_b32_e32 v46, 7, v50
; %bb.610:                              ;   in Loop: Header=BB265_490 Depth=1
	s_wait_alu 0xfffe
	s_or_b32 exec_lo, exec_lo, s24
	v_lshlrev_b32_e32 v1, 8, v1
	v_lshl_add_u32 v49, v49, 10, 0x2000
	v_lshlrev_b32_e32 v46, 7, v46
	s_delay_alu instid0(VALU_DEP_3) | instskip(NEXT) | instid1(VALU_DEP_3)
	v_and_b32_e32 v1, 0x8000, v1
	v_and_b32_e32 v49, 0xfc00, v49
	s_delay_alu instid0(VALU_DEP_1)
	v_or3_b32 v46, v1, v49, v46
.LBB265_611:                            ;   in Loop: Header=BB265_490 Depth=1
	s_wait_alu 0xfffe
	s_or_b32 exec_lo, exec_lo, s19
.LBB265_612:                            ;   in Loop: Header=BB265_490 Depth=1
	s_wait_alu 0xfffe
	s_or_b32 exec_lo, exec_lo, s18
.LBB265_613:                            ;   in Loop: Header=BB265_490 Depth=1
	s_wait_alu 0xfffe
	s_or_b32 exec_lo, exec_lo, s17
	v_cmp_lt_u64_e64 s0, s[2:3], v[9:10]
	v_mov_b32_e32 v9, 0
	s_and_saveexec_b32 s17, s0
	s_cbranch_execz .LBB265_621
; %bb.614:                              ;   in Loop: Header=BB265_490 Depth=1
	v_lshrrev_b32_e32 v1, 24, v10
	v_bfrev_b32_e32 v9, 1
	s_mov_b32 s18, exec_lo
	s_delay_alu instid0(VALU_DEP_2)
	v_cmpx_ne_u32_e32 0x80, v1
	s_cbranch_execz .LBB265_620
; %bb.615:                              ;   in Loop: Header=BB265_490 Depth=1
	v_and_b32_e32 v49, 0x7f, v1
	v_mov_b32_e32 v9, 0x7c010000
	s_mov_b32 s19, exec_lo
	s_delay_alu instid0(VALU_DEP_2)
	v_cmpx_ne_u32_e32 0x7f, v49
	s_cbranch_execz .LBB265_619
; %bb.616:                              ;   in Loop: Header=BB265_490 Depth=1
	v_and_b32_e32 v9, 7, v1
	v_lshrrev_b32_e32 v10, 3, v49
	s_mov_b32 s24, exec_lo
	v_cmpx_gt_u32_e32 8, v49
; %bb.617:                              ;   in Loop: Header=BB265_490 Depth=1
	s_delay_alu instid0(VALU_DEP_3) | instskip(NEXT) | instid1(VALU_DEP_1)
	v_clz_i32_u32_e32 v9, v9
	v_min_u32_e32 v49, 32, v9
	s_delay_alu instid0(VALU_DEP_1) | instskip(NEXT) | instid1(VALU_DEP_1)
	v_subrev_nc_u32_e32 v9, 28, v49
	v_lshlrev_b64_e32 v[9:10], v9, v[1:2]
	v_sub_nc_u32_e32 v10, 29, v49
	s_delay_alu instid0(VALU_DEP_2)
	v_and_b32_e32 v9, 7, v9
; %bb.618:                              ;   in Loop: Header=BB265_490 Depth=1
	s_wait_alu 0xfffe
	s_or_b32 exec_lo, exec_lo, s24
	v_lshlrev_b32_e32 v1, 8, v1
	v_lshl_add_u32 v10, v10, 10, 0x2000
	v_lshlrev_b32_e32 v9, 23, v9
	s_delay_alu instid0(VALU_DEP_2) | instskip(NEXT) | instid1(VALU_DEP_1)
	v_and_or_b32 v1, 0x8000, v1, v10
	v_lshl_or_b32 v9, v1, 16, v9
.LBB265_619:                            ;   in Loop: Header=BB265_490 Depth=1
	s_wait_alu 0xfffe
	s_or_b32 exec_lo, exec_lo, s19
.LBB265_620:                            ;   in Loop: Header=BB265_490 Depth=1
	s_wait_alu 0xfffe
	s_or_b32 exec_lo, exec_lo, s18
.LBB265_621:                            ;   in Loop: Header=BB265_490 Depth=1
	s_wait_alu 0xfffe
	s_or_b32 exec_lo, exec_lo, s17
	v_or_b32_e32 v1, v44, v45
	s_wait_loadcnt 0x0
	v_fma_mixlo_f16 v10, v41, v44, 0 op_sel:[0,1,0] op_sel_hi:[0,1,0]
	v_or_b32_e32 v44, v42, v43
	v_fma_mixlo_f16 v42, v41, v42, 0 op_sel:[0,1,0] op_sel_hi:[0,1,0]
	v_or_b32_e32 v45, v48, v47
	v_or_b32_e32 v46, v9, v46
	v_fma_mixlo_f16 v47, v41, v1, 0 op_sel_hi:[0,1,0]
	v_fma_mixlo_f16 v9, v41, v9, 0 op_sel:[0,1,0] op_sel_hi:[0,1,0]
	v_lshlrev_b32_e32 v43, 16, v42
	v_fma_mixlo_f16 v42, v41, v44, 0 op_sel_hi:[0,1,0]
	v_fma_mixlo_f16 v44, v41, v48, 0 op_sel:[0,1,0] op_sel_hi:[0,1,0]
	v_fma_mixlo_f16 v45, v41, v45, 0 op_sel_hi:[0,1,0]
	v_fma_mixlo_f16 v46, v41, v46, 0 op_sel_hi:[0,1,0]
	v_lshlrev_b32_e32 v1, 16, v10
	v_and_b32_e32 v10, 0xffff, v47
	v_and_b32_e32 v49, 0xffff, v42
	v_lshlrev_b32_e32 v41, 16, v44
	v_and_b32_e32 v45, 0xffff, v45
	v_lshlrev_b32_e32 v9, 16, v9
	v_and_b32_e32 v42, 0xffff, v46
	v_or_b32_e32 v44, v1, v10
	v_or_b32_e32 v48, v43, v49
	;; [unrolled: 1-line block ×3, first 2 shown]
	s_delay_alu instid0(VALU_DEP_4)
	v_or_b32_e32 v46, v9, v42
	s_and_saveexec_b32 s17, vcc_lo
	s_cbranch_execz .LBB265_623
; %bb.622:                              ;   in Loop: Header=BB265_490 Depth=1
	v_cmp_gt_i32_e64 s0, s34, v27
	s_wait_alu 0xf1ff
	s_delay_alu instid0(VALU_DEP_1) | instskip(SKIP_2) | instid1(VALU_DEP_1)
	v_cndmask_b32_e64 v44, 0, v49, s0
	v_cmp_gt_i32_e64 s0, s34, v34
	s_wait_alu 0xf1ff
	v_cndmask_b32_e64 v43, 0, v43, s0
	v_cmp_gt_i32_e64 s0, s34, v33
	s_delay_alu instid0(VALU_DEP_2) | instskip(SKIP_1) | instid1(VALU_DEP_2)
	v_or_b32_e32 v48, v43, v44
	s_wait_alu 0xf1ff
	v_cndmask_b32_e64 v10, 0, v10, s0
	v_cmp_gt_i32_e64 s0, s34, v32
	s_wait_alu 0xf1ff
	s_delay_alu instid0(VALU_DEP_1) | instskip(SKIP_1) | instid1(VALU_DEP_2)
	v_cndmask_b32_e64 v1, 0, v1, s0
	v_cmp_gt_i32_e64 s0, s34, v31
	v_or_b32_e32 v44, v1, v10
	s_wait_alu 0xf1ff
	s_delay_alu instid0(VALU_DEP_2) | instskip(SKIP_2) | instid1(VALU_DEP_1)
	v_cndmask_b32_e64 v45, 0, v45, s0
	v_cmp_gt_i32_e64 s0, s34, v30
	s_wait_alu 0xf1ff
	v_cndmask_b32_e64 v41, 0, v41, s0
	v_cmp_gt_i32_e64 s0, s34, v29
	s_delay_alu instid0(VALU_DEP_2) | instskip(SKIP_1) | instid1(VALU_DEP_2)
	v_or_b32_e32 v47, v41, v45
	s_wait_alu 0xf1ff
	v_cndmask_b32_e64 v42, 0, v42, s0
	v_cmp_gt_i32_e64 s0, s34, v28
	s_wait_alu 0xf1ff
	s_delay_alu instid0(VALU_DEP_1) | instskip(NEXT) | instid1(VALU_DEP_1)
	v_cndmask_b32_e64 v9, 0, v9, s0
	v_or_b32_e32 v46, v9, v42
.LBB265_623:                            ;   in Loop: Header=BB265_490 Depth=1
	s_wait_alu 0xfffe
	s_or_b32 exec_lo, exec_lo, s17
	;;#ASMSTART
	v_pk_mul_f16 v1, v40, v48;

	;;#ASMEND
	;;#ASMSTART
	v_pk_mul_f16 v9, v39, v44;

	;;#ASMEND
	;; [unrolled: 4-line block ×4, first 2 shown]
	;;#ASMSTART
	v_pk_add_f16 v1, v1, v9;

	;;#ASMEND
	;;#ASMSTART
	v_pk_add_f16 v1, v1, v10;

	;;#ASMEND
	;; [unrolled: 4-line block ×3, first 2 shown]
	v_dual_mov_b32 v44, 0 :: v_dual_and_b32 v9, 0xffff, v1
	v_lshrrev_b32_e32 v1, 16, v1
	;;#ASMSTART
	v_cvt_f32_f16 v41, v9;
	;;#ASMEND
	;;#ASMSTART
	v_cvt_f32_f16 v42, v1;
	;;#ASMEND
	global_load_b64 v[9:10], v[7:8], off offset:512
	global_load_b32 v43, v44, s[10:11]
	v_mov_b32_e32 v45, 0
	s_mov_b32 s17, exec_lo
	s_wait_loadcnt 0x1
	v_and_b32_e32 v1, 0xff, v9
	s_delay_alu instid0(VALU_DEP_1)
	v_cmpx_ne_u16_e32 0, v1
	s_cbranch_execz .LBB265_631
; %bb.624:                              ;   in Loop: Header=BB265_490 Depth=1
	v_mov_b32_e32 v45, 0x8000
	s_mov_b32 s18, exec_lo
	v_cmpx_ne_u16_e32 0x80, v1
	s_cbranch_execz .LBB265_630
; %bb.625:                              ;   in Loop: Header=BB265_490 Depth=1
	v_and_b32_e32 v46, 0x7f, v9
	v_mov_b32_e32 v45, 0x7c01
	s_mov_b32 s19, exec_lo
	s_delay_alu instid0(VALU_DEP_2)
	v_cmpx_ne_u32_e32 0x7f, v46
	s_cbranch_execz .LBB265_629
; %bb.626:                              ;   in Loop: Header=BB265_490 Depth=1
	v_and_b32_e32 v1, 7, v9
	v_lshrrev_b32_e32 v45, 3, v46
	s_mov_b32 s24, exec_lo
	v_cmpx_gt_u32_e32 8, v46
; %bb.627:                              ;   in Loop: Header=BB265_490 Depth=1
	s_delay_alu instid0(VALU_DEP_3) | instskip(NEXT) | instid1(VALU_DEP_1)
	v_clz_i32_u32_e32 v1, v1
	v_min_u32_e32 v1, 32, v1
	s_delay_alu instid0(VALU_DEP_1) | instskip(NEXT) | instid1(VALU_DEP_1)
	v_subrev_nc_u32_e32 v45, 28, v1
	v_lshlrev_b64_e32 v[46:47], v45, v[9:10]
	v_sub_nc_u32_e32 v45, 29, v1
	s_delay_alu instid0(VALU_DEP_2)
	v_and_b32_e32 v1, 7, v46
; %bb.628:                              ;   in Loop: Header=BB265_490 Depth=1
	s_wait_alu 0xfffe
	s_or_b32 exec_lo, exec_lo, s24
	v_lshlrev_b32_e32 v46, 8, v9
	v_lshl_add_u32 v45, v45, 10, 0x2000
	v_lshlrev_b32_e32 v1, 7, v1
	s_delay_alu instid0(VALU_DEP_3) | instskip(NEXT) | instid1(VALU_DEP_3)
	v_and_b32_e32 v46, 0x8000, v46
	v_and_b32_e32 v45, 0xfc00, v45
	s_delay_alu instid0(VALU_DEP_1)
	v_or3_b32 v45, v46, v45, v1
.LBB265_629:                            ;   in Loop: Header=BB265_490 Depth=1
	s_wait_alu 0xfffe
	s_or_b32 exec_lo, exec_lo, s19
.LBB265_630:                            ;   in Loop: Header=BB265_490 Depth=1
	s_wait_alu 0xfffe
	s_or_b32 exec_lo, exec_lo, s18
.LBB265_631:                            ;   in Loop: Header=BB265_490 Depth=1
	s_wait_alu 0xfffe
	s_or_b32 exec_lo, exec_lo, s17
	v_lshrrev_b16 v1, 8, v9
	s_mov_b32 s17, exec_lo
	s_delay_alu instid0(VALU_DEP_1)
	v_cmpx_ne_u16_e32 0, v1
	s_cbranch_execz .LBB265_639
; %bb.632:                              ;   in Loop: Header=BB265_490 Depth=1
	v_bfrev_b32_e32 v44, 1
	s_mov_b32 s18, exec_lo
	v_cmpx_ne_u16_e32 0x80, v1
	s_cbranch_execz .LBB265_638
; %bb.633:                              ;   in Loop: Header=BB265_490 Depth=1
	v_and_b32_e32 v46, 0xffff, v1
	v_mov_b32_e32 v44, 0x7c010000
	s_mov_b32 s19, exec_lo
	s_delay_alu instid0(VALU_DEP_2) | instskip(NEXT) | instid1(VALU_DEP_1)
	v_and_b32_e32 v48, 0x7f, v46
	v_cmpx_ne_u32_e32 0x7f, v48
	s_cbranch_execz .LBB265_637
; %bb.634:                              ;   in Loop: Header=BB265_490 Depth=1
	v_and_b32_e32 v44, 7, v46
	v_lshrrev_b32_e32 v47, 3, v48
	s_mov_b32 s24, exec_lo
	v_cmpx_gt_u32_e32 8, v48
; %bb.635:                              ;   in Loop: Header=BB265_490 Depth=1
	s_delay_alu instid0(VALU_DEP_3) | instskip(NEXT) | instid1(VALU_DEP_1)
	v_clz_i32_u32_e32 v44, v44
	v_min_u32_e32 v44, 32, v44
	s_delay_alu instid0(VALU_DEP_1) | instskip(NEXT) | instid1(VALU_DEP_1)
	v_subrev_nc_u32_e32 v47, 28, v44
	v_lshlrev_b64_e32 v[48:49], v47, v[1:2]
	v_sub_nc_u32_e32 v47, 29, v44
	s_delay_alu instid0(VALU_DEP_2)
	v_and_b32_e32 v44, 7, v48
; %bb.636:                              ;   in Loop: Header=BB265_490 Depth=1
	s_wait_alu 0xfffe
	s_or_b32 exec_lo, exec_lo, s24
	v_lshlrev_b32_e32 v1, 8, v46
	v_lshl_add_u32 v46, v47, 10, 0x2000
	v_lshlrev_b32_e32 v44, 23, v44
	s_delay_alu instid0(VALU_DEP_2) | instskip(NEXT) | instid1(VALU_DEP_1)
	v_and_or_b32 v1, 0x8000, v1, v46
	v_lshl_or_b32 v44, v1, 16, v44
.LBB265_637:                            ;   in Loop: Header=BB265_490 Depth=1
	s_wait_alu 0xfffe
	s_or_b32 exec_lo, exec_lo, s19
.LBB265_638:                            ;   in Loop: Header=BB265_490 Depth=1
	s_wait_alu 0xfffe
	s_or_b32 exec_lo, exec_lo, s18
.LBB265_639:                            ;   in Loop: Header=BB265_490 Depth=1
	s_wait_alu 0xfffe
	s_or_b32 exec_lo, exec_lo, s17
	v_lshrrev_b32_e32 v1, 16, v9
	v_mov_b32_e32 v46, 0
	s_mov_b32 s17, exec_lo
	s_delay_alu instid0(VALU_DEP_2) | instskip(NEXT) | instid1(VALU_DEP_1)
	v_dual_mov_b32 v47, 0 :: v_dual_and_b32 v48, 0xff, v1
	v_cmpx_ne_u16_e32 0, v48
	s_cbranch_execz .LBB265_647
; %bb.640:                              ;   in Loop: Header=BB265_490 Depth=1
	v_mov_b32_e32 v47, 0x8000
	s_mov_b32 s18, exec_lo
	v_cmpx_ne_u16_e32 0x80, v48
	s_cbranch_execz .LBB265_646
; %bb.641:                              ;   in Loop: Header=BB265_490 Depth=1
	v_bfe_u32 v49, v9, 16, 7
	v_mov_b32_e32 v47, 0x7c01
	s_mov_b32 s19, exec_lo
	s_delay_alu instid0(VALU_DEP_2)
	v_cmpx_ne_u32_e32 0x7f, v49
	s_cbranch_execz .LBB265_645
; %bb.642:                              ;   in Loop: Header=BB265_490 Depth=1
	v_and_b32_e32 v47, 7, v1
	v_lshrrev_b32_e32 v48, 3, v49
	s_mov_b32 s24, exec_lo
	v_cmpx_gt_u32_e32 8, v49
; %bb.643:                              ;   in Loop: Header=BB265_490 Depth=1
	s_delay_alu instid0(VALU_DEP_3) | instskip(NEXT) | instid1(VALU_DEP_1)
	v_clz_i32_u32_e32 v47, v47
	v_min_u32_e32 v49, 32, v47
	s_delay_alu instid0(VALU_DEP_1) | instskip(NEXT) | instid1(VALU_DEP_1)
	v_subrev_nc_u32_e32 v47, 28, v49
	v_lshlrev_b64_e32 v[47:48], v47, v[1:2]
	v_sub_nc_u32_e32 v48, 29, v49
	s_delay_alu instid0(VALU_DEP_2)
	v_and_b32_e32 v47, 7, v47
; %bb.644:                              ;   in Loop: Header=BB265_490 Depth=1
	s_wait_alu 0xfffe
	s_or_b32 exec_lo, exec_lo, s24
	v_lshlrev_b32_e32 v1, 8, v1
	v_lshl_add_u32 v48, v48, 10, 0x2000
	v_lshlrev_b32_e32 v47, 7, v47
	s_delay_alu instid0(VALU_DEP_3) | instskip(NEXT) | instid1(VALU_DEP_3)
	v_and_b32_e32 v1, 0x8000, v1
	v_and_b32_e32 v48, 0xfc00, v48
	s_delay_alu instid0(VALU_DEP_1)
	v_or3_b32 v47, v1, v48, v47
.LBB265_645:                            ;   in Loop: Header=BB265_490 Depth=1
	s_wait_alu 0xfffe
	s_or_b32 exec_lo, exec_lo, s19
.LBB265_646:                            ;   in Loop: Header=BB265_490 Depth=1
	s_wait_alu 0xfffe
	s_or_b32 exec_lo, exec_lo, s18
.LBB265_647:                            ;   in Loop: Header=BB265_490 Depth=1
	s_wait_alu 0xfffe
	s_or_b32 exec_lo, exec_lo, s17
	s_delay_alu instid0(SALU_CYCLE_1)
	s_mov_b32 s17, exec_lo
	v_cmpx_lt_u32_e32 0xffffff, v9
	s_cbranch_execz .LBB265_655
; %bb.648:                              ;   in Loop: Header=BB265_490 Depth=1
	v_lshrrev_b32_e32 v1, 24, v9
	v_bfrev_b32_e32 v46, 1
	s_mov_b32 s18, exec_lo
	s_delay_alu instid0(VALU_DEP_2)
	v_cmpx_ne_u32_e32 0x80, v1
	s_cbranch_execz .LBB265_654
; %bb.649:                              ;   in Loop: Header=BB265_490 Depth=1
	v_and_b32_e32 v49, 0x7f, v1
	v_mov_b32_e32 v46, 0x7c010000
	s_mov_b32 s19, exec_lo
	s_delay_alu instid0(VALU_DEP_2)
	v_cmpx_ne_u32_e32 0x7f, v49
	s_cbranch_execz .LBB265_653
; %bb.650:                              ;   in Loop: Header=BB265_490 Depth=1
	v_and_b32_e32 v46, 7, v1
	v_lshrrev_b32_e32 v48, 3, v49
	s_mov_b32 s24, exec_lo
	v_cmpx_gt_u32_e32 8, v49
; %bb.651:                              ;   in Loop: Header=BB265_490 Depth=1
	s_delay_alu instid0(VALU_DEP_3) | instskip(NEXT) | instid1(VALU_DEP_1)
	v_clz_i32_u32_e32 v46, v46
	v_min_u32_e32 v46, 32, v46
	s_delay_alu instid0(VALU_DEP_1) | instskip(NEXT) | instid1(VALU_DEP_1)
	v_subrev_nc_u32_e32 v48, 28, v46
	v_lshlrev_b64_e32 v[49:50], v48, v[1:2]
	v_sub_nc_u32_e32 v48, 29, v46
	s_delay_alu instid0(VALU_DEP_2)
	v_and_b32_e32 v46, 7, v49
; %bb.652:                              ;   in Loop: Header=BB265_490 Depth=1
	s_wait_alu 0xfffe
	s_or_b32 exec_lo, exec_lo, s24
	v_lshlrev_b32_e32 v1, 8, v1
	v_lshl_add_u32 v48, v48, 10, 0x2000
	v_lshlrev_b32_e32 v46, 23, v46
	s_delay_alu instid0(VALU_DEP_2) | instskip(NEXT) | instid1(VALU_DEP_1)
	v_and_or_b32 v1, 0x8000, v1, v48
	v_lshl_or_b32 v46, v1, 16, v46
.LBB265_653:                            ;   in Loop: Header=BB265_490 Depth=1
	s_wait_alu 0xfffe
	s_or_b32 exec_lo, exec_lo, s19
.LBB265_654:                            ;   in Loop: Header=BB265_490 Depth=1
	s_wait_alu 0xfffe
	s_or_b32 exec_lo, exec_lo, s18
.LBB265_655:                            ;   in Loop: Header=BB265_490 Depth=1
	s_wait_alu 0xfffe
	s_or_b32 exec_lo, exec_lo, s17
	v_dual_mov_b32 v1, v10 :: v_dual_and_b32 v50, 0xff, v10
	v_dual_mov_b32 v48, 0 :: v_dual_mov_b32 v49, 0
	s_mov_b32 s17, exec_lo
	s_delay_alu instid0(VALU_DEP_2)
	v_cmpx_ne_u16_e32 0, v50
	s_cbranch_execz .LBB265_663
; %bb.656:                              ;   in Loop: Header=BB265_490 Depth=1
	v_mov_b32_e32 v49, 0x8000
	s_mov_b32 s18, exec_lo
	v_cmpx_ne_u16_e32 0x80, v50
	s_cbranch_execz .LBB265_662
; %bb.657:                              ;   in Loop: Header=BB265_490 Depth=1
	v_and_b32_e32 v51, 0x7f, v10
	v_mov_b32_e32 v49, 0x7c01
	s_mov_b32 s19, exec_lo
	s_delay_alu instid0(VALU_DEP_2)
	v_cmpx_ne_u32_e32 0x7f, v51
	s_cbranch_execz .LBB265_661
; %bb.658:                              ;   in Loop: Header=BB265_490 Depth=1
	v_and_b32_e32 v49, 7, v10
	v_lshrrev_b32_e32 v50, 3, v51
	s_mov_b32 s24, exec_lo
	v_cmpx_gt_u32_e32 8, v51
; %bb.659:                              ;   in Loop: Header=BB265_490 Depth=1
	s_delay_alu instid0(VALU_DEP_3) | instskip(NEXT) | instid1(VALU_DEP_1)
	v_clz_i32_u32_e32 v49, v49
	v_min_u32_e32 v51, 32, v49
	s_delay_alu instid0(VALU_DEP_1) | instskip(NEXT) | instid1(VALU_DEP_1)
	v_subrev_nc_u32_e32 v49, 28, v51
	v_lshlrev_b64_e32 v[49:50], v49, v[1:2]
	v_sub_nc_u32_e32 v50, 29, v51
	s_delay_alu instid0(VALU_DEP_2)
	v_and_b32_e32 v49, 7, v49
; %bb.660:                              ;   in Loop: Header=BB265_490 Depth=1
	s_wait_alu 0xfffe
	s_or_b32 exec_lo, exec_lo, s24
	v_lshlrev_b32_e32 v51, 8, v10
	v_lshl_add_u32 v50, v50, 10, 0x2000
	v_lshlrev_b32_e32 v49, 7, v49
	s_delay_alu instid0(VALU_DEP_3) | instskip(NEXT) | instid1(VALU_DEP_3)
	v_and_b32_e32 v51, 0x8000, v51
	v_and_b32_e32 v50, 0xfc00, v50
	s_delay_alu instid0(VALU_DEP_1)
	v_or3_b32 v49, v51, v50, v49
.LBB265_661:                            ;   in Loop: Header=BB265_490 Depth=1
	s_wait_alu 0xfffe
	s_or_b32 exec_lo, exec_lo, s19
.LBB265_662:                            ;   in Loop: Header=BB265_490 Depth=1
	s_wait_alu 0xfffe
	s_or_b32 exec_lo, exec_lo, s18
.LBB265_663:                            ;   in Loop: Header=BB265_490 Depth=1
	s_wait_alu 0xfffe
	s_or_b32 exec_lo, exec_lo, s17
	v_lshrrev_b16 v1, 8, v1
	v_mov_b32_e32 v50, 0
	s_mov_b32 s17, exec_lo
	s_delay_alu instid0(VALU_DEP_2)
	v_cmpx_ne_u16_e32 0, v1
	s_cbranch_execz .LBB265_671
; %bb.664:                              ;   in Loop: Header=BB265_490 Depth=1
	v_bfrev_b32_e32 v50, 1
	s_mov_b32 s18, exec_lo
	v_cmpx_ne_u16_e32 0x80, v1
	s_cbranch_execz .LBB265_670
; %bb.665:                              ;   in Loop: Header=BB265_490 Depth=1
	v_and_b32_e32 v51, 0xffff, v1
	v_mov_b32_e32 v50, 0x7c010000
	s_mov_b32 s19, exec_lo
	s_delay_alu instid0(VALU_DEP_2) | instskip(NEXT) | instid1(VALU_DEP_1)
	v_and_b32_e32 v53, 0x7f, v51
	v_cmpx_ne_u32_e32 0x7f, v53
	s_cbranch_execz .LBB265_669
; %bb.666:                              ;   in Loop: Header=BB265_490 Depth=1
	v_and_b32_e32 v50, 7, v51
	v_lshrrev_b32_e32 v52, 3, v53
	s_mov_b32 s24, exec_lo
	v_cmpx_gt_u32_e32 8, v53
; %bb.667:                              ;   in Loop: Header=BB265_490 Depth=1
	s_delay_alu instid0(VALU_DEP_3) | instskip(NEXT) | instid1(VALU_DEP_1)
	v_clz_i32_u32_e32 v50, v50
	v_min_u32_e32 v50, 32, v50
	s_delay_alu instid0(VALU_DEP_1) | instskip(NEXT) | instid1(VALU_DEP_1)
	v_subrev_nc_u32_e32 v52, 28, v50
	v_lshlrev_b64_e32 v[53:54], v52, v[1:2]
	v_sub_nc_u32_e32 v52, 29, v50
	s_delay_alu instid0(VALU_DEP_2)
	v_and_b32_e32 v50, 7, v53
; %bb.668:                              ;   in Loop: Header=BB265_490 Depth=1
	s_wait_alu 0xfffe
	s_or_b32 exec_lo, exec_lo, s24
	v_lshlrev_b32_e32 v1, 8, v51
	v_lshl_add_u32 v51, v52, 10, 0x2000
	v_lshlrev_b32_e32 v50, 23, v50
	s_delay_alu instid0(VALU_DEP_2) | instskip(NEXT) | instid1(VALU_DEP_1)
	v_and_or_b32 v1, 0x8000, v1, v51
	v_lshl_or_b32 v50, v1, 16, v50
.LBB265_669:                            ;   in Loop: Header=BB265_490 Depth=1
	s_wait_alu 0xfffe
	s_or_b32 exec_lo, exec_lo, s19
.LBB265_670:                            ;   in Loop: Header=BB265_490 Depth=1
	s_wait_alu 0xfffe
	s_or_b32 exec_lo, exec_lo, s18
.LBB265_671:                            ;   in Loop: Header=BB265_490 Depth=1
	s_wait_alu 0xfffe
	s_or_b32 exec_lo, exec_lo, s17
	v_lshrrev_b32_e32 v1, 16, v10
	s_mov_b32 s17, exec_lo
	s_delay_alu instid0(VALU_DEP_1) | instskip(NEXT) | instid1(VALU_DEP_1)
	v_and_b32_e32 v51, 0xff, v1
	v_cmpx_ne_u16_e32 0, v51
	s_cbranch_execz .LBB265_679
; %bb.672:                              ;   in Loop: Header=BB265_490 Depth=1
	v_mov_b32_e32 v48, 0x8000
	s_mov_b32 s18, exec_lo
	v_cmpx_ne_u16_e32 0x80, v51
	s_cbranch_execz .LBB265_678
; %bb.673:                              ;   in Loop: Header=BB265_490 Depth=1
	v_bfe_u32 v52, v10, 16, 7
	v_mov_b32_e32 v48, 0x7c01
	s_mov_b32 s19, exec_lo
	s_delay_alu instid0(VALU_DEP_2)
	v_cmpx_ne_u32_e32 0x7f, v52
	s_cbranch_execz .LBB265_677
; %bb.674:                              ;   in Loop: Header=BB265_490 Depth=1
	v_and_b32_e32 v48, 7, v1
	v_lshrrev_b32_e32 v51, 3, v52
	s_mov_b32 s24, exec_lo
	v_cmpx_gt_u32_e32 8, v52
; %bb.675:                              ;   in Loop: Header=BB265_490 Depth=1
	s_delay_alu instid0(VALU_DEP_3) | instskip(NEXT) | instid1(VALU_DEP_1)
	v_clz_i32_u32_e32 v48, v48
	v_min_u32_e32 v48, 32, v48
	s_delay_alu instid0(VALU_DEP_1) | instskip(NEXT) | instid1(VALU_DEP_1)
	v_subrev_nc_u32_e32 v51, 28, v48
	v_lshlrev_b64_e32 v[52:53], v51, v[1:2]
	v_sub_nc_u32_e32 v51, 29, v48
	s_delay_alu instid0(VALU_DEP_2)
	v_and_b32_e32 v48, 7, v52
; %bb.676:                              ;   in Loop: Header=BB265_490 Depth=1
	s_wait_alu 0xfffe
	s_or_b32 exec_lo, exec_lo, s24
	v_lshlrev_b32_e32 v1, 8, v1
	v_lshl_add_u32 v51, v51, 10, 0x2000
	v_lshlrev_b32_e32 v48, 7, v48
	s_delay_alu instid0(VALU_DEP_3) | instskip(NEXT) | instid1(VALU_DEP_3)
	v_and_b32_e32 v1, 0x8000, v1
	v_and_b32_e32 v51, 0xfc00, v51
	s_delay_alu instid0(VALU_DEP_1)
	v_or3_b32 v48, v1, v51, v48
.LBB265_677:                            ;   in Loop: Header=BB265_490 Depth=1
	s_wait_alu 0xfffe
	s_or_b32 exec_lo, exec_lo, s19
.LBB265_678:                            ;   in Loop: Header=BB265_490 Depth=1
	s_wait_alu 0xfffe
	s_or_b32 exec_lo, exec_lo, s18
.LBB265_679:                            ;   in Loop: Header=BB265_490 Depth=1
	s_wait_alu 0xfffe
	s_or_b32 exec_lo, exec_lo, s17
	v_cmp_lt_u64_e64 s0, s[2:3], v[9:10]
	v_mov_b32_e32 v9, 0
	s_and_saveexec_b32 s17, s0
	s_cbranch_execz .LBB265_687
; %bb.680:                              ;   in Loop: Header=BB265_490 Depth=1
	v_lshrrev_b32_e32 v1, 24, v10
	v_bfrev_b32_e32 v9, 1
	s_mov_b32 s18, exec_lo
	s_delay_alu instid0(VALU_DEP_2)
	v_cmpx_ne_u32_e32 0x80, v1
	s_cbranch_execz .LBB265_686
; %bb.681:                              ;   in Loop: Header=BB265_490 Depth=1
	v_and_b32_e32 v51, 0x7f, v1
	v_mov_b32_e32 v9, 0x7c010000
	s_mov_b32 s19, exec_lo
	s_delay_alu instid0(VALU_DEP_2)
	v_cmpx_ne_u32_e32 0x7f, v51
	s_cbranch_execz .LBB265_685
; %bb.682:                              ;   in Loop: Header=BB265_490 Depth=1
	v_and_b32_e32 v9, 7, v1
	v_lshrrev_b32_e32 v10, 3, v51
	s_mov_b32 s24, exec_lo
	v_cmpx_gt_u32_e32 8, v51
; %bb.683:                              ;   in Loop: Header=BB265_490 Depth=1
	s_delay_alu instid0(VALU_DEP_3) | instskip(NEXT) | instid1(VALU_DEP_1)
	v_clz_i32_u32_e32 v9, v9
	v_min_u32_e32 v51, 32, v9
	s_delay_alu instid0(VALU_DEP_1) | instskip(NEXT) | instid1(VALU_DEP_1)
	v_subrev_nc_u32_e32 v9, 28, v51
	v_lshlrev_b64_e32 v[9:10], v9, v[1:2]
	v_sub_nc_u32_e32 v10, 29, v51
	s_delay_alu instid0(VALU_DEP_2)
	v_and_b32_e32 v9, 7, v9
; %bb.684:                              ;   in Loop: Header=BB265_490 Depth=1
	s_wait_alu 0xfffe
	s_or_b32 exec_lo, exec_lo, s24
	v_lshlrev_b32_e32 v1, 8, v1
	v_lshl_add_u32 v10, v10, 10, 0x2000
	v_lshlrev_b32_e32 v9, 23, v9
	s_delay_alu instid0(VALU_DEP_2) | instskip(NEXT) | instid1(VALU_DEP_1)
	v_and_or_b32 v1, 0x8000, v1, v10
	v_lshl_or_b32 v9, v1, 16, v9
.LBB265_685:                            ;   in Loop: Header=BB265_490 Depth=1
	s_wait_alu 0xfffe
	s_or_b32 exec_lo, exec_lo, s19
.LBB265_686:                            ;   in Loop: Header=BB265_490 Depth=1
	s_wait_alu 0xfffe
	s_or_b32 exec_lo, exec_lo, s18
.LBB265_687:                            ;   in Loop: Header=BB265_490 Depth=1
	s_wait_alu 0xfffe
	s_or_b32 exec_lo, exec_lo, s17
	v_or_b32_e32 v1, v46, v47
	s_wait_loadcnt 0x0
	v_fma_mixlo_f16 v10, v43, v46, 0 op_sel:[0,1,0] op_sel_hi:[0,1,0]
	v_or_b32_e32 v46, v44, v45
	v_fma_mixlo_f16 v44, v43, v44, 0 op_sel:[0,1,0] op_sel_hi:[0,1,0]
	v_or_b32_e32 v47, v50, v49
	v_or_b32_e32 v48, v9, v48
	v_fma_mixlo_f16 v49, v43, v1, 0 op_sel_hi:[0,1,0]
	v_fma_mixlo_f16 v9, v43, v9, 0 op_sel:[0,1,0] op_sel_hi:[0,1,0]
	v_lshlrev_b32_e32 v45, 16, v44
	v_fma_mixlo_f16 v44, v43, v46, 0 op_sel_hi:[0,1,0]
	v_fma_mixlo_f16 v46, v43, v50, 0 op_sel:[0,1,0] op_sel_hi:[0,1,0]
	v_fma_mixlo_f16 v47, v43, v47, 0 op_sel_hi:[0,1,0]
	v_fma_mixlo_f16 v48, v43, v48, 0 op_sel_hi:[0,1,0]
	v_lshlrev_b32_e32 v1, 16, v10
	v_and_b32_e32 v10, 0xffff, v49
	v_and_b32_e32 v51, 0xffff, v44
	v_lshlrev_b32_e32 v43, 16, v46
	v_and_b32_e32 v47, 0xffff, v47
	v_lshlrev_b32_e32 v9, 16, v9
	v_and_b32_e32 v44, 0xffff, v48
	v_or_b32_e32 v46, v1, v10
	v_or_b32_e32 v50, v45, v51
	;; [unrolled: 1-line block ×3, first 2 shown]
	s_delay_alu instid0(VALU_DEP_4)
	v_or_b32_e32 v48, v9, v44
	s_and_saveexec_b32 s17, vcc_lo
	s_cbranch_execz .LBB265_689
; %bb.688:                              ;   in Loop: Header=BB265_490 Depth=1
	v_cmp_gt_i32_e64 s0, s34, v27
	s_wait_alu 0xf1ff
	s_delay_alu instid0(VALU_DEP_1) | instskip(SKIP_2) | instid1(VALU_DEP_1)
	v_cndmask_b32_e64 v46, 0, v51, s0
	v_cmp_gt_i32_e64 s0, s34, v34
	s_wait_alu 0xf1ff
	v_cndmask_b32_e64 v45, 0, v45, s0
	v_cmp_gt_i32_e64 s0, s34, v33
	s_delay_alu instid0(VALU_DEP_2) | instskip(SKIP_1) | instid1(VALU_DEP_2)
	v_or_b32_e32 v50, v45, v46
	s_wait_alu 0xf1ff
	v_cndmask_b32_e64 v10, 0, v10, s0
	v_cmp_gt_i32_e64 s0, s34, v32
	s_wait_alu 0xf1ff
	s_delay_alu instid0(VALU_DEP_1) | instskip(SKIP_1) | instid1(VALU_DEP_2)
	v_cndmask_b32_e64 v1, 0, v1, s0
	v_cmp_gt_i32_e64 s0, s34, v31
	v_or_b32_e32 v46, v1, v10
	s_wait_alu 0xf1ff
	s_delay_alu instid0(VALU_DEP_2) | instskip(SKIP_2) | instid1(VALU_DEP_1)
	v_cndmask_b32_e64 v47, 0, v47, s0
	v_cmp_gt_i32_e64 s0, s34, v30
	s_wait_alu 0xf1ff
	v_cndmask_b32_e64 v43, 0, v43, s0
	v_cmp_gt_i32_e64 s0, s34, v29
	s_delay_alu instid0(VALU_DEP_2) | instskip(SKIP_1) | instid1(VALU_DEP_2)
	v_or_b32_e32 v49, v43, v47
	s_wait_alu 0xf1ff
	v_cndmask_b32_e64 v44, 0, v44, s0
	v_cmp_gt_i32_e64 s0, s34, v28
	s_wait_alu 0xf1ff
	s_delay_alu instid0(VALU_DEP_1) | instskip(NEXT) | instid1(VALU_DEP_1)
	v_cndmask_b32_e64 v9, 0, v9, s0
	v_or_b32_e32 v48, v9, v44
.LBB265_689:                            ;   in Loop: Header=BB265_490 Depth=1
	s_wait_alu 0xfffe
	s_or_b32 exec_lo, exec_lo, s17
	;;#ASMSTART
	v_pk_mul_f16 v1, v40, v50;

	;;#ASMEND
	;;#ASMSTART
	v_pk_mul_f16 v9, v39, v46;

	;;#ASMEND
	;; [unrolled: 4-line block ×4, first 2 shown]
	;;#ASMSTART
	v_pk_add_f16 v1, v1, v9;

	;;#ASMEND
	;;#ASMSTART
	v_pk_add_f16 v1, v1, v10;

	;;#ASMEND
	;; [unrolled: 4-line block ×3, first 2 shown]
	v_dual_mov_b32 v46, 0 :: v_dual_and_b32 v9, 0xffff, v1
	v_lshrrev_b32_e32 v1, 16, v1
	;;#ASMSTART
	v_cvt_f32_f16 v43, v9;
	;;#ASMEND
	;;#ASMSTART
	v_cvt_f32_f16 v44, v1;
	;;#ASMEND
	global_load_b64 v[9:10], v[7:8], off offset:768
	global_load_b32 v45, v46, s[10:11]
	v_mov_b32_e32 v47, 0
	s_mov_b32 s17, exec_lo
	s_wait_loadcnt 0x1
	v_and_b32_e32 v1, 0xff, v9
	s_delay_alu instid0(VALU_DEP_1)
	v_cmpx_ne_u16_e32 0, v1
	s_cbranch_execz .LBB265_697
; %bb.690:                              ;   in Loop: Header=BB265_490 Depth=1
	v_mov_b32_e32 v47, 0x8000
	s_mov_b32 s18, exec_lo
	v_cmpx_ne_u16_e32 0x80, v1
	s_cbranch_execz .LBB265_696
; %bb.691:                              ;   in Loop: Header=BB265_490 Depth=1
	v_and_b32_e32 v48, 0x7f, v9
	v_mov_b32_e32 v47, 0x7c01
	s_mov_b32 s19, exec_lo
	s_delay_alu instid0(VALU_DEP_2)
	v_cmpx_ne_u32_e32 0x7f, v48
	s_cbranch_execz .LBB265_695
; %bb.692:                              ;   in Loop: Header=BB265_490 Depth=1
	v_and_b32_e32 v1, 7, v9
	v_lshrrev_b32_e32 v47, 3, v48
	s_mov_b32 s24, exec_lo
	v_cmpx_gt_u32_e32 8, v48
; %bb.693:                              ;   in Loop: Header=BB265_490 Depth=1
	s_delay_alu instid0(VALU_DEP_3) | instskip(NEXT) | instid1(VALU_DEP_1)
	v_clz_i32_u32_e32 v1, v1
	v_min_u32_e32 v1, 32, v1
	s_delay_alu instid0(VALU_DEP_1) | instskip(NEXT) | instid1(VALU_DEP_1)
	v_subrev_nc_u32_e32 v47, 28, v1
	v_lshlrev_b64_e32 v[48:49], v47, v[9:10]
	v_sub_nc_u32_e32 v47, 29, v1
	s_delay_alu instid0(VALU_DEP_2)
	v_and_b32_e32 v1, 7, v48
; %bb.694:                              ;   in Loop: Header=BB265_490 Depth=1
	s_wait_alu 0xfffe
	s_or_b32 exec_lo, exec_lo, s24
	v_lshlrev_b32_e32 v48, 8, v9
	v_lshl_add_u32 v47, v47, 10, 0x2000
	v_lshlrev_b32_e32 v1, 7, v1
	s_delay_alu instid0(VALU_DEP_3) | instskip(NEXT) | instid1(VALU_DEP_3)
	v_and_b32_e32 v48, 0x8000, v48
	v_and_b32_e32 v47, 0xfc00, v47
	s_delay_alu instid0(VALU_DEP_1)
	v_or3_b32 v47, v48, v47, v1
.LBB265_695:                            ;   in Loop: Header=BB265_490 Depth=1
	s_wait_alu 0xfffe
	s_or_b32 exec_lo, exec_lo, s19
.LBB265_696:                            ;   in Loop: Header=BB265_490 Depth=1
	s_wait_alu 0xfffe
	s_or_b32 exec_lo, exec_lo, s18
.LBB265_697:                            ;   in Loop: Header=BB265_490 Depth=1
	s_wait_alu 0xfffe
	s_or_b32 exec_lo, exec_lo, s17
	v_lshrrev_b16 v1, 8, v9
	s_mov_b32 s17, exec_lo
	s_delay_alu instid0(VALU_DEP_1)
	v_cmpx_ne_u16_e32 0, v1
	s_cbranch_execz .LBB265_705
; %bb.698:                              ;   in Loop: Header=BB265_490 Depth=1
	v_bfrev_b32_e32 v46, 1
	s_mov_b32 s18, exec_lo
	v_cmpx_ne_u16_e32 0x80, v1
	s_cbranch_execz .LBB265_704
; %bb.699:                              ;   in Loop: Header=BB265_490 Depth=1
	v_and_b32_e32 v48, 0xffff, v1
	v_mov_b32_e32 v46, 0x7c010000
	s_mov_b32 s19, exec_lo
	s_delay_alu instid0(VALU_DEP_2) | instskip(NEXT) | instid1(VALU_DEP_1)
	v_and_b32_e32 v50, 0x7f, v48
	v_cmpx_ne_u32_e32 0x7f, v50
	s_cbranch_execz .LBB265_703
; %bb.700:                              ;   in Loop: Header=BB265_490 Depth=1
	v_and_b32_e32 v46, 7, v48
	v_lshrrev_b32_e32 v49, 3, v50
	s_mov_b32 s24, exec_lo
	v_cmpx_gt_u32_e32 8, v50
; %bb.701:                              ;   in Loop: Header=BB265_490 Depth=1
	s_delay_alu instid0(VALU_DEP_3) | instskip(NEXT) | instid1(VALU_DEP_1)
	v_clz_i32_u32_e32 v46, v46
	v_min_u32_e32 v46, 32, v46
	s_delay_alu instid0(VALU_DEP_1) | instskip(NEXT) | instid1(VALU_DEP_1)
	v_subrev_nc_u32_e32 v49, 28, v46
	v_lshlrev_b64_e32 v[50:51], v49, v[1:2]
	v_sub_nc_u32_e32 v49, 29, v46
	s_delay_alu instid0(VALU_DEP_2)
	v_and_b32_e32 v46, 7, v50
; %bb.702:                              ;   in Loop: Header=BB265_490 Depth=1
	s_wait_alu 0xfffe
	s_or_b32 exec_lo, exec_lo, s24
	v_lshlrev_b32_e32 v1, 8, v48
	v_lshl_add_u32 v48, v49, 10, 0x2000
	v_lshlrev_b32_e32 v46, 23, v46
	s_delay_alu instid0(VALU_DEP_2) | instskip(NEXT) | instid1(VALU_DEP_1)
	v_and_or_b32 v1, 0x8000, v1, v48
	v_lshl_or_b32 v46, v1, 16, v46
.LBB265_703:                            ;   in Loop: Header=BB265_490 Depth=1
	s_wait_alu 0xfffe
	s_or_b32 exec_lo, exec_lo, s19
.LBB265_704:                            ;   in Loop: Header=BB265_490 Depth=1
	s_wait_alu 0xfffe
	s_or_b32 exec_lo, exec_lo, s18
.LBB265_705:                            ;   in Loop: Header=BB265_490 Depth=1
	s_wait_alu 0xfffe
	s_or_b32 exec_lo, exec_lo, s17
	v_lshrrev_b32_e32 v1, 16, v9
	v_mov_b32_e32 v48, 0
	s_mov_b32 s17, exec_lo
	s_delay_alu instid0(VALU_DEP_2) | instskip(NEXT) | instid1(VALU_DEP_1)
	v_dual_mov_b32 v49, 0 :: v_dual_and_b32 v50, 0xff, v1
	v_cmpx_ne_u16_e32 0, v50
	s_cbranch_execz .LBB265_713
; %bb.706:                              ;   in Loop: Header=BB265_490 Depth=1
	v_mov_b32_e32 v49, 0x8000
	s_mov_b32 s18, exec_lo
	v_cmpx_ne_u16_e32 0x80, v50
	s_cbranch_execz .LBB265_712
; %bb.707:                              ;   in Loop: Header=BB265_490 Depth=1
	v_bfe_u32 v51, v9, 16, 7
	v_mov_b32_e32 v49, 0x7c01
	s_mov_b32 s19, exec_lo
	s_delay_alu instid0(VALU_DEP_2)
	v_cmpx_ne_u32_e32 0x7f, v51
	s_cbranch_execz .LBB265_711
; %bb.708:                              ;   in Loop: Header=BB265_490 Depth=1
	v_and_b32_e32 v49, 7, v1
	v_lshrrev_b32_e32 v50, 3, v51
	s_mov_b32 s24, exec_lo
	v_cmpx_gt_u32_e32 8, v51
; %bb.709:                              ;   in Loop: Header=BB265_490 Depth=1
	s_delay_alu instid0(VALU_DEP_3) | instskip(NEXT) | instid1(VALU_DEP_1)
	v_clz_i32_u32_e32 v49, v49
	v_min_u32_e32 v51, 32, v49
	s_delay_alu instid0(VALU_DEP_1) | instskip(NEXT) | instid1(VALU_DEP_1)
	v_subrev_nc_u32_e32 v49, 28, v51
	v_lshlrev_b64_e32 v[49:50], v49, v[1:2]
	v_sub_nc_u32_e32 v50, 29, v51
	s_delay_alu instid0(VALU_DEP_2)
	v_and_b32_e32 v49, 7, v49
; %bb.710:                              ;   in Loop: Header=BB265_490 Depth=1
	s_wait_alu 0xfffe
	s_or_b32 exec_lo, exec_lo, s24
	v_lshlrev_b32_e32 v1, 8, v1
	v_lshl_add_u32 v50, v50, 10, 0x2000
	v_lshlrev_b32_e32 v49, 7, v49
	s_delay_alu instid0(VALU_DEP_3) | instskip(NEXT) | instid1(VALU_DEP_3)
	v_and_b32_e32 v1, 0x8000, v1
	v_and_b32_e32 v50, 0xfc00, v50
	s_delay_alu instid0(VALU_DEP_1)
	v_or3_b32 v49, v1, v50, v49
.LBB265_711:                            ;   in Loop: Header=BB265_490 Depth=1
	s_wait_alu 0xfffe
	s_or_b32 exec_lo, exec_lo, s19
.LBB265_712:                            ;   in Loop: Header=BB265_490 Depth=1
	s_wait_alu 0xfffe
	s_or_b32 exec_lo, exec_lo, s18
.LBB265_713:                            ;   in Loop: Header=BB265_490 Depth=1
	s_wait_alu 0xfffe
	s_or_b32 exec_lo, exec_lo, s17
	s_delay_alu instid0(SALU_CYCLE_1)
	s_mov_b32 s17, exec_lo
	v_cmpx_lt_u32_e32 0xffffff, v9
	s_cbranch_execz .LBB265_721
; %bb.714:                              ;   in Loop: Header=BB265_490 Depth=1
	v_lshrrev_b32_e32 v1, 24, v9
	v_bfrev_b32_e32 v48, 1
	s_mov_b32 s18, exec_lo
	s_delay_alu instid0(VALU_DEP_2)
	v_cmpx_ne_u32_e32 0x80, v1
	s_cbranch_execz .LBB265_720
; %bb.715:                              ;   in Loop: Header=BB265_490 Depth=1
	v_and_b32_e32 v51, 0x7f, v1
	v_mov_b32_e32 v48, 0x7c010000
	s_mov_b32 s19, exec_lo
	s_delay_alu instid0(VALU_DEP_2)
	v_cmpx_ne_u32_e32 0x7f, v51
	s_cbranch_execz .LBB265_719
; %bb.716:                              ;   in Loop: Header=BB265_490 Depth=1
	v_and_b32_e32 v48, 7, v1
	v_lshrrev_b32_e32 v50, 3, v51
	s_mov_b32 s24, exec_lo
	v_cmpx_gt_u32_e32 8, v51
; %bb.717:                              ;   in Loop: Header=BB265_490 Depth=1
	s_delay_alu instid0(VALU_DEP_3) | instskip(NEXT) | instid1(VALU_DEP_1)
	v_clz_i32_u32_e32 v48, v48
	v_min_u32_e32 v48, 32, v48
	s_delay_alu instid0(VALU_DEP_1) | instskip(NEXT) | instid1(VALU_DEP_1)
	v_subrev_nc_u32_e32 v50, 28, v48
	v_lshlrev_b64_e32 v[51:52], v50, v[1:2]
	v_sub_nc_u32_e32 v50, 29, v48
	s_delay_alu instid0(VALU_DEP_2)
	v_and_b32_e32 v48, 7, v51
; %bb.718:                              ;   in Loop: Header=BB265_490 Depth=1
	s_wait_alu 0xfffe
	s_or_b32 exec_lo, exec_lo, s24
	v_lshlrev_b32_e32 v1, 8, v1
	v_lshl_add_u32 v50, v50, 10, 0x2000
	v_lshlrev_b32_e32 v48, 23, v48
	s_delay_alu instid0(VALU_DEP_2) | instskip(NEXT) | instid1(VALU_DEP_1)
	v_and_or_b32 v1, 0x8000, v1, v50
	v_lshl_or_b32 v48, v1, 16, v48
.LBB265_719:                            ;   in Loop: Header=BB265_490 Depth=1
	s_wait_alu 0xfffe
	s_or_b32 exec_lo, exec_lo, s19
.LBB265_720:                            ;   in Loop: Header=BB265_490 Depth=1
	s_wait_alu 0xfffe
	s_or_b32 exec_lo, exec_lo, s18
.LBB265_721:                            ;   in Loop: Header=BB265_490 Depth=1
	s_wait_alu 0xfffe
	s_or_b32 exec_lo, exec_lo, s17
	v_dual_mov_b32 v1, v10 :: v_dual_and_b32 v52, 0xff, v10
	v_dual_mov_b32 v50, 0 :: v_dual_mov_b32 v51, 0
	s_mov_b32 s17, exec_lo
	s_delay_alu instid0(VALU_DEP_2)
	v_cmpx_ne_u16_e32 0, v52
	s_cbranch_execz .LBB265_729
; %bb.722:                              ;   in Loop: Header=BB265_490 Depth=1
	v_mov_b32_e32 v51, 0x8000
	s_mov_b32 s18, exec_lo
	v_cmpx_ne_u16_e32 0x80, v52
	s_cbranch_execz .LBB265_728
; %bb.723:                              ;   in Loop: Header=BB265_490 Depth=1
	v_and_b32_e32 v53, 0x7f, v10
	v_mov_b32_e32 v51, 0x7c01
	s_mov_b32 s19, exec_lo
	s_delay_alu instid0(VALU_DEP_2)
	v_cmpx_ne_u32_e32 0x7f, v53
	s_cbranch_execz .LBB265_727
; %bb.724:                              ;   in Loop: Header=BB265_490 Depth=1
	v_and_b32_e32 v51, 7, v10
	v_lshrrev_b32_e32 v52, 3, v53
	s_mov_b32 s24, exec_lo
	v_cmpx_gt_u32_e32 8, v53
; %bb.725:                              ;   in Loop: Header=BB265_490 Depth=1
	s_delay_alu instid0(VALU_DEP_3) | instskip(NEXT) | instid1(VALU_DEP_1)
	v_clz_i32_u32_e32 v51, v51
	v_min_u32_e32 v53, 32, v51
	s_delay_alu instid0(VALU_DEP_1) | instskip(NEXT) | instid1(VALU_DEP_1)
	v_subrev_nc_u32_e32 v51, 28, v53
	v_lshlrev_b64_e32 v[51:52], v51, v[1:2]
	v_sub_nc_u32_e32 v52, 29, v53
	s_delay_alu instid0(VALU_DEP_2)
	v_and_b32_e32 v51, 7, v51
; %bb.726:                              ;   in Loop: Header=BB265_490 Depth=1
	s_wait_alu 0xfffe
	s_or_b32 exec_lo, exec_lo, s24
	v_lshlrev_b32_e32 v53, 8, v10
	v_lshl_add_u32 v52, v52, 10, 0x2000
	v_lshlrev_b32_e32 v51, 7, v51
	s_delay_alu instid0(VALU_DEP_3) | instskip(NEXT) | instid1(VALU_DEP_3)
	v_and_b32_e32 v53, 0x8000, v53
	v_and_b32_e32 v52, 0xfc00, v52
	s_delay_alu instid0(VALU_DEP_1)
	v_or3_b32 v51, v53, v52, v51
.LBB265_727:                            ;   in Loop: Header=BB265_490 Depth=1
	s_wait_alu 0xfffe
	s_or_b32 exec_lo, exec_lo, s19
.LBB265_728:                            ;   in Loop: Header=BB265_490 Depth=1
	s_wait_alu 0xfffe
	s_or_b32 exec_lo, exec_lo, s18
.LBB265_729:                            ;   in Loop: Header=BB265_490 Depth=1
	s_wait_alu 0xfffe
	s_or_b32 exec_lo, exec_lo, s17
	v_lshrrev_b16 v1, 8, v1
	v_mov_b32_e32 v52, 0
	s_mov_b32 s17, exec_lo
	s_delay_alu instid0(VALU_DEP_2)
	v_cmpx_ne_u16_e32 0, v1
	s_cbranch_execz .LBB265_737
; %bb.730:                              ;   in Loop: Header=BB265_490 Depth=1
	v_bfrev_b32_e32 v52, 1
	s_mov_b32 s18, exec_lo
	v_cmpx_ne_u16_e32 0x80, v1
	s_cbranch_execz .LBB265_736
; %bb.731:                              ;   in Loop: Header=BB265_490 Depth=1
	v_and_b32_e32 v53, 0xffff, v1
	v_mov_b32_e32 v52, 0x7c010000
	s_mov_b32 s19, exec_lo
	s_delay_alu instid0(VALU_DEP_2) | instskip(NEXT) | instid1(VALU_DEP_1)
	v_and_b32_e32 v55, 0x7f, v53
	v_cmpx_ne_u32_e32 0x7f, v55
	s_cbranch_execz .LBB265_735
; %bb.732:                              ;   in Loop: Header=BB265_490 Depth=1
	v_and_b32_e32 v52, 7, v53
	v_lshrrev_b32_e32 v54, 3, v55
	s_mov_b32 s24, exec_lo
	v_cmpx_gt_u32_e32 8, v55
; %bb.733:                              ;   in Loop: Header=BB265_490 Depth=1
	s_delay_alu instid0(VALU_DEP_3) | instskip(NEXT) | instid1(VALU_DEP_1)
	v_clz_i32_u32_e32 v52, v52
	v_min_u32_e32 v52, 32, v52
	s_delay_alu instid0(VALU_DEP_1) | instskip(NEXT) | instid1(VALU_DEP_1)
	v_subrev_nc_u32_e32 v54, 28, v52
	v_lshlrev_b64_e32 v[55:56], v54, v[1:2]
	v_sub_nc_u32_e32 v54, 29, v52
	s_delay_alu instid0(VALU_DEP_2)
	v_and_b32_e32 v52, 7, v55
; %bb.734:                              ;   in Loop: Header=BB265_490 Depth=1
	s_wait_alu 0xfffe
	s_or_b32 exec_lo, exec_lo, s24
	v_lshlrev_b32_e32 v1, 8, v53
	v_lshl_add_u32 v53, v54, 10, 0x2000
	v_lshlrev_b32_e32 v52, 23, v52
	s_delay_alu instid0(VALU_DEP_2) | instskip(NEXT) | instid1(VALU_DEP_1)
	v_and_or_b32 v1, 0x8000, v1, v53
	v_lshl_or_b32 v52, v1, 16, v52
.LBB265_735:                            ;   in Loop: Header=BB265_490 Depth=1
	s_wait_alu 0xfffe
	s_or_b32 exec_lo, exec_lo, s19
.LBB265_736:                            ;   in Loop: Header=BB265_490 Depth=1
	s_wait_alu 0xfffe
	s_or_b32 exec_lo, exec_lo, s18
.LBB265_737:                            ;   in Loop: Header=BB265_490 Depth=1
	s_wait_alu 0xfffe
	s_or_b32 exec_lo, exec_lo, s17
	v_lshrrev_b32_e32 v1, 16, v10
	s_mov_b32 s17, exec_lo
	s_delay_alu instid0(VALU_DEP_1) | instskip(NEXT) | instid1(VALU_DEP_1)
	v_and_b32_e32 v53, 0xff, v1
	v_cmpx_ne_u16_e32 0, v53
	s_cbranch_execz .LBB265_745
; %bb.738:                              ;   in Loop: Header=BB265_490 Depth=1
	v_mov_b32_e32 v50, 0x8000
	s_mov_b32 s18, exec_lo
	v_cmpx_ne_u16_e32 0x80, v53
	s_cbranch_execz .LBB265_744
; %bb.739:                              ;   in Loop: Header=BB265_490 Depth=1
	v_bfe_u32 v54, v10, 16, 7
	v_mov_b32_e32 v50, 0x7c01
	s_mov_b32 s19, exec_lo
	s_delay_alu instid0(VALU_DEP_2)
	v_cmpx_ne_u32_e32 0x7f, v54
	s_cbranch_execz .LBB265_743
; %bb.740:                              ;   in Loop: Header=BB265_490 Depth=1
	v_and_b32_e32 v50, 7, v1
	v_lshrrev_b32_e32 v53, 3, v54
	s_mov_b32 s24, exec_lo
	v_cmpx_gt_u32_e32 8, v54
; %bb.741:                              ;   in Loop: Header=BB265_490 Depth=1
	s_delay_alu instid0(VALU_DEP_3) | instskip(NEXT) | instid1(VALU_DEP_1)
	v_clz_i32_u32_e32 v50, v50
	v_min_u32_e32 v50, 32, v50
	s_delay_alu instid0(VALU_DEP_1) | instskip(NEXT) | instid1(VALU_DEP_1)
	v_subrev_nc_u32_e32 v53, 28, v50
	v_lshlrev_b64_e32 v[54:55], v53, v[1:2]
	v_sub_nc_u32_e32 v53, 29, v50
	s_delay_alu instid0(VALU_DEP_2)
	v_and_b32_e32 v50, 7, v54
; %bb.742:                              ;   in Loop: Header=BB265_490 Depth=1
	s_wait_alu 0xfffe
	s_or_b32 exec_lo, exec_lo, s24
	v_lshlrev_b32_e32 v1, 8, v1
	v_lshl_add_u32 v53, v53, 10, 0x2000
	v_lshlrev_b32_e32 v50, 7, v50
	s_delay_alu instid0(VALU_DEP_3) | instskip(NEXT) | instid1(VALU_DEP_3)
	v_and_b32_e32 v1, 0x8000, v1
	v_and_b32_e32 v53, 0xfc00, v53
	s_delay_alu instid0(VALU_DEP_1)
	v_or3_b32 v50, v1, v53, v50
.LBB265_743:                            ;   in Loop: Header=BB265_490 Depth=1
	s_wait_alu 0xfffe
	s_or_b32 exec_lo, exec_lo, s19
.LBB265_744:                            ;   in Loop: Header=BB265_490 Depth=1
	s_wait_alu 0xfffe
	s_or_b32 exec_lo, exec_lo, s18
.LBB265_745:                            ;   in Loop: Header=BB265_490 Depth=1
	s_wait_alu 0xfffe
	s_or_b32 exec_lo, exec_lo, s17
	v_cmp_lt_u64_e64 s0, s[2:3], v[9:10]
	v_mov_b32_e32 v9, 0
	s_and_saveexec_b32 s17, s0
	s_cbranch_execz .LBB265_753
; %bb.746:                              ;   in Loop: Header=BB265_490 Depth=1
	v_lshrrev_b32_e32 v1, 24, v10
	v_bfrev_b32_e32 v9, 1
	s_mov_b32 s18, exec_lo
	s_delay_alu instid0(VALU_DEP_2)
	v_cmpx_ne_u32_e32 0x80, v1
	s_cbranch_execz .LBB265_752
; %bb.747:                              ;   in Loop: Header=BB265_490 Depth=1
	v_and_b32_e32 v53, 0x7f, v1
	v_mov_b32_e32 v9, 0x7c010000
	s_mov_b32 s19, exec_lo
	s_delay_alu instid0(VALU_DEP_2)
	v_cmpx_ne_u32_e32 0x7f, v53
	s_cbranch_execz .LBB265_751
; %bb.748:                              ;   in Loop: Header=BB265_490 Depth=1
	v_and_b32_e32 v9, 7, v1
	v_lshrrev_b32_e32 v10, 3, v53
	s_mov_b32 s24, exec_lo
	v_cmpx_gt_u32_e32 8, v53
; %bb.749:                              ;   in Loop: Header=BB265_490 Depth=1
	s_delay_alu instid0(VALU_DEP_3) | instskip(NEXT) | instid1(VALU_DEP_1)
	v_clz_i32_u32_e32 v9, v9
	v_min_u32_e32 v53, 32, v9
	s_delay_alu instid0(VALU_DEP_1) | instskip(NEXT) | instid1(VALU_DEP_1)
	v_subrev_nc_u32_e32 v9, 28, v53
	v_lshlrev_b64_e32 v[9:10], v9, v[1:2]
	v_sub_nc_u32_e32 v10, 29, v53
	s_delay_alu instid0(VALU_DEP_2)
	v_and_b32_e32 v9, 7, v9
; %bb.750:                              ;   in Loop: Header=BB265_490 Depth=1
	s_wait_alu 0xfffe
	s_or_b32 exec_lo, exec_lo, s24
	v_lshlrev_b32_e32 v1, 8, v1
	v_lshl_add_u32 v10, v10, 10, 0x2000
	v_lshlrev_b32_e32 v9, 23, v9
	s_delay_alu instid0(VALU_DEP_2) | instskip(NEXT) | instid1(VALU_DEP_1)
	v_and_or_b32 v1, 0x8000, v1, v10
	v_lshl_or_b32 v9, v1, 16, v9
.LBB265_751:                            ;   in Loop: Header=BB265_490 Depth=1
	s_wait_alu 0xfffe
	s_or_b32 exec_lo, exec_lo, s19
.LBB265_752:                            ;   in Loop: Header=BB265_490 Depth=1
	s_wait_alu 0xfffe
	s_or_b32 exec_lo, exec_lo, s18
.LBB265_753:                            ;   in Loop: Header=BB265_490 Depth=1
	s_wait_alu 0xfffe
	s_or_b32 exec_lo, exec_lo, s17
	v_or_b32_e32 v1, v48, v49
	s_wait_loadcnt 0x0
	v_fma_mixlo_f16 v10, v45, v48, 0 op_sel:[0,1,0] op_sel_hi:[0,1,0]
	v_or_b32_e32 v48, v46, v47
	v_fma_mixlo_f16 v46, v45, v46, 0 op_sel:[0,1,0] op_sel_hi:[0,1,0]
	v_or_b32_e32 v49, v52, v51
	v_or_b32_e32 v50, v9, v50
	v_fma_mixlo_f16 v51, v45, v1, 0 op_sel_hi:[0,1,0]
	v_fma_mixlo_f16 v9, v45, v9, 0 op_sel:[0,1,0] op_sel_hi:[0,1,0]
	v_lshlrev_b32_e32 v47, 16, v46
	v_fma_mixlo_f16 v46, v45, v48, 0 op_sel_hi:[0,1,0]
	v_fma_mixlo_f16 v48, v45, v52, 0 op_sel:[0,1,0] op_sel_hi:[0,1,0]
	v_fma_mixlo_f16 v49, v45, v49, 0 op_sel_hi:[0,1,0]
	v_fma_mixlo_f16 v50, v45, v50, 0 op_sel_hi:[0,1,0]
	v_lshlrev_b32_e32 v1, 16, v10
	v_and_b32_e32 v10, 0xffff, v51
	v_and_b32_e32 v53, 0xffff, v46
	v_lshlrev_b32_e32 v45, 16, v48
	v_and_b32_e32 v49, 0xffff, v49
	v_lshlrev_b32_e32 v9, 16, v9
	v_and_b32_e32 v46, 0xffff, v50
	v_or_b32_e32 v48, v1, v10
	v_or_b32_e32 v52, v47, v53
	;; [unrolled: 1-line block ×3, first 2 shown]
	s_delay_alu instid0(VALU_DEP_4)
	v_or_b32_e32 v50, v9, v46
	s_and_saveexec_b32 s17, vcc_lo
	s_cbranch_execz .LBB265_755
; %bb.754:                              ;   in Loop: Header=BB265_490 Depth=1
	v_cmp_gt_i32_e64 s0, s34, v27
	s_wait_alu 0xf1ff
	s_delay_alu instid0(VALU_DEP_1) | instskip(SKIP_2) | instid1(VALU_DEP_1)
	v_cndmask_b32_e64 v48, 0, v53, s0
	v_cmp_gt_i32_e64 s0, s34, v34
	s_wait_alu 0xf1ff
	v_cndmask_b32_e64 v47, 0, v47, s0
	v_cmp_gt_i32_e64 s0, s34, v33
	s_delay_alu instid0(VALU_DEP_2) | instskip(SKIP_1) | instid1(VALU_DEP_2)
	v_or_b32_e32 v52, v47, v48
	s_wait_alu 0xf1ff
	v_cndmask_b32_e64 v10, 0, v10, s0
	v_cmp_gt_i32_e64 s0, s34, v32
	s_wait_alu 0xf1ff
	s_delay_alu instid0(VALU_DEP_1) | instskip(SKIP_1) | instid1(VALU_DEP_2)
	v_cndmask_b32_e64 v1, 0, v1, s0
	v_cmp_gt_i32_e64 s0, s34, v31
	v_or_b32_e32 v48, v1, v10
	s_wait_alu 0xf1ff
	s_delay_alu instid0(VALU_DEP_2) | instskip(SKIP_2) | instid1(VALU_DEP_1)
	v_cndmask_b32_e64 v49, 0, v49, s0
	v_cmp_gt_i32_e64 s0, s34, v30
	s_wait_alu 0xf1ff
	v_cndmask_b32_e64 v45, 0, v45, s0
	v_cmp_gt_i32_e64 s0, s34, v29
	s_delay_alu instid0(VALU_DEP_2) | instskip(SKIP_1) | instid1(VALU_DEP_2)
	v_or_b32_e32 v51, v45, v49
	s_wait_alu 0xf1ff
	v_cndmask_b32_e64 v46, 0, v46, s0
	v_cmp_gt_i32_e64 s0, s34, v28
	s_wait_alu 0xf1ff
	s_delay_alu instid0(VALU_DEP_1) | instskip(NEXT) | instid1(VALU_DEP_1)
	v_cndmask_b32_e64 v9, 0, v9, s0
	v_or_b32_e32 v50, v9, v46
.LBB265_755:                            ;   in Loop: Header=BB265_490 Depth=1
	s_wait_alu 0xfffe
	s_or_b32 exec_lo, exec_lo, s17
	;;#ASMSTART
	v_pk_mul_f16 v1, v40, v52;

	;;#ASMEND
	;;#ASMSTART
	v_pk_mul_f16 v9, v39, v48;

	;;#ASMEND
	;; [unrolled: 4-line block ×4, first 2 shown]
	;;#ASMSTART
	v_pk_add_f16 v1, v1, v9;

	;;#ASMEND
	;;#ASMSTART
	v_pk_add_f16 v1, v1, v10;

	;;#ASMEND
	;; [unrolled: 4-line block ×3, first 2 shown]
	v_dual_mov_b32 v48, 0 :: v_dual_and_b32 v9, 0xffff, v1
	v_lshrrev_b32_e32 v1, 16, v1
	;;#ASMSTART
	v_cvt_f32_f16 v45, v9;
	;;#ASMEND
	;;#ASMSTART
	v_cvt_f32_f16 v46, v1;
	;;#ASMEND
	global_load_b64 v[9:10], v[7:8], off offset:1024
	global_load_b32 v47, v48, s[10:11]
	v_mov_b32_e32 v49, 0
	s_mov_b32 s17, exec_lo
	s_wait_loadcnt 0x1
	v_and_b32_e32 v1, 0xff, v9
	s_delay_alu instid0(VALU_DEP_1)
	v_cmpx_ne_u16_e32 0, v1
	s_cbranch_execz .LBB265_763
; %bb.756:                              ;   in Loop: Header=BB265_490 Depth=1
	v_mov_b32_e32 v49, 0x8000
	s_mov_b32 s18, exec_lo
	v_cmpx_ne_u16_e32 0x80, v1
	s_cbranch_execz .LBB265_762
; %bb.757:                              ;   in Loop: Header=BB265_490 Depth=1
	v_and_b32_e32 v50, 0x7f, v9
	v_mov_b32_e32 v49, 0x7c01
	s_mov_b32 s19, exec_lo
	s_delay_alu instid0(VALU_DEP_2)
	v_cmpx_ne_u32_e32 0x7f, v50
	s_cbranch_execz .LBB265_761
; %bb.758:                              ;   in Loop: Header=BB265_490 Depth=1
	v_and_b32_e32 v1, 7, v9
	v_lshrrev_b32_e32 v49, 3, v50
	s_mov_b32 s24, exec_lo
	v_cmpx_gt_u32_e32 8, v50
; %bb.759:                              ;   in Loop: Header=BB265_490 Depth=1
	s_delay_alu instid0(VALU_DEP_3) | instskip(NEXT) | instid1(VALU_DEP_1)
	v_clz_i32_u32_e32 v1, v1
	v_min_u32_e32 v1, 32, v1
	s_delay_alu instid0(VALU_DEP_1) | instskip(NEXT) | instid1(VALU_DEP_1)
	v_subrev_nc_u32_e32 v49, 28, v1
	v_lshlrev_b64_e32 v[50:51], v49, v[9:10]
	v_sub_nc_u32_e32 v49, 29, v1
	s_delay_alu instid0(VALU_DEP_2)
	v_and_b32_e32 v1, 7, v50
; %bb.760:                              ;   in Loop: Header=BB265_490 Depth=1
	s_wait_alu 0xfffe
	s_or_b32 exec_lo, exec_lo, s24
	v_lshlrev_b32_e32 v50, 8, v9
	v_lshl_add_u32 v49, v49, 10, 0x2000
	v_lshlrev_b32_e32 v1, 7, v1
	s_delay_alu instid0(VALU_DEP_3) | instskip(NEXT) | instid1(VALU_DEP_3)
	v_and_b32_e32 v50, 0x8000, v50
	v_and_b32_e32 v49, 0xfc00, v49
	s_delay_alu instid0(VALU_DEP_1)
	v_or3_b32 v49, v50, v49, v1
.LBB265_761:                            ;   in Loop: Header=BB265_490 Depth=1
	s_wait_alu 0xfffe
	s_or_b32 exec_lo, exec_lo, s19
.LBB265_762:                            ;   in Loop: Header=BB265_490 Depth=1
	s_wait_alu 0xfffe
	s_or_b32 exec_lo, exec_lo, s18
.LBB265_763:                            ;   in Loop: Header=BB265_490 Depth=1
	s_wait_alu 0xfffe
	s_or_b32 exec_lo, exec_lo, s17
	v_lshrrev_b16 v1, 8, v9
	s_mov_b32 s17, exec_lo
	s_delay_alu instid0(VALU_DEP_1)
	v_cmpx_ne_u16_e32 0, v1
	s_cbranch_execz .LBB265_771
; %bb.764:                              ;   in Loop: Header=BB265_490 Depth=1
	v_bfrev_b32_e32 v48, 1
	s_mov_b32 s18, exec_lo
	v_cmpx_ne_u16_e32 0x80, v1
	s_cbranch_execz .LBB265_770
; %bb.765:                              ;   in Loop: Header=BB265_490 Depth=1
	v_and_b32_e32 v50, 0xffff, v1
	v_mov_b32_e32 v48, 0x7c010000
	s_mov_b32 s19, exec_lo
	s_delay_alu instid0(VALU_DEP_2) | instskip(NEXT) | instid1(VALU_DEP_1)
	v_and_b32_e32 v52, 0x7f, v50
	v_cmpx_ne_u32_e32 0x7f, v52
	s_cbranch_execz .LBB265_769
; %bb.766:                              ;   in Loop: Header=BB265_490 Depth=1
	v_and_b32_e32 v48, 7, v50
	v_lshrrev_b32_e32 v51, 3, v52
	s_mov_b32 s24, exec_lo
	v_cmpx_gt_u32_e32 8, v52
; %bb.767:                              ;   in Loop: Header=BB265_490 Depth=1
	s_delay_alu instid0(VALU_DEP_3) | instskip(NEXT) | instid1(VALU_DEP_1)
	v_clz_i32_u32_e32 v48, v48
	v_min_u32_e32 v48, 32, v48
	s_delay_alu instid0(VALU_DEP_1) | instskip(NEXT) | instid1(VALU_DEP_1)
	v_subrev_nc_u32_e32 v51, 28, v48
	v_lshlrev_b64_e32 v[52:53], v51, v[1:2]
	v_sub_nc_u32_e32 v51, 29, v48
	s_delay_alu instid0(VALU_DEP_2)
	v_and_b32_e32 v48, 7, v52
; %bb.768:                              ;   in Loop: Header=BB265_490 Depth=1
	s_wait_alu 0xfffe
	s_or_b32 exec_lo, exec_lo, s24
	v_lshlrev_b32_e32 v1, 8, v50
	v_lshl_add_u32 v50, v51, 10, 0x2000
	v_lshlrev_b32_e32 v48, 23, v48
	s_delay_alu instid0(VALU_DEP_2) | instskip(NEXT) | instid1(VALU_DEP_1)
	v_and_or_b32 v1, 0x8000, v1, v50
	v_lshl_or_b32 v48, v1, 16, v48
.LBB265_769:                            ;   in Loop: Header=BB265_490 Depth=1
	s_wait_alu 0xfffe
	s_or_b32 exec_lo, exec_lo, s19
.LBB265_770:                            ;   in Loop: Header=BB265_490 Depth=1
	s_wait_alu 0xfffe
	s_or_b32 exec_lo, exec_lo, s18
.LBB265_771:                            ;   in Loop: Header=BB265_490 Depth=1
	s_wait_alu 0xfffe
	s_or_b32 exec_lo, exec_lo, s17
	v_lshrrev_b32_e32 v1, 16, v9
	v_mov_b32_e32 v50, 0
	s_mov_b32 s17, exec_lo
	s_delay_alu instid0(VALU_DEP_2) | instskip(NEXT) | instid1(VALU_DEP_1)
	v_dual_mov_b32 v51, 0 :: v_dual_and_b32 v52, 0xff, v1
	v_cmpx_ne_u16_e32 0, v52
	s_cbranch_execz .LBB265_779
; %bb.772:                              ;   in Loop: Header=BB265_490 Depth=1
	v_mov_b32_e32 v51, 0x8000
	s_mov_b32 s18, exec_lo
	v_cmpx_ne_u16_e32 0x80, v52
	s_cbranch_execz .LBB265_778
; %bb.773:                              ;   in Loop: Header=BB265_490 Depth=1
	v_bfe_u32 v53, v9, 16, 7
	v_mov_b32_e32 v51, 0x7c01
	s_mov_b32 s19, exec_lo
	s_delay_alu instid0(VALU_DEP_2)
	v_cmpx_ne_u32_e32 0x7f, v53
	s_cbranch_execz .LBB265_777
; %bb.774:                              ;   in Loop: Header=BB265_490 Depth=1
	v_and_b32_e32 v51, 7, v1
	v_lshrrev_b32_e32 v52, 3, v53
	s_mov_b32 s24, exec_lo
	v_cmpx_gt_u32_e32 8, v53
; %bb.775:                              ;   in Loop: Header=BB265_490 Depth=1
	s_delay_alu instid0(VALU_DEP_3) | instskip(NEXT) | instid1(VALU_DEP_1)
	v_clz_i32_u32_e32 v51, v51
	v_min_u32_e32 v53, 32, v51
	s_delay_alu instid0(VALU_DEP_1) | instskip(NEXT) | instid1(VALU_DEP_1)
	v_subrev_nc_u32_e32 v51, 28, v53
	v_lshlrev_b64_e32 v[51:52], v51, v[1:2]
	v_sub_nc_u32_e32 v52, 29, v53
	s_delay_alu instid0(VALU_DEP_2)
	v_and_b32_e32 v51, 7, v51
; %bb.776:                              ;   in Loop: Header=BB265_490 Depth=1
	s_wait_alu 0xfffe
	s_or_b32 exec_lo, exec_lo, s24
	v_lshlrev_b32_e32 v1, 8, v1
	v_lshl_add_u32 v52, v52, 10, 0x2000
	v_lshlrev_b32_e32 v51, 7, v51
	s_delay_alu instid0(VALU_DEP_3) | instskip(NEXT) | instid1(VALU_DEP_3)
	v_and_b32_e32 v1, 0x8000, v1
	v_and_b32_e32 v52, 0xfc00, v52
	s_delay_alu instid0(VALU_DEP_1)
	v_or3_b32 v51, v1, v52, v51
.LBB265_777:                            ;   in Loop: Header=BB265_490 Depth=1
	s_wait_alu 0xfffe
	s_or_b32 exec_lo, exec_lo, s19
.LBB265_778:                            ;   in Loop: Header=BB265_490 Depth=1
	s_wait_alu 0xfffe
	s_or_b32 exec_lo, exec_lo, s18
.LBB265_779:                            ;   in Loop: Header=BB265_490 Depth=1
	s_wait_alu 0xfffe
	s_or_b32 exec_lo, exec_lo, s17
	s_delay_alu instid0(SALU_CYCLE_1)
	s_mov_b32 s17, exec_lo
	v_cmpx_lt_u32_e32 0xffffff, v9
	s_cbranch_execz .LBB265_787
; %bb.780:                              ;   in Loop: Header=BB265_490 Depth=1
	v_lshrrev_b32_e32 v1, 24, v9
	v_bfrev_b32_e32 v50, 1
	s_mov_b32 s18, exec_lo
	s_delay_alu instid0(VALU_DEP_2)
	v_cmpx_ne_u32_e32 0x80, v1
	s_cbranch_execz .LBB265_786
; %bb.781:                              ;   in Loop: Header=BB265_490 Depth=1
	v_and_b32_e32 v53, 0x7f, v1
	v_mov_b32_e32 v50, 0x7c010000
	s_mov_b32 s19, exec_lo
	s_delay_alu instid0(VALU_DEP_2)
	v_cmpx_ne_u32_e32 0x7f, v53
	s_cbranch_execz .LBB265_785
; %bb.782:                              ;   in Loop: Header=BB265_490 Depth=1
	v_and_b32_e32 v50, 7, v1
	v_lshrrev_b32_e32 v52, 3, v53
	s_mov_b32 s24, exec_lo
	v_cmpx_gt_u32_e32 8, v53
; %bb.783:                              ;   in Loop: Header=BB265_490 Depth=1
	s_delay_alu instid0(VALU_DEP_3) | instskip(NEXT) | instid1(VALU_DEP_1)
	v_clz_i32_u32_e32 v50, v50
	v_min_u32_e32 v50, 32, v50
	s_delay_alu instid0(VALU_DEP_1) | instskip(NEXT) | instid1(VALU_DEP_1)
	v_subrev_nc_u32_e32 v52, 28, v50
	v_lshlrev_b64_e32 v[53:54], v52, v[1:2]
	v_sub_nc_u32_e32 v52, 29, v50
	s_delay_alu instid0(VALU_DEP_2)
	v_and_b32_e32 v50, 7, v53
; %bb.784:                              ;   in Loop: Header=BB265_490 Depth=1
	s_wait_alu 0xfffe
	s_or_b32 exec_lo, exec_lo, s24
	v_lshlrev_b32_e32 v1, 8, v1
	v_lshl_add_u32 v52, v52, 10, 0x2000
	v_lshlrev_b32_e32 v50, 23, v50
	s_delay_alu instid0(VALU_DEP_2) | instskip(NEXT) | instid1(VALU_DEP_1)
	v_and_or_b32 v1, 0x8000, v1, v52
	v_lshl_or_b32 v50, v1, 16, v50
.LBB265_785:                            ;   in Loop: Header=BB265_490 Depth=1
	s_wait_alu 0xfffe
	s_or_b32 exec_lo, exec_lo, s19
.LBB265_786:                            ;   in Loop: Header=BB265_490 Depth=1
	s_wait_alu 0xfffe
	s_or_b32 exec_lo, exec_lo, s18
.LBB265_787:                            ;   in Loop: Header=BB265_490 Depth=1
	s_wait_alu 0xfffe
	s_or_b32 exec_lo, exec_lo, s17
	v_dual_mov_b32 v1, v10 :: v_dual_and_b32 v54, 0xff, v10
	v_dual_mov_b32 v52, 0 :: v_dual_mov_b32 v53, 0
	s_mov_b32 s17, exec_lo
	s_delay_alu instid0(VALU_DEP_2)
	v_cmpx_ne_u16_e32 0, v54
	s_cbranch_execz .LBB265_795
; %bb.788:                              ;   in Loop: Header=BB265_490 Depth=1
	v_mov_b32_e32 v53, 0x8000
	s_mov_b32 s18, exec_lo
	v_cmpx_ne_u16_e32 0x80, v54
	s_cbranch_execz .LBB265_794
; %bb.789:                              ;   in Loop: Header=BB265_490 Depth=1
	v_and_b32_e32 v55, 0x7f, v10
	v_mov_b32_e32 v53, 0x7c01
	s_mov_b32 s19, exec_lo
	s_delay_alu instid0(VALU_DEP_2)
	v_cmpx_ne_u32_e32 0x7f, v55
	s_cbranch_execz .LBB265_793
; %bb.790:                              ;   in Loop: Header=BB265_490 Depth=1
	v_and_b32_e32 v53, 7, v10
	v_lshrrev_b32_e32 v54, 3, v55
	s_mov_b32 s24, exec_lo
	v_cmpx_gt_u32_e32 8, v55
; %bb.791:                              ;   in Loop: Header=BB265_490 Depth=1
	s_delay_alu instid0(VALU_DEP_3) | instskip(NEXT) | instid1(VALU_DEP_1)
	v_clz_i32_u32_e32 v53, v53
	v_min_u32_e32 v55, 32, v53
	s_delay_alu instid0(VALU_DEP_1) | instskip(NEXT) | instid1(VALU_DEP_1)
	v_subrev_nc_u32_e32 v53, 28, v55
	v_lshlrev_b64_e32 v[53:54], v53, v[1:2]
	v_sub_nc_u32_e32 v54, 29, v55
	s_delay_alu instid0(VALU_DEP_2)
	v_and_b32_e32 v53, 7, v53
; %bb.792:                              ;   in Loop: Header=BB265_490 Depth=1
	s_wait_alu 0xfffe
	s_or_b32 exec_lo, exec_lo, s24
	v_lshlrev_b32_e32 v55, 8, v10
	v_lshl_add_u32 v54, v54, 10, 0x2000
	v_lshlrev_b32_e32 v53, 7, v53
	s_delay_alu instid0(VALU_DEP_3) | instskip(NEXT) | instid1(VALU_DEP_3)
	v_and_b32_e32 v55, 0x8000, v55
	v_and_b32_e32 v54, 0xfc00, v54
	s_delay_alu instid0(VALU_DEP_1)
	v_or3_b32 v53, v55, v54, v53
.LBB265_793:                            ;   in Loop: Header=BB265_490 Depth=1
	s_wait_alu 0xfffe
	s_or_b32 exec_lo, exec_lo, s19
.LBB265_794:                            ;   in Loop: Header=BB265_490 Depth=1
	s_wait_alu 0xfffe
	s_or_b32 exec_lo, exec_lo, s18
.LBB265_795:                            ;   in Loop: Header=BB265_490 Depth=1
	s_wait_alu 0xfffe
	s_or_b32 exec_lo, exec_lo, s17
	v_lshrrev_b16 v1, 8, v1
	v_mov_b32_e32 v54, 0
	s_mov_b32 s17, exec_lo
	s_delay_alu instid0(VALU_DEP_2)
	v_cmpx_ne_u16_e32 0, v1
	s_cbranch_execz .LBB265_803
; %bb.796:                              ;   in Loop: Header=BB265_490 Depth=1
	v_bfrev_b32_e32 v54, 1
	s_mov_b32 s18, exec_lo
	v_cmpx_ne_u16_e32 0x80, v1
	s_cbranch_execz .LBB265_802
; %bb.797:                              ;   in Loop: Header=BB265_490 Depth=1
	v_and_b32_e32 v55, 0xffff, v1
	v_mov_b32_e32 v54, 0x7c010000
	s_mov_b32 s19, exec_lo
	s_delay_alu instid0(VALU_DEP_2) | instskip(NEXT) | instid1(VALU_DEP_1)
	v_and_b32_e32 v57, 0x7f, v55
	v_cmpx_ne_u32_e32 0x7f, v57
	s_cbranch_execz .LBB265_801
; %bb.798:                              ;   in Loop: Header=BB265_490 Depth=1
	v_and_b32_e32 v54, 7, v55
	v_lshrrev_b32_e32 v56, 3, v57
	s_mov_b32 s24, exec_lo
	v_cmpx_gt_u32_e32 8, v57
; %bb.799:                              ;   in Loop: Header=BB265_490 Depth=1
	s_delay_alu instid0(VALU_DEP_3) | instskip(NEXT) | instid1(VALU_DEP_1)
	v_clz_i32_u32_e32 v54, v54
	v_min_u32_e32 v54, 32, v54
	s_delay_alu instid0(VALU_DEP_1) | instskip(NEXT) | instid1(VALU_DEP_1)
	v_subrev_nc_u32_e32 v56, 28, v54
	v_lshlrev_b64_e32 v[57:58], v56, v[1:2]
	v_sub_nc_u32_e32 v56, 29, v54
	s_delay_alu instid0(VALU_DEP_2)
	v_and_b32_e32 v54, 7, v57
; %bb.800:                              ;   in Loop: Header=BB265_490 Depth=1
	s_wait_alu 0xfffe
	s_or_b32 exec_lo, exec_lo, s24
	v_lshlrev_b32_e32 v1, 8, v55
	v_lshl_add_u32 v55, v56, 10, 0x2000
	v_lshlrev_b32_e32 v54, 23, v54
	s_delay_alu instid0(VALU_DEP_2) | instskip(NEXT) | instid1(VALU_DEP_1)
	v_and_or_b32 v1, 0x8000, v1, v55
	v_lshl_or_b32 v54, v1, 16, v54
.LBB265_801:                            ;   in Loop: Header=BB265_490 Depth=1
	s_wait_alu 0xfffe
	s_or_b32 exec_lo, exec_lo, s19
.LBB265_802:                            ;   in Loop: Header=BB265_490 Depth=1
	s_wait_alu 0xfffe
	s_or_b32 exec_lo, exec_lo, s18
.LBB265_803:                            ;   in Loop: Header=BB265_490 Depth=1
	s_wait_alu 0xfffe
	s_or_b32 exec_lo, exec_lo, s17
	v_lshrrev_b32_e32 v1, 16, v10
	s_mov_b32 s17, exec_lo
	s_delay_alu instid0(VALU_DEP_1) | instskip(NEXT) | instid1(VALU_DEP_1)
	v_and_b32_e32 v55, 0xff, v1
	v_cmpx_ne_u16_e32 0, v55
	s_cbranch_execz .LBB265_811
; %bb.804:                              ;   in Loop: Header=BB265_490 Depth=1
	v_mov_b32_e32 v52, 0x8000
	s_mov_b32 s18, exec_lo
	v_cmpx_ne_u16_e32 0x80, v55
	s_cbranch_execz .LBB265_810
; %bb.805:                              ;   in Loop: Header=BB265_490 Depth=1
	v_bfe_u32 v56, v10, 16, 7
	v_mov_b32_e32 v52, 0x7c01
	s_mov_b32 s19, exec_lo
	s_delay_alu instid0(VALU_DEP_2)
	v_cmpx_ne_u32_e32 0x7f, v56
	s_cbranch_execz .LBB265_809
; %bb.806:                              ;   in Loop: Header=BB265_490 Depth=1
	v_and_b32_e32 v52, 7, v1
	v_lshrrev_b32_e32 v55, 3, v56
	s_mov_b32 s24, exec_lo
	v_cmpx_gt_u32_e32 8, v56
; %bb.807:                              ;   in Loop: Header=BB265_490 Depth=1
	s_delay_alu instid0(VALU_DEP_3) | instskip(NEXT) | instid1(VALU_DEP_1)
	v_clz_i32_u32_e32 v52, v52
	v_min_u32_e32 v52, 32, v52
	s_delay_alu instid0(VALU_DEP_1) | instskip(NEXT) | instid1(VALU_DEP_1)
	v_subrev_nc_u32_e32 v55, 28, v52
	v_lshlrev_b64_e32 v[56:57], v55, v[1:2]
	v_sub_nc_u32_e32 v55, 29, v52
	s_delay_alu instid0(VALU_DEP_2)
	v_and_b32_e32 v52, 7, v56
; %bb.808:                              ;   in Loop: Header=BB265_490 Depth=1
	s_wait_alu 0xfffe
	s_or_b32 exec_lo, exec_lo, s24
	v_lshlrev_b32_e32 v1, 8, v1
	v_lshl_add_u32 v55, v55, 10, 0x2000
	v_lshlrev_b32_e32 v52, 7, v52
	s_delay_alu instid0(VALU_DEP_3) | instskip(NEXT) | instid1(VALU_DEP_3)
	v_and_b32_e32 v1, 0x8000, v1
	v_and_b32_e32 v55, 0xfc00, v55
	s_delay_alu instid0(VALU_DEP_1)
	v_or3_b32 v52, v1, v55, v52
.LBB265_809:                            ;   in Loop: Header=BB265_490 Depth=1
	s_wait_alu 0xfffe
	s_or_b32 exec_lo, exec_lo, s19
.LBB265_810:                            ;   in Loop: Header=BB265_490 Depth=1
	s_wait_alu 0xfffe
	s_or_b32 exec_lo, exec_lo, s18
.LBB265_811:                            ;   in Loop: Header=BB265_490 Depth=1
	s_wait_alu 0xfffe
	s_or_b32 exec_lo, exec_lo, s17
	v_cmp_lt_u64_e64 s0, s[2:3], v[9:10]
	v_mov_b32_e32 v9, 0
	s_and_saveexec_b32 s17, s0
	s_cbranch_execz .LBB265_819
; %bb.812:                              ;   in Loop: Header=BB265_490 Depth=1
	v_lshrrev_b32_e32 v1, 24, v10
	v_bfrev_b32_e32 v9, 1
	s_mov_b32 s18, exec_lo
	s_delay_alu instid0(VALU_DEP_2)
	v_cmpx_ne_u32_e32 0x80, v1
	s_cbranch_execz .LBB265_818
; %bb.813:                              ;   in Loop: Header=BB265_490 Depth=1
	v_and_b32_e32 v55, 0x7f, v1
	v_mov_b32_e32 v9, 0x7c010000
	s_mov_b32 s19, exec_lo
	s_delay_alu instid0(VALU_DEP_2)
	v_cmpx_ne_u32_e32 0x7f, v55
	s_cbranch_execz .LBB265_817
; %bb.814:                              ;   in Loop: Header=BB265_490 Depth=1
	v_and_b32_e32 v9, 7, v1
	v_lshrrev_b32_e32 v10, 3, v55
	s_mov_b32 s24, exec_lo
	v_cmpx_gt_u32_e32 8, v55
; %bb.815:                              ;   in Loop: Header=BB265_490 Depth=1
	s_delay_alu instid0(VALU_DEP_3) | instskip(NEXT) | instid1(VALU_DEP_1)
	v_clz_i32_u32_e32 v9, v9
	v_min_u32_e32 v55, 32, v9
	s_delay_alu instid0(VALU_DEP_1) | instskip(NEXT) | instid1(VALU_DEP_1)
	v_subrev_nc_u32_e32 v9, 28, v55
	v_lshlrev_b64_e32 v[9:10], v9, v[1:2]
	v_sub_nc_u32_e32 v10, 29, v55
	s_delay_alu instid0(VALU_DEP_2)
	v_and_b32_e32 v9, 7, v9
; %bb.816:                              ;   in Loop: Header=BB265_490 Depth=1
	s_wait_alu 0xfffe
	s_or_b32 exec_lo, exec_lo, s24
	v_lshlrev_b32_e32 v1, 8, v1
	v_lshl_add_u32 v10, v10, 10, 0x2000
	v_lshlrev_b32_e32 v9, 23, v9
	s_delay_alu instid0(VALU_DEP_2) | instskip(NEXT) | instid1(VALU_DEP_1)
	v_and_or_b32 v1, 0x8000, v1, v10
	v_lshl_or_b32 v9, v1, 16, v9
.LBB265_817:                            ;   in Loop: Header=BB265_490 Depth=1
	s_wait_alu 0xfffe
	s_or_b32 exec_lo, exec_lo, s19
.LBB265_818:                            ;   in Loop: Header=BB265_490 Depth=1
	s_wait_alu 0xfffe
	s_or_b32 exec_lo, exec_lo, s18
.LBB265_819:                            ;   in Loop: Header=BB265_490 Depth=1
	s_wait_alu 0xfffe
	s_or_b32 exec_lo, exec_lo, s17
	v_or_b32_e32 v1, v50, v51
	s_wait_loadcnt 0x0
	v_fma_mixlo_f16 v10, v47, v50, 0 op_sel:[0,1,0] op_sel_hi:[0,1,0]
	v_or_b32_e32 v50, v48, v49
	v_fma_mixlo_f16 v48, v47, v48, 0 op_sel:[0,1,0] op_sel_hi:[0,1,0]
	v_or_b32_e32 v51, v54, v53
	v_or_b32_e32 v52, v9, v52
	v_fma_mixlo_f16 v53, v47, v1, 0 op_sel_hi:[0,1,0]
	v_fma_mixlo_f16 v9, v47, v9, 0 op_sel:[0,1,0] op_sel_hi:[0,1,0]
	v_lshlrev_b32_e32 v49, 16, v48
	v_fma_mixlo_f16 v48, v47, v50, 0 op_sel_hi:[0,1,0]
	v_fma_mixlo_f16 v50, v47, v54, 0 op_sel:[0,1,0] op_sel_hi:[0,1,0]
	v_fma_mixlo_f16 v51, v47, v51, 0 op_sel_hi:[0,1,0]
	v_fma_mixlo_f16 v52, v47, v52, 0 op_sel_hi:[0,1,0]
	v_lshlrev_b32_e32 v1, 16, v10
	v_and_b32_e32 v10, 0xffff, v53
	v_and_b32_e32 v55, 0xffff, v48
	v_lshlrev_b32_e32 v47, 16, v50
	v_and_b32_e32 v51, 0xffff, v51
	v_lshlrev_b32_e32 v9, 16, v9
	v_and_b32_e32 v48, 0xffff, v52
	v_or_b32_e32 v50, v1, v10
	v_or_b32_e32 v54, v49, v55
	v_or_b32_e32 v53, v47, v51
	s_delay_alu instid0(VALU_DEP_4)
	v_or_b32_e32 v52, v9, v48
	s_and_saveexec_b32 s17, vcc_lo
	s_cbranch_execz .LBB265_821
; %bb.820:                              ;   in Loop: Header=BB265_490 Depth=1
	v_cmp_gt_i32_e64 s0, s34, v27
	s_wait_alu 0xf1ff
	s_delay_alu instid0(VALU_DEP_1) | instskip(SKIP_2) | instid1(VALU_DEP_1)
	v_cndmask_b32_e64 v50, 0, v55, s0
	v_cmp_gt_i32_e64 s0, s34, v34
	s_wait_alu 0xf1ff
	v_cndmask_b32_e64 v49, 0, v49, s0
	v_cmp_gt_i32_e64 s0, s34, v33
	s_delay_alu instid0(VALU_DEP_2) | instskip(SKIP_1) | instid1(VALU_DEP_2)
	v_or_b32_e32 v54, v49, v50
	s_wait_alu 0xf1ff
	v_cndmask_b32_e64 v10, 0, v10, s0
	v_cmp_gt_i32_e64 s0, s34, v32
	s_wait_alu 0xf1ff
	s_delay_alu instid0(VALU_DEP_1) | instskip(SKIP_1) | instid1(VALU_DEP_2)
	v_cndmask_b32_e64 v1, 0, v1, s0
	v_cmp_gt_i32_e64 s0, s34, v31
	v_or_b32_e32 v50, v1, v10
	s_wait_alu 0xf1ff
	s_delay_alu instid0(VALU_DEP_2) | instskip(SKIP_2) | instid1(VALU_DEP_1)
	v_cndmask_b32_e64 v51, 0, v51, s0
	v_cmp_gt_i32_e64 s0, s34, v30
	s_wait_alu 0xf1ff
	v_cndmask_b32_e64 v47, 0, v47, s0
	v_cmp_gt_i32_e64 s0, s34, v29
	s_delay_alu instid0(VALU_DEP_2) | instskip(SKIP_1) | instid1(VALU_DEP_2)
	v_or_b32_e32 v53, v47, v51
	s_wait_alu 0xf1ff
	v_cndmask_b32_e64 v48, 0, v48, s0
	v_cmp_gt_i32_e64 s0, s34, v28
	s_wait_alu 0xf1ff
	s_delay_alu instid0(VALU_DEP_1) | instskip(NEXT) | instid1(VALU_DEP_1)
	v_cndmask_b32_e64 v9, 0, v9, s0
	v_or_b32_e32 v52, v9, v48
.LBB265_821:                            ;   in Loop: Header=BB265_490 Depth=1
	s_wait_alu 0xfffe
	s_or_b32 exec_lo, exec_lo, s17
	;;#ASMSTART
	v_pk_mul_f16 v1, v40, v54;

	;;#ASMEND
	;;#ASMSTART
	v_pk_mul_f16 v9, v39, v50;

	;;#ASMEND
	;; [unrolled: 4-line block ×4, first 2 shown]
	;;#ASMSTART
	v_pk_add_f16 v1, v1, v9;

	;;#ASMEND
	;;#ASMSTART
	v_pk_add_f16 v1, v1, v10;

	;;#ASMEND
	;; [unrolled: 4-line block ×3, first 2 shown]
	v_dual_mov_b32 v50, 0 :: v_dual_and_b32 v9, 0xffff, v1
	v_lshrrev_b32_e32 v1, 16, v1
	;;#ASMSTART
	v_cvt_f32_f16 v47, v9;
	;;#ASMEND
	;;#ASMSTART
	v_cvt_f32_f16 v48, v1;
	;;#ASMEND
	global_load_b64 v[9:10], v[7:8], off offset:1280
	global_load_b32 v49, v50, s[10:11]
	v_mov_b32_e32 v51, 0
	s_mov_b32 s17, exec_lo
	s_wait_loadcnt 0x1
	v_and_b32_e32 v1, 0xff, v9
	s_delay_alu instid0(VALU_DEP_1)
	v_cmpx_ne_u16_e32 0, v1
	s_cbranch_execz .LBB265_829
; %bb.822:                              ;   in Loop: Header=BB265_490 Depth=1
	v_mov_b32_e32 v51, 0x8000
	s_mov_b32 s18, exec_lo
	v_cmpx_ne_u16_e32 0x80, v1
	s_cbranch_execz .LBB265_828
; %bb.823:                              ;   in Loop: Header=BB265_490 Depth=1
	v_and_b32_e32 v52, 0x7f, v9
	v_mov_b32_e32 v51, 0x7c01
	s_mov_b32 s19, exec_lo
	s_delay_alu instid0(VALU_DEP_2)
	v_cmpx_ne_u32_e32 0x7f, v52
	s_cbranch_execz .LBB265_827
; %bb.824:                              ;   in Loop: Header=BB265_490 Depth=1
	v_and_b32_e32 v1, 7, v9
	v_lshrrev_b32_e32 v51, 3, v52
	s_mov_b32 s24, exec_lo
	v_cmpx_gt_u32_e32 8, v52
; %bb.825:                              ;   in Loop: Header=BB265_490 Depth=1
	s_delay_alu instid0(VALU_DEP_3) | instskip(NEXT) | instid1(VALU_DEP_1)
	v_clz_i32_u32_e32 v1, v1
	v_min_u32_e32 v1, 32, v1
	s_delay_alu instid0(VALU_DEP_1) | instskip(NEXT) | instid1(VALU_DEP_1)
	v_subrev_nc_u32_e32 v51, 28, v1
	v_lshlrev_b64_e32 v[52:53], v51, v[9:10]
	v_sub_nc_u32_e32 v51, 29, v1
	s_delay_alu instid0(VALU_DEP_2)
	v_and_b32_e32 v1, 7, v52
; %bb.826:                              ;   in Loop: Header=BB265_490 Depth=1
	s_wait_alu 0xfffe
	s_or_b32 exec_lo, exec_lo, s24
	v_lshlrev_b32_e32 v52, 8, v9
	v_lshl_add_u32 v51, v51, 10, 0x2000
	v_lshlrev_b32_e32 v1, 7, v1
	s_delay_alu instid0(VALU_DEP_3) | instskip(NEXT) | instid1(VALU_DEP_3)
	v_and_b32_e32 v52, 0x8000, v52
	v_and_b32_e32 v51, 0xfc00, v51
	s_delay_alu instid0(VALU_DEP_1)
	v_or3_b32 v51, v52, v51, v1
.LBB265_827:                            ;   in Loop: Header=BB265_490 Depth=1
	s_wait_alu 0xfffe
	s_or_b32 exec_lo, exec_lo, s19
.LBB265_828:                            ;   in Loop: Header=BB265_490 Depth=1
	s_wait_alu 0xfffe
	s_or_b32 exec_lo, exec_lo, s18
.LBB265_829:                            ;   in Loop: Header=BB265_490 Depth=1
	s_wait_alu 0xfffe
	s_or_b32 exec_lo, exec_lo, s17
	v_lshrrev_b16 v1, 8, v9
	s_mov_b32 s17, exec_lo
	s_delay_alu instid0(VALU_DEP_1)
	v_cmpx_ne_u16_e32 0, v1
	s_cbranch_execz .LBB265_837
; %bb.830:                              ;   in Loop: Header=BB265_490 Depth=1
	v_bfrev_b32_e32 v50, 1
	s_mov_b32 s18, exec_lo
	v_cmpx_ne_u16_e32 0x80, v1
	s_cbranch_execz .LBB265_836
; %bb.831:                              ;   in Loop: Header=BB265_490 Depth=1
	v_and_b32_e32 v52, 0xffff, v1
	v_mov_b32_e32 v50, 0x7c010000
	s_mov_b32 s19, exec_lo
	s_delay_alu instid0(VALU_DEP_2) | instskip(NEXT) | instid1(VALU_DEP_1)
	v_and_b32_e32 v54, 0x7f, v52
	v_cmpx_ne_u32_e32 0x7f, v54
	s_cbranch_execz .LBB265_835
; %bb.832:                              ;   in Loop: Header=BB265_490 Depth=1
	v_and_b32_e32 v50, 7, v52
	v_lshrrev_b32_e32 v53, 3, v54
	s_mov_b32 s24, exec_lo
	v_cmpx_gt_u32_e32 8, v54
; %bb.833:                              ;   in Loop: Header=BB265_490 Depth=1
	s_delay_alu instid0(VALU_DEP_3) | instskip(NEXT) | instid1(VALU_DEP_1)
	v_clz_i32_u32_e32 v50, v50
	v_min_u32_e32 v50, 32, v50
	s_delay_alu instid0(VALU_DEP_1) | instskip(NEXT) | instid1(VALU_DEP_1)
	v_subrev_nc_u32_e32 v53, 28, v50
	v_lshlrev_b64_e32 v[54:55], v53, v[1:2]
	v_sub_nc_u32_e32 v53, 29, v50
	s_delay_alu instid0(VALU_DEP_2)
	v_and_b32_e32 v50, 7, v54
; %bb.834:                              ;   in Loop: Header=BB265_490 Depth=1
	s_wait_alu 0xfffe
	s_or_b32 exec_lo, exec_lo, s24
	v_lshlrev_b32_e32 v1, 8, v52
	v_lshl_add_u32 v52, v53, 10, 0x2000
	v_lshlrev_b32_e32 v50, 23, v50
	s_delay_alu instid0(VALU_DEP_2) | instskip(NEXT) | instid1(VALU_DEP_1)
	v_and_or_b32 v1, 0x8000, v1, v52
	v_lshl_or_b32 v50, v1, 16, v50
.LBB265_835:                            ;   in Loop: Header=BB265_490 Depth=1
	s_wait_alu 0xfffe
	s_or_b32 exec_lo, exec_lo, s19
.LBB265_836:                            ;   in Loop: Header=BB265_490 Depth=1
	s_wait_alu 0xfffe
	s_or_b32 exec_lo, exec_lo, s18
.LBB265_837:                            ;   in Loop: Header=BB265_490 Depth=1
	s_wait_alu 0xfffe
	s_or_b32 exec_lo, exec_lo, s17
	v_lshrrev_b32_e32 v1, 16, v9
	v_mov_b32_e32 v52, 0
	s_mov_b32 s17, exec_lo
	s_delay_alu instid0(VALU_DEP_2) | instskip(NEXT) | instid1(VALU_DEP_1)
	v_dual_mov_b32 v53, 0 :: v_dual_and_b32 v54, 0xff, v1
	v_cmpx_ne_u16_e32 0, v54
	s_cbranch_execz .LBB265_845
; %bb.838:                              ;   in Loop: Header=BB265_490 Depth=1
	v_mov_b32_e32 v53, 0x8000
	s_mov_b32 s18, exec_lo
	v_cmpx_ne_u16_e32 0x80, v54
	s_cbranch_execz .LBB265_844
; %bb.839:                              ;   in Loop: Header=BB265_490 Depth=1
	v_bfe_u32 v55, v9, 16, 7
	v_mov_b32_e32 v53, 0x7c01
	s_mov_b32 s19, exec_lo
	s_delay_alu instid0(VALU_DEP_2)
	v_cmpx_ne_u32_e32 0x7f, v55
	s_cbranch_execz .LBB265_843
; %bb.840:                              ;   in Loop: Header=BB265_490 Depth=1
	v_and_b32_e32 v53, 7, v1
	v_lshrrev_b32_e32 v54, 3, v55
	s_mov_b32 s24, exec_lo
	v_cmpx_gt_u32_e32 8, v55
; %bb.841:                              ;   in Loop: Header=BB265_490 Depth=1
	s_delay_alu instid0(VALU_DEP_3) | instskip(NEXT) | instid1(VALU_DEP_1)
	v_clz_i32_u32_e32 v53, v53
	v_min_u32_e32 v55, 32, v53
	s_delay_alu instid0(VALU_DEP_1) | instskip(NEXT) | instid1(VALU_DEP_1)
	v_subrev_nc_u32_e32 v53, 28, v55
	v_lshlrev_b64_e32 v[53:54], v53, v[1:2]
	v_sub_nc_u32_e32 v54, 29, v55
	s_delay_alu instid0(VALU_DEP_2)
	v_and_b32_e32 v53, 7, v53
; %bb.842:                              ;   in Loop: Header=BB265_490 Depth=1
	s_wait_alu 0xfffe
	s_or_b32 exec_lo, exec_lo, s24
	v_lshlrev_b32_e32 v1, 8, v1
	v_lshl_add_u32 v54, v54, 10, 0x2000
	v_lshlrev_b32_e32 v53, 7, v53
	s_delay_alu instid0(VALU_DEP_3) | instskip(NEXT) | instid1(VALU_DEP_3)
	v_and_b32_e32 v1, 0x8000, v1
	v_and_b32_e32 v54, 0xfc00, v54
	s_delay_alu instid0(VALU_DEP_1)
	v_or3_b32 v53, v1, v54, v53
.LBB265_843:                            ;   in Loop: Header=BB265_490 Depth=1
	s_wait_alu 0xfffe
	s_or_b32 exec_lo, exec_lo, s19
.LBB265_844:                            ;   in Loop: Header=BB265_490 Depth=1
	s_wait_alu 0xfffe
	s_or_b32 exec_lo, exec_lo, s18
.LBB265_845:                            ;   in Loop: Header=BB265_490 Depth=1
	s_wait_alu 0xfffe
	s_or_b32 exec_lo, exec_lo, s17
	s_delay_alu instid0(SALU_CYCLE_1)
	s_mov_b32 s17, exec_lo
	v_cmpx_lt_u32_e32 0xffffff, v9
	s_cbranch_execz .LBB265_853
; %bb.846:                              ;   in Loop: Header=BB265_490 Depth=1
	v_lshrrev_b32_e32 v1, 24, v9
	v_bfrev_b32_e32 v52, 1
	s_mov_b32 s18, exec_lo
	s_delay_alu instid0(VALU_DEP_2)
	v_cmpx_ne_u32_e32 0x80, v1
	s_cbranch_execz .LBB265_852
; %bb.847:                              ;   in Loop: Header=BB265_490 Depth=1
	v_and_b32_e32 v55, 0x7f, v1
	v_mov_b32_e32 v52, 0x7c010000
	s_mov_b32 s19, exec_lo
	s_delay_alu instid0(VALU_DEP_2)
	v_cmpx_ne_u32_e32 0x7f, v55
	s_cbranch_execz .LBB265_851
; %bb.848:                              ;   in Loop: Header=BB265_490 Depth=1
	v_and_b32_e32 v52, 7, v1
	v_lshrrev_b32_e32 v54, 3, v55
	s_mov_b32 s24, exec_lo
	v_cmpx_gt_u32_e32 8, v55
; %bb.849:                              ;   in Loop: Header=BB265_490 Depth=1
	s_delay_alu instid0(VALU_DEP_3) | instskip(NEXT) | instid1(VALU_DEP_1)
	v_clz_i32_u32_e32 v52, v52
	v_min_u32_e32 v52, 32, v52
	s_delay_alu instid0(VALU_DEP_1) | instskip(NEXT) | instid1(VALU_DEP_1)
	v_subrev_nc_u32_e32 v54, 28, v52
	v_lshlrev_b64_e32 v[55:56], v54, v[1:2]
	v_sub_nc_u32_e32 v54, 29, v52
	s_delay_alu instid0(VALU_DEP_2)
	v_and_b32_e32 v52, 7, v55
; %bb.850:                              ;   in Loop: Header=BB265_490 Depth=1
	s_wait_alu 0xfffe
	s_or_b32 exec_lo, exec_lo, s24
	v_lshlrev_b32_e32 v1, 8, v1
	v_lshl_add_u32 v54, v54, 10, 0x2000
	v_lshlrev_b32_e32 v52, 23, v52
	s_delay_alu instid0(VALU_DEP_2) | instskip(NEXT) | instid1(VALU_DEP_1)
	v_and_or_b32 v1, 0x8000, v1, v54
	v_lshl_or_b32 v52, v1, 16, v52
.LBB265_851:                            ;   in Loop: Header=BB265_490 Depth=1
	s_wait_alu 0xfffe
	s_or_b32 exec_lo, exec_lo, s19
.LBB265_852:                            ;   in Loop: Header=BB265_490 Depth=1
	s_wait_alu 0xfffe
	s_or_b32 exec_lo, exec_lo, s18
.LBB265_853:                            ;   in Loop: Header=BB265_490 Depth=1
	s_wait_alu 0xfffe
	s_or_b32 exec_lo, exec_lo, s17
	v_dual_mov_b32 v1, v10 :: v_dual_and_b32 v56, 0xff, v10
	v_dual_mov_b32 v54, 0 :: v_dual_mov_b32 v55, 0
	s_mov_b32 s17, exec_lo
	s_delay_alu instid0(VALU_DEP_2)
	v_cmpx_ne_u16_e32 0, v56
	s_cbranch_execz .LBB265_861
; %bb.854:                              ;   in Loop: Header=BB265_490 Depth=1
	v_mov_b32_e32 v55, 0x8000
	s_mov_b32 s18, exec_lo
	v_cmpx_ne_u16_e32 0x80, v56
	s_cbranch_execz .LBB265_860
; %bb.855:                              ;   in Loop: Header=BB265_490 Depth=1
	v_and_b32_e32 v57, 0x7f, v10
	v_mov_b32_e32 v55, 0x7c01
	s_mov_b32 s19, exec_lo
	s_delay_alu instid0(VALU_DEP_2)
	v_cmpx_ne_u32_e32 0x7f, v57
	s_cbranch_execz .LBB265_859
; %bb.856:                              ;   in Loop: Header=BB265_490 Depth=1
	v_and_b32_e32 v55, 7, v10
	v_lshrrev_b32_e32 v56, 3, v57
	s_mov_b32 s24, exec_lo
	v_cmpx_gt_u32_e32 8, v57
; %bb.857:                              ;   in Loop: Header=BB265_490 Depth=1
	s_delay_alu instid0(VALU_DEP_3) | instskip(NEXT) | instid1(VALU_DEP_1)
	v_clz_i32_u32_e32 v55, v55
	v_min_u32_e32 v57, 32, v55
	s_delay_alu instid0(VALU_DEP_1) | instskip(NEXT) | instid1(VALU_DEP_1)
	v_subrev_nc_u32_e32 v55, 28, v57
	v_lshlrev_b64_e32 v[55:56], v55, v[1:2]
	v_sub_nc_u32_e32 v56, 29, v57
	s_delay_alu instid0(VALU_DEP_2)
	v_and_b32_e32 v55, 7, v55
; %bb.858:                              ;   in Loop: Header=BB265_490 Depth=1
	s_wait_alu 0xfffe
	s_or_b32 exec_lo, exec_lo, s24
	v_lshlrev_b32_e32 v57, 8, v10
	v_lshl_add_u32 v56, v56, 10, 0x2000
	v_lshlrev_b32_e32 v55, 7, v55
	s_delay_alu instid0(VALU_DEP_3) | instskip(NEXT) | instid1(VALU_DEP_3)
	v_and_b32_e32 v57, 0x8000, v57
	v_and_b32_e32 v56, 0xfc00, v56
	s_delay_alu instid0(VALU_DEP_1)
	v_or3_b32 v55, v57, v56, v55
.LBB265_859:                            ;   in Loop: Header=BB265_490 Depth=1
	s_wait_alu 0xfffe
	s_or_b32 exec_lo, exec_lo, s19
.LBB265_860:                            ;   in Loop: Header=BB265_490 Depth=1
	s_wait_alu 0xfffe
	s_or_b32 exec_lo, exec_lo, s18
.LBB265_861:                            ;   in Loop: Header=BB265_490 Depth=1
	s_wait_alu 0xfffe
	s_or_b32 exec_lo, exec_lo, s17
	v_lshrrev_b16 v1, 8, v1
	v_mov_b32_e32 v56, 0
	s_mov_b32 s17, exec_lo
	s_delay_alu instid0(VALU_DEP_2)
	v_cmpx_ne_u16_e32 0, v1
	s_cbranch_execz .LBB265_869
; %bb.862:                              ;   in Loop: Header=BB265_490 Depth=1
	v_bfrev_b32_e32 v56, 1
	s_mov_b32 s18, exec_lo
	v_cmpx_ne_u16_e32 0x80, v1
	s_cbranch_execz .LBB265_868
; %bb.863:                              ;   in Loop: Header=BB265_490 Depth=1
	v_and_b32_e32 v57, 0xffff, v1
	v_mov_b32_e32 v56, 0x7c010000
	s_mov_b32 s19, exec_lo
	s_delay_alu instid0(VALU_DEP_2) | instskip(NEXT) | instid1(VALU_DEP_1)
	v_and_b32_e32 v59, 0x7f, v57
	v_cmpx_ne_u32_e32 0x7f, v59
	s_cbranch_execz .LBB265_867
; %bb.864:                              ;   in Loop: Header=BB265_490 Depth=1
	v_and_b32_e32 v56, 7, v57
	v_lshrrev_b32_e32 v58, 3, v59
	s_mov_b32 s24, exec_lo
	v_cmpx_gt_u32_e32 8, v59
; %bb.865:                              ;   in Loop: Header=BB265_490 Depth=1
	s_delay_alu instid0(VALU_DEP_3) | instskip(NEXT) | instid1(VALU_DEP_1)
	v_clz_i32_u32_e32 v56, v56
	v_min_u32_e32 v56, 32, v56
	s_delay_alu instid0(VALU_DEP_1) | instskip(NEXT) | instid1(VALU_DEP_1)
	v_subrev_nc_u32_e32 v58, 28, v56
	v_lshlrev_b64_e32 v[59:60], v58, v[1:2]
	v_sub_nc_u32_e32 v58, 29, v56
	s_delay_alu instid0(VALU_DEP_2)
	v_and_b32_e32 v56, 7, v59
; %bb.866:                              ;   in Loop: Header=BB265_490 Depth=1
	s_wait_alu 0xfffe
	s_or_b32 exec_lo, exec_lo, s24
	v_lshlrev_b32_e32 v1, 8, v57
	v_lshl_add_u32 v57, v58, 10, 0x2000
	v_lshlrev_b32_e32 v56, 23, v56
	s_delay_alu instid0(VALU_DEP_2) | instskip(NEXT) | instid1(VALU_DEP_1)
	v_and_or_b32 v1, 0x8000, v1, v57
	v_lshl_or_b32 v56, v1, 16, v56
.LBB265_867:                            ;   in Loop: Header=BB265_490 Depth=1
	s_wait_alu 0xfffe
	s_or_b32 exec_lo, exec_lo, s19
.LBB265_868:                            ;   in Loop: Header=BB265_490 Depth=1
	s_wait_alu 0xfffe
	s_or_b32 exec_lo, exec_lo, s18
.LBB265_869:                            ;   in Loop: Header=BB265_490 Depth=1
	s_wait_alu 0xfffe
	s_or_b32 exec_lo, exec_lo, s17
	v_lshrrev_b32_e32 v1, 16, v10
	s_mov_b32 s17, exec_lo
	s_delay_alu instid0(VALU_DEP_1) | instskip(NEXT) | instid1(VALU_DEP_1)
	v_and_b32_e32 v57, 0xff, v1
	v_cmpx_ne_u16_e32 0, v57
	s_cbranch_execz .LBB265_877
; %bb.870:                              ;   in Loop: Header=BB265_490 Depth=1
	v_mov_b32_e32 v54, 0x8000
	s_mov_b32 s18, exec_lo
	v_cmpx_ne_u16_e32 0x80, v57
	s_cbranch_execz .LBB265_876
; %bb.871:                              ;   in Loop: Header=BB265_490 Depth=1
	v_bfe_u32 v58, v10, 16, 7
	v_mov_b32_e32 v54, 0x7c01
	s_mov_b32 s19, exec_lo
	s_delay_alu instid0(VALU_DEP_2)
	v_cmpx_ne_u32_e32 0x7f, v58
	s_cbranch_execz .LBB265_875
; %bb.872:                              ;   in Loop: Header=BB265_490 Depth=1
	v_and_b32_e32 v54, 7, v1
	v_lshrrev_b32_e32 v57, 3, v58
	s_mov_b32 s24, exec_lo
	v_cmpx_gt_u32_e32 8, v58
; %bb.873:                              ;   in Loop: Header=BB265_490 Depth=1
	s_delay_alu instid0(VALU_DEP_3) | instskip(NEXT) | instid1(VALU_DEP_1)
	v_clz_i32_u32_e32 v54, v54
	v_min_u32_e32 v54, 32, v54
	s_delay_alu instid0(VALU_DEP_1) | instskip(NEXT) | instid1(VALU_DEP_1)
	v_subrev_nc_u32_e32 v57, 28, v54
	v_lshlrev_b64_e32 v[58:59], v57, v[1:2]
	v_sub_nc_u32_e32 v57, 29, v54
	s_delay_alu instid0(VALU_DEP_2)
	v_and_b32_e32 v54, 7, v58
; %bb.874:                              ;   in Loop: Header=BB265_490 Depth=1
	s_wait_alu 0xfffe
	s_or_b32 exec_lo, exec_lo, s24
	v_lshlrev_b32_e32 v1, 8, v1
	v_lshl_add_u32 v57, v57, 10, 0x2000
	v_lshlrev_b32_e32 v54, 7, v54
	s_delay_alu instid0(VALU_DEP_3) | instskip(NEXT) | instid1(VALU_DEP_3)
	v_and_b32_e32 v1, 0x8000, v1
	v_and_b32_e32 v57, 0xfc00, v57
	s_delay_alu instid0(VALU_DEP_1)
	v_or3_b32 v54, v1, v57, v54
.LBB265_875:                            ;   in Loop: Header=BB265_490 Depth=1
	s_wait_alu 0xfffe
	s_or_b32 exec_lo, exec_lo, s19
.LBB265_876:                            ;   in Loop: Header=BB265_490 Depth=1
	s_wait_alu 0xfffe
	s_or_b32 exec_lo, exec_lo, s18
.LBB265_877:                            ;   in Loop: Header=BB265_490 Depth=1
	s_wait_alu 0xfffe
	s_or_b32 exec_lo, exec_lo, s17
	v_cmp_lt_u64_e64 s0, s[2:3], v[9:10]
	v_mov_b32_e32 v9, 0
	s_and_saveexec_b32 s17, s0
	s_cbranch_execz .LBB265_885
; %bb.878:                              ;   in Loop: Header=BB265_490 Depth=1
	v_lshrrev_b32_e32 v1, 24, v10
	v_bfrev_b32_e32 v9, 1
	s_mov_b32 s18, exec_lo
	s_delay_alu instid0(VALU_DEP_2)
	v_cmpx_ne_u32_e32 0x80, v1
	s_cbranch_execz .LBB265_884
; %bb.879:                              ;   in Loop: Header=BB265_490 Depth=1
	v_and_b32_e32 v57, 0x7f, v1
	v_mov_b32_e32 v9, 0x7c010000
	s_mov_b32 s19, exec_lo
	s_delay_alu instid0(VALU_DEP_2)
	v_cmpx_ne_u32_e32 0x7f, v57
	s_cbranch_execz .LBB265_883
; %bb.880:                              ;   in Loop: Header=BB265_490 Depth=1
	v_and_b32_e32 v9, 7, v1
	v_lshrrev_b32_e32 v10, 3, v57
	s_mov_b32 s24, exec_lo
	v_cmpx_gt_u32_e32 8, v57
; %bb.881:                              ;   in Loop: Header=BB265_490 Depth=1
	s_delay_alu instid0(VALU_DEP_3) | instskip(NEXT) | instid1(VALU_DEP_1)
	v_clz_i32_u32_e32 v9, v9
	v_min_u32_e32 v57, 32, v9
	s_delay_alu instid0(VALU_DEP_1) | instskip(NEXT) | instid1(VALU_DEP_1)
	v_subrev_nc_u32_e32 v9, 28, v57
	v_lshlrev_b64_e32 v[9:10], v9, v[1:2]
	v_sub_nc_u32_e32 v10, 29, v57
	s_delay_alu instid0(VALU_DEP_2)
	v_and_b32_e32 v9, 7, v9
; %bb.882:                              ;   in Loop: Header=BB265_490 Depth=1
	s_wait_alu 0xfffe
	s_or_b32 exec_lo, exec_lo, s24
	v_lshlrev_b32_e32 v1, 8, v1
	v_lshl_add_u32 v10, v10, 10, 0x2000
	v_lshlrev_b32_e32 v9, 23, v9
	s_delay_alu instid0(VALU_DEP_2) | instskip(NEXT) | instid1(VALU_DEP_1)
	v_and_or_b32 v1, 0x8000, v1, v10
	v_lshl_or_b32 v9, v1, 16, v9
.LBB265_883:                            ;   in Loop: Header=BB265_490 Depth=1
	s_wait_alu 0xfffe
	s_or_b32 exec_lo, exec_lo, s19
.LBB265_884:                            ;   in Loop: Header=BB265_490 Depth=1
	s_wait_alu 0xfffe
	s_or_b32 exec_lo, exec_lo, s18
.LBB265_885:                            ;   in Loop: Header=BB265_490 Depth=1
	s_wait_alu 0xfffe
	s_or_b32 exec_lo, exec_lo, s17
	v_or_b32_e32 v1, v52, v53
	s_wait_loadcnt 0x0
	v_fma_mixlo_f16 v10, v49, v52, 0 op_sel:[0,1,0] op_sel_hi:[0,1,0]
	v_or_b32_e32 v52, v50, v51
	v_fma_mixlo_f16 v50, v49, v50, 0 op_sel:[0,1,0] op_sel_hi:[0,1,0]
	v_or_b32_e32 v53, v56, v55
	v_or_b32_e32 v54, v9, v54
	v_fma_mixlo_f16 v55, v49, v1, 0 op_sel_hi:[0,1,0]
	v_fma_mixlo_f16 v9, v49, v9, 0 op_sel:[0,1,0] op_sel_hi:[0,1,0]
	v_lshlrev_b32_e32 v51, 16, v50
	v_fma_mixlo_f16 v50, v49, v52, 0 op_sel_hi:[0,1,0]
	v_fma_mixlo_f16 v52, v49, v56, 0 op_sel:[0,1,0] op_sel_hi:[0,1,0]
	v_fma_mixlo_f16 v53, v49, v53, 0 op_sel_hi:[0,1,0]
	v_fma_mixlo_f16 v54, v49, v54, 0 op_sel_hi:[0,1,0]
	v_lshlrev_b32_e32 v1, 16, v10
	v_and_b32_e32 v10, 0xffff, v55
	v_and_b32_e32 v57, 0xffff, v50
	v_lshlrev_b32_e32 v49, 16, v52
	v_and_b32_e32 v53, 0xffff, v53
	v_lshlrev_b32_e32 v9, 16, v9
	v_and_b32_e32 v50, 0xffff, v54
	v_or_b32_e32 v52, v1, v10
	v_or_b32_e32 v56, v51, v57
	;; [unrolled: 1-line block ×3, first 2 shown]
	s_delay_alu instid0(VALU_DEP_4)
	v_or_b32_e32 v54, v9, v50
	s_and_saveexec_b32 s17, vcc_lo
	s_cbranch_execz .LBB265_887
; %bb.886:                              ;   in Loop: Header=BB265_490 Depth=1
	v_cmp_gt_i32_e64 s0, s34, v27
	s_wait_alu 0xf1ff
	s_delay_alu instid0(VALU_DEP_1) | instskip(SKIP_2) | instid1(VALU_DEP_1)
	v_cndmask_b32_e64 v52, 0, v57, s0
	v_cmp_gt_i32_e64 s0, s34, v34
	s_wait_alu 0xf1ff
	v_cndmask_b32_e64 v51, 0, v51, s0
	v_cmp_gt_i32_e64 s0, s34, v33
	s_delay_alu instid0(VALU_DEP_2) | instskip(SKIP_1) | instid1(VALU_DEP_2)
	v_or_b32_e32 v56, v51, v52
	s_wait_alu 0xf1ff
	v_cndmask_b32_e64 v10, 0, v10, s0
	v_cmp_gt_i32_e64 s0, s34, v32
	s_wait_alu 0xf1ff
	s_delay_alu instid0(VALU_DEP_1) | instskip(SKIP_1) | instid1(VALU_DEP_2)
	v_cndmask_b32_e64 v1, 0, v1, s0
	v_cmp_gt_i32_e64 s0, s34, v31
	v_or_b32_e32 v52, v1, v10
	s_wait_alu 0xf1ff
	s_delay_alu instid0(VALU_DEP_2) | instskip(SKIP_2) | instid1(VALU_DEP_1)
	v_cndmask_b32_e64 v53, 0, v53, s0
	v_cmp_gt_i32_e64 s0, s34, v30
	s_wait_alu 0xf1ff
	v_cndmask_b32_e64 v49, 0, v49, s0
	v_cmp_gt_i32_e64 s0, s34, v29
	s_delay_alu instid0(VALU_DEP_2) | instskip(SKIP_1) | instid1(VALU_DEP_2)
	v_or_b32_e32 v55, v49, v53
	s_wait_alu 0xf1ff
	v_cndmask_b32_e64 v50, 0, v50, s0
	v_cmp_gt_i32_e64 s0, s34, v28
	s_wait_alu 0xf1ff
	s_delay_alu instid0(VALU_DEP_1) | instskip(NEXT) | instid1(VALU_DEP_1)
	v_cndmask_b32_e64 v9, 0, v9, s0
	v_or_b32_e32 v54, v9, v50
.LBB265_887:                            ;   in Loop: Header=BB265_490 Depth=1
	s_wait_alu 0xfffe
	s_or_b32 exec_lo, exec_lo, s17
	;;#ASMSTART
	v_pk_mul_f16 v1, v40, v56;

	;;#ASMEND
	;;#ASMSTART
	v_pk_mul_f16 v9, v39, v52;

	;;#ASMEND
	;; [unrolled: 4-line block ×4, first 2 shown]
	;;#ASMSTART
	v_pk_add_f16 v1, v1, v9;

	;;#ASMEND
	;;#ASMSTART
	v_pk_add_f16 v1, v1, v10;

	;;#ASMEND
	;; [unrolled: 4-line block ×3, first 2 shown]
	v_dual_mov_b32 v50, 0 :: v_dual_and_b32 v9, 0xffff, v1
	v_lshrrev_b32_e32 v1, 16, v1
	;;#ASMSTART
	v_cvt_f32_f16 v9, v9;
	;;#ASMEND
	;;#ASMSTART
	v_cvt_f32_f16 v10, v1;
	;;#ASMEND
	global_load_b64 v[7:8], v[7:8], off offset:1536
	global_load_b32 v49, v50, s[10:11]
	v_mov_b32_e32 v51, 0
	s_mov_b32 s17, exec_lo
	s_wait_loadcnt 0x1
	v_and_b32_e32 v1, 0xff, v7
	s_delay_alu instid0(VALU_DEP_1)
	v_cmpx_ne_u16_e32 0, v1
	s_cbranch_execz .LBB265_895
; %bb.888:                              ;   in Loop: Header=BB265_490 Depth=1
	v_mov_b32_e32 v51, 0x8000
	s_mov_b32 s18, exec_lo
	v_cmpx_ne_u16_e32 0x80, v1
	s_cbranch_execz .LBB265_894
; %bb.889:                              ;   in Loop: Header=BB265_490 Depth=1
	v_and_b32_e32 v52, 0x7f, v7
	v_mov_b32_e32 v51, 0x7c01
	s_mov_b32 s19, exec_lo
	s_delay_alu instid0(VALU_DEP_2)
	v_cmpx_ne_u32_e32 0x7f, v52
	s_cbranch_execz .LBB265_893
; %bb.890:                              ;   in Loop: Header=BB265_490 Depth=1
	v_and_b32_e32 v1, 7, v7
	v_lshrrev_b32_e32 v51, 3, v52
	s_mov_b32 s24, exec_lo
	v_cmpx_gt_u32_e32 8, v52
; %bb.891:                              ;   in Loop: Header=BB265_490 Depth=1
	s_delay_alu instid0(VALU_DEP_3) | instskip(NEXT) | instid1(VALU_DEP_1)
	v_clz_i32_u32_e32 v1, v1
	v_min_u32_e32 v1, 32, v1
	s_delay_alu instid0(VALU_DEP_1) | instskip(NEXT) | instid1(VALU_DEP_1)
	v_subrev_nc_u32_e32 v51, 28, v1
	v_lshlrev_b64_e32 v[52:53], v51, v[7:8]
	v_sub_nc_u32_e32 v51, 29, v1
	s_delay_alu instid0(VALU_DEP_2)
	v_and_b32_e32 v1, 7, v52
; %bb.892:                              ;   in Loop: Header=BB265_490 Depth=1
	s_wait_alu 0xfffe
	s_or_b32 exec_lo, exec_lo, s24
	v_lshlrev_b32_e32 v52, 8, v7
	v_lshl_add_u32 v51, v51, 10, 0x2000
	v_lshlrev_b32_e32 v1, 7, v1
	s_delay_alu instid0(VALU_DEP_3) | instskip(NEXT) | instid1(VALU_DEP_3)
	v_and_b32_e32 v52, 0x8000, v52
	v_and_b32_e32 v51, 0xfc00, v51
	s_delay_alu instid0(VALU_DEP_1)
	v_or3_b32 v51, v52, v51, v1
.LBB265_893:                            ;   in Loop: Header=BB265_490 Depth=1
	s_wait_alu 0xfffe
	s_or_b32 exec_lo, exec_lo, s19
.LBB265_894:                            ;   in Loop: Header=BB265_490 Depth=1
	s_wait_alu 0xfffe
	s_or_b32 exec_lo, exec_lo, s18
.LBB265_895:                            ;   in Loop: Header=BB265_490 Depth=1
	s_wait_alu 0xfffe
	s_or_b32 exec_lo, exec_lo, s17
	v_lshrrev_b16 v1, 8, v7
	s_mov_b32 s17, exec_lo
	s_delay_alu instid0(VALU_DEP_1)
	v_cmpx_ne_u16_e32 0, v1
	s_cbranch_execz .LBB265_903
; %bb.896:                              ;   in Loop: Header=BB265_490 Depth=1
	v_bfrev_b32_e32 v50, 1
	s_mov_b32 s18, exec_lo
	v_cmpx_ne_u16_e32 0x80, v1
	s_cbranch_execz .LBB265_902
; %bb.897:                              ;   in Loop: Header=BB265_490 Depth=1
	v_and_b32_e32 v52, 0xffff, v1
	v_mov_b32_e32 v50, 0x7c010000
	s_mov_b32 s19, exec_lo
	s_delay_alu instid0(VALU_DEP_2) | instskip(NEXT) | instid1(VALU_DEP_1)
	v_and_b32_e32 v54, 0x7f, v52
	v_cmpx_ne_u32_e32 0x7f, v54
	s_cbranch_execz .LBB265_901
; %bb.898:                              ;   in Loop: Header=BB265_490 Depth=1
	v_and_b32_e32 v50, 7, v52
	v_lshrrev_b32_e32 v53, 3, v54
	s_mov_b32 s24, exec_lo
	v_cmpx_gt_u32_e32 8, v54
; %bb.899:                              ;   in Loop: Header=BB265_490 Depth=1
	s_delay_alu instid0(VALU_DEP_3) | instskip(NEXT) | instid1(VALU_DEP_1)
	v_clz_i32_u32_e32 v50, v50
	v_min_u32_e32 v50, 32, v50
	s_delay_alu instid0(VALU_DEP_1) | instskip(NEXT) | instid1(VALU_DEP_1)
	v_subrev_nc_u32_e32 v53, 28, v50
	v_lshlrev_b64_e32 v[54:55], v53, v[1:2]
	v_sub_nc_u32_e32 v53, 29, v50
	s_delay_alu instid0(VALU_DEP_2)
	v_and_b32_e32 v50, 7, v54
; %bb.900:                              ;   in Loop: Header=BB265_490 Depth=1
	s_wait_alu 0xfffe
	s_or_b32 exec_lo, exec_lo, s24
	v_lshlrev_b32_e32 v1, 8, v52
	v_lshl_add_u32 v52, v53, 10, 0x2000
	v_lshlrev_b32_e32 v50, 23, v50
	s_delay_alu instid0(VALU_DEP_2) | instskip(NEXT) | instid1(VALU_DEP_1)
	v_and_or_b32 v1, 0x8000, v1, v52
	v_lshl_or_b32 v50, v1, 16, v50
.LBB265_901:                            ;   in Loop: Header=BB265_490 Depth=1
	s_wait_alu 0xfffe
	s_or_b32 exec_lo, exec_lo, s19
.LBB265_902:                            ;   in Loop: Header=BB265_490 Depth=1
	s_wait_alu 0xfffe
	s_or_b32 exec_lo, exec_lo, s18
.LBB265_903:                            ;   in Loop: Header=BB265_490 Depth=1
	s_wait_alu 0xfffe
	s_or_b32 exec_lo, exec_lo, s17
	v_lshrrev_b32_e32 v1, 16, v7
	v_mov_b32_e32 v52, 0
	s_mov_b32 s17, exec_lo
	s_delay_alu instid0(VALU_DEP_2) | instskip(NEXT) | instid1(VALU_DEP_1)
	v_dual_mov_b32 v53, 0 :: v_dual_and_b32 v54, 0xff, v1
	v_cmpx_ne_u16_e32 0, v54
	s_cbranch_execz .LBB265_911
; %bb.904:                              ;   in Loop: Header=BB265_490 Depth=1
	v_mov_b32_e32 v53, 0x8000
	s_mov_b32 s18, exec_lo
	v_cmpx_ne_u16_e32 0x80, v54
	s_cbranch_execz .LBB265_910
; %bb.905:                              ;   in Loop: Header=BB265_490 Depth=1
	v_bfe_u32 v55, v7, 16, 7
	v_mov_b32_e32 v53, 0x7c01
	s_mov_b32 s19, exec_lo
	s_delay_alu instid0(VALU_DEP_2)
	v_cmpx_ne_u32_e32 0x7f, v55
	s_cbranch_execz .LBB265_909
; %bb.906:                              ;   in Loop: Header=BB265_490 Depth=1
	v_and_b32_e32 v53, 7, v1
	v_lshrrev_b32_e32 v54, 3, v55
	s_mov_b32 s24, exec_lo
	v_cmpx_gt_u32_e32 8, v55
; %bb.907:                              ;   in Loop: Header=BB265_490 Depth=1
	s_delay_alu instid0(VALU_DEP_3) | instskip(NEXT) | instid1(VALU_DEP_1)
	v_clz_i32_u32_e32 v53, v53
	v_min_u32_e32 v55, 32, v53
	s_delay_alu instid0(VALU_DEP_1) | instskip(NEXT) | instid1(VALU_DEP_1)
	v_subrev_nc_u32_e32 v53, 28, v55
	v_lshlrev_b64_e32 v[53:54], v53, v[1:2]
	v_sub_nc_u32_e32 v54, 29, v55
	s_delay_alu instid0(VALU_DEP_2)
	v_and_b32_e32 v53, 7, v53
; %bb.908:                              ;   in Loop: Header=BB265_490 Depth=1
	s_wait_alu 0xfffe
	s_or_b32 exec_lo, exec_lo, s24
	v_lshlrev_b32_e32 v1, 8, v1
	v_lshl_add_u32 v54, v54, 10, 0x2000
	v_lshlrev_b32_e32 v53, 7, v53
	s_delay_alu instid0(VALU_DEP_3) | instskip(NEXT) | instid1(VALU_DEP_3)
	v_and_b32_e32 v1, 0x8000, v1
	v_and_b32_e32 v54, 0xfc00, v54
	s_delay_alu instid0(VALU_DEP_1)
	v_or3_b32 v53, v1, v54, v53
.LBB265_909:                            ;   in Loop: Header=BB265_490 Depth=1
	s_wait_alu 0xfffe
	s_or_b32 exec_lo, exec_lo, s19
.LBB265_910:                            ;   in Loop: Header=BB265_490 Depth=1
	s_wait_alu 0xfffe
	s_or_b32 exec_lo, exec_lo, s18
.LBB265_911:                            ;   in Loop: Header=BB265_490 Depth=1
	s_wait_alu 0xfffe
	s_or_b32 exec_lo, exec_lo, s17
	s_delay_alu instid0(SALU_CYCLE_1)
	s_mov_b32 s17, exec_lo
	v_cmpx_lt_u32_e32 0xffffff, v7
	s_cbranch_execz .LBB265_919
; %bb.912:                              ;   in Loop: Header=BB265_490 Depth=1
	v_lshrrev_b32_e32 v1, 24, v7
	v_bfrev_b32_e32 v52, 1
	s_mov_b32 s18, exec_lo
	s_delay_alu instid0(VALU_DEP_2)
	v_cmpx_ne_u32_e32 0x80, v1
	s_cbranch_execz .LBB265_918
; %bb.913:                              ;   in Loop: Header=BB265_490 Depth=1
	v_and_b32_e32 v55, 0x7f, v1
	v_mov_b32_e32 v52, 0x7c010000
	s_mov_b32 s19, exec_lo
	s_delay_alu instid0(VALU_DEP_2)
	v_cmpx_ne_u32_e32 0x7f, v55
	s_cbranch_execz .LBB265_917
; %bb.914:                              ;   in Loop: Header=BB265_490 Depth=1
	v_and_b32_e32 v52, 7, v1
	v_lshrrev_b32_e32 v54, 3, v55
	s_mov_b32 s24, exec_lo
	v_cmpx_gt_u32_e32 8, v55
; %bb.915:                              ;   in Loop: Header=BB265_490 Depth=1
	s_delay_alu instid0(VALU_DEP_3) | instskip(NEXT) | instid1(VALU_DEP_1)
	v_clz_i32_u32_e32 v52, v52
	v_min_u32_e32 v52, 32, v52
	s_delay_alu instid0(VALU_DEP_1) | instskip(NEXT) | instid1(VALU_DEP_1)
	v_subrev_nc_u32_e32 v54, 28, v52
	v_lshlrev_b64_e32 v[55:56], v54, v[1:2]
	v_sub_nc_u32_e32 v54, 29, v52
	s_delay_alu instid0(VALU_DEP_2)
	v_and_b32_e32 v52, 7, v55
; %bb.916:                              ;   in Loop: Header=BB265_490 Depth=1
	s_wait_alu 0xfffe
	s_or_b32 exec_lo, exec_lo, s24
	v_lshlrev_b32_e32 v1, 8, v1
	v_lshl_add_u32 v54, v54, 10, 0x2000
	v_lshlrev_b32_e32 v52, 23, v52
	s_delay_alu instid0(VALU_DEP_2) | instskip(NEXT) | instid1(VALU_DEP_1)
	v_and_or_b32 v1, 0x8000, v1, v54
	v_lshl_or_b32 v52, v1, 16, v52
.LBB265_917:                            ;   in Loop: Header=BB265_490 Depth=1
	s_wait_alu 0xfffe
	s_or_b32 exec_lo, exec_lo, s19
.LBB265_918:                            ;   in Loop: Header=BB265_490 Depth=1
	s_wait_alu 0xfffe
	s_or_b32 exec_lo, exec_lo, s18
.LBB265_919:                            ;   in Loop: Header=BB265_490 Depth=1
	s_wait_alu 0xfffe
	s_or_b32 exec_lo, exec_lo, s17
	v_dual_mov_b32 v1, v8 :: v_dual_and_b32 v56, 0xff, v8
	v_dual_mov_b32 v54, 0 :: v_dual_mov_b32 v55, 0
	s_mov_b32 s17, exec_lo
	s_delay_alu instid0(VALU_DEP_2)
	v_cmpx_ne_u16_e32 0, v56
	s_cbranch_execz .LBB265_927
; %bb.920:                              ;   in Loop: Header=BB265_490 Depth=1
	v_mov_b32_e32 v55, 0x8000
	s_mov_b32 s18, exec_lo
	v_cmpx_ne_u16_e32 0x80, v56
	s_cbranch_execz .LBB265_926
; %bb.921:                              ;   in Loop: Header=BB265_490 Depth=1
	v_and_b32_e32 v57, 0x7f, v8
	v_mov_b32_e32 v55, 0x7c01
	s_mov_b32 s19, exec_lo
	s_delay_alu instid0(VALU_DEP_2)
	v_cmpx_ne_u32_e32 0x7f, v57
	s_cbranch_execz .LBB265_925
; %bb.922:                              ;   in Loop: Header=BB265_490 Depth=1
	v_and_b32_e32 v55, 7, v8
	v_lshrrev_b32_e32 v56, 3, v57
	s_mov_b32 s24, exec_lo
	v_cmpx_gt_u32_e32 8, v57
; %bb.923:                              ;   in Loop: Header=BB265_490 Depth=1
	s_delay_alu instid0(VALU_DEP_3) | instskip(NEXT) | instid1(VALU_DEP_1)
	v_clz_i32_u32_e32 v55, v55
	v_min_u32_e32 v57, 32, v55
	s_delay_alu instid0(VALU_DEP_1) | instskip(NEXT) | instid1(VALU_DEP_1)
	v_subrev_nc_u32_e32 v55, 28, v57
	v_lshlrev_b64_e32 v[55:56], v55, v[1:2]
	v_sub_nc_u32_e32 v56, 29, v57
	s_delay_alu instid0(VALU_DEP_2)
	v_and_b32_e32 v55, 7, v55
; %bb.924:                              ;   in Loop: Header=BB265_490 Depth=1
	s_wait_alu 0xfffe
	s_or_b32 exec_lo, exec_lo, s24
	v_lshlrev_b32_e32 v57, 8, v8
	v_lshl_add_u32 v56, v56, 10, 0x2000
	v_lshlrev_b32_e32 v55, 7, v55
	s_delay_alu instid0(VALU_DEP_3) | instskip(NEXT) | instid1(VALU_DEP_3)
	v_and_b32_e32 v57, 0x8000, v57
	v_and_b32_e32 v56, 0xfc00, v56
	s_delay_alu instid0(VALU_DEP_1)
	v_or3_b32 v55, v57, v56, v55
.LBB265_925:                            ;   in Loop: Header=BB265_490 Depth=1
	s_wait_alu 0xfffe
	s_or_b32 exec_lo, exec_lo, s19
.LBB265_926:                            ;   in Loop: Header=BB265_490 Depth=1
	s_wait_alu 0xfffe
	s_or_b32 exec_lo, exec_lo, s18
.LBB265_927:                            ;   in Loop: Header=BB265_490 Depth=1
	s_wait_alu 0xfffe
	s_or_b32 exec_lo, exec_lo, s17
	v_lshrrev_b16 v1, 8, v1
	v_mov_b32_e32 v56, 0
	s_mov_b32 s17, exec_lo
	s_delay_alu instid0(VALU_DEP_2)
	v_cmpx_ne_u16_e32 0, v1
	s_cbranch_execz .LBB265_935
; %bb.928:                              ;   in Loop: Header=BB265_490 Depth=1
	v_bfrev_b32_e32 v56, 1
	s_mov_b32 s18, exec_lo
	v_cmpx_ne_u16_e32 0x80, v1
	s_cbranch_execz .LBB265_934
; %bb.929:                              ;   in Loop: Header=BB265_490 Depth=1
	v_and_b32_e32 v57, 0xffff, v1
	v_mov_b32_e32 v56, 0x7c010000
	s_mov_b32 s19, exec_lo
	s_delay_alu instid0(VALU_DEP_2) | instskip(NEXT) | instid1(VALU_DEP_1)
	v_and_b32_e32 v59, 0x7f, v57
	v_cmpx_ne_u32_e32 0x7f, v59
	s_cbranch_execz .LBB265_933
; %bb.930:                              ;   in Loop: Header=BB265_490 Depth=1
	v_and_b32_e32 v56, 7, v57
	v_lshrrev_b32_e32 v58, 3, v59
	s_mov_b32 s24, exec_lo
	v_cmpx_gt_u32_e32 8, v59
; %bb.931:                              ;   in Loop: Header=BB265_490 Depth=1
	s_delay_alu instid0(VALU_DEP_3) | instskip(NEXT) | instid1(VALU_DEP_1)
	v_clz_i32_u32_e32 v56, v56
	v_min_u32_e32 v56, 32, v56
	s_delay_alu instid0(VALU_DEP_1) | instskip(NEXT) | instid1(VALU_DEP_1)
	v_subrev_nc_u32_e32 v58, 28, v56
	v_lshlrev_b64_e32 v[59:60], v58, v[1:2]
	v_sub_nc_u32_e32 v58, 29, v56
	s_delay_alu instid0(VALU_DEP_2)
	v_and_b32_e32 v56, 7, v59
; %bb.932:                              ;   in Loop: Header=BB265_490 Depth=1
	s_wait_alu 0xfffe
	s_or_b32 exec_lo, exec_lo, s24
	v_lshlrev_b32_e32 v1, 8, v57
	v_lshl_add_u32 v57, v58, 10, 0x2000
	v_lshlrev_b32_e32 v56, 23, v56
	s_delay_alu instid0(VALU_DEP_2) | instskip(NEXT) | instid1(VALU_DEP_1)
	v_and_or_b32 v1, 0x8000, v1, v57
	v_lshl_or_b32 v56, v1, 16, v56
.LBB265_933:                            ;   in Loop: Header=BB265_490 Depth=1
	s_wait_alu 0xfffe
	s_or_b32 exec_lo, exec_lo, s19
.LBB265_934:                            ;   in Loop: Header=BB265_490 Depth=1
	s_wait_alu 0xfffe
	s_or_b32 exec_lo, exec_lo, s18
.LBB265_935:                            ;   in Loop: Header=BB265_490 Depth=1
	s_wait_alu 0xfffe
	s_or_b32 exec_lo, exec_lo, s17
	v_lshrrev_b32_e32 v1, 16, v8
	s_mov_b32 s17, exec_lo
	s_delay_alu instid0(VALU_DEP_1) | instskip(NEXT) | instid1(VALU_DEP_1)
	v_and_b32_e32 v57, 0xff, v1
	v_cmpx_ne_u16_e32 0, v57
	s_cbranch_execz .LBB265_943
; %bb.936:                              ;   in Loop: Header=BB265_490 Depth=1
	v_mov_b32_e32 v54, 0x8000
	s_mov_b32 s18, exec_lo
	v_cmpx_ne_u16_e32 0x80, v57
	s_cbranch_execz .LBB265_942
; %bb.937:                              ;   in Loop: Header=BB265_490 Depth=1
	v_bfe_u32 v58, v8, 16, 7
	v_mov_b32_e32 v54, 0x7c01
	s_mov_b32 s19, exec_lo
	s_delay_alu instid0(VALU_DEP_2)
	v_cmpx_ne_u32_e32 0x7f, v58
	s_cbranch_execz .LBB265_941
; %bb.938:                              ;   in Loop: Header=BB265_490 Depth=1
	v_and_b32_e32 v54, 7, v1
	v_lshrrev_b32_e32 v57, 3, v58
	s_mov_b32 s24, exec_lo
	v_cmpx_gt_u32_e32 8, v58
; %bb.939:                              ;   in Loop: Header=BB265_490 Depth=1
	s_delay_alu instid0(VALU_DEP_3) | instskip(NEXT) | instid1(VALU_DEP_1)
	v_clz_i32_u32_e32 v54, v54
	v_min_u32_e32 v54, 32, v54
	s_delay_alu instid0(VALU_DEP_1) | instskip(NEXT) | instid1(VALU_DEP_1)
	v_subrev_nc_u32_e32 v57, 28, v54
	v_lshlrev_b64_e32 v[58:59], v57, v[1:2]
	v_sub_nc_u32_e32 v57, 29, v54
	s_delay_alu instid0(VALU_DEP_2)
	v_and_b32_e32 v54, 7, v58
; %bb.940:                              ;   in Loop: Header=BB265_490 Depth=1
	s_wait_alu 0xfffe
	s_or_b32 exec_lo, exec_lo, s24
	v_lshlrev_b32_e32 v1, 8, v1
	v_lshl_add_u32 v57, v57, 10, 0x2000
	v_lshlrev_b32_e32 v54, 7, v54
	s_delay_alu instid0(VALU_DEP_3) | instskip(NEXT) | instid1(VALU_DEP_3)
	v_and_b32_e32 v1, 0x8000, v1
	v_and_b32_e32 v57, 0xfc00, v57
	s_delay_alu instid0(VALU_DEP_1)
	v_or3_b32 v54, v1, v57, v54
.LBB265_941:                            ;   in Loop: Header=BB265_490 Depth=1
	s_wait_alu 0xfffe
	s_or_b32 exec_lo, exec_lo, s19
.LBB265_942:                            ;   in Loop: Header=BB265_490 Depth=1
	s_wait_alu 0xfffe
	s_or_b32 exec_lo, exec_lo, s18
.LBB265_943:                            ;   in Loop: Header=BB265_490 Depth=1
	s_wait_alu 0xfffe
	s_or_b32 exec_lo, exec_lo, s17
	v_cmp_lt_u64_e64 s0, s[2:3], v[7:8]
	v_mov_b32_e32 v7, 0
	s_and_saveexec_b32 s17, s0
	s_cbranch_execz .LBB265_951
; %bb.944:                              ;   in Loop: Header=BB265_490 Depth=1
	v_lshrrev_b32_e32 v1, 24, v8
	v_bfrev_b32_e32 v7, 1
	s_mov_b32 s18, exec_lo
	s_delay_alu instid0(VALU_DEP_2)
	v_cmpx_ne_u32_e32 0x80, v1
	s_cbranch_execz .LBB265_950
; %bb.945:                              ;   in Loop: Header=BB265_490 Depth=1
	v_and_b32_e32 v57, 0x7f, v1
	v_mov_b32_e32 v7, 0x7c010000
	s_mov_b32 s19, exec_lo
	s_delay_alu instid0(VALU_DEP_2)
	v_cmpx_ne_u32_e32 0x7f, v57
	s_cbranch_execz .LBB265_949
; %bb.946:                              ;   in Loop: Header=BB265_490 Depth=1
	v_and_b32_e32 v7, 7, v1
	v_lshrrev_b32_e32 v8, 3, v57
	s_mov_b32 s24, exec_lo
	v_cmpx_gt_u32_e32 8, v57
; %bb.947:                              ;   in Loop: Header=BB265_490 Depth=1
	s_delay_alu instid0(VALU_DEP_3) | instskip(NEXT) | instid1(VALU_DEP_1)
	v_clz_i32_u32_e32 v7, v7
	v_min_u32_e32 v57, 32, v7
	s_delay_alu instid0(VALU_DEP_1) | instskip(NEXT) | instid1(VALU_DEP_1)
	v_subrev_nc_u32_e32 v7, 28, v57
	v_lshlrev_b64_e32 v[7:8], v7, v[1:2]
	v_sub_nc_u32_e32 v8, 29, v57
	s_delay_alu instid0(VALU_DEP_2)
	v_and_b32_e32 v7, 7, v7
; %bb.948:                              ;   in Loop: Header=BB265_490 Depth=1
	s_wait_alu 0xfffe
	s_or_b32 exec_lo, exec_lo, s24
	v_lshlrev_b32_e32 v1, 8, v1
	v_lshl_add_u32 v8, v8, 10, 0x2000
	v_lshlrev_b32_e32 v7, 23, v7
	s_delay_alu instid0(VALU_DEP_2) | instskip(NEXT) | instid1(VALU_DEP_1)
	v_and_or_b32 v1, 0x8000, v1, v8
	v_lshl_or_b32 v7, v1, 16, v7
.LBB265_949:                            ;   in Loop: Header=BB265_490 Depth=1
	s_wait_alu 0xfffe
	s_or_b32 exec_lo, exec_lo, s19
.LBB265_950:                            ;   in Loop: Header=BB265_490 Depth=1
	s_wait_alu 0xfffe
	s_or_b32 exec_lo, exec_lo, s18
.LBB265_951:                            ;   in Loop: Header=BB265_490 Depth=1
	s_wait_alu 0xfffe
	s_or_b32 exec_lo, exec_lo, s17
	v_or_b32_e32 v1, v52, v53
	s_wait_loadcnt 0x0
	v_fma_mixlo_f16 v8, v49, v52, 0 op_sel:[0,1,0] op_sel_hi:[0,1,0]
	v_or_b32_e32 v51, v50, v51
	v_fma_mixlo_f16 v52, v49, v50, 0 op_sel:[0,1,0] op_sel_hi:[0,1,0]
	v_or_b32_e32 v53, v56, v55
	v_fma_mixlo_f16 v1, v49, v1, 0 op_sel_hi:[0,1,0]
	v_or_b32_e32 v54, v7, v54
	v_lshlrev_b32_e32 v50, 16, v8
	v_lshlrev_b32_e32 v55, 16, v52
	v_fma_mixlo_f16 v8, v49, v51, 0 op_sel_hi:[0,1,0]
	v_and_b32_e32 v52, 0xffff, v1
	v_fma_mixlo_f16 v1, v49, v56, 0 op_sel:[0,1,0] op_sel_hi:[0,1,0]
	v_fma_mixlo_f16 v51, v49, v53, 0 op_sel_hi:[0,1,0]
	v_fma_mixlo_f16 v7, v49, v7, 0 op_sel:[0,1,0] op_sel_hi:[0,1,0]
	v_fma_mixlo_f16 v49, v49, v54, 0 op_sel_hi:[0,1,0]
	v_and_b32_e32 v57, 0xffff, v8
	v_lshlrev_b32_e32 v53, 16, v1
	v_and_b32_e32 v56, 0xffff, v51
	v_lshlrev_b32_e32 v51, 16, v7
	v_and_b32_e32 v54, 0xffff, v49
	v_or_b32_e32 v8, v50, v52
	v_or_b32_e32 v49, v55, v57
	v_or_b32_e32 v7, v53, v56
	s_delay_alu instid0(VALU_DEP_4)
	v_or_b32_e32 v1, v51, v54
	s_and_saveexec_b32 s0, vcc_lo
	s_cbranch_execz .LBB265_488
; %bb.952:                              ;   in Loop: Header=BB265_490 Depth=1
	v_cmp_gt_i32_e32 vcc_lo, s34, v27
	s_wait_alu 0xfffd
	v_cndmask_b32_e32 v1, 0, v57, vcc_lo
	v_cmp_gt_i32_e32 vcc_lo, s34, v34
	s_wait_alu 0xfffd
	v_cndmask_b32_e32 v7, 0, v55, vcc_lo
	;; [unrolled: 3-line block ×6, first 2 shown]
	v_cmp_gt_i32_e32 vcc_lo, s34, v29
	v_or_b32_e32 v49, v7, v1
	s_delay_alu instid0(VALU_DEP_3)
	v_or_b32_e32 v7, v30, v31
	s_wait_alu 0xfffd
	v_cndmask_b32_e32 v29, 0, v54, vcc_lo
	v_cmp_gt_i32_e32 vcc_lo, s34, v28
	s_wait_alu 0xfffd
	v_cndmask_b32_e32 v28, 0, v51, vcc_lo
	v_or_b32_e32 v8, v27, v8
	s_delay_alu instid0(VALU_DEP_2)
	v_or_b32_e32 v1, v28, v29
	s_branch .LBB265_488
.LBB265_953:
	s_or_b32 exec_lo, exec_lo, s7
.LBB265_954:
	s_wait_alu 0xfffe
	s_or_b32 exec_lo, exec_lo, s1
	ds_bpermute_b32 v1, v17, v25
	ds_bpermute_b32 v2, v17, v24
	;; [unrolled: 1-line block ×7, first 2 shown]
	v_lshrrev_b32_e32 v8, 1, v18
	v_mul_u32_u24_e32 v10, 0x1c0, v13
	v_and_b32_e32 v13, 0x3c1, v0
	s_mov_b32 s0, exec_lo
	s_wait_storecnt 0x0
	s_wait_loadcnt_dscnt 0x0
	v_lshl_add_u32 v9, v8, 2, 0x100
	s_barrier_signal -1
	s_barrier_wait -1
	global_inv scope:SCOPE_SE
	v_dual_add_f32 v7, v25, v1 :: v_dual_add_f32 v6, v24, v2
	v_dual_add_f32 v5, v23, v3 :: v_dual_add_f32 v4, v22, v4
	;; [unrolled: 1-line block ×3, first 2 shown]
	v_add_f32_e32 v1, v19, v16
	v_cmpx_eq_u32_e32 64, v13
	s_cbranch_execz .LBB265_956
; %bb.955:
	v_add_nc_u32_e32 v13, v9, v10
	s_delay_alu instid0(VALU_DEP_1)
	v_add_nc_u32_e32 v14, 0xfffffc80, v13
	v_add_nc_u32_e32 v15, 0xfffffcc0, v13
	;; [unrolled: 1-line block ×7, first 2 shown]
	ds_store_b32 v14, v7
	ds_store_b32 v15, v6
	;; [unrolled: 1-line block ×7, first 2 shown]
.LBB265_956:
	s_wait_alu 0xfffe
	s_or_b32 exec_lo, exec_lo, s0
	v_lshlrev_b32_e32 v8, 2, v8
	s_mov_b32 s1, exec_lo
	v_cmp_eq_u32_e32 vcc_lo, 0, v12
	s_wait_loadcnt_dscnt 0x0
	s_barrier_signal -1
	v_add3_u32 v8, 0x100, v10, v8
	s_barrier_wait -1
	global_inv scope:SCOPE_SE
	v_cmpx_gt_u32_e32 64, v0
	s_cbranch_execz .LBB265_966
; %bb.957:
	s_and_saveexec_b32 s0, vcc_lo
	s_cbranch_execnz .LBB265_981
; %bb.958:
	s_wait_alu 0xfffe
	s_or_b32 exec_lo, exec_lo, s0
	s_and_saveexec_b32 s0, vcc_lo
	s_cbranch_execnz .LBB265_982
.LBB265_959:
	s_wait_alu 0xfffe
	s_or_b32 exec_lo, exec_lo, s0
	s_and_saveexec_b32 s0, vcc_lo
	s_cbranch_execnz .LBB265_983
.LBB265_960:
	s_wait_alu 0xfffe
	s_or_b32 exec_lo, exec_lo, s0
	s_and_saveexec_b32 s0, vcc_lo
	s_cbranch_execnz .LBB265_984
.LBB265_961:
	s_wait_alu 0xfffe
	s_or_b32 exec_lo, exec_lo, s0
	s_and_saveexec_b32 s0, vcc_lo
	s_cbranch_execnz .LBB265_985
.LBB265_962:
	s_wait_alu 0xfffe
	s_or_b32 exec_lo, exec_lo, s0
	s_and_saveexec_b32 s0, vcc_lo
	s_cbranch_execnz .LBB265_986
.LBB265_963:
	s_wait_alu 0xfffe
	s_or_b32 exec_lo, exec_lo, s0
	s_and_saveexec_b32 s0, vcc_lo
	s_cbranch_execz .LBB265_965
.LBB265_964:
	ds_load_b32 v10, v8 offset:384
	s_wait_dscnt 0x0
	v_add_f32_e32 v1, v1, v10
.LBB265_965:
	s_wait_alu 0xfffe
	s_or_b32 exec_lo, exec_lo, s0
.LBB265_966:
	s_wait_alu 0xfffe
	s_or_b32 exec_lo, exec_lo, s1
	v_and_b32_e32 v10, 0x3e1, v0
	s_mov_b32 s1, exec_lo
	s_wait_loadcnt 0x0
	s_barrier_signal -1
	s_barrier_wait -1
	global_inv scope:SCOPE_SE
	v_cmpx_eq_u32_e32 32, v10
	s_cbranch_execz .LBB265_968
; %bb.967:
	ds_store_2addr_b32 v9, v7, v6 offset1:16
	ds_store_2addr_b32 v9, v5, v4 offset0:32 offset1:48
	ds_store_2addr_b32 v9, v3, v2 offset0:64 offset1:80
	ds_store_b32 v9, v1 offset:384
.LBB265_968:
	s_wait_alu 0xfffe
	s_or_b32 exec_lo, exec_lo, s1
	s_delay_alu instid0(SALU_CYCLE_1)
	s_mov_b32 s1, exec_lo
	s_wait_loadcnt_dscnt 0x0
	s_barrier_signal -1
	s_barrier_wait -1
	global_inv scope:SCOPE_SE
	v_cmpx_gt_u32_e32 32, v0
	s_cbranch_execz .LBB265_978
; %bb.969:
	s_and_saveexec_b32 s0, vcc_lo
	s_cbranch_execnz .LBB265_987
; %bb.970:
	s_wait_alu 0xfffe
	s_or_b32 exec_lo, exec_lo, s0
	s_and_saveexec_b32 s0, vcc_lo
	s_cbranch_execnz .LBB265_988
.LBB265_971:
	s_wait_alu 0xfffe
	s_or_b32 exec_lo, exec_lo, s0
	s_and_saveexec_b32 s0, vcc_lo
	s_cbranch_execnz .LBB265_989
.LBB265_972:
	s_wait_alu 0xfffe
	s_or_b32 exec_lo, exec_lo, s0
	s_and_saveexec_b32 s0, vcc_lo
	s_cbranch_execnz .LBB265_990
.LBB265_973:
	s_wait_alu 0xfffe
	s_or_b32 exec_lo, exec_lo, s0
	s_and_saveexec_b32 s0, vcc_lo
	s_cbranch_execnz .LBB265_991
.LBB265_974:
	s_wait_alu 0xfffe
	s_or_b32 exec_lo, exec_lo, s0
	s_and_saveexec_b32 s0, vcc_lo
	s_cbranch_execnz .LBB265_992
.LBB265_975:
	s_wait_alu 0xfffe
	s_or_b32 exec_lo, exec_lo, s0
	s_and_saveexec_b32 s0, vcc_lo
	s_cbranch_execz .LBB265_977
.LBB265_976:
	ds_load_b32 v0, v8 offset:384
	s_wait_dscnt 0x0
	v_add_f32_e32 v1, v1, v0
.LBB265_977:
	s_wait_alu 0xfffe
	s_or_b32 exec_lo, exec_lo, s0
.LBB265_978:
	s_wait_alu 0xfffe
	s_or_b32 exec_lo, exec_lo, s1
	s_mov_b32 s1, 0
	s_wait_loadcnt 0x0
	s_barrier_signal -1
	s_barrier_wait -1
	global_inv scope:SCOPE_SE
	s_mov_b32 s0, exec_lo
	v_cmpx_eq_u32_e32 0, v10
	s_cbranch_execz .LBB265_980
; %bb.979:
	s_mul_i32 s2, s28, 0x70
	s_wait_kmcnt 0x0
	s_mul_i32 s4, s12, s20
	s_wait_alu 0xfffe
	s_ashr_i32 s3, s2, 31
	s_ashr_i32 s5, s4, 31
	s_wait_alu 0xfffe
	s_lshl_b64 s[2:3], s[2:3], 1
	s_lshl_b64 s[4:5], s[4:5], 1
	s_wait_alu 0xfffe
	s_add_nc_u64 s[2:3], s[8:9], s[2:3]
	v_lshlrev_b32_e32 v0, 1, v11
	s_mul_i32 s0, s33, 0xe0
	s_wait_alu 0xfffe
	s_add_nc_u64 s[2:3], s[2:3], s[4:5]
	;;#ASMSTART
	v_cvt_f16_f32 v7, v7;

	;;#ASMEND
	s_wait_alu 0xfffe
	s_add_nc_u64 s[0:1], s[2:3], s[0:1]
	global_store_b16 v0, v7, s[0:1]
	;;#ASMSTART
	v_cvt_f16_f32 v6, v6;

	;;#ASMEND
	global_store_b16 v0, v6, s[0:1] offset:32
	;;#ASMSTART
	v_cvt_f16_f32 v5, v5;

	;;#ASMEND
	global_store_b16 v0, v5, s[0:1] offset:64
	;; [unrolled: 5-line block ×6, first 2 shown]
.LBB265_980:
	s_nop 0
	s_sendmsg sendmsg(MSG_DEALLOC_VGPRS)
	s_endpgm
.LBB265_981:
	ds_load_b32 v10, v8
	s_wait_dscnt 0x0
	v_add_f32_e32 v7, v7, v10
	s_wait_alu 0xfffe
	s_or_b32 exec_lo, exec_lo, s0
	s_and_saveexec_b32 s0, vcc_lo
	s_cbranch_execz .LBB265_959
.LBB265_982:
	ds_load_b32 v10, v8 offset:64
	s_wait_dscnt 0x0
	v_add_f32_e32 v6, v6, v10
	s_wait_alu 0xfffe
	s_or_b32 exec_lo, exec_lo, s0
	s_and_saveexec_b32 s0, vcc_lo
	s_cbranch_execz .LBB265_960
.LBB265_983:
	ds_load_b32 v10, v8 offset:128
	s_wait_dscnt 0x0
	v_add_f32_e32 v5, v5, v10
	s_wait_alu 0xfffe
	s_or_b32 exec_lo, exec_lo, s0
	s_and_saveexec_b32 s0, vcc_lo
	s_cbranch_execz .LBB265_961
.LBB265_984:
	ds_load_b32 v10, v8 offset:192
	s_wait_dscnt 0x0
	v_add_f32_e32 v4, v4, v10
	s_wait_alu 0xfffe
	s_or_b32 exec_lo, exec_lo, s0
	s_and_saveexec_b32 s0, vcc_lo
	s_cbranch_execz .LBB265_962
.LBB265_985:
	ds_load_b32 v10, v8 offset:256
	s_wait_dscnt 0x0
	v_add_f32_e32 v3, v3, v10
	s_wait_alu 0xfffe
	s_or_b32 exec_lo, exec_lo, s0
	s_and_saveexec_b32 s0, vcc_lo
	s_cbranch_execz .LBB265_963
.LBB265_986:
	ds_load_b32 v10, v8 offset:320
	s_wait_dscnt 0x0
	v_add_f32_e32 v2, v2, v10
	s_wait_alu 0xfffe
	s_or_b32 exec_lo, exec_lo, s0
	s_and_saveexec_b32 s0, vcc_lo
	s_cbranch_execnz .LBB265_964
	s_branch .LBB265_965
.LBB265_987:
	ds_load_b32 v0, v8
	s_wait_dscnt 0x0
	v_add_f32_e32 v7, v7, v0
	s_wait_alu 0xfffe
	s_or_b32 exec_lo, exec_lo, s0
	s_and_saveexec_b32 s0, vcc_lo
	s_cbranch_execz .LBB265_971
.LBB265_988:
	ds_load_b32 v0, v8 offset:64
	s_wait_dscnt 0x0
	v_add_f32_e32 v6, v6, v0
	s_wait_alu 0xfffe
	s_or_b32 exec_lo, exec_lo, s0
	s_and_saveexec_b32 s0, vcc_lo
	s_cbranch_execz .LBB265_972
.LBB265_989:
	ds_load_b32 v0, v8 offset:128
	s_wait_dscnt 0x0
	v_add_f32_e32 v5, v5, v0
	s_wait_alu 0xfffe
	s_or_b32 exec_lo, exec_lo, s0
	s_and_saveexec_b32 s0, vcc_lo
	s_cbranch_execz .LBB265_973
.LBB265_990:
	ds_load_b32 v0, v8 offset:192
	s_wait_dscnt 0x0
	v_add_f32_e32 v4, v4, v0
	s_wait_alu 0xfffe
	s_or_b32 exec_lo, exec_lo, s0
	s_and_saveexec_b32 s0, vcc_lo
	s_cbranch_execz .LBB265_974
.LBB265_991:
	ds_load_b32 v0, v8 offset:256
	s_wait_dscnt 0x0
	v_add_f32_e32 v3, v3, v0
	s_wait_alu 0xfffe
	s_or_b32 exec_lo, exec_lo, s0
	s_and_saveexec_b32 s0, vcc_lo
	s_cbranch_execz .LBB265_975
.LBB265_992:
	ds_load_b32 v0, v8 offset:320
	s_wait_dscnt 0x0
	v_add_f32_e32 v2, v2, v0
	s_wait_alu 0xfffe
	s_or_b32 exec_lo, exec_lo, s0
	s_and_saveexec_b32 s0, vcc_lo
	s_cbranch_execnz .LBB265_976
	s_branch .LBB265_977
	.section	.rodata,"a",@progbits
	.p2align	6, 0x0
	.amdhsa_kernel _ZN4vllm25paged_attention_v2_kernelIthLi112ELi16ELi128ELNS_18Fp8KVCacheDataTypeE1ELb1ELi512EEEvPfS2_PT_PKS3_PKT0_S9_ifPKiSB_iPKfiiiSD_SD_iiiii
		.amdhsa_group_segment_fixed_size 256
		.amdhsa_private_segment_fixed_size 0
		.amdhsa_kernarg_size 400
		.amdhsa_user_sgpr_count 2
		.amdhsa_user_sgpr_dispatch_ptr 0
		.amdhsa_user_sgpr_queue_ptr 0
		.amdhsa_user_sgpr_kernarg_segment_ptr 1
		.amdhsa_user_sgpr_dispatch_id 0
		.amdhsa_user_sgpr_private_segment_size 0
		.amdhsa_wavefront_size32 1
		.amdhsa_uses_dynamic_stack 0
		.amdhsa_enable_private_segment 0
		.amdhsa_system_sgpr_workgroup_id_x 1
		.amdhsa_system_sgpr_workgroup_id_y 1
		.amdhsa_system_sgpr_workgroup_id_z 1
		.amdhsa_system_sgpr_workgroup_info 0
		.amdhsa_system_vgpr_workitem_id 0
		.amdhsa_next_free_vgpr 125
		.amdhsa_next_free_sgpr 46
		.amdhsa_reserve_vcc 1
		.amdhsa_float_round_mode_32 0
		.amdhsa_float_round_mode_16_64 0
		.amdhsa_float_denorm_mode_32 3
		.amdhsa_float_denorm_mode_16_64 3
		.amdhsa_fp16_overflow 0
		.amdhsa_workgroup_processor_mode 1
		.amdhsa_memory_ordered 1
		.amdhsa_forward_progress 1
		.amdhsa_inst_pref_size 255
		.amdhsa_round_robin_scheduling 0
		.amdhsa_exception_fp_ieee_invalid_op 0
		.amdhsa_exception_fp_denorm_src 0
		.amdhsa_exception_fp_ieee_div_zero 0
		.amdhsa_exception_fp_ieee_overflow 0
		.amdhsa_exception_fp_ieee_underflow 0
		.amdhsa_exception_fp_ieee_inexact 0
		.amdhsa_exception_int_div_zero 0
	.end_amdhsa_kernel
	.section	.text._ZN4vllm25paged_attention_v2_kernelIthLi112ELi16ELi128ELNS_18Fp8KVCacheDataTypeE1ELb1ELi512EEEvPfS2_PT_PKS3_PKT0_S9_ifPKiSB_iPKfiiiSD_SD_iiiii,"axG",@progbits,_ZN4vllm25paged_attention_v2_kernelIthLi112ELi16ELi128ELNS_18Fp8KVCacheDataTypeE1ELb1ELi512EEEvPfS2_PT_PKS3_PKT0_S9_ifPKiSB_iPKfiiiSD_SD_iiiii,comdat
.Lfunc_end265:
	.size	_ZN4vllm25paged_attention_v2_kernelIthLi112ELi16ELi128ELNS_18Fp8KVCacheDataTypeE1ELb1ELi512EEEvPfS2_PT_PKS3_PKT0_S9_ifPKiSB_iPKfiiiSD_SD_iiiii, .Lfunc_end265-_ZN4vllm25paged_attention_v2_kernelIthLi112ELi16ELi128ELNS_18Fp8KVCacheDataTypeE1ELb1ELi512EEEvPfS2_PT_PKS3_PKT0_S9_ifPKiSB_iPKfiiiSD_SD_iiiii
                                        ; -- End function
	.set _ZN4vllm25paged_attention_v2_kernelIthLi112ELi16ELi128ELNS_18Fp8KVCacheDataTypeE1ELb1ELi512EEEvPfS2_PT_PKS3_PKT0_S9_ifPKiSB_iPKfiiiSD_SD_iiiii.num_vgpr, 125
	.set _ZN4vllm25paged_attention_v2_kernelIthLi112ELi16ELi128ELNS_18Fp8KVCacheDataTypeE1ELb1ELi512EEEvPfS2_PT_PKS3_PKT0_S9_ifPKiSB_iPKfiiiSD_SD_iiiii.num_agpr, 0
	.set _ZN4vllm25paged_attention_v2_kernelIthLi112ELi16ELi128ELNS_18Fp8KVCacheDataTypeE1ELb1ELi512EEEvPfS2_PT_PKS3_PKT0_S9_ifPKiSB_iPKfiiiSD_SD_iiiii.numbered_sgpr, 46
	.set _ZN4vllm25paged_attention_v2_kernelIthLi112ELi16ELi128ELNS_18Fp8KVCacheDataTypeE1ELb1ELi512EEEvPfS2_PT_PKS3_PKT0_S9_ifPKiSB_iPKfiiiSD_SD_iiiii.num_named_barrier, 0
	.set _ZN4vllm25paged_attention_v2_kernelIthLi112ELi16ELi128ELNS_18Fp8KVCacheDataTypeE1ELb1ELi512EEEvPfS2_PT_PKS3_PKT0_S9_ifPKiSB_iPKfiiiSD_SD_iiiii.private_seg_size, 0
	.set _ZN4vllm25paged_attention_v2_kernelIthLi112ELi16ELi128ELNS_18Fp8KVCacheDataTypeE1ELb1ELi512EEEvPfS2_PT_PKS3_PKT0_S9_ifPKiSB_iPKfiiiSD_SD_iiiii.uses_vcc, 1
	.set _ZN4vllm25paged_attention_v2_kernelIthLi112ELi16ELi128ELNS_18Fp8KVCacheDataTypeE1ELb1ELi512EEEvPfS2_PT_PKS3_PKT0_S9_ifPKiSB_iPKfiiiSD_SD_iiiii.uses_flat_scratch, 0
	.set _ZN4vllm25paged_attention_v2_kernelIthLi112ELi16ELi128ELNS_18Fp8KVCacheDataTypeE1ELb1ELi512EEEvPfS2_PT_PKS3_PKT0_S9_ifPKiSB_iPKfiiiSD_SD_iiiii.has_dyn_sized_stack, 0
	.set _ZN4vllm25paged_attention_v2_kernelIthLi112ELi16ELi128ELNS_18Fp8KVCacheDataTypeE1ELb1ELi512EEEvPfS2_PT_PKS3_PKT0_S9_ifPKiSB_iPKfiiiSD_SD_iiiii.has_recursion, 0
	.set _ZN4vllm25paged_attention_v2_kernelIthLi112ELi16ELi128ELNS_18Fp8KVCacheDataTypeE1ELb1ELi512EEEvPfS2_PT_PKS3_PKT0_S9_ifPKiSB_iPKfiiiSD_SD_iiiii.has_indirect_call, 0
	.section	.AMDGPU.csdata,"",@progbits
; Kernel info:
; codeLenInByte = 34584
; TotalNumSgprs: 48
; NumVgprs: 125
; ScratchSize: 0
; MemoryBound: 0
; FloatMode: 240
; IeeeMode: 1
; LDSByteSize: 256 bytes/workgroup (compile time only)
; SGPRBlocks: 0
; VGPRBlocks: 15
; NumSGPRsForWavesPerEU: 48
; NumVGPRsForWavesPerEU: 125
; Occupancy: 10
; WaveLimiterHint : 1
; COMPUTE_PGM_RSRC2:SCRATCH_EN: 0
; COMPUTE_PGM_RSRC2:USER_SGPR: 2
; COMPUTE_PGM_RSRC2:TRAP_HANDLER: 0
; COMPUTE_PGM_RSRC2:TGID_X_EN: 1
; COMPUTE_PGM_RSRC2:TGID_Y_EN: 1
; COMPUTE_PGM_RSRC2:TGID_Z_EN: 1
; COMPUTE_PGM_RSRC2:TIDIG_COMP_CNT: 0
	.section	.text._ZN4vllm25paged_attention_v2_kernelIthLi120ELi16ELi128ELNS_18Fp8KVCacheDataTypeE1ELb1ELi512EEEvPfS2_PT_PKS3_PKT0_S9_ifPKiSB_iPKfiiiSD_SD_iiiii,"axG",@progbits,_ZN4vllm25paged_attention_v2_kernelIthLi120ELi16ELi128ELNS_18Fp8KVCacheDataTypeE1ELb1ELi512EEEvPfS2_PT_PKS3_PKT0_S9_ifPKiSB_iPKfiiiSD_SD_iiiii,comdat
	.protected	_ZN4vllm25paged_attention_v2_kernelIthLi120ELi16ELi128ELNS_18Fp8KVCacheDataTypeE1ELb1ELi512EEEvPfS2_PT_PKS3_PKT0_S9_ifPKiSB_iPKfiiiSD_SD_iiiii ; -- Begin function _ZN4vllm25paged_attention_v2_kernelIthLi120ELi16ELi128ELNS_18Fp8KVCacheDataTypeE1ELb1ELi512EEEvPfS2_PT_PKS3_PKT0_S9_ifPKiSB_iPKfiiiSD_SD_iiiii
	.globl	_ZN4vllm25paged_attention_v2_kernelIthLi120ELi16ELi128ELNS_18Fp8KVCacheDataTypeE1ELb1ELi512EEEvPfS2_PT_PKS3_PKT0_S9_ifPKiSB_iPKfiiiSD_SD_iiiii
	.p2align	8
	.type	_ZN4vllm25paged_attention_v2_kernelIthLi120ELi16ELi128ELNS_18Fp8KVCacheDataTypeE1ELb1ELi512EEEvPfS2_PT_PKS3_PKT0_S9_ifPKiSB_iPKfiiiSD_SD_iiiii,@function
_ZN4vllm25paged_attention_v2_kernelIthLi120ELi16ELi128ELNS_18Fp8KVCacheDataTypeE1ELb1ELi512EEEvPfS2_PT_PKS3_PKT0_S9_ifPKiSB_iPKfiiiSD_SD_iiiii: ; @_ZN4vllm25paged_attention_v2_kernelIthLi120ELi16ELi128ELNS_18Fp8KVCacheDataTypeE1ELb1ELi512EEEvPfS2_PT_PKS3_PKT0_S9_ifPKiSB_iPKfiiiSD_SD_iiiii
; %bb.0:
	s_load_b64 s[2:3], s[0:1], 0x40
	s_and_b32 s19, ttmp7, 0xffff
	s_lshr_b32 s33, ttmp7, 16
	s_lshl_b32 s4, s19, 2
	s_lshl_b32 s36, s33, 9
	s_wait_kmcnt 0x0
	s_load_b32 s34, s[2:3], s4 offset:0x0
	s_wait_kmcnt 0x0
	s_cmp_ge_i32 s36, s34
	s_cbranch_scc1 .LBB266_1107
; %bb.1:
	s_clause 0x1
	s_load_b32 s35, s[0:1], 0x90
	s_load_b64 s[6:7], s[0:1], 0x30
	s_wait_kmcnt 0x0
	s_abs_i32 s5, s35
	s_abs_i32 s2, s6
	s_delay_alu instid0(SALU_CYCLE_1) | instskip(SKIP_1) | instid1(SALU_CYCLE_2)
	s_cvt_f32_u32 s3, s2
	s_sub_co_i32 s4, 0, s2
	v_rcp_iflag_f32_e32 v1, s3
	s_delay_alu instid0(TRANS32_DEP_1) | instskip(SKIP_2) | instid1(SALU_CYCLE_2)
	v_readfirstlane_b32 s3, v1
	s_mul_f32 s3, s3, 0x4f7ffffe
	s_wait_alu 0xfffe
	s_cvt_u32_f32 s3, s3
	s_wait_alu 0xfffe
	s_delay_alu instid0(SALU_CYCLE_2) | instskip(NEXT) | instid1(SALU_CYCLE_1)
	s_mul_i32 s4, s4, s3
	s_mul_hi_u32 s4, s3, s4
	s_delay_alu instid0(SALU_CYCLE_1)
	s_add_co_i32 s3, s3, s4
	s_xor_b32 s4, s35, s6
	s_wait_alu 0xfffe
	s_mul_hi_u32 s3, s5, s3
	s_ashr_i32 s4, s4, 31
	s_wait_alu 0xfffe
	s_mul_i32 s8, s3, s2
	s_delay_alu instid0(SALU_CYCLE_1)
	s_sub_co_i32 s5, s5, s8
	s_add_co_i32 s8, s3, 1
	s_sub_co_i32 s9, s5, s2
	s_cmp_ge_u32 s5, s2
	s_cselect_b32 s3, s8, s3
	s_cselect_b32 s5, s9, s5
	s_wait_alu 0xfffe
	s_add_co_i32 s8, s3, 1
	s_cmp_ge_u32 s5, s2
	s_cselect_b32 s2, s8, s3
	s_load_b64 s[8:9], s[0:1], 0x50
	s_xor_b32 s2, s2, s4
	s_mov_b32 s3, 0
	s_wait_alu 0xfffe
	s_sub_co_i32 s11, s2, s4
	s_mov_b32 s30, s3
	s_abs_i32 s10, s11
	s_delay_alu instid0(SALU_CYCLE_1) | instskip(SKIP_1) | instid1(SALU_CYCLE_2)
	s_cvt_f32_u32 s2, s10
	s_wait_alu 0xfffe
	v_rcp_iflag_f32_e32 v1, s2
	s_delay_alu instid0(TRANS32_DEP_1) | instskip(SKIP_2) | instid1(SALU_CYCLE_2)
	v_readfirstlane_b32 s2, v1
	s_mul_f32 s2, s2, 0x4f7ffffe
	s_wait_alu 0xfffe
	s_cvt_u32_f32 s4, s2
	s_sub_co_i32 s2, 0, s10
	s_wait_alu 0xfffe
	s_delay_alu instid0(SALU_CYCLE_1)
	s_mul_i32 s2, s2, s4
	s_wait_alu 0xfffe
	s_mul_hi_u32 s5, s4, s2
	s_abs_i32 s2, ttmp9
	s_add_co_i32 s4, s4, s5
	s_mov_b32 s5, s3
	s_wait_kmcnt 0x0
	s_cmp_eq_u64 s[8:9], 0
	s_cbranch_scc1 .LBB266_3
; %bb.2:
	s_mov_b32 s12, ttmp9
	s_ashr_i32 s13, ttmp9, 31
	s_delay_alu instid0(SALU_CYCLE_1) | instskip(NEXT) | instid1(SALU_CYCLE_1)
	s_lshl_b64 s[12:13], s[12:13], 2
	s_add_nc_u64 s[8:9], s[8:9], s[12:13]
	s_load_b32 s30, s[8:9], 0x0
.LBB266_3:
	s_load_b96 s[16:18], s[0:1], 0x58
	v_lshrrev_b32_e32 v11, 1, v0
	v_and_b32_e32 v12, 1, v0
	v_lshlrev_b32_e32 v10, 3, v0
	s_mul_u64 s[4:5], s[2:3], s[4:5]
	s_ashr_i32 s3, ttmp9, 31
	s_ashr_i32 s4, s11, 31
	s_mul_i32 s20, ttmp9, 0x78
	s_mov_b32 s8, exec_lo
	v_cmpx_gt_u32_e32 30, v0
	s_cbranch_execz .LBB266_5
; %bb.4:
	s_load_b64 s[12:13], s[0:1], 0x18
	s_wait_kmcnt 0x0
	s_mul_i32 s14, s16, s19
	s_ashr_i32 s21, s20, 31
	s_ashr_i32 s15, s14, 31
	v_lshlrev_b32_e32 v3, 3, v11
	s_lshl_b64 s[14:15], s[14:15], 1
	s_delay_alu instid0(VALU_DEP_1) | instskip(SKIP_2) | instid1(SALU_CYCLE_1)
	v_mad_u32_u24 v3, 0x78, v12, v3
	s_add_nc_u64 s[12:13], s[12:13], s[14:15]
	s_lshl_b64 s[14:15], s[20:21], 1
	s_add_nc_u64 s[12:13], s[12:13], s[14:15]
	global_load_b64 v[1:2], v10, s[12:13]
	s_wait_loadcnt 0x0
	ds_store_b64 v3, v[1:2]
.LBB266_5:
	s_or_b32 exec_lo, exec_lo, s8
	s_load_b128 s[12:15], s[0:1], 0x78
	s_mul_i32 s8, s5, s10
	s_xor_b32 s3, s3, s4
	s_sub_co_i32 s2, s2, s8
	s_add_co_i32 s4, s5, 1
	s_wait_alu 0xfffe
	s_sub_co_i32 s8, s2, s10
	s_cmp_ge_u32 s2, s10
                                        ; implicit-def: $sgpr21
	s_cselect_b32 s4, s4, s5
	s_cselect_b32 s2, s8, s2
	s_add_co_i32 s5, s4, 1
	s_wait_alu 0xfffe
	s_cmp_ge_u32 s2, s10
	s_load_b32 s8, s[0:1], 0x88
	s_cselect_b32 s2, s5, s4
	s_add_co_i32 s9, s34, -1
	s_wait_alu 0xfffe
	s_xor_b32 s2, s2, s3
	s_mov_b32 s10, -1
	s_wait_alu 0xfffe
	s_sub_co_i32 s28, s2, s3
	s_wait_dscnt 0x0
	s_barrier_signal -1
	s_wait_kmcnt 0x0
	s_abs_i32 s16, s15
	s_barrier_wait -1
	s_cvt_f32_u32 s4, s16
	global_inv scope:SCOPE_SE
	v_rcp_iflag_f32_e32 v1, s4
	s_delay_alu instid0(TRANS32_DEP_1) | instskip(SKIP_2) | instid1(SALU_CYCLE_2)
	v_readfirstlane_b32 s4, v1
	s_mul_f32 s2, s4, 0x4f7ffffe
	s_wait_alu 0xfffe
	s_cvt_u32_f32 s4, s2
	s_sub_co_i32 s2, 0, s16
	s_wait_alu 0xfffe
	s_delay_alu instid0(SALU_CYCLE_1)
	s_mul_i32 s3, s2, s4
	s_abs_i32 s2, s9
	s_wait_alu 0xfffe
	s_mul_hi_u32 s5, s4, s3
	s_mov_b32 s3, 0
	s_wait_alu 0xfffe
	s_add_co_i32 s22, s4, s5
	s_cmp_lt_i32 s8, 0
	s_mov_b32 s23, s3
	s_cbranch_scc0 .LBB266_7
; %bb.6:
	s_mul_i32 s4, s12, s6
	s_mov_b32 s10, s3
	s_wait_alu 0xfffe
	s_add_co_i32 s4, s28, s4
	s_wait_alu 0xfffe
	s_mul_i32 s4, s4, s8
	s_wait_alu 0xfffe
	s_sub_co_i32 s21, 1, s4
.LBB266_7:
	s_mul_u64 s[4:5], s[2:3], s[22:23]
	s_ashr_i32 s3, s9, 31
	s_and_not1_b32 vcc_lo, exec_lo, s10
	s_ashr_i32 s15, s15, 31
	s_cbranch_vccnz .LBB266_9
; %bb.8:
	s_mul_i32 s4, s35, s12
	s_wait_alu 0xfffe
	s_add_co_i32 s4, s4, ttmp9
	s_wait_alu 0xfffe
	s_mul_i32 s4, s4, s8
	s_wait_alu 0xfffe
	s_add_co_i32 s21, s4, 1
.LBB266_9:
	s_clause 0x3
	s_load_b32 s4, s[0:1], 0x48
	s_load_b64 s[24:25], s[0:1], 0x38
	s_load_b32 s12, s[0:1], 0x98
	s_load_b128 s[8:11], s[0:1], 0x68
	s_mul_i32 s6, s5, s16
	s_xor_b32 s3, s3, s15
	s_sub_co_i32 s2, s2, s6
	s_add_co_i32 s23, s5, 1
	v_lshrrev_b32_e32 v13, 5, v0
	v_mbcnt_lo_u32_b32 v16, -1, 0
	s_mul_i32 s28, s28, s18
	s_mov_b32 s6, exec_lo
	s_delay_alu instid0(VALU_DEP_2)
	v_lshl_add_u32 v14, v13, 4, s36
	s_wait_kmcnt 0x0
	s_mul_i32 s26, s4, s19
	s_wait_alu 0xfffe
	s_sub_co_i32 s4, s2, s16
	s_ashr_i32 s27, s26, 31
	s_cmp_ge_u32 s2, s16
	s_cselect_b32 s5, s23, s5
	s_wait_alu 0xfffe
	s_cselect_b32 s2, s4, s2
	s_add_co_i32 s4, s5, 1
	s_wait_alu 0xfffe
	s_cmp_ge_u32 s2, s16
	s_cselect_b32 s2, s4, s5
	s_add_co_i32 s4, s34, 15
	s_lshl_b32 s39, s33, 5
	s_wait_alu 0xfffe
	s_ashr_i32 s5, s4, 31
	v_or_b32_e32 v15, s39, v13
	s_wait_alu 0xfffe
	s_lshr_b32 s5, s5, 28
	v_mov_b32_e32 v19, 0xff7fffff
	s_wait_alu 0xfffe
	s_add_co_i32 s4, s4, s5
	s_add_co_i32 s5, s39, 32
	s_wait_alu 0xfffe
	s_ashr_i32 s37, s4, 4
	s_xor_b32 s4, s2, s3
	s_wait_alu 0xfffe
	s_min_i32 s23, s5, s37
	v_lshlrev_b32_e32 v18, 2, v15
	v_cmp_le_i32_e64 s2, s23, v15
	s_sub_co_i32 s38, s4, s3
	v_cmpx_gt_i32_e64 s23, v15
	s_cbranch_execz .LBB266_501
; %bb.10:
	s_wait_alu 0xfffe
	s_sub_co_i32 s18, s38, s13
	s_ashr_i32 s29, s28, 31
	s_cmp_neq_f32 s30, 0
	s_load_b64 s[4:5], s[0:1], 0x20
	v_bfe_u32 v17, v0, 1, 4
	v_dual_mov_b32 v2, 0 :: v_dual_lshlrev_b32 v3, 2, v12
	s_cselect_b32 vcc_lo, -1, 0
	s_abs_i32 s31, s14
	s_delay_alu instid0(VALU_DEP_2)
	v_dual_mov_b32 v19, 0xff7fffff :: v_dual_lshlrev_b32 v4, 4, v17
	s_cvt_f32_u32 s3, s31
	v_dual_mov_b32 v24, 0xff7fffff :: v_dual_lshlrev_b32 v5, 2, v17
	s_lshl_b64 s[42:43], s[26:27], 2
	s_wait_alu 0xfffe
	v_rcp_iflag_f32_e32 v1, s3
	v_subrev_nc_u32_e32 v7, s34, v17
	s_add_nc_u64 s[42:43], s[24:25], s[42:43]
	s_sub_co_i32 s44, 0, s31
	v_cmp_eq_u32_e64 s3, 0, v12
	v_mul_u32_u24_e32 v20, 0x78, v12
	v_lshl_add_u32 v21, v13, 4, s36
	v_dual_mov_b32 v25, v15 :: v_dual_add_nc_u32 v22, 1, v7
	s_wait_kmcnt 0x0
	s_add_nc_u64 s[4:5], s[4:5], s[28:29]
	v_readfirstlane_b32 s41, v1
	s_wait_alu 0xfffe
	v_add_co_u32 v4, s4, s4, v4
	v_lshl_or_b32 v1, v13, 6, v5
	s_wait_alu 0xf1ff
	v_add_co_ci_u32_e64 v5, null, s5, 0, s4
	s_mul_f32 s29, s41, 0x4f7ffffe
	v_add_co_u32 v3, s4, v4, v3
	s_wait_alu 0xf1ff
	v_add_co_ci_u32_e64 v4, null, 0, v5, s4
	s_cvt_u32_f32 s5, s29
	v_add_co_u32 v5, s4, s42, v18
	s_wait_alu 0xf1ff
	v_add_co_ci_u32_e64 v6, null, s43, 0, s4
	s_wait_alu 0xfffe
	s_mul_i32 s44, s44, s5
	v_add_nc_u32_e32 v23, 0x110, v1
	s_mul_hi_u32 s4, s5, s44
	s_mov_b32 s40, 0
	s_mov_b32 s29, s17
	s_wait_alu 0xfffe
	s_add_co_i32 s41, s5, s4
	s_branch .LBB266_13
.LBB266_11:                             ;   in Loop: Header=BB266_13 Depth=1
	s_wait_alu 0xfffe
	s_or_b32 exec_lo, exec_lo, s42
.LBB266_12:                             ;   in Loop: Header=BB266_13 Depth=1
	s_wait_alu 0xfffe
	s_or_b32 exec_lo, exec_lo, s5
	v_add_nc_u32_e32 v25, 4, v25
	v_add_co_u32 v5, s5, v5, 16
	s_wait_alu 0xf1ff
	v_add_co_ci_u32_e64 v6, null, 0, v6, s5
	s_delay_alu instid0(VALU_DEP_3)
	v_cmp_le_i32_e64 s4, s23, v25
	v_add_nc_u32_e32 v21, 64, v21
	v_add_nc_u32_e32 v23, 0x100, v23
	s_or_b32 s40, s4, s40
	s_wait_alu 0xfffe
	s_and_not1_b32 exec_lo, exec_lo, s40
	s_cbranch_execz .LBB266_500
.LBB266_13:                             ; =>This Inner Loop Header: Depth=1
	v_sub_nc_u32_e32 v1, 0, v21
	s_delay_alu instid0(VALU_DEP_1) | instskip(SKIP_1) | instid1(VALU_DEP_1)
	v_max_i32_e32 v1, v21, v1
	s_wait_dscnt 0x0
	v_mul_hi_u32 v7, v1, s22
	s_delay_alu instid0(VALU_DEP_1) | instskip(NEXT) | instid1(VALU_DEP_1)
	v_mul_lo_u32 v8, v7, s16
	v_sub_nc_u32_e32 v1, v1, v8
	v_add_nc_u32_e32 v8, 1, v7
	s_delay_alu instid0(VALU_DEP_2) | instskip(SKIP_2) | instid1(VALU_DEP_1)
	v_subrev_nc_u32_e32 v9, s16, v1
	v_cmp_le_u32_e64 s4, s16, v1
	s_wait_alu 0xf1ff
	v_cndmask_b32_e64 v7, v7, v8, s4
	s_delay_alu instid0(VALU_DEP_3) | instskip(SKIP_1) | instid1(VALU_DEP_3)
	v_cndmask_b32_e64 v1, v1, v9, s4
	v_ashrrev_i32_e32 v8, 31, v21
	v_add_nc_u32_e32 v9, 1, v7
	s_delay_alu instid0(VALU_DEP_3) | instskip(NEXT) | instid1(VALU_DEP_3)
	v_cmp_le_u32_e64 s4, s16, v1
	v_xor_b32_e32 v8, s15, v8
	s_wait_alu 0xf1ff
	s_delay_alu instid0(VALU_DEP_2) | instskip(NEXT) | instid1(VALU_DEP_1)
	v_cndmask_b32_e64 v1, v7, v9, s4
	v_xor_b32_e32 v1, v1, v8
	s_delay_alu instid0(VALU_DEP_1) | instskip(NEXT) | instid1(VALU_DEP_1)
	v_sub_nc_u32_e32 v1, v1, v8
	v_add_nc_u32_e32 v7, s21, v1
	v_cmp_ge_i32_e64 s5, s18, v1
	s_delay_alu instid0(VALU_DEP_2) | instskip(NEXT) | instid1(VALU_DEP_1)
	v_sub_nc_u32_e32 v8, 0, v7
	v_max_i32_e32 v8, v7, v8
	v_ashrrev_i32_e32 v7, 31, v7
	s_delay_alu instid0(VALU_DEP_2) | instskip(NEXT) | instid1(VALU_DEP_1)
	v_mul_hi_u32 v9, v8, s41
	v_mul_lo_u32 v9, v9, s31
	s_delay_alu instid0(VALU_DEP_1) | instskip(NEXT) | instid1(VALU_DEP_1)
	v_sub_nc_u32_e32 v8, v8, v9
	v_subrev_nc_u32_e32 v9, s31, v8
	v_cmp_le_u32_e64 s4, s31, v8
	s_wait_alu 0xf1ff
	s_delay_alu instid0(VALU_DEP_1) | instskip(NEXT) | instid1(VALU_DEP_1)
	v_cndmask_b32_e64 v8, v8, v9, s4
	v_subrev_nc_u32_e32 v9, s31, v8
	v_cmp_le_u32_e64 s4, s31, v8
	s_wait_alu 0xf1ff
	s_delay_alu instid0(VALU_DEP_1) | instskip(NEXT) | instid1(VALU_DEP_1)
	v_cndmask_b32_e64 v8, v8, v9, s4
	v_xor_b32_e32 v8, v8, v7
	s_delay_alu instid0(VALU_DEP_1) | instskip(NEXT) | instid1(VALU_DEP_1)
	v_sub_nc_u32_e32 v7, v8, v7
	v_cmp_ne_u32_e64 s4, 0, v7
	s_and_b32 s4, s4, s5
	s_wait_alu 0xfffe
	s_and_saveexec_b32 s5, s4
	s_wait_alu 0xfffe
	s_xor_b32 s4, exec_lo, s5
	s_cbranch_execz .LBB266_17
; %bb.14:                               ;   in Loop: Header=BB266_13 Depth=1
	s_and_saveexec_b32 s5, s3
; %bb.15:                               ;   in Loop: Header=BB266_13 Depth=1
	ds_store_b32 v23, v24
; %bb.16:                               ;   in Loop: Header=BB266_13 Depth=1
	s_wait_alu 0xfffe
	s_or_b32 exec_lo, exec_lo, s5
.LBB266_17:                             ;   in Loop: Header=BB266_13 Depth=1
	s_wait_alu 0xfffe
	s_and_not1_saveexec_b32 s5, s4
	s_cbranch_execz .LBB266_12
; %bb.18:                               ;   in Loop: Header=BB266_13 Depth=1
	global_load_b32 v1, v[5:6], off
	v_dual_mov_b32 v27, 0 :: v_dual_mov_b32 v28, 0
	s_mov_b32 s42, exec_lo
	global_load_b32 v26, v27, s[8:9]
	s_wait_loadcnt 0x1
	v_mad_co_i64_i32 v[7:8], null, v1, s29, v[3:4]
	global_load_b32 v9, v[7:8], off
	s_wait_loadcnt 0x0
	v_and_b32_e32 v1, 0xff, v9
	s_delay_alu instid0(VALU_DEP_1)
	v_cmpx_ne_u16_e32 0, v1
	s_cbranch_execz .LBB266_26
; %bb.19:                               ;   in Loop: Header=BB266_13 Depth=1
	v_mov_b32_e32 v28, 0x8000
	s_mov_b32 s43, exec_lo
	v_cmpx_ne_u16_e32 0x80, v1
	s_cbranch_execz .LBB266_25
; %bb.20:                               ;   in Loop: Header=BB266_13 Depth=1
	v_and_b32_e32 v29, 0x7f, v9
	v_mov_b32_e32 v28, 0x7c01
	s_mov_b32 s44, exec_lo
	s_delay_alu instid0(VALU_DEP_2)
	v_cmpx_ne_u32_e32 0x7f, v29
	s_cbranch_execz .LBB266_24
; %bb.21:                               ;   in Loop: Header=BB266_13 Depth=1
	v_and_b32_e32 v1, 7, v9
	v_lshrrev_b32_e32 v28, 3, v29
	s_mov_b32 s45, exec_lo
	v_cmpx_gt_u32_e32 8, v29
; %bb.22:                               ;   in Loop: Header=BB266_13 Depth=1
	s_delay_alu instid0(VALU_DEP_3) | instskip(NEXT) | instid1(VALU_DEP_1)
	v_clz_i32_u32_e32 v1, v1
	v_min_u32_e32 v1, 32, v1
	s_delay_alu instid0(VALU_DEP_1) | instskip(NEXT) | instid1(VALU_DEP_1)
	v_subrev_nc_u32_e32 v28, 28, v1
	v_lshlrev_b64_e32 v[29:30], v28, v[9:10]
	v_sub_nc_u32_e32 v28, 29, v1
	s_delay_alu instid0(VALU_DEP_2)
	v_and_b32_e32 v1, 7, v29
; %bb.23:                               ;   in Loop: Header=BB266_13 Depth=1
	s_or_b32 exec_lo, exec_lo, s45
	v_lshlrev_b32_e32 v29, 8, v9
	s_delay_alu instid0(VALU_DEP_3) | instskip(NEXT) | instid1(VALU_DEP_3)
	v_lshl_add_u32 v28, v28, 10, 0x2000
	v_lshlrev_b32_e32 v1, 7, v1
	s_delay_alu instid0(VALU_DEP_3) | instskip(NEXT) | instid1(VALU_DEP_3)
	v_and_b32_e32 v29, 0x8000, v29
	v_and_b32_e32 v28, 0xfc00, v28
	s_delay_alu instid0(VALU_DEP_1)
	v_or3_b32 v28, v29, v28, v1
.LBB266_24:                             ;   in Loop: Header=BB266_13 Depth=1
	s_or_b32 exec_lo, exec_lo, s44
.LBB266_25:                             ;   in Loop: Header=BB266_13 Depth=1
	s_wait_alu 0xfffe
	s_or_b32 exec_lo, exec_lo, s43
.LBB266_26:                             ;   in Loop: Header=BB266_13 Depth=1
	s_wait_alu 0xfffe
	s_or_b32 exec_lo, exec_lo, s42
	v_lshrrev_b16 v1, 8, v9
	s_mov_b32 s42, exec_lo
	s_delay_alu instid0(VALU_DEP_1)
	v_cmpx_ne_u16_e32 0, v1
	s_cbranch_execz .LBB266_34
; %bb.27:                               ;   in Loop: Header=BB266_13 Depth=1
	v_bfrev_b32_e32 v27, 1
	s_mov_b32 s43, exec_lo
	v_cmpx_ne_u16_e32 0x80, v1
	s_cbranch_execz .LBB266_33
; %bb.28:                               ;   in Loop: Header=BB266_13 Depth=1
	v_and_b32_e32 v29, 0xffff, v1
	v_mov_b32_e32 v27, 0x7c010000
	s_mov_b32 s44, exec_lo
	s_delay_alu instid0(VALU_DEP_2) | instskip(NEXT) | instid1(VALU_DEP_1)
	v_and_b32_e32 v31, 0x7f, v29
	v_cmpx_ne_u32_e32 0x7f, v31
	s_cbranch_execz .LBB266_32
; %bb.29:                               ;   in Loop: Header=BB266_13 Depth=1
	v_and_b32_e32 v27, 7, v29
	v_lshrrev_b32_e32 v30, 3, v31
	s_mov_b32 s45, exec_lo
	v_cmpx_gt_u32_e32 8, v31
; %bb.30:                               ;   in Loop: Header=BB266_13 Depth=1
	s_delay_alu instid0(VALU_DEP_3) | instskip(NEXT) | instid1(VALU_DEP_1)
	v_clz_i32_u32_e32 v27, v27
	v_min_u32_e32 v27, 32, v27
	s_delay_alu instid0(VALU_DEP_1) | instskip(NEXT) | instid1(VALU_DEP_1)
	v_subrev_nc_u32_e32 v30, 28, v27
	v_lshlrev_b64_e32 v[31:32], v30, v[1:2]
	v_sub_nc_u32_e32 v30, 29, v27
	s_delay_alu instid0(VALU_DEP_2)
	v_and_b32_e32 v27, 7, v31
; %bb.31:                               ;   in Loop: Header=BB266_13 Depth=1
	s_or_b32 exec_lo, exec_lo, s45
	v_lshlrev_b32_e32 v1, 8, v29
	s_delay_alu instid0(VALU_DEP_3) | instskip(NEXT) | instid1(VALU_DEP_3)
	v_lshl_add_u32 v29, v30, 10, 0x2000
	v_lshlrev_b32_e32 v27, 23, v27
	s_delay_alu instid0(VALU_DEP_2) | instskip(NEXT) | instid1(VALU_DEP_1)
	v_and_or_b32 v1, 0x8000, v1, v29
	v_lshl_or_b32 v27, v1, 16, v27
.LBB266_32:                             ;   in Loop: Header=BB266_13 Depth=1
	s_or_b32 exec_lo, exec_lo, s44
.LBB266_33:                             ;   in Loop: Header=BB266_13 Depth=1
	s_wait_alu 0xfffe
	s_or_b32 exec_lo, exec_lo, s43
.LBB266_34:                             ;   in Loop: Header=BB266_13 Depth=1
	s_wait_alu 0xfffe
	s_or_b32 exec_lo, exec_lo, s42
	v_lshrrev_b32_e32 v1, 16, v9
	v_mov_b32_e32 v29, 0
	s_mov_b32 s42, exec_lo
	s_delay_alu instid0(VALU_DEP_2) | instskip(NEXT) | instid1(VALU_DEP_1)
	v_dual_mov_b32 v30, 0 :: v_dual_and_b32 v31, 0xff, v1
	v_cmpx_ne_u16_e32 0, v31
	s_cbranch_execz .LBB266_42
; %bb.35:                               ;   in Loop: Header=BB266_13 Depth=1
	v_mov_b32_e32 v30, 0x8000
	s_mov_b32 s43, exec_lo
	v_cmpx_ne_u16_e32 0x80, v31
	s_cbranch_execz .LBB266_41
; %bb.36:                               ;   in Loop: Header=BB266_13 Depth=1
	v_bfe_u32 v32, v9, 16, 7
	v_mov_b32_e32 v30, 0x7c01
	s_mov_b32 s44, exec_lo
	s_delay_alu instid0(VALU_DEP_2)
	v_cmpx_ne_u32_e32 0x7f, v32
	s_cbranch_execz .LBB266_40
; %bb.37:                               ;   in Loop: Header=BB266_13 Depth=1
	v_and_b32_e32 v30, 7, v1
	v_lshrrev_b32_e32 v31, 3, v32
	s_mov_b32 s45, exec_lo
	v_cmpx_gt_u32_e32 8, v32
; %bb.38:                               ;   in Loop: Header=BB266_13 Depth=1
	s_delay_alu instid0(VALU_DEP_3) | instskip(NEXT) | instid1(VALU_DEP_1)
	v_clz_i32_u32_e32 v30, v30
	v_min_u32_e32 v32, 32, v30
	s_delay_alu instid0(VALU_DEP_1) | instskip(NEXT) | instid1(VALU_DEP_1)
	v_subrev_nc_u32_e32 v30, 28, v32
	v_lshlrev_b64_e32 v[30:31], v30, v[1:2]
	v_sub_nc_u32_e32 v31, 29, v32
	s_delay_alu instid0(VALU_DEP_2)
	v_and_b32_e32 v30, 7, v30
; %bb.39:                               ;   in Loop: Header=BB266_13 Depth=1
	s_or_b32 exec_lo, exec_lo, s45
	v_lshlrev_b32_e32 v1, 8, v1
	s_delay_alu instid0(VALU_DEP_3) | instskip(NEXT) | instid1(VALU_DEP_3)
	v_lshl_add_u32 v31, v31, 10, 0x2000
	v_lshlrev_b32_e32 v30, 7, v30
	s_delay_alu instid0(VALU_DEP_3) | instskip(NEXT) | instid1(VALU_DEP_3)
	v_and_b32_e32 v1, 0x8000, v1
	v_and_b32_e32 v31, 0xfc00, v31
	s_delay_alu instid0(VALU_DEP_1)
	v_or3_b32 v30, v1, v31, v30
.LBB266_40:                             ;   in Loop: Header=BB266_13 Depth=1
	s_or_b32 exec_lo, exec_lo, s44
.LBB266_41:                             ;   in Loop: Header=BB266_13 Depth=1
	s_wait_alu 0xfffe
	s_or_b32 exec_lo, exec_lo, s43
.LBB266_42:                             ;   in Loop: Header=BB266_13 Depth=1
	s_wait_alu 0xfffe
	s_or_b32 exec_lo, exec_lo, s42
	s_delay_alu instid0(SALU_CYCLE_1)
	s_mov_b32 s42, exec_lo
	v_cmpx_lt_u32_e32 0xffffff, v9
	s_cbranch_execz .LBB266_50
; %bb.43:                               ;   in Loop: Header=BB266_13 Depth=1
	v_lshrrev_b32_e32 v1, 24, v9
	v_bfrev_b32_e32 v29, 1
	s_mov_b32 s43, exec_lo
	s_delay_alu instid0(VALU_DEP_2)
	v_cmpx_ne_u32_e32 0x80, v1
	s_cbranch_execz .LBB266_49
; %bb.44:                               ;   in Loop: Header=BB266_13 Depth=1
	v_and_b32_e32 v31, 0x7f, v1
	v_mov_b32_e32 v29, 0x7c010000
	s_mov_b32 s44, exec_lo
	s_delay_alu instid0(VALU_DEP_2)
	v_cmpx_ne_u32_e32 0x7f, v31
	s_cbranch_execz .LBB266_48
; %bb.45:                               ;   in Loop: Header=BB266_13 Depth=1
	v_and_b32_e32 v9, 7, v1
	v_lshrrev_b32_e32 v29, 3, v31
	s_mov_b32 s45, exec_lo
	v_cmpx_gt_u32_e32 8, v31
; %bb.46:                               ;   in Loop: Header=BB266_13 Depth=1
	s_delay_alu instid0(VALU_DEP_3) | instskip(NEXT) | instid1(VALU_DEP_1)
	v_clz_i32_u32_e32 v9, v9
	v_min_u32_e32 v9, 32, v9
	s_delay_alu instid0(VALU_DEP_1) | instskip(NEXT) | instid1(VALU_DEP_1)
	v_subrev_nc_u32_e32 v29, 28, v9
	v_lshlrev_b64_e32 v[31:32], v29, v[1:2]
	v_sub_nc_u32_e32 v29, 29, v9
	s_delay_alu instid0(VALU_DEP_2)
	v_and_b32_e32 v9, 7, v31
; %bb.47:                               ;   in Loop: Header=BB266_13 Depth=1
	s_or_b32 exec_lo, exec_lo, s45
	v_lshlrev_b32_e32 v1, 8, v1
	s_delay_alu instid0(VALU_DEP_3) | instskip(NEXT) | instid1(VALU_DEP_3)
	v_lshl_add_u32 v29, v29, 10, 0x2000
	v_lshlrev_b32_e32 v9, 23, v9
	s_delay_alu instid0(VALU_DEP_2) | instskip(NEXT) | instid1(VALU_DEP_1)
	v_and_or_b32 v1, 0x8000, v1, v29
	v_lshl_or_b32 v29, v1, 16, v9
.LBB266_48:                             ;   in Loop: Header=BB266_13 Depth=1
	s_or_b32 exec_lo, exec_lo, s44
.LBB266_49:                             ;   in Loop: Header=BB266_13 Depth=1
	s_wait_alu 0xfffe
	s_or_b32 exec_lo, exec_lo, s43
.LBB266_50:                             ;   in Loop: Header=BB266_13 Depth=1
	s_wait_alu 0xfffe
	s_or_b32 exec_lo, exec_lo, s42
	global_load_b32 v9, v[7:8], off offset:8
	v_mov_b32_e32 v31, 0
	s_mov_b32 s42, exec_lo
	s_wait_loadcnt 0x0
	v_dual_mov_b32 v32, 0 :: v_dual_and_b32 v1, 0xff, v9
	s_delay_alu instid0(VALU_DEP_1)
	v_cmpx_ne_u16_e32 0, v1
	s_cbranch_execz .LBB266_58
; %bb.51:                               ;   in Loop: Header=BB266_13 Depth=1
	v_mov_b32_e32 v32, 0x8000
	s_mov_b32 s43, exec_lo
	v_cmpx_ne_u16_e32 0x80, v1
	s_cbranch_execz .LBB266_57
; %bb.52:                               ;   in Loop: Header=BB266_13 Depth=1
	v_and_b32_e32 v33, 0x7f, v9
	v_mov_b32_e32 v32, 0x7c01
	s_mov_b32 s44, exec_lo
	s_delay_alu instid0(VALU_DEP_2)
	v_cmpx_ne_u32_e32 0x7f, v33
	s_cbranch_execz .LBB266_56
; %bb.53:                               ;   in Loop: Header=BB266_13 Depth=1
	v_and_b32_e32 v1, 7, v9
	v_lshrrev_b32_e32 v32, 3, v33
	s_mov_b32 s45, exec_lo
	v_cmpx_gt_u32_e32 8, v33
; %bb.54:                               ;   in Loop: Header=BB266_13 Depth=1
	s_delay_alu instid0(VALU_DEP_3) | instskip(NEXT) | instid1(VALU_DEP_1)
	v_clz_i32_u32_e32 v1, v1
	v_min_u32_e32 v1, 32, v1
	s_delay_alu instid0(VALU_DEP_1) | instskip(NEXT) | instid1(VALU_DEP_1)
	v_subrev_nc_u32_e32 v32, 28, v1
	v_lshlrev_b64_e32 v[33:34], v32, v[9:10]
	v_sub_nc_u32_e32 v32, 29, v1
	s_delay_alu instid0(VALU_DEP_2)
	v_and_b32_e32 v1, 7, v33
; %bb.55:                               ;   in Loop: Header=BB266_13 Depth=1
	s_or_b32 exec_lo, exec_lo, s45
	v_lshlrev_b32_e32 v33, 8, v9
	s_delay_alu instid0(VALU_DEP_3) | instskip(NEXT) | instid1(VALU_DEP_3)
	v_lshl_add_u32 v32, v32, 10, 0x2000
	v_lshlrev_b32_e32 v1, 7, v1
	s_delay_alu instid0(VALU_DEP_3) | instskip(NEXT) | instid1(VALU_DEP_3)
	v_and_b32_e32 v33, 0x8000, v33
	v_and_b32_e32 v32, 0xfc00, v32
	s_delay_alu instid0(VALU_DEP_1)
	v_or3_b32 v32, v33, v32, v1
.LBB266_56:                             ;   in Loop: Header=BB266_13 Depth=1
	s_or_b32 exec_lo, exec_lo, s44
.LBB266_57:                             ;   in Loop: Header=BB266_13 Depth=1
	s_wait_alu 0xfffe
	s_or_b32 exec_lo, exec_lo, s43
.LBB266_58:                             ;   in Loop: Header=BB266_13 Depth=1
	s_wait_alu 0xfffe
	s_or_b32 exec_lo, exec_lo, s42
	v_lshrrev_b16 v1, 8, v9
	s_mov_b32 s42, exec_lo
	s_delay_alu instid0(VALU_DEP_1)
	v_cmpx_ne_u16_e32 0, v1
	s_cbranch_execz .LBB266_66
; %bb.59:                               ;   in Loop: Header=BB266_13 Depth=1
	v_bfrev_b32_e32 v31, 1
	s_mov_b32 s43, exec_lo
	v_cmpx_ne_u16_e32 0x80, v1
	s_cbranch_execz .LBB266_65
; %bb.60:                               ;   in Loop: Header=BB266_13 Depth=1
	v_and_b32_e32 v33, 0xffff, v1
	v_mov_b32_e32 v31, 0x7c010000
	s_mov_b32 s44, exec_lo
	s_delay_alu instid0(VALU_DEP_2) | instskip(NEXT) | instid1(VALU_DEP_1)
	v_and_b32_e32 v35, 0x7f, v33
	v_cmpx_ne_u32_e32 0x7f, v35
	s_cbranch_execz .LBB266_64
; %bb.61:                               ;   in Loop: Header=BB266_13 Depth=1
	v_and_b32_e32 v31, 7, v33
	v_lshrrev_b32_e32 v34, 3, v35
	s_mov_b32 s45, exec_lo
	v_cmpx_gt_u32_e32 8, v35
; %bb.62:                               ;   in Loop: Header=BB266_13 Depth=1
	s_delay_alu instid0(VALU_DEP_3) | instskip(NEXT) | instid1(VALU_DEP_1)
	v_clz_i32_u32_e32 v31, v31
	v_min_u32_e32 v31, 32, v31
	s_delay_alu instid0(VALU_DEP_1) | instskip(NEXT) | instid1(VALU_DEP_1)
	v_subrev_nc_u32_e32 v34, 28, v31
	v_lshlrev_b64_e32 v[35:36], v34, v[1:2]
	v_sub_nc_u32_e32 v34, 29, v31
	s_delay_alu instid0(VALU_DEP_2)
	v_and_b32_e32 v31, 7, v35
; %bb.63:                               ;   in Loop: Header=BB266_13 Depth=1
	s_or_b32 exec_lo, exec_lo, s45
	v_lshlrev_b32_e32 v1, 8, v33
	s_delay_alu instid0(VALU_DEP_3) | instskip(NEXT) | instid1(VALU_DEP_3)
	v_lshl_add_u32 v33, v34, 10, 0x2000
	v_lshlrev_b32_e32 v31, 23, v31
	s_delay_alu instid0(VALU_DEP_2) | instskip(NEXT) | instid1(VALU_DEP_1)
	v_and_or_b32 v1, 0x8000, v1, v33
	v_lshl_or_b32 v31, v1, 16, v31
.LBB266_64:                             ;   in Loop: Header=BB266_13 Depth=1
	s_or_b32 exec_lo, exec_lo, s44
.LBB266_65:                             ;   in Loop: Header=BB266_13 Depth=1
	s_wait_alu 0xfffe
	s_or_b32 exec_lo, exec_lo, s43
.LBB266_66:                             ;   in Loop: Header=BB266_13 Depth=1
	s_wait_alu 0xfffe
	s_or_b32 exec_lo, exec_lo, s42
	v_lshrrev_b32_e32 v1, 16, v9
	v_mov_b32_e32 v33, 0
	s_mov_b32 s42, exec_lo
	s_delay_alu instid0(VALU_DEP_2) | instskip(NEXT) | instid1(VALU_DEP_1)
	v_dual_mov_b32 v34, 0 :: v_dual_and_b32 v35, 0xff, v1
	v_cmpx_ne_u16_e32 0, v35
	s_cbranch_execz .LBB266_74
; %bb.67:                               ;   in Loop: Header=BB266_13 Depth=1
	v_mov_b32_e32 v34, 0x8000
	s_mov_b32 s43, exec_lo
	v_cmpx_ne_u16_e32 0x80, v35
	s_cbranch_execz .LBB266_73
; %bb.68:                               ;   in Loop: Header=BB266_13 Depth=1
	v_bfe_u32 v36, v9, 16, 7
	v_mov_b32_e32 v34, 0x7c01
	s_mov_b32 s44, exec_lo
	s_delay_alu instid0(VALU_DEP_2)
	v_cmpx_ne_u32_e32 0x7f, v36
	s_cbranch_execz .LBB266_72
; %bb.69:                               ;   in Loop: Header=BB266_13 Depth=1
	v_and_b32_e32 v34, 7, v1
	v_lshrrev_b32_e32 v35, 3, v36
	s_mov_b32 s45, exec_lo
	v_cmpx_gt_u32_e32 8, v36
; %bb.70:                               ;   in Loop: Header=BB266_13 Depth=1
	s_delay_alu instid0(VALU_DEP_3) | instskip(NEXT) | instid1(VALU_DEP_1)
	v_clz_i32_u32_e32 v34, v34
	v_min_u32_e32 v36, 32, v34
	s_delay_alu instid0(VALU_DEP_1) | instskip(NEXT) | instid1(VALU_DEP_1)
	v_subrev_nc_u32_e32 v34, 28, v36
	v_lshlrev_b64_e32 v[34:35], v34, v[1:2]
	v_sub_nc_u32_e32 v35, 29, v36
	s_delay_alu instid0(VALU_DEP_2)
	v_and_b32_e32 v34, 7, v34
; %bb.71:                               ;   in Loop: Header=BB266_13 Depth=1
	s_or_b32 exec_lo, exec_lo, s45
	v_lshlrev_b32_e32 v1, 8, v1
	s_delay_alu instid0(VALU_DEP_3) | instskip(NEXT) | instid1(VALU_DEP_3)
	v_lshl_add_u32 v35, v35, 10, 0x2000
	v_lshlrev_b32_e32 v34, 7, v34
	s_delay_alu instid0(VALU_DEP_3) | instskip(NEXT) | instid1(VALU_DEP_3)
	v_and_b32_e32 v1, 0x8000, v1
	v_and_b32_e32 v35, 0xfc00, v35
	s_delay_alu instid0(VALU_DEP_1)
	v_or3_b32 v34, v1, v35, v34
.LBB266_72:                             ;   in Loop: Header=BB266_13 Depth=1
	s_or_b32 exec_lo, exec_lo, s44
.LBB266_73:                             ;   in Loop: Header=BB266_13 Depth=1
	s_wait_alu 0xfffe
	s_or_b32 exec_lo, exec_lo, s43
.LBB266_74:                             ;   in Loop: Header=BB266_13 Depth=1
	s_wait_alu 0xfffe
	s_or_b32 exec_lo, exec_lo, s42
	s_delay_alu instid0(SALU_CYCLE_1)
	s_mov_b32 s42, exec_lo
	v_cmpx_lt_u32_e32 0xffffff, v9
	s_cbranch_execz .LBB266_82
; %bb.75:                               ;   in Loop: Header=BB266_13 Depth=1
	v_lshrrev_b32_e32 v1, 24, v9
	v_bfrev_b32_e32 v33, 1
	s_mov_b32 s43, exec_lo
	s_delay_alu instid0(VALU_DEP_2)
	v_cmpx_ne_u32_e32 0x80, v1
	s_cbranch_execz .LBB266_81
; %bb.76:                               ;   in Loop: Header=BB266_13 Depth=1
	v_and_b32_e32 v35, 0x7f, v1
	v_mov_b32_e32 v33, 0x7c010000
	s_mov_b32 s44, exec_lo
	s_delay_alu instid0(VALU_DEP_2)
	v_cmpx_ne_u32_e32 0x7f, v35
	s_cbranch_execz .LBB266_80
; %bb.77:                               ;   in Loop: Header=BB266_13 Depth=1
	v_and_b32_e32 v9, 7, v1
	v_lshrrev_b32_e32 v33, 3, v35
	s_mov_b32 s45, exec_lo
	v_cmpx_gt_u32_e32 8, v35
; %bb.78:                               ;   in Loop: Header=BB266_13 Depth=1
	s_delay_alu instid0(VALU_DEP_3) | instskip(NEXT) | instid1(VALU_DEP_1)
	v_clz_i32_u32_e32 v9, v9
	v_min_u32_e32 v9, 32, v9
	s_delay_alu instid0(VALU_DEP_1) | instskip(NEXT) | instid1(VALU_DEP_1)
	v_subrev_nc_u32_e32 v33, 28, v9
	v_lshlrev_b64_e32 v[35:36], v33, v[1:2]
	v_sub_nc_u32_e32 v33, 29, v9
	s_delay_alu instid0(VALU_DEP_2)
	v_and_b32_e32 v9, 7, v35
; %bb.79:                               ;   in Loop: Header=BB266_13 Depth=1
	s_or_b32 exec_lo, exec_lo, s45
	v_lshlrev_b32_e32 v1, 8, v1
	s_delay_alu instid0(VALU_DEP_3) | instskip(NEXT) | instid1(VALU_DEP_3)
	v_lshl_add_u32 v33, v33, 10, 0x2000
	v_lshlrev_b32_e32 v9, 23, v9
	s_delay_alu instid0(VALU_DEP_2) | instskip(NEXT) | instid1(VALU_DEP_1)
	v_and_or_b32 v1, 0x8000, v1, v33
	v_lshl_or_b32 v33, v1, 16, v9
.LBB266_80:                             ;   in Loop: Header=BB266_13 Depth=1
	s_or_b32 exec_lo, exec_lo, s44
.LBB266_81:                             ;   in Loop: Header=BB266_13 Depth=1
	s_wait_alu 0xfffe
	s_or_b32 exec_lo, exec_lo, s43
.LBB266_82:                             ;   in Loop: Header=BB266_13 Depth=1
	s_wait_alu 0xfffe
	s_or_b32 exec_lo, exec_lo, s42
	global_load_b32 v9, v[7:8], off offset:256
	v_mov_b32_e32 v35, 0
	s_mov_b32 s42, exec_lo
	s_wait_loadcnt 0x0
	v_dual_mov_b32 v36, 0 :: v_dual_and_b32 v1, 0xff, v9
	s_delay_alu instid0(VALU_DEP_1)
	v_cmpx_ne_u16_e32 0, v1
	s_cbranch_execz .LBB266_90
; %bb.83:                               ;   in Loop: Header=BB266_13 Depth=1
	v_mov_b32_e32 v36, 0x8000
	s_mov_b32 s43, exec_lo
	v_cmpx_ne_u16_e32 0x80, v1
	s_cbranch_execz .LBB266_89
; %bb.84:                               ;   in Loop: Header=BB266_13 Depth=1
	v_and_b32_e32 v37, 0x7f, v9
	v_mov_b32_e32 v36, 0x7c01
	s_mov_b32 s44, exec_lo
	s_delay_alu instid0(VALU_DEP_2)
	v_cmpx_ne_u32_e32 0x7f, v37
	s_cbranch_execz .LBB266_88
; %bb.85:                               ;   in Loop: Header=BB266_13 Depth=1
	v_and_b32_e32 v1, 7, v9
	v_lshrrev_b32_e32 v36, 3, v37
	s_mov_b32 s45, exec_lo
	v_cmpx_gt_u32_e32 8, v37
; %bb.86:                               ;   in Loop: Header=BB266_13 Depth=1
	s_delay_alu instid0(VALU_DEP_3) | instskip(NEXT) | instid1(VALU_DEP_1)
	v_clz_i32_u32_e32 v1, v1
	v_min_u32_e32 v1, 32, v1
	s_delay_alu instid0(VALU_DEP_1) | instskip(NEXT) | instid1(VALU_DEP_1)
	v_subrev_nc_u32_e32 v36, 28, v1
	v_lshlrev_b64_e32 v[37:38], v36, v[9:10]
	v_sub_nc_u32_e32 v36, 29, v1
	s_delay_alu instid0(VALU_DEP_2)
	v_and_b32_e32 v1, 7, v37
; %bb.87:                               ;   in Loop: Header=BB266_13 Depth=1
	s_or_b32 exec_lo, exec_lo, s45
	v_lshlrev_b32_e32 v37, 8, v9
	s_delay_alu instid0(VALU_DEP_3) | instskip(NEXT) | instid1(VALU_DEP_3)
	v_lshl_add_u32 v36, v36, 10, 0x2000
	v_lshlrev_b32_e32 v1, 7, v1
	s_delay_alu instid0(VALU_DEP_3) | instskip(NEXT) | instid1(VALU_DEP_3)
	v_and_b32_e32 v37, 0x8000, v37
	v_and_b32_e32 v36, 0xfc00, v36
	s_delay_alu instid0(VALU_DEP_1)
	v_or3_b32 v36, v37, v36, v1
.LBB266_88:                             ;   in Loop: Header=BB266_13 Depth=1
	s_or_b32 exec_lo, exec_lo, s44
.LBB266_89:                             ;   in Loop: Header=BB266_13 Depth=1
	s_wait_alu 0xfffe
	s_or_b32 exec_lo, exec_lo, s43
.LBB266_90:                             ;   in Loop: Header=BB266_13 Depth=1
	s_wait_alu 0xfffe
	s_or_b32 exec_lo, exec_lo, s42
	v_lshrrev_b16 v1, 8, v9
	s_mov_b32 s42, exec_lo
	s_delay_alu instid0(VALU_DEP_1)
	v_cmpx_ne_u16_e32 0, v1
	s_cbranch_execz .LBB266_98
; %bb.91:                               ;   in Loop: Header=BB266_13 Depth=1
	v_bfrev_b32_e32 v35, 1
	s_mov_b32 s43, exec_lo
	v_cmpx_ne_u16_e32 0x80, v1
	s_cbranch_execz .LBB266_97
; %bb.92:                               ;   in Loop: Header=BB266_13 Depth=1
	v_and_b32_e32 v37, 0xffff, v1
	v_mov_b32_e32 v35, 0x7c010000
	s_mov_b32 s44, exec_lo
	s_delay_alu instid0(VALU_DEP_2) | instskip(NEXT) | instid1(VALU_DEP_1)
	v_and_b32_e32 v39, 0x7f, v37
	v_cmpx_ne_u32_e32 0x7f, v39
	s_cbranch_execz .LBB266_96
; %bb.93:                               ;   in Loop: Header=BB266_13 Depth=1
	v_and_b32_e32 v35, 7, v37
	v_lshrrev_b32_e32 v38, 3, v39
	s_mov_b32 s45, exec_lo
	v_cmpx_gt_u32_e32 8, v39
; %bb.94:                               ;   in Loop: Header=BB266_13 Depth=1
	s_delay_alu instid0(VALU_DEP_3) | instskip(NEXT) | instid1(VALU_DEP_1)
	v_clz_i32_u32_e32 v35, v35
	v_min_u32_e32 v35, 32, v35
	s_delay_alu instid0(VALU_DEP_1) | instskip(NEXT) | instid1(VALU_DEP_1)
	v_subrev_nc_u32_e32 v38, 28, v35
	v_lshlrev_b64_e32 v[39:40], v38, v[1:2]
	v_sub_nc_u32_e32 v38, 29, v35
	s_delay_alu instid0(VALU_DEP_2)
	v_and_b32_e32 v35, 7, v39
; %bb.95:                               ;   in Loop: Header=BB266_13 Depth=1
	s_or_b32 exec_lo, exec_lo, s45
	v_lshlrev_b32_e32 v1, 8, v37
	s_delay_alu instid0(VALU_DEP_3) | instskip(NEXT) | instid1(VALU_DEP_3)
	v_lshl_add_u32 v37, v38, 10, 0x2000
	v_lshlrev_b32_e32 v35, 23, v35
	s_delay_alu instid0(VALU_DEP_2) | instskip(NEXT) | instid1(VALU_DEP_1)
	v_and_or_b32 v1, 0x8000, v1, v37
	v_lshl_or_b32 v35, v1, 16, v35
.LBB266_96:                             ;   in Loop: Header=BB266_13 Depth=1
	s_or_b32 exec_lo, exec_lo, s44
.LBB266_97:                             ;   in Loop: Header=BB266_13 Depth=1
	s_wait_alu 0xfffe
	s_or_b32 exec_lo, exec_lo, s43
.LBB266_98:                             ;   in Loop: Header=BB266_13 Depth=1
	s_wait_alu 0xfffe
	s_or_b32 exec_lo, exec_lo, s42
	v_lshrrev_b32_e32 v1, 16, v9
	v_mov_b32_e32 v37, 0
	s_mov_b32 s42, exec_lo
	s_delay_alu instid0(VALU_DEP_2) | instskip(NEXT) | instid1(VALU_DEP_1)
	v_dual_mov_b32 v38, 0 :: v_dual_and_b32 v39, 0xff, v1
	v_cmpx_ne_u16_e32 0, v39
	s_cbranch_execz .LBB266_106
; %bb.99:                               ;   in Loop: Header=BB266_13 Depth=1
	v_mov_b32_e32 v38, 0x8000
	s_mov_b32 s43, exec_lo
	v_cmpx_ne_u16_e32 0x80, v39
	s_cbranch_execz .LBB266_105
; %bb.100:                              ;   in Loop: Header=BB266_13 Depth=1
	v_bfe_u32 v40, v9, 16, 7
	v_mov_b32_e32 v38, 0x7c01
	s_mov_b32 s44, exec_lo
	s_delay_alu instid0(VALU_DEP_2)
	v_cmpx_ne_u32_e32 0x7f, v40
	s_cbranch_execz .LBB266_104
; %bb.101:                              ;   in Loop: Header=BB266_13 Depth=1
	v_and_b32_e32 v38, 7, v1
	v_lshrrev_b32_e32 v39, 3, v40
	s_mov_b32 s45, exec_lo
	v_cmpx_gt_u32_e32 8, v40
; %bb.102:                              ;   in Loop: Header=BB266_13 Depth=1
	s_delay_alu instid0(VALU_DEP_3) | instskip(NEXT) | instid1(VALU_DEP_1)
	v_clz_i32_u32_e32 v38, v38
	v_min_u32_e32 v40, 32, v38
	s_delay_alu instid0(VALU_DEP_1) | instskip(NEXT) | instid1(VALU_DEP_1)
	v_subrev_nc_u32_e32 v38, 28, v40
	v_lshlrev_b64_e32 v[38:39], v38, v[1:2]
	v_sub_nc_u32_e32 v39, 29, v40
	s_delay_alu instid0(VALU_DEP_2)
	v_and_b32_e32 v38, 7, v38
; %bb.103:                              ;   in Loop: Header=BB266_13 Depth=1
	s_or_b32 exec_lo, exec_lo, s45
	v_lshlrev_b32_e32 v1, 8, v1
	s_delay_alu instid0(VALU_DEP_3) | instskip(NEXT) | instid1(VALU_DEP_3)
	v_lshl_add_u32 v39, v39, 10, 0x2000
	v_lshlrev_b32_e32 v38, 7, v38
	s_delay_alu instid0(VALU_DEP_3) | instskip(NEXT) | instid1(VALU_DEP_3)
	v_and_b32_e32 v1, 0x8000, v1
	v_and_b32_e32 v39, 0xfc00, v39
	s_delay_alu instid0(VALU_DEP_1)
	v_or3_b32 v38, v1, v39, v38
.LBB266_104:                            ;   in Loop: Header=BB266_13 Depth=1
	s_or_b32 exec_lo, exec_lo, s44
.LBB266_105:                            ;   in Loop: Header=BB266_13 Depth=1
	s_wait_alu 0xfffe
	s_or_b32 exec_lo, exec_lo, s43
.LBB266_106:                            ;   in Loop: Header=BB266_13 Depth=1
	s_wait_alu 0xfffe
	s_or_b32 exec_lo, exec_lo, s42
	s_delay_alu instid0(SALU_CYCLE_1)
	s_mov_b32 s42, exec_lo
	v_cmpx_lt_u32_e32 0xffffff, v9
	s_cbranch_execz .LBB266_114
; %bb.107:                              ;   in Loop: Header=BB266_13 Depth=1
	v_lshrrev_b32_e32 v1, 24, v9
	v_bfrev_b32_e32 v37, 1
	s_mov_b32 s43, exec_lo
	s_delay_alu instid0(VALU_DEP_2)
	v_cmpx_ne_u32_e32 0x80, v1
	s_cbranch_execz .LBB266_113
; %bb.108:                              ;   in Loop: Header=BB266_13 Depth=1
	v_and_b32_e32 v39, 0x7f, v1
	v_mov_b32_e32 v37, 0x7c010000
	s_mov_b32 s44, exec_lo
	s_delay_alu instid0(VALU_DEP_2)
	v_cmpx_ne_u32_e32 0x7f, v39
	s_cbranch_execz .LBB266_112
; %bb.109:                              ;   in Loop: Header=BB266_13 Depth=1
	v_and_b32_e32 v9, 7, v1
	v_lshrrev_b32_e32 v37, 3, v39
	s_mov_b32 s45, exec_lo
	v_cmpx_gt_u32_e32 8, v39
; %bb.110:                              ;   in Loop: Header=BB266_13 Depth=1
	s_delay_alu instid0(VALU_DEP_3) | instskip(NEXT) | instid1(VALU_DEP_1)
	v_clz_i32_u32_e32 v9, v9
	v_min_u32_e32 v9, 32, v9
	s_delay_alu instid0(VALU_DEP_1) | instskip(NEXT) | instid1(VALU_DEP_1)
	v_subrev_nc_u32_e32 v37, 28, v9
	v_lshlrev_b64_e32 v[39:40], v37, v[1:2]
	v_sub_nc_u32_e32 v37, 29, v9
	s_delay_alu instid0(VALU_DEP_2)
	v_and_b32_e32 v9, 7, v39
; %bb.111:                              ;   in Loop: Header=BB266_13 Depth=1
	s_or_b32 exec_lo, exec_lo, s45
	v_lshlrev_b32_e32 v1, 8, v1
	s_delay_alu instid0(VALU_DEP_3) | instskip(NEXT) | instid1(VALU_DEP_3)
	v_lshl_add_u32 v37, v37, 10, 0x2000
	v_lshlrev_b32_e32 v9, 23, v9
	s_delay_alu instid0(VALU_DEP_2) | instskip(NEXT) | instid1(VALU_DEP_1)
	v_and_or_b32 v1, 0x8000, v1, v37
	v_lshl_or_b32 v37, v1, 16, v9
.LBB266_112:                            ;   in Loop: Header=BB266_13 Depth=1
	s_or_b32 exec_lo, exec_lo, s44
.LBB266_113:                            ;   in Loop: Header=BB266_13 Depth=1
	s_wait_alu 0xfffe
	s_or_b32 exec_lo, exec_lo, s43
.LBB266_114:                            ;   in Loop: Header=BB266_13 Depth=1
	s_wait_alu 0xfffe
	s_or_b32 exec_lo, exec_lo, s42
	global_load_b32 v9, v[7:8], off offset:264
	v_mov_b32_e32 v39, 0
	s_mov_b32 s42, exec_lo
	s_wait_loadcnt 0x0
	v_dual_mov_b32 v40, 0 :: v_dual_and_b32 v1, 0xff, v9
	s_delay_alu instid0(VALU_DEP_1)
	v_cmpx_ne_u16_e32 0, v1
	s_cbranch_execz .LBB266_122
; %bb.115:                              ;   in Loop: Header=BB266_13 Depth=1
	v_mov_b32_e32 v40, 0x8000
	s_mov_b32 s43, exec_lo
	v_cmpx_ne_u16_e32 0x80, v1
	s_cbranch_execz .LBB266_121
; %bb.116:                              ;   in Loop: Header=BB266_13 Depth=1
	v_and_b32_e32 v41, 0x7f, v9
	v_mov_b32_e32 v40, 0x7c01
	s_mov_b32 s44, exec_lo
	s_delay_alu instid0(VALU_DEP_2)
	v_cmpx_ne_u32_e32 0x7f, v41
	s_cbranch_execz .LBB266_120
; %bb.117:                              ;   in Loop: Header=BB266_13 Depth=1
	v_and_b32_e32 v1, 7, v9
	v_lshrrev_b32_e32 v40, 3, v41
	s_mov_b32 s45, exec_lo
	v_cmpx_gt_u32_e32 8, v41
; %bb.118:                              ;   in Loop: Header=BB266_13 Depth=1
	s_delay_alu instid0(VALU_DEP_3) | instskip(NEXT) | instid1(VALU_DEP_1)
	v_clz_i32_u32_e32 v1, v1
	v_min_u32_e32 v1, 32, v1
	s_delay_alu instid0(VALU_DEP_1) | instskip(NEXT) | instid1(VALU_DEP_1)
	v_subrev_nc_u32_e32 v40, 28, v1
	v_lshlrev_b64_e32 v[41:42], v40, v[9:10]
	v_sub_nc_u32_e32 v40, 29, v1
	s_delay_alu instid0(VALU_DEP_2)
	v_and_b32_e32 v1, 7, v41
; %bb.119:                              ;   in Loop: Header=BB266_13 Depth=1
	s_or_b32 exec_lo, exec_lo, s45
	v_lshlrev_b32_e32 v41, 8, v9
	s_delay_alu instid0(VALU_DEP_3) | instskip(NEXT) | instid1(VALU_DEP_3)
	v_lshl_add_u32 v40, v40, 10, 0x2000
	v_lshlrev_b32_e32 v1, 7, v1
	s_delay_alu instid0(VALU_DEP_3) | instskip(NEXT) | instid1(VALU_DEP_3)
	v_and_b32_e32 v41, 0x8000, v41
	v_and_b32_e32 v40, 0xfc00, v40
	s_delay_alu instid0(VALU_DEP_1)
	v_or3_b32 v40, v41, v40, v1
.LBB266_120:                            ;   in Loop: Header=BB266_13 Depth=1
	s_or_b32 exec_lo, exec_lo, s44
.LBB266_121:                            ;   in Loop: Header=BB266_13 Depth=1
	s_wait_alu 0xfffe
	s_or_b32 exec_lo, exec_lo, s43
.LBB266_122:                            ;   in Loop: Header=BB266_13 Depth=1
	s_wait_alu 0xfffe
	s_or_b32 exec_lo, exec_lo, s42
	v_lshrrev_b16 v1, 8, v9
	s_mov_b32 s42, exec_lo
	s_delay_alu instid0(VALU_DEP_1)
	v_cmpx_ne_u16_e32 0, v1
	s_cbranch_execz .LBB266_130
; %bb.123:                              ;   in Loop: Header=BB266_13 Depth=1
	v_bfrev_b32_e32 v39, 1
	s_mov_b32 s43, exec_lo
	v_cmpx_ne_u16_e32 0x80, v1
	s_cbranch_execz .LBB266_129
; %bb.124:                              ;   in Loop: Header=BB266_13 Depth=1
	v_and_b32_e32 v41, 0xffff, v1
	v_mov_b32_e32 v39, 0x7c010000
	s_mov_b32 s44, exec_lo
	s_delay_alu instid0(VALU_DEP_2) | instskip(NEXT) | instid1(VALU_DEP_1)
	v_and_b32_e32 v43, 0x7f, v41
	v_cmpx_ne_u32_e32 0x7f, v43
	s_cbranch_execz .LBB266_128
; %bb.125:                              ;   in Loop: Header=BB266_13 Depth=1
	v_and_b32_e32 v39, 7, v41
	v_lshrrev_b32_e32 v42, 3, v43
	s_mov_b32 s45, exec_lo
	v_cmpx_gt_u32_e32 8, v43
; %bb.126:                              ;   in Loop: Header=BB266_13 Depth=1
	s_delay_alu instid0(VALU_DEP_3) | instskip(NEXT) | instid1(VALU_DEP_1)
	v_clz_i32_u32_e32 v39, v39
	v_min_u32_e32 v39, 32, v39
	s_delay_alu instid0(VALU_DEP_1) | instskip(NEXT) | instid1(VALU_DEP_1)
	v_subrev_nc_u32_e32 v42, 28, v39
	v_lshlrev_b64_e32 v[43:44], v42, v[1:2]
	v_sub_nc_u32_e32 v42, 29, v39
	s_delay_alu instid0(VALU_DEP_2)
	v_and_b32_e32 v39, 7, v43
; %bb.127:                              ;   in Loop: Header=BB266_13 Depth=1
	s_or_b32 exec_lo, exec_lo, s45
	v_lshlrev_b32_e32 v1, 8, v41
	s_delay_alu instid0(VALU_DEP_3) | instskip(NEXT) | instid1(VALU_DEP_3)
	v_lshl_add_u32 v41, v42, 10, 0x2000
	v_lshlrev_b32_e32 v39, 23, v39
	s_delay_alu instid0(VALU_DEP_2) | instskip(NEXT) | instid1(VALU_DEP_1)
	v_and_or_b32 v1, 0x8000, v1, v41
	v_lshl_or_b32 v39, v1, 16, v39
.LBB266_128:                            ;   in Loop: Header=BB266_13 Depth=1
	s_or_b32 exec_lo, exec_lo, s44
.LBB266_129:                            ;   in Loop: Header=BB266_13 Depth=1
	s_wait_alu 0xfffe
	s_or_b32 exec_lo, exec_lo, s43
.LBB266_130:                            ;   in Loop: Header=BB266_13 Depth=1
	s_wait_alu 0xfffe
	s_or_b32 exec_lo, exec_lo, s42
	v_lshrrev_b32_e32 v1, 16, v9
	v_mov_b32_e32 v41, 0
	s_mov_b32 s42, exec_lo
	s_delay_alu instid0(VALU_DEP_2) | instskip(NEXT) | instid1(VALU_DEP_1)
	v_dual_mov_b32 v42, 0 :: v_dual_and_b32 v43, 0xff, v1
	v_cmpx_ne_u16_e32 0, v43
	s_cbranch_execz .LBB266_138
; %bb.131:                              ;   in Loop: Header=BB266_13 Depth=1
	v_mov_b32_e32 v42, 0x8000
	s_mov_b32 s43, exec_lo
	v_cmpx_ne_u16_e32 0x80, v43
	s_cbranch_execz .LBB266_137
; %bb.132:                              ;   in Loop: Header=BB266_13 Depth=1
	v_bfe_u32 v44, v9, 16, 7
	v_mov_b32_e32 v42, 0x7c01
	s_mov_b32 s44, exec_lo
	s_delay_alu instid0(VALU_DEP_2)
	v_cmpx_ne_u32_e32 0x7f, v44
	s_cbranch_execz .LBB266_136
; %bb.133:                              ;   in Loop: Header=BB266_13 Depth=1
	v_and_b32_e32 v42, 7, v1
	v_lshrrev_b32_e32 v43, 3, v44
	s_mov_b32 s45, exec_lo
	v_cmpx_gt_u32_e32 8, v44
; %bb.134:                              ;   in Loop: Header=BB266_13 Depth=1
	s_delay_alu instid0(VALU_DEP_3) | instskip(NEXT) | instid1(VALU_DEP_1)
	v_clz_i32_u32_e32 v42, v42
	v_min_u32_e32 v44, 32, v42
	s_delay_alu instid0(VALU_DEP_1) | instskip(NEXT) | instid1(VALU_DEP_1)
	v_subrev_nc_u32_e32 v42, 28, v44
	v_lshlrev_b64_e32 v[42:43], v42, v[1:2]
	v_sub_nc_u32_e32 v43, 29, v44
	s_delay_alu instid0(VALU_DEP_2)
	v_and_b32_e32 v42, 7, v42
; %bb.135:                              ;   in Loop: Header=BB266_13 Depth=1
	s_or_b32 exec_lo, exec_lo, s45
	v_lshlrev_b32_e32 v1, 8, v1
	s_delay_alu instid0(VALU_DEP_3) | instskip(NEXT) | instid1(VALU_DEP_3)
	v_lshl_add_u32 v43, v43, 10, 0x2000
	v_lshlrev_b32_e32 v42, 7, v42
	s_delay_alu instid0(VALU_DEP_3) | instskip(NEXT) | instid1(VALU_DEP_3)
	v_and_b32_e32 v1, 0x8000, v1
	v_and_b32_e32 v43, 0xfc00, v43
	s_delay_alu instid0(VALU_DEP_1)
	v_or3_b32 v42, v1, v43, v42
.LBB266_136:                            ;   in Loop: Header=BB266_13 Depth=1
	s_or_b32 exec_lo, exec_lo, s44
.LBB266_137:                            ;   in Loop: Header=BB266_13 Depth=1
	s_wait_alu 0xfffe
	s_or_b32 exec_lo, exec_lo, s43
.LBB266_138:                            ;   in Loop: Header=BB266_13 Depth=1
	s_wait_alu 0xfffe
	s_or_b32 exec_lo, exec_lo, s42
	s_delay_alu instid0(SALU_CYCLE_1)
	s_mov_b32 s42, exec_lo
	v_cmpx_lt_u32_e32 0xffffff, v9
	s_cbranch_execz .LBB266_146
; %bb.139:                              ;   in Loop: Header=BB266_13 Depth=1
	v_lshrrev_b32_e32 v1, 24, v9
	v_bfrev_b32_e32 v41, 1
	s_mov_b32 s43, exec_lo
	s_delay_alu instid0(VALU_DEP_2)
	v_cmpx_ne_u32_e32 0x80, v1
	s_cbranch_execz .LBB266_145
; %bb.140:                              ;   in Loop: Header=BB266_13 Depth=1
	v_and_b32_e32 v43, 0x7f, v1
	v_mov_b32_e32 v41, 0x7c010000
	s_mov_b32 s44, exec_lo
	s_delay_alu instid0(VALU_DEP_2)
	v_cmpx_ne_u32_e32 0x7f, v43
	s_cbranch_execz .LBB266_144
; %bb.141:                              ;   in Loop: Header=BB266_13 Depth=1
	v_and_b32_e32 v9, 7, v1
	v_lshrrev_b32_e32 v41, 3, v43
	s_mov_b32 s45, exec_lo
	v_cmpx_gt_u32_e32 8, v43
; %bb.142:                              ;   in Loop: Header=BB266_13 Depth=1
	s_delay_alu instid0(VALU_DEP_3) | instskip(NEXT) | instid1(VALU_DEP_1)
	v_clz_i32_u32_e32 v9, v9
	v_min_u32_e32 v9, 32, v9
	s_delay_alu instid0(VALU_DEP_1) | instskip(NEXT) | instid1(VALU_DEP_1)
	v_subrev_nc_u32_e32 v41, 28, v9
	v_lshlrev_b64_e32 v[43:44], v41, v[1:2]
	v_sub_nc_u32_e32 v41, 29, v9
	s_delay_alu instid0(VALU_DEP_2)
	v_and_b32_e32 v9, 7, v43
; %bb.143:                              ;   in Loop: Header=BB266_13 Depth=1
	s_or_b32 exec_lo, exec_lo, s45
	v_lshlrev_b32_e32 v1, 8, v1
	s_delay_alu instid0(VALU_DEP_3) | instskip(NEXT) | instid1(VALU_DEP_3)
	v_lshl_add_u32 v41, v41, 10, 0x2000
	v_lshlrev_b32_e32 v9, 23, v9
	s_delay_alu instid0(VALU_DEP_2) | instskip(NEXT) | instid1(VALU_DEP_1)
	v_and_or_b32 v1, 0x8000, v1, v41
	v_lshl_or_b32 v41, v1, 16, v9
.LBB266_144:                            ;   in Loop: Header=BB266_13 Depth=1
	s_or_b32 exec_lo, exec_lo, s44
.LBB266_145:                            ;   in Loop: Header=BB266_13 Depth=1
	s_wait_alu 0xfffe
	s_or_b32 exec_lo, exec_lo, s43
.LBB266_146:                            ;   in Loop: Header=BB266_13 Depth=1
	s_wait_alu 0xfffe
	s_or_b32 exec_lo, exec_lo, s42
	global_load_b32 v9, v[7:8], off offset:512
	v_mov_b32_e32 v43, 0
	s_mov_b32 s42, exec_lo
	s_wait_loadcnt 0x0
	v_dual_mov_b32 v44, 0 :: v_dual_and_b32 v1, 0xff, v9
	s_delay_alu instid0(VALU_DEP_1)
	v_cmpx_ne_u16_e32 0, v1
	s_cbranch_execz .LBB266_154
; %bb.147:                              ;   in Loop: Header=BB266_13 Depth=1
	v_mov_b32_e32 v44, 0x8000
	s_mov_b32 s43, exec_lo
	v_cmpx_ne_u16_e32 0x80, v1
	s_cbranch_execz .LBB266_153
; %bb.148:                              ;   in Loop: Header=BB266_13 Depth=1
	v_and_b32_e32 v45, 0x7f, v9
	v_mov_b32_e32 v44, 0x7c01
	s_mov_b32 s44, exec_lo
	s_delay_alu instid0(VALU_DEP_2)
	v_cmpx_ne_u32_e32 0x7f, v45
	s_cbranch_execz .LBB266_152
; %bb.149:                              ;   in Loop: Header=BB266_13 Depth=1
	v_and_b32_e32 v1, 7, v9
	v_lshrrev_b32_e32 v44, 3, v45
	s_mov_b32 s45, exec_lo
	v_cmpx_gt_u32_e32 8, v45
; %bb.150:                              ;   in Loop: Header=BB266_13 Depth=1
	s_delay_alu instid0(VALU_DEP_3) | instskip(NEXT) | instid1(VALU_DEP_1)
	v_clz_i32_u32_e32 v1, v1
	v_min_u32_e32 v1, 32, v1
	s_delay_alu instid0(VALU_DEP_1) | instskip(NEXT) | instid1(VALU_DEP_1)
	v_subrev_nc_u32_e32 v44, 28, v1
	v_lshlrev_b64_e32 v[45:46], v44, v[9:10]
	v_sub_nc_u32_e32 v44, 29, v1
	s_delay_alu instid0(VALU_DEP_2)
	v_and_b32_e32 v1, 7, v45
; %bb.151:                              ;   in Loop: Header=BB266_13 Depth=1
	s_or_b32 exec_lo, exec_lo, s45
	v_lshlrev_b32_e32 v45, 8, v9
	s_delay_alu instid0(VALU_DEP_3) | instskip(NEXT) | instid1(VALU_DEP_3)
	v_lshl_add_u32 v44, v44, 10, 0x2000
	v_lshlrev_b32_e32 v1, 7, v1
	s_delay_alu instid0(VALU_DEP_3) | instskip(NEXT) | instid1(VALU_DEP_3)
	v_and_b32_e32 v45, 0x8000, v45
	v_and_b32_e32 v44, 0xfc00, v44
	s_delay_alu instid0(VALU_DEP_1)
	v_or3_b32 v44, v45, v44, v1
.LBB266_152:                            ;   in Loop: Header=BB266_13 Depth=1
	s_or_b32 exec_lo, exec_lo, s44
.LBB266_153:                            ;   in Loop: Header=BB266_13 Depth=1
	s_wait_alu 0xfffe
	s_or_b32 exec_lo, exec_lo, s43
.LBB266_154:                            ;   in Loop: Header=BB266_13 Depth=1
	s_wait_alu 0xfffe
	s_or_b32 exec_lo, exec_lo, s42
	v_lshrrev_b16 v1, 8, v9
	s_mov_b32 s42, exec_lo
	s_delay_alu instid0(VALU_DEP_1)
	v_cmpx_ne_u16_e32 0, v1
	s_cbranch_execz .LBB266_162
; %bb.155:                              ;   in Loop: Header=BB266_13 Depth=1
	v_bfrev_b32_e32 v43, 1
	s_mov_b32 s43, exec_lo
	v_cmpx_ne_u16_e32 0x80, v1
	s_cbranch_execz .LBB266_161
; %bb.156:                              ;   in Loop: Header=BB266_13 Depth=1
	v_and_b32_e32 v45, 0xffff, v1
	v_mov_b32_e32 v43, 0x7c010000
	s_mov_b32 s44, exec_lo
	s_delay_alu instid0(VALU_DEP_2) | instskip(NEXT) | instid1(VALU_DEP_1)
	v_and_b32_e32 v47, 0x7f, v45
	v_cmpx_ne_u32_e32 0x7f, v47
	s_cbranch_execz .LBB266_160
; %bb.157:                              ;   in Loop: Header=BB266_13 Depth=1
	v_and_b32_e32 v43, 7, v45
	v_lshrrev_b32_e32 v46, 3, v47
	s_mov_b32 s45, exec_lo
	v_cmpx_gt_u32_e32 8, v47
; %bb.158:                              ;   in Loop: Header=BB266_13 Depth=1
	s_delay_alu instid0(VALU_DEP_3) | instskip(NEXT) | instid1(VALU_DEP_1)
	v_clz_i32_u32_e32 v43, v43
	v_min_u32_e32 v43, 32, v43
	s_delay_alu instid0(VALU_DEP_1) | instskip(NEXT) | instid1(VALU_DEP_1)
	v_subrev_nc_u32_e32 v46, 28, v43
	v_lshlrev_b64_e32 v[47:48], v46, v[1:2]
	v_sub_nc_u32_e32 v46, 29, v43
	s_delay_alu instid0(VALU_DEP_2)
	v_and_b32_e32 v43, 7, v47
; %bb.159:                              ;   in Loop: Header=BB266_13 Depth=1
	s_or_b32 exec_lo, exec_lo, s45
	v_lshlrev_b32_e32 v1, 8, v45
	s_delay_alu instid0(VALU_DEP_3) | instskip(NEXT) | instid1(VALU_DEP_3)
	v_lshl_add_u32 v45, v46, 10, 0x2000
	v_lshlrev_b32_e32 v43, 23, v43
	s_delay_alu instid0(VALU_DEP_2) | instskip(NEXT) | instid1(VALU_DEP_1)
	v_and_or_b32 v1, 0x8000, v1, v45
	v_lshl_or_b32 v43, v1, 16, v43
.LBB266_160:                            ;   in Loop: Header=BB266_13 Depth=1
	s_or_b32 exec_lo, exec_lo, s44
.LBB266_161:                            ;   in Loop: Header=BB266_13 Depth=1
	s_wait_alu 0xfffe
	s_or_b32 exec_lo, exec_lo, s43
.LBB266_162:                            ;   in Loop: Header=BB266_13 Depth=1
	s_wait_alu 0xfffe
	s_or_b32 exec_lo, exec_lo, s42
	v_lshrrev_b32_e32 v1, 16, v9
	v_mov_b32_e32 v45, 0
	s_mov_b32 s42, exec_lo
	s_delay_alu instid0(VALU_DEP_2) | instskip(NEXT) | instid1(VALU_DEP_1)
	v_dual_mov_b32 v46, 0 :: v_dual_and_b32 v47, 0xff, v1
	v_cmpx_ne_u16_e32 0, v47
	s_cbranch_execz .LBB266_170
; %bb.163:                              ;   in Loop: Header=BB266_13 Depth=1
	v_mov_b32_e32 v46, 0x8000
	s_mov_b32 s43, exec_lo
	v_cmpx_ne_u16_e32 0x80, v47
	s_cbranch_execz .LBB266_169
; %bb.164:                              ;   in Loop: Header=BB266_13 Depth=1
	v_bfe_u32 v48, v9, 16, 7
	v_mov_b32_e32 v46, 0x7c01
	s_mov_b32 s44, exec_lo
	s_delay_alu instid0(VALU_DEP_2)
	v_cmpx_ne_u32_e32 0x7f, v48
	s_cbranch_execz .LBB266_168
; %bb.165:                              ;   in Loop: Header=BB266_13 Depth=1
	v_and_b32_e32 v46, 7, v1
	v_lshrrev_b32_e32 v47, 3, v48
	s_mov_b32 s45, exec_lo
	v_cmpx_gt_u32_e32 8, v48
; %bb.166:                              ;   in Loop: Header=BB266_13 Depth=1
	s_delay_alu instid0(VALU_DEP_3) | instskip(NEXT) | instid1(VALU_DEP_1)
	v_clz_i32_u32_e32 v46, v46
	v_min_u32_e32 v48, 32, v46
	s_delay_alu instid0(VALU_DEP_1) | instskip(NEXT) | instid1(VALU_DEP_1)
	v_subrev_nc_u32_e32 v46, 28, v48
	v_lshlrev_b64_e32 v[46:47], v46, v[1:2]
	v_sub_nc_u32_e32 v47, 29, v48
	s_delay_alu instid0(VALU_DEP_2)
	v_and_b32_e32 v46, 7, v46
; %bb.167:                              ;   in Loop: Header=BB266_13 Depth=1
	s_or_b32 exec_lo, exec_lo, s45
	v_lshlrev_b32_e32 v1, 8, v1
	s_delay_alu instid0(VALU_DEP_3) | instskip(NEXT) | instid1(VALU_DEP_3)
	v_lshl_add_u32 v47, v47, 10, 0x2000
	v_lshlrev_b32_e32 v46, 7, v46
	s_delay_alu instid0(VALU_DEP_3) | instskip(NEXT) | instid1(VALU_DEP_3)
	v_and_b32_e32 v1, 0x8000, v1
	v_and_b32_e32 v47, 0xfc00, v47
	s_delay_alu instid0(VALU_DEP_1)
	v_or3_b32 v46, v1, v47, v46
.LBB266_168:                            ;   in Loop: Header=BB266_13 Depth=1
	s_or_b32 exec_lo, exec_lo, s44
.LBB266_169:                            ;   in Loop: Header=BB266_13 Depth=1
	s_wait_alu 0xfffe
	s_or_b32 exec_lo, exec_lo, s43
.LBB266_170:                            ;   in Loop: Header=BB266_13 Depth=1
	s_wait_alu 0xfffe
	s_or_b32 exec_lo, exec_lo, s42
	s_delay_alu instid0(SALU_CYCLE_1)
	s_mov_b32 s42, exec_lo
	v_cmpx_lt_u32_e32 0xffffff, v9
	s_cbranch_execz .LBB266_178
; %bb.171:                              ;   in Loop: Header=BB266_13 Depth=1
	v_lshrrev_b32_e32 v1, 24, v9
	v_bfrev_b32_e32 v45, 1
	s_mov_b32 s43, exec_lo
	s_delay_alu instid0(VALU_DEP_2)
	v_cmpx_ne_u32_e32 0x80, v1
	s_cbranch_execz .LBB266_177
; %bb.172:                              ;   in Loop: Header=BB266_13 Depth=1
	v_and_b32_e32 v47, 0x7f, v1
	v_mov_b32_e32 v45, 0x7c010000
	s_mov_b32 s44, exec_lo
	s_delay_alu instid0(VALU_DEP_2)
	v_cmpx_ne_u32_e32 0x7f, v47
	s_cbranch_execz .LBB266_176
; %bb.173:                              ;   in Loop: Header=BB266_13 Depth=1
	v_and_b32_e32 v9, 7, v1
	v_lshrrev_b32_e32 v45, 3, v47
	s_mov_b32 s45, exec_lo
	v_cmpx_gt_u32_e32 8, v47
; %bb.174:                              ;   in Loop: Header=BB266_13 Depth=1
	s_delay_alu instid0(VALU_DEP_3) | instskip(NEXT) | instid1(VALU_DEP_1)
	v_clz_i32_u32_e32 v9, v9
	v_min_u32_e32 v9, 32, v9
	s_delay_alu instid0(VALU_DEP_1) | instskip(NEXT) | instid1(VALU_DEP_1)
	v_subrev_nc_u32_e32 v45, 28, v9
	v_lshlrev_b64_e32 v[47:48], v45, v[1:2]
	v_sub_nc_u32_e32 v45, 29, v9
	s_delay_alu instid0(VALU_DEP_2)
	v_and_b32_e32 v9, 7, v47
; %bb.175:                              ;   in Loop: Header=BB266_13 Depth=1
	s_or_b32 exec_lo, exec_lo, s45
	v_lshlrev_b32_e32 v1, 8, v1
	s_delay_alu instid0(VALU_DEP_3) | instskip(NEXT) | instid1(VALU_DEP_3)
	v_lshl_add_u32 v45, v45, 10, 0x2000
	v_lshlrev_b32_e32 v9, 23, v9
	s_delay_alu instid0(VALU_DEP_2) | instskip(NEXT) | instid1(VALU_DEP_1)
	v_and_or_b32 v1, 0x8000, v1, v45
	v_lshl_or_b32 v45, v1, 16, v9
.LBB266_176:                            ;   in Loop: Header=BB266_13 Depth=1
	s_or_b32 exec_lo, exec_lo, s44
.LBB266_177:                            ;   in Loop: Header=BB266_13 Depth=1
	s_wait_alu 0xfffe
	s_or_b32 exec_lo, exec_lo, s43
.LBB266_178:                            ;   in Loop: Header=BB266_13 Depth=1
	s_wait_alu 0xfffe
	s_or_b32 exec_lo, exec_lo, s42
	global_load_b32 v9, v[7:8], off offset:520
	v_mov_b32_e32 v47, 0
	s_mov_b32 s42, exec_lo
	s_wait_loadcnt 0x0
	v_dual_mov_b32 v48, 0 :: v_dual_and_b32 v1, 0xff, v9
	s_delay_alu instid0(VALU_DEP_1)
	v_cmpx_ne_u16_e32 0, v1
	s_cbranch_execz .LBB266_186
; %bb.179:                              ;   in Loop: Header=BB266_13 Depth=1
	v_mov_b32_e32 v48, 0x8000
	s_mov_b32 s43, exec_lo
	v_cmpx_ne_u16_e32 0x80, v1
	s_cbranch_execz .LBB266_185
; %bb.180:                              ;   in Loop: Header=BB266_13 Depth=1
	v_and_b32_e32 v49, 0x7f, v9
	v_mov_b32_e32 v48, 0x7c01
	s_mov_b32 s44, exec_lo
	s_delay_alu instid0(VALU_DEP_2)
	v_cmpx_ne_u32_e32 0x7f, v49
	s_cbranch_execz .LBB266_184
; %bb.181:                              ;   in Loop: Header=BB266_13 Depth=1
	v_and_b32_e32 v1, 7, v9
	v_lshrrev_b32_e32 v48, 3, v49
	s_mov_b32 s45, exec_lo
	v_cmpx_gt_u32_e32 8, v49
; %bb.182:                              ;   in Loop: Header=BB266_13 Depth=1
	s_delay_alu instid0(VALU_DEP_3) | instskip(NEXT) | instid1(VALU_DEP_1)
	v_clz_i32_u32_e32 v1, v1
	v_min_u32_e32 v1, 32, v1
	s_delay_alu instid0(VALU_DEP_1) | instskip(NEXT) | instid1(VALU_DEP_1)
	v_subrev_nc_u32_e32 v48, 28, v1
	v_lshlrev_b64_e32 v[49:50], v48, v[9:10]
	v_sub_nc_u32_e32 v48, 29, v1
	s_delay_alu instid0(VALU_DEP_2)
	v_and_b32_e32 v1, 7, v49
; %bb.183:                              ;   in Loop: Header=BB266_13 Depth=1
	s_or_b32 exec_lo, exec_lo, s45
	v_lshlrev_b32_e32 v49, 8, v9
	s_delay_alu instid0(VALU_DEP_3) | instskip(NEXT) | instid1(VALU_DEP_3)
	v_lshl_add_u32 v48, v48, 10, 0x2000
	v_lshlrev_b32_e32 v1, 7, v1
	s_delay_alu instid0(VALU_DEP_3) | instskip(NEXT) | instid1(VALU_DEP_3)
	v_and_b32_e32 v49, 0x8000, v49
	v_and_b32_e32 v48, 0xfc00, v48
	s_delay_alu instid0(VALU_DEP_1)
	v_or3_b32 v48, v49, v48, v1
.LBB266_184:                            ;   in Loop: Header=BB266_13 Depth=1
	s_or_b32 exec_lo, exec_lo, s44
.LBB266_185:                            ;   in Loop: Header=BB266_13 Depth=1
	s_wait_alu 0xfffe
	s_or_b32 exec_lo, exec_lo, s43
.LBB266_186:                            ;   in Loop: Header=BB266_13 Depth=1
	s_wait_alu 0xfffe
	s_or_b32 exec_lo, exec_lo, s42
	v_lshrrev_b16 v1, 8, v9
	s_mov_b32 s42, exec_lo
	s_delay_alu instid0(VALU_DEP_1)
	v_cmpx_ne_u16_e32 0, v1
	s_cbranch_execz .LBB266_194
; %bb.187:                              ;   in Loop: Header=BB266_13 Depth=1
	v_bfrev_b32_e32 v47, 1
	s_mov_b32 s43, exec_lo
	v_cmpx_ne_u16_e32 0x80, v1
	s_cbranch_execz .LBB266_193
; %bb.188:                              ;   in Loop: Header=BB266_13 Depth=1
	v_and_b32_e32 v49, 0xffff, v1
	v_mov_b32_e32 v47, 0x7c010000
	s_mov_b32 s44, exec_lo
	s_delay_alu instid0(VALU_DEP_2) | instskip(NEXT) | instid1(VALU_DEP_1)
	v_and_b32_e32 v51, 0x7f, v49
	v_cmpx_ne_u32_e32 0x7f, v51
	s_cbranch_execz .LBB266_192
; %bb.189:                              ;   in Loop: Header=BB266_13 Depth=1
	v_and_b32_e32 v47, 7, v49
	v_lshrrev_b32_e32 v50, 3, v51
	s_mov_b32 s45, exec_lo
	v_cmpx_gt_u32_e32 8, v51
; %bb.190:                              ;   in Loop: Header=BB266_13 Depth=1
	s_delay_alu instid0(VALU_DEP_3) | instskip(NEXT) | instid1(VALU_DEP_1)
	v_clz_i32_u32_e32 v47, v47
	v_min_u32_e32 v47, 32, v47
	s_delay_alu instid0(VALU_DEP_1) | instskip(NEXT) | instid1(VALU_DEP_1)
	v_subrev_nc_u32_e32 v50, 28, v47
	v_lshlrev_b64_e32 v[51:52], v50, v[1:2]
	v_sub_nc_u32_e32 v50, 29, v47
	s_delay_alu instid0(VALU_DEP_2)
	v_and_b32_e32 v47, 7, v51
; %bb.191:                              ;   in Loop: Header=BB266_13 Depth=1
	s_or_b32 exec_lo, exec_lo, s45
	v_lshlrev_b32_e32 v1, 8, v49
	s_delay_alu instid0(VALU_DEP_3) | instskip(NEXT) | instid1(VALU_DEP_3)
	v_lshl_add_u32 v49, v50, 10, 0x2000
	v_lshlrev_b32_e32 v47, 23, v47
	s_delay_alu instid0(VALU_DEP_2) | instskip(NEXT) | instid1(VALU_DEP_1)
	v_and_or_b32 v1, 0x8000, v1, v49
	v_lshl_or_b32 v47, v1, 16, v47
.LBB266_192:                            ;   in Loop: Header=BB266_13 Depth=1
	s_or_b32 exec_lo, exec_lo, s44
.LBB266_193:                            ;   in Loop: Header=BB266_13 Depth=1
	s_wait_alu 0xfffe
	s_or_b32 exec_lo, exec_lo, s43
.LBB266_194:                            ;   in Loop: Header=BB266_13 Depth=1
	s_wait_alu 0xfffe
	s_or_b32 exec_lo, exec_lo, s42
	v_lshrrev_b32_e32 v1, 16, v9
	v_mov_b32_e32 v51, 0
	s_mov_b32 s42, exec_lo
	s_delay_alu instid0(VALU_DEP_2) | instskip(NEXT) | instid1(VALU_DEP_1)
	v_dual_mov_b32 v52, 0 :: v_dual_and_b32 v49, 0xff, v1
	v_cmpx_ne_u16_e32 0, v49
	s_cbranch_execz .LBB266_202
; %bb.195:                              ;   in Loop: Header=BB266_13 Depth=1
	v_mov_b32_e32 v52, 0x8000
	s_mov_b32 s43, exec_lo
	v_cmpx_ne_u16_e32 0x80, v49
	s_cbranch_execz .LBB266_201
; %bb.196:                              ;   in Loop: Header=BB266_13 Depth=1
	v_bfe_u32 v53, v9, 16, 7
	v_mov_b32_e32 v52, 0x7c01
	s_mov_b32 s44, exec_lo
	s_delay_alu instid0(VALU_DEP_2)
	v_cmpx_ne_u32_e32 0x7f, v53
	s_cbranch_execz .LBB266_200
; %bb.197:                              ;   in Loop: Header=BB266_13 Depth=1
	v_and_b32_e32 v49, 7, v1
	v_lshrrev_b32_e32 v50, 3, v53
	s_mov_b32 s45, exec_lo
	v_cmpx_gt_u32_e32 8, v53
; %bb.198:                              ;   in Loop: Header=BB266_13 Depth=1
	s_delay_alu instid0(VALU_DEP_3) | instskip(NEXT) | instid1(VALU_DEP_1)
	v_clz_i32_u32_e32 v49, v49
	v_min_u32_e32 v52, 32, v49
	s_delay_alu instid0(VALU_DEP_1) | instskip(NEXT) | instid1(VALU_DEP_1)
	v_subrev_nc_u32_e32 v49, 28, v52
	v_lshlrev_b64_e32 v[49:50], v49, v[1:2]
	v_sub_nc_u32_e32 v50, 29, v52
	s_delay_alu instid0(VALU_DEP_2)
	v_and_b32_e32 v49, 7, v49
; %bb.199:                              ;   in Loop: Header=BB266_13 Depth=1
	s_or_b32 exec_lo, exec_lo, s45
	v_lshlrev_b32_e32 v1, 8, v1
	s_delay_alu instid0(VALU_DEP_3) | instskip(NEXT) | instid1(VALU_DEP_3)
	v_lshl_add_u32 v50, v50, 10, 0x2000
	v_lshlrev_b32_e32 v49, 7, v49
	s_delay_alu instid0(VALU_DEP_3) | instskip(NEXT) | instid1(VALU_DEP_3)
	v_and_b32_e32 v1, 0x8000, v1
	v_and_b32_e32 v50, 0xfc00, v50
	s_delay_alu instid0(VALU_DEP_1)
	v_or3_b32 v52, v1, v50, v49
.LBB266_200:                            ;   in Loop: Header=BB266_13 Depth=1
	s_or_b32 exec_lo, exec_lo, s44
.LBB266_201:                            ;   in Loop: Header=BB266_13 Depth=1
	s_wait_alu 0xfffe
	s_or_b32 exec_lo, exec_lo, s43
.LBB266_202:                            ;   in Loop: Header=BB266_13 Depth=1
	s_wait_alu 0xfffe
	s_or_b32 exec_lo, exec_lo, s42
	s_delay_alu instid0(SALU_CYCLE_1)
	s_mov_b32 s42, exec_lo
	v_cmpx_lt_u32_e32 0xffffff, v9
	s_cbranch_execz .LBB266_210
; %bb.203:                              ;   in Loop: Header=BB266_13 Depth=1
	v_lshrrev_b32_e32 v1, 24, v9
	v_bfrev_b32_e32 v51, 1
	s_mov_b32 s43, exec_lo
	s_delay_alu instid0(VALU_DEP_2)
	v_cmpx_ne_u32_e32 0x80, v1
	s_cbranch_execz .LBB266_209
; %bb.204:                              ;   in Loop: Header=BB266_13 Depth=1
	v_and_b32_e32 v50, 0x7f, v1
	v_mov_b32_e32 v51, 0x7c010000
	s_mov_b32 s44, exec_lo
	s_delay_alu instid0(VALU_DEP_2)
	v_cmpx_ne_u32_e32 0x7f, v50
	s_cbranch_execz .LBB266_208
; %bb.205:                              ;   in Loop: Header=BB266_13 Depth=1
	v_and_b32_e32 v9, 7, v1
	v_lshrrev_b32_e32 v49, 3, v50
	s_mov_b32 s45, exec_lo
	v_cmpx_gt_u32_e32 8, v50
; %bb.206:                              ;   in Loop: Header=BB266_13 Depth=1
	s_delay_alu instid0(VALU_DEP_3) | instskip(NEXT) | instid1(VALU_DEP_1)
	v_clz_i32_u32_e32 v9, v9
	v_min_u32_e32 v9, 32, v9
	s_delay_alu instid0(VALU_DEP_1) | instskip(NEXT) | instid1(VALU_DEP_1)
	v_subrev_nc_u32_e32 v49, 28, v9
	v_lshlrev_b64_e32 v[50:51], v49, v[1:2]
	v_sub_nc_u32_e32 v49, 29, v9
	s_delay_alu instid0(VALU_DEP_2)
	v_and_b32_e32 v9, 7, v50
; %bb.207:                              ;   in Loop: Header=BB266_13 Depth=1
	s_or_b32 exec_lo, exec_lo, s45
	v_lshlrev_b32_e32 v1, 8, v1
	s_delay_alu instid0(VALU_DEP_3) | instskip(NEXT) | instid1(VALU_DEP_3)
	v_lshl_add_u32 v49, v49, 10, 0x2000
	v_lshlrev_b32_e32 v9, 23, v9
	s_delay_alu instid0(VALU_DEP_2) | instskip(NEXT) | instid1(VALU_DEP_1)
	v_and_or_b32 v1, 0x8000, v1, v49
	v_lshl_or_b32 v51, v1, 16, v9
.LBB266_208:                            ;   in Loop: Header=BB266_13 Depth=1
	s_or_b32 exec_lo, exec_lo, s44
.LBB266_209:                            ;   in Loop: Header=BB266_13 Depth=1
	s_wait_alu 0xfffe
	s_or_b32 exec_lo, exec_lo, s43
.LBB266_210:                            ;   in Loop: Header=BB266_13 Depth=1
	s_wait_alu 0xfffe
	s_or_b32 exec_lo, exec_lo, s42
	global_load_b32 v9, v[7:8], off offset:768
	v_mov_b32_e32 v49, 0
	s_mov_b32 s42, exec_lo
	s_wait_loadcnt 0x0
	v_dual_mov_b32 v50, 0 :: v_dual_and_b32 v1, 0xff, v9
	s_delay_alu instid0(VALU_DEP_1)
	v_cmpx_ne_u16_e32 0, v1
	s_cbranch_execz .LBB266_218
; %bb.211:                              ;   in Loop: Header=BB266_13 Depth=1
	v_mov_b32_e32 v50, 0x8000
	s_mov_b32 s43, exec_lo
	v_cmpx_ne_u16_e32 0x80, v1
	s_cbranch_execz .LBB266_217
; %bb.212:                              ;   in Loop: Header=BB266_13 Depth=1
	v_and_b32_e32 v53, 0x7f, v9
	v_mov_b32_e32 v50, 0x7c01
	s_mov_b32 s44, exec_lo
	s_delay_alu instid0(VALU_DEP_2)
	v_cmpx_ne_u32_e32 0x7f, v53
	s_cbranch_execz .LBB266_216
; %bb.213:                              ;   in Loop: Header=BB266_13 Depth=1
	v_and_b32_e32 v1, 7, v9
	v_lshrrev_b32_e32 v50, 3, v53
	s_mov_b32 s45, exec_lo
	v_cmpx_gt_u32_e32 8, v53
; %bb.214:                              ;   in Loop: Header=BB266_13 Depth=1
	s_delay_alu instid0(VALU_DEP_3) | instskip(NEXT) | instid1(VALU_DEP_1)
	v_clz_i32_u32_e32 v1, v1
	v_min_u32_e32 v1, 32, v1
	s_delay_alu instid0(VALU_DEP_1) | instskip(NEXT) | instid1(VALU_DEP_1)
	v_subrev_nc_u32_e32 v50, 28, v1
	v_lshlrev_b64_e32 v[53:54], v50, v[9:10]
	v_sub_nc_u32_e32 v50, 29, v1
	s_delay_alu instid0(VALU_DEP_2)
	v_and_b32_e32 v1, 7, v53
; %bb.215:                              ;   in Loop: Header=BB266_13 Depth=1
	s_or_b32 exec_lo, exec_lo, s45
	v_lshlrev_b32_e32 v53, 8, v9
	s_delay_alu instid0(VALU_DEP_3) | instskip(NEXT) | instid1(VALU_DEP_3)
	v_lshl_add_u32 v50, v50, 10, 0x2000
	v_lshlrev_b32_e32 v1, 7, v1
	s_delay_alu instid0(VALU_DEP_3) | instskip(NEXT) | instid1(VALU_DEP_3)
	v_and_b32_e32 v53, 0x8000, v53
	v_and_b32_e32 v50, 0xfc00, v50
	s_delay_alu instid0(VALU_DEP_1)
	v_or3_b32 v50, v53, v50, v1
.LBB266_216:                            ;   in Loop: Header=BB266_13 Depth=1
	s_or_b32 exec_lo, exec_lo, s44
.LBB266_217:                            ;   in Loop: Header=BB266_13 Depth=1
	s_wait_alu 0xfffe
	s_or_b32 exec_lo, exec_lo, s43
.LBB266_218:                            ;   in Loop: Header=BB266_13 Depth=1
	s_wait_alu 0xfffe
	s_or_b32 exec_lo, exec_lo, s42
	v_lshrrev_b16 v1, 8, v9
	s_mov_b32 s42, exec_lo
	s_delay_alu instid0(VALU_DEP_1)
	v_cmpx_ne_u16_e32 0, v1
	s_cbranch_execz .LBB266_226
; %bb.219:                              ;   in Loop: Header=BB266_13 Depth=1
	v_bfrev_b32_e32 v49, 1
	s_mov_b32 s43, exec_lo
	v_cmpx_ne_u16_e32 0x80, v1
	s_cbranch_execz .LBB266_225
; %bb.220:                              ;   in Loop: Header=BB266_13 Depth=1
	v_and_b32_e32 v53, 0xffff, v1
	v_mov_b32_e32 v49, 0x7c010000
	s_mov_b32 s44, exec_lo
	s_delay_alu instid0(VALU_DEP_2) | instskip(NEXT) | instid1(VALU_DEP_1)
	v_and_b32_e32 v55, 0x7f, v53
	v_cmpx_ne_u32_e32 0x7f, v55
	s_cbranch_execz .LBB266_224
; %bb.221:                              ;   in Loop: Header=BB266_13 Depth=1
	v_and_b32_e32 v49, 7, v53
	v_lshrrev_b32_e32 v54, 3, v55
	s_mov_b32 s45, exec_lo
	v_cmpx_gt_u32_e32 8, v55
; %bb.222:                              ;   in Loop: Header=BB266_13 Depth=1
	s_delay_alu instid0(VALU_DEP_3) | instskip(NEXT) | instid1(VALU_DEP_1)
	v_clz_i32_u32_e32 v49, v49
	v_min_u32_e32 v49, 32, v49
	s_delay_alu instid0(VALU_DEP_1) | instskip(NEXT) | instid1(VALU_DEP_1)
	v_subrev_nc_u32_e32 v54, 28, v49
	v_lshlrev_b64_e32 v[55:56], v54, v[1:2]
	v_sub_nc_u32_e32 v54, 29, v49
	s_delay_alu instid0(VALU_DEP_2)
	v_and_b32_e32 v49, 7, v55
; %bb.223:                              ;   in Loop: Header=BB266_13 Depth=1
	s_or_b32 exec_lo, exec_lo, s45
	v_lshlrev_b32_e32 v1, 8, v53
	s_delay_alu instid0(VALU_DEP_3) | instskip(NEXT) | instid1(VALU_DEP_3)
	v_lshl_add_u32 v53, v54, 10, 0x2000
	v_lshlrev_b32_e32 v49, 23, v49
	s_delay_alu instid0(VALU_DEP_2) | instskip(NEXT) | instid1(VALU_DEP_1)
	v_and_or_b32 v1, 0x8000, v1, v53
	v_lshl_or_b32 v49, v1, 16, v49
.LBB266_224:                            ;   in Loop: Header=BB266_13 Depth=1
	s_or_b32 exec_lo, exec_lo, s44
.LBB266_225:                            ;   in Loop: Header=BB266_13 Depth=1
	s_wait_alu 0xfffe
	s_or_b32 exec_lo, exec_lo, s43
.LBB266_226:                            ;   in Loop: Header=BB266_13 Depth=1
	s_wait_alu 0xfffe
	s_or_b32 exec_lo, exec_lo, s42
	v_lshrrev_b32_e32 v1, 16, v9
	v_mov_b32_e32 v53, 0
	s_mov_b32 s42, exec_lo
	s_delay_alu instid0(VALU_DEP_2) | instskip(NEXT) | instid1(VALU_DEP_1)
	v_dual_mov_b32 v54, 0 :: v_dual_and_b32 v55, 0xff, v1
	v_cmpx_ne_u16_e32 0, v55
	s_cbranch_execz .LBB266_234
; %bb.227:                              ;   in Loop: Header=BB266_13 Depth=1
	v_mov_b32_e32 v54, 0x8000
	s_mov_b32 s43, exec_lo
	v_cmpx_ne_u16_e32 0x80, v55
	s_cbranch_execz .LBB266_233
; %bb.228:                              ;   in Loop: Header=BB266_13 Depth=1
	v_bfe_u32 v56, v9, 16, 7
	v_mov_b32_e32 v54, 0x7c01
	s_mov_b32 s44, exec_lo
	s_delay_alu instid0(VALU_DEP_2)
	v_cmpx_ne_u32_e32 0x7f, v56
	s_cbranch_execz .LBB266_232
; %bb.229:                              ;   in Loop: Header=BB266_13 Depth=1
	v_and_b32_e32 v54, 7, v1
	v_lshrrev_b32_e32 v55, 3, v56
	s_mov_b32 s45, exec_lo
	v_cmpx_gt_u32_e32 8, v56
; %bb.230:                              ;   in Loop: Header=BB266_13 Depth=1
	s_delay_alu instid0(VALU_DEP_3) | instskip(NEXT) | instid1(VALU_DEP_1)
	v_clz_i32_u32_e32 v54, v54
	v_min_u32_e32 v56, 32, v54
	s_delay_alu instid0(VALU_DEP_1) | instskip(NEXT) | instid1(VALU_DEP_1)
	v_subrev_nc_u32_e32 v54, 28, v56
	v_lshlrev_b64_e32 v[54:55], v54, v[1:2]
	v_sub_nc_u32_e32 v55, 29, v56
	s_delay_alu instid0(VALU_DEP_2)
	v_and_b32_e32 v54, 7, v54
; %bb.231:                              ;   in Loop: Header=BB266_13 Depth=1
	s_or_b32 exec_lo, exec_lo, s45
	v_lshlrev_b32_e32 v1, 8, v1
	s_delay_alu instid0(VALU_DEP_3) | instskip(NEXT) | instid1(VALU_DEP_3)
	v_lshl_add_u32 v55, v55, 10, 0x2000
	v_lshlrev_b32_e32 v54, 7, v54
	s_delay_alu instid0(VALU_DEP_3) | instskip(NEXT) | instid1(VALU_DEP_3)
	v_and_b32_e32 v1, 0x8000, v1
	v_and_b32_e32 v55, 0xfc00, v55
	s_delay_alu instid0(VALU_DEP_1)
	v_or3_b32 v54, v1, v55, v54
.LBB266_232:                            ;   in Loop: Header=BB266_13 Depth=1
	s_or_b32 exec_lo, exec_lo, s44
.LBB266_233:                            ;   in Loop: Header=BB266_13 Depth=1
	s_wait_alu 0xfffe
	s_or_b32 exec_lo, exec_lo, s43
.LBB266_234:                            ;   in Loop: Header=BB266_13 Depth=1
	s_wait_alu 0xfffe
	s_or_b32 exec_lo, exec_lo, s42
	s_delay_alu instid0(SALU_CYCLE_1)
	s_mov_b32 s42, exec_lo
	v_cmpx_lt_u32_e32 0xffffff, v9
	s_cbranch_execz .LBB266_242
; %bb.235:                              ;   in Loop: Header=BB266_13 Depth=1
	v_lshrrev_b32_e32 v1, 24, v9
	v_bfrev_b32_e32 v53, 1
	s_mov_b32 s43, exec_lo
	s_delay_alu instid0(VALU_DEP_2)
	v_cmpx_ne_u32_e32 0x80, v1
	s_cbranch_execz .LBB266_241
; %bb.236:                              ;   in Loop: Header=BB266_13 Depth=1
	v_and_b32_e32 v55, 0x7f, v1
	v_mov_b32_e32 v53, 0x7c010000
	s_mov_b32 s44, exec_lo
	s_delay_alu instid0(VALU_DEP_2)
	v_cmpx_ne_u32_e32 0x7f, v55
	s_cbranch_execz .LBB266_240
; %bb.237:                              ;   in Loop: Header=BB266_13 Depth=1
	v_and_b32_e32 v9, 7, v1
	v_lshrrev_b32_e32 v53, 3, v55
	s_mov_b32 s45, exec_lo
	v_cmpx_gt_u32_e32 8, v55
; %bb.238:                              ;   in Loop: Header=BB266_13 Depth=1
	s_delay_alu instid0(VALU_DEP_3) | instskip(NEXT) | instid1(VALU_DEP_1)
	v_clz_i32_u32_e32 v9, v9
	v_min_u32_e32 v9, 32, v9
	s_delay_alu instid0(VALU_DEP_1) | instskip(NEXT) | instid1(VALU_DEP_1)
	v_subrev_nc_u32_e32 v53, 28, v9
	v_lshlrev_b64_e32 v[55:56], v53, v[1:2]
	v_sub_nc_u32_e32 v53, 29, v9
	s_delay_alu instid0(VALU_DEP_2)
	v_and_b32_e32 v9, 7, v55
; %bb.239:                              ;   in Loop: Header=BB266_13 Depth=1
	s_or_b32 exec_lo, exec_lo, s45
	v_lshlrev_b32_e32 v1, 8, v1
	s_delay_alu instid0(VALU_DEP_3) | instskip(NEXT) | instid1(VALU_DEP_3)
	v_lshl_add_u32 v53, v53, 10, 0x2000
	v_lshlrev_b32_e32 v9, 23, v9
	s_delay_alu instid0(VALU_DEP_2) | instskip(NEXT) | instid1(VALU_DEP_1)
	v_and_or_b32 v1, 0x8000, v1, v53
	v_lshl_or_b32 v53, v1, 16, v9
.LBB266_240:                            ;   in Loop: Header=BB266_13 Depth=1
	s_or_b32 exec_lo, exec_lo, s44
.LBB266_241:                            ;   in Loop: Header=BB266_13 Depth=1
	s_wait_alu 0xfffe
	s_or_b32 exec_lo, exec_lo, s43
.LBB266_242:                            ;   in Loop: Header=BB266_13 Depth=1
	s_wait_alu 0xfffe
	s_or_b32 exec_lo, exec_lo, s42
	global_load_b32 v9, v[7:8], off offset:776
	v_mov_b32_e32 v55, 0
	s_mov_b32 s42, exec_lo
	s_wait_loadcnt 0x0
	v_dual_mov_b32 v56, 0 :: v_dual_and_b32 v1, 0xff, v9
	s_delay_alu instid0(VALU_DEP_1)
	v_cmpx_ne_u16_e32 0, v1
	s_cbranch_execz .LBB266_250
; %bb.243:                              ;   in Loop: Header=BB266_13 Depth=1
	v_mov_b32_e32 v56, 0x8000
	s_mov_b32 s43, exec_lo
	v_cmpx_ne_u16_e32 0x80, v1
	s_cbranch_execz .LBB266_249
; %bb.244:                              ;   in Loop: Header=BB266_13 Depth=1
	v_and_b32_e32 v57, 0x7f, v9
	v_mov_b32_e32 v56, 0x7c01
	s_mov_b32 s44, exec_lo
	s_delay_alu instid0(VALU_DEP_2)
	v_cmpx_ne_u32_e32 0x7f, v57
	s_cbranch_execz .LBB266_248
; %bb.245:                              ;   in Loop: Header=BB266_13 Depth=1
	v_and_b32_e32 v1, 7, v9
	v_lshrrev_b32_e32 v56, 3, v57
	s_mov_b32 s45, exec_lo
	v_cmpx_gt_u32_e32 8, v57
; %bb.246:                              ;   in Loop: Header=BB266_13 Depth=1
	s_delay_alu instid0(VALU_DEP_3) | instskip(NEXT) | instid1(VALU_DEP_1)
	v_clz_i32_u32_e32 v1, v1
	v_min_u32_e32 v1, 32, v1
	s_delay_alu instid0(VALU_DEP_1) | instskip(NEXT) | instid1(VALU_DEP_1)
	v_subrev_nc_u32_e32 v56, 28, v1
	v_lshlrev_b64_e32 v[57:58], v56, v[9:10]
	v_sub_nc_u32_e32 v56, 29, v1
	s_delay_alu instid0(VALU_DEP_2)
	v_and_b32_e32 v1, 7, v57
; %bb.247:                              ;   in Loop: Header=BB266_13 Depth=1
	s_or_b32 exec_lo, exec_lo, s45
	v_lshlrev_b32_e32 v57, 8, v9
	s_delay_alu instid0(VALU_DEP_3) | instskip(NEXT) | instid1(VALU_DEP_3)
	v_lshl_add_u32 v56, v56, 10, 0x2000
	v_lshlrev_b32_e32 v1, 7, v1
	s_delay_alu instid0(VALU_DEP_3) | instskip(NEXT) | instid1(VALU_DEP_3)
	v_and_b32_e32 v57, 0x8000, v57
	v_and_b32_e32 v56, 0xfc00, v56
	s_delay_alu instid0(VALU_DEP_1)
	v_or3_b32 v56, v57, v56, v1
.LBB266_248:                            ;   in Loop: Header=BB266_13 Depth=1
	s_or_b32 exec_lo, exec_lo, s44
.LBB266_249:                            ;   in Loop: Header=BB266_13 Depth=1
	s_wait_alu 0xfffe
	s_or_b32 exec_lo, exec_lo, s43
.LBB266_250:                            ;   in Loop: Header=BB266_13 Depth=1
	s_wait_alu 0xfffe
	s_or_b32 exec_lo, exec_lo, s42
	v_lshrrev_b16 v1, 8, v9
	s_mov_b32 s42, exec_lo
	s_delay_alu instid0(VALU_DEP_1)
	v_cmpx_ne_u16_e32 0, v1
	s_cbranch_execz .LBB266_258
; %bb.251:                              ;   in Loop: Header=BB266_13 Depth=1
	v_bfrev_b32_e32 v55, 1
	s_mov_b32 s43, exec_lo
	v_cmpx_ne_u16_e32 0x80, v1
	s_cbranch_execz .LBB266_257
; %bb.252:                              ;   in Loop: Header=BB266_13 Depth=1
	v_and_b32_e32 v57, 0xffff, v1
	v_mov_b32_e32 v55, 0x7c010000
	s_mov_b32 s44, exec_lo
	s_delay_alu instid0(VALU_DEP_2) | instskip(NEXT) | instid1(VALU_DEP_1)
	v_and_b32_e32 v59, 0x7f, v57
	v_cmpx_ne_u32_e32 0x7f, v59
	s_cbranch_execz .LBB266_256
; %bb.253:                              ;   in Loop: Header=BB266_13 Depth=1
	v_and_b32_e32 v55, 7, v57
	v_lshrrev_b32_e32 v58, 3, v59
	s_mov_b32 s45, exec_lo
	v_cmpx_gt_u32_e32 8, v59
; %bb.254:                              ;   in Loop: Header=BB266_13 Depth=1
	s_delay_alu instid0(VALU_DEP_3) | instskip(NEXT) | instid1(VALU_DEP_1)
	v_clz_i32_u32_e32 v55, v55
	v_min_u32_e32 v55, 32, v55
	s_delay_alu instid0(VALU_DEP_1) | instskip(NEXT) | instid1(VALU_DEP_1)
	v_subrev_nc_u32_e32 v58, 28, v55
	v_lshlrev_b64_e32 v[59:60], v58, v[1:2]
	v_sub_nc_u32_e32 v58, 29, v55
	s_delay_alu instid0(VALU_DEP_2)
	v_and_b32_e32 v55, 7, v59
; %bb.255:                              ;   in Loop: Header=BB266_13 Depth=1
	s_or_b32 exec_lo, exec_lo, s45
	v_lshlrev_b32_e32 v1, 8, v57
	s_delay_alu instid0(VALU_DEP_3) | instskip(NEXT) | instid1(VALU_DEP_3)
	v_lshl_add_u32 v57, v58, 10, 0x2000
	v_lshlrev_b32_e32 v55, 23, v55
	s_delay_alu instid0(VALU_DEP_2) | instskip(NEXT) | instid1(VALU_DEP_1)
	v_and_or_b32 v1, 0x8000, v1, v57
	v_lshl_or_b32 v55, v1, 16, v55
.LBB266_256:                            ;   in Loop: Header=BB266_13 Depth=1
	s_or_b32 exec_lo, exec_lo, s44
.LBB266_257:                            ;   in Loop: Header=BB266_13 Depth=1
	s_wait_alu 0xfffe
	s_or_b32 exec_lo, exec_lo, s43
.LBB266_258:                            ;   in Loop: Header=BB266_13 Depth=1
	s_wait_alu 0xfffe
	s_or_b32 exec_lo, exec_lo, s42
	v_lshrrev_b32_e32 v1, 16, v9
	v_mov_b32_e32 v57, 0
	s_mov_b32 s42, exec_lo
	s_delay_alu instid0(VALU_DEP_2) | instskip(NEXT) | instid1(VALU_DEP_1)
	v_dual_mov_b32 v58, 0 :: v_dual_and_b32 v59, 0xff, v1
	v_cmpx_ne_u16_e32 0, v59
	s_cbranch_execz .LBB266_266
; %bb.259:                              ;   in Loop: Header=BB266_13 Depth=1
	v_mov_b32_e32 v58, 0x8000
	s_mov_b32 s43, exec_lo
	v_cmpx_ne_u16_e32 0x80, v59
	s_cbranch_execz .LBB266_265
; %bb.260:                              ;   in Loop: Header=BB266_13 Depth=1
	v_bfe_u32 v60, v9, 16, 7
	v_mov_b32_e32 v58, 0x7c01
	s_mov_b32 s44, exec_lo
	s_delay_alu instid0(VALU_DEP_2)
	v_cmpx_ne_u32_e32 0x7f, v60
	s_cbranch_execz .LBB266_264
; %bb.261:                              ;   in Loop: Header=BB266_13 Depth=1
	v_and_b32_e32 v58, 7, v1
	v_lshrrev_b32_e32 v59, 3, v60
	s_mov_b32 s45, exec_lo
	v_cmpx_gt_u32_e32 8, v60
; %bb.262:                              ;   in Loop: Header=BB266_13 Depth=1
	s_delay_alu instid0(VALU_DEP_3) | instskip(NEXT) | instid1(VALU_DEP_1)
	v_clz_i32_u32_e32 v58, v58
	v_min_u32_e32 v60, 32, v58
	s_delay_alu instid0(VALU_DEP_1) | instskip(NEXT) | instid1(VALU_DEP_1)
	v_subrev_nc_u32_e32 v58, 28, v60
	v_lshlrev_b64_e32 v[58:59], v58, v[1:2]
	v_sub_nc_u32_e32 v59, 29, v60
	s_delay_alu instid0(VALU_DEP_2)
	v_and_b32_e32 v58, 7, v58
; %bb.263:                              ;   in Loop: Header=BB266_13 Depth=1
	s_or_b32 exec_lo, exec_lo, s45
	v_lshlrev_b32_e32 v1, 8, v1
	s_delay_alu instid0(VALU_DEP_3) | instskip(NEXT) | instid1(VALU_DEP_3)
	v_lshl_add_u32 v59, v59, 10, 0x2000
	v_lshlrev_b32_e32 v58, 7, v58
	s_delay_alu instid0(VALU_DEP_3) | instskip(NEXT) | instid1(VALU_DEP_3)
	v_and_b32_e32 v1, 0x8000, v1
	v_and_b32_e32 v59, 0xfc00, v59
	s_delay_alu instid0(VALU_DEP_1)
	v_or3_b32 v58, v1, v59, v58
.LBB266_264:                            ;   in Loop: Header=BB266_13 Depth=1
	s_or_b32 exec_lo, exec_lo, s44
.LBB266_265:                            ;   in Loop: Header=BB266_13 Depth=1
	s_wait_alu 0xfffe
	s_or_b32 exec_lo, exec_lo, s43
.LBB266_266:                            ;   in Loop: Header=BB266_13 Depth=1
	s_wait_alu 0xfffe
	s_or_b32 exec_lo, exec_lo, s42
	s_delay_alu instid0(SALU_CYCLE_1)
	s_mov_b32 s42, exec_lo
	v_cmpx_lt_u32_e32 0xffffff, v9
	s_cbranch_execz .LBB266_274
; %bb.267:                              ;   in Loop: Header=BB266_13 Depth=1
	v_lshrrev_b32_e32 v1, 24, v9
	v_bfrev_b32_e32 v57, 1
	s_mov_b32 s43, exec_lo
	s_delay_alu instid0(VALU_DEP_2)
	v_cmpx_ne_u32_e32 0x80, v1
	s_cbranch_execz .LBB266_273
; %bb.268:                              ;   in Loop: Header=BB266_13 Depth=1
	v_and_b32_e32 v59, 0x7f, v1
	v_mov_b32_e32 v57, 0x7c010000
	s_mov_b32 s44, exec_lo
	s_delay_alu instid0(VALU_DEP_2)
	v_cmpx_ne_u32_e32 0x7f, v59
	s_cbranch_execz .LBB266_272
; %bb.269:                              ;   in Loop: Header=BB266_13 Depth=1
	v_and_b32_e32 v9, 7, v1
	v_lshrrev_b32_e32 v57, 3, v59
	s_mov_b32 s45, exec_lo
	v_cmpx_gt_u32_e32 8, v59
; %bb.270:                              ;   in Loop: Header=BB266_13 Depth=1
	s_delay_alu instid0(VALU_DEP_3) | instskip(NEXT) | instid1(VALU_DEP_1)
	v_clz_i32_u32_e32 v9, v9
	v_min_u32_e32 v9, 32, v9
	s_delay_alu instid0(VALU_DEP_1) | instskip(NEXT) | instid1(VALU_DEP_1)
	v_subrev_nc_u32_e32 v57, 28, v9
	v_lshlrev_b64_e32 v[59:60], v57, v[1:2]
	v_sub_nc_u32_e32 v57, 29, v9
	s_delay_alu instid0(VALU_DEP_2)
	v_and_b32_e32 v9, 7, v59
; %bb.271:                              ;   in Loop: Header=BB266_13 Depth=1
	s_or_b32 exec_lo, exec_lo, s45
	v_lshlrev_b32_e32 v1, 8, v1
	s_delay_alu instid0(VALU_DEP_3) | instskip(NEXT) | instid1(VALU_DEP_3)
	v_lshl_add_u32 v57, v57, 10, 0x2000
	v_lshlrev_b32_e32 v9, 23, v9
	s_delay_alu instid0(VALU_DEP_2) | instskip(NEXT) | instid1(VALU_DEP_1)
	v_and_or_b32 v1, 0x8000, v1, v57
	v_lshl_or_b32 v57, v1, 16, v9
.LBB266_272:                            ;   in Loop: Header=BB266_13 Depth=1
	s_or_b32 exec_lo, exec_lo, s44
.LBB266_273:                            ;   in Loop: Header=BB266_13 Depth=1
	s_wait_alu 0xfffe
	s_or_b32 exec_lo, exec_lo, s43
.LBB266_274:                            ;   in Loop: Header=BB266_13 Depth=1
	s_wait_alu 0xfffe
	s_or_b32 exec_lo, exec_lo, s42
	global_load_b32 v9, v[7:8], off offset:1024
	v_mov_b32_e32 v59, 0
	s_mov_b32 s42, exec_lo
	s_wait_loadcnt 0x0
	v_dual_mov_b32 v60, 0 :: v_dual_and_b32 v1, 0xff, v9
	s_delay_alu instid0(VALU_DEP_1)
	v_cmpx_ne_u16_e32 0, v1
	s_cbranch_execz .LBB266_282
; %bb.275:                              ;   in Loop: Header=BB266_13 Depth=1
	v_mov_b32_e32 v60, 0x8000
	s_mov_b32 s43, exec_lo
	v_cmpx_ne_u16_e32 0x80, v1
	s_cbranch_execz .LBB266_281
; %bb.276:                              ;   in Loop: Header=BB266_13 Depth=1
	v_and_b32_e32 v61, 0x7f, v9
	v_mov_b32_e32 v60, 0x7c01
	s_mov_b32 s44, exec_lo
	s_delay_alu instid0(VALU_DEP_2)
	v_cmpx_ne_u32_e32 0x7f, v61
	s_cbranch_execz .LBB266_280
; %bb.277:                              ;   in Loop: Header=BB266_13 Depth=1
	v_and_b32_e32 v1, 7, v9
	v_lshrrev_b32_e32 v60, 3, v61
	s_mov_b32 s45, exec_lo
	v_cmpx_gt_u32_e32 8, v61
; %bb.278:                              ;   in Loop: Header=BB266_13 Depth=1
	s_delay_alu instid0(VALU_DEP_3) | instskip(NEXT) | instid1(VALU_DEP_1)
	v_clz_i32_u32_e32 v1, v1
	v_min_u32_e32 v1, 32, v1
	s_delay_alu instid0(VALU_DEP_1) | instskip(NEXT) | instid1(VALU_DEP_1)
	v_subrev_nc_u32_e32 v60, 28, v1
	v_lshlrev_b64_e32 v[61:62], v60, v[9:10]
	v_sub_nc_u32_e32 v60, 29, v1
	s_delay_alu instid0(VALU_DEP_2)
	v_and_b32_e32 v1, 7, v61
; %bb.279:                              ;   in Loop: Header=BB266_13 Depth=1
	s_or_b32 exec_lo, exec_lo, s45
	v_lshlrev_b32_e32 v61, 8, v9
	s_delay_alu instid0(VALU_DEP_3) | instskip(NEXT) | instid1(VALU_DEP_3)
	v_lshl_add_u32 v60, v60, 10, 0x2000
	v_lshlrev_b32_e32 v1, 7, v1
	s_delay_alu instid0(VALU_DEP_3) | instskip(NEXT) | instid1(VALU_DEP_3)
	v_and_b32_e32 v61, 0x8000, v61
	v_and_b32_e32 v60, 0xfc00, v60
	s_delay_alu instid0(VALU_DEP_1)
	v_or3_b32 v60, v61, v60, v1
.LBB266_280:                            ;   in Loop: Header=BB266_13 Depth=1
	s_or_b32 exec_lo, exec_lo, s44
.LBB266_281:                            ;   in Loop: Header=BB266_13 Depth=1
	s_wait_alu 0xfffe
	s_or_b32 exec_lo, exec_lo, s43
.LBB266_282:                            ;   in Loop: Header=BB266_13 Depth=1
	s_wait_alu 0xfffe
	s_or_b32 exec_lo, exec_lo, s42
	v_lshrrev_b16 v1, 8, v9
	s_mov_b32 s42, exec_lo
	s_delay_alu instid0(VALU_DEP_1)
	v_cmpx_ne_u16_e32 0, v1
	s_cbranch_execz .LBB266_290
; %bb.283:                              ;   in Loop: Header=BB266_13 Depth=1
	v_bfrev_b32_e32 v59, 1
	s_mov_b32 s43, exec_lo
	v_cmpx_ne_u16_e32 0x80, v1
	s_cbranch_execz .LBB266_289
; %bb.284:                              ;   in Loop: Header=BB266_13 Depth=1
	v_and_b32_e32 v61, 0xffff, v1
	v_mov_b32_e32 v59, 0x7c010000
	s_mov_b32 s44, exec_lo
	s_delay_alu instid0(VALU_DEP_2) | instskip(NEXT) | instid1(VALU_DEP_1)
	v_and_b32_e32 v63, 0x7f, v61
	v_cmpx_ne_u32_e32 0x7f, v63
	s_cbranch_execz .LBB266_288
; %bb.285:                              ;   in Loop: Header=BB266_13 Depth=1
	v_and_b32_e32 v59, 7, v61
	v_lshrrev_b32_e32 v62, 3, v63
	s_mov_b32 s45, exec_lo
	v_cmpx_gt_u32_e32 8, v63
; %bb.286:                              ;   in Loop: Header=BB266_13 Depth=1
	s_delay_alu instid0(VALU_DEP_3) | instskip(NEXT) | instid1(VALU_DEP_1)
	v_clz_i32_u32_e32 v59, v59
	v_min_u32_e32 v59, 32, v59
	s_delay_alu instid0(VALU_DEP_1) | instskip(NEXT) | instid1(VALU_DEP_1)
	v_subrev_nc_u32_e32 v62, 28, v59
	v_lshlrev_b64_e32 v[63:64], v62, v[1:2]
	v_sub_nc_u32_e32 v62, 29, v59
	s_delay_alu instid0(VALU_DEP_2)
	v_and_b32_e32 v59, 7, v63
; %bb.287:                              ;   in Loop: Header=BB266_13 Depth=1
	s_or_b32 exec_lo, exec_lo, s45
	v_lshlrev_b32_e32 v1, 8, v61
	s_delay_alu instid0(VALU_DEP_3) | instskip(NEXT) | instid1(VALU_DEP_3)
	v_lshl_add_u32 v61, v62, 10, 0x2000
	v_lshlrev_b32_e32 v59, 23, v59
	s_delay_alu instid0(VALU_DEP_2) | instskip(NEXT) | instid1(VALU_DEP_1)
	v_and_or_b32 v1, 0x8000, v1, v61
	v_lshl_or_b32 v59, v1, 16, v59
.LBB266_288:                            ;   in Loop: Header=BB266_13 Depth=1
	s_or_b32 exec_lo, exec_lo, s44
.LBB266_289:                            ;   in Loop: Header=BB266_13 Depth=1
	s_wait_alu 0xfffe
	s_or_b32 exec_lo, exec_lo, s43
.LBB266_290:                            ;   in Loop: Header=BB266_13 Depth=1
	s_wait_alu 0xfffe
	s_or_b32 exec_lo, exec_lo, s42
	v_lshrrev_b32_e32 v1, 16, v9
	v_mov_b32_e32 v61, 0
	s_mov_b32 s42, exec_lo
	s_delay_alu instid0(VALU_DEP_2) | instskip(NEXT) | instid1(VALU_DEP_1)
	v_dual_mov_b32 v62, 0 :: v_dual_and_b32 v63, 0xff, v1
	v_cmpx_ne_u16_e32 0, v63
	s_cbranch_execz .LBB266_298
; %bb.291:                              ;   in Loop: Header=BB266_13 Depth=1
	v_mov_b32_e32 v62, 0x8000
	s_mov_b32 s43, exec_lo
	v_cmpx_ne_u16_e32 0x80, v63
	s_cbranch_execz .LBB266_297
; %bb.292:                              ;   in Loop: Header=BB266_13 Depth=1
	v_bfe_u32 v64, v9, 16, 7
	v_mov_b32_e32 v62, 0x7c01
	s_mov_b32 s44, exec_lo
	s_delay_alu instid0(VALU_DEP_2)
	v_cmpx_ne_u32_e32 0x7f, v64
	s_cbranch_execz .LBB266_296
; %bb.293:                              ;   in Loop: Header=BB266_13 Depth=1
	v_and_b32_e32 v62, 7, v1
	v_lshrrev_b32_e32 v63, 3, v64
	s_mov_b32 s45, exec_lo
	v_cmpx_gt_u32_e32 8, v64
; %bb.294:                              ;   in Loop: Header=BB266_13 Depth=1
	s_delay_alu instid0(VALU_DEP_3) | instskip(NEXT) | instid1(VALU_DEP_1)
	v_clz_i32_u32_e32 v62, v62
	v_min_u32_e32 v64, 32, v62
	s_delay_alu instid0(VALU_DEP_1) | instskip(NEXT) | instid1(VALU_DEP_1)
	v_subrev_nc_u32_e32 v62, 28, v64
	v_lshlrev_b64_e32 v[62:63], v62, v[1:2]
	v_sub_nc_u32_e32 v63, 29, v64
	s_delay_alu instid0(VALU_DEP_2)
	v_and_b32_e32 v62, 7, v62
; %bb.295:                              ;   in Loop: Header=BB266_13 Depth=1
	s_or_b32 exec_lo, exec_lo, s45
	v_lshlrev_b32_e32 v1, 8, v1
	s_delay_alu instid0(VALU_DEP_3) | instskip(NEXT) | instid1(VALU_DEP_3)
	v_lshl_add_u32 v63, v63, 10, 0x2000
	v_lshlrev_b32_e32 v62, 7, v62
	s_delay_alu instid0(VALU_DEP_3) | instskip(NEXT) | instid1(VALU_DEP_3)
	v_and_b32_e32 v1, 0x8000, v1
	v_and_b32_e32 v63, 0xfc00, v63
	s_delay_alu instid0(VALU_DEP_1)
	v_or3_b32 v62, v1, v63, v62
.LBB266_296:                            ;   in Loop: Header=BB266_13 Depth=1
	s_or_b32 exec_lo, exec_lo, s44
.LBB266_297:                            ;   in Loop: Header=BB266_13 Depth=1
	s_wait_alu 0xfffe
	s_or_b32 exec_lo, exec_lo, s43
.LBB266_298:                            ;   in Loop: Header=BB266_13 Depth=1
	s_wait_alu 0xfffe
	s_or_b32 exec_lo, exec_lo, s42
	s_delay_alu instid0(SALU_CYCLE_1)
	s_mov_b32 s42, exec_lo
	v_cmpx_lt_u32_e32 0xffffff, v9
	s_cbranch_execz .LBB266_306
; %bb.299:                              ;   in Loop: Header=BB266_13 Depth=1
	v_lshrrev_b32_e32 v1, 24, v9
	v_bfrev_b32_e32 v61, 1
	s_mov_b32 s43, exec_lo
	s_delay_alu instid0(VALU_DEP_2)
	v_cmpx_ne_u32_e32 0x80, v1
	s_cbranch_execz .LBB266_305
; %bb.300:                              ;   in Loop: Header=BB266_13 Depth=1
	v_and_b32_e32 v63, 0x7f, v1
	v_mov_b32_e32 v61, 0x7c010000
	s_mov_b32 s44, exec_lo
	s_delay_alu instid0(VALU_DEP_2)
	v_cmpx_ne_u32_e32 0x7f, v63
	s_cbranch_execz .LBB266_304
; %bb.301:                              ;   in Loop: Header=BB266_13 Depth=1
	v_and_b32_e32 v9, 7, v1
	v_lshrrev_b32_e32 v61, 3, v63
	s_mov_b32 s45, exec_lo
	v_cmpx_gt_u32_e32 8, v63
; %bb.302:                              ;   in Loop: Header=BB266_13 Depth=1
	s_delay_alu instid0(VALU_DEP_3) | instskip(NEXT) | instid1(VALU_DEP_1)
	v_clz_i32_u32_e32 v9, v9
	v_min_u32_e32 v9, 32, v9
	s_delay_alu instid0(VALU_DEP_1) | instskip(NEXT) | instid1(VALU_DEP_1)
	v_subrev_nc_u32_e32 v61, 28, v9
	v_lshlrev_b64_e32 v[63:64], v61, v[1:2]
	v_sub_nc_u32_e32 v61, 29, v9
	s_delay_alu instid0(VALU_DEP_2)
	v_and_b32_e32 v9, 7, v63
; %bb.303:                              ;   in Loop: Header=BB266_13 Depth=1
	s_or_b32 exec_lo, exec_lo, s45
	v_lshlrev_b32_e32 v1, 8, v1
	s_delay_alu instid0(VALU_DEP_3) | instskip(NEXT) | instid1(VALU_DEP_3)
	v_lshl_add_u32 v61, v61, 10, 0x2000
	v_lshlrev_b32_e32 v9, 23, v9
	s_delay_alu instid0(VALU_DEP_2) | instskip(NEXT) | instid1(VALU_DEP_1)
	v_and_or_b32 v1, 0x8000, v1, v61
	v_lshl_or_b32 v61, v1, 16, v9
.LBB266_304:                            ;   in Loop: Header=BB266_13 Depth=1
	s_or_b32 exec_lo, exec_lo, s44
.LBB266_305:                            ;   in Loop: Header=BB266_13 Depth=1
	s_wait_alu 0xfffe
	s_or_b32 exec_lo, exec_lo, s43
.LBB266_306:                            ;   in Loop: Header=BB266_13 Depth=1
	s_wait_alu 0xfffe
	s_or_b32 exec_lo, exec_lo, s42
	global_load_b32 v9, v[7:8], off offset:1032
	v_mov_b32_e32 v63, 0
	s_mov_b32 s42, exec_lo
	s_wait_loadcnt 0x0
	v_dual_mov_b32 v64, 0 :: v_dual_and_b32 v1, 0xff, v9
	s_delay_alu instid0(VALU_DEP_1)
	v_cmpx_ne_u16_e32 0, v1
	s_cbranch_execz .LBB266_314
; %bb.307:                              ;   in Loop: Header=BB266_13 Depth=1
	v_mov_b32_e32 v64, 0x8000
	s_mov_b32 s43, exec_lo
	v_cmpx_ne_u16_e32 0x80, v1
	s_cbranch_execz .LBB266_313
; %bb.308:                              ;   in Loop: Header=BB266_13 Depth=1
	v_and_b32_e32 v65, 0x7f, v9
	v_mov_b32_e32 v64, 0x7c01
	s_mov_b32 s44, exec_lo
	s_delay_alu instid0(VALU_DEP_2)
	v_cmpx_ne_u32_e32 0x7f, v65
	s_cbranch_execz .LBB266_312
; %bb.309:                              ;   in Loop: Header=BB266_13 Depth=1
	v_and_b32_e32 v1, 7, v9
	v_lshrrev_b32_e32 v64, 3, v65
	s_mov_b32 s45, exec_lo
	v_cmpx_gt_u32_e32 8, v65
; %bb.310:                              ;   in Loop: Header=BB266_13 Depth=1
	s_delay_alu instid0(VALU_DEP_3) | instskip(NEXT) | instid1(VALU_DEP_1)
	v_clz_i32_u32_e32 v1, v1
	v_min_u32_e32 v1, 32, v1
	s_delay_alu instid0(VALU_DEP_1) | instskip(NEXT) | instid1(VALU_DEP_1)
	v_subrev_nc_u32_e32 v64, 28, v1
	v_lshlrev_b64_e32 v[65:66], v64, v[9:10]
	v_sub_nc_u32_e32 v64, 29, v1
	s_delay_alu instid0(VALU_DEP_2)
	v_and_b32_e32 v1, 7, v65
; %bb.311:                              ;   in Loop: Header=BB266_13 Depth=1
	s_or_b32 exec_lo, exec_lo, s45
	v_lshlrev_b32_e32 v65, 8, v9
	s_delay_alu instid0(VALU_DEP_3) | instskip(NEXT) | instid1(VALU_DEP_3)
	v_lshl_add_u32 v64, v64, 10, 0x2000
	v_lshlrev_b32_e32 v1, 7, v1
	s_delay_alu instid0(VALU_DEP_3) | instskip(NEXT) | instid1(VALU_DEP_3)
	v_and_b32_e32 v65, 0x8000, v65
	v_and_b32_e32 v64, 0xfc00, v64
	s_delay_alu instid0(VALU_DEP_1)
	v_or3_b32 v64, v65, v64, v1
.LBB266_312:                            ;   in Loop: Header=BB266_13 Depth=1
	s_or_b32 exec_lo, exec_lo, s44
.LBB266_313:                            ;   in Loop: Header=BB266_13 Depth=1
	s_wait_alu 0xfffe
	s_or_b32 exec_lo, exec_lo, s43
.LBB266_314:                            ;   in Loop: Header=BB266_13 Depth=1
	s_wait_alu 0xfffe
	s_or_b32 exec_lo, exec_lo, s42
	v_lshrrev_b16 v1, 8, v9
	s_mov_b32 s42, exec_lo
	s_delay_alu instid0(VALU_DEP_1)
	v_cmpx_ne_u16_e32 0, v1
	s_cbranch_execz .LBB266_322
; %bb.315:                              ;   in Loop: Header=BB266_13 Depth=1
	v_bfrev_b32_e32 v63, 1
	s_mov_b32 s43, exec_lo
	v_cmpx_ne_u16_e32 0x80, v1
	s_cbranch_execz .LBB266_321
; %bb.316:                              ;   in Loop: Header=BB266_13 Depth=1
	v_and_b32_e32 v65, 0xffff, v1
	v_mov_b32_e32 v63, 0x7c010000
	s_mov_b32 s44, exec_lo
	s_delay_alu instid0(VALU_DEP_2) | instskip(NEXT) | instid1(VALU_DEP_1)
	v_and_b32_e32 v67, 0x7f, v65
	v_cmpx_ne_u32_e32 0x7f, v67
	s_cbranch_execz .LBB266_320
; %bb.317:                              ;   in Loop: Header=BB266_13 Depth=1
	v_and_b32_e32 v63, 7, v65
	v_lshrrev_b32_e32 v66, 3, v67
	s_mov_b32 s45, exec_lo
	v_cmpx_gt_u32_e32 8, v67
; %bb.318:                              ;   in Loop: Header=BB266_13 Depth=1
	s_delay_alu instid0(VALU_DEP_3) | instskip(NEXT) | instid1(VALU_DEP_1)
	v_clz_i32_u32_e32 v63, v63
	v_min_u32_e32 v63, 32, v63
	s_delay_alu instid0(VALU_DEP_1) | instskip(NEXT) | instid1(VALU_DEP_1)
	v_subrev_nc_u32_e32 v66, 28, v63
	v_lshlrev_b64_e32 v[67:68], v66, v[1:2]
	v_sub_nc_u32_e32 v66, 29, v63
	s_delay_alu instid0(VALU_DEP_2)
	v_and_b32_e32 v63, 7, v67
; %bb.319:                              ;   in Loop: Header=BB266_13 Depth=1
	s_or_b32 exec_lo, exec_lo, s45
	v_lshlrev_b32_e32 v1, 8, v65
	s_delay_alu instid0(VALU_DEP_3) | instskip(NEXT) | instid1(VALU_DEP_3)
	v_lshl_add_u32 v65, v66, 10, 0x2000
	v_lshlrev_b32_e32 v63, 23, v63
	s_delay_alu instid0(VALU_DEP_2) | instskip(NEXT) | instid1(VALU_DEP_1)
	v_and_or_b32 v1, 0x8000, v1, v65
	v_lshl_or_b32 v63, v1, 16, v63
.LBB266_320:                            ;   in Loop: Header=BB266_13 Depth=1
	s_or_b32 exec_lo, exec_lo, s44
.LBB266_321:                            ;   in Loop: Header=BB266_13 Depth=1
	s_wait_alu 0xfffe
	s_or_b32 exec_lo, exec_lo, s43
.LBB266_322:                            ;   in Loop: Header=BB266_13 Depth=1
	s_wait_alu 0xfffe
	s_or_b32 exec_lo, exec_lo, s42
	v_lshrrev_b32_e32 v1, 16, v9
	v_mov_b32_e32 v65, 0
	s_mov_b32 s42, exec_lo
	s_delay_alu instid0(VALU_DEP_2) | instskip(NEXT) | instid1(VALU_DEP_1)
	v_dual_mov_b32 v66, 0 :: v_dual_and_b32 v67, 0xff, v1
	v_cmpx_ne_u16_e32 0, v67
	s_cbranch_execz .LBB266_330
; %bb.323:                              ;   in Loop: Header=BB266_13 Depth=1
	v_mov_b32_e32 v66, 0x8000
	s_mov_b32 s43, exec_lo
	v_cmpx_ne_u16_e32 0x80, v67
	s_cbranch_execz .LBB266_329
; %bb.324:                              ;   in Loop: Header=BB266_13 Depth=1
	v_bfe_u32 v68, v9, 16, 7
	v_mov_b32_e32 v66, 0x7c01
	s_mov_b32 s44, exec_lo
	s_delay_alu instid0(VALU_DEP_2)
	v_cmpx_ne_u32_e32 0x7f, v68
	s_cbranch_execz .LBB266_328
; %bb.325:                              ;   in Loop: Header=BB266_13 Depth=1
	v_and_b32_e32 v66, 7, v1
	v_lshrrev_b32_e32 v67, 3, v68
	s_mov_b32 s45, exec_lo
	v_cmpx_gt_u32_e32 8, v68
; %bb.326:                              ;   in Loop: Header=BB266_13 Depth=1
	s_delay_alu instid0(VALU_DEP_3) | instskip(NEXT) | instid1(VALU_DEP_1)
	v_clz_i32_u32_e32 v66, v66
	v_min_u32_e32 v68, 32, v66
	s_delay_alu instid0(VALU_DEP_1) | instskip(NEXT) | instid1(VALU_DEP_1)
	v_subrev_nc_u32_e32 v66, 28, v68
	v_lshlrev_b64_e32 v[66:67], v66, v[1:2]
	v_sub_nc_u32_e32 v67, 29, v68
	s_delay_alu instid0(VALU_DEP_2)
	v_and_b32_e32 v66, 7, v66
; %bb.327:                              ;   in Loop: Header=BB266_13 Depth=1
	s_or_b32 exec_lo, exec_lo, s45
	v_lshlrev_b32_e32 v1, 8, v1
	s_delay_alu instid0(VALU_DEP_3) | instskip(NEXT) | instid1(VALU_DEP_3)
	v_lshl_add_u32 v67, v67, 10, 0x2000
	v_lshlrev_b32_e32 v66, 7, v66
	s_delay_alu instid0(VALU_DEP_3) | instskip(NEXT) | instid1(VALU_DEP_3)
	v_and_b32_e32 v1, 0x8000, v1
	v_and_b32_e32 v67, 0xfc00, v67
	s_delay_alu instid0(VALU_DEP_1)
	v_or3_b32 v66, v1, v67, v66
.LBB266_328:                            ;   in Loop: Header=BB266_13 Depth=1
	s_or_b32 exec_lo, exec_lo, s44
.LBB266_329:                            ;   in Loop: Header=BB266_13 Depth=1
	s_wait_alu 0xfffe
	s_or_b32 exec_lo, exec_lo, s43
.LBB266_330:                            ;   in Loop: Header=BB266_13 Depth=1
	s_wait_alu 0xfffe
	s_or_b32 exec_lo, exec_lo, s42
	s_delay_alu instid0(SALU_CYCLE_1)
	s_mov_b32 s42, exec_lo
	v_cmpx_lt_u32_e32 0xffffff, v9
	s_cbranch_execz .LBB266_338
; %bb.331:                              ;   in Loop: Header=BB266_13 Depth=1
	v_lshrrev_b32_e32 v1, 24, v9
	v_bfrev_b32_e32 v65, 1
	s_mov_b32 s43, exec_lo
	s_delay_alu instid0(VALU_DEP_2)
	v_cmpx_ne_u32_e32 0x80, v1
	s_cbranch_execz .LBB266_337
; %bb.332:                              ;   in Loop: Header=BB266_13 Depth=1
	v_and_b32_e32 v67, 0x7f, v1
	v_mov_b32_e32 v65, 0x7c010000
	s_mov_b32 s44, exec_lo
	s_delay_alu instid0(VALU_DEP_2)
	v_cmpx_ne_u32_e32 0x7f, v67
	s_cbranch_execz .LBB266_336
; %bb.333:                              ;   in Loop: Header=BB266_13 Depth=1
	v_and_b32_e32 v9, 7, v1
	v_lshrrev_b32_e32 v65, 3, v67
	s_mov_b32 s45, exec_lo
	v_cmpx_gt_u32_e32 8, v67
; %bb.334:                              ;   in Loop: Header=BB266_13 Depth=1
	s_delay_alu instid0(VALU_DEP_3) | instskip(NEXT) | instid1(VALU_DEP_1)
	v_clz_i32_u32_e32 v9, v9
	v_min_u32_e32 v9, 32, v9
	s_delay_alu instid0(VALU_DEP_1) | instskip(NEXT) | instid1(VALU_DEP_1)
	v_subrev_nc_u32_e32 v65, 28, v9
	v_lshlrev_b64_e32 v[67:68], v65, v[1:2]
	v_sub_nc_u32_e32 v65, 29, v9
	s_delay_alu instid0(VALU_DEP_2)
	v_and_b32_e32 v9, 7, v67
; %bb.335:                              ;   in Loop: Header=BB266_13 Depth=1
	s_or_b32 exec_lo, exec_lo, s45
	v_lshlrev_b32_e32 v1, 8, v1
	s_delay_alu instid0(VALU_DEP_3) | instskip(NEXT) | instid1(VALU_DEP_3)
	v_lshl_add_u32 v65, v65, 10, 0x2000
	v_lshlrev_b32_e32 v9, 23, v9
	s_delay_alu instid0(VALU_DEP_2) | instskip(NEXT) | instid1(VALU_DEP_1)
	v_and_or_b32 v1, 0x8000, v1, v65
	v_lshl_or_b32 v65, v1, 16, v9
.LBB266_336:                            ;   in Loop: Header=BB266_13 Depth=1
	s_or_b32 exec_lo, exec_lo, s44
.LBB266_337:                            ;   in Loop: Header=BB266_13 Depth=1
	s_wait_alu 0xfffe
	s_or_b32 exec_lo, exec_lo, s43
.LBB266_338:                            ;   in Loop: Header=BB266_13 Depth=1
	s_wait_alu 0xfffe
	s_or_b32 exec_lo, exec_lo, s42
	global_load_b32 v9, v[7:8], off offset:1280
	v_mov_b32_e32 v67, 0
	s_mov_b32 s42, exec_lo
	s_wait_loadcnt 0x0
	v_dual_mov_b32 v68, 0 :: v_dual_and_b32 v1, 0xff, v9
	s_delay_alu instid0(VALU_DEP_1)
	v_cmpx_ne_u16_e32 0, v1
	s_cbranch_execz .LBB266_346
; %bb.339:                              ;   in Loop: Header=BB266_13 Depth=1
	v_mov_b32_e32 v68, 0x8000
	s_mov_b32 s43, exec_lo
	v_cmpx_ne_u16_e32 0x80, v1
	s_cbranch_execz .LBB266_345
; %bb.340:                              ;   in Loop: Header=BB266_13 Depth=1
	v_and_b32_e32 v69, 0x7f, v9
	v_mov_b32_e32 v68, 0x7c01
	s_mov_b32 s44, exec_lo
	s_delay_alu instid0(VALU_DEP_2)
	v_cmpx_ne_u32_e32 0x7f, v69
	s_cbranch_execz .LBB266_344
; %bb.341:                              ;   in Loop: Header=BB266_13 Depth=1
	v_and_b32_e32 v1, 7, v9
	v_lshrrev_b32_e32 v68, 3, v69
	s_mov_b32 s45, exec_lo
	v_cmpx_gt_u32_e32 8, v69
; %bb.342:                              ;   in Loop: Header=BB266_13 Depth=1
	s_delay_alu instid0(VALU_DEP_3) | instskip(NEXT) | instid1(VALU_DEP_1)
	v_clz_i32_u32_e32 v1, v1
	v_min_u32_e32 v1, 32, v1
	s_delay_alu instid0(VALU_DEP_1) | instskip(NEXT) | instid1(VALU_DEP_1)
	v_subrev_nc_u32_e32 v68, 28, v1
	v_lshlrev_b64_e32 v[69:70], v68, v[9:10]
	v_sub_nc_u32_e32 v68, 29, v1
	s_delay_alu instid0(VALU_DEP_2)
	v_and_b32_e32 v1, 7, v69
; %bb.343:                              ;   in Loop: Header=BB266_13 Depth=1
	s_or_b32 exec_lo, exec_lo, s45
	v_lshlrev_b32_e32 v69, 8, v9
	s_delay_alu instid0(VALU_DEP_3) | instskip(NEXT) | instid1(VALU_DEP_3)
	v_lshl_add_u32 v68, v68, 10, 0x2000
	v_lshlrev_b32_e32 v1, 7, v1
	s_delay_alu instid0(VALU_DEP_3) | instskip(NEXT) | instid1(VALU_DEP_3)
	v_and_b32_e32 v69, 0x8000, v69
	v_and_b32_e32 v68, 0xfc00, v68
	s_delay_alu instid0(VALU_DEP_1)
	v_or3_b32 v68, v69, v68, v1
.LBB266_344:                            ;   in Loop: Header=BB266_13 Depth=1
	s_or_b32 exec_lo, exec_lo, s44
.LBB266_345:                            ;   in Loop: Header=BB266_13 Depth=1
	s_wait_alu 0xfffe
	s_or_b32 exec_lo, exec_lo, s43
.LBB266_346:                            ;   in Loop: Header=BB266_13 Depth=1
	s_wait_alu 0xfffe
	s_or_b32 exec_lo, exec_lo, s42
	v_lshrrev_b16 v1, 8, v9
	s_mov_b32 s42, exec_lo
	s_delay_alu instid0(VALU_DEP_1)
	v_cmpx_ne_u16_e32 0, v1
	s_cbranch_execz .LBB266_354
; %bb.347:                              ;   in Loop: Header=BB266_13 Depth=1
	v_bfrev_b32_e32 v67, 1
	s_mov_b32 s43, exec_lo
	v_cmpx_ne_u16_e32 0x80, v1
	s_cbranch_execz .LBB266_353
; %bb.348:                              ;   in Loop: Header=BB266_13 Depth=1
	v_and_b32_e32 v69, 0xffff, v1
	v_mov_b32_e32 v67, 0x7c010000
	s_mov_b32 s44, exec_lo
	s_delay_alu instid0(VALU_DEP_2) | instskip(NEXT) | instid1(VALU_DEP_1)
	v_and_b32_e32 v71, 0x7f, v69
	v_cmpx_ne_u32_e32 0x7f, v71
	s_cbranch_execz .LBB266_352
; %bb.349:                              ;   in Loop: Header=BB266_13 Depth=1
	v_and_b32_e32 v67, 7, v69
	v_lshrrev_b32_e32 v70, 3, v71
	s_mov_b32 s45, exec_lo
	v_cmpx_gt_u32_e32 8, v71
; %bb.350:                              ;   in Loop: Header=BB266_13 Depth=1
	s_delay_alu instid0(VALU_DEP_3) | instskip(NEXT) | instid1(VALU_DEP_1)
	v_clz_i32_u32_e32 v67, v67
	v_min_u32_e32 v67, 32, v67
	s_delay_alu instid0(VALU_DEP_1) | instskip(NEXT) | instid1(VALU_DEP_1)
	v_subrev_nc_u32_e32 v70, 28, v67
	v_lshlrev_b64_e32 v[71:72], v70, v[1:2]
	v_sub_nc_u32_e32 v70, 29, v67
	s_delay_alu instid0(VALU_DEP_2)
	v_and_b32_e32 v67, 7, v71
; %bb.351:                              ;   in Loop: Header=BB266_13 Depth=1
	s_or_b32 exec_lo, exec_lo, s45
	v_lshlrev_b32_e32 v1, 8, v69
	s_delay_alu instid0(VALU_DEP_3) | instskip(NEXT) | instid1(VALU_DEP_3)
	v_lshl_add_u32 v69, v70, 10, 0x2000
	v_lshlrev_b32_e32 v67, 23, v67
	s_delay_alu instid0(VALU_DEP_2) | instskip(NEXT) | instid1(VALU_DEP_1)
	v_and_or_b32 v1, 0x8000, v1, v69
	v_lshl_or_b32 v67, v1, 16, v67
.LBB266_352:                            ;   in Loop: Header=BB266_13 Depth=1
	s_or_b32 exec_lo, exec_lo, s44
.LBB266_353:                            ;   in Loop: Header=BB266_13 Depth=1
	s_wait_alu 0xfffe
	s_or_b32 exec_lo, exec_lo, s43
.LBB266_354:                            ;   in Loop: Header=BB266_13 Depth=1
	s_wait_alu 0xfffe
	s_or_b32 exec_lo, exec_lo, s42
	v_lshrrev_b32_e32 v1, 16, v9
	v_mov_b32_e32 v69, 0
	s_mov_b32 s42, exec_lo
	s_delay_alu instid0(VALU_DEP_2) | instskip(NEXT) | instid1(VALU_DEP_1)
	v_dual_mov_b32 v70, 0 :: v_dual_and_b32 v71, 0xff, v1
	v_cmpx_ne_u16_e32 0, v71
	s_cbranch_execz .LBB266_362
; %bb.355:                              ;   in Loop: Header=BB266_13 Depth=1
	v_mov_b32_e32 v70, 0x8000
	s_mov_b32 s43, exec_lo
	v_cmpx_ne_u16_e32 0x80, v71
	s_cbranch_execz .LBB266_361
; %bb.356:                              ;   in Loop: Header=BB266_13 Depth=1
	v_bfe_u32 v72, v9, 16, 7
	v_mov_b32_e32 v70, 0x7c01
	s_mov_b32 s44, exec_lo
	s_delay_alu instid0(VALU_DEP_2)
	v_cmpx_ne_u32_e32 0x7f, v72
	s_cbranch_execz .LBB266_360
; %bb.357:                              ;   in Loop: Header=BB266_13 Depth=1
	v_and_b32_e32 v70, 7, v1
	v_lshrrev_b32_e32 v71, 3, v72
	s_mov_b32 s45, exec_lo
	v_cmpx_gt_u32_e32 8, v72
; %bb.358:                              ;   in Loop: Header=BB266_13 Depth=1
	s_delay_alu instid0(VALU_DEP_3) | instskip(NEXT) | instid1(VALU_DEP_1)
	v_clz_i32_u32_e32 v70, v70
	v_min_u32_e32 v72, 32, v70
	s_delay_alu instid0(VALU_DEP_1) | instskip(NEXT) | instid1(VALU_DEP_1)
	v_subrev_nc_u32_e32 v70, 28, v72
	v_lshlrev_b64_e32 v[70:71], v70, v[1:2]
	v_sub_nc_u32_e32 v71, 29, v72
	s_delay_alu instid0(VALU_DEP_2)
	v_and_b32_e32 v70, 7, v70
; %bb.359:                              ;   in Loop: Header=BB266_13 Depth=1
	s_or_b32 exec_lo, exec_lo, s45
	v_lshlrev_b32_e32 v1, 8, v1
	s_delay_alu instid0(VALU_DEP_3) | instskip(NEXT) | instid1(VALU_DEP_3)
	v_lshl_add_u32 v71, v71, 10, 0x2000
	v_lshlrev_b32_e32 v70, 7, v70
	s_delay_alu instid0(VALU_DEP_3) | instskip(NEXT) | instid1(VALU_DEP_3)
	v_and_b32_e32 v1, 0x8000, v1
	v_and_b32_e32 v71, 0xfc00, v71
	s_delay_alu instid0(VALU_DEP_1)
	v_or3_b32 v70, v1, v71, v70
.LBB266_360:                            ;   in Loop: Header=BB266_13 Depth=1
	s_or_b32 exec_lo, exec_lo, s44
.LBB266_361:                            ;   in Loop: Header=BB266_13 Depth=1
	s_wait_alu 0xfffe
	s_or_b32 exec_lo, exec_lo, s43
.LBB266_362:                            ;   in Loop: Header=BB266_13 Depth=1
	s_wait_alu 0xfffe
	s_or_b32 exec_lo, exec_lo, s42
	s_delay_alu instid0(SALU_CYCLE_1)
	s_mov_b32 s42, exec_lo
	v_cmpx_lt_u32_e32 0xffffff, v9
	s_cbranch_execz .LBB266_370
; %bb.363:                              ;   in Loop: Header=BB266_13 Depth=1
	v_lshrrev_b32_e32 v1, 24, v9
	v_bfrev_b32_e32 v69, 1
	s_mov_b32 s43, exec_lo
	s_delay_alu instid0(VALU_DEP_2)
	v_cmpx_ne_u32_e32 0x80, v1
	s_cbranch_execz .LBB266_369
; %bb.364:                              ;   in Loop: Header=BB266_13 Depth=1
	v_and_b32_e32 v71, 0x7f, v1
	v_mov_b32_e32 v69, 0x7c010000
	s_mov_b32 s44, exec_lo
	s_delay_alu instid0(VALU_DEP_2)
	v_cmpx_ne_u32_e32 0x7f, v71
	s_cbranch_execz .LBB266_368
; %bb.365:                              ;   in Loop: Header=BB266_13 Depth=1
	v_and_b32_e32 v9, 7, v1
	v_lshrrev_b32_e32 v69, 3, v71
	s_mov_b32 s45, exec_lo
	v_cmpx_gt_u32_e32 8, v71
; %bb.366:                              ;   in Loop: Header=BB266_13 Depth=1
	s_delay_alu instid0(VALU_DEP_3) | instskip(NEXT) | instid1(VALU_DEP_1)
	v_clz_i32_u32_e32 v9, v9
	v_min_u32_e32 v9, 32, v9
	s_delay_alu instid0(VALU_DEP_1) | instskip(NEXT) | instid1(VALU_DEP_1)
	v_subrev_nc_u32_e32 v69, 28, v9
	v_lshlrev_b64_e32 v[71:72], v69, v[1:2]
	v_sub_nc_u32_e32 v69, 29, v9
	s_delay_alu instid0(VALU_DEP_2)
	v_and_b32_e32 v9, 7, v71
; %bb.367:                              ;   in Loop: Header=BB266_13 Depth=1
	s_or_b32 exec_lo, exec_lo, s45
	v_lshlrev_b32_e32 v1, 8, v1
	s_delay_alu instid0(VALU_DEP_3) | instskip(NEXT) | instid1(VALU_DEP_3)
	v_lshl_add_u32 v69, v69, 10, 0x2000
	v_lshlrev_b32_e32 v9, 23, v9
	s_delay_alu instid0(VALU_DEP_2) | instskip(NEXT) | instid1(VALU_DEP_1)
	v_and_or_b32 v1, 0x8000, v1, v69
	v_lshl_or_b32 v69, v1, 16, v9
.LBB266_368:                            ;   in Loop: Header=BB266_13 Depth=1
	s_or_b32 exec_lo, exec_lo, s44
.LBB266_369:                            ;   in Loop: Header=BB266_13 Depth=1
	s_wait_alu 0xfffe
	s_or_b32 exec_lo, exec_lo, s43
.LBB266_370:                            ;   in Loop: Header=BB266_13 Depth=1
	s_wait_alu 0xfffe
	s_or_b32 exec_lo, exec_lo, s42
	global_load_b32 v9, v[7:8], off offset:1288
	v_mov_b32_e32 v71, 0
	s_mov_b32 s42, exec_lo
	s_wait_loadcnt 0x0
	v_dual_mov_b32 v72, 0 :: v_dual_and_b32 v1, 0xff, v9
	s_delay_alu instid0(VALU_DEP_1)
	v_cmpx_ne_u16_e32 0, v1
	s_cbranch_execz .LBB266_378
; %bb.371:                              ;   in Loop: Header=BB266_13 Depth=1
	v_mov_b32_e32 v72, 0x8000
	s_mov_b32 s43, exec_lo
	v_cmpx_ne_u16_e32 0x80, v1
	s_cbranch_execz .LBB266_377
; %bb.372:                              ;   in Loop: Header=BB266_13 Depth=1
	v_and_b32_e32 v73, 0x7f, v9
	v_mov_b32_e32 v72, 0x7c01
	s_mov_b32 s44, exec_lo
	s_delay_alu instid0(VALU_DEP_2)
	v_cmpx_ne_u32_e32 0x7f, v73
	s_cbranch_execz .LBB266_376
; %bb.373:                              ;   in Loop: Header=BB266_13 Depth=1
	v_and_b32_e32 v1, 7, v9
	v_lshrrev_b32_e32 v72, 3, v73
	s_mov_b32 s45, exec_lo
	v_cmpx_gt_u32_e32 8, v73
; %bb.374:                              ;   in Loop: Header=BB266_13 Depth=1
	s_delay_alu instid0(VALU_DEP_3) | instskip(NEXT) | instid1(VALU_DEP_1)
	v_clz_i32_u32_e32 v1, v1
	v_min_u32_e32 v1, 32, v1
	s_delay_alu instid0(VALU_DEP_1) | instskip(NEXT) | instid1(VALU_DEP_1)
	v_subrev_nc_u32_e32 v72, 28, v1
	v_lshlrev_b64_e32 v[73:74], v72, v[9:10]
	v_sub_nc_u32_e32 v72, 29, v1
	s_delay_alu instid0(VALU_DEP_2)
	v_and_b32_e32 v1, 7, v73
; %bb.375:                              ;   in Loop: Header=BB266_13 Depth=1
	s_or_b32 exec_lo, exec_lo, s45
	v_lshlrev_b32_e32 v73, 8, v9
	s_delay_alu instid0(VALU_DEP_3) | instskip(NEXT) | instid1(VALU_DEP_3)
	v_lshl_add_u32 v72, v72, 10, 0x2000
	v_lshlrev_b32_e32 v1, 7, v1
	s_delay_alu instid0(VALU_DEP_3) | instskip(NEXT) | instid1(VALU_DEP_3)
	v_and_b32_e32 v73, 0x8000, v73
	v_and_b32_e32 v72, 0xfc00, v72
	s_delay_alu instid0(VALU_DEP_1)
	v_or3_b32 v72, v73, v72, v1
.LBB266_376:                            ;   in Loop: Header=BB266_13 Depth=1
	s_or_b32 exec_lo, exec_lo, s44
.LBB266_377:                            ;   in Loop: Header=BB266_13 Depth=1
	s_wait_alu 0xfffe
	s_or_b32 exec_lo, exec_lo, s43
.LBB266_378:                            ;   in Loop: Header=BB266_13 Depth=1
	s_wait_alu 0xfffe
	s_or_b32 exec_lo, exec_lo, s42
	v_lshrrev_b16 v1, 8, v9
	s_mov_b32 s42, exec_lo
	s_delay_alu instid0(VALU_DEP_1)
	v_cmpx_ne_u16_e32 0, v1
	s_cbranch_execz .LBB266_386
; %bb.379:                              ;   in Loop: Header=BB266_13 Depth=1
	v_bfrev_b32_e32 v71, 1
	s_mov_b32 s43, exec_lo
	v_cmpx_ne_u16_e32 0x80, v1
	s_cbranch_execz .LBB266_385
; %bb.380:                              ;   in Loop: Header=BB266_13 Depth=1
	v_and_b32_e32 v73, 0xffff, v1
	v_mov_b32_e32 v71, 0x7c010000
	s_mov_b32 s44, exec_lo
	s_delay_alu instid0(VALU_DEP_2) | instskip(NEXT) | instid1(VALU_DEP_1)
	v_and_b32_e32 v75, 0x7f, v73
	v_cmpx_ne_u32_e32 0x7f, v75
	s_cbranch_execz .LBB266_384
; %bb.381:                              ;   in Loop: Header=BB266_13 Depth=1
	v_and_b32_e32 v71, 7, v73
	v_lshrrev_b32_e32 v74, 3, v75
	s_mov_b32 s45, exec_lo
	v_cmpx_gt_u32_e32 8, v75
; %bb.382:                              ;   in Loop: Header=BB266_13 Depth=1
	s_delay_alu instid0(VALU_DEP_3) | instskip(NEXT) | instid1(VALU_DEP_1)
	v_clz_i32_u32_e32 v71, v71
	v_min_u32_e32 v71, 32, v71
	s_delay_alu instid0(VALU_DEP_1) | instskip(NEXT) | instid1(VALU_DEP_1)
	v_subrev_nc_u32_e32 v74, 28, v71
	v_lshlrev_b64_e32 v[75:76], v74, v[1:2]
	v_sub_nc_u32_e32 v74, 29, v71
	s_delay_alu instid0(VALU_DEP_2)
	v_and_b32_e32 v71, 7, v75
; %bb.383:                              ;   in Loop: Header=BB266_13 Depth=1
	s_or_b32 exec_lo, exec_lo, s45
	v_lshlrev_b32_e32 v1, 8, v73
	s_delay_alu instid0(VALU_DEP_3) | instskip(NEXT) | instid1(VALU_DEP_3)
	v_lshl_add_u32 v73, v74, 10, 0x2000
	v_lshlrev_b32_e32 v71, 23, v71
	s_delay_alu instid0(VALU_DEP_2) | instskip(NEXT) | instid1(VALU_DEP_1)
	v_and_or_b32 v1, 0x8000, v1, v73
	v_lshl_or_b32 v71, v1, 16, v71
.LBB266_384:                            ;   in Loop: Header=BB266_13 Depth=1
	s_or_b32 exec_lo, exec_lo, s44
.LBB266_385:                            ;   in Loop: Header=BB266_13 Depth=1
	s_wait_alu 0xfffe
	s_or_b32 exec_lo, exec_lo, s43
.LBB266_386:                            ;   in Loop: Header=BB266_13 Depth=1
	s_wait_alu 0xfffe
	s_or_b32 exec_lo, exec_lo, s42
	v_lshrrev_b32_e32 v1, 16, v9
	v_mov_b32_e32 v73, 0
	s_mov_b32 s42, exec_lo
	s_delay_alu instid0(VALU_DEP_2) | instskip(NEXT) | instid1(VALU_DEP_1)
	v_dual_mov_b32 v74, 0 :: v_dual_and_b32 v75, 0xff, v1
	v_cmpx_ne_u16_e32 0, v75
	s_cbranch_execz .LBB266_394
; %bb.387:                              ;   in Loop: Header=BB266_13 Depth=1
	v_mov_b32_e32 v74, 0x8000
	s_mov_b32 s43, exec_lo
	v_cmpx_ne_u16_e32 0x80, v75
	s_cbranch_execz .LBB266_393
; %bb.388:                              ;   in Loop: Header=BB266_13 Depth=1
	v_bfe_u32 v76, v9, 16, 7
	v_mov_b32_e32 v74, 0x7c01
	s_mov_b32 s44, exec_lo
	s_delay_alu instid0(VALU_DEP_2)
	v_cmpx_ne_u32_e32 0x7f, v76
	s_cbranch_execz .LBB266_392
; %bb.389:                              ;   in Loop: Header=BB266_13 Depth=1
	v_and_b32_e32 v74, 7, v1
	v_lshrrev_b32_e32 v75, 3, v76
	s_mov_b32 s45, exec_lo
	v_cmpx_gt_u32_e32 8, v76
; %bb.390:                              ;   in Loop: Header=BB266_13 Depth=1
	s_delay_alu instid0(VALU_DEP_3) | instskip(NEXT) | instid1(VALU_DEP_1)
	v_clz_i32_u32_e32 v74, v74
	v_min_u32_e32 v76, 32, v74
	s_delay_alu instid0(VALU_DEP_1) | instskip(NEXT) | instid1(VALU_DEP_1)
	v_subrev_nc_u32_e32 v74, 28, v76
	v_lshlrev_b64_e32 v[74:75], v74, v[1:2]
	v_sub_nc_u32_e32 v75, 29, v76
	s_delay_alu instid0(VALU_DEP_2)
	v_and_b32_e32 v74, 7, v74
; %bb.391:                              ;   in Loop: Header=BB266_13 Depth=1
	s_or_b32 exec_lo, exec_lo, s45
	v_lshlrev_b32_e32 v1, 8, v1
	s_delay_alu instid0(VALU_DEP_3) | instskip(NEXT) | instid1(VALU_DEP_3)
	v_lshl_add_u32 v75, v75, 10, 0x2000
	v_lshlrev_b32_e32 v74, 7, v74
	s_delay_alu instid0(VALU_DEP_3) | instskip(NEXT) | instid1(VALU_DEP_3)
	v_and_b32_e32 v1, 0x8000, v1
	v_and_b32_e32 v75, 0xfc00, v75
	s_delay_alu instid0(VALU_DEP_1)
	v_or3_b32 v74, v1, v75, v74
.LBB266_392:                            ;   in Loop: Header=BB266_13 Depth=1
	s_or_b32 exec_lo, exec_lo, s44
.LBB266_393:                            ;   in Loop: Header=BB266_13 Depth=1
	s_wait_alu 0xfffe
	s_or_b32 exec_lo, exec_lo, s43
.LBB266_394:                            ;   in Loop: Header=BB266_13 Depth=1
	s_wait_alu 0xfffe
	s_or_b32 exec_lo, exec_lo, s42
	s_delay_alu instid0(SALU_CYCLE_1)
	s_mov_b32 s42, exec_lo
	v_cmpx_lt_u32_e32 0xffffff, v9
	s_cbranch_execz .LBB266_402
; %bb.395:                              ;   in Loop: Header=BB266_13 Depth=1
	v_lshrrev_b32_e32 v1, 24, v9
	v_bfrev_b32_e32 v73, 1
	s_mov_b32 s43, exec_lo
	s_delay_alu instid0(VALU_DEP_2)
	v_cmpx_ne_u32_e32 0x80, v1
	s_cbranch_execz .LBB266_401
; %bb.396:                              ;   in Loop: Header=BB266_13 Depth=1
	v_and_b32_e32 v75, 0x7f, v1
	v_mov_b32_e32 v73, 0x7c010000
	s_mov_b32 s44, exec_lo
	s_delay_alu instid0(VALU_DEP_2)
	v_cmpx_ne_u32_e32 0x7f, v75
	s_cbranch_execz .LBB266_400
; %bb.397:                              ;   in Loop: Header=BB266_13 Depth=1
	v_and_b32_e32 v9, 7, v1
	v_lshrrev_b32_e32 v73, 3, v75
	s_mov_b32 s45, exec_lo
	v_cmpx_gt_u32_e32 8, v75
; %bb.398:                              ;   in Loop: Header=BB266_13 Depth=1
	s_delay_alu instid0(VALU_DEP_3) | instskip(NEXT) | instid1(VALU_DEP_1)
	v_clz_i32_u32_e32 v9, v9
	v_min_u32_e32 v9, 32, v9
	s_delay_alu instid0(VALU_DEP_1) | instskip(NEXT) | instid1(VALU_DEP_1)
	v_subrev_nc_u32_e32 v73, 28, v9
	v_lshlrev_b64_e32 v[75:76], v73, v[1:2]
	v_sub_nc_u32_e32 v73, 29, v9
	s_delay_alu instid0(VALU_DEP_2)
	v_and_b32_e32 v9, 7, v75
; %bb.399:                              ;   in Loop: Header=BB266_13 Depth=1
	s_or_b32 exec_lo, exec_lo, s45
	v_lshlrev_b32_e32 v1, 8, v1
	s_delay_alu instid0(VALU_DEP_3) | instskip(NEXT) | instid1(VALU_DEP_3)
	v_lshl_add_u32 v73, v73, 10, 0x2000
	v_lshlrev_b32_e32 v9, 23, v9
	s_delay_alu instid0(VALU_DEP_2) | instskip(NEXT) | instid1(VALU_DEP_1)
	v_and_or_b32 v1, 0x8000, v1, v73
	v_lshl_or_b32 v73, v1, 16, v9
.LBB266_400:                            ;   in Loop: Header=BB266_13 Depth=1
	s_or_b32 exec_lo, exec_lo, s44
.LBB266_401:                            ;   in Loop: Header=BB266_13 Depth=1
	s_wait_alu 0xfffe
	s_or_b32 exec_lo, exec_lo, s43
.LBB266_402:                            ;   in Loop: Header=BB266_13 Depth=1
	s_wait_alu 0xfffe
	s_or_b32 exec_lo, exec_lo, s42
	global_load_b32 v9, v[7:8], off offset:1536
	v_mov_b32_e32 v75, 0
	s_mov_b32 s42, exec_lo
	s_wait_loadcnt 0x0
	v_dual_mov_b32 v76, 0 :: v_dual_and_b32 v1, 0xff, v9
	s_delay_alu instid0(VALU_DEP_1)
	v_cmpx_ne_u16_e32 0, v1
	s_cbranch_execz .LBB266_410
; %bb.403:                              ;   in Loop: Header=BB266_13 Depth=1
	v_mov_b32_e32 v76, 0x8000
	s_mov_b32 s43, exec_lo
	v_cmpx_ne_u16_e32 0x80, v1
	s_cbranch_execz .LBB266_409
; %bb.404:                              ;   in Loop: Header=BB266_13 Depth=1
	v_and_b32_e32 v77, 0x7f, v9
	v_mov_b32_e32 v76, 0x7c01
	s_mov_b32 s44, exec_lo
	s_delay_alu instid0(VALU_DEP_2)
	v_cmpx_ne_u32_e32 0x7f, v77
	s_cbranch_execz .LBB266_408
; %bb.405:                              ;   in Loop: Header=BB266_13 Depth=1
	v_and_b32_e32 v1, 7, v9
	v_lshrrev_b32_e32 v76, 3, v77
	s_mov_b32 s45, exec_lo
	v_cmpx_gt_u32_e32 8, v77
; %bb.406:                              ;   in Loop: Header=BB266_13 Depth=1
	s_delay_alu instid0(VALU_DEP_3) | instskip(NEXT) | instid1(VALU_DEP_1)
	v_clz_i32_u32_e32 v1, v1
	v_min_u32_e32 v1, 32, v1
	s_delay_alu instid0(VALU_DEP_1) | instskip(NEXT) | instid1(VALU_DEP_1)
	v_subrev_nc_u32_e32 v76, 28, v1
	v_lshlrev_b64_e32 v[77:78], v76, v[9:10]
	v_sub_nc_u32_e32 v76, 29, v1
	s_delay_alu instid0(VALU_DEP_2)
	v_and_b32_e32 v1, 7, v77
; %bb.407:                              ;   in Loop: Header=BB266_13 Depth=1
	s_or_b32 exec_lo, exec_lo, s45
	v_lshlrev_b32_e32 v77, 8, v9
	s_delay_alu instid0(VALU_DEP_3) | instskip(NEXT) | instid1(VALU_DEP_3)
	v_lshl_add_u32 v76, v76, 10, 0x2000
	v_lshlrev_b32_e32 v1, 7, v1
	s_delay_alu instid0(VALU_DEP_3) | instskip(NEXT) | instid1(VALU_DEP_3)
	v_and_b32_e32 v77, 0x8000, v77
	v_and_b32_e32 v76, 0xfc00, v76
	s_delay_alu instid0(VALU_DEP_1)
	v_or3_b32 v76, v77, v76, v1
.LBB266_408:                            ;   in Loop: Header=BB266_13 Depth=1
	s_or_b32 exec_lo, exec_lo, s44
.LBB266_409:                            ;   in Loop: Header=BB266_13 Depth=1
	s_wait_alu 0xfffe
	s_or_b32 exec_lo, exec_lo, s43
.LBB266_410:                            ;   in Loop: Header=BB266_13 Depth=1
	s_wait_alu 0xfffe
	s_or_b32 exec_lo, exec_lo, s42
	v_lshrrev_b16 v1, 8, v9
	s_mov_b32 s42, exec_lo
	s_delay_alu instid0(VALU_DEP_1)
	v_cmpx_ne_u16_e32 0, v1
	s_cbranch_execz .LBB266_418
; %bb.411:                              ;   in Loop: Header=BB266_13 Depth=1
	v_bfrev_b32_e32 v75, 1
	s_mov_b32 s43, exec_lo
	v_cmpx_ne_u16_e32 0x80, v1
	s_cbranch_execz .LBB266_417
; %bb.412:                              ;   in Loop: Header=BB266_13 Depth=1
	v_and_b32_e32 v77, 0xffff, v1
	v_mov_b32_e32 v75, 0x7c010000
	s_mov_b32 s44, exec_lo
	s_delay_alu instid0(VALU_DEP_2) | instskip(NEXT) | instid1(VALU_DEP_1)
	v_and_b32_e32 v79, 0x7f, v77
	v_cmpx_ne_u32_e32 0x7f, v79
	s_cbranch_execz .LBB266_416
; %bb.413:                              ;   in Loop: Header=BB266_13 Depth=1
	v_and_b32_e32 v75, 7, v77
	v_lshrrev_b32_e32 v78, 3, v79
	s_mov_b32 s45, exec_lo
	v_cmpx_gt_u32_e32 8, v79
; %bb.414:                              ;   in Loop: Header=BB266_13 Depth=1
	s_delay_alu instid0(VALU_DEP_3) | instskip(NEXT) | instid1(VALU_DEP_1)
	v_clz_i32_u32_e32 v75, v75
	v_min_u32_e32 v75, 32, v75
	s_delay_alu instid0(VALU_DEP_1) | instskip(NEXT) | instid1(VALU_DEP_1)
	v_subrev_nc_u32_e32 v78, 28, v75
	v_lshlrev_b64_e32 v[79:80], v78, v[1:2]
	v_sub_nc_u32_e32 v78, 29, v75
	s_delay_alu instid0(VALU_DEP_2)
	v_and_b32_e32 v75, 7, v79
; %bb.415:                              ;   in Loop: Header=BB266_13 Depth=1
	s_or_b32 exec_lo, exec_lo, s45
	v_lshlrev_b32_e32 v1, 8, v77
	s_delay_alu instid0(VALU_DEP_3) | instskip(NEXT) | instid1(VALU_DEP_3)
	v_lshl_add_u32 v77, v78, 10, 0x2000
	v_lshlrev_b32_e32 v75, 23, v75
	s_delay_alu instid0(VALU_DEP_2) | instskip(NEXT) | instid1(VALU_DEP_1)
	v_and_or_b32 v1, 0x8000, v1, v77
	v_lshl_or_b32 v75, v1, 16, v75
.LBB266_416:                            ;   in Loop: Header=BB266_13 Depth=1
	s_or_b32 exec_lo, exec_lo, s44
.LBB266_417:                            ;   in Loop: Header=BB266_13 Depth=1
	s_wait_alu 0xfffe
	s_or_b32 exec_lo, exec_lo, s43
.LBB266_418:                            ;   in Loop: Header=BB266_13 Depth=1
	s_wait_alu 0xfffe
	s_or_b32 exec_lo, exec_lo, s42
	v_lshrrev_b32_e32 v1, 16, v9
	v_mov_b32_e32 v77, 0
	s_mov_b32 s42, exec_lo
	s_delay_alu instid0(VALU_DEP_2) | instskip(NEXT) | instid1(VALU_DEP_1)
	v_dual_mov_b32 v78, 0 :: v_dual_and_b32 v79, 0xff, v1
	v_cmpx_ne_u16_e32 0, v79
	s_cbranch_execz .LBB266_426
; %bb.419:                              ;   in Loop: Header=BB266_13 Depth=1
	v_mov_b32_e32 v78, 0x8000
	s_mov_b32 s43, exec_lo
	v_cmpx_ne_u16_e32 0x80, v79
	s_cbranch_execz .LBB266_425
; %bb.420:                              ;   in Loop: Header=BB266_13 Depth=1
	v_bfe_u32 v80, v9, 16, 7
	v_mov_b32_e32 v78, 0x7c01
	s_mov_b32 s44, exec_lo
	s_delay_alu instid0(VALU_DEP_2)
	v_cmpx_ne_u32_e32 0x7f, v80
	s_cbranch_execz .LBB266_424
; %bb.421:                              ;   in Loop: Header=BB266_13 Depth=1
	v_and_b32_e32 v78, 7, v1
	v_lshrrev_b32_e32 v79, 3, v80
	s_mov_b32 s45, exec_lo
	v_cmpx_gt_u32_e32 8, v80
; %bb.422:                              ;   in Loop: Header=BB266_13 Depth=1
	s_delay_alu instid0(VALU_DEP_3) | instskip(NEXT) | instid1(VALU_DEP_1)
	v_clz_i32_u32_e32 v78, v78
	v_min_u32_e32 v80, 32, v78
	s_delay_alu instid0(VALU_DEP_1) | instskip(NEXT) | instid1(VALU_DEP_1)
	v_subrev_nc_u32_e32 v78, 28, v80
	v_lshlrev_b64_e32 v[78:79], v78, v[1:2]
	v_sub_nc_u32_e32 v79, 29, v80
	s_delay_alu instid0(VALU_DEP_2)
	v_and_b32_e32 v78, 7, v78
; %bb.423:                              ;   in Loop: Header=BB266_13 Depth=1
	s_or_b32 exec_lo, exec_lo, s45
	v_lshlrev_b32_e32 v1, 8, v1
	s_delay_alu instid0(VALU_DEP_3) | instskip(NEXT) | instid1(VALU_DEP_3)
	v_lshl_add_u32 v79, v79, 10, 0x2000
	v_lshlrev_b32_e32 v78, 7, v78
	s_delay_alu instid0(VALU_DEP_3) | instskip(NEXT) | instid1(VALU_DEP_3)
	v_and_b32_e32 v1, 0x8000, v1
	v_and_b32_e32 v79, 0xfc00, v79
	s_delay_alu instid0(VALU_DEP_1)
	v_or3_b32 v78, v1, v79, v78
.LBB266_424:                            ;   in Loop: Header=BB266_13 Depth=1
	s_or_b32 exec_lo, exec_lo, s44
.LBB266_425:                            ;   in Loop: Header=BB266_13 Depth=1
	s_wait_alu 0xfffe
	s_or_b32 exec_lo, exec_lo, s43
.LBB266_426:                            ;   in Loop: Header=BB266_13 Depth=1
	s_wait_alu 0xfffe
	s_or_b32 exec_lo, exec_lo, s42
	s_delay_alu instid0(SALU_CYCLE_1)
	s_mov_b32 s42, exec_lo
	v_cmpx_lt_u32_e32 0xffffff, v9
	s_cbranch_execz .LBB266_434
; %bb.427:                              ;   in Loop: Header=BB266_13 Depth=1
	v_lshrrev_b32_e32 v1, 24, v9
	v_bfrev_b32_e32 v77, 1
	s_mov_b32 s43, exec_lo
	s_delay_alu instid0(VALU_DEP_2)
	v_cmpx_ne_u32_e32 0x80, v1
	s_cbranch_execz .LBB266_433
; %bb.428:                              ;   in Loop: Header=BB266_13 Depth=1
	v_and_b32_e32 v79, 0x7f, v1
	v_mov_b32_e32 v77, 0x7c010000
	s_mov_b32 s44, exec_lo
	s_delay_alu instid0(VALU_DEP_2)
	v_cmpx_ne_u32_e32 0x7f, v79
	s_cbranch_execz .LBB266_432
; %bb.429:                              ;   in Loop: Header=BB266_13 Depth=1
	v_and_b32_e32 v9, 7, v1
	v_lshrrev_b32_e32 v77, 3, v79
	s_mov_b32 s45, exec_lo
	v_cmpx_gt_u32_e32 8, v79
; %bb.430:                              ;   in Loop: Header=BB266_13 Depth=1
	s_delay_alu instid0(VALU_DEP_3) | instskip(NEXT) | instid1(VALU_DEP_1)
	v_clz_i32_u32_e32 v9, v9
	v_min_u32_e32 v9, 32, v9
	s_delay_alu instid0(VALU_DEP_1) | instskip(NEXT) | instid1(VALU_DEP_1)
	v_subrev_nc_u32_e32 v77, 28, v9
	v_lshlrev_b64_e32 v[79:80], v77, v[1:2]
	v_sub_nc_u32_e32 v77, 29, v9
	s_delay_alu instid0(VALU_DEP_2)
	v_and_b32_e32 v9, 7, v79
; %bb.431:                              ;   in Loop: Header=BB266_13 Depth=1
	s_or_b32 exec_lo, exec_lo, s45
	v_lshlrev_b32_e32 v1, 8, v1
	s_delay_alu instid0(VALU_DEP_3) | instskip(NEXT) | instid1(VALU_DEP_3)
	v_lshl_add_u32 v77, v77, 10, 0x2000
	v_lshlrev_b32_e32 v9, 23, v9
	s_delay_alu instid0(VALU_DEP_2) | instskip(NEXT) | instid1(VALU_DEP_1)
	v_and_or_b32 v1, 0x8000, v1, v77
	v_lshl_or_b32 v77, v1, 16, v9
.LBB266_432:                            ;   in Loop: Header=BB266_13 Depth=1
	s_or_b32 exec_lo, exec_lo, s44
.LBB266_433:                            ;   in Loop: Header=BB266_13 Depth=1
	s_wait_alu 0xfffe
	s_or_b32 exec_lo, exec_lo, s43
.LBB266_434:                            ;   in Loop: Header=BB266_13 Depth=1
	s_wait_alu 0xfffe
	s_or_b32 exec_lo, exec_lo, s42
	global_load_b32 v9, v[7:8], off offset:1544
	v_mov_b32_e32 v79, 0
	s_mov_b32 s42, exec_lo
	s_wait_loadcnt 0x0
	v_dual_mov_b32 v80, 0 :: v_dual_and_b32 v1, 0xff, v9
	s_delay_alu instid0(VALU_DEP_1)
	v_cmpx_ne_u16_e32 0, v1
	s_cbranch_execz .LBB266_442
; %bb.435:                              ;   in Loop: Header=BB266_13 Depth=1
	v_mov_b32_e32 v80, 0x8000
	s_mov_b32 s43, exec_lo
	v_cmpx_ne_u16_e32 0x80, v1
	s_cbranch_execz .LBB266_441
; %bb.436:                              ;   in Loop: Header=BB266_13 Depth=1
	v_and_b32_e32 v81, 0x7f, v9
	v_mov_b32_e32 v80, 0x7c01
	s_mov_b32 s44, exec_lo
	s_delay_alu instid0(VALU_DEP_2)
	v_cmpx_ne_u32_e32 0x7f, v81
	s_cbranch_execz .LBB266_440
; %bb.437:                              ;   in Loop: Header=BB266_13 Depth=1
	v_and_b32_e32 v1, 7, v9
	v_lshrrev_b32_e32 v80, 3, v81
	s_mov_b32 s45, exec_lo
	v_cmpx_gt_u32_e32 8, v81
; %bb.438:                              ;   in Loop: Header=BB266_13 Depth=1
	s_delay_alu instid0(VALU_DEP_3) | instskip(NEXT) | instid1(VALU_DEP_1)
	v_clz_i32_u32_e32 v1, v1
	v_min_u32_e32 v1, 32, v1
	s_delay_alu instid0(VALU_DEP_1) | instskip(NEXT) | instid1(VALU_DEP_1)
	v_subrev_nc_u32_e32 v80, 28, v1
	v_lshlrev_b64_e32 v[81:82], v80, v[9:10]
	v_sub_nc_u32_e32 v80, 29, v1
	s_delay_alu instid0(VALU_DEP_2)
	v_and_b32_e32 v1, 7, v81
; %bb.439:                              ;   in Loop: Header=BB266_13 Depth=1
	s_or_b32 exec_lo, exec_lo, s45
	v_lshlrev_b32_e32 v81, 8, v9
	s_delay_alu instid0(VALU_DEP_3) | instskip(NEXT) | instid1(VALU_DEP_3)
	v_lshl_add_u32 v80, v80, 10, 0x2000
	v_lshlrev_b32_e32 v1, 7, v1
	s_delay_alu instid0(VALU_DEP_3) | instskip(NEXT) | instid1(VALU_DEP_3)
	v_and_b32_e32 v81, 0x8000, v81
	v_and_b32_e32 v80, 0xfc00, v80
	s_delay_alu instid0(VALU_DEP_1)
	v_or3_b32 v80, v81, v80, v1
.LBB266_440:                            ;   in Loop: Header=BB266_13 Depth=1
	s_or_b32 exec_lo, exec_lo, s44
.LBB266_441:                            ;   in Loop: Header=BB266_13 Depth=1
	s_wait_alu 0xfffe
	s_or_b32 exec_lo, exec_lo, s43
.LBB266_442:                            ;   in Loop: Header=BB266_13 Depth=1
	s_wait_alu 0xfffe
	s_or_b32 exec_lo, exec_lo, s42
	v_lshrrev_b16 v1, 8, v9
	s_mov_b32 s42, exec_lo
	s_delay_alu instid0(VALU_DEP_1)
	v_cmpx_ne_u16_e32 0, v1
	s_cbranch_execz .LBB266_450
; %bb.443:                              ;   in Loop: Header=BB266_13 Depth=1
	v_bfrev_b32_e32 v79, 1
	s_mov_b32 s43, exec_lo
	v_cmpx_ne_u16_e32 0x80, v1
	s_cbranch_execz .LBB266_449
; %bb.444:                              ;   in Loop: Header=BB266_13 Depth=1
	v_and_b32_e32 v81, 0xffff, v1
	v_mov_b32_e32 v79, 0x7c010000
	s_mov_b32 s44, exec_lo
	s_delay_alu instid0(VALU_DEP_2) | instskip(NEXT) | instid1(VALU_DEP_1)
	v_and_b32_e32 v83, 0x7f, v81
	v_cmpx_ne_u32_e32 0x7f, v83
	s_cbranch_execz .LBB266_448
; %bb.445:                              ;   in Loop: Header=BB266_13 Depth=1
	v_and_b32_e32 v79, 7, v81
	v_lshrrev_b32_e32 v82, 3, v83
	s_mov_b32 s45, exec_lo
	v_cmpx_gt_u32_e32 8, v83
; %bb.446:                              ;   in Loop: Header=BB266_13 Depth=1
	s_delay_alu instid0(VALU_DEP_3) | instskip(NEXT) | instid1(VALU_DEP_1)
	v_clz_i32_u32_e32 v79, v79
	v_min_u32_e32 v79, 32, v79
	s_delay_alu instid0(VALU_DEP_1) | instskip(NEXT) | instid1(VALU_DEP_1)
	v_subrev_nc_u32_e32 v82, 28, v79
	v_lshlrev_b64_e32 v[83:84], v82, v[1:2]
	v_sub_nc_u32_e32 v82, 29, v79
	s_delay_alu instid0(VALU_DEP_2)
	v_and_b32_e32 v79, 7, v83
; %bb.447:                              ;   in Loop: Header=BB266_13 Depth=1
	s_or_b32 exec_lo, exec_lo, s45
	v_lshlrev_b32_e32 v1, 8, v81
	s_delay_alu instid0(VALU_DEP_3) | instskip(NEXT) | instid1(VALU_DEP_3)
	v_lshl_add_u32 v81, v82, 10, 0x2000
	v_lshlrev_b32_e32 v79, 23, v79
	s_delay_alu instid0(VALU_DEP_2) | instskip(NEXT) | instid1(VALU_DEP_1)
	v_and_or_b32 v1, 0x8000, v1, v81
	v_lshl_or_b32 v79, v1, 16, v79
.LBB266_448:                            ;   in Loop: Header=BB266_13 Depth=1
	s_or_b32 exec_lo, exec_lo, s44
.LBB266_449:                            ;   in Loop: Header=BB266_13 Depth=1
	s_wait_alu 0xfffe
	s_or_b32 exec_lo, exec_lo, s43
.LBB266_450:                            ;   in Loop: Header=BB266_13 Depth=1
	s_wait_alu 0xfffe
	s_or_b32 exec_lo, exec_lo, s42
	v_lshrrev_b32_e32 v1, 16, v9
	v_mov_b32_e32 v81, 0
	s_mov_b32 s42, exec_lo
	s_delay_alu instid0(VALU_DEP_2) | instskip(NEXT) | instid1(VALU_DEP_1)
	v_dual_mov_b32 v82, 0 :: v_dual_and_b32 v83, 0xff, v1
	v_cmpx_ne_u16_e32 0, v83
	s_cbranch_execz .LBB266_458
; %bb.451:                              ;   in Loop: Header=BB266_13 Depth=1
	v_mov_b32_e32 v82, 0x8000
	s_mov_b32 s43, exec_lo
	v_cmpx_ne_u16_e32 0x80, v83
	s_cbranch_execz .LBB266_457
; %bb.452:                              ;   in Loop: Header=BB266_13 Depth=1
	v_bfe_u32 v84, v9, 16, 7
	v_mov_b32_e32 v82, 0x7c01
	s_mov_b32 s44, exec_lo
	s_delay_alu instid0(VALU_DEP_2)
	v_cmpx_ne_u32_e32 0x7f, v84
	s_cbranch_execz .LBB266_456
; %bb.453:                              ;   in Loop: Header=BB266_13 Depth=1
	v_and_b32_e32 v82, 7, v1
	v_lshrrev_b32_e32 v83, 3, v84
	s_mov_b32 s45, exec_lo
	v_cmpx_gt_u32_e32 8, v84
; %bb.454:                              ;   in Loop: Header=BB266_13 Depth=1
	s_delay_alu instid0(VALU_DEP_3) | instskip(NEXT) | instid1(VALU_DEP_1)
	v_clz_i32_u32_e32 v82, v82
	v_min_u32_e32 v84, 32, v82
	s_delay_alu instid0(VALU_DEP_1) | instskip(NEXT) | instid1(VALU_DEP_1)
	v_subrev_nc_u32_e32 v82, 28, v84
	v_lshlrev_b64_e32 v[82:83], v82, v[1:2]
	v_sub_nc_u32_e32 v83, 29, v84
	s_delay_alu instid0(VALU_DEP_2)
	v_and_b32_e32 v82, 7, v82
; %bb.455:                              ;   in Loop: Header=BB266_13 Depth=1
	s_or_b32 exec_lo, exec_lo, s45
	v_lshlrev_b32_e32 v1, 8, v1
	s_delay_alu instid0(VALU_DEP_3) | instskip(NEXT) | instid1(VALU_DEP_3)
	v_lshl_add_u32 v83, v83, 10, 0x2000
	v_lshlrev_b32_e32 v82, 7, v82
	s_delay_alu instid0(VALU_DEP_3) | instskip(NEXT) | instid1(VALU_DEP_3)
	v_and_b32_e32 v1, 0x8000, v1
	v_and_b32_e32 v83, 0xfc00, v83
	s_delay_alu instid0(VALU_DEP_1)
	v_or3_b32 v82, v1, v83, v82
.LBB266_456:                            ;   in Loop: Header=BB266_13 Depth=1
	s_or_b32 exec_lo, exec_lo, s44
.LBB266_457:                            ;   in Loop: Header=BB266_13 Depth=1
	s_wait_alu 0xfffe
	s_or_b32 exec_lo, exec_lo, s43
.LBB266_458:                            ;   in Loop: Header=BB266_13 Depth=1
	s_wait_alu 0xfffe
	s_or_b32 exec_lo, exec_lo, s42
	s_delay_alu instid0(SALU_CYCLE_1)
	s_mov_b32 s42, exec_lo
	v_cmpx_lt_u32_e32 0xffffff, v9
	s_cbranch_execz .LBB266_466
; %bb.459:                              ;   in Loop: Header=BB266_13 Depth=1
	v_lshrrev_b32_e32 v1, 24, v9
	v_bfrev_b32_e32 v81, 1
	s_mov_b32 s43, exec_lo
	s_delay_alu instid0(VALU_DEP_2)
	v_cmpx_ne_u32_e32 0x80, v1
	s_cbranch_execz .LBB266_465
; %bb.460:                              ;   in Loop: Header=BB266_13 Depth=1
	v_and_b32_e32 v83, 0x7f, v1
	v_mov_b32_e32 v81, 0x7c010000
	s_mov_b32 s44, exec_lo
	s_delay_alu instid0(VALU_DEP_2)
	v_cmpx_ne_u32_e32 0x7f, v83
	s_cbranch_execz .LBB266_464
; %bb.461:                              ;   in Loop: Header=BB266_13 Depth=1
	v_and_b32_e32 v9, 7, v1
	v_lshrrev_b32_e32 v81, 3, v83
	s_mov_b32 s45, exec_lo
	v_cmpx_gt_u32_e32 8, v83
; %bb.462:                              ;   in Loop: Header=BB266_13 Depth=1
	s_delay_alu instid0(VALU_DEP_3) | instskip(NEXT) | instid1(VALU_DEP_1)
	v_clz_i32_u32_e32 v9, v9
	v_min_u32_e32 v9, 32, v9
	s_delay_alu instid0(VALU_DEP_1) | instskip(NEXT) | instid1(VALU_DEP_1)
	v_subrev_nc_u32_e32 v81, 28, v9
	v_lshlrev_b64_e32 v[83:84], v81, v[1:2]
	v_sub_nc_u32_e32 v81, 29, v9
	s_delay_alu instid0(VALU_DEP_2)
	v_and_b32_e32 v9, 7, v83
; %bb.463:                              ;   in Loop: Header=BB266_13 Depth=1
	s_or_b32 exec_lo, exec_lo, s45
	v_lshlrev_b32_e32 v1, 8, v1
	s_delay_alu instid0(VALU_DEP_3) | instskip(NEXT) | instid1(VALU_DEP_3)
	v_lshl_add_u32 v81, v81, 10, 0x2000
	v_lshlrev_b32_e32 v9, 23, v9
	s_delay_alu instid0(VALU_DEP_2) | instskip(NEXT) | instid1(VALU_DEP_1)
	v_and_or_b32 v1, 0x8000, v1, v81
	v_lshl_or_b32 v81, v1, 16, v9
.LBB266_464:                            ;   in Loop: Header=BB266_13 Depth=1
	s_or_b32 exec_lo, exec_lo, s44
.LBB266_465:                            ;   in Loop: Header=BB266_13 Depth=1
	s_wait_alu 0xfffe
	s_or_b32 exec_lo, exec_lo, s43
.LBB266_466:                            ;   in Loop: Header=BB266_13 Depth=1
	s_wait_alu 0xfffe
	s_or_b32 exec_lo, exec_lo, s42
	global_load_b32 v7, v[7:8], off offset:1792
	v_mov_b32_e32 v9, 0
	s_mov_b32 s42, exec_lo
	s_wait_loadcnt 0x0
	v_dual_mov_b32 v8, 0 :: v_dual_and_b32 v1, 0xff, v7
	s_delay_alu instid0(VALU_DEP_1)
	v_cmpx_ne_u16_e32 0, v1
	s_cbranch_execz .LBB266_474
; %bb.467:                              ;   in Loop: Header=BB266_13 Depth=1
	v_mov_b32_e32 v9, 0x8000
	s_mov_b32 s43, exec_lo
	v_cmpx_ne_u16_e32 0x80, v1
	s_cbranch_execz .LBB266_473
; %bb.468:                              ;   in Loop: Header=BB266_13 Depth=1
	v_and_b32_e32 v83, 0x7f, v7
	v_mov_b32_e32 v9, 0x7c01
	s_mov_b32 s44, exec_lo
	s_delay_alu instid0(VALU_DEP_2)
	v_cmpx_ne_u32_e32 0x7f, v83
	s_cbranch_execz .LBB266_472
; %bb.469:                              ;   in Loop: Header=BB266_13 Depth=1
	v_and_b32_e32 v1, 7, v7
	v_lshrrev_b32_e32 v9, 3, v83
	s_mov_b32 s45, exec_lo
	v_cmpx_gt_u32_e32 8, v83
; %bb.470:                              ;   in Loop: Header=BB266_13 Depth=1
	s_delay_alu instid0(VALU_DEP_3) | instskip(NEXT) | instid1(VALU_DEP_1)
	v_clz_i32_u32_e32 v1, v1
	v_min_u32_e32 v1, 32, v1
	s_delay_alu instid0(VALU_DEP_1) | instskip(NEXT) | instid1(VALU_DEP_1)
	v_subrev_nc_u32_e32 v9, 28, v1
	v_lshlrev_b64_e32 v[83:84], v9, v[7:8]
	v_sub_nc_u32_e32 v9, 29, v1
	s_delay_alu instid0(VALU_DEP_2)
	v_and_b32_e32 v1, 7, v83
; %bb.471:                              ;   in Loop: Header=BB266_13 Depth=1
	s_or_b32 exec_lo, exec_lo, s45
	v_lshlrev_b32_e32 v83, 8, v7
	s_delay_alu instid0(VALU_DEP_3) | instskip(NEXT) | instid1(VALU_DEP_3)
	v_lshl_add_u32 v9, v9, 10, 0x2000
	v_lshlrev_b32_e32 v1, 7, v1
	s_delay_alu instid0(VALU_DEP_3) | instskip(NEXT) | instid1(VALU_DEP_3)
	v_and_b32_e32 v83, 0x8000, v83
	v_and_b32_e32 v9, 0xfc00, v9
	s_delay_alu instid0(VALU_DEP_1)
	v_or3_b32 v9, v83, v9, v1
.LBB266_472:                            ;   in Loop: Header=BB266_13 Depth=1
	s_or_b32 exec_lo, exec_lo, s44
.LBB266_473:                            ;   in Loop: Header=BB266_13 Depth=1
	s_wait_alu 0xfffe
	s_or_b32 exec_lo, exec_lo, s43
.LBB266_474:                            ;   in Loop: Header=BB266_13 Depth=1
	s_wait_alu 0xfffe
	s_or_b32 exec_lo, exec_lo, s42
	v_lshrrev_b16 v1, 8, v7
	s_mov_b32 s42, exec_lo
	s_delay_alu instid0(VALU_DEP_1)
	v_cmpx_ne_u16_e32 0, v1
	s_cbranch_execz .LBB266_482
; %bb.475:                              ;   in Loop: Header=BB266_13 Depth=1
	v_bfrev_b32_e32 v8, 1
	s_mov_b32 s43, exec_lo
	v_cmpx_ne_u16_e32 0x80, v1
	s_cbranch_execz .LBB266_481
; %bb.476:                              ;   in Loop: Header=BB266_13 Depth=1
	v_and_b32_e32 v83, 0xffff, v1
	v_mov_b32_e32 v8, 0x7c010000
	s_mov_b32 s44, exec_lo
	s_delay_alu instid0(VALU_DEP_2) | instskip(NEXT) | instid1(VALU_DEP_1)
	v_and_b32_e32 v85, 0x7f, v83
	v_cmpx_ne_u32_e32 0x7f, v85
	s_cbranch_execz .LBB266_480
; %bb.477:                              ;   in Loop: Header=BB266_13 Depth=1
	v_and_b32_e32 v8, 7, v83
	v_lshrrev_b32_e32 v84, 3, v85
	s_mov_b32 s45, exec_lo
	v_cmpx_gt_u32_e32 8, v85
; %bb.478:                              ;   in Loop: Header=BB266_13 Depth=1
	s_delay_alu instid0(VALU_DEP_3) | instskip(NEXT) | instid1(VALU_DEP_1)
	v_clz_i32_u32_e32 v8, v8
	v_min_u32_e32 v8, 32, v8
	s_delay_alu instid0(VALU_DEP_1) | instskip(NEXT) | instid1(VALU_DEP_1)
	v_subrev_nc_u32_e32 v84, 28, v8
	v_lshlrev_b64_e32 v[85:86], v84, v[1:2]
	v_sub_nc_u32_e32 v84, 29, v8
	s_delay_alu instid0(VALU_DEP_2)
	v_and_b32_e32 v8, 7, v85
; %bb.479:                              ;   in Loop: Header=BB266_13 Depth=1
	s_or_b32 exec_lo, exec_lo, s45
	v_lshlrev_b32_e32 v1, 8, v83
	s_delay_alu instid0(VALU_DEP_3) | instskip(NEXT) | instid1(VALU_DEP_3)
	v_lshl_add_u32 v83, v84, 10, 0x2000
	v_lshlrev_b32_e32 v8, 23, v8
	s_delay_alu instid0(VALU_DEP_2) | instskip(NEXT) | instid1(VALU_DEP_1)
	v_and_or_b32 v1, 0x8000, v1, v83
	v_lshl_or_b32 v8, v1, 16, v8
.LBB266_480:                            ;   in Loop: Header=BB266_13 Depth=1
	s_or_b32 exec_lo, exec_lo, s44
.LBB266_481:                            ;   in Loop: Header=BB266_13 Depth=1
	s_wait_alu 0xfffe
	s_or_b32 exec_lo, exec_lo, s43
.LBB266_482:                            ;   in Loop: Header=BB266_13 Depth=1
	s_wait_alu 0xfffe
	s_or_b32 exec_lo, exec_lo, s42
	v_lshrrev_b32_e32 v1, 16, v7
	v_mov_b32_e32 v83, 0
	s_mov_b32 s42, exec_lo
	s_delay_alu instid0(VALU_DEP_2) | instskip(NEXT) | instid1(VALU_DEP_1)
	v_dual_mov_b32 v84, 0 :: v_dual_and_b32 v85, 0xff, v1
	v_cmpx_ne_u16_e32 0, v85
	s_cbranch_execz .LBB266_490
; %bb.483:                              ;   in Loop: Header=BB266_13 Depth=1
	v_mov_b32_e32 v84, 0x8000
	s_mov_b32 s43, exec_lo
	v_cmpx_ne_u16_e32 0x80, v85
	s_cbranch_execz .LBB266_489
; %bb.484:                              ;   in Loop: Header=BB266_13 Depth=1
	v_bfe_u32 v86, v7, 16, 7
	v_mov_b32_e32 v84, 0x7c01
	s_mov_b32 s44, exec_lo
	s_delay_alu instid0(VALU_DEP_2)
	v_cmpx_ne_u32_e32 0x7f, v86
	s_cbranch_execz .LBB266_488
; %bb.485:                              ;   in Loop: Header=BB266_13 Depth=1
	v_and_b32_e32 v84, 7, v1
	v_lshrrev_b32_e32 v85, 3, v86
	s_mov_b32 s45, exec_lo
	v_cmpx_gt_u32_e32 8, v86
; %bb.486:                              ;   in Loop: Header=BB266_13 Depth=1
	s_delay_alu instid0(VALU_DEP_3) | instskip(NEXT) | instid1(VALU_DEP_1)
	v_clz_i32_u32_e32 v84, v84
	v_min_u32_e32 v86, 32, v84
	s_delay_alu instid0(VALU_DEP_1) | instskip(NEXT) | instid1(VALU_DEP_1)
	v_subrev_nc_u32_e32 v84, 28, v86
	v_lshlrev_b64_e32 v[84:85], v84, v[1:2]
	v_sub_nc_u32_e32 v85, 29, v86
	s_delay_alu instid0(VALU_DEP_2)
	v_and_b32_e32 v84, 7, v84
; %bb.487:                              ;   in Loop: Header=BB266_13 Depth=1
	s_or_b32 exec_lo, exec_lo, s45
	v_lshlrev_b32_e32 v1, 8, v1
	s_delay_alu instid0(VALU_DEP_3) | instskip(NEXT) | instid1(VALU_DEP_3)
	v_lshl_add_u32 v85, v85, 10, 0x2000
	v_lshlrev_b32_e32 v84, 7, v84
	s_delay_alu instid0(VALU_DEP_3) | instskip(NEXT) | instid1(VALU_DEP_3)
	v_and_b32_e32 v1, 0x8000, v1
	v_and_b32_e32 v85, 0xfc00, v85
	s_delay_alu instid0(VALU_DEP_1)
	v_or3_b32 v84, v1, v85, v84
.LBB266_488:                            ;   in Loop: Header=BB266_13 Depth=1
	s_or_b32 exec_lo, exec_lo, s44
.LBB266_489:                            ;   in Loop: Header=BB266_13 Depth=1
	s_wait_alu 0xfffe
	s_or_b32 exec_lo, exec_lo, s43
.LBB266_490:                            ;   in Loop: Header=BB266_13 Depth=1
	s_wait_alu 0xfffe
	s_or_b32 exec_lo, exec_lo, s42
	s_delay_alu instid0(SALU_CYCLE_1)
	s_mov_b32 s42, exec_lo
	v_cmpx_lt_u32_e32 0xffffff, v7
	s_cbranch_execz .LBB266_498
; %bb.491:                              ;   in Loop: Header=BB266_13 Depth=1
	v_lshrrev_b32_e32 v1, 24, v7
	v_bfrev_b32_e32 v83, 1
	s_mov_b32 s43, exec_lo
	s_delay_alu instid0(VALU_DEP_2)
	v_cmpx_ne_u32_e32 0x80, v1
	s_cbranch_execz .LBB266_497
; %bb.492:                              ;   in Loop: Header=BB266_13 Depth=1
	v_and_b32_e32 v85, 0x7f, v1
	v_mov_b32_e32 v83, 0x7c010000
	s_mov_b32 s44, exec_lo
	s_delay_alu instid0(VALU_DEP_2)
	v_cmpx_ne_u32_e32 0x7f, v85
	s_cbranch_execz .LBB266_496
; %bb.493:                              ;   in Loop: Header=BB266_13 Depth=1
	v_and_b32_e32 v7, 7, v1
	v_lshrrev_b32_e32 v83, 3, v85
	s_mov_b32 s45, exec_lo
	v_cmpx_gt_u32_e32 8, v85
; %bb.494:                              ;   in Loop: Header=BB266_13 Depth=1
	s_delay_alu instid0(VALU_DEP_3) | instskip(NEXT) | instid1(VALU_DEP_1)
	v_clz_i32_u32_e32 v7, v7
	v_min_u32_e32 v7, 32, v7
	s_delay_alu instid0(VALU_DEP_1) | instskip(NEXT) | instid1(VALU_DEP_1)
	v_subrev_nc_u32_e32 v83, 28, v7
	v_lshlrev_b64_e32 v[85:86], v83, v[1:2]
	v_sub_nc_u32_e32 v83, 29, v7
	s_delay_alu instid0(VALU_DEP_2)
	v_and_b32_e32 v7, 7, v85
; %bb.495:                              ;   in Loop: Header=BB266_13 Depth=1
	s_or_b32 exec_lo, exec_lo, s45
	v_lshlrev_b32_e32 v1, 8, v1
	s_delay_alu instid0(VALU_DEP_3) | instskip(NEXT) | instid1(VALU_DEP_3)
	v_lshl_add_u32 v83, v83, 10, 0x2000
	v_lshlrev_b32_e32 v7, 23, v7
	s_delay_alu instid0(VALU_DEP_2) | instskip(NEXT) | instid1(VALU_DEP_1)
	v_and_or_b32 v1, 0x8000, v1, v83
	v_lshl_or_b32 v83, v1, 16, v7
.LBB266_496:                            ;   in Loop: Header=BB266_13 Depth=1
	s_or_b32 exec_lo, exec_lo, s44
.LBB266_497:                            ;   in Loop: Header=BB266_13 Depth=1
	s_wait_alu 0xfffe
	s_or_b32 exec_lo, exec_lo, s43
.LBB266_498:                            ;   in Loop: Header=BB266_13 Depth=1
	s_wait_alu 0xfffe
	s_or_b32 exec_lo, exec_lo, s42
	ds_load_b64 v[85:86], v20
	v_or_b32_e32 v1, v27, v28
	v_or_b32_e32 v7, v29, v30
	v_fma_mixlo_f16 v27, v26, v27, 0 op_sel:[0,1,0] op_sel_hi:[0,1,0]
	v_fma_mixlo_f16 v28, v26, v29, 0 op_sel:[0,1,0] op_sel_hi:[0,1,0]
	v_or_b32_e32 v32, v31, v32
	v_fma_mixlo_f16 v1, v26, v1, 0 op_sel_hi:[0,1,0]
	v_fma_mixlo_f16 v7, v26, v7, 0 op_sel_hi:[0,1,0]
	v_and_b32_e32 v29, 0xffff, v27
	v_and_b32_e32 v87, 0xffff, v28
	v_or_b32_e32 v34, v33, v34
	v_and_b32_e32 v27, 0xffff, v1
	v_fma_mixlo_f16 v31, v26, v31, 0 op_sel:[0,1,0] op_sel_hi:[0,1,0]
	v_fma_mixlo_f16 v33, v26, v33, 0 op_sel:[0,1,0] op_sel_hi:[0,1,0]
	v_fma_mixlo_f16 v32, v26, v32, 0 op_sel_hi:[0,1,0]
	v_fma_mixlo_f16 v34, v26, v34, 0 op_sel_hi:[0,1,0]
	v_or_b32_e32 v36, v35, v36
	v_or_b32_e32 v38, v37, v38
	v_fma_mixlo_f16 v35, v26, v35, 0 op_sel:[0,1,0] op_sel_hi:[0,1,0]
	v_fma_mixlo_f16 v37, v26, v37, 0 op_sel:[0,1,0] op_sel_hi:[0,1,0]
	s_wait_dscnt 0x0
	v_and_b32_e32 v1, 0xffff, v85
	v_lshrrev_b32_e32 v28, 16, v85
	v_and_b32_e32 v85, 0xffff, v7
	v_lshrrev_b32_e32 v30, 16, v86
	v_and_b32_e32 v86, 0xffff, v86
	;;#ASMSTART
	v_cvt_f32_f16 v1, v1;
	;;#ASMEND
	;;#ASMSTART
	v_cvt_f32_f16 v7, v28;
	;;#ASMEND
	;; [unrolled: 3-line block ×8, first 2 shown]
	ds_load_b64 v[87:88], v20 offset:8
	v_and_b32_e32 v89, 0xffff, v31
	v_and_b32_e32 v91, 0xffff, v33
	;; [unrolled: 1-line block ×4, first 2 shown]
	v_fma_mixlo_f16 v36, v26, v36, 0 op_sel_hi:[0,1,0]
	v_fma_mixlo_f16 v38, v26, v38, 0 op_sel_hi:[0,1,0]
	v_and_b32_e32 v93, 0xffff, v35
	v_and_b32_e32 v94, 0xffff, v37
	v_or_b32_e32 v40, v39, v40
	v_and_b32_e32 v37, 0xffff, v36
	v_and_b32_e32 v95, 0xffff, v38
	v_or_b32_e32 v42, v41, v42
	v_fma_mixlo_f16 v39, v26, v39, 0 op_sel:[0,1,0] op_sel_hi:[0,1,0]
	v_fma_mixlo_f16 v41, v26, v41, 0 op_sel:[0,1,0] op_sel_hi:[0,1,0]
	v_fma_mixlo_f16 v40, v26, v40, 0 op_sel_hi:[0,1,0]
	v_or_b32_e32 v44, v43, v44
	v_fma_mixlo_f16 v42, v26, v42, 0 op_sel_hi:[0,1,0]
	v_and_b32_e32 v97, 0xffff, v39
	v_or_b32_e32 v46, v45, v46
	s_wait_dscnt 0x0
	v_and_b32_e32 v31, 0xffff, v87
	v_lshrrev_b32_e32 v32, 16, v87
	;;#ASMSTART
	v_cvt_f32_f16 v31, v31;
	;;#ASMEND
	;;#ASMSTART
	v_cvt_f32_f16 v32, v32;
	;;#ASMEND
	;; [unrolled: 3-line block ×3, first 2 shown]
	v_mul_f32_e32 v34, v31, v34
	v_lshrrev_b32_e32 v92, 16, v88
	v_and_b32_e32 v88, 0xffff, v88
	;;#ASMSTART
	v_cvt_f32_f16 v87, v89;
	;;#ASMEND
	;;#ASMSTART
	v_cvt_f32_f16 v88, v88;
	;;#ASMEND
	;; [unrolled: 3-line block ×4, first 2 shown]
	v_fmac_f32_e32 v34, v1, v27
	;;#ASMSTART
	v_cvt_f32_f16 v89, v91;
	;;#ASMEND
	ds_load_b64 v[91:92], v20 offset:16
	v_mul_f32_e32 v33, v33, v89
	v_and_b32_e32 v99, 0xffff, v42
	v_fma_mixlo_f16 v43, v26, v43, 0 op_sel:[0,1,0] op_sel_hi:[0,1,0]
	v_fma_mixlo_f16 v45, v26, v45, 0 op_sel:[0,1,0] op_sel_hi:[0,1,0]
	v_fma_mixlo_f16 v44, v26, v44, 0 op_sel_hi:[0,1,0]
	v_fmac_f32_e32 v33, v30, v86
	v_fma_mixlo_f16 v46, v26, v46, 0 op_sel_hi:[0,1,0]
	v_and_b32_e32 v101, 0xffff, v43
	v_and_b32_e32 v102, 0xffff, v45
	;; [unrolled: 1-line block ×3, first 2 shown]
	v_or_b32_e32 v48, v47, v48
	v_and_b32_e32 v103, 0xffff, v46
	v_or_b32_e32 v52, v51, v52
	v_fma_mixlo_f16 v47, v26, v47, 0 op_sel:[0,1,0] op_sel_hi:[0,1,0]
	v_fma_mixlo_f16 v51, v26, v51, 0 op_sel:[0,1,0] op_sel_hi:[0,1,0]
	v_fma_mixlo_f16 v48, v26, v48, 0 op_sel_hi:[0,1,0]
	v_or_b32_e32 v50, v49, v50
	v_fma_mixlo_f16 v52, v26, v52, 0 op_sel_hi:[0,1,0]
	v_and_b32_e32 v107, 0xffff, v47
	s_wait_dscnt 0x0
	v_and_b32_e32 v35, 0xffff, v91
	v_lshrrev_b32_e32 v36, 16, v91
	v_lshrrev_b32_e32 v96, 16, v92
	v_and_b32_e32 v91, 0xffff, v92
	;;#ASMSTART
	v_cvt_f32_f16 v35, v35;
	;;#ASMEND
	;;#ASMSTART
	v_cvt_f32_f16 v36, v36;
	;;#ASMEND
	;; [unrolled: 3-line block ×8, first 2 shown]
	ds_load_b64 v[95:96], v20 offset:24
	v_dual_fmac_f32 v33, v92, v94 :: v_dual_and_b32 v98, 0xffff, v41
	v_and_b32_e32 v41, 0xffff, v40
	v_and_b32_e32 v48, 0xffff, v48
	v_or_b32_e32 v54, v53, v54
	v_fma_mixlo_f16 v49, v26, v49, 0 op_sel:[0,1,0] op_sel_hi:[0,1,0]
	v_fma_mixlo_f16 v53, v26, v53, 0 op_sel:[0,1,0] op_sel_hi:[0,1,0]
	v_fma_mixlo_f16 v50, v26, v50, 0 op_sel_hi:[0,1,0]
	v_or_b32_e32 v56, v55, v56
	v_fma_mixlo_f16 v54, v26, v54, 0 op_sel_hi:[0,1,0]
	v_and_b32_e32 v109, 0xffff, v49
	v_and_b32_e32 v110, 0xffff, v53
	;; [unrolled: 1-line block ×3, first 2 shown]
	v_or_b32_e32 v58, v57, v58
	v_and_b32_e32 v111, 0xffff, v54
	v_fma_mixlo_f16 v55, v26, v55, 0 op_sel:[0,1,0] op_sel_hi:[0,1,0]
	v_fma_mixlo_f16 v57, v26, v57, 0 op_sel:[0,1,0] op_sel_hi:[0,1,0]
	v_fma_mixlo_f16 v56, v26, v56, 0 op_sel_hi:[0,1,0]
	v_fma_mixlo_f16 v58, v26, v58, 0 op_sel_hi:[0,1,0]
	s_wait_dscnt 0x0
	v_and_b32_e32 v39, 0xffff, v95
	v_lshrrev_b32_e32 v40, 16, v95
	v_lshrrev_b32_e32 v100, 16, v96
	v_and_b32_e32 v95, 0xffff, v96
	;;#ASMSTART
	v_cvt_f32_f16 v39, v39;
	;;#ASMEND
	;;#ASMSTART
	v_cvt_f32_f16 v40, v40;
	;;#ASMEND
	;; [unrolled: 3-line block ×8, first 2 shown]
	ds_load_b64 v[99:100], v20 offset:32
	v_fmac_f32_e32 v33, v96, v98
	v_and_b32_e32 v55, 0xffff, v55
	v_and_b32_e32 v116, 0xffff, v57
	;; [unrolled: 1-line block ×4, first 2 shown]
	v_or_b32_e32 v60, v59, v60
	v_or_b32_e32 v62, v61, v62
	v_fma_mixlo_f16 v59, v26, v59, 0 op_sel:[0,1,0] op_sel_hi:[0,1,0]
	v_fma_mixlo_f16 v61, v26, v61, 0 op_sel:[0,1,0] op_sel_hi:[0,1,0]
	v_or_b32_e32 v64, v63, v64
	v_fma_mixlo_f16 v60, v26, v60, 0 op_sel_hi:[0,1,0]
	v_fma_mixlo_f16 v62, v26, v62, 0 op_sel_hi:[0,1,0]
	v_and_b32_e32 v117, 0xffff, v59
	v_and_b32_e32 v120, 0xffff, v61
	v_or_b32_e32 v66, v65, v66
	v_and_b32_e32 v61, 0xffff, v60
	v_and_b32_e32 v119, 0xffff, v62
	v_fma_mixlo_f16 v63, v26, v63, 0 op_sel:[0,1,0] op_sel_hi:[0,1,0]
	v_fma_mixlo_f16 v65, v26, v65, 0 op_sel:[0,1,0] op_sel_hi:[0,1,0]
	s_wait_dscnt 0x0
	v_and_b32_e32 v43, 0xffff, v99
	v_lshrrev_b32_e32 v44, 16, v99
	v_lshrrev_b32_e32 v104, 16, v100
	v_and_b32_e32 v99, 0xffff, v100
	;;#ASMSTART
	v_cvt_f32_f16 v43, v43;
	;;#ASMEND
	;;#ASMSTART
	v_cvt_f32_f16 v44, v44;
	;;#ASMEND
	;;#ASMSTART
	v_cvt_f32_f16 v45, v45;
	;;#ASMEND
	;;#ASMSTART
	v_cvt_f32_f16 v46, v101;
	;;#ASMEND
	;;#ASMSTART
	v_cvt_f32_f16 v99, v99;
	;;#ASMEND
	;;#ASMSTART
	v_cvt_f32_f16 v100, v104;
	;;#ASMEND
	;;#ASMSTART
	v_cvt_f32_f16 v101, v103;
	;;#ASMEND
	;;#ASMSTART
	v_cvt_f32_f16 v102, v102;
	;;#ASMEND
	ds_load_b64 v[103:104], v20 offset:40
	v_dual_fmac_f32 v33, v100, v102 :: v_dual_and_b32 v108, 0xffff, v51
	v_fma_mixlo_f16 v64, v26, v64, 0 op_sel_hi:[0,1,0]
	v_fma_mixlo_f16 v66, v26, v66, 0 op_sel_hi:[0,1,0]
	v_and_b32_e32 v121, 0xffff, v63
	v_and_b32_e32 v124, 0xffff, v65
	v_or_b32_e32 v68, v67, v68
	v_and_b32_e32 v65, 0xffff, v64
	v_and_b32_e32 v123, 0xffff, v66
	v_or_b32_e32 v70, v69, v70
	v_fma_mixlo_f16 v67, v26, v67, 0 op_sel:[0,1,0] op_sel_hi:[0,1,0]
	v_fma_mixlo_f16 v69, v26, v69, 0 op_sel:[0,1,0] op_sel_hi:[0,1,0]
	v_fma_mixlo_f16 v68, v26, v68, 0 op_sel_hi:[0,1,0]
	v_or_b32_e32 v72, v71, v72
	v_fma_mixlo_f16 v70, v26, v70, 0 op_sel_hi:[0,1,0]
	v_and_b32_e32 v125, 0xffff, v67
	v_and_b32_e32 v128, 0xffff, v69
	;; [unrolled: 1-line block ×3, first 2 shown]
	v_or_b32_e32 v74, v73, v74
	s_wait_dscnt 0x0
	v_and_b32_e32 v47, 0xffff, v103
	v_lshrrev_b32_e32 v51, 16, v103
	v_and_b32_e32 v103, 0xffff, v52
	v_lshrrev_b32_e32 v52, 16, v104
	v_and_b32_e32 v104, 0xffff, v104
	;;#ASMSTART
	v_cvt_f32_f16 v105, v47;
	;;#ASMEND
	;;#ASMSTART
	v_cvt_f32_f16 v47, v51;
	;;#ASMEND
	;; [unrolled: 3-line block ×8, first 2 shown]
	ds_load_b64 v[107:108], v20 offset:48
	v_and_b32_e32 v127, 0xffff, v70
	v_or_b32_e32 v76, v75, v76
	v_fma_mixlo_f16 v75, v26, v75, 0 op_sel:[0,1,0] op_sel_hi:[0,1,0]
	v_fma_mixlo_f16 v72, v26, v72, 0 op_sel_hi:[0,1,0]
	v_fma_mixlo_f16 v74, v26, v74, 0 op_sel_hi:[0,1,0]
	v_fma_mixlo_f16 v73, v26, v73, 0 op_sel:[0,1,0] op_sel_hi:[0,1,0]
	v_or_b32_e32 v82, v81, v82
	v_or_b32_e32 v78, v77, v78
	v_fma_mixlo_f16 v71, v26, v71, 0 op_sel:[0,1,0] op_sel_hi:[0,1,0]
	v_or_b32_e32 v80, v79, v80
	v_and_b32_e32 v131, 0xffff, v75
	v_and_b32_e32 v75, 0xffff, v72
	;; [unrolled: 1-line block ×3, first 2 shown]
	v_mul_f32_e32 v72, v32, v87
	v_mul_f32_e32 v74, v88, v90
	v_and_b32_e32 v130, 0xffff, v73
	v_fma_mixlo_f16 v73, v26, v76, 0 op_sel_hi:[0,1,0]
	v_fma_mixlo_f16 v76, v26, v78, 0 op_sel_hi:[0,1,0]
	;; [unrolled: 1-line block ×3, first 2 shown]
	s_wait_dscnt 0x0
	v_and_b32_e32 v49, 0xffff, v107
	v_lshrrev_b32_e32 v107, 16, v107
	v_lshrrev_b32_e32 v112, 16, v108
	v_and_b32_e32 v54, 0xffff, v108
	;;#ASMSTART
	v_cvt_f32_f16 v50, v49;
	;;#ASMEND
	;;#ASMSTART
	v_cvt_f32_f16 v49, v107;
	;;#ASMEND
	;; [unrolled: 3-line block ×8, first 2 shown]
	ds_load_b64 v[111:112], v20 offset:56
	v_and_b32_e32 v129, 0xffff, v71
	v_fma_mixlo_f16 v71, v26, v80, 0 op_sel_hi:[0,1,0]
	v_fmac_f32_e32 v72, v7, v28
	v_fmac_f32_e32 v74, v29, v85
	;; [unrolled: 1-line block ×3, first 2 shown]
	v_fma_mixlo_f16 v77, v26, v77, 0 op_sel:[0,1,0] op_sel_hi:[0,1,0]
	s_delay_alu instid0(VALU_DEP_4) | instskip(NEXT) | instid1(VALU_DEP_4)
	v_dual_fmac_f32 v72, v36, v38 :: v_dual_and_b32 v27, 0xffff, v73
	v_fmac_f32_e32 v74, v91, v93
	s_delay_alu instid0(VALU_DEP_4) | instskip(SKIP_1) | instid1(VALU_DEP_4)
	v_fmac_f32_e32 v34, v39, v41
	v_and_b32_e32 v28, 0xffff, v76
	v_dual_fmac_f32 v72, v40, v42 :: v_dual_and_b32 v7, 0xffff, v77
	s_delay_alu instid0(VALU_DEP_4) | instskip(NEXT) | instid1(VALU_DEP_4)
	v_fmac_f32_e32 v74, v95, v97
	v_dual_fmac_f32 v34, v43, v45 :: v_dual_fmac_f32 v33, v52, v104
	v_fma_mixlo_f16 v79, v26, v79, 0 op_sel:[0,1,0] op_sel_hi:[0,1,0]
	s_delay_alu instid0(VALU_DEP_4)
	v_fmac_f32_e32 v72, v44, v46
	s_wait_dscnt 0x0
	v_dual_fmac_f32 v74, v99, v101 :: v_dual_and_b32 v57, 0xffff, v111
	v_lshrrev_b32_e32 v111, 16, v111
	v_lshrrev_b32_e32 v114, 16, v112
	v_and_b32_e32 v113, 0xffff, v112
	;;#ASMSTART
	v_cvt_f32_f16 v57, v57;
	;;#ASMEND
	;;#ASMSTART
	v_cvt_f32_f16 v58, v111;
	;;#ASMEND
	;; [unrolled: 3-line block ×8, first 2 shown]
	ds_load_b64 v[55:56], v20 offset:64
	v_fmac_f32_e32 v34, v105, v106
	v_fmac_f32_e32 v72, v47, v48
	;; [unrolled: 1-line block ×4, first 2 shown]
	v_fma_mixlo_f16 v81, v26, v81, 0 op_sel:[0,1,0] op_sel_hi:[0,1,0]
	v_fmac_f32_e32 v34, v50, v108
	v_fmac_f32_e32 v72, v49, v53
	;; [unrolled: 1-line block ×3, first 2 shown]
	v_dual_fmac_f32 v33, v114, v116 :: v_dual_and_b32 v40, 0xffff, v71
	s_delay_alu instid0(VALU_DEP_4) | instskip(NEXT) | instid1(VALU_DEP_4)
	v_fmac_f32_e32 v34, v57, v111
	v_fmac_f32_e32 v72, v58, v112
	s_delay_alu instid0(VALU_DEP_4)
	v_dual_fmac_f32 v74, v113, v115 :: v_dual_and_b32 v43, 0xffff, v78
	v_and_b32_e32 v44, 0xffff, v81
	v_or_b32_e32 v45, v83, v84
	s_wait_dscnt 0x0
	v_and_b32_e32 v59, 0xffff, v55
	v_lshrrev_b32_e32 v55, 16, v55
	v_lshrrev_b32_e32 v118, 16, v56
	v_and_b32_e32 v56, 0xffff, v56
	;;#ASMSTART
	v_cvt_f32_f16 v59, v59;
	;;#ASMEND
	;;#ASMSTART
	v_cvt_f32_f16 v60, v55;
	;;#ASMEND
	;; [unrolled: 3-line block ×8, first 2 shown]
	ds_load_b64 v[55:56], v20 offset:72
	v_fmac_f32_e32 v34, v59, v61
	v_fmac_f32_e32 v72, v60, v62
	v_dual_fmac_f32 v74, v117, v119 :: v_dual_fmac_f32 v33, v118, v120
	v_fma_mixlo_f16 v45, v26, v45, 0 op_sel_hi:[0,1,0]
	s_wait_dscnt 0x0
	v_and_b32_e32 v63, 0xffff, v55
	v_lshrrev_b32_e32 v55, 16, v55
	v_lshrrev_b32_e32 v122, 16, v56
	v_and_b32_e32 v56, 0xffff, v56
	;;#ASMSTART
	v_cvt_f32_f16 v63, v63;
	;;#ASMEND
	;;#ASMSTART
	v_cvt_f32_f16 v64, v55;
	;;#ASMEND
	;;#ASMSTART
	v_cvt_f32_f16 v65, v65;
	;;#ASMEND
	;;#ASMSTART
	v_cvt_f32_f16 v66, v121;
	;;#ASMEND
	;;#ASMSTART
	v_cvt_f32_f16 v121, v56;
	;;#ASMEND
	;;#ASMSTART
	v_cvt_f32_f16 v122, v122;
	;;#ASMEND
	;;#ASMSTART
	v_cvt_f32_f16 v123, v123;
	;;#ASMEND
	;;#ASMSTART
	v_cvt_f32_f16 v124, v124;
	;;#ASMEND
	ds_load_b64 v[55:56], v20 offset:80
	v_fmac_f32_e32 v34, v63, v65
	v_fmac_f32_e32 v72, v64, v66
	v_dual_fmac_f32 v74, v121, v123 :: v_dual_fmac_f32 v33, v122, v124
	s_wait_dscnt 0x0
	v_and_b32_e32 v67, 0xffff, v55
	v_lshrrev_b32_e32 v55, 16, v55
	v_lshrrev_b32_e32 v126, 16, v56
	v_and_b32_e32 v56, 0xffff, v56
	;;#ASMSTART
	v_cvt_f32_f16 v67, v67;
	;;#ASMEND
	;;#ASMSTART
	v_cvt_f32_f16 v68, v55;
	;;#ASMEND
	;;#ASMSTART
	v_cvt_f32_f16 v69, v69;
	;;#ASMEND
	;;#ASMSTART
	v_cvt_f32_f16 v70, v125;
	;;#ASMEND
	;;#ASMSTART
	v_cvt_f32_f16 v125, v56;
	;;#ASMEND
	;;#ASMSTART
	v_cvt_f32_f16 v126, v126;
	;;#ASMEND
	;;#ASMSTART
	v_cvt_f32_f16 v127, v127;
	;;#ASMEND
	;;#ASMSTART
	v_cvt_f32_f16 v128, v128;
	;;#ASMEND
	ds_load_b64 v[55:56], v20 offset:88
	v_fmac_f32_e32 v34, v67, v69
	v_fmac_f32_e32 v72, v68, v70
	v_dual_fmac_f32 v74, v125, v127 :: v_dual_fmac_f32 v33, v126, v128
	;; [unrolled: 33-line block ×3, first 2 shown]
	s_wait_dscnt 0x0
	v_and_b32_e32 v1, 0xffff, v31
	v_lshrrev_b32_e32 v29, 16, v31
	v_lshrrev_b32_e32 v35, 16, v32
	v_and_b32_e32 v32, 0xffff, v32
	;;#ASMSTART
	v_cvt_f32_f16 v1, v1;
	;;#ASMEND
	;;#ASMSTART
	v_cvt_f32_f16 v29, v29;
	;;#ASMEND
	;; [unrolled: 3-line block ×8, first 2 shown]
	ds_load_b64 v[27:28], v20 offset:104
	v_or_b32_e32 v7, v8, v9
	v_fma_mixlo_f16 v9, v26, v8, 0 op_sel:[0,1,0] op_sel_hi:[0,1,0]
	v_fmac_f32_e32 v34, v1, v30
	v_fmac_f32_e32 v72, v29, v31
	;; [unrolled: 1-line block ×3, first 2 shown]
	v_fma_mixlo_f16 v38, v26, v7, 0 op_sel_hi:[0,1,0]
	v_fma_mixlo_f16 v1, v26, v83, 0 op_sel:[0,1,0] op_sel_hi:[0,1,0]
	v_and_b32_e32 v29, 0xffff, v9
	v_fmac_f32_e32 v33, v35, v37
	s_wait_dscnt 0x0
	v_and_b32_e32 v7, 0xffff, v27
	v_lshrrev_b32_e32 v8, 16, v27
	;;#ASMSTART
	v_cvt_f32_f16 v27, v7;
	;;#ASMEND
	;;#ASMSTART
	v_cvt_f32_f16 v39, v8;
	;;#ASMEND
	v_and_b32_e32 v7, 0xffff, v79
	v_and_b32_e32 v8, 0xffff, v28
	v_lshrrev_b32_e32 v42, 16, v28
	;;#ASMSTART
	v_cvt_f32_f16 v40, v40;
	;;#ASMEND
	;;#ASMSTART
	v_cvt_f32_f16 v28, v7;
	;;#ASMEND
	;; [unrolled: 3-line block ×6, first 2 shown]
	ds_load_b64 v[7:8], v20 offset:112
	v_fmac_f32_e32 v34, v27, v40
	v_fmac_f32_e32 v72, v39, v28
	v_fmac_f32_e32 v74, v41, v43
	v_dual_fmac_f32 v33, v42, v44 :: v_dual_and_b32 v28, 0xffff, v38
	s_wait_dscnt 0x0
	v_and_b32_e32 v26, 0xffff, v7
	v_lshrrev_b32_e32 v27, 16, v7
	;;#ASMSTART
	v_cvt_f32_f16 v7, v26;
	;;#ASMEND
	;;#ASMSTART
	v_cvt_f32_f16 v9, v27;
	;;#ASMEND
	;; [unrolled: 3-line block ×4, first 2 shown]
	v_and_b32_e32 v28, 0xffff, v8
	v_lshrrev_b32_e32 v8, 16, v8
	v_fmac_f32_e32 v34, v7, v26
	;;#ASMSTART
	v_cvt_f32_f16 v7, v28;
	;;#ASMEND
	v_dual_fmac_f32 v72, v9, v27 :: v_dual_and_b32 v29, 0xffff, v45
	;;#ASMSTART
	v_cvt_f32_f16 v8, v8;
	;;#ASMEND
	;;#ASMSTART
	v_cvt_f32_f16 v9, v29;
	;;#ASMEND
	v_fmac_f32_e32 v74, v7, v9
	v_xor_b32_e32 v7, 1, v16
	v_dual_add_f32 v1, v34, v72 :: v_dual_and_b32 v26, 0xffff, v1
	;;#ASMSTART
	v_cvt_f32_f16 v9, v26;
	;;#ASMEND
	v_fmac_f32_e32 v33, v8, v9
	s_delay_alu instid0(VALU_DEP_3) | instskip(NEXT) | instid1(VALU_DEP_3)
	v_cmp_gt_i32_e64 s4, 32, v7
	v_add_f32_e32 v1, v1, v74
	s_wait_alu 0xf1ff
	s_delay_alu instid0(VALU_DEP_2) | instskip(NEXT) | instid1(VALU_DEP_2)
	v_cndmask_b32_e64 v7, v16, v7, s4
	v_add_f32_e32 v1, v33, v1
	s_delay_alu instid0(VALU_DEP_2)
	v_lshlrev_b32_e32 v7, 2, v7
	ds_bpermute_b32 v7, v7, v1
	s_and_saveexec_b32 s42, s3
	s_cbranch_execz .LBB266_11
; %bb.499:                              ;   in Loop: Header=BB266_13 Depth=1
	s_wait_dscnt 0x0
	v_dual_add_f32 v1, v1, v7 :: v_dual_add_nc_u32 v8, v22, v21
	s_delay_alu instid0(VALU_DEP_1) | instskip(NEXT) | instid1(VALU_DEP_1)
	v_cvt_f32_i32_e32 v8, v8
	v_mul_f32_e32 v8, s30, v8
	s_delay_alu instid0(VALU_DEP_1) | instskip(NEXT) | instid1(VALU_DEP_1)
	v_dual_cndmask_b32 v7, 0, v8 :: v_dual_max_num_f32 v8, v19, v19
	v_fmac_f32_e32 v7, s7, v1
	s_delay_alu instid0(VALU_DEP_1) | instskip(NEXT) | instid1(VALU_DEP_1)
	v_dual_max_num_f32 v8, v8, v7 :: v_dual_add_nc_u32 v1, v17, v21
	v_cmp_gt_i32_e64 s4, s34, v1
	s_wait_alu 0xf1ff
	s_delay_alu instid0(VALU_DEP_1) | instskip(NEXT) | instid1(VALU_DEP_3)
	v_cndmask_b32_e64 v1, 0, v7, s4
	v_cndmask_b32_e64 v19, v19, v8, s4
	ds_store_b32 v23, v1
	s_branch .LBB266_11
.LBB266_500:
	s_or_b32 exec_lo, exec_lo, s40
.LBB266_501:
	s_delay_alu instid0(SALU_CYCLE_1)
	s_or_b32 exec_lo, exec_lo, s6
	v_xor_b32_e32 v1, 16, v16
	v_xor_b32_e32 v2, 8, v16
	s_clause 0x2
	s_load_b128 s[4:7], s[0:1], 0x0
	s_load_b64 s[8:9], s[0:1], 0x10
	s_load_b64 s[30:31], s[0:1], 0x28
	v_dual_max_num_f32 v3, v19, v19 :: v_dual_lshlrev_b32 v8, 2, v13
	v_cmp_gt_i32_e32 vcc_lo, 32, v1
	s_wait_alu 0xfffd
	v_cndmask_b32_e32 v1, v16, v1, vcc_lo
	v_cmp_gt_i32_e32 vcc_lo, 32, v2
	s_delay_alu instid0(VALU_DEP_2) | instskip(SKIP_4) | instid1(VALU_DEP_1)
	v_lshlrev_b32_e32 v4, 2, v1
	ds_bpermute_b32 v1, v4, v19
	s_wait_dscnt 0x0
	s_wait_alu 0xfffd
	v_dual_cndmask_b32 v2, v16, v2 :: v_dual_max_num_f32 v1, v1, v1
	v_lshlrev_b32_e32 v5, 2, v2
	s_delay_alu instid0(VALU_DEP_2)
	v_max_num_f32_e32 v1, v3, v1
	v_xor_b32_e32 v3, 4, v16
	ds_bpermute_b32 v2, v5, v1
	v_cmp_gt_i32_e32 vcc_lo, 32, v3
	s_wait_dscnt 0x0
	v_max_num_f32_e32 v2, v2, v2
	s_delay_alu instid0(VALU_DEP_1) | instskip(SKIP_2) | instid1(VALU_DEP_1)
	v_max_num_f32_e32 v1, v1, v2
	s_wait_alu 0xfffd
	v_cndmask_b32_e32 v3, v16, v3, vcc_lo
	v_lshlrev_b32_e32 v7, 2, v3
	v_xor_b32_e32 v3, 2, v16
	ds_bpermute_b32 v2, v7, v1
	v_cmp_gt_i32_e32 vcc_lo, 32, v3
	s_wait_alu 0xfffd
	v_cndmask_b32_e32 v3, v16, v3, vcc_lo
	s_wait_dscnt 0x0
	s_delay_alu instid0(VALU_DEP_1) | instskip(NEXT) | instid1(VALU_DEP_1)
	v_dual_max_num_f32 v2, v2, v2 :: v_dual_lshlrev_b32 v3, 2, v3
	v_dual_max_num_f32 v2, v1, v2 :: v_dual_and_b32 v1, 31, v0
	ds_bpermute_b32 v6, v3, v2
	v_cmp_eq_u32_e32 vcc_lo, 0, v1
	s_and_saveexec_b32 s0, vcc_lo
	s_cbranch_execz .LBB266_503
; %bb.502:
	s_wait_dscnt 0x0
	v_max_num_f32_e32 v6, v6, v6
	v_max_num_f32_e32 v2, v2, v2
	s_delay_alu instid0(VALU_DEP_1)
	v_max_num_f32_e32 v2, v2, v6
	ds_store_b32 v8, v2 offset:240
.LBB266_503:
	s_or_b32 exec_lo, exec_lo, s0
	v_cmp_gt_u32_e64 s0, 4, v1
	v_dual_mov_b32 v2, 0xff7fffff :: v_dual_lshlrev_b32 v9, 2, v1
	s_wait_loadcnt_dscnt 0x0
	s_barrier_signal -1
	s_barrier_wait -1
	global_inv scope:SCOPE_SE
	s_and_saveexec_b32 s1, s0
; %bb.504:
	ds_load_b32 v2, v9 offset:240
; %bb.505:
	s_or_b32 exec_lo, exec_lo, s1
	s_wait_dscnt 0x0
	ds_bpermute_b32 v6, v3, v2
	v_xor_b32_e32 v17, 1, v16
	s_delay_alu instid0(VALU_DEP_1) | instskip(NEXT) | instid1(VALU_DEP_1)
	v_cmp_gt_i32_e64 s1, 32, v17
	v_cndmask_b32_e64 v16, v16, v17, s1
	v_max_num_f32_e32 v2, v2, v2
	s_sub_co_i32 s1, s23, s39
	s_wait_alu 0xfffe
	s_lshl_b32 s1, s1, 4
	v_dual_mov_b32 v16, 0 :: v_dual_lshlrev_b32 v17, 2, v16
	s_wait_alu 0xfffe
	s_add_co_i32 s1, s1, s36
	s_wait_alu 0xfffe
	s_min_i32 s1, s1, s34
	s_wait_dscnt 0x0
	v_max_num_f32_e32 v6, v6, v6
	s_wait_alu 0xfffe
	s_sub_co_i32 s18, s1, s36
	s_wait_alu 0xfffe
	v_cmp_gt_i32_e64 s1, s18, v0
	v_max_num_f32_e32 v2, v2, v6
	ds_bpermute_b32 v6, v17, v2
	s_wait_dscnt 0x0
	v_max_num_f32_e32 v6, v6, v6
	s_delay_alu instid0(VALU_DEP_1)
	v_max_num_f32_e32 v2, v2, v6
	v_lshl_add_u32 v6, v0, 2, 0x110
	ds_bpermute_b32 v2, v16, v2
	s_and_saveexec_b32 s29, s1
	s_cbranch_execz .LBB266_509
; %bb.506:
	v_lshl_add_u32 v19, v0, 2, 0x110
	v_mov_b32_e32 v16, 0
	v_mov_b32_e32 v20, v0
	s_mov_b32 s36, 0
.LBB266_507:                            ; =>This Inner Loop Header: Depth=1
	ds_load_b32 v21, v19
	v_add_nc_u32_e32 v20, 0x80, v20
	s_delay_alu instid0(VALU_DEP_1) | instskip(SKIP_4) | instid1(VALU_DEP_1)
	v_cmp_le_i32_e64 s3, s18, v20
	s_wait_alu 0xfffe
	s_or_b32 s36, s3, s36
	s_wait_dscnt 0x0
	v_sub_f32_e32 v21, v21, v2
	v_mul_f32_e32 v21, 0x3fb8aa3b, v21
	s_delay_alu instid0(VALU_DEP_1)
	v_exp_f32_e32 v21, v21
	ds_store_b32 v19, v21
	v_dual_add_f32 v16, v16, v21 :: v_dual_add_nc_u32 v19, 0x200, v19
	s_wait_alu 0xfffe
	s_and_not1_b32 exec_lo, exec_lo, s36
	s_cbranch_execnz .LBB266_507
; %bb.508:
	s_or_b32 exec_lo, exec_lo, s36
.LBB266_509:
	s_wait_alu 0xfffe
	s_or_b32 exec_lo, exec_lo, s29
	ds_bpermute_b32 v4, v4, v16
	s_wait_dscnt 0x0
	v_add_f32_e32 v4, v16, v4
	ds_bpermute_b32 v5, v5, v4
	s_wait_dscnt 0x0
	v_add_f32_e32 v4, v4, v5
	;; [unrolled: 3-line block ×5, first 2 shown]
	s_and_saveexec_b32 s3, vcc_lo
; %bb.510:
	ds_store_b32 v8, v4 offset:256
; %bb.511:
	s_wait_alu 0xfffe
	s_or_b32 exec_lo, exec_lo, s3
	s_wait_loadcnt_dscnt 0x0
	s_barrier_signal -1
	s_barrier_wait -1
	global_inv scope:SCOPE_SE
	s_and_saveexec_b32 s3, s0
; %bb.512:
	ds_load_b32 v4, v9 offset:256
; %bb.513:
	s_wait_alu 0xfffe
	s_or_b32 exec_lo, exec_lo, s3
	s_wait_dscnt 0x0
	ds_bpermute_b32 v3, v3, v4
	s_wait_dscnt 0x0
	v_add_f32_e32 v3, v4, v3
	ds_bpermute_b32 v4, v17, v3
	s_wait_dscnt 0x0
	v_dual_add_f32 v3, v3, v4 :: v_dual_mov_b32 v4, 0
	ds_bpermute_b32 v3, v4, v3
	s_and_saveexec_b32 s0, s1
	s_cbranch_execz .LBB266_516
; %bb.514:
	s_wait_dscnt 0x0
	v_add_f32_e32 v4, 0x358637bd, v3
	s_mov_b32 s1, 0
	s_delay_alu instid0(VALU_DEP_1) | instskip(SKIP_1) | instid1(VALU_DEP_2)
	v_div_scale_f32 v5, null, v4, v4, 1.0
	v_div_scale_f32 v9, vcc_lo, 1.0, v4, 1.0
	v_rcp_f32_e32 v7, v5
	s_delay_alu instid0(TRANS32_DEP_1) | instskip(NEXT) | instid1(VALU_DEP_1)
	v_fma_f32 v8, -v5, v7, 1.0
	v_fmac_f32_e32 v7, v8, v7
	s_delay_alu instid0(VALU_DEP_1) | instskip(NEXT) | instid1(VALU_DEP_1)
	v_mul_f32_e32 v8, v9, v7
	v_fma_f32 v16, -v5, v8, v9
	s_delay_alu instid0(VALU_DEP_1) | instskip(NEXT) | instid1(VALU_DEP_1)
	v_fmac_f32_e32 v8, v16, v7
	v_fma_f32 v5, -v5, v8, v9
	s_wait_alu 0xfffd
	s_delay_alu instid0(VALU_DEP_1) | instskip(NEXT) | instid1(VALU_DEP_1)
	v_div_fmas_f32 v5, v5, v7, v8
	v_div_fixup_f32 v4, v5, v4, 1.0
	v_mov_b32_e32 v5, v0
.LBB266_515:                            ; =>This Inner Loop Header: Depth=1
	ds_load_b32 v7, v6
	v_add_nc_u32_e32 v5, 0x80, v5
	s_delay_alu instid0(VALU_DEP_1)
	v_cmp_le_i32_e32 vcc_lo, s18, v5
	s_wait_alu 0xfffe
	s_or_b32 s1, vcc_lo, s1
	s_wait_dscnt 0x0
	v_mul_f32_e32 v7, v4, v7
	ds_store_b32 v6, v7
	v_add_nc_u32_e32 v6, 0x200, v6
	s_wait_alu 0xfffe
	s_and_not1_b32 exec_lo, exec_lo, s1
	s_cbranch_execnz .LBB266_515
.LBB266_516:
	s_wait_alu 0xfffe
	s_or_b32 exec_lo, exec_lo, s0
	s_mul_i32 s0, s12, s19
	s_wait_loadcnt_dscnt 0x0
	s_wait_alu 0xfffe
	s_mul_i32 s18, s0, s35
	s_mov_b32 s0, exec_lo
	s_barrier_signal -1
	s_barrier_wait -1
	global_inv scope:SCOPE_SE
	v_cmpx_eq_u32_e32 0, v0
	s_cbranch_execz .LBB266_518
; %bb.517:
	s_wait_alu 0xfffe
	s_ashr_i32 s19, s18, 31
	s_mul_i32 s40, s12, ttmp9
	s_lshl_b32 s1, s33, 2
	s_wait_alu 0xfffe
	s_lshl_b64 s[42:43], s[18:19], 2
	s_ashr_i32 s41, s40, 31
	v_mov_b32_e32 v4, s1
	s_wait_kmcnt 0x0
	s_wait_alu 0xfffe
	s_add_nc_u64 s[6:7], s[6:7], s[42:43]
	s_lshl_b64 s[40:41], s[40:41], 2
	s_add_nc_u64 s[4:5], s[4:5], s[42:43]
	s_wait_alu 0xfffe
	s_add_nc_u64 s[6:7], s[6:7], s[40:41]
	s_add_nc_u64 s[4:5], s[4:5], s[40:41]
	s_clause 0x1
	global_store_b32 v4, v2, s[6:7]
	global_store_b32 v4, v3, s[4:5]
.LBB266_518:
	s_wait_alu 0xfffe
	s_or_b32 exec_lo, exec_lo, s0
	v_lshrrev_b32_e32 v16, 1, v1
	s_and_saveexec_b32 s0, s2
	s_wait_alu 0xfffe
	s_xor_b32 s0, exec_lo, s0
; %bb.519:
	v_lshrrev_b32_e32 v16, 1, v1
                                        ; implicit-def: $vgpr14
                                        ; implicit-def: $vgpr15
                                        ; implicit-def: $vgpr10
                                        ; implicit-def: $vgpr18
; %bb.520:
	s_wait_kmcnt 0x0
	s_wait_alu 0xfffe
	s_or_saveexec_b32 s6, s0
	v_dual_mov_b32 v26, 0 :: v_dual_mov_b32 v25, 0
	v_dual_mov_b32 v24, 0 :: v_dual_mov_b32 v23, 0
	;; [unrolled: 1-line block ×4, first 2 shown]
	s_wait_alu 0xfffe
	s_xor_b32 exec_lo, exec_lo, s6
	s_cbranch_execz .LBB266_1056
; %bb.521:
	s_abs_i32 s7, s14
	s_mov_b32 s14, s17
	s_wait_alu 0xfffe
	s_cvt_f32_u32 s0, s7
	v_dual_mov_b32 v19, 0 :: v_dual_lshlrev_b32 v6, 5, v12
	v_dual_mov_b32 v2, 0 :: v_dual_and_b32 v27, 8, v10
	s_wait_alu 0xfffe
	v_rcp_iflag_f32_e32 v1, s0
	s_lshl_b64 s[0:1], s[26:27], 2
	v_or_b32_e32 v5, 0x70, v16
	s_wait_alu 0xfffe
	s_add_nc_u64 s[0:1], s[24:25], s[0:1]
	s_sub_co_i32 s19, 0, s7
	s_wait_alu 0xfffe
	v_add_co_u32 v3, s0, s0, v18
	s_wait_alu 0xf1ff
	v_add_co_ci_u32_e64 v4, null, s1, 0, s0
	v_lshl_or_b32 v18, v16, 4, v27
	v_readfirstlane_b32 s17, v1
	v_lshl_or_b32 v1, v13, 6, v6
	v_mov_b32_e32 v20, 0
	v_lshl_or_b32 v28, v5, 4, v27
	v_dual_mov_b32 v21, 0 :: v_dual_mov_b32 v22, 0
	s_mul_f32 s17, s17, 0x4f7ffffe
	v_add_nc_u32_e32 v29, 0x110, v1
	v_dual_mov_b32 v23, 0 :: v_dual_mov_b32 v24, 0
	s_wait_alu 0xfffe
	s_cvt_u32_f32 s0, s17
	v_dual_mov_b32 v25, 0 :: v_dual_mov_b32 v26, 0
	s_ashr_i32 s29, s28, 31
	s_wait_alu 0xfffe
	s_mul_i32 s19, s19, s0
	s_mov_b32 s2, -1
	s_wait_alu 0xfffe
	s_mul_hi_u32 s1, s0, s19
	s_sub_co_i32 s13, s38, s13
	s_mov_b32 s3, 0xffffff
	s_add_co_i32 s37, s37, -1
	s_add_nc_u64 s[4:5], s[30:31], s[28:29]
	s_mov_b32 s17, 0
	s_wait_alu 0xfffe
	s_add_co_i32 s19, s0, s1
	v_cmp_gt_u32_e32 vcc_lo, 0x78, v5
	s_branch .LBB266_525
.LBB266_522:                            ;   in Loop: Header=BB266_525 Depth=1
	s_wait_alu 0xfffe
	s_or_b32 exec_lo, exec_lo, s1
	;;#ASMSTART
	v_pk_mul_f16 v1, v36, v52;

	;;#ASMEND
	;;#ASMSTART
	v_pk_mul_f16 v5, v35, v51;

	;;#ASMEND
	;; [unrolled: 4-line block ×4, first 2 shown]
	;;#ASMSTART
	v_pk_add_f16 v1, v1, v5;

	;;#ASMEND
	;;#ASMSTART
	v_pk_add_f16 v1, v1, v6;

	;;#ASMEND
	;; [unrolled: 4-line block ×3, first 2 shown]
	v_and_b32_e32 v5, 0xffff, v1
	v_lshrrev_b32_e32 v6, 16, v1
	;;#ASMSTART
	v_cvt_f32_f16 v1, v5;
	;;#ASMEND
	;;#ASMSTART
	v_cvt_f32_f16 v5, v6;
	;;#ASMEND
	s_delay_alu instid0(VALU_DEP_2) | instskip(NEXT) | instid1(VALU_DEP_1)
	v_add_f32_e32 v1, v1, v5
	v_add_f32_e32 v19, v19, v1
.LBB266_523:                            ;   in Loop: Header=BB266_525 Depth=1
	s_or_b32 exec_lo, exec_lo, s25
	v_dual_add_f32 v5, v43, v44 :: v_dual_add_f32 v6, v41, v42
	v_add_f32_e32 v1, v9, v10
	s_delay_alu instid0(VALU_DEP_2) | instskip(SKIP_2) | instid1(VALU_DEP_3)
	v_dual_add_f32 v7, v7, v8 :: v_dual_add_f32 v22, v22, v5
	v_add_f32_e32 v5, v31, v32
	v_add_f32_e32 v9, v39, v40
	v_dual_add_f32 v21, v21, v1 :: v_dual_add_f32 v20, v20, v7
	s_delay_alu instid0(VALU_DEP_3) | instskip(NEXT) | instid1(VALU_DEP_3)
	v_dual_add_f32 v23, v23, v6 :: v_dual_add_f32 v26, v26, v5
	v_dual_add_f32 v1, v37, v38 :: v_dual_add_f32 v24, v24, v9
	s_delay_alu instid0(VALU_DEP_1)
	v_add_f32_e32 v25, v25, v1
.LBB266_524:                            ;   in Loop: Header=BB266_525 Depth=1
	s_or_b32 exec_lo, exec_lo, s24
	v_add_nc_u32_e32 v15, 4, v15
	v_add_co_u32 v3, s1, v3, 16
	s_wait_alu 0xf1ff
	v_add_co_ci_u32_e64 v4, null, 0, v4, s1
	s_delay_alu instid0(VALU_DEP_3)
	v_cmp_le_i32_e64 s0, s23, v15
	v_add_nc_u32_e32 v14, 64, v14
	v_add_nc_u32_e32 v29, 0x100, v29
	s_or_b32 s17, s0, s17
	s_wait_alu 0xfffe
	s_and_not1_b32 exec_lo, exec_lo, s17
	s_cbranch_execz .LBB266_1055
.LBB266_525:                            ; =>This Inner Loop Header: Depth=1
	v_sub_nc_u32_e32 v1, 0, v14
	s_delay_alu instid0(VALU_DEP_1) | instskip(NEXT) | instid1(VALU_DEP_1)
	v_max_i32_e32 v1, v14, v1
	v_mul_hi_u32 v5, v1, s22
	s_delay_alu instid0(VALU_DEP_1) | instskip(NEXT) | instid1(VALU_DEP_1)
	v_mul_lo_u32 v6, v5, s16
	v_sub_nc_u32_e32 v1, v1, v6
	v_add_nc_u32_e32 v6, 1, v5
	s_delay_alu instid0(VALU_DEP_2) | instskip(SKIP_2) | instid1(VALU_DEP_1)
	v_subrev_nc_u32_e32 v7, s16, v1
	v_cmp_le_u32_e64 s0, s16, v1
	s_wait_alu 0xf1ff
	v_cndmask_b32_e64 v5, v5, v6, s0
	s_delay_alu instid0(VALU_DEP_3) | instskip(SKIP_1) | instid1(VALU_DEP_3)
	v_cndmask_b32_e64 v1, v1, v7, s0
	v_ashrrev_i32_e32 v6, 31, v14
	v_add_nc_u32_e32 v7, 1, v5
	s_delay_alu instid0(VALU_DEP_3) | instskip(NEXT) | instid1(VALU_DEP_3)
	v_cmp_le_u32_e64 s0, s16, v1
	v_xor_b32_e32 v6, s15, v6
	s_wait_alu 0xf1ff
	s_delay_alu instid0(VALU_DEP_2) | instskip(NEXT) | instid1(VALU_DEP_1)
	v_cndmask_b32_e64 v1, v5, v7, s0
	v_xor_b32_e32 v1, v1, v6
	s_delay_alu instid0(VALU_DEP_1) | instskip(NEXT) | instid1(VALU_DEP_1)
	v_sub_nc_u32_e32 v1, v1, v6
	v_add_nc_u32_e32 v5, s21, v1
	v_cmp_lt_i32_e64 s1, s13, v1
	s_delay_alu instid0(VALU_DEP_2) | instskip(NEXT) | instid1(VALU_DEP_1)
	v_sub_nc_u32_e32 v6, 0, v5
	v_max_i32_e32 v6, v5, v6
	v_ashrrev_i32_e32 v5, 31, v5
	s_wait_alu 0xfffe
	s_delay_alu instid0(VALU_DEP_2) | instskip(NEXT) | instid1(VALU_DEP_1)
	v_mul_hi_u32 v7, v6, s19
	v_mul_lo_u32 v7, v7, s7
	s_delay_alu instid0(VALU_DEP_1) | instskip(NEXT) | instid1(VALU_DEP_1)
	v_sub_nc_u32_e32 v6, v6, v7
	v_subrev_nc_u32_e32 v7, s7, v6
	v_cmp_le_u32_e64 s0, s7, v6
	s_wait_alu 0xf1ff
	s_delay_alu instid0(VALU_DEP_1) | instskip(NEXT) | instid1(VALU_DEP_1)
	v_cndmask_b32_e64 v6, v6, v7, s0
	v_subrev_nc_u32_e32 v7, s7, v6
	v_cmp_le_u32_e64 s0, s7, v6
	s_wait_alu 0xf1ff
	s_delay_alu instid0(VALU_DEP_1) | instskip(NEXT) | instid1(VALU_DEP_1)
	v_cndmask_b32_e64 v6, v6, v7, s0
	v_xor_b32_e32 v6, v6, v5
	s_delay_alu instid0(VALU_DEP_1) | instskip(NEXT) | instid1(VALU_DEP_1)
	v_sub_nc_u32_e32 v5, v6, v5
	v_cmp_eq_u32_e64 s0, 0, v5
	s_or_b32 s0, s0, s1
	s_wait_alu 0xfffe
	s_and_saveexec_b32 s24, s0
	s_cbranch_execz .LBB266_524
; %bb.526:                              ;   in Loop: Header=BB266_525 Depth=1
	global_load_b32 v1, v[3:4], off
	ds_load_2addr_b64 v[7:10], v29 offset1:1
	ds_load_2addr_b64 v[36:39], v29 offset0:2 offset1:3
	v_mov_b32_e32 v41, 0
	s_mov_b32 s1, exec_lo
	s_wait_dscnt 0x1
	;;#ASMSTART
	v_cvt_f16_f32 v34, v7;

	;;#ASMEND
	;;#ASMSTART
	v_cvt_f16_f32 v31, v8;

	;;#ASMEND
	;; [unrolled: 4-line block ×4, first 2 shown]
	s_wait_dscnt 0x0
	;;#ASMSTART
	v_cvt_f16_f32 v36, v36;

	;;#ASMEND
	;;#ASMSTART
	v_cvt_f16_f32 v33, v37;

	;;#ASMEND
	;;#ASMSTART
	v_cvt_f16_f32 v38, v38;

	;;#ASMEND
	;;#ASMSTART
	v_cvt_f16_f32 v37, v39;

	;;#ASMEND
	s_wait_loadcnt 0x0
	v_mad_co_i64_i32 v[5:6], null, v1, s14, s[4:5]
	s_delay_alu instid0(VALU_DEP_1) | instskip(SKIP_1) | instid1(VALU_DEP_2)
	v_add_co_u32 v7, s0, v5, v18
	s_wait_alu 0xf1ff
	v_add_co_ci_u32_e64 v8, null, 0, v6, s0
	global_load_b64 v[9:10], v[7:8], off
	s_wait_loadcnt 0x0
	v_dual_mov_b32 v40, 0 :: v_dual_and_b32 v1, 0xff, v9
	global_load_b32 v39, v40, s[10:11]
	v_cmpx_ne_u16_e32 0, v1
	s_cbranch_execz .LBB266_534
; %bb.527:                              ;   in Loop: Header=BB266_525 Depth=1
	v_mov_b32_e32 v41, 0x8000
	s_mov_b32 s25, exec_lo
	v_cmpx_ne_u16_e32 0x80, v1
	s_cbranch_execz .LBB266_533
; %bb.528:                              ;   in Loop: Header=BB266_525 Depth=1
	v_and_b32_e32 v42, 0x7f, v9
	v_mov_b32_e32 v41, 0x7c01
	s_mov_b32 s26, exec_lo
	s_delay_alu instid0(VALU_DEP_2)
	v_cmpx_ne_u32_e32 0x7f, v42
	s_cbranch_execz .LBB266_532
; %bb.529:                              ;   in Loop: Header=BB266_525 Depth=1
	v_and_b32_e32 v1, 7, v9
	v_lshrrev_b32_e32 v30, 3, v42
	s_mov_b32 s27, exec_lo
	v_cmpx_gt_u32_e32 8, v42
; %bb.530:                              ;   in Loop: Header=BB266_525 Depth=1
	s_delay_alu instid0(VALU_DEP_3) | instskip(NEXT) | instid1(VALU_DEP_1)
	v_clz_i32_u32_e32 v1, v1
	v_min_u32_e32 v1, 32, v1
	s_delay_alu instid0(VALU_DEP_1) | instskip(NEXT) | instid1(VALU_DEP_1)
	v_subrev_nc_u32_e32 v30, 28, v1
	v_lshlrev_b64_e32 v[41:42], v30, v[9:10]
	v_sub_nc_u32_e32 v30, 29, v1
	s_delay_alu instid0(VALU_DEP_2)
	v_and_b32_e32 v1, 7, v41
; %bb.531:                              ;   in Loop: Header=BB266_525 Depth=1
	s_or_b32 exec_lo, exec_lo, s27
	v_lshlrev_b32_e32 v41, 8, v9
	s_delay_alu instid0(VALU_DEP_3) | instskip(NEXT) | instid1(VALU_DEP_3)
	v_lshl_add_u32 v30, v30, 10, 0x2000
	v_lshlrev_b32_e32 v1, 7, v1
	s_delay_alu instid0(VALU_DEP_3) | instskip(NEXT) | instid1(VALU_DEP_3)
	v_and_b32_e32 v41, 0x8000, v41
	v_and_b32_e32 v30, 0xfc00, v30
	s_delay_alu instid0(VALU_DEP_1)
	v_or3_b32 v41, v41, v30, v1
.LBB266_532:                            ;   in Loop: Header=BB266_525 Depth=1
	s_or_b32 exec_lo, exec_lo, s26
.LBB266_533:                            ;   in Loop: Header=BB266_525 Depth=1
	s_delay_alu instid0(SALU_CYCLE_1)
	s_or_b32 exec_lo, exec_lo, s25
.LBB266_534:                            ;   in Loop: Header=BB266_525 Depth=1
	s_wait_alu 0xfffe
	s_or_b32 exec_lo, exec_lo, s1
	v_lshrrev_b16 v1, 8, v9
	s_mov_b32 s1, exec_lo
	s_delay_alu instid0(VALU_DEP_1)
	v_cmpx_ne_u16_e32 0, v1
	s_cbranch_execz .LBB266_542
; %bb.535:                              ;   in Loop: Header=BB266_525 Depth=1
	v_bfrev_b32_e32 v40, 1
	s_mov_b32 s25, exec_lo
	v_cmpx_ne_u16_e32 0x80, v1
	s_cbranch_execz .LBB266_541
; %bb.536:                              ;   in Loop: Header=BB266_525 Depth=1
	v_and_b32_e32 v30, 0xffff, v1
	v_mov_b32_e32 v40, 0x7c010000
	s_mov_b32 s26, exec_lo
	s_delay_alu instid0(VALU_DEP_2) | instskip(NEXT) | instid1(VALU_DEP_1)
	v_and_b32_e32 v43, 0x7f, v30
	v_cmpx_ne_u32_e32 0x7f, v43
	s_cbranch_execz .LBB266_540
; %bb.537:                              ;   in Loop: Header=BB266_525 Depth=1
	v_and_b32_e32 v40, 7, v30
	v_lshrrev_b32_e32 v42, 3, v43
	s_mov_b32 s27, exec_lo
	v_cmpx_gt_u32_e32 8, v43
; %bb.538:                              ;   in Loop: Header=BB266_525 Depth=1
	s_delay_alu instid0(VALU_DEP_3) | instskip(NEXT) | instid1(VALU_DEP_1)
	v_clz_i32_u32_e32 v40, v40
	v_min_u32_e32 v40, 32, v40
	s_delay_alu instid0(VALU_DEP_1) | instskip(NEXT) | instid1(VALU_DEP_1)
	v_subrev_nc_u32_e32 v42, 28, v40
	v_lshlrev_b64_e32 v[43:44], v42, v[1:2]
	v_sub_nc_u32_e32 v42, 29, v40
	s_delay_alu instid0(VALU_DEP_2)
	v_and_b32_e32 v40, 7, v43
; %bb.539:                              ;   in Loop: Header=BB266_525 Depth=1
	s_or_b32 exec_lo, exec_lo, s27
	v_lshlrev_b32_e32 v1, 8, v30
	s_delay_alu instid0(VALU_DEP_3) | instskip(NEXT) | instid1(VALU_DEP_1)
	v_lshl_add_u32 v30, v42, 10, 0x2000
	v_and_or_b32 v1, 0x8000, v1, v30
	v_lshlrev_b32_e32 v30, 23, v40
	s_delay_alu instid0(VALU_DEP_1)
	v_lshl_or_b32 v40, v1, 16, v30
.LBB266_540:                            ;   in Loop: Header=BB266_525 Depth=1
	s_or_b32 exec_lo, exec_lo, s26
.LBB266_541:                            ;   in Loop: Header=BB266_525 Depth=1
	s_delay_alu instid0(SALU_CYCLE_1)
	s_or_b32 exec_lo, exec_lo, s25
.LBB266_542:                            ;   in Loop: Header=BB266_525 Depth=1
	s_wait_alu 0xfffe
	s_or_b32 exec_lo, exec_lo, s1
	v_lshrrev_b32_e32 v1, 16, v9
	v_mov_b32_e32 v30, 0
	s_mov_b32 s1, exec_lo
	s_delay_alu instid0(VALU_DEP_2) | instskip(NEXT) | instid1(VALU_DEP_1)
	v_dual_mov_b32 v42, 0 :: v_dual_and_b32 v43, 0xff, v1
	v_cmpx_ne_u16_e32 0, v43
	s_cbranch_execz .LBB266_550
; %bb.543:                              ;   in Loop: Header=BB266_525 Depth=1
	v_mov_b32_e32 v30, 0x8000
	s_mov_b32 s25, exec_lo
	v_cmpx_ne_u16_e32 0x80, v43
	s_cbranch_execz .LBB266_549
; %bb.544:                              ;   in Loop: Header=BB266_525 Depth=1
	v_bfe_u32 v44, v9, 16, 7
	v_mov_b32_e32 v30, 0x7c01
	s_mov_b32 s26, exec_lo
	s_delay_alu instid0(VALU_DEP_2)
	v_cmpx_ne_u32_e32 0x7f, v44
	s_cbranch_execz .LBB266_548
; %bb.545:                              ;   in Loop: Header=BB266_525 Depth=1
	v_and_b32_e32 v30, 7, v1
	v_lshrrev_b32_e32 v43, 3, v44
	s_mov_b32 s27, exec_lo
	v_cmpx_gt_u32_e32 8, v44
; %bb.546:                              ;   in Loop: Header=BB266_525 Depth=1
	s_delay_alu instid0(VALU_DEP_3) | instskip(NEXT) | instid1(VALU_DEP_1)
	v_clz_i32_u32_e32 v30, v30
	v_min_u32_e32 v30, 32, v30
	s_delay_alu instid0(VALU_DEP_1) | instskip(NEXT) | instid1(VALU_DEP_1)
	v_subrev_nc_u32_e32 v43, 28, v30
	v_lshlrev_b64_e32 v[44:45], v43, v[1:2]
	v_sub_nc_u32_e32 v43, 29, v30
	s_delay_alu instid0(VALU_DEP_2)
	v_and_b32_e32 v30, 7, v44
; %bb.547:                              ;   in Loop: Header=BB266_525 Depth=1
	s_or_b32 exec_lo, exec_lo, s27
	v_lshlrev_b32_e32 v1, 8, v1
	s_delay_alu instid0(VALU_DEP_3) | instskip(NEXT) | instid1(VALU_DEP_3)
	v_lshl_add_u32 v43, v43, 10, 0x2000
	v_lshlrev_b32_e32 v30, 7, v30
	s_delay_alu instid0(VALU_DEP_3) | instskip(NEXT) | instid1(VALU_DEP_3)
	v_and_b32_e32 v1, 0x8000, v1
	v_and_b32_e32 v43, 0xfc00, v43
	s_delay_alu instid0(VALU_DEP_1)
	v_or3_b32 v30, v1, v43, v30
.LBB266_548:                            ;   in Loop: Header=BB266_525 Depth=1
	s_or_b32 exec_lo, exec_lo, s26
.LBB266_549:                            ;   in Loop: Header=BB266_525 Depth=1
	s_delay_alu instid0(SALU_CYCLE_1)
	s_or_b32 exec_lo, exec_lo, s25
.LBB266_550:                            ;   in Loop: Header=BB266_525 Depth=1
	s_wait_alu 0xfffe
	s_or_b32 exec_lo, exec_lo, s1
	s_delay_alu instid0(SALU_CYCLE_1)
	s_mov_b32 s1, exec_lo
	v_cmpx_lt_u32_e32 0xffffff, v9
	s_cbranch_execz .LBB266_558
; %bb.551:                              ;   in Loop: Header=BB266_525 Depth=1
	v_lshrrev_b32_e32 v1, 24, v9
	v_bfrev_b32_e32 v42, 1
	s_mov_b32 s25, exec_lo
	s_delay_alu instid0(VALU_DEP_2)
	v_cmpx_ne_u32_e32 0x80, v1
	s_cbranch_execz .LBB266_557
; %bb.552:                              ;   in Loop: Header=BB266_525 Depth=1
	v_and_b32_e32 v44, 0x7f, v1
	v_mov_b32_e32 v42, 0x7c010000
	s_mov_b32 s26, exec_lo
	s_delay_alu instid0(VALU_DEP_2)
	v_cmpx_ne_u32_e32 0x7f, v44
	s_cbranch_execz .LBB266_556
; %bb.553:                              ;   in Loop: Header=BB266_525 Depth=1
	v_and_b32_e32 v42, 7, v1
	v_lshrrev_b32_e32 v43, 3, v44
	s_mov_b32 s27, exec_lo
	v_cmpx_gt_u32_e32 8, v44
; %bb.554:                              ;   in Loop: Header=BB266_525 Depth=1
	s_delay_alu instid0(VALU_DEP_3) | instskip(NEXT) | instid1(VALU_DEP_1)
	v_clz_i32_u32_e32 v42, v42
	v_min_u32_e32 v44, 32, v42
	s_delay_alu instid0(VALU_DEP_1) | instskip(NEXT) | instid1(VALU_DEP_1)
	v_subrev_nc_u32_e32 v42, 28, v44
	v_lshlrev_b64_e32 v[42:43], v42, v[1:2]
	v_sub_nc_u32_e32 v43, 29, v44
	s_delay_alu instid0(VALU_DEP_2)
	v_and_b32_e32 v42, 7, v42
; %bb.555:                              ;   in Loop: Header=BB266_525 Depth=1
	s_or_b32 exec_lo, exec_lo, s27
	v_lshlrev_b32_e32 v1, 8, v1
	s_delay_alu instid0(VALU_DEP_3) | instskip(NEXT) | instid1(VALU_DEP_3)
	v_lshl_add_u32 v43, v43, 10, 0x2000
	v_lshlrev_b32_e32 v42, 23, v42
	s_delay_alu instid0(VALU_DEP_2) | instskip(NEXT) | instid1(VALU_DEP_1)
	v_and_or_b32 v1, 0x8000, v1, v43
	v_lshl_or_b32 v42, v1, 16, v42
.LBB266_556:                            ;   in Loop: Header=BB266_525 Depth=1
	s_or_b32 exec_lo, exec_lo, s26
.LBB266_557:                            ;   in Loop: Header=BB266_525 Depth=1
	s_delay_alu instid0(SALU_CYCLE_1)
	s_or_b32 exec_lo, exec_lo, s25
.LBB266_558:                            ;   in Loop: Header=BB266_525 Depth=1
	s_wait_alu 0xfffe
	s_or_b32 exec_lo, exec_lo, s1
	v_dual_mov_b32 v44, 0 :: v_dual_and_b32 v45, 0xff, v10
	v_mov_b32_e32 v1, v10
	v_mov_b32_e32 v43, 0
	s_mov_b32 s1, exec_lo
	s_delay_alu instid0(VALU_DEP_3)
	v_cmpx_ne_u16_e32 0, v45
	s_cbranch_execz .LBB266_566
; %bb.559:                              ;   in Loop: Header=BB266_525 Depth=1
	v_mov_b32_e32 v44, 0x8000
	s_mov_b32 s25, exec_lo
	v_cmpx_ne_u16_e32 0x80, v45
	s_cbranch_execz .LBB266_565
; %bb.560:                              ;   in Loop: Header=BB266_525 Depth=1
	v_and_b32_e32 v46, 0x7f, v10
	v_mov_b32_e32 v44, 0x7c01
	s_mov_b32 s26, exec_lo
	s_delay_alu instid0(VALU_DEP_2)
	v_cmpx_ne_u32_e32 0x7f, v46
	s_cbranch_execz .LBB266_564
; %bb.561:                              ;   in Loop: Header=BB266_525 Depth=1
	v_and_b32_e32 v44, 7, v10
	v_lshrrev_b32_e32 v45, 3, v46
	s_mov_b32 s27, exec_lo
	v_cmpx_gt_u32_e32 8, v46
; %bb.562:                              ;   in Loop: Header=BB266_525 Depth=1
	s_delay_alu instid0(VALU_DEP_3) | instskip(NEXT) | instid1(VALU_DEP_1)
	v_clz_i32_u32_e32 v44, v44
	v_min_u32_e32 v46, 32, v44
	s_delay_alu instid0(VALU_DEP_1) | instskip(NEXT) | instid1(VALU_DEP_1)
	v_subrev_nc_u32_e32 v44, 28, v46
	v_lshlrev_b64_e32 v[44:45], v44, v[1:2]
	v_sub_nc_u32_e32 v45, 29, v46
	s_delay_alu instid0(VALU_DEP_2)
	v_and_b32_e32 v44, 7, v44
; %bb.563:                              ;   in Loop: Header=BB266_525 Depth=1
	s_or_b32 exec_lo, exec_lo, s27
	v_lshlrev_b32_e32 v46, 8, v10
	s_delay_alu instid0(VALU_DEP_3) | instskip(NEXT) | instid1(VALU_DEP_3)
	v_lshl_add_u32 v45, v45, 10, 0x2000
	v_lshlrev_b32_e32 v44, 7, v44
	s_delay_alu instid0(VALU_DEP_3) | instskip(NEXT) | instid1(VALU_DEP_3)
	v_and_b32_e32 v46, 0x8000, v46
	v_and_b32_e32 v45, 0xfc00, v45
	s_delay_alu instid0(VALU_DEP_1)
	v_or3_b32 v44, v46, v45, v44
.LBB266_564:                            ;   in Loop: Header=BB266_525 Depth=1
	s_or_b32 exec_lo, exec_lo, s26
.LBB266_565:                            ;   in Loop: Header=BB266_525 Depth=1
	s_delay_alu instid0(SALU_CYCLE_1)
	s_or_b32 exec_lo, exec_lo, s25
.LBB266_566:                            ;   in Loop: Header=BB266_525 Depth=1
	s_wait_alu 0xfffe
	s_or_b32 exec_lo, exec_lo, s1
	v_lshrrev_b16 v1, 8, v1
	v_mov_b32_e32 v45, 0
	s_mov_b32 s1, exec_lo
	s_delay_alu instid0(VALU_DEP_2)
	v_cmpx_ne_u16_e32 0, v1
	s_cbranch_execz .LBB266_574
; %bb.567:                              ;   in Loop: Header=BB266_525 Depth=1
	v_bfrev_b32_e32 v45, 1
	s_mov_b32 s25, exec_lo
	v_cmpx_ne_u16_e32 0x80, v1
	s_cbranch_execz .LBB266_573
; %bb.568:                              ;   in Loop: Header=BB266_525 Depth=1
	v_and_b32_e32 v46, 0xffff, v1
	v_mov_b32_e32 v45, 0x7c010000
	s_mov_b32 s26, exec_lo
	s_delay_alu instid0(VALU_DEP_2) | instskip(NEXT) | instid1(VALU_DEP_1)
	v_and_b32_e32 v48, 0x7f, v46
	v_cmpx_ne_u32_e32 0x7f, v48
	s_cbranch_execz .LBB266_572
; %bb.569:                              ;   in Loop: Header=BB266_525 Depth=1
	v_and_b32_e32 v45, 7, v46
	v_lshrrev_b32_e32 v47, 3, v48
	s_mov_b32 s27, exec_lo
	v_cmpx_gt_u32_e32 8, v48
; %bb.570:                              ;   in Loop: Header=BB266_525 Depth=1
	s_delay_alu instid0(VALU_DEP_3) | instskip(NEXT) | instid1(VALU_DEP_1)
	v_clz_i32_u32_e32 v45, v45
	v_min_u32_e32 v45, 32, v45
	s_delay_alu instid0(VALU_DEP_1) | instskip(NEXT) | instid1(VALU_DEP_1)
	v_subrev_nc_u32_e32 v47, 28, v45
	v_lshlrev_b64_e32 v[48:49], v47, v[1:2]
	v_sub_nc_u32_e32 v47, 29, v45
	s_delay_alu instid0(VALU_DEP_2)
	v_and_b32_e32 v45, 7, v48
; %bb.571:                              ;   in Loop: Header=BB266_525 Depth=1
	s_or_b32 exec_lo, exec_lo, s27
	v_lshlrev_b32_e32 v1, 8, v46
	s_delay_alu instid0(VALU_DEP_3) | instskip(NEXT) | instid1(VALU_DEP_3)
	v_lshl_add_u32 v46, v47, 10, 0x2000
	v_lshlrev_b32_e32 v45, 23, v45
	s_delay_alu instid0(VALU_DEP_2) | instskip(NEXT) | instid1(VALU_DEP_1)
	v_and_or_b32 v1, 0x8000, v1, v46
	v_lshl_or_b32 v45, v1, 16, v45
.LBB266_572:                            ;   in Loop: Header=BB266_525 Depth=1
	s_or_b32 exec_lo, exec_lo, s26
.LBB266_573:                            ;   in Loop: Header=BB266_525 Depth=1
	s_delay_alu instid0(SALU_CYCLE_1)
	s_or_b32 exec_lo, exec_lo, s25
.LBB266_574:                            ;   in Loop: Header=BB266_525 Depth=1
	s_wait_alu 0xfffe
	s_or_b32 exec_lo, exec_lo, s1
	v_lshrrev_b32_e32 v1, 16, v10
	s_mov_b32 s1, exec_lo
	s_delay_alu instid0(VALU_DEP_1) | instskip(NEXT) | instid1(VALU_DEP_1)
	v_and_b32_e32 v46, 0xff, v1
	v_cmpx_ne_u16_e32 0, v46
	s_cbranch_execz .LBB266_582
; %bb.575:                              ;   in Loop: Header=BB266_525 Depth=1
	v_mov_b32_e32 v43, 0x8000
	s_mov_b32 s25, exec_lo
	v_cmpx_ne_u16_e32 0x80, v46
	s_cbranch_execz .LBB266_581
; %bb.576:                              ;   in Loop: Header=BB266_525 Depth=1
	v_bfe_u32 v47, v10, 16, 7
	v_mov_b32_e32 v43, 0x7c01
	s_mov_b32 s26, exec_lo
	s_delay_alu instid0(VALU_DEP_2)
	v_cmpx_ne_u32_e32 0x7f, v47
	s_cbranch_execz .LBB266_580
; %bb.577:                              ;   in Loop: Header=BB266_525 Depth=1
	v_and_b32_e32 v43, 7, v1
	v_lshrrev_b32_e32 v46, 3, v47
	s_mov_b32 s27, exec_lo
	v_cmpx_gt_u32_e32 8, v47
; %bb.578:                              ;   in Loop: Header=BB266_525 Depth=1
	s_delay_alu instid0(VALU_DEP_3) | instskip(NEXT) | instid1(VALU_DEP_1)
	v_clz_i32_u32_e32 v43, v43
	v_min_u32_e32 v43, 32, v43
	s_delay_alu instid0(VALU_DEP_1) | instskip(NEXT) | instid1(VALU_DEP_1)
	v_subrev_nc_u32_e32 v46, 28, v43
	v_lshlrev_b64_e32 v[47:48], v46, v[1:2]
	v_sub_nc_u32_e32 v46, 29, v43
	s_delay_alu instid0(VALU_DEP_2)
	v_and_b32_e32 v43, 7, v47
; %bb.579:                              ;   in Loop: Header=BB266_525 Depth=1
	s_or_b32 exec_lo, exec_lo, s27
	v_lshlrev_b32_e32 v1, 8, v1
	s_delay_alu instid0(VALU_DEP_3) | instskip(NEXT) | instid1(VALU_DEP_3)
	v_lshl_add_u32 v46, v46, 10, 0x2000
	v_lshlrev_b32_e32 v43, 7, v43
	s_delay_alu instid0(VALU_DEP_3) | instskip(NEXT) | instid1(VALU_DEP_3)
	v_and_b32_e32 v1, 0x8000, v1
	v_and_b32_e32 v46, 0xfc00, v46
	s_delay_alu instid0(VALU_DEP_1)
	v_or3_b32 v43, v1, v46, v43
.LBB266_580:                            ;   in Loop: Header=BB266_525 Depth=1
	s_or_b32 exec_lo, exec_lo, s26
.LBB266_581:                            ;   in Loop: Header=BB266_525 Depth=1
	s_delay_alu instid0(SALU_CYCLE_1)
	s_or_b32 exec_lo, exec_lo, s25
.LBB266_582:                            ;   in Loop: Header=BB266_525 Depth=1
	s_wait_alu 0xfffe
	s_or_b32 exec_lo, exec_lo, s1
	v_cmp_lt_u64_e64 s0, s[2:3], v[9:10]
	v_mov_b32_e32 v9, 0
	s_and_saveexec_b32 s1, s0
	s_cbranch_execz .LBB266_590
; %bb.583:                              ;   in Loop: Header=BB266_525 Depth=1
	v_lshrrev_b32_e32 v1, 24, v10
	v_bfrev_b32_e32 v9, 1
	s_mov_b32 s25, exec_lo
	s_delay_alu instid0(VALU_DEP_2)
	v_cmpx_ne_u32_e32 0x80, v1
	s_cbranch_execz .LBB266_589
; %bb.584:                              ;   in Loop: Header=BB266_525 Depth=1
	v_and_b32_e32 v46, 0x7f, v1
	v_mov_b32_e32 v9, 0x7c010000
	s_mov_b32 s26, exec_lo
	s_delay_alu instid0(VALU_DEP_2)
	v_cmpx_ne_u32_e32 0x7f, v46
	s_cbranch_execz .LBB266_588
; %bb.585:                              ;   in Loop: Header=BB266_525 Depth=1
	v_and_b32_e32 v9, 7, v1
	v_lshrrev_b32_e32 v10, 3, v46
	s_mov_b32 s27, exec_lo
	v_cmpx_gt_u32_e32 8, v46
; %bb.586:                              ;   in Loop: Header=BB266_525 Depth=1
	s_delay_alu instid0(VALU_DEP_3) | instskip(NEXT) | instid1(VALU_DEP_1)
	v_clz_i32_u32_e32 v9, v9
	v_min_u32_e32 v46, 32, v9
	s_delay_alu instid0(VALU_DEP_1) | instskip(NEXT) | instid1(VALU_DEP_1)
	v_subrev_nc_u32_e32 v9, 28, v46
	v_lshlrev_b64_e32 v[9:10], v9, v[1:2]
	v_sub_nc_u32_e32 v10, 29, v46
	s_delay_alu instid0(VALU_DEP_2)
	v_and_b32_e32 v9, 7, v9
; %bb.587:                              ;   in Loop: Header=BB266_525 Depth=1
	s_or_b32 exec_lo, exec_lo, s27
	v_lshlrev_b32_e32 v1, 8, v1
	s_delay_alu instid0(VALU_DEP_3) | instskip(NEXT) | instid1(VALU_DEP_3)
	v_lshl_add_u32 v10, v10, 10, 0x2000
	v_lshlrev_b32_e32 v9, 23, v9
	s_delay_alu instid0(VALU_DEP_2) | instskip(NEXT) | instid1(VALU_DEP_1)
	v_and_or_b32 v1, 0x8000, v1, v10
	v_lshl_or_b32 v9, v1, 16, v9
.LBB266_588:                            ;   in Loop: Header=BB266_525 Depth=1
	s_or_b32 exec_lo, exec_lo, s26
.LBB266_589:                            ;   in Loop: Header=BB266_525 Depth=1
	s_delay_alu instid0(SALU_CYCLE_1)
	s_or_b32 exec_lo, exec_lo, s25
.LBB266_590:                            ;   in Loop: Header=BB266_525 Depth=1
	s_wait_alu 0xfffe
	s_or_b32 exec_lo, exec_lo, s1
	v_or_b32_e32 v1, v42, v30
	s_wait_loadcnt 0x0
	v_fma_mixlo_f16 v10, v39, v42, 0 op_sel:[0,1,0] op_sel_hi:[0,1,0]
	v_or_b32_e32 v46, v40, v41
	v_fma_mixlo_f16 v41, v39, v40, 0 op_sel:[0,1,0] op_sel_hi:[0,1,0]
	v_or_b32_e32 v44, v45, v44
	v_fma_mixlo_f16 v1, v39, v1, 0 op_sel_hi:[0,1,0]
	v_or_b32_e32 v43, v9, v43
	v_lshlrev_b32_e32 v40, 16, v10
	v_lshlrev_b32_e32 v42, 16, v41
	v_fma_mixlo_f16 v10, v39, v45, 0 op_sel:[0,1,0] op_sel_hi:[0,1,0]
	v_and_b32_e32 v41, 0xffff, v1
	v_fma_mixlo_f16 v1, v39, v46, 0 op_sel_hi:[0,1,0]
	v_fma_mixlo_f16 v44, v39, v44, 0 op_sel_hi:[0,1,0]
	v_fma_mixlo_f16 v45, v39, v9, 0 op_sel:[0,1,0] op_sel_hi:[0,1,0]
	v_fma_mixlo_f16 v43, v39, v43, 0 op_sel_hi:[0,1,0]
	v_lshlrev_b32_e32 v9, 16, v10
	v_and_b32_e32 v47, 0xffff, v1
	v_and_b32_e32 v39, 0xffff, v44
	v_lshlrev_b32_e32 v1, 16, v45
	v_and_b32_e32 v10, 0xffff, v43
	v_add_nc_u32_e32 v30, v27, v14
	v_cmp_eq_u32_e64 s0, s37, v15
	v_or_b32_e32 v43, v40, v41
	v_or_b32_e32 v44, v42, v47
	;; [unrolled: 1-line block ×4, first 2 shown]
	s_and_saveexec_b32 s25, s0
	s_cbranch_execz .LBB266_592
; %bb.591:                              ;   in Loop: Header=BB266_525 Depth=1
	v_add_nc_u32_e32 v43, 1, v30
	v_cmp_gt_i32_e64 s1, s34, v30
	v_add_nc_u32_e32 v44, 2, v30
	v_add_nc_u32_e32 v46, 3, v30
	s_wait_alu 0xf1ff
	s_delay_alu instid0(VALU_DEP_3) | instskip(SKIP_3) | instid1(VALU_DEP_2)
	v_cndmask_b32_e64 v45, 0, v47, s1
	v_cmp_gt_i32_e64 s1, s34, v43
	v_add_nc_u32_e32 v43, 4, v30
	s_wait_alu 0xf1ff
	v_cndmask_b32_e64 v42, 0, v42, s1
	v_cmp_gt_i32_e64 s1, s34, v44
	v_add_nc_u32_e32 v44, 5, v30
	s_wait_alu 0xf1ff
	s_delay_alu instid0(VALU_DEP_2) | instskip(SKIP_3) | instid1(VALU_DEP_2)
	v_cndmask_b32_e64 v41, 0, v41, s1
	v_cmp_gt_i32_e64 s1, s34, v46
	v_add_nc_u32_e32 v46, 6, v30
	s_wait_alu 0xf1ff
	v_cndmask_b32_e64 v40, 0, v40, s1
	v_cmp_gt_i32_e64 s1, s34, v43
	v_add_nc_u32_e32 v43, 7, v30
	s_wait_alu 0xf1ff
	s_delay_alu instid0(VALU_DEP_2) | instskip(SKIP_3) | instid1(VALU_DEP_2)
	v_cndmask_b32_e64 v39, 0, v39, s1
	v_cmp_gt_i32_e64 s1, s34, v44
	v_or_b32_e32 v44, v42, v45
	s_wait_alu 0xf1ff
	v_cndmask_b32_e64 v9, 0, v9, s1
	v_cmp_gt_i32_e64 s1, s34, v46
	s_delay_alu instid0(VALU_DEP_2) | instskip(SKIP_1) | instid1(VALU_DEP_2)
	v_or_b32_e32 v45, v9, v39
	s_wait_alu 0xf1ff
	v_cndmask_b32_e64 v10, 0, v10, s1
	v_cmp_gt_i32_e64 s1, s34, v43
	v_or_b32_e32 v43, v40, v41
	s_wait_alu 0xf1ff
	s_delay_alu instid0(VALU_DEP_2) | instskip(NEXT) | instid1(VALU_DEP_1)
	v_cndmask_b32_e64 v1, 0, v1, s1
	v_or_b32_e32 v46, v1, v10
.LBB266_592:                            ;   in Loop: Header=BB266_525 Depth=1
	s_or_b32 exec_lo, exec_lo, s25
	v_and_b32_e32 v1, 0xffff, v34
	v_dual_mov_b32 v39, 0 :: v_dual_and_b32 v10, 0xffff, v36
	v_and_b32_e32 v38, 0xffff, v38
	v_and_b32_e32 v9, 0xffff, v35
	s_mov_b32 s25, exec_lo
	s_delay_alu instid0(VALU_DEP_3) | instskip(NEXT) | instid1(VALU_DEP_3)
	v_lshl_or_b32 v34, v33, 16, v10
	v_lshl_or_b32 v33, v37, 16, v38
	v_mov_b32_e32 v38, 0
	v_lshl_or_b32 v36, v31, 16, v1
	;;#ASMSTART
	v_pk_mul_f16 v1, v36, v44;

	;;#ASMEND
	v_lshl_or_b32 v35, v32, 16, v9
	;;#ASMSTART
	v_pk_mul_f16 v9, v35, v43;

	;;#ASMEND
	;;#ASMSTART
	v_pk_mul_f16 v10, v34, v45;

	;;#ASMEND
	;; [unrolled: 4-line block ×3, first 2 shown]
	;;#ASMSTART
	v_pk_add_f16 v1, v1, v9;

	;;#ASMEND
	;;#ASMSTART
	v_pk_add_f16 v1, v1, v10;

	;;#ASMEND
	;; [unrolled: 4-line block ×3, first 2 shown]
	v_and_b32_e32 v9, 0xffff, v1
	v_lshrrev_b32_e32 v1, 16, v1
	;;#ASMSTART
	v_cvt_f32_f16 v31, v9;
	;;#ASMEND
	;;#ASMSTART
	v_cvt_f32_f16 v32, v1;
	;;#ASMEND
	global_load_b64 v[9:10], v[7:8], off offset:256
	global_load_b32 v37, v38, s[10:11]
	s_wait_loadcnt 0x1
	v_and_b32_e32 v1, 0xff, v9
	s_delay_alu instid0(VALU_DEP_1)
	v_cmpx_ne_u16_e32 0, v1
	s_cbranch_execz .LBB266_600
; %bb.593:                              ;   in Loop: Header=BB266_525 Depth=1
	v_mov_b32_e32 v39, 0x8000
	s_mov_b32 s26, exec_lo
	v_cmpx_ne_u16_e32 0x80, v1
	s_cbranch_execz .LBB266_599
; %bb.594:                              ;   in Loop: Header=BB266_525 Depth=1
	v_and_b32_e32 v40, 0x7f, v9
	v_mov_b32_e32 v39, 0x7c01
	s_mov_b32 s27, exec_lo
	s_delay_alu instid0(VALU_DEP_2)
	v_cmpx_ne_u32_e32 0x7f, v40
	s_cbranch_execz .LBB266_598
; %bb.595:                              ;   in Loop: Header=BB266_525 Depth=1
	v_and_b32_e32 v1, 7, v9
	v_lshrrev_b32_e32 v39, 3, v40
	s_mov_b32 s28, exec_lo
	v_cmpx_gt_u32_e32 8, v40
; %bb.596:                              ;   in Loop: Header=BB266_525 Depth=1
	s_delay_alu instid0(VALU_DEP_3) | instskip(NEXT) | instid1(VALU_DEP_1)
	v_clz_i32_u32_e32 v1, v1
	v_min_u32_e32 v1, 32, v1
	s_delay_alu instid0(VALU_DEP_1) | instskip(NEXT) | instid1(VALU_DEP_1)
	v_subrev_nc_u32_e32 v39, 28, v1
	v_lshlrev_b64_e32 v[40:41], v39, v[9:10]
	v_sub_nc_u32_e32 v39, 29, v1
	s_delay_alu instid0(VALU_DEP_2)
	v_and_b32_e32 v1, 7, v40
; %bb.597:                              ;   in Loop: Header=BB266_525 Depth=1
	s_wait_alu 0xfffe
	s_or_b32 exec_lo, exec_lo, s28
	v_lshlrev_b32_e32 v40, 8, v9
	v_lshl_add_u32 v39, v39, 10, 0x2000
	v_lshlrev_b32_e32 v1, 7, v1
	s_delay_alu instid0(VALU_DEP_3) | instskip(NEXT) | instid1(VALU_DEP_3)
	v_and_b32_e32 v40, 0x8000, v40
	v_and_b32_e32 v39, 0xfc00, v39
	s_delay_alu instid0(VALU_DEP_1)
	v_or3_b32 v39, v40, v39, v1
.LBB266_598:                            ;   in Loop: Header=BB266_525 Depth=1
	s_or_b32 exec_lo, exec_lo, s27
.LBB266_599:                            ;   in Loop: Header=BB266_525 Depth=1
	s_delay_alu instid0(SALU_CYCLE_1)
	s_or_b32 exec_lo, exec_lo, s26
.LBB266_600:                            ;   in Loop: Header=BB266_525 Depth=1
	s_delay_alu instid0(SALU_CYCLE_1) | instskip(SKIP_2) | instid1(VALU_DEP_1)
	s_or_b32 exec_lo, exec_lo, s25
	v_lshrrev_b16 v1, 8, v9
	s_mov_b32 s25, exec_lo
	v_cmpx_ne_u16_e32 0, v1
	s_cbranch_execz .LBB266_608
; %bb.601:                              ;   in Loop: Header=BB266_525 Depth=1
	v_bfrev_b32_e32 v38, 1
	s_mov_b32 s26, exec_lo
	v_cmpx_ne_u16_e32 0x80, v1
	s_cbranch_execz .LBB266_607
; %bb.602:                              ;   in Loop: Header=BB266_525 Depth=1
	v_and_b32_e32 v40, 0xffff, v1
	v_mov_b32_e32 v38, 0x7c010000
	s_mov_b32 s27, exec_lo
	s_delay_alu instid0(VALU_DEP_2) | instskip(NEXT) | instid1(VALU_DEP_1)
	v_and_b32_e32 v42, 0x7f, v40
	v_cmpx_ne_u32_e32 0x7f, v42
	s_cbranch_execz .LBB266_606
; %bb.603:                              ;   in Loop: Header=BB266_525 Depth=1
	v_and_b32_e32 v38, 7, v40
	v_lshrrev_b32_e32 v41, 3, v42
	s_mov_b32 s28, exec_lo
	v_cmpx_gt_u32_e32 8, v42
; %bb.604:                              ;   in Loop: Header=BB266_525 Depth=1
	s_delay_alu instid0(VALU_DEP_3) | instskip(NEXT) | instid1(VALU_DEP_1)
	v_clz_i32_u32_e32 v38, v38
	v_min_u32_e32 v38, 32, v38
	s_delay_alu instid0(VALU_DEP_1) | instskip(NEXT) | instid1(VALU_DEP_1)
	v_subrev_nc_u32_e32 v41, 28, v38
	v_lshlrev_b64_e32 v[42:43], v41, v[1:2]
	v_sub_nc_u32_e32 v41, 29, v38
	s_delay_alu instid0(VALU_DEP_2)
	v_and_b32_e32 v38, 7, v42
; %bb.605:                              ;   in Loop: Header=BB266_525 Depth=1
	s_wait_alu 0xfffe
	s_or_b32 exec_lo, exec_lo, s28
	v_lshlrev_b32_e32 v1, 8, v40
	v_lshl_add_u32 v40, v41, 10, 0x2000
	v_lshlrev_b32_e32 v38, 23, v38
	s_delay_alu instid0(VALU_DEP_2) | instskip(NEXT) | instid1(VALU_DEP_1)
	v_and_or_b32 v1, 0x8000, v1, v40
	v_lshl_or_b32 v38, v1, 16, v38
.LBB266_606:                            ;   in Loop: Header=BB266_525 Depth=1
	s_or_b32 exec_lo, exec_lo, s27
.LBB266_607:                            ;   in Loop: Header=BB266_525 Depth=1
	s_delay_alu instid0(SALU_CYCLE_1)
	s_or_b32 exec_lo, exec_lo, s26
.LBB266_608:                            ;   in Loop: Header=BB266_525 Depth=1
	s_delay_alu instid0(SALU_CYCLE_1) | instskip(SKIP_3) | instid1(VALU_DEP_2)
	s_or_b32 exec_lo, exec_lo, s25
	v_lshrrev_b32_e32 v1, 16, v9
	v_mov_b32_e32 v40, 0
	s_mov_b32 s25, exec_lo
	v_dual_mov_b32 v41, 0 :: v_dual_and_b32 v42, 0xff, v1
	s_delay_alu instid0(VALU_DEP_1)
	v_cmpx_ne_u16_e32 0, v42
	s_cbranch_execz .LBB266_616
; %bb.609:                              ;   in Loop: Header=BB266_525 Depth=1
	v_mov_b32_e32 v41, 0x8000
	s_mov_b32 s26, exec_lo
	v_cmpx_ne_u16_e32 0x80, v42
	s_cbranch_execz .LBB266_615
; %bb.610:                              ;   in Loop: Header=BB266_525 Depth=1
	v_bfe_u32 v43, v9, 16, 7
	v_mov_b32_e32 v41, 0x7c01
	s_mov_b32 s27, exec_lo
	s_delay_alu instid0(VALU_DEP_2)
	v_cmpx_ne_u32_e32 0x7f, v43
	s_cbranch_execz .LBB266_614
; %bb.611:                              ;   in Loop: Header=BB266_525 Depth=1
	v_and_b32_e32 v41, 7, v1
	v_lshrrev_b32_e32 v42, 3, v43
	s_mov_b32 s28, exec_lo
	v_cmpx_gt_u32_e32 8, v43
; %bb.612:                              ;   in Loop: Header=BB266_525 Depth=1
	s_delay_alu instid0(VALU_DEP_3) | instskip(NEXT) | instid1(VALU_DEP_1)
	v_clz_i32_u32_e32 v41, v41
	v_min_u32_e32 v43, 32, v41
	s_delay_alu instid0(VALU_DEP_1) | instskip(NEXT) | instid1(VALU_DEP_1)
	v_subrev_nc_u32_e32 v41, 28, v43
	v_lshlrev_b64_e32 v[41:42], v41, v[1:2]
	v_sub_nc_u32_e32 v42, 29, v43
	s_delay_alu instid0(VALU_DEP_2)
	v_and_b32_e32 v41, 7, v41
; %bb.613:                              ;   in Loop: Header=BB266_525 Depth=1
	s_wait_alu 0xfffe
	s_or_b32 exec_lo, exec_lo, s28
	v_lshlrev_b32_e32 v1, 8, v1
	v_lshl_add_u32 v42, v42, 10, 0x2000
	v_lshlrev_b32_e32 v41, 7, v41
	s_delay_alu instid0(VALU_DEP_3) | instskip(NEXT) | instid1(VALU_DEP_3)
	v_and_b32_e32 v1, 0x8000, v1
	v_and_b32_e32 v42, 0xfc00, v42
	s_delay_alu instid0(VALU_DEP_1)
	v_or3_b32 v41, v1, v42, v41
.LBB266_614:                            ;   in Loop: Header=BB266_525 Depth=1
	s_or_b32 exec_lo, exec_lo, s27
.LBB266_615:                            ;   in Loop: Header=BB266_525 Depth=1
	s_delay_alu instid0(SALU_CYCLE_1)
	s_or_b32 exec_lo, exec_lo, s26
.LBB266_616:                            ;   in Loop: Header=BB266_525 Depth=1
	s_delay_alu instid0(SALU_CYCLE_1) | instskip(NEXT) | instid1(SALU_CYCLE_1)
	s_or_b32 exec_lo, exec_lo, s25
	s_mov_b32 s25, exec_lo
	v_cmpx_lt_u32_e32 0xffffff, v9
	s_cbranch_execz .LBB266_624
; %bb.617:                              ;   in Loop: Header=BB266_525 Depth=1
	v_lshrrev_b32_e32 v1, 24, v9
	v_bfrev_b32_e32 v40, 1
	s_mov_b32 s26, exec_lo
	s_delay_alu instid0(VALU_DEP_2)
	v_cmpx_ne_u32_e32 0x80, v1
	s_cbranch_execz .LBB266_623
; %bb.618:                              ;   in Loop: Header=BB266_525 Depth=1
	v_and_b32_e32 v43, 0x7f, v1
	v_mov_b32_e32 v40, 0x7c010000
	s_mov_b32 s27, exec_lo
	s_delay_alu instid0(VALU_DEP_2)
	v_cmpx_ne_u32_e32 0x7f, v43
	s_cbranch_execz .LBB266_622
; %bb.619:                              ;   in Loop: Header=BB266_525 Depth=1
	v_and_b32_e32 v40, 7, v1
	v_lshrrev_b32_e32 v42, 3, v43
	s_mov_b32 s28, exec_lo
	v_cmpx_gt_u32_e32 8, v43
; %bb.620:                              ;   in Loop: Header=BB266_525 Depth=1
	s_delay_alu instid0(VALU_DEP_3) | instskip(NEXT) | instid1(VALU_DEP_1)
	v_clz_i32_u32_e32 v40, v40
	v_min_u32_e32 v40, 32, v40
	s_delay_alu instid0(VALU_DEP_1) | instskip(NEXT) | instid1(VALU_DEP_1)
	v_subrev_nc_u32_e32 v42, 28, v40
	v_lshlrev_b64_e32 v[43:44], v42, v[1:2]
	v_sub_nc_u32_e32 v42, 29, v40
	s_delay_alu instid0(VALU_DEP_2)
	v_and_b32_e32 v40, 7, v43
; %bb.621:                              ;   in Loop: Header=BB266_525 Depth=1
	s_wait_alu 0xfffe
	s_or_b32 exec_lo, exec_lo, s28
	v_lshlrev_b32_e32 v1, 8, v1
	v_lshl_add_u32 v42, v42, 10, 0x2000
	v_lshlrev_b32_e32 v40, 23, v40
	s_delay_alu instid0(VALU_DEP_2) | instskip(NEXT) | instid1(VALU_DEP_1)
	v_and_or_b32 v1, 0x8000, v1, v42
	v_lshl_or_b32 v40, v1, 16, v40
.LBB266_622:                            ;   in Loop: Header=BB266_525 Depth=1
	s_or_b32 exec_lo, exec_lo, s27
.LBB266_623:                            ;   in Loop: Header=BB266_525 Depth=1
	s_delay_alu instid0(SALU_CYCLE_1)
	s_or_b32 exec_lo, exec_lo, s26
.LBB266_624:                            ;   in Loop: Header=BB266_525 Depth=1
	s_delay_alu instid0(SALU_CYCLE_1) | instskip(SKIP_3) | instid1(VALU_DEP_2)
	s_or_b32 exec_lo, exec_lo, s25
	v_dual_mov_b32 v1, v10 :: v_dual_and_b32 v44, 0xff, v10
	v_dual_mov_b32 v42, 0 :: v_dual_mov_b32 v43, 0
	s_mov_b32 s25, exec_lo
	v_cmpx_ne_u16_e32 0, v44
	s_cbranch_execz .LBB266_632
; %bb.625:                              ;   in Loop: Header=BB266_525 Depth=1
	v_mov_b32_e32 v43, 0x8000
	s_mov_b32 s26, exec_lo
	v_cmpx_ne_u16_e32 0x80, v44
	s_cbranch_execz .LBB266_631
; %bb.626:                              ;   in Loop: Header=BB266_525 Depth=1
	v_and_b32_e32 v45, 0x7f, v10
	v_mov_b32_e32 v43, 0x7c01
	s_mov_b32 s27, exec_lo
	s_delay_alu instid0(VALU_DEP_2)
	v_cmpx_ne_u32_e32 0x7f, v45
	s_cbranch_execz .LBB266_630
; %bb.627:                              ;   in Loop: Header=BB266_525 Depth=1
	v_and_b32_e32 v43, 7, v10
	v_lshrrev_b32_e32 v44, 3, v45
	s_mov_b32 s28, exec_lo
	v_cmpx_gt_u32_e32 8, v45
; %bb.628:                              ;   in Loop: Header=BB266_525 Depth=1
	s_delay_alu instid0(VALU_DEP_3) | instskip(NEXT) | instid1(VALU_DEP_1)
	v_clz_i32_u32_e32 v43, v43
	v_min_u32_e32 v45, 32, v43
	s_delay_alu instid0(VALU_DEP_1) | instskip(NEXT) | instid1(VALU_DEP_1)
	v_subrev_nc_u32_e32 v43, 28, v45
	v_lshlrev_b64_e32 v[43:44], v43, v[1:2]
	v_sub_nc_u32_e32 v44, 29, v45
	s_delay_alu instid0(VALU_DEP_2)
	v_and_b32_e32 v43, 7, v43
; %bb.629:                              ;   in Loop: Header=BB266_525 Depth=1
	s_wait_alu 0xfffe
	s_or_b32 exec_lo, exec_lo, s28
	v_lshlrev_b32_e32 v45, 8, v10
	v_lshl_add_u32 v44, v44, 10, 0x2000
	v_lshlrev_b32_e32 v43, 7, v43
	s_delay_alu instid0(VALU_DEP_3) | instskip(NEXT) | instid1(VALU_DEP_3)
	v_and_b32_e32 v45, 0x8000, v45
	v_and_b32_e32 v44, 0xfc00, v44
	s_delay_alu instid0(VALU_DEP_1)
	v_or3_b32 v43, v45, v44, v43
.LBB266_630:                            ;   in Loop: Header=BB266_525 Depth=1
	s_or_b32 exec_lo, exec_lo, s27
.LBB266_631:                            ;   in Loop: Header=BB266_525 Depth=1
	s_delay_alu instid0(SALU_CYCLE_1)
	s_or_b32 exec_lo, exec_lo, s26
.LBB266_632:                            ;   in Loop: Header=BB266_525 Depth=1
	s_delay_alu instid0(SALU_CYCLE_1) | instskip(SKIP_3) | instid1(VALU_DEP_2)
	s_or_b32 exec_lo, exec_lo, s25
	v_lshrrev_b16 v1, 8, v1
	v_mov_b32_e32 v44, 0
	s_mov_b32 s25, exec_lo
	v_cmpx_ne_u16_e32 0, v1
	s_cbranch_execz .LBB266_640
; %bb.633:                              ;   in Loop: Header=BB266_525 Depth=1
	v_bfrev_b32_e32 v44, 1
	s_mov_b32 s26, exec_lo
	v_cmpx_ne_u16_e32 0x80, v1
	s_cbranch_execz .LBB266_639
; %bb.634:                              ;   in Loop: Header=BB266_525 Depth=1
	v_and_b32_e32 v45, 0xffff, v1
	v_mov_b32_e32 v44, 0x7c010000
	s_mov_b32 s27, exec_lo
	s_delay_alu instid0(VALU_DEP_2) | instskip(NEXT) | instid1(VALU_DEP_1)
	v_and_b32_e32 v47, 0x7f, v45
	v_cmpx_ne_u32_e32 0x7f, v47
	s_cbranch_execz .LBB266_638
; %bb.635:                              ;   in Loop: Header=BB266_525 Depth=1
	v_and_b32_e32 v44, 7, v45
	v_lshrrev_b32_e32 v46, 3, v47
	s_mov_b32 s28, exec_lo
	v_cmpx_gt_u32_e32 8, v47
; %bb.636:                              ;   in Loop: Header=BB266_525 Depth=1
	s_delay_alu instid0(VALU_DEP_3) | instskip(NEXT) | instid1(VALU_DEP_1)
	v_clz_i32_u32_e32 v44, v44
	v_min_u32_e32 v44, 32, v44
	s_delay_alu instid0(VALU_DEP_1) | instskip(NEXT) | instid1(VALU_DEP_1)
	v_subrev_nc_u32_e32 v46, 28, v44
	v_lshlrev_b64_e32 v[47:48], v46, v[1:2]
	v_sub_nc_u32_e32 v46, 29, v44
	s_delay_alu instid0(VALU_DEP_2)
	v_and_b32_e32 v44, 7, v47
; %bb.637:                              ;   in Loop: Header=BB266_525 Depth=1
	s_wait_alu 0xfffe
	s_or_b32 exec_lo, exec_lo, s28
	v_lshlrev_b32_e32 v1, 8, v45
	v_lshl_add_u32 v45, v46, 10, 0x2000
	v_lshlrev_b32_e32 v44, 23, v44
	s_delay_alu instid0(VALU_DEP_2) | instskip(NEXT) | instid1(VALU_DEP_1)
	v_and_or_b32 v1, 0x8000, v1, v45
	v_lshl_or_b32 v44, v1, 16, v44
.LBB266_638:                            ;   in Loop: Header=BB266_525 Depth=1
	s_or_b32 exec_lo, exec_lo, s27
.LBB266_639:                            ;   in Loop: Header=BB266_525 Depth=1
	s_delay_alu instid0(SALU_CYCLE_1)
	s_or_b32 exec_lo, exec_lo, s26
.LBB266_640:                            ;   in Loop: Header=BB266_525 Depth=1
	s_delay_alu instid0(SALU_CYCLE_1) | instskip(SKIP_2) | instid1(VALU_DEP_1)
	s_or_b32 exec_lo, exec_lo, s25
	v_lshrrev_b32_e32 v1, 16, v10
	s_mov_b32 s25, exec_lo
	v_and_b32_e32 v45, 0xff, v1
	s_delay_alu instid0(VALU_DEP_1)
	v_cmpx_ne_u16_e32 0, v45
	s_cbranch_execz .LBB266_648
; %bb.641:                              ;   in Loop: Header=BB266_525 Depth=1
	v_mov_b32_e32 v42, 0x8000
	s_mov_b32 s26, exec_lo
	v_cmpx_ne_u16_e32 0x80, v45
	s_cbranch_execz .LBB266_647
; %bb.642:                              ;   in Loop: Header=BB266_525 Depth=1
	v_bfe_u32 v46, v10, 16, 7
	v_mov_b32_e32 v42, 0x7c01
	s_mov_b32 s27, exec_lo
	s_delay_alu instid0(VALU_DEP_2)
	v_cmpx_ne_u32_e32 0x7f, v46
	s_cbranch_execz .LBB266_646
; %bb.643:                              ;   in Loop: Header=BB266_525 Depth=1
	v_and_b32_e32 v42, 7, v1
	v_lshrrev_b32_e32 v45, 3, v46
	s_mov_b32 s28, exec_lo
	v_cmpx_gt_u32_e32 8, v46
; %bb.644:                              ;   in Loop: Header=BB266_525 Depth=1
	s_delay_alu instid0(VALU_DEP_3) | instskip(NEXT) | instid1(VALU_DEP_1)
	v_clz_i32_u32_e32 v42, v42
	v_min_u32_e32 v42, 32, v42
	s_delay_alu instid0(VALU_DEP_1) | instskip(NEXT) | instid1(VALU_DEP_1)
	v_subrev_nc_u32_e32 v45, 28, v42
	v_lshlrev_b64_e32 v[46:47], v45, v[1:2]
	v_sub_nc_u32_e32 v45, 29, v42
	s_delay_alu instid0(VALU_DEP_2)
	v_and_b32_e32 v42, 7, v46
; %bb.645:                              ;   in Loop: Header=BB266_525 Depth=1
	s_wait_alu 0xfffe
	s_or_b32 exec_lo, exec_lo, s28
	v_lshlrev_b32_e32 v1, 8, v1
	v_lshl_add_u32 v45, v45, 10, 0x2000
	v_lshlrev_b32_e32 v42, 7, v42
	s_delay_alu instid0(VALU_DEP_3) | instskip(NEXT) | instid1(VALU_DEP_3)
	v_and_b32_e32 v1, 0x8000, v1
	v_and_b32_e32 v45, 0xfc00, v45
	s_delay_alu instid0(VALU_DEP_1)
	v_or3_b32 v42, v1, v45, v42
.LBB266_646:                            ;   in Loop: Header=BB266_525 Depth=1
	s_or_b32 exec_lo, exec_lo, s27
.LBB266_647:                            ;   in Loop: Header=BB266_525 Depth=1
	s_delay_alu instid0(SALU_CYCLE_1)
	s_or_b32 exec_lo, exec_lo, s26
.LBB266_648:                            ;   in Loop: Header=BB266_525 Depth=1
	s_delay_alu instid0(SALU_CYCLE_1)
	s_or_b32 exec_lo, exec_lo, s25
	v_cmp_lt_u64_e64 s1, s[2:3], v[9:10]
	v_mov_b32_e32 v9, 0
	s_and_saveexec_b32 s25, s1
	s_cbranch_execz .LBB266_656
; %bb.649:                              ;   in Loop: Header=BB266_525 Depth=1
	v_lshrrev_b32_e32 v1, 24, v10
	v_bfrev_b32_e32 v9, 1
	s_mov_b32 s26, exec_lo
	s_delay_alu instid0(VALU_DEP_2)
	v_cmpx_ne_u32_e32 0x80, v1
	s_cbranch_execz .LBB266_655
; %bb.650:                              ;   in Loop: Header=BB266_525 Depth=1
	v_and_b32_e32 v45, 0x7f, v1
	v_mov_b32_e32 v9, 0x7c010000
	s_mov_b32 s27, exec_lo
	s_delay_alu instid0(VALU_DEP_2)
	v_cmpx_ne_u32_e32 0x7f, v45
	s_cbranch_execz .LBB266_654
; %bb.651:                              ;   in Loop: Header=BB266_525 Depth=1
	v_and_b32_e32 v9, 7, v1
	v_lshrrev_b32_e32 v10, 3, v45
	s_mov_b32 s28, exec_lo
	v_cmpx_gt_u32_e32 8, v45
; %bb.652:                              ;   in Loop: Header=BB266_525 Depth=1
	s_delay_alu instid0(VALU_DEP_3) | instskip(NEXT) | instid1(VALU_DEP_1)
	v_clz_i32_u32_e32 v9, v9
	v_min_u32_e32 v45, 32, v9
	s_delay_alu instid0(VALU_DEP_1) | instskip(NEXT) | instid1(VALU_DEP_1)
	v_subrev_nc_u32_e32 v9, 28, v45
	v_lshlrev_b64_e32 v[9:10], v9, v[1:2]
	v_sub_nc_u32_e32 v10, 29, v45
	s_delay_alu instid0(VALU_DEP_2)
	v_and_b32_e32 v9, 7, v9
; %bb.653:                              ;   in Loop: Header=BB266_525 Depth=1
	s_wait_alu 0xfffe
	s_or_b32 exec_lo, exec_lo, s28
	v_lshlrev_b32_e32 v1, 8, v1
	v_lshl_add_u32 v10, v10, 10, 0x2000
	v_lshlrev_b32_e32 v9, 23, v9
	s_delay_alu instid0(VALU_DEP_2) | instskip(NEXT) | instid1(VALU_DEP_1)
	v_and_or_b32 v1, 0x8000, v1, v10
	v_lshl_or_b32 v9, v1, 16, v9
.LBB266_654:                            ;   in Loop: Header=BB266_525 Depth=1
	s_or_b32 exec_lo, exec_lo, s27
.LBB266_655:                            ;   in Loop: Header=BB266_525 Depth=1
	s_delay_alu instid0(SALU_CYCLE_1)
	s_or_b32 exec_lo, exec_lo, s26
.LBB266_656:                            ;   in Loop: Header=BB266_525 Depth=1
	s_delay_alu instid0(SALU_CYCLE_1)
	s_or_b32 exec_lo, exec_lo, s25
	v_or_b32_e32 v1, v40, v41
	s_wait_loadcnt 0x0
	v_fma_mixlo_f16 v10, v37, v40, 0 op_sel:[0,1,0] op_sel_hi:[0,1,0]
	v_or_b32_e32 v39, v38, v39
	v_or_b32_e32 v41, v44, v43
	v_or_b32_e32 v42, v9, v42
	v_fma_mixlo_f16 v1, v37, v1, 0 op_sel_hi:[0,1,0]
	v_fma_mixlo_f16 v40, v37, v38, 0 op_sel:[0,1,0] op_sel_hi:[0,1,0]
	v_lshlrev_b32_e32 v38, 16, v10
	v_fma_mixlo_f16 v10, v37, v39, 0 op_sel_hi:[0,1,0]
	v_fma_mixlo_f16 v41, v37, v41, 0 op_sel_hi:[0,1,0]
	v_and_b32_e32 v39, 0xffff, v1
	v_fma_mixlo_f16 v1, v37, v44, 0 op_sel:[0,1,0] op_sel_hi:[0,1,0]
	v_fma_mixlo_f16 v43, v37, v9, 0 op_sel:[0,1,0] op_sel_hi:[0,1,0]
	v_fma_mixlo_f16 v42, v37, v42, 0 op_sel_hi:[0,1,0]
	v_lshlrev_b32_e32 v40, 16, v40
	v_and_b32_e32 v44, 0xffff, v10
	v_lshlrev_b32_e32 v9, 16, v1
	v_and_b32_e32 v37, 0xffff, v41
	;; [unrolled: 2-line block ×3, first 2 shown]
	v_or_b32_e32 v41, v38, v39
	v_or_b32_e32 v45, v40, v44
	;; [unrolled: 1-line block ×3, first 2 shown]
	s_delay_alu instid0(VALU_DEP_4)
	v_or_b32_e32 v42, v1, v10
	s_and_saveexec_b32 s25, s0
	s_cbranch_execz .LBB266_658
; %bb.657:                              ;   in Loop: Header=BB266_525 Depth=1
	v_add_nc_u32_e32 v41, 1, v30
	v_cmp_gt_i32_e64 s1, s34, v30
	v_add_nc_u32_e32 v42, 2, v30
	s_wait_alu 0xf1ff
	s_delay_alu instid0(VALU_DEP_2) | instskip(SKIP_4) | instid1(VALU_DEP_3)
	v_cndmask_b32_e64 v43, 0, v44, s1
	v_cmp_gt_i32_e64 s1, s34, v41
	v_add_nc_u32_e32 v44, 3, v30
	v_add_nc_u32_e32 v41, 4, v30
	s_wait_alu 0xf1ff
	v_cndmask_b32_e64 v40, 0, v40, s1
	v_cmp_gt_i32_e64 s1, s34, v42
	v_add_nc_u32_e32 v42, 5, v30
	s_delay_alu instid0(VALU_DEP_3) | instskip(SKIP_1) | instid1(VALU_DEP_3)
	v_or_b32_e32 v45, v40, v43
	s_wait_alu 0xf1ff
	v_cndmask_b32_e64 v39, 0, v39, s1
	v_cmp_gt_i32_e64 s1, s34, v44
	v_add_nc_u32_e32 v44, 6, v30
	s_wait_alu 0xf1ff
	s_delay_alu instid0(VALU_DEP_2) | instskip(SKIP_3) | instid1(VALU_DEP_2)
	v_cndmask_b32_e64 v38, 0, v38, s1
	v_cmp_gt_i32_e64 s1, s34, v41
	v_add_nc_u32_e32 v41, 7, v30
	s_wait_alu 0xf1ff
	v_cndmask_b32_e64 v37, 0, v37, s1
	v_cmp_gt_i32_e64 s1, s34, v42
	s_wait_alu 0xf1ff
	s_delay_alu instid0(VALU_DEP_1) | instskip(SKIP_1) | instid1(VALU_DEP_2)
	v_cndmask_b32_e64 v9, 0, v9, s1
	v_cmp_gt_i32_e64 s1, s34, v44
	v_or_b32_e32 v43, v9, v37
	s_wait_alu 0xf1ff
	s_delay_alu instid0(VALU_DEP_2) | instskip(SKIP_3) | instid1(VALU_DEP_2)
	v_cndmask_b32_e64 v10, 0, v10, s1
	v_cmp_gt_i32_e64 s1, s34, v41
	v_or_b32_e32 v41, v38, v39
	s_wait_alu 0xf1ff
	v_cndmask_b32_e64 v1, 0, v1, s1
	s_delay_alu instid0(VALU_DEP_1)
	v_or_b32_e32 v42, v1, v10
.LBB266_658:                            ;   in Loop: Header=BB266_525 Depth=1
	s_or_b32 exec_lo, exec_lo, s25
	;;#ASMSTART
	v_pk_mul_f16 v1, v36, v45;

	;;#ASMEND
	;;#ASMSTART
	v_pk_mul_f16 v9, v35, v41;

	;;#ASMEND
	;; [unrolled: 4-line block ×4, first 2 shown]
	;;#ASMSTART
	v_pk_add_f16 v1, v1, v9;

	;;#ASMEND
	;;#ASMSTART
	v_pk_add_f16 v1, v1, v10;

	;;#ASMEND
	;; [unrolled: 4-line block ×3, first 2 shown]
	v_dual_mov_b32 v40, 0 :: v_dual_and_b32 v9, 0xffff, v1
	v_lshrrev_b32_e32 v1, 16, v1
	;;#ASMSTART
	v_cvt_f32_f16 v37, v9;
	;;#ASMEND
	;;#ASMSTART
	v_cvt_f32_f16 v38, v1;
	;;#ASMEND
	global_load_b64 v[9:10], v[7:8], off offset:512
	global_load_b32 v39, v40, s[10:11]
	v_mov_b32_e32 v41, 0
	s_mov_b32 s25, exec_lo
	s_wait_loadcnt 0x1
	v_and_b32_e32 v1, 0xff, v9
	s_delay_alu instid0(VALU_DEP_1)
	v_cmpx_ne_u16_e32 0, v1
	s_cbranch_execz .LBB266_666
; %bb.659:                              ;   in Loop: Header=BB266_525 Depth=1
	v_mov_b32_e32 v41, 0x8000
	s_mov_b32 s26, exec_lo
	v_cmpx_ne_u16_e32 0x80, v1
	s_cbranch_execz .LBB266_665
; %bb.660:                              ;   in Loop: Header=BB266_525 Depth=1
	v_and_b32_e32 v42, 0x7f, v9
	v_mov_b32_e32 v41, 0x7c01
	s_mov_b32 s27, exec_lo
	s_delay_alu instid0(VALU_DEP_2)
	v_cmpx_ne_u32_e32 0x7f, v42
	s_cbranch_execz .LBB266_664
; %bb.661:                              ;   in Loop: Header=BB266_525 Depth=1
	v_and_b32_e32 v1, 7, v9
	v_lshrrev_b32_e32 v41, 3, v42
	s_mov_b32 s28, exec_lo
	v_cmpx_gt_u32_e32 8, v42
; %bb.662:                              ;   in Loop: Header=BB266_525 Depth=1
	s_delay_alu instid0(VALU_DEP_3) | instskip(NEXT) | instid1(VALU_DEP_1)
	v_clz_i32_u32_e32 v1, v1
	v_min_u32_e32 v1, 32, v1
	s_delay_alu instid0(VALU_DEP_1) | instskip(NEXT) | instid1(VALU_DEP_1)
	v_subrev_nc_u32_e32 v41, 28, v1
	v_lshlrev_b64_e32 v[42:43], v41, v[9:10]
	v_sub_nc_u32_e32 v41, 29, v1
	s_delay_alu instid0(VALU_DEP_2)
	v_and_b32_e32 v1, 7, v42
; %bb.663:                              ;   in Loop: Header=BB266_525 Depth=1
	s_wait_alu 0xfffe
	s_or_b32 exec_lo, exec_lo, s28
	v_lshlrev_b32_e32 v42, 8, v9
	v_lshl_add_u32 v41, v41, 10, 0x2000
	v_lshlrev_b32_e32 v1, 7, v1
	s_delay_alu instid0(VALU_DEP_3) | instskip(NEXT) | instid1(VALU_DEP_3)
	v_and_b32_e32 v42, 0x8000, v42
	v_and_b32_e32 v41, 0xfc00, v41
	s_delay_alu instid0(VALU_DEP_1)
	v_or3_b32 v41, v42, v41, v1
.LBB266_664:                            ;   in Loop: Header=BB266_525 Depth=1
	s_or_b32 exec_lo, exec_lo, s27
.LBB266_665:                            ;   in Loop: Header=BB266_525 Depth=1
	s_delay_alu instid0(SALU_CYCLE_1)
	s_or_b32 exec_lo, exec_lo, s26
.LBB266_666:                            ;   in Loop: Header=BB266_525 Depth=1
	s_delay_alu instid0(SALU_CYCLE_1) | instskip(SKIP_2) | instid1(VALU_DEP_1)
	s_or_b32 exec_lo, exec_lo, s25
	v_lshrrev_b16 v1, 8, v9
	s_mov_b32 s25, exec_lo
	v_cmpx_ne_u16_e32 0, v1
	s_cbranch_execz .LBB266_674
; %bb.667:                              ;   in Loop: Header=BB266_525 Depth=1
	v_bfrev_b32_e32 v40, 1
	s_mov_b32 s26, exec_lo
	v_cmpx_ne_u16_e32 0x80, v1
	s_cbranch_execz .LBB266_673
; %bb.668:                              ;   in Loop: Header=BB266_525 Depth=1
	v_and_b32_e32 v42, 0xffff, v1
	v_mov_b32_e32 v40, 0x7c010000
	s_mov_b32 s27, exec_lo
	s_delay_alu instid0(VALU_DEP_2) | instskip(NEXT) | instid1(VALU_DEP_1)
	v_and_b32_e32 v44, 0x7f, v42
	v_cmpx_ne_u32_e32 0x7f, v44
	s_cbranch_execz .LBB266_672
; %bb.669:                              ;   in Loop: Header=BB266_525 Depth=1
	v_and_b32_e32 v40, 7, v42
	v_lshrrev_b32_e32 v43, 3, v44
	s_mov_b32 s28, exec_lo
	v_cmpx_gt_u32_e32 8, v44
; %bb.670:                              ;   in Loop: Header=BB266_525 Depth=1
	s_delay_alu instid0(VALU_DEP_3) | instskip(NEXT) | instid1(VALU_DEP_1)
	v_clz_i32_u32_e32 v40, v40
	v_min_u32_e32 v40, 32, v40
	s_delay_alu instid0(VALU_DEP_1) | instskip(NEXT) | instid1(VALU_DEP_1)
	v_subrev_nc_u32_e32 v43, 28, v40
	v_lshlrev_b64_e32 v[44:45], v43, v[1:2]
	v_sub_nc_u32_e32 v43, 29, v40
	s_delay_alu instid0(VALU_DEP_2)
	v_and_b32_e32 v40, 7, v44
; %bb.671:                              ;   in Loop: Header=BB266_525 Depth=1
	s_wait_alu 0xfffe
	s_or_b32 exec_lo, exec_lo, s28
	v_lshlrev_b32_e32 v1, 8, v42
	v_lshl_add_u32 v42, v43, 10, 0x2000
	v_lshlrev_b32_e32 v40, 23, v40
	s_delay_alu instid0(VALU_DEP_2) | instskip(NEXT) | instid1(VALU_DEP_1)
	v_and_or_b32 v1, 0x8000, v1, v42
	v_lshl_or_b32 v40, v1, 16, v40
.LBB266_672:                            ;   in Loop: Header=BB266_525 Depth=1
	s_or_b32 exec_lo, exec_lo, s27
.LBB266_673:                            ;   in Loop: Header=BB266_525 Depth=1
	s_delay_alu instid0(SALU_CYCLE_1)
	s_or_b32 exec_lo, exec_lo, s26
.LBB266_674:                            ;   in Loop: Header=BB266_525 Depth=1
	s_delay_alu instid0(SALU_CYCLE_1) | instskip(SKIP_3) | instid1(VALU_DEP_2)
	s_or_b32 exec_lo, exec_lo, s25
	v_lshrrev_b32_e32 v1, 16, v9
	v_mov_b32_e32 v42, 0
	s_mov_b32 s25, exec_lo
	v_dual_mov_b32 v43, 0 :: v_dual_and_b32 v44, 0xff, v1
	s_delay_alu instid0(VALU_DEP_1)
	v_cmpx_ne_u16_e32 0, v44
	s_cbranch_execz .LBB266_682
; %bb.675:                              ;   in Loop: Header=BB266_525 Depth=1
	v_mov_b32_e32 v43, 0x8000
	s_mov_b32 s26, exec_lo
	v_cmpx_ne_u16_e32 0x80, v44
	s_cbranch_execz .LBB266_681
; %bb.676:                              ;   in Loop: Header=BB266_525 Depth=1
	v_bfe_u32 v45, v9, 16, 7
	v_mov_b32_e32 v43, 0x7c01
	s_mov_b32 s27, exec_lo
	s_delay_alu instid0(VALU_DEP_2)
	v_cmpx_ne_u32_e32 0x7f, v45
	s_cbranch_execz .LBB266_680
; %bb.677:                              ;   in Loop: Header=BB266_525 Depth=1
	v_and_b32_e32 v43, 7, v1
	v_lshrrev_b32_e32 v44, 3, v45
	s_mov_b32 s28, exec_lo
	v_cmpx_gt_u32_e32 8, v45
; %bb.678:                              ;   in Loop: Header=BB266_525 Depth=1
	s_delay_alu instid0(VALU_DEP_3) | instskip(NEXT) | instid1(VALU_DEP_1)
	v_clz_i32_u32_e32 v43, v43
	v_min_u32_e32 v45, 32, v43
	s_delay_alu instid0(VALU_DEP_1) | instskip(NEXT) | instid1(VALU_DEP_1)
	v_subrev_nc_u32_e32 v43, 28, v45
	v_lshlrev_b64_e32 v[43:44], v43, v[1:2]
	v_sub_nc_u32_e32 v44, 29, v45
	s_delay_alu instid0(VALU_DEP_2)
	v_and_b32_e32 v43, 7, v43
; %bb.679:                              ;   in Loop: Header=BB266_525 Depth=1
	s_wait_alu 0xfffe
	s_or_b32 exec_lo, exec_lo, s28
	v_lshlrev_b32_e32 v1, 8, v1
	v_lshl_add_u32 v44, v44, 10, 0x2000
	v_lshlrev_b32_e32 v43, 7, v43
	s_delay_alu instid0(VALU_DEP_3) | instskip(NEXT) | instid1(VALU_DEP_3)
	v_and_b32_e32 v1, 0x8000, v1
	v_and_b32_e32 v44, 0xfc00, v44
	s_delay_alu instid0(VALU_DEP_1)
	v_or3_b32 v43, v1, v44, v43
.LBB266_680:                            ;   in Loop: Header=BB266_525 Depth=1
	s_or_b32 exec_lo, exec_lo, s27
.LBB266_681:                            ;   in Loop: Header=BB266_525 Depth=1
	s_delay_alu instid0(SALU_CYCLE_1)
	s_or_b32 exec_lo, exec_lo, s26
.LBB266_682:                            ;   in Loop: Header=BB266_525 Depth=1
	s_delay_alu instid0(SALU_CYCLE_1) | instskip(NEXT) | instid1(SALU_CYCLE_1)
	s_or_b32 exec_lo, exec_lo, s25
	s_mov_b32 s25, exec_lo
	v_cmpx_lt_u32_e32 0xffffff, v9
	s_cbranch_execz .LBB266_690
; %bb.683:                              ;   in Loop: Header=BB266_525 Depth=1
	v_lshrrev_b32_e32 v1, 24, v9
	v_bfrev_b32_e32 v42, 1
	s_mov_b32 s26, exec_lo
	s_delay_alu instid0(VALU_DEP_2)
	v_cmpx_ne_u32_e32 0x80, v1
	s_cbranch_execz .LBB266_689
; %bb.684:                              ;   in Loop: Header=BB266_525 Depth=1
	v_and_b32_e32 v45, 0x7f, v1
	v_mov_b32_e32 v42, 0x7c010000
	s_mov_b32 s27, exec_lo
	s_delay_alu instid0(VALU_DEP_2)
	v_cmpx_ne_u32_e32 0x7f, v45
	s_cbranch_execz .LBB266_688
; %bb.685:                              ;   in Loop: Header=BB266_525 Depth=1
	v_and_b32_e32 v42, 7, v1
	v_lshrrev_b32_e32 v44, 3, v45
	s_mov_b32 s28, exec_lo
	v_cmpx_gt_u32_e32 8, v45
; %bb.686:                              ;   in Loop: Header=BB266_525 Depth=1
	s_delay_alu instid0(VALU_DEP_3) | instskip(NEXT) | instid1(VALU_DEP_1)
	v_clz_i32_u32_e32 v42, v42
	v_min_u32_e32 v42, 32, v42
	s_delay_alu instid0(VALU_DEP_1) | instskip(NEXT) | instid1(VALU_DEP_1)
	v_subrev_nc_u32_e32 v44, 28, v42
	v_lshlrev_b64_e32 v[45:46], v44, v[1:2]
	v_sub_nc_u32_e32 v44, 29, v42
	s_delay_alu instid0(VALU_DEP_2)
	v_and_b32_e32 v42, 7, v45
; %bb.687:                              ;   in Loop: Header=BB266_525 Depth=1
	s_wait_alu 0xfffe
	s_or_b32 exec_lo, exec_lo, s28
	v_lshlrev_b32_e32 v1, 8, v1
	v_lshl_add_u32 v44, v44, 10, 0x2000
	v_lshlrev_b32_e32 v42, 23, v42
	s_delay_alu instid0(VALU_DEP_2) | instskip(NEXT) | instid1(VALU_DEP_1)
	v_and_or_b32 v1, 0x8000, v1, v44
	v_lshl_or_b32 v42, v1, 16, v42
.LBB266_688:                            ;   in Loop: Header=BB266_525 Depth=1
	s_or_b32 exec_lo, exec_lo, s27
.LBB266_689:                            ;   in Loop: Header=BB266_525 Depth=1
	s_delay_alu instid0(SALU_CYCLE_1)
	s_or_b32 exec_lo, exec_lo, s26
.LBB266_690:                            ;   in Loop: Header=BB266_525 Depth=1
	s_delay_alu instid0(SALU_CYCLE_1) | instskip(SKIP_3) | instid1(VALU_DEP_2)
	s_or_b32 exec_lo, exec_lo, s25
	v_dual_mov_b32 v1, v10 :: v_dual_and_b32 v46, 0xff, v10
	v_dual_mov_b32 v44, 0 :: v_dual_mov_b32 v45, 0
	s_mov_b32 s25, exec_lo
	v_cmpx_ne_u16_e32 0, v46
	s_cbranch_execz .LBB266_698
; %bb.691:                              ;   in Loop: Header=BB266_525 Depth=1
	v_mov_b32_e32 v45, 0x8000
	s_mov_b32 s26, exec_lo
	v_cmpx_ne_u16_e32 0x80, v46
	s_cbranch_execz .LBB266_697
; %bb.692:                              ;   in Loop: Header=BB266_525 Depth=1
	v_and_b32_e32 v47, 0x7f, v10
	v_mov_b32_e32 v45, 0x7c01
	s_mov_b32 s27, exec_lo
	s_delay_alu instid0(VALU_DEP_2)
	v_cmpx_ne_u32_e32 0x7f, v47
	s_cbranch_execz .LBB266_696
; %bb.693:                              ;   in Loop: Header=BB266_525 Depth=1
	v_and_b32_e32 v45, 7, v10
	v_lshrrev_b32_e32 v46, 3, v47
	s_mov_b32 s28, exec_lo
	v_cmpx_gt_u32_e32 8, v47
; %bb.694:                              ;   in Loop: Header=BB266_525 Depth=1
	s_delay_alu instid0(VALU_DEP_3) | instskip(NEXT) | instid1(VALU_DEP_1)
	v_clz_i32_u32_e32 v45, v45
	v_min_u32_e32 v47, 32, v45
	s_delay_alu instid0(VALU_DEP_1) | instskip(NEXT) | instid1(VALU_DEP_1)
	v_subrev_nc_u32_e32 v45, 28, v47
	v_lshlrev_b64_e32 v[45:46], v45, v[1:2]
	v_sub_nc_u32_e32 v46, 29, v47
	s_delay_alu instid0(VALU_DEP_2)
	v_and_b32_e32 v45, 7, v45
; %bb.695:                              ;   in Loop: Header=BB266_525 Depth=1
	s_wait_alu 0xfffe
	s_or_b32 exec_lo, exec_lo, s28
	v_lshlrev_b32_e32 v47, 8, v10
	v_lshl_add_u32 v46, v46, 10, 0x2000
	v_lshlrev_b32_e32 v45, 7, v45
	s_delay_alu instid0(VALU_DEP_3) | instskip(NEXT) | instid1(VALU_DEP_3)
	v_and_b32_e32 v47, 0x8000, v47
	v_and_b32_e32 v46, 0xfc00, v46
	s_delay_alu instid0(VALU_DEP_1)
	v_or3_b32 v45, v47, v46, v45
.LBB266_696:                            ;   in Loop: Header=BB266_525 Depth=1
	s_or_b32 exec_lo, exec_lo, s27
.LBB266_697:                            ;   in Loop: Header=BB266_525 Depth=1
	s_delay_alu instid0(SALU_CYCLE_1)
	s_or_b32 exec_lo, exec_lo, s26
.LBB266_698:                            ;   in Loop: Header=BB266_525 Depth=1
	s_delay_alu instid0(SALU_CYCLE_1) | instskip(SKIP_3) | instid1(VALU_DEP_2)
	s_or_b32 exec_lo, exec_lo, s25
	v_lshrrev_b16 v1, 8, v1
	v_mov_b32_e32 v46, 0
	s_mov_b32 s25, exec_lo
	v_cmpx_ne_u16_e32 0, v1
	s_cbranch_execz .LBB266_706
; %bb.699:                              ;   in Loop: Header=BB266_525 Depth=1
	v_bfrev_b32_e32 v46, 1
	s_mov_b32 s26, exec_lo
	v_cmpx_ne_u16_e32 0x80, v1
	s_cbranch_execz .LBB266_705
; %bb.700:                              ;   in Loop: Header=BB266_525 Depth=1
	v_and_b32_e32 v47, 0xffff, v1
	v_mov_b32_e32 v46, 0x7c010000
	s_mov_b32 s27, exec_lo
	s_delay_alu instid0(VALU_DEP_2) | instskip(NEXT) | instid1(VALU_DEP_1)
	v_and_b32_e32 v49, 0x7f, v47
	v_cmpx_ne_u32_e32 0x7f, v49
	s_cbranch_execz .LBB266_704
; %bb.701:                              ;   in Loop: Header=BB266_525 Depth=1
	v_and_b32_e32 v46, 7, v47
	v_lshrrev_b32_e32 v48, 3, v49
	s_mov_b32 s28, exec_lo
	v_cmpx_gt_u32_e32 8, v49
; %bb.702:                              ;   in Loop: Header=BB266_525 Depth=1
	s_delay_alu instid0(VALU_DEP_3) | instskip(NEXT) | instid1(VALU_DEP_1)
	v_clz_i32_u32_e32 v46, v46
	v_min_u32_e32 v46, 32, v46
	s_delay_alu instid0(VALU_DEP_1) | instskip(NEXT) | instid1(VALU_DEP_1)
	v_subrev_nc_u32_e32 v48, 28, v46
	v_lshlrev_b64_e32 v[49:50], v48, v[1:2]
	v_sub_nc_u32_e32 v48, 29, v46
	s_delay_alu instid0(VALU_DEP_2)
	v_and_b32_e32 v46, 7, v49
; %bb.703:                              ;   in Loop: Header=BB266_525 Depth=1
	s_wait_alu 0xfffe
	s_or_b32 exec_lo, exec_lo, s28
	v_lshlrev_b32_e32 v1, 8, v47
	v_lshl_add_u32 v47, v48, 10, 0x2000
	v_lshlrev_b32_e32 v46, 23, v46
	s_delay_alu instid0(VALU_DEP_2) | instskip(NEXT) | instid1(VALU_DEP_1)
	v_and_or_b32 v1, 0x8000, v1, v47
	v_lshl_or_b32 v46, v1, 16, v46
.LBB266_704:                            ;   in Loop: Header=BB266_525 Depth=1
	s_or_b32 exec_lo, exec_lo, s27
.LBB266_705:                            ;   in Loop: Header=BB266_525 Depth=1
	s_delay_alu instid0(SALU_CYCLE_1)
	s_or_b32 exec_lo, exec_lo, s26
.LBB266_706:                            ;   in Loop: Header=BB266_525 Depth=1
	s_delay_alu instid0(SALU_CYCLE_1) | instskip(SKIP_2) | instid1(VALU_DEP_1)
	s_or_b32 exec_lo, exec_lo, s25
	v_lshrrev_b32_e32 v1, 16, v10
	s_mov_b32 s25, exec_lo
	v_and_b32_e32 v47, 0xff, v1
	s_delay_alu instid0(VALU_DEP_1)
	v_cmpx_ne_u16_e32 0, v47
	s_cbranch_execz .LBB266_714
; %bb.707:                              ;   in Loop: Header=BB266_525 Depth=1
	v_mov_b32_e32 v44, 0x8000
	s_mov_b32 s26, exec_lo
	v_cmpx_ne_u16_e32 0x80, v47
	s_cbranch_execz .LBB266_713
; %bb.708:                              ;   in Loop: Header=BB266_525 Depth=1
	v_bfe_u32 v48, v10, 16, 7
	v_mov_b32_e32 v44, 0x7c01
	s_mov_b32 s27, exec_lo
	s_delay_alu instid0(VALU_DEP_2)
	v_cmpx_ne_u32_e32 0x7f, v48
	s_cbranch_execz .LBB266_712
; %bb.709:                              ;   in Loop: Header=BB266_525 Depth=1
	v_and_b32_e32 v44, 7, v1
	v_lshrrev_b32_e32 v47, 3, v48
	s_mov_b32 s28, exec_lo
	v_cmpx_gt_u32_e32 8, v48
; %bb.710:                              ;   in Loop: Header=BB266_525 Depth=1
	s_delay_alu instid0(VALU_DEP_3) | instskip(NEXT) | instid1(VALU_DEP_1)
	v_clz_i32_u32_e32 v44, v44
	v_min_u32_e32 v44, 32, v44
	s_delay_alu instid0(VALU_DEP_1) | instskip(NEXT) | instid1(VALU_DEP_1)
	v_subrev_nc_u32_e32 v47, 28, v44
	v_lshlrev_b64_e32 v[48:49], v47, v[1:2]
	v_sub_nc_u32_e32 v47, 29, v44
	s_delay_alu instid0(VALU_DEP_2)
	v_and_b32_e32 v44, 7, v48
; %bb.711:                              ;   in Loop: Header=BB266_525 Depth=1
	s_wait_alu 0xfffe
	s_or_b32 exec_lo, exec_lo, s28
	v_lshlrev_b32_e32 v1, 8, v1
	v_lshl_add_u32 v47, v47, 10, 0x2000
	v_lshlrev_b32_e32 v44, 7, v44
	s_delay_alu instid0(VALU_DEP_3) | instskip(NEXT) | instid1(VALU_DEP_3)
	v_and_b32_e32 v1, 0x8000, v1
	v_and_b32_e32 v47, 0xfc00, v47
	s_delay_alu instid0(VALU_DEP_1)
	v_or3_b32 v44, v1, v47, v44
.LBB266_712:                            ;   in Loop: Header=BB266_525 Depth=1
	s_or_b32 exec_lo, exec_lo, s27
.LBB266_713:                            ;   in Loop: Header=BB266_525 Depth=1
	s_delay_alu instid0(SALU_CYCLE_1)
	s_or_b32 exec_lo, exec_lo, s26
.LBB266_714:                            ;   in Loop: Header=BB266_525 Depth=1
	s_delay_alu instid0(SALU_CYCLE_1)
	s_or_b32 exec_lo, exec_lo, s25
	v_cmp_lt_u64_e64 s1, s[2:3], v[9:10]
	v_mov_b32_e32 v9, 0
	s_and_saveexec_b32 s25, s1
	s_cbranch_execz .LBB266_722
; %bb.715:                              ;   in Loop: Header=BB266_525 Depth=1
	v_lshrrev_b32_e32 v1, 24, v10
	v_bfrev_b32_e32 v9, 1
	s_mov_b32 s26, exec_lo
	s_delay_alu instid0(VALU_DEP_2)
	v_cmpx_ne_u32_e32 0x80, v1
	s_cbranch_execz .LBB266_721
; %bb.716:                              ;   in Loop: Header=BB266_525 Depth=1
	v_and_b32_e32 v47, 0x7f, v1
	v_mov_b32_e32 v9, 0x7c010000
	s_mov_b32 s27, exec_lo
	s_delay_alu instid0(VALU_DEP_2)
	v_cmpx_ne_u32_e32 0x7f, v47
	s_cbranch_execz .LBB266_720
; %bb.717:                              ;   in Loop: Header=BB266_525 Depth=1
	v_and_b32_e32 v9, 7, v1
	v_lshrrev_b32_e32 v10, 3, v47
	s_mov_b32 s28, exec_lo
	v_cmpx_gt_u32_e32 8, v47
; %bb.718:                              ;   in Loop: Header=BB266_525 Depth=1
	s_delay_alu instid0(VALU_DEP_3) | instskip(NEXT) | instid1(VALU_DEP_1)
	v_clz_i32_u32_e32 v9, v9
	v_min_u32_e32 v47, 32, v9
	s_delay_alu instid0(VALU_DEP_1) | instskip(NEXT) | instid1(VALU_DEP_1)
	v_subrev_nc_u32_e32 v9, 28, v47
	v_lshlrev_b64_e32 v[9:10], v9, v[1:2]
	v_sub_nc_u32_e32 v10, 29, v47
	s_delay_alu instid0(VALU_DEP_2)
	v_and_b32_e32 v9, 7, v9
; %bb.719:                              ;   in Loop: Header=BB266_525 Depth=1
	s_wait_alu 0xfffe
	s_or_b32 exec_lo, exec_lo, s28
	v_lshlrev_b32_e32 v1, 8, v1
	v_lshl_add_u32 v10, v10, 10, 0x2000
	v_lshlrev_b32_e32 v9, 23, v9
	s_delay_alu instid0(VALU_DEP_2) | instskip(NEXT) | instid1(VALU_DEP_1)
	v_and_or_b32 v1, 0x8000, v1, v10
	v_lshl_or_b32 v9, v1, 16, v9
.LBB266_720:                            ;   in Loop: Header=BB266_525 Depth=1
	s_or_b32 exec_lo, exec_lo, s27
.LBB266_721:                            ;   in Loop: Header=BB266_525 Depth=1
	s_delay_alu instid0(SALU_CYCLE_1)
	s_or_b32 exec_lo, exec_lo, s26
.LBB266_722:                            ;   in Loop: Header=BB266_525 Depth=1
	s_delay_alu instid0(SALU_CYCLE_1)
	s_or_b32 exec_lo, exec_lo, s25
	v_or_b32_e32 v1, v42, v43
	s_wait_loadcnt 0x0
	v_fma_mixlo_f16 v10, v39, v42, 0 op_sel:[0,1,0] op_sel_hi:[0,1,0]
	v_or_b32_e32 v41, v40, v41
	v_or_b32_e32 v43, v46, v45
	;; [unrolled: 1-line block ×3, first 2 shown]
	v_fma_mixlo_f16 v1, v39, v1, 0 op_sel_hi:[0,1,0]
	v_fma_mixlo_f16 v42, v39, v40, 0 op_sel:[0,1,0] op_sel_hi:[0,1,0]
	v_lshlrev_b32_e32 v40, 16, v10
	v_fma_mixlo_f16 v10, v39, v41, 0 op_sel_hi:[0,1,0]
	v_fma_mixlo_f16 v43, v39, v43, 0 op_sel_hi:[0,1,0]
	v_and_b32_e32 v41, 0xffff, v1
	v_fma_mixlo_f16 v1, v39, v46, 0 op_sel:[0,1,0] op_sel_hi:[0,1,0]
	v_fma_mixlo_f16 v45, v39, v9, 0 op_sel:[0,1,0] op_sel_hi:[0,1,0]
	v_fma_mixlo_f16 v44, v39, v44, 0 op_sel_hi:[0,1,0]
	v_lshlrev_b32_e32 v42, 16, v42
	v_and_b32_e32 v46, 0xffff, v10
	v_lshlrev_b32_e32 v9, 16, v1
	v_and_b32_e32 v39, 0xffff, v43
	;; [unrolled: 2-line block ×3, first 2 shown]
	v_or_b32_e32 v43, v40, v41
	v_or_b32_e32 v47, v42, v46
	v_or_b32_e32 v45, v9, v39
	s_delay_alu instid0(VALU_DEP_4)
	v_or_b32_e32 v44, v1, v10
	s_and_saveexec_b32 s25, s0
	s_cbranch_execz .LBB266_724
; %bb.723:                              ;   in Loop: Header=BB266_525 Depth=1
	v_add_nc_u32_e32 v43, 1, v30
	v_cmp_gt_i32_e64 s1, s34, v30
	v_add_nc_u32_e32 v44, 2, v30
	s_wait_alu 0xf1ff
	s_delay_alu instid0(VALU_DEP_2) | instskip(SKIP_4) | instid1(VALU_DEP_3)
	v_cndmask_b32_e64 v45, 0, v46, s1
	v_cmp_gt_i32_e64 s1, s34, v43
	v_add_nc_u32_e32 v46, 3, v30
	v_add_nc_u32_e32 v43, 4, v30
	s_wait_alu 0xf1ff
	v_cndmask_b32_e64 v42, 0, v42, s1
	v_cmp_gt_i32_e64 s1, s34, v44
	v_add_nc_u32_e32 v44, 5, v30
	s_delay_alu instid0(VALU_DEP_3) | instskip(SKIP_1) | instid1(VALU_DEP_3)
	v_or_b32_e32 v47, v42, v45
	s_wait_alu 0xf1ff
	v_cndmask_b32_e64 v41, 0, v41, s1
	v_cmp_gt_i32_e64 s1, s34, v46
	v_add_nc_u32_e32 v46, 6, v30
	s_wait_alu 0xf1ff
	s_delay_alu instid0(VALU_DEP_2) | instskip(SKIP_3) | instid1(VALU_DEP_2)
	v_cndmask_b32_e64 v40, 0, v40, s1
	v_cmp_gt_i32_e64 s1, s34, v43
	v_add_nc_u32_e32 v43, 7, v30
	s_wait_alu 0xf1ff
	v_cndmask_b32_e64 v39, 0, v39, s1
	v_cmp_gt_i32_e64 s1, s34, v44
	s_wait_alu 0xf1ff
	s_delay_alu instid0(VALU_DEP_1) | instskip(SKIP_1) | instid1(VALU_DEP_2)
	v_cndmask_b32_e64 v9, 0, v9, s1
	v_cmp_gt_i32_e64 s1, s34, v46
	v_or_b32_e32 v45, v9, v39
	s_wait_alu 0xf1ff
	s_delay_alu instid0(VALU_DEP_2) | instskip(SKIP_3) | instid1(VALU_DEP_2)
	v_cndmask_b32_e64 v10, 0, v10, s1
	v_cmp_gt_i32_e64 s1, s34, v43
	v_or_b32_e32 v43, v40, v41
	s_wait_alu 0xf1ff
	v_cndmask_b32_e64 v1, 0, v1, s1
	s_delay_alu instid0(VALU_DEP_1)
	v_or_b32_e32 v44, v1, v10
.LBB266_724:                            ;   in Loop: Header=BB266_525 Depth=1
	s_or_b32 exec_lo, exec_lo, s25
	;;#ASMSTART
	v_pk_mul_f16 v1, v36, v47;

	;;#ASMEND
	;;#ASMSTART
	v_pk_mul_f16 v9, v35, v43;

	;;#ASMEND
	;; [unrolled: 4-line block ×4, first 2 shown]
	;;#ASMSTART
	v_pk_add_f16 v1, v1, v9;

	;;#ASMEND
	;;#ASMSTART
	v_pk_add_f16 v1, v1, v10;

	;;#ASMEND
	;; [unrolled: 4-line block ×3, first 2 shown]
	v_dual_mov_b32 v42, 0 :: v_dual_and_b32 v9, 0xffff, v1
	v_lshrrev_b32_e32 v1, 16, v1
	;;#ASMSTART
	v_cvt_f32_f16 v39, v9;
	;;#ASMEND
	;;#ASMSTART
	v_cvt_f32_f16 v40, v1;
	;;#ASMEND
	global_load_b64 v[9:10], v[7:8], off offset:768
	global_load_b32 v41, v42, s[10:11]
	v_mov_b32_e32 v43, 0
	s_mov_b32 s25, exec_lo
	s_wait_loadcnt 0x1
	v_and_b32_e32 v1, 0xff, v9
	s_delay_alu instid0(VALU_DEP_1)
	v_cmpx_ne_u16_e32 0, v1
	s_cbranch_execz .LBB266_732
; %bb.725:                              ;   in Loop: Header=BB266_525 Depth=1
	v_mov_b32_e32 v43, 0x8000
	s_mov_b32 s26, exec_lo
	v_cmpx_ne_u16_e32 0x80, v1
	s_cbranch_execz .LBB266_731
; %bb.726:                              ;   in Loop: Header=BB266_525 Depth=1
	v_and_b32_e32 v44, 0x7f, v9
	v_mov_b32_e32 v43, 0x7c01
	s_mov_b32 s27, exec_lo
	s_delay_alu instid0(VALU_DEP_2)
	v_cmpx_ne_u32_e32 0x7f, v44
	s_cbranch_execz .LBB266_730
; %bb.727:                              ;   in Loop: Header=BB266_525 Depth=1
	v_and_b32_e32 v1, 7, v9
	v_lshrrev_b32_e32 v43, 3, v44
	s_mov_b32 s28, exec_lo
	v_cmpx_gt_u32_e32 8, v44
; %bb.728:                              ;   in Loop: Header=BB266_525 Depth=1
	s_delay_alu instid0(VALU_DEP_3) | instskip(NEXT) | instid1(VALU_DEP_1)
	v_clz_i32_u32_e32 v1, v1
	v_min_u32_e32 v1, 32, v1
	s_delay_alu instid0(VALU_DEP_1) | instskip(NEXT) | instid1(VALU_DEP_1)
	v_subrev_nc_u32_e32 v43, 28, v1
	v_lshlrev_b64_e32 v[44:45], v43, v[9:10]
	v_sub_nc_u32_e32 v43, 29, v1
	s_delay_alu instid0(VALU_DEP_2)
	v_and_b32_e32 v1, 7, v44
; %bb.729:                              ;   in Loop: Header=BB266_525 Depth=1
	s_wait_alu 0xfffe
	s_or_b32 exec_lo, exec_lo, s28
	v_lshlrev_b32_e32 v44, 8, v9
	v_lshl_add_u32 v43, v43, 10, 0x2000
	v_lshlrev_b32_e32 v1, 7, v1
	s_delay_alu instid0(VALU_DEP_3) | instskip(NEXT) | instid1(VALU_DEP_3)
	v_and_b32_e32 v44, 0x8000, v44
	v_and_b32_e32 v43, 0xfc00, v43
	s_delay_alu instid0(VALU_DEP_1)
	v_or3_b32 v43, v44, v43, v1
.LBB266_730:                            ;   in Loop: Header=BB266_525 Depth=1
	s_or_b32 exec_lo, exec_lo, s27
.LBB266_731:                            ;   in Loop: Header=BB266_525 Depth=1
	s_delay_alu instid0(SALU_CYCLE_1)
	s_or_b32 exec_lo, exec_lo, s26
.LBB266_732:                            ;   in Loop: Header=BB266_525 Depth=1
	s_delay_alu instid0(SALU_CYCLE_1) | instskip(SKIP_2) | instid1(VALU_DEP_1)
	s_or_b32 exec_lo, exec_lo, s25
	v_lshrrev_b16 v1, 8, v9
	s_mov_b32 s25, exec_lo
	v_cmpx_ne_u16_e32 0, v1
	s_cbranch_execz .LBB266_740
; %bb.733:                              ;   in Loop: Header=BB266_525 Depth=1
	v_bfrev_b32_e32 v42, 1
	s_mov_b32 s26, exec_lo
	v_cmpx_ne_u16_e32 0x80, v1
	s_cbranch_execz .LBB266_739
; %bb.734:                              ;   in Loop: Header=BB266_525 Depth=1
	v_and_b32_e32 v44, 0xffff, v1
	v_mov_b32_e32 v42, 0x7c010000
	s_mov_b32 s27, exec_lo
	s_delay_alu instid0(VALU_DEP_2) | instskip(NEXT) | instid1(VALU_DEP_1)
	v_and_b32_e32 v46, 0x7f, v44
	v_cmpx_ne_u32_e32 0x7f, v46
	s_cbranch_execz .LBB266_738
; %bb.735:                              ;   in Loop: Header=BB266_525 Depth=1
	v_and_b32_e32 v42, 7, v44
	v_lshrrev_b32_e32 v45, 3, v46
	s_mov_b32 s28, exec_lo
	v_cmpx_gt_u32_e32 8, v46
; %bb.736:                              ;   in Loop: Header=BB266_525 Depth=1
	s_delay_alu instid0(VALU_DEP_3) | instskip(NEXT) | instid1(VALU_DEP_1)
	v_clz_i32_u32_e32 v42, v42
	v_min_u32_e32 v42, 32, v42
	s_delay_alu instid0(VALU_DEP_1) | instskip(NEXT) | instid1(VALU_DEP_1)
	v_subrev_nc_u32_e32 v45, 28, v42
	v_lshlrev_b64_e32 v[46:47], v45, v[1:2]
	v_sub_nc_u32_e32 v45, 29, v42
	s_delay_alu instid0(VALU_DEP_2)
	v_and_b32_e32 v42, 7, v46
; %bb.737:                              ;   in Loop: Header=BB266_525 Depth=1
	s_wait_alu 0xfffe
	s_or_b32 exec_lo, exec_lo, s28
	v_lshlrev_b32_e32 v1, 8, v44
	v_lshl_add_u32 v44, v45, 10, 0x2000
	v_lshlrev_b32_e32 v42, 23, v42
	s_delay_alu instid0(VALU_DEP_2) | instskip(NEXT) | instid1(VALU_DEP_1)
	v_and_or_b32 v1, 0x8000, v1, v44
	v_lshl_or_b32 v42, v1, 16, v42
.LBB266_738:                            ;   in Loop: Header=BB266_525 Depth=1
	s_or_b32 exec_lo, exec_lo, s27
.LBB266_739:                            ;   in Loop: Header=BB266_525 Depth=1
	s_delay_alu instid0(SALU_CYCLE_1)
	s_or_b32 exec_lo, exec_lo, s26
.LBB266_740:                            ;   in Loop: Header=BB266_525 Depth=1
	s_delay_alu instid0(SALU_CYCLE_1) | instskip(SKIP_3) | instid1(VALU_DEP_2)
	s_or_b32 exec_lo, exec_lo, s25
	v_lshrrev_b32_e32 v1, 16, v9
	v_mov_b32_e32 v44, 0
	s_mov_b32 s25, exec_lo
	v_dual_mov_b32 v45, 0 :: v_dual_and_b32 v46, 0xff, v1
	s_delay_alu instid0(VALU_DEP_1)
	v_cmpx_ne_u16_e32 0, v46
	s_cbranch_execz .LBB266_748
; %bb.741:                              ;   in Loop: Header=BB266_525 Depth=1
	v_mov_b32_e32 v45, 0x8000
	s_mov_b32 s26, exec_lo
	v_cmpx_ne_u16_e32 0x80, v46
	s_cbranch_execz .LBB266_747
; %bb.742:                              ;   in Loop: Header=BB266_525 Depth=1
	v_bfe_u32 v47, v9, 16, 7
	v_mov_b32_e32 v45, 0x7c01
	s_mov_b32 s27, exec_lo
	s_delay_alu instid0(VALU_DEP_2)
	v_cmpx_ne_u32_e32 0x7f, v47
	s_cbranch_execz .LBB266_746
; %bb.743:                              ;   in Loop: Header=BB266_525 Depth=1
	v_and_b32_e32 v45, 7, v1
	v_lshrrev_b32_e32 v46, 3, v47
	s_mov_b32 s28, exec_lo
	v_cmpx_gt_u32_e32 8, v47
; %bb.744:                              ;   in Loop: Header=BB266_525 Depth=1
	s_delay_alu instid0(VALU_DEP_3) | instskip(NEXT) | instid1(VALU_DEP_1)
	v_clz_i32_u32_e32 v45, v45
	v_min_u32_e32 v47, 32, v45
	s_delay_alu instid0(VALU_DEP_1) | instskip(NEXT) | instid1(VALU_DEP_1)
	v_subrev_nc_u32_e32 v45, 28, v47
	v_lshlrev_b64_e32 v[45:46], v45, v[1:2]
	v_sub_nc_u32_e32 v46, 29, v47
	s_delay_alu instid0(VALU_DEP_2)
	v_and_b32_e32 v45, 7, v45
; %bb.745:                              ;   in Loop: Header=BB266_525 Depth=1
	s_wait_alu 0xfffe
	s_or_b32 exec_lo, exec_lo, s28
	v_lshlrev_b32_e32 v1, 8, v1
	v_lshl_add_u32 v46, v46, 10, 0x2000
	v_lshlrev_b32_e32 v45, 7, v45
	s_delay_alu instid0(VALU_DEP_3) | instskip(NEXT) | instid1(VALU_DEP_3)
	v_and_b32_e32 v1, 0x8000, v1
	v_and_b32_e32 v46, 0xfc00, v46
	s_delay_alu instid0(VALU_DEP_1)
	v_or3_b32 v45, v1, v46, v45
.LBB266_746:                            ;   in Loop: Header=BB266_525 Depth=1
	s_or_b32 exec_lo, exec_lo, s27
.LBB266_747:                            ;   in Loop: Header=BB266_525 Depth=1
	s_delay_alu instid0(SALU_CYCLE_1)
	s_or_b32 exec_lo, exec_lo, s26
.LBB266_748:                            ;   in Loop: Header=BB266_525 Depth=1
	s_delay_alu instid0(SALU_CYCLE_1) | instskip(NEXT) | instid1(SALU_CYCLE_1)
	s_or_b32 exec_lo, exec_lo, s25
	s_mov_b32 s25, exec_lo
	v_cmpx_lt_u32_e32 0xffffff, v9
	s_cbranch_execz .LBB266_756
; %bb.749:                              ;   in Loop: Header=BB266_525 Depth=1
	v_lshrrev_b32_e32 v1, 24, v9
	v_bfrev_b32_e32 v44, 1
	s_mov_b32 s26, exec_lo
	s_delay_alu instid0(VALU_DEP_2)
	v_cmpx_ne_u32_e32 0x80, v1
	s_cbranch_execz .LBB266_755
; %bb.750:                              ;   in Loop: Header=BB266_525 Depth=1
	v_and_b32_e32 v47, 0x7f, v1
	v_mov_b32_e32 v44, 0x7c010000
	s_mov_b32 s27, exec_lo
	s_delay_alu instid0(VALU_DEP_2)
	v_cmpx_ne_u32_e32 0x7f, v47
	s_cbranch_execz .LBB266_754
; %bb.751:                              ;   in Loop: Header=BB266_525 Depth=1
	v_and_b32_e32 v44, 7, v1
	v_lshrrev_b32_e32 v46, 3, v47
	s_mov_b32 s28, exec_lo
	v_cmpx_gt_u32_e32 8, v47
; %bb.752:                              ;   in Loop: Header=BB266_525 Depth=1
	s_delay_alu instid0(VALU_DEP_3) | instskip(NEXT) | instid1(VALU_DEP_1)
	v_clz_i32_u32_e32 v44, v44
	v_min_u32_e32 v44, 32, v44
	s_delay_alu instid0(VALU_DEP_1) | instskip(NEXT) | instid1(VALU_DEP_1)
	v_subrev_nc_u32_e32 v46, 28, v44
	v_lshlrev_b64_e32 v[47:48], v46, v[1:2]
	v_sub_nc_u32_e32 v46, 29, v44
	s_delay_alu instid0(VALU_DEP_2)
	v_and_b32_e32 v44, 7, v47
; %bb.753:                              ;   in Loop: Header=BB266_525 Depth=1
	s_wait_alu 0xfffe
	s_or_b32 exec_lo, exec_lo, s28
	v_lshlrev_b32_e32 v1, 8, v1
	v_lshl_add_u32 v46, v46, 10, 0x2000
	v_lshlrev_b32_e32 v44, 23, v44
	s_delay_alu instid0(VALU_DEP_2) | instskip(NEXT) | instid1(VALU_DEP_1)
	v_and_or_b32 v1, 0x8000, v1, v46
	v_lshl_or_b32 v44, v1, 16, v44
.LBB266_754:                            ;   in Loop: Header=BB266_525 Depth=1
	s_or_b32 exec_lo, exec_lo, s27
.LBB266_755:                            ;   in Loop: Header=BB266_525 Depth=1
	s_delay_alu instid0(SALU_CYCLE_1)
	s_or_b32 exec_lo, exec_lo, s26
.LBB266_756:                            ;   in Loop: Header=BB266_525 Depth=1
	s_delay_alu instid0(SALU_CYCLE_1) | instskip(SKIP_3) | instid1(VALU_DEP_2)
	s_or_b32 exec_lo, exec_lo, s25
	v_dual_mov_b32 v1, v10 :: v_dual_and_b32 v48, 0xff, v10
	v_dual_mov_b32 v46, 0 :: v_dual_mov_b32 v47, 0
	s_mov_b32 s25, exec_lo
	v_cmpx_ne_u16_e32 0, v48
	s_cbranch_execz .LBB266_764
; %bb.757:                              ;   in Loop: Header=BB266_525 Depth=1
	v_mov_b32_e32 v47, 0x8000
	s_mov_b32 s26, exec_lo
	v_cmpx_ne_u16_e32 0x80, v48
	s_cbranch_execz .LBB266_763
; %bb.758:                              ;   in Loop: Header=BB266_525 Depth=1
	v_and_b32_e32 v49, 0x7f, v10
	v_mov_b32_e32 v47, 0x7c01
	s_mov_b32 s27, exec_lo
	s_delay_alu instid0(VALU_DEP_2)
	v_cmpx_ne_u32_e32 0x7f, v49
	s_cbranch_execz .LBB266_762
; %bb.759:                              ;   in Loop: Header=BB266_525 Depth=1
	v_and_b32_e32 v47, 7, v10
	v_lshrrev_b32_e32 v48, 3, v49
	s_mov_b32 s28, exec_lo
	v_cmpx_gt_u32_e32 8, v49
; %bb.760:                              ;   in Loop: Header=BB266_525 Depth=1
	s_delay_alu instid0(VALU_DEP_3) | instskip(NEXT) | instid1(VALU_DEP_1)
	v_clz_i32_u32_e32 v47, v47
	v_min_u32_e32 v49, 32, v47
	s_delay_alu instid0(VALU_DEP_1) | instskip(NEXT) | instid1(VALU_DEP_1)
	v_subrev_nc_u32_e32 v47, 28, v49
	v_lshlrev_b64_e32 v[47:48], v47, v[1:2]
	v_sub_nc_u32_e32 v48, 29, v49
	s_delay_alu instid0(VALU_DEP_2)
	v_and_b32_e32 v47, 7, v47
; %bb.761:                              ;   in Loop: Header=BB266_525 Depth=1
	s_wait_alu 0xfffe
	s_or_b32 exec_lo, exec_lo, s28
	v_lshlrev_b32_e32 v49, 8, v10
	v_lshl_add_u32 v48, v48, 10, 0x2000
	v_lshlrev_b32_e32 v47, 7, v47
	s_delay_alu instid0(VALU_DEP_3) | instskip(NEXT) | instid1(VALU_DEP_3)
	v_and_b32_e32 v49, 0x8000, v49
	v_and_b32_e32 v48, 0xfc00, v48
	s_delay_alu instid0(VALU_DEP_1)
	v_or3_b32 v47, v49, v48, v47
.LBB266_762:                            ;   in Loop: Header=BB266_525 Depth=1
	s_or_b32 exec_lo, exec_lo, s27
.LBB266_763:                            ;   in Loop: Header=BB266_525 Depth=1
	s_delay_alu instid0(SALU_CYCLE_1)
	s_or_b32 exec_lo, exec_lo, s26
.LBB266_764:                            ;   in Loop: Header=BB266_525 Depth=1
	s_delay_alu instid0(SALU_CYCLE_1) | instskip(SKIP_3) | instid1(VALU_DEP_2)
	s_or_b32 exec_lo, exec_lo, s25
	v_lshrrev_b16 v1, 8, v1
	v_mov_b32_e32 v48, 0
	s_mov_b32 s25, exec_lo
	v_cmpx_ne_u16_e32 0, v1
	s_cbranch_execz .LBB266_772
; %bb.765:                              ;   in Loop: Header=BB266_525 Depth=1
	v_bfrev_b32_e32 v48, 1
	s_mov_b32 s26, exec_lo
	v_cmpx_ne_u16_e32 0x80, v1
	s_cbranch_execz .LBB266_771
; %bb.766:                              ;   in Loop: Header=BB266_525 Depth=1
	v_and_b32_e32 v49, 0xffff, v1
	v_mov_b32_e32 v48, 0x7c010000
	s_mov_b32 s27, exec_lo
	s_delay_alu instid0(VALU_DEP_2) | instskip(NEXT) | instid1(VALU_DEP_1)
	v_and_b32_e32 v51, 0x7f, v49
	v_cmpx_ne_u32_e32 0x7f, v51
	s_cbranch_execz .LBB266_770
; %bb.767:                              ;   in Loop: Header=BB266_525 Depth=1
	v_and_b32_e32 v48, 7, v49
	v_lshrrev_b32_e32 v50, 3, v51
	s_mov_b32 s28, exec_lo
	v_cmpx_gt_u32_e32 8, v51
; %bb.768:                              ;   in Loop: Header=BB266_525 Depth=1
	s_delay_alu instid0(VALU_DEP_3) | instskip(NEXT) | instid1(VALU_DEP_1)
	v_clz_i32_u32_e32 v48, v48
	v_min_u32_e32 v48, 32, v48
	s_delay_alu instid0(VALU_DEP_1) | instskip(NEXT) | instid1(VALU_DEP_1)
	v_subrev_nc_u32_e32 v50, 28, v48
	v_lshlrev_b64_e32 v[51:52], v50, v[1:2]
	v_sub_nc_u32_e32 v50, 29, v48
	s_delay_alu instid0(VALU_DEP_2)
	v_and_b32_e32 v48, 7, v51
; %bb.769:                              ;   in Loop: Header=BB266_525 Depth=1
	s_wait_alu 0xfffe
	s_or_b32 exec_lo, exec_lo, s28
	v_lshlrev_b32_e32 v1, 8, v49
	v_lshl_add_u32 v49, v50, 10, 0x2000
	v_lshlrev_b32_e32 v48, 23, v48
	s_delay_alu instid0(VALU_DEP_2) | instskip(NEXT) | instid1(VALU_DEP_1)
	v_and_or_b32 v1, 0x8000, v1, v49
	v_lshl_or_b32 v48, v1, 16, v48
.LBB266_770:                            ;   in Loop: Header=BB266_525 Depth=1
	s_or_b32 exec_lo, exec_lo, s27
.LBB266_771:                            ;   in Loop: Header=BB266_525 Depth=1
	s_delay_alu instid0(SALU_CYCLE_1)
	s_or_b32 exec_lo, exec_lo, s26
.LBB266_772:                            ;   in Loop: Header=BB266_525 Depth=1
	s_delay_alu instid0(SALU_CYCLE_1) | instskip(SKIP_2) | instid1(VALU_DEP_1)
	s_or_b32 exec_lo, exec_lo, s25
	v_lshrrev_b32_e32 v1, 16, v10
	s_mov_b32 s25, exec_lo
	v_and_b32_e32 v49, 0xff, v1
	s_delay_alu instid0(VALU_DEP_1)
	v_cmpx_ne_u16_e32 0, v49
	s_cbranch_execz .LBB266_780
; %bb.773:                              ;   in Loop: Header=BB266_525 Depth=1
	v_mov_b32_e32 v46, 0x8000
	s_mov_b32 s26, exec_lo
	v_cmpx_ne_u16_e32 0x80, v49
	s_cbranch_execz .LBB266_779
; %bb.774:                              ;   in Loop: Header=BB266_525 Depth=1
	v_bfe_u32 v50, v10, 16, 7
	v_mov_b32_e32 v46, 0x7c01
	s_mov_b32 s27, exec_lo
	s_delay_alu instid0(VALU_DEP_2)
	v_cmpx_ne_u32_e32 0x7f, v50
	s_cbranch_execz .LBB266_778
; %bb.775:                              ;   in Loop: Header=BB266_525 Depth=1
	v_and_b32_e32 v46, 7, v1
	v_lshrrev_b32_e32 v49, 3, v50
	s_mov_b32 s28, exec_lo
	v_cmpx_gt_u32_e32 8, v50
; %bb.776:                              ;   in Loop: Header=BB266_525 Depth=1
	s_delay_alu instid0(VALU_DEP_3) | instskip(NEXT) | instid1(VALU_DEP_1)
	v_clz_i32_u32_e32 v46, v46
	v_min_u32_e32 v46, 32, v46
	s_delay_alu instid0(VALU_DEP_1) | instskip(NEXT) | instid1(VALU_DEP_1)
	v_subrev_nc_u32_e32 v49, 28, v46
	v_lshlrev_b64_e32 v[50:51], v49, v[1:2]
	v_sub_nc_u32_e32 v49, 29, v46
	s_delay_alu instid0(VALU_DEP_2)
	v_and_b32_e32 v46, 7, v50
; %bb.777:                              ;   in Loop: Header=BB266_525 Depth=1
	s_wait_alu 0xfffe
	s_or_b32 exec_lo, exec_lo, s28
	v_lshlrev_b32_e32 v1, 8, v1
	v_lshl_add_u32 v49, v49, 10, 0x2000
	v_lshlrev_b32_e32 v46, 7, v46
	s_delay_alu instid0(VALU_DEP_3) | instskip(NEXT) | instid1(VALU_DEP_3)
	v_and_b32_e32 v1, 0x8000, v1
	v_and_b32_e32 v49, 0xfc00, v49
	s_delay_alu instid0(VALU_DEP_1)
	v_or3_b32 v46, v1, v49, v46
.LBB266_778:                            ;   in Loop: Header=BB266_525 Depth=1
	s_or_b32 exec_lo, exec_lo, s27
.LBB266_779:                            ;   in Loop: Header=BB266_525 Depth=1
	s_delay_alu instid0(SALU_CYCLE_1)
	s_or_b32 exec_lo, exec_lo, s26
.LBB266_780:                            ;   in Loop: Header=BB266_525 Depth=1
	s_delay_alu instid0(SALU_CYCLE_1)
	s_or_b32 exec_lo, exec_lo, s25
	v_cmp_lt_u64_e64 s1, s[2:3], v[9:10]
	v_mov_b32_e32 v9, 0
	s_and_saveexec_b32 s25, s1
	s_cbranch_execz .LBB266_788
; %bb.781:                              ;   in Loop: Header=BB266_525 Depth=1
	v_lshrrev_b32_e32 v1, 24, v10
	v_bfrev_b32_e32 v9, 1
	s_mov_b32 s26, exec_lo
	s_delay_alu instid0(VALU_DEP_2)
	v_cmpx_ne_u32_e32 0x80, v1
	s_cbranch_execz .LBB266_787
; %bb.782:                              ;   in Loop: Header=BB266_525 Depth=1
	v_and_b32_e32 v49, 0x7f, v1
	v_mov_b32_e32 v9, 0x7c010000
	s_mov_b32 s27, exec_lo
	s_delay_alu instid0(VALU_DEP_2)
	v_cmpx_ne_u32_e32 0x7f, v49
	s_cbranch_execz .LBB266_786
; %bb.783:                              ;   in Loop: Header=BB266_525 Depth=1
	v_and_b32_e32 v9, 7, v1
	v_lshrrev_b32_e32 v10, 3, v49
	s_mov_b32 s28, exec_lo
	v_cmpx_gt_u32_e32 8, v49
; %bb.784:                              ;   in Loop: Header=BB266_525 Depth=1
	s_delay_alu instid0(VALU_DEP_3) | instskip(NEXT) | instid1(VALU_DEP_1)
	v_clz_i32_u32_e32 v9, v9
	v_min_u32_e32 v49, 32, v9
	s_delay_alu instid0(VALU_DEP_1) | instskip(NEXT) | instid1(VALU_DEP_1)
	v_subrev_nc_u32_e32 v9, 28, v49
	v_lshlrev_b64_e32 v[9:10], v9, v[1:2]
	v_sub_nc_u32_e32 v10, 29, v49
	s_delay_alu instid0(VALU_DEP_2)
	v_and_b32_e32 v9, 7, v9
; %bb.785:                              ;   in Loop: Header=BB266_525 Depth=1
	s_wait_alu 0xfffe
	s_or_b32 exec_lo, exec_lo, s28
	v_lshlrev_b32_e32 v1, 8, v1
	v_lshl_add_u32 v10, v10, 10, 0x2000
	v_lshlrev_b32_e32 v9, 23, v9
	s_delay_alu instid0(VALU_DEP_2) | instskip(NEXT) | instid1(VALU_DEP_1)
	v_and_or_b32 v1, 0x8000, v1, v10
	v_lshl_or_b32 v9, v1, 16, v9
.LBB266_786:                            ;   in Loop: Header=BB266_525 Depth=1
	s_or_b32 exec_lo, exec_lo, s27
.LBB266_787:                            ;   in Loop: Header=BB266_525 Depth=1
	s_delay_alu instid0(SALU_CYCLE_1)
	s_or_b32 exec_lo, exec_lo, s26
.LBB266_788:                            ;   in Loop: Header=BB266_525 Depth=1
	s_delay_alu instid0(SALU_CYCLE_1)
	s_or_b32 exec_lo, exec_lo, s25
	v_or_b32_e32 v1, v44, v45
	s_wait_loadcnt 0x0
	v_fma_mixlo_f16 v10, v41, v44, 0 op_sel:[0,1,0] op_sel_hi:[0,1,0]
	v_or_b32_e32 v43, v42, v43
	v_or_b32_e32 v45, v48, v47
	;; [unrolled: 1-line block ×3, first 2 shown]
	v_fma_mixlo_f16 v1, v41, v1, 0 op_sel_hi:[0,1,0]
	v_fma_mixlo_f16 v44, v41, v42, 0 op_sel:[0,1,0] op_sel_hi:[0,1,0]
	v_lshlrev_b32_e32 v42, 16, v10
	v_fma_mixlo_f16 v10, v41, v43, 0 op_sel_hi:[0,1,0]
	v_fma_mixlo_f16 v45, v41, v45, 0 op_sel_hi:[0,1,0]
	v_and_b32_e32 v43, 0xffff, v1
	v_fma_mixlo_f16 v1, v41, v48, 0 op_sel:[0,1,0] op_sel_hi:[0,1,0]
	v_fma_mixlo_f16 v47, v41, v9, 0 op_sel:[0,1,0] op_sel_hi:[0,1,0]
	v_fma_mixlo_f16 v46, v41, v46, 0 op_sel_hi:[0,1,0]
	v_lshlrev_b32_e32 v44, 16, v44
	v_and_b32_e32 v48, 0xffff, v10
	v_lshlrev_b32_e32 v9, 16, v1
	v_and_b32_e32 v41, 0xffff, v45
	;; [unrolled: 2-line block ×3, first 2 shown]
	v_or_b32_e32 v45, v42, v43
	v_or_b32_e32 v49, v44, v48
	;; [unrolled: 1-line block ×3, first 2 shown]
	s_delay_alu instid0(VALU_DEP_4)
	v_or_b32_e32 v46, v1, v10
	s_and_saveexec_b32 s25, s0
	s_cbranch_execz .LBB266_790
; %bb.789:                              ;   in Loop: Header=BB266_525 Depth=1
	v_add_nc_u32_e32 v45, 1, v30
	v_cmp_gt_i32_e64 s1, s34, v30
	v_add_nc_u32_e32 v46, 2, v30
	s_wait_alu 0xf1ff
	s_delay_alu instid0(VALU_DEP_2) | instskip(SKIP_4) | instid1(VALU_DEP_3)
	v_cndmask_b32_e64 v47, 0, v48, s1
	v_cmp_gt_i32_e64 s1, s34, v45
	v_add_nc_u32_e32 v48, 3, v30
	v_add_nc_u32_e32 v45, 4, v30
	s_wait_alu 0xf1ff
	v_cndmask_b32_e64 v44, 0, v44, s1
	v_cmp_gt_i32_e64 s1, s34, v46
	v_add_nc_u32_e32 v46, 5, v30
	s_delay_alu instid0(VALU_DEP_3) | instskip(SKIP_1) | instid1(VALU_DEP_3)
	v_or_b32_e32 v49, v44, v47
	s_wait_alu 0xf1ff
	v_cndmask_b32_e64 v43, 0, v43, s1
	v_cmp_gt_i32_e64 s1, s34, v48
	v_add_nc_u32_e32 v48, 6, v30
	s_wait_alu 0xf1ff
	s_delay_alu instid0(VALU_DEP_2) | instskip(SKIP_3) | instid1(VALU_DEP_2)
	v_cndmask_b32_e64 v42, 0, v42, s1
	v_cmp_gt_i32_e64 s1, s34, v45
	v_add_nc_u32_e32 v45, 7, v30
	s_wait_alu 0xf1ff
	v_cndmask_b32_e64 v41, 0, v41, s1
	v_cmp_gt_i32_e64 s1, s34, v46
	s_wait_alu 0xf1ff
	s_delay_alu instid0(VALU_DEP_1) | instskip(SKIP_1) | instid1(VALU_DEP_2)
	v_cndmask_b32_e64 v9, 0, v9, s1
	v_cmp_gt_i32_e64 s1, s34, v48
	v_or_b32_e32 v47, v9, v41
	s_wait_alu 0xf1ff
	s_delay_alu instid0(VALU_DEP_2) | instskip(SKIP_3) | instid1(VALU_DEP_2)
	v_cndmask_b32_e64 v10, 0, v10, s1
	v_cmp_gt_i32_e64 s1, s34, v45
	v_or_b32_e32 v45, v42, v43
	s_wait_alu 0xf1ff
	v_cndmask_b32_e64 v1, 0, v1, s1
	s_delay_alu instid0(VALU_DEP_1)
	v_or_b32_e32 v46, v1, v10
.LBB266_790:                            ;   in Loop: Header=BB266_525 Depth=1
	s_or_b32 exec_lo, exec_lo, s25
	;;#ASMSTART
	v_pk_mul_f16 v1, v36, v49;

	;;#ASMEND
	;;#ASMSTART
	v_pk_mul_f16 v9, v35, v45;

	;;#ASMEND
	;; [unrolled: 4-line block ×4, first 2 shown]
	;;#ASMSTART
	v_pk_add_f16 v1, v1, v9;

	;;#ASMEND
	;;#ASMSTART
	v_pk_add_f16 v1, v1, v10;

	;;#ASMEND
	;; [unrolled: 4-line block ×3, first 2 shown]
	v_dual_mov_b32 v44, 0 :: v_dual_and_b32 v9, 0xffff, v1
	v_lshrrev_b32_e32 v1, 16, v1
	;;#ASMSTART
	v_cvt_f32_f16 v41, v9;
	;;#ASMEND
	;;#ASMSTART
	v_cvt_f32_f16 v42, v1;
	;;#ASMEND
	global_load_b64 v[9:10], v[7:8], off offset:1024
	global_load_b32 v43, v44, s[10:11]
	v_mov_b32_e32 v45, 0
	s_mov_b32 s25, exec_lo
	s_wait_loadcnt 0x1
	v_and_b32_e32 v1, 0xff, v9
	s_delay_alu instid0(VALU_DEP_1)
	v_cmpx_ne_u16_e32 0, v1
	s_cbranch_execz .LBB266_798
; %bb.791:                              ;   in Loop: Header=BB266_525 Depth=1
	v_mov_b32_e32 v45, 0x8000
	s_mov_b32 s26, exec_lo
	v_cmpx_ne_u16_e32 0x80, v1
	s_cbranch_execz .LBB266_797
; %bb.792:                              ;   in Loop: Header=BB266_525 Depth=1
	v_and_b32_e32 v46, 0x7f, v9
	v_mov_b32_e32 v45, 0x7c01
	s_mov_b32 s27, exec_lo
	s_delay_alu instid0(VALU_DEP_2)
	v_cmpx_ne_u32_e32 0x7f, v46
	s_cbranch_execz .LBB266_796
; %bb.793:                              ;   in Loop: Header=BB266_525 Depth=1
	v_and_b32_e32 v1, 7, v9
	v_lshrrev_b32_e32 v45, 3, v46
	s_mov_b32 s28, exec_lo
	v_cmpx_gt_u32_e32 8, v46
; %bb.794:                              ;   in Loop: Header=BB266_525 Depth=1
	s_delay_alu instid0(VALU_DEP_3) | instskip(NEXT) | instid1(VALU_DEP_1)
	v_clz_i32_u32_e32 v1, v1
	v_min_u32_e32 v1, 32, v1
	s_delay_alu instid0(VALU_DEP_1) | instskip(NEXT) | instid1(VALU_DEP_1)
	v_subrev_nc_u32_e32 v45, 28, v1
	v_lshlrev_b64_e32 v[46:47], v45, v[9:10]
	v_sub_nc_u32_e32 v45, 29, v1
	s_delay_alu instid0(VALU_DEP_2)
	v_and_b32_e32 v1, 7, v46
; %bb.795:                              ;   in Loop: Header=BB266_525 Depth=1
	s_wait_alu 0xfffe
	s_or_b32 exec_lo, exec_lo, s28
	v_lshlrev_b32_e32 v46, 8, v9
	v_lshl_add_u32 v45, v45, 10, 0x2000
	v_lshlrev_b32_e32 v1, 7, v1
	s_delay_alu instid0(VALU_DEP_3) | instskip(NEXT) | instid1(VALU_DEP_3)
	v_and_b32_e32 v46, 0x8000, v46
	v_and_b32_e32 v45, 0xfc00, v45
	s_delay_alu instid0(VALU_DEP_1)
	v_or3_b32 v45, v46, v45, v1
.LBB266_796:                            ;   in Loop: Header=BB266_525 Depth=1
	s_or_b32 exec_lo, exec_lo, s27
.LBB266_797:                            ;   in Loop: Header=BB266_525 Depth=1
	s_delay_alu instid0(SALU_CYCLE_1)
	s_or_b32 exec_lo, exec_lo, s26
.LBB266_798:                            ;   in Loop: Header=BB266_525 Depth=1
	s_delay_alu instid0(SALU_CYCLE_1) | instskip(SKIP_2) | instid1(VALU_DEP_1)
	s_or_b32 exec_lo, exec_lo, s25
	v_lshrrev_b16 v1, 8, v9
	s_mov_b32 s25, exec_lo
	v_cmpx_ne_u16_e32 0, v1
	s_cbranch_execz .LBB266_806
; %bb.799:                              ;   in Loop: Header=BB266_525 Depth=1
	v_bfrev_b32_e32 v44, 1
	s_mov_b32 s26, exec_lo
	v_cmpx_ne_u16_e32 0x80, v1
	s_cbranch_execz .LBB266_805
; %bb.800:                              ;   in Loop: Header=BB266_525 Depth=1
	v_and_b32_e32 v46, 0xffff, v1
	v_mov_b32_e32 v44, 0x7c010000
	s_mov_b32 s27, exec_lo
	s_delay_alu instid0(VALU_DEP_2) | instskip(NEXT) | instid1(VALU_DEP_1)
	v_and_b32_e32 v48, 0x7f, v46
	v_cmpx_ne_u32_e32 0x7f, v48
	s_cbranch_execz .LBB266_804
; %bb.801:                              ;   in Loop: Header=BB266_525 Depth=1
	v_and_b32_e32 v44, 7, v46
	v_lshrrev_b32_e32 v47, 3, v48
	s_mov_b32 s28, exec_lo
	v_cmpx_gt_u32_e32 8, v48
; %bb.802:                              ;   in Loop: Header=BB266_525 Depth=1
	s_delay_alu instid0(VALU_DEP_3) | instskip(NEXT) | instid1(VALU_DEP_1)
	v_clz_i32_u32_e32 v44, v44
	v_min_u32_e32 v44, 32, v44
	s_delay_alu instid0(VALU_DEP_1) | instskip(NEXT) | instid1(VALU_DEP_1)
	v_subrev_nc_u32_e32 v47, 28, v44
	v_lshlrev_b64_e32 v[48:49], v47, v[1:2]
	v_sub_nc_u32_e32 v47, 29, v44
	s_delay_alu instid0(VALU_DEP_2)
	v_and_b32_e32 v44, 7, v48
; %bb.803:                              ;   in Loop: Header=BB266_525 Depth=1
	s_wait_alu 0xfffe
	s_or_b32 exec_lo, exec_lo, s28
	v_lshlrev_b32_e32 v1, 8, v46
	v_lshl_add_u32 v46, v47, 10, 0x2000
	v_lshlrev_b32_e32 v44, 23, v44
	s_delay_alu instid0(VALU_DEP_2) | instskip(NEXT) | instid1(VALU_DEP_1)
	v_and_or_b32 v1, 0x8000, v1, v46
	v_lshl_or_b32 v44, v1, 16, v44
.LBB266_804:                            ;   in Loop: Header=BB266_525 Depth=1
	s_or_b32 exec_lo, exec_lo, s27
.LBB266_805:                            ;   in Loop: Header=BB266_525 Depth=1
	s_delay_alu instid0(SALU_CYCLE_1)
	s_or_b32 exec_lo, exec_lo, s26
.LBB266_806:                            ;   in Loop: Header=BB266_525 Depth=1
	s_delay_alu instid0(SALU_CYCLE_1) | instskip(SKIP_3) | instid1(VALU_DEP_2)
	s_or_b32 exec_lo, exec_lo, s25
	v_lshrrev_b32_e32 v1, 16, v9
	v_mov_b32_e32 v46, 0
	s_mov_b32 s25, exec_lo
	v_dual_mov_b32 v47, 0 :: v_dual_and_b32 v48, 0xff, v1
	s_delay_alu instid0(VALU_DEP_1)
	v_cmpx_ne_u16_e32 0, v48
	s_cbranch_execz .LBB266_814
; %bb.807:                              ;   in Loop: Header=BB266_525 Depth=1
	v_mov_b32_e32 v47, 0x8000
	s_mov_b32 s26, exec_lo
	v_cmpx_ne_u16_e32 0x80, v48
	s_cbranch_execz .LBB266_813
; %bb.808:                              ;   in Loop: Header=BB266_525 Depth=1
	v_bfe_u32 v49, v9, 16, 7
	v_mov_b32_e32 v47, 0x7c01
	s_mov_b32 s27, exec_lo
	s_delay_alu instid0(VALU_DEP_2)
	v_cmpx_ne_u32_e32 0x7f, v49
	s_cbranch_execz .LBB266_812
; %bb.809:                              ;   in Loop: Header=BB266_525 Depth=1
	v_and_b32_e32 v47, 7, v1
	v_lshrrev_b32_e32 v48, 3, v49
	s_mov_b32 s28, exec_lo
	v_cmpx_gt_u32_e32 8, v49
; %bb.810:                              ;   in Loop: Header=BB266_525 Depth=1
	s_delay_alu instid0(VALU_DEP_3) | instskip(NEXT) | instid1(VALU_DEP_1)
	v_clz_i32_u32_e32 v47, v47
	v_min_u32_e32 v49, 32, v47
	s_delay_alu instid0(VALU_DEP_1) | instskip(NEXT) | instid1(VALU_DEP_1)
	v_subrev_nc_u32_e32 v47, 28, v49
	v_lshlrev_b64_e32 v[47:48], v47, v[1:2]
	v_sub_nc_u32_e32 v48, 29, v49
	s_delay_alu instid0(VALU_DEP_2)
	v_and_b32_e32 v47, 7, v47
; %bb.811:                              ;   in Loop: Header=BB266_525 Depth=1
	s_wait_alu 0xfffe
	s_or_b32 exec_lo, exec_lo, s28
	v_lshlrev_b32_e32 v1, 8, v1
	v_lshl_add_u32 v48, v48, 10, 0x2000
	v_lshlrev_b32_e32 v47, 7, v47
	s_delay_alu instid0(VALU_DEP_3) | instskip(NEXT) | instid1(VALU_DEP_3)
	v_and_b32_e32 v1, 0x8000, v1
	v_and_b32_e32 v48, 0xfc00, v48
	s_delay_alu instid0(VALU_DEP_1)
	v_or3_b32 v47, v1, v48, v47
.LBB266_812:                            ;   in Loop: Header=BB266_525 Depth=1
	s_or_b32 exec_lo, exec_lo, s27
.LBB266_813:                            ;   in Loop: Header=BB266_525 Depth=1
	s_delay_alu instid0(SALU_CYCLE_1)
	s_or_b32 exec_lo, exec_lo, s26
.LBB266_814:                            ;   in Loop: Header=BB266_525 Depth=1
	s_delay_alu instid0(SALU_CYCLE_1) | instskip(NEXT) | instid1(SALU_CYCLE_1)
	s_or_b32 exec_lo, exec_lo, s25
	s_mov_b32 s25, exec_lo
	v_cmpx_lt_u32_e32 0xffffff, v9
	s_cbranch_execz .LBB266_822
; %bb.815:                              ;   in Loop: Header=BB266_525 Depth=1
	v_lshrrev_b32_e32 v1, 24, v9
	v_bfrev_b32_e32 v46, 1
	s_mov_b32 s26, exec_lo
	s_delay_alu instid0(VALU_DEP_2)
	v_cmpx_ne_u32_e32 0x80, v1
	s_cbranch_execz .LBB266_821
; %bb.816:                              ;   in Loop: Header=BB266_525 Depth=1
	v_and_b32_e32 v49, 0x7f, v1
	v_mov_b32_e32 v46, 0x7c010000
	s_mov_b32 s27, exec_lo
	s_delay_alu instid0(VALU_DEP_2)
	v_cmpx_ne_u32_e32 0x7f, v49
	s_cbranch_execz .LBB266_820
; %bb.817:                              ;   in Loop: Header=BB266_525 Depth=1
	v_and_b32_e32 v46, 7, v1
	v_lshrrev_b32_e32 v48, 3, v49
	s_mov_b32 s28, exec_lo
	v_cmpx_gt_u32_e32 8, v49
; %bb.818:                              ;   in Loop: Header=BB266_525 Depth=1
	s_delay_alu instid0(VALU_DEP_3) | instskip(NEXT) | instid1(VALU_DEP_1)
	v_clz_i32_u32_e32 v46, v46
	v_min_u32_e32 v46, 32, v46
	s_delay_alu instid0(VALU_DEP_1) | instskip(NEXT) | instid1(VALU_DEP_1)
	v_subrev_nc_u32_e32 v48, 28, v46
	v_lshlrev_b64_e32 v[49:50], v48, v[1:2]
	v_sub_nc_u32_e32 v48, 29, v46
	s_delay_alu instid0(VALU_DEP_2)
	v_and_b32_e32 v46, 7, v49
; %bb.819:                              ;   in Loop: Header=BB266_525 Depth=1
	s_wait_alu 0xfffe
	s_or_b32 exec_lo, exec_lo, s28
	v_lshlrev_b32_e32 v1, 8, v1
	v_lshl_add_u32 v48, v48, 10, 0x2000
	v_lshlrev_b32_e32 v46, 23, v46
	s_delay_alu instid0(VALU_DEP_2) | instskip(NEXT) | instid1(VALU_DEP_1)
	v_and_or_b32 v1, 0x8000, v1, v48
	v_lshl_or_b32 v46, v1, 16, v46
.LBB266_820:                            ;   in Loop: Header=BB266_525 Depth=1
	s_or_b32 exec_lo, exec_lo, s27
.LBB266_821:                            ;   in Loop: Header=BB266_525 Depth=1
	s_delay_alu instid0(SALU_CYCLE_1)
	s_or_b32 exec_lo, exec_lo, s26
.LBB266_822:                            ;   in Loop: Header=BB266_525 Depth=1
	s_delay_alu instid0(SALU_CYCLE_1) | instskip(SKIP_3) | instid1(VALU_DEP_2)
	s_or_b32 exec_lo, exec_lo, s25
	v_dual_mov_b32 v1, v10 :: v_dual_and_b32 v50, 0xff, v10
	v_dual_mov_b32 v48, 0 :: v_dual_mov_b32 v49, 0
	s_mov_b32 s25, exec_lo
	v_cmpx_ne_u16_e32 0, v50
	s_cbranch_execz .LBB266_830
; %bb.823:                              ;   in Loop: Header=BB266_525 Depth=1
	v_mov_b32_e32 v49, 0x8000
	s_mov_b32 s26, exec_lo
	v_cmpx_ne_u16_e32 0x80, v50
	s_cbranch_execz .LBB266_829
; %bb.824:                              ;   in Loop: Header=BB266_525 Depth=1
	v_and_b32_e32 v51, 0x7f, v10
	v_mov_b32_e32 v49, 0x7c01
	s_mov_b32 s27, exec_lo
	s_delay_alu instid0(VALU_DEP_2)
	v_cmpx_ne_u32_e32 0x7f, v51
	s_cbranch_execz .LBB266_828
; %bb.825:                              ;   in Loop: Header=BB266_525 Depth=1
	v_and_b32_e32 v49, 7, v10
	v_lshrrev_b32_e32 v50, 3, v51
	s_mov_b32 s28, exec_lo
	v_cmpx_gt_u32_e32 8, v51
; %bb.826:                              ;   in Loop: Header=BB266_525 Depth=1
	s_delay_alu instid0(VALU_DEP_3) | instskip(NEXT) | instid1(VALU_DEP_1)
	v_clz_i32_u32_e32 v49, v49
	v_min_u32_e32 v51, 32, v49
	s_delay_alu instid0(VALU_DEP_1) | instskip(NEXT) | instid1(VALU_DEP_1)
	v_subrev_nc_u32_e32 v49, 28, v51
	v_lshlrev_b64_e32 v[49:50], v49, v[1:2]
	v_sub_nc_u32_e32 v50, 29, v51
	s_delay_alu instid0(VALU_DEP_2)
	v_and_b32_e32 v49, 7, v49
; %bb.827:                              ;   in Loop: Header=BB266_525 Depth=1
	s_wait_alu 0xfffe
	s_or_b32 exec_lo, exec_lo, s28
	v_lshlrev_b32_e32 v51, 8, v10
	v_lshl_add_u32 v50, v50, 10, 0x2000
	v_lshlrev_b32_e32 v49, 7, v49
	s_delay_alu instid0(VALU_DEP_3) | instskip(NEXT) | instid1(VALU_DEP_3)
	v_and_b32_e32 v51, 0x8000, v51
	v_and_b32_e32 v50, 0xfc00, v50
	s_delay_alu instid0(VALU_DEP_1)
	v_or3_b32 v49, v51, v50, v49
.LBB266_828:                            ;   in Loop: Header=BB266_525 Depth=1
	s_or_b32 exec_lo, exec_lo, s27
.LBB266_829:                            ;   in Loop: Header=BB266_525 Depth=1
	s_delay_alu instid0(SALU_CYCLE_1)
	s_or_b32 exec_lo, exec_lo, s26
.LBB266_830:                            ;   in Loop: Header=BB266_525 Depth=1
	s_delay_alu instid0(SALU_CYCLE_1) | instskip(SKIP_3) | instid1(VALU_DEP_2)
	s_or_b32 exec_lo, exec_lo, s25
	v_lshrrev_b16 v1, 8, v1
	v_mov_b32_e32 v50, 0
	s_mov_b32 s25, exec_lo
	v_cmpx_ne_u16_e32 0, v1
	s_cbranch_execz .LBB266_838
; %bb.831:                              ;   in Loop: Header=BB266_525 Depth=1
	v_bfrev_b32_e32 v50, 1
	s_mov_b32 s26, exec_lo
	v_cmpx_ne_u16_e32 0x80, v1
	s_cbranch_execz .LBB266_837
; %bb.832:                              ;   in Loop: Header=BB266_525 Depth=1
	v_and_b32_e32 v51, 0xffff, v1
	v_mov_b32_e32 v50, 0x7c010000
	s_mov_b32 s27, exec_lo
	s_delay_alu instid0(VALU_DEP_2) | instskip(NEXT) | instid1(VALU_DEP_1)
	v_and_b32_e32 v53, 0x7f, v51
	v_cmpx_ne_u32_e32 0x7f, v53
	s_cbranch_execz .LBB266_836
; %bb.833:                              ;   in Loop: Header=BB266_525 Depth=1
	v_and_b32_e32 v50, 7, v51
	v_lshrrev_b32_e32 v52, 3, v53
	s_mov_b32 s28, exec_lo
	v_cmpx_gt_u32_e32 8, v53
; %bb.834:                              ;   in Loop: Header=BB266_525 Depth=1
	s_delay_alu instid0(VALU_DEP_3) | instskip(NEXT) | instid1(VALU_DEP_1)
	v_clz_i32_u32_e32 v50, v50
	v_min_u32_e32 v50, 32, v50
	s_delay_alu instid0(VALU_DEP_1) | instskip(NEXT) | instid1(VALU_DEP_1)
	v_subrev_nc_u32_e32 v52, 28, v50
	v_lshlrev_b64_e32 v[53:54], v52, v[1:2]
	v_sub_nc_u32_e32 v52, 29, v50
	s_delay_alu instid0(VALU_DEP_2)
	v_and_b32_e32 v50, 7, v53
; %bb.835:                              ;   in Loop: Header=BB266_525 Depth=1
	s_wait_alu 0xfffe
	s_or_b32 exec_lo, exec_lo, s28
	v_lshlrev_b32_e32 v1, 8, v51
	v_lshl_add_u32 v51, v52, 10, 0x2000
	v_lshlrev_b32_e32 v50, 23, v50
	s_delay_alu instid0(VALU_DEP_2) | instskip(NEXT) | instid1(VALU_DEP_1)
	v_and_or_b32 v1, 0x8000, v1, v51
	v_lshl_or_b32 v50, v1, 16, v50
.LBB266_836:                            ;   in Loop: Header=BB266_525 Depth=1
	s_or_b32 exec_lo, exec_lo, s27
.LBB266_837:                            ;   in Loop: Header=BB266_525 Depth=1
	s_delay_alu instid0(SALU_CYCLE_1)
	s_or_b32 exec_lo, exec_lo, s26
.LBB266_838:                            ;   in Loop: Header=BB266_525 Depth=1
	s_delay_alu instid0(SALU_CYCLE_1) | instskip(SKIP_2) | instid1(VALU_DEP_1)
	s_or_b32 exec_lo, exec_lo, s25
	v_lshrrev_b32_e32 v1, 16, v10
	s_mov_b32 s25, exec_lo
	v_and_b32_e32 v51, 0xff, v1
	s_delay_alu instid0(VALU_DEP_1)
	v_cmpx_ne_u16_e32 0, v51
	s_cbranch_execz .LBB266_846
; %bb.839:                              ;   in Loop: Header=BB266_525 Depth=1
	v_mov_b32_e32 v48, 0x8000
	s_mov_b32 s26, exec_lo
	v_cmpx_ne_u16_e32 0x80, v51
	s_cbranch_execz .LBB266_845
; %bb.840:                              ;   in Loop: Header=BB266_525 Depth=1
	v_bfe_u32 v52, v10, 16, 7
	v_mov_b32_e32 v48, 0x7c01
	s_mov_b32 s27, exec_lo
	s_delay_alu instid0(VALU_DEP_2)
	v_cmpx_ne_u32_e32 0x7f, v52
	s_cbranch_execz .LBB266_844
; %bb.841:                              ;   in Loop: Header=BB266_525 Depth=1
	v_and_b32_e32 v48, 7, v1
	v_lshrrev_b32_e32 v51, 3, v52
	s_mov_b32 s28, exec_lo
	v_cmpx_gt_u32_e32 8, v52
; %bb.842:                              ;   in Loop: Header=BB266_525 Depth=1
	s_delay_alu instid0(VALU_DEP_3) | instskip(NEXT) | instid1(VALU_DEP_1)
	v_clz_i32_u32_e32 v48, v48
	v_min_u32_e32 v48, 32, v48
	s_delay_alu instid0(VALU_DEP_1) | instskip(NEXT) | instid1(VALU_DEP_1)
	v_subrev_nc_u32_e32 v51, 28, v48
	v_lshlrev_b64_e32 v[52:53], v51, v[1:2]
	v_sub_nc_u32_e32 v51, 29, v48
	s_delay_alu instid0(VALU_DEP_2)
	v_and_b32_e32 v48, 7, v52
; %bb.843:                              ;   in Loop: Header=BB266_525 Depth=1
	s_wait_alu 0xfffe
	s_or_b32 exec_lo, exec_lo, s28
	v_lshlrev_b32_e32 v1, 8, v1
	v_lshl_add_u32 v51, v51, 10, 0x2000
	v_lshlrev_b32_e32 v48, 7, v48
	s_delay_alu instid0(VALU_DEP_3) | instskip(NEXT) | instid1(VALU_DEP_3)
	v_and_b32_e32 v1, 0x8000, v1
	v_and_b32_e32 v51, 0xfc00, v51
	s_delay_alu instid0(VALU_DEP_1)
	v_or3_b32 v48, v1, v51, v48
.LBB266_844:                            ;   in Loop: Header=BB266_525 Depth=1
	s_or_b32 exec_lo, exec_lo, s27
.LBB266_845:                            ;   in Loop: Header=BB266_525 Depth=1
	s_delay_alu instid0(SALU_CYCLE_1)
	s_or_b32 exec_lo, exec_lo, s26
.LBB266_846:                            ;   in Loop: Header=BB266_525 Depth=1
	s_delay_alu instid0(SALU_CYCLE_1)
	s_or_b32 exec_lo, exec_lo, s25
	v_cmp_lt_u64_e64 s1, s[2:3], v[9:10]
	v_mov_b32_e32 v9, 0
	s_and_saveexec_b32 s25, s1
	s_cbranch_execz .LBB266_854
; %bb.847:                              ;   in Loop: Header=BB266_525 Depth=1
	v_lshrrev_b32_e32 v1, 24, v10
	v_bfrev_b32_e32 v9, 1
	s_mov_b32 s26, exec_lo
	s_delay_alu instid0(VALU_DEP_2)
	v_cmpx_ne_u32_e32 0x80, v1
	s_cbranch_execz .LBB266_853
; %bb.848:                              ;   in Loop: Header=BB266_525 Depth=1
	v_and_b32_e32 v51, 0x7f, v1
	v_mov_b32_e32 v9, 0x7c010000
	s_mov_b32 s27, exec_lo
	s_delay_alu instid0(VALU_DEP_2)
	v_cmpx_ne_u32_e32 0x7f, v51
	s_cbranch_execz .LBB266_852
; %bb.849:                              ;   in Loop: Header=BB266_525 Depth=1
	v_and_b32_e32 v9, 7, v1
	v_lshrrev_b32_e32 v10, 3, v51
	s_mov_b32 s28, exec_lo
	v_cmpx_gt_u32_e32 8, v51
; %bb.850:                              ;   in Loop: Header=BB266_525 Depth=1
	s_delay_alu instid0(VALU_DEP_3) | instskip(NEXT) | instid1(VALU_DEP_1)
	v_clz_i32_u32_e32 v9, v9
	v_min_u32_e32 v51, 32, v9
	s_delay_alu instid0(VALU_DEP_1) | instskip(NEXT) | instid1(VALU_DEP_1)
	v_subrev_nc_u32_e32 v9, 28, v51
	v_lshlrev_b64_e32 v[9:10], v9, v[1:2]
	v_sub_nc_u32_e32 v10, 29, v51
	s_delay_alu instid0(VALU_DEP_2)
	v_and_b32_e32 v9, 7, v9
; %bb.851:                              ;   in Loop: Header=BB266_525 Depth=1
	s_wait_alu 0xfffe
	s_or_b32 exec_lo, exec_lo, s28
	v_lshlrev_b32_e32 v1, 8, v1
	v_lshl_add_u32 v10, v10, 10, 0x2000
	v_lshlrev_b32_e32 v9, 23, v9
	s_delay_alu instid0(VALU_DEP_2) | instskip(NEXT) | instid1(VALU_DEP_1)
	v_and_or_b32 v1, 0x8000, v1, v10
	v_lshl_or_b32 v9, v1, 16, v9
.LBB266_852:                            ;   in Loop: Header=BB266_525 Depth=1
	s_or_b32 exec_lo, exec_lo, s27
.LBB266_853:                            ;   in Loop: Header=BB266_525 Depth=1
	s_delay_alu instid0(SALU_CYCLE_1)
	s_or_b32 exec_lo, exec_lo, s26
.LBB266_854:                            ;   in Loop: Header=BB266_525 Depth=1
	s_delay_alu instid0(SALU_CYCLE_1)
	s_or_b32 exec_lo, exec_lo, s25
	v_or_b32_e32 v1, v46, v47
	s_wait_loadcnt 0x0
	v_fma_mixlo_f16 v10, v43, v46, 0 op_sel:[0,1,0] op_sel_hi:[0,1,0]
	v_or_b32_e32 v45, v44, v45
	v_or_b32_e32 v47, v50, v49
	;; [unrolled: 1-line block ×3, first 2 shown]
	v_fma_mixlo_f16 v1, v43, v1, 0 op_sel_hi:[0,1,0]
	v_fma_mixlo_f16 v46, v43, v44, 0 op_sel:[0,1,0] op_sel_hi:[0,1,0]
	v_lshlrev_b32_e32 v44, 16, v10
	v_fma_mixlo_f16 v10, v43, v45, 0 op_sel_hi:[0,1,0]
	v_fma_mixlo_f16 v47, v43, v47, 0 op_sel_hi:[0,1,0]
	v_and_b32_e32 v45, 0xffff, v1
	v_fma_mixlo_f16 v1, v43, v50, 0 op_sel:[0,1,0] op_sel_hi:[0,1,0]
	v_fma_mixlo_f16 v49, v43, v9, 0 op_sel:[0,1,0] op_sel_hi:[0,1,0]
	v_fma_mixlo_f16 v48, v43, v48, 0 op_sel_hi:[0,1,0]
	v_lshlrev_b32_e32 v46, 16, v46
	v_and_b32_e32 v50, 0xffff, v10
	v_lshlrev_b32_e32 v9, 16, v1
	v_and_b32_e32 v43, 0xffff, v47
	;; [unrolled: 2-line block ×3, first 2 shown]
	v_or_b32_e32 v47, v44, v45
	v_or_b32_e32 v51, v46, v50
	;; [unrolled: 1-line block ×3, first 2 shown]
	s_delay_alu instid0(VALU_DEP_4)
	v_or_b32_e32 v48, v1, v10
	s_and_saveexec_b32 s25, s0
	s_cbranch_execz .LBB266_856
; %bb.855:                              ;   in Loop: Header=BB266_525 Depth=1
	v_add_nc_u32_e32 v47, 1, v30
	v_cmp_gt_i32_e64 s1, s34, v30
	v_add_nc_u32_e32 v48, 2, v30
	s_wait_alu 0xf1ff
	s_delay_alu instid0(VALU_DEP_2) | instskip(SKIP_4) | instid1(VALU_DEP_3)
	v_cndmask_b32_e64 v49, 0, v50, s1
	v_cmp_gt_i32_e64 s1, s34, v47
	v_add_nc_u32_e32 v50, 3, v30
	v_add_nc_u32_e32 v47, 4, v30
	s_wait_alu 0xf1ff
	v_cndmask_b32_e64 v46, 0, v46, s1
	v_cmp_gt_i32_e64 s1, s34, v48
	v_add_nc_u32_e32 v48, 5, v30
	s_delay_alu instid0(VALU_DEP_3) | instskip(SKIP_1) | instid1(VALU_DEP_3)
	v_or_b32_e32 v51, v46, v49
	s_wait_alu 0xf1ff
	v_cndmask_b32_e64 v45, 0, v45, s1
	v_cmp_gt_i32_e64 s1, s34, v50
	v_add_nc_u32_e32 v50, 6, v30
	s_wait_alu 0xf1ff
	s_delay_alu instid0(VALU_DEP_2) | instskip(SKIP_3) | instid1(VALU_DEP_2)
	v_cndmask_b32_e64 v44, 0, v44, s1
	v_cmp_gt_i32_e64 s1, s34, v47
	v_add_nc_u32_e32 v47, 7, v30
	s_wait_alu 0xf1ff
	v_cndmask_b32_e64 v43, 0, v43, s1
	v_cmp_gt_i32_e64 s1, s34, v48
	s_wait_alu 0xf1ff
	s_delay_alu instid0(VALU_DEP_1) | instskip(SKIP_1) | instid1(VALU_DEP_2)
	v_cndmask_b32_e64 v9, 0, v9, s1
	v_cmp_gt_i32_e64 s1, s34, v50
	v_or_b32_e32 v49, v9, v43
	s_wait_alu 0xf1ff
	s_delay_alu instid0(VALU_DEP_2) | instskip(SKIP_3) | instid1(VALU_DEP_2)
	v_cndmask_b32_e64 v10, 0, v10, s1
	v_cmp_gt_i32_e64 s1, s34, v47
	v_or_b32_e32 v47, v44, v45
	s_wait_alu 0xf1ff
	v_cndmask_b32_e64 v1, 0, v1, s1
	s_delay_alu instid0(VALU_DEP_1)
	v_or_b32_e32 v48, v1, v10
.LBB266_856:                            ;   in Loop: Header=BB266_525 Depth=1
	s_or_b32 exec_lo, exec_lo, s25
	;;#ASMSTART
	v_pk_mul_f16 v1, v36, v51;

	;;#ASMEND
	;;#ASMSTART
	v_pk_mul_f16 v9, v35, v47;

	;;#ASMEND
	;;#ASMSTART
	v_pk_mul_f16 v10, v34, v49;

	;;#ASMEND
	;;#ASMSTART
	v_pk_mul_f16 v43, v33, v48;

	;;#ASMEND
	;;#ASMSTART
	v_pk_add_f16 v1, v1, v9;

	;;#ASMEND
	;;#ASMSTART
	v_pk_add_f16 v1, v1, v10;

	;;#ASMEND
	;; [unrolled: 4-line block ×3, first 2 shown]
	v_dual_mov_b32 v46, 0 :: v_dual_and_b32 v9, 0xffff, v1
	v_lshrrev_b32_e32 v1, 16, v1
	;;#ASMSTART
	v_cvt_f32_f16 v43, v9;
	;;#ASMEND
	;;#ASMSTART
	v_cvt_f32_f16 v44, v1;
	;;#ASMEND
	global_load_b64 v[9:10], v[7:8], off offset:1280
	global_load_b32 v45, v46, s[10:11]
	v_mov_b32_e32 v47, 0
	s_mov_b32 s25, exec_lo
	s_wait_loadcnt 0x1
	v_and_b32_e32 v1, 0xff, v9
	s_delay_alu instid0(VALU_DEP_1)
	v_cmpx_ne_u16_e32 0, v1
	s_cbranch_execz .LBB266_864
; %bb.857:                              ;   in Loop: Header=BB266_525 Depth=1
	v_mov_b32_e32 v47, 0x8000
	s_mov_b32 s26, exec_lo
	v_cmpx_ne_u16_e32 0x80, v1
	s_cbranch_execz .LBB266_863
; %bb.858:                              ;   in Loop: Header=BB266_525 Depth=1
	v_and_b32_e32 v48, 0x7f, v9
	v_mov_b32_e32 v47, 0x7c01
	s_mov_b32 s27, exec_lo
	s_delay_alu instid0(VALU_DEP_2)
	v_cmpx_ne_u32_e32 0x7f, v48
	s_cbranch_execz .LBB266_862
; %bb.859:                              ;   in Loop: Header=BB266_525 Depth=1
	v_and_b32_e32 v1, 7, v9
	v_lshrrev_b32_e32 v47, 3, v48
	s_mov_b32 s28, exec_lo
	v_cmpx_gt_u32_e32 8, v48
; %bb.860:                              ;   in Loop: Header=BB266_525 Depth=1
	s_delay_alu instid0(VALU_DEP_3) | instskip(NEXT) | instid1(VALU_DEP_1)
	v_clz_i32_u32_e32 v1, v1
	v_min_u32_e32 v1, 32, v1
	s_delay_alu instid0(VALU_DEP_1) | instskip(NEXT) | instid1(VALU_DEP_1)
	v_subrev_nc_u32_e32 v47, 28, v1
	v_lshlrev_b64_e32 v[48:49], v47, v[9:10]
	v_sub_nc_u32_e32 v47, 29, v1
	s_delay_alu instid0(VALU_DEP_2)
	v_and_b32_e32 v1, 7, v48
; %bb.861:                              ;   in Loop: Header=BB266_525 Depth=1
	s_wait_alu 0xfffe
	s_or_b32 exec_lo, exec_lo, s28
	v_lshlrev_b32_e32 v48, 8, v9
	v_lshl_add_u32 v47, v47, 10, 0x2000
	v_lshlrev_b32_e32 v1, 7, v1
	s_delay_alu instid0(VALU_DEP_3) | instskip(NEXT) | instid1(VALU_DEP_3)
	v_and_b32_e32 v48, 0x8000, v48
	v_and_b32_e32 v47, 0xfc00, v47
	s_delay_alu instid0(VALU_DEP_1)
	v_or3_b32 v47, v48, v47, v1
.LBB266_862:                            ;   in Loop: Header=BB266_525 Depth=1
	s_or_b32 exec_lo, exec_lo, s27
.LBB266_863:                            ;   in Loop: Header=BB266_525 Depth=1
	s_delay_alu instid0(SALU_CYCLE_1)
	s_or_b32 exec_lo, exec_lo, s26
.LBB266_864:                            ;   in Loop: Header=BB266_525 Depth=1
	s_delay_alu instid0(SALU_CYCLE_1) | instskip(SKIP_2) | instid1(VALU_DEP_1)
	s_or_b32 exec_lo, exec_lo, s25
	v_lshrrev_b16 v1, 8, v9
	s_mov_b32 s25, exec_lo
	v_cmpx_ne_u16_e32 0, v1
	s_cbranch_execz .LBB266_872
; %bb.865:                              ;   in Loop: Header=BB266_525 Depth=1
	v_bfrev_b32_e32 v46, 1
	s_mov_b32 s26, exec_lo
	v_cmpx_ne_u16_e32 0x80, v1
	s_cbranch_execz .LBB266_871
; %bb.866:                              ;   in Loop: Header=BB266_525 Depth=1
	v_and_b32_e32 v48, 0xffff, v1
	v_mov_b32_e32 v46, 0x7c010000
	s_mov_b32 s27, exec_lo
	s_delay_alu instid0(VALU_DEP_2) | instskip(NEXT) | instid1(VALU_DEP_1)
	v_and_b32_e32 v50, 0x7f, v48
	v_cmpx_ne_u32_e32 0x7f, v50
	s_cbranch_execz .LBB266_870
; %bb.867:                              ;   in Loop: Header=BB266_525 Depth=1
	v_and_b32_e32 v46, 7, v48
	v_lshrrev_b32_e32 v49, 3, v50
	s_mov_b32 s28, exec_lo
	v_cmpx_gt_u32_e32 8, v50
; %bb.868:                              ;   in Loop: Header=BB266_525 Depth=1
	s_delay_alu instid0(VALU_DEP_3) | instskip(NEXT) | instid1(VALU_DEP_1)
	v_clz_i32_u32_e32 v46, v46
	v_min_u32_e32 v46, 32, v46
	s_delay_alu instid0(VALU_DEP_1) | instskip(NEXT) | instid1(VALU_DEP_1)
	v_subrev_nc_u32_e32 v49, 28, v46
	v_lshlrev_b64_e32 v[50:51], v49, v[1:2]
	v_sub_nc_u32_e32 v49, 29, v46
	s_delay_alu instid0(VALU_DEP_2)
	v_and_b32_e32 v46, 7, v50
; %bb.869:                              ;   in Loop: Header=BB266_525 Depth=1
	s_wait_alu 0xfffe
	s_or_b32 exec_lo, exec_lo, s28
	v_lshlrev_b32_e32 v1, 8, v48
	v_lshl_add_u32 v48, v49, 10, 0x2000
	v_lshlrev_b32_e32 v46, 23, v46
	s_delay_alu instid0(VALU_DEP_2) | instskip(NEXT) | instid1(VALU_DEP_1)
	v_and_or_b32 v1, 0x8000, v1, v48
	v_lshl_or_b32 v46, v1, 16, v46
.LBB266_870:                            ;   in Loop: Header=BB266_525 Depth=1
	s_or_b32 exec_lo, exec_lo, s27
.LBB266_871:                            ;   in Loop: Header=BB266_525 Depth=1
	s_delay_alu instid0(SALU_CYCLE_1)
	s_or_b32 exec_lo, exec_lo, s26
.LBB266_872:                            ;   in Loop: Header=BB266_525 Depth=1
	s_delay_alu instid0(SALU_CYCLE_1) | instskip(SKIP_3) | instid1(VALU_DEP_2)
	s_or_b32 exec_lo, exec_lo, s25
	v_lshrrev_b32_e32 v1, 16, v9
	v_mov_b32_e32 v48, 0
	s_mov_b32 s25, exec_lo
	v_dual_mov_b32 v49, 0 :: v_dual_and_b32 v50, 0xff, v1
	s_delay_alu instid0(VALU_DEP_1)
	v_cmpx_ne_u16_e32 0, v50
	s_cbranch_execz .LBB266_880
; %bb.873:                              ;   in Loop: Header=BB266_525 Depth=1
	v_mov_b32_e32 v49, 0x8000
	s_mov_b32 s26, exec_lo
	v_cmpx_ne_u16_e32 0x80, v50
	s_cbranch_execz .LBB266_879
; %bb.874:                              ;   in Loop: Header=BB266_525 Depth=1
	v_bfe_u32 v51, v9, 16, 7
	v_mov_b32_e32 v49, 0x7c01
	s_mov_b32 s27, exec_lo
	s_delay_alu instid0(VALU_DEP_2)
	v_cmpx_ne_u32_e32 0x7f, v51
	s_cbranch_execz .LBB266_878
; %bb.875:                              ;   in Loop: Header=BB266_525 Depth=1
	v_and_b32_e32 v49, 7, v1
	v_lshrrev_b32_e32 v50, 3, v51
	s_mov_b32 s28, exec_lo
	v_cmpx_gt_u32_e32 8, v51
; %bb.876:                              ;   in Loop: Header=BB266_525 Depth=1
	s_delay_alu instid0(VALU_DEP_3) | instskip(NEXT) | instid1(VALU_DEP_1)
	v_clz_i32_u32_e32 v49, v49
	v_min_u32_e32 v51, 32, v49
	s_delay_alu instid0(VALU_DEP_1) | instskip(NEXT) | instid1(VALU_DEP_1)
	v_subrev_nc_u32_e32 v49, 28, v51
	v_lshlrev_b64_e32 v[49:50], v49, v[1:2]
	v_sub_nc_u32_e32 v50, 29, v51
	s_delay_alu instid0(VALU_DEP_2)
	v_and_b32_e32 v49, 7, v49
; %bb.877:                              ;   in Loop: Header=BB266_525 Depth=1
	s_wait_alu 0xfffe
	s_or_b32 exec_lo, exec_lo, s28
	v_lshlrev_b32_e32 v1, 8, v1
	v_lshl_add_u32 v50, v50, 10, 0x2000
	v_lshlrev_b32_e32 v49, 7, v49
	s_delay_alu instid0(VALU_DEP_3) | instskip(NEXT) | instid1(VALU_DEP_3)
	v_and_b32_e32 v1, 0x8000, v1
	v_and_b32_e32 v50, 0xfc00, v50
	s_delay_alu instid0(VALU_DEP_1)
	v_or3_b32 v49, v1, v50, v49
.LBB266_878:                            ;   in Loop: Header=BB266_525 Depth=1
	s_or_b32 exec_lo, exec_lo, s27
.LBB266_879:                            ;   in Loop: Header=BB266_525 Depth=1
	s_delay_alu instid0(SALU_CYCLE_1)
	s_or_b32 exec_lo, exec_lo, s26
.LBB266_880:                            ;   in Loop: Header=BB266_525 Depth=1
	s_delay_alu instid0(SALU_CYCLE_1) | instskip(NEXT) | instid1(SALU_CYCLE_1)
	s_or_b32 exec_lo, exec_lo, s25
	s_mov_b32 s25, exec_lo
	v_cmpx_lt_u32_e32 0xffffff, v9
	s_cbranch_execz .LBB266_888
; %bb.881:                              ;   in Loop: Header=BB266_525 Depth=1
	v_lshrrev_b32_e32 v1, 24, v9
	v_bfrev_b32_e32 v48, 1
	s_mov_b32 s26, exec_lo
	s_delay_alu instid0(VALU_DEP_2)
	v_cmpx_ne_u32_e32 0x80, v1
	s_cbranch_execz .LBB266_887
; %bb.882:                              ;   in Loop: Header=BB266_525 Depth=1
	v_and_b32_e32 v51, 0x7f, v1
	v_mov_b32_e32 v48, 0x7c010000
	s_mov_b32 s27, exec_lo
	s_delay_alu instid0(VALU_DEP_2)
	v_cmpx_ne_u32_e32 0x7f, v51
	s_cbranch_execz .LBB266_886
; %bb.883:                              ;   in Loop: Header=BB266_525 Depth=1
	v_and_b32_e32 v48, 7, v1
	v_lshrrev_b32_e32 v50, 3, v51
	s_mov_b32 s28, exec_lo
	v_cmpx_gt_u32_e32 8, v51
; %bb.884:                              ;   in Loop: Header=BB266_525 Depth=1
	s_delay_alu instid0(VALU_DEP_3) | instskip(NEXT) | instid1(VALU_DEP_1)
	v_clz_i32_u32_e32 v48, v48
	v_min_u32_e32 v48, 32, v48
	s_delay_alu instid0(VALU_DEP_1) | instskip(NEXT) | instid1(VALU_DEP_1)
	v_subrev_nc_u32_e32 v50, 28, v48
	v_lshlrev_b64_e32 v[51:52], v50, v[1:2]
	v_sub_nc_u32_e32 v50, 29, v48
	s_delay_alu instid0(VALU_DEP_2)
	v_and_b32_e32 v48, 7, v51
; %bb.885:                              ;   in Loop: Header=BB266_525 Depth=1
	s_wait_alu 0xfffe
	s_or_b32 exec_lo, exec_lo, s28
	v_lshlrev_b32_e32 v1, 8, v1
	v_lshl_add_u32 v50, v50, 10, 0x2000
	v_lshlrev_b32_e32 v48, 23, v48
	s_delay_alu instid0(VALU_DEP_2) | instskip(NEXT) | instid1(VALU_DEP_1)
	v_and_or_b32 v1, 0x8000, v1, v50
	v_lshl_or_b32 v48, v1, 16, v48
.LBB266_886:                            ;   in Loop: Header=BB266_525 Depth=1
	s_or_b32 exec_lo, exec_lo, s27
.LBB266_887:                            ;   in Loop: Header=BB266_525 Depth=1
	s_delay_alu instid0(SALU_CYCLE_1)
	s_or_b32 exec_lo, exec_lo, s26
.LBB266_888:                            ;   in Loop: Header=BB266_525 Depth=1
	s_delay_alu instid0(SALU_CYCLE_1) | instskip(SKIP_3) | instid1(VALU_DEP_2)
	s_or_b32 exec_lo, exec_lo, s25
	v_dual_mov_b32 v1, v10 :: v_dual_and_b32 v52, 0xff, v10
	v_dual_mov_b32 v50, 0 :: v_dual_mov_b32 v51, 0
	s_mov_b32 s25, exec_lo
	v_cmpx_ne_u16_e32 0, v52
	s_cbranch_execz .LBB266_896
; %bb.889:                              ;   in Loop: Header=BB266_525 Depth=1
	v_mov_b32_e32 v51, 0x8000
	s_mov_b32 s26, exec_lo
	v_cmpx_ne_u16_e32 0x80, v52
	s_cbranch_execz .LBB266_895
; %bb.890:                              ;   in Loop: Header=BB266_525 Depth=1
	v_and_b32_e32 v53, 0x7f, v10
	v_mov_b32_e32 v51, 0x7c01
	s_mov_b32 s27, exec_lo
	s_delay_alu instid0(VALU_DEP_2)
	v_cmpx_ne_u32_e32 0x7f, v53
	s_cbranch_execz .LBB266_894
; %bb.891:                              ;   in Loop: Header=BB266_525 Depth=1
	v_and_b32_e32 v51, 7, v10
	v_lshrrev_b32_e32 v52, 3, v53
	s_mov_b32 s28, exec_lo
	v_cmpx_gt_u32_e32 8, v53
; %bb.892:                              ;   in Loop: Header=BB266_525 Depth=1
	s_delay_alu instid0(VALU_DEP_3) | instskip(NEXT) | instid1(VALU_DEP_1)
	v_clz_i32_u32_e32 v51, v51
	v_min_u32_e32 v53, 32, v51
	s_delay_alu instid0(VALU_DEP_1) | instskip(NEXT) | instid1(VALU_DEP_1)
	v_subrev_nc_u32_e32 v51, 28, v53
	v_lshlrev_b64_e32 v[51:52], v51, v[1:2]
	v_sub_nc_u32_e32 v52, 29, v53
	s_delay_alu instid0(VALU_DEP_2)
	v_and_b32_e32 v51, 7, v51
; %bb.893:                              ;   in Loop: Header=BB266_525 Depth=1
	s_wait_alu 0xfffe
	s_or_b32 exec_lo, exec_lo, s28
	v_lshlrev_b32_e32 v53, 8, v10
	v_lshl_add_u32 v52, v52, 10, 0x2000
	v_lshlrev_b32_e32 v51, 7, v51
	s_delay_alu instid0(VALU_DEP_3) | instskip(NEXT) | instid1(VALU_DEP_3)
	v_and_b32_e32 v53, 0x8000, v53
	v_and_b32_e32 v52, 0xfc00, v52
	s_delay_alu instid0(VALU_DEP_1)
	v_or3_b32 v51, v53, v52, v51
.LBB266_894:                            ;   in Loop: Header=BB266_525 Depth=1
	s_or_b32 exec_lo, exec_lo, s27
.LBB266_895:                            ;   in Loop: Header=BB266_525 Depth=1
	s_delay_alu instid0(SALU_CYCLE_1)
	s_or_b32 exec_lo, exec_lo, s26
.LBB266_896:                            ;   in Loop: Header=BB266_525 Depth=1
	s_delay_alu instid0(SALU_CYCLE_1) | instskip(SKIP_3) | instid1(VALU_DEP_2)
	s_or_b32 exec_lo, exec_lo, s25
	v_lshrrev_b16 v1, 8, v1
	v_mov_b32_e32 v52, 0
	s_mov_b32 s25, exec_lo
	v_cmpx_ne_u16_e32 0, v1
	s_cbranch_execz .LBB266_904
; %bb.897:                              ;   in Loop: Header=BB266_525 Depth=1
	v_bfrev_b32_e32 v52, 1
	s_mov_b32 s26, exec_lo
	v_cmpx_ne_u16_e32 0x80, v1
	s_cbranch_execz .LBB266_903
; %bb.898:                              ;   in Loop: Header=BB266_525 Depth=1
	v_and_b32_e32 v53, 0xffff, v1
	v_mov_b32_e32 v52, 0x7c010000
	s_mov_b32 s27, exec_lo
	s_delay_alu instid0(VALU_DEP_2) | instskip(NEXT) | instid1(VALU_DEP_1)
	v_and_b32_e32 v55, 0x7f, v53
	v_cmpx_ne_u32_e32 0x7f, v55
	s_cbranch_execz .LBB266_902
; %bb.899:                              ;   in Loop: Header=BB266_525 Depth=1
	v_and_b32_e32 v52, 7, v53
	v_lshrrev_b32_e32 v54, 3, v55
	s_mov_b32 s28, exec_lo
	v_cmpx_gt_u32_e32 8, v55
; %bb.900:                              ;   in Loop: Header=BB266_525 Depth=1
	s_delay_alu instid0(VALU_DEP_3) | instskip(NEXT) | instid1(VALU_DEP_1)
	v_clz_i32_u32_e32 v52, v52
	v_min_u32_e32 v52, 32, v52
	s_delay_alu instid0(VALU_DEP_1) | instskip(NEXT) | instid1(VALU_DEP_1)
	v_subrev_nc_u32_e32 v54, 28, v52
	v_lshlrev_b64_e32 v[55:56], v54, v[1:2]
	v_sub_nc_u32_e32 v54, 29, v52
	s_delay_alu instid0(VALU_DEP_2)
	v_and_b32_e32 v52, 7, v55
; %bb.901:                              ;   in Loop: Header=BB266_525 Depth=1
	s_wait_alu 0xfffe
	s_or_b32 exec_lo, exec_lo, s28
	v_lshlrev_b32_e32 v1, 8, v53
	v_lshl_add_u32 v53, v54, 10, 0x2000
	v_lshlrev_b32_e32 v52, 23, v52
	s_delay_alu instid0(VALU_DEP_2) | instskip(NEXT) | instid1(VALU_DEP_1)
	v_and_or_b32 v1, 0x8000, v1, v53
	v_lshl_or_b32 v52, v1, 16, v52
.LBB266_902:                            ;   in Loop: Header=BB266_525 Depth=1
	s_or_b32 exec_lo, exec_lo, s27
.LBB266_903:                            ;   in Loop: Header=BB266_525 Depth=1
	s_delay_alu instid0(SALU_CYCLE_1)
	s_or_b32 exec_lo, exec_lo, s26
.LBB266_904:                            ;   in Loop: Header=BB266_525 Depth=1
	s_delay_alu instid0(SALU_CYCLE_1) | instskip(SKIP_2) | instid1(VALU_DEP_1)
	s_or_b32 exec_lo, exec_lo, s25
	v_lshrrev_b32_e32 v1, 16, v10
	s_mov_b32 s25, exec_lo
	v_and_b32_e32 v53, 0xff, v1
	s_delay_alu instid0(VALU_DEP_1)
	v_cmpx_ne_u16_e32 0, v53
	s_cbranch_execz .LBB266_912
; %bb.905:                              ;   in Loop: Header=BB266_525 Depth=1
	v_mov_b32_e32 v50, 0x8000
	s_mov_b32 s26, exec_lo
	v_cmpx_ne_u16_e32 0x80, v53
	s_cbranch_execz .LBB266_911
; %bb.906:                              ;   in Loop: Header=BB266_525 Depth=1
	v_bfe_u32 v54, v10, 16, 7
	v_mov_b32_e32 v50, 0x7c01
	s_mov_b32 s27, exec_lo
	s_delay_alu instid0(VALU_DEP_2)
	v_cmpx_ne_u32_e32 0x7f, v54
	s_cbranch_execz .LBB266_910
; %bb.907:                              ;   in Loop: Header=BB266_525 Depth=1
	v_and_b32_e32 v50, 7, v1
	v_lshrrev_b32_e32 v53, 3, v54
	s_mov_b32 s28, exec_lo
	v_cmpx_gt_u32_e32 8, v54
; %bb.908:                              ;   in Loop: Header=BB266_525 Depth=1
	s_delay_alu instid0(VALU_DEP_3) | instskip(NEXT) | instid1(VALU_DEP_1)
	v_clz_i32_u32_e32 v50, v50
	v_min_u32_e32 v50, 32, v50
	s_delay_alu instid0(VALU_DEP_1) | instskip(NEXT) | instid1(VALU_DEP_1)
	v_subrev_nc_u32_e32 v53, 28, v50
	v_lshlrev_b64_e32 v[54:55], v53, v[1:2]
	v_sub_nc_u32_e32 v53, 29, v50
	s_delay_alu instid0(VALU_DEP_2)
	v_and_b32_e32 v50, 7, v54
; %bb.909:                              ;   in Loop: Header=BB266_525 Depth=1
	s_wait_alu 0xfffe
	s_or_b32 exec_lo, exec_lo, s28
	v_lshlrev_b32_e32 v1, 8, v1
	v_lshl_add_u32 v53, v53, 10, 0x2000
	v_lshlrev_b32_e32 v50, 7, v50
	s_delay_alu instid0(VALU_DEP_3) | instskip(NEXT) | instid1(VALU_DEP_3)
	v_and_b32_e32 v1, 0x8000, v1
	v_and_b32_e32 v53, 0xfc00, v53
	s_delay_alu instid0(VALU_DEP_1)
	v_or3_b32 v50, v1, v53, v50
.LBB266_910:                            ;   in Loop: Header=BB266_525 Depth=1
	s_or_b32 exec_lo, exec_lo, s27
.LBB266_911:                            ;   in Loop: Header=BB266_525 Depth=1
	s_delay_alu instid0(SALU_CYCLE_1)
	s_or_b32 exec_lo, exec_lo, s26
.LBB266_912:                            ;   in Loop: Header=BB266_525 Depth=1
	s_delay_alu instid0(SALU_CYCLE_1)
	s_or_b32 exec_lo, exec_lo, s25
	v_cmp_lt_u64_e64 s1, s[2:3], v[9:10]
	v_mov_b32_e32 v9, 0
	s_and_saveexec_b32 s25, s1
	s_cbranch_execz .LBB266_920
; %bb.913:                              ;   in Loop: Header=BB266_525 Depth=1
	v_lshrrev_b32_e32 v1, 24, v10
	v_bfrev_b32_e32 v9, 1
	s_mov_b32 s26, exec_lo
	s_delay_alu instid0(VALU_DEP_2)
	v_cmpx_ne_u32_e32 0x80, v1
	s_cbranch_execz .LBB266_919
; %bb.914:                              ;   in Loop: Header=BB266_525 Depth=1
	v_and_b32_e32 v53, 0x7f, v1
	v_mov_b32_e32 v9, 0x7c010000
	s_mov_b32 s27, exec_lo
	s_delay_alu instid0(VALU_DEP_2)
	v_cmpx_ne_u32_e32 0x7f, v53
	s_cbranch_execz .LBB266_918
; %bb.915:                              ;   in Loop: Header=BB266_525 Depth=1
	v_and_b32_e32 v9, 7, v1
	v_lshrrev_b32_e32 v10, 3, v53
	s_mov_b32 s28, exec_lo
	v_cmpx_gt_u32_e32 8, v53
; %bb.916:                              ;   in Loop: Header=BB266_525 Depth=1
	s_delay_alu instid0(VALU_DEP_3) | instskip(NEXT) | instid1(VALU_DEP_1)
	v_clz_i32_u32_e32 v9, v9
	v_min_u32_e32 v53, 32, v9
	s_delay_alu instid0(VALU_DEP_1) | instskip(NEXT) | instid1(VALU_DEP_1)
	v_subrev_nc_u32_e32 v9, 28, v53
	v_lshlrev_b64_e32 v[9:10], v9, v[1:2]
	v_sub_nc_u32_e32 v10, 29, v53
	s_delay_alu instid0(VALU_DEP_2)
	v_and_b32_e32 v9, 7, v9
; %bb.917:                              ;   in Loop: Header=BB266_525 Depth=1
	s_wait_alu 0xfffe
	s_or_b32 exec_lo, exec_lo, s28
	v_lshlrev_b32_e32 v1, 8, v1
	v_lshl_add_u32 v10, v10, 10, 0x2000
	v_lshlrev_b32_e32 v9, 23, v9
	s_delay_alu instid0(VALU_DEP_2) | instskip(NEXT) | instid1(VALU_DEP_1)
	v_and_or_b32 v1, 0x8000, v1, v10
	v_lshl_or_b32 v9, v1, 16, v9
.LBB266_918:                            ;   in Loop: Header=BB266_525 Depth=1
	s_or_b32 exec_lo, exec_lo, s27
.LBB266_919:                            ;   in Loop: Header=BB266_525 Depth=1
	s_delay_alu instid0(SALU_CYCLE_1)
	s_or_b32 exec_lo, exec_lo, s26
.LBB266_920:                            ;   in Loop: Header=BB266_525 Depth=1
	s_delay_alu instid0(SALU_CYCLE_1)
	s_or_b32 exec_lo, exec_lo, s25
	v_or_b32_e32 v1, v48, v49
	s_wait_loadcnt 0x0
	v_fma_mixlo_f16 v10, v45, v48, 0 op_sel:[0,1,0] op_sel_hi:[0,1,0]
	v_or_b32_e32 v47, v46, v47
	v_or_b32_e32 v49, v52, v51
	;; [unrolled: 1-line block ×3, first 2 shown]
	v_fma_mixlo_f16 v1, v45, v1, 0 op_sel_hi:[0,1,0]
	v_fma_mixlo_f16 v48, v45, v46, 0 op_sel:[0,1,0] op_sel_hi:[0,1,0]
	v_lshlrev_b32_e32 v46, 16, v10
	v_fma_mixlo_f16 v10, v45, v47, 0 op_sel_hi:[0,1,0]
	v_fma_mixlo_f16 v49, v45, v49, 0 op_sel_hi:[0,1,0]
	v_and_b32_e32 v47, 0xffff, v1
	v_fma_mixlo_f16 v1, v45, v52, 0 op_sel:[0,1,0] op_sel_hi:[0,1,0]
	v_fma_mixlo_f16 v51, v45, v9, 0 op_sel:[0,1,0] op_sel_hi:[0,1,0]
	v_fma_mixlo_f16 v50, v45, v50, 0 op_sel_hi:[0,1,0]
	v_lshlrev_b32_e32 v48, 16, v48
	v_and_b32_e32 v52, 0xffff, v10
	v_lshlrev_b32_e32 v9, 16, v1
	v_and_b32_e32 v45, 0xffff, v49
	;; [unrolled: 2-line block ×3, first 2 shown]
	v_or_b32_e32 v49, v46, v47
	v_or_b32_e32 v53, v48, v52
	;; [unrolled: 1-line block ×3, first 2 shown]
	s_delay_alu instid0(VALU_DEP_4)
	v_or_b32_e32 v50, v1, v10
	s_and_saveexec_b32 s25, s0
	s_cbranch_execz .LBB266_922
; %bb.921:                              ;   in Loop: Header=BB266_525 Depth=1
	v_add_nc_u32_e32 v49, 1, v30
	v_cmp_gt_i32_e64 s1, s34, v30
	v_add_nc_u32_e32 v50, 2, v30
	s_wait_alu 0xf1ff
	s_delay_alu instid0(VALU_DEP_2) | instskip(SKIP_4) | instid1(VALU_DEP_3)
	v_cndmask_b32_e64 v51, 0, v52, s1
	v_cmp_gt_i32_e64 s1, s34, v49
	v_add_nc_u32_e32 v52, 3, v30
	v_add_nc_u32_e32 v49, 4, v30
	s_wait_alu 0xf1ff
	v_cndmask_b32_e64 v48, 0, v48, s1
	v_cmp_gt_i32_e64 s1, s34, v50
	v_add_nc_u32_e32 v50, 5, v30
	s_delay_alu instid0(VALU_DEP_3) | instskip(SKIP_1) | instid1(VALU_DEP_3)
	v_or_b32_e32 v53, v48, v51
	s_wait_alu 0xf1ff
	v_cndmask_b32_e64 v47, 0, v47, s1
	v_cmp_gt_i32_e64 s1, s34, v52
	v_add_nc_u32_e32 v52, 6, v30
	s_wait_alu 0xf1ff
	s_delay_alu instid0(VALU_DEP_2) | instskip(SKIP_3) | instid1(VALU_DEP_2)
	v_cndmask_b32_e64 v46, 0, v46, s1
	v_cmp_gt_i32_e64 s1, s34, v49
	v_add_nc_u32_e32 v49, 7, v30
	s_wait_alu 0xf1ff
	v_cndmask_b32_e64 v45, 0, v45, s1
	v_cmp_gt_i32_e64 s1, s34, v50
	s_wait_alu 0xf1ff
	s_delay_alu instid0(VALU_DEP_1) | instskip(SKIP_1) | instid1(VALU_DEP_2)
	v_cndmask_b32_e64 v9, 0, v9, s1
	v_cmp_gt_i32_e64 s1, s34, v52
	v_or_b32_e32 v51, v9, v45
	s_wait_alu 0xf1ff
	s_delay_alu instid0(VALU_DEP_2) | instskip(SKIP_3) | instid1(VALU_DEP_2)
	v_cndmask_b32_e64 v10, 0, v10, s1
	v_cmp_gt_i32_e64 s1, s34, v49
	v_or_b32_e32 v49, v46, v47
	s_wait_alu 0xf1ff
	v_cndmask_b32_e64 v1, 0, v1, s1
	s_delay_alu instid0(VALU_DEP_1)
	v_or_b32_e32 v50, v1, v10
.LBB266_922:                            ;   in Loop: Header=BB266_525 Depth=1
	s_or_b32 exec_lo, exec_lo, s25
	;;#ASMSTART
	v_pk_mul_f16 v1, v36, v53;

	;;#ASMEND
	;;#ASMSTART
	v_pk_mul_f16 v9, v35, v49;

	;;#ASMEND
	;; [unrolled: 4-line block ×4, first 2 shown]
	;;#ASMSTART
	v_pk_add_f16 v1, v1, v9;

	;;#ASMEND
	;;#ASMSTART
	v_pk_add_f16 v1, v1, v10;

	;;#ASMEND
	;;#ASMSTART
	v_pk_add_f16 v1, v1, v45;

	;;#ASMEND
	v_dual_mov_b32 v46, 0 :: v_dual_and_b32 v9, 0xffff, v1
	v_lshrrev_b32_e32 v1, 16, v1
	;;#ASMSTART
	v_cvt_f32_f16 v9, v9;
	;;#ASMEND
	;;#ASMSTART
	v_cvt_f32_f16 v10, v1;
	;;#ASMEND
	global_load_b64 v[7:8], v[7:8], off offset:1536
	global_load_b32 v45, v46, s[10:11]
	v_mov_b32_e32 v47, 0
	s_mov_b32 s25, exec_lo
	s_wait_loadcnt 0x1
	v_and_b32_e32 v1, 0xff, v7
	s_delay_alu instid0(VALU_DEP_1)
	v_cmpx_ne_u16_e32 0, v1
	s_cbranch_execz .LBB266_930
; %bb.923:                              ;   in Loop: Header=BB266_525 Depth=1
	v_mov_b32_e32 v47, 0x8000
	s_mov_b32 s26, exec_lo
	v_cmpx_ne_u16_e32 0x80, v1
	s_cbranch_execz .LBB266_929
; %bb.924:                              ;   in Loop: Header=BB266_525 Depth=1
	v_and_b32_e32 v48, 0x7f, v7
	v_mov_b32_e32 v47, 0x7c01
	s_mov_b32 s27, exec_lo
	s_delay_alu instid0(VALU_DEP_2)
	v_cmpx_ne_u32_e32 0x7f, v48
	s_cbranch_execz .LBB266_928
; %bb.925:                              ;   in Loop: Header=BB266_525 Depth=1
	v_and_b32_e32 v1, 7, v7
	v_lshrrev_b32_e32 v47, 3, v48
	s_mov_b32 s28, exec_lo
	v_cmpx_gt_u32_e32 8, v48
; %bb.926:                              ;   in Loop: Header=BB266_525 Depth=1
	s_delay_alu instid0(VALU_DEP_3) | instskip(NEXT) | instid1(VALU_DEP_1)
	v_clz_i32_u32_e32 v1, v1
	v_min_u32_e32 v1, 32, v1
	s_delay_alu instid0(VALU_DEP_1) | instskip(NEXT) | instid1(VALU_DEP_1)
	v_subrev_nc_u32_e32 v47, 28, v1
	v_lshlrev_b64_e32 v[48:49], v47, v[7:8]
	v_sub_nc_u32_e32 v47, 29, v1
	s_delay_alu instid0(VALU_DEP_2)
	v_and_b32_e32 v1, 7, v48
; %bb.927:                              ;   in Loop: Header=BB266_525 Depth=1
	s_wait_alu 0xfffe
	s_or_b32 exec_lo, exec_lo, s28
	v_lshlrev_b32_e32 v48, 8, v7
	v_lshl_add_u32 v47, v47, 10, 0x2000
	v_lshlrev_b32_e32 v1, 7, v1
	s_delay_alu instid0(VALU_DEP_3) | instskip(NEXT) | instid1(VALU_DEP_3)
	v_and_b32_e32 v48, 0x8000, v48
	v_and_b32_e32 v47, 0xfc00, v47
	s_delay_alu instid0(VALU_DEP_1)
	v_or3_b32 v47, v48, v47, v1
.LBB266_928:                            ;   in Loop: Header=BB266_525 Depth=1
	s_or_b32 exec_lo, exec_lo, s27
.LBB266_929:                            ;   in Loop: Header=BB266_525 Depth=1
	s_delay_alu instid0(SALU_CYCLE_1)
	s_or_b32 exec_lo, exec_lo, s26
.LBB266_930:                            ;   in Loop: Header=BB266_525 Depth=1
	s_delay_alu instid0(SALU_CYCLE_1) | instskip(SKIP_2) | instid1(VALU_DEP_1)
	s_or_b32 exec_lo, exec_lo, s25
	v_lshrrev_b16 v1, 8, v7
	s_mov_b32 s25, exec_lo
	v_cmpx_ne_u16_e32 0, v1
	s_cbranch_execz .LBB266_938
; %bb.931:                              ;   in Loop: Header=BB266_525 Depth=1
	v_bfrev_b32_e32 v46, 1
	s_mov_b32 s26, exec_lo
	v_cmpx_ne_u16_e32 0x80, v1
	s_cbranch_execz .LBB266_937
; %bb.932:                              ;   in Loop: Header=BB266_525 Depth=1
	v_and_b32_e32 v48, 0xffff, v1
	v_mov_b32_e32 v46, 0x7c010000
	s_mov_b32 s27, exec_lo
	s_delay_alu instid0(VALU_DEP_2) | instskip(NEXT) | instid1(VALU_DEP_1)
	v_and_b32_e32 v50, 0x7f, v48
	v_cmpx_ne_u32_e32 0x7f, v50
	s_cbranch_execz .LBB266_936
; %bb.933:                              ;   in Loop: Header=BB266_525 Depth=1
	v_and_b32_e32 v46, 7, v48
	v_lshrrev_b32_e32 v49, 3, v50
	s_mov_b32 s28, exec_lo
	v_cmpx_gt_u32_e32 8, v50
; %bb.934:                              ;   in Loop: Header=BB266_525 Depth=1
	s_delay_alu instid0(VALU_DEP_3) | instskip(NEXT) | instid1(VALU_DEP_1)
	v_clz_i32_u32_e32 v46, v46
	v_min_u32_e32 v46, 32, v46
	s_delay_alu instid0(VALU_DEP_1) | instskip(NEXT) | instid1(VALU_DEP_1)
	v_subrev_nc_u32_e32 v49, 28, v46
	v_lshlrev_b64_e32 v[50:51], v49, v[1:2]
	v_sub_nc_u32_e32 v49, 29, v46
	s_delay_alu instid0(VALU_DEP_2)
	v_and_b32_e32 v46, 7, v50
; %bb.935:                              ;   in Loop: Header=BB266_525 Depth=1
	s_wait_alu 0xfffe
	s_or_b32 exec_lo, exec_lo, s28
	v_lshlrev_b32_e32 v1, 8, v48
	v_lshl_add_u32 v48, v49, 10, 0x2000
	v_lshlrev_b32_e32 v46, 23, v46
	s_delay_alu instid0(VALU_DEP_2) | instskip(NEXT) | instid1(VALU_DEP_1)
	v_and_or_b32 v1, 0x8000, v1, v48
	v_lshl_or_b32 v46, v1, 16, v46
.LBB266_936:                            ;   in Loop: Header=BB266_525 Depth=1
	s_or_b32 exec_lo, exec_lo, s27
.LBB266_937:                            ;   in Loop: Header=BB266_525 Depth=1
	s_delay_alu instid0(SALU_CYCLE_1)
	s_or_b32 exec_lo, exec_lo, s26
.LBB266_938:                            ;   in Loop: Header=BB266_525 Depth=1
	s_delay_alu instid0(SALU_CYCLE_1) | instskip(SKIP_3) | instid1(VALU_DEP_2)
	s_or_b32 exec_lo, exec_lo, s25
	v_lshrrev_b32_e32 v1, 16, v7
	v_mov_b32_e32 v48, 0
	s_mov_b32 s25, exec_lo
	v_dual_mov_b32 v49, 0 :: v_dual_and_b32 v50, 0xff, v1
	s_delay_alu instid0(VALU_DEP_1)
	v_cmpx_ne_u16_e32 0, v50
	s_cbranch_execz .LBB266_946
; %bb.939:                              ;   in Loop: Header=BB266_525 Depth=1
	v_mov_b32_e32 v49, 0x8000
	s_mov_b32 s26, exec_lo
	v_cmpx_ne_u16_e32 0x80, v50
	s_cbranch_execz .LBB266_945
; %bb.940:                              ;   in Loop: Header=BB266_525 Depth=1
	v_bfe_u32 v51, v7, 16, 7
	v_mov_b32_e32 v49, 0x7c01
	s_mov_b32 s27, exec_lo
	s_delay_alu instid0(VALU_DEP_2)
	v_cmpx_ne_u32_e32 0x7f, v51
	s_cbranch_execz .LBB266_944
; %bb.941:                              ;   in Loop: Header=BB266_525 Depth=1
	v_and_b32_e32 v49, 7, v1
	v_lshrrev_b32_e32 v50, 3, v51
	s_mov_b32 s28, exec_lo
	v_cmpx_gt_u32_e32 8, v51
; %bb.942:                              ;   in Loop: Header=BB266_525 Depth=1
	s_delay_alu instid0(VALU_DEP_3) | instskip(NEXT) | instid1(VALU_DEP_1)
	v_clz_i32_u32_e32 v49, v49
	v_min_u32_e32 v51, 32, v49
	s_delay_alu instid0(VALU_DEP_1) | instskip(NEXT) | instid1(VALU_DEP_1)
	v_subrev_nc_u32_e32 v49, 28, v51
	v_lshlrev_b64_e32 v[49:50], v49, v[1:2]
	v_sub_nc_u32_e32 v50, 29, v51
	s_delay_alu instid0(VALU_DEP_2)
	v_and_b32_e32 v49, 7, v49
; %bb.943:                              ;   in Loop: Header=BB266_525 Depth=1
	s_wait_alu 0xfffe
	s_or_b32 exec_lo, exec_lo, s28
	v_lshlrev_b32_e32 v1, 8, v1
	v_lshl_add_u32 v50, v50, 10, 0x2000
	v_lshlrev_b32_e32 v49, 7, v49
	s_delay_alu instid0(VALU_DEP_3) | instskip(NEXT) | instid1(VALU_DEP_3)
	v_and_b32_e32 v1, 0x8000, v1
	v_and_b32_e32 v50, 0xfc00, v50
	s_delay_alu instid0(VALU_DEP_1)
	v_or3_b32 v49, v1, v50, v49
.LBB266_944:                            ;   in Loop: Header=BB266_525 Depth=1
	s_or_b32 exec_lo, exec_lo, s27
.LBB266_945:                            ;   in Loop: Header=BB266_525 Depth=1
	s_delay_alu instid0(SALU_CYCLE_1)
	s_or_b32 exec_lo, exec_lo, s26
.LBB266_946:                            ;   in Loop: Header=BB266_525 Depth=1
	s_delay_alu instid0(SALU_CYCLE_1) | instskip(NEXT) | instid1(SALU_CYCLE_1)
	s_or_b32 exec_lo, exec_lo, s25
	s_mov_b32 s25, exec_lo
	v_cmpx_lt_u32_e32 0xffffff, v7
	s_cbranch_execz .LBB266_954
; %bb.947:                              ;   in Loop: Header=BB266_525 Depth=1
	v_lshrrev_b32_e32 v1, 24, v7
	v_bfrev_b32_e32 v48, 1
	s_mov_b32 s26, exec_lo
	s_delay_alu instid0(VALU_DEP_2)
	v_cmpx_ne_u32_e32 0x80, v1
	s_cbranch_execz .LBB266_953
; %bb.948:                              ;   in Loop: Header=BB266_525 Depth=1
	v_and_b32_e32 v51, 0x7f, v1
	v_mov_b32_e32 v48, 0x7c010000
	s_mov_b32 s27, exec_lo
	s_delay_alu instid0(VALU_DEP_2)
	v_cmpx_ne_u32_e32 0x7f, v51
	s_cbranch_execz .LBB266_952
; %bb.949:                              ;   in Loop: Header=BB266_525 Depth=1
	v_and_b32_e32 v48, 7, v1
	v_lshrrev_b32_e32 v50, 3, v51
	s_mov_b32 s28, exec_lo
	v_cmpx_gt_u32_e32 8, v51
; %bb.950:                              ;   in Loop: Header=BB266_525 Depth=1
	s_delay_alu instid0(VALU_DEP_3) | instskip(NEXT) | instid1(VALU_DEP_1)
	v_clz_i32_u32_e32 v48, v48
	v_min_u32_e32 v48, 32, v48
	s_delay_alu instid0(VALU_DEP_1) | instskip(NEXT) | instid1(VALU_DEP_1)
	v_subrev_nc_u32_e32 v50, 28, v48
	v_lshlrev_b64_e32 v[51:52], v50, v[1:2]
	v_sub_nc_u32_e32 v50, 29, v48
	s_delay_alu instid0(VALU_DEP_2)
	v_and_b32_e32 v48, 7, v51
; %bb.951:                              ;   in Loop: Header=BB266_525 Depth=1
	s_wait_alu 0xfffe
	s_or_b32 exec_lo, exec_lo, s28
	v_lshlrev_b32_e32 v1, 8, v1
	v_lshl_add_u32 v50, v50, 10, 0x2000
	v_lshlrev_b32_e32 v48, 23, v48
	s_delay_alu instid0(VALU_DEP_2) | instskip(NEXT) | instid1(VALU_DEP_1)
	v_and_or_b32 v1, 0x8000, v1, v50
	v_lshl_or_b32 v48, v1, 16, v48
.LBB266_952:                            ;   in Loop: Header=BB266_525 Depth=1
	s_or_b32 exec_lo, exec_lo, s27
.LBB266_953:                            ;   in Loop: Header=BB266_525 Depth=1
	s_delay_alu instid0(SALU_CYCLE_1)
	s_or_b32 exec_lo, exec_lo, s26
.LBB266_954:                            ;   in Loop: Header=BB266_525 Depth=1
	s_delay_alu instid0(SALU_CYCLE_1) | instskip(SKIP_3) | instid1(VALU_DEP_2)
	s_or_b32 exec_lo, exec_lo, s25
	v_dual_mov_b32 v1, v8 :: v_dual_and_b32 v52, 0xff, v8
	v_dual_mov_b32 v50, 0 :: v_dual_mov_b32 v51, 0
	s_mov_b32 s25, exec_lo
	v_cmpx_ne_u16_e32 0, v52
	s_cbranch_execz .LBB266_962
; %bb.955:                              ;   in Loop: Header=BB266_525 Depth=1
	v_mov_b32_e32 v51, 0x8000
	s_mov_b32 s26, exec_lo
	v_cmpx_ne_u16_e32 0x80, v52
	s_cbranch_execz .LBB266_961
; %bb.956:                              ;   in Loop: Header=BB266_525 Depth=1
	v_and_b32_e32 v53, 0x7f, v8
	v_mov_b32_e32 v51, 0x7c01
	s_mov_b32 s27, exec_lo
	s_delay_alu instid0(VALU_DEP_2)
	v_cmpx_ne_u32_e32 0x7f, v53
	s_cbranch_execz .LBB266_960
; %bb.957:                              ;   in Loop: Header=BB266_525 Depth=1
	v_and_b32_e32 v51, 7, v8
	v_lshrrev_b32_e32 v52, 3, v53
	s_mov_b32 s28, exec_lo
	v_cmpx_gt_u32_e32 8, v53
; %bb.958:                              ;   in Loop: Header=BB266_525 Depth=1
	s_delay_alu instid0(VALU_DEP_3) | instskip(NEXT) | instid1(VALU_DEP_1)
	v_clz_i32_u32_e32 v51, v51
	v_min_u32_e32 v53, 32, v51
	s_delay_alu instid0(VALU_DEP_1) | instskip(NEXT) | instid1(VALU_DEP_1)
	v_subrev_nc_u32_e32 v51, 28, v53
	v_lshlrev_b64_e32 v[51:52], v51, v[1:2]
	v_sub_nc_u32_e32 v52, 29, v53
	s_delay_alu instid0(VALU_DEP_2)
	v_and_b32_e32 v51, 7, v51
; %bb.959:                              ;   in Loop: Header=BB266_525 Depth=1
	s_wait_alu 0xfffe
	s_or_b32 exec_lo, exec_lo, s28
	v_lshlrev_b32_e32 v53, 8, v8
	v_lshl_add_u32 v52, v52, 10, 0x2000
	v_lshlrev_b32_e32 v51, 7, v51
	s_delay_alu instid0(VALU_DEP_3) | instskip(NEXT) | instid1(VALU_DEP_3)
	v_and_b32_e32 v53, 0x8000, v53
	v_and_b32_e32 v52, 0xfc00, v52
	s_delay_alu instid0(VALU_DEP_1)
	v_or3_b32 v51, v53, v52, v51
.LBB266_960:                            ;   in Loop: Header=BB266_525 Depth=1
	s_or_b32 exec_lo, exec_lo, s27
.LBB266_961:                            ;   in Loop: Header=BB266_525 Depth=1
	s_delay_alu instid0(SALU_CYCLE_1)
	s_or_b32 exec_lo, exec_lo, s26
.LBB266_962:                            ;   in Loop: Header=BB266_525 Depth=1
	s_delay_alu instid0(SALU_CYCLE_1) | instskip(SKIP_3) | instid1(VALU_DEP_2)
	s_or_b32 exec_lo, exec_lo, s25
	v_lshrrev_b16 v1, 8, v1
	v_mov_b32_e32 v52, 0
	s_mov_b32 s25, exec_lo
	v_cmpx_ne_u16_e32 0, v1
	s_cbranch_execz .LBB266_970
; %bb.963:                              ;   in Loop: Header=BB266_525 Depth=1
	v_bfrev_b32_e32 v52, 1
	s_mov_b32 s26, exec_lo
	v_cmpx_ne_u16_e32 0x80, v1
	s_cbranch_execz .LBB266_969
; %bb.964:                              ;   in Loop: Header=BB266_525 Depth=1
	v_and_b32_e32 v53, 0xffff, v1
	v_mov_b32_e32 v52, 0x7c010000
	s_mov_b32 s27, exec_lo
	s_delay_alu instid0(VALU_DEP_2) | instskip(NEXT) | instid1(VALU_DEP_1)
	v_and_b32_e32 v55, 0x7f, v53
	v_cmpx_ne_u32_e32 0x7f, v55
	s_cbranch_execz .LBB266_968
; %bb.965:                              ;   in Loop: Header=BB266_525 Depth=1
	v_and_b32_e32 v52, 7, v53
	v_lshrrev_b32_e32 v54, 3, v55
	s_mov_b32 s28, exec_lo
	v_cmpx_gt_u32_e32 8, v55
; %bb.966:                              ;   in Loop: Header=BB266_525 Depth=1
	s_delay_alu instid0(VALU_DEP_3) | instskip(NEXT) | instid1(VALU_DEP_1)
	v_clz_i32_u32_e32 v52, v52
	v_min_u32_e32 v52, 32, v52
	s_delay_alu instid0(VALU_DEP_1) | instskip(NEXT) | instid1(VALU_DEP_1)
	v_subrev_nc_u32_e32 v54, 28, v52
	v_lshlrev_b64_e32 v[55:56], v54, v[1:2]
	v_sub_nc_u32_e32 v54, 29, v52
	s_delay_alu instid0(VALU_DEP_2)
	v_and_b32_e32 v52, 7, v55
; %bb.967:                              ;   in Loop: Header=BB266_525 Depth=1
	s_wait_alu 0xfffe
	s_or_b32 exec_lo, exec_lo, s28
	v_lshlrev_b32_e32 v1, 8, v53
	v_lshl_add_u32 v53, v54, 10, 0x2000
	v_lshlrev_b32_e32 v52, 23, v52
	s_delay_alu instid0(VALU_DEP_2) | instskip(NEXT) | instid1(VALU_DEP_1)
	v_and_or_b32 v1, 0x8000, v1, v53
	v_lshl_or_b32 v52, v1, 16, v52
.LBB266_968:                            ;   in Loop: Header=BB266_525 Depth=1
	s_or_b32 exec_lo, exec_lo, s27
.LBB266_969:                            ;   in Loop: Header=BB266_525 Depth=1
	s_delay_alu instid0(SALU_CYCLE_1)
	s_or_b32 exec_lo, exec_lo, s26
.LBB266_970:                            ;   in Loop: Header=BB266_525 Depth=1
	s_delay_alu instid0(SALU_CYCLE_1) | instskip(SKIP_2) | instid1(VALU_DEP_1)
	s_or_b32 exec_lo, exec_lo, s25
	v_lshrrev_b32_e32 v1, 16, v8
	s_mov_b32 s25, exec_lo
	v_and_b32_e32 v53, 0xff, v1
	s_delay_alu instid0(VALU_DEP_1)
	v_cmpx_ne_u16_e32 0, v53
	s_cbranch_execz .LBB266_978
; %bb.971:                              ;   in Loop: Header=BB266_525 Depth=1
	v_mov_b32_e32 v50, 0x8000
	s_mov_b32 s26, exec_lo
	v_cmpx_ne_u16_e32 0x80, v53
	s_cbranch_execz .LBB266_977
; %bb.972:                              ;   in Loop: Header=BB266_525 Depth=1
	v_bfe_u32 v54, v8, 16, 7
	v_mov_b32_e32 v50, 0x7c01
	s_mov_b32 s27, exec_lo
	s_delay_alu instid0(VALU_DEP_2)
	v_cmpx_ne_u32_e32 0x7f, v54
	s_cbranch_execz .LBB266_976
; %bb.973:                              ;   in Loop: Header=BB266_525 Depth=1
	v_and_b32_e32 v50, 7, v1
	v_lshrrev_b32_e32 v53, 3, v54
	s_mov_b32 s28, exec_lo
	v_cmpx_gt_u32_e32 8, v54
; %bb.974:                              ;   in Loop: Header=BB266_525 Depth=1
	s_delay_alu instid0(VALU_DEP_3) | instskip(NEXT) | instid1(VALU_DEP_1)
	v_clz_i32_u32_e32 v50, v50
	v_min_u32_e32 v50, 32, v50
	s_delay_alu instid0(VALU_DEP_1) | instskip(NEXT) | instid1(VALU_DEP_1)
	v_subrev_nc_u32_e32 v53, 28, v50
	v_lshlrev_b64_e32 v[54:55], v53, v[1:2]
	v_sub_nc_u32_e32 v53, 29, v50
	s_delay_alu instid0(VALU_DEP_2)
	v_and_b32_e32 v50, 7, v54
; %bb.975:                              ;   in Loop: Header=BB266_525 Depth=1
	s_wait_alu 0xfffe
	s_or_b32 exec_lo, exec_lo, s28
	v_lshlrev_b32_e32 v1, 8, v1
	v_lshl_add_u32 v53, v53, 10, 0x2000
	v_lshlrev_b32_e32 v50, 7, v50
	s_delay_alu instid0(VALU_DEP_3) | instskip(NEXT) | instid1(VALU_DEP_3)
	v_and_b32_e32 v1, 0x8000, v1
	v_and_b32_e32 v53, 0xfc00, v53
	s_delay_alu instid0(VALU_DEP_1)
	v_or3_b32 v50, v1, v53, v50
.LBB266_976:                            ;   in Loop: Header=BB266_525 Depth=1
	s_or_b32 exec_lo, exec_lo, s27
.LBB266_977:                            ;   in Loop: Header=BB266_525 Depth=1
	s_delay_alu instid0(SALU_CYCLE_1)
	s_or_b32 exec_lo, exec_lo, s26
.LBB266_978:                            ;   in Loop: Header=BB266_525 Depth=1
	s_delay_alu instid0(SALU_CYCLE_1)
	s_or_b32 exec_lo, exec_lo, s25
	v_cmp_lt_u64_e64 s1, s[2:3], v[7:8]
	v_mov_b32_e32 v7, 0
	s_and_saveexec_b32 s25, s1
	s_cbranch_execz .LBB266_986
; %bb.979:                              ;   in Loop: Header=BB266_525 Depth=1
	v_lshrrev_b32_e32 v1, 24, v8
	v_bfrev_b32_e32 v7, 1
	s_mov_b32 s26, exec_lo
	s_delay_alu instid0(VALU_DEP_2)
	v_cmpx_ne_u32_e32 0x80, v1
	s_cbranch_execz .LBB266_985
; %bb.980:                              ;   in Loop: Header=BB266_525 Depth=1
	v_and_b32_e32 v53, 0x7f, v1
	v_mov_b32_e32 v7, 0x7c010000
	s_mov_b32 s27, exec_lo
	s_delay_alu instid0(VALU_DEP_2)
	v_cmpx_ne_u32_e32 0x7f, v53
	s_cbranch_execz .LBB266_984
; %bb.981:                              ;   in Loop: Header=BB266_525 Depth=1
	v_and_b32_e32 v7, 7, v1
	v_lshrrev_b32_e32 v8, 3, v53
	s_mov_b32 s28, exec_lo
	v_cmpx_gt_u32_e32 8, v53
; %bb.982:                              ;   in Loop: Header=BB266_525 Depth=1
	s_delay_alu instid0(VALU_DEP_3) | instskip(NEXT) | instid1(VALU_DEP_1)
	v_clz_i32_u32_e32 v7, v7
	v_min_u32_e32 v53, 32, v7
	s_delay_alu instid0(VALU_DEP_1) | instskip(NEXT) | instid1(VALU_DEP_1)
	v_subrev_nc_u32_e32 v7, 28, v53
	v_lshlrev_b64_e32 v[7:8], v7, v[1:2]
	v_sub_nc_u32_e32 v8, 29, v53
	s_delay_alu instid0(VALU_DEP_2)
	v_and_b32_e32 v7, 7, v7
; %bb.983:                              ;   in Loop: Header=BB266_525 Depth=1
	s_wait_alu 0xfffe
	s_or_b32 exec_lo, exec_lo, s28
	v_lshlrev_b32_e32 v1, 8, v1
	v_lshl_add_u32 v8, v8, 10, 0x2000
	v_lshlrev_b32_e32 v7, 23, v7
	s_delay_alu instid0(VALU_DEP_2) | instskip(NEXT) | instid1(VALU_DEP_1)
	v_and_or_b32 v1, 0x8000, v1, v8
	v_lshl_or_b32 v7, v1, 16, v7
.LBB266_984:                            ;   in Loop: Header=BB266_525 Depth=1
	s_or_b32 exec_lo, exec_lo, s27
.LBB266_985:                            ;   in Loop: Header=BB266_525 Depth=1
	s_delay_alu instid0(SALU_CYCLE_1)
	s_or_b32 exec_lo, exec_lo, s26
.LBB266_986:                            ;   in Loop: Header=BB266_525 Depth=1
	s_delay_alu instid0(SALU_CYCLE_1)
	s_or_b32 exec_lo, exec_lo, s25
	v_or_b32_e32 v1, v48, v49
	s_wait_loadcnt 0x0
	v_fma_mixlo_f16 v8, v45, v48, 0 op_sel:[0,1,0] op_sel_hi:[0,1,0]
	v_or_b32_e32 v47, v46, v47
	v_or_b32_e32 v49, v52, v51
	;; [unrolled: 1-line block ×3, first 2 shown]
	v_fma_mixlo_f16 v1, v45, v1, 0 op_sel_hi:[0,1,0]
	v_fma_mixlo_f16 v48, v45, v46, 0 op_sel:[0,1,0] op_sel_hi:[0,1,0]
	v_lshlrev_b32_e32 v46, 16, v8
	v_fma_mixlo_f16 v8, v45, v47, 0 op_sel_hi:[0,1,0]
	v_fma_mixlo_f16 v49, v45, v49, 0 op_sel_hi:[0,1,0]
	v_and_b32_e32 v47, 0xffff, v1
	v_fma_mixlo_f16 v1, v45, v52, 0 op_sel:[0,1,0] op_sel_hi:[0,1,0]
	v_fma_mixlo_f16 v51, v45, v7, 0 op_sel:[0,1,0] op_sel_hi:[0,1,0]
	v_fma_mixlo_f16 v50, v45, v50, 0 op_sel_hi:[0,1,0]
	v_lshlrev_b32_e32 v48, 16, v48
	v_and_b32_e32 v52, 0xffff, v8
	v_lshlrev_b32_e32 v7, 16, v1
	v_and_b32_e32 v45, 0xffff, v49
	;; [unrolled: 2-line block ×3, first 2 shown]
	v_or_b32_e32 v49, v46, v47
	v_or_b32_e32 v53, v48, v52
	;; [unrolled: 1-line block ×3, first 2 shown]
	s_delay_alu instid0(VALU_DEP_4)
	v_or_b32_e32 v50, v1, v8
	s_and_saveexec_b32 s25, s0
	s_cbranch_execz .LBB266_988
; %bb.987:                              ;   in Loop: Header=BB266_525 Depth=1
	v_add_nc_u32_e32 v49, 1, v30
	v_cmp_gt_i32_e64 s1, s34, v30
	v_add_nc_u32_e32 v50, 2, v30
	s_wait_alu 0xf1ff
	s_delay_alu instid0(VALU_DEP_2) | instskip(SKIP_4) | instid1(VALU_DEP_3)
	v_cndmask_b32_e64 v51, 0, v52, s1
	v_cmp_gt_i32_e64 s1, s34, v49
	v_add_nc_u32_e32 v52, 3, v30
	v_add_nc_u32_e32 v49, 4, v30
	s_wait_alu 0xf1ff
	v_cndmask_b32_e64 v48, 0, v48, s1
	v_cmp_gt_i32_e64 s1, s34, v50
	v_add_nc_u32_e32 v50, 5, v30
	s_delay_alu instid0(VALU_DEP_3) | instskip(SKIP_1) | instid1(VALU_DEP_3)
	v_or_b32_e32 v53, v48, v51
	s_wait_alu 0xf1ff
	v_cndmask_b32_e64 v47, 0, v47, s1
	v_cmp_gt_i32_e64 s1, s34, v52
	v_add_nc_u32_e32 v52, 6, v30
	s_wait_alu 0xf1ff
	s_delay_alu instid0(VALU_DEP_2) | instskip(SKIP_3) | instid1(VALU_DEP_2)
	v_cndmask_b32_e64 v46, 0, v46, s1
	v_cmp_gt_i32_e64 s1, s34, v49
	v_add_nc_u32_e32 v49, 7, v30
	s_wait_alu 0xf1ff
	v_cndmask_b32_e64 v45, 0, v45, s1
	v_cmp_gt_i32_e64 s1, s34, v50
	s_wait_alu 0xf1ff
	s_delay_alu instid0(VALU_DEP_1) | instskip(SKIP_1) | instid1(VALU_DEP_2)
	v_cndmask_b32_e64 v7, 0, v7, s1
	v_cmp_gt_i32_e64 s1, s34, v52
	v_or_b32_e32 v51, v7, v45
	s_wait_alu 0xf1ff
	s_delay_alu instid0(VALU_DEP_2) | instskip(SKIP_3) | instid1(VALU_DEP_2)
	v_cndmask_b32_e64 v8, 0, v8, s1
	v_cmp_gt_i32_e64 s1, s34, v49
	v_or_b32_e32 v49, v46, v47
	s_wait_alu 0xf1ff
	v_cndmask_b32_e64 v1, 0, v1, s1
	s_delay_alu instid0(VALU_DEP_1)
	v_or_b32_e32 v50, v1, v8
.LBB266_988:                            ;   in Loop: Header=BB266_525 Depth=1
	s_or_b32 exec_lo, exec_lo, s25
	;;#ASMSTART
	v_pk_mul_f16 v1, v36, v53;

	;;#ASMEND
	;;#ASMSTART
	v_pk_mul_f16 v7, v35, v49;

	;;#ASMEND
	;;#ASMSTART
	v_pk_mul_f16 v8, v34, v51;

	;;#ASMEND
	;;#ASMSTART
	v_pk_mul_f16 v45, v33, v50;

	;;#ASMEND
	;;#ASMSTART
	v_pk_add_f16 v1, v1, v7;

	;;#ASMEND
	;;#ASMSTART
	v_pk_add_f16 v1, v1, v8;

	;;#ASMEND
	;; [unrolled: 4-line block ×3, first 2 shown]
	v_and_b32_e32 v7, 0xffff, v1
	v_lshrrev_b32_e32 v1, 16, v1
	;;#ASMSTART
	v_cvt_f32_f16 v7, v7;
	;;#ASMEND
	;;#ASMSTART
	v_cvt_f32_f16 v8, v1;
	;;#ASMEND
	s_and_saveexec_b32 s25, vcc_lo
	s_cbranch_execz .LBB266_523
; %bb.989:                              ;   in Loop: Header=BB266_525 Depth=1
	v_add_co_u32 v5, s1, v5, v28
	s_wait_alu 0xf1ff
	v_add_co_ci_u32_e64 v6, null, 0, v6, s1
	v_mov_b32_e32 v47, 0
	s_mov_b32 s26, exec_lo
	global_load_b64 v[5:6], v[5:6], off
	s_wait_loadcnt 0x0
	v_dual_mov_b32 v46, 0 :: v_dual_and_b32 v1, 0xff, v5
	global_load_b32 v45, v46, s[10:11]
	v_cmpx_ne_u16_e32 0, v1
	s_cbranch_execz .LBB266_997
; %bb.990:                              ;   in Loop: Header=BB266_525 Depth=1
	v_mov_b32_e32 v47, 0x8000
	s_mov_b32 s27, exec_lo
	v_cmpx_ne_u16_e32 0x80, v1
	s_cbranch_execz .LBB266_996
; %bb.991:                              ;   in Loop: Header=BB266_525 Depth=1
	v_and_b32_e32 v48, 0x7f, v5
	v_mov_b32_e32 v47, 0x7c01
	s_mov_b32 s28, exec_lo
	s_delay_alu instid0(VALU_DEP_2)
	v_cmpx_ne_u32_e32 0x7f, v48
	s_cbranch_execz .LBB266_995
; %bb.992:                              ;   in Loop: Header=BB266_525 Depth=1
	v_and_b32_e32 v1, 7, v5
	v_lshrrev_b32_e32 v47, 3, v48
	s_mov_b32 s29, exec_lo
	v_cmpx_gt_u32_e32 8, v48
; %bb.993:                              ;   in Loop: Header=BB266_525 Depth=1
	s_delay_alu instid0(VALU_DEP_3) | instskip(NEXT) | instid1(VALU_DEP_1)
	v_clz_i32_u32_e32 v1, v1
	v_min_u32_e32 v1, 32, v1
	s_delay_alu instid0(VALU_DEP_1) | instskip(NEXT) | instid1(VALU_DEP_1)
	v_subrev_nc_u32_e32 v47, 28, v1
	v_lshlrev_b64_e32 v[48:49], v47, v[5:6]
	v_sub_nc_u32_e32 v47, 29, v1
	s_delay_alu instid0(VALU_DEP_2)
	v_and_b32_e32 v1, 7, v48
; %bb.994:                              ;   in Loop: Header=BB266_525 Depth=1
	s_wait_alu 0xfffe
	s_or_b32 exec_lo, exec_lo, s29
	v_lshlrev_b32_e32 v48, 8, v5
	v_lshl_add_u32 v47, v47, 10, 0x2000
	v_lshlrev_b32_e32 v1, 7, v1
	s_delay_alu instid0(VALU_DEP_3) | instskip(NEXT) | instid1(VALU_DEP_3)
	v_and_b32_e32 v48, 0x8000, v48
	v_and_b32_e32 v47, 0xfc00, v47
	s_delay_alu instid0(VALU_DEP_1)
	v_or3_b32 v47, v48, v47, v1
.LBB266_995:                            ;   in Loop: Header=BB266_525 Depth=1
	s_wait_alu 0xfffe
	s_or_b32 exec_lo, exec_lo, s28
.LBB266_996:                            ;   in Loop: Header=BB266_525 Depth=1
	s_delay_alu instid0(SALU_CYCLE_1)
	s_or_b32 exec_lo, exec_lo, s27
.LBB266_997:                            ;   in Loop: Header=BB266_525 Depth=1
	s_delay_alu instid0(SALU_CYCLE_1) | instskip(SKIP_2) | instid1(VALU_DEP_1)
	s_or_b32 exec_lo, exec_lo, s26
	v_lshrrev_b16 v1, 8, v5
	s_mov_b32 s26, exec_lo
	v_cmpx_ne_u16_e32 0, v1
	s_cbranch_execz .LBB266_1005
; %bb.998:                              ;   in Loop: Header=BB266_525 Depth=1
	v_bfrev_b32_e32 v46, 1
	s_mov_b32 s27, exec_lo
	v_cmpx_ne_u16_e32 0x80, v1
	s_cbranch_execz .LBB266_1004
; %bb.999:                              ;   in Loop: Header=BB266_525 Depth=1
	v_and_b32_e32 v48, 0xffff, v1
	v_mov_b32_e32 v46, 0x7c010000
	s_mov_b32 s28, exec_lo
	s_delay_alu instid0(VALU_DEP_2) | instskip(NEXT) | instid1(VALU_DEP_1)
	v_and_b32_e32 v50, 0x7f, v48
	v_cmpx_ne_u32_e32 0x7f, v50
	s_cbranch_execz .LBB266_1003
; %bb.1000:                             ;   in Loop: Header=BB266_525 Depth=1
	v_and_b32_e32 v46, 7, v48
	v_lshrrev_b32_e32 v49, 3, v50
	s_mov_b32 s29, exec_lo
	v_cmpx_gt_u32_e32 8, v50
; %bb.1001:                             ;   in Loop: Header=BB266_525 Depth=1
	s_delay_alu instid0(VALU_DEP_3) | instskip(NEXT) | instid1(VALU_DEP_1)
	v_clz_i32_u32_e32 v46, v46
	v_min_u32_e32 v46, 32, v46
	s_delay_alu instid0(VALU_DEP_1) | instskip(NEXT) | instid1(VALU_DEP_1)
	v_subrev_nc_u32_e32 v49, 28, v46
	v_lshlrev_b64_e32 v[50:51], v49, v[1:2]
	v_sub_nc_u32_e32 v49, 29, v46
	s_delay_alu instid0(VALU_DEP_2)
	v_and_b32_e32 v46, 7, v50
; %bb.1002:                             ;   in Loop: Header=BB266_525 Depth=1
	s_wait_alu 0xfffe
	s_or_b32 exec_lo, exec_lo, s29
	v_lshlrev_b32_e32 v1, 8, v48
	v_lshl_add_u32 v48, v49, 10, 0x2000
	v_lshlrev_b32_e32 v46, 23, v46
	s_delay_alu instid0(VALU_DEP_2) | instskip(NEXT) | instid1(VALU_DEP_1)
	v_and_or_b32 v1, 0x8000, v1, v48
	v_lshl_or_b32 v46, v1, 16, v46
.LBB266_1003:                           ;   in Loop: Header=BB266_525 Depth=1
	s_wait_alu 0xfffe
	s_or_b32 exec_lo, exec_lo, s28
.LBB266_1004:                           ;   in Loop: Header=BB266_525 Depth=1
	s_delay_alu instid0(SALU_CYCLE_1)
	s_or_b32 exec_lo, exec_lo, s27
.LBB266_1005:                           ;   in Loop: Header=BB266_525 Depth=1
	s_delay_alu instid0(SALU_CYCLE_1) | instskip(SKIP_3) | instid1(VALU_DEP_2)
	s_or_b32 exec_lo, exec_lo, s26
	v_lshrrev_b32_e32 v1, 16, v5
	v_mov_b32_e32 v48, 0
	s_mov_b32 s26, exec_lo
	v_dual_mov_b32 v49, 0 :: v_dual_and_b32 v50, 0xff, v1
	s_delay_alu instid0(VALU_DEP_1)
	v_cmpx_ne_u16_e32 0, v50
	s_cbranch_execz .LBB266_1013
; %bb.1006:                             ;   in Loop: Header=BB266_525 Depth=1
	v_mov_b32_e32 v49, 0x8000
	s_mov_b32 s27, exec_lo
	v_cmpx_ne_u16_e32 0x80, v50
	s_cbranch_execz .LBB266_1012
; %bb.1007:                             ;   in Loop: Header=BB266_525 Depth=1
	v_bfe_u32 v51, v5, 16, 7
	v_mov_b32_e32 v49, 0x7c01
	s_mov_b32 s28, exec_lo
	s_delay_alu instid0(VALU_DEP_2)
	v_cmpx_ne_u32_e32 0x7f, v51
	s_cbranch_execz .LBB266_1011
; %bb.1008:                             ;   in Loop: Header=BB266_525 Depth=1
	v_and_b32_e32 v49, 7, v1
	v_lshrrev_b32_e32 v50, 3, v51
	s_mov_b32 s29, exec_lo
	v_cmpx_gt_u32_e32 8, v51
; %bb.1009:                             ;   in Loop: Header=BB266_525 Depth=1
	s_delay_alu instid0(VALU_DEP_3) | instskip(NEXT) | instid1(VALU_DEP_1)
	v_clz_i32_u32_e32 v49, v49
	v_min_u32_e32 v51, 32, v49
	s_delay_alu instid0(VALU_DEP_1) | instskip(NEXT) | instid1(VALU_DEP_1)
	v_subrev_nc_u32_e32 v49, 28, v51
	v_lshlrev_b64_e32 v[49:50], v49, v[1:2]
	v_sub_nc_u32_e32 v50, 29, v51
	s_delay_alu instid0(VALU_DEP_2)
	v_and_b32_e32 v49, 7, v49
; %bb.1010:                             ;   in Loop: Header=BB266_525 Depth=1
	s_wait_alu 0xfffe
	s_or_b32 exec_lo, exec_lo, s29
	v_lshlrev_b32_e32 v1, 8, v1
	v_lshl_add_u32 v50, v50, 10, 0x2000
	v_lshlrev_b32_e32 v49, 7, v49
	s_delay_alu instid0(VALU_DEP_3) | instskip(NEXT) | instid1(VALU_DEP_3)
	v_and_b32_e32 v1, 0x8000, v1
	v_and_b32_e32 v50, 0xfc00, v50
	s_delay_alu instid0(VALU_DEP_1)
	v_or3_b32 v49, v1, v50, v49
.LBB266_1011:                           ;   in Loop: Header=BB266_525 Depth=1
	s_wait_alu 0xfffe
	s_or_b32 exec_lo, exec_lo, s28
.LBB266_1012:                           ;   in Loop: Header=BB266_525 Depth=1
	s_delay_alu instid0(SALU_CYCLE_1)
	s_or_b32 exec_lo, exec_lo, s27
.LBB266_1013:                           ;   in Loop: Header=BB266_525 Depth=1
	s_delay_alu instid0(SALU_CYCLE_1) | instskip(NEXT) | instid1(SALU_CYCLE_1)
	s_or_b32 exec_lo, exec_lo, s26
	s_mov_b32 s26, exec_lo
	v_cmpx_lt_u32_e32 0xffffff, v5
	s_cbranch_execz .LBB266_1021
; %bb.1014:                             ;   in Loop: Header=BB266_525 Depth=1
	v_lshrrev_b32_e32 v1, 24, v5
	v_bfrev_b32_e32 v48, 1
	s_mov_b32 s27, exec_lo
	s_delay_alu instid0(VALU_DEP_2)
	v_cmpx_ne_u32_e32 0x80, v1
	s_cbranch_execz .LBB266_1020
; %bb.1015:                             ;   in Loop: Header=BB266_525 Depth=1
	v_and_b32_e32 v51, 0x7f, v1
	v_mov_b32_e32 v48, 0x7c010000
	s_mov_b32 s28, exec_lo
	s_delay_alu instid0(VALU_DEP_2)
	v_cmpx_ne_u32_e32 0x7f, v51
	s_cbranch_execz .LBB266_1019
; %bb.1016:                             ;   in Loop: Header=BB266_525 Depth=1
	v_and_b32_e32 v48, 7, v1
	v_lshrrev_b32_e32 v50, 3, v51
	s_mov_b32 s29, exec_lo
	v_cmpx_gt_u32_e32 8, v51
; %bb.1017:                             ;   in Loop: Header=BB266_525 Depth=1
	s_delay_alu instid0(VALU_DEP_3) | instskip(NEXT) | instid1(VALU_DEP_1)
	v_clz_i32_u32_e32 v48, v48
	v_min_u32_e32 v48, 32, v48
	s_delay_alu instid0(VALU_DEP_1) | instskip(NEXT) | instid1(VALU_DEP_1)
	v_subrev_nc_u32_e32 v50, 28, v48
	v_lshlrev_b64_e32 v[51:52], v50, v[1:2]
	v_sub_nc_u32_e32 v50, 29, v48
	s_delay_alu instid0(VALU_DEP_2)
	v_and_b32_e32 v48, 7, v51
; %bb.1018:                             ;   in Loop: Header=BB266_525 Depth=1
	s_wait_alu 0xfffe
	s_or_b32 exec_lo, exec_lo, s29
	v_lshlrev_b32_e32 v1, 8, v1
	v_lshl_add_u32 v50, v50, 10, 0x2000
	v_lshlrev_b32_e32 v48, 23, v48
	s_delay_alu instid0(VALU_DEP_2) | instskip(NEXT) | instid1(VALU_DEP_1)
	v_and_or_b32 v1, 0x8000, v1, v50
	v_lshl_or_b32 v48, v1, 16, v48
.LBB266_1019:                           ;   in Loop: Header=BB266_525 Depth=1
	s_wait_alu 0xfffe
	s_or_b32 exec_lo, exec_lo, s28
.LBB266_1020:                           ;   in Loop: Header=BB266_525 Depth=1
	s_delay_alu instid0(SALU_CYCLE_1)
	s_or_b32 exec_lo, exec_lo, s27
.LBB266_1021:                           ;   in Loop: Header=BB266_525 Depth=1
	s_delay_alu instid0(SALU_CYCLE_1) | instskip(SKIP_3) | instid1(VALU_DEP_2)
	s_or_b32 exec_lo, exec_lo, s26
	v_dual_mov_b32 v1, v6 :: v_dual_and_b32 v52, 0xff, v6
	v_dual_mov_b32 v50, 0 :: v_dual_mov_b32 v51, 0
	s_mov_b32 s26, exec_lo
	v_cmpx_ne_u16_e32 0, v52
	s_cbranch_execz .LBB266_1029
; %bb.1022:                             ;   in Loop: Header=BB266_525 Depth=1
	v_mov_b32_e32 v51, 0x8000
	s_mov_b32 s27, exec_lo
	v_cmpx_ne_u16_e32 0x80, v52
	s_cbranch_execz .LBB266_1028
; %bb.1023:                             ;   in Loop: Header=BB266_525 Depth=1
	v_and_b32_e32 v53, 0x7f, v6
	v_mov_b32_e32 v51, 0x7c01
	s_mov_b32 s28, exec_lo
	s_delay_alu instid0(VALU_DEP_2)
	v_cmpx_ne_u32_e32 0x7f, v53
	s_cbranch_execz .LBB266_1027
; %bb.1024:                             ;   in Loop: Header=BB266_525 Depth=1
	v_and_b32_e32 v51, 7, v6
	v_lshrrev_b32_e32 v52, 3, v53
	s_mov_b32 s29, exec_lo
	v_cmpx_gt_u32_e32 8, v53
; %bb.1025:                             ;   in Loop: Header=BB266_525 Depth=1
	s_delay_alu instid0(VALU_DEP_3) | instskip(NEXT) | instid1(VALU_DEP_1)
	v_clz_i32_u32_e32 v51, v51
	v_min_u32_e32 v53, 32, v51
	s_delay_alu instid0(VALU_DEP_1) | instskip(NEXT) | instid1(VALU_DEP_1)
	v_subrev_nc_u32_e32 v51, 28, v53
	v_lshlrev_b64_e32 v[51:52], v51, v[1:2]
	v_sub_nc_u32_e32 v52, 29, v53
	s_delay_alu instid0(VALU_DEP_2)
	v_and_b32_e32 v51, 7, v51
; %bb.1026:                             ;   in Loop: Header=BB266_525 Depth=1
	s_wait_alu 0xfffe
	s_or_b32 exec_lo, exec_lo, s29
	v_lshlrev_b32_e32 v53, 8, v6
	v_lshl_add_u32 v52, v52, 10, 0x2000
	v_lshlrev_b32_e32 v51, 7, v51
	s_delay_alu instid0(VALU_DEP_3) | instskip(NEXT) | instid1(VALU_DEP_3)
	v_and_b32_e32 v53, 0x8000, v53
	v_and_b32_e32 v52, 0xfc00, v52
	s_delay_alu instid0(VALU_DEP_1)
	v_or3_b32 v51, v53, v52, v51
.LBB266_1027:                           ;   in Loop: Header=BB266_525 Depth=1
	s_wait_alu 0xfffe
	s_or_b32 exec_lo, exec_lo, s28
.LBB266_1028:                           ;   in Loop: Header=BB266_525 Depth=1
	s_delay_alu instid0(SALU_CYCLE_1)
	s_or_b32 exec_lo, exec_lo, s27
.LBB266_1029:                           ;   in Loop: Header=BB266_525 Depth=1
	s_delay_alu instid0(SALU_CYCLE_1) | instskip(SKIP_3) | instid1(VALU_DEP_2)
	s_or_b32 exec_lo, exec_lo, s26
	v_lshrrev_b16 v1, 8, v1
	v_mov_b32_e32 v52, 0
	s_mov_b32 s26, exec_lo
	v_cmpx_ne_u16_e32 0, v1
	s_cbranch_execz .LBB266_1037
; %bb.1030:                             ;   in Loop: Header=BB266_525 Depth=1
	v_bfrev_b32_e32 v52, 1
	s_mov_b32 s27, exec_lo
	v_cmpx_ne_u16_e32 0x80, v1
	s_cbranch_execz .LBB266_1036
; %bb.1031:                             ;   in Loop: Header=BB266_525 Depth=1
	v_and_b32_e32 v53, 0xffff, v1
	v_mov_b32_e32 v52, 0x7c010000
	s_mov_b32 s28, exec_lo
	s_delay_alu instid0(VALU_DEP_2) | instskip(NEXT) | instid1(VALU_DEP_1)
	v_and_b32_e32 v55, 0x7f, v53
	v_cmpx_ne_u32_e32 0x7f, v55
	s_cbranch_execz .LBB266_1035
; %bb.1032:                             ;   in Loop: Header=BB266_525 Depth=1
	v_and_b32_e32 v52, 7, v53
	v_lshrrev_b32_e32 v54, 3, v55
	s_mov_b32 s29, exec_lo
	v_cmpx_gt_u32_e32 8, v55
; %bb.1033:                             ;   in Loop: Header=BB266_525 Depth=1
	s_delay_alu instid0(VALU_DEP_3) | instskip(NEXT) | instid1(VALU_DEP_1)
	v_clz_i32_u32_e32 v52, v52
	v_min_u32_e32 v52, 32, v52
	s_delay_alu instid0(VALU_DEP_1) | instskip(NEXT) | instid1(VALU_DEP_1)
	v_subrev_nc_u32_e32 v54, 28, v52
	v_lshlrev_b64_e32 v[55:56], v54, v[1:2]
	v_sub_nc_u32_e32 v54, 29, v52
	s_delay_alu instid0(VALU_DEP_2)
	v_and_b32_e32 v52, 7, v55
; %bb.1034:                             ;   in Loop: Header=BB266_525 Depth=1
	s_wait_alu 0xfffe
	s_or_b32 exec_lo, exec_lo, s29
	v_lshlrev_b32_e32 v1, 8, v53
	v_lshl_add_u32 v53, v54, 10, 0x2000
	v_lshlrev_b32_e32 v52, 23, v52
	s_delay_alu instid0(VALU_DEP_2) | instskip(NEXT) | instid1(VALU_DEP_1)
	v_and_or_b32 v1, 0x8000, v1, v53
	v_lshl_or_b32 v52, v1, 16, v52
.LBB266_1035:                           ;   in Loop: Header=BB266_525 Depth=1
	s_wait_alu 0xfffe
	s_or_b32 exec_lo, exec_lo, s28
.LBB266_1036:                           ;   in Loop: Header=BB266_525 Depth=1
	s_delay_alu instid0(SALU_CYCLE_1)
	s_or_b32 exec_lo, exec_lo, s27
.LBB266_1037:                           ;   in Loop: Header=BB266_525 Depth=1
	s_delay_alu instid0(SALU_CYCLE_1) | instskip(SKIP_2) | instid1(VALU_DEP_1)
	s_or_b32 exec_lo, exec_lo, s26
	v_lshrrev_b32_e32 v1, 16, v6
	s_mov_b32 s26, exec_lo
	v_and_b32_e32 v53, 0xff, v1
	s_delay_alu instid0(VALU_DEP_1)
	v_cmpx_ne_u16_e32 0, v53
	s_cbranch_execz .LBB266_1045
; %bb.1038:                             ;   in Loop: Header=BB266_525 Depth=1
	v_mov_b32_e32 v50, 0x8000
	s_mov_b32 s27, exec_lo
	v_cmpx_ne_u16_e32 0x80, v53
	s_cbranch_execz .LBB266_1044
; %bb.1039:                             ;   in Loop: Header=BB266_525 Depth=1
	v_bfe_u32 v54, v6, 16, 7
	v_mov_b32_e32 v50, 0x7c01
	s_mov_b32 s28, exec_lo
	s_delay_alu instid0(VALU_DEP_2)
	v_cmpx_ne_u32_e32 0x7f, v54
	s_cbranch_execz .LBB266_1043
; %bb.1040:                             ;   in Loop: Header=BB266_525 Depth=1
	v_and_b32_e32 v50, 7, v1
	v_lshrrev_b32_e32 v53, 3, v54
	s_mov_b32 s29, exec_lo
	v_cmpx_gt_u32_e32 8, v54
; %bb.1041:                             ;   in Loop: Header=BB266_525 Depth=1
	s_delay_alu instid0(VALU_DEP_3) | instskip(NEXT) | instid1(VALU_DEP_1)
	v_clz_i32_u32_e32 v50, v50
	v_min_u32_e32 v50, 32, v50
	s_delay_alu instid0(VALU_DEP_1) | instskip(NEXT) | instid1(VALU_DEP_1)
	v_subrev_nc_u32_e32 v53, 28, v50
	v_lshlrev_b64_e32 v[54:55], v53, v[1:2]
	v_sub_nc_u32_e32 v53, 29, v50
	s_delay_alu instid0(VALU_DEP_2)
	v_and_b32_e32 v50, 7, v54
; %bb.1042:                             ;   in Loop: Header=BB266_525 Depth=1
	s_wait_alu 0xfffe
	s_or_b32 exec_lo, exec_lo, s29
	v_lshlrev_b32_e32 v1, 8, v1
	v_lshl_add_u32 v53, v53, 10, 0x2000
	v_lshlrev_b32_e32 v50, 7, v50
	s_delay_alu instid0(VALU_DEP_3) | instskip(NEXT) | instid1(VALU_DEP_3)
	v_and_b32_e32 v1, 0x8000, v1
	v_and_b32_e32 v53, 0xfc00, v53
	s_delay_alu instid0(VALU_DEP_1)
	v_or3_b32 v50, v1, v53, v50
.LBB266_1043:                           ;   in Loop: Header=BB266_525 Depth=1
	s_wait_alu 0xfffe
	s_or_b32 exec_lo, exec_lo, s28
.LBB266_1044:                           ;   in Loop: Header=BB266_525 Depth=1
	s_delay_alu instid0(SALU_CYCLE_1)
	s_or_b32 exec_lo, exec_lo, s27
.LBB266_1045:                           ;   in Loop: Header=BB266_525 Depth=1
	s_delay_alu instid0(SALU_CYCLE_1)
	s_or_b32 exec_lo, exec_lo, s26
	v_cmp_lt_u64_e64 s1, s[2:3], v[5:6]
	v_mov_b32_e32 v5, 0
	s_and_saveexec_b32 s26, s1
	s_cbranch_execz .LBB266_1053
; %bb.1046:                             ;   in Loop: Header=BB266_525 Depth=1
	v_lshrrev_b32_e32 v1, 24, v6
	v_bfrev_b32_e32 v5, 1
	s_mov_b32 s27, exec_lo
	s_delay_alu instid0(VALU_DEP_2)
	v_cmpx_ne_u32_e32 0x80, v1
	s_cbranch_execz .LBB266_1052
; %bb.1047:                             ;   in Loop: Header=BB266_525 Depth=1
	v_and_b32_e32 v53, 0x7f, v1
	v_mov_b32_e32 v5, 0x7c010000
	s_mov_b32 s28, exec_lo
	s_delay_alu instid0(VALU_DEP_2)
	v_cmpx_ne_u32_e32 0x7f, v53
	s_cbranch_execz .LBB266_1051
; %bb.1048:                             ;   in Loop: Header=BB266_525 Depth=1
	v_and_b32_e32 v5, 7, v1
	v_lshrrev_b32_e32 v6, 3, v53
	s_mov_b32 s29, exec_lo
	v_cmpx_gt_u32_e32 8, v53
; %bb.1049:                             ;   in Loop: Header=BB266_525 Depth=1
	s_delay_alu instid0(VALU_DEP_3) | instskip(NEXT) | instid1(VALU_DEP_1)
	v_clz_i32_u32_e32 v5, v5
	v_min_u32_e32 v53, 32, v5
	s_delay_alu instid0(VALU_DEP_1) | instskip(NEXT) | instid1(VALU_DEP_1)
	v_subrev_nc_u32_e32 v5, 28, v53
	v_lshlrev_b64_e32 v[5:6], v5, v[1:2]
	v_sub_nc_u32_e32 v6, 29, v53
	s_delay_alu instid0(VALU_DEP_2)
	v_and_b32_e32 v5, 7, v5
; %bb.1050:                             ;   in Loop: Header=BB266_525 Depth=1
	s_wait_alu 0xfffe
	s_or_b32 exec_lo, exec_lo, s29
	v_lshlrev_b32_e32 v1, 8, v1
	v_lshl_add_u32 v6, v6, 10, 0x2000
	v_lshlrev_b32_e32 v5, 23, v5
	s_delay_alu instid0(VALU_DEP_2) | instskip(NEXT) | instid1(VALU_DEP_1)
	v_and_or_b32 v1, 0x8000, v1, v6
	v_lshl_or_b32 v5, v1, 16, v5
.LBB266_1051:                           ;   in Loop: Header=BB266_525 Depth=1
	s_wait_alu 0xfffe
	s_or_b32 exec_lo, exec_lo, s28
.LBB266_1052:                           ;   in Loop: Header=BB266_525 Depth=1
	s_delay_alu instid0(SALU_CYCLE_1)
	s_or_b32 exec_lo, exec_lo, s27
.LBB266_1053:                           ;   in Loop: Header=BB266_525 Depth=1
	s_delay_alu instid0(SALU_CYCLE_1)
	s_or_b32 exec_lo, exec_lo, s26
	v_or_b32_e32 v1, v48, v49
	s_wait_loadcnt 0x0
	v_fma_mixlo_f16 v6, v45, v48, 0 op_sel:[0,1,0] op_sel_hi:[0,1,0]
	v_or_b32_e32 v47, v46, v47
	v_or_b32_e32 v49, v52, v51
	;; [unrolled: 1-line block ×3, first 2 shown]
	v_fma_mixlo_f16 v1, v45, v1, 0 op_sel_hi:[0,1,0]
	v_fma_mixlo_f16 v48, v45, v46, 0 op_sel:[0,1,0] op_sel_hi:[0,1,0]
	v_lshlrev_b32_e32 v46, 16, v6
	v_fma_mixlo_f16 v6, v45, v47, 0 op_sel_hi:[0,1,0]
	v_fma_mixlo_f16 v49, v45, v49, 0 op_sel_hi:[0,1,0]
	v_and_b32_e32 v47, 0xffff, v1
	v_fma_mixlo_f16 v1, v45, v52, 0 op_sel:[0,1,0] op_sel_hi:[0,1,0]
	v_fma_mixlo_f16 v51, v45, v5, 0 op_sel:[0,1,0] op_sel_hi:[0,1,0]
	v_fma_mixlo_f16 v50, v45, v50, 0 op_sel_hi:[0,1,0]
	v_lshlrev_b32_e32 v48, 16, v48
	v_and_b32_e32 v53, 0xffff, v6
	v_lshlrev_b32_e32 v5, 16, v1
	v_and_b32_e32 v45, 0xffff, v49
	;; [unrolled: 2-line block ×3, first 2 shown]
	v_or_b32_e32 v51, v46, v47
	v_or_b32_e32 v52, v48, v53
	;; [unrolled: 1-line block ×3, first 2 shown]
	s_delay_alu instid0(VALU_DEP_4)
	v_or_b32_e32 v49, v1, v6
	s_and_saveexec_b32 s1, s0
	s_cbranch_execz .LBB266_522
; %bb.1054:                             ;   in Loop: Header=BB266_525 Depth=1
	v_add_nc_u32_e32 v49, 1, v30
	v_cmp_gt_i32_e64 s0, s34, v30
	v_add_nc_u32_e32 v50, 2, v30
	v_add_nc_u32_e32 v52, 3, v30
	s_wait_alu 0xf1ff
	s_delay_alu instid0(VALU_DEP_3) | instskip(SKIP_3) | instid1(VALU_DEP_2)
	v_cndmask_b32_e64 v51, 0, v53, s0
	v_cmp_gt_i32_e64 s0, s34, v49
	v_add_nc_u32_e32 v49, 4, v30
	s_wait_alu 0xf1ff
	v_cndmask_b32_e64 v48, 0, v48, s0
	v_cmp_gt_i32_e64 s0, s34, v50
	v_add_nc_u32_e32 v50, 5, v30
	s_wait_alu 0xf1ff
	s_delay_alu instid0(VALU_DEP_2) | instskip(SKIP_4) | instid1(VALU_DEP_3)
	v_cndmask_b32_e64 v47, 0, v47, s0
	v_cmp_gt_i32_e64 s0, s34, v52
	v_add_nc_u32_e32 v52, 6, v30
	v_add_nc_u32_e32 v30, 7, v30
	s_wait_alu 0xf1ff
	v_cndmask_b32_e64 v46, 0, v46, s0
	v_cmp_gt_i32_e64 s0, s34, v49
	s_wait_alu 0xf1ff
	s_delay_alu instid0(VALU_DEP_1) | instskip(SKIP_2) | instid1(VALU_DEP_1)
	v_cndmask_b32_e64 v45, 0, v45, s0
	v_cmp_gt_i32_e64 s0, s34, v50
	s_wait_alu 0xf1ff
	v_cndmask_b32_e64 v5, 0, v5, s0
	v_cmp_gt_i32_e64 s0, s34, v52
	v_or_b32_e32 v52, v48, v51
	v_or_b32_e32 v51, v46, v47
	s_delay_alu instid0(VALU_DEP_4) | instskip(SKIP_4) | instid1(VALU_DEP_1)
	v_or_b32_e32 v50, v5, v45
	s_wait_alu 0xf1ff
	v_cndmask_b32_e64 v6, 0, v6, s0
	v_cmp_gt_i32_e64 s0, s34, v30
	s_wait_alu 0xf1ff
	v_cndmask_b32_e64 v1, 0, v1, s0
	s_delay_alu instid0(VALU_DEP_1)
	v_or_b32_e32 v49, v1, v6
	s_branch .LBB266_522
.LBB266_1055:
	s_or_b32 exec_lo, exec_lo, s17
.LBB266_1056:
	s_delay_alu instid0(SALU_CYCLE_1)
	s_or_b32 exec_lo, exec_lo, s6
	ds_bpermute_b32 v1, v17, v26
	ds_bpermute_b32 v2, v17, v25
	;; [unrolled: 1-line block ×8, first 2 shown]
	s_movk_i32 s0, 0x1e0
	v_cmp_eq_u32_e32 vcc_lo, 0, v12
	v_and_b32_e32 v12, 0x3c0, v0
	s_wait_alu 0xfffe
	v_mad_u32_u24 v9, v13, s0, 0x110
	s_mov_b32 s1, exec_lo
	s_wait_storecnt 0x0
	s_wait_loadcnt_dscnt 0x0
	s_barrier_signal -1
	s_barrier_wait -1
	global_inv scope:SCOPE_SE
	v_dual_add_f32 v8, v26, v1 :: v_dual_add_f32 v7, v25, v2
	v_dual_add_f32 v6, v24, v3 :: v_dual_add_f32 v5, v23, v4
	v_add_f32_e32 v4, v22, v10
	v_dual_add_f32 v3, v21, v14 :: v_dual_add_f32 v2, v20, v15
	v_add_f32_e32 v1, v19, v17
	v_cmpx_eq_u32_e32 64, v12
	s_cbranch_execz .LBB266_1061
; %bb.1057:
	v_add_nc_u32_e32 v10, 0xfffffc40, v9
	s_and_saveexec_b32 s0, vcc_lo
	s_cbranch_execz .LBB266_1059
; %bb.1058:
	s_delay_alu instid0(VALU_DEP_1)
	v_lshl_add_u32 v12, v16, 2, v10
	ds_store_2addr_b32 v12, v8, v7 offset1:16
	ds_store_2addr_b32 v12, v6, v5 offset0:32 offset1:48
	ds_store_2addr_b32 v12, v4, v3 offset0:64 offset1:80
	ds_store_b32 v12, v2 offset:384
.LBB266_1059:
	s_wait_alu 0xfffe
	s_or_b32 exec_lo, exec_lo, s0
	v_or_b32_e32 v12, 0x70, v16
	s_delay_alu instid0(VALU_DEP_1)
	v_cmp_gt_u32_e64 s0, 0x78, v12
	s_and_b32 s0, vcc_lo, s0
	s_wait_alu 0xfffe
	s_and_b32 exec_lo, exec_lo, s0
; %bb.1060:
	v_lshl_add_u32 v10, v12, 2, v10
	ds_store_b32 v10, v1
.LBB266_1061:
	s_wait_alu 0xfffe
	s_or_b32 exec_lo, exec_lo, s1
	s_delay_alu instid0(SALU_CYCLE_1)
	s_mov_b32 s1, exec_lo
	s_wait_loadcnt_dscnt 0x0
	s_barrier_signal -1
	s_barrier_wait -1
	global_inv scope:SCOPE_SE
	v_cmpx_gt_u32_e32 64, v0
	s_cbranch_execz .LBB266_1073
; %bb.1062:
	s_and_saveexec_b32 s0, vcc_lo
	s_cbranch_execnz .LBB266_1108
; %bb.1063:
	s_wait_alu 0xfffe
	s_or_b32 exec_lo, exec_lo, s0
	s_and_saveexec_b32 s0, vcc_lo
	s_cbranch_execnz .LBB266_1109
.LBB266_1064:
	s_wait_alu 0xfffe
	s_or_b32 exec_lo, exec_lo, s0
	s_and_saveexec_b32 s0, vcc_lo
	s_cbranch_execnz .LBB266_1110
.LBB266_1065:
	s_wait_alu 0xfffe
	s_or_b32 exec_lo, exec_lo, s0
	s_and_saveexec_b32 s0, vcc_lo
	s_cbranch_execnz .LBB266_1111
.LBB266_1066:
	s_wait_alu 0xfffe
	s_or_b32 exec_lo, exec_lo, s0
	s_and_saveexec_b32 s0, vcc_lo
	s_cbranch_execnz .LBB266_1112
.LBB266_1067:
	s_wait_alu 0xfffe
	s_or_b32 exec_lo, exec_lo, s0
	s_and_saveexec_b32 s0, vcc_lo
	s_cbranch_execnz .LBB266_1113
.LBB266_1068:
	s_wait_alu 0xfffe
	s_or_b32 exec_lo, exec_lo, s0
	s_and_saveexec_b32 s0, vcc_lo
	s_cbranch_execz .LBB266_1070
.LBB266_1069:
	v_lshl_add_u32 v10, v16, 2, v9
	ds_load_b32 v10, v10 offset:384
	s_wait_dscnt 0x0
	v_add_f32_e32 v2, v2, v10
.LBB266_1070:
	s_wait_alu 0xfffe
	s_or_b32 exec_lo, exec_lo, s0
	v_or_b32_e32 v10, 0x70, v16
	s_delay_alu instid0(VALU_DEP_1)
	v_cmp_gt_u32_e64 s0, 0x78, v10
	s_and_b32 s2, vcc_lo, s0
	s_wait_alu 0xfffe
	s_and_saveexec_b32 s0, s2
	s_cbranch_execz .LBB266_1072
; %bb.1071:
	v_lshl_add_u32 v10, v16, 2, v9
	ds_load_b32 v10, v10 offset:448
	s_wait_dscnt 0x0
	v_add_f32_e32 v1, v1, v10
.LBB266_1072:
	s_wait_alu 0xfffe
	s_or_b32 exec_lo, exec_lo, s0
.LBB266_1073:
	s_wait_alu 0xfffe
	s_or_b32 exec_lo, exec_lo, s1
	v_and_b32_e32 v10, 0x3e0, v0
	s_mov_b32 s1, exec_lo
	s_wait_loadcnt 0x0
	s_barrier_signal -1
	s_barrier_wait -1
	global_inv scope:SCOPE_SE
	v_cmpx_eq_u32_e32 32, v10
	s_cbranch_execz .LBB266_1078
; %bb.1074:
	v_lshl_add_u32 v10, v16, 2, 0x110
	s_and_saveexec_b32 s0, vcc_lo
	s_cbranch_execz .LBB266_1076
; %bb.1075:
	ds_store_2addr_b32 v10, v8, v7 offset1:16
	ds_store_2addr_b32 v10, v6, v5 offset0:32 offset1:48
	ds_store_2addr_b32 v10, v4, v3 offset0:64 offset1:80
	ds_store_b32 v10, v2 offset:384
.LBB266_1076:
	s_wait_alu 0xfffe
	s_or_b32 exec_lo, exec_lo, s0
	v_or_b32_e32 v12, 0x70, v16
	s_delay_alu instid0(VALU_DEP_1)
	v_cmp_gt_u32_e64 s0, 0x78, v12
	s_and_b32 s0, vcc_lo, s0
	s_wait_alu 0xfffe
	s_and_b32 exec_lo, exec_lo, s0
; %bb.1077:
	ds_store_b32 v10, v1 offset:448
.LBB266_1078:
	s_wait_alu 0xfffe
	s_or_b32 exec_lo, exec_lo, s1
	v_cmp_gt_u32_e64 s0, 32, v0
	s_wait_loadcnt_dscnt 0x0
	s_barrier_signal -1
	s_barrier_wait -1
	global_inv scope:SCOPE_SE
	s_and_saveexec_b32 s2, s0
	s_cbranch_execz .LBB266_1090
; %bb.1079:
	v_lshl_add_u32 v0, v16, 2, v9
	s_and_saveexec_b32 s1, vcc_lo
	s_cbranch_execnz .LBB266_1114
; %bb.1080:
	s_wait_alu 0xfffe
	s_or_b32 exec_lo, exec_lo, s1
	s_and_saveexec_b32 s1, vcc_lo
	s_cbranch_execnz .LBB266_1115
.LBB266_1081:
	s_wait_alu 0xfffe
	s_or_b32 exec_lo, exec_lo, s1
	s_and_saveexec_b32 s1, vcc_lo
	s_cbranch_execnz .LBB266_1116
.LBB266_1082:
	s_wait_alu 0xfffe
	s_or_b32 exec_lo, exec_lo, s1
	s_and_saveexec_b32 s1, vcc_lo
	s_cbranch_execnz .LBB266_1117
.LBB266_1083:
	s_wait_alu 0xfffe
	s_or_b32 exec_lo, exec_lo, s1
	s_and_saveexec_b32 s1, vcc_lo
	s_cbranch_execnz .LBB266_1118
.LBB266_1084:
	s_wait_alu 0xfffe
	s_or_b32 exec_lo, exec_lo, s1
	s_and_saveexec_b32 s1, vcc_lo
	s_cbranch_execnz .LBB266_1119
.LBB266_1085:
	s_wait_alu 0xfffe
	s_or_b32 exec_lo, exec_lo, s1
	s_and_saveexec_b32 s1, vcc_lo
	s_cbranch_execz .LBB266_1087
.LBB266_1086:
	ds_load_b32 v9, v0 offset:384
	s_wait_dscnt 0x0
	v_add_f32_e32 v2, v2, v9
.LBB266_1087:
	s_wait_alu 0xfffe
	s_or_b32 exec_lo, exec_lo, s1
	v_or_b32_e32 v9, 0x70, v16
	s_delay_alu instid0(VALU_DEP_1)
	v_cmp_gt_u32_e64 s1, 0x78, v9
	s_and_b32 s3, vcc_lo, s1
	s_wait_alu 0xfffe
	s_and_saveexec_b32 s1, s3
	s_cbranch_execz .LBB266_1089
; %bb.1088:
	ds_load_b32 v0, v0 offset:448
	s_wait_dscnt 0x0
	v_add_f32_e32 v1, v1, v0
.LBB266_1089:
	s_wait_alu 0xfffe
	s_or_b32 exec_lo, exec_lo, s1
.LBB266_1090:
	s_wait_alu 0xfffe
	s_or_b32 exec_lo, exec_lo, s2
	s_wait_loadcnt 0x0
	s_barrier_signal -1
	s_barrier_wait -1
	global_inv scope:SCOPE_SE
	s_and_saveexec_b32 s1, s0
	s_cbranch_execz .LBB266_1107
; %bb.1091:
	s_mul_i32 s0, s18, 0x78
	s_mul_i32 s2, s12, s20
	s_wait_alu 0xfffe
	s_ashr_i32 s1, s0, 31
	s_ashr_i32 s3, s2, 31
	s_wait_alu 0xfffe
	s_lshl_b64 s[0:1], s[0:1], 1
	s_lshl_b64 s[2:3], s[2:3], 1
	s_wait_alu 0xfffe
	s_add_nc_u64 s[0:1], s[8:9], s[0:1]
	v_lshlrev_b32_e32 v0, 1, v11
	s_mul_i32 s4, s33, 0xf0
	s_wait_alu 0xfffe
	s_add_nc_u64 s[0:1], s[0:1], s[2:3]
	s_mov_b32 s5, 0
	s_wait_alu 0xfffe
	s_add_nc_u64 s[2:3], s[0:1], s[4:5]
	s_and_saveexec_b32 s0, vcc_lo
	s_cbranch_execz .LBB266_1093
; %bb.1092:
	;;#ASMSTART
	v_cvt_f16_f32 v8, v8;

	;;#ASMEND
	global_store_b16 v0, v8, s[2:3]
.LBB266_1093:
	s_wait_alu 0xfffe
	s_or_b32 exec_lo, exec_lo, s0
	v_or_b32_e32 v8, 16, v11
	s_delay_alu instid0(VALU_DEP_1)
	v_cmp_gt_u32_e64 s0, 0x78, v8
	s_and_b32 s1, vcc_lo, s0
	s_wait_alu 0xfffe
	s_and_saveexec_b32 s0, s1
	s_cbranch_execz .LBB266_1095
; %bb.1094:
	;;#ASMSTART
	v_cvt_f16_f32 v7, v7;

	;;#ASMEND
	global_store_b16 v0, v7, s[2:3] offset:32
.LBB266_1095:
	s_wait_alu 0xfffe
	s_or_b32 exec_lo, exec_lo, s0
	v_or_b32_e32 v7, 32, v11
	s_delay_alu instid0(VALU_DEP_1)
	v_cmp_gt_u32_e64 s0, 0x78, v7
	s_and_b32 s1, vcc_lo, s0
	s_wait_alu 0xfffe
	s_and_saveexec_b32 s0, s1
	s_cbranch_execz .LBB266_1097
; %bb.1096:
	;;#ASMSTART
	v_cvt_f16_f32 v6, v6;

	;;#ASMEND
	global_store_b16 v0, v6, s[2:3] offset:64
.LBB266_1097:
	;; [unrolled: 16-line block ×6, first 2 shown]
	s_wait_alu 0xfffe
	s_or_b32 exec_lo, exec_lo, s0
	v_or_b32_e32 v2, 0x70, v11
	s_delay_alu instid0(VALU_DEP_1)
	v_cmp_gt_u32_e64 s0, 0x78, v2
	s_and_b32 s0, vcc_lo, s0
	s_wait_alu 0xfffe
	s_and_b32 exec_lo, exec_lo, s0
	s_cbranch_execz .LBB266_1107
; %bb.1106:
	;;#ASMSTART
	v_cvt_f16_f32 v1, v1;

	;;#ASMEND
	global_store_b16 v0, v1, s[2:3] offset:224
.LBB266_1107:
	s_nop 0
	s_sendmsg sendmsg(MSG_DEALLOC_VGPRS)
	s_endpgm
.LBB266_1108:
	v_lshl_add_u32 v10, v16, 2, v9
	ds_load_b32 v10, v10
	s_wait_dscnt 0x0
	v_add_f32_e32 v8, v8, v10
	s_wait_alu 0xfffe
	s_or_b32 exec_lo, exec_lo, s0
	s_and_saveexec_b32 s0, vcc_lo
	s_cbranch_execz .LBB266_1064
.LBB266_1109:
	v_lshl_add_u32 v10, v16, 2, v9
	ds_load_b32 v10, v10 offset:64
	s_wait_dscnt 0x0
	v_add_f32_e32 v7, v7, v10
	s_wait_alu 0xfffe
	s_or_b32 exec_lo, exec_lo, s0
	s_and_saveexec_b32 s0, vcc_lo
	s_cbranch_execz .LBB266_1065
.LBB266_1110:
	v_lshl_add_u32 v10, v16, 2, v9
	ds_load_b32 v10, v10 offset:128
	s_wait_dscnt 0x0
	v_add_f32_e32 v6, v6, v10
	s_wait_alu 0xfffe
	s_or_b32 exec_lo, exec_lo, s0
	s_and_saveexec_b32 s0, vcc_lo
	s_cbranch_execz .LBB266_1066
.LBB266_1111:
	v_lshl_add_u32 v10, v16, 2, v9
	ds_load_b32 v10, v10 offset:192
	s_wait_dscnt 0x0
	v_add_f32_e32 v5, v5, v10
	s_wait_alu 0xfffe
	s_or_b32 exec_lo, exec_lo, s0
	s_and_saveexec_b32 s0, vcc_lo
	s_cbranch_execz .LBB266_1067
.LBB266_1112:
	v_lshl_add_u32 v10, v16, 2, v9
	ds_load_b32 v10, v10 offset:256
	s_wait_dscnt 0x0
	v_add_f32_e32 v4, v4, v10
	s_wait_alu 0xfffe
	s_or_b32 exec_lo, exec_lo, s0
	s_and_saveexec_b32 s0, vcc_lo
	s_cbranch_execz .LBB266_1068
.LBB266_1113:
	v_lshl_add_u32 v10, v16, 2, v9
	ds_load_b32 v10, v10 offset:320
	s_wait_dscnt 0x0
	v_add_f32_e32 v3, v3, v10
	s_wait_alu 0xfffe
	s_or_b32 exec_lo, exec_lo, s0
	s_and_saveexec_b32 s0, vcc_lo
	s_cbranch_execnz .LBB266_1069
	s_branch .LBB266_1070
.LBB266_1114:
	ds_load_b32 v9, v0
	s_wait_dscnt 0x0
	v_add_f32_e32 v8, v8, v9
	s_wait_alu 0xfffe
	s_or_b32 exec_lo, exec_lo, s1
	s_and_saveexec_b32 s1, vcc_lo
	s_cbranch_execz .LBB266_1081
.LBB266_1115:
	ds_load_b32 v9, v0 offset:64
	s_wait_dscnt 0x0
	v_add_f32_e32 v7, v7, v9
	s_wait_alu 0xfffe
	s_or_b32 exec_lo, exec_lo, s1
	s_and_saveexec_b32 s1, vcc_lo
	s_cbranch_execz .LBB266_1082
.LBB266_1116:
	ds_load_b32 v9, v0 offset:128
	s_wait_dscnt 0x0
	v_add_f32_e32 v6, v6, v9
	s_wait_alu 0xfffe
	s_or_b32 exec_lo, exec_lo, s1
	s_and_saveexec_b32 s1, vcc_lo
	s_cbranch_execz .LBB266_1083
.LBB266_1117:
	ds_load_b32 v9, v0 offset:192
	s_wait_dscnt 0x0
	v_add_f32_e32 v5, v5, v9
	s_wait_alu 0xfffe
	s_or_b32 exec_lo, exec_lo, s1
	s_and_saveexec_b32 s1, vcc_lo
	s_cbranch_execz .LBB266_1084
.LBB266_1118:
	ds_load_b32 v9, v0 offset:256
	s_wait_dscnt 0x0
	v_add_f32_e32 v4, v4, v9
	s_wait_alu 0xfffe
	s_or_b32 exec_lo, exec_lo, s1
	s_and_saveexec_b32 s1, vcc_lo
	s_cbranch_execz .LBB266_1085
.LBB266_1119:
	ds_load_b32 v9, v0 offset:320
	s_wait_dscnt 0x0
	v_add_f32_e32 v3, v3, v9
	s_wait_alu 0xfffe
	s_or_b32 exec_lo, exec_lo, s1
	s_and_saveexec_b32 s1, vcc_lo
	s_cbranch_execnz .LBB266_1086
	s_branch .LBB266_1087
	.section	.rodata,"a",@progbits
	.p2align	6, 0x0
	.amdhsa_kernel _ZN4vllm25paged_attention_v2_kernelIthLi120ELi16ELi128ELNS_18Fp8KVCacheDataTypeE1ELb1ELi512EEEvPfS2_PT_PKS3_PKT0_S9_ifPKiSB_iPKfiiiSD_SD_iiiii
		.amdhsa_group_segment_fixed_size 272
		.amdhsa_private_segment_fixed_size 0
		.amdhsa_kernarg_size 400
		.amdhsa_user_sgpr_count 2
		.amdhsa_user_sgpr_dispatch_ptr 0
		.amdhsa_user_sgpr_queue_ptr 0
		.amdhsa_user_sgpr_kernarg_segment_ptr 1
		.amdhsa_user_sgpr_dispatch_id 0
		.amdhsa_user_sgpr_private_segment_size 0
		.amdhsa_wavefront_size32 1
		.amdhsa_uses_dynamic_stack 0
		.amdhsa_enable_private_segment 0
		.amdhsa_system_sgpr_workgroup_id_x 1
		.amdhsa_system_sgpr_workgroup_id_y 1
		.amdhsa_system_sgpr_workgroup_id_z 1
		.amdhsa_system_sgpr_workgroup_info 0
		.amdhsa_system_vgpr_workitem_id 0
		.amdhsa_next_free_vgpr 133
		.amdhsa_next_free_sgpr 46
		.amdhsa_reserve_vcc 1
		.amdhsa_float_round_mode_32 0
		.amdhsa_float_round_mode_16_64 0
		.amdhsa_float_denorm_mode_32 3
		.amdhsa_float_denorm_mode_16_64 3
		.amdhsa_fp16_overflow 0
		.amdhsa_workgroup_processor_mode 1
		.amdhsa_memory_ordered 1
		.amdhsa_forward_progress 1
		.amdhsa_inst_pref_size 255
		.amdhsa_round_robin_scheduling 0
		.amdhsa_exception_fp_ieee_invalid_op 0
		.amdhsa_exception_fp_denorm_src 0
		.amdhsa_exception_fp_ieee_div_zero 0
		.amdhsa_exception_fp_ieee_overflow 0
		.amdhsa_exception_fp_ieee_underflow 0
		.amdhsa_exception_fp_ieee_inexact 0
		.amdhsa_exception_int_div_zero 0
	.end_amdhsa_kernel
	.section	.text._ZN4vllm25paged_attention_v2_kernelIthLi120ELi16ELi128ELNS_18Fp8KVCacheDataTypeE1ELb1ELi512EEEvPfS2_PT_PKS3_PKT0_S9_ifPKiSB_iPKfiiiSD_SD_iiiii,"axG",@progbits,_ZN4vllm25paged_attention_v2_kernelIthLi120ELi16ELi128ELNS_18Fp8KVCacheDataTypeE1ELb1ELi512EEEvPfS2_PT_PKS3_PKT0_S9_ifPKiSB_iPKfiiiSD_SD_iiiii,comdat
.Lfunc_end266:
	.size	_ZN4vllm25paged_attention_v2_kernelIthLi120ELi16ELi128ELNS_18Fp8KVCacheDataTypeE1ELb1ELi512EEEvPfS2_PT_PKS3_PKT0_S9_ifPKiSB_iPKfiiiSD_SD_iiiii, .Lfunc_end266-_ZN4vllm25paged_attention_v2_kernelIthLi120ELi16ELi128ELNS_18Fp8KVCacheDataTypeE1ELb1ELi512EEEvPfS2_PT_PKS3_PKT0_S9_ifPKiSB_iPKfiiiSD_SD_iiiii
                                        ; -- End function
	.set _ZN4vllm25paged_attention_v2_kernelIthLi120ELi16ELi128ELNS_18Fp8KVCacheDataTypeE1ELb1ELi512EEEvPfS2_PT_PKS3_PKT0_S9_ifPKiSB_iPKfiiiSD_SD_iiiii.num_vgpr, 133
	.set _ZN4vllm25paged_attention_v2_kernelIthLi120ELi16ELi128ELNS_18Fp8KVCacheDataTypeE1ELb1ELi512EEEvPfS2_PT_PKS3_PKT0_S9_ifPKiSB_iPKfiiiSD_SD_iiiii.num_agpr, 0
	.set _ZN4vllm25paged_attention_v2_kernelIthLi120ELi16ELi128ELNS_18Fp8KVCacheDataTypeE1ELb1ELi512EEEvPfS2_PT_PKS3_PKT0_S9_ifPKiSB_iPKfiiiSD_SD_iiiii.numbered_sgpr, 46
	.set _ZN4vllm25paged_attention_v2_kernelIthLi120ELi16ELi128ELNS_18Fp8KVCacheDataTypeE1ELb1ELi512EEEvPfS2_PT_PKS3_PKT0_S9_ifPKiSB_iPKfiiiSD_SD_iiiii.num_named_barrier, 0
	.set _ZN4vllm25paged_attention_v2_kernelIthLi120ELi16ELi128ELNS_18Fp8KVCacheDataTypeE1ELb1ELi512EEEvPfS2_PT_PKS3_PKT0_S9_ifPKiSB_iPKfiiiSD_SD_iiiii.private_seg_size, 0
	.set _ZN4vllm25paged_attention_v2_kernelIthLi120ELi16ELi128ELNS_18Fp8KVCacheDataTypeE1ELb1ELi512EEEvPfS2_PT_PKS3_PKT0_S9_ifPKiSB_iPKfiiiSD_SD_iiiii.uses_vcc, 1
	.set _ZN4vllm25paged_attention_v2_kernelIthLi120ELi16ELi128ELNS_18Fp8KVCacheDataTypeE1ELb1ELi512EEEvPfS2_PT_PKS3_PKT0_S9_ifPKiSB_iPKfiiiSD_SD_iiiii.uses_flat_scratch, 0
	.set _ZN4vllm25paged_attention_v2_kernelIthLi120ELi16ELi128ELNS_18Fp8KVCacheDataTypeE1ELb1ELi512EEEvPfS2_PT_PKS3_PKT0_S9_ifPKiSB_iPKfiiiSD_SD_iiiii.has_dyn_sized_stack, 0
	.set _ZN4vllm25paged_attention_v2_kernelIthLi120ELi16ELi128ELNS_18Fp8KVCacheDataTypeE1ELb1ELi512EEEvPfS2_PT_PKS3_PKT0_S9_ifPKiSB_iPKfiiiSD_SD_iiiii.has_recursion, 0
	.set _ZN4vllm25paged_attention_v2_kernelIthLi120ELi16ELi128ELNS_18Fp8KVCacheDataTypeE1ELb1ELi512EEEvPfS2_PT_PKS3_PKT0_S9_ifPKiSB_iPKfiiiSD_SD_iiiii.has_indirect_call, 0
	.section	.AMDGPU.csdata,"",@progbits
; Kernel info:
; codeLenInByte = 38448
; TotalNumSgprs: 48
; NumVgprs: 133
; ScratchSize: 0
; MemoryBound: 0
; FloatMode: 240
; IeeeMode: 1
; LDSByteSize: 272 bytes/workgroup (compile time only)
; SGPRBlocks: 0
; VGPRBlocks: 16
; NumSGPRsForWavesPerEU: 48
; NumVGPRsForWavesPerEU: 133
; Occupancy: 10
; WaveLimiterHint : 1
; COMPUTE_PGM_RSRC2:SCRATCH_EN: 0
; COMPUTE_PGM_RSRC2:USER_SGPR: 2
; COMPUTE_PGM_RSRC2:TRAP_HANDLER: 0
; COMPUTE_PGM_RSRC2:TGID_X_EN: 1
; COMPUTE_PGM_RSRC2:TGID_Y_EN: 1
; COMPUTE_PGM_RSRC2:TGID_Z_EN: 1
; COMPUTE_PGM_RSRC2:TIDIG_COMP_CNT: 0
	.section	.text._ZN4vllm25paged_attention_v2_kernelIthLi128ELi16ELi128ELNS_18Fp8KVCacheDataTypeE1ELb1ELi512EEEvPfS2_PT_PKS3_PKT0_S9_ifPKiSB_iPKfiiiSD_SD_iiiii,"axG",@progbits,_ZN4vllm25paged_attention_v2_kernelIthLi128ELi16ELi128ELNS_18Fp8KVCacheDataTypeE1ELb1ELi512EEEvPfS2_PT_PKS3_PKT0_S9_ifPKiSB_iPKfiiiSD_SD_iiiii,comdat
	.protected	_ZN4vllm25paged_attention_v2_kernelIthLi128ELi16ELi128ELNS_18Fp8KVCacheDataTypeE1ELb1ELi512EEEvPfS2_PT_PKS3_PKT0_S9_ifPKiSB_iPKfiiiSD_SD_iiiii ; -- Begin function _ZN4vllm25paged_attention_v2_kernelIthLi128ELi16ELi128ELNS_18Fp8KVCacheDataTypeE1ELb1ELi512EEEvPfS2_PT_PKS3_PKT0_S9_ifPKiSB_iPKfiiiSD_SD_iiiii
	.globl	_ZN4vllm25paged_attention_v2_kernelIthLi128ELi16ELi128ELNS_18Fp8KVCacheDataTypeE1ELb1ELi512EEEvPfS2_PT_PKS3_PKT0_S9_ifPKiSB_iPKfiiiSD_SD_iiiii
	.p2align	8
	.type	_ZN4vllm25paged_attention_v2_kernelIthLi128ELi16ELi128ELNS_18Fp8KVCacheDataTypeE1ELb1ELi512EEEvPfS2_PT_PKS3_PKT0_S9_ifPKiSB_iPKfiiiSD_SD_iiiii,@function
_ZN4vllm25paged_attention_v2_kernelIthLi128ELi16ELi128ELNS_18Fp8KVCacheDataTypeE1ELb1ELi512EEEvPfS2_PT_PKS3_PKT0_S9_ifPKiSB_iPKfiiiSD_SD_iiiii: ; @_ZN4vllm25paged_attention_v2_kernelIthLi128ELi16ELi128ELNS_18Fp8KVCacheDataTypeE1ELb1ELi512EEEvPfS2_PT_PKS3_PKT0_S9_ifPKiSB_iPKfiiiSD_SD_iiiii
; %bb.0:
	s_load_b64 s[2:3], s[0:1], 0x40
	s_and_b32 s37, ttmp7, 0xffff
	s_lshr_b32 s33, ttmp7, 16
	s_lshl_b32 s4, s37, 2
	s_lshl_b32 s39, s33, 9
	s_wait_kmcnt 0x0
	s_load_b32 s36, s[2:3], s4 offset:0x0
	s_wait_kmcnt 0x0
	s_cmp_ge_i32 s39, s36
	s_cbranch_scc1 .LBB267_1112
; %bb.1:
	s_clause 0x1
	s_load_b32 s38, s[0:1], 0x90
	s_load_b64 s[6:7], s[0:1], 0x30
	s_wait_kmcnt 0x0
	s_abs_i32 s5, s38
	s_abs_i32 s2, s6
	s_delay_alu instid0(SALU_CYCLE_1) | instskip(SKIP_1) | instid1(SALU_CYCLE_2)
	s_cvt_f32_u32 s3, s2
	s_sub_co_i32 s4, 0, s2
	v_rcp_iflag_f32_e32 v1, s3
	s_delay_alu instid0(TRANS32_DEP_1) | instskip(SKIP_2) | instid1(SALU_CYCLE_2)
	v_readfirstlane_b32 s3, v1
	s_mul_f32 s3, s3, 0x4f7ffffe
	s_wait_alu 0xfffe
	s_cvt_u32_f32 s3, s3
	s_wait_alu 0xfffe
	s_delay_alu instid0(SALU_CYCLE_2) | instskip(NEXT) | instid1(SALU_CYCLE_1)
	s_mul_i32 s4, s4, s3
	s_mul_hi_u32 s4, s3, s4
	s_delay_alu instid0(SALU_CYCLE_1)
	s_add_co_i32 s3, s3, s4
	s_xor_b32 s4, s38, s6
	s_wait_alu 0xfffe
	s_mul_hi_u32 s3, s5, s3
	s_ashr_i32 s4, s4, 31
	s_wait_alu 0xfffe
	s_mul_i32 s8, s3, s2
	s_delay_alu instid0(SALU_CYCLE_1)
	s_sub_co_i32 s5, s5, s8
	s_add_co_i32 s8, s3, 1
	s_sub_co_i32 s9, s5, s2
	s_cmp_ge_u32 s5, s2
	s_cselect_b32 s3, s8, s3
	s_cselect_b32 s5, s9, s5
	s_wait_alu 0xfffe
	s_add_co_i32 s8, s3, 1
	s_cmp_ge_u32 s5, s2
	s_mov_b32 s5, 0
	s_cselect_b32 s2, s8, s3
	s_load_b64 s[8:9], s[0:1], 0x50
	s_xor_b32 s2, s2, s4
	s_mov_b32 s18, s5
	s_wait_alu 0xfffe
	s_sub_co_i32 s11, s2, s4
	s_abs_i32 s4, ttmp9
	s_abs_i32 s10, s11
	s_delay_alu instid0(SALU_CYCLE_1) | instskip(SKIP_2) | instid1(SALU_CYCLE_1)
	s_cvt_f32_u32 s2, s10
	s_sub_co_i32 s3, 0, s10
	s_wait_alu 0xfffe
	v_rcp_iflag_f32_e32 v1, s2
	s_delay_alu instid0(TRANS32_DEP_1) | instskip(SKIP_2) | instid1(SALU_CYCLE_2)
	v_readfirstlane_b32 s2, v1
	s_mul_f32 s2, s2, 0x4f7ffffe
	s_wait_alu 0xfffe
	s_cvt_u32_f32 s2, s2
	s_wait_alu 0xfffe
	s_delay_alu instid0(SALU_CYCLE_2)
	s_mul_i32 s3, s3, s2
	s_wait_alu 0xfffe
	s_mul_hi_u32 s3, s2, s3
	s_wait_alu 0xfffe
	s_add_co_i32 s2, s2, s3
	s_mov_b32 s3, s5
	s_wait_kmcnt 0x0
	s_cmp_eq_u64 s[8:9], 0
	s_cbranch_scc1 .LBB267_3
; %bb.2:
	s_mov_b32 s12, ttmp9
	s_ashr_i32 s13, ttmp9, 31
	s_delay_alu instid0(SALU_CYCLE_1) | instskip(NEXT) | instid1(SALU_CYCLE_1)
	s_lshl_b64 s[12:13], s[12:13], 2
	s_add_nc_u64 s[8:9], s[8:9], s[12:13]
	s_load_b32 s18, s[8:9], 0x0
.LBB267_3:
	s_load_b96 s[20:22], s[0:1], 0x58
	s_mul_u64 s[2:3], s[4:5], s[2:3]
	v_lshrrev_b32_e32 v11, 1, v0
	v_and_b32_e32 v12, 1, v0
	v_cmp_gt_u32_e64 s2, 32, v0
	v_lshlrev_b32_e32 v10, 3, v0
	s_ashr_i32 s5, ttmp9, 31
	s_ashr_i32 s8, s11, 31
	s_lshl_b32 s24, ttmp9, 7
	s_wait_alu 0xfffe
	s_and_saveexec_b32 s9, s2
	s_cbranch_execz .LBB267_5
; %bb.4:
	s_load_b64 s[12:13], s[0:1], 0x18
	s_wait_kmcnt 0x0
	s_mul_i32 s14, s20, s37
	s_ashr_i32 s25, s24, 31
	s_ashr_i32 s15, s14, 31
	v_lshlrev_b32_e32 v3, 3, v11
	s_lshl_b64 s[14:15], s[14:15], 1
	s_delay_alu instid0(VALU_DEP_1) | instskip(SKIP_2) | instid1(SALU_CYCLE_1)
	v_lshl_add_u32 v3, v12, 7, v3
	s_add_nc_u64 s[12:13], s[12:13], s[14:15]
	s_lshl_b64 s[14:15], s[24:25], 1
	s_add_nc_u64 s[12:13], s[12:13], s[14:15]
	global_load_b64 v[1:2], v10, s[12:13]
	s_wait_loadcnt 0x0
	ds_store_b64 v3, v[1:2]
.LBB267_5:
	s_or_b32 exec_lo, exec_lo, s9
	s_load_b128 s[12:15], s[0:1], 0x78
	s_mul_i32 s9, s3, s10
	s_xor_b32 s5, s5, s8
	s_sub_co_i32 s4, s4, s9
	s_add_co_i32 s8, s3, 1
	s_sub_co_i32 s9, s4, s10
	s_cmp_ge_u32 s4, s10
                                        ; implicit-def: $sgpr25
	s_cselect_b32 s3, s8, s3
	s_cselect_b32 s4, s9, s4
	s_wait_alu 0xfffe
	s_add_co_i32 s8, s3, 1
	s_cmp_ge_u32 s4, s10
	s_mov_b32 s9, -1
	s_cselect_b32 s4, s8, s3
	s_load_b32 s3, s[0:1], 0x88
	s_xor_b32 s4, s4, s5
	s_wait_dscnt 0x0
	s_sub_co_i32 s19, s4, s5
	s_barrier_signal -1
	s_barrier_wait -1
	s_wait_kmcnt 0x0
	s_abs_i32 s20, s15
	global_inv scope:SCOPE_SE
	s_cvt_f32_u32 s8, s20
	s_delay_alu instid0(SALU_CYCLE_3) | instskip(NEXT) | instid1(TRANS32_DEP_1)
	v_rcp_iflag_f32_e32 v1, s8
	v_readfirstlane_b32 s8, v1
	s_mul_f32 s4, s8, 0x4f7ffffe
	s_add_co_i32 s8, s36, -1
	s_delay_alu instid0(SALU_CYCLE_2) | instskip(SKIP_1) | instid1(SALU_CYCLE_2)
	s_cvt_u32_f32 s10, s4
	s_sub_co_i32 s4, 0, s20
	s_mul_i32 s5, s4, s10
	s_wait_alu 0xfffe
	s_abs_i32 s4, s8
	s_mul_hi_u32 s11, s10, s5
	s_mov_b32 s5, 0
	s_add_co_i32 s26, s10, s11
	s_cmp_lt_i32 s3, 0
	s_mov_b32 s27, s5
	s_cbranch_scc0 .LBB267_7
; %bb.6:
	s_mul_i32 s6, s12, s6
	s_mov_b32 s9, s5
	s_add_co_i32 s6, s19, s6
	s_delay_alu instid0(SALU_CYCLE_1) | instskip(NEXT) | instid1(SALU_CYCLE_1)
	s_mul_i32 s6, s6, s3
	s_sub_co_i32 s25, 1, s6
.LBB267_7:
	s_mul_u64 s[16:17], s[4:5], s[26:27]
	s_ashr_i32 s5, s8, 31
	s_wait_alu 0xfffe
	s_and_not1_b32 vcc_lo, exec_lo, s9
	s_ashr_i32 s15, s15, 31
	s_cbranch_vccnz .LBB267_9
; %bb.8:
	s_mul_i32 s6, s38, s12
	s_delay_alu instid0(SALU_CYCLE_1) | instskip(NEXT) | instid1(SALU_CYCLE_1)
	s_add_co_i32 s6, s6, ttmp9
	s_mul_i32 s3, s6, s3
	s_wait_alu 0xfffe
	s_add_co_i32 s25, s3, 1
.LBB267_9:
	s_clause 0x3
	s_load_b32 s3, s[0:1], 0x48
	s_load_b64 s[28:29], s[0:1], 0x38
	s_load_b32 s12, s[0:1], 0x98
	s_load_b128 s[8:11], s[0:1], 0x68
	s_mul_i32 s6, s17, s20
	s_xor_b32 s5, s5, s15
	s_sub_co_i32 s4, s4, s6
	s_add_co_i32 s16, s17, 1
	v_lshrrev_b32_e32 v13, 5, v0
	v_mbcnt_lo_u32_b32 v17, -1, 0
	s_mul_i32 s22, s19, s22
	s_delay_alu instid0(VALU_DEP_2)
	v_lshl_add_u32 v14, v13, 4, s39
	s_wait_kmcnt 0x0
	s_mul_i32 s30, s3, s37
	s_sub_co_i32 s3, s4, s20
	s_ashr_i32 s31, s30, 31
	s_cmp_ge_u32 s4, s20
	s_cselect_b32 s6, s16, s17
	s_wait_alu 0xfffe
	s_cselect_b32 s3, s3, s4
	s_add_co_i32 s4, s6, 1
	s_wait_alu 0xfffe
	s_cmp_ge_u32 s3, s20
	s_cselect_b32 s3, s4, s6
	s_add_co_i32 s4, s36, 15
	s_lshl_b32 s42, s33, 5
	s_ashr_i32 s6, s4, 31
	v_or_b32_e32 v15, s42, v13
	s_lshr_b32 s6, s6, 28
	v_mov_b32_e32 v19, 0xff7fffff
	s_add_co_i32 s4, s4, s6
	s_add_co_i32 s6, s42, 32
	s_ashr_i32 s40, s4, 4
	s_wait_alu 0xfffe
	s_xor_b32 s4, s3, s5
	s_min_i32 s27, s6, s40
	v_lshlrev_b32_e32 v16, 2, v15
	v_cmp_gt_i32_e64 s3, s27, v15
	s_sub_co_i32 s41, s4, s5
	s_and_saveexec_b32 s16, s3
	s_cbranch_execz .LBB267_533
; %bb.10:
	s_sub_co_i32 s17, s41, s13
	s_ashr_i32 s23, s22, 31
	s_cmp_neq_f32 s18, 0
	s_load_b64 s[44:45], s[0:1], 0x20
	v_bfe_u32 v18, v0, 1, 4
	v_dual_mov_b32 v2, 0 :: v_dual_lshlrev_b32 v3, 2, v12
	s_cselect_b32 vcc_lo, -1, 0
	s_abs_i32 s19, s14
	s_delay_alu instid0(VALU_DEP_2) | instskip(SKIP_3) | instid1(SALU_CYCLE_1)
	v_dual_mov_b32 v25, v15 :: v_dual_lshlrev_b32 v4, 4, v18
	s_cvt_f32_u32 s4, s19
	v_dual_mov_b32 v24, 0xff7fffff :: v_dual_lshlrev_b32 v5, 2, v18
	s_lshl_b64 s[46:47], s[30:31], 2
	v_rcp_iflag_f32_e32 v1, s4
	v_subrev_nc_u32_e32 v7, s36, v18
	s_add_nc_u64 s[46:47], s[28:29], s[46:47]
	s_sub_co_i32 s6, 0, s19
	v_cmp_eq_u32_e64 s4, 0, v12
	v_dual_mov_b32 v19, 0xff7fffff :: v_dual_lshlrev_b32 v20, 7, v12
	v_lshl_add_u32 v21, v13, 4, s39
	s_wait_kmcnt 0x0
	s_add_nc_u64 s[44:45], s[44:45], s[22:23]
	v_add_nc_u32_e32 v22, 1, v7
	v_readfirstlane_b32 s5, v1
	v_add_co_u32 v4, s23, s44, v4
	v_lshl_or_b32 v1, v13, 6, v5
	v_add_co_ci_u32_e64 v5, null, s45, 0, s23
	s_mul_f32 s5, s5, 0x4f7ffffe
	s_mov_b32 s34, 0
	v_add_nc_u32_e32 v23, 0x120, v1
	s_mov_b32 s23, s21
	s_wait_alu 0xfffe
	s_cvt_u32_f32 s35, s5
	v_add_co_u32 v3, s5, v4, v3
	s_wait_alu 0xf1ff
	v_add_co_ci_u32_e64 v4, null, 0, v5, s5
	v_add_co_u32 v5, s5, s46, v16
	s_mul_i32 s6, s6, s35
	s_wait_alu 0xf1ff
	v_add_co_ci_u32_e64 v6, null, s47, 0, s5
	s_mul_hi_u32 s5, s35, s6
	s_wait_alu 0xfffe
	s_add_co_i32 s35, s35, s5
	s_branch .LBB267_13
.LBB267_11:                             ;   in Loop: Header=BB267_13 Depth=1
	s_wait_alu 0xfffe
	s_or_b32 exec_lo, exec_lo, s43
.LBB267_12:                             ;   in Loop: Header=BB267_13 Depth=1
	s_wait_alu 0xfffe
	s_or_b32 exec_lo, exec_lo, s6
	v_add_nc_u32_e32 v25, 4, v25
	v_add_co_u32 v5, s6, v5, 16
	s_wait_alu 0xf1ff
	v_add_co_ci_u32_e64 v6, null, 0, v6, s6
	s_delay_alu instid0(VALU_DEP_3)
	v_cmp_le_i32_e64 s5, s27, v25
	v_add_nc_u32_e32 v21, 64, v21
	v_add_nc_u32_e32 v23, 0x100, v23
	s_or_b32 s34, s5, s34
	s_wait_alu 0xfffe
	s_and_not1_b32 exec_lo, exec_lo, s34
	s_cbranch_execz .LBB267_532
.LBB267_13:                             ; =>This Inner Loop Header: Depth=1
	v_sub_nc_u32_e32 v1, 0, v21
	s_delay_alu instid0(VALU_DEP_1) | instskip(SKIP_1) | instid1(VALU_DEP_1)
	v_max_i32_e32 v1, v21, v1
	s_wait_dscnt 0x0
	v_mul_hi_u32 v7, v1, s26
	s_delay_alu instid0(VALU_DEP_1) | instskip(NEXT) | instid1(VALU_DEP_1)
	v_mul_lo_u32 v8, v7, s20
	v_sub_nc_u32_e32 v1, v1, v8
	v_add_nc_u32_e32 v8, 1, v7
	s_delay_alu instid0(VALU_DEP_2) | instskip(SKIP_2) | instid1(VALU_DEP_1)
	v_subrev_nc_u32_e32 v9, s20, v1
	v_cmp_le_u32_e64 s5, s20, v1
	s_wait_alu 0xf1ff
	v_cndmask_b32_e64 v7, v7, v8, s5
	s_delay_alu instid0(VALU_DEP_3) | instskip(SKIP_1) | instid1(VALU_DEP_3)
	v_cndmask_b32_e64 v1, v1, v9, s5
	v_ashrrev_i32_e32 v8, 31, v21
	v_add_nc_u32_e32 v9, 1, v7
	s_delay_alu instid0(VALU_DEP_3) | instskip(NEXT) | instid1(VALU_DEP_3)
	v_cmp_le_u32_e64 s5, s20, v1
	v_xor_b32_e32 v8, s15, v8
	s_wait_alu 0xf1ff
	s_delay_alu instid0(VALU_DEP_2) | instskip(NEXT) | instid1(VALU_DEP_1)
	v_cndmask_b32_e64 v1, v7, v9, s5
	v_xor_b32_e32 v1, v1, v8
	s_delay_alu instid0(VALU_DEP_1) | instskip(NEXT) | instid1(VALU_DEP_1)
	v_sub_nc_u32_e32 v1, v1, v8
	v_add_nc_u32_e32 v7, s25, v1
	v_cmp_ge_i32_e64 s6, s17, v1
	s_delay_alu instid0(VALU_DEP_2) | instskip(NEXT) | instid1(VALU_DEP_1)
	v_sub_nc_u32_e32 v8, 0, v7
	v_max_i32_e32 v8, v7, v8
	v_ashrrev_i32_e32 v7, 31, v7
	s_delay_alu instid0(VALU_DEP_2) | instskip(NEXT) | instid1(VALU_DEP_1)
	v_mul_hi_u32 v9, v8, s35
	v_mul_lo_u32 v9, v9, s19
	s_delay_alu instid0(VALU_DEP_1) | instskip(NEXT) | instid1(VALU_DEP_1)
	v_sub_nc_u32_e32 v8, v8, v9
	v_subrev_nc_u32_e32 v9, s19, v8
	v_cmp_le_u32_e64 s5, s19, v8
	s_wait_alu 0xf1ff
	s_delay_alu instid0(VALU_DEP_1) | instskip(NEXT) | instid1(VALU_DEP_1)
	v_cndmask_b32_e64 v8, v8, v9, s5
	v_subrev_nc_u32_e32 v9, s19, v8
	v_cmp_le_u32_e64 s5, s19, v8
	s_wait_alu 0xf1ff
	s_delay_alu instid0(VALU_DEP_1) | instskip(NEXT) | instid1(VALU_DEP_1)
	v_cndmask_b32_e64 v8, v8, v9, s5
	v_xor_b32_e32 v8, v8, v7
	s_delay_alu instid0(VALU_DEP_1) | instskip(NEXT) | instid1(VALU_DEP_1)
	v_sub_nc_u32_e32 v7, v8, v7
	v_cmp_ne_u32_e64 s5, 0, v7
	s_and_b32 s5, s5, s6
	s_wait_alu 0xfffe
	s_and_saveexec_b32 s6, s5
	s_wait_alu 0xfffe
	s_xor_b32 s5, exec_lo, s6
	s_cbranch_execz .LBB267_17
; %bb.14:                               ;   in Loop: Header=BB267_13 Depth=1
	s_and_saveexec_b32 s6, s4
; %bb.15:                               ;   in Loop: Header=BB267_13 Depth=1
	ds_store_b32 v23, v24
; %bb.16:                               ;   in Loop: Header=BB267_13 Depth=1
	s_wait_alu 0xfffe
	s_or_b32 exec_lo, exec_lo, s6
.LBB267_17:                             ;   in Loop: Header=BB267_13 Depth=1
	s_wait_alu 0xfffe
	s_and_not1_saveexec_b32 s6, s5
	s_cbranch_execz .LBB267_12
; %bb.18:                               ;   in Loop: Header=BB267_13 Depth=1
	global_load_b32 v1, v[5:6], off
	v_dual_mov_b32 v27, 0 :: v_dual_mov_b32 v28, 0
	s_mov_b32 s43, exec_lo
	global_load_b32 v26, v27, s[8:9]
	s_wait_loadcnt 0x1
	v_mad_co_i64_i32 v[7:8], null, v1, s23, v[3:4]
	global_load_b32 v9, v[7:8], off
	s_wait_loadcnt 0x0
	v_and_b32_e32 v1, 0xff, v9
	s_delay_alu instid0(VALU_DEP_1)
	v_cmpx_ne_u16_e32 0, v1
	s_cbranch_execz .LBB267_26
; %bb.19:                               ;   in Loop: Header=BB267_13 Depth=1
	v_mov_b32_e32 v28, 0x8000
	s_mov_b32 s44, exec_lo
	v_cmpx_ne_u16_e32 0x80, v1
	s_cbranch_execz .LBB267_25
; %bb.20:                               ;   in Loop: Header=BB267_13 Depth=1
	v_and_b32_e32 v29, 0x7f, v9
	v_mov_b32_e32 v28, 0x7c01
	s_mov_b32 s45, exec_lo
	s_delay_alu instid0(VALU_DEP_2)
	v_cmpx_ne_u32_e32 0x7f, v29
	s_cbranch_execz .LBB267_24
; %bb.21:                               ;   in Loop: Header=BB267_13 Depth=1
	v_and_b32_e32 v1, 7, v9
	v_lshrrev_b32_e32 v28, 3, v29
	s_mov_b32 s46, exec_lo
	v_cmpx_gt_u32_e32 8, v29
; %bb.22:                               ;   in Loop: Header=BB267_13 Depth=1
	s_delay_alu instid0(VALU_DEP_3) | instskip(NEXT) | instid1(VALU_DEP_1)
	v_clz_i32_u32_e32 v1, v1
	v_min_u32_e32 v1, 32, v1
	s_delay_alu instid0(VALU_DEP_1) | instskip(NEXT) | instid1(VALU_DEP_1)
	v_subrev_nc_u32_e32 v28, 28, v1
	v_lshlrev_b64_e32 v[29:30], v28, v[9:10]
	v_sub_nc_u32_e32 v28, 29, v1
	s_delay_alu instid0(VALU_DEP_2)
	v_and_b32_e32 v1, 7, v29
; %bb.23:                               ;   in Loop: Header=BB267_13 Depth=1
	s_wait_alu 0xfffe
	s_or_b32 exec_lo, exec_lo, s46
	v_lshlrev_b32_e32 v29, 8, v9
	v_lshl_add_u32 v28, v28, 10, 0x2000
	v_lshlrev_b32_e32 v1, 7, v1
	s_delay_alu instid0(VALU_DEP_3) | instskip(NEXT) | instid1(VALU_DEP_3)
	v_and_b32_e32 v29, 0x8000, v29
	v_and_b32_e32 v28, 0xfc00, v28
	s_delay_alu instid0(VALU_DEP_1)
	v_or3_b32 v28, v29, v28, v1
.LBB267_24:                             ;   in Loop: Header=BB267_13 Depth=1
	s_wait_alu 0xfffe
	s_or_b32 exec_lo, exec_lo, s45
.LBB267_25:                             ;   in Loop: Header=BB267_13 Depth=1
	s_wait_alu 0xfffe
	s_or_b32 exec_lo, exec_lo, s44
.LBB267_26:                             ;   in Loop: Header=BB267_13 Depth=1
	s_wait_alu 0xfffe
	s_or_b32 exec_lo, exec_lo, s43
	v_lshrrev_b16 v1, 8, v9
	s_mov_b32 s43, exec_lo
	s_delay_alu instid0(VALU_DEP_1)
	v_cmpx_ne_u16_e32 0, v1
	s_cbranch_execz .LBB267_34
; %bb.27:                               ;   in Loop: Header=BB267_13 Depth=1
	v_bfrev_b32_e32 v27, 1
	s_mov_b32 s44, exec_lo
	v_cmpx_ne_u16_e32 0x80, v1
	s_cbranch_execz .LBB267_33
; %bb.28:                               ;   in Loop: Header=BB267_13 Depth=1
	v_and_b32_e32 v29, 0xffff, v1
	v_mov_b32_e32 v27, 0x7c010000
	s_mov_b32 s45, exec_lo
	s_delay_alu instid0(VALU_DEP_2) | instskip(NEXT) | instid1(VALU_DEP_1)
	v_and_b32_e32 v31, 0x7f, v29
	v_cmpx_ne_u32_e32 0x7f, v31
	s_cbranch_execz .LBB267_32
; %bb.29:                               ;   in Loop: Header=BB267_13 Depth=1
	v_and_b32_e32 v27, 7, v29
	v_lshrrev_b32_e32 v30, 3, v31
	s_mov_b32 s46, exec_lo
	v_cmpx_gt_u32_e32 8, v31
; %bb.30:                               ;   in Loop: Header=BB267_13 Depth=1
	s_delay_alu instid0(VALU_DEP_3) | instskip(NEXT) | instid1(VALU_DEP_1)
	v_clz_i32_u32_e32 v27, v27
	v_min_u32_e32 v27, 32, v27
	s_delay_alu instid0(VALU_DEP_1) | instskip(NEXT) | instid1(VALU_DEP_1)
	v_subrev_nc_u32_e32 v30, 28, v27
	v_lshlrev_b64_e32 v[31:32], v30, v[1:2]
	v_sub_nc_u32_e32 v30, 29, v27
	s_delay_alu instid0(VALU_DEP_2)
	v_and_b32_e32 v27, 7, v31
; %bb.31:                               ;   in Loop: Header=BB267_13 Depth=1
	s_wait_alu 0xfffe
	s_or_b32 exec_lo, exec_lo, s46
	v_lshlrev_b32_e32 v1, 8, v29
	v_lshl_add_u32 v29, v30, 10, 0x2000
	v_lshlrev_b32_e32 v27, 23, v27
	s_delay_alu instid0(VALU_DEP_2) | instskip(NEXT) | instid1(VALU_DEP_1)
	v_and_or_b32 v1, 0x8000, v1, v29
	v_lshl_or_b32 v27, v1, 16, v27
.LBB267_32:                             ;   in Loop: Header=BB267_13 Depth=1
	s_wait_alu 0xfffe
	s_or_b32 exec_lo, exec_lo, s45
.LBB267_33:                             ;   in Loop: Header=BB267_13 Depth=1
	s_wait_alu 0xfffe
	s_or_b32 exec_lo, exec_lo, s44
.LBB267_34:                             ;   in Loop: Header=BB267_13 Depth=1
	s_wait_alu 0xfffe
	s_or_b32 exec_lo, exec_lo, s43
	v_lshrrev_b32_e32 v1, 16, v9
	v_mov_b32_e32 v29, 0
	s_mov_b32 s43, exec_lo
	s_delay_alu instid0(VALU_DEP_2) | instskip(NEXT) | instid1(VALU_DEP_1)
	v_dual_mov_b32 v30, 0 :: v_dual_and_b32 v31, 0xff, v1
	v_cmpx_ne_u16_e32 0, v31
	s_cbranch_execz .LBB267_42
; %bb.35:                               ;   in Loop: Header=BB267_13 Depth=1
	v_mov_b32_e32 v30, 0x8000
	s_mov_b32 s44, exec_lo
	v_cmpx_ne_u16_e32 0x80, v31
	s_cbranch_execz .LBB267_41
; %bb.36:                               ;   in Loop: Header=BB267_13 Depth=1
	v_bfe_u32 v32, v9, 16, 7
	v_mov_b32_e32 v30, 0x7c01
	s_mov_b32 s45, exec_lo
	s_delay_alu instid0(VALU_DEP_2)
	v_cmpx_ne_u32_e32 0x7f, v32
	s_cbranch_execz .LBB267_40
; %bb.37:                               ;   in Loop: Header=BB267_13 Depth=1
	v_and_b32_e32 v30, 7, v1
	v_lshrrev_b32_e32 v31, 3, v32
	s_mov_b32 s46, exec_lo
	v_cmpx_gt_u32_e32 8, v32
; %bb.38:                               ;   in Loop: Header=BB267_13 Depth=1
	s_delay_alu instid0(VALU_DEP_3) | instskip(NEXT) | instid1(VALU_DEP_1)
	v_clz_i32_u32_e32 v30, v30
	v_min_u32_e32 v32, 32, v30
	s_delay_alu instid0(VALU_DEP_1) | instskip(NEXT) | instid1(VALU_DEP_1)
	v_subrev_nc_u32_e32 v30, 28, v32
	v_lshlrev_b64_e32 v[30:31], v30, v[1:2]
	v_sub_nc_u32_e32 v31, 29, v32
	s_delay_alu instid0(VALU_DEP_2)
	v_and_b32_e32 v30, 7, v30
; %bb.39:                               ;   in Loop: Header=BB267_13 Depth=1
	s_wait_alu 0xfffe
	s_or_b32 exec_lo, exec_lo, s46
	v_lshlrev_b32_e32 v1, 8, v1
	v_lshl_add_u32 v31, v31, 10, 0x2000
	v_lshlrev_b32_e32 v30, 7, v30
	s_delay_alu instid0(VALU_DEP_3) | instskip(NEXT) | instid1(VALU_DEP_3)
	v_and_b32_e32 v1, 0x8000, v1
	v_and_b32_e32 v31, 0xfc00, v31
	s_delay_alu instid0(VALU_DEP_1)
	v_or3_b32 v30, v1, v31, v30
.LBB267_40:                             ;   in Loop: Header=BB267_13 Depth=1
	s_wait_alu 0xfffe
	s_or_b32 exec_lo, exec_lo, s45
.LBB267_41:                             ;   in Loop: Header=BB267_13 Depth=1
	s_wait_alu 0xfffe
	s_or_b32 exec_lo, exec_lo, s44
.LBB267_42:                             ;   in Loop: Header=BB267_13 Depth=1
	s_wait_alu 0xfffe
	s_or_b32 exec_lo, exec_lo, s43
	s_delay_alu instid0(SALU_CYCLE_1)
	s_mov_b32 s43, exec_lo
	v_cmpx_lt_u32_e32 0xffffff, v9
	s_cbranch_execz .LBB267_50
; %bb.43:                               ;   in Loop: Header=BB267_13 Depth=1
	v_lshrrev_b32_e32 v1, 24, v9
	v_bfrev_b32_e32 v29, 1
	s_mov_b32 s44, exec_lo
	s_delay_alu instid0(VALU_DEP_2)
	v_cmpx_ne_u32_e32 0x80, v1
	s_cbranch_execz .LBB267_49
; %bb.44:                               ;   in Loop: Header=BB267_13 Depth=1
	v_and_b32_e32 v31, 0x7f, v1
	v_mov_b32_e32 v29, 0x7c010000
	s_mov_b32 s45, exec_lo
	s_delay_alu instid0(VALU_DEP_2)
	v_cmpx_ne_u32_e32 0x7f, v31
	s_cbranch_execz .LBB267_48
; %bb.45:                               ;   in Loop: Header=BB267_13 Depth=1
	v_and_b32_e32 v9, 7, v1
	v_lshrrev_b32_e32 v29, 3, v31
	s_mov_b32 s46, exec_lo
	v_cmpx_gt_u32_e32 8, v31
; %bb.46:                               ;   in Loop: Header=BB267_13 Depth=1
	s_delay_alu instid0(VALU_DEP_3) | instskip(NEXT) | instid1(VALU_DEP_1)
	v_clz_i32_u32_e32 v9, v9
	v_min_u32_e32 v9, 32, v9
	s_delay_alu instid0(VALU_DEP_1) | instskip(NEXT) | instid1(VALU_DEP_1)
	v_subrev_nc_u32_e32 v29, 28, v9
	v_lshlrev_b64_e32 v[31:32], v29, v[1:2]
	v_sub_nc_u32_e32 v29, 29, v9
	s_delay_alu instid0(VALU_DEP_2)
	v_and_b32_e32 v9, 7, v31
; %bb.47:                               ;   in Loop: Header=BB267_13 Depth=1
	s_wait_alu 0xfffe
	s_or_b32 exec_lo, exec_lo, s46
	v_lshlrev_b32_e32 v1, 8, v1
	v_lshl_add_u32 v29, v29, 10, 0x2000
	v_lshlrev_b32_e32 v9, 23, v9
	s_delay_alu instid0(VALU_DEP_2) | instskip(NEXT) | instid1(VALU_DEP_1)
	v_and_or_b32 v1, 0x8000, v1, v29
	v_lshl_or_b32 v29, v1, 16, v9
.LBB267_48:                             ;   in Loop: Header=BB267_13 Depth=1
	s_wait_alu 0xfffe
	s_or_b32 exec_lo, exec_lo, s45
.LBB267_49:                             ;   in Loop: Header=BB267_13 Depth=1
	s_wait_alu 0xfffe
	s_or_b32 exec_lo, exec_lo, s44
.LBB267_50:                             ;   in Loop: Header=BB267_13 Depth=1
	s_wait_alu 0xfffe
	s_or_b32 exec_lo, exec_lo, s43
	global_load_b32 v9, v[7:8], off offset:8
	v_mov_b32_e32 v31, 0
	s_mov_b32 s43, exec_lo
	s_wait_loadcnt 0x0
	v_dual_mov_b32 v32, 0 :: v_dual_and_b32 v1, 0xff, v9
	s_delay_alu instid0(VALU_DEP_1)
	v_cmpx_ne_u16_e32 0, v1
	s_cbranch_execz .LBB267_58
; %bb.51:                               ;   in Loop: Header=BB267_13 Depth=1
	v_mov_b32_e32 v32, 0x8000
	s_mov_b32 s44, exec_lo
	v_cmpx_ne_u16_e32 0x80, v1
	s_cbranch_execz .LBB267_57
; %bb.52:                               ;   in Loop: Header=BB267_13 Depth=1
	v_and_b32_e32 v33, 0x7f, v9
	v_mov_b32_e32 v32, 0x7c01
	s_mov_b32 s45, exec_lo
	s_delay_alu instid0(VALU_DEP_2)
	v_cmpx_ne_u32_e32 0x7f, v33
	s_cbranch_execz .LBB267_56
; %bb.53:                               ;   in Loop: Header=BB267_13 Depth=1
	v_and_b32_e32 v1, 7, v9
	v_lshrrev_b32_e32 v32, 3, v33
	s_mov_b32 s46, exec_lo
	v_cmpx_gt_u32_e32 8, v33
; %bb.54:                               ;   in Loop: Header=BB267_13 Depth=1
	s_delay_alu instid0(VALU_DEP_3) | instskip(NEXT) | instid1(VALU_DEP_1)
	v_clz_i32_u32_e32 v1, v1
	v_min_u32_e32 v1, 32, v1
	s_delay_alu instid0(VALU_DEP_1) | instskip(NEXT) | instid1(VALU_DEP_1)
	v_subrev_nc_u32_e32 v32, 28, v1
	v_lshlrev_b64_e32 v[33:34], v32, v[9:10]
	v_sub_nc_u32_e32 v32, 29, v1
	s_delay_alu instid0(VALU_DEP_2)
	v_and_b32_e32 v1, 7, v33
; %bb.55:                               ;   in Loop: Header=BB267_13 Depth=1
	s_wait_alu 0xfffe
	s_or_b32 exec_lo, exec_lo, s46
	v_lshlrev_b32_e32 v33, 8, v9
	v_lshl_add_u32 v32, v32, 10, 0x2000
	v_lshlrev_b32_e32 v1, 7, v1
	s_delay_alu instid0(VALU_DEP_3) | instskip(NEXT) | instid1(VALU_DEP_3)
	v_and_b32_e32 v33, 0x8000, v33
	v_and_b32_e32 v32, 0xfc00, v32
	s_delay_alu instid0(VALU_DEP_1)
	v_or3_b32 v32, v33, v32, v1
.LBB267_56:                             ;   in Loop: Header=BB267_13 Depth=1
	s_wait_alu 0xfffe
	s_or_b32 exec_lo, exec_lo, s45
.LBB267_57:                             ;   in Loop: Header=BB267_13 Depth=1
	s_wait_alu 0xfffe
	s_or_b32 exec_lo, exec_lo, s44
.LBB267_58:                             ;   in Loop: Header=BB267_13 Depth=1
	s_wait_alu 0xfffe
	s_or_b32 exec_lo, exec_lo, s43
	v_lshrrev_b16 v1, 8, v9
	s_mov_b32 s43, exec_lo
	s_delay_alu instid0(VALU_DEP_1)
	v_cmpx_ne_u16_e32 0, v1
	s_cbranch_execz .LBB267_66
; %bb.59:                               ;   in Loop: Header=BB267_13 Depth=1
	v_bfrev_b32_e32 v31, 1
	s_mov_b32 s44, exec_lo
	v_cmpx_ne_u16_e32 0x80, v1
	s_cbranch_execz .LBB267_65
; %bb.60:                               ;   in Loop: Header=BB267_13 Depth=1
	v_and_b32_e32 v33, 0xffff, v1
	v_mov_b32_e32 v31, 0x7c010000
	s_mov_b32 s45, exec_lo
	s_delay_alu instid0(VALU_DEP_2) | instskip(NEXT) | instid1(VALU_DEP_1)
	v_and_b32_e32 v35, 0x7f, v33
	v_cmpx_ne_u32_e32 0x7f, v35
	s_cbranch_execz .LBB267_64
; %bb.61:                               ;   in Loop: Header=BB267_13 Depth=1
	v_and_b32_e32 v31, 7, v33
	v_lshrrev_b32_e32 v34, 3, v35
	s_mov_b32 s46, exec_lo
	v_cmpx_gt_u32_e32 8, v35
; %bb.62:                               ;   in Loop: Header=BB267_13 Depth=1
	s_delay_alu instid0(VALU_DEP_3) | instskip(NEXT) | instid1(VALU_DEP_1)
	v_clz_i32_u32_e32 v31, v31
	v_min_u32_e32 v31, 32, v31
	s_delay_alu instid0(VALU_DEP_1) | instskip(NEXT) | instid1(VALU_DEP_1)
	v_subrev_nc_u32_e32 v34, 28, v31
	v_lshlrev_b64_e32 v[35:36], v34, v[1:2]
	v_sub_nc_u32_e32 v34, 29, v31
	s_delay_alu instid0(VALU_DEP_2)
	v_and_b32_e32 v31, 7, v35
; %bb.63:                               ;   in Loop: Header=BB267_13 Depth=1
	s_wait_alu 0xfffe
	s_or_b32 exec_lo, exec_lo, s46
	v_lshlrev_b32_e32 v1, 8, v33
	v_lshl_add_u32 v33, v34, 10, 0x2000
	v_lshlrev_b32_e32 v31, 23, v31
	s_delay_alu instid0(VALU_DEP_2) | instskip(NEXT) | instid1(VALU_DEP_1)
	v_and_or_b32 v1, 0x8000, v1, v33
	v_lshl_or_b32 v31, v1, 16, v31
.LBB267_64:                             ;   in Loop: Header=BB267_13 Depth=1
	s_wait_alu 0xfffe
	s_or_b32 exec_lo, exec_lo, s45
.LBB267_65:                             ;   in Loop: Header=BB267_13 Depth=1
	s_wait_alu 0xfffe
	s_or_b32 exec_lo, exec_lo, s44
.LBB267_66:                             ;   in Loop: Header=BB267_13 Depth=1
	s_wait_alu 0xfffe
	s_or_b32 exec_lo, exec_lo, s43
	v_lshrrev_b32_e32 v1, 16, v9
	v_mov_b32_e32 v33, 0
	s_mov_b32 s43, exec_lo
	s_delay_alu instid0(VALU_DEP_2) | instskip(NEXT) | instid1(VALU_DEP_1)
	v_dual_mov_b32 v34, 0 :: v_dual_and_b32 v35, 0xff, v1
	v_cmpx_ne_u16_e32 0, v35
	s_cbranch_execz .LBB267_74
; %bb.67:                               ;   in Loop: Header=BB267_13 Depth=1
	v_mov_b32_e32 v34, 0x8000
	s_mov_b32 s44, exec_lo
	v_cmpx_ne_u16_e32 0x80, v35
	s_cbranch_execz .LBB267_73
; %bb.68:                               ;   in Loop: Header=BB267_13 Depth=1
	v_bfe_u32 v36, v9, 16, 7
	v_mov_b32_e32 v34, 0x7c01
	s_mov_b32 s45, exec_lo
	s_delay_alu instid0(VALU_DEP_2)
	v_cmpx_ne_u32_e32 0x7f, v36
	s_cbranch_execz .LBB267_72
; %bb.69:                               ;   in Loop: Header=BB267_13 Depth=1
	v_and_b32_e32 v34, 7, v1
	v_lshrrev_b32_e32 v35, 3, v36
	s_mov_b32 s46, exec_lo
	v_cmpx_gt_u32_e32 8, v36
; %bb.70:                               ;   in Loop: Header=BB267_13 Depth=1
	s_delay_alu instid0(VALU_DEP_3) | instskip(NEXT) | instid1(VALU_DEP_1)
	v_clz_i32_u32_e32 v34, v34
	v_min_u32_e32 v36, 32, v34
	s_delay_alu instid0(VALU_DEP_1) | instskip(NEXT) | instid1(VALU_DEP_1)
	v_subrev_nc_u32_e32 v34, 28, v36
	v_lshlrev_b64_e32 v[34:35], v34, v[1:2]
	v_sub_nc_u32_e32 v35, 29, v36
	s_delay_alu instid0(VALU_DEP_2)
	v_and_b32_e32 v34, 7, v34
; %bb.71:                               ;   in Loop: Header=BB267_13 Depth=1
	s_wait_alu 0xfffe
	s_or_b32 exec_lo, exec_lo, s46
	v_lshlrev_b32_e32 v1, 8, v1
	v_lshl_add_u32 v35, v35, 10, 0x2000
	v_lshlrev_b32_e32 v34, 7, v34
	s_delay_alu instid0(VALU_DEP_3) | instskip(NEXT) | instid1(VALU_DEP_3)
	v_and_b32_e32 v1, 0x8000, v1
	v_and_b32_e32 v35, 0xfc00, v35
	s_delay_alu instid0(VALU_DEP_1)
	v_or3_b32 v34, v1, v35, v34
.LBB267_72:                             ;   in Loop: Header=BB267_13 Depth=1
	s_wait_alu 0xfffe
	s_or_b32 exec_lo, exec_lo, s45
.LBB267_73:                             ;   in Loop: Header=BB267_13 Depth=1
	s_wait_alu 0xfffe
	s_or_b32 exec_lo, exec_lo, s44
.LBB267_74:                             ;   in Loop: Header=BB267_13 Depth=1
	s_wait_alu 0xfffe
	s_or_b32 exec_lo, exec_lo, s43
	s_delay_alu instid0(SALU_CYCLE_1)
	s_mov_b32 s43, exec_lo
	v_cmpx_lt_u32_e32 0xffffff, v9
	s_cbranch_execz .LBB267_82
; %bb.75:                               ;   in Loop: Header=BB267_13 Depth=1
	v_lshrrev_b32_e32 v1, 24, v9
	v_bfrev_b32_e32 v33, 1
	s_mov_b32 s44, exec_lo
	s_delay_alu instid0(VALU_DEP_2)
	v_cmpx_ne_u32_e32 0x80, v1
	s_cbranch_execz .LBB267_81
; %bb.76:                               ;   in Loop: Header=BB267_13 Depth=1
	v_and_b32_e32 v35, 0x7f, v1
	v_mov_b32_e32 v33, 0x7c010000
	s_mov_b32 s45, exec_lo
	s_delay_alu instid0(VALU_DEP_2)
	v_cmpx_ne_u32_e32 0x7f, v35
	s_cbranch_execz .LBB267_80
; %bb.77:                               ;   in Loop: Header=BB267_13 Depth=1
	v_and_b32_e32 v9, 7, v1
	v_lshrrev_b32_e32 v33, 3, v35
	s_mov_b32 s46, exec_lo
	v_cmpx_gt_u32_e32 8, v35
; %bb.78:                               ;   in Loop: Header=BB267_13 Depth=1
	s_delay_alu instid0(VALU_DEP_3) | instskip(NEXT) | instid1(VALU_DEP_1)
	v_clz_i32_u32_e32 v9, v9
	v_min_u32_e32 v9, 32, v9
	s_delay_alu instid0(VALU_DEP_1) | instskip(NEXT) | instid1(VALU_DEP_1)
	v_subrev_nc_u32_e32 v33, 28, v9
	v_lshlrev_b64_e32 v[35:36], v33, v[1:2]
	v_sub_nc_u32_e32 v33, 29, v9
	s_delay_alu instid0(VALU_DEP_2)
	v_and_b32_e32 v9, 7, v35
; %bb.79:                               ;   in Loop: Header=BB267_13 Depth=1
	s_wait_alu 0xfffe
	s_or_b32 exec_lo, exec_lo, s46
	v_lshlrev_b32_e32 v1, 8, v1
	v_lshl_add_u32 v33, v33, 10, 0x2000
	v_lshlrev_b32_e32 v9, 23, v9
	s_delay_alu instid0(VALU_DEP_2) | instskip(NEXT) | instid1(VALU_DEP_1)
	v_and_or_b32 v1, 0x8000, v1, v33
	v_lshl_or_b32 v33, v1, 16, v9
.LBB267_80:                             ;   in Loop: Header=BB267_13 Depth=1
	s_wait_alu 0xfffe
	s_or_b32 exec_lo, exec_lo, s45
.LBB267_81:                             ;   in Loop: Header=BB267_13 Depth=1
	s_wait_alu 0xfffe
	s_or_b32 exec_lo, exec_lo, s44
.LBB267_82:                             ;   in Loop: Header=BB267_13 Depth=1
	s_wait_alu 0xfffe
	s_or_b32 exec_lo, exec_lo, s43
	global_load_b32 v9, v[7:8], off offset:256
	v_mov_b32_e32 v35, 0
	s_mov_b32 s43, exec_lo
	s_wait_loadcnt 0x0
	v_dual_mov_b32 v36, 0 :: v_dual_and_b32 v1, 0xff, v9
	s_delay_alu instid0(VALU_DEP_1)
	v_cmpx_ne_u16_e32 0, v1
	s_cbranch_execz .LBB267_90
; %bb.83:                               ;   in Loop: Header=BB267_13 Depth=1
	v_mov_b32_e32 v36, 0x8000
	s_mov_b32 s44, exec_lo
	v_cmpx_ne_u16_e32 0x80, v1
	s_cbranch_execz .LBB267_89
; %bb.84:                               ;   in Loop: Header=BB267_13 Depth=1
	v_and_b32_e32 v37, 0x7f, v9
	v_mov_b32_e32 v36, 0x7c01
	s_mov_b32 s45, exec_lo
	s_delay_alu instid0(VALU_DEP_2)
	v_cmpx_ne_u32_e32 0x7f, v37
	s_cbranch_execz .LBB267_88
; %bb.85:                               ;   in Loop: Header=BB267_13 Depth=1
	v_and_b32_e32 v1, 7, v9
	v_lshrrev_b32_e32 v36, 3, v37
	s_mov_b32 s46, exec_lo
	v_cmpx_gt_u32_e32 8, v37
; %bb.86:                               ;   in Loop: Header=BB267_13 Depth=1
	s_delay_alu instid0(VALU_DEP_3) | instskip(NEXT) | instid1(VALU_DEP_1)
	v_clz_i32_u32_e32 v1, v1
	v_min_u32_e32 v1, 32, v1
	s_delay_alu instid0(VALU_DEP_1) | instskip(NEXT) | instid1(VALU_DEP_1)
	v_subrev_nc_u32_e32 v36, 28, v1
	v_lshlrev_b64_e32 v[37:38], v36, v[9:10]
	v_sub_nc_u32_e32 v36, 29, v1
	s_delay_alu instid0(VALU_DEP_2)
	v_and_b32_e32 v1, 7, v37
; %bb.87:                               ;   in Loop: Header=BB267_13 Depth=1
	s_wait_alu 0xfffe
	s_or_b32 exec_lo, exec_lo, s46
	v_lshlrev_b32_e32 v37, 8, v9
	v_lshl_add_u32 v36, v36, 10, 0x2000
	v_lshlrev_b32_e32 v1, 7, v1
	s_delay_alu instid0(VALU_DEP_3) | instskip(NEXT) | instid1(VALU_DEP_3)
	v_and_b32_e32 v37, 0x8000, v37
	v_and_b32_e32 v36, 0xfc00, v36
	s_delay_alu instid0(VALU_DEP_1)
	v_or3_b32 v36, v37, v36, v1
.LBB267_88:                             ;   in Loop: Header=BB267_13 Depth=1
	s_wait_alu 0xfffe
	s_or_b32 exec_lo, exec_lo, s45
.LBB267_89:                             ;   in Loop: Header=BB267_13 Depth=1
	s_wait_alu 0xfffe
	s_or_b32 exec_lo, exec_lo, s44
.LBB267_90:                             ;   in Loop: Header=BB267_13 Depth=1
	s_wait_alu 0xfffe
	s_or_b32 exec_lo, exec_lo, s43
	v_lshrrev_b16 v1, 8, v9
	s_mov_b32 s43, exec_lo
	s_delay_alu instid0(VALU_DEP_1)
	v_cmpx_ne_u16_e32 0, v1
	s_cbranch_execz .LBB267_98
; %bb.91:                               ;   in Loop: Header=BB267_13 Depth=1
	v_bfrev_b32_e32 v35, 1
	s_mov_b32 s44, exec_lo
	v_cmpx_ne_u16_e32 0x80, v1
	s_cbranch_execz .LBB267_97
; %bb.92:                               ;   in Loop: Header=BB267_13 Depth=1
	v_and_b32_e32 v37, 0xffff, v1
	v_mov_b32_e32 v35, 0x7c010000
	s_mov_b32 s45, exec_lo
	s_delay_alu instid0(VALU_DEP_2) | instskip(NEXT) | instid1(VALU_DEP_1)
	v_and_b32_e32 v39, 0x7f, v37
	v_cmpx_ne_u32_e32 0x7f, v39
	s_cbranch_execz .LBB267_96
; %bb.93:                               ;   in Loop: Header=BB267_13 Depth=1
	v_and_b32_e32 v35, 7, v37
	v_lshrrev_b32_e32 v38, 3, v39
	s_mov_b32 s46, exec_lo
	v_cmpx_gt_u32_e32 8, v39
; %bb.94:                               ;   in Loop: Header=BB267_13 Depth=1
	s_delay_alu instid0(VALU_DEP_3) | instskip(NEXT) | instid1(VALU_DEP_1)
	v_clz_i32_u32_e32 v35, v35
	v_min_u32_e32 v35, 32, v35
	s_delay_alu instid0(VALU_DEP_1) | instskip(NEXT) | instid1(VALU_DEP_1)
	v_subrev_nc_u32_e32 v38, 28, v35
	v_lshlrev_b64_e32 v[39:40], v38, v[1:2]
	v_sub_nc_u32_e32 v38, 29, v35
	s_delay_alu instid0(VALU_DEP_2)
	v_and_b32_e32 v35, 7, v39
; %bb.95:                               ;   in Loop: Header=BB267_13 Depth=1
	s_wait_alu 0xfffe
	s_or_b32 exec_lo, exec_lo, s46
	v_lshlrev_b32_e32 v1, 8, v37
	v_lshl_add_u32 v37, v38, 10, 0x2000
	v_lshlrev_b32_e32 v35, 23, v35
	s_delay_alu instid0(VALU_DEP_2) | instskip(NEXT) | instid1(VALU_DEP_1)
	v_and_or_b32 v1, 0x8000, v1, v37
	v_lshl_or_b32 v35, v1, 16, v35
.LBB267_96:                             ;   in Loop: Header=BB267_13 Depth=1
	s_wait_alu 0xfffe
	s_or_b32 exec_lo, exec_lo, s45
.LBB267_97:                             ;   in Loop: Header=BB267_13 Depth=1
	s_wait_alu 0xfffe
	s_or_b32 exec_lo, exec_lo, s44
.LBB267_98:                             ;   in Loop: Header=BB267_13 Depth=1
	s_wait_alu 0xfffe
	s_or_b32 exec_lo, exec_lo, s43
	v_lshrrev_b32_e32 v1, 16, v9
	v_mov_b32_e32 v37, 0
	s_mov_b32 s43, exec_lo
	s_delay_alu instid0(VALU_DEP_2) | instskip(NEXT) | instid1(VALU_DEP_1)
	v_dual_mov_b32 v38, 0 :: v_dual_and_b32 v39, 0xff, v1
	v_cmpx_ne_u16_e32 0, v39
	s_cbranch_execz .LBB267_106
; %bb.99:                               ;   in Loop: Header=BB267_13 Depth=1
	v_mov_b32_e32 v38, 0x8000
	s_mov_b32 s44, exec_lo
	v_cmpx_ne_u16_e32 0x80, v39
	s_cbranch_execz .LBB267_105
; %bb.100:                              ;   in Loop: Header=BB267_13 Depth=1
	v_bfe_u32 v40, v9, 16, 7
	v_mov_b32_e32 v38, 0x7c01
	s_mov_b32 s45, exec_lo
	s_delay_alu instid0(VALU_DEP_2)
	v_cmpx_ne_u32_e32 0x7f, v40
	s_cbranch_execz .LBB267_104
; %bb.101:                              ;   in Loop: Header=BB267_13 Depth=1
	v_and_b32_e32 v38, 7, v1
	v_lshrrev_b32_e32 v39, 3, v40
	s_mov_b32 s46, exec_lo
	v_cmpx_gt_u32_e32 8, v40
; %bb.102:                              ;   in Loop: Header=BB267_13 Depth=1
	s_delay_alu instid0(VALU_DEP_3) | instskip(NEXT) | instid1(VALU_DEP_1)
	v_clz_i32_u32_e32 v38, v38
	v_min_u32_e32 v40, 32, v38
	s_delay_alu instid0(VALU_DEP_1) | instskip(NEXT) | instid1(VALU_DEP_1)
	v_subrev_nc_u32_e32 v38, 28, v40
	v_lshlrev_b64_e32 v[38:39], v38, v[1:2]
	v_sub_nc_u32_e32 v39, 29, v40
	s_delay_alu instid0(VALU_DEP_2)
	v_and_b32_e32 v38, 7, v38
; %bb.103:                              ;   in Loop: Header=BB267_13 Depth=1
	s_wait_alu 0xfffe
	s_or_b32 exec_lo, exec_lo, s46
	v_lshlrev_b32_e32 v1, 8, v1
	v_lshl_add_u32 v39, v39, 10, 0x2000
	v_lshlrev_b32_e32 v38, 7, v38
	s_delay_alu instid0(VALU_DEP_3) | instskip(NEXT) | instid1(VALU_DEP_3)
	v_and_b32_e32 v1, 0x8000, v1
	v_and_b32_e32 v39, 0xfc00, v39
	s_delay_alu instid0(VALU_DEP_1)
	v_or3_b32 v38, v1, v39, v38
.LBB267_104:                            ;   in Loop: Header=BB267_13 Depth=1
	s_wait_alu 0xfffe
	s_or_b32 exec_lo, exec_lo, s45
.LBB267_105:                            ;   in Loop: Header=BB267_13 Depth=1
	s_wait_alu 0xfffe
	s_or_b32 exec_lo, exec_lo, s44
.LBB267_106:                            ;   in Loop: Header=BB267_13 Depth=1
	s_wait_alu 0xfffe
	s_or_b32 exec_lo, exec_lo, s43
	s_delay_alu instid0(SALU_CYCLE_1)
	s_mov_b32 s43, exec_lo
	v_cmpx_lt_u32_e32 0xffffff, v9
	s_cbranch_execz .LBB267_114
; %bb.107:                              ;   in Loop: Header=BB267_13 Depth=1
	v_lshrrev_b32_e32 v1, 24, v9
	v_bfrev_b32_e32 v37, 1
	s_mov_b32 s44, exec_lo
	s_delay_alu instid0(VALU_DEP_2)
	v_cmpx_ne_u32_e32 0x80, v1
	s_cbranch_execz .LBB267_113
; %bb.108:                              ;   in Loop: Header=BB267_13 Depth=1
	v_and_b32_e32 v39, 0x7f, v1
	v_mov_b32_e32 v37, 0x7c010000
	s_mov_b32 s45, exec_lo
	s_delay_alu instid0(VALU_DEP_2)
	v_cmpx_ne_u32_e32 0x7f, v39
	s_cbranch_execz .LBB267_112
; %bb.109:                              ;   in Loop: Header=BB267_13 Depth=1
	v_and_b32_e32 v9, 7, v1
	v_lshrrev_b32_e32 v37, 3, v39
	s_mov_b32 s46, exec_lo
	v_cmpx_gt_u32_e32 8, v39
; %bb.110:                              ;   in Loop: Header=BB267_13 Depth=1
	s_delay_alu instid0(VALU_DEP_3) | instskip(NEXT) | instid1(VALU_DEP_1)
	v_clz_i32_u32_e32 v9, v9
	v_min_u32_e32 v9, 32, v9
	s_delay_alu instid0(VALU_DEP_1) | instskip(NEXT) | instid1(VALU_DEP_1)
	v_subrev_nc_u32_e32 v37, 28, v9
	v_lshlrev_b64_e32 v[39:40], v37, v[1:2]
	v_sub_nc_u32_e32 v37, 29, v9
	s_delay_alu instid0(VALU_DEP_2)
	v_and_b32_e32 v9, 7, v39
; %bb.111:                              ;   in Loop: Header=BB267_13 Depth=1
	s_wait_alu 0xfffe
	s_or_b32 exec_lo, exec_lo, s46
	v_lshlrev_b32_e32 v1, 8, v1
	v_lshl_add_u32 v37, v37, 10, 0x2000
	v_lshlrev_b32_e32 v9, 23, v9
	s_delay_alu instid0(VALU_DEP_2) | instskip(NEXT) | instid1(VALU_DEP_1)
	v_and_or_b32 v1, 0x8000, v1, v37
	v_lshl_or_b32 v37, v1, 16, v9
.LBB267_112:                            ;   in Loop: Header=BB267_13 Depth=1
	s_wait_alu 0xfffe
	s_or_b32 exec_lo, exec_lo, s45
.LBB267_113:                            ;   in Loop: Header=BB267_13 Depth=1
	s_wait_alu 0xfffe
	s_or_b32 exec_lo, exec_lo, s44
.LBB267_114:                            ;   in Loop: Header=BB267_13 Depth=1
	s_wait_alu 0xfffe
	s_or_b32 exec_lo, exec_lo, s43
	global_load_b32 v9, v[7:8], off offset:264
	v_mov_b32_e32 v39, 0
	s_mov_b32 s43, exec_lo
	s_wait_loadcnt 0x0
	v_dual_mov_b32 v40, 0 :: v_dual_and_b32 v1, 0xff, v9
	s_delay_alu instid0(VALU_DEP_1)
	v_cmpx_ne_u16_e32 0, v1
	s_cbranch_execz .LBB267_122
; %bb.115:                              ;   in Loop: Header=BB267_13 Depth=1
	v_mov_b32_e32 v40, 0x8000
	s_mov_b32 s44, exec_lo
	v_cmpx_ne_u16_e32 0x80, v1
	s_cbranch_execz .LBB267_121
; %bb.116:                              ;   in Loop: Header=BB267_13 Depth=1
	v_and_b32_e32 v41, 0x7f, v9
	v_mov_b32_e32 v40, 0x7c01
	s_mov_b32 s45, exec_lo
	s_delay_alu instid0(VALU_DEP_2)
	v_cmpx_ne_u32_e32 0x7f, v41
	s_cbranch_execz .LBB267_120
; %bb.117:                              ;   in Loop: Header=BB267_13 Depth=1
	v_and_b32_e32 v1, 7, v9
	v_lshrrev_b32_e32 v40, 3, v41
	s_mov_b32 s46, exec_lo
	v_cmpx_gt_u32_e32 8, v41
; %bb.118:                              ;   in Loop: Header=BB267_13 Depth=1
	s_delay_alu instid0(VALU_DEP_3) | instskip(NEXT) | instid1(VALU_DEP_1)
	v_clz_i32_u32_e32 v1, v1
	v_min_u32_e32 v1, 32, v1
	s_delay_alu instid0(VALU_DEP_1) | instskip(NEXT) | instid1(VALU_DEP_1)
	v_subrev_nc_u32_e32 v40, 28, v1
	v_lshlrev_b64_e32 v[41:42], v40, v[9:10]
	v_sub_nc_u32_e32 v40, 29, v1
	s_delay_alu instid0(VALU_DEP_2)
	v_and_b32_e32 v1, 7, v41
; %bb.119:                              ;   in Loop: Header=BB267_13 Depth=1
	s_wait_alu 0xfffe
	s_or_b32 exec_lo, exec_lo, s46
	v_lshlrev_b32_e32 v41, 8, v9
	v_lshl_add_u32 v40, v40, 10, 0x2000
	v_lshlrev_b32_e32 v1, 7, v1
	s_delay_alu instid0(VALU_DEP_3) | instskip(NEXT) | instid1(VALU_DEP_3)
	v_and_b32_e32 v41, 0x8000, v41
	v_and_b32_e32 v40, 0xfc00, v40
	s_delay_alu instid0(VALU_DEP_1)
	v_or3_b32 v40, v41, v40, v1
.LBB267_120:                            ;   in Loop: Header=BB267_13 Depth=1
	s_wait_alu 0xfffe
	s_or_b32 exec_lo, exec_lo, s45
.LBB267_121:                            ;   in Loop: Header=BB267_13 Depth=1
	s_wait_alu 0xfffe
	s_or_b32 exec_lo, exec_lo, s44
.LBB267_122:                            ;   in Loop: Header=BB267_13 Depth=1
	s_wait_alu 0xfffe
	s_or_b32 exec_lo, exec_lo, s43
	v_lshrrev_b16 v1, 8, v9
	s_mov_b32 s43, exec_lo
	s_delay_alu instid0(VALU_DEP_1)
	v_cmpx_ne_u16_e32 0, v1
	s_cbranch_execz .LBB267_130
; %bb.123:                              ;   in Loop: Header=BB267_13 Depth=1
	v_bfrev_b32_e32 v39, 1
	s_mov_b32 s44, exec_lo
	v_cmpx_ne_u16_e32 0x80, v1
	s_cbranch_execz .LBB267_129
; %bb.124:                              ;   in Loop: Header=BB267_13 Depth=1
	v_and_b32_e32 v41, 0xffff, v1
	v_mov_b32_e32 v39, 0x7c010000
	s_mov_b32 s45, exec_lo
	s_delay_alu instid0(VALU_DEP_2) | instskip(NEXT) | instid1(VALU_DEP_1)
	v_and_b32_e32 v43, 0x7f, v41
	v_cmpx_ne_u32_e32 0x7f, v43
	s_cbranch_execz .LBB267_128
; %bb.125:                              ;   in Loop: Header=BB267_13 Depth=1
	v_and_b32_e32 v39, 7, v41
	v_lshrrev_b32_e32 v42, 3, v43
	s_mov_b32 s46, exec_lo
	v_cmpx_gt_u32_e32 8, v43
; %bb.126:                              ;   in Loop: Header=BB267_13 Depth=1
	s_delay_alu instid0(VALU_DEP_3) | instskip(NEXT) | instid1(VALU_DEP_1)
	v_clz_i32_u32_e32 v39, v39
	v_min_u32_e32 v39, 32, v39
	s_delay_alu instid0(VALU_DEP_1) | instskip(NEXT) | instid1(VALU_DEP_1)
	v_subrev_nc_u32_e32 v42, 28, v39
	v_lshlrev_b64_e32 v[43:44], v42, v[1:2]
	v_sub_nc_u32_e32 v42, 29, v39
	s_delay_alu instid0(VALU_DEP_2)
	v_and_b32_e32 v39, 7, v43
; %bb.127:                              ;   in Loop: Header=BB267_13 Depth=1
	s_wait_alu 0xfffe
	s_or_b32 exec_lo, exec_lo, s46
	v_lshlrev_b32_e32 v1, 8, v41
	v_lshl_add_u32 v41, v42, 10, 0x2000
	v_lshlrev_b32_e32 v39, 23, v39
	s_delay_alu instid0(VALU_DEP_2) | instskip(NEXT) | instid1(VALU_DEP_1)
	v_and_or_b32 v1, 0x8000, v1, v41
	v_lshl_or_b32 v39, v1, 16, v39
.LBB267_128:                            ;   in Loop: Header=BB267_13 Depth=1
	s_wait_alu 0xfffe
	s_or_b32 exec_lo, exec_lo, s45
.LBB267_129:                            ;   in Loop: Header=BB267_13 Depth=1
	s_wait_alu 0xfffe
	s_or_b32 exec_lo, exec_lo, s44
.LBB267_130:                            ;   in Loop: Header=BB267_13 Depth=1
	s_wait_alu 0xfffe
	s_or_b32 exec_lo, exec_lo, s43
	v_lshrrev_b32_e32 v1, 16, v9
	v_mov_b32_e32 v41, 0
	s_mov_b32 s43, exec_lo
	s_delay_alu instid0(VALU_DEP_2) | instskip(NEXT) | instid1(VALU_DEP_1)
	v_dual_mov_b32 v42, 0 :: v_dual_and_b32 v43, 0xff, v1
	v_cmpx_ne_u16_e32 0, v43
	s_cbranch_execz .LBB267_138
; %bb.131:                              ;   in Loop: Header=BB267_13 Depth=1
	v_mov_b32_e32 v42, 0x8000
	s_mov_b32 s44, exec_lo
	v_cmpx_ne_u16_e32 0x80, v43
	s_cbranch_execz .LBB267_137
; %bb.132:                              ;   in Loop: Header=BB267_13 Depth=1
	v_bfe_u32 v44, v9, 16, 7
	v_mov_b32_e32 v42, 0x7c01
	s_mov_b32 s45, exec_lo
	s_delay_alu instid0(VALU_DEP_2)
	v_cmpx_ne_u32_e32 0x7f, v44
	s_cbranch_execz .LBB267_136
; %bb.133:                              ;   in Loop: Header=BB267_13 Depth=1
	v_and_b32_e32 v42, 7, v1
	v_lshrrev_b32_e32 v43, 3, v44
	s_mov_b32 s46, exec_lo
	v_cmpx_gt_u32_e32 8, v44
; %bb.134:                              ;   in Loop: Header=BB267_13 Depth=1
	s_delay_alu instid0(VALU_DEP_3) | instskip(NEXT) | instid1(VALU_DEP_1)
	v_clz_i32_u32_e32 v42, v42
	v_min_u32_e32 v44, 32, v42
	s_delay_alu instid0(VALU_DEP_1) | instskip(NEXT) | instid1(VALU_DEP_1)
	v_subrev_nc_u32_e32 v42, 28, v44
	v_lshlrev_b64_e32 v[42:43], v42, v[1:2]
	v_sub_nc_u32_e32 v43, 29, v44
	s_delay_alu instid0(VALU_DEP_2)
	v_and_b32_e32 v42, 7, v42
; %bb.135:                              ;   in Loop: Header=BB267_13 Depth=1
	s_wait_alu 0xfffe
	s_or_b32 exec_lo, exec_lo, s46
	v_lshlrev_b32_e32 v1, 8, v1
	v_lshl_add_u32 v43, v43, 10, 0x2000
	v_lshlrev_b32_e32 v42, 7, v42
	s_delay_alu instid0(VALU_DEP_3) | instskip(NEXT) | instid1(VALU_DEP_3)
	v_and_b32_e32 v1, 0x8000, v1
	v_and_b32_e32 v43, 0xfc00, v43
	s_delay_alu instid0(VALU_DEP_1)
	v_or3_b32 v42, v1, v43, v42
.LBB267_136:                            ;   in Loop: Header=BB267_13 Depth=1
	s_wait_alu 0xfffe
	s_or_b32 exec_lo, exec_lo, s45
.LBB267_137:                            ;   in Loop: Header=BB267_13 Depth=1
	s_wait_alu 0xfffe
	s_or_b32 exec_lo, exec_lo, s44
.LBB267_138:                            ;   in Loop: Header=BB267_13 Depth=1
	s_wait_alu 0xfffe
	s_or_b32 exec_lo, exec_lo, s43
	s_delay_alu instid0(SALU_CYCLE_1)
	s_mov_b32 s43, exec_lo
	v_cmpx_lt_u32_e32 0xffffff, v9
	s_cbranch_execz .LBB267_146
; %bb.139:                              ;   in Loop: Header=BB267_13 Depth=1
	v_lshrrev_b32_e32 v1, 24, v9
	v_bfrev_b32_e32 v41, 1
	s_mov_b32 s44, exec_lo
	s_delay_alu instid0(VALU_DEP_2)
	v_cmpx_ne_u32_e32 0x80, v1
	s_cbranch_execz .LBB267_145
; %bb.140:                              ;   in Loop: Header=BB267_13 Depth=1
	v_and_b32_e32 v43, 0x7f, v1
	v_mov_b32_e32 v41, 0x7c010000
	s_mov_b32 s45, exec_lo
	s_delay_alu instid0(VALU_DEP_2)
	v_cmpx_ne_u32_e32 0x7f, v43
	s_cbranch_execz .LBB267_144
; %bb.141:                              ;   in Loop: Header=BB267_13 Depth=1
	v_and_b32_e32 v9, 7, v1
	v_lshrrev_b32_e32 v41, 3, v43
	s_mov_b32 s46, exec_lo
	v_cmpx_gt_u32_e32 8, v43
; %bb.142:                              ;   in Loop: Header=BB267_13 Depth=1
	s_delay_alu instid0(VALU_DEP_3) | instskip(NEXT) | instid1(VALU_DEP_1)
	v_clz_i32_u32_e32 v9, v9
	v_min_u32_e32 v9, 32, v9
	s_delay_alu instid0(VALU_DEP_1) | instskip(NEXT) | instid1(VALU_DEP_1)
	v_subrev_nc_u32_e32 v41, 28, v9
	v_lshlrev_b64_e32 v[43:44], v41, v[1:2]
	v_sub_nc_u32_e32 v41, 29, v9
	s_delay_alu instid0(VALU_DEP_2)
	v_and_b32_e32 v9, 7, v43
; %bb.143:                              ;   in Loop: Header=BB267_13 Depth=1
	s_wait_alu 0xfffe
	s_or_b32 exec_lo, exec_lo, s46
	v_lshlrev_b32_e32 v1, 8, v1
	v_lshl_add_u32 v41, v41, 10, 0x2000
	v_lshlrev_b32_e32 v9, 23, v9
	s_delay_alu instid0(VALU_DEP_2) | instskip(NEXT) | instid1(VALU_DEP_1)
	v_and_or_b32 v1, 0x8000, v1, v41
	v_lshl_or_b32 v41, v1, 16, v9
.LBB267_144:                            ;   in Loop: Header=BB267_13 Depth=1
	s_wait_alu 0xfffe
	s_or_b32 exec_lo, exec_lo, s45
.LBB267_145:                            ;   in Loop: Header=BB267_13 Depth=1
	s_wait_alu 0xfffe
	s_or_b32 exec_lo, exec_lo, s44
.LBB267_146:                            ;   in Loop: Header=BB267_13 Depth=1
	s_wait_alu 0xfffe
	s_or_b32 exec_lo, exec_lo, s43
	global_load_b32 v9, v[7:8], off offset:512
	v_mov_b32_e32 v43, 0
	s_mov_b32 s43, exec_lo
	s_wait_loadcnt 0x0
	v_dual_mov_b32 v44, 0 :: v_dual_and_b32 v1, 0xff, v9
	s_delay_alu instid0(VALU_DEP_1)
	v_cmpx_ne_u16_e32 0, v1
	s_cbranch_execz .LBB267_154
; %bb.147:                              ;   in Loop: Header=BB267_13 Depth=1
	v_mov_b32_e32 v44, 0x8000
	s_mov_b32 s44, exec_lo
	v_cmpx_ne_u16_e32 0x80, v1
	s_cbranch_execz .LBB267_153
; %bb.148:                              ;   in Loop: Header=BB267_13 Depth=1
	v_and_b32_e32 v45, 0x7f, v9
	v_mov_b32_e32 v44, 0x7c01
	s_mov_b32 s45, exec_lo
	s_delay_alu instid0(VALU_DEP_2)
	v_cmpx_ne_u32_e32 0x7f, v45
	s_cbranch_execz .LBB267_152
; %bb.149:                              ;   in Loop: Header=BB267_13 Depth=1
	v_and_b32_e32 v1, 7, v9
	v_lshrrev_b32_e32 v44, 3, v45
	s_mov_b32 s46, exec_lo
	v_cmpx_gt_u32_e32 8, v45
; %bb.150:                              ;   in Loop: Header=BB267_13 Depth=1
	s_delay_alu instid0(VALU_DEP_3) | instskip(NEXT) | instid1(VALU_DEP_1)
	v_clz_i32_u32_e32 v1, v1
	v_min_u32_e32 v1, 32, v1
	s_delay_alu instid0(VALU_DEP_1) | instskip(NEXT) | instid1(VALU_DEP_1)
	v_subrev_nc_u32_e32 v44, 28, v1
	v_lshlrev_b64_e32 v[45:46], v44, v[9:10]
	v_sub_nc_u32_e32 v44, 29, v1
	s_delay_alu instid0(VALU_DEP_2)
	v_and_b32_e32 v1, 7, v45
; %bb.151:                              ;   in Loop: Header=BB267_13 Depth=1
	s_wait_alu 0xfffe
	s_or_b32 exec_lo, exec_lo, s46
	v_lshlrev_b32_e32 v45, 8, v9
	v_lshl_add_u32 v44, v44, 10, 0x2000
	v_lshlrev_b32_e32 v1, 7, v1
	s_delay_alu instid0(VALU_DEP_3) | instskip(NEXT) | instid1(VALU_DEP_3)
	v_and_b32_e32 v45, 0x8000, v45
	v_and_b32_e32 v44, 0xfc00, v44
	s_delay_alu instid0(VALU_DEP_1)
	v_or3_b32 v44, v45, v44, v1
.LBB267_152:                            ;   in Loop: Header=BB267_13 Depth=1
	s_wait_alu 0xfffe
	s_or_b32 exec_lo, exec_lo, s45
.LBB267_153:                            ;   in Loop: Header=BB267_13 Depth=1
	s_wait_alu 0xfffe
	s_or_b32 exec_lo, exec_lo, s44
.LBB267_154:                            ;   in Loop: Header=BB267_13 Depth=1
	s_wait_alu 0xfffe
	s_or_b32 exec_lo, exec_lo, s43
	v_lshrrev_b16 v1, 8, v9
	s_mov_b32 s43, exec_lo
	s_delay_alu instid0(VALU_DEP_1)
	v_cmpx_ne_u16_e32 0, v1
	s_cbranch_execz .LBB267_162
; %bb.155:                              ;   in Loop: Header=BB267_13 Depth=1
	v_bfrev_b32_e32 v43, 1
	s_mov_b32 s44, exec_lo
	v_cmpx_ne_u16_e32 0x80, v1
	s_cbranch_execz .LBB267_161
; %bb.156:                              ;   in Loop: Header=BB267_13 Depth=1
	v_and_b32_e32 v45, 0xffff, v1
	v_mov_b32_e32 v43, 0x7c010000
	s_mov_b32 s45, exec_lo
	s_delay_alu instid0(VALU_DEP_2) | instskip(NEXT) | instid1(VALU_DEP_1)
	v_and_b32_e32 v47, 0x7f, v45
	v_cmpx_ne_u32_e32 0x7f, v47
	s_cbranch_execz .LBB267_160
; %bb.157:                              ;   in Loop: Header=BB267_13 Depth=1
	v_and_b32_e32 v43, 7, v45
	v_lshrrev_b32_e32 v46, 3, v47
	s_mov_b32 s46, exec_lo
	v_cmpx_gt_u32_e32 8, v47
; %bb.158:                              ;   in Loop: Header=BB267_13 Depth=1
	s_delay_alu instid0(VALU_DEP_3) | instskip(NEXT) | instid1(VALU_DEP_1)
	v_clz_i32_u32_e32 v43, v43
	v_min_u32_e32 v43, 32, v43
	s_delay_alu instid0(VALU_DEP_1) | instskip(NEXT) | instid1(VALU_DEP_1)
	v_subrev_nc_u32_e32 v46, 28, v43
	v_lshlrev_b64_e32 v[47:48], v46, v[1:2]
	v_sub_nc_u32_e32 v46, 29, v43
	s_delay_alu instid0(VALU_DEP_2)
	v_and_b32_e32 v43, 7, v47
; %bb.159:                              ;   in Loop: Header=BB267_13 Depth=1
	s_wait_alu 0xfffe
	s_or_b32 exec_lo, exec_lo, s46
	v_lshlrev_b32_e32 v1, 8, v45
	v_lshl_add_u32 v45, v46, 10, 0x2000
	v_lshlrev_b32_e32 v43, 23, v43
	s_delay_alu instid0(VALU_DEP_2) | instskip(NEXT) | instid1(VALU_DEP_1)
	v_and_or_b32 v1, 0x8000, v1, v45
	v_lshl_or_b32 v43, v1, 16, v43
.LBB267_160:                            ;   in Loop: Header=BB267_13 Depth=1
	s_wait_alu 0xfffe
	s_or_b32 exec_lo, exec_lo, s45
.LBB267_161:                            ;   in Loop: Header=BB267_13 Depth=1
	s_wait_alu 0xfffe
	s_or_b32 exec_lo, exec_lo, s44
.LBB267_162:                            ;   in Loop: Header=BB267_13 Depth=1
	s_wait_alu 0xfffe
	s_or_b32 exec_lo, exec_lo, s43
	v_lshrrev_b32_e32 v1, 16, v9
	v_mov_b32_e32 v47, 0
	s_mov_b32 s43, exec_lo
	s_delay_alu instid0(VALU_DEP_2) | instskip(NEXT) | instid1(VALU_DEP_1)
	v_dual_mov_b32 v48, 0 :: v_dual_and_b32 v45, 0xff, v1
	v_cmpx_ne_u16_e32 0, v45
	s_cbranch_execz .LBB267_170
; %bb.163:                              ;   in Loop: Header=BB267_13 Depth=1
	v_mov_b32_e32 v48, 0x8000
	s_mov_b32 s44, exec_lo
	v_cmpx_ne_u16_e32 0x80, v45
	s_cbranch_execz .LBB267_169
; %bb.164:                              ;   in Loop: Header=BB267_13 Depth=1
	v_bfe_u32 v49, v9, 16, 7
	v_mov_b32_e32 v48, 0x7c01
	s_mov_b32 s45, exec_lo
	s_delay_alu instid0(VALU_DEP_2)
	v_cmpx_ne_u32_e32 0x7f, v49
	s_cbranch_execz .LBB267_168
; %bb.165:                              ;   in Loop: Header=BB267_13 Depth=1
	v_and_b32_e32 v45, 7, v1
	v_lshrrev_b32_e32 v46, 3, v49
	s_mov_b32 s46, exec_lo
	v_cmpx_gt_u32_e32 8, v49
; %bb.166:                              ;   in Loop: Header=BB267_13 Depth=1
	s_delay_alu instid0(VALU_DEP_3) | instskip(NEXT) | instid1(VALU_DEP_1)
	v_clz_i32_u32_e32 v45, v45
	v_min_u32_e32 v48, 32, v45
	s_delay_alu instid0(VALU_DEP_1) | instskip(NEXT) | instid1(VALU_DEP_1)
	v_subrev_nc_u32_e32 v45, 28, v48
	v_lshlrev_b64_e32 v[45:46], v45, v[1:2]
	v_sub_nc_u32_e32 v46, 29, v48
	s_delay_alu instid0(VALU_DEP_2)
	v_and_b32_e32 v45, 7, v45
; %bb.167:                              ;   in Loop: Header=BB267_13 Depth=1
	s_wait_alu 0xfffe
	s_or_b32 exec_lo, exec_lo, s46
	v_lshlrev_b32_e32 v1, 8, v1
	v_lshl_add_u32 v46, v46, 10, 0x2000
	v_lshlrev_b32_e32 v45, 7, v45
	s_delay_alu instid0(VALU_DEP_3) | instskip(NEXT) | instid1(VALU_DEP_3)
	v_and_b32_e32 v1, 0x8000, v1
	v_and_b32_e32 v46, 0xfc00, v46
	s_delay_alu instid0(VALU_DEP_1)
	v_or3_b32 v48, v1, v46, v45
.LBB267_168:                            ;   in Loop: Header=BB267_13 Depth=1
	s_wait_alu 0xfffe
	s_or_b32 exec_lo, exec_lo, s45
.LBB267_169:                            ;   in Loop: Header=BB267_13 Depth=1
	s_wait_alu 0xfffe
	s_or_b32 exec_lo, exec_lo, s44
.LBB267_170:                            ;   in Loop: Header=BB267_13 Depth=1
	s_wait_alu 0xfffe
	s_or_b32 exec_lo, exec_lo, s43
	s_delay_alu instid0(SALU_CYCLE_1)
	s_mov_b32 s43, exec_lo
	v_cmpx_lt_u32_e32 0xffffff, v9
	s_cbranch_execz .LBB267_178
; %bb.171:                              ;   in Loop: Header=BB267_13 Depth=1
	v_lshrrev_b32_e32 v1, 24, v9
	v_bfrev_b32_e32 v47, 1
	s_mov_b32 s44, exec_lo
	s_delay_alu instid0(VALU_DEP_2)
	v_cmpx_ne_u32_e32 0x80, v1
	s_cbranch_execz .LBB267_177
; %bb.172:                              ;   in Loop: Header=BB267_13 Depth=1
	v_and_b32_e32 v46, 0x7f, v1
	v_mov_b32_e32 v47, 0x7c010000
	s_mov_b32 s45, exec_lo
	s_delay_alu instid0(VALU_DEP_2)
	v_cmpx_ne_u32_e32 0x7f, v46
	s_cbranch_execz .LBB267_176
; %bb.173:                              ;   in Loop: Header=BB267_13 Depth=1
	v_and_b32_e32 v9, 7, v1
	v_lshrrev_b32_e32 v45, 3, v46
	s_mov_b32 s46, exec_lo
	v_cmpx_gt_u32_e32 8, v46
; %bb.174:                              ;   in Loop: Header=BB267_13 Depth=1
	s_delay_alu instid0(VALU_DEP_3) | instskip(NEXT) | instid1(VALU_DEP_1)
	v_clz_i32_u32_e32 v9, v9
	v_min_u32_e32 v9, 32, v9
	s_delay_alu instid0(VALU_DEP_1) | instskip(NEXT) | instid1(VALU_DEP_1)
	v_subrev_nc_u32_e32 v45, 28, v9
	v_lshlrev_b64_e32 v[46:47], v45, v[1:2]
	v_sub_nc_u32_e32 v45, 29, v9
	s_delay_alu instid0(VALU_DEP_2)
	v_and_b32_e32 v9, 7, v46
; %bb.175:                              ;   in Loop: Header=BB267_13 Depth=1
	s_wait_alu 0xfffe
	s_or_b32 exec_lo, exec_lo, s46
	v_lshlrev_b32_e32 v1, 8, v1
	v_lshl_add_u32 v45, v45, 10, 0x2000
	v_lshlrev_b32_e32 v9, 23, v9
	s_delay_alu instid0(VALU_DEP_2) | instskip(NEXT) | instid1(VALU_DEP_1)
	v_and_or_b32 v1, 0x8000, v1, v45
	v_lshl_or_b32 v47, v1, 16, v9
.LBB267_176:                            ;   in Loop: Header=BB267_13 Depth=1
	s_wait_alu 0xfffe
	s_or_b32 exec_lo, exec_lo, s45
.LBB267_177:                            ;   in Loop: Header=BB267_13 Depth=1
	s_wait_alu 0xfffe
	s_or_b32 exec_lo, exec_lo, s44
.LBB267_178:                            ;   in Loop: Header=BB267_13 Depth=1
	s_wait_alu 0xfffe
	s_or_b32 exec_lo, exec_lo, s43
	global_load_b32 v9, v[7:8], off offset:520
	v_mov_b32_e32 v45, 0
	s_mov_b32 s43, exec_lo
	s_wait_loadcnt 0x0
	v_dual_mov_b32 v46, 0 :: v_dual_and_b32 v1, 0xff, v9
	s_delay_alu instid0(VALU_DEP_1)
	v_cmpx_ne_u16_e32 0, v1
	s_cbranch_execz .LBB267_186
; %bb.179:                              ;   in Loop: Header=BB267_13 Depth=1
	v_mov_b32_e32 v46, 0x8000
	s_mov_b32 s44, exec_lo
	v_cmpx_ne_u16_e32 0x80, v1
	s_cbranch_execz .LBB267_185
; %bb.180:                              ;   in Loop: Header=BB267_13 Depth=1
	v_and_b32_e32 v49, 0x7f, v9
	v_mov_b32_e32 v46, 0x7c01
	s_mov_b32 s45, exec_lo
	s_delay_alu instid0(VALU_DEP_2)
	v_cmpx_ne_u32_e32 0x7f, v49
	s_cbranch_execz .LBB267_184
; %bb.181:                              ;   in Loop: Header=BB267_13 Depth=1
	v_and_b32_e32 v1, 7, v9
	v_lshrrev_b32_e32 v46, 3, v49
	s_mov_b32 s46, exec_lo
	v_cmpx_gt_u32_e32 8, v49
; %bb.182:                              ;   in Loop: Header=BB267_13 Depth=1
	s_delay_alu instid0(VALU_DEP_3) | instskip(NEXT) | instid1(VALU_DEP_1)
	v_clz_i32_u32_e32 v1, v1
	v_min_u32_e32 v1, 32, v1
	s_delay_alu instid0(VALU_DEP_1) | instskip(NEXT) | instid1(VALU_DEP_1)
	v_subrev_nc_u32_e32 v46, 28, v1
	v_lshlrev_b64_e32 v[49:50], v46, v[9:10]
	v_sub_nc_u32_e32 v46, 29, v1
	s_delay_alu instid0(VALU_DEP_2)
	v_and_b32_e32 v1, 7, v49
; %bb.183:                              ;   in Loop: Header=BB267_13 Depth=1
	s_wait_alu 0xfffe
	s_or_b32 exec_lo, exec_lo, s46
	v_lshlrev_b32_e32 v49, 8, v9
	v_lshl_add_u32 v46, v46, 10, 0x2000
	v_lshlrev_b32_e32 v1, 7, v1
	s_delay_alu instid0(VALU_DEP_3) | instskip(NEXT) | instid1(VALU_DEP_3)
	v_and_b32_e32 v49, 0x8000, v49
	v_and_b32_e32 v46, 0xfc00, v46
	s_delay_alu instid0(VALU_DEP_1)
	v_or3_b32 v46, v49, v46, v1
.LBB267_184:                            ;   in Loop: Header=BB267_13 Depth=1
	s_wait_alu 0xfffe
	s_or_b32 exec_lo, exec_lo, s45
.LBB267_185:                            ;   in Loop: Header=BB267_13 Depth=1
	s_wait_alu 0xfffe
	s_or_b32 exec_lo, exec_lo, s44
.LBB267_186:                            ;   in Loop: Header=BB267_13 Depth=1
	s_wait_alu 0xfffe
	s_or_b32 exec_lo, exec_lo, s43
	v_lshrrev_b16 v1, 8, v9
	s_mov_b32 s43, exec_lo
	s_delay_alu instid0(VALU_DEP_1)
	v_cmpx_ne_u16_e32 0, v1
	s_cbranch_execz .LBB267_194
; %bb.187:                              ;   in Loop: Header=BB267_13 Depth=1
	v_bfrev_b32_e32 v45, 1
	s_mov_b32 s44, exec_lo
	v_cmpx_ne_u16_e32 0x80, v1
	s_cbranch_execz .LBB267_193
; %bb.188:                              ;   in Loop: Header=BB267_13 Depth=1
	v_and_b32_e32 v49, 0xffff, v1
	v_mov_b32_e32 v45, 0x7c010000
	s_mov_b32 s45, exec_lo
	s_delay_alu instid0(VALU_DEP_2) | instskip(NEXT) | instid1(VALU_DEP_1)
	v_and_b32_e32 v51, 0x7f, v49
	v_cmpx_ne_u32_e32 0x7f, v51
	s_cbranch_execz .LBB267_192
; %bb.189:                              ;   in Loop: Header=BB267_13 Depth=1
	v_and_b32_e32 v45, 7, v49
	v_lshrrev_b32_e32 v50, 3, v51
	s_mov_b32 s46, exec_lo
	v_cmpx_gt_u32_e32 8, v51
; %bb.190:                              ;   in Loop: Header=BB267_13 Depth=1
	s_delay_alu instid0(VALU_DEP_3) | instskip(NEXT) | instid1(VALU_DEP_1)
	v_clz_i32_u32_e32 v45, v45
	v_min_u32_e32 v45, 32, v45
	s_delay_alu instid0(VALU_DEP_1) | instskip(NEXT) | instid1(VALU_DEP_1)
	v_subrev_nc_u32_e32 v50, 28, v45
	v_lshlrev_b64_e32 v[51:52], v50, v[1:2]
	v_sub_nc_u32_e32 v50, 29, v45
	s_delay_alu instid0(VALU_DEP_2)
	v_and_b32_e32 v45, 7, v51
; %bb.191:                              ;   in Loop: Header=BB267_13 Depth=1
	s_wait_alu 0xfffe
	s_or_b32 exec_lo, exec_lo, s46
	v_lshlrev_b32_e32 v1, 8, v49
	v_lshl_add_u32 v49, v50, 10, 0x2000
	v_lshlrev_b32_e32 v45, 23, v45
	s_delay_alu instid0(VALU_DEP_2) | instskip(NEXT) | instid1(VALU_DEP_1)
	v_and_or_b32 v1, 0x8000, v1, v49
	v_lshl_or_b32 v45, v1, 16, v45
.LBB267_192:                            ;   in Loop: Header=BB267_13 Depth=1
	s_wait_alu 0xfffe
	s_or_b32 exec_lo, exec_lo, s45
.LBB267_193:                            ;   in Loop: Header=BB267_13 Depth=1
	s_wait_alu 0xfffe
	s_or_b32 exec_lo, exec_lo, s44
.LBB267_194:                            ;   in Loop: Header=BB267_13 Depth=1
	s_wait_alu 0xfffe
	s_or_b32 exec_lo, exec_lo, s43
	v_lshrrev_b32_e32 v1, 16, v9
	v_mov_b32_e32 v49, 0
	s_mov_b32 s43, exec_lo
	s_delay_alu instid0(VALU_DEP_2) | instskip(NEXT) | instid1(VALU_DEP_1)
	v_dual_mov_b32 v50, 0 :: v_dual_and_b32 v51, 0xff, v1
	v_cmpx_ne_u16_e32 0, v51
	s_cbranch_execz .LBB267_202
; %bb.195:                              ;   in Loop: Header=BB267_13 Depth=1
	v_mov_b32_e32 v50, 0x8000
	s_mov_b32 s44, exec_lo
	v_cmpx_ne_u16_e32 0x80, v51
	s_cbranch_execz .LBB267_201
; %bb.196:                              ;   in Loop: Header=BB267_13 Depth=1
	v_bfe_u32 v52, v9, 16, 7
	v_mov_b32_e32 v50, 0x7c01
	s_mov_b32 s45, exec_lo
	s_delay_alu instid0(VALU_DEP_2)
	v_cmpx_ne_u32_e32 0x7f, v52
	s_cbranch_execz .LBB267_200
; %bb.197:                              ;   in Loop: Header=BB267_13 Depth=1
	v_and_b32_e32 v50, 7, v1
	v_lshrrev_b32_e32 v51, 3, v52
	s_mov_b32 s46, exec_lo
	v_cmpx_gt_u32_e32 8, v52
; %bb.198:                              ;   in Loop: Header=BB267_13 Depth=1
	s_delay_alu instid0(VALU_DEP_3) | instskip(NEXT) | instid1(VALU_DEP_1)
	v_clz_i32_u32_e32 v50, v50
	v_min_u32_e32 v52, 32, v50
	s_delay_alu instid0(VALU_DEP_1) | instskip(NEXT) | instid1(VALU_DEP_1)
	v_subrev_nc_u32_e32 v50, 28, v52
	v_lshlrev_b64_e32 v[50:51], v50, v[1:2]
	v_sub_nc_u32_e32 v51, 29, v52
	s_delay_alu instid0(VALU_DEP_2)
	v_and_b32_e32 v50, 7, v50
; %bb.199:                              ;   in Loop: Header=BB267_13 Depth=1
	s_wait_alu 0xfffe
	s_or_b32 exec_lo, exec_lo, s46
	v_lshlrev_b32_e32 v1, 8, v1
	v_lshl_add_u32 v51, v51, 10, 0x2000
	v_lshlrev_b32_e32 v50, 7, v50
	s_delay_alu instid0(VALU_DEP_3) | instskip(NEXT) | instid1(VALU_DEP_3)
	v_and_b32_e32 v1, 0x8000, v1
	v_and_b32_e32 v51, 0xfc00, v51
	s_delay_alu instid0(VALU_DEP_1)
	v_or3_b32 v50, v1, v51, v50
.LBB267_200:                            ;   in Loop: Header=BB267_13 Depth=1
	s_wait_alu 0xfffe
	s_or_b32 exec_lo, exec_lo, s45
.LBB267_201:                            ;   in Loop: Header=BB267_13 Depth=1
	s_wait_alu 0xfffe
	s_or_b32 exec_lo, exec_lo, s44
.LBB267_202:                            ;   in Loop: Header=BB267_13 Depth=1
	s_wait_alu 0xfffe
	s_or_b32 exec_lo, exec_lo, s43
	s_delay_alu instid0(SALU_CYCLE_1)
	s_mov_b32 s43, exec_lo
	v_cmpx_lt_u32_e32 0xffffff, v9
	s_cbranch_execz .LBB267_210
; %bb.203:                              ;   in Loop: Header=BB267_13 Depth=1
	v_lshrrev_b32_e32 v1, 24, v9
	v_bfrev_b32_e32 v49, 1
	s_mov_b32 s44, exec_lo
	s_delay_alu instid0(VALU_DEP_2)
	v_cmpx_ne_u32_e32 0x80, v1
	s_cbranch_execz .LBB267_209
; %bb.204:                              ;   in Loop: Header=BB267_13 Depth=1
	v_and_b32_e32 v51, 0x7f, v1
	v_mov_b32_e32 v49, 0x7c010000
	s_mov_b32 s45, exec_lo
	s_delay_alu instid0(VALU_DEP_2)
	v_cmpx_ne_u32_e32 0x7f, v51
	s_cbranch_execz .LBB267_208
; %bb.205:                              ;   in Loop: Header=BB267_13 Depth=1
	v_and_b32_e32 v9, 7, v1
	v_lshrrev_b32_e32 v49, 3, v51
	s_mov_b32 s46, exec_lo
	v_cmpx_gt_u32_e32 8, v51
; %bb.206:                              ;   in Loop: Header=BB267_13 Depth=1
	s_delay_alu instid0(VALU_DEP_3) | instskip(NEXT) | instid1(VALU_DEP_1)
	v_clz_i32_u32_e32 v9, v9
	v_min_u32_e32 v9, 32, v9
	s_delay_alu instid0(VALU_DEP_1) | instskip(NEXT) | instid1(VALU_DEP_1)
	v_subrev_nc_u32_e32 v49, 28, v9
	v_lshlrev_b64_e32 v[51:52], v49, v[1:2]
	v_sub_nc_u32_e32 v49, 29, v9
	s_delay_alu instid0(VALU_DEP_2)
	v_and_b32_e32 v9, 7, v51
; %bb.207:                              ;   in Loop: Header=BB267_13 Depth=1
	s_wait_alu 0xfffe
	s_or_b32 exec_lo, exec_lo, s46
	v_lshlrev_b32_e32 v1, 8, v1
	v_lshl_add_u32 v49, v49, 10, 0x2000
	v_lshlrev_b32_e32 v9, 23, v9
	s_delay_alu instid0(VALU_DEP_2) | instskip(NEXT) | instid1(VALU_DEP_1)
	v_and_or_b32 v1, 0x8000, v1, v49
	v_lshl_or_b32 v49, v1, 16, v9
.LBB267_208:                            ;   in Loop: Header=BB267_13 Depth=1
	s_wait_alu 0xfffe
	s_or_b32 exec_lo, exec_lo, s45
.LBB267_209:                            ;   in Loop: Header=BB267_13 Depth=1
	s_wait_alu 0xfffe
	s_or_b32 exec_lo, exec_lo, s44
.LBB267_210:                            ;   in Loop: Header=BB267_13 Depth=1
	s_wait_alu 0xfffe
	s_or_b32 exec_lo, exec_lo, s43
	global_load_b32 v9, v[7:8], off offset:768
	v_mov_b32_e32 v51, 0
	s_mov_b32 s43, exec_lo
	s_wait_loadcnt 0x0
	v_dual_mov_b32 v52, 0 :: v_dual_and_b32 v1, 0xff, v9
	s_delay_alu instid0(VALU_DEP_1)
	v_cmpx_ne_u16_e32 0, v1
	s_cbranch_execz .LBB267_218
; %bb.211:                              ;   in Loop: Header=BB267_13 Depth=1
	v_mov_b32_e32 v52, 0x8000
	s_mov_b32 s44, exec_lo
	v_cmpx_ne_u16_e32 0x80, v1
	s_cbranch_execz .LBB267_217
; %bb.212:                              ;   in Loop: Header=BB267_13 Depth=1
	v_and_b32_e32 v53, 0x7f, v9
	v_mov_b32_e32 v52, 0x7c01
	s_mov_b32 s45, exec_lo
	s_delay_alu instid0(VALU_DEP_2)
	v_cmpx_ne_u32_e32 0x7f, v53
	s_cbranch_execz .LBB267_216
; %bb.213:                              ;   in Loop: Header=BB267_13 Depth=1
	v_and_b32_e32 v1, 7, v9
	v_lshrrev_b32_e32 v52, 3, v53
	s_mov_b32 s46, exec_lo
	v_cmpx_gt_u32_e32 8, v53
; %bb.214:                              ;   in Loop: Header=BB267_13 Depth=1
	s_delay_alu instid0(VALU_DEP_3) | instskip(NEXT) | instid1(VALU_DEP_1)
	v_clz_i32_u32_e32 v1, v1
	v_min_u32_e32 v1, 32, v1
	s_delay_alu instid0(VALU_DEP_1) | instskip(NEXT) | instid1(VALU_DEP_1)
	v_subrev_nc_u32_e32 v52, 28, v1
	v_lshlrev_b64_e32 v[53:54], v52, v[9:10]
	v_sub_nc_u32_e32 v52, 29, v1
	s_delay_alu instid0(VALU_DEP_2)
	v_and_b32_e32 v1, 7, v53
; %bb.215:                              ;   in Loop: Header=BB267_13 Depth=1
	s_wait_alu 0xfffe
	s_or_b32 exec_lo, exec_lo, s46
	v_lshlrev_b32_e32 v53, 8, v9
	v_lshl_add_u32 v52, v52, 10, 0x2000
	v_lshlrev_b32_e32 v1, 7, v1
	s_delay_alu instid0(VALU_DEP_3) | instskip(NEXT) | instid1(VALU_DEP_3)
	v_and_b32_e32 v53, 0x8000, v53
	v_and_b32_e32 v52, 0xfc00, v52
	s_delay_alu instid0(VALU_DEP_1)
	v_or3_b32 v52, v53, v52, v1
.LBB267_216:                            ;   in Loop: Header=BB267_13 Depth=1
	s_wait_alu 0xfffe
	s_or_b32 exec_lo, exec_lo, s45
.LBB267_217:                            ;   in Loop: Header=BB267_13 Depth=1
	s_wait_alu 0xfffe
	s_or_b32 exec_lo, exec_lo, s44
.LBB267_218:                            ;   in Loop: Header=BB267_13 Depth=1
	s_wait_alu 0xfffe
	s_or_b32 exec_lo, exec_lo, s43
	v_lshrrev_b16 v1, 8, v9
	s_mov_b32 s43, exec_lo
	s_delay_alu instid0(VALU_DEP_1)
	v_cmpx_ne_u16_e32 0, v1
	s_cbranch_execz .LBB267_226
; %bb.219:                              ;   in Loop: Header=BB267_13 Depth=1
	v_bfrev_b32_e32 v51, 1
	s_mov_b32 s44, exec_lo
	v_cmpx_ne_u16_e32 0x80, v1
	s_cbranch_execz .LBB267_225
; %bb.220:                              ;   in Loop: Header=BB267_13 Depth=1
	v_and_b32_e32 v53, 0xffff, v1
	v_mov_b32_e32 v51, 0x7c010000
	s_mov_b32 s45, exec_lo
	s_delay_alu instid0(VALU_DEP_2) | instskip(NEXT) | instid1(VALU_DEP_1)
	v_and_b32_e32 v55, 0x7f, v53
	v_cmpx_ne_u32_e32 0x7f, v55
	s_cbranch_execz .LBB267_224
; %bb.221:                              ;   in Loop: Header=BB267_13 Depth=1
	v_and_b32_e32 v51, 7, v53
	v_lshrrev_b32_e32 v54, 3, v55
	s_mov_b32 s46, exec_lo
	v_cmpx_gt_u32_e32 8, v55
; %bb.222:                              ;   in Loop: Header=BB267_13 Depth=1
	s_delay_alu instid0(VALU_DEP_3) | instskip(NEXT) | instid1(VALU_DEP_1)
	v_clz_i32_u32_e32 v51, v51
	v_min_u32_e32 v51, 32, v51
	s_delay_alu instid0(VALU_DEP_1) | instskip(NEXT) | instid1(VALU_DEP_1)
	v_subrev_nc_u32_e32 v54, 28, v51
	v_lshlrev_b64_e32 v[55:56], v54, v[1:2]
	v_sub_nc_u32_e32 v54, 29, v51
	s_delay_alu instid0(VALU_DEP_2)
	v_and_b32_e32 v51, 7, v55
; %bb.223:                              ;   in Loop: Header=BB267_13 Depth=1
	s_wait_alu 0xfffe
	s_or_b32 exec_lo, exec_lo, s46
	v_lshlrev_b32_e32 v1, 8, v53
	v_lshl_add_u32 v53, v54, 10, 0x2000
	v_lshlrev_b32_e32 v51, 23, v51
	s_delay_alu instid0(VALU_DEP_2) | instskip(NEXT) | instid1(VALU_DEP_1)
	v_and_or_b32 v1, 0x8000, v1, v53
	v_lshl_or_b32 v51, v1, 16, v51
.LBB267_224:                            ;   in Loop: Header=BB267_13 Depth=1
	s_wait_alu 0xfffe
	s_or_b32 exec_lo, exec_lo, s45
.LBB267_225:                            ;   in Loop: Header=BB267_13 Depth=1
	s_wait_alu 0xfffe
	s_or_b32 exec_lo, exec_lo, s44
.LBB267_226:                            ;   in Loop: Header=BB267_13 Depth=1
	s_wait_alu 0xfffe
	s_or_b32 exec_lo, exec_lo, s43
	v_lshrrev_b32_e32 v1, 16, v9
	v_mov_b32_e32 v53, 0
	s_mov_b32 s43, exec_lo
	s_delay_alu instid0(VALU_DEP_2) | instskip(NEXT) | instid1(VALU_DEP_1)
	v_dual_mov_b32 v54, 0 :: v_dual_and_b32 v55, 0xff, v1
	v_cmpx_ne_u16_e32 0, v55
	s_cbranch_execz .LBB267_234
; %bb.227:                              ;   in Loop: Header=BB267_13 Depth=1
	v_mov_b32_e32 v54, 0x8000
	s_mov_b32 s44, exec_lo
	v_cmpx_ne_u16_e32 0x80, v55
	s_cbranch_execz .LBB267_233
; %bb.228:                              ;   in Loop: Header=BB267_13 Depth=1
	v_bfe_u32 v56, v9, 16, 7
	v_mov_b32_e32 v54, 0x7c01
	s_mov_b32 s45, exec_lo
	s_delay_alu instid0(VALU_DEP_2)
	v_cmpx_ne_u32_e32 0x7f, v56
	s_cbranch_execz .LBB267_232
; %bb.229:                              ;   in Loop: Header=BB267_13 Depth=1
	v_and_b32_e32 v54, 7, v1
	v_lshrrev_b32_e32 v55, 3, v56
	s_mov_b32 s46, exec_lo
	v_cmpx_gt_u32_e32 8, v56
; %bb.230:                              ;   in Loop: Header=BB267_13 Depth=1
	s_delay_alu instid0(VALU_DEP_3) | instskip(NEXT) | instid1(VALU_DEP_1)
	v_clz_i32_u32_e32 v54, v54
	v_min_u32_e32 v56, 32, v54
	s_delay_alu instid0(VALU_DEP_1) | instskip(NEXT) | instid1(VALU_DEP_1)
	v_subrev_nc_u32_e32 v54, 28, v56
	v_lshlrev_b64_e32 v[54:55], v54, v[1:2]
	v_sub_nc_u32_e32 v55, 29, v56
	s_delay_alu instid0(VALU_DEP_2)
	v_and_b32_e32 v54, 7, v54
; %bb.231:                              ;   in Loop: Header=BB267_13 Depth=1
	s_wait_alu 0xfffe
	s_or_b32 exec_lo, exec_lo, s46
	v_lshlrev_b32_e32 v1, 8, v1
	v_lshl_add_u32 v55, v55, 10, 0x2000
	v_lshlrev_b32_e32 v54, 7, v54
	s_delay_alu instid0(VALU_DEP_3) | instskip(NEXT) | instid1(VALU_DEP_3)
	v_and_b32_e32 v1, 0x8000, v1
	v_and_b32_e32 v55, 0xfc00, v55
	s_delay_alu instid0(VALU_DEP_1)
	v_or3_b32 v54, v1, v55, v54
.LBB267_232:                            ;   in Loop: Header=BB267_13 Depth=1
	s_wait_alu 0xfffe
	s_or_b32 exec_lo, exec_lo, s45
.LBB267_233:                            ;   in Loop: Header=BB267_13 Depth=1
	s_wait_alu 0xfffe
	s_or_b32 exec_lo, exec_lo, s44
.LBB267_234:                            ;   in Loop: Header=BB267_13 Depth=1
	s_wait_alu 0xfffe
	s_or_b32 exec_lo, exec_lo, s43
	s_delay_alu instid0(SALU_CYCLE_1)
	s_mov_b32 s43, exec_lo
	v_cmpx_lt_u32_e32 0xffffff, v9
	s_cbranch_execz .LBB267_242
; %bb.235:                              ;   in Loop: Header=BB267_13 Depth=1
	v_lshrrev_b32_e32 v1, 24, v9
	v_bfrev_b32_e32 v53, 1
	s_mov_b32 s44, exec_lo
	s_delay_alu instid0(VALU_DEP_2)
	v_cmpx_ne_u32_e32 0x80, v1
	s_cbranch_execz .LBB267_241
; %bb.236:                              ;   in Loop: Header=BB267_13 Depth=1
	v_and_b32_e32 v55, 0x7f, v1
	v_mov_b32_e32 v53, 0x7c010000
	s_mov_b32 s45, exec_lo
	s_delay_alu instid0(VALU_DEP_2)
	v_cmpx_ne_u32_e32 0x7f, v55
	s_cbranch_execz .LBB267_240
; %bb.237:                              ;   in Loop: Header=BB267_13 Depth=1
	v_and_b32_e32 v9, 7, v1
	v_lshrrev_b32_e32 v53, 3, v55
	s_mov_b32 s46, exec_lo
	v_cmpx_gt_u32_e32 8, v55
; %bb.238:                              ;   in Loop: Header=BB267_13 Depth=1
	s_delay_alu instid0(VALU_DEP_3) | instskip(NEXT) | instid1(VALU_DEP_1)
	v_clz_i32_u32_e32 v9, v9
	v_min_u32_e32 v9, 32, v9
	s_delay_alu instid0(VALU_DEP_1) | instskip(NEXT) | instid1(VALU_DEP_1)
	v_subrev_nc_u32_e32 v53, 28, v9
	v_lshlrev_b64_e32 v[55:56], v53, v[1:2]
	v_sub_nc_u32_e32 v53, 29, v9
	s_delay_alu instid0(VALU_DEP_2)
	v_and_b32_e32 v9, 7, v55
; %bb.239:                              ;   in Loop: Header=BB267_13 Depth=1
	s_wait_alu 0xfffe
	s_or_b32 exec_lo, exec_lo, s46
	v_lshlrev_b32_e32 v1, 8, v1
	v_lshl_add_u32 v53, v53, 10, 0x2000
	v_lshlrev_b32_e32 v9, 23, v9
	s_delay_alu instid0(VALU_DEP_2) | instskip(NEXT) | instid1(VALU_DEP_1)
	v_and_or_b32 v1, 0x8000, v1, v53
	v_lshl_or_b32 v53, v1, 16, v9
.LBB267_240:                            ;   in Loop: Header=BB267_13 Depth=1
	s_wait_alu 0xfffe
	s_or_b32 exec_lo, exec_lo, s45
.LBB267_241:                            ;   in Loop: Header=BB267_13 Depth=1
	s_wait_alu 0xfffe
	s_or_b32 exec_lo, exec_lo, s44
.LBB267_242:                            ;   in Loop: Header=BB267_13 Depth=1
	s_wait_alu 0xfffe
	s_or_b32 exec_lo, exec_lo, s43
	global_load_b32 v9, v[7:8], off offset:776
	v_mov_b32_e32 v55, 0
	s_mov_b32 s43, exec_lo
	s_wait_loadcnt 0x0
	v_dual_mov_b32 v56, 0 :: v_dual_and_b32 v1, 0xff, v9
	s_delay_alu instid0(VALU_DEP_1)
	v_cmpx_ne_u16_e32 0, v1
	s_cbranch_execz .LBB267_250
; %bb.243:                              ;   in Loop: Header=BB267_13 Depth=1
	v_mov_b32_e32 v56, 0x8000
	s_mov_b32 s44, exec_lo
	v_cmpx_ne_u16_e32 0x80, v1
	s_cbranch_execz .LBB267_249
; %bb.244:                              ;   in Loop: Header=BB267_13 Depth=1
	v_and_b32_e32 v57, 0x7f, v9
	v_mov_b32_e32 v56, 0x7c01
	s_mov_b32 s45, exec_lo
	s_delay_alu instid0(VALU_DEP_2)
	v_cmpx_ne_u32_e32 0x7f, v57
	s_cbranch_execz .LBB267_248
; %bb.245:                              ;   in Loop: Header=BB267_13 Depth=1
	v_and_b32_e32 v1, 7, v9
	v_lshrrev_b32_e32 v56, 3, v57
	s_mov_b32 s46, exec_lo
	v_cmpx_gt_u32_e32 8, v57
; %bb.246:                              ;   in Loop: Header=BB267_13 Depth=1
	s_delay_alu instid0(VALU_DEP_3) | instskip(NEXT) | instid1(VALU_DEP_1)
	v_clz_i32_u32_e32 v1, v1
	v_min_u32_e32 v1, 32, v1
	s_delay_alu instid0(VALU_DEP_1) | instskip(NEXT) | instid1(VALU_DEP_1)
	v_subrev_nc_u32_e32 v56, 28, v1
	v_lshlrev_b64_e32 v[57:58], v56, v[9:10]
	v_sub_nc_u32_e32 v56, 29, v1
	s_delay_alu instid0(VALU_DEP_2)
	v_and_b32_e32 v1, 7, v57
; %bb.247:                              ;   in Loop: Header=BB267_13 Depth=1
	s_wait_alu 0xfffe
	s_or_b32 exec_lo, exec_lo, s46
	v_lshlrev_b32_e32 v57, 8, v9
	v_lshl_add_u32 v56, v56, 10, 0x2000
	v_lshlrev_b32_e32 v1, 7, v1
	s_delay_alu instid0(VALU_DEP_3) | instskip(NEXT) | instid1(VALU_DEP_3)
	v_and_b32_e32 v57, 0x8000, v57
	v_and_b32_e32 v56, 0xfc00, v56
	s_delay_alu instid0(VALU_DEP_1)
	v_or3_b32 v56, v57, v56, v1
.LBB267_248:                            ;   in Loop: Header=BB267_13 Depth=1
	s_wait_alu 0xfffe
	s_or_b32 exec_lo, exec_lo, s45
.LBB267_249:                            ;   in Loop: Header=BB267_13 Depth=1
	s_wait_alu 0xfffe
	s_or_b32 exec_lo, exec_lo, s44
.LBB267_250:                            ;   in Loop: Header=BB267_13 Depth=1
	s_wait_alu 0xfffe
	s_or_b32 exec_lo, exec_lo, s43
	v_lshrrev_b16 v1, 8, v9
	s_mov_b32 s43, exec_lo
	s_delay_alu instid0(VALU_DEP_1)
	v_cmpx_ne_u16_e32 0, v1
	s_cbranch_execz .LBB267_258
; %bb.251:                              ;   in Loop: Header=BB267_13 Depth=1
	v_bfrev_b32_e32 v55, 1
	s_mov_b32 s44, exec_lo
	v_cmpx_ne_u16_e32 0x80, v1
	s_cbranch_execz .LBB267_257
; %bb.252:                              ;   in Loop: Header=BB267_13 Depth=1
	v_and_b32_e32 v57, 0xffff, v1
	v_mov_b32_e32 v55, 0x7c010000
	s_mov_b32 s45, exec_lo
	s_delay_alu instid0(VALU_DEP_2) | instskip(NEXT) | instid1(VALU_DEP_1)
	v_and_b32_e32 v59, 0x7f, v57
	v_cmpx_ne_u32_e32 0x7f, v59
	s_cbranch_execz .LBB267_256
; %bb.253:                              ;   in Loop: Header=BB267_13 Depth=1
	v_and_b32_e32 v55, 7, v57
	v_lshrrev_b32_e32 v58, 3, v59
	s_mov_b32 s46, exec_lo
	v_cmpx_gt_u32_e32 8, v59
; %bb.254:                              ;   in Loop: Header=BB267_13 Depth=1
	s_delay_alu instid0(VALU_DEP_3) | instskip(NEXT) | instid1(VALU_DEP_1)
	v_clz_i32_u32_e32 v55, v55
	v_min_u32_e32 v55, 32, v55
	s_delay_alu instid0(VALU_DEP_1) | instskip(NEXT) | instid1(VALU_DEP_1)
	v_subrev_nc_u32_e32 v58, 28, v55
	v_lshlrev_b64_e32 v[59:60], v58, v[1:2]
	v_sub_nc_u32_e32 v58, 29, v55
	s_delay_alu instid0(VALU_DEP_2)
	v_and_b32_e32 v55, 7, v59
; %bb.255:                              ;   in Loop: Header=BB267_13 Depth=1
	s_wait_alu 0xfffe
	s_or_b32 exec_lo, exec_lo, s46
	v_lshlrev_b32_e32 v1, 8, v57
	v_lshl_add_u32 v57, v58, 10, 0x2000
	v_lshlrev_b32_e32 v55, 23, v55
	s_delay_alu instid0(VALU_DEP_2) | instskip(NEXT) | instid1(VALU_DEP_1)
	v_and_or_b32 v1, 0x8000, v1, v57
	v_lshl_or_b32 v55, v1, 16, v55
.LBB267_256:                            ;   in Loop: Header=BB267_13 Depth=1
	s_wait_alu 0xfffe
	s_or_b32 exec_lo, exec_lo, s45
.LBB267_257:                            ;   in Loop: Header=BB267_13 Depth=1
	s_wait_alu 0xfffe
	s_or_b32 exec_lo, exec_lo, s44
.LBB267_258:                            ;   in Loop: Header=BB267_13 Depth=1
	s_wait_alu 0xfffe
	s_or_b32 exec_lo, exec_lo, s43
	v_lshrrev_b32_e32 v1, 16, v9
	v_mov_b32_e32 v57, 0
	s_mov_b32 s43, exec_lo
	s_delay_alu instid0(VALU_DEP_2) | instskip(NEXT) | instid1(VALU_DEP_1)
	v_dual_mov_b32 v58, 0 :: v_dual_and_b32 v59, 0xff, v1
	v_cmpx_ne_u16_e32 0, v59
	s_cbranch_execz .LBB267_266
; %bb.259:                              ;   in Loop: Header=BB267_13 Depth=1
	v_mov_b32_e32 v58, 0x8000
	s_mov_b32 s44, exec_lo
	v_cmpx_ne_u16_e32 0x80, v59
	s_cbranch_execz .LBB267_265
; %bb.260:                              ;   in Loop: Header=BB267_13 Depth=1
	v_bfe_u32 v60, v9, 16, 7
	v_mov_b32_e32 v58, 0x7c01
	s_mov_b32 s45, exec_lo
	s_delay_alu instid0(VALU_DEP_2)
	v_cmpx_ne_u32_e32 0x7f, v60
	s_cbranch_execz .LBB267_264
; %bb.261:                              ;   in Loop: Header=BB267_13 Depth=1
	v_and_b32_e32 v58, 7, v1
	v_lshrrev_b32_e32 v59, 3, v60
	s_mov_b32 s46, exec_lo
	v_cmpx_gt_u32_e32 8, v60
; %bb.262:                              ;   in Loop: Header=BB267_13 Depth=1
	s_delay_alu instid0(VALU_DEP_3) | instskip(NEXT) | instid1(VALU_DEP_1)
	v_clz_i32_u32_e32 v58, v58
	v_min_u32_e32 v60, 32, v58
	s_delay_alu instid0(VALU_DEP_1) | instskip(NEXT) | instid1(VALU_DEP_1)
	v_subrev_nc_u32_e32 v58, 28, v60
	v_lshlrev_b64_e32 v[58:59], v58, v[1:2]
	v_sub_nc_u32_e32 v59, 29, v60
	s_delay_alu instid0(VALU_DEP_2)
	v_and_b32_e32 v58, 7, v58
; %bb.263:                              ;   in Loop: Header=BB267_13 Depth=1
	s_wait_alu 0xfffe
	s_or_b32 exec_lo, exec_lo, s46
	v_lshlrev_b32_e32 v1, 8, v1
	v_lshl_add_u32 v59, v59, 10, 0x2000
	v_lshlrev_b32_e32 v58, 7, v58
	s_delay_alu instid0(VALU_DEP_3) | instskip(NEXT) | instid1(VALU_DEP_3)
	v_and_b32_e32 v1, 0x8000, v1
	v_and_b32_e32 v59, 0xfc00, v59
	s_delay_alu instid0(VALU_DEP_1)
	v_or3_b32 v58, v1, v59, v58
.LBB267_264:                            ;   in Loop: Header=BB267_13 Depth=1
	s_wait_alu 0xfffe
	s_or_b32 exec_lo, exec_lo, s45
.LBB267_265:                            ;   in Loop: Header=BB267_13 Depth=1
	s_wait_alu 0xfffe
	s_or_b32 exec_lo, exec_lo, s44
.LBB267_266:                            ;   in Loop: Header=BB267_13 Depth=1
	s_wait_alu 0xfffe
	s_or_b32 exec_lo, exec_lo, s43
	s_delay_alu instid0(SALU_CYCLE_1)
	s_mov_b32 s43, exec_lo
	v_cmpx_lt_u32_e32 0xffffff, v9
	s_cbranch_execz .LBB267_274
; %bb.267:                              ;   in Loop: Header=BB267_13 Depth=1
	v_lshrrev_b32_e32 v1, 24, v9
	v_bfrev_b32_e32 v57, 1
	s_mov_b32 s44, exec_lo
	s_delay_alu instid0(VALU_DEP_2)
	v_cmpx_ne_u32_e32 0x80, v1
	s_cbranch_execz .LBB267_273
; %bb.268:                              ;   in Loop: Header=BB267_13 Depth=1
	v_and_b32_e32 v59, 0x7f, v1
	v_mov_b32_e32 v57, 0x7c010000
	s_mov_b32 s45, exec_lo
	s_delay_alu instid0(VALU_DEP_2)
	v_cmpx_ne_u32_e32 0x7f, v59
	s_cbranch_execz .LBB267_272
; %bb.269:                              ;   in Loop: Header=BB267_13 Depth=1
	v_and_b32_e32 v9, 7, v1
	v_lshrrev_b32_e32 v57, 3, v59
	s_mov_b32 s46, exec_lo
	v_cmpx_gt_u32_e32 8, v59
; %bb.270:                              ;   in Loop: Header=BB267_13 Depth=1
	s_delay_alu instid0(VALU_DEP_3) | instskip(NEXT) | instid1(VALU_DEP_1)
	v_clz_i32_u32_e32 v9, v9
	v_min_u32_e32 v9, 32, v9
	s_delay_alu instid0(VALU_DEP_1) | instskip(NEXT) | instid1(VALU_DEP_1)
	v_subrev_nc_u32_e32 v57, 28, v9
	v_lshlrev_b64_e32 v[59:60], v57, v[1:2]
	v_sub_nc_u32_e32 v57, 29, v9
	s_delay_alu instid0(VALU_DEP_2)
	v_and_b32_e32 v9, 7, v59
; %bb.271:                              ;   in Loop: Header=BB267_13 Depth=1
	s_wait_alu 0xfffe
	s_or_b32 exec_lo, exec_lo, s46
	v_lshlrev_b32_e32 v1, 8, v1
	v_lshl_add_u32 v57, v57, 10, 0x2000
	v_lshlrev_b32_e32 v9, 23, v9
	s_delay_alu instid0(VALU_DEP_2) | instskip(NEXT) | instid1(VALU_DEP_1)
	v_and_or_b32 v1, 0x8000, v1, v57
	v_lshl_or_b32 v57, v1, 16, v9
.LBB267_272:                            ;   in Loop: Header=BB267_13 Depth=1
	s_wait_alu 0xfffe
	s_or_b32 exec_lo, exec_lo, s45
.LBB267_273:                            ;   in Loop: Header=BB267_13 Depth=1
	s_wait_alu 0xfffe
	s_or_b32 exec_lo, exec_lo, s44
.LBB267_274:                            ;   in Loop: Header=BB267_13 Depth=1
	s_wait_alu 0xfffe
	s_or_b32 exec_lo, exec_lo, s43
	global_load_b32 v9, v[7:8], off offset:1024
	v_mov_b32_e32 v59, 0
	s_mov_b32 s43, exec_lo
	s_wait_loadcnt 0x0
	v_dual_mov_b32 v60, 0 :: v_dual_and_b32 v1, 0xff, v9
	s_delay_alu instid0(VALU_DEP_1)
	v_cmpx_ne_u16_e32 0, v1
	s_cbranch_execz .LBB267_282
; %bb.275:                              ;   in Loop: Header=BB267_13 Depth=1
	v_mov_b32_e32 v60, 0x8000
	s_mov_b32 s44, exec_lo
	v_cmpx_ne_u16_e32 0x80, v1
	s_cbranch_execz .LBB267_281
; %bb.276:                              ;   in Loop: Header=BB267_13 Depth=1
	v_and_b32_e32 v61, 0x7f, v9
	v_mov_b32_e32 v60, 0x7c01
	s_mov_b32 s45, exec_lo
	s_delay_alu instid0(VALU_DEP_2)
	v_cmpx_ne_u32_e32 0x7f, v61
	s_cbranch_execz .LBB267_280
; %bb.277:                              ;   in Loop: Header=BB267_13 Depth=1
	v_and_b32_e32 v1, 7, v9
	v_lshrrev_b32_e32 v60, 3, v61
	s_mov_b32 s46, exec_lo
	v_cmpx_gt_u32_e32 8, v61
; %bb.278:                              ;   in Loop: Header=BB267_13 Depth=1
	s_delay_alu instid0(VALU_DEP_3) | instskip(NEXT) | instid1(VALU_DEP_1)
	v_clz_i32_u32_e32 v1, v1
	v_min_u32_e32 v1, 32, v1
	s_delay_alu instid0(VALU_DEP_1) | instskip(NEXT) | instid1(VALU_DEP_1)
	v_subrev_nc_u32_e32 v60, 28, v1
	v_lshlrev_b64_e32 v[61:62], v60, v[9:10]
	v_sub_nc_u32_e32 v60, 29, v1
	s_delay_alu instid0(VALU_DEP_2)
	v_and_b32_e32 v1, 7, v61
; %bb.279:                              ;   in Loop: Header=BB267_13 Depth=1
	s_wait_alu 0xfffe
	s_or_b32 exec_lo, exec_lo, s46
	v_lshlrev_b32_e32 v61, 8, v9
	v_lshl_add_u32 v60, v60, 10, 0x2000
	v_lshlrev_b32_e32 v1, 7, v1
	s_delay_alu instid0(VALU_DEP_3) | instskip(NEXT) | instid1(VALU_DEP_3)
	v_and_b32_e32 v61, 0x8000, v61
	v_and_b32_e32 v60, 0xfc00, v60
	s_delay_alu instid0(VALU_DEP_1)
	v_or3_b32 v60, v61, v60, v1
.LBB267_280:                            ;   in Loop: Header=BB267_13 Depth=1
	s_wait_alu 0xfffe
	s_or_b32 exec_lo, exec_lo, s45
.LBB267_281:                            ;   in Loop: Header=BB267_13 Depth=1
	s_wait_alu 0xfffe
	s_or_b32 exec_lo, exec_lo, s44
.LBB267_282:                            ;   in Loop: Header=BB267_13 Depth=1
	s_wait_alu 0xfffe
	s_or_b32 exec_lo, exec_lo, s43
	v_lshrrev_b16 v1, 8, v9
	s_mov_b32 s43, exec_lo
	s_delay_alu instid0(VALU_DEP_1)
	v_cmpx_ne_u16_e32 0, v1
	s_cbranch_execz .LBB267_290
; %bb.283:                              ;   in Loop: Header=BB267_13 Depth=1
	v_bfrev_b32_e32 v59, 1
	s_mov_b32 s44, exec_lo
	v_cmpx_ne_u16_e32 0x80, v1
	s_cbranch_execz .LBB267_289
; %bb.284:                              ;   in Loop: Header=BB267_13 Depth=1
	v_and_b32_e32 v61, 0xffff, v1
	v_mov_b32_e32 v59, 0x7c010000
	s_mov_b32 s45, exec_lo
	s_delay_alu instid0(VALU_DEP_2) | instskip(NEXT) | instid1(VALU_DEP_1)
	v_and_b32_e32 v63, 0x7f, v61
	v_cmpx_ne_u32_e32 0x7f, v63
	s_cbranch_execz .LBB267_288
; %bb.285:                              ;   in Loop: Header=BB267_13 Depth=1
	v_and_b32_e32 v59, 7, v61
	v_lshrrev_b32_e32 v62, 3, v63
	s_mov_b32 s46, exec_lo
	v_cmpx_gt_u32_e32 8, v63
; %bb.286:                              ;   in Loop: Header=BB267_13 Depth=1
	s_delay_alu instid0(VALU_DEP_3) | instskip(NEXT) | instid1(VALU_DEP_1)
	v_clz_i32_u32_e32 v59, v59
	v_min_u32_e32 v59, 32, v59
	s_delay_alu instid0(VALU_DEP_1) | instskip(NEXT) | instid1(VALU_DEP_1)
	v_subrev_nc_u32_e32 v62, 28, v59
	v_lshlrev_b64_e32 v[63:64], v62, v[1:2]
	v_sub_nc_u32_e32 v62, 29, v59
	s_delay_alu instid0(VALU_DEP_2)
	v_and_b32_e32 v59, 7, v63
; %bb.287:                              ;   in Loop: Header=BB267_13 Depth=1
	s_wait_alu 0xfffe
	s_or_b32 exec_lo, exec_lo, s46
	v_lshlrev_b32_e32 v1, 8, v61
	v_lshl_add_u32 v61, v62, 10, 0x2000
	v_lshlrev_b32_e32 v59, 23, v59
	s_delay_alu instid0(VALU_DEP_2) | instskip(NEXT) | instid1(VALU_DEP_1)
	v_and_or_b32 v1, 0x8000, v1, v61
	v_lshl_or_b32 v59, v1, 16, v59
.LBB267_288:                            ;   in Loop: Header=BB267_13 Depth=1
	s_wait_alu 0xfffe
	s_or_b32 exec_lo, exec_lo, s45
.LBB267_289:                            ;   in Loop: Header=BB267_13 Depth=1
	s_wait_alu 0xfffe
	s_or_b32 exec_lo, exec_lo, s44
.LBB267_290:                            ;   in Loop: Header=BB267_13 Depth=1
	s_wait_alu 0xfffe
	s_or_b32 exec_lo, exec_lo, s43
	v_lshrrev_b32_e32 v1, 16, v9
	v_mov_b32_e32 v61, 0
	s_mov_b32 s43, exec_lo
	s_delay_alu instid0(VALU_DEP_2) | instskip(NEXT) | instid1(VALU_DEP_1)
	v_dual_mov_b32 v62, 0 :: v_dual_and_b32 v63, 0xff, v1
	v_cmpx_ne_u16_e32 0, v63
	s_cbranch_execz .LBB267_298
; %bb.291:                              ;   in Loop: Header=BB267_13 Depth=1
	v_mov_b32_e32 v62, 0x8000
	s_mov_b32 s44, exec_lo
	v_cmpx_ne_u16_e32 0x80, v63
	s_cbranch_execz .LBB267_297
; %bb.292:                              ;   in Loop: Header=BB267_13 Depth=1
	v_bfe_u32 v64, v9, 16, 7
	v_mov_b32_e32 v62, 0x7c01
	s_mov_b32 s45, exec_lo
	s_delay_alu instid0(VALU_DEP_2)
	v_cmpx_ne_u32_e32 0x7f, v64
	s_cbranch_execz .LBB267_296
; %bb.293:                              ;   in Loop: Header=BB267_13 Depth=1
	v_and_b32_e32 v62, 7, v1
	v_lshrrev_b32_e32 v63, 3, v64
	s_mov_b32 s46, exec_lo
	v_cmpx_gt_u32_e32 8, v64
; %bb.294:                              ;   in Loop: Header=BB267_13 Depth=1
	s_delay_alu instid0(VALU_DEP_3) | instskip(NEXT) | instid1(VALU_DEP_1)
	v_clz_i32_u32_e32 v62, v62
	v_min_u32_e32 v64, 32, v62
	s_delay_alu instid0(VALU_DEP_1) | instskip(NEXT) | instid1(VALU_DEP_1)
	v_subrev_nc_u32_e32 v62, 28, v64
	v_lshlrev_b64_e32 v[62:63], v62, v[1:2]
	v_sub_nc_u32_e32 v63, 29, v64
	s_delay_alu instid0(VALU_DEP_2)
	v_and_b32_e32 v62, 7, v62
; %bb.295:                              ;   in Loop: Header=BB267_13 Depth=1
	s_wait_alu 0xfffe
	s_or_b32 exec_lo, exec_lo, s46
	v_lshlrev_b32_e32 v1, 8, v1
	v_lshl_add_u32 v63, v63, 10, 0x2000
	v_lshlrev_b32_e32 v62, 7, v62
	s_delay_alu instid0(VALU_DEP_3) | instskip(NEXT) | instid1(VALU_DEP_3)
	v_and_b32_e32 v1, 0x8000, v1
	v_and_b32_e32 v63, 0xfc00, v63
	s_delay_alu instid0(VALU_DEP_1)
	v_or3_b32 v62, v1, v63, v62
.LBB267_296:                            ;   in Loop: Header=BB267_13 Depth=1
	s_wait_alu 0xfffe
	s_or_b32 exec_lo, exec_lo, s45
.LBB267_297:                            ;   in Loop: Header=BB267_13 Depth=1
	s_wait_alu 0xfffe
	s_or_b32 exec_lo, exec_lo, s44
.LBB267_298:                            ;   in Loop: Header=BB267_13 Depth=1
	s_wait_alu 0xfffe
	s_or_b32 exec_lo, exec_lo, s43
	s_delay_alu instid0(SALU_CYCLE_1)
	s_mov_b32 s43, exec_lo
	v_cmpx_lt_u32_e32 0xffffff, v9
	s_cbranch_execz .LBB267_306
; %bb.299:                              ;   in Loop: Header=BB267_13 Depth=1
	v_lshrrev_b32_e32 v1, 24, v9
	v_bfrev_b32_e32 v61, 1
	s_mov_b32 s44, exec_lo
	s_delay_alu instid0(VALU_DEP_2)
	v_cmpx_ne_u32_e32 0x80, v1
	s_cbranch_execz .LBB267_305
; %bb.300:                              ;   in Loop: Header=BB267_13 Depth=1
	v_and_b32_e32 v63, 0x7f, v1
	v_mov_b32_e32 v61, 0x7c010000
	s_mov_b32 s45, exec_lo
	s_delay_alu instid0(VALU_DEP_2)
	v_cmpx_ne_u32_e32 0x7f, v63
	s_cbranch_execz .LBB267_304
; %bb.301:                              ;   in Loop: Header=BB267_13 Depth=1
	v_and_b32_e32 v9, 7, v1
	v_lshrrev_b32_e32 v61, 3, v63
	s_mov_b32 s46, exec_lo
	v_cmpx_gt_u32_e32 8, v63
; %bb.302:                              ;   in Loop: Header=BB267_13 Depth=1
	s_delay_alu instid0(VALU_DEP_3) | instskip(NEXT) | instid1(VALU_DEP_1)
	v_clz_i32_u32_e32 v9, v9
	v_min_u32_e32 v9, 32, v9
	s_delay_alu instid0(VALU_DEP_1) | instskip(NEXT) | instid1(VALU_DEP_1)
	v_subrev_nc_u32_e32 v61, 28, v9
	v_lshlrev_b64_e32 v[63:64], v61, v[1:2]
	v_sub_nc_u32_e32 v61, 29, v9
	s_delay_alu instid0(VALU_DEP_2)
	v_and_b32_e32 v9, 7, v63
; %bb.303:                              ;   in Loop: Header=BB267_13 Depth=1
	s_wait_alu 0xfffe
	s_or_b32 exec_lo, exec_lo, s46
	v_lshlrev_b32_e32 v1, 8, v1
	v_lshl_add_u32 v61, v61, 10, 0x2000
	v_lshlrev_b32_e32 v9, 23, v9
	s_delay_alu instid0(VALU_DEP_2) | instskip(NEXT) | instid1(VALU_DEP_1)
	v_and_or_b32 v1, 0x8000, v1, v61
	v_lshl_or_b32 v61, v1, 16, v9
.LBB267_304:                            ;   in Loop: Header=BB267_13 Depth=1
	s_wait_alu 0xfffe
	s_or_b32 exec_lo, exec_lo, s45
.LBB267_305:                            ;   in Loop: Header=BB267_13 Depth=1
	s_wait_alu 0xfffe
	s_or_b32 exec_lo, exec_lo, s44
.LBB267_306:                            ;   in Loop: Header=BB267_13 Depth=1
	s_wait_alu 0xfffe
	s_or_b32 exec_lo, exec_lo, s43
	global_load_b32 v9, v[7:8], off offset:1032
	v_mov_b32_e32 v63, 0
	s_mov_b32 s43, exec_lo
	s_wait_loadcnt 0x0
	v_dual_mov_b32 v64, 0 :: v_dual_and_b32 v1, 0xff, v9
	s_delay_alu instid0(VALU_DEP_1)
	v_cmpx_ne_u16_e32 0, v1
	s_cbranch_execz .LBB267_314
; %bb.307:                              ;   in Loop: Header=BB267_13 Depth=1
	v_mov_b32_e32 v64, 0x8000
	s_mov_b32 s44, exec_lo
	v_cmpx_ne_u16_e32 0x80, v1
	s_cbranch_execz .LBB267_313
; %bb.308:                              ;   in Loop: Header=BB267_13 Depth=1
	v_and_b32_e32 v65, 0x7f, v9
	v_mov_b32_e32 v64, 0x7c01
	s_mov_b32 s45, exec_lo
	s_delay_alu instid0(VALU_DEP_2)
	v_cmpx_ne_u32_e32 0x7f, v65
	s_cbranch_execz .LBB267_312
; %bb.309:                              ;   in Loop: Header=BB267_13 Depth=1
	v_and_b32_e32 v1, 7, v9
	v_lshrrev_b32_e32 v64, 3, v65
	s_mov_b32 s46, exec_lo
	v_cmpx_gt_u32_e32 8, v65
; %bb.310:                              ;   in Loop: Header=BB267_13 Depth=1
	s_delay_alu instid0(VALU_DEP_3) | instskip(NEXT) | instid1(VALU_DEP_1)
	v_clz_i32_u32_e32 v1, v1
	v_min_u32_e32 v1, 32, v1
	s_delay_alu instid0(VALU_DEP_1) | instskip(NEXT) | instid1(VALU_DEP_1)
	v_subrev_nc_u32_e32 v64, 28, v1
	v_lshlrev_b64_e32 v[65:66], v64, v[9:10]
	v_sub_nc_u32_e32 v64, 29, v1
	s_delay_alu instid0(VALU_DEP_2)
	v_and_b32_e32 v1, 7, v65
; %bb.311:                              ;   in Loop: Header=BB267_13 Depth=1
	s_wait_alu 0xfffe
	s_or_b32 exec_lo, exec_lo, s46
	v_lshlrev_b32_e32 v65, 8, v9
	v_lshl_add_u32 v64, v64, 10, 0x2000
	v_lshlrev_b32_e32 v1, 7, v1
	s_delay_alu instid0(VALU_DEP_3) | instskip(NEXT) | instid1(VALU_DEP_3)
	v_and_b32_e32 v65, 0x8000, v65
	v_and_b32_e32 v64, 0xfc00, v64
	s_delay_alu instid0(VALU_DEP_1)
	v_or3_b32 v64, v65, v64, v1
.LBB267_312:                            ;   in Loop: Header=BB267_13 Depth=1
	s_wait_alu 0xfffe
	s_or_b32 exec_lo, exec_lo, s45
.LBB267_313:                            ;   in Loop: Header=BB267_13 Depth=1
	s_wait_alu 0xfffe
	s_or_b32 exec_lo, exec_lo, s44
.LBB267_314:                            ;   in Loop: Header=BB267_13 Depth=1
	s_wait_alu 0xfffe
	s_or_b32 exec_lo, exec_lo, s43
	v_lshrrev_b16 v1, 8, v9
	s_mov_b32 s43, exec_lo
	s_delay_alu instid0(VALU_DEP_1)
	v_cmpx_ne_u16_e32 0, v1
	s_cbranch_execz .LBB267_322
; %bb.315:                              ;   in Loop: Header=BB267_13 Depth=1
	v_bfrev_b32_e32 v63, 1
	s_mov_b32 s44, exec_lo
	v_cmpx_ne_u16_e32 0x80, v1
	s_cbranch_execz .LBB267_321
; %bb.316:                              ;   in Loop: Header=BB267_13 Depth=1
	v_and_b32_e32 v65, 0xffff, v1
	v_mov_b32_e32 v63, 0x7c010000
	s_mov_b32 s45, exec_lo
	s_delay_alu instid0(VALU_DEP_2) | instskip(NEXT) | instid1(VALU_DEP_1)
	v_and_b32_e32 v67, 0x7f, v65
	v_cmpx_ne_u32_e32 0x7f, v67
	s_cbranch_execz .LBB267_320
; %bb.317:                              ;   in Loop: Header=BB267_13 Depth=1
	v_and_b32_e32 v63, 7, v65
	v_lshrrev_b32_e32 v66, 3, v67
	s_mov_b32 s46, exec_lo
	v_cmpx_gt_u32_e32 8, v67
; %bb.318:                              ;   in Loop: Header=BB267_13 Depth=1
	s_delay_alu instid0(VALU_DEP_3) | instskip(NEXT) | instid1(VALU_DEP_1)
	v_clz_i32_u32_e32 v63, v63
	v_min_u32_e32 v63, 32, v63
	s_delay_alu instid0(VALU_DEP_1) | instskip(NEXT) | instid1(VALU_DEP_1)
	v_subrev_nc_u32_e32 v66, 28, v63
	v_lshlrev_b64_e32 v[67:68], v66, v[1:2]
	v_sub_nc_u32_e32 v66, 29, v63
	s_delay_alu instid0(VALU_DEP_2)
	v_and_b32_e32 v63, 7, v67
; %bb.319:                              ;   in Loop: Header=BB267_13 Depth=1
	s_wait_alu 0xfffe
	s_or_b32 exec_lo, exec_lo, s46
	v_lshlrev_b32_e32 v1, 8, v65
	v_lshl_add_u32 v65, v66, 10, 0x2000
	v_lshlrev_b32_e32 v63, 23, v63
	s_delay_alu instid0(VALU_DEP_2) | instskip(NEXT) | instid1(VALU_DEP_1)
	v_and_or_b32 v1, 0x8000, v1, v65
	v_lshl_or_b32 v63, v1, 16, v63
.LBB267_320:                            ;   in Loop: Header=BB267_13 Depth=1
	s_wait_alu 0xfffe
	s_or_b32 exec_lo, exec_lo, s45
.LBB267_321:                            ;   in Loop: Header=BB267_13 Depth=1
	s_wait_alu 0xfffe
	s_or_b32 exec_lo, exec_lo, s44
.LBB267_322:                            ;   in Loop: Header=BB267_13 Depth=1
	s_wait_alu 0xfffe
	s_or_b32 exec_lo, exec_lo, s43
	v_lshrrev_b32_e32 v1, 16, v9
	v_mov_b32_e32 v65, 0
	s_mov_b32 s43, exec_lo
	s_delay_alu instid0(VALU_DEP_2) | instskip(NEXT) | instid1(VALU_DEP_1)
	v_dual_mov_b32 v66, 0 :: v_dual_and_b32 v67, 0xff, v1
	v_cmpx_ne_u16_e32 0, v67
	s_cbranch_execz .LBB267_330
; %bb.323:                              ;   in Loop: Header=BB267_13 Depth=1
	v_mov_b32_e32 v66, 0x8000
	s_mov_b32 s44, exec_lo
	v_cmpx_ne_u16_e32 0x80, v67
	s_cbranch_execz .LBB267_329
; %bb.324:                              ;   in Loop: Header=BB267_13 Depth=1
	v_bfe_u32 v68, v9, 16, 7
	v_mov_b32_e32 v66, 0x7c01
	s_mov_b32 s45, exec_lo
	s_delay_alu instid0(VALU_DEP_2)
	v_cmpx_ne_u32_e32 0x7f, v68
	s_cbranch_execz .LBB267_328
; %bb.325:                              ;   in Loop: Header=BB267_13 Depth=1
	v_and_b32_e32 v66, 7, v1
	v_lshrrev_b32_e32 v67, 3, v68
	s_mov_b32 s46, exec_lo
	v_cmpx_gt_u32_e32 8, v68
; %bb.326:                              ;   in Loop: Header=BB267_13 Depth=1
	s_delay_alu instid0(VALU_DEP_3) | instskip(NEXT) | instid1(VALU_DEP_1)
	v_clz_i32_u32_e32 v66, v66
	v_min_u32_e32 v68, 32, v66
	s_delay_alu instid0(VALU_DEP_1) | instskip(NEXT) | instid1(VALU_DEP_1)
	v_subrev_nc_u32_e32 v66, 28, v68
	v_lshlrev_b64_e32 v[66:67], v66, v[1:2]
	v_sub_nc_u32_e32 v67, 29, v68
	s_delay_alu instid0(VALU_DEP_2)
	v_and_b32_e32 v66, 7, v66
; %bb.327:                              ;   in Loop: Header=BB267_13 Depth=1
	s_wait_alu 0xfffe
	s_or_b32 exec_lo, exec_lo, s46
	v_lshlrev_b32_e32 v1, 8, v1
	v_lshl_add_u32 v67, v67, 10, 0x2000
	v_lshlrev_b32_e32 v66, 7, v66
	s_delay_alu instid0(VALU_DEP_3) | instskip(NEXT) | instid1(VALU_DEP_3)
	v_and_b32_e32 v1, 0x8000, v1
	v_and_b32_e32 v67, 0xfc00, v67
	s_delay_alu instid0(VALU_DEP_1)
	v_or3_b32 v66, v1, v67, v66
.LBB267_328:                            ;   in Loop: Header=BB267_13 Depth=1
	s_wait_alu 0xfffe
	s_or_b32 exec_lo, exec_lo, s45
.LBB267_329:                            ;   in Loop: Header=BB267_13 Depth=1
	s_wait_alu 0xfffe
	s_or_b32 exec_lo, exec_lo, s44
.LBB267_330:                            ;   in Loop: Header=BB267_13 Depth=1
	s_wait_alu 0xfffe
	s_or_b32 exec_lo, exec_lo, s43
	s_delay_alu instid0(SALU_CYCLE_1)
	s_mov_b32 s43, exec_lo
	v_cmpx_lt_u32_e32 0xffffff, v9
	s_cbranch_execz .LBB267_338
; %bb.331:                              ;   in Loop: Header=BB267_13 Depth=1
	v_lshrrev_b32_e32 v1, 24, v9
	v_bfrev_b32_e32 v65, 1
	s_mov_b32 s44, exec_lo
	s_delay_alu instid0(VALU_DEP_2)
	v_cmpx_ne_u32_e32 0x80, v1
	s_cbranch_execz .LBB267_337
; %bb.332:                              ;   in Loop: Header=BB267_13 Depth=1
	v_and_b32_e32 v67, 0x7f, v1
	v_mov_b32_e32 v65, 0x7c010000
	s_mov_b32 s45, exec_lo
	s_delay_alu instid0(VALU_DEP_2)
	v_cmpx_ne_u32_e32 0x7f, v67
	s_cbranch_execz .LBB267_336
; %bb.333:                              ;   in Loop: Header=BB267_13 Depth=1
	v_and_b32_e32 v9, 7, v1
	v_lshrrev_b32_e32 v65, 3, v67
	s_mov_b32 s46, exec_lo
	v_cmpx_gt_u32_e32 8, v67
; %bb.334:                              ;   in Loop: Header=BB267_13 Depth=1
	s_delay_alu instid0(VALU_DEP_3) | instskip(NEXT) | instid1(VALU_DEP_1)
	v_clz_i32_u32_e32 v9, v9
	v_min_u32_e32 v9, 32, v9
	s_delay_alu instid0(VALU_DEP_1) | instskip(NEXT) | instid1(VALU_DEP_1)
	v_subrev_nc_u32_e32 v65, 28, v9
	v_lshlrev_b64_e32 v[67:68], v65, v[1:2]
	v_sub_nc_u32_e32 v65, 29, v9
	s_delay_alu instid0(VALU_DEP_2)
	v_and_b32_e32 v9, 7, v67
; %bb.335:                              ;   in Loop: Header=BB267_13 Depth=1
	s_wait_alu 0xfffe
	s_or_b32 exec_lo, exec_lo, s46
	v_lshlrev_b32_e32 v1, 8, v1
	v_lshl_add_u32 v65, v65, 10, 0x2000
	v_lshlrev_b32_e32 v9, 23, v9
	s_delay_alu instid0(VALU_DEP_2) | instskip(NEXT) | instid1(VALU_DEP_1)
	v_and_or_b32 v1, 0x8000, v1, v65
	v_lshl_or_b32 v65, v1, 16, v9
.LBB267_336:                            ;   in Loop: Header=BB267_13 Depth=1
	s_wait_alu 0xfffe
	s_or_b32 exec_lo, exec_lo, s45
.LBB267_337:                            ;   in Loop: Header=BB267_13 Depth=1
	s_wait_alu 0xfffe
	s_or_b32 exec_lo, exec_lo, s44
.LBB267_338:                            ;   in Loop: Header=BB267_13 Depth=1
	s_wait_alu 0xfffe
	s_or_b32 exec_lo, exec_lo, s43
	global_load_b32 v9, v[7:8], off offset:1280
	v_mov_b32_e32 v67, 0
	s_mov_b32 s43, exec_lo
	s_wait_loadcnt 0x0
	v_dual_mov_b32 v68, 0 :: v_dual_and_b32 v1, 0xff, v9
	s_delay_alu instid0(VALU_DEP_1)
	v_cmpx_ne_u16_e32 0, v1
	s_cbranch_execz .LBB267_346
; %bb.339:                              ;   in Loop: Header=BB267_13 Depth=1
	v_mov_b32_e32 v68, 0x8000
	s_mov_b32 s44, exec_lo
	v_cmpx_ne_u16_e32 0x80, v1
	s_cbranch_execz .LBB267_345
; %bb.340:                              ;   in Loop: Header=BB267_13 Depth=1
	v_and_b32_e32 v69, 0x7f, v9
	v_mov_b32_e32 v68, 0x7c01
	s_mov_b32 s45, exec_lo
	s_delay_alu instid0(VALU_DEP_2)
	v_cmpx_ne_u32_e32 0x7f, v69
	s_cbranch_execz .LBB267_344
; %bb.341:                              ;   in Loop: Header=BB267_13 Depth=1
	v_and_b32_e32 v1, 7, v9
	v_lshrrev_b32_e32 v68, 3, v69
	s_mov_b32 s46, exec_lo
	v_cmpx_gt_u32_e32 8, v69
; %bb.342:                              ;   in Loop: Header=BB267_13 Depth=1
	s_delay_alu instid0(VALU_DEP_3) | instskip(NEXT) | instid1(VALU_DEP_1)
	v_clz_i32_u32_e32 v1, v1
	v_min_u32_e32 v1, 32, v1
	s_delay_alu instid0(VALU_DEP_1) | instskip(NEXT) | instid1(VALU_DEP_1)
	v_subrev_nc_u32_e32 v68, 28, v1
	v_lshlrev_b64_e32 v[69:70], v68, v[9:10]
	v_sub_nc_u32_e32 v68, 29, v1
	s_delay_alu instid0(VALU_DEP_2)
	v_and_b32_e32 v1, 7, v69
; %bb.343:                              ;   in Loop: Header=BB267_13 Depth=1
	s_wait_alu 0xfffe
	s_or_b32 exec_lo, exec_lo, s46
	v_lshlrev_b32_e32 v69, 8, v9
	v_lshl_add_u32 v68, v68, 10, 0x2000
	v_lshlrev_b32_e32 v1, 7, v1
	s_delay_alu instid0(VALU_DEP_3) | instskip(NEXT) | instid1(VALU_DEP_3)
	v_and_b32_e32 v69, 0x8000, v69
	v_and_b32_e32 v68, 0xfc00, v68
	s_delay_alu instid0(VALU_DEP_1)
	v_or3_b32 v68, v69, v68, v1
.LBB267_344:                            ;   in Loop: Header=BB267_13 Depth=1
	s_wait_alu 0xfffe
	s_or_b32 exec_lo, exec_lo, s45
.LBB267_345:                            ;   in Loop: Header=BB267_13 Depth=1
	s_wait_alu 0xfffe
	s_or_b32 exec_lo, exec_lo, s44
.LBB267_346:                            ;   in Loop: Header=BB267_13 Depth=1
	s_wait_alu 0xfffe
	s_or_b32 exec_lo, exec_lo, s43
	v_lshrrev_b16 v1, 8, v9
	s_mov_b32 s43, exec_lo
	s_delay_alu instid0(VALU_DEP_1)
	v_cmpx_ne_u16_e32 0, v1
	s_cbranch_execz .LBB267_354
; %bb.347:                              ;   in Loop: Header=BB267_13 Depth=1
	v_bfrev_b32_e32 v67, 1
	s_mov_b32 s44, exec_lo
	v_cmpx_ne_u16_e32 0x80, v1
	s_cbranch_execz .LBB267_353
; %bb.348:                              ;   in Loop: Header=BB267_13 Depth=1
	v_and_b32_e32 v69, 0xffff, v1
	v_mov_b32_e32 v67, 0x7c010000
	s_mov_b32 s45, exec_lo
	s_delay_alu instid0(VALU_DEP_2) | instskip(NEXT) | instid1(VALU_DEP_1)
	v_and_b32_e32 v71, 0x7f, v69
	v_cmpx_ne_u32_e32 0x7f, v71
	s_cbranch_execz .LBB267_352
; %bb.349:                              ;   in Loop: Header=BB267_13 Depth=1
	v_and_b32_e32 v67, 7, v69
	v_lshrrev_b32_e32 v70, 3, v71
	s_mov_b32 s46, exec_lo
	v_cmpx_gt_u32_e32 8, v71
; %bb.350:                              ;   in Loop: Header=BB267_13 Depth=1
	s_delay_alu instid0(VALU_DEP_3) | instskip(NEXT) | instid1(VALU_DEP_1)
	v_clz_i32_u32_e32 v67, v67
	v_min_u32_e32 v67, 32, v67
	s_delay_alu instid0(VALU_DEP_1) | instskip(NEXT) | instid1(VALU_DEP_1)
	v_subrev_nc_u32_e32 v70, 28, v67
	v_lshlrev_b64_e32 v[71:72], v70, v[1:2]
	v_sub_nc_u32_e32 v70, 29, v67
	s_delay_alu instid0(VALU_DEP_2)
	v_and_b32_e32 v67, 7, v71
; %bb.351:                              ;   in Loop: Header=BB267_13 Depth=1
	s_wait_alu 0xfffe
	s_or_b32 exec_lo, exec_lo, s46
	v_lshlrev_b32_e32 v1, 8, v69
	v_lshl_add_u32 v69, v70, 10, 0x2000
	v_lshlrev_b32_e32 v67, 23, v67
	s_delay_alu instid0(VALU_DEP_2) | instskip(NEXT) | instid1(VALU_DEP_1)
	v_and_or_b32 v1, 0x8000, v1, v69
	v_lshl_or_b32 v67, v1, 16, v67
.LBB267_352:                            ;   in Loop: Header=BB267_13 Depth=1
	s_wait_alu 0xfffe
	s_or_b32 exec_lo, exec_lo, s45
.LBB267_353:                            ;   in Loop: Header=BB267_13 Depth=1
	s_wait_alu 0xfffe
	s_or_b32 exec_lo, exec_lo, s44
.LBB267_354:                            ;   in Loop: Header=BB267_13 Depth=1
	s_wait_alu 0xfffe
	s_or_b32 exec_lo, exec_lo, s43
	v_lshrrev_b32_e32 v1, 16, v9
	v_mov_b32_e32 v69, 0
	s_mov_b32 s43, exec_lo
	s_delay_alu instid0(VALU_DEP_2) | instskip(NEXT) | instid1(VALU_DEP_1)
	v_dual_mov_b32 v70, 0 :: v_dual_and_b32 v71, 0xff, v1
	v_cmpx_ne_u16_e32 0, v71
	s_cbranch_execz .LBB267_362
; %bb.355:                              ;   in Loop: Header=BB267_13 Depth=1
	v_mov_b32_e32 v70, 0x8000
	s_mov_b32 s44, exec_lo
	v_cmpx_ne_u16_e32 0x80, v71
	s_cbranch_execz .LBB267_361
; %bb.356:                              ;   in Loop: Header=BB267_13 Depth=1
	v_bfe_u32 v72, v9, 16, 7
	v_mov_b32_e32 v70, 0x7c01
	s_mov_b32 s45, exec_lo
	s_delay_alu instid0(VALU_DEP_2)
	v_cmpx_ne_u32_e32 0x7f, v72
	s_cbranch_execz .LBB267_360
; %bb.357:                              ;   in Loop: Header=BB267_13 Depth=1
	v_and_b32_e32 v70, 7, v1
	v_lshrrev_b32_e32 v71, 3, v72
	s_mov_b32 s46, exec_lo
	v_cmpx_gt_u32_e32 8, v72
; %bb.358:                              ;   in Loop: Header=BB267_13 Depth=1
	s_delay_alu instid0(VALU_DEP_3) | instskip(NEXT) | instid1(VALU_DEP_1)
	v_clz_i32_u32_e32 v70, v70
	v_min_u32_e32 v72, 32, v70
	s_delay_alu instid0(VALU_DEP_1) | instskip(NEXT) | instid1(VALU_DEP_1)
	v_subrev_nc_u32_e32 v70, 28, v72
	v_lshlrev_b64_e32 v[70:71], v70, v[1:2]
	v_sub_nc_u32_e32 v71, 29, v72
	s_delay_alu instid0(VALU_DEP_2)
	v_and_b32_e32 v70, 7, v70
; %bb.359:                              ;   in Loop: Header=BB267_13 Depth=1
	s_wait_alu 0xfffe
	s_or_b32 exec_lo, exec_lo, s46
	v_lshlrev_b32_e32 v1, 8, v1
	v_lshl_add_u32 v71, v71, 10, 0x2000
	v_lshlrev_b32_e32 v70, 7, v70
	s_delay_alu instid0(VALU_DEP_3) | instskip(NEXT) | instid1(VALU_DEP_3)
	v_and_b32_e32 v1, 0x8000, v1
	v_and_b32_e32 v71, 0xfc00, v71
	s_delay_alu instid0(VALU_DEP_1)
	v_or3_b32 v70, v1, v71, v70
.LBB267_360:                            ;   in Loop: Header=BB267_13 Depth=1
	s_wait_alu 0xfffe
	s_or_b32 exec_lo, exec_lo, s45
.LBB267_361:                            ;   in Loop: Header=BB267_13 Depth=1
	s_wait_alu 0xfffe
	s_or_b32 exec_lo, exec_lo, s44
.LBB267_362:                            ;   in Loop: Header=BB267_13 Depth=1
	s_wait_alu 0xfffe
	s_or_b32 exec_lo, exec_lo, s43
	s_delay_alu instid0(SALU_CYCLE_1)
	s_mov_b32 s43, exec_lo
	v_cmpx_lt_u32_e32 0xffffff, v9
	s_cbranch_execz .LBB267_370
; %bb.363:                              ;   in Loop: Header=BB267_13 Depth=1
	v_lshrrev_b32_e32 v1, 24, v9
	v_bfrev_b32_e32 v69, 1
	s_mov_b32 s44, exec_lo
	s_delay_alu instid0(VALU_DEP_2)
	v_cmpx_ne_u32_e32 0x80, v1
	s_cbranch_execz .LBB267_369
; %bb.364:                              ;   in Loop: Header=BB267_13 Depth=1
	v_and_b32_e32 v71, 0x7f, v1
	v_mov_b32_e32 v69, 0x7c010000
	s_mov_b32 s45, exec_lo
	s_delay_alu instid0(VALU_DEP_2)
	v_cmpx_ne_u32_e32 0x7f, v71
	s_cbranch_execz .LBB267_368
; %bb.365:                              ;   in Loop: Header=BB267_13 Depth=1
	v_and_b32_e32 v9, 7, v1
	v_lshrrev_b32_e32 v69, 3, v71
	s_mov_b32 s46, exec_lo
	v_cmpx_gt_u32_e32 8, v71
; %bb.366:                              ;   in Loop: Header=BB267_13 Depth=1
	s_delay_alu instid0(VALU_DEP_3) | instskip(NEXT) | instid1(VALU_DEP_1)
	v_clz_i32_u32_e32 v9, v9
	v_min_u32_e32 v9, 32, v9
	s_delay_alu instid0(VALU_DEP_1) | instskip(NEXT) | instid1(VALU_DEP_1)
	v_subrev_nc_u32_e32 v69, 28, v9
	v_lshlrev_b64_e32 v[71:72], v69, v[1:2]
	v_sub_nc_u32_e32 v69, 29, v9
	s_delay_alu instid0(VALU_DEP_2)
	v_and_b32_e32 v9, 7, v71
; %bb.367:                              ;   in Loop: Header=BB267_13 Depth=1
	s_wait_alu 0xfffe
	s_or_b32 exec_lo, exec_lo, s46
	v_lshlrev_b32_e32 v1, 8, v1
	v_lshl_add_u32 v69, v69, 10, 0x2000
	v_lshlrev_b32_e32 v9, 23, v9
	s_delay_alu instid0(VALU_DEP_2) | instskip(NEXT) | instid1(VALU_DEP_1)
	v_and_or_b32 v1, 0x8000, v1, v69
	v_lshl_or_b32 v69, v1, 16, v9
.LBB267_368:                            ;   in Loop: Header=BB267_13 Depth=1
	s_wait_alu 0xfffe
	s_or_b32 exec_lo, exec_lo, s45
.LBB267_369:                            ;   in Loop: Header=BB267_13 Depth=1
	s_wait_alu 0xfffe
	s_or_b32 exec_lo, exec_lo, s44
.LBB267_370:                            ;   in Loop: Header=BB267_13 Depth=1
	s_wait_alu 0xfffe
	s_or_b32 exec_lo, exec_lo, s43
	global_load_b32 v9, v[7:8], off offset:1288
	v_mov_b32_e32 v71, 0
	s_mov_b32 s43, exec_lo
	s_wait_loadcnt 0x0
	v_dual_mov_b32 v72, 0 :: v_dual_and_b32 v1, 0xff, v9
	s_delay_alu instid0(VALU_DEP_1)
	v_cmpx_ne_u16_e32 0, v1
	s_cbranch_execz .LBB267_378
; %bb.371:                              ;   in Loop: Header=BB267_13 Depth=1
	v_mov_b32_e32 v72, 0x8000
	s_mov_b32 s44, exec_lo
	v_cmpx_ne_u16_e32 0x80, v1
	s_cbranch_execz .LBB267_377
; %bb.372:                              ;   in Loop: Header=BB267_13 Depth=1
	v_and_b32_e32 v73, 0x7f, v9
	v_mov_b32_e32 v72, 0x7c01
	s_mov_b32 s45, exec_lo
	s_delay_alu instid0(VALU_DEP_2)
	v_cmpx_ne_u32_e32 0x7f, v73
	s_cbranch_execz .LBB267_376
; %bb.373:                              ;   in Loop: Header=BB267_13 Depth=1
	v_and_b32_e32 v1, 7, v9
	v_lshrrev_b32_e32 v72, 3, v73
	s_mov_b32 s46, exec_lo
	v_cmpx_gt_u32_e32 8, v73
; %bb.374:                              ;   in Loop: Header=BB267_13 Depth=1
	s_delay_alu instid0(VALU_DEP_3) | instskip(NEXT) | instid1(VALU_DEP_1)
	v_clz_i32_u32_e32 v1, v1
	v_min_u32_e32 v1, 32, v1
	s_delay_alu instid0(VALU_DEP_1) | instskip(NEXT) | instid1(VALU_DEP_1)
	v_subrev_nc_u32_e32 v72, 28, v1
	v_lshlrev_b64_e32 v[73:74], v72, v[9:10]
	v_sub_nc_u32_e32 v72, 29, v1
	s_delay_alu instid0(VALU_DEP_2)
	v_and_b32_e32 v1, 7, v73
; %bb.375:                              ;   in Loop: Header=BB267_13 Depth=1
	s_wait_alu 0xfffe
	s_or_b32 exec_lo, exec_lo, s46
	v_lshlrev_b32_e32 v73, 8, v9
	v_lshl_add_u32 v72, v72, 10, 0x2000
	v_lshlrev_b32_e32 v1, 7, v1
	s_delay_alu instid0(VALU_DEP_3) | instskip(NEXT) | instid1(VALU_DEP_3)
	v_and_b32_e32 v73, 0x8000, v73
	v_and_b32_e32 v72, 0xfc00, v72
	s_delay_alu instid0(VALU_DEP_1)
	v_or3_b32 v72, v73, v72, v1
.LBB267_376:                            ;   in Loop: Header=BB267_13 Depth=1
	s_wait_alu 0xfffe
	s_or_b32 exec_lo, exec_lo, s45
.LBB267_377:                            ;   in Loop: Header=BB267_13 Depth=1
	s_wait_alu 0xfffe
	s_or_b32 exec_lo, exec_lo, s44
.LBB267_378:                            ;   in Loop: Header=BB267_13 Depth=1
	s_wait_alu 0xfffe
	s_or_b32 exec_lo, exec_lo, s43
	v_lshrrev_b16 v1, 8, v9
	s_mov_b32 s43, exec_lo
	s_delay_alu instid0(VALU_DEP_1)
	v_cmpx_ne_u16_e32 0, v1
	s_cbranch_execz .LBB267_386
; %bb.379:                              ;   in Loop: Header=BB267_13 Depth=1
	v_bfrev_b32_e32 v71, 1
	s_mov_b32 s44, exec_lo
	v_cmpx_ne_u16_e32 0x80, v1
	s_cbranch_execz .LBB267_385
; %bb.380:                              ;   in Loop: Header=BB267_13 Depth=1
	v_and_b32_e32 v73, 0xffff, v1
	v_mov_b32_e32 v71, 0x7c010000
	s_mov_b32 s45, exec_lo
	s_delay_alu instid0(VALU_DEP_2) | instskip(NEXT) | instid1(VALU_DEP_1)
	v_and_b32_e32 v75, 0x7f, v73
	v_cmpx_ne_u32_e32 0x7f, v75
	s_cbranch_execz .LBB267_384
; %bb.381:                              ;   in Loop: Header=BB267_13 Depth=1
	v_and_b32_e32 v71, 7, v73
	v_lshrrev_b32_e32 v74, 3, v75
	s_mov_b32 s46, exec_lo
	v_cmpx_gt_u32_e32 8, v75
; %bb.382:                              ;   in Loop: Header=BB267_13 Depth=1
	s_delay_alu instid0(VALU_DEP_3) | instskip(NEXT) | instid1(VALU_DEP_1)
	v_clz_i32_u32_e32 v71, v71
	v_min_u32_e32 v71, 32, v71
	s_delay_alu instid0(VALU_DEP_1) | instskip(NEXT) | instid1(VALU_DEP_1)
	v_subrev_nc_u32_e32 v74, 28, v71
	v_lshlrev_b64_e32 v[75:76], v74, v[1:2]
	v_sub_nc_u32_e32 v74, 29, v71
	s_delay_alu instid0(VALU_DEP_2)
	v_and_b32_e32 v71, 7, v75
; %bb.383:                              ;   in Loop: Header=BB267_13 Depth=1
	s_wait_alu 0xfffe
	s_or_b32 exec_lo, exec_lo, s46
	v_lshlrev_b32_e32 v1, 8, v73
	v_lshl_add_u32 v73, v74, 10, 0x2000
	v_lshlrev_b32_e32 v71, 23, v71
	s_delay_alu instid0(VALU_DEP_2) | instskip(NEXT) | instid1(VALU_DEP_1)
	v_and_or_b32 v1, 0x8000, v1, v73
	v_lshl_or_b32 v71, v1, 16, v71
.LBB267_384:                            ;   in Loop: Header=BB267_13 Depth=1
	s_wait_alu 0xfffe
	s_or_b32 exec_lo, exec_lo, s45
.LBB267_385:                            ;   in Loop: Header=BB267_13 Depth=1
	s_wait_alu 0xfffe
	s_or_b32 exec_lo, exec_lo, s44
.LBB267_386:                            ;   in Loop: Header=BB267_13 Depth=1
	s_wait_alu 0xfffe
	s_or_b32 exec_lo, exec_lo, s43
	v_lshrrev_b32_e32 v1, 16, v9
	v_mov_b32_e32 v73, 0
	s_mov_b32 s43, exec_lo
	s_delay_alu instid0(VALU_DEP_2) | instskip(NEXT) | instid1(VALU_DEP_1)
	v_dual_mov_b32 v74, 0 :: v_dual_and_b32 v75, 0xff, v1
	v_cmpx_ne_u16_e32 0, v75
	s_cbranch_execz .LBB267_394
; %bb.387:                              ;   in Loop: Header=BB267_13 Depth=1
	v_mov_b32_e32 v74, 0x8000
	s_mov_b32 s44, exec_lo
	v_cmpx_ne_u16_e32 0x80, v75
	s_cbranch_execz .LBB267_393
; %bb.388:                              ;   in Loop: Header=BB267_13 Depth=1
	v_bfe_u32 v76, v9, 16, 7
	v_mov_b32_e32 v74, 0x7c01
	s_mov_b32 s45, exec_lo
	s_delay_alu instid0(VALU_DEP_2)
	v_cmpx_ne_u32_e32 0x7f, v76
	s_cbranch_execz .LBB267_392
; %bb.389:                              ;   in Loop: Header=BB267_13 Depth=1
	v_and_b32_e32 v74, 7, v1
	v_lshrrev_b32_e32 v75, 3, v76
	s_mov_b32 s46, exec_lo
	v_cmpx_gt_u32_e32 8, v76
; %bb.390:                              ;   in Loop: Header=BB267_13 Depth=1
	s_delay_alu instid0(VALU_DEP_3) | instskip(NEXT) | instid1(VALU_DEP_1)
	v_clz_i32_u32_e32 v74, v74
	v_min_u32_e32 v76, 32, v74
	s_delay_alu instid0(VALU_DEP_1) | instskip(NEXT) | instid1(VALU_DEP_1)
	v_subrev_nc_u32_e32 v74, 28, v76
	v_lshlrev_b64_e32 v[74:75], v74, v[1:2]
	v_sub_nc_u32_e32 v75, 29, v76
	s_delay_alu instid0(VALU_DEP_2)
	v_and_b32_e32 v74, 7, v74
; %bb.391:                              ;   in Loop: Header=BB267_13 Depth=1
	s_wait_alu 0xfffe
	s_or_b32 exec_lo, exec_lo, s46
	v_lshlrev_b32_e32 v1, 8, v1
	v_lshl_add_u32 v75, v75, 10, 0x2000
	v_lshlrev_b32_e32 v74, 7, v74
	s_delay_alu instid0(VALU_DEP_3) | instskip(NEXT) | instid1(VALU_DEP_3)
	v_and_b32_e32 v1, 0x8000, v1
	v_and_b32_e32 v75, 0xfc00, v75
	s_delay_alu instid0(VALU_DEP_1)
	v_or3_b32 v74, v1, v75, v74
.LBB267_392:                            ;   in Loop: Header=BB267_13 Depth=1
	s_wait_alu 0xfffe
	s_or_b32 exec_lo, exec_lo, s45
.LBB267_393:                            ;   in Loop: Header=BB267_13 Depth=1
	s_wait_alu 0xfffe
	s_or_b32 exec_lo, exec_lo, s44
.LBB267_394:                            ;   in Loop: Header=BB267_13 Depth=1
	s_wait_alu 0xfffe
	s_or_b32 exec_lo, exec_lo, s43
	s_delay_alu instid0(SALU_CYCLE_1)
	s_mov_b32 s43, exec_lo
	v_cmpx_lt_u32_e32 0xffffff, v9
	s_cbranch_execz .LBB267_402
; %bb.395:                              ;   in Loop: Header=BB267_13 Depth=1
	v_lshrrev_b32_e32 v1, 24, v9
	v_bfrev_b32_e32 v73, 1
	s_mov_b32 s44, exec_lo
	s_delay_alu instid0(VALU_DEP_2)
	v_cmpx_ne_u32_e32 0x80, v1
	s_cbranch_execz .LBB267_401
; %bb.396:                              ;   in Loop: Header=BB267_13 Depth=1
	v_and_b32_e32 v75, 0x7f, v1
	v_mov_b32_e32 v73, 0x7c010000
	s_mov_b32 s45, exec_lo
	s_delay_alu instid0(VALU_DEP_2)
	v_cmpx_ne_u32_e32 0x7f, v75
	s_cbranch_execz .LBB267_400
; %bb.397:                              ;   in Loop: Header=BB267_13 Depth=1
	v_and_b32_e32 v9, 7, v1
	v_lshrrev_b32_e32 v73, 3, v75
	s_mov_b32 s46, exec_lo
	v_cmpx_gt_u32_e32 8, v75
; %bb.398:                              ;   in Loop: Header=BB267_13 Depth=1
	s_delay_alu instid0(VALU_DEP_3) | instskip(NEXT) | instid1(VALU_DEP_1)
	v_clz_i32_u32_e32 v9, v9
	v_min_u32_e32 v9, 32, v9
	s_delay_alu instid0(VALU_DEP_1) | instskip(NEXT) | instid1(VALU_DEP_1)
	v_subrev_nc_u32_e32 v73, 28, v9
	v_lshlrev_b64_e32 v[75:76], v73, v[1:2]
	v_sub_nc_u32_e32 v73, 29, v9
	s_delay_alu instid0(VALU_DEP_2)
	v_and_b32_e32 v9, 7, v75
; %bb.399:                              ;   in Loop: Header=BB267_13 Depth=1
	s_wait_alu 0xfffe
	s_or_b32 exec_lo, exec_lo, s46
	v_lshlrev_b32_e32 v1, 8, v1
	v_lshl_add_u32 v73, v73, 10, 0x2000
	v_lshlrev_b32_e32 v9, 23, v9
	s_delay_alu instid0(VALU_DEP_2) | instskip(NEXT) | instid1(VALU_DEP_1)
	v_and_or_b32 v1, 0x8000, v1, v73
	v_lshl_or_b32 v73, v1, 16, v9
.LBB267_400:                            ;   in Loop: Header=BB267_13 Depth=1
	s_wait_alu 0xfffe
	s_or_b32 exec_lo, exec_lo, s45
.LBB267_401:                            ;   in Loop: Header=BB267_13 Depth=1
	s_wait_alu 0xfffe
	s_or_b32 exec_lo, exec_lo, s44
.LBB267_402:                            ;   in Loop: Header=BB267_13 Depth=1
	s_wait_alu 0xfffe
	s_or_b32 exec_lo, exec_lo, s43
	global_load_b32 v9, v[7:8], off offset:1536
	v_mov_b32_e32 v75, 0
	s_mov_b32 s43, exec_lo
	s_wait_loadcnt 0x0
	v_dual_mov_b32 v76, 0 :: v_dual_and_b32 v1, 0xff, v9
	s_delay_alu instid0(VALU_DEP_1)
	v_cmpx_ne_u16_e32 0, v1
	s_cbranch_execz .LBB267_410
; %bb.403:                              ;   in Loop: Header=BB267_13 Depth=1
	v_mov_b32_e32 v76, 0x8000
	s_mov_b32 s44, exec_lo
	v_cmpx_ne_u16_e32 0x80, v1
	s_cbranch_execz .LBB267_409
; %bb.404:                              ;   in Loop: Header=BB267_13 Depth=1
	v_and_b32_e32 v77, 0x7f, v9
	v_mov_b32_e32 v76, 0x7c01
	s_mov_b32 s45, exec_lo
	s_delay_alu instid0(VALU_DEP_2)
	v_cmpx_ne_u32_e32 0x7f, v77
	s_cbranch_execz .LBB267_408
; %bb.405:                              ;   in Loop: Header=BB267_13 Depth=1
	v_and_b32_e32 v1, 7, v9
	v_lshrrev_b32_e32 v76, 3, v77
	s_mov_b32 s46, exec_lo
	v_cmpx_gt_u32_e32 8, v77
; %bb.406:                              ;   in Loop: Header=BB267_13 Depth=1
	s_delay_alu instid0(VALU_DEP_3) | instskip(NEXT) | instid1(VALU_DEP_1)
	v_clz_i32_u32_e32 v1, v1
	v_min_u32_e32 v1, 32, v1
	s_delay_alu instid0(VALU_DEP_1) | instskip(NEXT) | instid1(VALU_DEP_1)
	v_subrev_nc_u32_e32 v76, 28, v1
	v_lshlrev_b64_e32 v[77:78], v76, v[9:10]
	v_sub_nc_u32_e32 v76, 29, v1
	s_delay_alu instid0(VALU_DEP_2)
	v_and_b32_e32 v1, 7, v77
; %bb.407:                              ;   in Loop: Header=BB267_13 Depth=1
	s_wait_alu 0xfffe
	s_or_b32 exec_lo, exec_lo, s46
	v_lshlrev_b32_e32 v77, 8, v9
	v_lshl_add_u32 v76, v76, 10, 0x2000
	v_lshlrev_b32_e32 v1, 7, v1
	s_delay_alu instid0(VALU_DEP_3) | instskip(NEXT) | instid1(VALU_DEP_3)
	v_and_b32_e32 v77, 0x8000, v77
	v_and_b32_e32 v76, 0xfc00, v76
	s_delay_alu instid0(VALU_DEP_1)
	v_or3_b32 v76, v77, v76, v1
.LBB267_408:                            ;   in Loop: Header=BB267_13 Depth=1
	s_wait_alu 0xfffe
	s_or_b32 exec_lo, exec_lo, s45
.LBB267_409:                            ;   in Loop: Header=BB267_13 Depth=1
	s_wait_alu 0xfffe
	s_or_b32 exec_lo, exec_lo, s44
.LBB267_410:                            ;   in Loop: Header=BB267_13 Depth=1
	s_wait_alu 0xfffe
	s_or_b32 exec_lo, exec_lo, s43
	v_lshrrev_b16 v1, 8, v9
	s_mov_b32 s43, exec_lo
	s_delay_alu instid0(VALU_DEP_1)
	v_cmpx_ne_u16_e32 0, v1
	s_cbranch_execz .LBB267_418
; %bb.411:                              ;   in Loop: Header=BB267_13 Depth=1
	v_bfrev_b32_e32 v75, 1
	s_mov_b32 s44, exec_lo
	v_cmpx_ne_u16_e32 0x80, v1
	s_cbranch_execz .LBB267_417
; %bb.412:                              ;   in Loop: Header=BB267_13 Depth=1
	v_and_b32_e32 v77, 0xffff, v1
	v_mov_b32_e32 v75, 0x7c010000
	s_mov_b32 s45, exec_lo
	s_delay_alu instid0(VALU_DEP_2) | instskip(NEXT) | instid1(VALU_DEP_1)
	v_and_b32_e32 v79, 0x7f, v77
	v_cmpx_ne_u32_e32 0x7f, v79
	s_cbranch_execz .LBB267_416
; %bb.413:                              ;   in Loop: Header=BB267_13 Depth=1
	v_and_b32_e32 v75, 7, v77
	v_lshrrev_b32_e32 v78, 3, v79
	s_mov_b32 s46, exec_lo
	v_cmpx_gt_u32_e32 8, v79
; %bb.414:                              ;   in Loop: Header=BB267_13 Depth=1
	s_delay_alu instid0(VALU_DEP_3) | instskip(NEXT) | instid1(VALU_DEP_1)
	v_clz_i32_u32_e32 v75, v75
	v_min_u32_e32 v75, 32, v75
	s_delay_alu instid0(VALU_DEP_1) | instskip(NEXT) | instid1(VALU_DEP_1)
	v_subrev_nc_u32_e32 v78, 28, v75
	v_lshlrev_b64_e32 v[79:80], v78, v[1:2]
	v_sub_nc_u32_e32 v78, 29, v75
	s_delay_alu instid0(VALU_DEP_2)
	v_and_b32_e32 v75, 7, v79
; %bb.415:                              ;   in Loop: Header=BB267_13 Depth=1
	s_wait_alu 0xfffe
	s_or_b32 exec_lo, exec_lo, s46
	v_lshlrev_b32_e32 v1, 8, v77
	v_lshl_add_u32 v77, v78, 10, 0x2000
	v_lshlrev_b32_e32 v75, 23, v75
	s_delay_alu instid0(VALU_DEP_2) | instskip(NEXT) | instid1(VALU_DEP_1)
	v_and_or_b32 v1, 0x8000, v1, v77
	v_lshl_or_b32 v75, v1, 16, v75
.LBB267_416:                            ;   in Loop: Header=BB267_13 Depth=1
	s_wait_alu 0xfffe
	s_or_b32 exec_lo, exec_lo, s45
.LBB267_417:                            ;   in Loop: Header=BB267_13 Depth=1
	s_wait_alu 0xfffe
	s_or_b32 exec_lo, exec_lo, s44
.LBB267_418:                            ;   in Loop: Header=BB267_13 Depth=1
	s_wait_alu 0xfffe
	s_or_b32 exec_lo, exec_lo, s43
	v_lshrrev_b32_e32 v1, 16, v9
	v_mov_b32_e32 v77, 0
	s_mov_b32 s43, exec_lo
	s_delay_alu instid0(VALU_DEP_2) | instskip(NEXT) | instid1(VALU_DEP_1)
	v_dual_mov_b32 v78, 0 :: v_dual_and_b32 v79, 0xff, v1
	v_cmpx_ne_u16_e32 0, v79
	s_cbranch_execz .LBB267_426
; %bb.419:                              ;   in Loop: Header=BB267_13 Depth=1
	v_mov_b32_e32 v78, 0x8000
	s_mov_b32 s44, exec_lo
	v_cmpx_ne_u16_e32 0x80, v79
	s_cbranch_execz .LBB267_425
; %bb.420:                              ;   in Loop: Header=BB267_13 Depth=1
	v_bfe_u32 v80, v9, 16, 7
	v_mov_b32_e32 v78, 0x7c01
	s_mov_b32 s45, exec_lo
	s_delay_alu instid0(VALU_DEP_2)
	v_cmpx_ne_u32_e32 0x7f, v80
	s_cbranch_execz .LBB267_424
; %bb.421:                              ;   in Loop: Header=BB267_13 Depth=1
	v_and_b32_e32 v78, 7, v1
	v_lshrrev_b32_e32 v79, 3, v80
	s_mov_b32 s46, exec_lo
	v_cmpx_gt_u32_e32 8, v80
; %bb.422:                              ;   in Loop: Header=BB267_13 Depth=1
	s_delay_alu instid0(VALU_DEP_3) | instskip(NEXT) | instid1(VALU_DEP_1)
	v_clz_i32_u32_e32 v78, v78
	v_min_u32_e32 v80, 32, v78
	s_delay_alu instid0(VALU_DEP_1) | instskip(NEXT) | instid1(VALU_DEP_1)
	v_subrev_nc_u32_e32 v78, 28, v80
	v_lshlrev_b64_e32 v[78:79], v78, v[1:2]
	v_sub_nc_u32_e32 v79, 29, v80
	s_delay_alu instid0(VALU_DEP_2)
	v_and_b32_e32 v78, 7, v78
; %bb.423:                              ;   in Loop: Header=BB267_13 Depth=1
	s_wait_alu 0xfffe
	s_or_b32 exec_lo, exec_lo, s46
	v_lshlrev_b32_e32 v1, 8, v1
	v_lshl_add_u32 v79, v79, 10, 0x2000
	v_lshlrev_b32_e32 v78, 7, v78
	s_delay_alu instid0(VALU_DEP_3) | instskip(NEXT) | instid1(VALU_DEP_3)
	v_and_b32_e32 v1, 0x8000, v1
	v_and_b32_e32 v79, 0xfc00, v79
	s_delay_alu instid0(VALU_DEP_1)
	v_or3_b32 v78, v1, v79, v78
.LBB267_424:                            ;   in Loop: Header=BB267_13 Depth=1
	s_wait_alu 0xfffe
	s_or_b32 exec_lo, exec_lo, s45
.LBB267_425:                            ;   in Loop: Header=BB267_13 Depth=1
	s_wait_alu 0xfffe
	s_or_b32 exec_lo, exec_lo, s44
.LBB267_426:                            ;   in Loop: Header=BB267_13 Depth=1
	s_wait_alu 0xfffe
	s_or_b32 exec_lo, exec_lo, s43
	s_delay_alu instid0(SALU_CYCLE_1)
	s_mov_b32 s43, exec_lo
	v_cmpx_lt_u32_e32 0xffffff, v9
	s_cbranch_execz .LBB267_434
; %bb.427:                              ;   in Loop: Header=BB267_13 Depth=1
	v_lshrrev_b32_e32 v1, 24, v9
	v_bfrev_b32_e32 v77, 1
	s_mov_b32 s44, exec_lo
	s_delay_alu instid0(VALU_DEP_2)
	v_cmpx_ne_u32_e32 0x80, v1
	s_cbranch_execz .LBB267_433
; %bb.428:                              ;   in Loop: Header=BB267_13 Depth=1
	v_and_b32_e32 v79, 0x7f, v1
	v_mov_b32_e32 v77, 0x7c010000
	s_mov_b32 s45, exec_lo
	s_delay_alu instid0(VALU_DEP_2)
	v_cmpx_ne_u32_e32 0x7f, v79
	s_cbranch_execz .LBB267_432
; %bb.429:                              ;   in Loop: Header=BB267_13 Depth=1
	v_and_b32_e32 v9, 7, v1
	v_lshrrev_b32_e32 v77, 3, v79
	s_mov_b32 s46, exec_lo
	v_cmpx_gt_u32_e32 8, v79
; %bb.430:                              ;   in Loop: Header=BB267_13 Depth=1
	s_delay_alu instid0(VALU_DEP_3) | instskip(NEXT) | instid1(VALU_DEP_1)
	v_clz_i32_u32_e32 v9, v9
	v_min_u32_e32 v9, 32, v9
	s_delay_alu instid0(VALU_DEP_1) | instskip(NEXT) | instid1(VALU_DEP_1)
	v_subrev_nc_u32_e32 v77, 28, v9
	v_lshlrev_b64_e32 v[79:80], v77, v[1:2]
	v_sub_nc_u32_e32 v77, 29, v9
	s_delay_alu instid0(VALU_DEP_2)
	v_and_b32_e32 v9, 7, v79
; %bb.431:                              ;   in Loop: Header=BB267_13 Depth=1
	s_wait_alu 0xfffe
	s_or_b32 exec_lo, exec_lo, s46
	v_lshlrev_b32_e32 v1, 8, v1
	v_lshl_add_u32 v77, v77, 10, 0x2000
	v_lshlrev_b32_e32 v9, 23, v9
	s_delay_alu instid0(VALU_DEP_2) | instskip(NEXT) | instid1(VALU_DEP_1)
	v_and_or_b32 v1, 0x8000, v1, v77
	v_lshl_or_b32 v77, v1, 16, v9
.LBB267_432:                            ;   in Loop: Header=BB267_13 Depth=1
	s_wait_alu 0xfffe
	s_or_b32 exec_lo, exec_lo, s45
.LBB267_433:                            ;   in Loop: Header=BB267_13 Depth=1
	s_wait_alu 0xfffe
	s_or_b32 exec_lo, exec_lo, s44
.LBB267_434:                            ;   in Loop: Header=BB267_13 Depth=1
	s_wait_alu 0xfffe
	s_or_b32 exec_lo, exec_lo, s43
	global_load_b32 v9, v[7:8], off offset:1544
	v_mov_b32_e32 v79, 0
	s_mov_b32 s43, exec_lo
	s_wait_loadcnt 0x0
	v_dual_mov_b32 v80, 0 :: v_dual_and_b32 v1, 0xff, v9
	s_delay_alu instid0(VALU_DEP_1)
	v_cmpx_ne_u16_e32 0, v1
	s_cbranch_execz .LBB267_442
; %bb.435:                              ;   in Loop: Header=BB267_13 Depth=1
	v_mov_b32_e32 v80, 0x8000
	s_mov_b32 s44, exec_lo
	v_cmpx_ne_u16_e32 0x80, v1
	s_cbranch_execz .LBB267_441
; %bb.436:                              ;   in Loop: Header=BB267_13 Depth=1
	v_and_b32_e32 v81, 0x7f, v9
	v_mov_b32_e32 v80, 0x7c01
	s_mov_b32 s45, exec_lo
	s_delay_alu instid0(VALU_DEP_2)
	v_cmpx_ne_u32_e32 0x7f, v81
	s_cbranch_execz .LBB267_440
; %bb.437:                              ;   in Loop: Header=BB267_13 Depth=1
	v_and_b32_e32 v1, 7, v9
	v_lshrrev_b32_e32 v80, 3, v81
	s_mov_b32 s46, exec_lo
	v_cmpx_gt_u32_e32 8, v81
; %bb.438:                              ;   in Loop: Header=BB267_13 Depth=1
	s_delay_alu instid0(VALU_DEP_3) | instskip(NEXT) | instid1(VALU_DEP_1)
	v_clz_i32_u32_e32 v1, v1
	v_min_u32_e32 v1, 32, v1
	s_delay_alu instid0(VALU_DEP_1) | instskip(NEXT) | instid1(VALU_DEP_1)
	v_subrev_nc_u32_e32 v80, 28, v1
	v_lshlrev_b64_e32 v[81:82], v80, v[9:10]
	v_sub_nc_u32_e32 v80, 29, v1
	s_delay_alu instid0(VALU_DEP_2)
	v_and_b32_e32 v1, 7, v81
; %bb.439:                              ;   in Loop: Header=BB267_13 Depth=1
	s_wait_alu 0xfffe
	s_or_b32 exec_lo, exec_lo, s46
	v_lshlrev_b32_e32 v81, 8, v9
	v_lshl_add_u32 v80, v80, 10, 0x2000
	v_lshlrev_b32_e32 v1, 7, v1
	s_delay_alu instid0(VALU_DEP_3) | instskip(NEXT) | instid1(VALU_DEP_3)
	v_and_b32_e32 v81, 0x8000, v81
	v_and_b32_e32 v80, 0xfc00, v80
	s_delay_alu instid0(VALU_DEP_1)
	v_or3_b32 v80, v81, v80, v1
.LBB267_440:                            ;   in Loop: Header=BB267_13 Depth=1
	s_wait_alu 0xfffe
	s_or_b32 exec_lo, exec_lo, s45
.LBB267_441:                            ;   in Loop: Header=BB267_13 Depth=1
	s_wait_alu 0xfffe
	s_or_b32 exec_lo, exec_lo, s44
.LBB267_442:                            ;   in Loop: Header=BB267_13 Depth=1
	s_wait_alu 0xfffe
	s_or_b32 exec_lo, exec_lo, s43
	v_lshrrev_b16 v1, 8, v9
	s_mov_b32 s43, exec_lo
	s_delay_alu instid0(VALU_DEP_1)
	v_cmpx_ne_u16_e32 0, v1
	s_cbranch_execz .LBB267_450
; %bb.443:                              ;   in Loop: Header=BB267_13 Depth=1
	v_bfrev_b32_e32 v79, 1
	s_mov_b32 s44, exec_lo
	v_cmpx_ne_u16_e32 0x80, v1
	s_cbranch_execz .LBB267_449
; %bb.444:                              ;   in Loop: Header=BB267_13 Depth=1
	v_and_b32_e32 v81, 0xffff, v1
	v_mov_b32_e32 v79, 0x7c010000
	s_mov_b32 s45, exec_lo
	s_delay_alu instid0(VALU_DEP_2) | instskip(NEXT) | instid1(VALU_DEP_1)
	v_and_b32_e32 v83, 0x7f, v81
	v_cmpx_ne_u32_e32 0x7f, v83
	s_cbranch_execz .LBB267_448
; %bb.445:                              ;   in Loop: Header=BB267_13 Depth=1
	v_and_b32_e32 v79, 7, v81
	v_lshrrev_b32_e32 v82, 3, v83
	s_mov_b32 s46, exec_lo
	v_cmpx_gt_u32_e32 8, v83
; %bb.446:                              ;   in Loop: Header=BB267_13 Depth=1
	s_delay_alu instid0(VALU_DEP_3) | instskip(NEXT) | instid1(VALU_DEP_1)
	v_clz_i32_u32_e32 v79, v79
	v_min_u32_e32 v79, 32, v79
	s_delay_alu instid0(VALU_DEP_1) | instskip(NEXT) | instid1(VALU_DEP_1)
	v_subrev_nc_u32_e32 v82, 28, v79
	v_lshlrev_b64_e32 v[83:84], v82, v[1:2]
	v_sub_nc_u32_e32 v82, 29, v79
	s_delay_alu instid0(VALU_DEP_2)
	v_and_b32_e32 v79, 7, v83
; %bb.447:                              ;   in Loop: Header=BB267_13 Depth=1
	s_wait_alu 0xfffe
	s_or_b32 exec_lo, exec_lo, s46
	v_lshlrev_b32_e32 v1, 8, v81
	v_lshl_add_u32 v81, v82, 10, 0x2000
	v_lshlrev_b32_e32 v79, 23, v79
	s_delay_alu instid0(VALU_DEP_2) | instskip(NEXT) | instid1(VALU_DEP_1)
	v_and_or_b32 v1, 0x8000, v1, v81
	v_lshl_or_b32 v79, v1, 16, v79
.LBB267_448:                            ;   in Loop: Header=BB267_13 Depth=1
	s_wait_alu 0xfffe
	s_or_b32 exec_lo, exec_lo, s45
.LBB267_449:                            ;   in Loop: Header=BB267_13 Depth=1
	s_wait_alu 0xfffe
	s_or_b32 exec_lo, exec_lo, s44
.LBB267_450:                            ;   in Loop: Header=BB267_13 Depth=1
	s_wait_alu 0xfffe
	s_or_b32 exec_lo, exec_lo, s43
	v_lshrrev_b32_e32 v1, 16, v9
	v_mov_b32_e32 v81, 0
	s_mov_b32 s43, exec_lo
	s_delay_alu instid0(VALU_DEP_2) | instskip(NEXT) | instid1(VALU_DEP_1)
	v_dual_mov_b32 v82, 0 :: v_dual_and_b32 v83, 0xff, v1
	v_cmpx_ne_u16_e32 0, v83
	s_cbranch_execz .LBB267_458
; %bb.451:                              ;   in Loop: Header=BB267_13 Depth=1
	v_mov_b32_e32 v82, 0x8000
	s_mov_b32 s44, exec_lo
	v_cmpx_ne_u16_e32 0x80, v83
	s_cbranch_execz .LBB267_457
; %bb.452:                              ;   in Loop: Header=BB267_13 Depth=1
	v_bfe_u32 v84, v9, 16, 7
	v_mov_b32_e32 v82, 0x7c01
	s_mov_b32 s45, exec_lo
	s_delay_alu instid0(VALU_DEP_2)
	v_cmpx_ne_u32_e32 0x7f, v84
	s_cbranch_execz .LBB267_456
; %bb.453:                              ;   in Loop: Header=BB267_13 Depth=1
	v_and_b32_e32 v82, 7, v1
	v_lshrrev_b32_e32 v83, 3, v84
	s_mov_b32 s46, exec_lo
	v_cmpx_gt_u32_e32 8, v84
; %bb.454:                              ;   in Loop: Header=BB267_13 Depth=1
	s_delay_alu instid0(VALU_DEP_3) | instskip(NEXT) | instid1(VALU_DEP_1)
	v_clz_i32_u32_e32 v82, v82
	v_min_u32_e32 v84, 32, v82
	s_delay_alu instid0(VALU_DEP_1) | instskip(NEXT) | instid1(VALU_DEP_1)
	v_subrev_nc_u32_e32 v82, 28, v84
	v_lshlrev_b64_e32 v[82:83], v82, v[1:2]
	v_sub_nc_u32_e32 v83, 29, v84
	s_delay_alu instid0(VALU_DEP_2)
	v_and_b32_e32 v82, 7, v82
; %bb.455:                              ;   in Loop: Header=BB267_13 Depth=1
	s_wait_alu 0xfffe
	s_or_b32 exec_lo, exec_lo, s46
	v_lshlrev_b32_e32 v1, 8, v1
	v_lshl_add_u32 v83, v83, 10, 0x2000
	v_lshlrev_b32_e32 v82, 7, v82
	s_delay_alu instid0(VALU_DEP_3) | instskip(NEXT) | instid1(VALU_DEP_3)
	v_and_b32_e32 v1, 0x8000, v1
	v_and_b32_e32 v83, 0xfc00, v83
	s_delay_alu instid0(VALU_DEP_1)
	v_or3_b32 v82, v1, v83, v82
.LBB267_456:                            ;   in Loop: Header=BB267_13 Depth=1
	s_wait_alu 0xfffe
	s_or_b32 exec_lo, exec_lo, s45
.LBB267_457:                            ;   in Loop: Header=BB267_13 Depth=1
	s_wait_alu 0xfffe
	s_or_b32 exec_lo, exec_lo, s44
.LBB267_458:                            ;   in Loop: Header=BB267_13 Depth=1
	s_wait_alu 0xfffe
	s_or_b32 exec_lo, exec_lo, s43
	s_delay_alu instid0(SALU_CYCLE_1)
	s_mov_b32 s43, exec_lo
	v_cmpx_lt_u32_e32 0xffffff, v9
	s_cbranch_execz .LBB267_466
; %bb.459:                              ;   in Loop: Header=BB267_13 Depth=1
	v_lshrrev_b32_e32 v1, 24, v9
	v_bfrev_b32_e32 v81, 1
	s_mov_b32 s44, exec_lo
	s_delay_alu instid0(VALU_DEP_2)
	v_cmpx_ne_u32_e32 0x80, v1
	s_cbranch_execz .LBB267_465
; %bb.460:                              ;   in Loop: Header=BB267_13 Depth=1
	v_and_b32_e32 v83, 0x7f, v1
	v_mov_b32_e32 v81, 0x7c010000
	s_mov_b32 s45, exec_lo
	s_delay_alu instid0(VALU_DEP_2)
	v_cmpx_ne_u32_e32 0x7f, v83
	s_cbranch_execz .LBB267_464
; %bb.461:                              ;   in Loop: Header=BB267_13 Depth=1
	v_and_b32_e32 v9, 7, v1
	v_lshrrev_b32_e32 v81, 3, v83
	s_mov_b32 s46, exec_lo
	v_cmpx_gt_u32_e32 8, v83
; %bb.462:                              ;   in Loop: Header=BB267_13 Depth=1
	s_delay_alu instid0(VALU_DEP_3) | instskip(NEXT) | instid1(VALU_DEP_1)
	v_clz_i32_u32_e32 v9, v9
	v_min_u32_e32 v9, 32, v9
	s_delay_alu instid0(VALU_DEP_1) | instskip(NEXT) | instid1(VALU_DEP_1)
	v_subrev_nc_u32_e32 v81, 28, v9
	v_lshlrev_b64_e32 v[83:84], v81, v[1:2]
	v_sub_nc_u32_e32 v81, 29, v9
	s_delay_alu instid0(VALU_DEP_2)
	v_and_b32_e32 v9, 7, v83
; %bb.463:                              ;   in Loop: Header=BB267_13 Depth=1
	s_wait_alu 0xfffe
	s_or_b32 exec_lo, exec_lo, s46
	v_lshlrev_b32_e32 v1, 8, v1
	v_lshl_add_u32 v81, v81, 10, 0x2000
	v_lshlrev_b32_e32 v9, 23, v9
	s_delay_alu instid0(VALU_DEP_2) | instskip(NEXT) | instid1(VALU_DEP_1)
	v_and_or_b32 v1, 0x8000, v1, v81
	v_lshl_or_b32 v81, v1, 16, v9
.LBB267_464:                            ;   in Loop: Header=BB267_13 Depth=1
	s_wait_alu 0xfffe
	s_or_b32 exec_lo, exec_lo, s45
.LBB267_465:                            ;   in Loop: Header=BB267_13 Depth=1
	s_wait_alu 0xfffe
	s_or_b32 exec_lo, exec_lo, s44
.LBB267_466:                            ;   in Loop: Header=BB267_13 Depth=1
	s_wait_alu 0xfffe
	s_or_b32 exec_lo, exec_lo, s43
	global_load_b32 v9, v[7:8], off offset:1792
	v_mov_b32_e32 v83, 0
	s_mov_b32 s43, exec_lo
	s_wait_loadcnt 0x0
	v_dual_mov_b32 v84, 0 :: v_dual_and_b32 v1, 0xff, v9
	s_delay_alu instid0(VALU_DEP_1)
	v_cmpx_ne_u16_e32 0, v1
	s_cbranch_execz .LBB267_474
; %bb.467:                              ;   in Loop: Header=BB267_13 Depth=1
	v_mov_b32_e32 v84, 0x8000
	s_mov_b32 s44, exec_lo
	v_cmpx_ne_u16_e32 0x80, v1
	s_cbranch_execz .LBB267_473
; %bb.468:                              ;   in Loop: Header=BB267_13 Depth=1
	v_and_b32_e32 v85, 0x7f, v9
	v_mov_b32_e32 v84, 0x7c01
	s_mov_b32 s45, exec_lo
	s_delay_alu instid0(VALU_DEP_2)
	v_cmpx_ne_u32_e32 0x7f, v85
	s_cbranch_execz .LBB267_472
; %bb.469:                              ;   in Loop: Header=BB267_13 Depth=1
	v_and_b32_e32 v1, 7, v9
	v_lshrrev_b32_e32 v84, 3, v85
	s_mov_b32 s46, exec_lo
	v_cmpx_gt_u32_e32 8, v85
; %bb.470:                              ;   in Loop: Header=BB267_13 Depth=1
	s_delay_alu instid0(VALU_DEP_3) | instskip(NEXT) | instid1(VALU_DEP_1)
	v_clz_i32_u32_e32 v1, v1
	v_min_u32_e32 v1, 32, v1
	s_delay_alu instid0(VALU_DEP_1) | instskip(NEXT) | instid1(VALU_DEP_1)
	v_subrev_nc_u32_e32 v84, 28, v1
	v_lshlrev_b64_e32 v[85:86], v84, v[9:10]
	v_sub_nc_u32_e32 v84, 29, v1
	s_delay_alu instid0(VALU_DEP_2)
	v_and_b32_e32 v1, 7, v85
; %bb.471:                              ;   in Loop: Header=BB267_13 Depth=1
	s_wait_alu 0xfffe
	s_or_b32 exec_lo, exec_lo, s46
	v_lshlrev_b32_e32 v85, 8, v9
	v_lshl_add_u32 v84, v84, 10, 0x2000
	v_lshlrev_b32_e32 v1, 7, v1
	s_delay_alu instid0(VALU_DEP_3) | instskip(NEXT) | instid1(VALU_DEP_3)
	v_and_b32_e32 v85, 0x8000, v85
	v_and_b32_e32 v84, 0xfc00, v84
	s_delay_alu instid0(VALU_DEP_1)
	v_or3_b32 v84, v85, v84, v1
.LBB267_472:                            ;   in Loop: Header=BB267_13 Depth=1
	s_wait_alu 0xfffe
	s_or_b32 exec_lo, exec_lo, s45
.LBB267_473:                            ;   in Loop: Header=BB267_13 Depth=1
	s_wait_alu 0xfffe
	s_or_b32 exec_lo, exec_lo, s44
.LBB267_474:                            ;   in Loop: Header=BB267_13 Depth=1
	s_wait_alu 0xfffe
	s_or_b32 exec_lo, exec_lo, s43
	v_lshrrev_b16 v1, 8, v9
	s_mov_b32 s43, exec_lo
	s_delay_alu instid0(VALU_DEP_1)
	v_cmpx_ne_u16_e32 0, v1
	s_cbranch_execz .LBB267_482
; %bb.475:                              ;   in Loop: Header=BB267_13 Depth=1
	v_bfrev_b32_e32 v83, 1
	s_mov_b32 s44, exec_lo
	v_cmpx_ne_u16_e32 0x80, v1
	s_cbranch_execz .LBB267_481
; %bb.476:                              ;   in Loop: Header=BB267_13 Depth=1
	v_and_b32_e32 v85, 0xffff, v1
	v_mov_b32_e32 v83, 0x7c010000
	s_mov_b32 s45, exec_lo
	s_delay_alu instid0(VALU_DEP_2) | instskip(NEXT) | instid1(VALU_DEP_1)
	v_and_b32_e32 v87, 0x7f, v85
	v_cmpx_ne_u32_e32 0x7f, v87
	s_cbranch_execz .LBB267_480
; %bb.477:                              ;   in Loop: Header=BB267_13 Depth=1
	v_and_b32_e32 v83, 7, v85
	v_lshrrev_b32_e32 v86, 3, v87
	s_mov_b32 s46, exec_lo
	v_cmpx_gt_u32_e32 8, v87
; %bb.478:                              ;   in Loop: Header=BB267_13 Depth=1
	s_delay_alu instid0(VALU_DEP_3) | instskip(NEXT) | instid1(VALU_DEP_1)
	v_clz_i32_u32_e32 v83, v83
	v_min_u32_e32 v83, 32, v83
	s_delay_alu instid0(VALU_DEP_1) | instskip(NEXT) | instid1(VALU_DEP_1)
	v_subrev_nc_u32_e32 v86, 28, v83
	v_lshlrev_b64_e32 v[87:88], v86, v[1:2]
	v_sub_nc_u32_e32 v86, 29, v83
	s_delay_alu instid0(VALU_DEP_2)
	v_and_b32_e32 v83, 7, v87
; %bb.479:                              ;   in Loop: Header=BB267_13 Depth=1
	s_wait_alu 0xfffe
	s_or_b32 exec_lo, exec_lo, s46
	v_lshlrev_b32_e32 v1, 8, v85
	v_lshl_add_u32 v85, v86, 10, 0x2000
	v_lshlrev_b32_e32 v83, 23, v83
	s_delay_alu instid0(VALU_DEP_2) | instskip(NEXT) | instid1(VALU_DEP_1)
	v_and_or_b32 v1, 0x8000, v1, v85
	v_lshl_or_b32 v83, v1, 16, v83
.LBB267_480:                            ;   in Loop: Header=BB267_13 Depth=1
	s_wait_alu 0xfffe
	s_or_b32 exec_lo, exec_lo, s45
.LBB267_481:                            ;   in Loop: Header=BB267_13 Depth=1
	s_wait_alu 0xfffe
	s_or_b32 exec_lo, exec_lo, s44
.LBB267_482:                            ;   in Loop: Header=BB267_13 Depth=1
	s_wait_alu 0xfffe
	s_or_b32 exec_lo, exec_lo, s43
	v_lshrrev_b32_e32 v1, 16, v9
	v_mov_b32_e32 v85, 0
	s_mov_b32 s43, exec_lo
	s_delay_alu instid0(VALU_DEP_2) | instskip(NEXT) | instid1(VALU_DEP_1)
	v_dual_mov_b32 v86, 0 :: v_dual_and_b32 v87, 0xff, v1
	v_cmpx_ne_u16_e32 0, v87
	s_cbranch_execz .LBB267_490
; %bb.483:                              ;   in Loop: Header=BB267_13 Depth=1
	v_mov_b32_e32 v86, 0x8000
	s_mov_b32 s44, exec_lo
	v_cmpx_ne_u16_e32 0x80, v87
	s_cbranch_execz .LBB267_489
; %bb.484:                              ;   in Loop: Header=BB267_13 Depth=1
	v_bfe_u32 v88, v9, 16, 7
	v_mov_b32_e32 v86, 0x7c01
	s_mov_b32 s45, exec_lo
	s_delay_alu instid0(VALU_DEP_2)
	v_cmpx_ne_u32_e32 0x7f, v88
	s_cbranch_execz .LBB267_488
; %bb.485:                              ;   in Loop: Header=BB267_13 Depth=1
	v_and_b32_e32 v86, 7, v1
	v_lshrrev_b32_e32 v87, 3, v88
	s_mov_b32 s46, exec_lo
	v_cmpx_gt_u32_e32 8, v88
; %bb.486:                              ;   in Loop: Header=BB267_13 Depth=1
	s_delay_alu instid0(VALU_DEP_3) | instskip(NEXT) | instid1(VALU_DEP_1)
	v_clz_i32_u32_e32 v86, v86
	v_min_u32_e32 v88, 32, v86
	s_delay_alu instid0(VALU_DEP_1) | instskip(NEXT) | instid1(VALU_DEP_1)
	v_subrev_nc_u32_e32 v86, 28, v88
	v_lshlrev_b64_e32 v[86:87], v86, v[1:2]
	v_sub_nc_u32_e32 v87, 29, v88
	s_delay_alu instid0(VALU_DEP_2)
	v_and_b32_e32 v86, 7, v86
; %bb.487:                              ;   in Loop: Header=BB267_13 Depth=1
	s_wait_alu 0xfffe
	s_or_b32 exec_lo, exec_lo, s46
	v_lshlrev_b32_e32 v1, 8, v1
	v_lshl_add_u32 v87, v87, 10, 0x2000
	v_lshlrev_b32_e32 v86, 7, v86
	s_delay_alu instid0(VALU_DEP_3) | instskip(NEXT) | instid1(VALU_DEP_3)
	v_and_b32_e32 v1, 0x8000, v1
	v_and_b32_e32 v87, 0xfc00, v87
	s_delay_alu instid0(VALU_DEP_1)
	v_or3_b32 v86, v1, v87, v86
.LBB267_488:                            ;   in Loop: Header=BB267_13 Depth=1
	s_wait_alu 0xfffe
	s_or_b32 exec_lo, exec_lo, s45
.LBB267_489:                            ;   in Loop: Header=BB267_13 Depth=1
	s_wait_alu 0xfffe
	s_or_b32 exec_lo, exec_lo, s44
.LBB267_490:                            ;   in Loop: Header=BB267_13 Depth=1
	s_wait_alu 0xfffe
	s_or_b32 exec_lo, exec_lo, s43
	s_delay_alu instid0(SALU_CYCLE_1)
	s_mov_b32 s43, exec_lo
	v_cmpx_lt_u32_e32 0xffffff, v9
	s_cbranch_execz .LBB267_498
; %bb.491:                              ;   in Loop: Header=BB267_13 Depth=1
	v_lshrrev_b32_e32 v1, 24, v9
	v_bfrev_b32_e32 v85, 1
	s_mov_b32 s44, exec_lo
	s_delay_alu instid0(VALU_DEP_2)
	v_cmpx_ne_u32_e32 0x80, v1
	s_cbranch_execz .LBB267_497
; %bb.492:                              ;   in Loop: Header=BB267_13 Depth=1
	v_and_b32_e32 v87, 0x7f, v1
	v_mov_b32_e32 v85, 0x7c010000
	s_mov_b32 s45, exec_lo
	s_delay_alu instid0(VALU_DEP_2)
	v_cmpx_ne_u32_e32 0x7f, v87
	s_cbranch_execz .LBB267_496
; %bb.493:                              ;   in Loop: Header=BB267_13 Depth=1
	v_and_b32_e32 v9, 7, v1
	v_lshrrev_b32_e32 v85, 3, v87
	s_mov_b32 s46, exec_lo
	v_cmpx_gt_u32_e32 8, v87
; %bb.494:                              ;   in Loop: Header=BB267_13 Depth=1
	s_delay_alu instid0(VALU_DEP_3) | instskip(NEXT) | instid1(VALU_DEP_1)
	v_clz_i32_u32_e32 v9, v9
	v_min_u32_e32 v9, 32, v9
	s_delay_alu instid0(VALU_DEP_1) | instskip(NEXT) | instid1(VALU_DEP_1)
	v_subrev_nc_u32_e32 v85, 28, v9
	v_lshlrev_b64_e32 v[87:88], v85, v[1:2]
	v_sub_nc_u32_e32 v85, 29, v9
	s_delay_alu instid0(VALU_DEP_2)
	v_and_b32_e32 v9, 7, v87
; %bb.495:                              ;   in Loop: Header=BB267_13 Depth=1
	s_wait_alu 0xfffe
	s_or_b32 exec_lo, exec_lo, s46
	v_lshlrev_b32_e32 v1, 8, v1
	v_lshl_add_u32 v85, v85, 10, 0x2000
	v_lshlrev_b32_e32 v9, 23, v9
	s_delay_alu instid0(VALU_DEP_2) | instskip(NEXT) | instid1(VALU_DEP_1)
	v_and_or_b32 v1, 0x8000, v1, v85
	v_lshl_or_b32 v85, v1, 16, v9
.LBB267_496:                            ;   in Loop: Header=BB267_13 Depth=1
	s_wait_alu 0xfffe
	s_or_b32 exec_lo, exec_lo, s45
.LBB267_497:                            ;   in Loop: Header=BB267_13 Depth=1
	s_wait_alu 0xfffe
	s_or_b32 exec_lo, exec_lo, s44
.LBB267_498:                            ;   in Loop: Header=BB267_13 Depth=1
	s_wait_alu 0xfffe
	s_or_b32 exec_lo, exec_lo, s43
	global_load_b32 v7, v[7:8], off offset:1800
	v_mov_b32_e32 v9, 0
	s_mov_b32 s43, exec_lo
	s_wait_loadcnt 0x0
	v_dual_mov_b32 v8, 0 :: v_dual_and_b32 v1, 0xff, v7
	s_delay_alu instid0(VALU_DEP_1)
	v_cmpx_ne_u16_e32 0, v1
	s_cbranch_execz .LBB267_506
; %bb.499:                              ;   in Loop: Header=BB267_13 Depth=1
	v_mov_b32_e32 v9, 0x8000
	s_mov_b32 s44, exec_lo
	v_cmpx_ne_u16_e32 0x80, v1
	s_cbranch_execz .LBB267_505
; %bb.500:                              ;   in Loop: Header=BB267_13 Depth=1
	v_and_b32_e32 v87, 0x7f, v7
	v_mov_b32_e32 v9, 0x7c01
	s_mov_b32 s45, exec_lo
	s_delay_alu instid0(VALU_DEP_2)
	v_cmpx_ne_u32_e32 0x7f, v87
	s_cbranch_execz .LBB267_504
; %bb.501:                              ;   in Loop: Header=BB267_13 Depth=1
	v_and_b32_e32 v1, 7, v7
	v_lshrrev_b32_e32 v9, 3, v87
	s_mov_b32 s46, exec_lo
	v_cmpx_gt_u32_e32 8, v87
; %bb.502:                              ;   in Loop: Header=BB267_13 Depth=1
	s_delay_alu instid0(VALU_DEP_3) | instskip(NEXT) | instid1(VALU_DEP_1)
	v_clz_i32_u32_e32 v1, v1
	v_min_u32_e32 v1, 32, v1
	s_delay_alu instid0(VALU_DEP_1) | instskip(NEXT) | instid1(VALU_DEP_1)
	v_subrev_nc_u32_e32 v9, 28, v1
	v_lshlrev_b64_e32 v[87:88], v9, v[7:8]
	v_sub_nc_u32_e32 v9, 29, v1
	s_delay_alu instid0(VALU_DEP_2)
	v_and_b32_e32 v1, 7, v87
; %bb.503:                              ;   in Loop: Header=BB267_13 Depth=1
	s_wait_alu 0xfffe
	s_or_b32 exec_lo, exec_lo, s46
	v_lshlrev_b32_e32 v87, 8, v7
	v_lshl_add_u32 v9, v9, 10, 0x2000
	v_lshlrev_b32_e32 v1, 7, v1
	s_delay_alu instid0(VALU_DEP_3) | instskip(NEXT) | instid1(VALU_DEP_3)
	v_and_b32_e32 v87, 0x8000, v87
	v_and_b32_e32 v9, 0xfc00, v9
	s_delay_alu instid0(VALU_DEP_1)
	v_or3_b32 v9, v87, v9, v1
.LBB267_504:                            ;   in Loop: Header=BB267_13 Depth=1
	s_wait_alu 0xfffe
	s_or_b32 exec_lo, exec_lo, s45
.LBB267_505:                            ;   in Loop: Header=BB267_13 Depth=1
	s_wait_alu 0xfffe
	s_or_b32 exec_lo, exec_lo, s44
.LBB267_506:                            ;   in Loop: Header=BB267_13 Depth=1
	s_wait_alu 0xfffe
	s_or_b32 exec_lo, exec_lo, s43
	v_lshrrev_b16 v1, 8, v7
	s_mov_b32 s43, exec_lo
	s_delay_alu instid0(VALU_DEP_1)
	v_cmpx_ne_u16_e32 0, v1
	s_cbranch_execz .LBB267_514
; %bb.507:                              ;   in Loop: Header=BB267_13 Depth=1
	v_bfrev_b32_e32 v8, 1
	s_mov_b32 s44, exec_lo
	v_cmpx_ne_u16_e32 0x80, v1
	s_cbranch_execz .LBB267_513
; %bb.508:                              ;   in Loop: Header=BB267_13 Depth=1
	v_and_b32_e32 v87, 0xffff, v1
	v_mov_b32_e32 v8, 0x7c010000
	s_mov_b32 s45, exec_lo
	s_delay_alu instid0(VALU_DEP_2) | instskip(NEXT) | instid1(VALU_DEP_1)
	v_and_b32_e32 v89, 0x7f, v87
	v_cmpx_ne_u32_e32 0x7f, v89
	s_cbranch_execz .LBB267_512
; %bb.509:                              ;   in Loop: Header=BB267_13 Depth=1
	v_and_b32_e32 v8, 7, v87
	v_lshrrev_b32_e32 v88, 3, v89
	s_mov_b32 s46, exec_lo
	v_cmpx_gt_u32_e32 8, v89
; %bb.510:                              ;   in Loop: Header=BB267_13 Depth=1
	s_delay_alu instid0(VALU_DEP_3) | instskip(NEXT) | instid1(VALU_DEP_1)
	v_clz_i32_u32_e32 v8, v8
	v_min_u32_e32 v8, 32, v8
	s_delay_alu instid0(VALU_DEP_1) | instskip(NEXT) | instid1(VALU_DEP_1)
	v_subrev_nc_u32_e32 v88, 28, v8
	v_lshlrev_b64_e32 v[89:90], v88, v[1:2]
	v_sub_nc_u32_e32 v88, 29, v8
	s_delay_alu instid0(VALU_DEP_2)
	v_and_b32_e32 v8, 7, v89
; %bb.511:                              ;   in Loop: Header=BB267_13 Depth=1
	s_wait_alu 0xfffe
	s_or_b32 exec_lo, exec_lo, s46
	v_lshlrev_b32_e32 v1, 8, v87
	v_lshl_add_u32 v87, v88, 10, 0x2000
	v_lshlrev_b32_e32 v8, 23, v8
	s_delay_alu instid0(VALU_DEP_2) | instskip(NEXT) | instid1(VALU_DEP_1)
	v_and_or_b32 v1, 0x8000, v1, v87
	v_lshl_or_b32 v8, v1, 16, v8
.LBB267_512:                            ;   in Loop: Header=BB267_13 Depth=1
	s_wait_alu 0xfffe
	s_or_b32 exec_lo, exec_lo, s45
.LBB267_513:                            ;   in Loop: Header=BB267_13 Depth=1
	s_wait_alu 0xfffe
	s_or_b32 exec_lo, exec_lo, s44
.LBB267_514:                            ;   in Loop: Header=BB267_13 Depth=1
	s_wait_alu 0xfffe
	s_or_b32 exec_lo, exec_lo, s43
	v_lshrrev_b32_e32 v1, 16, v7
	v_mov_b32_e32 v87, 0
	s_mov_b32 s43, exec_lo
	s_delay_alu instid0(VALU_DEP_2) | instskip(NEXT) | instid1(VALU_DEP_1)
	v_dual_mov_b32 v88, 0 :: v_dual_and_b32 v89, 0xff, v1
	v_cmpx_ne_u16_e32 0, v89
	s_cbranch_execz .LBB267_522
; %bb.515:                              ;   in Loop: Header=BB267_13 Depth=1
	v_mov_b32_e32 v88, 0x8000
	s_mov_b32 s44, exec_lo
	v_cmpx_ne_u16_e32 0x80, v89
	s_cbranch_execz .LBB267_521
; %bb.516:                              ;   in Loop: Header=BB267_13 Depth=1
	v_bfe_u32 v90, v7, 16, 7
	v_mov_b32_e32 v88, 0x7c01
	s_mov_b32 s45, exec_lo
	s_delay_alu instid0(VALU_DEP_2)
	v_cmpx_ne_u32_e32 0x7f, v90
	s_cbranch_execz .LBB267_520
; %bb.517:                              ;   in Loop: Header=BB267_13 Depth=1
	v_and_b32_e32 v88, 7, v1
	v_lshrrev_b32_e32 v89, 3, v90
	s_mov_b32 s46, exec_lo
	v_cmpx_gt_u32_e32 8, v90
; %bb.518:                              ;   in Loop: Header=BB267_13 Depth=1
	s_delay_alu instid0(VALU_DEP_3) | instskip(NEXT) | instid1(VALU_DEP_1)
	v_clz_i32_u32_e32 v88, v88
	v_min_u32_e32 v90, 32, v88
	s_delay_alu instid0(VALU_DEP_1) | instskip(NEXT) | instid1(VALU_DEP_1)
	v_subrev_nc_u32_e32 v88, 28, v90
	v_lshlrev_b64_e32 v[88:89], v88, v[1:2]
	v_sub_nc_u32_e32 v89, 29, v90
	s_delay_alu instid0(VALU_DEP_2)
	v_and_b32_e32 v88, 7, v88
; %bb.519:                              ;   in Loop: Header=BB267_13 Depth=1
	s_wait_alu 0xfffe
	s_or_b32 exec_lo, exec_lo, s46
	v_lshlrev_b32_e32 v1, 8, v1
	v_lshl_add_u32 v89, v89, 10, 0x2000
	v_lshlrev_b32_e32 v88, 7, v88
	s_delay_alu instid0(VALU_DEP_3) | instskip(NEXT) | instid1(VALU_DEP_3)
	v_and_b32_e32 v1, 0x8000, v1
	v_and_b32_e32 v89, 0xfc00, v89
	s_delay_alu instid0(VALU_DEP_1)
	v_or3_b32 v88, v1, v89, v88
.LBB267_520:                            ;   in Loop: Header=BB267_13 Depth=1
	s_wait_alu 0xfffe
	s_or_b32 exec_lo, exec_lo, s45
.LBB267_521:                            ;   in Loop: Header=BB267_13 Depth=1
	s_wait_alu 0xfffe
	s_or_b32 exec_lo, exec_lo, s44
.LBB267_522:                            ;   in Loop: Header=BB267_13 Depth=1
	s_wait_alu 0xfffe
	s_or_b32 exec_lo, exec_lo, s43
	s_delay_alu instid0(SALU_CYCLE_1)
	s_mov_b32 s43, exec_lo
	v_cmpx_lt_u32_e32 0xffffff, v7
	s_cbranch_execz .LBB267_530
; %bb.523:                              ;   in Loop: Header=BB267_13 Depth=1
	v_lshrrev_b32_e32 v1, 24, v7
	v_bfrev_b32_e32 v87, 1
	s_mov_b32 s44, exec_lo
	s_delay_alu instid0(VALU_DEP_2)
	v_cmpx_ne_u32_e32 0x80, v1
	s_cbranch_execz .LBB267_529
; %bb.524:                              ;   in Loop: Header=BB267_13 Depth=1
	v_and_b32_e32 v89, 0x7f, v1
	v_mov_b32_e32 v87, 0x7c010000
	s_mov_b32 s45, exec_lo
	s_delay_alu instid0(VALU_DEP_2)
	v_cmpx_ne_u32_e32 0x7f, v89
	s_cbranch_execz .LBB267_528
; %bb.525:                              ;   in Loop: Header=BB267_13 Depth=1
	v_and_b32_e32 v7, 7, v1
	v_lshrrev_b32_e32 v87, 3, v89
	s_mov_b32 s46, exec_lo
	v_cmpx_gt_u32_e32 8, v89
; %bb.526:                              ;   in Loop: Header=BB267_13 Depth=1
	s_delay_alu instid0(VALU_DEP_3) | instskip(NEXT) | instid1(VALU_DEP_1)
	v_clz_i32_u32_e32 v7, v7
	v_min_u32_e32 v7, 32, v7
	s_delay_alu instid0(VALU_DEP_1) | instskip(NEXT) | instid1(VALU_DEP_1)
	v_subrev_nc_u32_e32 v87, 28, v7
	v_lshlrev_b64_e32 v[89:90], v87, v[1:2]
	v_sub_nc_u32_e32 v87, 29, v7
	s_delay_alu instid0(VALU_DEP_2)
	v_and_b32_e32 v7, 7, v89
; %bb.527:                              ;   in Loop: Header=BB267_13 Depth=1
	s_wait_alu 0xfffe
	s_or_b32 exec_lo, exec_lo, s46
	v_lshlrev_b32_e32 v1, 8, v1
	v_lshl_add_u32 v87, v87, 10, 0x2000
	v_lshlrev_b32_e32 v7, 23, v7
	s_delay_alu instid0(VALU_DEP_2) | instskip(NEXT) | instid1(VALU_DEP_1)
	v_and_or_b32 v1, 0x8000, v1, v87
	v_lshl_or_b32 v87, v1, 16, v7
.LBB267_528:                            ;   in Loop: Header=BB267_13 Depth=1
	s_wait_alu 0xfffe
	s_or_b32 exec_lo, exec_lo, s45
.LBB267_529:                            ;   in Loop: Header=BB267_13 Depth=1
	s_wait_alu 0xfffe
	s_or_b32 exec_lo, exec_lo, s44
.LBB267_530:                            ;   in Loop: Header=BB267_13 Depth=1
	s_wait_alu 0xfffe
	s_or_b32 exec_lo, exec_lo, s43
	ds_load_b64 v[89:90], v20
	v_or_b32_e32 v1, v27, v28
	v_or_b32_e32 v7, v29, v30
	v_fma_mixlo_f16 v27, v26, v27, 0 op_sel:[0,1,0] op_sel_hi:[0,1,0]
	v_fma_mixlo_f16 v28, v26, v29, 0 op_sel:[0,1,0] op_sel_hi:[0,1,0]
	v_or_b32_e32 v32, v31, v32
	v_fma_mixlo_f16 v1, v26, v1, 0 op_sel_hi:[0,1,0]
	v_fma_mixlo_f16 v7, v26, v7, 0 op_sel_hi:[0,1,0]
	v_and_b32_e32 v27, 0xffff, v27
	v_and_b32_e32 v91, 0xffff, v28
	v_or_b32_e32 v34, v33, v34
	v_and_b32_e32 v28, 0xffff, v1
	v_fma_mixlo_f16 v31, v26, v31, 0 op_sel:[0,1,0] op_sel_hi:[0,1,0]
	v_fma_mixlo_f16 v33, v26, v33, 0 op_sel:[0,1,0] op_sel_hi:[0,1,0]
	v_fma_mixlo_f16 v32, v26, v32, 0 op_sel_hi:[0,1,0]
	v_fma_mixlo_f16 v34, v26, v34, 0 op_sel_hi:[0,1,0]
	v_or_b32_e32 v36, v35, v36
	v_and_b32_e32 v95, 0xffff, v31
	v_and_b32_e32 v96, 0xffff, v33
	v_or_b32_e32 v38, v37, v38
	s_wait_dscnt 0x0
	v_and_b32_e32 v1, 0xffff, v89
	v_lshrrev_b32_e32 v29, 16, v89
	v_and_b32_e32 v89, 0xffff, v7
	v_lshrrev_b32_e32 v92, 16, v90
	v_and_b32_e32 v30, 0xffff, v90
	;;#ASMSTART
	v_cvt_f32_f16 v1, v1;
	;;#ASMEND
	;;#ASMSTART
	v_cvt_f32_f16 v7, v29;
	;;#ASMEND
	;; [unrolled: 3-line block ×8, first 2 shown]
	ds_load_b64 v[91:92], v20 offset:8
	v_and_b32_e32 v32, 0xffff, v32
	v_or_b32_e32 v72, v71, v72
	v_fma_mixlo_f16 v71, v26, v71, 0 op_sel:[0,1,0] op_sel_hi:[0,1,0]
	v_fma_mixlo_f16 v35, v26, v35, 0 op_sel:[0,1,0] op_sel_hi:[0,1,0]
	;; [unrolled: 1-line block ×3, first 2 shown]
	v_fma_mixlo_f16 v36, v26, v36, 0 op_sel_hi:[0,1,0]
	v_fma_mixlo_f16 v38, v26, v38, 0 op_sel_hi:[0,1,0]
	v_and_b32_e32 v133, 0xffff, v71
	v_or_b32_e32 v40, v39, v40
	v_or_b32_e32 v42, v41, v42
	v_fma_mixlo_f16 v39, v26, v39, 0 op_sel:[0,1,0] op_sel_hi:[0,1,0]
	v_and_b32_e32 v99, 0xffff, v38
	v_fma_mixlo_f16 v41, v26, v41, 0 op_sel:[0,1,0] op_sel_hi:[0,1,0]
	v_fma_mixlo_f16 v40, v26, v40, 0 op_sel_hi:[0,1,0]
	v_fma_mixlo_f16 v42, v26, v42, 0 op_sel_hi:[0,1,0]
	v_and_b32_e32 v101, 0xffff, v39
	v_or_b32_e32 v44, v43, v44
	v_or_b32_e32 v48, v47, v48
	v_fma_mixlo_f16 v43, v26, v43, 0 op_sel:[0,1,0] op_sel_hi:[0,1,0]
	s_wait_dscnt 0x0
	v_and_b32_e32 v31, 0xffff, v91
	v_lshrrev_b32_e32 v33, 16, v91
	v_and_b32_e32 v91, 0xffff, v34
	v_and_b32_e32 v34, 0xffff, v92
	;;#ASMSTART
	v_cvt_f32_f16 v93, v31;
	;;#ASMEND
	;;#ASMSTART
	v_cvt_f32_f16 v31, v33;
	;;#ASMEND
	;; [unrolled: 3-line block ×4, first 2 shown]
	v_lshrrev_b32_e32 v97, 16, v92
	;;#ASMSTART
	v_cvt_f32_f16 v34, v34;
	;;#ASMEND
	;;#ASMSTART
	v_cvt_f32_f16 v32, v97;
	;;#ASMEND
	;; [unrolled: 3-line block ×3, first 2 shown]
	v_mul_f32_e32 v31, v31, v33
	v_mul_f32_e32 v33, v34, v91
	;;#ASMSTART
	v_cvt_f32_f16 v92, v96;
	;;#ASMEND
	ds_load_b64 v[95:96], v20 offset:16
	v_mul_f32_e32 v71, v93, v94
	v_and_b32_e32 v97, 0xffff, v35
	v_and_b32_e32 v98, 0xffff, v37
	v_and_b32_e32 v37, 0xffff, v36
	v_fmac_f32_e32 v31, v7, v29
	v_fmac_f32_e32 v71, v1, v28
	v_and_b32_e32 v103, 0xffff, v42
	v_fma_mixlo_f16 v47, v26, v47, 0 op_sel:[0,1,0] op_sel_hi:[0,1,0]
	v_fma_mixlo_f16 v44, v26, v44, 0 op_sel_hi:[0,1,0]
	v_fma_mixlo_f16 v48, v26, v48, 0 op_sel_hi:[0,1,0]
	v_and_b32_e32 v105, 0xffff, v43
	v_or_b32_e32 v46, v45, v46
	v_or_b32_e32 v50, v49, v50
	v_fma_mixlo_f16 v45, v26, v45, 0 op_sel:[0,1,0] op_sel_hi:[0,1,0]
	v_and_b32_e32 v107, 0xffff, v48
	v_fma_mixlo_f16 v49, v26, v49, 0 op_sel:[0,1,0] op_sel_hi:[0,1,0]
	v_fma_mixlo_f16 v46, v26, v46, 0 op_sel_hi:[0,1,0]
	v_fma_mixlo_f16 v50, v26, v50, 0 op_sel_hi:[0,1,0]
	v_and_b32_e32 v109, 0xffff, v45
	s_wait_dscnt 0x0
	v_and_b32_e32 v35, 0xffff, v95
	v_lshrrev_b32_e32 v36, 16, v95
	v_lshrrev_b32_e32 v100, 16, v96
	v_and_b32_e32 v95, 0xffff, v96
	;;#ASMSTART
	v_cvt_f32_f16 v35, v35;
	;;#ASMEND
	;;#ASMSTART
	v_cvt_f32_f16 v36, v36;
	;;#ASMEND
	;; [unrolled: 3-line block ×8, first 2 shown]
	ds_load_b64 v[99:100], v20 offset:24
	v_dual_fmac_f32 v31, v36, v38 :: v_dual_and_b32 v102, 0xffff, v41
	v_and_b32_e32 v41, 0xffff, v40
	v_dual_fmac_f32 v71, v35, v37 :: v_dual_and_b32 v106, 0xffff, v47
	v_and_b32_e32 v47, 0xffff, v44
	v_and_b32_e32 v111, 0xffff, v50
	v_or_b32_e32 v52, v51, v52
	v_or_b32_e32 v64, v63, v64
	;; [unrolled: 1-line block ×3, first 2 shown]
	v_fmac_f32_e32 v33, v30, v90
	v_fma_mixlo_f16 v51, v26, v51, 0 op_sel:[0,1,0] op_sel_hi:[0,1,0]
	v_fma_mixlo_f16 v52, v26, v52, 0 op_sel_hi:[0,1,0]
	v_fma_mixlo_f16 v64, v26, v64, 0 op_sel_hi:[0,1,0]
	v_fma_mixlo_f16 v53, v26, v53, 0 op_sel:[0,1,0] op_sel_hi:[0,1,0]
	v_fma_mixlo_f16 v54, v26, v54, 0 op_sel_hi:[0,1,0]
	s_delay_alu instid0(VALU_DEP_4)
	v_dual_fmac_f32 v33, v95, v97 :: v_dual_and_b32 v52, 0xffff, v52
	v_and_b32_e32 v115, 0xffff, v51
	s_wait_dscnt 0x0
	v_and_b32_e32 v39, 0xffff, v99
	v_lshrrev_b32_e32 v40, 16, v99
	v_lshrrev_b32_e32 v104, 16, v100
	v_and_b32_e32 v99, 0xffff, v100
	;;#ASMSTART
	v_cvt_f32_f16 v39, v39;
	;;#ASMEND
	;;#ASMSTART
	v_cvt_f32_f16 v40, v40;
	;;#ASMEND
	;; [unrolled: 3-line block ×8, first 2 shown]
	ds_load_b64 v[103:104], v20 offset:32
	v_dual_fmac_f32 v31, v40, v42 :: v_dual_and_b32 v110, 0xffff, v49
	v_and_b32_e32 v49, 0xffff, v46
	v_dual_fmac_f32 v71, v39, v41 :: v_dual_and_b32 v64, 0xffff, v64
	v_or_b32_e32 v56, v55, v56
	v_or_b32_e32 v58, v57, v58
	v_fma_mixlo_f16 v55, v26, v55, 0 op_sel:[0,1,0] op_sel_hi:[0,1,0]
	v_fma_mixlo_f16 v57, v26, v57, 0 op_sel:[0,1,0] op_sel_hi:[0,1,0]
	v_or_b32_e32 v60, v59, v60
	v_fma_mixlo_f16 v56, v26, v56, 0 op_sel_hi:[0,1,0]
	v_fma_mixlo_f16 v58, v26, v58, 0 op_sel_hi:[0,1,0]
	v_and_b32_e32 v117, 0xffff, v55
	v_or_b32_e32 v62, v61, v62
	v_fmac_f32_e32 v33, v99, v101
	v_fma_mixlo_f16 v59, v26, v59, 0 op_sel:[0,1,0] op_sel_hi:[0,1,0]
	v_and_b32_e32 v119, 0xffff, v58
	v_fma_mixlo_f16 v61, v26, v61, 0 op_sel:[0,1,0] op_sel_hi:[0,1,0]
	v_fma_mixlo_f16 v60, v26, v60, 0 op_sel_hi:[0,1,0]
	s_wait_dscnt 0x0
	v_and_b32_e32 v43, 0xffff, v103
	v_lshrrev_b32_e32 v44, 16, v103
	v_lshrrev_b32_e32 v108, 16, v104
	v_and_b32_e32 v103, 0xffff, v104
	;;#ASMSTART
	v_cvt_f32_f16 v43, v43;
	;;#ASMEND
	;;#ASMSTART
	v_cvt_f32_f16 v44, v44;
	;;#ASMEND
	;; [unrolled: 3-line block ×8, first 2 shown]
	ds_load_b64 v[107:108], v20 offset:40
	v_dual_fmac_f32 v71, v43, v47 :: v_dual_and_b32 v116, 0xffff, v53
	v_dual_fmac_f32 v31, v44, v48 :: v_dual_and_b32 v118, 0xffff, v57
	v_and_b32_e32 v57, 0xffff, v56
	v_fmac_f32_e32 v33, v103, v105
	v_fma_mixlo_f16 v62, v26, v62, 0 op_sel_hi:[0,1,0]
	v_and_b32_e32 v121, 0xffff, v59
	v_or_b32_e32 v66, v65, v66
	v_fma_mixlo_f16 v63, v26, v63, 0 op_sel:[0,1,0] op_sel_hi:[0,1,0]
	v_fma_mixlo_f16 v65, v26, v65, 0 op_sel:[0,1,0] op_sel_hi:[0,1,0]
	v_and_b32_e32 v123, 0xffff, v62
	v_or_b32_e32 v68, v67, v68
	v_fma_mixlo_f16 v66, v26, v66, 0 op_sel_hi:[0,1,0]
	v_and_b32_e32 v63, 0xffff, v63
	v_or_b32_e32 v70, v69, v70
	v_fma_mixlo_f16 v67, v26, v67, 0 op_sel:[0,1,0] op_sel_hi:[0,1,0]
	v_fma_mixlo_f16 v69, v26, v69, 0 op_sel:[0,1,0] op_sel_hi:[0,1,0]
	v_and_b32_e32 v127, 0xffff, v66
	s_wait_dscnt 0x0
	v_and_b32_e32 v45, 0xffff, v107
	v_lshrrev_b32_e32 v46, 16, v107
	v_lshrrev_b32_e32 v112, 16, v108
	v_and_b32_e32 v107, 0xffff, v108
	;;#ASMSTART
	v_cvt_f32_f16 v45, v45;
	;;#ASMEND
	;;#ASMSTART
	v_cvt_f32_f16 v46, v46;
	;;#ASMEND
	;; [unrolled: 3-line block ×8, first 2 shown]
	ds_load_b64 v[111:112], v20 offset:48
	v_dual_fmac_f32 v31, v46, v50 :: v_dual_and_b32 v122, 0xffff, v61
	v_and_b32_e32 v61, 0xffff, v60
	v_fmac_f32_e32 v71, v45, v49
	v_fma_mixlo_f16 v68, v26, v68, 0 op_sel_hi:[0,1,0]
	v_fma_mixlo_f16 v70, v26, v70, 0 op_sel_hi:[0,1,0]
	v_and_b32_e32 v129, 0xffff, v67
	v_or_b32_e32 v74, v73, v74
	v_fma_mixlo_f16 v72, v26, v72, 0 op_sel_hi:[0,1,0]
	v_fma_mixlo_f16 v73, v26, v73, 0 op_sel:[0,1,0] op_sel_hi:[0,1,0]
	v_and_b32_e32 v131, 0xffff, v70
	v_or_b32_e32 v76, v75, v76
	v_fma_mixlo_f16 v74, v26, v74, 0 op_sel_hi:[0,1,0]
	v_or_b32_e32 v78, v77, v78
	v_and_b32_e32 v135, 0xffff, v73
	v_fma_mixlo_f16 v75, v26, v75, 0 op_sel:[0,1,0] op_sel_hi:[0,1,0]
	v_fma_mixlo_f16 v76, v26, v76, 0 op_sel_hi:[0,1,0]
	v_mul_f32_e32 v32, v32, v92
	v_fma_mixlo_f16 v78, v26, v78, 0 op_sel_hi:[0,1,0]
	s_wait_dscnt 0x0
	v_and_b32_e32 v51, 0xffff, v111
	v_lshrrev_b32_e32 v53, 16, v111
	v_and_b32_e32 v111, 0xffff, v54
	v_lshrrev_b32_e32 v54, 16, v112
	v_and_b32_e32 v112, 0xffff, v112
	;;#ASMSTART
	v_cvt_f32_f16 v113, v51;
	;;#ASMEND
	;;#ASMSTART
	v_cvt_f32_f16 v51, v53;
	;;#ASMEND
	;; [unrolled: 3-line block ×8, first 2 shown]
	ds_load_b64 v[115:116], v20 offset:56
	v_dual_fmac_f32 v71, v113, v114 :: v_dual_and_b32 v128, 0xffff, v65
	v_dual_fmac_f32 v31, v51, v52 :: v_dual_and_b32 v132, 0xffff, v69
	v_and_b32_e32 v69, 0xffff, v68
	v_dual_fmac_f32 v33, v107, v109 :: v_dual_and_b32 v134, 0xffff, v72
	v_fma_mixlo_f16 v77, v26, v77, 0 op_sel:[0,1,0] op_sel_hi:[0,1,0]
	v_fmac_f32_e32 v32, v27, v89
	v_or_b32_e32 v80, v79, v80
	s_delay_alu instid0(VALU_DEP_4)
	v_fmac_f32_e32 v33, v53, v111
	v_or_b32_e32 v82, v81, v82
	v_fma_mixlo_f16 v79, v26, v79, 0 op_sel:[0,1,0] op_sel_hi:[0,1,0]
	v_fma_mixlo_f16 v81, v26, v81, 0 op_sel:[0,1,0] op_sel_hi:[0,1,0]
	v_fmac_f32_e32 v32, v96, v98
	v_or_b32_e32 v84, v83, v84
	v_or_b32_e32 v86, v85, v86
	v_and_b32_e32 v79, 0xffff, v79
	v_fma_mixlo_f16 v83, v26, v83, 0 op_sel:[0,1,0] op_sel_hi:[0,1,0]
	s_wait_dscnt 0x0
	v_and_b32_e32 v55, 0xffff, v115
	v_lshrrev_b32_e32 v115, 16, v115
	v_lshrrev_b32_e32 v120, 16, v116
	v_and_b32_e32 v58, 0xffff, v116
	;;#ASMSTART
	v_cvt_f32_f16 v56, v55;
	;;#ASMEND
	;;#ASMSTART
	v_cvt_f32_f16 v55, v115;
	;;#ASMEND
	;; [unrolled: 3-line block ×8, first 2 shown]
	ds_load_b64 v[119:120], v20 offset:64
	v_dual_fmac_f32 v71, v56, v116 :: v_dual_and_b32 v136, 0xffff, v74
	v_fmac_f32_e32 v31, v55, v57
	v_dual_fmac_f32 v33, v58, v117 :: v_dual_fmac_f32 v32, v100, v102
	v_fma_mixlo_f16 v85, v26, v85, 0 op_sel:[0,1,0] op_sel_hi:[0,1,0]
	v_or_b32_e32 v50, v87, v88
	s_delay_alu instid0(VALU_DEP_2) | instskip(SKIP_1) | instid1(VALU_DEP_1)
	v_dual_fmac_f32 v32, v104, v106 :: v_dual_and_b32 v49, 0xffff, v85
	s_wait_dscnt 0x0
	v_dual_fmac_f32 v32, v108, v110 :: v_dual_and_b32 v59, 0xffff, v119
	v_lshrrev_b32_e32 v119, 16, v119
	v_lshrrev_b32_e32 v124, 16, v120
	v_and_b32_e32 v62, 0xffff, v120
	;;#ASMSTART
	v_cvt_f32_f16 v60, v59;
	;;#ASMEND
	;;#ASMSTART
	v_cvt_f32_f16 v59, v119;
	;;#ASMEND
	;; [unrolled: 3-line block ×8, first 2 shown]
	ds_load_b64 v[123:124], v20 offset:72
	v_fmac_f32_e32 v71, v60, v120
	v_dual_fmac_f32 v31, v59, v61 :: v_dual_and_b32 v76, 0xffff, v76
	v_dual_fmac_f32 v33, v62, v121 :: v_dual_and_b32 v78, 0xffff, v78
	v_fmac_f32_e32 v32, v54, v112
	s_delay_alu instid0(VALU_DEP_1) | instskip(SKIP_1) | instid1(VALU_DEP_1)
	v_fmac_f32_e32 v32, v115, v118
	s_wait_dscnt 0x0
	v_dual_fmac_f32 v32, v119, v122 :: v_dual_and_b32 v65, 0xffff, v123
	v_lshrrev_b32_e32 v123, 16, v123
	v_lshrrev_b32_e32 v126, 16, v124
	v_and_b32_e32 v125, 0xffff, v124
	;;#ASMSTART
	v_cvt_f32_f16 v65, v65;
	;;#ASMEND
	;;#ASMSTART
	v_cvt_f32_f16 v66, v123;
	;;#ASMEND
	;; [unrolled: 3-line block ×8, first 2 shown]
	ds_load_b64 v[63:64], v20 offset:80
	v_fmac_f32_e32 v71, v65, v123
	v_dual_fmac_f32 v33, v125, v127 :: v_dual_fmac_f32 v32, v126, v128
	s_wait_dscnt 0x0
	v_and_b32_e32 v67, 0xffff, v63
	v_lshrrev_b32_e32 v63, 16, v63
	v_lshrrev_b32_e32 v130, 16, v64
	v_and_b32_e32 v64, 0xffff, v64
	;;#ASMSTART
	v_cvt_f32_f16 v67, v67;
	;;#ASMEND
	;;#ASMSTART
	v_cvt_f32_f16 v68, v63;
	;;#ASMEND
	;; [unrolled: 3-line block ×8, first 2 shown]
	ds_load_b64 v[63:64], v20 offset:88
	v_fmac_f32_e32 v32, v130, v132
	s_wait_dscnt 0x0
	v_and_b32_e32 v72, 0xffff, v63
	v_lshrrev_b32_e32 v63, 16, v63
	v_lshrrev_b32_e32 v137, 16, v64
	v_and_b32_e32 v64, 0xffff, v64
	;;#ASMSTART
	v_cvt_f32_f16 v72, v72;
	;;#ASMEND
	;;#ASMSTART
	v_cvt_f32_f16 v73, v63;
	;;#ASMEND
	;; [unrolled: 3-line block ×8, first 2 shown]
	ds_load_b64 v[63:64], v20 offset:96
	v_and_b32_e32 v136, 0xffff, v75
	v_and_b32_e32 v137, 0xffff, v77
	v_fma_mixlo_f16 v77, v26, v80, 0 op_sel_hi:[0,1,0]
	v_fma_mixlo_f16 v80, v26, v82, 0 op_sel_hi:[0,1,0]
	;; [unrolled: 1-line block ×4, first 2 shown]
	v_fmac_f32_e32 v31, v66, v124
	v_and_b32_e32 v37, 0xffff, v77
	v_and_b32_e32 v41, 0xffff, v80
	;; [unrolled: 1-line block ×4, first 2 shown]
	v_fmac_f32_e32 v32, v133, v135
	s_wait_dscnt 0x0
	v_and_b32_e32 v1, 0xffff, v63
	v_lshrrev_b32_e32 v27, 16, v64
	v_and_b32_e32 v28, 0xffff, v64
	v_lshrrev_b32_e32 v7, 16, v63
	;;#ASMSTART
	v_cvt_f32_f16 v1, v1;
	;;#ASMEND
	;;#ASMSTART
	v_cvt_f32_f16 v29, v7;
	;;#ASMEND
	;; [unrolled: 3-line block ×8, first 2 shown]
	ds_load_b64 v[27:28], v20 offset:104
	v_dual_fmac_f32 v32, v64, v78 :: v_dual_and_b32 v7, 0xffff, v81
	s_wait_dscnt 0x0
	v_and_b32_e32 v35, 0xffff, v27
	v_lshrrev_b32_e32 v27, 16, v27
	v_lshrrev_b32_e32 v40, 16, v28
	v_and_b32_e32 v28, 0xffff, v28
	;;#ASMSTART
	v_cvt_f32_f16 v35, v35;
	;;#ASMEND
	;;#ASMSTART
	v_cvt_f32_f16 v36, v27;
	;;#ASMEND
	;; [unrolled: 3-line block ×8, first 2 shown]
	ds_load_b64 v[27:28], v20 offset:112
	v_or_b32_e32 v7, v8, v9
	v_fmac_f32_e32 v71, v67, v69
	v_fma_mixlo_f16 v9, v26, v8, 0 op_sel:[0,1,0] op_sel_hi:[0,1,0]
	v_fmac_f32_e32 v31, v68, v70
	v_fmac_f32_e32 v32, v40, v42
	v_fma_mixlo_f16 v43, v26, v7, 0 op_sel_hi:[0,1,0]
	s_wait_dscnt 0x0
	v_and_b32_e32 v7, 0xffff, v27
	v_lshrrev_b32_e32 v8, 16, v27
	;;#ASMSTART
	v_cvt_f32_f16 v27, v7;
	;;#ASMEND
	;;#ASMSTART
	v_cvt_f32_f16 v44, v8;
	;;#ASMEND
	v_and_b32_e32 v7, 0xffff, v83
	v_and_b32_e32 v8, 0xffff, v28
	v_lshrrev_b32_e32 v47, 16, v28
	;;#ASMSTART
	v_cvt_f32_f16 v45, v45;
	;;#ASMEND
	;;#ASMSTART
	v_cvt_f32_f16 v28, v7;
	;;#ASMEND
	;; [unrolled: 3-line block ×6, first 2 shown]
	ds_load_b64 v[7:8], v20 offset:120
	v_dual_fmac_f32 v71, v72, v74 :: v_dual_fmac_f32 v32, v47, v49
	s_delay_alu instid0(VALU_DEP_1) | instskip(SKIP_3) | instid1(VALU_DEP_4)
	v_dual_fmac_f32 v71, v1, v30 :: v_dual_and_b32 v30, 0xffff, v9
	v_fmac_f32_e32 v31, v73, v93
	v_fma_mixlo_f16 v1, v26, v50, 0 op_sel_hi:[0,1,0]
	v_fmac_f32_e32 v33, v129, v131
	v_fmac_f32_e32 v71, v35, v37
	v_fma_mixlo_f16 v26, v26, v87, 0 op_sel:[0,1,0] op_sel_hi:[0,1,0]
	v_fmac_f32_e32 v31, v29, v34
	v_and_b32_e32 v29, 0xffff, v43
	s_delay_alu instid0(VALU_DEP_4) | instskip(NEXT) | instid1(VALU_DEP_3)
	v_fmac_f32_e32 v71, v27, v45
	v_fmac_f32_e32 v31, v36, v38
	s_wait_dscnt 0x0
	v_and_b32_e32 v27, 0xffff, v7
	s_delay_alu instid0(VALU_DEP_2)
	v_fmac_f32_e32 v31, v44, v28
	v_lshrrev_b32_e32 v28, 16, v7
	;;#ASMSTART
	v_cvt_f32_f16 v7, v27;
	;;#ASMEND
	;;#ASMSTART
	v_cvt_f32_f16 v9, v28;
	;;#ASMEND
	;; [unrolled: 3-line block ×4, first 2 shown]
	v_dual_fmac_f32 v33, v94, v134 :: v_dual_and_b32 v30, 0xffff, v1
	v_and_b32_e32 v29, 0xffff, v8
	v_lshrrev_b32_e32 v8, 16, v8
	v_fmac_f32_e32 v71, v7, v27
	;;#ASMSTART
	v_cvt_f32_f16 v1, v29;
	;;#ASMEND
	v_fmac_f32_e32 v33, v63, v76
	;;#ASMSTART
	v_cvt_f32_f16 v7, v8;
	;;#ASMEND
	;;#ASMSTART
	v_cvt_f32_f16 v8, v30;
	;;#ASMEND
	v_fmac_f32_e32 v31, v9, v28
	v_and_b32_e32 v9, 0xffff, v26
	v_fmac_f32_e32 v33, v39, v41
	;;#ASMSTART
	v_cvt_f32_f16 v9, v9;
	;;#ASMEND
	s_delay_alu instid0(VALU_DEP_1) | instskip(NEXT) | instid1(VALU_DEP_1)
	v_dual_fmac_f32 v32, v7, v9 :: v_dual_fmac_f32 v33, v46, v48
	v_fmac_f32_e32 v33, v1, v8
	v_xor_b32_e32 v8, 1, v17
	v_add_f32_e32 v1, v71, v31
	s_delay_alu instid0(VALU_DEP_2) | instskip(NEXT) | instid1(VALU_DEP_2)
	v_cmp_gt_i32_e64 s5, 32, v8
	v_add_f32_e32 v1, v1, v33
	s_wait_alu 0xf1ff
	s_delay_alu instid0(VALU_DEP_2) | instskip(NEXT) | instid1(VALU_DEP_2)
	v_cndmask_b32_e64 v7, v17, v8, s5
	v_add_f32_e32 v1, v32, v1
	s_delay_alu instid0(VALU_DEP_2)
	v_lshlrev_b32_e32 v7, 2, v7
	ds_bpermute_b32 v7, v7, v1
	s_and_saveexec_b32 s43, s4
	s_cbranch_execz .LBB267_11
; %bb.531:                              ;   in Loop: Header=BB267_13 Depth=1
	s_wait_dscnt 0x0
	v_dual_add_f32 v1, v1, v7 :: v_dual_add_nc_u32 v8, v22, v21
	s_delay_alu instid0(VALU_DEP_1) | instskip(NEXT) | instid1(VALU_DEP_1)
	v_cvt_f32_i32_e32 v8, v8
	v_mul_f32_e32 v8, s18, v8
	s_delay_alu instid0(VALU_DEP_1) | instskip(NEXT) | instid1(VALU_DEP_1)
	v_dual_cndmask_b32 v7, 0, v8 :: v_dual_max_num_f32 v8, v19, v19
	v_fmac_f32_e32 v7, s7, v1
	s_delay_alu instid0(VALU_DEP_1) | instskip(NEXT) | instid1(VALU_DEP_1)
	v_dual_max_num_f32 v8, v8, v7 :: v_dual_add_nc_u32 v1, v18, v21
	v_cmp_gt_i32_e64 s5, s36, v1
	s_wait_alu 0xf1ff
	s_delay_alu instid0(VALU_DEP_1) | instskip(NEXT) | instid1(VALU_DEP_3)
	v_cndmask_b32_e64 v1, 0, v7, s5
	v_cndmask_b32_e64 v19, v19, v8, s5
	ds_store_b32 v23, v1
	s_branch .LBB267_11
.LBB267_532:
	s_or_b32 exec_lo, exec_lo, s34
.LBB267_533:
	s_delay_alu instid0(SALU_CYCLE_1)
	s_or_b32 exec_lo, exec_lo, s16
	v_xor_b32_e32 v1, 16, v17
	v_xor_b32_e32 v2, 8, v17
	s_clause 0x2
	s_load_b128 s[16:19], s[0:1], 0x0
	s_load_b64 s[6:7], s[0:1], 0x10
	s_load_b64 s[34:35], s[0:1], 0x28
	s_wait_dscnt 0x0
	v_lshlrev_b32_e32 v7, 2, v13
	v_and_b32_e32 v18, 31, v0
	v_cmp_gt_i32_e32 vcc_lo, 32, v1
	s_wait_alu 0xfffd
	v_cndmask_b32_e32 v1, v17, v1, vcc_lo
	v_cmp_gt_i32_e32 vcc_lo, 32, v2
	s_wait_alu 0xfffd
	v_dual_max_num_f32 v5, v19, v19 :: v_dual_cndmask_b32 v2, v17, v2
	s_delay_alu instid0(VALU_DEP_1) | instskip(SKIP_4) | instid1(VALU_DEP_1)
	v_lshlrev_b32_e32 v4, 2, v2
	v_lshlrev_b32_e32 v3, 2, v1
	ds_bpermute_b32 v1, v3, v19
	s_wait_dscnt 0x0
	v_max_num_f32_e32 v1, v1, v1
	v_max_num_f32_e32 v1, v5, v1
	v_xor_b32_e32 v5, 4, v17
	ds_bpermute_b32 v2, v4, v1
	v_cmp_gt_i32_e32 vcc_lo, 32, v5
	s_wait_dscnt 0x0
	s_wait_alu 0xfffd
	v_dual_cndmask_b32 v5, v17, v5 :: v_dual_max_num_f32 v2, v2, v2
	s_delay_alu instid0(VALU_DEP_1) | instskip(SKIP_1) | instid1(VALU_DEP_3)
	v_lshlrev_b32_e32 v6, 2, v5
	v_xor_b32_e32 v5, 2, v17
	v_max_num_f32_e32 v1, v1, v2
	s_delay_alu instid0(VALU_DEP_2)
	v_cmp_gt_i32_e32 vcc_lo, 32, v5
	ds_bpermute_b32 v2, v6, v1
	s_wait_alu 0xfffd
	v_cndmask_b32_e32 v5, v17, v5, vcc_lo
	v_cmp_eq_u32_e32 vcc_lo, 0, v18
	s_wait_dscnt 0x0
	v_max_num_f32_e32 v2, v2, v2
	s_delay_alu instid0(VALU_DEP_1)
	v_dual_max_num_f32 v1, v1, v2 :: v_dual_lshlrev_b32 v2, 2, v5
	ds_bpermute_b32 v5, v2, v1
	s_and_saveexec_b32 s0, vcc_lo
	s_cbranch_execz .LBB267_535
; %bb.534:
	s_wait_dscnt 0x0
	v_max_num_f32_e32 v5, v5, v5
	v_max_num_f32_e32 v1, v1, v1
	s_delay_alu instid0(VALU_DEP_1)
	v_max_num_f32_e32 v1, v1, v5
	ds_store_b32 v7, v1 offset:256
.LBB267_535:
	s_or_b32 exec_lo, exec_lo, s0
	v_cmp_gt_u32_e64 s0, 4, v18
	v_dual_mov_b32 v1, 0xff7fffff :: v_dual_lshlrev_b32 v8, 2, v18
	s_wait_loadcnt_dscnt 0x0
	s_barrier_signal -1
	s_barrier_wait -1
	global_inv scope:SCOPE_SE
	s_and_saveexec_b32 s1, s0
; %bb.536:
	ds_load_b32 v1, v8 offset:256
; %bb.537:
	s_or_b32 exec_lo, exec_lo, s1
	s_wait_dscnt 0x0
	ds_bpermute_b32 v5, v2, v1
	v_xor_b32_e32 v9, 1, v17
	v_max_num_f32_e32 v1, v1, v1
	s_delay_alu instid0(VALU_DEP_2) | instskip(NEXT) | instid1(VALU_DEP_1)
	v_cmp_gt_i32_e64 s1, 32, v9
	v_cndmask_b32_e64 v9, v17, v9, s1
	s_sub_co_i32 s1, s27, s42
	s_wait_alu 0xfffe
	s_lshl_b32 s1, s1, 4
	s_delay_alu instid0(VALU_DEP_1)
	v_lshlrev_b32_e32 v17, 2, v9
	v_mov_b32_e32 v9, 0
	s_wait_alu 0xfffe
	s_add_co_i32 s1, s1, s39
	s_wait_alu 0xfffe
	s_min_i32 s1, s1, s36
	s_wait_dscnt 0x0
	v_max_num_f32_e32 v5, v5, v5
	s_wait_alu 0xfffe
	s_sub_co_i32 s5, s1, s39
	s_wait_alu 0xfffe
	v_cmp_gt_i32_e64 s1, s5, v0
	v_max_num_f32_e32 v1, v1, v5
	ds_bpermute_b32 v5, v17, v1
	s_wait_dscnt 0x0
	v_max_num_f32_e32 v5, v5, v5
	s_delay_alu instid0(VALU_DEP_1)
	v_max_num_f32_e32 v1, v1, v5
	v_lshl_add_u32 v5, v0, 2, 0x120
	ds_bpermute_b32 v1, v9, v1
	s_and_saveexec_b32 s8, s1
	s_cbranch_execz .LBB267_541
; %bb.538:
	v_lshl_add_u32 v19, v0, 2, 0x120
	v_dual_mov_b32 v9, 0 :: v_dual_mov_b32 v20, v0
	s_mov_b32 s9, 0
.LBB267_539:                            ; =>This Inner Loop Header: Depth=1
	ds_load_b32 v21, v19
	v_add_nc_u32_e32 v20, 0x80, v20
	s_delay_alu instid0(VALU_DEP_1) | instskip(SKIP_4) | instid1(VALU_DEP_1)
	v_cmp_le_i32_e64 s4, s5, v20
	s_wait_alu 0xfffe
	s_or_b32 s9, s4, s9
	s_wait_dscnt 0x0
	v_sub_f32_e32 v21, v21, v1
	v_mul_f32_e32 v21, 0x3fb8aa3b, v21
	s_delay_alu instid0(VALU_DEP_1)
	v_exp_f32_e32 v21, v21
	ds_store_b32 v19, v21
	v_add_f32_e32 v9, v9, v21
	v_add_nc_u32_e32 v19, 0x200, v19
	s_wait_alu 0xfffe
	s_and_not1_b32 exec_lo, exec_lo, s9
	s_cbranch_execnz .LBB267_539
; %bb.540:
	s_or_b32 exec_lo, exec_lo, s9
.LBB267_541:
	s_wait_alu 0xfffe
	s_or_b32 exec_lo, exec_lo, s8
	ds_bpermute_b32 v3, v3, v9
	s_wait_dscnt 0x0
	v_add_f32_e32 v3, v9, v3
	ds_bpermute_b32 v4, v4, v3
	s_wait_dscnt 0x0
	v_add_f32_e32 v3, v3, v4
	;; [unrolled: 3-line block ×5, first 2 shown]
	s_and_saveexec_b32 s4, vcc_lo
; %bb.542:
	ds_store_b32 v7, v3 offset:272
; %bb.543:
	s_wait_alu 0xfffe
	s_or_b32 exec_lo, exec_lo, s4
	s_wait_loadcnt_dscnt 0x0
	s_barrier_signal -1
	s_barrier_wait -1
	global_inv scope:SCOPE_SE
	s_and_saveexec_b32 s4, s0
; %bb.544:
	ds_load_b32 v3, v8 offset:272
; %bb.545:
	s_wait_alu 0xfffe
	s_or_b32 exec_lo, exec_lo, s4
	s_wait_dscnt 0x0
	ds_bpermute_b32 v2, v2, v3
	s_wait_dscnt 0x0
	v_add_f32_e32 v2, v3, v2
	ds_bpermute_b32 v3, v17, v2
	s_wait_dscnt 0x0
	v_dual_add_f32 v2, v2, v3 :: v_dual_mov_b32 v3, 0
	ds_bpermute_b32 v2, v3, v2
	s_and_saveexec_b32 s0, s1
	s_cbranch_execz .LBB267_548
; %bb.546:
	s_wait_dscnt 0x0
	v_add_f32_e32 v3, 0x358637bd, v2
	s_mov_b32 s1, 0
	s_delay_alu instid0(VALU_DEP_1) | instskip(SKIP_1) | instid1(VALU_DEP_2)
	v_div_scale_f32 v4, null, v3, v3, 1.0
	v_div_scale_f32 v8, vcc_lo, 1.0, v3, 1.0
	v_rcp_f32_e32 v6, v4
	s_delay_alu instid0(TRANS32_DEP_1) | instskip(NEXT) | instid1(VALU_DEP_1)
	v_fma_f32 v7, -v4, v6, 1.0
	v_fmac_f32_e32 v6, v7, v6
	s_delay_alu instid0(VALU_DEP_1) | instskip(NEXT) | instid1(VALU_DEP_1)
	v_mul_f32_e32 v7, v8, v6
	v_fma_f32 v9, -v4, v7, v8
	s_delay_alu instid0(VALU_DEP_1) | instskip(NEXT) | instid1(VALU_DEP_1)
	v_fmac_f32_e32 v7, v9, v6
	v_fma_f32 v4, -v4, v7, v8
	s_wait_alu 0xfffd
	s_delay_alu instid0(VALU_DEP_1) | instskip(NEXT) | instid1(VALU_DEP_1)
	v_div_fmas_f32 v4, v4, v6, v7
	v_div_fixup_f32 v3, v4, v3, 1.0
	v_mov_b32_e32 v4, v0
.LBB267_547:                            ; =>This Inner Loop Header: Depth=1
	ds_load_b32 v6, v5
	v_add_nc_u32_e32 v4, 0x80, v4
	s_delay_alu instid0(VALU_DEP_1)
	v_cmp_le_i32_e32 vcc_lo, s5, v4
	s_wait_alu 0xfffe
	s_or_b32 s1, vcc_lo, s1
	s_wait_dscnt 0x0
	v_mul_f32_e32 v6, v3, v6
	ds_store_b32 v5, v6
	v_add_nc_u32_e32 v5, 0x200, v5
	s_wait_alu 0xfffe
	s_and_not1_b32 exec_lo, exec_lo, s1
	s_cbranch_execnz .LBB267_547
.LBB267_548:
	s_wait_alu 0xfffe
	s_or_b32 exec_lo, exec_lo, s0
	s_mul_i32 s0, s12, s37
	s_wait_loadcnt_dscnt 0x0
	s_wait_alu 0xfffe
	s_mul_i32 s4, s0, s38
	s_mov_b32 s0, exec_lo
	s_barrier_signal -1
	s_barrier_wait -1
	global_inv scope:SCOPE_SE
	v_cmpx_eq_u32_e32 0, v0
	s_cbranch_execz .LBB267_550
; %bb.549:
	s_wait_alu 0xfffe
	s_ashr_i32 s5, s4, 31
	s_mul_i32 s8, s12, ttmp9
	s_lshl_b32 s1, s33, 2
	s_wait_alu 0xfffe
	s_lshl_b64 s[38:39], s[4:5], 2
	s_ashr_i32 s9, s8, 31
	v_mov_b32_e32 v3, s1
	s_wait_kmcnt 0x0
	s_wait_alu 0xfffe
	s_add_nc_u64 s[18:19], s[18:19], s[38:39]
	s_lshl_b64 s[8:9], s[8:9], 2
	s_add_nc_u64 s[16:17], s[16:17], s[38:39]
	s_wait_alu 0xfffe
	s_add_nc_u64 s[18:19], s[18:19], s[8:9]
	s_add_nc_u64 s[8:9], s[16:17], s[8:9]
	s_clause 0x1
	global_store_b32 v3, v1, s[18:19]
	global_store_b32 v3, v2, s[8:9]
.LBB267_550:
	s_wait_alu 0xfffe
	s_or_b32 exec_lo, exec_lo, s0
	v_dual_mov_b32 v26, 0 :: v_dual_mov_b32 v25, 0
	v_dual_mov_b32 v24, 0 :: v_dual_mov_b32 v23, 0
	v_dual_mov_b32 v22, 0 :: v_dual_mov_b32 v21, 0
	v_dual_mov_b32 v20, 0 :: v_dual_mov_b32 v19, 0
	s_and_saveexec_b32 s1, s3
	s_cbranch_execz .LBB267_1084
; %bb.551:
	s_abs_i32 s3, s14
	v_dual_mov_b32 v19, 0 :: v_dual_lshlrev_b32 v6, 5, v12
	s_wait_alu 0xfffe
	s_cvt_f32_u32 s0, s3
	s_wait_kmcnt 0x0
	s_lshl_b64 s[16:17], s[30:31], 2
	v_dual_mov_b32 v20, 0 :: v_dual_and_b32 v5, 0xf8, v10
	s_wait_alu 0xfffe
	v_rcp_iflag_f32_e32 v1, s0
	s_ashr_i32 s23, s22, 31
	s_add_nc_u64 s[16:17], s[28:29], s[16:17]
	s_wait_alu 0xfffe
	s_add_nc_u64 s[18:19], s[34:35], s[22:23]
	v_add_co_u32 v3, s16, s16, v16
	s_sub_co_i32 s14, 0, s3
	v_add_co_ci_u32_e64 v4, null, s17, 0, s16
	s_wait_alu 0xfffe
	v_add_co_u32 v5, s16, s18, v5
	v_readfirstlane_b32 s0, v1
	v_lshl_or_b32 v1, v13, 6, v6
	v_dual_mov_b32 v2, 0 :: v_dual_and_b32 v27, 8, v10
	s_wait_alu 0xf1ff
	v_add_co_ci_u32_e64 v6, null, s19, 0, s16
	s_mul_f32 s0, s0, 0x4f7ffffe
	v_dual_mov_b32 v21, 0 :: v_dual_add_nc_u32 v16, 0x120, v1
	v_dual_mov_b32 v22, 0 :: v_dual_mov_b32 v23, 0
	s_wait_alu 0xfffe
	s_cvt_u32_f32 s0, s0
	v_dual_mov_b32 v24, 0 :: v_dual_mov_b32 v25, 0
	v_mov_b32_e32 v26, 0
	s_wait_alu 0xfffe
	s_mul_i32 s14, s14, s0
	s_mov_b32 s8, -1
	s_wait_alu 0xfffe
	s_mul_hi_u32 s16, s0, s14
	s_sub_co_i32 s5, s41, s13
	s_mov_b32 s13, s21
	s_mov_b32 s9, 0xffffff
	s_add_co_i32 s40, s40, -1
	s_mov_b32 s14, 0
	s_wait_alu 0xfffe
	s_add_co_i32 s16, s0, s16
	s_branch .LBB267_554
.LBB267_552:                            ;   in Loop: Header=BB267_554 Depth=1
	s_wait_alu 0xfffe
	s_or_b32 exec_lo, exec_lo, s0
	v_dual_add_f32 v9, v9, v10 :: v_dual_add_f32 v10, v50, v51
	v_add_f32_e32 v28, v48, v49
	s_delay_alu instid0(VALU_DEP_2) | instskip(NEXT) | instid1(VALU_DEP_3)
	v_dual_add_f32 v20, v20, v9 :: v_dual_add_f32 v9, v46, v47
	v_add_f32_e32 v21, v21, v10
	;;#ASMSTART
	v_pk_mul_f16 v10, v41, v52;

	;;#ASMEND
	;;#ASMSTART
	v_pk_mul_f16 v8, v40, v8;

	;;#ASMEND
	;; [unrolled: 4-line block ×4, first 2 shown]
	;;#ASMSTART
	v_pk_add_f16 v8, v10, v8;

	;;#ASMEND
	;;#ASMSTART
	v_pk_add_f16 v7, v8, v7;

	;;#ASMEND
	;; [unrolled: 4-line block ×3, first 2 shown]
	v_dual_add_f32 v7, v42, v43 :: v_dual_and_b32 v10, 0xffff, v1
	v_add_f32_e32 v22, v22, v28
	v_lshrrev_b32_e32 v28, 16, v1
	;;#ASMSTART
	v_cvt_f32_f16 v10, v10;
	;;#ASMEND
	v_add_f32_e32 v1, v44, v45
	v_dual_add_f32 v8, v35, v37 :: v_dual_add_f32 v25, v25, v7
	;;#ASMSTART
	v_cvt_f32_f16 v28, v28;
	;;#ASMEND
	v_dual_add_f32 v10, v10, v28 :: v_dual_add_f32 v23, v23, v9
	s_delay_alu instid0(VALU_DEP_3) | instskip(NEXT) | instid1(VALU_DEP_2)
	v_add_f32_e32 v24, v24, v1
	v_dual_add_f32 v26, v26, v8 :: v_dual_add_f32 v19, v19, v10
.LBB267_553:                            ;   in Loop: Header=BB267_554 Depth=1
	s_wait_alu 0xfffe
	s_or_b32 exec_lo, exec_lo, s17
	v_add_nc_u32_e32 v15, 4, v15
	v_add_co_u32 v3, s0, v3, 16
	s_wait_alu 0xf1ff
	v_add_co_ci_u32_e64 v4, null, 0, v4, s0
	s_delay_alu instid0(VALU_DEP_3)
	v_cmp_le_i32_e32 vcc_lo, s27, v15
	v_add_nc_u32_e32 v14, 64, v14
	v_add_nc_u32_e32 v16, 0x100, v16
	s_or_b32 s14, vcc_lo, s14
	s_wait_alu 0xfffe
	s_and_not1_b32 exec_lo, exec_lo, s14
	s_cbranch_execz .LBB267_1083
.LBB267_554:                            ; =>This Inner Loop Header: Depth=1
	v_sub_nc_u32_e32 v1, 0, v14
	s_delay_alu instid0(VALU_DEP_1) | instskip(NEXT) | instid1(VALU_DEP_1)
	v_max_i32_e32 v1, v14, v1
	v_mul_hi_u32 v7, v1, s26
	s_delay_alu instid0(VALU_DEP_1) | instskip(NEXT) | instid1(VALU_DEP_1)
	v_mul_lo_u32 v8, v7, s20
	v_sub_nc_u32_e32 v1, v1, v8
	s_delay_alu instid0(VALU_DEP_1) | instskip(SKIP_2) | instid1(VALU_DEP_2)
	v_subrev_nc_u32_e32 v9, s20, v1
	v_cmp_le_u32_e32 vcc_lo, s20, v1
	s_wait_alu 0xfffd
	v_dual_cndmask_b32 v1, v1, v9 :: v_dual_add_nc_u32 v8, 1, v7
	s_delay_alu instid0(VALU_DEP_1) | instskip(SKIP_1) | instid1(VALU_DEP_3)
	v_cndmask_b32_e32 v7, v7, v8, vcc_lo
	v_ashrrev_i32_e32 v8, 31, v14
	v_cmp_le_u32_e32 vcc_lo, s20, v1
	s_delay_alu instid0(VALU_DEP_3) | instskip(NEXT) | instid1(VALU_DEP_3)
	v_add_nc_u32_e32 v9, 1, v7
	v_xor_b32_e32 v8, s15, v8
	s_wait_alu 0xfffd
	s_delay_alu instid0(VALU_DEP_2) | instskip(NEXT) | instid1(VALU_DEP_1)
	v_cndmask_b32_e32 v1, v7, v9, vcc_lo
	v_xor_b32_e32 v1, v1, v8
	s_delay_alu instid0(VALU_DEP_1) | instskip(NEXT) | instid1(VALU_DEP_1)
	v_sub_nc_u32_e32 v1, v1, v8
	v_add_nc_u32_e32 v7, s25, v1
	v_cmp_lt_i32_e64 s0, s5, v1
	s_delay_alu instid0(VALU_DEP_2) | instskip(NEXT) | instid1(VALU_DEP_1)
	v_sub_nc_u32_e32 v8, 0, v7
	v_max_i32_e32 v8, v7, v8
	v_ashrrev_i32_e32 v7, 31, v7
	s_wait_alu 0xfffe
	s_delay_alu instid0(VALU_DEP_2) | instskip(NEXT) | instid1(VALU_DEP_1)
	v_mul_hi_u32 v9, v8, s16
	v_mul_lo_u32 v9, v9, s3
	s_delay_alu instid0(VALU_DEP_1) | instskip(NEXT) | instid1(VALU_DEP_1)
	v_sub_nc_u32_e32 v8, v8, v9
	v_subrev_nc_u32_e32 v9, s3, v8
	v_cmp_le_u32_e32 vcc_lo, s3, v8
	s_wait_alu 0xfffd
	s_delay_alu instid0(VALU_DEP_2) | instskip(NEXT) | instid1(VALU_DEP_1)
	v_cndmask_b32_e32 v8, v8, v9, vcc_lo
	v_subrev_nc_u32_e32 v9, s3, v8
	v_cmp_le_u32_e32 vcc_lo, s3, v8
	s_wait_alu 0xfffd
	s_delay_alu instid0(VALU_DEP_2) | instskip(NEXT) | instid1(VALU_DEP_1)
	v_cndmask_b32_e32 v8, v8, v9, vcc_lo
	v_xor_b32_e32 v8, v8, v7
	s_delay_alu instid0(VALU_DEP_1) | instskip(NEXT) | instid1(VALU_DEP_1)
	v_sub_nc_u32_e32 v7, v8, v7
	v_cmp_eq_u32_e32 vcc_lo, 0, v7
	s_or_b32 s0, vcc_lo, s0
	s_wait_alu 0xfffe
	s_and_saveexec_b32 s17, s0
	s_cbranch_execz .LBB267_553
; %bb.555:                              ;   in Loop: Header=BB267_554 Depth=1
	global_load_b32 v1, v[3:4], off
	ds_load_2addr_b64 v[28:31], v16 offset1:1
	ds_load_2addr_b64 v[41:44], v16 offset0:2 offset1:3
	s_mov_b32 s0, exec_lo
	s_wait_dscnt 0x1
	;;#ASMSTART
	v_cvt_f16_f32 v35, v28;

	;;#ASMEND
	;;#ASMSTART
	v_cvt_f16_f32 v37, v29;

	;;#ASMEND
	;; [unrolled: 4-line block ×4, first 2 shown]
	s_wait_dscnt 0x0
	;;#ASMSTART
	v_cvt_f16_f32 v41, v41;

	;;#ASMEND
	;;#ASMSTART
	v_cvt_f16_f32 v39, v42;

	;;#ASMEND
	;; [unrolled: 4-line block ×4, first 2 shown]
	v_mov_b32_e32 v31, 0
	s_wait_loadcnt 0x0
	v_mad_co_i64_i32 v[7:8], null, v1, s13, v[5:6]
	global_load_b64 v[9:10], v[7:8], off
	s_wait_loadcnt 0x0
	v_dual_mov_b32 v30, 0 :: v_dual_and_b32 v1, 0xff, v9
	global_load_b32 v29, v30, s[10:11]
	v_cmpx_ne_u16_e32 0, v1
	s_cbranch_execz .LBB267_563
; %bb.556:                              ;   in Loop: Header=BB267_554 Depth=1
	v_mov_b32_e32 v31, 0x8000
	s_mov_b32 s18, exec_lo
	v_cmpx_ne_u16_e32 0x80, v1
	s_cbranch_execz .LBB267_562
; %bb.557:                              ;   in Loop: Header=BB267_554 Depth=1
	v_and_b32_e32 v32, 0x7f, v9
	v_mov_b32_e32 v31, 0x7c01
	s_mov_b32 s19, exec_lo
	s_delay_alu instid0(VALU_DEP_2)
	v_cmpx_ne_u32_e32 0x7f, v32
	s_cbranch_execz .LBB267_561
; %bb.558:                              ;   in Loop: Header=BB267_554 Depth=1
	v_and_b32_e32 v1, 7, v9
	v_lshrrev_b32_e32 v28, 3, v32
	s_mov_b32 s21, exec_lo
	v_cmpx_gt_u32_e32 8, v32
; %bb.559:                              ;   in Loop: Header=BB267_554 Depth=1
	s_delay_alu instid0(VALU_DEP_3) | instskip(NEXT) | instid1(VALU_DEP_1)
	v_clz_i32_u32_e32 v1, v1
	v_min_u32_e32 v1, 32, v1
	s_delay_alu instid0(VALU_DEP_1) | instskip(NEXT) | instid1(VALU_DEP_1)
	v_subrev_nc_u32_e32 v28, 28, v1
	v_lshlrev_b64_e32 v[31:32], v28, v[9:10]
	v_sub_nc_u32_e32 v28, 29, v1
	s_delay_alu instid0(VALU_DEP_2)
	v_and_b32_e32 v1, 7, v31
; %bb.560:                              ;   in Loop: Header=BB267_554 Depth=1
	s_wait_alu 0xfffe
	s_or_b32 exec_lo, exec_lo, s21
	v_lshlrev_b32_e32 v31, 8, v9
	v_lshl_add_u32 v28, v28, 10, 0x2000
	v_lshlrev_b32_e32 v1, 7, v1
	s_delay_alu instid0(VALU_DEP_3) | instskip(NEXT) | instid1(VALU_DEP_3)
	v_and_b32_e32 v31, 0x8000, v31
	v_and_b32_e32 v28, 0xfc00, v28
	s_delay_alu instid0(VALU_DEP_1)
	v_or3_b32 v31, v31, v28, v1
.LBB267_561:                            ;   in Loop: Header=BB267_554 Depth=1
	s_wait_alu 0xfffe
	s_or_b32 exec_lo, exec_lo, s19
.LBB267_562:                            ;   in Loop: Header=BB267_554 Depth=1
	s_wait_alu 0xfffe
	s_or_b32 exec_lo, exec_lo, s18
.LBB267_563:                            ;   in Loop: Header=BB267_554 Depth=1
	s_wait_alu 0xfffe
	s_or_b32 exec_lo, exec_lo, s0
	v_lshrrev_b16 v1, 8, v9
	s_mov_b32 s0, exec_lo
	s_delay_alu instid0(VALU_DEP_1)
	v_cmpx_ne_u16_e32 0, v1
	s_cbranch_execz .LBB267_571
; %bb.564:                              ;   in Loop: Header=BB267_554 Depth=1
	v_bfrev_b32_e32 v30, 1
	s_mov_b32 s18, exec_lo
	v_cmpx_ne_u16_e32 0x80, v1
	s_cbranch_execz .LBB267_570
; %bb.565:                              ;   in Loop: Header=BB267_554 Depth=1
	v_and_b32_e32 v28, 0xffff, v1
	v_mov_b32_e32 v30, 0x7c010000
	s_mov_b32 s19, exec_lo
	s_delay_alu instid0(VALU_DEP_2) | instskip(NEXT) | instid1(VALU_DEP_1)
	v_and_b32_e32 v33, 0x7f, v28
	v_cmpx_ne_u32_e32 0x7f, v33
	s_cbranch_execz .LBB267_569
; %bb.566:                              ;   in Loop: Header=BB267_554 Depth=1
	v_and_b32_e32 v30, 7, v28
	v_lshrrev_b32_e32 v32, 3, v33
	s_mov_b32 s21, exec_lo
	v_cmpx_gt_u32_e32 8, v33
; %bb.567:                              ;   in Loop: Header=BB267_554 Depth=1
	s_delay_alu instid0(VALU_DEP_3) | instskip(NEXT) | instid1(VALU_DEP_1)
	v_clz_i32_u32_e32 v30, v30
	v_min_u32_e32 v30, 32, v30
	s_delay_alu instid0(VALU_DEP_1) | instskip(NEXT) | instid1(VALU_DEP_1)
	v_subrev_nc_u32_e32 v32, 28, v30
	v_lshlrev_b64_e32 v[33:34], v32, v[1:2]
	v_sub_nc_u32_e32 v32, 29, v30
	s_delay_alu instid0(VALU_DEP_2)
	v_and_b32_e32 v30, 7, v33
; %bb.568:                              ;   in Loop: Header=BB267_554 Depth=1
	s_wait_alu 0xfffe
	s_or_b32 exec_lo, exec_lo, s21
	v_lshlrev_b32_e32 v1, 8, v28
	v_lshl_add_u32 v28, v32, 10, 0x2000
	s_delay_alu instid0(VALU_DEP_1) | instskip(SKIP_1) | instid1(VALU_DEP_1)
	v_and_or_b32 v1, 0x8000, v1, v28
	v_lshlrev_b32_e32 v28, 23, v30
	v_lshl_or_b32 v30, v1, 16, v28
.LBB267_569:                            ;   in Loop: Header=BB267_554 Depth=1
	s_wait_alu 0xfffe
	s_or_b32 exec_lo, exec_lo, s19
.LBB267_570:                            ;   in Loop: Header=BB267_554 Depth=1
	s_wait_alu 0xfffe
	s_or_b32 exec_lo, exec_lo, s18
.LBB267_571:                            ;   in Loop: Header=BB267_554 Depth=1
	s_wait_alu 0xfffe
	s_or_b32 exec_lo, exec_lo, s0
	v_lshrrev_b32_e32 v1, 16, v9
	v_mov_b32_e32 v28, 0
	s_mov_b32 s0, exec_lo
	s_delay_alu instid0(VALU_DEP_2) | instskip(NEXT) | instid1(VALU_DEP_1)
	v_dual_mov_b32 v32, 0 :: v_dual_and_b32 v33, 0xff, v1
	v_cmpx_ne_u16_e32 0, v33
	s_cbranch_execz .LBB267_579
; %bb.572:                              ;   in Loop: Header=BB267_554 Depth=1
	v_mov_b32_e32 v28, 0x8000
	s_mov_b32 s18, exec_lo
	v_cmpx_ne_u16_e32 0x80, v33
	s_cbranch_execz .LBB267_578
; %bb.573:                              ;   in Loop: Header=BB267_554 Depth=1
	v_bfe_u32 v34, v9, 16, 7
	v_mov_b32_e32 v28, 0x7c01
	s_mov_b32 s19, exec_lo
	s_delay_alu instid0(VALU_DEP_2)
	v_cmpx_ne_u32_e32 0x7f, v34
	s_cbranch_execz .LBB267_577
; %bb.574:                              ;   in Loop: Header=BB267_554 Depth=1
	v_and_b32_e32 v28, 7, v1
	v_lshrrev_b32_e32 v33, 3, v34
	s_mov_b32 s21, exec_lo
	v_cmpx_gt_u32_e32 8, v34
; %bb.575:                              ;   in Loop: Header=BB267_554 Depth=1
	s_delay_alu instid0(VALU_DEP_3) | instskip(NEXT) | instid1(VALU_DEP_1)
	v_clz_i32_u32_e32 v28, v28
	v_min_u32_e32 v28, 32, v28
	s_delay_alu instid0(VALU_DEP_1) | instskip(NEXT) | instid1(VALU_DEP_1)
	v_subrev_nc_u32_e32 v33, 28, v28
	v_lshlrev_b64_e32 v[44:45], v33, v[1:2]
	v_sub_nc_u32_e32 v33, 29, v28
	s_delay_alu instid0(VALU_DEP_2)
	v_and_b32_e32 v28, 7, v44
; %bb.576:                              ;   in Loop: Header=BB267_554 Depth=1
	s_wait_alu 0xfffe
	s_or_b32 exec_lo, exec_lo, s21
	v_lshlrev_b32_e32 v1, 8, v1
	v_lshl_add_u32 v33, v33, 10, 0x2000
	v_lshlrev_b32_e32 v28, 7, v28
	s_delay_alu instid0(VALU_DEP_3) | instskip(NEXT) | instid1(VALU_DEP_3)
	v_and_b32_e32 v1, 0x8000, v1
	v_and_b32_e32 v33, 0xfc00, v33
	s_delay_alu instid0(VALU_DEP_1)
	v_or3_b32 v28, v1, v33, v28
.LBB267_577:                            ;   in Loop: Header=BB267_554 Depth=1
	s_wait_alu 0xfffe
	s_or_b32 exec_lo, exec_lo, s19
.LBB267_578:                            ;   in Loop: Header=BB267_554 Depth=1
	s_wait_alu 0xfffe
	s_or_b32 exec_lo, exec_lo, s18
.LBB267_579:                            ;   in Loop: Header=BB267_554 Depth=1
	s_wait_alu 0xfffe
	s_or_b32 exec_lo, exec_lo, s0
	s_delay_alu instid0(SALU_CYCLE_1)
	s_mov_b32 s0, exec_lo
	v_cmpx_lt_u32_e32 0xffffff, v9
	s_cbranch_execz .LBB267_587
; %bb.580:                              ;   in Loop: Header=BB267_554 Depth=1
	v_lshrrev_b32_e32 v1, 24, v9
	v_bfrev_b32_e32 v32, 1
	s_mov_b32 s18, exec_lo
	s_delay_alu instid0(VALU_DEP_2)
	v_cmpx_ne_u32_e32 0x80, v1
	s_cbranch_execz .LBB267_586
; %bb.581:                              ;   in Loop: Header=BB267_554 Depth=1
	v_and_b32_e32 v34, 0x7f, v1
	v_mov_b32_e32 v32, 0x7c010000
	s_mov_b32 s19, exec_lo
	s_delay_alu instid0(VALU_DEP_2)
	v_cmpx_ne_u32_e32 0x7f, v34
	s_cbranch_execz .LBB267_585
; %bb.582:                              ;   in Loop: Header=BB267_554 Depth=1
	v_and_b32_e32 v32, 7, v1
	v_lshrrev_b32_e32 v33, 3, v34
	s_mov_b32 s21, exec_lo
	v_cmpx_gt_u32_e32 8, v34
; %bb.583:                              ;   in Loop: Header=BB267_554 Depth=1
	s_delay_alu instid0(VALU_DEP_3) | instskip(NEXT) | instid1(VALU_DEP_1)
	v_clz_i32_u32_e32 v32, v32
	v_min_u32_e32 v34, 32, v32
	s_delay_alu instid0(VALU_DEP_1) | instskip(NEXT) | instid1(VALU_DEP_1)
	v_subrev_nc_u32_e32 v32, 28, v34
	v_lshlrev_b64_e32 v[32:33], v32, v[1:2]
	v_sub_nc_u32_e32 v33, 29, v34
	s_delay_alu instid0(VALU_DEP_2)
	v_and_b32_e32 v32, 7, v32
; %bb.584:                              ;   in Loop: Header=BB267_554 Depth=1
	s_wait_alu 0xfffe
	s_or_b32 exec_lo, exec_lo, s21
	v_lshlrev_b32_e32 v1, 8, v1
	v_lshl_add_u32 v33, v33, 10, 0x2000
	v_lshlrev_b32_e32 v32, 23, v32
	s_delay_alu instid0(VALU_DEP_2) | instskip(NEXT) | instid1(VALU_DEP_1)
	v_and_or_b32 v1, 0x8000, v1, v33
	v_lshl_or_b32 v32, v1, 16, v32
.LBB267_585:                            ;   in Loop: Header=BB267_554 Depth=1
	s_wait_alu 0xfffe
	s_or_b32 exec_lo, exec_lo, s19
.LBB267_586:                            ;   in Loop: Header=BB267_554 Depth=1
	s_wait_alu 0xfffe
	s_or_b32 exec_lo, exec_lo, s18
.LBB267_587:                            ;   in Loop: Header=BB267_554 Depth=1
	s_wait_alu 0xfffe
	s_or_b32 exec_lo, exec_lo, s0
	v_dual_mov_b32 v1, v10 :: v_dual_and_b32 v36, 0xff, v10
	v_dual_mov_b32 v33, 0 :: v_dual_mov_b32 v34, 0
	s_mov_b32 s0, exec_lo
	s_delay_alu instid0(VALU_DEP_2)
	v_cmpx_ne_u16_e32 0, v36
	s_cbranch_execz .LBB267_595
; %bb.588:                              ;   in Loop: Header=BB267_554 Depth=1
	v_mov_b32_e32 v34, 0x8000
	s_mov_b32 s18, exec_lo
	v_cmpx_ne_u16_e32 0x80, v36
	s_cbranch_execz .LBB267_594
; %bb.589:                              ;   in Loop: Header=BB267_554 Depth=1
	v_and_b32_e32 v44, 0x7f, v10
	v_mov_b32_e32 v34, 0x7c01
	s_mov_b32 s19, exec_lo
	s_delay_alu instid0(VALU_DEP_2)
	v_cmpx_ne_u32_e32 0x7f, v44
	s_cbranch_execz .LBB267_593
; %bb.590:                              ;   in Loop: Header=BB267_554 Depth=1
	v_and_b32_e32 v34, 7, v10
	v_lshrrev_b32_e32 v36, 3, v44
	s_mov_b32 s21, exec_lo
	v_cmpx_gt_u32_e32 8, v44
; %bb.591:                              ;   in Loop: Header=BB267_554 Depth=1
	s_delay_alu instid0(VALU_DEP_3) | instskip(NEXT) | instid1(VALU_DEP_1)
	v_clz_i32_u32_e32 v34, v34
	v_min_u32_e32 v34, 32, v34
	s_delay_alu instid0(VALU_DEP_1) | instskip(NEXT) | instid1(VALU_DEP_1)
	v_subrev_nc_u32_e32 v36, 28, v34
	v_lshlrev_b64_e32 v[44:45], v36, v[1:2]
	v_sub_nc_u32_e32 v36, 29, v34
	s_delay_alu instid0(VALU_DEP_2)
	v_and_b32_e32 v34, 7, v44
; %bb.592:                              ;   in Loop: Header=BB267_554 Depth=1
	s_wait_alu 0xfffe
	s_or_b32 exec_lo, exec_lo, s21
	v_lshlrev_b32_e32 v44, 8, v10
	v_lshl_add_u32 v36, v36, 10, 0x2000
	v_lshlrev_b32_e32 v34, 7, v34
	s_delay_alu instid0(VALU_DEP_3) | instskip(NEXT) | instid1(VALU_DEP_3)
	v_and_b32_e32 v44, 0x8000, v44
	v_and_b32_e32 v36, 0xfc00, v36
	s_delay_alu instid0(VALU_DEP_1)
	v_or3_b32 v34, v44, v36, v34
.LBB267_593:                            ;   in Loop: Header=BB267_554 Depth=1
	s_wait_alu 0xfffe
	s_or_b32 exec_lo, exec_lo, s19
.LBB267_594:                            ;   in Loop: Header=BB267_554 Depth=1
	s_wait_alu 0xfffe
	s_or_b32 exec_lo, exec_lo, s18
.LBB267_595:                            ;   in Loop: Header=BB267_554 Depth=1
	s_wait_alu 0xfffe
	s_or_b32 exec_lo, exec_lo, s0
	v_lshrrev_b16 v1, 8, v1
	v_mov_b32_e32 v36, 0
	s_mov_b32 s0, exec_lo
	s_delay_alu instid0(VALU_DEP_2)
	v_cmpx_ne_u16_e32 0, v1
	s_cbranch_execz .LBB267_603
; %bb.596:                              ;   in Loop: Header=BB267_554 Depth=1
	v_bfrev_b32_e32 v36, 1
	s_mov_b32 s18, exec_lo
	v_cmpx_ne_u16_e32 0x80, v1
	s_cbranch_execz .LBB267_602
; %bb.597:                              ;   in Loop: Header=BB267_554 Depth=1
	v_and_b32_e32 v44, 0xffff, v1
	v_mov_b32_e32 v36, 0x7c010000
	s_mov_b32 s19, exec_lo
	s_delay_alu instid0(VALU_DEP_2) | instskip(NEXT) | instid1(VALU_DEP_1)
	v_and_b32_e32 v46, 0x7f, v44
	v_cmpx_ne_u32_e32 0x7f, v46
	s_cbranch_execz .LBB267_601
; %bb.598:                              ;   in Loop: Header=BB267_554 Depth=1
	v_and_b32_e32 v36, 7, v44
	v_lshrrev_b32_e32 v45, 3, v46
	s_mov_b32 s21, exec_lo
	v_cmpx_gt_u32_e32 8, v46
; %bb.599:                              ;   in Loop: Header=BB267_554 Depth=1
	s_delay_alu instid0(VALU_DEP_3) | instskip(NEXT) | instid1(VALU_DEP_1)
	v_clz_i32_u32_e32 v36, v36
	v_min_u32_e32 v36, 32, v36
	s_delay_alu instid0(VALU_DEP_1) | instskip(NEXT) | instid1(VALU_DEP_1)
	v_subrev_nc_u32_e32 v45, 28, v36
	v_lshlrev_b64_e32 v[46:47], v45, v[1:2]
	v_sub_nc_u32_e32 v45, 29, v36
	s_delay_alu instid0(VALU_DEP_2)
	v_and_b32_e32 v36, 7, v46
; %bb.600:                              ;   in Loop: Header=BB267_554 Depth=1
	s_wait_alu 0xfffe
	s_or_b32 exec_lo, exec_lo, s21
	v_lshlrev_b32_e32 v1, 8, v44
	v_lshl_add_u32 v44, v45, 10, 0x2000
	v_lshlrev_b32_e32 v36, 23, v36
	s_delay_alu instid0(VALU_DEP_2) | instskip(NEXT) | instid1(VALU_DEP_1)
	v_and_or_b32 v1, 0x8000, v1, v44
	v_lshl_or_b32 v36, v1, 16, v36
.LBB267_601:                            ;   in Loop: Header=BB267_554 Depth=1
	s_wait_alu 0xfffe
	s_or_b32 exec_lo, exec_lo, s19
.LBB267_602:                            ;   in Loop: Header=BB267_554 Depth=1
	s_wait_alu 0xfffe
	s_or_b32 exec_lo, exec_lo, s18
.LBB267_603:                            ;   in Loop: Header=BB267_554 Depth=1
	s_wait_alu 0xfffe
	s_or_b32 exec_lo, exec_lo, s0
	v_lshrrev_b32_e32 v1, 16, v10
	s_mov_b32 s0, exec_lo
	s_delay_alu instid0(VALU_DEP_1) | instskip(NEXT) | instid1(VALU_DEP_1)
	v_and_b32_e32 v44, 0xff, v1
	v_cmpx_ne_u16_e32 0, v44
	s_cbranch_execz .LBB267_611
; %bb.604:                              ;   in Loop: Header=BB267_554 Depth=1
	v_mov_b32_e32 v33, 0x8000
	s_mov_b32 s18, exec_lo
	v_cmpx_ne_u16_e32 0x80, v44
	s_cbranch_execz .LBB267_610
; %bb.605:                              ;   in Loop: Header=BB267_554 Depth=1
	v_bfe_u32 v45, v10, 16, 7
	v_mov_b32_e32 v33, 0x7c01
	s_mov_b32 s19, exec_lo
	s_delay_alu instid0(VALU_DEP_2)
	v_cmpx_ne_u32_e32 0x7f, v45
	s_cbranch_execz .LBB267_609
; %bb.606:                              ;   in Loop: Header=BB267_554 Depth=1
	v_and_b32_e32 v33, 7, v1
	v_lshrrev_b32_e32 v44, 3, v45
	s_mov_b32 s21, exec_lo
	v_cmpx_gt_u32_e32 8, v45
; %bb.607:                              ;   in Loop: Header=BB267_554 Depth=1
	s_delay_alu instid0(VALU_DEP_3) | instskip(NEXT) | instid1(VALU_DEP_1)
	v_clz_i32_u32_e32 v33, v33
	v_min_u32_e32 v33, 32, v33
	s_delay_alu instid0(VALU_DEP_1) | instskip(NEXT) | instid1(VALU_DEP_1)
	v_subrev_nc_u32_e32 v44, 28, v33
	v_lshlrev_b64_e32 v[45:46], v44, v[1:2]
	v_sub_nc_u32_e32 v44, 29, v33
	s_delay_alu instid0(VALU_DEP_2)
	v_and_b32_e32 v33, 7, v45
; %bb.608:                              ;   in Loop: Header=BB267_554 Depth=1
	s_wait_alu 0xfffe
	s_or_b32 exec_lo, exec_lo, s21
	v_lshlrev_b32_e32 v1, 8, v1
	v_lshl_add_u32 v44, v44, 10, 0x2000
	v_lshlrev_b32_e32 v33, 7, v33
	s_delay_alu instid0(VALU_DEP_3) | instskip(NEXT) | instid1(VALU_DEP_3)
	v_and_b32_e32 v1, 0x8000, v1
	v_and_b32_e32 v44, 0xfc00, v44
	s_delay_alu instid0(VALU_DEP_1)
	v_or3_b32 v33, v1, v44, v33
.LBB267_609:                            ;   in Loop: Header=BB267_554 Depth=1
	s_wait_alu 0xfffe
	s_or_b32 exec_lo, exec_lo, s19
.LBB267_610:                            ;   in Loop: Header=BB267_554 Depth=1
	s_wait_alu 0xfffe
	s_or_b32 exec_lo, exec_lo, s18
.LBB267_611:                            ;   in Loop: Header=BB267_554 Depth=1
	s_wait_alu 0xfffe
	s_or_b32 exec_lo, exec_lo, s0
	v_cmp_lt_u64_e32 vcc_lo, s[8:9], v[9:10]
	v_mov_b32_e32 v9, 0
	s_and_saveexec_b32 s0, vcc_lo
	s_cbranch_execz .LBB267_619
; %bb.612:                              ;   in Loop: Header=BB267_554 Depth=1
	v_lshrrev_b32_e32 v1, 24, v10
	v_bfrev_b32_e32 v9, 1
	s_mov_b32 s18, exec_lo
	s_delay_alu instid0(VALU_DEP_2)
	v_cmpx_ne_u32_e32 0x80, v1
	s_cbranch_execz .LBB267_618
; %bb.613:                              ;   in Loop: Header=BB267_554 Depth=1
	v_and_b32_e32 v44, 0x7f, v1
	v_mov_b32_e32 v9, 0x7c010000
	s_mov_b32 s19, exec_lo
	s_delay_alu instid0(VALU_DEP_2)
	v_cmpx_ne_u32_e32 0x7f, v44
	s_cbranch_execz .LBB267_617
; %bb.614:                              ;   in Loop: Header=BB267_554 Depth=1
	v_and_b32_e32 v9, 7, v1
	v_lshrrev_b32_e32 v10, 3, v44
	s_mov_b32 s21, exec_lo
	v_cmpx_gt_u32_e32 8, v44
; %bb.615:                              ;   in Loop: Header=BB267_554 Depth=1
	s_delay_alu instid0(VALU_DEP_3) | instskip(NEXT) | instid1(VALU_DEP_1)
	v_clz_i32_u32_e32 v9, v9
	v_min_u32_e32 v44, 32, v9
	s_delay_alu instid0(VALU_DEP_1) | instskip(NEXT) | instid1(VALU_DEP_1)
	v_subrev_nc_u32_e32 v9, 28, v44
	v_lshlrev_b64_e32 v[9:10], v9, v[1:2]
	v_sub_nc_u32_e32 v10, 29, v44
	s_delay_alu instid0(VALU_DEP_2)
	v_and_b32_e32 v9, 7, v9
; %bb.616:                              ;   in Loop: Header=BB267_554 Depth=1
	s_wait_alu 0xfffe
	s_or_b32 exec_lo, exec_lo, s21
	v_lshlrev_b32_e32 v1, 8, v1
	v_lshl_add_u32 v10, v10, 10, 0x2000
	v_lshlrev_b32_e32 v9, 23, v9
	s_delay_alu instid0(VALU_DEP_2) | instskip(NEXT) | instid1(VALU_DEP_1)
	v_and_or_b32 v1, 0x8000, v1, v10
	v_lshl_or_b32 v9, v1, 16, v9
.LBB267_617:                            ;   in Loop: Header=BB267_554 Depth=1
	s_wait_alu 0xfffe
	s_or_b32 exec_lo, exec_lo, s19
.LBB267_618:                            ;   in Loop: Header=BB267_554 Depth=1
	s_wait_alu 0xfffe
	s_or_b32 exec_lo, exec_lo, s18
.LBB267_619:                            ;   in Loop: Header=BB267_554 Depth=1
	s_wait_alu 0xfffe
	s_or_b32 exec_lo, exec_lo, s0
	v_or_b32_e32 v1, v32, v28
	s_wait_loadcnt 0x0
	v_fma_mixlo_f16 v10, v29, v32, 0 op_sel:[0,1,0] op_sel_hi:[0,1,0]
	v_or_b32_e32 v31, v30, v31
	v_fma_mixlo_f16 v30, v29, v30, 0 op_sel:[0,1,0] op_sel_hi:[0,1,0]
	v_or_b32_e32 v32, v36, v34
	v_fma_mixlo_f16 v1, v29, v1, 0 op_sel_hi:[0,1,0]
	v_or_b32_e32 v33, v9, v33
	v_fma_mixlo_f16 v9, v29, v9, 0 op_sel:[0,1,0] op_sel_hi:[0,1,0]
	v_lshlrev_b32_e32 v50, 16, v30
	v_fma_mixlo_f16 v30, v29, v36, 0 op_sel:[0,1,0] op_sel_hi:[0,1,0]
	v_and_b32_e32 v47, 0xffff, v1
	v_fma_mixlo_f16 v1, v29, v31, 0 op_sel_hi:[0,1,0]
	v_fma_mixlo_f16 v31, v29, v32, 0 op_sel_hi:[0,1,0]
	;; [unrolled: 1-line block ×3, first 2 shown]
	v_add_nc_u32_e32 v28, v27, v14
	v_lshlrev_b32_e32 v10, 16, v10
	v_and_b32_e32 v52, 0xffff, v1
	v_lshlrev_b32_e32 v48, 16, v30
	v_and_b32_e32 v51, 0xffff, v31
	;; [unrolled: 2-line block ×3, first 2 shown]
	v_cmp_eq_u32_e32 vcc_lo, s40, v15
	v_or_b32_e32 v1, v10, v47
	v_or_b32_e32 v9, v50, v52
	;; [unrolled: 1-line block ×4, first 2 shown]
	v_add_nc_u32_e32 v36, 1, v28
	v_add_nc_u32_e32 v34, 2, v28
	;; [unrolled: 1-line block ×7, first 2 shown]
	s_and_saveexec_b32 s18, vcc_lo
	s_cbranch_execz .LBB267_621
; %bb.620:                              ;   in Loop: Header=BB267_554 Depth=1
	v_cmp_gt_i32_e64 s0, s36, v28
	s_wait_alu 0xf1ff
	s_delay_alu instid0(VALU_DEP_1) | instskip(SKIP_2) | instid1(VALU_DEP_1)
	v_cndmask_b32_e64 v1, 0, v52, s0
	v_cmp_gt_i32_e64 s0, s36, v36
	s_wait_alu 0xf1ff
	v_cndmask_b32_e64 v9, 0, v50, s0
	v_cmp_gt_i32_e64 s0, s36, v34
	s_delay_alu instid0(VALU_DEP_2) | instskip(SKIP_1) | instid1(VALU_DEP_2)
	v_or_b32_e32 v9, v9, v1
	s_wait_alu 0xf1ff
	v_cndmask_b32_e64 v44, 0, v47, s0
	v_cmp_gt_i32_e64 s0, s36, v33
	s_wait_alu 0xf1ff
	s_delay_alu instid0(VALU_DEP_1) | instskip(SKIP_1) | instid1(VALU_DEP_2)
	v_cndmask_b32_e64 v10, 0, v10, s0
	v_cmp_gt_i32_e64 s0, s36, v32
	v_or_b32_e32 v1, v10, v44
	s_wait_alu 0xf1ff
	s_delay_alu instid0(VALU_DEP_2) | instskip(SKIP_2) | instid1(VALU_DEP_1)
	v_cndmask_b32_e64 v46, 0, v51, s0
	v_cmp_gt_i32_e64 s0, s36, v31
	s_wait_alu 0xf1ff
	v_cndmask_b32_e64 v47, 0, v48, s0
	v_cmp_gt_i32_e64 s0, s36, v30
	s_delay_alu instid0(VALU_DEP_2) | instskip(SKIP_1) | instid1(VALU_DEP_2)
	v_or_b32_e32 v44, v47, v46
	s_wait_alu 0xf1ff
	v_cndmask_b32_e64 v48, 0, v49, s0
	v_cmp_gt_i32_e64 s0, s36, v29
	s_wait_alu 0xf1ff
	s_delay_alu instid0(VALU_DEP_1) | instskip(NEXT) | instid1(VALU_DEP_1)
	v_cndmask_b32_e64 v45, 0, v45, s0
	v_or_b32_e32 v46, v45, v48
.LBB267_621:                            ;   in Loop: Header=BB267_554 Depth=1
	s_wait_alu 0xfffe
	s_or_b32 exec_lo, exec_lo, s18
	v_and_b32_e32 v10, 0xffff, v35
	v_and_b32_e32 v35, 0xffff, v40
	;; [unrolled: 1-line block ×4, first 2 shown]
	s_mov_b32 s18, exec_lo
	s_delay_alu instid0(VALU_DEP_3) | instskip(NEXT) | instid1(VALU_DEP_3)
	v_lshl_or_b32 v40, v38, 16, v35
	v_lshl_or_b32 v38, v42, 16, v43
	v_mov_b32_e32 v43, 0
	v_lshl_or_b32 v41, v37, 16, v10
	;;#ASMSTART
	v_pk_mul_f16 v9, v41, v9;

	;;#ASMEND
	;;#ASMSTART
	v_pk_mul_f16 v1, v40, v1;

	;;#ASMEND
	v_lshl_or_b32 v39, v39, 16, v45
	;;#ASMSTART
	v_pk_mul_f16 v10, v39, v44;

	;;#ASMEND
	;;#ASMSTART
	v_pk_mul_f16 v35, v38, v46;

	;;#ASMEND
	;;#ASMSTART
	v_pk_add_f16 v1, v9, v1;

	;;#ASMEND
	;;#ASMSTART
	v_pk_add_f16 v1, v1, v10;
	;; [unrolled: 4-line block ×3, first 2 shown]

	;;#ASMEND
	v_and_b32_e32 v9, 0xffff, v1
	v_lshrrev_b32_e32 v1, 16, v1
	;;#ASMSTART
	v_cvt_f32_f16 v35, v9;
	;;#ASMEND
	;;#ASMSTART
	v_cvt_f32_f16 v37, v1;
	;;#ASMEND
	global_load_b64 v[9:10], v[7:8], off offset:256
	global_load_b32 v42, v43, s[10:11]
	s_wait_loadcnt 0x1
	v_dual_mov_b32 v44, 0 :: v_dual_and_b32 v1, 0xff, v9
	s_delay_alu instid0(VALU_DEP_1)
	v_cmpx_ne_u16_e32 0, v1
	s_cbranch_execz .LBB267_629
; %bb.622:                              ;   in Loop: Header=BB267_554 Depth=1
	v_mov_b32_e32 v44, 0x8000
	s_mov_b32 s19, exec_lo
	v_cmpx_ne_u16_e32 0x80, v1
	s_cbranch_execz .LBB267_628
; %bb.623:                              ;   in Loop: Header=BB267_554 Depth=1
	v_and_b32_e32 v45, 0x7f, v9
	v_mov_b32_e32 v44, 0x7c01
	s_mov_b32 s21, exec_lo
	s_delay_alu instid0(VALU_DEP_2)
	v_cmpx_ne_u32_e32 0x7f, v45
	s_cbranch_execz .LBB267_627
; %bb.624:                              ;   in Loop: Header=BB267_554 Depth=1
	v_and_b32_e32 v1, 7, v9
	v_lshrrev_b32_e32 v44, 3, v45
	s_mov_b32 s22, exec_lo
	v_cmpx_gt_u32_e32 8, v45
; %bb.625:                              ;   in Loop: Header=BB267_554 Depth=1
	s_delay_alu instid0(VALU_DEP_3) | instskip(NEXT) | instid1(VALU_DEP_1)
	v_clz_i32_u32_e32 v1, v1
	v_min_u32_e32 v1, 32, v1
	s_delay_alu instid0(VALU_DEP_1) | instskip(NEXT) | instid1(VALU_DEP_1)
	v_subrev_nc_u32_e32 v44, 28, v1
	v_lshlrev_b64_e32 v[45:46], v44, v[9:10]
	v_sub_nc_u32_e32 v44, 29, v1
	s_delay_alu instid0(VALU_DEP_2)
	v_and_b32_e32 v1, 7, v45
; %bb.626:                              ;   in Loop: Header=BB267_554 Depth=1
	s_wait_alu 0xfffe
	s_or_b32 exec_lo, exec_lo, s22
	v_lshlrev_b32_e32 v45, 8, v9
	v_lshl_add_u32 v44, v44, 10, 0x2000
	v_lshlrev_b32_e32 v1, 7, v1
	s_delay_alu instid0(VALU_DEP_3) | instskip(NEXT) | instid1(VALU_DEP_3)
	v_and_b32_e32 v45, 0x8000, v45
	v_and_b32_e32 v44, 0xfc00, v44
	s_delay_alu instid0(VALU_DEP_1)
	v_or3_b32 v44, v45, v44, v1
.LBB267_627:                            ;   in Loop: Header=BB267_554 Depth=1
	s_wait_alu 0xfffe
	s_or_b32 exec_lo, exec_lo, s21
.LBB267_628:                            ;   in Loop: Header=BB267_554 Depth=1
	s_wait_alu 0xfffe
	s_or_b32 exec_lo, exec_lo, s19
.LBB267_629:                            ;   in Loop: Header=BB267_554 Depth=1
	s_wait_alu 0xfffe
	s_or_b32 exec_lo, exec_lo, s18
	v_lshrrev_b16 v1, 8, v9
	s_mov_b32 s18, exec_lo
	s_delay_alu instid0(VALU_DEP_1)
	v_cmpx_ne_u16_e32 0, v1
	s_cbranch_execz .LBB267_637
; %bb.630:                              ;   in Loop: Header=BB267_554 Depth=1
	v_bfrev_b32_e32 v43, 1
	s_mov_b32 s19, exec_lo
	v_cmpx_ne_u16_e32 0x80, v1
	s_cbranch_execz .LBB267_636
; %bb.631:                              ;   in Loop: Header=BB267_554 Depth=1
	v_and_b32_e32 v45, 0xffff, v1
	v_mov_b32_e32 v43, 0x7c010000
	s_mov_b32 s21, exec_lo
	s_delay_alu instid0(VALU_DEP_2) | instskip(NEXT) | instid1(VALU_DEP_1)
	v_and_b32_e32 v47, 0x7f, v45
	v_cmpx_ne_u32_e32 0x7f, v47
	s_cbranch_execz .LBB267_635
; %bb.632:                              ;   in Loop: Header=BB267_554 Depth=1
	v_and_b32_e32 v43, 7, v45
	v_lshrrev_b32_e32 v46, 3, v47
	s_mov_b32 s22, exec_lo
	v_cmpx_gt_u32_e32 8, v47
; %bb.633:                              ;   in Loop: Header=BB267_554 Depth=1
	s_delay_alu instid0(VALU_DEP_3) | instskip(NEXT) | instid1(VALU_DEP_1)
	v_clz_i32_u32_e32 v43, v43
	v_min_u32_e32 v43, 32, v43
	s_delay_alu instid0(VALU_DEP_1) | instskip(NEXT) | instid1(VALU_DEP_1)
	v_subrev_nc_u32_e32 v46, 28, v43
	v_lshlrev_b64_e32 v[47:48], v46, v[1:2]
	v_sub_nc_u32_e32 v46, 29, v43
	s_delay_alu instid0(VALU_DEP_2)
	v_and_b32_e32 v43, 7, v47
; %bb.634:                              ;   in Loop: Header=BB267_554 Depth=1
	s_wait_alu 0xfffe
	s_or_b32 exec_lo, exec_lo, s22
	v_lshlrev_b32_e32 v1, 8, v45
	v_lshl_add_u32 v45, v46, 10, 0x2000
	v_lshlrev_b32_e32 v43, 23, v43
	s_delay_alu instid0(VALU_DEP_2) | instskip(NEXT) | instid1(VALU_DEP_1)
	v_and_or_b32 v1, 0x8000, v1, v45
	v_lshl_or_b32 v43, v1, 16, v43
.LBB267_635:                            ;   in Loop: Header=BB267_554 Depth=1
	s_wait_alu 0xfffe
	s_or_b32 exec_lo, exec_lo, s21
.LBB267_636:                            ;   in Loop: Header=BB267_554 Depth=1
	s_wait_alu 0xfffe
	s_or_b32 exec_lo, exec_lo, s19
.LBB267_637:                            ;   in Loop: Header=BB267_554 Depth=1
	s_wait_alu 0xfffe
	s_or_b32 exec_lo, exec_lo, s18
	v_lshrrev_b32_e32 v1, 16, v9
	v_mov_b32_e32 v45, 0
	s_mov_b32 s18, exec_lo
	s_delay_alu instid0(VALU_DEP_2) | instskip(NEXT) | instid1(VALU_DEP_1)
	v_dual_mov_b32 v46, 0 :: v_dual_and_b32 v47, 0xff, v1
	v_cmpx_ne_u16_e32 0, v47
	s_cbranch_execz .LBB267_645
; %bb.638:                              ;   in Loop: Header=BB267_554 Depth=1
	v_mov_b32_e32 v46, 0x8000
	s_mov_b32 s19, exec_lo
	v_cmpx_ne_u16_e32 0x80, v47
	s_cbranch_execz .LBB267_644
; %bb.639:                              ;   in Loop: Header=BB267_554 Depth=1
	v_bfe_u32 v48, v9, 16, 7
	v_mov_b32_e32 v46, 0x7c01
	s_mov_b32 s21, exec_lo
	s_delay_alu instid0(VALU_DEP_2)
	v_cmpx_ne_u32_e32 0x7f, v48
	s_cbranch_execz .LBB267_643
; %bb.640:                              ;   in Loop: Header=BB267_554 Depth=1
	v_and_b32_e32 v46, 7, v1
	v_lshrrev_b32_e32 v47, 3, v48
	s_mov_b32 s22, exec_lo
	v_cmpx_gt_u32_e32 8, v48
; %bb.641:                              ;   in Loop: Header=BB267_554 Depth=1
	s_delay_alu instid0(VALU_DEP_3) | instskip(NEXT) | instid1(VALU_DEP_1)
	v_clz_i32_u32_e32 v46, v46
	v_min_u32_e32 v48, 32, v46
	s_delay_alu instid0(VALU_DEP_1) | instskip(NEXT) | instid1(VALU_DEP_1)
	v_subrev_nc_u32_e32 v46, 28, v48
	v_lshlrev_b64_e32 v[46:47], v46, v[1:2]
	v_sub_nc_u32_e32 v47, 29, v48
	s_delay_alu instid0(VALU_DEP_2)
	v_and_b32_e32 v46, 7, v46
; %bb.642:                              ;   in Loop: Header=BB267_554 Depth=1
	s_wait_alu 0xfffe
	s_or_b32 exec_lo, exec_lo, s22
	v_lshlrev_b32_e32 v1, 8, v1
	v_lshl_add_u32 v47, v47, 10, 0x2000
	v_lshlrev_b32_e32 v46, 7, v46
	s_delay_alu instid0(VALU_DEP_3) | instskip(NEXT) | instid1(VALU_DEP_3)
	v_and_b32_e32 v1, 0x8000, v1
	v_and_b32_e32 v47, 0xfc00, v47
	s_delay_alu instid0(VALU_DEP_1)
	v_or3_b32 v46, v1, v47, v46
.LBB267_643:                            ;   in Loop: Header=BB267_554 Depth=1
	s_wait_alu 0xfffe
	s_or_b32 exec_lo, exec_lo, s21
.LBB267_644:                            ;   in Loop: Header=BB267_554 Depth=1
	s_wait_alu 0xfffe
	s_or_b32 exec_lo, exec_lo, s19
.LBB267_645:                            ;   in Loop: Header=BB267_554 Depth=1
	s_wait_alu 0xfffe
	s_or_b32 exec_lo, exec_lo, s18
	s_delay_alu instid0(SALU_CYCLE_1)
	s_mov_b32 s18, exec_lo
	v_cmpx_lt_u32_e32 0xffffff, v9
	s_cbranch_execz .LBB267_653
; %bb.646:                              ;   in Loop: Header=BB267_554 Depth=1
	v_lshrrev_b32_e32 v1, 24, v9
	v_bfrev_b32_e32 v45, 1
	s_mov_b32 s19, exec_lo
	s_delay_alu instid0(VALU_DEP_2)
	v_cmpx_ne_u32_e32 0x80, v1
	s_cbranch_execz .LBB267_652
; %bb.647:                              ;   in Loop: Header=BB267_554 Depth=1
	v_and_b32_e32 v48, 0x7f, v1
	v_mov_b32_e32 v45, 0x7c010000
	s_mov_b32 s21, exec_lo
	s_delay_alu instid0(VALU_DEP_2)
	v_cmpx_ne_u32_e32 0x7f, v48
	s_cbranch_execz .LBB267_651
; %bb.648:                              ;   in Loop: Header=BB267_554 Depth=1
	v_and_b32_e32 v45, 7, v1
	v_lshrrev_b32_e32 v47, 3, v48
	s_mov_b32 s22, exec_lo
	v_cmpx_gt_u32_e32 8, v48
; %bb.649:                              ;   in Loop: Header=BB267_554 Depth=1
	s_delay_alu instid0(VALU_DEP_3) | instskip(NEXT) | instid1(VALU_DEP_1)
	v_clz_i32_u32_e32 v45, v45
	v_min_u32_e32 v45, 32, v45
	s_delay_alu instid0(VALU_DEP_1) | instskip(NEXT) | instid1(VALU_DEP_1)
	v_subrev_nc_u32_e32 v47, 28, v45
	v_lshlrev_b64_e32 v[48:49], v47, v[1:2]
	v_sub_nc_u32_e32 v47, 29, v45
	s_delay_alu instid0(VALU_DEP_2)
	v_and_b32_e32 v45, 7, v48
; %bb.650:                              ;   in Loop: Header=BB267_554 Depth=1
	s_wait_alu 0xfffe
	s_or_b32 exec_lo, exec_lo, s22
	v_lshlrev_b32_e32 v1, 8, v1
	v_lshl_add_u32 v47, v47, 10, 0x2000
	v_lshlrev_b32_e32 v45, 23, v45
	s_delay_alu instid0(VALU_DEP_2) | instskip(NEXT) | instid1(VALU_DEP_1)
	v_and_or_b32 v1, 0x8000, v1, v47
	v_lshl_or_b32 v45, v1, 16, v45
.LBB267_651:                            ;   in Loop: Header=BB267_554 Depth=1
	s_wait_alu 0xfffe
	s_or_b32 exec_lo, exec_lo, s21
.LBB267_652:                            ;   in Loop: Header=BB267_554 Depth=1
	s_wait_alu 0xfffe
	s_or_b32 exec_lo, exec_lo, s19
.LBB267_653:                            ;   in Loop: Header=BB267_554 Depth=1
	s_wait_alu 0xfffe
	s_or_b32 exec_lo, exec_lo, s18
	v_dual_mov_b32 v48, 0 :: v_dual_and_b32 v49, 0xff, v10
	v_mov_b32_e32 v1, v10
	v_mov_b32_e32 v47, 0
	s_mov_b32 s18, exec_lo
	s_delay_alu instid0(VALU_DEP_3)
	v_cmpx_ne_u16_e32 0, v49
	s_cbranch_execz .LBB267_661
; %bb.654:                              ;   in Loop: Header=BB267_554 Depth=1
	v_mov_b32_e32 v48, 0x8000
	s_mov_b32 s19, exec_lo
	v_cmpx_ne_u16_e32 0x80, v49
	s_cbranch_execz .LBB267_660
; %bb.655:                              ;   in Loop: Header=BB267_554 Depth=1
	v_and_b32_e32 v50, 0x7f, v10
	v_mov_b32_e32 v48, 0x7c01
	s_mov_b32 s21, exec_lo
	s_delay_alu instid0(VALU_DEP_2)
	v_cmpx_ne_u32_e32 0x7f, v50
	s_cbranch_execz .LBB267_659
; %bb.656:                              ;   in Loop: Header=BB267_554 Depth=1
	v_and_b32_e32 v48, 7, v10
	v_lshrrev_b32_e32 v49, 3, v50
	s_mov_b32 s22, exec_lo
	v_cmpx_gt_u32_e32 8, v50
; %bb.657:                              ;   in Loop: Header=BB267_554 Depth=1
	s_delay_alu instid0(VALU_DEP_3) | instskip(NEXT) | instid1(VALU_DEP_1)
	v_clz_i32_u32_e32 v48, v48
	v_min_u32_e32 v50, 32, v48
	s_delay_alu instid0(VALU_DEP_1) | instskip(NEXT) | instid1(VALU_DEP_1)
	v_subrev_nc_u32_e32 v48, 28, v50
	v_lshlrev_b64_e32 v[48:49], v48, v[1:2]
	v_sub_nc_u32_e32 v49, 29, v50
	s_delay_alu instid0(VALU_DEP_2)
	v_and_b32_e32 v48, 7, v48
; %bb.658:                              ;   in Loop: Header=BB267_554 Depth=1
	s_wait_alu 0xfffe
	s_or_b32 exec_lo, exec_lo, s22
	v_lshlrev_b32_e32 v50, 8, v10
	v_lshl_add_u32 v49, v49, 10, 0x2000
	v_lshlrev_b32_e32 v48, 7, v48
	s_delay_alu instid0(VALU_DEP_3) | instskip(NEXT) | instid1(VALU_DEP_3)
	v_and_b32_e32 v50, 0x8000, v50
	v_and_b32_e32 v49, 0xfc00, v49
	s_delay_alu instid0(VALU_DEP_1)
	v_or3_b32 v48, v50, v49, v48
.LBB267_659:                            ;   in Loop: Header=BB267_554 Depth=1
	s_wait_alu 0xfffe
	s_or_b32 exec_lo, exec_lo, s21
.LBB267_660:                            ;   in Loop: Header=BB267_554 Depth=1
	s_wait_alu 0xfffe
	s_or_b32 exec_lo, exec_lo, s19
.LBB267_661:                            ;   in Loop: Header=BB267_554 Depth=1
	s_wait_alu 0xfffe
	s_or_b32 exec_lo, exec_lo, s18
	v_lshrrev_b16 v1, 8, v1
	v_mov_b32_e32 v49, 0
	s_mov_b32 s18, exec_lo
	s_delay_alu instid0(VALU_DEP_2)
	v_cmpx_ne_u16_e32 0, v1
	s_cbranch_execz .LBB267_669
; %bb.662:                              ;   in Loop: Header=BB267_554 Depth=1
	v_bfrev_b32_e32 v49, 1
	s_mov_b32 s19, exec_lo
	v_cmpx_ne_u16_e32 0x80, v1
	s_cbranch_execz .LBB267_668
; %bb.663:                              ;   in Loop: Header=BB267_554 Depth=1
	v_and_b32_e32 v50, 0xffff, v1
	v_mov_b32_e32 v49, 0x7c010000
	s_mov_b32 s21, exec_lo
	s_delay_alu instid0(VALU_DEP_2) | instskip(NEXT) | instid1(VALU_DEP_1)
	v_and_b32_e32 v52, 0x7f, v50
	v_cmpx_ne_u32_e32 0x7f, v52
	s_cbranch_execz .LBB267_667
; %bb.664:                              ;   in Loop: Header=BB267_554 Depth=1
	v_and_b32_e32 v49, 7, v50
	v_lshrrev_b32_e32 v51, 3, v52
	s_mov_b32 s22, exec_lo
	v_cmpx_gt_u32_e32 8, v52
; %bb.665:                              ;   in Loop: Header=BB267_554 Depth=1
	s_delay_alu instid0(VALU_DEP_3) | instskip(NEXT) | instid1(VALU_DEP_1)
	v_clz_i32_u32_e32 v49, v49
	v_min_u32_e32 v49, 32, v49
	s_delay_alu instid0(VALU_DEP_1) | instskip(NEXT) | instid1(VALU_DEP_1)
	v_subrev_nc_u32_e32 v51, 28, v49
	v_lshlrev_b64_e32 v[52:53], v51, v[1:2]
	v_sub_nc_u32_e32 v51, 29, v49
	s_delay_alu instid0(VALU_DEP_2)
	v_and_b32_e32 v49, 7, v52
; %bb.666:                              ;   in Loop: Header=BB267_554 Depth=1
	s_wait_alu 0xfffe
	s_or_b32 exec_lo, exec_lo, s22
	v_lshlrev_b32_e32 v1, 8, v50
	v_lshl_add_u32 v50, v51, 10, 0x2000
	v_lshlrev_b32_e32 v49, 23, v49
	s_delay_alu instid0(VALU_DEP_2) | instskip(NEXT) | instid1(VALU_DEP_1)
	v_and_or_b32 v1, 0x8000, v1, v50
	v_lshl_or_b32 v49, v1, 16, v49
.LBB267_667:                            ;   in Loop: Header=BB267_554 Depth=1
	s_wait_alu 0xfffe
	s_or_b32 exec_lo, exec_lo, s21
.LBB267_668:                            ;   in Loop: Header=BB267_554 Depth=1
	s_wait_alu 0xfffe
	s_or_b32 exec_lo, exec_lo, s19
.LBB267_669:                            ;   in Loop: Header=BB267_554 Depth=1
	s_wait_alu 0xfffe
	s_or_b32 exec_lo, exec_lo, s18
	v_lshrrev_b32_e32 v1, 16, v10
	s_mov_b32 s18, exec_lo
	s_delay_alu instid0(VALU_DEP_1) | instskip(NEXT) | instid1(VALU_DEP_1)
	v_and_b32_e32 v50, 0xff, v1
	v_cmpx_ne_u16_e32 0, v50
	s_cbranch_execz .LBB267_677
; %bb.670:                              ;   in Loop: Header=BB267_554 Depth=1
	v_mov_b32_e32 v47, 0x8000
	s_mov_b32 s19, exec_lo
	v_cmpx_ne_u16_e32 0x80, v50
	s_cbranch_execz .LBB267_676
; %bb.671:                              ;   in Loop: Header=BB267_554 Depth=1
	v_bfe_u32 v51, v10, 16, 7
	v_mov_b32_e32 v47, 0x7c01
	s_mov_b32 s21, exec_lo
	s_delay_alu instid0(VALU_DEP_2)
	v_cmpx_ne_u32_e32 0x7f, v51
	s_cbranch_execz .LBB267_675
; %bb.672:                              ;   in Loop: Header=BB267_554 Depth=1
	v_and_b32_e32 v47, 7, v1
	v_lshrrev_b32_e32 v50, 3, v51
	s_mov_b32 s22, exec_lo
	v_cmpx_gt_u32_e32 8, v51
; %bb.673:                              ;   in Loop: Header=BB267_554 Depth=1
	s_delay_alu instid0(VALU_DEP_3) | instskip(NEXT) | instid1(VALU_DEP_1)
	v_clz_i32_u32_e32 v47, v47
	v_min_u32_e32 v47, 32, v47
	s_delay_alu instid0(VALU_DEP_1) | instskip(NEXT) | instid1(VALU_DEP_1)
	v_subrev_nc_u32_e32 v50, 28, v47
	v_lshlrev_b64_e32 v[51:52], v50, v[1:2]
	v_sub_nc_u32_e32 v50, 29, v47
	s_delay_alu instid0(VALU_DEP_2)
	v_and_b32_e32 v47, 7, v51
; %bb.674:                              ;   in Loop: Header=BB267_554 Depth=1
	s_wait_alu 0xfffe
	s_or_b32 exec_lo, exec_lo, s22
	v_lshlrev_b32_e32 v1, 8, v1
	v_lshl_add_u32 v50, v50, 10, 0x2000
	v_lshlrev_b32_e32 v47, 7, v47
	s_delay_alu instid0(VALU_DEP_3) | instskip(NEXT) | instid1(VALU_DEP_3)
	v_and_b32_e32 v1, 0x8000, v1
	v_and_b32_e32 v50, 0xfc00, v50
	s_delay_alu instid0(VALU_DEP_1)
	v_or3_b32 v47, v1, v50, v47
.LBB267_675:                            ;   in Loop: Header=BB267_554 Depth=1
	s_wait_alu 0xfffe
	s_or_b32 exec_lo, exec_lo, s21
.LBB267_676:                            ;   in Loop: Header=BB267_554 Depth=1
	s_wait_alu 0xfffe
	s_or_b32 exec_lo, exec_lo, s19
.LBB267_677:                            ;   in Loop: Header=BB267_554 Depth=1
	s_wait_alu 0xfffe
	s_or_b32 exec_lo, exec_lo, s18
	v_cmp_lt_u64_e64 s0, s[8:9], v[9:10]
	v_mov_b32_e32 v9, 0
	s_and_saveexec_b32 s18, s0
	s_cbranch_execz .LBB267_685
; %bb.678:                              ;   in Loop: Header=BB267_554 Depth=1
	v_lshrrev_b32_e32 v1, 24, v10
	v_bfrev_b32_e32 v9, 1
	s_mov_b32 s19, exec_lo
	s_delay_alu instid0(VALU_DEP_2)
	v_cmpx_ne_u32_e32 0x80, v1
	s_cbranch_execz .LBB267_684
; %bb.679:                              ;   in Loop: Header=BB267_554 Depth=1
	v_and_b32_e32 v50, 0x7f, v1
	v_mov_b32_e32 v9, 0x7c010000
	s_mov_b32 s21, exec_lo
	s_delay_alu instid0(VALU_DEP_2)
	v_cmpx_ne_u32_e32 0x7f, v50
	s_cbranch_execz .LBB267_683
; %bb.680:                              ;   in Loop: Header=BB267_554 Depth=1
	v_and_b32_e32 v9, 7, v1
	v_lshrrev_b32_e32 v10, 3, v50
	s_mov_b32 s22, exec_lo
	v_cmpx_gt_u32_e32 8, v50
; %bb.681:                              ;   in Loop: Header=BB267_554 Depth=1
	s_delay_alu instid0(VALU_DEP_3) | instskip(NEXT) | instid1(VALU_DEP_1)
	v_clz_i32_u32_e32 v9, v9
	v_min_u32_e32 v50, 32, v9
	s_delay_alu instid0(VALU_DEP_1) | instskip(NEXT) | instid1(VALU_DEP_1)
	v_subrev_nc_u32_e32 v9, 28, v50
	v_lshlrev_b64_e32 v[9:10], v9, v[1:2]
	v_sub_nc_u32_e32 v10, 29, v50
	s_delay_alu instid0(VALU_DEP_2)
	v_and_b32_e32 v9, 7, v9
; %bb.682:                              ;   in Loop: Header=BB267_554 Depth=1
	s_wait_alu 0xfffe
	s_or_b32 exec_lo, exec_lo, s22
	v_lshlrev_b32_e32 v1, 8, v1
	v_lshl_add_u32 v10, v10, 10, 0x2000
	v_lshlrev_b32_e32 v9, 23, v9
	s_delay_alu instid0(VALU_DEP_2) | instskip(NEXT) | instid1(VALU_DEP_1)
	v_and_or_b32 v1, 0x8000, v1, v10
	v_lshl_or_b32 v9, v1, 16, v9
.LBB267_683:                            ;   in Loop: Header=BB267_554 Depth=1
	s_wait_alu 0xfffe
	s_or_b32 exec_lo, exec_lo, s21
.LBB267_684:                            ;   in Loop: Header=BB267_554 Depth=1
	s_wait_alu 0xfffe
	s_or_b32 exec_lo, exec_lo, s19
.LBB267_685:                            ;   in Loop: Header=BB267_554 Depth=1
	s_wait_alu 0xfffe
	s_or_b32 exec_lo, exec_lo, s18
	v_or_b32_e32 v1, v45, v46
	s_wait_loadcnt 0x0
	v_fma_mixlo_f16 v10, v42, v45, 0 op_sel:[0,1,0] op_sel_hi:[0,1,0]
	v_or_b32_e32 v45, v43, v44
	v_fma_mixlo_f16 v43, v42, v43, 0 op_sel:[0,1,0] op_sel_hi:[0,1,0]
	v_or_b32_e32 v46, v49, v48
	v_or_b32_e32 v47, v9, v47
	v_fma_mixlo_f16 v48, v42, v1, 0 op_sel_hi:[0,1,0]
	v_fma_mixlo_f16 v9, v42, v9, 0 op_sel:[0,1,0] op_sel_hi:[0,1,0]
	v_lshlrev_b32_e32 v44, 16, v43
	v_fma_mixlo_f16 v43, v42, v45, 0 op_sel_hi:[0,1,0]
	v_fma_mixlo_f16 v45, v42, v49, 0 op_sel:[0,1,0] op_sel_hi:[0,1,0]
	v_fma_mixlo_f16 v46, v42, v46, 0 op_sel_hi:[0,1,0]
	v_fma_mixlo_f16 v47, v42, v47, 0 op_sel_hi:[0,1,0]
	v_lshlrev_b32_e32 v1, 16, v10
	v_and_b32_e32 v10, 0xffff, v48
	v_and_b32_e32 v50, 0xffff, v43
	v_lshlrev_b32_e32 v42, 16, v45
	v_and_b32_e32 v46, 0xffff, v46
	v_lshlrev_b32_e32 v9, 16, v9
	v_and_b32_e32 v43, 0xffff, v47
	v_or_b32_e32 v45, v1, v10
	v_or_b32_e32 v49, v44, v50
	;; [unrolled: 1-line block ×3, first 2 shown]
	s_delay_alu instid0(VALU_DEP_4)
	v_or_b32_e32 v47, v9, v43
	s_and_saveexec_b32 s18, vcc_lo
	s_cbranch_execz .LBB267_687
; %bb.686:                              ;   in Loop: Header=BB267_554 Depth=1
	v_cmp_gt_i32_e64 s0, s36, v28
	s_wait_alu 0xf1ff
	s_delay_alu instid0(VALU_DEP_1) | instskip(SKIP_2) | instid1(VALU_DEP_1)
	v_cndmask_b32_e64 v45, 0, v50, s0
	v_cmp_gt_i32_e64 s0, s36, v36
	s_wait_alu 0xf1ff
	v_cndmask_b32_e64 v44, 0, v44, s0
	v_cmp_gt_i32_e64 s0, s36, v34
	s_delay_alu instid0(VALU_DEP_2) | instskip(SKIP_1) | instid1(VALU_DEP_2)
	v_or_b32_e32 v49, v44, v45
	s_wait_alu 0xf1ff
	v_cndmask_b32_e64 v10, 0, v10, s0
	v_cmp_gt_i32_e64 s0, s36, v33
	s_wait_alu 0xf1ff
	s_delay_alu instid0(VALU_DEP_1) | instskip(SKIP_1) | instid1(VALU_DEP_2)
	v_cndmask_b32_e64 v1, 0, v1, s0
	v_cmp_gt_i32_e64 s0, s36, v32
	v_or_b32_e32 v45, v1, v10
	s_wait_alu 0xf1ff
	s_delay_alu instid0(VALU_DEP_2) | instskip(SKIP_2) | instid1(VALU_DEP_1)
	v_cndmask_b32_e64 v46, 0, v46, s0
	v_cmp_gt_i32_e64 s0, s36, v31
	s_wait_alu 0xf1ff
	v_cndmask_b32_e64 v42, 0, v42, s0
	v_cmp_gt_i32_e64 s0, s36, v30
	s_delay_alu instid0(VALU_DEP_2) | instskip(SKIP_1) | instid1(VALU_DEP_2)
	v_or_b32_e32 v48, v42, v46
	s_wait_alu 0xf1ff
	v_cndmask_b32_e64 v43, 0, v43, s0
	v_cmp_gt_i32_e64 s0, s36, v29
	s_wait_alu 0xf1ff
	s_delay_alu instid0(VALU_DEP_1) | instskip(NEXT) | instid1(VALU_DEP_1)
	v_cndmask_b32_e64 v9, 0, v9, s0
	v_or_b32_e32 v47, v9, v43
.LBB267_687:                            ;   in Loop: Header=BB267_554 Depth=1
	s_wait_alu 0xfffe
	s_or_b32 exec_lo, exec_lo, s18
	;;#ASMSTART
	v_pk_mul_f16 v1, v41, v49;

	;;#ASMEND
	;;#ASMSTART
	v_pk_mul_f16 v9, v40, v45;

	;;#ASMEND
	;; [unrolled: 4-line block ×4, first 2 shown]
	;;#ASMSTART
	v_pk_add_f16 v1, v1, v9;

	;;#ASMEND
	;;#ASMSTART
	v_pk_add_f16 v1, v1, v10;

	;;#ASMEND
	;; [unrolled: 4-line block ×3, first 2 shown]
	v_dual_mov_b32 v46, 0 :: v_dual_and_b32 v9, 0xffff, v1
	v_lshrrev_b32_e32 v1, 16, v1
	;;#ASMSTART
	v_cvt_f32_f16 v42, v9;
	;;#ASMEND
	;;#ASMSTART
	v_cvt_f32_f16 v43, v1;
	;;#ASMEND
	global_load_b64 v[9:10], v[7:8], off offset:512
	v_mov_b32_e32 v45, 0
	s_mov_b32 s18, exec_lo
	global_load_b32 v44, v45, s[10:11]
	s_wait_loadcnt 0x1
	v_and_b32_e32 v1, 0xff, v9
	s_delay_alu instid0(VALU_DEP_1)
	v_cmpx_ne_u16_e32 0, v1
	s_cbranch_execz .LBB267_695
; %bb.688:                              ;   in Loop: Header=BB267_554 Depth=1
	v_mov_b32_e32 v46, 0x8000
	s_mov_b32 s19, exec_lo
	v_cmpx_ne_u16_e32 0x80, v1
	s_cbranch_execz .LBB267_694
; %bb.689:                              ;   in Loop: Header=BB267_554 Depth=1
	v_and_b32_e32 v47, 0x7f, v9
	v_mov_b32_e32 v46, 0x7c01
	s_mov_b32 s21, exec_lo
	s_delay_alu instid0(VALU_DEP_2)
	v_cmpx_ne_u32_e32 0x7f, v47
	s_cbranch_execz .LBB267_693
; %bb.690:                              ;   in Loop: Header=BB267_554 Depth=1
	v_and_b32_e32 v1, 7, v9
	v_lshrrev_b32_e32 v46, 3, v47
	s_mov_b32 s22, exec_lo
	v_cmpx_gt_u32_e32 8, v47
; %bb.691:                              ;   in Loop: Header=BB267_554 Depth=1
	s_delay_alu instid0(VALU_DEP_3) | instskip(NEXT) | instid1(VALU_DEP_1)
	v_clz_i32_u32_e32 v1, v1
	v_min_u32_e32 v1, 32, v1
	s_delay_alu instid0(VALU_DEP_1) | instskip(NEXT) | instid1(VALU_DEP_1)
	v_subrev_nc_u32_e32 v46, 28, v1
	v_lshlrev_b64_e32 v[47:48], v46, v[9:10]
	v_sub_nc_u32_e32 v46, 29, v1
	s_delay_alu instid0(VALU_DEP_2)
	v_and_b32_e32 v1, 7, v47
; %bb.692:                              ;   in Loop: Header=BB267_554 Depth=1
	s_wait_alu 0xfffe
	s_or_b32 exec_lo, exec_lo, s22
	v_lshlrev_b32_e32 v47, 8, v9
	v_lshl_add_u32 v46, v46, 10, 0x2000
	v_lshlrev_b32_e32 v1, 7, v1
	s_delay_alu instid0(VALU_DEP_3) | instskip(NEXT) | instid1(VALU_DEP_3)
	v_and_b32_e32 v47, 0x8000, v47
	v_and_b32_e32 v46, 0xfc00, v46
	s_delay_alu instid0(VALU_DEP_1)
	v_or3_b32 v46, v47, v46, v1
.LBB267_693:                            ;   in Loop: Header=BB267_554 Depth=1
	s_wait_alu 0xfffe
	s_or_b32 exec_lo, exec_lo, s21
.LBB267_694:                            ;   in Loop: Header=BB267_554 Depth=1
	s_wait_alu 0xfffe
	s_or_b32 exec_lo, exec_lo, s19
.LBB267_695:                            ;   in Loop: Header=BB267_554 Depth=1
	s_wait_alu 0xfffe
	s_or_b32 exec_lo, exec_lo, s18
	v_lshrrev_b16 v1, 8, v9
	s_mov_b32 s18, exec_lo
	s_delay_alu instid0(VALU_DEP_1)
	v_cmpx_ne_u16_e32 0, v1
	s_cbranch_execz .LBB267_703
; %bb.696:                              ;   in Loop: Header=BB267_554 Depth=1
	v_bfrev_b32_e32 v45, 1
	s_mov_b32 s19, exec_lo
	v_cmpx_ne_u16_e32 0x80, v1
	s_cbranch_execz .LBB267_702
; %bb.697:                              ;   in Loop: Header=BB267_554 Depth=1
	v_and_b32_e32 v47, 0xffff, v1
	v_mov_b32_e32 v45, 0x7c010000
	s_mov_b32 s21, exec_lo
	s_delay_alu instid0(VALU_DEP_2) | instskip(NEXT) | instid1(VALU_DEP_1)
	v_and_b32_e32 v49, 0x7f, v47
	v_cmpx_ne_u32_e32 0x7f, v49
	s_cbranch_execz .LBB267_701
; %bb.698:                              ;   in Loop: Header=BB267_554 Depth=1
	v_and_b32_e32 v45, 7, v47
	v_lshrrev_b32_e32 v48, 3, v49
	s_mov_b32 s22, exec_lo
	v_cmpx_gt_u32_e32 8, v49
; %bb.699:                              ;   in Loop: Header=BB267_554 Depth=1
	s_delay_alu instid0(VALU_DEP_3) | instskip(NEXT) | instid1(VALU_DEP_1)
	v_clz_i32_u32_e32 v45, v45
	v_min_u32_e32 v45, 32, v45
	s_delay_alu instid0(VALU_DEP_1) | instskip(NEXT) | instid1(VALU_DEP_1)
	v_subrev_nc_u32_e32 v48, 28, v45
	v_lshlrev_b64_e32 v[49:50], v48, v[1:2]
	v_sub_nc_u32_e32 v48, 29, v45
	s_delay_alu instid0(VALU_DEP_2)
	v_and_b32_e32 v45, 7, v49
; %bb.700:                              ;   in Loop: Header=BB267_554 Depth=1
	s_wait_alu 0xfffe
	s_or_b32 exec_lo, exec_lo, s22
	v_lshlrev_b32_e32 v1, 8, v47
	v_lshl_add_u32 v47, v48, 10, 0x2000
	v_lshlrev_b32_e32 v45, 23, v45
	s_delay_alu instid0(VALU_DEP_2) | instskip(NEXT) | instid1(VALU_DEP_1)
	v_and_or_b32 v1, 0x8000, v1, v47
	v_lshl_or_b32 v45, v1, 16, v45
.LBB267_701:                            ;   in Loop: Header=BB267_554 Depth=1
	s_wait_alu 0xfffe
	s_or_b32 exec_lo, exec_lo, s21
.LBB267_702:                            ;   in Loop: Header=BB267_554 Depth=1
	s_wait_alu 0xfffe
	s_or_b32 exec_lo, exec_lo, s19
.LBB267_703:                            ;   in Loop: Header=BB267_554 Depth=1
	s_wait_alu 0xfffe
	s_or_b32 exec_lo, exec_lo, s18
	v_lshrrev_b32_e32 v1, 16, v9
	v_mov_b32_e32 v47, 0
	s_mov_b32 s18, exec_lo
	s_delay_alu instid0(VALU_DEP_2) | instskip(NEXT) | instid1(VALU_DEP_1)
	v_dual_mov_b32 v48, 0 :: v_dual_and_b32 v49, 0xff, v1
	v_cmpx_ne_u16_e32 0, v49
	s_cbranch_execz .LBB267_711
; %bb.704:                              ;   in Loop: Header=BB267_554 Depth=1
	v_mov_b32_e32 v48, 0x8000
	s_mov_b32 s19, exec_lo
	v_cmpx_ne_u16_e32 0x80, v49
	s_cbranch_execz .LBB267_710
; %bb.705:                              ;   in Loop: Header=BB267_554 Depth=1
	v_bfe_u32 v50, v9, 16, 7
	v_mov_b32_e32 v48, 0x7c01
	s_mov_b32 s21, exec_lo
	s_delay_alu instid0(VALU_DEP_2)
	v_cmpx_ne_u32_e32 0x7f, v50
	s_cbranch_execz .LBB267_709
; %bb.706:                              ;   in Loop: Header=BB267_554 Depth=1
	v_and_b32_e32 v48, 7, v1
	v_lshrrev_b32_e32 v49, 3, v50
	s_mov_b32 s22, exec_lo
	v_cmpx_gt_u32_e32 8, v50
; %bb.707:                              ;   in Loop: Header=BB267_554 Depth=1
	s_delay_alu instid0(VALU_DEP_3) | instskip(NEXT) | instid1(VALU_DEP_1)
	v_clz_i32_u32_e32 v48, v48
	v_min_u32_e32 v50, 32, v48
	s_delay_alu instid0(VALU_DEP_1) | instskip(NEXT) | instid1(VALU_DEP_1)
	v_subrev_nc_u32_e32 v48, 28, v50
	v_lshlrev_b64_e32 v[48:49], v48, v[1:2]
	v_sub_nc_u32_e32 v49, 29, v50
	s_delay_alu instid0(VALU_DEP_2)
	v_and_b32_e32 v48, 7, v48
; %bb.708:                              ;   in Loop: Header=BB267_554 Depth=1
	s_wait_alu 0xfffe
	s_or_b32 exec_lo, exec_lo, s22
	v_lshlrev_b32_e32 v1, 8, v1
	v_lshl_add_u32 v49, v49, 10, 0x2000
	v_lshlrev_b32_e32 v48, 7, v48
	s_delay_alu instid0(VALU_DEP_3) | instskip(NEXT) | instid1(VALU_DEP_3)
	v_and_b32_e32 v1, 0x8000, v1
	v_and_b32_e32 v49, 0xfc00, v49
	s_delay_alu instid0(VALU_DEP_1)
	v_or3_b32 v48, v1, v49, v48
.LBB267_709:                            ;   in Loop: Header=BB267_554 Depth=1
	s_wait_alu 0xfffe
	s_or_b32 exec_lo, exec_lo, s21
.LBB267_710:                            ;   in Loop: Header=BB267_554 Depth=1
	s_wait_alu 0xfffe
	s_or_b32 exec_lo, exec_lo, s19
.LBB267_711:                            ;   in Loop: Header=BB267_554 Depth=1
	s_wait_alu 0xfffe
	s_or_b32 exec_lo, exec_lo, s18
	s_delay_alu instid0(SALU_CYCLE_1)
	s_mov_b32 s18, exec_lo
	v_cmpx_lt_u32_e32 0xffffff, v9
	s_cbranch_execz .LBB267_719
; %bb.712:                              ;   in Loop: Header=BB267_554 Depth=1
	v_lshrrev_b32_e32 v1, 24, v9
	v_bfrev_b32_e32 v47, 1
	s_mov_b32 s19, exec_lo
	s_delay_alu instid0(VALU_DEP_2)
	v_cmpx_ne_u32_e32 0x80, v1
	s_cbranch_execz .LBB267_718
; %bb.713:                              ;   in Loop: Header=BB267_554 Depth=1
	v_and_b32_e32 v50, 0x7f, v1
	v_mov_b32_e32 v47, 0x7c010000
	s_mov_b32 s21, exec_lo
	s_delay_alu instid0(VALU_DEP_2)
	v_cmpx_ne_u32_e32 0x7f, v50
	s_cbranch_execz .LBB267_717
; %bb.714:                              ;   in Loop: Header=BB267_554 Depth=1
	v_and_b32_e32 v47, 7, v1
	v_lshrrev_b32_e32 v49, 3, v50
	s_mov_b32 s22, exec_lo
	v_cmpx_gt_u32_e32 8, v50
; %bb.715:                              ;   in Loop: Header=BB267_554 Depth=1
	s_delay_alu instid0(VALU_DEP_3) | instskip(NEXT) | instid1(VALU_DEP_1)
	v_clz_i32_u32_e32 v47, v47
	v_min_u32_e32 v47, 32, v47
	s_delay_alu instid0(VALU_DEP_1) | instskip(NEXT) | instid1(VALU_DEP_1)
	v_subrev_nc_u32_e32 v49, 28, v47
	v_lshlrev_b64_e32 v[50:51], v49, v[1:2]
	v_sub_nc_u32_e32 v49, 29, v47
	s_delay_alu instid0(VALU_DEP_2)
	v_and_b32_e32 v47, 7, v50
; %bb.716:                              ;   in Loop: Header=BB267_554 Depth=1
	s_wait_alu 0xfffe
	s_or_b32 exec_lo, exec_lo, s22
	v_lshlrev_b32_e32 v1, 8, v1
	v_lshl_add_u32 v49, v49, 10, 0x2000
	v_lshlrev_b32_e32 v47, 23, v47
	s_delay_alu instid0(VALU_DEP_2) | instskip(NEXT) | instid1(VALU_DEP_1)
	v_and_or_b32 v1, 0x8000, v1, v49
	v_lshl_or_b32 v47, v1, 16, v47
.LBB267_717:                            ;   in Loop: Header=BB267_554 Depth=1
	s_wait_alu 0xfffe
	s_or_b32 exec_lo, exec_lo, s21
.LBB267_718:                            ;   in Loop: Header=BB267_554 Depth=1
	s_wait_alu 0xfffe
	s_or_b32 exec_lo, exec_lo, s19
.LBB267_719:                            ;   in Loop: Header=BB267_554 Depth=1
	s_wait_alu 0xfffe
	s_or_b32 exec_lo, exec_lo, s18
	v_dual_mov_b32 v50, 0 :: v_dual_and_b32 v51, 0xff, v10
	v_mov_b32_e32 v1, v10
	v_mov_b32_e32 v49, 0
	s_mov_b32 s18, exec_lo
	s_delay_alu instid0(VALU_DEP_3)
	v_cmpx_ne_u16_e32 0, v51
	s_cbranch_execz .LBB267_727
; %bb.720:                              ;   in Loop: Header=BB267_554 Depth=1
	v_mov_b32_e32 v50, 0x8000
	s_mov_b32 s19, exec_lo
	v_cmpx_ne_u16_e32 0x80, v51
	s_cbranch_execz .LBB267_726
; %bb.721:                              ;   in Loop: Header=BB267_554 Depth=1
	v_and_b32_e32 v52, 0x7f, v10
	v_mov_b32_e32 v50, 0x7c01
	s_mov_b32 s21, exec_lo
	s_delay_alu instid0(VALU_DEP_2)
	v_cmpx_ne_u32_e32 0x7f, v52
	s_cbranch_execz .LBB267_725
; %bb.722:                              ;   in Loop: Header=BB267_554 Depth=1
	v_and_b32_e32 v50, 7, v10
	v_lshrrev_b32_e32 v51, 3, v52
	s_mov_b32 s22, exec_lo
	v_cmpx_gt_u32_e32 8, v52
; %bb.723:                              ;   in Loop: Header=BB267_554 Depth=1
	s_delay_alu instid0(VALU_DEP_3) | instskip(NEXT) | instid1(VALU_DEP_1)
	v_clz_i32_u32_e32 v50, v50
	v_min_u32_e32 v52, 32, v50
	s_delay_alu instid0(VALU_DEP_1) | instskip(NEXT) | instid1(VALU_DEP_1)
	v_subrev_nc_u32_e32 v50, 28, v52
	v_lshlrev_b64_e32 v[50:51], v50, v[1:2]
	v_sub_nc_u32_e32 v51, 29, v52
	s_delay_alu instid0(VALU_DEP_2)
	v_and_b32_e32 v50, 7, v50
; %bb.724:                              ;   in Loop: Header=BB267_554 Depth=1
	s_wait_alu 0xfffe
	s_or_b32 exec_lo, exec_lo, s22
	v_lshlrev_b32_e32 v52, 8, v10
	v_lshl_add_u32 v51, v51, 10, 0x2000
	v_lshlrev_b32_e32 v50, 7, v50
	s_delay_alu instid0(VALU_DEP_3) | instskip(NEXT) | instid1(VALU_DEP_3)
	v_and_b32_e32 v52, 0x8000, v52
	v_and_b32_e32 v51, 0xfc00, v51
	s_delay_alu instid0(VALU_DEP_1)
	v_or3_b32 v50, v52, v51, v50
.LBB267_725:                            ;   in Loop: Header=BB267_554 Depth=1
	s_wait_alu 0xfffe
	s_or_b32 exec_lo, exec_lo, s21
.LBB267_726:                            ;   in Loop: Header=BB267_554 Depth=1
	s_wait_alu 0xfffe
	s_or_b32 exec_lo, exec_lo, s19
.LBB267_727:                            ;   in Loop: Header=BB267_554 Depth=1
	s_wait_alu 0xfffe
	s_or_b32 exec_lo, exec_lo, s18
	v_lshrrev_b16 v1, 8, v1
	v_mov_b32_e32 v51, 0
	s_mov_b32 s18, exec_lo
	s_delay_alu instid0(VALU_DEP_2)
	v_cmpx_ne_u16_e32 0, v1
	s_cbranch_execz .LBB267_735
; %bb.728:                              ;   in Loop: Header=BB267_554 Depth=1
	v_bfrev_b32_e32 v51, 1
	s_mov_b32 s19, exec_lo
	v_cmpx_ne_u16_e32 0x80, v1
	s_cbranch_execz .LBB267_734
; %bb.729:                              ;   in Loop: Header=BB267_554 Depth=1
	v_and_b32_e32 v52, 0xffff, v1
	v_mov_b32_e32 v51, 0x7c010000
	s_mov_b32 s21, exec_lo
	s_delay_alu instid0(VALU_DEP_2) | instskip(NEXT) | instid1(VALU_DEP_1)
	v_and_b32_e32 v54, 0x7f, v52
	v_cmpx_ne_u32_e32 0x7f, v54
	s_cbranch_execz .LBB267_733
; %bb.730:                              ;   in Loop: Header=BB267_554 Depth=1
	v_and_b32_e32 v51, 7, v52
	v_lshrrev_b32_e32 v53, 3, v54
	s_mov_b32 s22, exec_lo
	v_cmpx_gt_u32_e32 8, v54
; %bb.731:                              ;   in Loop: Header=BB267_554 Depth=1
	s_delay_alu instid0(VALU_DEP_3) | instskip(NEXT) | instid1(VALU_DEP_1)
	v_clz_i32_u32_e32 v51, v51
	v_min_u32_e32 v51, 32, v51
	s_delay_alu instid0(VALU_DEP_1) | instskip(NEXT) | instid1(VALU_DEP_1)
	v_subrev_nc_u32_e32 v53, 28, v51
	v_lshlrev_b64_e32 v[54:55], v53, v[1:2]
	v_sub_nc_u32_e32 v53, 29, v51
	s_delay_alu instid0(VALU_DEP_2)
	v_and_b32_e32 v51, 7, v54
; %bb.732:                              ;   in Loop: Header=BB267_554 Depth=1
	s_wait_alu 0xfffe
	s_or_b32 exec_lo, exec_lo, s22
	v_lshlrev_b32_e32 v1, 8, v52
	v_lshl_add_u32 v52, v53, 10, 0x2000
	v_lshlrev_b32_e32 v51, 23, v51
	s_delay_alu instid0(VALU_DEP_2) | instskip(NEXT) | instid1(VALU_DEP_1)
	v_and_or_b32 v1, 0x8000, v1, v52
	v_lshl_or_b32 v51, v1, 16, v51
.LBB267_733:                            ;   in Loop: Header=BB267_554 Depth=1
	s_wait_alu 0xfffe
	s_or_b32 exec_lo, exec_lo, s21
.LBB267_734:                            ;   in Loop: Header=BB267_554 Depth=1
	s_wait_alu 0xfffe
	s_or_b32 exec_lo, exec_lo, s19
.LBB267_735:                            ;   in Loop: Header=BB267_554 Depth=1
	s_wait_alu 0xfffe
	s_or_b32 exec_lo, exec_lo, s18
	v_lshrrev_b32_e32 v1, 16, v10
	s_mov_b32 s18, exec_lo
	s_delay_alu instid0(VALU_DEP_1) | instskip(NEXT) | instid1(VALU_DEP_1)
	v_and_b32_e32 v52, 0xff, v1
	v_cmpx_ne_u16_e32 0, v52
	s_cbranch_execz .LBB267_743
; %bb.736:                              ;   in Loop: Header=BB267_554 Depth=1
	v_mov_b32_e32 v49, 0x8000
	s_mov_b32 s19, exec_lo
	v_cmpx_ne_u16_e32 0x80, v52
	s_cbranch_execz .LBB267_742
; %bb.737:                              ;   in Loop: Header=BB267_554 Depth=1
	v_bfe_u32 v53, v10, 16, 7
	v_mov_b32_e32 v49, 0x7c01
	s_mov_b32 s21, exec_lo
	s_delay_alu instid0(VALU_DEP_2)
	v_cmpx_ne_u32_e32 0x7f, v53
	s_cbranch_execz .LBB267_741
; %bb.738:                              ;   in Loop: Header=BB267_554 Depth=1
	v_and_b32_e32 v49, 7, v1
	v_lshrrev_b32_e32 v52, 3, v53
	s_mov_b32 s22, exec_lo
	v_cmpx_gt_u32_e32 8, v53
; %bb.739:                              ;   in Loop: Header=BB267_554 Depth=1
	s_delay_alu instid0(VALU_DEP_3) | instskip(NEXT) | instid1(VALU_DEP_1)
	v_clz_i32_u32_e32 v49, v49
	v_min_u32_e32 v49, 32, v49
	s_delay_alu instid0(VALU_DEP_1) | instskip(NEXT) | instid1(VALU_DEP_1)
	v_subrev_nc_u32_e32 v52, 28, v49
	v_lshlrev_b64_e32 v[53:54], v52, v[1:2]
	v_sub_nc_u32_e32 v52, 29, v49
	s_delay_alu instid0(VALU_DEP_2)
	v_and_b32_e32 v49, 7, v53
; %bb.740:                              ;   in Loop: Header=BB267_554 Depth=1
	s_wait_alu 0xfffe
	s_or_b32 exec_lo, exec_lo, s22
	v_lshlrev_b32_e32 v1, 8, v1
	v_lshl_add_u32 v52, v52, 10, 0x2000
	v_lshlrev_b32_e32 v49, 7, v49
	s_delay_alu instid0(VALU_DEP_3) | instskip(NEXT) | instid1(VALU_DEP_3)
	v_and_b32_e32 v1, 0x8000, v1
	v_and_b32_e32 v52, 0xfc00, v52
	s_delay_alu instid0(VALU_DEP_1)
	v_or3_b32 v49, v1, v52, v49
.LBB267_741:                            ;   in Loop: Header=BB267_554 Depth=1
	s_wait_alu 0xfffe
	s_or_b32 exec_lo, exec_lo, s21
.LBB267_742:                            ;   in Loop: Header=BB267_554 Depth=1
	s_wait_alu 0xfffe
	s_or_b32 exec_lo, exec_lo, s19
.LBB267_743:                            ;   in Loop: Header=BB267_554 Depth=1
	s_wait_alu 0xfffe
	s_or_b32 exec_lo, exec_lo, s18
	v_cmp_lt_u64_e64 s0, s[8:9], v[9:10]
	v_mov_b32_e32 v9, 0
	s_and_saveexec_b32 s18, s0
	s_cbranch_execz .LBB267_751
; %bb.744:                              ;   in Loop: Header=BB267_554 Depth=1
	v_lshrrev_b32_e32 v1, 24, v10
	v_bfrev_b32_e32 v9, 1
	s_mov_b32 s19, exec_lo
	s_delay_alu instid0(VALU_DEP_2)
	v_cmpx_ne_u32_e32 0x80, v1
	s_cbranch_execz .LBB267_750
; %bb.745:                              ;   in Loop: Header=BB267_554 Depth=1
	v_and_b32_e32 v52, 0x7f, v1
	v_mov_b32_e32 v9, 0x7c010000
	s_mov_b32 s21, exec_lo
	s_delay_alu instid0(VALU_DEP_2)
	v_cmpx_ne_u32_e32 0x7f, v52
	s_cbranch_execz .LBB267_749
; %bb.746:                              ;   in Loop: Header=BB267_554 Depth=1
	v_and_b32_e32 v9, 7, v1
	v_lshrrev_b32_e32 v10, 3, v52
	s_mov_b32 s22, exec_lo
	v_cmpx_gt_u32_e32 8, v52
; %bb.747:                              ;   in Loop: Header=BB267_554 Depth=1
	s_delay_alu instid0(VALU_DEP_3) | instskip(NEXT) | instid1(VALU_DEP_1)
	v_clz_i32_u32_e32 v9, v9
	v_min_u32_e32 v52, 32, v9
	s_delay_alu instid0(VALU_DEP_1) | instskip(NEXT) | instid1(VALU_DEP_1)
	v_subrev_nc_u32_e32 v9, 28, v52
	v_lshlrev_b64_e32 v[9:10], v9, v[1:2]
	v_sub_nc_u32_e32 v10, 29, v52
	s_delay_alu instid0(VALU_DEP_2)
	v_and_b32_e32 v9, 7, v9
; %bb.748:                              ;   in Loop: Header=BB267_554 Depth=1
	s_wait_alu 0xfffe
	s_or_b32 exec_lo, exec_lo, s22
	v_lshlrev_b32_e32 v1, 8, v1
	v_lshl_add_u32 v10, v10, 10, 0x2000
	v_lshlrev_b32_e32 v9, 23, v9
	s_delay_alu instid0(VALU_DEP_2) | instskip(NEXT) | instid1(VALU_DEP_1)
	v_and_or_b32 v1, 0x8000, v1, v10
	v_lshl_or_b32 v9, v1, 16, v9
.LBB267_749:                            ;   in Loop: Header=BB267_554 Depth=1
	s_wait_alu 0xfffe
	s_or_b32 exec_lo, exec_lo, s21
.LBB267_750:                            ;   in Loop: Header=BB267_554 Depth=1
	s_wait_alu 0xfffe
	s_or_b32 exec_lo, exec_lo, s19
.LBB267_751:                            ;   in Loop: Header=BB267_554 Depth=1
	s_wait_alu 0xfffe
	s_or_b32 exec_lo, exec_lo, s18
	v_or_b32_e32 v1, v47, v48
	s_wait_loadcnt 0x0
	v_fma_mixlo_f16 v10, v44, v47, 0 op_sel:[0,1,0] op_sel_hi:[0,1,0]
	v_or_b32_e32 v47, v45, v46
	v_fma_mixlo_f16 v45, v44, v45, 0 op_sel:[0,1,0] op_sel_hi:[0,1,0]
	v_or_b32_e32 v48, v51, v50
	v_or_b32_e32 v49, v9, v49
	v_fma_mixlo_f16 v50, v44, v1, 0 op_sel_hi:[0,1,0]
	v_fma_mixlo_f16 v9, v44, v9, 0 op_sel:[0,1,0] op_sel_hi:[0,1,0]
	v_lshlrev_b32_e32 v46, 16, v45
	v_fma_mixlo_f16 v45, v44, v47, 0 op_sel_hi:[0,1,0]
	v_fma_mixlo_f16 v47, v44, v51, 0 op_sel:[0,1,0] op_sel_hi:[0,1,0]
	v_fma_mixlo_f16 v48, v44, v48, 0 op_sel_hi:[0,1,0]
	v_fma_mixlo_f16 v49, v44, v49, 0 op_sel_hi:[0,1,0]
	v_lshlrev_b32_e32 v1, 16, v10
	v_and_b32_e32 v10, 0xffff, v50
	v_and_b32_e32 v52, 0xffff, v45
	v_lshlrev_b32_e32 v44, 16, v47
	v_and_b32_e32 v48, 0xffff, v48
	v_lshlrev_b32_e32 v9, 16, v9
	v_and_b32_e32 v45, 0xffff, v49
	v_or_b32_e32 v47, v1, v10
	v_or_b32_e32 v51, v46, v52
	v_or_b32_e32 v50, v44, v48
	s_delay_alu instid0(VALU_DEP_4)
	v_or_b32_e32 v49, v9, v45
	s_and_saveexec_b32 s18, vcc_lo
	s_cbranch_execz .LBB267_753
; %bb.752:                              ;   in Loop: Header=BB267_554 Depth=1
	v_cmp_gt_i32_e64 s0, s36, v28
	s_wait_alu 0xf1ff
	s_delay_alu instid0(VALU_DEP_1) | instskip(SKIP_2) | instid1(VALU_DEP_1)
	v_cndmask_b32_e64 v47, 0, v52, s0
	v_cmp_gt_i32_e64 s0, s36, v36
	s_wait_alu 0xf1ff
	v_cndmask_b32_e64 v46, 0, v46, s0
	v_cmp_gt_i32_e64 s0, s36, v34
	s_delay_alu instid0(VALU_DEP_2) | instskip(SKIP_1) | instid1(VALU_DEP_2)
	v_or_b32_e32 v51, v46, v47
	s_wait_alu 0xf1ff
	v_cndmask_b32_e64 v10, 0, v10, s0
	v_cmp_gt_i32_e64 s0, s36, v33
	s_wait_alu 0xf1ff
	s_delay_alu instid0(VALU_DEP_1) | instskip(SKIP_1) | instid1(VALU_DEP_2)
	v_cndmask_b32_e64 v1, 0, v1, s0
	v_cmp_gt_i32_e64 s0, s36, v32
	v_or_b32_e32 v47, v1, v10
	s_wait_alu 0xf1ff
	s_delay_alu instid0(VALU_DEP_2) | instskip(SKIP_2) | instid1(VALU_DEP_1)
	v_cndmask_b32_e64 v48, 0, v48, s0
	v_cmp_gt_i32_e64 s0, s36, v31
	s_wait_alu 0xf1ff
	v_cndmask_b32_e64 v44, 0, v44, s0
	v_cmp_gt_i32_e64 s0, s36, v30
	s_delay_alu instid0(VALU_DEP_2) | instskip(SKIP_1) | instid1(VALU_DEP_2)
	v_or_b32_e32 v50, v44, v48
	s_wait_alu 0xf1ff
	v_cndmask_b32_e64 v45, 0, v45, s0
	v_cmp_gt_i32_e64 s0, s36, v29
	s_wait_alu 0xf1ff
	s_delay_alu instid0(VALU_DEP_1) | instskip(NEXT) | instid1(VALU_DEP_1)
	v_cndmask_b32_e64 v9, 0, v9, s0
	v_or_b32_e32 v49, v9, v45
.LBB267_753:                            ;   in Loop: Header=BB267_554 Depth=1
	s_wait_alu 0xfffe
	s_or_b32 exec_lo, exec_lo, s18
	;;#ASMSTART
	v_pk_mul_f16 v1, v41, v51;

	;;#ASMEND
	;;#ASMSTART
	v_pk_mul_f16 v9, v40, v47;

	;;#ASMEND
	;; [unrolled: 4-line block ×4, first 2 shown]
	;;#ASMSTART
	v_pk_add_f16 v1, v1, v9;

	;;#ASMEND
	;;#ASMSTART
	v_pk_add_f16 v1, v1, v10;

	;;#ASMEND
	;; [unrolled: 4-line block ×3, first 2 shown]
	v_dual_mov_b32 v48, 0 :: v_dual_and_b32 v9, 0xffff, v1
	v_lshrrev_b32_e32 v1, 16, v1
	;;#ASMSTART
	v_cvt_f32_f16 v44, v9;
	;;#ASMEND
	;;#ASMSTART
	v_cvt_f32_f16 v45, v1;
	;;#ASMEND
	global_load_b64 v[9:10], v[7:8], off offset:768
	v_mov_b32_e32 v47, 0
	s_mov_b32 s18, exec_lo
	global_load_b32 v46, v47, s[10:11]
	s_wait_loadcnt 0x1
	v_and_b32_e32 v1, 0xff, v9
	s_delay_alu instid0(VALU_DEP_1)
	v_cmpx_ne_u16_e32 0, v1
	s_cbranch_execz .LBB267_761
; %bb.754:                              ;   in Loop: Header=BB267_554 Depth=1
	v_mov_b32_e32 v48, 0x8000
	s_mov_b32 s19, exec_lo
	v_cmpx_ne_u16_e32 0x80, v1
	s_cbranch_execz .LBB267_760
; %bb.755:                              ;   in Loop: Header=BB267_554 Depth=1
	v_and_b32_e32 v49, 0x7f, v9
	v_mov_b32_e32 v48, 0x7c01
	s_mov_b32 s21, exec_lo
	s_delay_alu instid0(VALU_DEP_2)
	v_cmpx_ne_u32_e32 0x7f, v49
	s_cbranch_execz .LBB267_759
; %bb.756:                              ;   in Loop: Header=BB267_554 Depth=1
	v_and_b32_e32 v1, 7, v9
	v_lshrrev_b32_e32 v48, 3, v49
	s_mov_b32 s22, exec_lo
	v_cmpx_gt_u32_e32 8, v49
; %bb.757:                              ;   in Loop: Header=BB267_554 Depth=1
	s_delay_alu instid0(VALU_DEP_3) | instskip(NEXT) | instid1(VALU_DEP_1)
	v_clz_i32_u32_e32 v1, v1
	v_min_u32_e32 v1, 32, v1
	s_delay_alu instid0(VALU_DEP_1) | instskip(NEXT) | instid1(VALU_DEP_1)
	v_subrev_nc_u32_e32 v48, 28, v1
	v_lshlrev_b64_e32 v[49:50], v48, v[9:10]
	v_sub_nc_u32_e32 v48, 29, v1
	s_delay_alu instid0(VALU_DEP_2)
	v_and_b32_e32 v1, 7, v49
; %bb.758:                              ;   in Loop: Header=BB267_554 Depth=1
	s_wait_alu 0xfffe
	s_or_b32 exec_lo, exec_lo, s22
	v_lshlrev_b32_e32 v49, 8, v9
	v_lshl_add_u32 v48, v48, 10, 0x2000
	v_lshlrev_b32_e32 v1, 7, v1
	s_delay_alu instid0(VALU_DEP_3) | instskip(NEXT) | instid1(VALU_DEP_3)
	v_and_b32_e32 v49, 0x8000, v49
	v_and_b32_e32 v48, 0xfc00, v48
	s_delay_alu instid0(VALU_DEP_1)
	v_or3_b32 v48, v49, v48, v1
.LBB267_759:                            ;   in Loop: Header=BB267_554 Depth=1
	s_wait_alu 0xfffe
	s_or_b32 exec_lo, exec_lo, s21
.LBB267_760:                            ;   in Loop: Header=BB267_554 Depth=1
	s_wait_alu 0xfffe
	s_or_b32 exec_lo, exec_lo, s19
.LBB267_761:                            ;   in Loop: Header=BB267_554 Depth=1
	s_wait_alu 0xfffe
	s_or_b32 exec_lo, exec_lo, s18
	v_lshrrev_b16 v1, 8, v9
	s_mov_b32 s18, exec_lo
	s_delay_alu instid0(VALU_DEP_1)
	v_cmpx_ne_u16_e32 0, v1
	s_cbranch_execz .LBB267_769
; %bb.762:                              ;   in Loop: Header=BB267_554 Depth=1
	v_bfrev_b32_e32 v47, 1
	s_mov_b32 s19, exec_lo
	v_cmpx_ne_u16_e32 0x80, v1
	s_cbranch_execz .LBB267_768
; %bb.763:                              ;   in Loop: Header=BB267_554 Depth=1
	v_and_b32_e32 v49, 0xffff, v1
	v_mov_b32_e32 v47, 0x7c010000
	s_mov_b32 s21, exec_lo
	s_delay_alu instid0(VALU_DEP_2) | instskip(NEXT) | instid1(VALU_DEP_1)
	v_and_b32_e32 v51, 0x7f, v49
	v_cmpx_ne_u32_e32 0x7f, v51
	s_cbranch_execz .LBB267_767
; %bb.764:                              ;   in Loop: Header=BB267_554 Depth=1
	v_and_b32_e32 v47, 7, v49
	v_lshrrev_b32_e32 v50, 3, v51
	s_mov_b32 s22, exec_lo
	v_cmpx_gt_u32_e32 8, v51
; %bb.765:                              ;   in Loop: Header=BB267_554 Depth=1
	s_delay_alu instid0(VALU_DEP_3) | instskip(NEXT) | instid1(VALU_DEP_1)
	v_clz_i32_u32_e32 v47, v47
	v_min_u32_e32 v47, 32, v47
	s_delay_alu instid0(VALU_DEP_1) | instskip(NEXT) | instid1(VALU_DEP_1)
	v_subrev_nc_u32_e32 v50, 28, v47
	v_lshlrev_b64_e32 v[51:52], v50, v[1:2]
	v_sub_nc_u32_e32 v50, 29, v47
	s_delay_alu instid0(VALU_DEP_2)
	v_and_b32_e32 v47, 7, v51
; %bb.766:                              ;   in Loop: Header=BB267_554 Depth=1
	s_wait_alu 0xfffe
	s_or_b32 exec_lo, exec_lo, s22
	v_lshlrev_b32_e32 v1, 8, v49
	v_lshl_add_u32 v49, v50, 10, 0x2000
	v_lshlrev_b32_e32 v47, 23, v47
	s_delay_alu instid0(VALU_DEP_2) | instskip(NEXT) | instid1(VALU_DEP_1)
	v_and_or_b32 v1, 0x8000, v1, v49
	v_lshl_or_b32 v47, v1, 16, v47
.LBB267_767:                            ;   in Loop: Header=BB267_554 Depth=1
	s_wait_alu 0xfffe
	s_or_b32 exec_lo, exec_lo, s21
.LBB267_768:                            ;   in Loop: Header=BB267_554 Depth=1
	s_wait_alu 0xfffe
	s_or_b32 exec_lo, exec_lo, s19
.LBB267_769:                            ;   in Loop: Header=BB267_554 Depth=1
	s_wait_alu 0xfffe
	s_or_b32 exec_lo, exec_lo, s18
	v_lshrrev_b32_e32 v1, 16, v9
	v_mov_b32_e32 v49, 0
	s_mov_b32 s18, exec_lo
	s_delay_alu instid0(VALU_DEP_2) | instskip(NEXT) | instid1(VALU_DEP_1)
	v_dual_mov_b32 v50, 0 :: v_dual_and_b32 v51, 0xff, v1
	v_cmpx_ne_u16_e32 0, v51
	s_cbranch_execz .LBB267_777
; %bb.770:                              ;   in Loop: Header=BB267_554 Depth=1
	v_mov_b32_e32 v50, 0x8000
	s_mov_b32 s19, exec_lo
	v_cmpx_ne_u16_e32 0x80, v51
	s_cbranch_execz .LBB267_776
; %bb.771:                              ;   in Loop: Header=BB267_554 Depth=1
	v_bfe_u32 v52, v9, 16, 7
	v_mov_b32_e32 v50, 0x7c01
	s_mov_b32 s21, exec_lo
	s_delay_alu instid0(VALU_DEP_2)
	v_cmpx_ne_u32_e32 0x7f, v52
	s_cbranch_execz .LBB267_775
; %bb.772:                              ;   in Loop: Header=BB267_554 Depth=1
	v_and_b32_e32 v50, 7, v1
	v_lshrrev_b32_e32 v51, 3, v52
	s_mov_b32 s22, exec_lo
	v_cmpx_gt_u32_e32 8, v52
; %bb.773:                              ;   in Loop: Header=BB267_554 Depth=1
	s_delay_alu instid0(VALU_DEP_3) | instskip(NEXT) | instid1(VALU_DEP_1)
	v_clz_i32_u32_e32 v50, v50
	v_min_u32_e32 v52, 32, v50
	s_delay_alu instid0(VALU_DEP_1) | instskip(NEXT) | instid1(VALU_DEP_1)
	v_subrev_nc_u32_e32 v50, 28, v52
	v_lshlrev_b64_e32 v[50:51], v50, v[1:2]
	v_sub_nc_u32_e32 v51, 29, v52
	s_delay_alu instid0(VALU_DEP_2)
	v_and_b32_e32 v50, 7, v50
; %bb.774:                              ;   in Loop: Header=BB267_554 Depth=1
	s_wait_alu 0xfffe
	s_or_b32 exec_lo, exec_lo, s22
	v_lshlrev_b32_e32 v1, 8, v1
	v_lshl_add_u32 v51, v51, 10, 0x2000
	v_lshlrev_b32_e32 v50, 7, v50
	s_delay_alu instid0(VALU_DEP_3) | instskip(NEXT) | instid1(VALU_DEP_3)
	v_and_b32_e32 v1, 0x8000, v1
	v_and_b32_e32 v51, 0xfc00, v51
	s_delay_alu instid0(VALU_DEP_1)
	v_or3_b32 v50, v1, v51, v50
.LBB267_775:                            ;   in Loop: Header=BB267_554 Depth=1
	s_wait_alu 0xfffe
	s_or_b32 exec_lo, exec_lo, s21
.LBB267_776:                            ;   in Loop: Header=BB267_554 Depth=1
	s_wait_alu 0xfffe
	s_or_b32 exec_lo, exec_lo, s19
.LBB267_777:                            ;   in Loop: Header=BB267_554 Depth=1
	s_wait_alu 0xfffe
	s_or_b32 exec_lo, exec_lo, s18
	s_delay_alu instid0(SALU_CYCLE_1)
	s_mov_b32 s18, exec_lo
	v_cmpx_lt_u32_e32 0xffffff, v9
	s_cbranch_execz .LBB267_785
; %bb.778:                              ;   in Loop: Header=BB267_554 Depth=1
	v_lshrrev_b32_e32 v1, 24, v9
	v_bfrev_b32_e32 v49, 1
	s_mov_b32 s19, exec_lo
	s_delay_alu instid0(VALU_DEP_2)
	v_cmpx_ne_u32_e32 0x80, v1
	s_cbranch_execz .LBB267_784
; %bb.779:                              ;   in Loop: Header=BB267_554 Depth=1
	v_and_b32_e32 v52, 0x7f, v1
	v_mov_b32_e32 v49, 0x7c010000
	s_mov_b32 s21, exec_lo
	s_delay_alu instid0(VALU_DEP_2)
	v_cmpx_ne_u32_e32 0x7f, v52
	s_cbranch_execz .LBB267_783
; %bb.780:                              ;   in Loop: Header=BB267_554 Depth=1
	v_and_b32_e32 v49, 7, v1
	v_lshrrev_b32_e32 v51, 3, v52
	s_mov_b32 s22, exec_lo
	v_cmpx_gt_u32_e32 8, v52
; %bb.781:                              ;   in Loop: Header=BB267_554 Depth=1
	s_delay_alu instid0(VALU_DEP_3) | instskip(NEXT) | instid1(VALU_DEP_1)
	v_clz_i32_u32_e32 v49, v49
	v_min_u32_e32 v49, 32, v49
	s_delay_alu instid0(VALU_DEP_1) | instskip(NEXT) | instid1(VALU_DEP_1)
	v_subrev_nc_u32_e32 v51, 28, v49
	v_lshlrev_b64_e32 v[52:53], v51, v[1:2]
	v_sub_nc_u32_e32 v51, 29, v49
	s_delay_alu instid0(VALU_DEP_2)
	v_and_b32_e32 v49, 7, v52
; %bb.782:                              ;   in Loop: Header=BB267_554 Depth=1
	s_wait_alu 0xfffe
	s_or_b32 exec_lo, exec_lo, s22
	v_lshlrev_b32_e32 v1, 8, v1
	v_lshl_add_u32 v51, v51, 10, 0x2000
	v_lshlrev_b32_e32 v49, 23, v49
	s_delay_alu instid0(VALU_DEP_2) | instskip(NEXT) | instid1(VALU_DEP_1)
	v_and_or_b32 v1, 0x8000, v1, v51
	v_lshl_or_b32 v49, v1, 16, v49
.LBB267_783:                            ;   in Loop: Header=BB267_554 Depth=1
	s_wait_alu 0xfffe
	s_or_b32 exec_lo, exec_lo, s21
.LBB267_784:                            ;   in Loop: Header=BB267_554 Depth=1
	s_wait_alu 0xfffe
	s_or_b32 exec_lo, exec_lo, s19
.LBB267_785:                            ;   in Loop: Header=BB267_554 Depth=1
	s_wait_alu 0xfffe
	s_or_b32 exec_lo, exec_lo, s18
	v_dual_mov_b32 v52, 0 :: v_dual_and_b32 v53, 0xff, v10
	v_mov_b32_e32 v1, v10
	v_mov_b32_e32 v51, 0
	s_mov_b32 s18, exec_lo
	s_delay_alu instid0(VALU_DEP_3)
	v_cmpx_ne_u16_e32 0, v53
	s_cbranch_execz .LBB267_793
; %bb.786:                              ;   in Loop: Header=BB267_554 Depth=1
	v_mov_b32_e32 v52, 0x8000
	s_mov_b32 s19, exec_lo
	v_cmpx_ne_u16_e32 0x80, v53
	s_cbranch_execz .LBB267_792
; %bb.787:                              ;   in Loop: Header=BB267_554 Depth=1
	v_and_b32_e32 v54, 0x7f, v10
	v_mov_b32_e32 v52, 0x7c01
	s_mov_b32 s21, exec_lo
	s_delay_alu instid0(VALU_DEP_2)
	v_cmpx_ne_u32_e32 0x7f, v54
	s_cbranch_execz .LBB267_791
; %bb.788:                              ;   in Loop: Header=BB267_554 Depth=1
	v_and_b32_e32 v52, 7, v10
	v_lshrrev_b32_e32 v53, 3, v54
	s_mov_b32 s22, exec_lo
	v_cmpx_gt_u32_e32 8, v54
; %bb.789:                              ;   in Loop: Header=BB267_554 Depth=1
	s_delay_alu instid0(VALU_DEP_3) | instskip(NEXT) | instid1(VALU_DEP_1)
	v_clz_i32_u32_e32 v52, v52
	v_min_u32_e32 v54, 32, v52
	s_delay_alu instid0(VALU_DEP_1) | instskip(NEXT) | instid1(VALU_DEP_1)
	v_subrev_nc_u32_e32 v52, 28, v54
	v_lshlrev_b64_e32 v[52:53], v52, v[1:2]
	v_sub_nc_u32_e32 v53, 29, v54
	s_delay_alu instid0(VALU_DEP_2)
	v_and_b32_e32 v52, 7, v52
; %bb.790:                              ;   in Loop: Header=BB267_554 Depth=1
	s_wait_alu 0xfffe
	s_or_b32 exec_lo, exec_lo, s22
	v_lshlrev_b32_e32 v54, 8, v10
	v_lshl_add_u32 v53, v53, 10, 0x2000
	v_lshlrev_b32_e32 v52, 7, v52
	s_delay_alu instid0(VALU_DEP_3) | instskip(NEXT) | instid1(VALU_DEP_3)
	v_and_b32_e32 v54, 0x8000, v54
	v_and_b32_e32 v53, 0xfc00, v53
	s_delay_alu instid0(VALU_DEP_1)
	v_or3_b32 v52, v54, v53, v52
.LBB267_791:                            ;   in Loop: Header=BB267_554 Depth=1
	s_wait_alu 0xfffe
	s_or_b32 exec_lo, exec_lo, s21
.LBB267_792:                            ;   in Loop: Header=BB267_554 Depth=1
	s_wait_alu 0xfffe
	s_or_b32 exec_lo, exec_lo, s19
.LBB267_793:                            ;   in Loop: Header=BB267_554 Depth=1
	s_wait_alu 0xfffe
	s_or_b32 exec_lo, exec_lo, s18
	v_lshrrev_b16 v1, 8, v1
	v_mov_b32_e32 v53, 0
	s_mov_b32 s18, exec_lo
	s_delay_alu instid0(VALU_DEP_2)
	v_cmpx_ne_u16_e32 0, v1
	s_cbranch_execz .LBB267_801
; %bb.794:                              ;   in Loop: Header=BB267_554 Depth=1
	v_bfrev_b32_e32 v53, 1
	s_mov_b32 s19, exec_lo
	v_cmpx_ne_u16_e32 0x80, v1
	s_cbranch_execz .LBB267_800
; %bb.795:                              ;   in Loop: Header=BB267_554 Depth=1
	v_and_b32_e32 v54, 0xffff, v1
	v_mov_b32_e32 v53, 0x7c010000
	s_mov_b32 s21, exec_lo
	s_delay_alu instid0(VALU_DEP_2) | instskip(NEXT) | instid1(VALU_DEP_1)
	v_and_b32_e32 v56, 0x7f, v54
	v_cmpx_ne_u32_e32 0x7f, v56
	s_cbranch_execz .LBB267_799
; %bb.796:                              ;   in Loop: Header=BB267_554 Depth=1
	v_and_b32_e32 v53, 7, v54
	v_lshrrev_b32_e32 v55, 3, v56
	s_mov_b32 s22, exec_lo
	v_cmpx_gt_u32_e32 8, v56
; %bb.797:                              ;   in Loop: Header=BB267_554 Depth=1
	s_delay_alu instid0(VALU_DEP_3) | instskip(NEXT) | instid1(VALU_DEP_1)
	v_clz_i32_u32_e32 v53, v53
	v_min_u32_e32 v53, 32, v53
	s_delay_alu instid0(VALU_DEP_1) | instskip(NEXT) | instid1(VALU_DEP_1)
	v_subrev_nc_u32_e32 v55, 28, v53
	v_lshlrev_b64_e32 v[56:57], v55, v[1:2]
	v_sub_nc_u32_e32 v55, 29, v53
	s_delay_alu instid0(VALU_DEP_2)
	v_and_b32_e32 v53, 7, v56
; %bb.798:                              ;   in Loop: Header=BB267_554 Depth=1
	s_wait_alu 0xfffe
	s_or_b32 exec_lo, exec_lo, s22
	v_lshlrev_b32_e32 v1, 8, v54
	v_lshl_add_u32 v54, v55, 10, 0x2000
	v_lshlrev_b32_e32 v53, 23, v53
	s_delay_alu instid0(VALU_DEP_2) | instskip(NEXT) | instid1(VALU_DEP_1)
	v_and_or_b32 v1, 0x8000, v1, v54
	v_lshl_or_b32 v53, v1, 16, v53
.LBB267_799:                            ;   in Loop: Header=BB267_554 Depth=1
	s_wait_alu 0xfffe
	s_or_b32 exec_lo, exec_lo, s21
.LBB267_800:                            ;   in Loop: Header=BB267_554 Depth=1
	s_wait_alu 0xfffe
	s_or_b32 exec_lo, exec_lo, s19
.LBB267_801:                            ;   in Loop: Header=BB267_554 Depth=1
	s_wait_alu 0xfffe
	s_or_b32 exec_lo, exec_lo, s18
	v_lshrrev_b32_e32 v1, 16, v10
	s_mov_b32 s18, exec_lo
	s_delay_alu instid0(VALU_DEP_1) | instskip(NEXT) | instid1(VALU_DEP_1)
	v_and_b32_e32 v54, 0xff, v1
	v_cmpx_ne_u16_e32 0, v54
	s_cbranch_execz .LBB267_809
; %bb.802:                              ;   in Loop: Header=BB267_554 Depth=1
	v_mov_b32_e32 v51, 0x8000
	s_mov_b32 s19, exec_lo
	v_cmpx_ne_u16_e32 0x80, v54
	s_cbranch_execz .LBB267_808
; %bb.803:                              ;   in Loop: Header=BB267_554 Depth=1
	v_bfe_u32 v55, v10, 16, 7
	v_mov_b32_e32 v51, 0x7c01
	s_mov_b32 s21, exec_lo
	s_delay_alu instid0(VALU_DEP_2)
	v_cmpx_ne_u32_e32 0x7f, v55
	s_cbranch_execz .LBB267_807
; %bb.804:                              ;   in Loop: Header=BB267_554 Depth=1
	v_and_b32_e32 v51, 7, v1
	v_lshrrev_b32_e32 v54, 3, v55
	s_mov_b32 s22, exec_lo
	v_cmpx_gt_u32_e32 8, v55
; %bb.805:                              ;   in Loop: Header=BB267_554 Depth=1
	s_delay_alu instid0(VALU_DEP_3) | instskip(NEXT) | instid1(VALU_DEP_1)
	v_clz_i32_u32_e32 v51, v51
	v_min_u32_e32 v51, 32, v51
	s_delay_alu instid0(VALU_DEP_1) | instskip(NEXT) | instid1(VALU_DEP_1)
	v_subrev_nc_u32_e32 v54, 28, v51
	v_lshlrev_b64_e32 v[55:56], v54, v[1:2]
	v_sub_nc_u32_e32 v54, 29, v51
	s_delay_alu instid0(VALU_DEP_2)
	v_and_b32_e32 v51, 7, v55
; %bb.806:                              ;   in Loop: Header=BB267_554 Depth=1
	s_wait_alu 0xfffe
	s_or_b32 exec_lo, exec_lo, s22
	v_lshlrev_b32_e32 v1, 8, v1
	v_lshl_add_u32 v54, v54, 10, 0x2000
	v_lshlrev_b32_e32 v51, 7, v51
	s_delay_alu instid0(VALU_DEP_3) | instskip(NEXT) | instid1(VALU_DEP_3)
	v_and_b32_e32 v1, 0x8000, v1
	v_and_b32_e32 v54, 0xfc00, v54
	s_delay_alu instid0(VALU_DEP_1)
	v_or3_b32 v51, v1, v54, v51
.LBB267_807:                            ;   in Loop: Header=BB267_554 Depth=1
	s_wait_alu 0xfffe
	s_or_b32 exec_lo, exec_lo, s21
.LBB267_808:                            ;   in Loop: Header=BB267_554 Depth=1
	s_wait_alu 0xfffe
	s_or_b32 exec_lo, exec_lo, s19
.LBB267_809:                            ;   in Loop: Header=BB267_554 Depth=1
	s_wait_alu 0xfffe
	s_or_b32 exec_lo, exec_lo, s18
	v_cmp_lt_u64_e64 s0, s[8:9], v[9:10]
	v_mov_b32_e32 v9, 0
	s_and_saveexec_b32 s18, s0
	s_cbranch_execz .LBB267_817
; %bb.810:                              ;   in Loop: Header=BB267_554 Depth=1
	v_lshrrev_b32_e32 v1, 24, v10
	v_bfrev_b32_e32 v9, 1
	s_mov_b32 s19, exec_lo
	s_delay_alu instid0(VALU_DEP_2)
	v_cmpx_ne_u32_e32 0x80, v1
	s_cbranch_execz .LBB267_816
; %bb.811:                              ;   in Loop: Header=BB267_554 Depth=1
	v_and_b32_e32 v54, 0x7f, v1
	v_mov_b32_e32 v9, 0x7c010000
	s_mov_b32 s21, exec_lo
	s_delay_alu instid0(VALU_DEP_2)
	v_cmpx_ne_u32_e32 0x7f, v54
	s_cbranch_execz .LBB267_815
; %bb.812:                              ;   in Loop: Header=BB267_554 Depth=1
	v_and_b32_e32 v9, 7, v1
	v_lshrrev_b32_e32 v10, 3, v54
	s_mov_b32 s22, exec_lo
	v_cmpx_gt_u32_e32 8, v54
; %bb.813:                              ;   in Loop: Header=BB267_554 Depth=1
	s_delay_alu instid0(VALU_DEP_3) | instskip(NEXT) | instid1(VALU_DEP_1)
	v_clz_i32_u32_e32 v9, v9
	v_min_u32_e32 v54, 32, v9
	s_delay_alu instid0(VALU_DEP_1) | instskip(NEXT) | instid1(VALU_DEP_1)
	v_subrev_nc_u32_e32 v9, 28, v54
	v_lshlrev_b64_e32 v[9:10], v9, v[1:2]
	v_sub_nc_u32_e32 v10, 29, v54
	s_delay_alu instid0(VALU_DEP_2)
	v_and_b32_e32 v9, 7, v9
; %bb.814:                              ;   in Loop: Header=BB267_554 Depth=1
	s_wait_alu 0xfffe
	s_or_b32 exec_lo, exec_lo, s22
	v_lshlrev_b32_e32 v1, 8, v1
	v_lshl_add_u32 v10, v10, 10, 0x2000
	v_lshlrev_b32_e32 v9, 23, v9
	s_delay_alu instid0(VALU_DEP_2) | instskip(NEXT) | instid1(VALU_DEP_1)
	v_and_or_b32 v1, 0x8000, v1, v10
	v_lshl_or_b32 v9, v1, 16, v9
.LBB267_815:                            ;   in Loop: Header=BB267_554 Depth=1
	s_wait_alu 0xfffe
	s_or_b32 exec_lo, exec_lo, s21
.LBB267_816:                            ;   in Loop: Header=BB267_554 Depth=1
	s_wait_alu 0xfffe
	s_or_b32 exec_lo, exec_lo, s19
.LBB267_817:                            ;   in Loop: Header=BB267_554 Depth=1
	s_wait_alu 0xfffe
	s_or_b32 exec_lo, exec_lo, s18
	v_or_b32_e32 v1, v49, v50
	s_wait_loadcnt 0x0
	v_fma_mixlo_f16 v10, v46, v49, 0 op_sel:[0,1,0] op_sel_hi:[0,1,0]
	v_or_b32_e32 v49, v47, v48
	v_fma_mixlo_f16 v47, v46, v47, 0 op_sel:[0,1,0] op_sel_hi:[0,1,0]
	v_or_b32_e32 v50, v53, v52
	v_or_b32_e32 v51, v9, v51
	v_fma_mixlo_f16 v52, v46, v1, 0 op_sel_hi:[0,1,0]
	v_fma_mixlo_f16 v9, v46, v9, 0 op_sel:[0,1,0] op_sel_hi:[0,1,0]
	v_lshlrev_b32_e32 v48, 16, v47
	v_fma_mixlo_f16 v47, v46, v49, 0 op_sel_hi:[0,1,0]
	v_fma_mixlo_f16 v49, v46, v53, 0 op_sel:[0,1,0] op_sel_hi:[0,1,0]
	v_fma_mixlo_f16 v50, v46, v50, 0 op_sel_hi:[0,1,0]
	v_fma_mixlo_f16 v51, v46, v51, 0 op_sel_hi:[0,1,0]
	v_lshlrev_b32_e32 v1, 16, v10
	v_and_b32_e32 v10, 0xffff, v52
	v_and_b32_e32 v54, 0xffff, v47
	v_lshlrev_b32_e32 v46, 16, v49
	v_and_b32_e32 v50, 0xffff, v50
	v_lshlrev_b32_e32 v9, 16, v9
	v_and_b32_e32 v47, 0xffff, v51
	v_or_b32_e32 v49, v1, v10
	v_or_b32_e32 v53, v48, v54
	;; [unrolled: 1-line block ×3, first 2 shown]
	s_delay_alu instid0(VALU_DEP_4)
	v_or_b32_e32 v51, v9, v47
	s_and_saveexec_b32 s18, vcc_lo
	s_cbranch_execz .LBB267_819
; %bb.818:                              ;   in Loop: Header=BB267_554 Depth=1
	v_cmp_gt_i32_e64 s0, s36, v28
	s_wait_alu 0xf1ff
	s_delay_alu instid0(VALU_DEP_1) | instskip(SKIP_2) | instid1(VALU_DEP_1)
	v_cndmask_b32_e64 v49, 0, v54, s0
	v_cmp_gt_i32_e64 s0, s36, v36
	s_wait_alu 0xf1ff
	v_cndmask_b32_e64 v48, 0, v48, s0
	v_cmp_gt_i32_e64 s0, s36, v34
	s_delay_alu instid0(VALU_DEP_2) | instskip(SKIP_1) | instid1(VALU_DEP_2)
	v_or_b32_e32 v53, v48, v49
	s_wait_alu 0xf1ff
	v_cndmask_b32_e64 v10, 0, v10, s0
	v_cmp_gt_i32_e64 s0, s36, v33
	s_wait_alu 0xf1ff
	s_delay_alu instid0(VALU_DEP_1) | instskip(SKIP_1) | instid1(VALU_DEP_2)
	v_cndmask_b32_e64 v1, 0, v1, s0
	v_cmp_gt_i32_e64 s0, s36, v32
	v_or_b32_e32 v49, v1, v10
	s_wait_alu 0xf1ff
	s_delay_alu instid0(VALU_DEP_2) | instskip(SKIP_2) | instid1(VALU_DEP_1)
	v_cndmask_b32_e64 v50, 0, v50, s0
	v_cmp_gt_i32_e64 s0, s36, v31
	s_wait_alu 0xf1ff
	v_cndmask_b32_e64 v46, 0, v46, s0
	v_cmp_gt_i32_e64 s0, s36, v30
	s_delay_alu instid0(VALU_DEP_2) | instskip(SKIP_1) | instid1(VALU_DEP_2)
	v_or_b32_e32 v52, v46, v50
	s_wait_alu 0xf1ff
	v_cndmask_b32_e64 v47, 0, v47, s0
	v_cmp_gt_i32_e64 s0, s36, v29
	s_wait_alu 0xf1ff
	s_delay_alu instid0(VALU_DEP_1) | instskip(NEXT) | instid1(VALU_DEP_1)
	v_cndmask_b32_e64 v9, 0, v9, s0
	v_or_b32_e32 v51, v9, v47
.LBB267_819:                            ;   in Loop: Header=BB267_554 Depth=1
	s_wait_alu 0xfffe
	s_or_b32 exec_lo, exec_lo, s18
	;;#ASMSTART
	v_pk_mul_f16 v1, v41, v53;

	;;#ASMEND
	;;#ASMSTART
	v_pk_mul_f16 v9, v40, v49;

	;;#ASMEND
	;; [unrolled: 4-line block ×4, first 2 shown]
	;;#ASMSTART
	v_pk_add_f16 v1, v1, v9;

	;;#ASMEND
	;;#ASMSTART
	v_pk_add_f16 v1, v1, v10;

	;;#ASMEND
	;; [unrolled: 4-line block ×3, first 2 shown]
	v_dual_mov_b32 v50, 0 :: v_dual_and_b32 v9, 0xffff, v1
	v_lshrrev_b32_e32 v1, 16, v1
	;;#ASMSTART
	v_cvt_f32_f16 v46, v9;
	;;#ASMEND
	;;#ASMSTART
	v_cvt_f32_f16 v47, v1;
	;;#ASMEND
	global_load_b64 v[9:10], v[7:8], off offset:1024
	v_mov_b32_e32 v49, 0
	s_mov_b32 s18, exec_lo
	global_load_b32 v48, v49, s[10:11]
	s_wait_loadcnt 0x1
	v_and_b32_e32 v1, 0xff, v9
	s_delay_alu instid0(VALU_DEP_1)
	v_cmpx_ne_u16_e32 0, v1
	s_cbranch_execz .LBB267_827
; %bb.820:                              ;   in Loop: Header=BB267_554 Depth=1
	v_mov_b32_e32 v50, 0x8000
	s_mov_b32 s19, exec_lo
	v_cmpx_ne_u16_e32 0x80, v1
	s_cbranch_execz .LBB267_826
; %bb.821:                              ;   in Loop: Header=BB267_554 Depth=1
	v_and_b32_e32 v51, 0x7f, v9
	v_mov_b32_e32 v50, 0x7c01
	s_mov_b32 s21, exec_lo
	s_delay_alu instid0(VALU_DEP_2)
	v_cmpx_ne_u32_e32 0x7f, v51
	s_cbranch_execz .LBB267_825
; %bb.822:                              ;   in Loop: Header=BB267_554 Depth=1
	v_and_b32_e32 v1, 7, v9
	v_lshrrev_b32_e32 v50, 3, v51
	s_mov_b32 s22, exec_lo
	v_cmpx_gt_u32_e32 8, v51
; %bb.823:                              ;   in Loop: Header=BB267_554 Depth=1
	s_delay_alu instid0(VALU_DEP_3) | instskip(NEXT) | instid1(VALU_DEP_1)
	v_clz_i32_u32_e32 v1, v1
	v_min_u32_e32 v1, 32, v1
	s_delay_alu instid0(VALU_DEP_1) | instskip(NEXT) | instid1(VALU_DEP_1)
	v_subrev_nc_u32_e32 v50, 28, v1
	v_lshlrev_b64_e32 v[51:52], v50, v[9:10]
	v_sub_nc_u32_e32 v50, 29, v1
	s_delay_alu instid0(VALU_DEP_2)
	v_and_b32_e32 v1, 7, v51
; %bb.824:                              ;   in Loop: Header=BB267_554 Depth=1
	s_wait_alu 0xfffe
	s_or_b32 exec_lo, exec_lo, s22
	v_lshlrev_b32_e32 v51, 8, v9
	v_lshl_add_u32 v50, v50, 10, 0x2000
	v_lshlrev_b32_e32 v1, 7, v1
	s_delay_alu instid0(VALU_DEP_3) | instskip(NEXT) | instid1(VALU_DEP_3)
	v_and_b32_e32 v51, 0x8000, v51
	v_and_b32_e32 v50, 0xfc00, v50
	s_delay_alu instid0(VALU_DEP_1)
	v_or3_b32 v50, v51, v50, v1
.LBB267_825:                            ;   in Loop: Header=BB267_554 Depth=1
	s_wait_alu 0xfffe
	s_or_b32 exec_lo, exec_lo, s21
.LBB267_826:                            ;   in Loop: Header=BB267_554 Depth=1
	s_wait_alu 0xfffe
	s_or_b32 exec_lo, exec_lo, s19
.LBB267_827:                            ;   in Loop: Header=BB267_554 Depth=1
	s_wait_alu 0xfffe
	s_or_b32 exec_lo, exec_lo, s18
	v_lshrrev_b16 v1, 8, v9
	s_mov_b32 s18, exec_lo
	s_delay_alu instid0(VALU_DEP_1)
	v_cmpx_ne_u16_e32 0, v1
	s_cbranch_execz .LBB267_835
; %bb.828:                              ;   in Loop: Header=BB267_554 Depth=1
	v_bfrev_b32_e32 v49, 1
	s_mov_b32 s19, exec_lo
	v_cmpx_ne_u16_e32 0x80, v1
	s_cbranch_execz .LBB267_834
; %bb.829:                              ;   in Loop: Header=BB267_554 Depth=1
	v_and_b32_e32 v51, 0xffff, v1
	v_mov_b32_e32 v49, 0x7c010000
	s_mov_b32 s21, exec_lo
	s_delay_alu instid0(VALU_DEP_2) | instskip(NEXT) | instid1(VALU_DEP_1)
	v_and_b32_e32 v53, 0x7f, v51
	v_cmpx_ne_u32_e32 0x7f, v53
	s_cbranch_execz .LBB267_833
; %bb.830:                              ;   in Loop: Header=BB267_554 Depth=1
	v_and_b32_e32 v49, 7, v51
	v_lshrrev_b32_e32 v52, 3, v53
	s_mov_b32 s22, exec_lo
	v_cmpx_gt_u32_e32 8, v53
; %bb.831:                              ;   in Loop: Header=BB267_554 Depth=1
	s_delay_alu instid0(VALU_DEP_3) | instskip(NEXT) | instid1(VALU_DEP_1)
	v_clz_i32_u32_e32 v49, v49
	v_min_u32_e32 v49, 32, v49
	s_delay_alu instid0(VALU_DEP_1) | instskip(NEXT) | instid1(VALU_DEP_1)
	v_subrev_nc_u32_e32 v52, 28, v49
	v_lshlrev_b64_e32 v[53:54], v52, v[1:2]
	v_sub_nc_u32_e32 v52, 29, v49
	s_delay_alu instid0(VALU_DEP_2)
	v_and_b32_e32 v49, 7, v53
; %bb.832:                              ;   in Loop: Header=BB267_554 Depth=1
	s_wait_alu 0xfffe
	s_or_b32 exec_lo, exec_lo, s22
	v_lshlrev_b32_e32 v1, 8, v51
	v_lshl_add_u32 v51, v52, 10, 0x2000
	v_lshlrev_b32_e32 v49, 23, v49
	s_delay_alu instid0(VALU_DEP_2) | instskip(NEXT) | instid1(VALU_DEP_1)
	v_and_or_b32 v1, 0x8000, v1, v51
	v_lshl_or_b32 v49, v1, 16, v49
.LBB267_833:                            ;   in Loop: Header=BB267_554 Depth=1
	s_wait_alu 0xfffe
	s_or_b32 exec_lo, exec_lo, s21
.LBB267_834:                            ;   in Loop: Header=BB267_554 Depth=1
	s_wait_alu 0xfffe
	s_or_b32 exec_lo, exec_lo, s19
.LBB267_835:                            ;   in Loop: Header=BB267_554 Depth=1
	s_wait_alu 0xfffe
	s_or_b32 exec_lo, exec_lo, s18
	v_lshrrev_b32_e32 v1, 16, v9
	v_mov_b32_e32 v51, 0
	s_mov_b32 s18, exec_lo
	s_delay_alu instid0(VALU_DEP_2) | instskip(NEXT) | instid1(VALU_DEP_1)
	v_dual_mov_b32 v52, 0 :: v_dual_and_b32 v53, 0xff, v1
	v_cmpx_ne_u16_e32 0, v53
	s_cbranch_execz .LBB267_843
; %bb.836:                              ;   in Loop: Header=BB267_554 Depth=1
	v_mov_b32_e32 v52, 0x8000
	s_mov_b32 s19, exec_lo
	v_cmpx_ne_u16_e32 0x80, v53
	s_cbranch_execz .LBB267_842
; %bb.837:                              ;   in Loop: Header=BB267_554 Depth=1
	v_bfe_u32 v54, v9, 16, 7
	v_mov_b32_e32 v52, 0x7c01
	s_mov_b32 s21, exec_lo
	s_delay_alu instid0(VALU_DEP_2)
	v_cmpx_ne_u32_e32 0x7f, v54
	s_cbranch_execz .LBB267_841
; %bb.838:                              ;   in Loop: Header=BB267_554 Depth=1
	v_and_b32_e32 v52, 7, v1
	v_lshrrev_b32_e32 v53, 3, v54
	s_mov_b32 s22, exec_lo
	v_cmpx_gt_u32_e32 8, v54
; %bb.839:                              ;   in Loop: Header=BB267_554 Depth=1
	s_delay_alu instid0(VALU_DEP_3) | instskip(NEXT) | instid1(VALU_DEP_1)
	v_clz_i32_u32_e32 v52, v52
	v_min_u32_e32 v54, 32, v52
	s_delay_alu instid0(VALU_DEP_1) | instskip(NEXT) | instid1(VALU_DEP_1)
	v_subrev_nc_u32_e32 v52, 28, v54
	v_lshlrev_b64_e32 v[52:53], v52, v[1:2]
	v_sub_nc_u32_e32 v53, 29, v54
	s_delay_alu instid0(VALU_DEP_2)
	v_and_b32_e32 v52, 7, v52
; %bb.840:                              ;   in Loop: Header=BB267_554 Depth=1
	s_wait_alu 0xfffe
	s_or_b32 exec_lo, exec_lo, s22
	v_lshlrev_b32_e32 v1, 8, v1
	v_lshl_add_u32 v53, v53, 10, 0x2000
	v_lshlrev_b32_e32 v52, 7, v52
	s_delay_alu instid0(VALU_DEP_3) | instskip(NEXT) | instid1(VALU_DEP_3)
	v_and_b32_e32 v1, 0x8000, v1
	v_and_b32_e32 v53, 0xfc00, v53
	s_delay_alu instid0(VALU_DEP_1)
	v_or3_b32 v52, v1, v53, v52
.LBB267_841:                            ;   in Loop: Header=BB267_554 Depth=1
	s_wait_alu 0xfffe
	s_or_b32 exec_lo, exec_lo, s21
.LBB267_842:                            ;   in Loop: Header=BB267_554 Depth=1
	s_wait_alu 0xfffe
	s_or_b32 exec_lo, exec_lo, s19
.LBB267_843:                            ;   in Loop: Header=BB267_554 Depth=1
	s_wait_alu 0xfffe
	s_or_b32 exec_lo, exec_lo, s18
	s_delay_alu instid0(SALU_CYCLE_1)
	s_mov_b32 s18, exec_lo
	v_cmpx_lt_u32_e32 0xffffff, v9
	s_cbranch_execz .LBB267_851
; %bb.844:                              ;   in Loop: Header=BB267_554 Depth=1
	v_lshrrev_b32_e32 v1, 24, v9
	v_bfrev_b32_e32 v51, 1
	s_mov_b32 s19, exec_lo
	s_delay_alu instid0(VALU_DEP_2)
	v_cmpx_ne_u32_e32 0x80, v1
	s_cbranch_execz .LBB267_850
; %bb.845:                              ;   in Loop: Header=BB267_554 Depth=1
	v_and_b32_e32 v54, 0x7f, v1
	v_mov_b32_e32 v51, 0x7c010000
	s_mov_b32 s21, exec_lo
	s_delay_alu instid0(VALU_DEP_2)
	v_cmpx_ne_u32_e32 0x7f, v54
	s_cbranch_execz .LBB267_849
; %bb.846:                              ;   in Loop: Header=BB267_554 Depth=1
	v_and_b32_e32 v51, 7, v1
	v_lshrrev_b32_e32 v53, 3, v54
	s_mov_b32 s22, exec_lo
	v_cmpx_gt_u32_e32 8, v54
; %bb.847:                              ;   in Loop: Header=BB267_554 Depth=1
	s_delay_alu instid0(VALU_DEP_3) | instskip(NEXT) | instid1(VALU_DEP_1)
	v_clz_i32_u32_e32 v51, v51
	v_min_u32_e32 v51, 32, v51
	s_delay_alu instid0(VALU_DEP_1) | instskip(NEXT) | instid1(VALU_DEP_1)
	v_subrev_nc_u32_e32 v53, 28, v51
	v_lshlrev_b64_e32 v[54:55], v53, v[1:2]
	v_sub_nc_u32_e32 v53, 29, v51
	s_delay_alu instid0(VALU_DEP_2)
	v_and_b32_e32 v51, 7, v54
; %bb.848:                              ;   in Loop: Header=BB267_554 Depth=1
	s_wait_alu 0xfffe
	s_or_b32 exec_lo, exec_lo, s22
	v_lshlrev_b32_e32 v1, 8, v1
	v_lshl_add_u32 v53, v53, 10, 0x2000
	v_lshlrev_b32_e32 v51, 23, v51
	s_delay_alu instid0(VALU_DEP_2) | instskip(NEXT) | instid1(VALU_DEP_1)
	v_and_or_b32 v1, 0x8000, v1, v53
	v_lshl_or_b32 v51, v1, 16, v51
.LBB267_849:                            ;   in Loop: Header=BB267_554 Depth=1
	s_wait_alu 0xfffe
	s_or_b32 exec_lo, exec_lo, s21
.LBB267_850:                            ;   in Loop: Header=BB267_554 Depth=1
	s_wait_alu 0xfffe
	s_or_b32 exec_lo, exec_lo, s19
.LBB267_851:                            ;   in Loop: Header=BB267_554 Depth=1
	s_wait_alu 0xfffe
	s_or_b32 exec_lo, exec_lo, s18
	v_dual_mov_b32 v54, 0 :: v_dual_and_b32 v55, 0xff, v10
	v_mov_b32_e32 v1, v10
	v_mov_b32_e32 v53, 0
	s_mov_b32 s18, exec_lo
	s_delay_alu instid0(VALU_DEP_3)
	v_cmpx_ne_u16_e32 0, v55
	s_cbranch_execz .LBB267_859
; %bb.852:                              ;   in Loop: Header=BB267_554 Depth=1
	v_mov_b32_e32 v54, 0x8000
	s_mov_b32 s19, exec_lo
	v_cmpx_ne_u16_e32 0x80, v55
	s_cbranch_execz .LBB267_858
; %bb.853:                              ;   in Loop: Header=BB267_554 Depth=1
	v_and_b32_e32 v56, 0x7f, v10
	v_mov_b32_e32 v54, 0x7c01
	s_mov_b32 s21, exec_lo
	s_delay_alu instid0(VALU_DEP_2)
	v_cmpx_ne_u32_e32 0x7f, v56
	s_cbranch_execz .LBB267_857
; %bb.854:                              ;   in Loop: Header=BB267_554 Depth=1
	v_and_b32_e32 v54, 7, v10
	v_lshrrev_b32_e32 v55, 3, v56
	s_mov_b32 s22, exec_lo
	v_cmpx_gt_u32_e32 8, v56
; %bb.855:                              ;   in Loop: Header=BB267_554 Depth=1
	s_delay_alu instid0(VALU_DEP_3) | instskip(NEXT) | instid1(VALU_DEP_1)
	v_clz_i32_u32_e32 v54, v54
	v_min_u32_e32 v56, 32, v54
	s_delay_alu instid0(VALU_DEP_1) | instskip(NEXT) | instid1(VALU_DEP_1)
	v_subrev_nc_u32_e32 v54, 28, v56
	v_lshlrev_b64_e32 v[54:55], v54, v[1:2]
	v_sub_nc_u32_e32 v55, 29, v56
	s_delay_alu instid0(VALU_DEP_2)
	v_and_b32_e32 v54, 7, v54
; %bb.856:                              ;   in Loop: Header=BB267_554 Depth=1
	s_wait_alu 0xfffe
	s_or_b32 exec_lo, exec_lo, s22
	v_lshlrev_b32_e32 v56, 8, v10
	v_lshl_add_u32 v55, v55, 10, 0x2000
	v_lshlrev_b32_e32 v54, 7, v54
	s_delay_alu instid0(VALU_DEP_3) | instskip(NEXT) | instid1(VALU_DEP_3)
	v_and_b32_e32 v56, 0x8000, v56
	v_and_b32_e32 v55, 0xfc00, v55
	s_delay_alu instid0(VALU_DEP_1)
	v_or3_b32 v54, v56, v55, v54
.LBB267_857:                            ;   in Loop: Header=BB267_554 Depth=1
	s_wait_alu 0xfffe
	s_or_b32 exec_lo, exec_lo, s21
.LBB267_858:                            ;   in Loop: Header=BB267_554 Depth=1
	s_wait_alu 0xfffe
	s_or_b32 exec_lo, exec_lo, s19
.LBB267_859:                            ;   in Loop: Header=BB267_554 Depth=1
	s_wait_alu 0xfffe
	s_or_b32 exec_lo, exec_lo, s18
	v_lshrrev_b16 v1, 8, v1
	v_mov_b32_e32 v55, 0
	s_mov_b32 s18, exec_lo
	s_delay_alu instid0(VALU_DEP_2)
	v_cmpx_ne_u16_e32 0, v1
	s_cbranch_execz .LBB267_867
; %bb.860:                              ;   in Loop: Header=BB267_554 Depth=1
	v_bfrev_b32_e32 v55, 1
	s_mov_b32 s19, exec_lo
	v_cmpx_ne_u16_e32 0x80, v1
	s_cbranch_execz .LBB267_866
; %bb.861:                              ;   in Loop: Header=BB267_554 Depth=1
	v_and_b32_e32 v56, 0xffff, v1
	v_mov_b32_e32 v55, 0x7c010000
	s_mov_b32 s21, exec_lo
	s_delay_alu instid0(VALU_DEP_2) | instskip(NEXT) | instid1(VALU_DEP_1)
	v_and_b32_e32 v58, 0x7f, v56
	v_cmpx_ne_u32_e32 0x7f, v58
	s_cbranch_execz .LBB267_865
; %bb.862:                              ;   in Loop: Header=BB267_554 Depth=1
	v_and_b32_e32 v55, 7, v56
	v_lshrrev_b32_e32 v57, 3, v58
	s_mov_b32 s22, exec_lo
	v_cmpx_gt_u32_e32 8, v58
; %bb.863:                              ;   in Loop: Header=BB267_554 Depth=1
	s_delay_alu instid0(VALU_DEP_3) | instskip(NEXT) | instid1(VALU_DEP_1)
	v_clz_i32_u32_e32 v55, v55
	v_min_u32_e32 v55, 32, v55
	s_delay_alu instid0(VALU_DEP_1) | instskip(NEXT) | instid1(VALU_DEP_1)
	v_subrev_nc_u32_e32 v57, 28, v55
	v_lshlrev_b64_e32 v[58:59], v57, v[1:2]
	v_sub_nc_u32_e32 v57, 29, v55
	s_delay_alu instid0(VALU_DEP_2)
	v_and_b32_e32 v55, 7, v58
; %bb.864:                              ;   in Loop: Header=BB267_554 Depth=1
	s_wait_alu 0xfffe
	s_or_b32 exec_lo, exec_lo, s22
	v_lshlrev_b32_e32 v1, 8, v56
	v_lshl_add_u32 v56, v57, 10, 0x2000
	v_lshlrev_b32_e32 v55, 23, v55
	s_delay_alu instid0(VALU_DEP_2) | instskip(NEXT) | instid1(VALU_DEP_1)
	v_and_or_b32 v1, 0x8000, v1, v56
	v_lshl_or_b32 v55, v1, 16, v55
.LBB267_865:                            ;   in Loop: Header=BB267_554 Depth=1
	s_wait_alu 0xfffe
	s_or_b32 exec_lo, exec_lo, s21
.LBB267_866:                            ;   in Loop: Header=BB267_554 Depth=1
	s_wait_alu 0xfffe
	s_or_b32 exec_lo, exec_lo, s19
.LBB267_867:                            ;   in Loop: Header=BB267_554 Depth=1
	s_wait_alu 0xfffe
	s_or_b32 exec_lo, exec_lo, s18
	v_lshrrev_b32_e32 v1, 16, v10
	s_mov_b32 s18, exec_lo
	s_delay_alu instid0(VALU_DEP_1) | instskip(NEXT) | instid1(VALU_DEP_1)
	v_and_b32_e32 v56, 0xff, v1
	v_cmpx_ne_u16_e32 0, v56
	s_cbranch_execz .LBB267_875
; %bb.868:                              ;   in Loop: Header=BB267_554 Depth=1
	v_mov_b32_e32 v53, 0x8000
	s_mov_b32 s19, exec_lo
	v_cmpx_ne_u16_e32 0x80, v56
	s_cbranch_execz .LBB267_874
; %bb.869:                              ;   in Loop: Header=BB267_554 Depth=1
	v_bfe_u32 v57, v10, 16, 7
	v_mov_b32_e32 v53, 0x7c01
	s_mov_b32 s21, exec_lo
	s_delay_alu instid0(VALU_DEP_2)
	v_cmpx_ne_u32_e32 0x7f, v57
	s_cbranch_execz .LBB267_873
; %bb.870:                              ;   in Loop: Header=BB267_554 Depth=1
	v_and_b32_e32 v53, 7, v1
	v_lshrrev_b32_e32 v56, 3, v57
	s_mov_b32 s22, exec_lo
	v_cmpx_gt_u32_e32 8, v57
; %bb.871:                              ;   in Loop: Header=BB267_554 Depth=1
	s_delay_alu instid0(VALU_DEP_3) | instskip(NEXT) | instid1(VALU_DEP_1)
	v_clz_i32_u32_e32 v53, v53
	v_min_u32_e32 v53, 32, v53
	s_delay_alu instid0(VALU_DEP_1) | instskip(NEXT) | instid1(VALU_DEP_1)
	v_subrev_nc_u32_e32 v56, 28, v53
	v_lshlrev_b64_e32 v[57:58], v56, v[1:2]
	v_sub_nc_u32_e32 v56, 29, v53
	s_delay_alu instid0(VALU_DEP_2)
	v_and_b32_e32 v53, 7, v57
; %bb.872:                              ;   in Loop: Header=BB267_554 Depth=1
	s_wait_alu 0xfffe
	s_or_b32 exec_lo, exec_lo, s22
	v_lshlrev_b32_e32 v1, 8, v1
	v_lshl_add_u32 v56, v56, 10, 0x2000
	v_lshlrev_b32_e32 v53, 7, v53
	s_delay_alu instid0(VALU_DEP_3) | instskip(NEXT) | instid1(VALU_DEP_3)
	v_and_b32_e32 v1, 0x8000, v1
	v_and_b32_e32 v56, 0xfc00, v56
	s_delay_alu instid0(VALU_DEP_1)
	v_or3_b32 v53, v1, v56, v53
.LBB267_873:                            ;   in Loop: Header=BB267_554 Depth=1
	s_wait_alu 0xfffe
	s_or_b32 exec_lo, exec_lo, s21
.LBB267_874:                            ;   in Loop: Header=BB267_554 Depth=1
	s_wait_alu 0xfffe
	s_or_b32 exec_lo, exec_lo, s19
.LBB267_875:                            ;   in Loop: Header=BB267_554 Depth=1
	s_wait_alu 0xfffe
	s_or_b32 exec_lo, exec_lo, s18
	v_cmp_lt_u64_e64 s0, s[8:9], v[9:10]
	v_mov_b32_e32 v9, 0
	s_and_saveexec_b32 s18, s0
	s_cbranch_execz .LBB267_883
; %bb.876:                              ;   in Loop: Header=BB267_554 Depth=1
	v_lshrrev_b32_e32 v1, 24, v10
	v_bfrev_b32_e32 v9, 1
	s_mov_b32 s19, exec_lo
	s_delay_alu instid0(VALU_DEP_2)
	v_cmpx_ne_u32_e32 0x80, v1
	s_cbranch_execz .LBB267_882
; %bb.877:                              ;   in Loop: Header=BB267_554 Depth=1
	v_and_b32_e32 v56, 0x7f, v1
	v_mov_b32_e32 v9, 0x7c010000
	s_mov_b32 s21, exec_lo
	s_delay_alu instid0(VALU_DEP_2)
	v_cmpx_ne_u32_e32 0x7f, v56
	s_cbranch_execz .LBB267_881
; %bb.878:                              ;   in Loop: Header=BB267_554 Depth=1
	v_and_b32_e32 v9, 7, v1
	v_lshrrev_b32_e32 v10, 3, v56
	s_mov_b32 s22, exec_lo
	v_cmpx_gt_u32_e32 8, v56
; %bb.879:                              ;   in Loop: Header=BB267_554 Depth=1
	s_delay_alu instid0(VALU_DEP_3) | instskip(NEXT) | instid1(VALU_DEP_1)
	v_clz_i32_u32_e32 v9, v9
	v_min_u32_e32 v56, 32, v9
	s_delay_alu instid0(VALU_DEP_1) | instskip(NEXT) | instid1(VALU_DEP_1)
	v_subrev_nc_u32_e32 v9, 28, v56
	v_lshlrev_b64_e32 v[9:10], v9, v[1:2]
	v_sub_nc_u32_e32 v10, 29, v56
	s_delay_alu instid0(VALU_DEP_2)
	v_and_b32_e32 v9, 7, v9
; %bb.880:                              ;   in Loop: Header=BB267_554 Depth=1
	s_wait_alu 0xfffe
	s_or_b32 exec_lo, exec_lo, s22
	v_lshlrev_b32_e32 v1, 8, v1
	v_lshl_add_u32 v10, v10, 10, 0x2000
	v_lshlrev_b32_e32 v9, 23, v9
	s_delay_alu instid0(VALU_DEP_2) | instskip(NEXT) | instid1(VALU_DEP_1)
	v_and_or_b32 v1, 0x8000, v1, v10
	v_lshl_or_b32 v9, v1, 16, v9
.LBB267_881:                            ;   in Loop: Header=BB267_554 Depth=1
	s_wait_alu 0xfffe
	s_or_b32 exec_lo, exec_lo, s21
.LBB267_882:                            ;   in Loop: Header=BB267_554 Depth=1
	s_wait_alu 0xfffe
	s_or_b32 exec_lo, exec_lo, s19
.LBB267_883:                            ;   in Loop: Header=BB267_554 Depth=1
	s_wait_alu 0xfffe
	s_or_b32 exec_lo, exec_lo, s18
	v_or_b32_e32 v1, v51, v52
	s_wait_loadcnt 0x0
	v_fma_mixlo_f16 v10, v48, v51, 0 op_sel:[0,1,0] op_sel_hi:[0,1,0]
	v_or_b32_e32 v51, v49, v50
	v_fma_mixlo_f16 v49, v48, v49, 0 op_sel:[0,1,0] op_sel_hi:[0,1,0]
	v_or_b32_e32 v52, v55, v54
	v_or_b32_e32 v53, v9, v53
	v_fma_mixlo_f16 v54, v48, v1, 0 op_sel_hi:[0,1,0]
	v_fma_mixlo_f16 v9, v48, v9, 0 op_sel:[0,1,0] op_sel_hi:[0,1,0]
	v_lshlrev_b32_e32 v50, 16, v49
	v_fma_mixlo_f16 v49, v48, v51, 0 op_sel_hi:[0,1,0]
	v_fma_mixlo_f16 v51, v48, v55, 0 op_sel:[0,1,0] op_sel_hi:[0,1,0]
	v_fma_mixlo_f16 v52, v48, v52, 0 op_sel_hi:[0,1,0]
	v_fma_mixlo_f16 v53, v48, v53, 0 op_sel_hi:[0,1,0]
	v_lshlrev_b32_e32 v1, 16, v10
	v_and_b32_e32 v10, 0xffff, v54
	v_and_b32_e32 v56, 0xffff, v49
	v_lshlrev_b32_e32 v48, 16, v51
	v_and_b32_e32 v52, 0xffff, v52
	v_lshlrev_b32_e32 v9, 16, v9
	v_and_b32_e32 v49, 0xffff, v53
	v_or_b32_e32 v51, v1, v10
	v_or_b32_e32 v55, v50, v56
	;; [unrolled: 1-line block ×3, first 2 shown]
	s_delay_alu instid0(VALU_DEP_4)
	v_or_b32_e32 v53, v9, v49
	s_and_saveexec_b32 s18, vcc_lo
	s_cbranch_execz .LBB267_885
; %bb.884:                              ;   in Loop: Header=BB267_554 Depth=1
	v_cmp_gt_i32_e64 s0, s36, v28
	s_wait_alu 0xf1ff
	s_delay_alu instid0(VALU_DEP_1) | instskip(SKIP_2) | instid1(VALU_DEP_1)
	v_cndmask_b32_e64 v51, 0, v56, s0
	v_cmp_gt_i32_e64 s0, s36, v36
	s_wait_alu 0xf1ff
	v_cndmask_b32_e64 v50, 0, v50, s0
	v_cmp_gt_i32_e64 s0, s36, v34
	s_delay_alu instid0(VALU_DEP_2) | instskip(SKIP_1) | instid1(VALU_DEP_2)
	v_or_b32_e32 v55, v50, v51
	s_wait_alu 0xf1ff
	v_cndmask_b32_e64 v10, 0, v10, s0
	v_cmp_gt_i32_e64 s0, s36, v33
	s_wait_alu 0xf1ff
	s_delay_alu instid0(VALU_DEP_1) | instskip(SKIP_1) | instid1(VALU_DEP_2)
	v_cndmask_b32_e64 v1, 0, v1, s0
	v_cmp_gt_i32_e64 s0, s36, v32
	v_or_b32_e32 v51, v1, v10
	s_wait_alu 0xf1ff
	s_delay_alu instid0(VALU_DEP_2) | instskip(SKIP_2) | instid1(VALU_DEP_1)
	v_cndmask_b32_e64 v52, 0, v52, s0
	v_cmp_gt_i32_e64 s0, s36, v31
	s_wait_alu 0xf1ff
	v_cndmask_b32_e64 v48, 0, v48, s0
	v_cmp_gt_i32_e64 s0, s36, v30
	s_delay_alu instid0(VALU_DEP_2) | instskip(SKIP_1) | instid1(VALU_DEP_2)
	v_or_b32_e32 v54, v48, v52
	s_wait_alu 0xf1ff
	v_cndmask_b32_e64 v49, 0, v49, s0
	v_cmp_gt_i32_e64 s0, s36, v29
	s_wait_alu 0xf1ff
	s_delay_alu instid0(VALU_DEP_1) | instskip(NEXT) | instid1(VALU_DEP_1)
	v_cndmask_b32_e64 v9, 0, v9, s0
	v_or_b32_e32 v53, v9, v49
.LBB267_885:                            ;   in Loop: Header=BB267_554 Depth=1
	s_wait_alu 0xfffe
	s_or_b32 exec_lo, exec_lo, s18
	;;#ASMSTART
	v_pk_mul_f16 v1, v41, v55;

	;;#ASMEND
	;;#ASMSTART
	v_pk_mul_f16 v9, v40, v51;

	;;#ASMEND
	;; [unrolled: 4-line block ×4, first 2 shown]
	;;#ASMSTART
	v_pk_add_f16 v1, v1, v9;

	;;#ASMEND
	;;#ASMSTART
	v_pk_add_f16 v1, v1, v10;

	;;#ASMEND
	;; [unrolled: 4-line block ×3, first 2 shown]
	v_dual_mov_b32 v52, 0 :: v_dual_and_b32 v9, 0xffff, v1
	v_lshrrev_b32_e32 v1, 16, v1
	;;#ASMSTART
	v_cvt_f32_f16 v48, v9;
	;;#ASMEND
	;;#ASMSTART
	v_cvt_f32_f16 v49, v1;
	;;#ASMEND
	global_load_b64 v[9:10], v[7:8], off offset:1280
	v_mov_b32_e32 v51, 0
	s_mov_b32 s18, exec_lo
	global_load_b32 v50, v51, s[10:11]
	s_wait_loadcnt 0x1
	v_and_b32_e32 v1, 0xff, v9
	s_delay_alu instid0(VALU_DEP_1)
	v_cmpx_ne_u16_e32 0, v1
	s_cbranch_execz .LBB267_893
; %bb.886:                              ;   in Loop: Header=BB267_554 Depth=1
	v_mov_b32_e32 v52, 0x8000
	s_mov_b32 s19, exec_lo
	v_cmpx_ne_u16_e32 0x80, v1
	s_cbranch_execz .LBB267_892
; %bb.887:                              ;   in Loop: Header=BB267_554 Depth=1
	v_and_b32_e32 v53, 0x7f, v9
	v_mov_b32_e32 v52, 0x7c01
	s_mov_b32 s21, exec_lo
	s_delay_alu instid0(VALU_DEP_2)
	v_cmpx_ne_u32_e32 0x7f, v53
	s_cbranch_execz .LBB267_891
; %bb.888:                              ;   in Loop: Header=BB267_554 Depth=1
	v_and_b32_e32 v1, 7, v9
	v_lshrrev_b32_e32 v52, 3, v53
	s_mov_b32 s22, exec_lo
	v_cmpx_gt_u32_e32 8, v53
; %bb.889:                              ;   in Loop: Header=BB267_554 Depth=1
	s_delay_alu instid0(VALU_DEP_3) | instskip(NEXT) | instid1(VALU_DEP_1)
	v_clz_i32_u32_e32 v1, v1
	v_min_u32_e32 v1, 32, v1
	s_delay_alu instid0(VALU_DEP_1) | instskip(NEXT) | instid1(VALU_DEP_1)
	v_subrev_nc_u32_e32 v52, 28, v1
	v_lshlrev_b64_e32 v[53:54], v52, v[9:10]
	v_sub_nc_u32_e32 v52, 29, v1
	s_delay_alu instid0(VALU_DEP_2)
	v_and_b32_e32 v1, 7, v53
; %bb.890:                              ;   in Loop: Header=BB267_554 Depth=1
	s_wait_alu 0xfffe
	s_or_b32 exec_lo, exec_lo, s22
	v_lshlrev_b32_e32 v53, 8, v9
	v_lshl_add_u32 v52, v52, 10, 0x2000
	v_lshlrev_b32_e32 v1, 7, v1
	s_delay_alu instid0(VALU_DEP_3) | instskip(NEXT) | instid1(VALU_DEP_3)
	v_and_b32_e32 v53, 0x8000, v53
	v_and_b32_e32 v52, 0xfc00, v52
	s_delay_alu instid0(VALU_DEP_1)
	v_or3_b32 v52, v53, v52, v1
.LBB267_891:                            ;   in Loop: Header=BB267_554 Depth=1
	s_wait_alu 0xfffe
	s_or_b32 exec_lo, exec_lo, s21
.LBB267_892:                            ;   in Loop: Header=BB267_554 Depth=1
	s_wait_alu 0xfffe
	s_or_b32 exec_lo, exec_lo, s19
.LBB267_893:                            ;   in Loop: Header=BB267_554 Depth=1
	s_wait_alu 0xfffe
	s_or_b32 exec_lo, exec_lo, s18
	v_lshrrev_b16 v1, 8, v9
	s_mov_b32 s18, exec_lo
	s_delay_alu instid0(VALU_DEP_1)
	v_cmpx_ne_u16_e32 0, v1
	s_cbranch_execz .LBB267_901
; %bb.894:                              ;   in Loop: Header=BB267_554 Depth=1
	v_bfrev_b32_e32 v51, 1
	s_mov_b32 s19, exec_lo
	v_cmpx_ne_u16_e32 0x80, v1
	s_cbranch_execz .LBB267_900
; %bb.895:                              ;   in Loop: Header=BB267_554 Depth=1
	v_and_b32_e32 v53, 0xffff, v1
	v_mov_b32_e32 v51, 0x7c010000
	s_mov_b32 s21, exec_lo
	s_delay_alu instid0(VALU_DEP_2) | instskip(NEXT) | instid1(VALU_DEP_1)
	v_and_b32_e32 v55, 0x7f, v53
	v_cmpx_ne_u32_e32 0x7f, v55
	s_cbranch_execz .LBB267_899
; %bb.896:                              ;   in Loop: Header=BB267_554 Depth=1
	v_and_b32_e32 v51, 7, v53
	v_lshrrev_b32_e32 v54, 3, v55
	s_mov_b32 s22, exec_lo
	v_cmpx_gt_u32_e32 8, v55
; %bb.897:                              ;   in Loop: Header=BB267_554 Depth=1
	s_delay_alu instid0(VALU_DEP_3) | instskip(NEXT) | instid1(VALU_DEP_1)
	v_clz_i32_u32_e32 v51, v51
	v_min_u32_e32 v51, 32, v51
	s_delay_alu instid0(VALU_DEP_1) | instskip(NEXT) | instid1(VALU_DEP_1)
	v_subrev_nc_u32_e32 v54, 28, v51
	v_lshlrev_b64_e32 v[55:56], v54, v[1:2]
	v_sub_nc_u32_e32 v54, 29, v51
	s_delay_alu instid0(VALU_DEP_2)
	v_and_b32_e32 v51, 7, v55
; %bb.898:                              ;   in Loop: Header=BB267_554 Depth=1
	s_wait_alu 0xfffe
	s_or_b32 exec_lo, exec_lo, s22
	v_lshlrev_b32_e32 v1, 8, v53
	v_lshl_add_u32 v53, v54, 10, 0x2000
	v_lshlrev_b32_e32 v51, 23, v51
	s_delay_alu instid0(VALU_DEP_2) | instskip(NEXT) | instid1(VALU_DEP_1)
	v_and_or_b32 v1, 0x8000, v1, v53
	v_lshl_or_b32 v51, v1, 16, v51
.LBB267_899:                            ;   in Loop: Header=BB267_554 Depth=1
	s_wait_alu 0xfffe
	s_or_b32 exec_lo, exec_lo, s21
.LBB267_900:                            ;   in Loop: Header=BB267_554 Depth=1
	s_wait_alu 0xfffe
	s_or_b32 exec_lo, exec_lo, s19
.LBB267_901:                            ;   in Loop: Header=BB267_554 Depth=1
	s_wait_alu 0xfffe
	s_or_b32 exec_lo, exec_lo, s18
	v_lshrrev_b32_e32 v1, 16, v9
	v_mov_b32_e32 v53, 0
	s_mov_b32 s18, exec_lo
	s_delay_alu instid0(VALU_DEP_2) | instskip(NEXT) | instid1(VALU_DEP_1)
	v_dual_mov_b32 v54, 0 :: v_dual_and_b32 v55, 0xff, v1
	v_cmpx_ne_u16_e32 0, v55
	s_cbranch_execz .LBB267_909
; %bb.902:                              ;   in Loop: Header=BB267_554 Depth=1
	v_mov_b32_e32 v54, 0x8000
	s_mov_b32 s19, exec_lo
	v_cmpx_ne_u16_e32 0x80, v55
	s_cbranch_execz .LBB267_908
; %bb.903:                              ;   in Loop: Header=BB267_554 Depth=1
	v_bfe_u32 v56, v9, 16, 7
	v_mov_b32_e32 v54, 0x7c01
	s_mov_b32 s21, exec_lo
	s_delay_alu instid0(VALU_DEP_2)
	v_cmpx_ne_u32_e32 0x7f, v56
	s_cbranch_execz .LBB267_907
; %bb.904:                              ;   in Loop: Header=BB267_554 Depth=1
	v_and_b32_e32 v54, 7, v1
	v_lshrrev_b32_e32 v55, 3, v56
	s_mov_b32 s22, exec_lo
	v_cmpx_gt_u32_e32 8, v56
; %bb.905:                              ;   in Loop: Header=BB267_554 Depth=1
	s_delay_alu instid0(VALU_DEP_3) | instskip(NEXT) | instid1(VALU_DEP_1)
	v_clz_i32_u32_e32 v54, v54
	v_min_u32_e32 v56, 32, v54
	s_delay_alu instid0(VALU_DEP_1) | instskip(NEXT) | instid1(VALU_DEP_1)
	v_subrev_nc_u32_e32 v54, 28, v56
	v_lshlrev_b64_e32 v[54:55], v54, v[1:2]
	v_sub_nc_u32_e32 v55, 29, v56
	s_delay_alu instid0(VALU_DEP_2)
	v_and_b32_e32 v54, 7, v54
; %bb.906:                              ;   in Loop: Header=BB267_554 Depth=1
	s_wait_alu 0xfffe
	s_or_b32 exec_lo, exec_lo, s22
	v_lshlrev_b32_e32 v1, 8, v1
	v_lshl_add_u32 v55, v55, 10, 0x2000
	v_lshlrev_b32_e32 v54, 7, v54
	s_delay_alu instid0(VALU_DEP_3) | instskip(NEXT) | instid1(VALU_DEP_3)
	v_and_b32_e32 v1, 0x8000, v1
	v_and_b32_e32 v55, 0xfc00, v55
	s_delay_alu instid0(VALU_DEP_1)
	v_or3_b32 v54, v1, v55, v54
.LBB267_907:                            ;   in Loop: Header=BB267_554 Depth=1
	s_wait_alu 0xfffe
	s_or_b32 exec_lo, exec_lo, s21
.LBB267_908:                            ;   in Loop: Header=BB267_554 Depth=1
	s_wait_alu 0xfffe
	s_or_b32 exec_lo, exec_lo, s19
.LBB267_909:                            ;   in Loop: Header=BB267_554 Depth=1
	s_wait_alu 0xfffe
	s_or_b32 exec_lo, exec_lo, s18
	s_delay_alu instid0(SALU_CYCLE_1)
	s_mov_b32 s18, exec_lo
	v_cmpx_lt_u32_e32 0xffffff, v9
	s_cbranch_execz .LBB267_917
; %bb.910:                              ;   in Loop: Header=BB267_554 Depth=1
	v_lshrrev_b32_e32 v1, 24, v9
	v_bfrev_b32_e32 v53, 1
	s_mov_b32 s19, exec_lo
	s_delay_alu instid0(VALU_DEP_2)
	v_cmpx_ne_u32_e32 0x80, v1
	s_cbranch_execz .LBB267_916
; %bb.911:                              ;   in Loop: Header=BB267_554 Depth=1
	v_and_b32_e32 v56, 0x7f, v1
	v_mov_b32_e32 v53, 0x7c010000
	s_mov_b32 s21, exec_lo
	s_delay_alu instid0(VALU_DEP_2)
	v_cmpx_ne_u32_e32 0x7f, v56
	s_cbranch_execz .LBB267_915
; %bb.912:                              ;   in Loop: Header=BB267_554 Depth=1
	v_and_b32_e32 v53, 7, v1
	v_lshrrev_b32_e32 v55, 3, v56
	s_mov_b32 s22, exec_lo
	v_cmpx_gt_u32_e32 8, v56
; %bb.913:                              ;   in Loop: Header=BB267_554 Depth=1
	s_delay_alu instid0(VALU_DEP_3) | instskip(NEXT) | instid1(VALU_DEP_1)
	v_clz_i32_u32_e32 v53, v53
	v_min_u32_e32 v53, 32, v53
	s_delay_alu instid0(VALU_DEP_1) | instskip(NEXT) | instid1(VALU_DEP_1)
	v_subrev_nc_u32_e32 v55, 28, v53
	v_lshlrev_b64_e32 v[56:57], v55, v[1:2]
	v_sub_nc_u32_e32 v55, 29, v53
	s_delay_alu instid0(VALU_DEP_2)
	v_and_b32_e32 v53, 7, v56
; %bb.914:                              ;   in Loop: Header=BB267_554 Depth=1
	s_wait_alu 0xfffe
	s_or_b32 exec_lo, exec_lo, s22
	v_lshlrev_b32_e32 v1, 8, v1
	v_lshl_add_u32 v55, v55, 10, 0x2000
	v_lshlrev_b32_e32 v53, 23, v53
	s_delay_alu instid0(VALU_DEP_2) | instskip(NEXT) | instid1(VALU_DEP_1)
	v_and_or_b32 v1, 0x8000, v1, v55
	v_lshl_or_b32 v53, v1, 16, v53
.LBB267_915:                            ;   in Loop: Header=BB267_554 Depth=1
	s_wait_alu 0xfffe
	s_or_b32 exec_lo, exec_lo, s21
.LBB267_916:                            ;   in Loop: Header=BB267_554 Depth=1
	s_wait_alu 0xfffe
	s_or_b32 exec_lo, exec_lo, s19
.LBB267_917:                            ;   in Loop: Header=BB267_554 Depth=1
	s_wait_alu 0xfffe
	s_or_b32 exec_lo, exec_lo, s18
	v_dual_mov_b32 v56, 0 :: v_dual_and_b32 v57, 0xff, v10
	v_mov_b32_e32 v1, v10
	v_mov_b32_e32 v55, 0
	s_mov_b32 s18, exec_lo
	s_delay_alu instid0(VALU_DEP_3)
	v_cmpx_ne_u16_e32 0, v57
	s_cbranch_execz .LBB267_925
; %bb.918:                              ;   in Loop: Header=BB267_554 Depth=1
	v_mov_b32_e32 v56, 0x8000
	s_mov_b32 s19, exec_lo
	v_cmpx_ne_u16_e32 0x80, v57
	s_cbranch_execz .LBB267_924
; %bb.919:                              ;   in Loop: Header=BB267_554 Depth=1
	v_and_b32_e32 v58, 0x7f, v10
	v_mov_b32_e32 v56, 0x7c01
	s_mov_b32 s21, exec_lo
	s_delay_alu instid0(VALU_DEP_2)
	v_cmpx_ne_u32_e32 0x7f, v58
	s_cbranch_execz .LBB267_923
; %bb.920:                              ;   in Loop: Header=BB267_554 Depth=1
	v_and_b32_e32 v56, 7, v10
	v_lshrrev_b32_e32 v57, 3, v58
	s_mov_b32 s22, exec_lo
	v_cmpx_gt_u32_e32 8, v58
; %bb.921:                              ;   in Loop: Header=BB267_554 Depth=1
	s_delay_alu instid0(VALU_DEP_3) | instskip(NEXT) | instid1(VALU_DEP_1)
	v_clz_i32_u32_e32 v56, v56
	v_min_u32_e32 v58, 32, v56
	s_delay_alu instid0(VALU_DEP_1) | instskip(NEXT) | instid1(VALU_DEP_1)
	v_subrev_nc_u32_e32 v56, 28, v58
	v_lshlrev_b64_e32 v[56:57], v56, v[1:2]
	v_sub_nc_u32_e32 v57, 29, v58
	s_delay_alu instid0(VALU_DEP_2)
	v_and_b32_e32 v56, 7, v56
; %bb.922:                              ;   in Loop: Header=BB267_554 Depth=1
	s_wait_alu 0xfffe
	s_or_b32 exec_lo, exec_lo, s22
	v_lshlrev_b32_e32 v58, 8, v10
	v_lshl_add_u32 v57, v57, 10, 0x2000
	v_lshlrev_b32_e32 v56, 7, v56
	s_delay_alu instid0(VALU_DEP_3) | instskip(NEXT) | instid1(VALU_DEP_3)
	v_and_b32_e32 v58, 0x8000, v58
	v_and_b32_e32 v57, 0xfc00, v57
	s_delay_alu instid0(VALU_DEP_1)
	v_or3_b32 v56, v58, v57, v56
.LBB267_923:                            ;   in Loop: Header=BB267_554 Depth=1
	s_wait_alu 0xfffe
	s_or_b32 exec_lo, exec_lo, s21
.LBB267_924:                            ;   in Loop: Header=BB267_554 Depth=1
	s_wait_alu 0xfffe
	s_or_b32 exec_lo, exec_lo, s19
.LBB267_925:                            ;   in Loop: Header=BB267_554 Depth=1
	s_wait_alu 0xfffe
	s_or_b32 exec_lo, exec_lo, s18
	v_lshrrev_b16 v1, 8, v1
	v_mov_b32_e32 v57, 0
	s_mov_b32 s18, exec_lo
	s_delay_alu instid0(VALU_DEP_2)
	v_cmpx_ne_u16_e32 0, v1
	s_cbranch_execz .LBB267_933
; %bb.926:                              ;   in Loop: Header=BB267_554 Depth=1
	v_bfrev_b32_e32 v57, 1
	s_mov_b32 s19, exec_lo
	v_cmpx_ne_u16_e32 0x80, v1
	s_cbranch_execz .LBB267_932
; %bb.927:                              ;   in Loop: Header=BB267_554 Depth=1
	v_and_b32_e32 v58, 0xffff, v1
	v_mov_b32_e32 v57, 0x7c010000
	s_mov_b32 s21, exec_lo
	s_delay_alu instid0(VALU_DEP_2) | instskip(NEXT) | instid1(VALU_DEP_1)
	v_and_b32_e32 v60, 0x7f, v58
	v_cmpx_ne_u32_e32 0x7f, v60
	s_cbranch_execz .LBB267_931
; %bb.928:                              ;   in Loop: Header=BB267_554 Depth=1
	v_and_b32_e32 v57, 7, v58
	v_lshrrev_b32_e32 v59, 3, v60
	s_mov_b32 s22, exec_lo
	v_cmpx_gt_u32_e32 8, v60
; %bb.929:                              ;   in Loop: Header=BB267_554 Depth=1
	s_delay_alu instid0(VALU_DEP_3) | instskip(NEXT) | instid1(VALU_DEP_1)
	v_clz_i32_u32_e32 v57, v57
	v_min_u32_e32 v57, 32, v57
	s_delay_alu instid0(VALU_DEP_1) | instskip(NEXT) | instid1(VALU_DEP_1)
	v_subrev_nc_u32_e32 v59, 28, v57
	v_lshlrev_b64_e32 v[60:61], v59, v[1:2]
	v_sub_nc_u32_e32 v59, 29, v57
	s_delay_alu instid0(VALU_DEP_2)
	v_and_b32_e32 v57, 7, v60
; %bb.930:                              ;   in Loop: Header=BB267_554 Depth=1
	s_wait_alu 0xfffe
	s_or_b32 exec_lo, exec_lo, s22
	v_lshlrev_b32_e32 v1, 8, v58
	v_lshl_add_u32 v58, v59, 10, 0x2000
	v_lshlrev_b32_e32 v57, 23, v57
	s_delay_alu instid0(VALU_DEP_2) | instskip(NEXT) | instid1(VALU_DEP_1)
	v_and_or_b32 v1, 0x8000, v1, v58
	v_lshl_or_b32 v57, v1, 16, v57
.LBB267_931:                            ;   in Loop: Header=BB267_554 Depth=1
	s_wait_alu 0xfffe
	s_or_b32 exec_lo, exec_lo, s21
.LBB267_932:                            ;   in Loop: Header=BB267_554 Depth=1
	s_wait_alu 0xfffe
	s_or_b32 exec_lo, exec_lo, s19
.LBB267_933:                            ;   in Loop: Header=BB267_554 Depth=1
	s_wait_alu 0xfffe
	s_or_b32 exec_lo, exec_lo, s18
	v_lshrrev_b32_e32 v1, 16, v10
	s_mov_b32 s18, exec_lo
	s_delay_alu instid0(VALU_DEP_1) | instskip(NEXT) | instid1(VALU_DEP_1)
	v_and_b32_e32 v58, 0xff, v1
	v_cmpx_ne_u16_e32 0, v58
	s_cbranch_execz .LBB267_941
; %bb.934:                              ;   in Loop: Header=BB267_554 Depth=1
	v_mov_b32_e32 v55, 0x8000
	s_mov_b32 s19, exec_lo
	v_cmpx_ne_u16_e32 0x80, v58
	s_cbranch_execz .LBB267_940
; %bb.935:                              ;   in Loop: Header=BB267_554 Depth=1
	v_bfe_u32 v59, v10, 16, 7
	v_mov_b32_e32 v55, 0x7c01
	s_mov_b32 s21, exec_lo
	s_delay_alu instid0(VALU_DEP_2)
	v_cmpx_ne_u32_e32 0x7f, v59
	s_cbranch_execz .LBB267_939
; %bb.936:                              ;   in Loop: Header=BB267_554 Depth=1
	v_and_b32_e32 v55, 7, v1
	v_lshrrev_b32_e32 v58, 3, v59
	s_mov_b32 s22, exec_lo
	v_cmpx_gt_u32_e32 8, v59
; %bb.937:                              ;   in Loop: Header=BB267_554 Depth=1
	s_delay_alu instid0(VALU_DEP_3) | instskip(NEXT) | instid1(VALU_DEP_1)
	v_clz_i32_u32_e32 v55, v55
	v_min_u32_e32 v55, 32, v55
	s_delay_alu instid0(VALU_DEP_1) | instskip(NEXT) | instid1(VALU_DEP_1)
	v_subrev_nc_u32_e32 v58, 28, v55
	v_lshlrev_b64_e32 v[59:60], v58, v[1:2]
	v_sub_nc_u32_e32 v58, 29, v55
	s_delay_alu instid0(VALU_DEP_2)
	v_and_b32_e32 v55, 7, v59
; %bb.938:                              ;   in Loop: Header=BB267_554 Depth=1
	s_wait_alu 0xfffe
	s_or_b32 exec_lo, exec_lo, s22
	v_lshlrev_b32_e32 v1, 8, v1
	v_lshl_add_u32 v58, v58, 10, 0x2000
	v_lshlrev_b32_e32 v55, 7, v55
	s_delay_alu instid0(VALU_DEP_3) | instskip(NEXT) | instid1(VALU_DEP_3)
	v_and_b32_e32 v1, 0x8000, v1
	v_and_b32_e32 v58, 0xfc00, v58
	s_delay_alu instid0(VALU_DEP_1)
	v_or3_b32 v55, v1, v58, v55
.LBB267_939:                            ;   in Loop: Header=BB267_554 Depth=1
	s_wait_alu 0xfffe
	s_or_b32 exec_lo, exec_lo, s21
.LBB267_940:                            ;   in Loop: Header=BB267_554 Depth=1
	s_wait_alu 0xfffe
	s_or_b32 exec_lo, exec_lo, s19
.LBB267_941:                            ;   in Loop: Header=BB267_554 Depth=1
	s_wait_alu 0xfffe
	s_or_b32 exec_lo, exec_lo, s18
	v_cmp_lt_u64_e64 s0, s[8:9], v[9:10]
	v_mov_b32_e32 v9, 0
	s_and_saveexec_b32 s18, s0
	s_cbranch_execz .LBB267_949
; %bb.942:                              ;   in Loop: Header=BB267_554 Depth=1
	v_lshrrev_b32_e32 v1, 24, v10
	v_bfrev_b32_e32 v9, 1
	s_mov_b32 s19, exec_lo
	s_delay_alu instid0(VALU_DEP_2)
	v_cmpx_ne_u32_e32 0x80, v1
	s_cbranch_execz .LBB267_948
; %bb.943:                              ;   in Loop: Header=BB267_554 Depth=1
	v_and_b32_e32 v58, 0x7f, v1
	v_mov_b32_e32 v9, 0x7c010000
	s_mov_b32 s21, exec_lo
	s_delay_alu instid0(VALU_DEP_2)
	v_cmpx_ne_u32_e32 0x7f, v58
	s_cbranch_execz .LBB267_947
; %bb.944:                              ;   in Loop: Header=BB267_554 Depth=1
	v_and_b32_e32 v9, 7, v1
	v_lshrrev_b32_e32 v10, 3, v58
	s_mov_b32 s22, exec_lo
	v_cmpx_gt_u32_e32 8, v58
; %bb.945:                              ;   in Loop: Header=BB267_554 Depth=1
	s_delay_alu instid0(VALU_DEP_3) | instskip(NEXT) | instid1(VALU_DEP_1)
	v_clz_i32_u32_e32 v9, v9
	v_min_u32_e32 v58, 32, v9
	s_delay_alu instid0(VALU_DEP_1) | instskip(NEXT) | instid1(VALU_DEP_1)
	v_subrev_nc_u32_e32 v9, 28, v58
	v_lshlrev_b64_e32 v[9:10], v9, v[1:2]
	v_sub_nc_u32_e32 v10, 29, v58
	s_delay_alu instid0(VALU_DEP_2)
	v_and_b32_e32 v9, 7, v9
; %bb.946:                              ;   in Loop: Header=BB267_554 Depth=1
	s_wait_alu 0xfffe
	s_or_b32 exec_lo, exec_lo, s22
	v_lshlrev_b32_e32 v1, 8, v1
	v_lshl_add_u32 v10, v10, 10, 0x2000
	v_lshlrev_b32_e32 v9, 23, v9
	s_delay_alu instid0(VALU_DEP_2) | instskip(NEXT) | instid1(VALU_DEP_1)
	v_and_or_b32 v1, 0x8000, v1, v10
	v_lshl_or_b32 v9, v1, 16, v9
.LBB267_947:                            ;   in Loop: Header=BB267_554 Depth=1
	s_wait_alu 0xfffe
	s_or_b32 exec_lo, exec_lo, s21
.LBB267_948:                            ;   in Loop: Header=BB267_554 Depth=1
	s_wait_alu 0xfffe
	s_or_b32 exec_lo, exec_lo, s19
.LBB267_949:                            ;   in Loop: Header=BB267_554 Depth=1
	s_wait_alu 0xfffe
	s_or_b32 exec_lo, exec_lo, s18
	v_or_b32_e32 v1, v53, v54
	s_wait_loadcnt 0x0
	v_fma_mixlo_f16 v10, v50, v53, 0 op_sel:[0,1,0] op_sel_hi:[0,1,0]
	v_or_b32_e32 v53, v51, v52
	v_fma_mixlo_f16 v51, v50, v51, 0 op_sel:[0,1,0] op_sel_hi:[0,1,0]
	v_or_b32_e32 v54, v57, v56
	v_or_b32_e32 v55, v9, v55
	v_fma_mixlo_f16 v56, v50, v1, 0 op_sel_hi:[0,1,0]
	v_fma_mixlo_f16 v9, v50, v9, 0 op_sel:[0,1,0] op_sel_hi:[0,1,0]
	v_lshlrev_b32_e32 v52, 16, v51
	v_fma_mixlo_f16 v51, v50, v53, 0 op_sel_hi:[0,1,0]
	v_fma_mixlo_f16 v53, v50, v57, 0 op_sel:[0,1,0] op_sel_hi:[0,1,0]
	v_fma_mixlo_f16 v54, v50, v54, 0 op_sel_hi:[0,1,0]
	v_fma_mixlo_f16 v55, v50, v55, 0 op_sel_hi:[0,1,0]
	v_lshlrev_b32_e32 v1, 16, v10
	v_and_b32_e32 v10, 0xffff, v56
	v_and_b32_e32 v58, 0xffff, v51
	v_lshlrev_b32_e32 v50, 16, v53
	v_and_b32_e32 v54, 0xffff, v54
	v_lshlrev_b32_e32 v9, 16, v9
	v_and_b32_e32 v51, 0xffff, v55
	v_or_b32_e32 v53, v1, v10
	v_or_b32_e32 v57, v52, v58
	;; [unrolled: 1-line block ×3, first 2 shown]
	s_delay_alu instid0(VALU_DEP_4)
	v_or_b32_e32 v55, v9, v51
	s_and_saveexec_b32 s18, vcc_lo
	s_cbranch_execz .LBB267_951
; %bb.950:                              ;   in Loop: Header=BB267_554 Depth=1
	v_cmp_gt_i32_e64 s0, s36, v28
	s_wait_alu 0xf1ff
	s_delay_alu instid0(VALU_DEP_1) | instskip(SKIP_2) | instid1(VALU_DEP_1)
	v_cndmask_b32_e64 v53, 0, v58, s0
	v_cmp_gt_i32_e64 s0, s36, v36
	s_wait_alu 0xf1ff
	v_cndmask_b32_e64 v52, 0, v52, s0
	v_cmp_gt_i32_e64 s0, s36, v34
	s_delay_alu instid0(VALU_DEP_2) | instskip(SKIP_1) | instid1(VALU_DEP_2)
	v_or_b32_e32 v57, v52, v53
	s_wait_alu 0xf1ff
	v_cndmask_b32_e64 v10, 0, v10, s0
	v_cmp_gt_i32_e64 s0, s36, v33
	s_wait_alu 0xf1ff
	s_delay_alu instid0(VALU_DEP_1) | instskip(SKIP_1) | instid1(VALU_DEP_2)
	v_cndmask_b32_e64 v1, 0, v1, s0
	v_cmp_gt_i32_e64 s0, s36, v32
	v_or_b32_e32 v53, v1, v10
	s_wait_alu 0xf1ff
	s_delay_alu instid0(VALU_DEP_2) | instskip(SKIP_2) | instid1(VALU_DEP_1)
	v_cndmask_b32_e64 v54, 0, v54, s0
	v_cmp_gt_i32_e64 s0, s36, v31
	s_wait_alu 0xf1ff
	v_cndmask_b32_e64 v50, 0, v50, s0
	v_cmp_gt_i32_e64 s0, s36, v30
	s_delay_alu instid0(VALU_DEP_2) | instskip(SKIP_1) | instid1(VALU_DEP_2)
	v_or_b32_e32 v56, v50, v54
	s_wait_alu 0xf1ff
	v_cndmask_b32_e64 v51, 0, v51, s0
	v_cmp_gt_i32_e64 s0, s36, v29
	s_wait_alu 0xf1ff
	s_delay_alu instid0(VALU_DEP_1) | instskip(NEXT) | instid1(VALU_DEP_1)
	v_cndmask_b32_e64 v9, 0, v9, s0
	v_or_b32_e32 v55, v9, v51
.LBB267_951:                            ;   in Loop: Header=BB267_554 Depth=1
	s_wait_alu 0xfffe
	s_or_b32 exec_lo, exec_lo, s18
	;;#ASMSTART
	v_pk_mul_f16 v1, v41, v57;

	;;#ASMEND
	;;#ASMSTART
	v_pk_mul_f16 v9, v40, v53;

	;;#ASMEND
	;; [unrolled: 4-line block ×4, first 2 shown]
	;;#ASMSTART
	v_pk_add_f16 v1, v1, v9;

	;;#ASMEND
	;;#ASMSTART
	v_pk_add_f16 v1, v1, v10;

	;;#ASMEND
	;; [unrolled: 4-line block ×3, first 2 shown]
	v_dual_mov_b32 v54, 0 :: v_dual_and_b32 v9, 0xffff, v1
	v_lshrrev_b32_e32 v1, 16, v1
	;;#ASMSTART
	v_cvt_f32_f16 v50, v9;
	;;#ASMEND
	;;#ASMSTART
	v_cvt_f32_f16 v51, v1;
	;;#ASMEND
	global_load_b64 v[9:10], v[7:8], off offset:1536
	v_mov_b32_e32 v53, 0
	s_mov_b32 s18, exec_lo
	global_load_b32 v52, v53, s[10:11]
	s_wait_loadcnt 0x1
	v_and_b32_e32 v1, 0xff, v9
	s_delay_alu instid0(VALU_DEP_1)
	v_cmpx_ne_u16_e32 0, v1
	s_cbranch_execz .LBB267_959
; %bb.952:                              ;   in Loop: Header=BB267_554 Depth=1
	v_mov_b32_e32 v54, 0x8000
	s_mov_b32 s19, exec_lo
	v_cmpx_ne_u16_e32 0x80, v1
	s_cbranch_execz .LBB267_958
; %bb.953:                              ;   in Loop: Header=BB267_554 Depth=1
	v_and_b32_e32 v55, 0x7f, v9
	v_mov_b32_e32 v54, 0x7c01
	s_mov_b32 s21, exec_lo
	s_delay_alu instid0(VALU_DEP_2)
	v_cmpx_ne_u32_e32 0x7f, v55
	s_cbranch_execz .LBB267_957
; %bb.954:                              ;   in Loop: Header=BB267_554 Depth=1
	v_and_b32_e32 v1, 7, v9
	v_lshrrev_b32_e32 v54, 3, v55
	s_mov_b32 s22, exec_lo
	v_cmpx_gt_u32_e32 8, v55
; %bb.955:                              ;   in Loop: Header=BB267_554 Depth=1
	s_delay_alu instid0(VALU_DEP_3) | instskip(NEXT) | instid1(VALU_DEP_1)
	v_clz_i32_u32_e32 v1, v1
	v_min_u32_e32 v1, 32, v1
	s_delay_alu instid0(VALU_DEP_1) | instskip(NEXT) | instid1(VALU_DEP_1)
	v_subrev_nc_u32_e32 v54, 28, v1
	v_lshlrev_b64_e32 v[55:56], v54, v[9:10]
	v_sub_nc_u32_e32 v54, 29, v1
	s_delay_alu instid0(VALU_DEP_2)
	v_and_b32_e32 v1, 7, v55
; %bb.956:                              ;   in Loop: Header=BB267_554 Depth=1
	s_wait_alu 0xfffe
	s_or_b32 exec_lo, exec_lo, s22
	v_lshlrev_b32_e32 v55, 8, v9
	v_lshl_add_u32 v54, v54, 10, 0x2000
	v_lshlrev_b32_e32 v1, 7, v1
	s_delay_alu instid0(VALU_DEP_3) | instskip(NEXT) | instid1(VALU_DEP_3)
	v_and_b32_e32 v55, 0x8000, v55
	v_and_b32_e32 v54, 0xfc00, v54
	s_delay_alu instid0(VALU_DEP_1)
	v_or3_b32 v54, v55, v54, v1
.LBB267_957:                            ;   in Loop: Header=BB267_554 Depth=1
	s_wait_alu 0xfffe
	s_or_b32 exec_lo, exec_lo, s21
.LBB267_958:                            ;   in Loop: Header=BB267_554 Depth=1
	s_wait_alu 0xfffe
	s_or_b32 exec_lo, exec_lo, s19
.LBB267_959:                            ;   in Loop: Header=BB267_554 Depth=1
	s_wait_alu 0xfffe
	s_or_b32 exec_lo, exec_lo, s18
	v_lshrrev_b16 v1, 8, v9
	s_mov_b32 s18, exec_lo
	s_delay_alu instid0(VALU_DEP_1)
	v_cmpx_ne_u16_e32 0, v1
	s_cbranch_execz .LBB267_967
; %bb.960:                              ;   in Loop: Header=BB267_554 Depth=1
	v_bfrev_b32_e32 v53, 1
	s_mov_b32 s19, exec_lo
	v_cmpx_ne_u16_e32 0x80, v1
	s_cbranch_execz .LBB267_966
; %bb.961:                              ;   in Loop: Header=BB267_554 Depth=1
	v_and_b32_e32 v55, 0xffff, v1
	v_mov_b32_e32 v53, 0x7c010000
	s_mov_b32 s21, exec_lo
	s_delay_alu instid0(VALU_DEP_2) | instskip(NEXT) | instid1(VALU_DEP_1)
	v_and_b32_e32 v57, 0x7f, v55
	v_cmpx_ne_u32_e32 0x7f, v57
	s_cbranch_execz .LBB267_965
; %bb.962:                              ;   in Loop: Header=BB267_554 Depth=1
	v_and_b32_e32 v53, 7, v55
	v_lshrrev_b32_e32 v56, 3, v57
	s_mov_b32 s22, exec_lo
	v_cmpx_gt_u32_e32 8, v57
; %bb.963:                              ;   in Loop: Header=BB267_554 Depth=1
	s_delay_alu instid0(VALU_DEP_3) | instskip(NEXT) | instid1(VALU_DEP_1)
	v_clz_i32_u32_e32 v53, v53
	v_min_u32_e32 v53, 32, v53
	s_delay_alu instid0(VALU_DEP_1) | instskip(NEXT) | instid1(VALU_DEP_1)
	v_subrev_nc_u32_e32 v56, 28, v53
	v_lshlrev_b64_e32 v[57:58], v56, v[1:2]
	v_sub_nc_u32_e32 v56, 29, v53
	s_delay_alu instid0(VALU_DEP_2)
	v_and_b32_e32 v53, 7, v57
; %bb.964:                              ;   in Loop: Header=BB267_554 Depth=1
	s_wait_alu 0xfffe
	s_or_b32 exec_lo, exec_lo, s22
	v_lshlrev_b32_e32 v1, 8, v55
	v_lshl_add_u32 v55, v56, 10, 0x2000
	v_lshlrev_b32_e32 v53, 23, v53
	s_delay_alu instid0(VALU_DEP_2) | instskip(NEXT) | instid1(VALU_DEP_1)
	v_and_or_b32 v1, 0x8000, v1, v55
	v_lshl_or_b32 v53, v1, 16, v53
.LBB267_965:                            ;   in Loop: Header=BB267_554 Depth=1
	s_wait_alu 0xfffe
	s_or_b32 exec_lo, exec_lo, s21
.LBB267_966:                            ;   in Loop: Header=BB267_554 Depth=1
	s_wait_alu 0xfffe
	s_or_b32 exec_lo, exec_lo, s19
.LBB267_967:                            ;   in Loop: Header=BB267_554 Depth=1
	s_wait_alu 0xfffe
	s_or_b32 exec_lo, exec_lo, s18
	v_lshrrev_b32_e32 v1, 16, v9
	v_mov_b32_e32 v55, 0
	s_mov_b32 s18, exec_lo
	s_delay_alu instid0(VALU_DEP_2) | instskip(NEXT) | instid1(VALU_DEP_1)
	v_dual_mov_b32 v56, 0 :: v_dual_and_b32 v57, 0xff, v1
	v_cmpx_ne_u16_e32 0, v57
	s_cbranch_execz .LBB267_975
; %bb.968:                              ;   in Loop: Header=BB267_554 Depth=1
	v_mov_b32_e32 v56, 0x8000
	s_mov_b32 s19, exec_lo
	v_cmpx_ne_u16_e32 0x80, v57
	s_cbranch_execz .LBB267_974
; %bb.969:                              ;   in Loop: Header=BB267_554 Depth=1
	v_bfe_u32 v58, v9, 16, 7
	v_mov_b32_e32 v56, 0x7c01
	s_mov_b32 s21, exec_lo
	s_delay_alu instid0(VALU_DEP_2)
	v_cmpx_ne_u32_e32 0x7f, v58
	s_cbranch_execz .LBB267_973
; %bb.970:                              ;   in Loop: Header=BB267_554 Depth=1
	v_and_b32_e32 v56, 7, v1
	v_lshrrev_b32_e32 v57, 3, v58
	s_mov_b32 s22, exec_lo
	v_cmpx_gt_u32_e32 8, v58
; %bb.971:                              ;   in Loop: Header=BB267_554 Depth=1
	s_delay_alu instid0(VALU_DEP_3) | instskip(NEXT) | instid1(VALU_DEP_1)
	v_clz_i32_u32_e32 v56, v56
	v_min_u32_e32 v58, 32, v56
	s_delay_alu instid0(VALU_DEP_1) | instskip(NEXT) | instid1(VALU_DEP_1)
	v_subrev_nc_u32_e32 v56, 28, v58
	v_lshlrev_b64_e32 v[56:57], v56, v[1:2]
	v_sub_nc_u32_e32 v57, 29, v58
	s_delay_alu instid0(VALU_DEP_2)
	v_and_b32_e32 v56, 7, v56
; %bb.972:                              ;   in Loop: Header=BB267_554 Depth=1
	s_wait_alu 0xfffe
	s_or_b32 exec_lo, exec_lo, s22
	v_lshlrev_b32_e32 v1, 8, v1
	v_lshl_add_u32 v57, v57, 10, 0x2000
	v_lshlrev_b32_e32 v56, 7, v56
	s_delay_alu instid0(VALU_DEP_3) | instskip(NEXT) | instid1(VALU_DEP_3)
	v_and_b32_e32 v1, 0x8000, v1
	v_and_b32_e32 v57, 0xfc00, v57
	s_delay_alu instid0(VALU_DEP_1)
	v_or3_b32 v56, v1, v57, v56
.LBB267_973:                            ;   in Loop: Header=BB267_554 Depth=1
	s_wait_alu 0xfffe
	s_or_b32 exec_lo, exec_lo, s21
.LBB267_974:                            ;   in Loop: Header=BB267_554 Depth=1
	s_wait_alu 0xfffe
	s_or_b32 exec_lo, exec_lo, s19
.LBB267_975:                            ;   in Loop: Header=BB267_554 Depth=1
	s_wait_alu 0xfffe
	s_or_b32 exec_lo, exec_lo, s18
	s_delay_alu instid0(SALU_CYCLE_1)
	s_mov_b32 s18, exec_lo
	v_cmpx_lt_u32_e32 0xffffff, v9
	s_cbranch_execz .LBB267_983
; %bb.976:                              ;   in Loop: Header=BB267_554 Depth=1
	v_lshrrev_b32_e32 v1, 24, v9
	v_bfrev_b32_e32 v55, 1
	s_mov_b32 s19, exec_lo
	s_delay_alu instid0(VALU_DEP_2)
	v_cmpx_ne_u32_e32 0x80, v1
	s_cbranch_execz .LBB267_982
; %bb.977:                              ;   in Loop: Header=BB267_554 Depth=1
	v_and_b32_e32 v58, 0x7f, v1
	v_mov_b32_e32 v55, 0x7c010000
	s_mov_b32 s21, exec_lo
	s_delay_alu instid0(VALU_DEP_2)
	v_cmpx_ne_u32_e32 0x7f, v58
	s_cbranch_execz .LBB267_981
; %bb.978:                              ;   in Loop: Header=BB267_554 Depth=1
	v_and_b32_e32 v55, 7, v1
	v_lshrrev_b32_e32 v57, 3, v58
	s_mov_b32 s22, exec_lo
	v_cmpx_gt_u32_e32 8, v58
; %bb.979:                              ;   in Loop: Header=BB267_554 Depth=1
	s_delay_alu instid0(VALU_DEP_3) | instskip(NEXT) | instid1(VALU_DEP_1)
	v_clz_i32_u32_e32 v55, v55
	v_min_u32_e32 v55, 32, v55
	s_delay_alu instid0(VALU_DEP_1) | instskip(NEXT) | instid1(VALU_DEP_1)
	v_subrev_nc_u32_e32 v57, 28, v55
	v_lshlrev_b64_e32 v[58:59], v57, v[1:2]
	v_sub_nc_u32_e32 v57, 29, v55
	s_delay_alu instid0(VALU_DEP_2)
	v_and_b32_e32 v55, 7, v58
; %bb.980:                              ;   in Loop: Header=BB267_554 Depth=1
	s_wait_alu 0xfffe
	s_or_b32 exec_lo, exec_lo, s22
	v_lshlrev_b32_e32 v1, 8, v1
	v_lshl_add_u32 v57, v57, 10, 0x2000
	v_lshlrev_b32_e32 v55, 23, v55
	s_delay_alu instid0(VALU_DEP_2) | instskip(NEXT) | instid1(VALU_DEP_1)
	v_and_or_b32 v1, 0x8000, v1, v57
	v_lshl_or_b32 v55, v1, 16, v55
.LBB267_981:                            ;   in Loop: Header=BB267_554 Depth=1
	s_wait_alu 0xfffe
	s_or_b32 exec_lo, exec_lo, s21
.LBB267_982:                            ;   in Loop: Header=BB267_554 Depth=1
	s_wait_alu 0xfffe
	s_or_b32 exec_lo, exec_lo, s19
.LBB267_983:                            ;   in Loop: Header=BB267_554 Depth=1
	s_wait_alu 0xfffe
	s_or_b32 exec_lo, exec_lo, s18
	v_dual_mov_b32 v58, 0 :: v_dual_and_b32 v59, 0xff, v10
	v_mov_b32_e32 v1, v10
	v_mov_b32_e32 v57, 0
	s_mov_b32 s18, exec_lo
	s_delay_alu instid0(VALU_DEP_3)
	v_cmpx_ne_u16_e32 0, v59
	s_cbranch_execz .LBB267_991
; %bb.984:                              ;   in Loop: Header=BB267_554 Depth=1
	v_mov_b32_e32 v58, 0x8000
	s_mov_b32 s19, exec_lo
	v_cmpx_ne_u16_e32 0x80, v59
	s_cbranch_execz .LBB267_990
; %bb.985:                              ;   in Loop: Header=BB267_554 Depth=1
	v_and_b32_e32 v60, 0x7f, v10
	v_mov_b32_e32 v58, 0x7c01
	s_mov_b32 s21, exec_lo
	s_delay_alu instid0(VALU_DEP_2)
	v_cmpx_ne_u32_e32 0x7f, v60
	s_cbranch_execz .LBB267_989
; %bb.986:                              ;   in Loop: Header=BB267_554 Depth=1
	v_and_b32_e32 v58, 7, v10
	v_lshrrev_b32_e32 v59, 3, v60
	s_mov_b32 s22, exec_lo
	v_cmpx_gt_u32_e32 8, v60
; %bb.987:                              ;   in Loop: Header=BB267_554 Depth=1
	s_delay_alu instid0(VALU_DEP_3) | instskip(NEXT) | instid1(VALU_DEP_1)
	v_clz_i32_u32_e32 v58, v58
	v_min_u32_e32 v60, 32, v58
	s_delay_alu instid0(VALU_DEP_1) | instskip(NEXT) | instid1(VALU_DEP_1)
	v_subrev_nc_u32_e32 v58, 28, v60
	v_lshlrev_b64_e32 v[58:59], v58, v[1:2]
	v_sub_nc_u32_e32 v59, 29, v60
	s_delay_alu instid0(VALU_DEP_2)
	v_and_b32_e32 v58, 7, v58
; %bb.988:                              ;   in Loop: Header=BB267_554 Depth=1
	s_wait_alu 0xfffe
	s_or_b32 exec_lo, exec_lo, s22
	v_lshlrev_b32_e32 v60, 8, v10
	v_lshl_add_u32 v59, v59, 10, 0x2000
	v_lshlrev_b32_e32 v58, 7, v58
	s_delay_alu instid0(VALU_DEP_3) | instskip(NEXT) | instid1(VALU_DEP_3)
	v_and_b32_e32 v60, 0x8000, v60
	v_and_b32_e32 v59, 0xfc00, v59
	s_delay_alu instid0(VALU_DEP_1)
	v_or3_b32 v58, v60, v59, v58
.LBB267_989:                            ;   in Loop: Header=BB267_554 Depth=1
	s_wait_alu 0xfffe
	s_or_b32 exec_lo, exec_lo, s21
.LBB267_990:                            ;   in Loop: Header=BB267_554 Depth=1
	s_wait_alu 0xfffe
	s_or_b32 exec_lo, exec_lo, s19
.LBB267_991:                            ;   in Loop: Header=BB267_554 Depth=1
	s_wait_alu 0xfffe
	s_or_b32 exec_lo, exec_lo, s18
	v_lshrrev_b16 v1, 8, v1
	v_mov_b32_e32 v59, 0
	s_mov_b32 s18, exec_lo
	s_delay_alu instid0(VALU_DEP_2)
	v_cmpx_ne_u16_e32 0, v1
	s_cbranch_execz .LBB267_999
; %bb.992:                              ;   in Loop: Header=BB267_554 Depth=1
	v_bfrev_b32_e32 v59, 1
	s_mov_b32 s19, exec_lo
	v_cmpx_ne_u16_e32 0x80, v1
	s_cbranch_execz .LBB267_998
; %bb.993:                              ;   in Loop: Header=BB267_554 Depth=1
	v_and_b32_e32 v60, 0xffff, v1
	v_mov_b32_e32 v59, 0x7c010000
	s_mov_b32 s21, exec_lo
	s_delay_alu instid0(VALU_DEP_2) | instskip(NEXT) | instid1(VALU_DEP_1)
	v_and_b32_e32 v62, 0x7f, v60
	v_cmpx_ne_u32_e32 0x7f, v62
	s_cbranch_execz .LBB267_997
; %bb.994:                              ;   in Loop: Header=BB267_554 Depth=1
	v_and_b32_e32 v59, 7, v60
	v_lshrrev_b32_e32 v61, 3, v62
	s_mov_b32 s22, exec_lo
	v_cmpx_gt_u32_e32 8, v62
; %bb.995:                              ;   in Loop: Header=BB267_554 Depth=1
	s_delay_alu instid0(VALU_DEP_3) | instskip(NEXT) | instid1(VALU_DEP_1)
	v_clz_i32_u32_e32 v59, v59
	v_min_u32_e32 v59, 32, v59
	s_delay_alu instid0(VALU_DEP_1) | instskip(NEXT) | instid1(VALU_DEP_1)
	v_subrev_nc_u32_e32 v61, 28, v59
	v_lshlrev_b64_e32 v[62:63], v61, v[1:2]
	v_sub_nc_u32_e32 v61, 29, v59
	s_delay_alu instid0(VALU_DEP_2)
	v_and_b32_e32 v59, 7, v62
; %bb.996:                              ;   in Loop: Header=BB267_554 Depth=1
	s_wait_alu 0xfffe
	s_or_b32 exec_lo, exec_lo, s22
	v_lshlrev_b32_e32 v1, 8, v60
	v_lshl_add_u32 v60, v61, 10, 0x2000
	v_lshlrev_b32_e32 v59, 23, v59
	s_delay_alu instid0(VALU_DEP_2) | instskip(NEXT) | instid1(VALU_DEP_1)
	v_and_or_b32 v1, 0x8000, v1, v60
	v_lshl_or_b32 v59, v1, 16, v59
.LBB267_997:                            ;   in Loop: Header=BB267_554 Depth=1
	s_wait_alu 0xfffe
	s_or_b32 exec_lo, exec_lo, s21
.LBB267_998:                            ;   in Loop: Header=BB267_554 Depth=1
	s_wait_alu 0xfffe
	s_or_b32 exec_lo, exec_lo, s19
.LBB267_999:                            ;   in Loop: Header=BB267_554 Depth=1
	s_wait_alu 0xfffe
	s_or_b32 exec_lo, exec_lo, s18
	v_lshrrev_b32_e32 v1, 16, v10
	s_mov_b32 s18, exec_lo
	s_delay_alu instid0(VALU_DEP_1) | instskip(NEXT) | instid1(VALU_DEP_1)
	v_and_b32_e32 v60, 0xff, v1
	v_cmpx_ne_u16_e32 0, v60
	s_cbranch_execz .LBB267_1007
; %bb.1000:                             ;   in Loop: Header=BB267_554 Depth=1
	v_mov_b32_e32 v57, 0x8000
	s_mov_b32 s19, exec_lo
	v_cmpx_ne_u16_e32 0x80, v60
	s_cbranch_execz .LBB267_1006
; %bb.1001:                             ;   in Loop: Header=BB267_554 Depth=1
	v_bfe_u32 v61, v10, 16, 7
	v_mov_b32_e32 v57, 0x7c01
	s_mov_b32 s21, exec_lo
	s_delay_alu instid0(VALU_DEP_2)
	v_cmpx_ne_u32_e32 0x7f, v61
	s_cbranch_execz .LBB267_1005
; %bb.1002:                             ;   in Loop: Header=BB267_554 Depth=1
	v_and_b32_e32 v57, 7, v1
	v_lshrrev_b32_e32 v60, 3, v61
	s_mov_b32 s22, exec_lo
	v_cmpx_gt_u32_e32 8, v61
; %bb.1003:                             ;   in Loop: Header=BB267_554 Depth=1
	s_delay_alu instid0(VALU_DEP_3) | instskip(NEXT) | instid1(VALU_DEP_1)
	v_clz_i32_u32_e32 v57, v57
	v_min_u32_e32 v57, 32, v57
	s_delay_alu instid0(VALU_DEP_1) | instskip(NEXT) | instid1(VALU_DEP_1)
	v_subrev_nc_u32_e32 v60, 28, v57
	v_lshlrev_b64_e32 v[61:62], v60, v[1:2]
	v_sub_nc_u32_e32 v60, 29, v57
	s_delay_alu instid0(VALU_DEP_2)
	v_and_b32_e32 v57, 7, v61
; %bb.1004:                             ;   in Loop: Header=BB267_554 Depth=1
	s_wait_alu 0xfffe
	s_or_b32 exec_lo, exec_lo, s22
	v_lshlrev_b32_e32 v1, 8, v1
	v_lshl_add_u32 v60, v60, 10, 0x2000
	v_lshlrev_b32_e32 v57, 7, v57
	s_delay_alu instid0(VALU_DEP_3) | instskip(NEXT) | instid1(VALU_DEP_3)
	v_and_b32_e32 v1, 0x8000, v1
	v_and_b32_e32 v60, 0xfc00, v60
	s_delay_alu instid0(VALU_DEP_1)
	v_or3_b32 v57, v1, v60, v57
.LBB267_1005:                           ;   in Loop: Header=BB267_554 Depth=1
	s_wait_alu 0xfffe
	s_or_b32 exec_lo, exec_lo, s21
.LBB267_1006:                           ;   in Loop: Header=BB267_554 Depth=1
	s_wait_alu 0xfffe
	s_or_b32 exec_lo, exec_lo, s19
.LBB267_1007:                           ;   in Loop: Header=BB267_554 Depth=1
	s_wait_alu 0xfffe
	s_or_b32 exec_lo, exec_lo, s18
	v_cmp_lt_u64_e64 s0, s[8:9], v[9:10]
	v_mov_b32_e32 v9, 0
	s_and_saveexec_b32 s18, s0
	s_cbranch_execz .LBB267_1015
; %bb.1008:                             ;   in Loop: Header=BB267_554 Depth=1
	v_lshrrev_b32_e32 v1, 24, v10
	v_bfrev_b32_e32 v9, 1
	s_mov_b32 s19, exec_lo
	s_delay_alu instid0(VALU_DEP_2)
	v_cmpx_ne_u32_e32 0x80, v1
	s_cbranch_execz .LBB267_1014
; %bb.1009:                             ;   in Loop: Header=BB267_554 Depth=1
	v_and_b32_e32 v60, 0x7f, v1
	v_mov_b32_e32 v9, 0x7c010000
	s_mov_b32 s21, exec_lo
	s_delay_alu instid0(VALU_DEP_2)
	v_cmpx_ne_u32_e32 0x7f, v60
	s_cbranch_execz .LBB267_1013
; %bb.1010:                             ;   in Loop: Header=BB267_554 Depth=1
	v_and_b32_e32 v9, 7, v1
	v_lshrrev_b32_e32 v10, 3, v60
	s_mov_b32 s22, exec_lo
	v_cmpx_gt_u32_e32 8, v60
; %bb.1011:                             ;   in Loop: Header=BB267_554 Depth=1
	s_delay_alu instid0(VALU_DEP_3) | instskip(NEXT) | instid1(VALU_DEP_1)
	v_clz_i32_u32_e32 v9, v9
	v_min_u32_e32 v60, 32, v9
	s_delay_alu instid0(VALU_DEP_1) | instskip(NEXT) | instid1(VALU_DEP_1)
	v_subrev_nc_u32_e32 v9, 28, v60
	v_lshlrev_b64_e32 v[9:10], v9, v[1:2]
	v_sub_nc_u32_e32 v10, 29, v60
	s_delay_alu instid0(VALU_DEP_2)
	v_and_b32_e32 v9, 7, v9
; %bb.1012:                             ;   in Loop: Header=BB267_554 Depth=1
	s_wait_alu 0xfffe
	s_or_b32 exec_lo, exec_lo, s22
	v_lshlrev_b32_e32 v1, 8, v1
	v_lshl_add_u32 v10, v10, 10, 0x2000
	v_lshlrev_b32_e32 v9, 23, v9
	s_delay_alu instid0(VALU_DEP_2) | instskip(NEXT) | instid1(VALU_DEP_1)
	v_and_or_b32 v1, 0x8000, v1, v10
	v_lshl_or_b32 v9, v1, 16, v9
.LBB267_1013:                           ;   in Loop: Header=BB267_554 Depth=1
	s_wait_alu 0xfffe
	s_or_b32 exec_lo, exec_lo, s21
.LBB267_1014:                           ;   in Loop: Header=BB267_554 Depth=1
	s_wait_alu 0xfffe
	s_or_b32 exec_lo, exec_lo, s19
.LBB267_1015:                           ;   in Loop: Header=BB267_554 Depth=1
	s_wait_alu 0xfffe
	s_or_b32 exec_lo, exec_lo, s18
	v_or_b32_e32 v1, v55, v56
	s_wait_loadcnt 0x0
	v_fma_mixlo_f16 v10, v52, v55, 0 op_sel:[0,1,0] op_sel_hi:[0,1,0]
	v_or_b32_e32 v55, v53, v54
	v_fma_mixlo_f16 v53, v52, v53, 0 op_sel:[0,1,0] op_sel_hi:[0,1,0]
	v_or_b32_e32 v56, v59, v58
	v_or_b32_e32 v57, v9, v57
	v_fma_mixlo_f16 v58, v52, v1, 0 op_sel_hi:[0,1,0]
	v_fma_mixlo_f16 v9, v52, v9, 0 op_sel:[0,1,0] op_sel_hi:[0,1,0]
	v_lshlrev_b32_e32 v54, 16, v53
	v_fma_mixlo_f16 v53, v52, v55, 0 op_sel_hi:[0,1,0]
	v_fma_mixlo_f16 v55, v52, v59, 0 op_sel:[0,1,0] op_sel_hi:[0,1,0]
	v_fma_mixlo_f16 v56, v52, v56, 0 op_sel_hi:[0,1,0]
	v_fma_mixlo_f16 v57, v52, v57, 0 op_sel_hi:[0,1,0]
	v_lshlrev_b32_e32 v1, 16, v10
	v_and_b32_e32 v10, 0xffff, v58
	v_and_b32_e32 v60, 0xffff, v53
	v_lshlrev_b32_e32 v52, 16, v55
	v_and_b32_e32 v56, 0xffff, v56
	v_lshlrev_b32_e32 v9, 16, v9
	v_and_b32_e32 v53, 0xffff, v57
	v_or_b32_e32 v55, v1, v10
	v_or_b32_e32 v59, v54, v60
	;; [unrolled: 1-line block ×3, first 2 shown]
	s_delay_alu instid0(VALU_DEP_4)
	v_or_b32_e32 v57, v9, v53
	s_and_saveexec_b32 s18, vcc_lo
	s_cbranch_execz .LBB267_1017
; %bb.1016:                             ;   in Loop: Header=BB267_554 Depth=1
	v_cmp_gt_i32_e64 s0, s36, v28
	s_wait_alu 0xf1ff
	s_delay_alu instid0(VALU_DEP_1) | instskip(SKIP_2) | instid1(VALU_DEP_1)
	v_cndmask_b32_e64 v55, 0, v60, s0
	v_cmp_gt_i32_e64 s0, s36, v36
	s_wait_alu 0xf1ff
	v_cndmask_b32_e64 v54, 0, v54, s0
	v_cmp_gt_i32_e64 s0, s36, v34
	s_delay_alu instid0(VALU_DEP_2) | instskip(SKIP_1) | instid1(VALU_DEP_2)
	v_or_b32_e32 v59, v54, v55
	s_wait_alu 0xf1ff
	v_cndmask_b32_e64 v10, 0, v10, s0
	v_cmp_gt_i32_e64 s0, s36, v33
	s_wait_alu 0xf1ff
	s_delay_alu instid0(VALU_DEP_1) | instskip(SKIP_1) | instid1(VALU_DEP_2)
	v_cndmask_b32_e64 v1, 0, v1, s0
	v_cmp_gt_i32_e64 s0, s36, v32
	v_or_b32_e32 v55, v1, v10
	s_wait_alu 0xf1ff
	s_delay_alu instid0(VALU_DEP_2) | instskip(SKIP_2) | instid1(VALU_DEP_1)
	v_cndmask_b32_e64 v56, 0, v56, s0
	v_cmp_gt_i32_e64 s0, s36, v31
	s_wait_alu 0xf1ff
	v_cndmask_b32_e64 v52, 0, v52, s0
	v_cmp_gt_i32_e64 s0, s36, v30
	s_delay_alu instid0(VALU_DEP_2) | instskip(SKIP_1) | instid1(VALU_DEP_2)
	v_or_b32_e32 v58, v52, v56
	s_wait_alu 0xf1ff
	v_cndmask_b32_e64 v53, 0, v53, s0
	v_cmp_gt_i32_e64 s0, s36, v29
	s_wait_alu 0xf1ff
	s_delay_alu instid0(VALU_DEP_1) | instskip(NEXT) | instid1(VALU_DEP_1)
	v_cndmask_b32_e64 v9, 0, v9, s0
	v_or_b32_e32 v57, v9, v53
.LBB267_1017:                           ;   in Loop: Header=BB267_554 Depth=1
	s_wait_alu 0xfffe
	s_or_b32 exec_lo, exec_lo, s18
	;;#ASMSTART
	v_pk_mul_f16 v1, v41, v59;

	;;#ASMEND
	;;#ASMSTART
	v_pk_mul_f16 v9, v40, v55;

	;;#ASMEND
	;; [unrolled: 4-line block ×4, first 2 shown]
	;;#ASMSTART
	v_pk_add_f16 v1, v1, v9;

	;;#ASMEND
	;;#ASMSTART
	v_pk_add_f16 v1, v1, v10;

	;;#ASMEND
	;; [unrolled: 4-line block ×3, first 2 shown]
	v_dual_mov_b32 v54, 0 :: v_dual_and_b32 v9, 0xffff, v1
	v_lshrrev_b32_e32 v1, 16, v1
	;;#ASMSTART
	v_cvt_f32_f16 v9, v9;
	;;#ASMEND
	;;#ASMSTART
	v_cvt_f32_f16 v10, v1;
	;;#ASMEND
	global_load_b64 v[7:8], v[7:8], off offset:1792
	v_mov_b32_e32 v53, 0
	s_mov_b32 s18, exec_lo
	global_load_b32 v52, v53, s[10:11]
	s_wait_loadcnt 0x1
	v_and_b32_e32 v1, 0xff, v7
	s_delay_alu instid0(VALU_DEP_1)
	v_cmpx_ne_u16_e32 0, v1
	s_cbranch_execz .LBB267_1025
; %bb.1018:                             ;   in Loop: Header=BB267_554 Depth=1
	v_mov_b32_e32 v54, 0x8000
	s_mov_b32 s19, exec_lo
	v_cmpx_ne_u16_e32 0x80, v1
	s_cbranch_execz .LBB267_1024
; %bb.1019:                             ;   in Loop: Header=BB267_554 Depth=1
	v_and_b32_e32 v55, 0x7f, v7
	v_mov_b32_e32 v54, 0x7c01
	s_mov_b32 s21, exec_lo
	s_delay_alu instid0(VALU_DEP_2)
	v_cmpx_ne_u32_e32 0x7f, v55
	s_cbranch_execz .LBB267_1023
; %bb.1020:                             ;   in Loop: Header=BB267_554 Depth=1
	v_and_b32_e32 v1, 7, v7
	v_lshrrev_b32_e32 v54, 3, v55
	s_mov_b32 s22, exec_lo
	v_cmpx_gt_u32_e32 8, v55
; %bb.1021:                             ;   in Loop: Header=BB267_554 Depth=1
	s_delay_alu instid0(VALU_DEP_3) | instskip(NEXT) | instid1(VALU_DEP_1)
	v_clz_i32_u32_e32 v1, v1
	v_min_u32_e32 v1, 32, v1
	s_delay_alu instid0(VALU_DEP_1) | instskip(NEXT) | instid1(VALU_DEP_1)
	v_subrev_nc_u32_e32 v54, 28, v1
	v_lshlrev_b64_e32 v[55:56], v54, v[7:8]
	v_sub_nc_u32_e32 v54, 29, v1
	s_delay_alu instid0(VALU_DEP_2)
	v_and_b32_e32 v1, 7, v55
; %bb.1022:                             ;   in Loop: Header=BB267_554 Depth=1
	s_wait_alu 0xfffe
	s_or_b32 exec_lo, exec_lo, s22
	v_lshlrev_b32_e32 v55, 8, v7
	v_lshl_add_u32 v54, v54, 10, 0x2000
	v_lshlrev_b32_e32 v1, 7, v1
	s_delay_alu instid0(VALU_DEP_3) | instskip(NEXT) | instid1(VALU_DEP_3)
	v_and_b32_e32 v55, 0x8000, v55
	v_and_b32_e32 v54, 0xfc00, v54
	s_delay_alu instid0(VALU_DEP_1)
	v_or3_b32 v54, v55, v54, v1
.LBB267_1023:                           ;   in Loop: Header=BB267_554 Depth=1
	s_wait_alu 0xfffe
	s_or_b32 exec_lo, exec_lo, s21
.LBB267_1024:                           ;   in Loop: Header=BB267_554 Depth=1
	s_wait_alu 0xfffe
	s_or_b32 exec_lo, exec_lo, s19
.LBB267_1025:                           ;   in Loop: Header=BB267_554 Depth=1
	s_wait_alu 0xfffe
	s_or_b32 exec_lo, exec_lo, s18
	v_lshrrev_b16 v1, 8, v7
	s_mov_b32 s18, exec_lo
	s_delay_alu instid0(VALU_DEP_1)
	v_cmpx_ne_u16_e32 0, v1
	s_cbranch_execz .LBB267_1033
; %bb.1026:                             ;   in Loop: Header=BB267_554 Depth=1
	v_bfrev_b32_e32 v53, 1
	s_mov_b32 s19, exec_lo
	v_cmpx_ne_u16_e32 0x80, v1
	s_cbranch_execz .LBB267_1032
; %bb.1027:                             ;   in Loop: Header=BB267_554 Depth=1
	v_and_b32_e32 v55, 0xffff, v1
	v_mov_b32_e32 v53, 0x7c010000
	s_mov_b32 s21, exec_lo
	s_delay_alu instid0(VALU_DEP_2) | instskip(NEXT) | instid1(VALU_DEP_1)
	v_and_b32_e32 v57, 0x7f, v55
	v_cmpx_ne_u32_e32 0x7f, v57
	s_cbranch_execz .LBB267_1031
; %bb.1028:                             ;   in Loop: Header=BB267_554 Depth=1
	v_and_b32_e32 v53, 7, v55
	v_lshrrev_b32_e32 v56, 3, v57
	s_mov_b32 s22, exec_lo
	v_cmpx_gt_u32_e32 8, v57
; %bb.1029:                             ;   in Loop: Header=BB267_554 Depth=1
	s_delay_alu instid0(VALU_DEP_3) | instskip(NEXT) | instid1(VALU_DEP_1)
	v_clz_i32_u32_e32 v53, v53
	v_min_u32_e32 v53, 32, v53
	s_delay_alu instid0(VALU_DEP_1) | instskip(NEXT) | instid1(VALU_DEP_1)
	v_subrev_nc_u32_e32 v56, 28, v53
	v_lshlrev_b64_e32 v[57:58], v56, v[1:2]
	v_sub_nc_u32_e32 v56, 29, v53
	s_delay_alu instid0(VALU_DEP_2)
	v_and_b32_e32 v53, 7, v57
; %bb.1030:                             ;   in Loop: Header=BB267_554 Depth=1
	s_wait_alu 0xfffe
	s_or_b32 exec_lo, exec_lo, s22
	v_lshlrev_b32_e32 v1, 8, v55
	v_lshl_add_u32 v55, v56, 10, 0x2000
	v_lshlrev_b32_e32 v53, 23, v53
	s_delay_alu instid0(VALU_DEP_2) | instskip(NEXT) | instid1(VALU_DEP_1)
	v_and_or_b32 v1, 0x8000, v1, v55
	v_lshl_or_b32 v53, v1, 16, v53
.LBB267_1031:                           ;   in Loop: Header=BB267_554 Depth=1
	s_wait_alu 0xfffe
	s_or_b32 exec_lo, exec_lo, s21
.LBB267_1032:                           ;   in Loop: Header=BB267_554 Depth=1
	s_wait_alu 0xfffe
	s_or_b32 exec_lo, exec_lo, s19
.LBB267_1033:                           ;   in Loop: Header=BB267_554 Depth=1
	s_wait_alu 0xfffe
	s_or_b32 exec_lo, exec_lo, s18
	v_lshrrev_b32_e32 v1, 16, v7
	v_mov_b32_e32 v55, 0
	s_mov_b32 s18, exec_lo
	s_delay_alu instid0(VALU_DEP_2) | instskip(NEXT) | instid1(VALU_DEP_1)
	v_dual_mov_b32 v56, 0 :: v_dual_and_b32 v57, 0xff, v1
	v_cmpx_ne_u16_e32 0, v57
	s_cbranch_execz .LBB267_1041
; %bb.1034:                             ;   in Loop: Header=BB267_554 Depth=1
	v_mov_b32_e32 v56, 0x8000
	s_mov_b32 s19, exec_lo
	v_cmpx_ne_u16_e32 0x80, v57
	s_cbranch_execz .LBB267_1040
; %bb.1035:                             ;   in Loop: Header=BB267_554 Depth=1
	v_bfe_u32 v58, v7, 16, 7
	v_mov_b32_e32 v56, 0x7c01
	s_mov_b32 s21, exec_lo
	s_delay_alu instid0(VALU_DEP_2)
	v_cmpx_ne_u32_e32 0x7f, v58
	s_cbranch_execz .LBB267_1039
; %bb.1036:                             ;   in Loop: Header=BB267_554 Depth=1
	v_and_b32_e32 v56, 7, v1
	v_lshrrev_b32_e32 v57, 3, v58
	s_mov_b32 s22, exec_lo
	v_cmpx_gt_u32_e32 8, v58
; %bb.1037:                             ;   in Loop: Header=BB267_554 Depth=1
	s_delay_alu instid0(VALU_DEP_3) | instskip(NEXT) | instid1(VALU_DEP_1)
	v_clz_i32_u32_e32 v56, v56
	v_min_u32_e32 v58, 32, v56
	s_delay_alu instid0(VALU_DEP_1) | instskip(NEXT) | instid1(VALU_DEP_1)
	v_subrev_nc_u32_e32 v56, 28, v58
	v_lshlrev_b64_e32 v[56:57], v56, v[1:2]
	v_sub_nc_u32_e32 v57, 29, v58
	s_delay_alu instid0(VALU_DEP_2)
	v_and_b32_e32 v56, 7, v56
; %bb.1038:                             ;   in Loop: Header=BB267_554 Depth=1
	s_wait_alu 0xfffe
	s_or_b32 exec_lo, exec_lo, s22
	v_lshlrev_b32_e32 v1, 8, v1
	v_lshl_add_u32 v57, v57, 10, 0x2000
	v_lshlrev_b32_e32 v56, 7, v56
	s_delay_alu instid0(VALU_DEP_3) | instskip(NEXT) | instid1(VALU_DEP_3)
	v_and_b32_e32 v1, 0x8000, v1
	v_and_b32_e32 v57, 0xfc00, v57
	s_delay_alu instid0(VALU_DEP_1)
	v_or3_b32 v56, v1, v57, v56
.LBB267_1039:                           ;   in Loop: Header=BB267_554 Depth=1
	s_wait_alu 0xfffe
	s_or_b32 exec_lo, exec_lo, s21
.LBB267_1040:                           ;   in Loop: Header=BB267_554 Depth=1
	s_wait_alu 0xfffe
	s_or_b32 exec_lo, exec_lo, s19
.LBB267_1041:                           ;   in Loop: Header=BB267_554 Depth=1
	s_wait_alu 0xfffe
	s_or_b32 exec_lo, exec_lo, s18
	s_delay_alu instid0(SALU_CYCLE_1)
	s_mov_b32 s18, exec_lo
	v_cmpx_lt_u32_e32 0xffffff, v7
	s_cbranch_execz .LBB267_1049
; %bb.1042:                             ;   in Loop: Header=BB267_554 Depth=1
	v_lshrrev_b32_e32 v1, 24, v7
	v_bfrev_b32_e32 v55, 1
	s_mov_b32 s19, exec_lo
	s_delay_alu instid0(VALU_DEP_2)
	v_cmpx_ne_u32_e32 0x80, v1
	s_cbranch_execz .LBB267_1048
; %bb.1043:                             ;   in Loop: Header=BB267_554 Depth=1
	v_and_b32_e32 v58, 0x7f, v1
	v_mov_b32_e32 v55, 0x7c010000
	s_mov_b32 s21, exec_lo
	s_delay_alu instid0(VALU_DEP_2)
	v_cmpx_ne_u32_e32 0x7f, v58
	s_cbranch_execz .LBB267_1047
; %bb.1044:                             ;   in Loop: Header=BB267_554 Depth=1
	v_and_b32_e32 v55, 7, v1
	v_lshrrev_b32_e32 v57, 3, v58
	s_mov_b32 s22, exec_lo
	v_cmpx_gt_u32_e32 8, v58
; %bb.1045:                             ;   in Loop: Header=BB267_554 Depth=1
	s_delay_alu instid0(VALU_DEP_3) | instskip(NEXT) | instid1(VALU_DEP_1)
	v_clz_i32_u32_e32 v55, v55
	v_min_u32_e32 v55, 32, v55
	s_delay_alu instid0(VALU_DEP_1) | instskip(NEXT) | instid1(VALU_DEP_1)
	v_subrev_nc_u32_e32 v57, 28, v55
	v_lshlrev_b64_e32 v[58:59], v57, v[1:2]
	v_sub_nc_u32_e32 v57, 29, v55
	s_delay_alu instid0(VALU_DEP_2)
	v_and_b32_e32 v55, 7, v58
; %bb.1046:                             ;   in Loop: Header=BB267_554 Depth=1
	s_wait_alu 0xfffe
	s_or_b32 exec_lo, exec_lo, s22
	v_lshlrev_b32_e32 v1, 8, v1
	v_lshl_add_u32 v57, v57, 10, 0x2000
	v_lshlrev_b32_e32 v55, 23, v55
	s_delay_alu instid0(VALU_DEP_2) | instskip(NEXT) | instid1(VALU_DEP_1)
	v_and_or_b32 v1, 0x8000, v1, v57
	v_lshl_or_b32 v55, v1, 16, v55
.LBB267_1047:                           ;   in Loop: Header=BB267_554 Depth=1
	s_wait_alu 0xfffe
	s_or_b32 exec_lo, exec_lo, s21
.LBB267_1048:                           ;   in Loop: Header=BB267_554 Depth=1
	s_wait_alu 0xfffe
	s_or_b32 exec_lo, exec_lo, s19
.LBB267_1049:                           ;   in Loop: Header=BB267_554 Depth=1
	s_wait_alu 0xfffe
	s_or_b32 exec_lo, exec_lo, s18
	v_dual_mov_b32 v58, 0 :: v_dual_and_b32 v59, 0xff, v8
	v_mov_b32_e32 v1, v8
	v_mov_b32_e32 v57, 0
	s_mov_b32 s18, exec_lo
	s_delay_alu instid0(VALU_DEP_3)
	v_cmpx_ne_u16_e32 0, v59
	s_cbranch_execz .LBB267_1057
; %bb.1050:                             ;   in Loop: Header=BB267_554 Depth=1
	v_mov_b32_e32 v58, 0x8000
	s_mov_b32 s19, exec_lo
	v_cmpx_ne_u16_e32 0x80, v59
	s_cbranch_execz .LBB267_1056
; %bb.1051:                             ;   in Loop: Header=BB267_554 Depth=1
	v_and_b32_e32 v60, 0x7f, v8
	v_mov_b32_e32 v58, 0x7c01
	s_mov_b32 s21, exec_lo
	s_delay_alu instid0(VALU_DEP_2)
	v_cmpx_ne_u32_e32 0x7f, v60
	s_cbranch_execz .LBB267_1055
; %bb.1052:                             ;   in Loop: Header=BB267_554 Depth=1
	v_and_b32_e32 v58, 7, v8
	v_lshrrev_b32_e32 v59, 3, v60
	s_mov_b32 s22, exec_lo
	v_cmpx_gt_u32_e32 8, v60
; %bb.1053:                             ;   in Loop: Header=BB267_554 Depth=1
	s_delay_alu instid0(VALU_DEP_3) | instskip(NEXT) | instid1(VALU_DEP_1)
	v_clz_i32_u32_e32 v58, v58
	v_min_u32_e32 v60, 32, v58
	s_delay_alu instid0(VALU_DEP_1) | instskip(NEXT) | instid1(VALU_DEP_1)
	v_subrev_nc_u32_e32 v58, 28, v60
	v_lshlrev_b64_e32 v[58:59], v58, v[1:2]
	v_sub_nc_u32_e32 v59, 29, v60
	s_delay_alu instid0(VALU_DEP_2)
	v_and_b32_e32 v58, 7, v58
; %bb.1054:                             ;   in Loop: Header=BB267_554 Depth=1
	s_wait_alu 0xfffe
	s_or_b32 exec_lo, exec_lo, s22
	v_lshlrev_b32_e32 v60, 8, v8
	v_lshl_add_u32 v59, v59, 10, 0x2000
	v_lshlrev_b32_e32 v58, 7, v58
	s_delay_alu instid0(VALU_DEP_3) | instskip(NEXT) | instid1(VALU_DEP_3)
	v_and_b32_e32 v60, 0x8000, v60
	v_and_b32_e32 v59, 0xfc00, v59
	s_delay_alu instid0(VALU_DEP_1)
	v_or3_b32 v58, v60, v59, v58
.LBB267_1055:                           ;   in Loop: Header=BB267_554 Depth=1
	s_wait_alu 0xfffe
	s_or_b32 exec_lo, exec_lo, s21
.LBB267_1056:                           ;   in Loop: Header=BB267_554 Depth=1
	s_wait_alu 0xfffe
	s_or_b32 exec_lo, exec_lo, s19
.LBB267_1057:                           ;   in Loop: Header=BB267_554 Depth=1
	s_wait_alu 0xfffe
	s_or_b32 exec_lo, exec_lo, s18
	v_lshrrev_b16 v1, 8, v1
	v_mov_b32_e32 v59, 0
	s_mov_b32 s18, exec_lo
	s_delay_alu instid0(VALU_DEP_2)
	v_cmpx_ne_u16_e32 0, v1
	s_cbranch_execz .LBB267_1065
; %bb.1058:                             ;   in Loop: Header=BB267_554 Depth=1
	v_bfrev_b32_e32 v59, 1
	s_mov_b32 s19, exec_lo
	v_cmpx_ne_u16_e32 0x80, v1
	s_cbranch_execz .LBB267_1064
; %bb.1059:                             ;   in Loop: Header=BB267_554 Depth=1
	v_and_b32_e32 v60, 0xffff, v1
	v_mov_b32_e32 v59, 0x7c010000
	s_mov_b32 s21, exec_lo
	s_delay_alu instid0(VALU_DEP_2) | instskip(NEXT) | instid1(VALU_DEP_1)
	v_and_b32_e32 v62, 0x7f, v60
	v_cmpx_ne_u32_e32 0x7f, v62
	s_cbranch_execz .LBB267_1063
; %bb.1060:                             ;   in Loop: Header=BB267_554 Depth=1
	v_and_b32_e32 v59, 7, v60
	v_lshrrev_b32_e32 v61, 3, v62
	s_mov_b32 s22, exec_lo
	v_cmpx_gt_u32_e32 8, v62
; %bb.1061:                             ;   in Loop: Header=BB267_554 Depth=1
	s_delay_alu instid0(VALU_DEP_3) | instskip(NEXT) | instid1(VALU_DEP_1)
	v_clz_i32_u32_e32 v59, v59
	v_min_u32_e32 v59, 32, v59
	s_delay_alu instid0(VALU_DEP_1) | instskip(NEXT) | instid1(VALU_DEP_1)
	v_subrev_nc_u32_e32 v61, 28, v59
	v_lshlrev_b64_e32 v[62:63], v61, v[1:2]
	v_sub_nc_u32_e32 v61, 29, v59
	s_delay_alu instid0(VALU_DEP_2)
	v_and_b32_e32 v59, 7, v62
; %bb.1062:                             ;   in Loop: Header=BB267_554 Depth=1
	s_wait_alu 0xfffe
	s_or_b32 exec_lo, exec_lo, s22
	v_lshlrev_b32_e32 v1, 8, v60
	v_lshl_add_u32 v60, v61, 10, 0x2000
	v_lshlrev_b32_e32 v59, 23, v59
	s_delay_alu instid0(VALU_DEP_2) | instskip(NEXT) | instid1(VALU_DEP_1)
	v_and_or_b32 v1, 0x8000, v1, v60
	v_lshl_or_b32 v59, v1, 16, v59
.LBB267_1063:                           ;   in Loop: Header=BB267_554 Depth=1
	s_wait_alu 0xfffe
	s_or_b32 exec_lo, exec_lo, s21
.LBB267_1064:                           ;   in Loop: Header=BB267_554 Depth=1
	s_wait_alu 0xfffe
	s_or_b32 exec_lo, exec_lo, s19
.LBB267_1065:                           ;   in Loop: Header=BB267_554 Depth=1
	s_wait_alu 0xfffe
	s_or_b32 exec_lo, exec_lo, s18
	v_lshrrev_b32_e32 v1, 16, v8
	s_mov_b32 s18, exec_lo
	s_delay_alu instid0(VALU_DEP_1) | instskip(NEXT) | instid1(VALU_DEP_1)
	v_and_b32_e32 v60, 0xff, v1
	v_cmpx_ne_u16_e32 0, v60
	s_cbranch_execz .LBB267_1073
; %bb.1066:                             ;   in Loop: Header=BB267_554 Depth=1
	v_mov_b32_e32 v57, 0x8000
	s_mov_b32 s19, exec_lo
	v_cmpx_ne_u16_e32 0x80, v60
	s_cbranch_execz .LBB267_1072
; %bb.1067:                             ;   in Loop: Header=BB267_554 Depth=1
	v_bfe_u32 v61, v8, 16, 7
	v_mov_b32_e32 v57, 0x7c01
	s_mov_b32 s21, exec_lo
	s_delay_alu instid0(VALU_DEP_2)
	v_cmpx_ne_u32_e32 0x7f, v61
	s_cbranch_execz .LBB267_1071
; %bb.1068:                             ;   in Loop: Header=BB267_554 Depth=1
	v_and_b32_e32 v57, 7, v1
	v_lshrrev_b32_e32 v60, 3, v61
	s_mov_b32 s22, exec_lo
	v_cmpx_gt_u32_e32 8, v61
; %bb.1069:                             ;   in Loop: Header=BB267_554 Depth=1
	s_delay_alu instid0(VALU_DEP_3) | instskip(NEXT) | instid1(VALU_DEP_1)
	v_clz_i32_u32_e32 v57, v57
	v_min_u32_e32 v57, 32, v57
	s_delay_alu instid0(VALU_DEP_1) | instskip(NEXT) | instid1(VALU_DEP_1)
	v_subrev_nc_u32_e32 v60, 28, v57
	v_lshlrev_b64_e32 v[61:62], v60, v[1:2]
	v_sub_nc_u32_e32 v60, 29, v57
	s_delay_alu instid0(VALU_DEP_2)
	v_and_b32_e32 v57, 7, v61
; %bb.1070:                             ;   in Loop: Header=BB267_554 Depth=1
	s_wait_alu 0xfffe
	s_or_b32 exec_lo, exec_lo, s22
	v_lshlrev_b32_e32 v1, 8, v1
	v_lshl_add_u32 v60, v60, 10, 0x2000
	v_lshlrev_b32_e32 v57, 7, v57
	s_delay_alu instid0(VALU_DEP_3) | instskip(NEXT) | instid1(VALU_DEP_3)
	v_and_b32_e32 v1, 0x8000, v1
	v_and_b32_e32 v60, 0xfc00, v60
	s_delay_alu instid0(VALU_DEP_1)
	v_or3_b32 v57, v1, v60, v57
.LBB267_1071:                           ;   in Loop: Header=BB267_554 Depth=1
	s_wait_alu 0xfffe
	s_or_b32 exec_lo, exec_lo, s21
.LBB267_1072:                           ;   in Loop: Header=BB267_554 Depth=1
	s_wait_alu 0xfffe
	s_or_b32 exec_lo, exec_lo, s19
.LBB267_1073:                           ;   in Loop: Header=BB267_554 Depth=1
	s_wait_alu 0xfffe
	s_or_b32 exec_lo, exec_lo, s18
	v_cmp_lt_u64_e64 s0, s[8:9], v[7:8]
	v_mov_b32_e32 v7, 0
	s_and_saveexec_b32 s18, s0
	s_cbranch_execz .LBB267_1081
; %bb.1074:                             ;   in Loop: Header=BB267_554 Depth=1
	v_lshrrev_b32_e32 v1, 24, v8
	v_bfrev_b32_e32 v7, 1
	s_mov_b32 s19, exec_lo
	s_delay_alu instid0(VALU_DEP_2)
	v_cmpx_ne_u32_e32 0x80, v1
	s_cbranch_execz .LBB267_1080
; %bb.1075:                             ;   in Loop: Header=BB267_554 Depth=1
	v_and_b32_e32 v60, 0x7f, v1
	v_mov_b32_e32 v7, 0x7c010000
	s_mov_b32 s21, exec_lo
	s_delay_alu instid0(VALU_DEP_2)
	v_cmpx_ne_u32_e32 0x7f, v60
	s_cbranch_execz .LBB267_1079
; %bb.1076:                             ;   in Loop: Header=BB267_554 Depth=1
	v_and_b32_e32 v7, 7, v1
	v_lshrrev_b32_e32 v8, 3, v60
	s_mov_b32 s22, exec_lo
	v_cmpx_gt_u32_e32 8, v60
; %bb.1077:                             ;   in Loop: Header=BB267_554 Depth=1
	s_delay_alu instid0(VALU_DEP_3) | instskip(NEXT) | instid1(VALU_DEP_1)
	v_clz_i32_u32_e32 v7, v7
	v_min_u32_e32 v60, 32, v7
	s_delay_alu instid0(VALU_DEP_1) | instskip(NEXT) | instid1(VALU_DEP_1)
	v_subrev_nc_u32_e32 v7, 28, v60
	v_lshlrev_b64_e32 v[7:8], v7, v[1:2]
	v_sub_nc_u32_e32 v8, 29, v60
	s_delay_alu instid0(VALU_DEP_2)
	v_and_b32_e32 v7, 7, v7
; %bb.1078:                             ;   in Loop: Header=BB267_554 Depth=1
	s_wait_alu 0xfffe
	s_or_b32 exec_lo, exec_lo, s22
	v_lshlrev_b32_e32 v1, 8, v1
	v_lshl_add_u32 v8, v8, 10, 0x2000
	v_lshlrev_b32_e32 v7, 23, v7
	s_delay_alu instid0(VALU_DEP_2) | instskip(NEXT) | instid1(VALU_DEP_1)
	v_and_or_b32 v1, 0x8000, v1, v8
	v_lshl_or_b32 v7, v1, 16, v7
.LBB267_1079:                           ;   in Loop: Header=BB267_554 Depth=1
	s_wait_alu 0xfffe
	s_or_b32 exec_lo, exec_lo, s21
.LBB267_1080:                           ;   in Loop: Header=BB267_554 Depth=1
	s_wait_alu 0xfffe
	s_or_b32 exec_lo, exec_lo, s19
.LBB267_1081:                           ;   in Loop: Header=BB267_554 Depth=1
	s_wait_alu 0xfffe
	s_or_b32 exec_lo, exec_lo, s18
	v_or_b32_e32 v1, v55, v56
	s_wait_loadcnt 0x0
	v_fma_mixlo_f16 v8, v52, v55, 0 op_sel:[0,1,0] op_sel_hi:[0,1,0]
	v_or_b32_e32 v54, v53, v54
	v_fma_mixlo_f16 v55, v52, v53, 0 op_sel:[0,1,0] op_sel_hi:[0,1,0]
	v_or_b32_e32 v56, v59, v58
	v_fma_mixlo_f16 v1, v52, v1, 0 op_sel_hi:[0,1,0]
	v_or_b32_e32 v57, v7, v57
	v_lshlrev_b32_e32 v53, 16, v8
	v_lshlrev_b32_e32 v58, 16, v55
	v_fma_mixlo_f16 v8, v52, v54, 0 op_sel_hi:[0,1,0]
	v_and_b32_e32 v55, 0xffff, v1
	v_fma_mixlo_f16 v1, v52, v59, 0 op_sel:[0,1,0] op_sel_hi:[0,1,0]
	v_fma_mixlo_f16 v54, v52, v56, 0 op_sel_hi:[0,1,0]
	v_fma_mixlo_f16 v7, v52, v7, 0 op_sel:[0,1,0] op_sel_hi:[0,1,0]
	v_fma_mixlo_f16 v52, v52, v57, 0 op_sel_hi:[0,1,0]
	v_and_b32_e32 v60, 0xffff, v8
	v_lshlrev_b32_e32 v56, 16, v1
	v_and_b32_e32 v59, 0xffff, v54
	v_lshlrev_b32_e32 v54, 16, v7
	v_and_b32_e32 v57, 0xffff, v52
	v_or_b32_e32 v8, v53, v55
	v_or_b32_e32 v52, v58, v60
	;; [unrolled: 1-line block ×3, first 2 shown]
	s_delay_alu instid0(VALU_DEP_4)
	v_or_b32_e32 v1, v54, v57
	s_and_saveexec_b32 s0, vcc_lo
	s_cbranch_execz .LBB267_552
; %bb.1082:                             ;   in Loop: Header=BB267_554 Depth=1
	v_cmp_gt_i32_e32 vcc_lo, s36, v28
	s_wait_alu 0xfffd
	v_cndmask_b32_e32 v1, 0, v60, vcc_lo
	v_cmp_gt_i32_e32 vcc_lo, s36, v36
	s_wait_alu 0xfffd
	v_cndmask_b32_e32 v7, 0, v58, vcc_lo
	;; [unrolled: 3-line block ×4, first 2 shown]
	v_cmp_gt_i32_e32 vcc_lo, s36, v32
	v_or_b32_e32 v52, v7, v1
	s_delay_alu instid0(VALU_DEP_3)
	v_or_b32_e32 v8, v28, v8
	s_wait_alu 0xfffd
	v_cndmask_b32_e32 v32, 0, v59, vcc_lo
	v_cmp_gt_i32_e32 vcc_lo, s36, v31
	s_wait_alu 0xfffd
	v_cndmask_b32_e32 v31, 0, v56, vcc_lo
	v_cmp_gt_i32_e32 vcc_lo, s36, v30
	s_delay_alu instid0(VALU_DEP_2)
	v_or_b32_e32 v7, v31, v32
	s_wait_alu 0xfffd
	v_cndmask_b32_e32 v30, 0, v57, vcc_lo
	v_cmp_gt_i32_e32 vcc_lo, s36, v29
	s_wait_alu 0xfffd
	v_cndmask_b32_e32 v29, 0, v54, vcc_lo
	s_delay_alu instid0(VALU_DEP_1)
	v_or_b32_e32 v1, v29, v30
	s_branch .LBB267_552
.LBB267_1083:
	s_or_b32 exec_lo, exec_lo, s14
.LBB267_1084:
	s_wait_alu 0xfffe
	s_or_b32 exec_lo, exec_lo, s1
	ds_bpermute_b32 v1, v17, v26
	ds_bpermute_b32 v2, v17, v25
	;; [unrolled: 1-line block ×8, first 2 shown]
	v_lshrrev_b32_e32 v9, 1, v18
	v_lshlrev_b32_e32 v13, 9, v13
	v_and_b32_e32 v18, 0x3c1, v0
	s_mov_b32 s0, exec_lo
	s_wait_storecnt 0x0
	s_wait_loadcnt_dscnt 0x0
	v_lshl_add_u32 v10, v9, 2, 0x120
	s_barrier_signal -1
	s_barrier_wait -1
	global_inv scope:SCOPE_SE
	v_dual_add_f32 v8, v26, v1 :: v_dual_add_f32 v7, v25, v2
	v_dual_add_f32 v6, v24, v3 :: v_dual_add_f32 v5, v23, v4
	;; [unrolled: 1-line block ×4, first 2 shown]
	v_cmpx_eq_u32_e32 64, v18
	s_cbranch_execz .LBB267_1086
; %bb.1085:
	v_add_nc_u32_e32 v14, v10, v13
	s_delay_alu instid0(VALU_DEP_1)
	v_add_nc_u32_e32 v15, 0xfffffc00, v14
	v_add_nc_u32_e32 v16, 0xfffffc40, v14
	;; [unrolled: 1-line block ×8, first 2 shown]
	ds_store_b32 v15, v8
	ds_store_b32 v16, v7
	;; [unrolled: 1-line block ×8, first 2 shown]
.LBB267_1086:
	s_wait_alu 0xfffe
	s_or_b32 exec_lo, exec_lo, s0
	v_lshlrev_b32_e32 v9, 2, v9
	s_mov_b32 s1, exec_lo
	v_cmp_eq_u32_e32 vcc_lo, 0, v12
	s_wait_loadcnt_dscnt 0x0
	s_barrier_signal -1
	v_add3_u32 v9, 0x120, v13, v9
	s_barrier_wait -1
	global_inv scope:SCOPE_SE
	v_cmpx_gt_u32_e32 64, v0
	s_cbranch_execz .LBB267_1097
; %bb.1087:
	s_and_saveexec_b32 s0, vcc_lo
	s_cbranch_execnz .LBB267_1113
; %bb.1088:
	s_wait_alu 0xfffe
	s_or_b32 exec_lo, exec_lo, s0
	s_and_saveexec_b32 s0, vcc_lo
	s_cbranch_execnz .LBB267_1114
.LBB267_1089:
	s_wait_alu 0xfffe
	s_or_b32 exec_lo, exec_lo, s0
	s_and_saveexec_b32 s0, vcc_lo
	s_cbranch_execnz .LBB267_1115
.LBB267_1090:
	s_wait_alu 0xfffe
	s_or_b32 exec_lo, exec_lo, s0
	s_and_saveexec_b32 s0, vcc_lo
	s_cbranch_execnz .LBB267_1116
.LBB267_1091:
	s_wait_alu 0xfffe
	s_or_b32 exec_lo, exec_lo, s0
	s_and_saveexec_b32 s0, vcc_lo
	s_cbranch_execnz .LBB267_1117
.LBB267_1092:
	s_wait_alu 0xfffe
	s_or_b32 exec_lo, exec_lo, s0
	s_and_saveexec_b32 s0, vcc_lo
	s_cbranch_execnz .LBB267_1118
.LBB267_1093:
	s_wait_alu 0xfffe
	s_or_b32 exec_lo, exec_lo, s0
	s_and_saveexec_b32 s0, vcc_lo
	s_cbranch_execnz .LBB267_1119
.LBB267_1094:
	s_wait_alu 0xfffe
	s_or_b32 exec_lo, exec_lo, s0
	s_and_saveexec_b32 s0, vcc_lo
	s_cbranch_execz .LBB267_1096
.LBB267_1095:
	ds_load_b32 v12, v9 offset:448
	s_wait_dscnt 0x0
	v_add_f32_e32 v1, v1, v12
.LBB267_1096:
	s_wait_alu 0xfffe
	s_or_b32 exec_lo, exec_lo, s0
.LBB267_1097:
	s_wait_alu 0xfffe
	s_or_b32 exec_lo, exec_lo, s1
	v_and_b32_e32 v0, 0x3e1, v0
	s_mov_b32 s1, exec_lo
	s_wait_loadcnt 0x0
	s_barrier_signal -1
	s_barrier_wait -1
	global_inv scope:SCOPE_SE
	v_cmpx_eq_u32_e32 32, v0
	s_cbranch_execz .LBB267_1099
; %bb.1098:
	ds_store_2addr_b32 v10, v8, v7 offset1:16
	ds_store_2addr_b32 v10, v6, v5 offset0:32 offset1:48
	ds_store_2addr_b32 v10, v4, v3 offset0:64 offset1:80
	;; [unrolled: 1-line block ×3, first 2 shown]
.LBB267_1099:
	s_wait_alu 0xfffe
	s_or_b32 exec_lo, exec_lo, s1
	s_wait_loadcnt_dscnt 0x0
	s_barrier_signal -1
	s_barrier_wait -1
	global_inv scope:SCOPE_SE
	s_and_saveexec_b32 s0, s2
	s_cbranch_execz .LBB267_1110
; %bb.1100:
	s_and_saveexec_b32 s1, vcc_lo
	s_cbranch_execnz .LBB267_1120
; %bb.1101:
	s_wait_alu 0xfffe
	s_or_b32 exec_lo, exec_lo, s1
	s_and_saveexec_b32 s1, vcc_lo
	s_cbranch_execnz .LBB267_1121
.LBB267_1102:
	s_wait_alu 0xfffe
	s_or_b32 exec_lo, exec_lo, s1
	s_and_saveexec_b32 s1, vcc_lo
	s_cbranch_execnz .LBB267_1122
.LBB267_1103:
	s_wait_alu 0xfffe
	s_or_b32 exec_lo, exec_lo, s1
	s_and_saveexec_b32 s1, vcc_lo
	s_cbranch_execnz .LBB267_1123
.LBB267_1104:
	s_wait_alu 0xfffe
	s_or_b32 exec_lo, exec_lo, s1
	s_and_saveexec_b32 s1, vcc_lo
	s_cbranch_execnz .LBB267_1124
.LBB267_1105:
	s_wait_alu 0xfffe
	s_or_b32 exec_lo, exec_lo, s1
	s_and_saveexec_b32 s1, vcc_lo
	s_cbranch_execnz .LBB267_1125
.LBB267_1106:
	s_wait_alu 0xfffe
	s_or_b32 exec_lo, exec_lo, s1
	s_and_saveexec_b32 s1, vcc_lo
	s_cbranch_execnz .LBB267_1126
.LBB267_1107:
	s_wait_alu 0xfffe
	s_or_b32 exec_lo, exec_lo, s1
	s_and_saveexec_b32 s1, vcc_lo
	s_cbranch_execz .LBB267_1109
.LBB267_1108:
	ds_load_b32 v9, v9 offset:448
	s_wait_dscnt 0x0
	v_add_f32_e32 v1, v1, v9
.LBB267_1109:
	s_wait_alu 0xfffe
	s_or_b32 exec_lo, exec_lo, s1
.LBB267_1110:
	s_wait_alu 0xfffe
	s_or_b32 exec_lo, exec_lo, s0
	s_mov_b32 s1, 0
	s_wait_loadcnt 0x0
	s_barrier_signal -1
	s_barrier_wait -1
	global_inv scope:SCOPE_SE
	s_mov_b32 s0, exec_lo
	v_cmpx_eq_u32_e32 0, v0
	s_cbranch_execz .LBB267_1112
; %bb.1111:
	s_lshl_b32 s2, s4, 7
	s_mul_i32 s4, s12, s24
	s_wait_alu 0xfffe
	s_ashr_i32 s3, s2, 31
	s_ashr_i32 s5, s4, 31
	s_wait_alu 0xfffe
	s_lshl_b64 s[2:3], s[2:3], 1
	s_lshl_b64 s[4:5], s[4:5], 1
	s_wait_kmcnt 0x0
	s_wait_alu 0xfffe
	s_add_nc_u64 s[2:3], s[6:7], s[2:3]
	v_lshlrev_b32_e32 v0, 1, v11
	s_lshl_b32 s0, s33, 8
	s_wait_alu 0xfffe
	s_add_nc_u64 s[2:3], s[2:3], s[4:5]
	;;#ASMSTART
	v_cvt_f16_f32 v8, v8;

	;;#ASMEND
	s_wait_alu 0xfffe
	s_add_nc_u64 s[0:1], s[2:3], s[0:1]
	global_store_b16 v0, v8, s[0:1]
	;;#ASMSTART
	v_cvt_f16_f32 v7, v7;

	;;#ASMEND
	global_store_b16 v0, v7, s[0:1] offset:32
	;;#ASMSTART
	v_cvt_f16_f32 v6, v6;

	;;#ASMEND
	global_store_b16 v0, v6, s[0:1] offset:64
	;; [unrolled: 5-line block ×7, first 2 shown]
.LBB267_1112:
	s_nop 0
	s_sendmsg sendmsg(MSG_DEALLOC_VGPRS)
	s_endpgm
.LBB267_1113:
	ds_load_b32 v12, v9
	s_wait_dscnt 0x0
	v_add_f32_e32 v8, v8, v12
	s_wait_alu 0xfffe
	s_or_b32 exec_lo, exec_lo, s0
	s_and_saveexec_b32 s0, vcc_lo
	s_cbranch_execz .LBB267_1089
.LBB267_1114:
	ds_load_b32 v12, v9 offset:64
	s_wait_dscnt 0x0
	v_add_f32_e32 v7, v7, v12
	s_wait_alu 0xfffe
	s_or_b32 exec_lo, exec_lo, s0
	s_and_saveexec_b32 s0, vcc_lo
	s_cbranch_execz .LBB267_1090
.LBB267_1115:
	ds_load_b32 v12, v9 offset:128
	s_wait_dscnt 0x0
	v_add_f32_e32 v6, v6, v12
	s_wait_alu 0xfffe
	s_or_b32 exec_lo, exec_lo, s0
	s_and_saveexec_b32 s0, vcc_lo
	s_cbranch_execz .LBB267_1091
.LBB267_1116:
	ds_load_b32 v12, v9 offset:192
	s_wait_dscnt 0x0
	v_add_f32_e32 v5, v5, v12
	s_wait_alu 0xfffe
	s_or_b32 exec_lo, exec_lo, s0
	s_and_saveexec_b32 s0, vcc_lo
	s_cbranch_execz .LBB267_1092
.LBB267_1117:
	ds_load_b32 v12, v9 offset:256
	s_wait_dscnt 0x0
	v_add_f32_e32 v4, v4, v12
	s_wait_alu 0xfffe
	s_or_b32 exec_lo, exec_lo, s0
	s_and_saveexec_b32 s0, vcc_lo
	s_cbranch_execz .LBB267_1093
.LBB267_1118:
	ds_load_b32 v12, v9 offset:320
	s_wait_dscnt 0x0
	v_add_f32_e32 v3, v3, v12
	s_wait_alu 0xfffe
	s_or_b32 exec_lo, exec_lo, s0
	s_and_saveexec_b32 s0, vcc_lo
	s_cbranch_execz .LBB267_1094
.LBB267_1119:
	ds_load_b32 v12, v9 offset:384
	s_wait_dscnt 0x0
	v_add_f32_e32 v2, v2, v12
	s_wait_alu 0xfffe
	s_or_b32 exec_lo, exec_lo, s0
	s_and_saveexec_b32 s0, vcc_lo
	s_cbranch_execnz .LBB267_1095
	s_branch .LBB267_1096
.LBB267_1120:
	ds_load_b32 v10, v9
	s_wait_dscnt 0x0
	v_add_f32_e32 v8, v8, v10
	s_wait_alu 0xfffe
	s_or_b32 exec_lo, exec_lo, s1
	s_and_saveexec_b32 s1, vcc_lo
	s_cbranch_execz .LBB267_1102
.LBB267_1121:
	ds_load_b32 v10, v9 offset:64
	s_wait_dscnt 0x0
	v_add_f32_e32 v7, v7, v10
	s_wait_alu 0xfffe
	s_or_b32 exec_lo, exec_lo, s1
	s_and_saveexec_b32 s1, vcc_lo
	s_cbranch_execz .LBB267_1103
.LBB267_1122:
	ds_load_b32 v10, v9 offset:128
	s_wait_dscnt 0x0
	v_add_f32_e32 v6, v6, v10
	s_wait_alu 0xfffe
	s_or_b32 exec_lo, exec_lo, s1
	s_and_saveexec_b32 s1, vcc_lo
	s_cbranch_execz .LBB267_1104
.LBB267_1123:
	ds_load_b32 v10, v9 offset:192
	s_wait_dscnt 0x0
	v_add_f32_e32 v5, v5, v10
	s_wait_alu 0xfffe
	s_or_b32 exec_lo, exec_lo, s1
	s_and_saveexec_b32 s1, vcc_lo
	s_cbranch_execz .LBB267_1105
.LBB267_1124:
	ds_load_b32 v10, v9 offset:256
	s_wait_dscnt 0x0
	v_add_f32_e32 v4, v4, v10
	s_wait_alu 0xfffe
	s_or_b32 exec_lo, exec_lo, s1
	s_and_saveexec_b32 s1, vcc_lo
	s_cbranch_execz .LBB267_1106
.LBB267_1125:
	ds_load_b32 v10, v9 offset:320
	s_wait_dscnt 0x0
	v_add_f32_e32 v3, v3, v10
	s_wait_alu 0xfffe
	s_or_b32 exec_lo, exec_lo, s1
	s_and_saveexec_b32 s1, vcc_lo
	s_cbranch_execz .LBB267_1107
.LBB267_1126:
	ds_load_b32 v10, v9 offset:384
	s_wait_dscnt 0x0
	v_add_f32_e32 v2, v2, v10
	s_wait_alu 0xfffe
	s_or_b32 exec_lo, exec_lo, s1
	s_and_saveexec_b32 s1, vcc_lo
	s_cbranch_execnz .LBB267_1108
	s_branch .LBB267_1109
	.section	.rodata,"a",@progbits
	.p2align	6, 0x0
	.amdhsa_kernel _ZN4vllm25paged_attention_v2_kernelIthLi128ELi16ELi128ELNS_18Fp8KVCacheDataTypeE1ELb1ELi512EEEvPfS2_PT_PKS3_PKT0_S9_ifPKiSB_iPKfiiiSD_SD_iiiii
		.amdhsa_group_segment_fixed_size 288
		.amdhsa_private_segment_fixed_size 0
		.amdhsa_kernarg_size 400
		.amdhsa_user_sgpr_count 2
		.amdhsa_user_sgpr_dispatch_ptr 0
		.amdhsa_user_sgpr_queue_ptr 0
		.amdhsa_user_sgpr_kernarg_segment_ptr 1
		.amdhsa_user_sgpr_dispatch_id 0
		.amdhsa_user_sgpr_private_segment_size 0
		.amdhsa_wavefront_size32 1
		.amdhsa_uses_dynamic_stack 0
		.amdhsa_enable_private_segment 0
		.amdhsa_system_sgpr_workgroup_id_x 1
		.amdhsa_system_sgpr_workgroup_id_y 1
		.amdhsa_system_sgpr_workgroup_id_z 1
		.amdhsa_system_sgpr_workgroup_info 0
		.amdhsa_system_vgpr_workitem_id 0
		.amdhsa_next_free_vgpr 138
		.amdhsa_next_free_sgpr 48
		.amdhsa_reserve_vcc 1
		.amdhsa_float_round_mode_32 0
		.amdhsa_float_round_mode_16_64 0
		.amdhsa_float_denorm_mode_32 3
		.amdhsa_float_denorm_mode_16_64 3
		.amdhsa_fp16_overflow 0
		.amdhsa_workgroup_processor_mode 1
		.amdhsa_memory_ordered 1
		.amdhsa_forward_progress 1
		.amdhsa_inst_pref_size 255
		.amdhsa_round_robin_scheduling 0
		.amdhsa_exception_fp_ieee_invalid_op 0
		.amdhsa_exception_fp_denorm_src 0
		.amdhsa_exception_fp_ieee_div_zero 0
		.amdhsa_exception_fp_ieee_overflow 0
		.amdhsa_exception_fp_ieee_underflow 0
		.amdhsa_exception_fp_ieee_inexact 0
		.amdhsa_exception_int_div_zero 0
	.end_amdhsa_kernel
	.section	.text._ZN4vllm25paged_attention_v2_kernelIthLi128ELi16ELi128ELNS_18Fp8KVCacheDataTypeE1ELb1ELi512EEEvPfS2_PT_PKS3_PKT0_S9_ifPKiSB_iPKfiiiSD_SD_iiiii,"axG",@progbits,_ZN4vllm25paged_attention_v2_kernelIthLi128ELi16ELi128ELNS_18Fp8KVCacheDataTypeE1ELb1ELi512EEEvPfS2_PT_PKS3_PKT0_S9_ifPKiSB_iPKfiiiSD_SD_iiiii,comdat
.Lfunc_end267:
	.size	_ZN4vllm25paged_attention_v2_kernelIthLi128ELi16ELi128ELNS_18Fp8KVCacheDataTypeE1ELb1ELi512EEEvPfS2_PT_PKS3_PKT0_S9_ifPKiSB_iPKfiiiSD_SD_iiiii, .Lfunc_end267-_ZN4vllm25paged_attention_v2_kernelIthLi128ELi16ELi128ELNS_18Fp8KVCacheDataTypeE1ELb1ELi512EEEvPfS2_PT_PKS3_PKT0_S9_ifPKiSB_iPKfiiiSD_SD_iiiii
                                        ; -- End function
	.set _ZN4vllm25paged_attention_v2_kernelIthLi128ELi16ELi128ELNS_18Fp8KVCacheDataTypeE1ELb1ELi512EEEvPfS2_PT_PKS3_PKT0_S9_ifPKiSB_iPKfiiiSD_SD_iiiii.num_vgpr, 138
	.set _ZN4vllm25paged_attention_v2_kernelIthLi128ELi16ELi128ELNS_18Fp8KVCacheDataTypeE1ELb1ELi512EEEvPfS2_PT_PKS3_PKT0_S9_ifPKiSB_iPKfiiiSD_SD_iiiii.num_agpr, 0
	.set _ZN4vllm25paged_attention_v2_kernelIthLi128ELi16ELi128ELNS_18Fp8KVCacheDataTypeE1ELb1ELi512EEEvPfS2_PT_PKS3_PKT0_S9_ifPKiSB_iPKfiiiSD_SD_iiiii.numbered_sgpr, 48
	.set _ZN4vllm25paged_attention_v2_kernelIthLi128ELi16ELi128ELNS_18Fp8KVCacheDataTypeE1ELb1ELi512EEEvPfS2_PT_PKS3_PKT0_S9_ifPKiSB_iPKfiiiSD_SD_iiiii.num_named_barrier, 0
	.set _ZN4vllm25paged_attention_v2_kernelIthLi128ELi16ELi128ELNS_18Fp8KVCacheDataTypeE1ELb1ELi512EEEvPfS2_PT_PKS3_PKT0_S9_ifPKiSB_iPKfiiiSD_SD_iiiii.private_seg_size, 0
	.set _ZN4vllm25paged_attention_v2_kernelIthLi128ELi16ELi128ELNS_18Fp8KVCacheDataTypeE1ELb1ELi512EEEvPfS2_PT_PKS3_PKT0_S9_ifPKiSB_iPKfiiiSD_SD_iiiii.uses_vcc, 1
	.set _ZN4vllm25paged_attention_v2_kernelIthLi128ELi16ELi128ELNS_18Fp8KVCacheDataTypeE1ELb1ELi512EEEvPfS2_PT_PKS3_PKT0_S9_ifPKiSB_iPKfiiiSD_SD_iiiii.uses_flat_scratch, 0
	.set _ZN4vllm25paged_attention_v2_kernelIthLi128ELi16ELi128ELNS_18Fp8KVCacheDataTypeE1ELb1ELi512EEEvPfS2_PT_PKS3_PKT0_S9_ifPKiSB_iPKfiiiSD_SD_iiiii.has_dyn_sized_stack, 0
	.set _ZN4vllm25paged_attention_v2_kernelIthLi128ELi16ELi128ELNS_18Fp8KVCacheDataTypeE1ELb1ELi512EEEvPfS2_PT_PKS3_PKT0_S9_ifPKiSB_iPKfiiiSD_SD_iiiii.has_recursion, 0
	.set _ZN4vllm25paged_attention_v2_kernelIthLi128ELi16ELi128ELNS_18Fp8KVCacheDataTypeE1ELb1ELi512EEEvPfS2_PT_PKS3_PKT0_S9_ifPKiSB_iPKfiiiSD_SD_iiiii.has_indirect_call, 0
	.section	.AMDGPU.csdata,"",@progbits
; Kernel info:
; codeLenInByte = 39124
; TotalNumSgprs: 50
; NumVgprs: 138
; ScratchSize: 0
; MemoryBound: 0
; FloatMode: 240
; IeeeMode: 1
; LDSByteSize: 288 bytes/workgroup (compile time only)
; SGPRBlocks: 0
; VGPRBlocks: 17
; NumSGPRsForWavesPerEU: 50
; NumVGPRsForWavesPerEU: 138
; Occupancy: 10
; WaveLimiterHint : 1
; COMPUTE_PGM_RSRC2:SCRATCH_EN: 0
; COMPUTE_PGM_RSRC2:USER_SGPR: 2
; COMPUTE_PGM_RSRC2:TRAP_HANDLER: 0
; COMPUTE_PGM_RSRC2:TGID_X_EN: 1
; COMPUTE_PGM_RSRC2:TGID_Y_EN: 1
; COMPUTE_PGM_RSRC2:TGID_Z_EN: 1
; COMPUTE_PGM_RSRC2:TIDIG_COMP_CNT: 0
	.text
	.p2align	2                               ; -- Begin function _ZN4vllm22paged_attention_kernelIthLi192ELi16ELi128ELNS_18Fp8KVCacheDataTypeE1ELb1ELi512EEEvPfS2_PT_PKS3_PKT0_S9_ifPKiSB_iPKfiiiSD_SD_iiiii
	.type	_ZN4vllm22paged_attention_kernelIthLi192ELi16ELi128ELNS_18Fp8KVCacheDataTypeE1ELb1ELi512EEEvPfS2_PT_PKS3_PKT0_S9_ifPKiSB_iPKfiiiSD_SD_iiiii,@function
_ZN4vllm22paged_attention_kernelIthLi192ELi16ELi128ELNS_18Fp8KVCacheDataTypeE1ELb1ELi512EEEvPfS2_PT_PKS3_PKT0_S9_ifPKiSB_iPKfiiiSD_SD_iiiii: ; @_ZN4vllm22paged_attention_kernelIthLi192ELi16ELi128ELNS_18Fp8KVCacheDataTypeE1ELb1ELi512EEEvPfS2_PT_PKS3_PKT0_S9_ifPKiSB_iPKfiiiSD_SD_iiiii
; %bb.0:
	s_wait_loadcnt_dscnt 0x0
	s_wait_expcnt 0x0
	s_wait_samplecnt 0x0
	s_wait_bvhcnt 0x0
	s_wait_kmcnt 0x0
	s_clause 0x1f
	scratch_store_b32 off, v40, s32 offset:200
	; meta instruction
	scratch_store_b32 off, v41, s32 offset:196
	; meta instruction
	;; [unrolled: 2-line block ×31, first 2 shown]
	scratch_store_b32 off, v95, s32 offset:76
	s_clause 0x10
	scratch_store_b32 off, v104, s32 offset:72
	; meta instruction
	scratch_store_b32 off, v105, s32 offset:68
	; meta instruction
	;; [unrolled: 2-line block ×16, first 2 shown]
	scratch_store_b32 off, v136, s32 offset:8
	s_and_b32 s12, ttmp7, 0xffff
	s_lshr_b32 s11, ttmp7, 16
	s_wait_alu 0xfffe
	s_lshl_b32 s0, s12, 2
	s_mov_b32 s6, s15
	s_wait_alu 0xfffe
	v_add_co_u32 v16, vcc_lo, v16, s0
	s_wait_alu 0xfffd
	v_add_co_ci_u32_e64 v17, null, 0, v17, vcc_lo
	s_lshl_b32 s15, s11, 9
	s_mov_b32 s10, exec_lo
	flat_load_b32 v34, v[16:17]
	s_clause 0x1
	scratch_load_b32 v37, off, s32 offset:4
	scratch_load_b32 v38, off, s32
	s_wait_loadcnt_dscnt 0x200
	s_wait_alu 0xfffe
	v_cmpx_lt_i32_e64 s15, v34
	s_cbranch_execz .LBB268_1640
; %bb.1:
	v_mov_b32_e32 v55, 0
	v_sub_nc_u32_e32 v16, 0, v12
	s_clause 0x1
	s_load_u16 s0, s[8:9], 0x12
	s_load_b32 s1, s[8:9], 0x0
	global_load_u16 v33, v55, s[8:9] offset:22
	v_max_i32_e32 v16, v12, v16
	s_delay_alu instid0(VALU_DEP_1) | instskip(SKIP_1) | instid1(VALU_DEP_2)
	v_cvt_f32_u32_e32 v17, v16
	v_sub_nc_u32_e32 v32, 0, v16
	v_rcp_iflag_f32_e32 v17, v17
	s_wait_kmcnt 0x0
	s_cmp_lg_u32 s0, 0
	s_cselect_b32 s0, -1, 0
	s_delay_alu instid0(TRANS32_DEP_1)
	v_mul_f32_e32 v17, 0x4f7ffffe, v17
	s_wait_alu 0xfffe
	s_cmp_lg_u32 s0, 0
	s_add_co_ci_u32 s13, s1, 0
	s_mov_b32 s1, exec_lo
	v_cvt_u32_f32_e32 v17, v17
	s_wait_alu 0xfffe
	s_abs_i32 s0, s13
	s_delay_alu instid0(VALU_DEP_1) | instskip(NEXT) | instid1(VALU_DEP_1)
	v_mul_lo_u32 v32, v32, v17
	v_mul_hi_u32 v32, v17, v32
	s_delay_alu instid0(VALU_DEP_1) | instskip(SKIP_1) | instid1(VALU_DEP_1)
	v_add_nc_u32_e32 v17, v17, v32
	s_wait_alu 0xfffe
	v_mul_hi_u32 v17, s0, v17
	s_delay_alu instid0(VALU_DEP_1) | instskip(SKIP_1) | instid1(VALU_DEP_2)
	v_mul_lo_u32 v32, v17, v16
	v_add_nc_u32_e32 v35, 1, v17
	v_sub_nc_u32_e32 v32, s0, v32
	s_abs_i32 s0, ttmp9
	s_delay_alu instid0(VALU_DEP_1) | instskip(SKIP_2) | instid1(VALU_DEP_2)
	v_sub_nc_u32_e32 v36, v32, v16
	v_cmp_ge_u32_e32 vcc_lo, v32, v16
	s_wait_alu 0xfffd
	v_dual_cndmask_b32 v17, v17, v35 :: v_dual_cndmask_b32 v32, v32, v36
	v_xor_b32_e32 v35, s13, v12
	s_delay_alu instid0(VALU_DEP_2) | instskip(NEXT) | instid1(VALU_DEP_3)
	v_add_nc_u32_e32 v36, 1, v17
	v_cmp_ge_u32_e32 vcc_lo, v32, v16
	s_delay_alu instid0(VALU_DEP_3) | instskip(SKIP_1) | instid1(VALU_DEP_3)
	v_ashrrev_i32_e32 v35, 31, v35
	s_wait_alu 0xfffd
	v_cndmask_b32_e32 v16, v17, v36, vcc_lo
	s_delay_alu instid0(VALU_DEP_1) | instskip(NEXT) | instid1(VALU_DEP_1)
	v_xor_b32_e32 v16, v16, v35
	v_sub_nc_u32_e32 v32, v16, v35
	s_delay_alu instid0(VALU_DEP_1) | instskip(NEXT) | instid1(VALU_DEP_1)
	v_sub_nc_u32_e32 v16, 0, v32
	v_max_i32_e32 v36, v32, v16
	s_delay_alu instid0(VALU_DEP_1) | instskip(SKIP_1) | instid1(VALU_DEP_2)
	v_cvt_f32_u32_e32 v16, v36
	v_sub_nc_u32_e32 v17, 0, v36
	v_rcp_iflag_f32_e32 v16, v16
	s_delay_alu instid0(TRANS32_DEP_1) | instskip(NEXT) | instid1(VALU_DEP_1)
	v_mul_f32_e32 v16, 0x4f7ffffe, v16
	v_cvt_u32_f32_e32 v16, v16
	s_delay_alu instid0(VALU_DEP_1) | instskip(NEXT) | instid1(VALU_DEP_1)
	v_mul_lo_u32 v17, v17, v16
	v_mul_hi_u32 v17, v16, v17
	s_delay_alu instid0(VALU_DEP_1) | instskip(SKIP_1) | instid1(VALU_DEP_1)
	v_add_nc_u32_e32 v16, v16, v17
	s_wait_alu 0xfffe
	v_mad_co_u64_u32 v[16:17], null, s0, v16, 0
	s_wait_loadcnt 0x0
	v_readfirstlane_b32 s14, v33
	v_cmpx_ne_u64_e32 0, v[19:20]
	s_cbranch_execz .LBB268_3
; %bb.2:
	s_mov_b32 s2, ttmp9
	s_ashr_i32 s3, ttmp9, 31
	s_wait_alu 0xfffe
	s_lshl_b64 s[2:3], s[2:3], 2
	s_wait_alu 0xfffe
	v_add_co_u32 v19, vcc_lo, v19, s2
	s_wait_alu 0xfffd
	v_add_co_ci_u32_e64 v20, null, s3, v20, vcc_lo
	flat_load_b32 v55, v[19:20]
.LBB268_3:
	s_or_b32 exec_lo, exec_lo, s1
	v_and_b32_e32 v33, 0x3ff, v31
	v_ashrrev_i32_e32 v16, 31, v32
	v_bfe_u32 v32, v31, 1, 9
	v_and_b32_e32 v31, 1, v31
	s_ashr_i32 s1, ttmp9, 31
	v_lshlrev_b32_e32 v50, 3, v33
	s_mul_i32 s4, ttmp9, 0xc0
	s_mov_b32 s2, exec_lo
	v_cmpx_gt_u32_e32 48, v33
	s_cbranch_execz .LBB268_5
; %bb.4:
	v_mul_lo_u32 v19, v21, s12
	s_wait_alu 0xfffe
	s_ashr_i32 s5, s4, 31
	s_wait_alu 0xfffe
	s_lshl_b64 s[16:17], s[4:5], 1
	s_delay_alu instid0(VALU_DEP_1) | instskip(NEXT) | instid1(VALU_DEP_1)
	v_ashrrev_i32_e32 v20, 31, v19
	v_lshlrev_b64_e32 v[19:20], 1, v[19:20]
	s_delay_alu instid0(VALU_DEP_1) | instskip(SKIP_1) | instid1(VALU_DEP_2)
	v_add_co_u32 v6, vcc_lo, v6, v19
	s_wait_alu 0xfffd
	v_add_co_ci_u32_e64 v7, null, v7, v20, vcc_lo
	v_lshlrev_b32_e32 v19, 3, v32
	s_wait_alu 0xfffe
	v_add_co_u32 v6, vcc_lo, v6, s16
	s_wait_alu 0xfffd
	v_add_co_ci_u32_e64 v7, null, s17, v7, vcc_lo
	v_mad_u32_u24 v19, 0xc0, v31, v19
	s_delay_alu instid0(VALU_DEP_3) | instskip(SKIP_1) | instid1(VALU_DEP_3)
	v_add_co_u32 v6, vcc_lo, v6, v50
	s_wait_alu 0xfffd
	v_add_co_ci_u32_e64 v7, null, 0, v7, vcc_lo
	flat_load_b64 v[6:7], v[6:7]
	s_wait_loadcnt_dscnt 0x0
	ds_store_b64 v19, v[6:7]
.LBB268_5:
	s_wait_alu 0xfffe
	s_or_b32 exec_lo, exec_lo, s2
	v_sub_nc_u32_e32 v6, 0, v38
	v_mul_lo_u32 v7, v17, v36
	v_add_nc_u32_e32 v20, 1, v17
	v_xor_b32_e32 v48, s1, v16
	s_wait_storecnt 0x0
	s_wait_loadcnt_dscnt 0x0
	v_max_i32_e32 v35, v38, v6
	s_barrier_signal -1
	s_barrier_wait -1
	global_inv scope:SCOPE_SE
	v_sub_nc_u32_e32 v19, s0, v7
	v_cvt_f32_u32_e32 v6, v35
	v_sub_nc_u32_e32 v7, 0, v35
	s_mov_b32 s0, exec_lo
	s_delay_alu instid0(VALU_DEP_3) | instskip(NEXT) | instid1(VALU_DEP_3)
	v_cmp_ge_u32_e32 vcc_lo, v19, v36
	v_rcp_iflag_f32_e32 v6, v6
	v_sub_nc_u32_e32 v21, v19, v36
	s_wait_alu 0xfffd
	v_cndmask_b32_e32 v17, v17, v20, vcc_lo
	s_delay_alu instid0(VALU_DEP_2) | instskip(NEXT) | instid1(VALU_DEP_2)
	v_cndmask_b32_e32 v19, v19, v21, vcc_lo
	v_add_nc_u32_e32 v20, 1, v17
	s_delay_alu instid0(TRANS32_DEP_1) | instskip(NEXT) | instid1(VALU_DEP_3)
	v_mul_f32_e32 v6, 0x4f7ffffe, v6
	v_cmp_ge_u32_e32 vcc_lo, v19, v36
	s_delay_alu instid0(VALU_DEP_2) | instskip(SKIP_2) | instid1(VALU_DEP_2)
	v_cvt_u32_f32_e32 v6, v6
	s_wait_alu 0xfffd
	v_cndmask_b32_e32 v16, v17, v20, vcc_lo
	v_mul_lo_u32 v39, v7, v6
	v_add_nc_u32_e32 v7, -1, v34
	s_delay_alu instid0(VALU_DEP_2) | instskip(NEXT) | instid1(VALU_DEP_2)
	v_mul_hi_u32 v21, v6, v39
	v_sub_nc_u32_e32 v39, 0, v7
	s_delay_alu instid0(VALU_DEP_1) | instskip(NEXT) | instid1(VALU_DEP_3)
	v_max_i32_e32 v19, v7, v39
	v_add_nc_u32_e32 v36, v6, v21
	v_xor_b32_e32 v6, v16, v48
	s_delay_alu instid0(VALU_DEP_2) | instskip(NEXT) | instid1(VALU_DEP_2)
	v_mad_co_u64_u32 v[16:17], null, v19, v36, 0
	v_sub_nc_u32_e32 v16, v6, v48
                                        ; implicit-def: $vgpr6
	v_cmpx_gt_i32_e32 0, v37
	s_wait_alu 0xfffe
	s_xor_b32 s0, exec_lo, s0
; %bb.6:
	s_delay_alu instid0(VALU_DEP_2) | instskip(NEXT) | instid1(VALU_DEP_1)
	v_mad_co_u64_u32 v[20:21], null, v28, v12, v[16:17]
                                        ; implicit-def: $vgpr28
	v_mul_lo_u32 v6, v20, v37
                                        ; implicit-def: $vgpr37
	s_delay_alu instid0(VALU_DEP_1)
	v_sub_nc_u32_e32 v6, 1, v6
; %bb.7:
	s_wait_alu 0xfffe
	s_or_saveexec_b32 s0, s0
	v_ashrrev_i32_e32 v12, 31, v7
	v_ashrrev_i32_e32 v38, 31, v38
	s_wait_alu 0xfffe
	s_xor_b32 exec_lo, exec_lo, s0
; %bb.8:
	s_mov_b32 s2, ttmp9
	s_wait_alu 0xfffe
	v_mad_co_u64_u32 v[6:7], null, s13, v28, s[2:3]
	s_delay_alu instid0(VALU_DEP_1)
	v_mad_co_u64_u32 v[6:7], null, v6, v37, 1
; %bb.9:
	s_or_b32 exec_lo, exec_lo, s0
	v_mul_lo_u32 v7, v17, v35
	v_lshrrev_b32_e32 v37, 5, v33
	s_lshl_b32 s16, s11, 5
	v_mul_lo_u32 v51, v16, v23
	s_load_b32 s5, s[8:9], 0x8
	v_xor_b32_e32 v12, v12, v38
	v_or_b32_e32 v23, s16, v37
	v_mul_lo_u32 v18, v18, s12
	v_sub_nc_u32_e32 v7, v19, v7
	v_add_nc_u32_e32 v19, 1, v17
	s_add_co_i32 s0, s16, 32
	v_mov_b32_e32 v67, 0xff7fffff
	v_sub_nc_u32_e32 v53, 0, v30
	v_sub_nc_u32_e32 v28, v7, v35
	v_cmp_ge_u32_e32 vcc_lo, v7, v35
	v_add_nc_u32_e32 v20, 15, v34
	v_lshl_add_u32 v39, v37, 4, s15
	v_ashrrev_i32_e32 v54, 31, v51
	v_mbcnt_lo_u32_b32 v64, -1, 0
	s_wait_alu 0xfffd
	v_cndmask_b32_e32 v17, v17, v19, vcc_lo
	v_ashrrev_i32_e32 v21, 31, v20
	v_cndmask_b32_e32 v7, v7, v28, vcc_lo
	s_delay_alu instid0(VALU_DEP_2) | instskip(NEXT) | instid1(VALU_DEP_4)
	v_lshrrev_b32_e32 v19, 28, v21
	v_add_nc_u32_e32 v21, 1, v17
	s_delay_alu instid0(VALU_DEP_3) | instskip(NEXT) | instid1(VALU_DEP_3)
	v_cmp_ge_u32_e32 vcc_lo, v7, v35
	v_add_nc_u32_e32 v19, v20, v19
	s_wait_alu 0xfffd
	s_delay_alu instid0(VALU_DEP_3) | instskip(NEXT) | instid1(VALU_DEP_2)
	v_cndmask_b32_e32 v7, v17, v21, vcc_lo
	v_ashrrev_i32_e32 v52, 4, v19
	v_ashrrev_i32_e32 v19, 31, v18
	s_delay_alu instid0(VALU_DEP_3) | instskip(SKIP_1) | instid1(VALU_DEP_3)
	v_xor_b32_e32 v7, v7, v12
	s_wait_alu 0xfffe
	v_min_i32_e32 v48, s0, v52
	s_delay_alu instid0(VALU_DEP_3) | instskip(NEXT) | instid1(VALU_DEP_3)
	v_lshlrev_b64_e32 v[16:17], 2, v[18:19]
	v_sub_nc_u32_e32 v7, v7, v12
	v_lshlrev_b32_e32 v12, 2, v23
	s_delay_alu instid0(VALU_DEP_4) | instskip(NEXT) | instid1(VALU_DEP_3)
	v_cmp_lt_i32_e64 s0, v23, v48
	v_sub_nc_u32_e32 v49, v7, v29
	s_and_saveexec_b32 s17, s0
	s_cbranch_execz .LBB268_789
; %bb.10:
	v_max_i32_e32 v65, v30, v53
	v_bfe_u32 v66, v33, 1, 4
	s_ashr_i32 s7, s6, 31
	v_add_co_u32 v18, s2, v16, v12
	s_delay_alu instid0(VALU_DEP_3) | instskip(NEXT) | instid1(VALU_DEP_3)
	v_cvt_f32_u32_e32 v7, v65
	v_sub_nc_u32_e32 v80, v66, v34
	v_sub_nc_u32_e32 v28, 0, v65
	s_getpc_b64 s[8:9]
	s_wait_alu 0xfffe
	s_sext_i32_i16 s9, s9
	s_add_co_u32 s8, s8, llvm.amdgcn.dynlds.offset.table@rel32@lo+12
	s_wait_alu 0xfffe
	s_add_co_ci_u32 s9, s9, llvm.amdgcn.dynlds.offset.table@rel32@hi+24
	v_add_co_ci_u32_e64 v19, null, 0, v17, s2
	v_rcp_iflag_f32_e32 v7, v7
	s_lshl_b64 s[2:3], s[6:7], 2
	v_add_co_u32 v20, s1, v8, v51
	s_wait_alu 0xfffe
	s_add_nc_u64 s[8:9], s[8:9], s[2:3]
	v_dual_mov_b32 v70, 0xff7fffff :: v_dual_lshlrev_b32 v29, 4, v66
	s_load_b32 s7, s[8:9], 0x0
	v_add_co_ci_u32_e64 v9, null, v9, v54, s1
	s_delay_alu instid0(TRANS32_DEP_1) | instskip(SKIP_2) | instid1(VALU_DEP_3)
	v_dual_mul_f32 v7, 0x4f7ffffe, v7 :: v_dual_add_nc_u32 v80, 1, v80
	v_add_co_u32 v18, s2, v14, v18
	v_dual_mov_b32 v8, 0 :: v_dual_lshlrev_b32 v21, 2, v31
	v_cvt_u32_f32_e32 v7, v7
	s_wait_alu 0xf1ff
	v_add_co_ci_u32_e64 v19, null, v15, v19, s2
	v_add_co_u32 v20, s2, v20, v29
	s_delay_alu instid0(VALU_DEP_3)
	v_mul_lo_u32 v28, v28, v7
	v_dual_mov_b32 v82, v23 :: v_dual_lshlrev_b32 v67, 2, v66
	s_wait_alu 0xf1ff
	v_add_co_ci_u32_e64 v9, null, 0, v9, s2
	v_add_co_u32 v20, s2, v20, v21
	v_mul_u32_u24_e32 v68, 0xc0, v31
	v_mul_hi_u32 v28, v7, v28
	v_cmp_neq_f32_e64 s1, 0, v55
	v_lshl_add_u32 v69, v37, 4, s15
	v_lshl_or_b32 v71, v37, 6, v67
	s_wait_alu 0xf1ff
	v_add_co_ci_u32_e64 v21, null, 0, v9, s2
	v_mov_b32_e32 v67, 0xff7fffff
	s_mov_b32 s18, 0
	v_add_nc_u32_e32 v81, v7, v28
	v_cmp_eq_u32_e32 vcc_lo, 0, v31
	s_branch .LBB268_13
.LBB268_11:                             ;   in Loop: Header=BB268_13 Depth=1
	s_wait_alu 0xfffe
	s_or_b32 exec_lo, exec_lo, s19
.LBB268_12:                             ;   in Loop: Header=BB268_13 Depth=1
	s_wait_alu 0xfffe
	s_or_b32 exec_lo, exec_lo, s3
	v_add_nc_u32_e32 v82, 4, v82
	v_add_co_u32 v18, s3, v18, 16
	s_wait_alu 0xf1ff
	v_add_co_ci_u32_e64 v19, null, 0, v19, s3
	s_delay_alu instid0(VALU_DEP_3)
	v_cmp_ge_i32_e64 s2, v82, v48
	v_add_nc_u32_e32 v69, 64, v69
	v_add_nc_u32_e32 v71, 0x100, v71
	s_or_b32 s18, s2, s18
	s_wait_alu 0xfffe
	s_and_not1_b32 exec_lo, exec_lo, s18
	s_cbranch_execz .LBB268_788
.LBB268_13:                             ; =>This Inner Loop Header: Depth=1
	v_sub_nc_u32_e32 v7, 0, v69
	s_delay_alu instid0(VALU_DEP_1) | instskip(SKIP_1) | instid1(VALU_DEP_1)
	v_max_i32_e32 v7, v69, v7
	s_wait_dscnt 0x0
	v_mul_hi_u32 v9, v7, v36
	s_delay_alu instid0(VALU_DEP_1) | instskip(NEXT) | instid1(VALU_DEP_1)
	v_mul_lo_u32 v28, v9, v35
	v_sub_nc_u32_e32 v7, v7, v28
	v_add_nc_u32_e32 v28, 1, v9
	s_delay_alu instid0(VALU_DEP_2) | instskip(SKIP_2) | instid1(VALU_DEP_1)
	v_sub_nc_u32_e32 v29, v7, v35
	v_cmp_ge_u32_e64 s2, v7, v35
	s_wait_alu 0xf1ff
	v_cndmask_b32_e64 v9, v9, v28, s2
	s_delay_alu instid0(VALU_DEP_3) | instskip(SKIP_1) | instid1(VALU_DEP_3)
	v_cndmask_b32_e64 v7, v7, v29, s2
	v_ashrrev_i32_e32 v28, 31, v69
	v_add_nc_u32_e32 v29, 1, v9
	s_delay_alu instid0(VALU_DEP_3) | instskip(NEXT) | instid1(VALU_DEP_3)
	v_cmp_ge_u32_e64 s2, v7, v35
	v_xor_b32_e32 v28, v28, v38
	s_wait_alu 0xf1ff
	s_delay_alu instid0(VALU_DEP_2) | instskip(NEXT) | instid1(VALU_DEP_1)
	v_cndmask_b32_e64 v7, v9, v29, s2
	v_xor_b32_e32 v7, v7, v28
	s_delay_alu instid0(VALU_DEP_1) | instskip(NEXT) | instid1(VALU_DEP_1)
	v_sub_nc_u32_e32 v7, v7, v28
	v_add_nc_u32_e32 v9, v7, v6
	v_cmp_le_i32_e64 s3, v7, v49
	s_delay_alu instid0(VALU_DEP_2) | instskip(NEXT) | instid1(VALU_DEP_1)
	v_sub_nc_u32_e32 v28, 0, v9
	v_max_i32_e32 v28, v9, v28
	v_ashrrev_i32_e32 v9, 31, v9
	s_delay_alu instid0(VALU_DEP_2) | instskip(NEXT) | instid1(VALU_DEP_1)
	v_mul_hi_u32 v29, v28, v81
	v_mul_lo_u32 v29, v29, v65
	s_delay_alu instid0(VALU_DEP_1) | instskip(NEXT) | instid1(VALU_DEP_1)
	v_sub_nc_u32_e32 v28, v28, v29
	v_sub_nc_u32_e32 v29, v28, v65
	v_cmp_ge_u32_e64 s2, v28, v65
	s_wait_alu 0xf1ff
	s_delay_alu instid0(VALU_DEP_1) | instskip(NEXT) | instid1(VALU_DEP_1)
	v_cndmask_b32_e64 v28, v28, v29, s2
	v_sub_nc_u32_e32 v29, v28, v65
	v_cmp_ge_u32_e64 s2, v28, v65
	s_wait_alu 0xf1ff
	s_delay_alu instid0(VALU_DEP_1) | instskip(NEXT) | instid1(VALU_DEP_1)
	v_cndmask_b32_e64 v28, v28, v29, s2
	v_xor_b32_e32 v28, v28, v9
	s_delay_alu instid0(VALU_DEP_1) | instskip(NEXT) | instid1(VALU_DEP_1)
	v_sub_nc_u32_e32 v9, v28, v9
	v_cmp_ne_u32_e64 s2, 0, v9
	s_and_b32 s2, s2, s3
	s_wait_alu 0xfffe
	s_and_saveexec_b32 s3, s2
	s_wait_alu 0xfffe
	s_xor_b32 s2, exec_lo, s3
	s_cbranch_execz .LBB268_17
; %bb.14:                               ;   in Loop: Header=BB268_13 Depth=1
	s_and_saveexec_b32 s3, vcc_lo
	s_cbranch_execz .LBB268_16
; %bb.15:                               ;   in Loop: Header=BB268_13 Depth=1
	s_wait_kmcnt 0x0
	v_add_nc_u32_e32 v7, s7, v71
	ds_store_b32 v7, v70
.LBB268_16:                             ;   in Loop: Header=BB268_13 Depth=1
	s_wait_alu 0xfffe
	s_or_b32 exec_lo, exec_lo, s3
.LBB268_17:                             ;   in Loop: Header=BB268_13 Depth=1
	s_wait_alu 0xfffe
	s_and_not1_saveexec_b32 s3, s2
	s_cbranch_execz .LBB268_12
; %bb.18:                               ;   in Loop: Header=BB268_13 Depth=1
	flat_load_b32 v7, v[18:19]
	v_mov_b32_e32 v85, 0
	s_mov_b32 s19, exec_lo
	v_mov_b32_e32 v84, 0
	s_wait_loadcnt_dscnt 0x0
	v_mad_co_i64_i32 v[28:29], null, v7, v22, v[20:21]
	flat_load_b32 v9, v[28:29]
	flat_load_b32 v83, v[24:25]
	s_wait_loadcnt_dscnt 0x101
	v_and_b32_e32 v7, 0xff, v9
	s_delay_alu instid0(VALU_DEP_1)
	v_cmpx_ne_u16_e32 0, v7
	s_cbranch_execz .LBB268_26
; %bb.19:                               ;   in Loop: Header=BB268_13 Depth=1
	v_mov_b32_e32 v85, 0x8000
	s_mov_b32 s20, exec_lo
	v_cmpx_ne_u16_e32 0x80, v7
	s_cbranch_execz .LBB268_25
; %bb.20:                               ;   in Loop: Header=BB268_13 Depth=1
	v_and_b32_e32 v86, 0x7f, v9
	v_mov_b32_e32 v85, 0x7c01
	s_mov_b32 s21, exec_lo
	s_delay_alu instid0(VALU_DEP_2)
	v_cmpx_ne_u32_e32 0x7f, v86
	s_cbranch_execz .LBB268_24
; %bb.21:                               ;   in Loop: Header=BB268_13 Depth=1
	v_and_b32_e32 v7, 7, v9
	v_lshrrev_b32_e32 v85, 3, v86
	s_mov_b32 s22, exec_lo
	v_cmpx_gt_u32_e32 8, v86
; %bb.22:                               ;   in Loop: Header=BB268_13 Depth=1
	s_delay_alu instid0(VALU_DEP_3) | instskip(NEXT) | instid1(VALU_DEP_1)
	v_clz_i32_u32_e32 v7, v7
	v_min_u32_e32 v7, 32, v7
	s_delay_alu instid0(VALU_DEP_1) | instskip(NEXT) | instid1(VALU_DEP_1)
	v_subrev_nc_u32_e32 v85, 28, v7
	v_lshlrev_b64_e32 v[86:87], v85, v[9:10]
	v_sub_nc_u32_e32 v85, 29, v7
	s_delay_alu instid0(VALU_DEP_2)
	v_and_b32_e32 v7, 7, v86
; %bb.23:                               ;   in Loop: Header=BB268_13 Depth=1
	s_wait_alu 0xfffe
	s_or_b32 exec_lo, exec_lo, s22
	v_lshlrev_b32_e32 v86, 8, v9
	v_lshl_add_u32 v85, v85, 10, 0x2000
	v_lshlrev_b32_e32 v7, 7, v7
	s_delay_alu instid0(VALU_DEP_3) | instskip(NEXT) | instid1(VALU_DEP_3)
	v_and_b32_e32 v86, 0x8000, v86
	v_and_b32_e32 v85, 0xfc00, v85
	s_delay_alu instid0(VALU_DEP_1)
	v_or3_b32 v85, v86, v85, v7
.LBB268_24:                             ;   in Loop: Header=BB268_13 Depth=1
	s_wait_alu 0xfffe
	s_or_b32 exec_lo, exec_lo, s21
.LBB268_25:                             ;   in Loop: Header=BB268_13 Depth=1
	s_wait_alu 0xfffe
	s_or_b32 exec_lo, exec_lo, s20
.LBB268_26:                             ;   in Loop: Header=BB268_13 Depth=1
	s_wait_alu 0xfffe
	s_or_b32 exec_lo, exec_lo, s19
	v_lshrrev_b16 v7, 8, v9
	s_mov_b32 s19, exec_lo
	s_delay_alu instid0(VALU_DEP_1)
	v_cmpx_ne_u16_e32 0, v7
	s_cbranch_execz .LBB268_34
; %bb.27:                               ;   in Loop: Header=BB268_13 Depth=1
	v_bfrev_b32_e32 v84, 1
	s_mov_b32 s20, exec_lo
	v_cmpx_ne_u16_e32 0x80, v7
	s_cbranch_execz .LBB268_33
; %bb.28:                               ;   in Loop: Header=BB268_13 Depth=1
	v_and_b32_e32 v86, 0xffff, v7
	v_mov_b32_e32 v84, 0x7c010000
	s_mov_b32 s21, exec_lo
	s_delay_alu instid0(VALU_DEP_2) | instskip(NEXT) | instid1(VALU_DEP_1)
	v_and_b32_e32 v96, 0x7f, v86
	v_cmpx_ne_u32_e32 0x7f, v96
	s_cbranch_execz .LBB268_32
; %bb.29:                               ;   in Loop: Header=BB268_13 Depth=1
	v_and_b32_e32 v84, 7, v86
	v_lshrrev_b32_e32 v87, 3, v96
	s_mov_b32 s22, exec_lo
	v_cmpx_gt_u32_e32 8, v96
; %bb.30:                               ;   in Loop: Header=BB268_13 Depth=1
	s_delay_alu instid0(VALU_DEP_3) | instskip(NEXT) | instid1(VALU_DEP_1)
	v_clz_i32_u32_e32 v84, v84
	v_min_u32_e32 v84, 32, v84
	s_delay_alu instid0(VALU_DEP_1) | instskip(NEXT) | instid1(VALU_DEP_1)
	v_subrev_nc_u32_e32 v87, 28, v84
	v_lshlrev_b64_e32 v[96:97], v87, v[7:8]
	v_sub_nc_u32_e32 v87, 29, v84
	s_delay_alu instid0(VALU_DEP_2)
	v_and_b32_e32 v84, 7, v96
; %bb.31:                               ;   in Loop: Header=BB268_13 Depth=1
	s_wait_alu 0xfffe
	s_or_b32 exec_lo, exec_lo, s22
	v_lshlrev_b32_e32 v7, 8, v86
	v_lshl_add_u32 v86, v87, 10, 0x2000
	v_lshlrev_b32_e32 v84, 23, v84
	s_delay_alu instid0(VALU_DEP_2) | instskip(NEXT) | instid1(VALU_DEP_1)
	v_and_or_b32 v7, 0x8000, v7, v86
	v_lshl_or_b32 v84, v7, 16, v84
.LBB268_32:                             ;   in Loop: Header=BB268_13 Depth=1
	s_wait_alu 0xfffe
	s_or_b32 exec_lo, exec_lo, s21
.LBB268_33:                             ;   in Loop: Header=BB268_13 Depth=1
	s_wait_alu 0xfffe
	s_or_b32 exec_lo, exec_lo, s20
.LBB268_34:                             ;   in Loop: Header=BB268_13 Depth=1
	s_wait_alu 0xfffe
	s_or_b32 exec_lo, exec_lo, s19
	v_lshrrev_b32_e32 v7, 16, v9
	v_mov_b32_e32 v86, 0
	s_mov_b32 s19, exec_lo
	s_delay_alu instid0(VALU_DEP_2) | instskip(NEXT) | instid1(VALU_DEP_1)
	v_dual_mov_b32 v87, 0 :: v_dual_and_b32 v96, 0xff, v7
	v_cmpx_ne_u16_e32 0, v96
	s_cbranch_execz .LBB268_42
; %bb.35:                               ;   in Loop: Header=BB268_13 Depth=1
	v_mov_b32_e32 v87, 0x8000
	s_mov_b32 s20, exec_lo
	v_cmpx_ne_u16_e32 0x80, v96
	s_cbranch_execz .LBB268_41
; %bb.36:                               ;   in Loop: Header=BB268_13 Depth=1
	v_bfe_u32 v97, v9, 16, 7
	v_mov_b32_e32 v87, 0x7c01
	s_mov_b32 s21, exec_lo
	s_delay_alu instid0(VALU_DEP_2)
	v_cmpx_ne_u32_e32 0x7f, v97
	s_cbranch_execz .LBB268_40
; %bb.37:                               ;   in Loop: Header=BB268_13 Depth=1
	v_and_b32_e32 v87, 7, v7
	v_lshrrev_b32_e32 v96, 3, v97
	s_mov_b32 s22, exec_lo
	v_cmpx_gt_u32_e32 8, v97
; %bb.38:                               ;   in Loop: Header=BB268_13 Depth=1
	s_delay_alu instid0(VALU_DEP_3) | instskip(NEXT) | instid1(VALU_DEP_1)
	v_clz_i32_u32_e32 v87, v87
	v_min_u32_e32 v87, 32, v87
	s_delay_alu instid0(VALU_DEP_1) | instskip(NEXT) | instid1(VALU_DEP_1)
	v_subrev_nc_u32_e32 v96, 28, v87
	v_lshlrev_b64_e32 v[97:98], v96, v[7:8]
	v_sub_nc_u32_e32 v96, 29, v87
	s_delay_alu instid0(VALU_DEP_2)
	v_and_b32_e32 v87, 7, v97
; %bb.39:                               ;   in Loop: Header=BB268_13 Depth=1
	s_wait_alu 0xfffe
	s_or_b32 exec_lo, exec_lo, s22
	v_lshlrev_b32_e32 v7, 8, v7
	v_lshl_add_u32 v96, v96, 10, 0x2000
	v_lshlrev_b32_e32 v87, 7, v87
	s_delay_alu instid0(VALU_DEP_3) | instskip(NEXT) | instid1(VALU_DEP_3)
	v_and_b32_e32 v7, 0x8000, v7
	v_and_b32_e32 v96, 0xfc00, v96
	s_delay_alu instid0(VALU_DEP_1)
	v_or3_b32 v87, v7, v96, v87
.LBB268_40:                             ;   in Loop: Header=BB268_13 Depth=1
	s_wait_alu 0xfffe
	s_or_b32 exec_lo, exec_lo, s21
.LBB268_41:                             ;   in Loop: Header=BB268_13 Depth=1
	s_wait_alu 0xfffe
	s_or_b32 exec_lo, exec_lo, s20
.LBB268_42:                             ;   in Loop: Header=BB268_13 Depth=1
	s_wait_alu 0xfffe
	s_or_b32 exec_lo, exec_lo, s19
	s_delay_alu instid0(SALU_CYCLE_1)
	s_mov_b32 s19, exec_lo
	v_cmpx_lt_u32_e32 0xffffff, v9
	s_cbranch_execz .LBB268_50
; %bb.43:                               ;   in Loop: Header=BB268_13 Depth=1
	v_lshrrev_b32_e32 v7, 24, v9
	v_bfrev_b32_e32 v86, 1
	s_mov_b32 s20, exec_lo
	s_delay_alu instid0(VALU_DEP_2)
	v_cmpx_ne_u32_e32 0x80, v7
	s_cbranch_execz .LBB268_49
; %bb.44:                               ;   in Loop: Header=BB268_13 Depth=1
	v_and_b32_e32 v96, 0x7f, v7
	v_mov_b32_e32 v86, 0x7c010000
	s_mov_b32 s21, exec_lo
	s_delay_alu instid0(VALU_DEP_2)
	v_cmpx_ne_u32_e32 0x7f, v96
	s_cbranch_execz .LBB268_48
; %bb.45:                               ;   in Loop: Header=BB268_13 Depth=1
	v_and_b32_e32 v9, 7, v7
	v_lshrrev_b32_e32 v86, 3, v96
	s_mov_b32 s22, exec_lo
	v_cmpx_gt_u32_e32 8, v96
; %bb.46:                               ;   in Loop: Header=BB268_13 Depth=1
	s_delay_alu instid0(VALU_DEP_3) | instskip(NEXT) | instid1(VALU_DEP_1)
	v_clz_i32_u32_e32 v9, v9
	v_min_u32_e32 v9, 32, v9
	s_delay_alu instid0(VALU_DEP_1) | instskip(NEXT) | instid1(VALU_DEP_1)
	v_subrev_nc_u32_e32 v86, 28, v9
	v_lshlrev_b64_e32 v[96:97], v86, v[7:8]
	v_sub_nc_u32_e32 v86, 29, v9
	s_delay_alu instid0(VALU_DEP_2)
	v_and_b32_e32 v9, 7, v96
; %bb.47:                               ;   in Loop: Header=BB268_13 Depth=1
	s_wait_alu 0xfffe
	s_or_b32 exec_lo, exec_lo, s22
	v_lshlrev_b32_e32 v7, 8, v7
	v_lshl_add_u32 v86, v86, 10, 0x2000
	v_lshlrev_b32_e32 v9, 23, v9
	s_delay_alu instid0(VALU_DEP_2) | instskip(NEXT) | instid1(VALU_DEP_1)
	v_and_or_b32 v7, 0x8000, v7, v86
	v_lshl_or_b32 v86, v7, 16, v9
.LBB268_48:                             ;   in Loop: Header=BB268_13 Depth=1
	s_wait_alu 0xfffe
	s_or_b32 exec_lo, exec_lo, s21
.LBB268_49:                             ;   in Loop: Header=BB268_13 Depth=1
	s_wait_alu 0xfffe
	s_or_b32 exec_lo, exec_lo, s20
.LBB268_50:                             ;   in Loop: Header=BB268_13 Depth=1
	s_wait_alu 0xfffe
	s_or_b32 exec_lo, exec_lo, s19
	flat_load_b32 v9, v[28:29] offset:8
	v_mov_b32_e32 v97, 0
	s_mov_b32 s19, exec_lo
	s_wait_loadcnt_dscnt 0x0
	v_dual_mov_b32 v96, 0 :: v_dual_and_b32 v7, 0xff, v9
	s_delay_alu instid0(VALU_DEP_1)
	v_cmpx_ne_u16_e32 0, v7
	s_cbranch_execz .LBB268_58
; %bb.51:                               ;   in Loop: Header=BB268_13 Depth=1
	v_mov_b32_e32 v97, 0x8000
	s_mov_b32 s20, exec_lo
	v_cmpx_ne_u16_e32 0x80, v7
	s_cbranch_execz .LBB268_57
; %bb.52:                               ;   in Loop: Header=BB268_13 Depth=1
	v_and_b32_e32 v98, 0x7f, v9
	v_mov_b32_e32 v97, 0x7c01
	s_mov_b32 s21, exec_lo
	s_delay_alu instid0(VALU_DEP_2)
	v_cmpx_ne_u32_e32 0x7f, v98
	s_cbranch_execz .LBB268_56
; %bb.53:                               ;   in Loop: Header=BB268_13 Depth=1
	v_and_b32_e32 v7, 7, v9
	v_lshrrev_b32_e32 v97, 3, v98
	s_mov_b32 s22, exec_lo
	v_cmpx_gt_u32_e32 8, v98
; %bb.54:                               ;   in Loop: Header=BB268_13 Depth=1
	s_delay_alu instid0(VALU_DEP_3) | instskip(NEXT) | instid1(VALU_DEP_1)
	v_clz_i32_u32_e32 v7, v7
	v_min_u32_e32 v7, 32, v7
	s_delay_alu instid0(VALU_DEP_1) | instskip(NEXT) | instid1(VALU_DEP_1)
	v_subrev_nc_u32_e32 v97, 28, v7
	v_lshlrev_b64_e32 v[98:99], v97, v[9:10]
	v_sub_nc_u32_e32 v97, 29, v7
	s_delay_alu instid0(VALU_DEP_2)
	v_and_b32_e32 v7, 7, v98
; %bb.55:                               ;   in Loop: Header=BB268_13 Depth=1
	s_wait_alu 0xfffe
	s_or_b32 exec_lo, exec_lo, s22
	v_lshlrev_b32_e32 v98, 8, v9
	v_lshl_add_u32 v97, v97, 10, 0x2000
	v_lshlrev_b32_e32 v7, 7, v7
	s_delay_alu instid0(VALU_DEP_3) | instskip(NEXT) | instid1(VALU_DEP_3)
	v_and_b32_e32 v98, 0x8000, v98
	v_and_b32_e32 v97, 0xfc00, v97
	s_delay_alu instid0(VALU_DEP_1)
	v_or3_b32 v97, v98, v97, v7
.LBB268_56:                             ;   in Loop: Header=BB268_13 Depth=1
	s_wait_alu 0xfffe
	s_or_b32 exec_lo, exec_lo, s21
.LBB268_57:                             ;   in Loop: Header=BB268_13 Depth=1
	s_wait_alu 0xfffe
	s_or_b32 exec_lo, exec_lo, s20
.LBB268_58:                             ;   in Loop: Header=BB268_13 Depth=1
	s_wait_alu 0xfffe
	s_or_b32 exec_lo, exec_lo, s19
	v_lshrrev_b16 v7, 8, v9
	s_mov_b32 s19, exec_lo
	s_delay_alu instid0(VALU_DEP_1)
	v_cmpx_ne_u16_e32 0, v7
	s_cbranch_execz .LBB268_66
; %bb.59:                               ;   in Loop: Header=BB268_13 Depth=1
	v_bfrev_b32_e32 v96, 1
	s_mov_b32 s20, exec_lo
	v_cmpx_ne_u16_e32 0x80, v7
	s_cbranch_execz .LBB268_65
; %bb.60:                               ;   in Loop: Header=BB268_13 Depth=1
	v_and_b32_e32 v98, 0xffff, v7
	v_mov_b32_e32 v96, 0x7c010000
	s_mov_b32 s21, exec_lo
	s_delay_alu instid0(VALU_DEP_2) | instskip(NEXT) | instid1(VALU_DEP_1)
	v_and_b32_e32 v100, 0x7f, v98
	v_cmpx_ne_u32_e32 0x7f, v100
	s_cbranch_execz .LBB268_64
; %bb.61:                               ;   in Loop: Header=BB268_13 Depth=1
	v_and_b32_e32 v96, 7, v98
	v_lshrrev_b32_e32 v99, 3, v100
	s_mov_b32 s22, exec_lo
	v_cmpx_gt_u32_e32 8, v100
; %bb.62:                               ;   in Loop: Header=BB268_13 Depth=1
	s_delay_alu instid0(VALU_DEP_3) | instskip(NEXT) | instid1(VALU_DEP_1)
	v_clz_i32_u32_e32 v96, v96
	v_min_u32_e32 v96, 32, v96
	s_delay_alu instid0(VALU_DEP_1) | instskip(NEXT) | instid1(VALU_DEP_1)
	v_subrev_nc_u32_e32 v99, 28, v96
	v_lshlrev_b64_e32 v[100:101], v99, v[7:8]
	v_sub_nc_u32_e32 v99, 29, v96
	s_delay_alu instid0(VALU_DEP_2)
	v_and_b32_e32 v96, 7, v100
; %bb.63:                               ;   in Loop: Header=BB268_13 Depth=1
	s_wait_alu 0xfffe
	s_or_b32 exec_lo, exec_lo, s22
	v_lshlrev_b32_e32 v7, 8, v98
	v_lshl_add_u32 v98, v99, 10, 0x2000
	v_lshlrev_b32_e32 v96, 23, v96
	s_delay_alu instid0(VALU_DEP_2) | instskip(NEXT) | instid1(VALU_DEP_1)
	v_and_or_b32 v7, 0x8000, v7, v98
	v_lshl_or_b32 v96, v7, 16, v96
.LBB268_64:                             ;   in Loop: Header=BB268_13 Depth=1
	s_wait_alu 0xfffe
	s_or_b32 exec_lo, exec_lo, s21
.LBB268_65:                             ;   in Loop: Header=BB268_13 Depth=1
	s_wait_alu 0xfffe
	s_or_b32 exec_lo, exec_lo, s20
.LBB268_66:                             ;   in Loop: Header=BB268_13 Depth=1
	s_wait_alu 0xfffe
	s_or_b32 exec_lo, exec_lo, s19
	v_lshrrev_b32_e32 v7, 16, v9
	v_mov_b32_e32 v98, 0
	s_mov_b32 s19, exec_lo
	s_delay_alu instid0(VALU_DEP_2) | instskip(NEXT) | instid1(VALU_DEP_1)
	v_dual_mov_b32 v99, 0 :: v_dual_and_b32 v100, 0xff, v7
	v_cmpx_ne_u16_e32 0, v100
	s_cbranch_execz .LBB268_74
; %bb.67:                               ;   in Loop: Header=BB268_13 Depth=1
	v_mov_b32_e32 v99, 0x8000
	s_mov_b32 s20, exec_lo
	v_cmpx_ne_u16_e32 0x80, v100
	s_cbranch_execz .LBB268_73
; %bb.68:                               ;   in Loop: Header=BB268_13 Depth=1
	v_bfe_u32 v101, v9, 16, 7
	v_mov_b32_e32 v99, 0x7c01
	s_mov_b32 s21, exec_lo
	s_delay_alu instid0(VALU_DEP_2)
	v_cmpx_ne_u32_e32 0x7f, v101
	s_cbranch_execz .LBB268_72
; %bb.69:                               ;   in Loop: Header=BB268_13 Depth=1
	v_and_b32_e32 v99, 7, v7
	v_lshrrev_b32_e32 v100, 3, v101
	s_mov_b32 s22, exec_lo
	v_cmpx_gt_u32_e32 8, v101
; %bb.70:                               ;   in Loop: Header=BB268_13 Depth=1
	s_delay_alu instid0(VALU_DEP_3) | instskip(NEXT) | instid1(VALU_DEP_1)
	v_clz_i32_u32_e32 v99, v99
	v_min_u32_e32 v101, 32, v99
	s_delay_alu instid0(VALU_DEP_1) | instskip(NEXT) | instid1(VALU_DEP_1)
	v_subrev_nc_u32_e32 v99, 28, v101
	v_lshlrev_b64_e32 v[99:100], v99, v[7:8]
	v_sub_nc_u32_e32 v100, 29, v101
	s_delay_alu instid0(VALU_DEP_2)
	v_and_b32_e32 v99, 7, v99
; %bb.71:                               ;   in Loop: Header=BB268_13 Depth=1
	s_wait_alu 0xfffe
	s_or_b32 exec_lo, exec_lo, s22
	v_lshlrev_b32_e32 v7, 8, v7
	v_lshl_add_u32 v100, v100, 10, 0x2000
	v_lshlrev_b32_e32 v99, 7, v99
	s_delay_alu instid0(VALU_DEP_3) | instskip(NEXT) | instid1(VALU_DEP_3)
	v_and_b32_e32 v7, 0x8000, v7
	v_and_b32_e32 v100, 0xfc00, v100
	s_delay_alu instid0(VALU_DEP_1)
	v_or3_b32 v99, v7, v100, v99
.LBB268_72:                             ;   in Loop: Header=BB268_13 Depth=1
	s_wait_alu 0xfffe
	s_or_b32 exec_lo, exec_lo, s21
.LBB268_73:                             ;   in Loop: Header=BB268_13 Depth=1
	s_wait_alu 0xfffe
	s_or_b32 exec_lo, exec_lo, s20
.LBB268_74:                             ;   in Loop: Header=BB268_13 Depth=1
	s_wait_alu 0xfffe
	s_or_b32 exec_lo, exec_lo, s19
	s_delay_alu instid0(SALU_CYCLE_1)
	s_mov_b32 s19, exec_lo
	v_cmpx_lt_u32_e32 0xffffff, v9
	s_cbranch_execz .LBB268_82
; %bb.75:                               ;   in Loop: Header=BB268_13 Depth=1
	v_lshrrev_b32_e32 v7, 24, v9
	v_bfrev_b32_e32 v98, 1
	s_mov_b32 s20, exec_lo
	s_delay_alu instid0(VALU_DEP_2)
	v_cmpx_ne_u32_e32 0x80, v7
	s_cbranch_execz .LBB268_81
; %bb.76:                               ;   in Loop: Header=BB268_13 Depth=1
	v_and_b32_e32 v100, 0x7f, v7
	v_mov_b32_e32 v98, 0x7c010000
	s_mov_b32 s21, exec_lo
	s_delay_alu instid0(VALU_DEP_2)
	v_cmpx_ne_u32_e32 0x7f, v100
	s_cbranch_execz .LBB268_80
; %bb.77:                               ;   in Loop: Header=BB268_13 Depth=1
	v_and_b32_e32 v9, 7, v7
	v_lshrrev_b32_e32 v98, 3, v100
	s_mov_b32 s22, exec_lo
	v_cmpx_gt_u32_e32 8, v100
; %bb.78:                               ;   in Loop: Header=BB268_13 Depth=1
	s_delay_alu instid0(VALU_DEP_3) | instskip(NEXT) | instid1(VALU_DEP_1)
	v_clz_i32_u32_e32 v9, v9
	v_min_u32_e32 v9, 32, v9
	s_delay_alu instid0(VALU_DEP_1) | instskip(NEXT) | instid1(VALU_DEP_1)
	v_subrev_nc_u32_e32 v98, 28, v9
	v_lshlrev_b64_e32 v[100:101], v98, v[7:8]
	v_sub_nc_u32_e32 v98, 29, v9
	s_delay_alu instid0(VALU_DEP_2)
	v_and_b32_e32 v9, 7, v100
; %bb.79:                               ;   in Loop: Header=BB268_13 Depth=1
	s_wait_alu 0xfffe
	s_or_b32 exec_lo, exec_lo, s22
	v_lshlrev_b32_e32 v7, 8, v7
	v_lshl_add_u32 v98, v98, 10, 0x2000
	v_lshlrev_b32_e32 v9, 23, v9
	s_delay_alu instid0(VALU_DEP_2) | instskip(NEXT) | instid1(VALU_DEP_1)
	v_and_or_b32 v7, 0x8000, v7, v98
	v_lshl_or_b32 v98, v7, 16, v9
.LBB268_80:                             ;   in Loop: Header=BB268_13 Depth=1
	s_wait_alu 0xfffe
	s_or_b32 exec_lo, exec_lo, s21
.LBB268_81:                             ;   in Loop: Header=BB268_13 Depth=1
	s_wait_alu 0xfffe
	s_or_b32 exec_lo, exec_lo, s20
.LBB268_82:                             ;   in Loop: Header=BB268_13 Depth=1
	s_wait_alu 0xfffe
	s_or_b32 exec_lo, exec_lo, s19
	flat_load_b32 v9, v[28:29] offset:256
	v_mov_b32_e32 v101, 0
	s_mov_b32 s19, exec_lo
	s_wait_loadcnt_dscnt 0x0
	v_dual_mov_b32 v100, 0 :: v_dual_and_b32 v7, 0xff, v9
	s_delay_alu instid0(VALU_DEP_1)
	v_cmpx_ne_u16_e32 0, v7
	s_cbranch_execz .LBB268_90
; %bb.83:                               ;   in Loop: Header=BB268_13 Depth=1
	v_mov_b32_e32 v101, 0x8000
	s_mov_b32 s20, exec_lo
	v_cmpx_ne_u16_e32 0x80, v7
	s_cbranch_execz .LBB268_89
; %bb.84:                               ;   in Loop: Header=BB268_13 Depth=1
	v_and_b32_e32 v102, 0x7f, v9
	v_mov_b32_e32 v101, 0x7c01
	s_mov_b32 s21, exec_lo
	s_delay_alu instid0(VALU_DEP_2)
	v_cmpx_ne_u32_e32 0x7f, v102
	s_cbranch_execz .LBB268_88
; %bb.85:                               ;   in Loop: Header=BB268_13 Depth=1
	v_and_b32_e32 v7, 7, v9
	v_lshrrev_b32_e32 v101, 3, v102
	s_mov_b32 s22, exec_lo
	v_cmpx_gt_u32_e32 8, v102
; %bb.86:                               ;   in Loop: Header=BB268_13 Depth=1
	s_delay_alu instid0(VALU_DEP_3) | instskip(NEXT) | instid1(VALU_DEP_1)
	v_clz_i32_u32_e32 v7, v7
	v_min_u32_e32 v7, 32, v7
	s_delay_alu instid0(VALU_DEP_1) | instskip(NEXT) | instid1(VALU_DEP_1)
	v_subrev_nc_u32_e32 v101, 28, v7
	v_lshlrev_b64_e32 v[102:103], v101, v[9:10]
	v_sub_nc_u32_e32 v101, 29, v7
	s_delay_alu instid0(VALU_DEP_2)
	v_and_b32_e32 v7, 7, v102
; %bb.87:                               ;   in Loop: Header=BB268_13 Depth=1
	s_wait_alu 0xfffe
	s_or_b32 exec_lo, exec_lo, s22
	v_lshlrev_b32_e32 v102, 8, v9
	v_lshl_add_u32 v101, v101, 10, 0x2000
	v_lshlrev_b32_e32 v7, 7, v7
	s_delay_alu instid0(VALU_DEP_3) | instskip(NEXT) | instid1(VALU_DEP_3)
	v_and_b32_e32 v102, 0x8000, v102
	v_and_b32_e32 v101, 0xfc00, v101
	s_delay_alu instid0(VALU_DEP_1)
	v_or3_b32 v101, v102, v101, v7
.LBB268_88:                             ;   in Loop: Header=BB268_13 Depth=1
	s_wait_alu 0xfffe
	s_or_b32 exec_lo, exec_lo, s21
.LBB268_89:                             ;   in Loop: Header=BB268_13 Depth=1
	s_wait_alu 0xfffe
	s_or_b32 exec_lo, exec_lo, s20
.LBB268_90:                             ;   in Loop: Header=BB268_13 Depth=1
	s_wait_alu 0xfffe
	s_or_b32 exec_lo, exec_lo, s19
	v_lshrrev_b16 v7, 8, v9
	s_mov_b32 s19, exec_lo
	s_delay_alu instid0(VALU_DEP_1)
	v_cmpx_ne_u16_e32 0, v7
	s_cbranch_execz .LBB268_98
; %bb.91:                               ;   in Loop: Header=BB268_13 Depth=1
	v_bfrev_b32_e32 v100, 1
	s_mov_b32 s20, exec_lo
	v_cmpx_ne_u16_e32 0x80, v7
	s_cbranch_execz .LBB268_97
; %bb.92:                               ;   in Loop: Header=BB268_13 Depth=1
	v_and_b32_e32 v102, 0xffff, v7
	v_mov_b32_e32 v100, 0x7c010000
	s_mov_b32 s21, exec_lo
	s_delay_alu instid0(VALU_DEP_2) | instskip(NEXT) | instid1(VALU_DEP_1)
	v_and_b32_e32 v112, 0x7f, v102
	v_cmpx_ne_u32_e32 0x7f, v112
	s_cbranch_execz .LBB268_96
; %bb.93:                               ;   in Loop: Header=BB268_13 Depth=1
	v_and_b32_e32 v100, 7, v102
	v_lshrrev_b32_e32 v103, 3, v112
	s_mov_b32 s22, exec_lo
	v_cmpx_gt_u32_e32 8, v112
; %bb.94:                               ;   in Loop: Header=BB268_13 Depth=1
	s_delay_alu instid0(VALU_DEP_3) | instskip(NEXT) | instid1(VALU_DEP_1)
	v_clz_i32_u32_e32 v100, v100
	v_min_u32_e32 v100, 32, v100
	s_delay_alu instid0(VALU_DEP_1) | instskip(NEXT) | instid1(VALU_DEP_1)
	v_subrev_nc_u32_e32 v103, 28, v100
	v_lshlrev_b64_e32 v[112:113], v103, v[7:8]
	v_sub_nc_u32_e32 v103, 29, v100
	s_delay_alu instid0(VALU_DEP_2)
	v_and_b32_e32 v100, 7, v112
; %bb.95:                               ;   in Loop: Header=BB268_13 Depth=1
	s_wait_alu 0xfffe
	s_or_b32 exec_lo, exec_lo, s22
	v_lshlrev_b32_e32 v7, 8, v102
	v_lshl_add_u32 v102, v103, 10, 0x2000
	v_lshlrev_b32_e32 v100, 23, v100
	s_delay_alu instid0(VALU_DEP_2) | instskip(NEXT) | instid1(VALU_DEP_1)
	v_and_or_b32 v7, 0x8000, v7, v102
	v_lshl_or_b32 v100, v7, 16, v100
.LBB268_96:                             ;   in Loop: Header=BB268_13 Depth=1
	s_wait_alu 0xfffe
	s_or_b32 exec_lo, exec_lo, s21
.LBB268_97:                             ;   in Loop: Header=BB268_13 Depth=1
	s_wait_alu 0xfffe
	s_or_b32 exec_lo, exec_lo, s20
.LBB268_98:                             ;   in Loop: Header=BB268_13 Depth=1
	s_wait_alu 0xfffe
	s_or_b32 exec_lo, exec_lo, s19
	v_lshrrev_b32_e32 v7, 16, v9
	v_mov_b32_e32 v102, 0
	s_mov_b32 s19, exec_lo
	s_delay_alu instid0(VALU_DEP_2) | instskip(NEXT) | instid1(VALU_DEP_1)
	v_dual_mov_b32 v103, 0 :: v_dual_and_b32 v112, 0xff, v7
	v_cmpx_ne_u16_e32 0, v112
	s_cbranch_execz .LBB268_106
; %bb.99:                               ;   in Loop: Header=BB268_13 Depth=1
	v_mov_b32_e32 v103, 0x8000
	s_mov_b32 s20, exec_lo
	v_cmpx_ne_u16_e32 0x80, v112
	s_cbranch_execz .LBB268_105
; %bb.100:                              ;   in Loop: Header=BB268_13 Depth=1
	v_bfe_u32 v113, v9, 16, 7
	v_mov_b32_e32 v103, 0x7c01
	s_mov_b32 s21, exec_lo
	s_delay_alu instid0(VALU_DEP_2)
	v_cmpx_ne_u32_e32 0x7f, v113
	s_cbranch_execz .LBB268_104
; %bb.101:                              ;   in Loop: Header=BB268_13 Depth=1
	v_and_b32_e32 v103, 7, v7
	v_lshrrev_b32_e32 v112, 3, v113
	s_mov_b32 s22, exec_lo
	v_cmpx_gt_u32_e32 8, v113
; %bb.102:                              ;   in Loop: Header=BB268_13 Depth=1
	s_delay_alu instid0(VALU_DEP_3) | instskip(NEXT) | instid1(VALU_DEP_1)
	v_clz_i32_u32_e32 v103, v103
	v_min_u32_e32 v103, 32, v103
	s_delay_alu instid0(VALU_DEP_1) | instskip(NEXT) | instid1(VALU_DEP_1)
	v_subrev_nc_u32_e32 v112, 28, v103
	v_lshlrev_b64_e32 v[113:114], v112, v[7:8]
	v_sub_nc_u32_e32 v112, 29, v103
	s_delay_alu instid0(VALU_DEP_2)
	v_and_b32_e32 v103, 7, v113
; %bb.103:                              ;   in Loop: Header=BB268_13 Depth=1
	s_wait_alu 0xfffe
	s_or_b32 exec_lo, exec_lo, s22
	v_lshlrev_b32_e32 v7, 8, v7
	v_lshl_add_u32 v112, v112, 10, 0x2000
	v_lshlrev_b32_e32 v103, 7, v103
	s_delay_alu instid0(VALU_DEP_3) | instskip(NEXT) | instid1(VALU_DEP_3)
	v_and_b32_e32 v7, 0x8000, v7
	v_and_b32_e32 v112, 0xfc00, v112
	s_delay_alu instid0(VALU_DEP_1)
	v_or3_b32 v103, v7, v112, v103
.LBB268_104:                            ;   in Loop: Header=BB268_13 Depth=1
	s_wait_alu 0xfffe
	s_or_b32 exec_lo, exec_lo, s21
.LBB268_105:                            ;   in Loop: Header=BB268_13 Depth=1
	s_wait_alu 0xfffe
	s_or_b32 exec_lo, exec_lo, s20
.LBB268_106:                            ;   in Loop: Header=BB268_13 Depth=1
	s_wait_alu 0xfffe
	s_or_b32 exec_lo, exec_lo, s19
	s_delay_alu instid0(SALU_CYCLE_1)
	s_mov_b32 s19, exec_lo
	v_cmpx_lt_u32_e32 0xffffff, v9
	s_cbranch_execz .LBB268_114
; %bb.107:                              ;   in Loop: Header=BB268_13 Depth=1
	v_lshrrev_b32_e32 v7, 24, v9
	v_bfrev_b32_e32 v102, 1
	s_mov_b32 s20, exec_lo
	s_delay_alu instid0(VALU_DEP_2)
	v_cmpx_ne_u32_e32 0x80, v7
	s_cbranch_execz .LBB268_113
; %bb.108:                              ;   in Loop: Header=BB268_13 Depth=1
	v_and_b32_e32 v112, 0x7f, v7
	v_mov_b32_e32 v102, 0x7c010000
	s_mov_b32 s21, exec_lo
	s_delay_alu instid0(VALU_DEP_2)
	v_cmpx_ne_u32_e32 0x7f, v112
	s_cbranch_execz .LBB268_112
; %bb.109:                              ;   in Loop: Header=BB268_13 Depth=1
	v_and_b32_e32 v9, 7, v7
	v_lshrrev_b32_e32 v102, 3, v112
	s_mov_b32 s22, exec_lo
	v_cmpx_gt_u32_e32 8, v112
; %bb.110:                              ;   in Loop: Header=BB268_13 Depth=1
	s_delay_alu instid0(VALU_DEP_3) | instskip(NEXT) | instid1(VALU_DEP_1)
	v_clz_i32_u32_e32 v9, v9
	v_min_u32_e32 v9, 32, v9
	s_delay_alu instid0(VALU_DEP_1) | instskip(NEXT) | instid1(VALU_DEP_1)
	v_subrev_nc_u32_e32 v102, 28, v9
	v_lshlrev_b64_e32 v[112:113], v102, v[7:8]
	v_sub_nc_u32_e32 v102, 29, v9
	s_delay_alu instid0(VALU_DEP_2)
	v_and_b32_e32 v9, 7, v112
; %bb.111:                              ;   in Loop: Header=BB268_13 Depth=1
	s_wait_alu 0xfffe
	s_or_b32 exec_lo, exec_lo, s22
	v_lshlrev_b32_e32 v7, 8, v7
	v_lshl_add_u32 v102, v102, 10, 0x2000
	v_lshlrev_b32_e32 v9, 23, v9
	s_delay_alu instid0(VALU_DEP_2) | instskip(NEXT) | instid1(VALU_DEP_1)
	v_and_or_b32 v7, 0x8000, v7, v102
	v_lshl_or_b32 v102, v7, 16, v9
.LBB268_112:                            ;   in Loop: Header=BB268_13 Depth=1
	s_wait_alu 0xfffe
	s_or_b32 exec_lo, exec_lo, s21
.LBB268_113:                            ;   in Loop: Header=BB268_13 Depth=1
	s_wait_alu 0xfffe
	s_or_b32 exec_lo, exec_lo, s20
.LBB268_114:                            ;   in Loop: Header=BB268_13 Depth=1
	s_wait_alu 0xfffe
	s_or_b32 exec_lo, exec_lo, s19
	flat_load_b32 v9, v[28:29] offset:264
	v_mov_b32_e32 v113, 0
	s_mov_b32 s19, exec_lo
	s_wait_loadcnt_dscnt 0x0
	v_dual_mov_b32 v112, 0 :: v_dual_and_b32 v7, 0xff, v9
	s_delay_alu instid0(VALU_DEP_1)
	v_cmpx_ne_u16_e32 0, v7
	s_cbranch_execz .LBB268_122
; %bb.115:                              ;   in Loop: Header=BB268_13 Depth=1
	v_mov_b32_e32 v113, 0x8000
	s_mov_b32 s20, exec_lo
	v_cmpx_ne_u16_e32 0x80, v7
	s_cbranch_execz .LBB268_121
; %bb.116:                              ;   in Loop: Header=BB268_13 Depth=1
	v_and_b32_e32 v114, 0x7f, v9
	v_mov_b32_e32 v113, 0x7c01
	s_mov_b32 s21, exec_lo
	s_delay_alu instid0(VALU_DEP_2)
	v_cmpx_ne_u32_e32 0x7f, v114
	s_cbranch_execz .LBB268_120
; %bb.117:                              ;   in Loop: Header=BB268_13 Depth=1
	v_and_b32_e32 v7, 7, v9
	v_lshrrev_b32_e32 v113, 3, v114
	s_mov_b32 s22, exec_lo
	v_cmpx_gt_u32_e32 8, v114
; %bb.118:                              ;   in Loop: Header=BB268_13 Depth=1
	s_delay_alu instid0(VALU_DEP_3) | instskip(NEXT) | instid1(VALU_DEP_1)
	v_clz_i32_u32_e32 v7, v7
	v_min_u32_e32 v7, 32, v7
	s_delay_alu instid0(VALU_DEP_1) | instskip(NEXT) | instid1(VALU_DEP_1)
	v_subrev_nc_u32_e32 v113, 28, v7
	v_lshlrev_b64_e32 v[114:115], v113, v[9:10]
	v_sub_nc_u32_e32 v113, 29, v7
	s_delay_alu instid0(VALU_DEP_2)
	v_and_b32_e32 v7, 7, v114
; %bb.119:                              ;   in Loop: Header=BB268_13 Depth=1
	s_wait_alu 0xfffe
	s_or_b32 exec_lo, exec_lo, s22
	v_lshlrev_b32_e32 v114, 8, v9
	v_lshl_add_u32 v113, v113, 10, 0x2000
	v_lshlrev_b32_e32 v7, 7, v7
	s_delay_alu instid0(VALU_DEP_3) | instskip(NEXT) | instid1(VALU_DEP_3)
	v_and_b32_e32 v114, 0x8000, v114
	v_and_b32_e32 v113, 0xfc00, v113
	s_delay_alu instid0(VALU_DEP_1)
	v_or3_b32 v113, v114, v113, v7
.LBB268_120:                            ;   in Loop: Header=BB268_13 Depth=1
	s_wait_alu 0xfffe
	s_or_b32 exec_lo, exec_lo, s21
.LBB268_121:                            ;   in Loop: Header=BB268_13 Depth=1
	s_wait_alu 0xfffe
	s_or_b32 exec_lo, exec_lo, s20
.LBB268_122:                            ;   in Loop: Header=BB268_13 Depth=1
	s_wait_alu 0xfffe
	s_or_b32 exec_lo, exec_lo, s19
	v_lshrrev_b16 v7, 8, v9
	s_mov_b32 s19, exec_lo
	s_delay_alu instid0(VALU_DEP_1)
	v_cmpx_ne_u16_e32 0, v7
	s_cbranch_execz .LBB268_130
; %bb.123:                              ;   in Loop: Header=BB268_13 Depth=1
	v_bfrev_b32_e32 v112, 1
	s_mov_b32 s20, exec_lo
	v_cmpx_ne_u16_e32 0x80, v7
	s_cbranch_execz .LBB268_129
; %bb.124:                              ;   in Loop: Header=BB268_13 Depth=1
	v_and_b32_e32 v114, 0xffff, v7
	v_mov_b32_e32 v112, 0x7c010000
	s_mov_b32 s21, exec_lo
	s_delay_alu instid0(VALU_DEP_2) | instskip(NEXT) | instid1(VALU_DEP_1)
	v_and_b32_e32 v116, 0x7f, v114
	v_cmpx_ne_u32_e32 0x7f, v116
	s_cbranch_execz .LBB268_128
; %bb.125:                              ;   in Loop: Header=BB268_13 Depth=1
	v_and_b32_e32 v112, 7, v114
	v_lshrrev_b32_e32 v115, 3, v116
	s_mov_b32 s22, exec_lo
	v_cmpx_gt_u32_e32 8, v116
; %bb.126:                              ;   in Loop: Header=BB268_13 Depth=1
	s_delay_alu instid0(VALU_DEP_3) | instskip(NEXT) | instid1(VALU_DEP_1)
	v_clz_i32_u32_e32 v112, v112
	v_min_u32_e32 v112, 32, v112
	s_delay_alu instid0(VALU_DEP_1) | instskip(NEXT) | instid1(VALU_DEP_1)
	v_subrev_nc_u32_e32 v115, 28, v112
	v_lshlrev_b64_e32 v[116:117], v115, v[7:8]
	v_sub_nc_u32_e32 v115, 29, v112
	s_delay_alu instid0(VALU_DEP_2)
	v_and_b32_e32 v112, 7, v116
; %bb.127:                              ;   in Loop: Header=BB268_13 Depth=1
	s_wait_alu 0xfffe
	s_or_b32 exec_lo, exec_lo, s22
	v_lshlrev_b32_e32 v7, 8, v114
	v_lshl_add_u32 v114, v115, 10, 0x2000
	v_lshlrev_b32_e32 v112, 23, v112
	s_delay_alu instid0(VALU_DEP_2) | instskip(NEXT) | instid1(VALU_DEP_1)
	v_and_or_b32 v7, 0x8000, v7, v114
	v_lshl_or_b32 v112, v7, 16, v112
.LBB268_128:                            ;   in Loop: Header=BB268_13 Depth=1
	s_wait_alu 0xfffe
	s_or_b32 exec_lo, exec_lo, s21
.LBB268_129:                            ;   in Loop: Header=BB268_13 Depth=1
	s_wait_alu 0xfffe
	s_or_b32 exec_lo, exec_lo, s20
.LBB268_130:                            ;   in Loop: Header=BB268_13 Depth=1
	s_wait_alu 0xfffe
	s_or_b32 exec_lo, exec_lo, s19
	v_lshrrev_b32_e32 v7, 16, v9
	v_mov_b32_e32 v114, 0
	s_mov_b32 s19, exec_lo
	s_delay_alu instid0(VALU_DEP_2) | instskip(NEXT) | instid1(VALU_DEP_1)
	v_dual_mov_b32 v115, 0 :: v_dual_and_b32 v116, 0xff, v7
	v_cmpx_ne_u16_e32 0, v116
	s_cbranch_execz .LBB268_138
; %bb.131:                              ;   in Loop: Header=BB268_13 Depth=1
	v_mov_b32_e32 v115, 0x8000
	s_mov_b32 s20, exec_lo
	v_cmpx_ne_u16_e32 0x80, v116
	s_cbranch_execz .LBB268_137
; %bb.132:                              ;   in Loop: Header=BB268_13 Depth=1
	v_bfe_u32 v117, v9, 16, 7
	v_mov_b32_e32 v115, 0x7c01
	s_mov_b32 s21, exec_lo
	s_delay_alu instid0(VALU_DEP_2)
	v_cmpx_ne_u32_e32 0x7f, v117
	s_cbranch_execz .LBB268_136
; %bb.133:                              ;   in Loop: Header=BB268_13 Depth=1
	v_and_b32_e32 v115, 7, v7
	v_lshrrev_b32_e32 v116, 3, v117
	s_mov_b32 s22, exec_lo
	v_cmpx_gt_u32_e32 8, v117
; %bb.134:                              ;   in Loop: Header=BB268_13 Depth=1
	s_delay_alu instid0(VALU_DEP_3) | instskip(NEXT) | instid1(VALU_DEP_1)
	v_clz_i32_u32_e32 v115, v115
	v_min_u32_e32 v117, 32, v115
	s_delay_alu instid0(VALU_DEP_1) | instskip(NEXT) | instid1(VALU_DEP_1)
	v_subrev_nc_u32_e32 v115, 28, v117
	v_lshlrev_b64_e32 v[115:116], v115, v[7:8]
	v_sub_nc_u32_e32 v116, 29, v117
	s_delay_alu instid0(VALU_DEP_2)
	v_and_b32_e32 v115, 7, v115
; %bb.135:                              ;   in Loop: Header=BB268_13 Depth=1
	s_wait_alu 0xfffe
	s_or_b32 exec_lo, exec_lo, s22
	v_lshlrev_b32_e32 v7, 8, v7
	v_lshl_add_u32 v116, v116, 10, 0x2000
	v_lshlrev_b32_e32 v115, 7, v115
	s_delay_alu instid0(VALU_DEP_3) | instskip(NEXT) | instid1(VALU_DEP_3)
	v_and_b32_e32 v7, 0x8000, v7
	v_and_b32_e32 v116, 0xfc00, v116
	s_delay_alu instid0(VALU_DEP_1)
	v_or3_b32 v115, v7, v116, v115
.LBB268_136:                            ;   in Loop: Header=BB268_13 Depth=1
	s_wait_alu 0xfffe
	s_or_b32 exec_lo, exec_lo, s21
.LBB268_137:                            ;   in Loop: Header=BB268_13 Depth=1
	s_wait_alu 0xfffe
	s_or_b32 exec_lo, exec_lo, s20
.LBB268_138:                            ;   in Loop: Header=BB268_13 Depth=1
	s_wait_alu 0xfffe
	s_or_b32 exec_lo, exec_lo, s19
	s_delay_alu instid0(SALU_CYCLE_1)
	s_mov_b32 s19, exec_lo
	v_cmpx_lt_u32_e32 0xffffff, v9
	s_cbranch_execz .LBB268_146
; %bb.139:                              ;   in Loop: Header=BB268_13 Depth=1
	v_lshrrev_b32_e32 v7, 24, v9
	v_bfrev_b32_e32 v114, 1
	s_mov_b32 s20, exec_lo
	s_delay_alu instid0(VALU_DEP_2)
	v_cmpx_ne_u32_e32 0x80, v7
	s_cbranch_execz .LBB268_145
; %bb.140:                              ;   in Loop: Header=BB268_13 Depth=1
	v_and_b32_e32 v116, 0x7f, v7
	v_mov_b32_e32 v114, 0x7c010000
	s_mov_b32 s21, exec_lo
	s_delay_alu instid0(VALU_DEP_2)
	v_cmpx_ne_u32_e32 0x7f, v116
	s_cbranch_execz .LBB268_144
; %bb.141:                              ;   in Loop: Header=BB268_13 Depth=1
	v_and_b32_e32 v9, 7, v7
	v_lshrrev_b32_e32 v114, 3, v116
	s_mov_b32 s22, exec_lo
	v_cmpx_gt_u32_e32 8, v116
; %bb.142:                              ;   in Loop: Header=BB268_13 Depth=1
	s_delay_alu instid0(VALU_DEP_3) | instskip(NEXT) | instid1(VALU_DEP_1)
	v_clz_i32_u32_e32 v9, v9
	v_min_u32_e32 v9, 32, v9
	s_delay_alu instid0(VALU_DEP_1) | instskip(NEXT) | instid1(VALU_DEP_1)
	v_subrev_nc_u32_e32 v114, 28, v9
	v_lshlrev_b64_e32 v[116:117], v114, v[7:8]
	v_sub_nc_u32_e32 v114, 29, v9
	s_delay_alu instid0(VALU_DEP_2)
	v_and_b32_e32 v9, 7, v116
; %bb.143:                              ;   in Loop: Header=BB268_13 Depth=1
	s_wait_alu 0xfffe
	s_or_b32 exec_lo, exec_lo, s22
	v_lshlrev_b32_e32 v7, 8, v7
	v_lshl_add_u32 v114, v114, 10, 0x2000
	v_lshlrev_b32_e32 v9, 23, v9
	s_delay_alu instid0(VALU_DEP_2) | instskip(NEXT) | instid1(VALU_DEP_1)
	v_and_or_b32 v7, 0x8000, v7, v114
	v_lshl_or_b32 v114, v7, 16, v9
.LBB268_144:                            ;   in Loop: Header=BB268_13 Depth=1
	s_wait_alu 0xfffe
	s_or_b32 exec_lo, exec_lo, s21
.LBB268_145:                            ;   in Loop: Header=BB268_13 Depth=1
	s_wait_alu 0xfffe
	s_or_b32 exec_lo, exec_lo, s20
.LBB268_146:                            ;   in Loop: Header=BB268_13 Depth=1
	s_wait_alu 0xfffe
	s_or_b32 exec_lo, exec_lo, s19
	flat_load_b32 v9, v[28:29] offset:512
	v_mov_b32_e32 v117, 0
	s_mov_b32 s19, exec_lo
	s_wait_loadcnt_dscnt 0x0
	v_dual_mov_b32 v116, 0 :: v_dual_and_b32 v7, 0xff, v9
	s_delay_alu instid0(VALU_DEP_1)
	v_cmpx_ne_u16_e32 0, v7
	s_cbranch_execz .LBB268_154
; %bb.147:                              ;   in Loop: Header=BB268_13 Depth=1
	v_mov_b32_e32 v117, 0x8000
	s_mov_b32 s20, exec_lo
	v_cmpx_ne_u16_e32 0x80, v7
	s_cbranch_execz .LBB268_153
; %bb.148:                              ;   in Loop: Header=BB268_13 Depth=1
	v_and_b32_e32 v118, 0x7f, v9
	v_mov_b32_e32 v117, 0x7c01
	s_mov_b32 s21, exec_lo
	s_delay_alu instid0(VALU_DEP_2)
	v_cmpx_ne_u32_e32 0x7f, v118
	s_cbranch_execz .LBB268_152
; %bb.149:                              ;   in Loop: Header=BB268_13 Depth=1
	v_and_b32_e32 v7, 7, v9
	v_lshrrev_b32_e32 v117, 3, v118
	s_mov_b32 s22, exec_lo
	v_cmpx_gt_u32_e32 8, v118
; %bb.150:                              ;   in Loop: Header=BB268_13 Depth=1
	s_delay_alu instid0(VALU_DEP_3) | instskip(NEXT) | instid1(VALU_DEP_1)
	v_clz_i32_u32_e32 v7, v7
	v_min_u32_e32 v7, 32, v7
	s_delay_alu instid0(VALU_DEP_1) | instskip(NEXT) | instid1(VALU_DEP_1)
	v_subrev_nc_u32_e32 v117, 28, v7
	v_lshlrev_b64_e32 v[118:119], v117, v[9:10]
	v_sub_nc_u32_e32 v117, 29, v7
	s_delay_alu instid0(VALU_DEP_2)
	v_and_b32_e32 v7, 7, v118
; %bb.151:                              ;   in Loop: Header=BB268_13 Depth=1
	s_wait_alu 0xfffe
	s_or_b32 exec_lo, exec_lo, s22
	v_lshlrev_b32_e32 v118, 8, v9
	v_lshl_add_u32 v117, v117, 10, 0x2000
	v_lshlrev_b32_e32 v7, 7, v7
	s_delay_alu instid0(VALU_DEP_3) | instskip(NEXT) | instid1(VALU_DEP_3)
	v_and_b32_e32 v118, 0x8000, v118
	v_and_b32_e32 v117, 0xfc00, v117
	s_delay_alu instid0(VALU_DEP_1)
	v_or3_b32 v117, v118, v117, v7
.LBB268_152:                            ;   in Loop: Header=BB268_13 Depth=1
	s_wait_alu 0xfffe
	s_or_b32 exec_lo, exec_lo, s21
.LBB268_153:                            ;   in Loop: Header=BB268_13 Depth=1
	s_wait_alu 0xfffe
	s_or_b32 exec_lo, exec_lo, s20
.LBB268_154:                            ;   in Loop: Header=BB268_13 Depth=1
	s_wait_alu 0xfffe
	s_or_b32 exec_lo, exec_lo, s19
	v_lshrrev_b16 v7, 8, v9
	s_mov_b32 s19, exec_lo
	s_delay_alu instid0(VALU_DEP_1)
	v_cmpx_ne_u16_e32 0, v7
	s_cbranch_execz .LBB268_162
; %bb.155:                              ;   in Loop: Header=BB268_13 Depth=1
	v_bfrev_b32_e32 v116, 1
	s_mov_b32 s20, exec_lo
	v_cmpx_ne_u16_e32 0x80, v7
	s_cbranch_execz .LBB268_161
; %bb.156:                              ;   in Loop: Header=BB268_13 Depth=1
	v_and_b32_e32 v118, 0xffff, v7
	v_mov_b32_e32 v116, 0x7c010000
	s_mov_b32 s21, exec_lo
	s_delay_alu instid0(VALU_DEP_2) | instskip(NEXT) | instid1(VALU_DEP_1)
	v_and_b32_e32 v128, 0x7f, v118
	v_cmpx_ne_u32_e32 0x7f, v128
	s_cbranch_execz .LBB268_160
; %bb.157:                              ;   in Loop: Header=BB268_13 Depth=1
	v_and_b32_e32 v116, 7, v118
	v_lshrrev_b32_e32 v119, 3, v128
	s_mov_b32 s22, exec_lo
	v_cmpx_gt_u32_e32 8, v128
; %bb.158:                              ;   in Loop: Header=BB268_13 Depth=1
	s_delay_alu instid0(VALU_DEP_3) | instskip(NEXT) | instid1(VALU_DEP_1)
	v_clz_i32_u32_e32 v116, v116
	v_min_u32_e32 v116, 32, v116
	s_delay_alu instid0(VALU_DEP_1) | instskip(NEXT) | instid1(VALU_DEP_1)
	v_subrev_nc_u32_e32 v119, 28, v116
	v_lshlrev_b64_e32 v[128:129], v119, v[7:8]
	v_sub_nc_u32_e32 v119, 29, v116
	s_delay_alu instid0(VALU_DEP_2)
	v_and_b32_e32 v116, 7, v128
; %bb.159:                              ;   in Loop: Header=BB268_13 Depth=1
	s_wait_alu 0xfffe
	s_or_b32 exec_lo, exec_lo, s22
	v_lshlrev_b32_e32 v7, 8, v118
	v_lshl_add_u32 v118, v119, 10, 0x2000
	v_lshlrev_b32_e32 v116, 23, v116
	s_delay_alu instid0(VALU_DEP_2) | instskip(NEXT) | instid1(VALU_DEP_1)
	v_and_or_b32 v7, 0x8000, v7, v118
	v_lshl_or_b32 v116, v7, 16, v116
.LBB268_160:                            ;   in Loop: Header=BB268_13 Depth=1
	s_wait_alu 0xfffe
	s_or_b32 exec_lo, exec_lo, s21
.LBB268_161:                            ;   in Loop: Header=BB268_13 Depth=1
	s_wait_alu 0xfffe
	s_or_b32 exec_lo, exec_lo, s20
.LBB268_162:                            ;   in Loop: Header=BB268_13 Depth=1
	s_wait_alu 0xfffe
	s_or_b32 exec_lo, exec_lo, s19
	v_lshrrev_b32_e32 v7, 16, v9
	v_mov_b32_e32 v118, 0
	s_mov_b32 s19, exec_lo
	s_delay_alu instid0(VALU_DEP_2) | instskip(NEXT) | instid1(VALU_DEP_1)
	v_dual_mov_b32 v119, 0 :: v_dual_and_b32 v128, 0xff, v7
	v_cmpx_ne_u16_e64 0, v128
	s_cbranch_execz .LBB268_170
; %bb.163:                              ;   in Loop: Header=BB268_13 Depth=1
	v_mov_b32_e32 v119, 0x8000
	s_mov_b32 s20, exec_lo
	v_cmpx_ne_u16_e64 0x80, v128
	s_cbranch_execz .LBB268_169
; %bb.164:                              ;   in Loop: Header=BB268_13 Depth=1
	v_bfe_u32 v129, v9, 16, 7
	v_mov_b32_e32 v119, 0x7c01
	s_mov_b32 s21, exec_lo
	s_delay_alu instid0(VALU_DEP_2)
	v_cmpx_ne_u32_e32 0x7f, v129
	s_cbranch_execz .LBB268_168
; %bb.165:                              ;   in Loop: Header=BB268_13 Depth=1
	v_and_b32_e32 v119, 7, v7
	v_lshrrev_b32_e32 v128, 3, v129
	s_mov_b32 s22, exec_lo
	v_cmpx_gt_u32_e32 8, v129
; %bb.166:                              ;   in Loop: Header=BB268_13 Depth=1
	s_delay_alu instid0(VALU_DEP_3) | instskip(NEXT) | instid1(VALU_DEP_1)
	v_clz_i32_u32_e32 v119, v119
	v_min_u32_e32 v119, 32, v119
	s_delay_alu instid0(VALU_DEP_1) | instskip(NEXT) | instid1(VALU_DEP_1)
	v_subrev_nc_u32_e32 v128, 28, v119
	v_lshlrev_b64_e32 v[129:130], v128, v[7:8]
	v_sub_nc_u32_e32 v128, 29, v119
	s_delay_alu instid0(VALU_DEP_2)
	v_and_b32_e32 v119, 7, v129
; %bb.167:                              ;   in Loop: Header=BB268_13 Depth=1
	s_wait_alu 0xfffe
	s_or_b32 exec_lo, exec_lo, s22
	v_lshlrev_b32_e32 v7, 8, v7
	v_lshl_add_u32 v128, v128, 10, 0x2000
	v_lshlrev_b32_e32 v119, 7, v119
	s_delay_alu instid0(VALU_DEP_3) | instskip(NEXT) | instid1(VALU_DEP_3)
	v_and_b32_e32 v7, 0x8000, v7
	v_and_b32_e32 v128, 0xfc00, v128
	s_delay_alu instid0(VALU_DEP_1)
	v_or3_b32 v119, v7, v128, v119
.LBB268_168:                            ;   in Loop: Header=BB268_13 Depth=1
	s_wait_alu 0xfffe
	s_or_b32 exec_lo, exec_lo, s21
.LBB268_169:                            ;   in Loop: Header=BB268_13 Depth=1
	s_wait_alu 0xfffe
	s_or_b32 exec_lo, exec_lo, s20
.LBB268_170:                            ;   in Loop: Header=BB268_13 Depth=1
	s_wait_alu 0xfffe
	s_or_b32 exec_lo, exec_lo, s19
	s_delay_alu instid0(SALU_CYCLE_1)
	s_mov_b32 s19, exec_lo
	v_cmpx_lt_u32_e32 0xffffff, v9
	s_cbranch_execz .LBB268_178
; %bb.171:                              ;   in Loop: Header=BB268_13 Depth=1
	v_lshrrev_b32_e32 v7, 24, v9
	v_bfrev_b32_e32 v118, 1
	s_mov_b32 s20, exec_lo
	s_delay_alu instid0(VALU_DEP_2)
	v_cmpx_ne_u32_e32 0x80, v7
	s_cbranch_execz .LBB268_177
; %bb.172:                              ;   in Loop: Header=BB268_13 Depth=1
	v_and_b32_e32 v128, 0x7f, v7
	v_mov_b32_e32 v118, 0x7c010000
	s_mov_b32 s21, exec_lo
	s_delay_alu instid0(VALU_DEP_2)
	v_cmpx_ne_u32_e32 0x7f, v128
	s_cbranch_execz .LBB268_176
; %bb.173:                              ;   in Loop: Header=BB268_13 Depth=1
	v_and_b32_e32 v9, 7, v7
	v_lshrrev_b32_e32 v118, 3, v128
	s_mov_b32 s22, exec_lo
	v_cmpx_gt_u32_e32 8, v128
; %bb.174:                              ;   in Loop: Header=BB268_13 Depth=1
	s_delay_alu instid0(VALU_DEP_3) | instskip(NEXT) | instid1(VALU_DEP_1)
	v_clz_i32_u32_e32 v9, v9
	v_min_u32_e32 v9, 32, v9
	s_delay_alu instid0(VALU_DEP_1) | instskip(NEXT) | instid1(VALU_DEP_1)
	v_subrev_nc_u32_e32 v118, 28, v9
	v_lshlrev_b64_e32 v[128:129], v118, v[7:8]
	v_sub_nc_u32_e32 v118, 29, v9
	s_delay_alu instid0(VALU_DEP_2)
	v_and_b32_e32 v9, 7, v128
; %bb.175:                              ;   in Loop: Header=BB268_13 Depth=1
	s_wait_alu 0xfffe
	s_or_b32 exec_lo, exec_lo, s22
	v_lshlrev_b32_e32 v7, 8, v7
	v_lshl_add_u32 v118, v118, 10, 0x2000
	v_lshlrev_b32_e32 v9, 23, v9
	s_delay_alu instid0(VALU_DEP_2) | instskip(NEXT) | instid1(VALU_DEP_1)
	v_and_or_b32 v7, 0x8000, v7, v118
	v_lshl_or_b32 v118, v7, 16, v9
.LBB268_176:                            ;   in Loop: Header=BB268_13 Depth=1
	s_wait_alu 0xfffe
	s_or_b32 exec_lo, exec_lo, s21
.LBB268_177:                            ;   in Loop: Header=BB268_13 Depth=1
	s_wait_alu 0xfffe
	s_or_b32 exec_lo, exec_lo, s20
.LBB268_178:                            ;   in Loop: Header=BB268_13 Depth=1
	s_wait_alu 0xfffe
	s_or_b32 exec_lo, exec_lo, s19
	flat_load_b32 v9, v[28:29] offset:520
	v_mov_b32_e32 v129, 0
	s_mov_b32 s19, exec_lo
	s_wait_loadcnt_dscnt 0x0
	v_dual_mov_b32 v128, 0 :: v_dual_and_b32 v7, 0xff, v9
	s_delay_alu instid0(VALU_DEP_1)
	v_cmpx_ne_u16_e32 0, v7
	s_cbranch_execz .LBB268_186
; %bb.179:                              ;   in Loop: Header=BB268_13 Depth=1
	v_mov_b32_e32 v129, 0x8000
	s_mov_b32 s20, exec_lo
	v_cmpx_ne_u16_e32 0x80, v7
	s_cbranch_execz .LBB268_185
; %bb.180:                              ;   in Loop: Header=BB268_13 Depth=1
	v_and_b32_e32 v130, 0x7f, v9
	v_mov_b32_e32 v129, 0x7c01
	s_mov_b32 s21, exec_lo
	s_delay_alu instid0(VALU_DEP_2)
	v_cmpx_ne_u32_e32 0x7f, v130
	s_cbranch_execz .LBB268_184
; %bb.181:                              ;   in Loop: Header=BB268_13 Depth=1
	v_and_b32_e32 v7, 7, v9
	v_lshrrev_b32_e32 v129, 3, v130
	s_mov_b32 s22, exec_lo
	v_cmpx_gt_u32_e32 8, v130
; %bb.182:                              ;   in Loop: Header=BB268_13 Depth=1
	s_delay_alu instid0(VALU_DEP_3) | instskip(NEXT) | instid1(VALU_DEP_1)
	v_clz_i32_u32_e32 v7, v7
	v_min_u32_e32 v7, 32, v7
	s_delay_alu instid0(VALU_DEP_1) | instskip(NEXT) | instid1(VALU_DEP_1)
	v_subrev_nc_u32_e32 v129, 28, v7
	v_lshlrev_b64_e32 v[130:131], v129, v[9:10]
	v_sub_nc_u32_e32 v129, 29, v7
	s_delay_alu instid0(VALU_DEP_2)
	v_and_b32_e32 v7, 7, v130
; %bb.183:                              ;   in Loop: Header=BB268_13 Depth=1
	s_wait_alu 0xfffe
	s_or_b32 exec_lo, exec_lo, s22
	v_lshlrev_b32_e32 v130, 8, v9
	v_lshl_add_u32 v129, v129, 10, 0x2000
	v_lshlrev_b32_e32 v7, 7, v7
	s_delay_alu instid0(VALU_DEP_3) | instskip(NEXT) | instid1(VALU_DEP_3)
	v_and_b32_e32 v130, 0x8000, v130
	v_and_b32_e32 v129, 0xfc00, v129
	s_delay_alu instid0(VALU_DEP_1)
	v_or3_b32 v129, v130, v129, v7
.LBB268_184:                            ;   in Loop: Header=BB268_13 Depth=1
	s_wait_alu 0xfffe
	s_or_b32 exec_lo, exec_lo, s21
.LBB268_185:                            ;   in Loop: Header=BB268_13 Depth=1
	s_wait_alu 0xfffe
	s_or_b32 exec_lo, exec_lo, s20
.LBB268_186:                            ;   in Loop: Header=BB268_13 Depth=1
	s_wait_alu 0xfffe
	s_or_b32 exec_lo, exec_lo, s19
	v_lshrrev_b16 v7, 8, v9
	s_mov_b32 s19, exec_lo
	s_delay_alu instid0(VALU_DEP_1)
	v_cmpx_ne_u16_e32 0, v7
	s_cbranch_execz .LBB268_194
; %bb.187:                              ;   in Loop: Header=BB268_13 Depth=1
	v_bfrev_b32_e32 v128, 1
	s_mov_b32 s20, exec_lo
	v_cmpx_ne_u16_e32 0x80, v7
	s_cbranch_execz .LBB268_193
; %bb.188:                              ;   in Loop: Header=BB268_13 Depth=1
	v_and_b32_e32 v130, 0xffff, v7
	v_mov_b32_e32 v128, 0x7c010000
	s_mov_b32 s21, exec_lo
	s_delay_alu instid0(VALU_DEP_2) | instskip(NEXT) | instid1(VALU_DEP_1)
	v_and_b32_e32 v132, 0x7f, v130
	v_cmpx_ne_u32_e32 0x7f, v132
	s_cbranch_execz .LBB268_192
; %bb.189:                              ;   in Loop: Header=BB268_13 Depth=1
	v_and_b32_e32 v128, 7, v130
	v_lshrrev_b32_e32 v131, 3, v132
	s_mov_b32 s22, exec_lo
	v_cmpx_gt_u32_e32 8, v132
; %bb.190:                              ;   in Loop: Header=BB268_13 Depth=1
	s_delay_alu instid0(VALU_DEP_3) | instskip(NEXT) | instid1(VALU_DEP_1)
	v_clz_i32_u32_e32 v128, v128
	v_min_u32_e32 v128, 32, v128
	s_delay_alu instid0(VALU_DEP_1) | instskip(NEXT) | instid1(VALU_DEP_1)
	v_subrev_nc_u32_e32 v131, 28, v128
	v_lshlrev_b64_e32 v[132:133], v131, v[7:8]
	v_sub_nc_u32_e32 v131, 29, v128
	s_delay_alu instid0(VALU_DEP_2)
	v_and_b32_e32 v128, 7, v132
; %bb.191:                              ;   in Loop: Header=BB268_13 Depth=1
	s_wait_alu 0xfffe
	s_or_b32 exec_lo, exec_lo, s22
	v_lshlrev_b32_e32 v7, 8, v130
	v_lshl_add_u32 v130, v131, 10, 0x2000
	v_lshlrev_b32_e32 v128, 23, v128
	s_delay_alu instid0(VALU_DEP_2) | instskip(NEXT) | instid1(VALU_DEP_1)
	v_and_or_b32 v7, 0x8000, v7, v130
	v_lshl_or_b32 v128, v7, 16, v128
.LBB268_192:                            ;   in Loop: Header=BB268_13 Depth=1
	s_wait_alu 0xfffe
	s_or_b32 exec_lo, exec_lo, s21
.LBB268_193:                            ;   in Loop: Header=BB268_13 Depth=1
	s_wait_alu 0xfffe
	s_or_b32 exec_lo, exec_lo, s20
.LBB268_194:                            ;   in Loop: Header=BB268_13 Depth=1
	s_wait_alu 0xfffe
	s_or_b32 exec_lo, exec_lo, s19
	v_lshrrev_b32_e32 v7, 16, v9
	v_mov_b32_e32 v130, 0
	s_mov_b32 s19, exec_lo
	s_delay_alu instid0(VALU_DEP_2) | instskip(NEXT) | instid1(VALU_DEP_1)
	v_dual_mov_b32 v131, 0 :: v_dual_and_b32 v132, 0xff, v7
	v_cmpx_ne_u16_e64 0, v132
	s_cbranch_execz .LBB268_202
; %bb.195:                              ;   in Loop: Header=BB268_13 Depth=1
	v_mov_b32_e32 v131, 0x8000
	s_mov_b32 s20, exec_lo
	v_cmpx_ne_u16_e64 0x80, v132
	s_cbranch_execz .LBB268_201
; %bb.196:                              ;   in Loop: Header=BB268_13 Depth=1
	v_bfe_u32 v133, v9, 16, 7
	v_mov_b32_e32 v131, 0x7c01
	s_mov_b32 s21, exec_lo
	s_delay_alu instid0(VALU_DEP_2)
	v_cmpx_ne_u32_e32 0x7f, v133
	s_cbranch_execz .LBB268_200
; %bb.197:                              ;   in Loop: Header=BB268_13 Depth=1
	v_and_b32_e32 v131, 7, v7
	v_lshrrev_b32_e32 v132, 3, v133
	s_mov_b32 s22, exec_lo
	v_cmpx_gt_u32_e32 8, v133
; %bb.198:                              ;   in Loop: Header=BB268_13 Depth=1
	s_delay_alu instid0(VALU_DEP_3) | instskip(NEXT) | instid1(VALU_DEP_1)
	v_clz_i32_u32_e32 v131, v131
	v_min_u32_e32 v133, 32, v131
	s_delay_alu instid0(VALU_DEP_1) | instskip(NEXT) | instid1(VALU_DEP_1)
	v_subrev_nc_u32_e32 v131, 28, v133
	v_lshlrev_b64_e32 v[131:132], v131, v[7:8]
	v_sub_nc_u32_e32 v132, 29, v133
	s_delay_alu instid0(VALU_DEP_2)
	v_and_b32_e32 v131, 7, v131
; %bb.199:                              ;   in Loop: Header=BB268_13 Depth=1
	s_wait_alu 0xfffe
	s_or_b32 exec_lo, exec_lo, s22
	v_lshlrev_b32_e32 v7, 8, v7
	v_lshl_add_u32 v132, v132, 10, 0x2000
	v_lshlrev_b32_e32 v131, 7, v131
	s_delay_alu instid0(VALU_DEP_3) | instskip(NEXT) | instid1(VALU_DEP_3)
	v_and_b32_e32 v7, 0x8000, v7
	v_and_b32_e32 v132, 0xfc00, v132
	s_delay_alu instid0(VALU_DEP_1)
	v_or3_b32 v131, v7, v132, v131
.LBB268_200:                            ;   in Loop: Header=BB268_13 Depth=1
	s_wait_alu 0xfffe
	s_or_b32 exec_lo, exec_lo, s21
.LBB268_201:                            ;   in Loop: Header=BB268_13 Depth=1
	s_wait_alu 0xfffe
	s_or_b32 exec_lo, exec_lo, s20
.LBB268_202:                            ;   in Loop: Header=BB268_13 Depth=1
	s_wait_alu 0xfffe
	s_or_b32 exec_lo, exec_lo, s19
	s_delay_alu instid0(SALU_CYCLE_1)
	s_mov_b32 s19, exec_lo
	v_cmpx_lt_u32_e32 0xffffff, v9
	s_cbranch_execz .LBB268_210
; %bb.203:                              ;   in Loop: Header=BB268_13 Depth=1
	v_lshrrev_b32_e32 v7, 24, v9
	v_bfrev_b32_e32 v130, 1
	s_mov_b32 s20, exec_lo
	s_delay_alu instid0(VALU_DEP_2)
	v_cmpx_ne_u32_e32 0x80, v7
	s_cbranch_execz .LBB268_209
; %bb.204:                              ;   in Loop: Header=BB268_13 Depth=1
	v_and_b32_e32 v132, 0x7f, v7
	v_mov_b32_e32 v130, 0x7c010000
	s_mov_b32 s21, exec_lo
	s_delay_alu instid0(VALU_DEP_2)
	v_cmpx_ne_u32_e32 0x7f, v132
	s_cbranch_execz .LBB268_208
; %bb.205:                              ;   in Loop: Header=BB268_13 Depth=1
	v_and_b32_e32 v9, 7, v7
	v_lshrrev_b32_e32 v130, 3, v132
	s_mov_b32 s22, exec_lo
	v_cmpx_gt_u32_e32 8, v132
; %bb.206:                              ;   in Loop: Header=BB268_13 Depth=1
	s_delay_alu instid0(VALU_DEP_3) | instskip(NEXT) | instid1(VALU_DEP_1)
	v_clz_i32_u32_e32 v9, v9
	v_min_u32_e32 v9, 32, v9
	s_delay_alu instid0(VALU_DEP_1) | instskip(NEXT) | instid1(VALU_DEP_1)
	v_subrev_nc_u32_e32 v130, 28, v9
	v_lshlrev_b64_e32 v[132:133], v130, v[7:8]
	v_sub_nc_u32_e32 v130, 29, v9
	s_delay_alu instid0(VALU_DEP_2)
	v_and_b32_e32 v9, 7, v132
; %bb.207:                              ;   in Loop: Header=BB268_13 Depth=1
	s_wait_alu 0xfffe
	s_or_b32 exec_lo, exec_lo, s22
	v_lshlrev_b32_e32 v7, 8, v7
	v_lshl_add_u32 v130, v130, 10, 0x2000
	v_lshlrev_b32_e32 v9, 23, v9
	s_delay_alu instid0(VALU_DEP_2) | instskip(NEXT) | instid1(VALU_DEP_1)
	v_and_or_b32 v7, 0x8000, v7, v130
	v_lshl_or_b32 v130, v7, 16, v9
.LBB268_208:                            ;   in Loop: Header=BB268_13 Depth=1
	s_wait_alu 0xfffe
	s_or_b32 exec_lo, exec_lo, s21
.LBB268_209:                            ;   in Loop: Header=BB268_13 Depth=1
	s_wait_alu 0xfffe
	s_or_b32 exec_lo, exec_lo, s20
.LBB268_210:                            ;   in Loop: Header=BB268_13 Depth=1
	s_wait_alu 0xfffe
	s_or_b32 exec_lo, exec_lo, s19
	flat_load_b32 v9, v[28:29] offset:768
	v_mov_b32_e32 v133, 0
	s_mov_b32 s19, exec_lo
	s_wait_loadcnt_dscnt 0x0
	v_dual_mov_b32 v132, 0 :: v_dual_and_b32 v7, 0xff, v9
	s_delay_alu instid0(VALU_DEP_1)
	v_cmpx_ne_u16_e32 0, v7
	s_cbranch_execz .LBB268_218
; %bb.211:                              ;   in Loop: Header=BB268_13 Depth=1
	v_mov_b32_e32 v133, 0x8000
	s_mov_b32 s20, exec_lo
	v_cmpx_ne_u16_e32 0x80, v7
	s_cbranch_execz .LBB268_217
; %bb.212:                              ;   in Loop: Header=BB268_13 Depth=1
	v_and_b32_e32 v134, 0x7f, v9
	v_mov_b32_e32 v133, 0x7c01
	s_mov_b32 s21, exec_lo
	s_delay_alu instid0(VALU_DEP_2)
	v_cmpx_ne_u32_e32 0x7f, v134
	s_cbranch_execz .LBB268_216
; %bb.213:                              ;   in Loop: Header=BB268_13 Depth=1
	v_and_b32_e32 v7, 7, v9
	v_lshrrev_b32_e32 v133, 3, v134
	s_mov_b32 s22, exec_lo
	v_cmpx_gt_u32_e32 8, v134
; %bb.214:                              ;   in Loop: Header=BB268_13 Depth=1
	s_delay_alu instid0(VALU_DEP_3) | instskip(NEXT) | instid1(VALU_DEP_1)
	v_clz_i32_u32_e32 v7, v7
	v_min_u32_e32 v7, 32, v7
	s_delay_alu instid0(VALU_DEP_1) | instskip(NEXT) | instid1(VALU_DEP_1)
	v_subrev_nc_u32_e32 v133, 28, v7
	v_lshlrev_b64_e32 v[134:135], v133, v[9:10]
	v_sub_nc_u32_e32 v133, 29, v7
	s_delay_alu instid0(VALU_DEP_2)
	v_and_b32_e32 v7, 7, v134
; %bb.215:                              ;   in Loop: Header=BB268_13 Depth=1
	s_wait_alu 0xfffe
	s_or_b32 exec_lo, exec_lo, s22
	v_lshlrev_b32_e32 v134, 8, v9
	v_lshl_add_u32 v133, v133, 10, 0x2000
	v_lshlrev_b32_e32 v7, 7, v7
	s_delay_alu instid0(VALU_DEP_3) | instskip(NEXT) | instid1(VALU_DEP_3)
	v_and_b32_e32 v134, 0x8000, v134
	v_and_b32_e32 v133, 0xfc00, v133
	s_delay_alu instid0(VALU_DEP_1)
	v_or3_b32 v133, v134, v133, v7
.LBB268_216:                            ;   in Loop: Header=BB268_13 Depth=1
	s_wait_alu 0xfffe
	s_or_b32 exec_lo, exec_lo, s21
.LBB268_217:                            ;   in Loop: Header=BB268_13 Depth=1
	s_wait_alu 0xfffe
	s_or_b32 exec_lo, exec_lo, s20
.LBB268_218:                            ;   in Loop: Header=BB268_13 Depth=1
	s_wait_alu 0xfffe
	s_or_b32 exec_lo, exec_lo, s19
	v_lshrrev_b16 v7, 8, v9
	s_mov_b32 s19, exec_lo
	s_delay_alu instid0(VALU_DEP_1)
	v_cmpx_ne_u16_e32 0, v7
	s_cbranch_execz .LBB268_226
; %bb.219:                              ;   in Loop: Header=BB268_13 Depth=1
	v_bfrev_b32_e32 v132, 1
	s_mov_b32 s20, exec_lo
	v_cmpx_ne_u16_e32 0x80, v7
	s_cbranch_execz .LBB268_225
; %bb.220:                              ;   in Loop: Header=BB268_13 Depth=1
	v_and_b32_e32 v134, 0xffff, v7
	v_mov_b32_e32 v132, 0x7c010000
	s_mov_b32 s21, exec_lo
	s_delay_alu instid0(VALU_DEP_2) | instskip(NEXT) | instid1(VALU_DEP_1)
	v_and_b32_e32 v144, 0x7f, v134
	v_cmpx_ne_u32_e32 0x7f, v144
	s_cbranch_execz .LBB268_224
; %bb.221:                              ;   in Loop: Header=BB268_13 Depth=1
	v_and_b32_e32 v132, 7, v134
	v_lshrrev_b32_e32 v135, 3, v144
	s_mov_b32 s22, exec_lo
	v_cmpx_gt_u32_e32 8, v144
; %bb.222:                              ;   in Loop: Header=BB268_13 Depth=1
	s_delay_alu instid0(VALU_DEP_3) | instskip(NEXT) | instid1(VALU_DEP_1)
	v_clz_i32_u32_e32 v132, v132
	v_min_u32_e32 v132, 32, v132
	s_delay_alu instid0(VALU_DEP_1) | instskip(NEXT) | instid1(VALU_DEP_1)
	v_subrev_nc_u32_e32 v135, 28, v132
	v_lshlrev_b64_e32 v[144:145], v135, v[7:8]
	v_sub_nc_u32_e32 v135, 29, v132
	s_delay_alu instid0(VALU_DEP_2)
	v_and_b32_e32 v132, 7, v144
; %bb.223:                              ;   in Loop: Header=BB268_13 Depth=1
	s_wait_alu 0xfffe
	s_or_b32 exec_lo, exec_lo, s22
	v_lshlrev_b32_e32 v7, 8, v134
	v_lshl_add_u32 v134, v135, 10, 0x2000
	v_lshlrev_b32_e32 v132, 23, v132
	s_delay_alu instid0(VALU_DEP_2) | instskip(NEXT) | instid1(VALU_DEP_1)
	v_and_or_b32 v7, 0x8000, v7, v134
	v_lshl_or_b32 v132, v7, 16, v132
.LBB268_224:                            ;   in Loop: Header=BB268_13 Depth=1
	s_wait_alu 0xfffe
	s_or_b32 exec_lo, exec_lo, s21
.LBB268_225:                            ;   in Loop: Header=BB268_13 Depth=1
	s_wait_alu 0xfffe
	s_or_b32 exec_lo, exec_lo, s20
.LBB268_226:                            ;   in Loop: Header=BB268_13 Depth=1
	s_wait_alu 0xfffe
	s_or_b32 exec_lo, exec_lo, s19
	v_lshrrev_b32_e32 v7, 16, v9
	v_mov_b32_e32 v134, 0
	s_mov_b32 s19, exec_lo
	s_delay_alu instid0(VALU_DEP_2) | instskip(NEXT) | instid1(VALU_DEP_1)
	v_dual_mov_b32 v135, 0 :: v_dual_and_b32 v144, 0xff, v7
	v_cmpx_ne_u16_e64 0, v144
	s_cbranch_execz .LBB268_234
; %bb.227:                              ;   in Loop: Header=BB268_13 Depth=1
	v_mov_b32_e32 v135, 0x8000
	s_mov_b32 s20, exec_lo
	v_cmpx_ne_u16_e64 0x80, v144
	s_cbranch_execz .LBB268_233
; %bb.228:                              ;   in Loop: Header=BB268_13 Depth=1
	v_bfe_u32 v145, v9, 16, 7
	v_mov_b32_e32 v135, 0x7c01
	s_mov_b32 s21, exec_lo
	s_delay_alu instid0(VALU_DEP_2)
	v_cmpx_ne_u32_e32 0x7f, v145
	s_cbranch_execz .LBB268_232
; %bb.229:                              ;   in Loop: Header=BB268_13 Depth=1
	v_and_b32_e32 v135, 7, v7
	v_lshrrev_b32_e32 v144, 3, v145
	s_mov_b32 s22, exec_lo
	v_cmpx_gt_u32_e32 8, v145
; %bb.230:                              ;   in Loop: Header=BB268_13 Depth=1
	s_delay_alu instid0(VALU_DEP_3) | instskip(NEXT) | instid1(VALU_DEP_1)
	v_clz_i32_u32_e32 v135, v135
	v_min_u32_e32 v135, 32, v135
	s_delay_alu instid0(VALU_DEP_1) | instskip(NEXT) | instid1(VALU_DEP_1)
	v_subrev_nc_u32_e32 v144, 28, v135
	v_lshlrev_b64_e32 v[145:146], v144, v[7:8]
	v_sub_nc_u32_e32 v144, 29, v135
	s_delay_alu instid0(VALU_DEP_2)
	v_and_b32_e32 v135, 7, v145
; %bb.231:                              ;   in Loop: Header=BB268_13 Depth=1
	s_wait_alu 0xfffe
	s_or_b32 exec_lo, exec_lo, s22
	v_lshlrev_b32_e32 v7, 8, v7
	v_lshl_add_u32 v144, v144, 10, 0x2000
	v_lshlrev_b32_e32 v135, 7, v135
	s_delay_alu instid0(VALU_DEP_3) | instskip(NEXT) | instid1(VALU_DEP_3)
	v_and_b32_e32 v7, 0x8000, v7
	v_and_b32_e32 v144, 0xfc00, v144
	s_delay_alu instid0(VALU_DEP_1)
	v_or3_b32 v135, v7, v144, v135
.LBB268_232:                            ;   in Loop: Header=BB268_13 Depth=1
	s_wait_alu 0xfffe
	s_or_b32 exec_lo, exec_lo, s21
.LBB268_233:                            ;   in Loop: Header=BB268_13 Depth=1
	s_wait_alu 0xfffe
	s_or_b32 exec_lo, exec_lo, s20
.LBB268_234:                            ;   in Loop: Header=BB268_13 Depth=1
	s_wait_alu 0xfffe
	s_or_b32 exec_lo, exec_lo, s19
	s_delay_alu instid0(SALU_CYCLE_1)
	s_mov_b32 s19, exec_lo
	v_cmpx_lt_u32_e32 0xffffff, v9
	s_cbranch_execz .LBB268_242
; %bb.235:                              ;   in Loop: Header=BB268_13 Depth=1
	v_lshrrev_b32_e32 v7, 24, v9
	v_bfrev_b32_e32 v134, 1
	s_mov_b32 s20, exec_lo
	s_delay_alu instid0(VALU_DEP_2)
	v_cmpx_ne_u32_e32 0x80, v7
	s_cbranch_execz .LBB268_241
; %bb.236:                              ;   in Loop: Header=BB268_13 Depth=1
	v_and_b32_e32 v144, 0x7f, v7
	v_mov_b32_e32 v134, 0x7c010000
	s_mov_b32 s21, exec_lo
	s_delay_alu instid0(VALU_DEP_2)
	v_cmpx_ne_u32_e32 0x7f, v144
	s_cbranch_execz .LBB268_240
; %bb.237:                              ;   in Loop: Header=BB268_13 Depth=1
	v_and_b32_e32 v9, 7, v7
	v_lshrrev_b32_e32 v134, 3, v144
	s_mov_b32 s22, exec_lo
	v_cmpx_gt_u32_e32 8, v144
; %bb.238:                              ;   in Loop: Header=BB268_13 Depth=1
	s_delay_alu instid0(VALU_DEP_3) | instskip(NEXT) | instid1(VALU_DEP_1)
	v_clz_i32_u32_e32 v9, v9
	v_min_u32_e32 v9, 32, v9
	s_delay_alu instid0(VALU_DEP_1) | instskip(NEXT) | instid1(VALU_DEP_1)
	v_subrev_nc_u32_e32 v134, 28, v9
	v_lshlrev_b64_e32 v[144:145], v134, v[7:8]
	v_sub_nc_u32_e32 v134, 29, v9
	s_delay_alu instid0(VALU_DEP_2)
	v_and_b32_e32 v9, 7, v144
; %bb.239:                              ;   in Loop: Header=BB268_13 Depth=1
	s_wait_alu 0xfffe
	s_or_b32 exec_lo, exec_lo, s22
	v_lshlrev_b32_e32 v7, 8, v7
	v_lshl_add_u32 v134, v134, 10, 0x2000
	v_lshlrev_b32_e32 v9, 23, v9
	s_delay_alu instid0(VALU_DEP_2) | instskip(NEXT) | instid1(VALU_DEP_1)
	v_and_or_b32 v7, 0x8000, v7, v134
	v_lshl_or_b32 v134, v7, 16, v9
.LBB268_240:                            ;   in Loop: Header=BB268_13 Depth=1
	s_wait_alu 0xfffe
	s_or_b32 exec_lo, exec_lo, s21
.LBB268_241:                            ;   in Loop: Header=BB268_13 Depth=1
	s_wait_alu 0xfffe
	s_or_b32 exec_lo, exec_lo, s20
.LBB268_242:                            ;   in Loop: Header=BB268_13 Depth=1
	s_wait_alu 0xfffe
	s_or_b32 exec_lo, exec_lo, s19
	flat_load_b32 v9, v[28:29] offset:776
	v_mov_b32_e32 v145, 0
	s_mov_b32 s19, exec_lo
	s_wait_loadcnt_dscnt 0x0
	v_dual_mov_b32 v144, 0 :: v_dual_and_b32 v7, 0xff, v9
	s_delay_alu instid0(VALU_DEP_1)
	v_cmpx_ne_u16_e32 0, v7
	s_cbranch_execz .LBB268_250
; %bb.243:                              ;   in Loop: Header=BB268_13 Depth=1
	v_mov_b32_e32 v145, 0x8000
	s_mov_b32 s20, exec_lo
	v_cmpx_ne_u16_e32 0x80, v7
	s_cbranch_execz .LBB268_249
; %bb.244:                              ;   in Loop: Header=BB268_13 Depth=1
	v_and_b32_e32 v146, 0x7f, v9
	v_mov_b32_e32 v145, 0x7c01
	s_mov_b32 s21, exec_lo
	s_delay_alu instid0(VALU_DEP_2)
	v_cmpx_ne_u32_e32 0x7f, v146
	s_cbranch_execz .LBB268_248
; %bb.245:                              ;   in Loop: Header=BB268_13 Depth=1
	v_and_b32_e32 v7, 7, v9
	v_lshrrev_b32_e32 v145, 3, v146
	s_mov_b32 s22, exec_lo
	v_cmpx_gt_u32_e32 8, v146
; %bb.246:                              ;   in Loop: Header=BB268_13 Depth=1
	s_delay_alu instid0(VALU_DEP_3) | instskip(NEXT) | instid1(VALU_DEP_1)
	v_clz_i32_u32_e32 v7, v7
	v_min_u32_e32 v7, 32, v7
	s_delay_alu instid0(VALU_DEP_1) | instskip(NEXT) | instid1(VALU_DEP_1)
	v_subrev_nc_u32_e32 v145, 28, v7
	v_lshlrev_b64_e32 v[146:147], v145, v[9:10]
	v_sub_nc_u32_e32 v145, 29, v7
	s_delay_alu instid0(VALU_DEP_2)
	v_and_b32_e32 v7, 7, v146
; %bb.247:                              ;   in Loop: Header=BB268_13 Depth=1
	s_wait_alu 0xfffe
	s_or_b32 exec_lo, exec_lo, s22
	v_lshlrev_b32_e32 v146, 8, v9
	v_lshl_add_u32 v145, v145, 10, 0x2000
	v_lshlrev_b32_e32 v7, 7, v7
	s_delay_alu instid0(VALU_DEP_3) | instskip(NEXT) | instid1(VALU_DEP_3)
	v_and_b32_e32 v146, 0x8000, v146
	v_and_b32_e32 v145, 0xfc00, v145
	s_delay_alu instid0(VALU_DEP_1)
	v_or3_b32 v145, v146, v145, v7
.LBB268_248:                            ;   in Loop: Header=BB268_13 Depth=1
	s_wait_alu 0xfffe
	s_or_b32 exec_lo, exec_lo, s21
.LBB268_249:                            ;   in Loop: Header=BB268_13 Depth=1
	s_wait_alu 0xfffe
	s_or_b32 exec_lo, exec_lo, s20
.LBB268_250:                            ;   in Loop: Header=BB268_13 Depth=1
	s_wait_alu 0xfffe
	s_or_b32 exec_lo, exec_lo, s19
	v_lshrrev_b16 v7, 8, v9
	s_mov_b32 s19, exec_lo
	s_delay_alu instid0(VALU_DEP_1)
	v_cmpx_ne_u16_e32 0, v7
	s_cbranch_execz .LBB268_258
; %bb.251:                              ;   in Loop: Header=BB268_13 Depth=1
	v_bfrev_b32_e32 v144, 1
	s_mov_b32 s20, exec_lo
	v_cmpx_ne_u16_e32 0x80, v7
	s_cbranch_execz .LBB268_257
; %bb.252:                              ;   in Loop: Header=BB268_13 Depth=1
	v_and_b32_e32 v146, 0xffff, v7
	v_mov_b32_e32 v144, 0x7c010000
	s_mov_b32 s21, exec_lo
	s_delay_alu instid0(VALU_DEP_2) | instskip(NEXT) | instid1(VALU_DEP_1)
	v_and_b32_e32 v148, 0x7f, v146
	v_cmpx_ne_u32_e32 0x7f, v148
	s_cbranch_execz .LBB268_256
; %bb.253:                              ;   in Loop: Header=BB268_13 Depth=1
	v_and_b32_e32 v144, 7, v146
	v_lshrrev_b32_e32 v147, 3, v148
	s_mov_b32 s22, exec_lo
	v_cmpx_gt_u32_e32 8, v148
; %bb.254:                              ;   in Loop: Header=BB268_13 Depth=1
	s_delay_alu instid0(VALU_DEP_3) | instskip(NEXT) | instid1(VALU_DEP_1)
	v_clz_i32_u32_e32 v144, v144
	v_min_u32_e32 v144, 32, v144
	s_delay_alu instid0(VALU_DEP_1) | instskip(NEXT) | instid1(VALU_DEP_1)
	v_subrev_nc_u32_e32 v147, 28, v144
	v_lshlrev_b64_e32 v[148:149], v147, v[7:8]
	v_sub_nc_u32_e32 v147, 29, v144
	s_delay_alu instid0(VALU_DEP_2)
	v_and_b32_e32 v144, 7, v148
; %bb.255:                              ;   in Loop: Header=BB268_13 Depth=1
	s_wait_alu 0xfffe
	s_or_b32 exec_lo, exec_lo, s22
	v_lshlrev_b32_e32 v7, 8, v146
	v_lshl_add_u32 v146, v147, 10, 0x2000
	v_lshlrev_b32_e32 v144, 23, v144
	s_delay_alu instid0(VALU_DEP_2) | instskip(NEXT) | instid1(VALU_DEP_1)
	v_and_or_b32 v7, 0x8000, v7, v146
	v_lshl_or_b32 v144, v7, 16, v144
.LBB268_256:                            ;   in Loop: Header=BB268_13 Depth=1
	s_wait_alu 0xfffe
	s_or_b32 exec_lo, exec_lo, s21
.LBB268_257:                            ;   in Loop: Header=BB268_13 Depth=1
	s_wait_alu 0xfffe
	s_or_b32 exec_lo, exec_lo, s20
.LBB268_258:                            ;   in Loop: Header=BB268_13 Depth=1
	s_wait_alu 0xfffe
	s_or_b32 exec_lo, exec_lo, s19
	v_lshrrev_b32_e32 v7, 16, v9
	v_mov_b32_e32 v146, 0
	s_mov_b32 s19, exec_lo
	s_delay_alu instid0(VALU_DEP_2) | instskip(NEXT) | instid1(VALU_DEP_1)
	v_dual_mov_b32 v147, 0 :: v_dual_and_b32 v148, 0xff, v7
	v_cmpx_ne_u16_e64 0, v148
	s_cbranch_execz .LBB268_266
; %bb.259:                              ;   in Loop: Header=BB268_13 Depth=1
	v_mov_b32_e32 v147, 0x8000
	s_mov_b32 s20, exec_lo
	v_cmpx_ne_u16_e64 0x80, v148
	s_cbranch_execz .LBB268_265
; %bb.260:                              ;   in Loop: Header=BB268_13 Depth=1
	v_bfe_u32 v149, v9, 16, 7
	v_mov_b32_e32 v147, 0x7c01
	s_mov_b32 s21, exec_lo
	s_delay_alu instid0(VALU_DEP_2)
	v_cmpx_ne_u32_e32 0x7f, v149
	s_cbranch_execz .LBB268_264
; %bb.261:                              ;   in Loop: Header=BB268_13 Depth=1
	v_and_b32_e32 v147, 7, v7
	v_lshrrev_b32_e32 v148, 3, v149
	s_mov_b32 s22, exec_lo
	v_cmpx_gt_u32_e32 8, v149
; %bb.262:                              ;   in Loop: Header=BB268_13 Depth=1
	s_delay_alu instid0(VALU_DEP_3) | instskip(NEXT) | instid1(VALU_DEP_1)
	v_clz_i32_u32_e32 v147, v147
	v_min_u32_e32 v149, 32, v147
	s_delay_alu instid0(VALU_DEP_1) | instskip(NEXT) | instid1(VALU_DEP_1)
	v_subrev_nc_u32_e32 v147, 28, v149
	v_lshlrev_b64_e32 v[147:148], v147, v[7:8]
	v_sub_nc_u32_e32 v148, 29, v149
	s_delay_alu instid0(VALU_DEP_2)
	v_and_b32_e32 v147, 7, v147
; %bb.263:                              ;   in Loop: Header=BB268_13 Depth=1
	s_wait_alu 0xfffe
	s_or_b32 exec_lo, exec_lo, s22
	v_lshlrev_b32_e32 v7, 8, v7
	v_lshl_add_u32 v148, v148, 10, 0x2000
	v_lshlrev_b32_e32 v147, 7, v147
	s_delay_alu instid0(VALU_DEP_3) | instskip(NEXT) | instid1(VALU_DEP_3)
	v_and_b32_e32 v7, 0x8000, v7
	v_and_b32_e32 v148, 0xfc00, v148
	s_delay_alu instid0(VALU_DEP_1)
	v_or3_b32 v147, v7, v148, v147
.LBB268_264:                            ;   in Loop: Header=BB268_13 Depth=1
	s_wait_alu 0xfffe
	s_or_b32 exec_lo, exec_lo, s21
.LBB268_265:                            ;   in Loop: Header=BB268_13 Depth=1
	s_wait_alu 0xfffe
	s_or_b32 exec_lo, exec_lo, s20
.LBB268_266:                            ;   in Loop: Header=BB268_13 Depth=1
	s_wait_alu 0xfffe
	s_or_b32 exec_lo, exec_lo, s19
	s_delay_alu instid0(SALU_CYCLE_1)
	s_mov_b32 s19, exec_lo
	v_cmpx_lt_u32_e32 0xffffff, v9
	s_cbranch_execz .LBB268_274
; %bb.267:                              ;   in Loop: Header=BB268_13 Depth=1
	v_lshrrev_b32_e32 v7, 24, v9
	v_bfrev_b32_e32 v146, 1
	s_mov_b32 s20, exec_lo
	s_delay_alu instid0(VALU_DEP_2)
	v_cmpx_ne_u32_e32 0x80, v7
	s_cbranch_execz .LBB268_273
; %bb.268:                              ;   in Loop: Header=BB268_13 Depth=1
	v_and_b32_e32 v148, 0x7f, v7
	v_mov_b32_e32 v146, 0x7c010000
	s_mov_b32 s21, exec_lo
	s_delay_alu instid0(VALU_DEP_2)
	v_cmpx_ne_u32_e32 0x7f, v148
	s_cbranch_execz .LBB268_272
; %bb.269:                              ;   in Loop: Header=BB268_13 Depth=1
	v_and_b32_e32 v9, 7, v7
	v_lshrrev_b32_e32 v146, 3, v148
	s_mov_b32 s22, exec_lo
	v_cmpx_gt_u32_e32 8, v148
; %bb.270:                              ;   in Loop: Header=BB268_13 Depth=1
	s_delay_alu instid0(VALU_DEP_3) | instskip(NEXT) | instid1(VALU_DEP_1)
	v_clz_i32_u32_e32 v9, v9
	v_min_u32_e32 v9, 32, v9
	s_delay_alu instid0(VALU_DEP_1) | instskip(NEXT) | instid1(VALU_DEP_1)
	v_subrev_nc_u32_e32 v146, 28, v9
	v_lshlrev_b64_e32 v[148:149], v146, v[7:8]
	v_sub_nc_u32_e32 v146, 29, v9
	s_delay_alu instid0(VALU_DEP_2)
	v_and_b32_e32 v9, 7, v148
; %bb.271:                              ;   in Loop: Header=BB268_13 Depth=1
	s_wait_alu 0xfffe
	s_or_b32 exec_lo, exec_lo, s22
	v_lshlrev_b32_e32 v7, 8, v7
	v_lshl_add_u32 v146, v146, 10, 0x2000
	v_lshlrev_b32_e32 v9, 23, v9
	s_delay_alu instid0(VALU_DEP_2) | instskip(NEXT) | instid1(VALU_DEP_1)
	v_and_or_b32 v7, 0x8000, v7, v146
	v_lshl_or_b32 v146, v7, 16, v9
.LBB268_272:                            ;   in Loop: Header=BB268_13 Depth=1
	s_wait_alu 0xfffe
	s_or_b32 exec_lo, exec_lo, s21
.LBB268_273:                            ;   in Loop: Header=BB268_13 Depth=1
	s_wait_alu 0xfffe
	s_or_b32 exec_lo, exec_lo, s20
.LBB268_274:                            ;   in Loop: Header=BB268_13 Depth=1
	s_wait_alu 0xfffe
	s_or_b32 exec_lo, exec_lo, s19
	flat_load_b32 v9, v[28:29] offset:1024
	v_mov_b32_e32 v149, 0
	s_mov_b32 s19, exec_lo
	s_wait_loadcnt_dscnt 0x0
	v_dual_mov_b32 v148, 0 :: v_dual_and_b32 v7, 0xff, v9
	s_delay_alu instid0(VALU_DEP_1)
	v_cmpx_ne_u16_e32 0, v7
	s_cbranch_execz .LBB268_282
; %bb.275:                              ;   in Loop: Header=BB268_13 Depth=1
	v_mov_b32_e32 v149, 0x8000
	s_mov_b32 s20, exec_lo
	v_cmpx_ne_u16_e32 0x80, v7
	s_cbranch_execz .LBB268_281
; %bb.276:                              ;   in Loop: Header=BB268_13 Depth=1
	v_and_b32_e32 v150, 0x7f, v9
	v_mov_b32_e32 v149, 0x7c01
	s_mov_b32 s21, exec_lo
	s_delay_alu instid0(VALU_DEP_2)
	v_cmpx_ne_u32_e32 0x7f, v150
	s_cbranch_execz .LBB268_280
; %bb.277:                              ;   in Loop: Header=BB268_13 Depth=1
	v_and_b32_e32 v7, 7, v9
	v_lshrrev_b32_e32 v149, 3, v150
	s_mov_b32 s22, exec_lo
	v_cmpx_gt_u32_e32 8, v150
; %bb.278:                              ;   in Loop: Header=BB268_13 Depth=1
	s_delay_alu instid0(VALU_DEP_3) | instskip(NEXT) | instid1(VALU_DEP_1)
	v_clz_i32_u32_e32 v7, v7
	v_min_u32_e32 v7, 32, v7
	s_delay_alu instid0(VALU_DEP_1) | instskip(NEXT) | instid1(VALU_DEP_1)
	v_subrev_nc_u32_e32 v149, 28, v7
	v_lshlrev_b64_e32 v[150:151], v149, v[9:10]
	v_sub_nc_u32_e32 v149, 29, v7
	s_delay_alu instid0(VALU_DEP_2)
	v_and_b32_e32 v7, 7, v150
; %bb.279:                              ;   in Loop: Header=BB268_13 Depth=1
	s_wait_alu 0xfffe
	s_or_b32 exec_lo, exec_lo, s22
	v_lshlrev_b32_e32 v150, 8, v9
	v_lshl_add_u32 v149, v149, 10, 0x2000
	v_lshlrev_b32_e32 v7, 7, v7
	s_delay_alu instid0(VALU_DEP_3) | instskip(NEXT) | instid1(VALU_DEP_3)
	v_and_b32_e32 v150, 0x8000, v150
	v_and_b32_e32 v149, 0xfc00, v149
	s_delay_alu instid0(VALU_DEP_1)
	v_or3_b32 v149, v150, v149, v7
.LBB268_280:                            ;   in Loop: Header=BB268_13 Depth=1
	s_wait_alu 0xfffe
	s_or_b32 exec_lo, exec_lo, s21
.LBB268_281:                            ;   in Loop: Header=BB268_13 Depth=1
	s_wait_alu 0xfffe
	s_or_b32 exec_lo, exec_lo, s20
.LBB268_282:                            ;   in Loop: Header=BB268_13 Depth=1
	s_wait_alu 0xfffe
	s_or_b32 exec_lo, exec_lo, s19
	v_lshrrev_b16 v7, 8, v9
	s_mov_b32 s19, exec_lo
	s_delay_alu instid0(VALU_DEP_1)
	v_cmpx_ne_u16_e32 0, v7
	s_cbranch_execz .LBB268_290
; %bb.283:                              ;   in Loop: Header=BB268_13 Depth=1
	v_bfrev_b32_e32 v148, 1
	s_mov_b32 s20, exec_lo
	v_cmpx_ne_u16_e32 0x80, v7
	s_cbranch_execz .LBB268_289
; %bb.284:                              ;   in Loop: Header=BB268_13 Depth=1
	v_and_b32_e32 v150, 0xffff, v7
	v_mov_b32_e32 v148, 0x7c010000
	s_mov_b32 s21, exec_lo
	s_delay_alu instid0(VALU_DEP_2) | instskip(NEXT) | instid1(VALU_DEP_1)
	v_and_b32_e32 v160, 0x7f, v150
	v_cmpx_ne_u32_e32 0x7f, v160
	s_cbranch_execz .LBB268_288
; %bb.285:                              ;   in Loop: Header=BB268_13 Depth=1
	v_and_b32_e32 v148, 7, v150
	v_lshrrev_b32_e32 v151, 3, v160
	s_mov_b32 s22, exec_lo
	v_cmpx_gt_u32_e32 8, v160
; %bb.286:                              ;   in Loop: Header=BB268_13 Depth=1
	s_delay_alu instid0(VALU_DEP_3) | instskip(NEXT) | instid1(VALU_DEP_1)
	v_clz_i32_u32_e32 v148, v148
	v_min_u32_e32 v148, 32, v148
	s_delay_alu instid0(VALU_DEP_1) | instskip(NEXT) | instid1(VALU_DEP_1)
	v_subrev_nc_u32_e32 v151, 28, v148
	v_lshlrev_b64_e32 v[160:161], v151, v[7:8]
	v_sub_nc_u32_e32 v151, 29, v148
	s_delay_alu instid0(VALU_DEP_2)
	v_and_b32_e32 v148, 7, v160
; %bb.287:                              ;   in Loop: Header=BB268_13 Depth=1
	s_wait_alu 0xfffe
	s_or_b32 exec_lo, exec_lo, s22
	v_lshlrev_b32_e32 v7, 8, v150
	v_lshl_add_u32 v150, v151, 10, 0x2000
	v_lshlrev_b32_e32 v148, 23, v148
	s_delay_alu instid0(VALU_DEP_2) | instskip(NEXT) | instid1(VALU_DEP_1)
	v_and_or_b32 v7, 0x8000, v7, v150
	v_lshl_or_b32 v148, v7, 16, v148
.LBB268_288:                            ;   in Loop: Header=BB268_13 Depth=1
	s_wait_alu 0xfffe
	s_or_b32 exec_lo, exec_lo, s21
.LBB268_289:                            ;   in Loop: Header=BB268_13 Depth=1
	s_wait_alu 0xfffe
	s_or_b32 exec_lo, exec_lo, s20
.LBB268_290:                            ;   in Loop: Header=BB268_13 Depth=1
	s_wait_alu 0xfffe
	s_or_b32 exec_lo, exec_lo, s19
	v_lshrrev_b32_e32 v7, 16, v9
	v_mov_b32_e32 v150, 0
	s_mov_b32 s19, exec_lo
	s_delay_alu instid0(VALU_DEP_2) | instskip(NEXT) | instid1(VALU_DEP_1)
	v_dual_mov_b32 v151, 0 :: v_dual_and_b32 v160, 0xff, v7
	v_cmpx_ne_u16_e64 0, v160
	s_cbranch_execz .LBB268_298
; %bb.291:                              ;   in Loop: Header=BB268_13 Depth=1
	v_mov_b32_e32 v151, 0x8000
	s_mov_b32 s20, exec_lo
	v_cmpx_ne_u16_e64 0x80, v160
	s_cbranch_execz .LBB268_297
; %bb.292:                              ;   in Loop: Header=BB268_13 Depth=1
	v_bfe_u32 v161, v9, 16, 7
	v_mov_b32_e32 v151, 0x7c01
	s_mov_b32 s21, exec_lo
	s_delay_alu instid0(VALU_DEP_2)
	v_cmpx_ne_u32_e32 0x7f, v161
	s_cbranch_execz .LBB268_296
; %bb.293:                              ;   in Loop: Header=BB268_13 Depth=1
	v_and_b32_e32 v151, 7, v7
	v_lshrrev_b32_e32 v160, 3, v161
	s_mov_b32 s22, exec_lo
	v_cmpx_gt_u32_e32 8, v161
; %bb.294:                              ;   in Loop: Header=BB268_13 Depth=1
	s_delay_alu instid0(VALU_DEP_3) | instskip(NEXT) | instid1(VALU_DEP_1)
	v_clz_i32_u32_e32 v151, v151
	v_min_u32_e32 v151, 32, v151
	s_delay_alu instid0(VALU_DEP_1) | instskip(NEXT) | instid1(VALU_DEP_1)
	v_subrev_nc_u32_e32 v160, 28, v151
	v_lshlrev_b64_e32 v[161:162], v160, v[7:8]
	v_sub_nc_u32_e32 v160, 29, v151
	s_delay_alu instid0(VALU_DEP_2)
	v_and_b32_e32 v151, 7, v161
; %bb.295:                              ;   in Loop: Header=BB268_13 Depth=1
	s_wait_alu 0xfffe
	s_or_b32 exec_lo, exec_lo, s22
	v_lshlrev_b32_e32 v7, 8, v7
	v_lshl_add_u32 v160, v160, 10, 0x2000
	v_lshlrev_b32_e32 v151, 7, v151
	s_delay_alu instid0(VALU_DEP_3) | instskip(NEXT) | instid1(VALU_DEP_3)
	v_and_b32_e32 v7, 0x8000, v7
	v_and_b32_e32 v160, 0xfc00, v160
	s_delay_alu instid0(VALU_DEP_1)
	v_or3_b32 v151, v7, v160, v151
.LBB268_296:                            ;   in Loop: Header=BB268_13 Depth=1
	s_wait_alu 0xfffe
	s_or_b32 exec_lo, exec_lo, s21
.LBB268_297:                            ;   in Loop: Header=BB268_13 Depth=1
	s_wait_alu 0xfffe
	s_or_b32 exec_lo, exec_lo, s20
.LBB268_298:                            ;   in Loop: Header=BB268_13 Depth=1
	s_wait_alu 0xfffe
	s_or_b32 exec_lo, exec_lo, s19
	s_delay_alu instid0(SALU_CYCLE_1)
	s_mov_b32 s19, exec_lo
	v_cmpx_lt_u32_e32 0xffffff, v9
	s_cbranch_execz .LBB268_306
; %bb.299:                              ;   in Loop: Header=BB268_13 Depth=1
	v_lshrrev_b32_e32 v7, 24, v9
	v_bfrev_b32_e32 v150, 1
	s_mov_b32 s20, exec_lo
	s_delay_alu instid0(VALU_DEP_2)
	v_cmpx_ne_u32_e32 0x80, v7
	s_cbranch_execz .LBB268_305
; %bb.300:                              ;   in Loop: Header=BB268_13 Depth=1
	v_and_b32_e32 v160, 0x7f, v7
	v_mov_b32_e32 v150, 0x7c010000
	s_mov_b32 s21, exec_lo
	s_delay_alu instid0(VALU_DEP_2)
	v_cmpx_ne_u32_e32 0x7f, v160
	s_cbranch_execz .LBB268_304
; %bb.301:                              ;   in Loop: Header=BB268_13 Depth=1
	v_and_b32_e32 v9, 7, v7
	v_lshrrev_b32_e32 v150, 3, v160
	s_mov_b32 s22, exec_lo
	v_cmpx_gt_u32_e32 8, v160
; %bb.302:                              ;   in Loop: Header=BB268_13 Depth=1
	s_delay_alu instid0(VALU_DEP_3) | instskip(NEXT) | instid1(VALU_DEP_1)
	v_clz_i32_u32_e32 v9, v9
	v_min_u32_e32 v9, 32, v9
	s_delay_alu instid0(VALU_DEP_1) | instskip(NEXT) | instid1(VALU_DEP_1)
	v_subrev_nc_u32_e32 v150, 28, v9
	v_lshlrev_b64_e32 v[160:161], v150, v[7:8]
	v_sub_nc_u32_e32 v150, 29, v9
	s_delay_alu instid0(VALU_DEP_2)
	v_and_b32_e32 v9, 7, v160
; %bb.303:                              ;   in Loop: Header=BB268_13 Depth=1
	s_wait_alu 0xfffe
	s_or_b32 exec_lo, exec_lo, s22
	v_lshlrev_b32_e32 v7, 8, v7
	v_lshl_add_u32 v150, v150, 10, 0x2000
	v_lshlrev_b32_e32 v9, 23, v9
	s_delay_alu instid0(VALU_DEP_2) | instskip(NEXT) | instid1(VALU_DEP_1)
	v_and_or_b32 v7, 0x8000, v7, v150
	v_lshl_or_b32 v150, v7, 16, v9
.LBB268_304:                            ;   in Loop: Header=BB268_13 Depth=1
	s_wait_alu 0xfffe
	s_or_b32 exec_lo, exec_lo, s21
.LBB268_305:                            ;   in Loop: Header=BB268_13 Depth=1
	s_wait_alu 0xfffe
	s_or_b32 exec_lo, exec_lo, s20
.LBB268_306:                            ;   in Loop: Header=BB268_13 Depth=1
	s_wait_alu 0xfffe
	s_or_b32 exec_lo, exec_lo, s19
	flat_load_b32 v9, v[28:29] offset:1032
	v_mov_b32_e32 v161, 0
	s_mov_b32 s19, exec_lo
	s_wait_loadcnt_dscnt 0x0
	v_dual_mov_b32 v160, 0 :: v_dual_and_b32 v7, 0xff, v9
	s_delay_alu instid0(VALU_DEP_1)
	v_cmpx_ne_u16_e32 0, v7
	s_cbranch_execz .LBB268_314
; %bb.307:                              ;   in Loop: Header=BB268_13 Depth=1
	v_mov_b32_e32 v161, 0x8000
	s_mov_b32 s20, exec_lo
	v_cmpx_ne_u16_e32 0x80, v7
	s_cbranch_execz .LBB268_313
; %bb.308:                              ;   in Loop: Header=BB268_13 Depth=1
	v_and_b32_e32 v162, 0x7f, v9
	v_mov_b32_e32 v161, 0x7c01
	s_mov_b32 s21, exec_lo
	s_delay_alu instid0(VALU_DEP_2)
	v_cmpx_ne_u32_e32 0x7f, v162
	s_cbranch_execz .LBB268_312
; %bb.309:                              ;   in Loop: Header=BB268_13 Depth=1
	v_and_b32_e32 v7, 7, v9
	v_lshrrev_b32_e32 v161, 3, v162
	s_mov_b32 s22, exec_lo
	v_cmpx_gt_u32_e32 8, v162
; %bb.310:                              ;   in Loop: Header=BB268_13 Depth=1
	s_delay_alu instid0(VALU_DEP_3) | instskip(NEXT) | instid1(VALU_DEP_1)
	v_clz_i32_u32_e32 v7, v7
	v_min_u32_e32 v7, 32, v7
	s_delay_alu instid0(VALU_DEP_1) | instskip(NEXT) | instid1(VALU_DEP_1)
	v_subrev_nc_u32_e32 v161, 28, v7
	v_lshlrev_b64_e32 v[162:163], v161, v[9:10]
	v_sub_nc_u32_e32 v161, 29, v7
	s_delay_alu instid0(VALU_DEP_2)
	v_and_b32_e32 v7, 7, v162
; %bb.311:                              ;   in Loop: Header=BB268_13 Depth=1
	s_wait_alu 0xfffe
	s_or_b32 exec_lo, exec_lo, s22
	v_lshlrev_b32_e32 v162, 8, v9
	v_lshl_add_u32 v161, v161, 10, 0x2000
	v_lshlrev_b32_e32 v7, 7, v7
	s_delay_alu instid0(VALU_DEP_3) | instskip(NEXT) | instid1(VALU_DEP_3)
	v_and_b32_e32 v162, 0x8000, v162
	v_and_b32_e32 v161, 0xfc00, v161
	s_delay_alu instid0(VALU_DEP_1)
	v_or3_b32 v161, v162, v161, v7
.LBB268_312:                            ;   in Loop: Header=BB268_13 Depth=1
	s_wait_alu 0xfffe
	s_or_b32 exec_lo, exec_lo, s21
.LBB268_313:                            ;   in Loop: Header=BB268_13 Depth=1
	s_wait_alu 0xfffe
	s_or_b32 exec_lo, exec_lo, s20
.LBB268_314:                            ;   in Loop: Header=BB268_13 Depth=1
	s_wait_alu 0xfffe
	s_or_b32 exec_lo, exec_lo, s19
	v_lshrrev_b16 v7, 8, v9
	s_mov_b32 s19, exec_lo
	s_delay_alu instid0(VALU_DEP_1)
	v_cmpx_ne_u16_e32 0, v7
	s_cbranch_execz .LBB268_322
; %bb.315:                              ;   in Loop: Header=BB268_13 Depth=1
	v_bfrev_b32_e32 v160, 1
	s_mov_b32 s20, exec_lo
	v_cmpx_ne_u16_e32 0x80, v7
	s_cbranch_execz .LBB268_321
; %bb.316:                              ;   in Loop: Header=BB268_13 Depth=1
	v_and_b32_e32 v162, 0xffff, v7
	v_mov_b32_e32 v160, 0x7c010000
	s_mov_b32 s21, exec_lo
	s_delay_alu instid0(VALU_DEP_2) | instskip(NEXT) | instid1(VALU_DEP_1)
	v_and_b32_e32 v164, 0x7f, v162
	v_cmpx_ne_u32_e32 0x7f, v164
	s_cbranch_execz .LBB268_320
; %bb.317:                              ;   in Loop: Header=BB268_13 Depth=1
	v_and_b32_e32 v160, 7, v162
	v_lshrrev_b32_e32 v163, 3, v164
	s_mov_b32 s22, exec_lo
	v_cmpx_gt_u32_e32 8, v164
; %bb.318:                              ;   in Loop: Header=BB268_13 Depth=1
	s_delay_alu instid0(VALU_DEP_3) | instskip(NEXT) | instid1(VALU_DEP_1)
	v_clz_i32_u32_e32 v160, v160
	v_min_u32_e32 v160, 32, v160
	s_delay_alu instid0(VALU_DEP_1) | instskip(NEXT) | instid1(VALU_DEP_1)
	v_subrev_nc_u32_e32 v163, 28, v160
	v_lshlrev_b64_e32 v[164:165], v163, v[7:8]
	v_sub_nc_u32_e32 v163, 29, v160
	s_delay_alu instid0(VALU_DEP_2)
	v_and_b32_e32 v160, 7, v164
; %bb.319:                              ;   in Loop: Header=BB268_13 Depth=1
	s_wait_alu 0xfffe
	s_or_b32 exec_lo, exec_lo, s22
	v_lshlrev_b32_e32 v7, 8, v162
	v_lshl_add_u32 v162, v163, 10, 0x2000
	v_lshlrev_b32_e32 v160, 23, v160
	s_delay_alu instid0(VALU_DEP_2) | instskip(NEXT) | instid1(VALU_DEP_1)
	v_and_or_b32 v7, 0x8000, v7, v162
	v_lshl_or_b32 v160, v7, 16, v160
.LBB268_320:                            ;   in Loop: Header=BB268_13 Depth=1
	s_wait_alu 0xfffe
	s_or_b32 exec_lo, exec_lo, s21
.LBB268_321:                            ;   in Loop: Header=BB268_13 Depth=1
	s_wait_alu 0xfffe
	s_or_b32 exec_lo, exec_lo, s20
.LBB268_322:                            ;   in Loop: Header=BB268_13 Depth=1
	s_wait_alu 0xfffe
	s_or_b32 exec_lo, exec_lo, s19
	v_lshrrev_b32_e32 v7, 16, v9
	v_mov_b32_e32 v162, 0
	s_mov_b32 s19, exec_lo
	s_delay_alu instid0(VALU_DEP_2) | instskip(NEXT) | instid1(VALU_DEP_1)
	v_dual_mov_b32 v163, 0 :: v_dual_and_b32 v164, 0xff, v7
	v_cmpx_ne_u16_e64 0, v164
	s_cbranch_execz .LBB268_330
; %bb.323:                              ;   in Loop: Header=BB268_13 Depth=1
	v_mov_b32_e32 v163, 0x8000
	s_mov_b32 s20, exec_lo
	v_cmpx_ne_u16_e64 0x80, v164
	s_cbranch_execz .LBB268_329
; %bb.324:                              ;   in Loop: Header=BB268_13 Depth=1
	v_bfe_u32 v165, v9, 16, 7
	v_mov_b32_e32 v163, 0x7c01
	s_mov_b32 s21, exec_lo
	s_delay_alu instid0(VALU_DEP_2)
	v_cmpx_ne_u32_e32 0x7f, v165
	s_cbranch_execz .LBB268_328
; %bb.325:                              ;   in Loop: Header=BB268_13 Depth=1
	v_and_b32_e32 v163, 7, v7
	v_lshrrev_b32_e32 v164, 3, v165
	s_mov_b32 s22, exec_lo
	v_cmpx_gt_u32_e32 8, v165
; %bb.326:                              ;   in Loop: Header=BB268_13 Depth=1
	s_delay_alu instid0(VALU_DEP_3) | instskip(NEXT) | instid1(VALU_DEP_1)
	v_clz_i32_u32_e32 v163, v163
	v_min_u32_e32 v165, 32, v163
	s_delay_alu instid0(VALU_DEP_1) | instskip(NEXT) | instid1(VALU_DEP_1)
	v_subrev_nc_u32_e32 v163, 28, v165
	v_lshlrev_b64_e32 v[163:164], v163, v[7:8]
	v_sub_nc_u32_e32 v164, 29, v165
	s_delay_alu instid0(VALU_DEP_2)
	v_and_b32_e32 v163, 7, v163
; %bb.327:                              ;   in Loop: Header=BB268_13 Depth=1
	s_wait_alu 0xfffe
	s_or_b32 exec_lo, exec_lo, s22
	v_lshlrev_b32_e32 v7, 8, v7
	v_lshl_add_u32 v164, v164, 10, 0x2000
	v_lshlrev_b32_e32 v163, 7, v163
	s_delay_alu instid0(VALU_DEP_3) | instskip(NEXT) | instid1(VALU_DEP_3)
	v_and_b32_e32 v7, 0x8000, v7
	v_and_b32_e32 v164, 0xfc00, v164
	s_delay_alu instid0(VALU_DEP_1)
	v_or3_b32 v163, v7, v164, v163
.LBB268_328:                            ;   in Loop: Header=BB268_13 Depth=1
	s_wait_alu 0xfffe
	s_or_b32 exec_lo, exec_lo, s21
.LBB268_329:                            ;   in Loop: Header=BB268_13 Depth=1
	s_wait_alu 0xfffe
	s_or_b32 exec_lo, exec_lo, s20
.LBB268_330:                            ;   in Loop: Header=BB268_13 Depth=1
	s_wait_alu 0xfffe
	s_or_b32 exec_lo, exec_lo, s19
	s_delay_alu instid0(SALU_CYCLE_1)
	s_mov_b32 s19, exec_lo
	v_cmpx_lt_u32_e32 0xffffff, v9
	s_cbranch_execz .LBB268_338
; %bb.331:                              ;   in Loop: Header=BB268_13 Depth=1
	v_lshrrev_b32_e32 v7, 24, v9
	v_bfrev_b32_e32 v162, 1
	s_mov_b32 s20, exec_lo
	s_delay_alu instid0(VALU_DEP_2)
	v_cmpx_ne_u32_e32 0x80, v7
	s_cbranch_execz .LBB268_337
; %bb.332:                              ;   in Loop: Header=BB268_13 Depth=1
	v_and_b32_e32 v164, 0x7f, v7
	v_mov_b32_e32 v162, 0x7c010000
	s_mov_b32 s21, exec_lo
	s_delay_alu instid0(VALU_DEP_2)
	v_cmpx_ne_u32_e32 0x7f, v164
	s_cbranch_execz .LBB268_336
; %bb.333:                              ;   in Loop: Header=BB268_13 Depth=1
	v_and_b32_e32 v9, 7, v7
	v_lshrrev_b32_e32 v162, 3, v164
	s_mov_b32 s22, exec_lo
	v_cmpx_gt_u32_e32 8, v164
; %bb.334:                              ;   in Loop: Header=BB268_13 Depth=1
	s_delay_alu instid0(VALU_DEP_3) | instskip(NEXT) | instid1(VALU_DEP_1)
	v_clz_i32_u32_e32 v9, v9
	v_min_u32_e32 v9, 32, v9
	s_delay_alu instid0(VALU_DEP_1) | instskip(NEXT) | instid1(VALU_DEP_1)
	v_subrev_nc_u32_e32 v162, 28, v9
	v_lshlrev_b64_e32 v[164:165], v162, v[7:8]
	v_sub_nc_u32_e32 v162, 29, v9
	s_delay_alu instid0(VALU_DEP_2)
	v_and_b32_e32 v9, 7, v164
; %bb.335:                              ;   in Loop: Header=BB268_13 Depth=1
	s_wait_alu 0xfffe
	s_or_b32 exec_lo, exec_lo, s22
	v_lshlrev_b32_e32 v7, 8, v7
	v_lshl_add_u32 v162, v162, 10, 0x2000
	v_lshlrev_b32_e32 v9, 23, v9
	s_delay_alu instid0(VALU_DEP_2) | instskip(NEXT) | instid1(VALU_DEP_1)
	v_and_or_b32 v7, 0x8000, v7, v162
	v_lshl_or_b32 v162, v7, 16, v9
.LBB268_336:                            ;   in Loop: Header=BB268_13 Depth=1
	s_wait_alu 0xfffe
	s_or_b32 exec_lo, exec_lo, s21
.LBB268_337:                            ;   in Loop: Header=BB268_13 Depth=1
	s_wait_alu 0xfffe
	s_or_b32 exec_lo, exec_lo, s20
.LBB268_338:                            ;   in Loop: Header=BB268_13 Depth=1
	s_wait_alu 0xfffe
	s_or_b32 exec_lo, exec_lo, s19
	flat_load_b32 v9, v[28:29] offset:1280
	v_mov_b32_e32 v165, 0
	s_mov_b32 s19, exec_lo
	s_wait_loadcnt_dscnt 0x0
	v_dual_mov_b32 v164, 0 :: v_dual_and_b32 v7, 0xff, v9
	s_delay_alu instid0(VALU_DEP_1)
	v_cmpx_ne_u16_e32 0, v7
	s_cbranch_execz .LBB268_346
; %bb.339:                              ;   in Loop: Header=BB268_13 Depth=1
	v_mov_b32_e32 v165, 0x8000
	s_mov_b32 s20, exec_lo
	v_cmpx_ne_u16_e32 0x80, v7
	s_cbranch_execz .LBB268_345
; %bb.340:                              ;   in Loop: Header=BB268_13 Depth=1
	v_and_b32_e32 v166, 0x7f, v9
	v_mov_b32_e32 v165, 0x7c01
	s_mov_b32 s21, exec_lo
	s_delay_alu instid0(VALU_DEP_2)
	v_cmpx_ne_u32_e32 0x7f, v166
	s_cbranch_execz .LBB268_344
; %bb.341:                              ;   in Loop: Header=BB268_13 Depth=1
	v_and_b32_e32 v7, 7, v9
	v_lshrrev_b32_e32 v165, 3, v166
	s_mov_b32 s22, exec_lo
	v_cmpx_gt_u32_e32 8, v166
; %bb.342:                              ;   in Loop: Header=BB268_13 Depth=1
	s_delay_alu instid0(VALU_DEP_3) | instskip(NEXT) | instid1(VALU_DEP_1)
	v_clz_i32_u32_e32 v7, v7
	v_min_u32_e32 v7, 32, v7
	s_delay_alu instid0(VALU_DEP_1) | instskip(NEXT) | instid1(VALU_DEP_1)
	v_subrev_nc_u32_e32 v165, 28, v7
	v_lshlrev_b64_e32 v[166:167], v165, v[9:10]
	v_sub_nc_u32_e32 v165, 29, v7
	s_delay_alu instid0(VALU_DEP_2)
	v_and_b32_e32 v7, 7, v166
; %bb.343:                              ;   in Loop: Header=BB268_13 Depth=1
	s_wait_alu 0xfffe
	s_or_b32 exec_lo, exec_lo, s22
	v_lshlrev_b32_e32 v166, 8, v9
	v_lshl_add_u32 v165, v165, 10, 0x2000
	v_lshlrev_b32_e32 v7, 7, v7
	s_delay_alu instid0(VALU_DEP_3) | instskip(NEXT) | instid1(VALU_DEP_3)
	v_and_b32_e32 v166, 0x8000, v166
	v_and_b32_e32 v165, 0xfc00, v165
	s_delay_alu instid0(VALU_DEP_1)
	v_or3_b32 v165, v166, v165, v7
.LBB268_344:                            ;   in Loop: Header=BB268_13 Depth=1
	s_wait_alu 0xfffe
	s_or_b32 exec_lo, exec_lo, s21
.LBB268_345:                            ;   in Loop: Header=BB268_13 Depth=1
	s_wait_alu 0xfffe
	s_or_b32 exec_lo, exec_lo, s20
.LBB268_346:                            ;   in Loop: Header=BB268_13 Depth=1
	s_wait_alu 0xfffe
	s_or_b32 exec_lo, exec_lo, s19
	v_lshrrev_b16 v7, 8, v9
	s_mov_b32 s19, exec_lo
	s_delay_alu instid0(VALU_DEP_1)
	v_cmpx_ne_u16_e32 0, v7
	s_cbranch_execz .LBB268_354
; %bb.347:                              ;   in Loop: Header=BB268_13 Depth=1
	v_bfrev_b32_e32 v164, 1
	s_mov_b32 s20, exec_lo
	v_cmpx_ne_u16_e32 0x80, v7
	s_cbranch_execz .LBB268_353
; %bb.348:                              ;   in Loop: Header=BB268_13 Depth=1
	v_and_b32_e32 v166, 0xffff, v7
	v_mov_b32_e32 v164, 0x7c010000
	s_mov_b32 s21, exec_lo
	s_delay_alu instid0(VALU_DEP_2) | instskip(NEXT) | instid1(VALU_DEP_1)
	v_and_b32_e32 v176, 0x7f, v166
	v_cmpx_ne_u32_e32 0x7f, v176
	s_cbranch_execz .LBB268_352
; %bb.349:                              ;   in Loop: Header=BB268_13 Depth=1
	v_and_b32_e32 v164, 7, v166
	v_lshrrev_b32_e32 v167, 3, v176
	s_mov_b32 s22, exec_lo
	v_cmpx_gt_u32_e32 8, v176
; %bb.350:                              ;   in Loop: Header=BB268_13 Depth=1
	s_delay_alu instid0(VALU_DEP_3) | instskip(NEXT) | instid1(VALU_DEP_1)
	v_clz_i32_u32_e32 v164, v164
	v_min_u32_e32 v164, 32, v164
	s_delay_alu instid0(VALU_DEP_1) | instskip(NEXT) | instid1(VALU_DEP_1)
	v_subrev_nc_u32_e32 v167, 28, v164
	v_lshlrev_b64_e32 v[176:177], v167, v[7:8]
	v_sub_nc_u32_e32 v167, 29, v164
	s_delay_alu instid0(VALU_DEP_2)
	v_and_b32_e32 v164, 7, v176
; %bb.351:                              ;   in Loop: Header=BB268_13 Depth=1
	s_wait_alu 0xfffe
	s_or_b32 exec_lo, exec_lo, s22
	v_lshlrev_b32_e32 v7, 8, v166
	v_lshl_add_u32 v166, v167, 10, 0x2000
	v_lshlrev_b32_e32 v164, 23, v164
	s_delay_alu instid0(VALU_DEP_2) | instskip(NEXT) | instid1(VALU_DEP_1)
	v_and_or_b32 v7, 0x8000, v7, v166
	v_lshl_or_b32 v164, v7, 16, v164
.LBB268_352:                            ;   in Loop: Header=BB268_13 Depth=1
	s_wait_alu 0xfffe
	s_or_b32 exec_lo, exec_lo, s21
.LBB268_353:                            ;   in Loop: Header=BB268_13 Depth=1
	s_wait_alu 0xfffe
	s_or_b32 exec_lo, exec_lo, s20
.LBB268_354:                            ;   in Loop: Header=BB268_13 Depth=1
	s_wait_alu 0xfffe
	s_or_b32 exec_lo, exec_lo, s19
	v_lshrrev_b32_e32 v7, 16, v9
	v_mov_b32_e32 v166, 0
	s_mov_b32 s19, exec_lo
	s_delay_alu instid0(VALU_DEP_2) | instskip(NEXT) | instid1(VALU_DEP_1)
	v_dual_mov_b32 v167, 0 :: v_dual_and_b32 v176, 0xff, v7
	v_cmpx_ne_u16_e64 0, v176
	s_cbranch_execz .LBB268_362
; %bb.355:                              ;   in Loop: Header=BB268_13 Depth=1
	v_mov_b32_e32 v167, 0x8000
	s_mov_b32 s20, exec_lo
	v_cmpx_ne_u16_e64 0x80, v176
	s_cbranch_execz .LBB268_361
; %bb.356:                              ;   in Loop: Header=BB268_13 Depth=1
	v_bfe_u32 v177, v9, 16, 7
	v_mov_b32_e32 v167, 0x7c01
	s_mov_b32 s21, exec_lo
	s_delay_alu instid0(VALU_DEP_2)
	v_cmpx_ne_u32_e32 0x7f, v177
	s_cbranch_execz .LBB268_360
; %bb.357:                              ;   in Loop: Header=BB268_13 Depth=1
	v_and_b32_e32 v167, 7, v7
	v_lshrrev_b32_e32 v176, 3, v177
	s_mov_b32 s22, exec_lo
	v_cmpx_gt_u32_e32 8, v177
; %bb.358:                              ;   in Loop: Header=BB268_13 Depth=1
	s_delay_alu instid0(VALU_DEP_3) | instskip(NEXT) | instid1(VALU_DEP_1)
	v_clz_i32_u32_e32 v167, v167
	v_min_u32_e32 v167, 32, v167
	s_delay_alu instid0(VALU_DEP_1) | instskip(NEXT) | instid1(VALU_DEP_1)
	v_subrev_nc_u32_e32 v176, 28, v167
	v_lshlrev_b64_e32 v[177:178], v176, v[7:8]
	v_sub_nc_u32_e32 v176, 29, v167
	s_delay_alu instid0(VALU_DEP_2)
	v_and_b32_e32 v167, 7, v177
; %bb.359:                              ;   in Loop: Header=BB268_13 Depth=1
	s_wait_alu 0xfffe
	s_or_b32 exec_lo, exec_lo, s22
	v_lshlrev_b32_e32 v7, 8, v7
	v_lshl_add_u32 v176, v176, 10, 0x2000
	v_lshlrev_b32_e32 v167, 7, v167
	s_delay_alu instid0(VALU_DEP_3) | instskip(NEXT) | instid1(VALU_DEP_3)
	v_and_b32_e32 v7, 0x8000, v7
	v_and_b32_e32 v176, 0xfc00, v176
	s_delay_alu instid0(VALU_DEP_1)
	v_or3_b32 v167, v7, v176, v167
.LBB268_360:                            ;   in Loop: Header=BB268_13 Depth=1
	s_wait_alu 0xfffe
	s_or_b32 exec_lo, exec_lo, s21
.LBB268_361:                            ;   in Loop: Header=BB268_13 Depth=1
	s_wait_alu 0xfffe
	s_or_b32 exec_lo, exec_lo, s20
.LBB268_362:                            ;   in Loop: Header=BB268_13 Depth=1
	s_wait_alu 0xfffe
	s_or_b32 exec_lo, exec_lo, s19
	s_delay_alu instid0(SALU_CYCLE_1)
	s_mov_b32 s19, exec_lo
	v_cmpx_lt_u32_e32 0xffffff, v9
	s_cbranch_execz .LBB268_370
; %bb.363:                              ;   in Loop: Header=BB268_13 Depth=1
	v_lshrrev_b32_e32 v7, 24, v9
	v_bfrev_b32_e32 v166, 1
	s_mov_b32 s20, exec_lo
	s_delay_alu instid0(VALU_DEP_2)
	v_cmpx_ne_u32_e32 0x80, v7
	s_cbranch_execz .LBB268_369
; %bb.364:                              ;   in Loop: Header=BB268_13 Depth=1
	v_and_b32_e32 v176, 0x7f, v7
	v_mov_b32_e32 v166, 0x7c010000
	s_mov_b32 s21, exec_lo
	s_delay_alu instid0(VALU_DEP_2)
	v_cmpx_ne_u32_e32 0x7f, v176
	s_cbranch_execz .LBB268_368
; %bb.365:                              ;   in Loop: Header=BB268_13 Depth=1
	v_and_b32_e32 v9, 7, v7
	v_lshrrev_b32_e32 v166, 3, v176
	s_mov_b32 s22, exec_lo
	v_cmpx_gt_u32_e32 8, v176
; %bb.366:                              ;   in Loop: Header=BB268_13 Depth=1
	s_delay_alu instid0(VALU_DEP_3) | instskip(NEXT) | instid1(VALU_DEP_1)
	v_clz_i32_u32_e32 v9, v9
	v_min_u32_e32 v9, 32, v9
	s_delay_alu instid0(VALU_DEP_1) | instskip(NEXT) | instid1(VALU_DEP_1)
	v_subrev_nc_u32_e32 v166, 28, v9
	v_lshlrev_b64_e32 v[176:177], v166, v[7:8]
	v_sub_nc_u32_e32 v166, 29, v9
	s_delay_alu instid0(VALU_DEP_2)
	v_and_b32_e32 v9, 7, v176
; %bb.367:                              ;   in Loop: Header=BB268_13 Depth=1
	s_wait_alu 0xfffe
	s_or_b32 exec_lo, exec_lo, s22
	v_lshlrev_b32_e32 v7, 8, v7
	v_lshl_add_u32 v166, v166, 10, 0x2000
	v_lshlrev_b32_e32 v9, 23, v9
	s_delay_alu instid0(VALU_DEP_2) | instskip(NEXT) | instid1(VALU_DEP_1)
	v_and_or_b32 v7, 0x8000, v7, v166
	v_lshl_or_b32 v166, v7, 16, v9
.LBB268_368:                            ;   in Loop: Header=BB268_13 Depth=1
	s_wait_alu 0xfffe
	s_or_b32 exec_lo, exec_lo, s21
.LBB268_369:                            ;   in Loop: Header=BB268_13 Depth=1
	s_wait_alu 0xfffe
	s_or_b32 exec_lo, exec_lo, s20
.LBB268_370:                            ;   in Loop: Header=BB268_13 Depth=1
	s_wait_alu 0xfffe
	s_or_b32 exec_lo, exec_lo, s19
	flat_load_b32 v9, v[28:29] offset:1288
	v_mov_b32_e32 v177, 0
	s_mov_b32 s19, exec_lo
	s_wait_loadcnt_dscnt 0x0
	v_dual_mov_b32 v176, 0 :: v_dual_and_b32 v7, 0xff, v9
	s_delay_alu instid0(VALU_DEP_1)
	v_cmpx_ne_u16_e32 0, v7
	s_cbranch_execz .LBB268_378
; %bb.371:                              ;   in Loop: Header=BB268_13 Depth=1
	v_mov_b32_e32 v177, 0x8000
	s_mov_b32 s20, exec_lo
	v_cmpx_ne_u16_e32 0x80, v7
	s_cbranch_execz .LBB268_377
; %bb.372:                              ;   in Loop: Header=BB268_13 Depth=1
	v_and_b32_e32 v178, 0x7f, v9
	v_mov_b32_e32 v177, 0x7c01
	s_mov_b32 s21, exec_lo
	s_delay_alu instid0(VALU_DEP_2)
	v_cmpx_ne_u32_e32 0x7f, v178
	s_cbranch_execz .LBB268_376
; %bb.373:                              ;   in Loop: Header=BB268_13 Depth=1
	v_and_b32_e32 v7, 7, v9
	v_lshrrev_b32_e32 v177, 3, v178
	s_mov_b32 s22, exec_lo
	v_cmpx_gt_u32_e32 8, v178
; %bb.374:                              ;   in Loop: Header=BB268_13 Depth=1
	s_delay_alu instid0(VALU_DEP_3) | instskip(NEXT) | instid1(VALU_DEP_1)
	v_clz_i32_u32_e32 v7, v7
	v_min_u32_e32 v7, 32, v7
	s_delay_alu instid0(VALU_DEP_1) | instskip(NEXT) | instid1(VALU_DEP_1)
	v_subrev_nc_u32_e32 v177, 28, v7
	v_lshlrev_b64_e32 v[178:179], v177, v[9:10]
	v_sub_nc_u32_e32 v177, 29, v7
	s_delay_alu instid0(VALU_DEP_2)
	v_and_b32_e32 v7, 7, v178
; %bb.375:                              ;   in Loop: Header=BB268_13 Depth=1
	s_wait_alu 0xfffe
	s_or_b32 exec_lo, exec_lo, s22
	v_lshlrev_b32_e32 v178, 8, v9
	v_lshl_add_u32 v177, v177, 10, 0x2000
	v_lshlrev_b32_e32 v7, 7, v7
	s_delay_alu instid0(VALU_DEP_3) | instskip(NEXT) | instid1(VALU_DEP_3)
	v_and_b32_e32 v178, 0x8000, v178
	v_and_b32_e32 v177, 0xfc00, v177
	s_delay_alu instid0(VALU_DEP_1)
	v_or3_b32 v177, v178, v177, v7
.LBB268_376:                            ;   in Loop: Header=BB268_13 Depth=1
	s_wait_alu 0xfffe
	s_or_b32 exec_lo, exec_lo, s21
.LBB268_377:                            ;   in Loop: Header=BB268_13 Depth=1
	s_wait_alu 0xfffe
	s_or_b32 exec_lo, exec_lo, s20
.LBB268_378:                            ;   in Loop: Header=BB268_13 Depth=1
	s_wait_alu 0xfffe
	s_or_b32 exec_lo, exec_lo, s19
	v_lshrrev_b16 v7, 8, v9
	s_mov_b32 s19, exec_lo
	s_delay_alu instid0(VALU_DEP_1)
	v_cmpx_ne_u16_e32 0, v7
	s_cbranch_execz .LBB268_386
; %bb.379:                              ;   in Loop: Header=BB268_13 Depth=1
	v_bfrev_b32_e32 v176, 1
	s_mov_b32 s20, exec_lo
	v_cmpx_ne_u16_e32 0x80, v7
	s_cbranch_execz .LBB268_385
; %bb.380:                              ;   in Loop: Header=BB268_13 Depth=1
	v_and_b32_e32 v178, 0xffff, v7
	v_mov_b32_e32 v176, 0x7c010000
	s_mov_b32 s21, exec_lo
	s_delay_alu instid0(VALU_DEP_2) | instskip(NEXT) | instid1(VALU_DEP_1)
	v_and_b32_e32 v180, 0x7f, v178
	v_cmpx_ne_u32_e32 0x7f, v180
	s_cbranch_execz .LBB268_384
; %bb.381:                              ;   in Loop: Header=BB268_13 Depth=1
	v_and_b32_e32 v176, 7, v178
	v_lshrrev_b32_e32 v179, 3, v180
	s_mov_b32 s22, exec_lo
	v_cmpx_gt_u32_e32 8, v180
; %bb.382:                              ;   in Loop: Header=BB268_13 Depth=1
	s_delay_alu instid0(VALU_DEP_3) | instskip(NEXT) | instid1(VALU_DEP_1)
	v_clz_i32_u32_e32 v176, v176
	v_min_u32_e32 v176, 32, v176
	s_delay_alu instid0(VALU_DEP_1) | instskip(NEXT) | instid1(VALU_DEP_1)
	v_subrev_nc_u32_e32 v179, 28, v176
	v_lshlrev_b64_e32 v[180:181], v179, v[7:8]
	v_sub_nc_u32_e32 v179, 29, v176
	s_delay_alu instid0(VALU_DEP_2)
	v_and_b32_e32 v176, 7, v180
; %bb.383:                              ;   in Loop: Header=BB268_13 Depth=1
	s_wait_alu 0xfffe
	s_or_b32 exec_lo, exec_lo, s22
	v_lshlrev_b32_e32 v7, 8, v178
	v_lshl_add_u32 v178, v179, 10, 0x2000
	v_lshlrev_b32_e32 v176, 23, v176
	s_delay_alu instid0(VALU_DEP_2) | instskip(NEXT) | instid1(VALU_DEP_1)
	v_and_or_b32 v7, 0x8000, v7, v178
	v_lshl_or_b32 v176, v7, 16, v176
.LBB268_384:                            ;   in Loop: Header=BB268_13 Depth=1
	s_wait_alu 0xfffe
	s_or_b32 exec_lo, exec_lo, s21
.LBB268_385:                            ;   in Loop: Header=BB268_13 Depth=1
	s_wait_alu 0xfffe
	s_or_b32 exec_lo, exec_lo, s20
.LBB268_386:                            ;   in Loop: Header=BB268_13 Depth=1
	s_wait_alu 0xfffe
	s_or_b32 exec_lo, exec_lo, s19
	v_lshrrev_b32_e32 v7, 16, v9
	v_mov_b32_e32 v178, 0
	s_mov_b32 s19, exec_lo
	s_delay_alu instid0(VALU_DEP_2) | instskip(NEXT) | instid1(VALU_DEP_1)
	v_dual_mov_b32 v179, 0 :: v_dual_and_b32 v180, 0xff, v7
	v_cmpx_ne_u16_e64 0, v180
	s_cbranch_execz .LBB268_394
; %bb.387:                              ;   in Loop: Header=BB268_13 Depth=1
	v_mov_b32_e32 v179, 0x8000
	s_mov_b32 s20, exec_lo
	v_cmpx_ne_u16_e64 0x80, v180
	s_cbranch_execz .LBB268_393
; %bb.388:                              ;   in Loop: Header=BB268_13 Depth=1
	v_bfe_u32 v181, v9, 16, 7
	v_mov_b32_e32 v179, 0x7c01
	s_mov_b32 s21, exec_lo
	s_delay_alu instid0(VALU_DEP_2)
	v_cmpx_ne_u32_e32 0x7f, v181
	s_cbranch_execz .LBB268_392
; %bb.389:                              ;   in Loop: Header=BB268_13 Depth=1
	v_and_b32_e32 v179, 7, v7
	v_lshrrev_b32_e32 v180, 3, v181
	s_mov_b32 s22, exec_lo
	v_cmpx_gt_u32_e32 8, v181
; %bb.390:                              ;   in Loop: Header=BB268_13 Depth=1
	s_delay_alu instid0(VALU_DEP_3) | instskip(NEXT) | instid1(VALU_DEP_1)
	v_clz_i32_u32_e32 v179, v179
	v_min_u32_e32 v181, 32, v179
	s_delay_alu instid0(VALU_DEP_1) | instskip(NEXT) | instid1(VALU_DEP_1)
	v_subrev_nc_u32_e32 v179, 28, v181
	v_lshlrev_b64_e32 v[179:180], v179, v[7:8]
	v_sub_nc_u32_e32 v180, 29, v181
	s_delay_alu instid0(VALU_DEP_2)
	v_and_b32_e32 v179, 7, v179
; %bb.391:                              ;   in Loop: Header=BB268_13 Depth=1
	s_wait_alu 0xfffe
	s_or_b32 exec_lo, exec_lo, s22
	v_lshlrev_b32_e32 v7, 8, v7
	v_lshl_add_u32 v180, v180, 10, 0x2000
	v_lshlrev_b32_e32 v179, 7, v179
	s_delay_alu instid0(VALU_DEP_3) | instskip(NEXT) | instid1(VALU_DEP_3)
	v_and_b32_e32 v7, 0x8000, v7
	v_and_b32_e32 v180, 0xfc00, v180
	s_delay_alu instid0(VALU_DEP_1)
	v_or3_b32 v179, v7, v180, v179
.LBB268_392:                            ;   in Loop: Header=BB268_13 Depth=1
	s_wait_alu 0xfffe
	s_or_b32 exec_lo, exec_lo, s21
.LBB268_393:                            ;   in Loop: Header=BB268_13 Depth=1
	s_wait_alu 0xfffe
	s_or_b32 exec_lo, exec_lo, s20
.LBB268_394:                            ;   in Loop: Header=BB268_13 Depth=1
	s_wait_alu 0xfffe
	s_or_b32 exec_lo, exec_lo, s19
	s_delay_alu instid0(SALU_CYCLE_1)
	s_mov_b32 s19, exec_lo
	v_cmpx_lt_u32_e32 0xffffff, v9
	s_cbranch_execz .LBB268_402
; %bb.395:                              ;   in Loop: Header=BB268_13 Depth=1
	v_lshrrev_b32_e32 v7, 24, v9
	v_bfrev_b32_e32 v178, 1
	s_mov_b32 s20, exec_lo
	s_delay_alu instid0(VALU_DEP_2)
	v_cmpx_ne_u32_e32 0x80, v7
	s_cbranch_execz .LBB268_401
; %bb.396:                              ;   in Loop: Header=BB268_13 Depth=1
	v_and_b32_e32 v180, 0x7f, v7
	v_mov_b32_e32 v178, 0x7c010000
	s_mov_b32 s21, exec_lo
	s_delay_alu instid0(VALU_DEP_2)
	v_cmpx_ne_u32_e32 0x7f, v180
	s_cbranch_execz .LBB268_400
; %bb.397:                              ;   in Loop: Header=BB268_13 Depth=1
	v_and_b32_e32 v9, 7, v7
	v_lshrrev_b32_e32 v178, 3, v180
	s_mov_b32 s22, exec_lo
	v_cmpx_gt_u32_e32 8, v180
; %bb.398:                              ;   in Loop: Header=BB268_13 Depth=1
	s_delay_alu instid0(VALU_DEP_3) | instskip(NEXT) | instid1(VALU_DEP_1)
	v_clz_i32_u32_e32 v9, v9
	v_min_u32_e32 v9, 32, v9
	s_delay_alu instid0(VALU_DEP_1) | instskip(NEXT) | instid1(VALU_DEP_1)
	v_subrev_nc_u32_e32 v178, 28, v9
	v_lshlrev_b64_e32 v[180:181], v178, v[7:8]
	v_sub_nc_u32_e32 v178, 29, v9
	s_delay_alu instid0(VALU_DEP_2)
	v_and_b32_e32 v9, 7, v180
; %bb.399:                              ;   in Loop: Header=BB268_13 Depth=1
	s_wait_alu 0xfffe
	s_or_b32 exec_lo, exec_lo, s22
	v_lshlrev_b32_e32 v7, 8, v7
	v_lshl_add_u32 v178, v178, 10, 0x2000
	v_lshlrev_b32_e32 v9, 23, v9
	s_delay_alu instid0(VALU_DEP_2) | instskip(NEXT) | instid1(VALU_DEP_1)
	v_and_or_b32 v7, 0x8000, v7, v178
	v_lshl_or_b32 v178, v7, 16, v9
.LBB268_400:                            ;   in Loop: Header=BB268_13 Depth=1
	s_wait_alu 0xfffe
	s_or_b32 exec_lo, exec_lo, s21
.LBB268_401:                            ;   in Loop: Header=BB268_13 Depth=1
	s_wait_alu 0xfffe
	s_or_b32 exec_lo, exec_lo, s20
.LBB268_402:                            ;   in Loop: Header=BB268_13 Depth=1
	s_wait_alu 0xfffe
	s_or_b32 exec_lo, exec_lo, s19
	flat_load_b32 v9, v[28:29] offset:1536
	v_mov_b32_e32 v181, 0
	s_mov_b32 s19, exec_lo
	s_wait_loadcnt_dscnt 0x0
	v_dual_mov_b32 v180, 0 :: v_dual_and_b32 v7, 0xff, v9
	s_delay_alu instid0(VALU_DEP_1)
	v_cmpx_ne_u16_e32 0, v7
	s_cbranch_execz .LBB268_410
; %bb.403:                              ;   in Loop: Header=BB268_13 Depth=1
	v_mov_b32_e32 v181, 0x8000
	s_mov_b32 s20, exec_lo
	v_cmpx_ne_u16_e32 0x80, v7
	s_cbranch_execz .LBB268_409
; %bb.404:                              ;   in Loop: Header=BB268_13 Depth=1
	v_and_b32_e32 v182, 0x7f, v9
	v_mov_b32_e32 v181, 0x7c01
	s_mov_b32 s21, exec_lo
	s_delay_alu instid0(VALU_DEP_2)
	v_cmpx_ne_u32_e32 0x7f, v182
	s_cbranch_execz .LBB268_408
; %bb.405:                              ;   in Loop: Header=BB268_13 Depth=1
	v_and_b32_e32 v7, 7, v9
	v_lshrrev_b32_e32 v181, 3, v182
	s_mov_b32 s22, exec_lo
	v_cmpx_gt_u32_e32 8, v182
; %bb.406:                              ;   in Loop: Header=BB268_13 Depth=1
	s_delay_alu instid0(VALU_DEP_3) | instskip(NEXT) | instid1(VALU_DEP_1)
	v_clz_i32_u32_e32 v7, v7
	v_min_u32_e32 v7, 32, v7
	s_delay_alu instid0(VALU_DEP_1) | instskip(NEXT) | instid1(VALU_DEP_1)
	v_subrev_nc_u32_e32 v181, 28, v7
	v_lshlrev_b64_e32 v[182:183], v181, v[9:10]
	v_sub_nc_u32_e32 v181, 29, v7
	s_delay_alu instid0(VALU_DEP_2)
	v_and_b32_e32 v7, 7, v182
; %bb.407:                              ;   in Loop: Header=BB268_13 Depth=1
	s_wait_alu 0xfffe
	s_or_b32 exec_lo, exec_lo, s22
	v_lshlrev_b32_e32 v182, 8, v9
	v_lshl_add_u32 v181, v181, 10, 0x2000
	v_lshlrev_b32_e32 v7, 7, v7
	s_delay_alu instid0(VALU_DEP_3) | instskip(NEXT) | instid1(VALU_DEP_3)
	v_and_b32_e32 v182, 0x8000, v182
	v_and_b32_e32 v181, 0xfc00, v181
	s_delay_alu instid0(VALU_DEP_1)
	v_or3_b32 v181, v182, v181, v7
.LBB268_408:                            ;   in Loop: Header=BB268_13 Depth=1
	s_wait_alu 0xfffe
	s_or_b32 exec_lo, exec_lo, s21
.LBB268_409:                            ;   in Loop: Header=BB268_13 Depth=1
	s_wait_alu 0xfffe
	s_or_b32 exec_lo, exec_lo, s20
.LBB268_410:                            ;   in Loop: Header=BB268_13 Depth=1
	s_wait_alu 0xfffe
	s_or_b32 exec_lo, exec_lo, s19
	v_lshrrev_b16 v7, 8, v9
	s_mov_b32 s19, exec_lo
	s_delay_alu instid0(VALU_DEP_1)
	v_cmpx_ne_u16_e32 0, v7
	s_cbranch_execz .LBB268_418
; %bb.411:                              ;   in Loop: Header=BB268_13 Depth=1
	v_bfrev_b32_e32 v180, 1
	s_mov_b32 s20, exec_lo
	v_cmpx_ne_u16_e32 0x80, v7
	s_cbranch_execz .LBB268_417
; %bb.412:                              ;   in Loop: Header=BB268_13 Depth=1
	v_and_b32_e32 v182, 0xffff, v7
	v_mov_b32_e32 v180, 0x7c010000
	s_mov_b32 s21, exec_lo
	s_delay_alu instid0(VALU_DEP_2) | instskip(NEXT) | instid1(VALU_DEP_1)
	v_and_b32_e32 v40, 0x7f, v182
	v_cmpx_ne_u32_e32 0x7f, v40
	s_cbranch_execz .LBB268_416
; %bb.413:                              ;   in Loop: Header=BB268_13 Depth=1
	v_and_b32_e32 v180, 7, v182
	v_lshrrev_b32_e32 v183, 3, v40
	s_mov_b32 s22, exec_lo
	v_cmpx_gt_u32_e32 8, v40
; %bb.414:                              ;   in Loop: Header=BB268_13 Depth=1
	s_delay_alu instid0(VALU_DEP_3) | instskip(NEXT) | instid1(VALU_DEP_1)
	v_clz_i32_u32_e32 v180, v180
	v_min_u32_e32 v180, 32, v180
	s_delay_alu instid0(VALU_DEP_1) | instskip(NEXT) | instid1(VALU_DEP_1)
	v_subrev_nc_u32_e32 v183, 28, v180
	v_lshlrev_b64_e32 v[40:41], v183, v[7:8]
	v_sub_nc_u32_e32 v183, 29, v180
	s_delay_alu instid0(VALU_DEP_2)
	v_and_b32_e32 v180, 7, v40
; %bb.415:                              ;   in Loop: Header=BB268_13 Depth=1
	s_wait_alu 0xfffe
	s_or_b32 exec_lo, exec_lo, s22
	v_lshlrev_b32_e32 v7, 8, v182
	v_lshl_add_u32 v182, v183, 10, 0x2000
	v_lshlrev_b32_e32 v180, 23, v180
	s_delay_alu instid0(VALU_DEP_2) | instskip(NEXT) | instid1(VALU_DEP_1)
	v_and_or_b32 v7, 0x8000, v7, v182
	v_lshl_or_b32 v180, v7, 16, v180
.LBB268_416:                            ;   in Loop: Header=BB268_13 Depth=1
	s_wait_alu 0xfffe
	s_or_b32 exec_lo, exec_lo, s21
.LBB268_417:                            ;   in Loop: Header=BB268_13 Depth=1
	s_wait_alu 0xfffe
	s_or_b32 exec_lo, exec_lo, s20
.LBB268_418:                            ;   in Loop: Header=BB268_13 Depth=1
	s_wait_alu 0xfffe
	s_or_b32 exec_lo, exec_lo, s19
	v_lshrrev_b32_e32 v7, 16, v9
	v_mov_b32_e32 v182, 0
	s_mov_b32 s19, exec_lo
	s_delay_alu instid0(VALU_DEP_2) | instskip(NEXT) | instid1(VALU_DEP_1)
	v_dual_mov_b32 v183, 0 :: v_dual_and_b32 v40, 0xff, v7
	v_cmpx_ne_u16_e32 0, v40
	s_cbranch_execz .LBB268_426
; %bb.419:                              ;   in Loop: Header=BB268_13 Depth=1
	v_mov_b32_e32 v183, 0x8000
	s_mov_b32 s20, exec_lo
	v_cmpx_ne_u16_e32 0x80, v40
	s_cbranch_execz .LBB268_425
; %bb.420:                              ;   in Loop: Header=BB268_13 Depth=1
	v_bfe_u32 v41, v9, 16, 7
	v_mov_b32_e32 v183, 0x7c01
	s_mov_b32 s21, exec_lo
	s_delay_alu instid0(VALU_DEP_2)
	v_cmpx_ne_u32_e32 0x7f, v41
	s_cbranch_execz .LBB268_424
; %bb.421:                              ;   in Loop: Header=BB268_13 Depth=1
	v_and_b32_e32 v183, 7, v7
	v_lshrrev_b32_e32 v40, 3, v41
	s_mov_b32 s22, exec_lo
	v_cmpx_gt_u32_e32 8, v41
; %bb.422:                              ;   in Loop: Header=BB268_13 Depth=1
	s_delay_alu instid0(VALU_DEP_3) | instskip(NEXT) | instid1(VALU_DEP_1)
	v_clz_i32_u32_e32 v183, v183
	v_min_u32_e32 v183, 32, v183
	s_delay_alu instid0(VALU_DEP_1) | instskip(NEXT) | instid1(VALU_DEP_1)
	v_subrev_nc_u32_e32 v40, 28, v183
	v_lshlrev_b64_e32 v[41:42], v40, v[7:8]
	v_sub_nc_u32_e32 v40, 29, v183
	s_delay_alu instid0(VALU_DEP_2)
	v_and_b32_e32 v183, 7, v41
; %bb.423:                              ;   in Loop: Header=BB268_13 Depth=1
	s_wait_alu 0xfffe
	s_or_b32 exec_lo, exec_lo, s22
	v_lshlrev_b32_e32 v7, 8, v7
	v_lshl_add_u32 v40, v40, 10, 0x2000
	v_lshlrev_b32_e32 v183, 7, v183
	s_delay_alu instid0(VALU_DEP_3) | instskip(NEXT) | instid1(VALU_DEP_3)
	v_and_b32_e32 v7, 0x8000, v7
	v_and_b32_e32 v40, 0xfc00, v40
	s_delay_alu instid0(VALU_DEP_1)
	v_or3_b32 v183, v7, v40, v183
.LBB268_424:                            ;   in Loop: Header=BB268_13 Depth=1
	s_wait_alu 0xfffe
	s_or_b32 exec_lo, exec_lo, s21
.LBB268_425:                            ;   in Loop: Header=BB268_13 Depth=1
	s_wait_alu 0xfffe
	s_or_b32 exec_lo, exec_lo, s20
.LBB268_426:                            ;   in Loop: Header=BB268_13 Depth=1
	s_wait_alu 0xfffe
	s_or_b32 exec_lo, exec_lo, s19
	s_delay_alu instid0(SALU_CYCLE_1)
	s_mov_b32 s19, exec_lo
	v_cmpx_lt_u32_e32 0xffffff, v9
	s_cbranch_execz .LBB268_434
; %bb.427:                              ;   in Loop: Header=BB268_13 Depth=1
	v_lshrrev_b32_e32 v7, 24, v9
	v_bfrev_b32_e32 v182, 1
	s_mov_b32 s20, exec_lo
	s_delay_alu instid0(VALU_DEP_2)
	v_cmpx_ne_u32_e32 0x80, v7
	s_cbranch_execz .LBB268_433
; %bb.428:                              ;   in Loop: Header=BB268_13 Depth=1
	v_and_b32_e32 v40, 0x7f, v7
	v_mov_b32_e32 v182, 0x7c010000
	s_mov_b32 s21, exec_lo
	s_delay_alu instid0(VALU_DEP_2)
	v_cmpx_ne_u32_e32 0x7f, v40
	s_cbranch_execz .LBB268_432
; %bb.429:                              ;   in Loop: Header=BB268_13 Depth=1
	v_and_b32_e32 v9, 7, v7
	v_lshrrev_b32_e32 v182, 3, v40
	s_mov_b32 s22, exec_lo
	v_cmpx_gt_u32_e32 8, v40
; %bb.430:                              ;   in Loop: Header=BB268_13 Depth=1
	s_delay_alu instid0(VALU_DEP_3) | instskip(NEXT) | instid1(VALU_DEP_1)
	v_clz_i32_u32_e32 v9, v9
	v_min_u32_e32 v9, 32, v9
	s_delay_alu instid0(VALU_DEP_1) | instskip(NEXT) | instid1(VALU_DEP_1)
	v_subrev_nc_u32_e32 v182, 28, v9
	v_lshlrev_b64_e32 v[40:41], v182, v[7:8]
	v_sub_nc_u32_e32 v182, 29, v9
	s_delay_alu instid0(VALU_DEP_2)
	v_and_b32_e32 v9, 7, v40
; %bb.431:                              ;   in Loop: Header=BB268_13 Depth=1
	s_wait_alu 0xfffe
	s_or_b32 exec_lo, exec_lo, s22
	v_lshlrev_b32_e32 v7, 8, v7
	v_lshl_add_u32 v182, v182, 10, 0x2000
	v_lshlrev_b32_e32 v9, 23, v9
	s_delay_alu instid0(VALU_DEP_2) | instskip(NEXT) | instid1(VALU_DEP_1)
	v_and_or_b32 v7, 0x8000, v7, v182
	v_lshl_or_b32 v182, v7, 16, v9
.LBB268_432:                            ;   in Loop: Header=BB268_13 Depth=1
	s_wait_alu 0xfffe
	s_or_b32 exec_lo, exec_lo, s21
.LBB268_433:                            ;   in Loop: Header=BB268_13 Depth=1
	s_wait_alu 0xfffe
	s_or_b32 exec_lo, exec_lo, s20
.LBB268_434:                            ;   in Loop: Header=BB268_13 Depth=1
	s_wait_alu 0xfffe
	s_or_b32 exec_lo, exec_lo, s19
	flat_load_b32 v9, v[28:29] offset:1544
	v_mov_b32_e32 v41, 0
	s_mov_b32 s19, exec_lo
	s_wait_loadcnt_dscnt 0x0
	v_dual_mov_b32 v40, 0 :: v_dual_and_b32 v7, 0xff, v9
	s_delay_alu instid0(VALU_DEP_1)
	v_cmpx_ne_u16_e32 0, v7
	s_cbranch_execz .LBB268_442
; %bb.435:                              ;   in Loop: Header=BB268_13 Depth=1
	v_mov_b32_e32 v41, 0x8000
	s_mov_b32 s20, exec_lo
	v_cmpx_ne_u16_e32 0x80, v7
	s_cbranch_execz .LBB268_441
; %bb.436:                              ;   in Loop: Header=BB268_13 Depth=1
	v_and_b32_e32 v42, 0x7f, v9
	v_mov_b32_e32 v41, 0x7c01
	s_mov_b32 s21, exec_lo
	s_delay_alu instid0(VALU_DEP_2)
	v_cmpx_ne_u32_e32 0x7f, v42
	s_cbranch_execz .LBB268_440
; %bb.437:                              ;   in Loop: Header=BB268_13 Depth=1
	v_and_b32_e32 v7, 7, v9
	v_lshrrev_b32_e32 v41, 3, v42
	s_mov_b32 s22, exec_lo
	v_cmpx_gt_u32_e32 8, v42
; %bb.438:                              ;   in Loop: Header=BB268_13 Depth=1
	s_delay_alu instid0(VALU_DEP_3) | instskip(NEXT) | instid1(VALU_DEP_1)
	v_clz_i32_u32_e32 v7, v7
	v_min_u32_e32 v7, 32, v7
	s_delay_alu instid0(VALU_DEP_1) | instskip(NEXT) | instid1(VALU_DEP_1)
	v_subrev_nc_u32_e32 v41, 28, v7
	v_lshlrev_b64_e32 v[42:43], v41, v[9:10]
	v_sub_nc_u32_e32 v41, 29, v7
	s_delay_alu instid0(VALU_DEP_2)
	v_and_b32_e32 v7, 7, v42
; %bb.439:                              ;   in Loop: Header=BB268_13 Depth=1
	s_wait_alu 0xfffe
	s_or_b32 exec_lo, exec_lo, s22
	v_lshlrev_b32_e32 v42, 8, v9
	v_lshl_add_u32 v41, v41, 10, 0x2000
	v_lshlrev_b32_e32 v7, 7, v7
	s_delay_alu instid0(VALU_DEP_3) | instskip(NEXT) | instid1(VALU_DEP_3)
	v_and_b32_e32 v42, 0x8000, v42
	v_and_b32_e32 v41, 0xfc00, v41
	s_delay_alu instid0(VALU_DEP_1)
	v_or3_b32 v41, v42, v41, v7
.LBB268_440:                            ;   in Loop: Header=BB268_13 Depth=1
	s_wait_alu 0xfffe
	s_or_b32 exec_lo, exec_lo, s21
.LBB268_441:                            ;   in Loop: Header=BB268_13 Depth=1
	s_wait_alu 0xfffe
	s_or_b32 exec_lo, exec_lo, s20
.LBB268_442:                            ;   in Loop: Header=BB268_13 Depth=1
	s_wait_alu 0xfffe
	s_or_b32 exec_lo, exec_lo, s19
	v_lshrrev_b16 v7, 8, v9
	s_mov_b32 s19, exec_lo
	s_delay_alu instid0(VALU_DEP_1)
	v_cmpx_ne_u16_e32 0, v7
	s_cbranch_execz .LBB268_450
; %bb.443:                              ;   in Loop: Header=BB268_13 Depth=1
	v_bfrev_b32_e32 v40, 1
	s_mov_b32 s20, exec_lo
	v_cmpx_ne_u16_e32 0x80, v7
	s_cbranch_execz .LBB268_449
; %bb.444:                              ;   in Loop: Header=BB268_13 Depth=1
	v_and_b32_e32 v42, 0xffff, v7
	v_mov_b32_e32 v40, 0x7c010000
	s_mov_b32 s21, exec_lo
	s_delay_alu instid0(VALU_DEP_2) | instskip(NEXT) | instid1(VALU_DEP_1)
	v_and_b32_e32 v44, 0x7f, v42
	v_cmpx_ne_u32_e32 0x7f, v44
	s_cbranch_execz .LBB268_448
; %bb.445:                              ;   in Loop: Header=BB268_13 Depth=1
	v_and_b32_e32 v40, 7, v42
	v_lshrrev_b32_e32 v43, 3, v44
	s_mov_b32 s22, exec_lo
	v_cmpx_gt_u32_e32 8, v44
; %bb.446:                              ;   in Loop: Header=BB268_13 Depth=1
	s_delay_alu instid0(VALU_DEP_3) | instskip(NEXT) | instid1(VALU_DEP_1)
	v_clz_i32_u32_e32 v40, v40
	v_min_u32_e32 v40, 32, v40
	s_delay_alu instid0(VALU_DEP_1) | instskip(NEXT) | instid1(VALU_DEP_1)
	v_subrev_nc_u32_e32 v43, 28, v40
	v_lshlrev_b64_e32 v[44:45], v43, v[7:8]
	v_sub_nc_u32_e32 v43, 29, v40
	s_delay_alu instid0(VALU_DEP_2)
	v_and_b32_e32 v40, 7, v44
; %bb.447:                              ;   in Loop: Header=BB268_13 Depth=1
	s_wait_alu 0xfffe
	s_or_b32 exec_lo, exec_lo, s22
	v_lshlrev_b32_e32 v7, 8, v42
	v_lshl_add_u32 v42, v43, 10, 0x2000
	v_lshlrev_b32_e32 v40, 23, v40
	s_delay_alu instid0(VALU_DEP_2) | instskip(NEXT) | instid1(VALU_DEP_1)
	v_and_or_b32 v7, 0x8000, v7, v42
	v_lshl_or_b32 v40, v7, 16, v40
.LBB268_448:                            ;   in Loop: Header=BB268_13 Depth=1
	s_wait_alu 0xfffe
	s_or_b32 exec_lo, exec_lo, s21
.LBB268_449:                            ;   in Loop: Header=BB268_13 Depth=1
	s_wait_alu 0xfffe
	s_or_b32 exec_lo, exec_lo, s20
.LBB268_450:                            ;   in Loop: Header=BB268_13 Depth=1
	s_wait_alu 0xfffe
	s_or_b32 exec_lo, exec_lo, s19
	v_lshrrev_b32_e32 v7, 16, v9
	v_mov_b32_e32 v42, 0
	s_mov_b32 s19, exec_lo
	s_delay_alu instid0(VALU_DEP_2) | instskip(NEXT) | instid1(VALU_DEP_1)
	v_dual_mov_b32 v43, 0 :: v_dual_and_b32 v44, 0xff, v7
	v_cmpx_ne_u16_e32 0, v44
	s_cbranch_execz .LBB268_458
; %bb.451:                              ;   in Loop: Header=BB268_13 Depth=1
	v_mov_b32_e32 v43, 0x8000
	s_mov_b32 s20, exec_lo
	v_cmpx_ne_u16_e32 0x80, v44
	s_cbranch_execz .LBB268_457
; %bb.452:                              ;   in Loop: Header=BB268_13 Depth=1
	v_bfe_u32 v45, v9, 16, 7
	v_mov_b32_e32 v43, 0x7c01
	s_mov_b32 s21, exec_lo
	s_delay_alu instid0(VALU_DEP_2)
	v_cmpx_ne_u32_e32 0x7f, v45
	s_cbranch_execz .LBB268_456
; %bb.453:                              ;   in Loop: Header=BB268_13 Depth=1
	v_and_b32_e32 v43, 7, v7
	v_lshrrev_b32_e32 v44, 3, v45
	s_mov_b32 s22, exec_lo
	v_cmpx_gt_u32_e32 8, v45
; %bb.454:                              ;   in Loop: Header=BB268_13 Depth=1
	s_delay_alu instid0(VALU_DEP_3) | instskip(NEXT) | instid1(VALU_DEP_1)
	v_clz_i32_u32_e32 v43, v43
	v_min_u32_e32 v45, 32, v43
	s_delay_alu instid0(VALU_DEP_1) | instskip(NEXT) | instid1(VALU_DEP_1)
	v_subrev_nc_u32_e32 v43, 28, v45
	v_lshlrev_b64_e32 v[43:44], v43, v[7:8]
	v_sub_nc_u32_e32 v44, 29, v45
	s_delay_alu instid0(VALU_DEP_2)
	v_and_b32_e32 v43, 7, v43
; %bb.455:                              ;   in Loop: Header=BB268_13 Depth=1
	s_wait_alu 0xfffe
	s_or_b32 exec_lo, exec_lo, s22
	v_lshlrev_b32_e32 v7, 8, v7
	v_lshl_add_u32 v44, v44, 10, 0x2000
	v_lshlrev_b32_e32 v43, 7, v43
	s_delay_alu instid0(VALU_DEP_3) | instskip(NEXT) | instid1(VALU_DEP_3)
	v_and_b32_e32 v7, 0x8000, v7
	v_and_b32_e32 v44, 0xfc00, v44
	s_delay_alu instid0(VALU_DEP_1)
	v_or3_b32 v43, v7, v44, v43
.LBB268_456:                            ;   in Loop: Header=BB268_13 Depth=1
	s_wait_alu 0xfffe
	s_or_b32 exec_lo, exec_lo, s21
.LBB268_457:                            ;   in Loop: Header=BB268_13 Depth=1
	s_wait_alu 0xfffe
	s_or_b32 exec_lo, exec_lo, s20
.LBB268_458:                            ;   in Loop: Header=BB268_13 Depth=1
	s_wait_alu 0xfffe
	s_or_b32 exec_lo, exec_lo, s19
	s_delay_alu instid0(SALU_CYCLE_1)
	s_mov_b32 s19, exec_lo
	v_cmpx_lt_u32_e32 0xffffff, v9
	s_cbranch_execz .LBB268_466
; %bb.459:                              ;   in Loop: Header=BB268_13 Depth=1
	v_lshrrev_b32_e32 v7, 24, v9
	v_bfrev_b32_e32 v42, 1
	s_mov_b32 s20, exec_lo
	s_delay_alu instid0(VALU_DEP_2)
	v_cmpx_ne_u32_e32 0x80, v7
	s_cbranch_execz .LBB268_465
; %bb.460:                              ;   in Loop: Header=BB268_13 Depth=1
	v_and_b32_e32 v44, 0x7f, v7
	v_mov_b32_e32 v42, 0x7c010000
	s_mov_b32 s21, exec_lo
	s_delay_alu instid0(VALU_DEP_2)
	v_cmpx_ne_u32_e32 0x7f, v44
	s_cbranch_execz .LBB268_464
; %bb.461:                              ;   in Loop: Header=BB268_13 Depth=1
	v_and_b32_e32 v9, 7, v7
	v_lshrrev_b32_e32 v42, 3, v44
	s_mov_b32 s22, exec_lo
	v_cmpx_gt_u32_e32 8, v44
; %bb.462:                              ;   in Loop: Header=BB268_13 Depth=1
	s_delay_alu instid0(VALU_DEP_3) | instskip(NEXT) | instid1(VALU_DEP_1)
	v_clz_i32_u32_e32 v9, v9
	v_min_u32_e32 v9, 32, v9
	s_delay_alu instid0(VALU_DEP_1) | instskip(NEXT) | instid1(VALU_DEP_1)
	v_subrev_nc_u32_e32 v42, 28, v9
	v_lshlrev_b64_e32 v[44:45], v42, v[7:8]
	v_sub_nc_u32_e32 v42, 29, v9
	s_delay_alu instid0(VALU_DEP_2)
	v_and_b32_e32 v9, 7, v44
; %bb.463:                              ;   in Loop: Header=BB268_13 Depth=1
	s_wait_alu 0xfffe
	s_or_b32 exec_lo, exec_lo, s22
	v_lshlrev_b32_e32 v7, 8, v7
	v_lshl_add_u32 v42, v42, 10, 0x2000
	v_lshlrev_b32_e32 v9, 23, v9
	s_delay_alu instid0(VALU_DEP_2) | instskip(NEXT) | instid1(VALU_DEP_1)
	v_and_or_b32 v7, 0x8000, v7, v42
	v_lshl_or_b32 v42, v7, 16, v9
.LBB268_464:                            ;   in Loop: Header=BB268_13 Depth=1
	s_wait_alu 0xfffe
	s_or_b32 exec_lo, exec_lo, s21
.LBB268_465:                            ;   in Loop: Header=BB268_13 Depth=1
	s_wait_alu 0xfffe
	s_or_b32 exec_lo, exec_lo, s20
.LBB268_466:                            ;   in Loop: Header=BB268_13 Depth=1
	s_wait_alu 0xfffe
	s_or_b32 exec_lo, exec_lo, s19
	flat_load_b32 v9, v[28:29] offset:1792
	v_mov_b32_e32 v45, 0
	s_mov_b32 s19, exec_lo
	s_wait_loadcnt_dscnt 0x0
	v_dual_mov_b32 v44, 0 :: v_dual_and_b32 v7, 0xff, v9
	s_delay_alu instid0(VALU_DEP_1)
	v_cmpx_ne_u16_e32 0, v7
	s_cbranch_execz .LBB268_474
; %bb.467:                              ;   in Loop: Header=BB268_13 Depth=1
	v_mov_b32_e32 v45, 0x8000
	s_mov_b32 s20, exec_lo
	v_cmpx_ne_u16_e32 0x80, v7
	s_cbranch_execz .LBB268_473
; %bb.468:                              ;   in Loop: Header=BB268_13 Depth=1
	v_and_b32_e32 v46, 0x7f, v9
	v_mov_b32_e32 v45, 0x7c01
	s_mov_b32 s21, exec_lo
	s_delay_alu instid0(VALU_DEP_2)
	v_cmpx_ne_u32_e32 0x7f, v46
	s_cbranch_execz .LBB268_472
; %bb.469:                              ;   in Loop: Header=BB268_13 Depth=1
	v_and_b32_e32 v7, 7, v9
	v_lshrrev_b32_e32 v45, 3, v46
	s_mov_b32 s22, exec_lo
	v_cmpx_gt_u32_e32 8, v46
; %bb.470:                              ;   in Loop: Header=BB268_13 Depth=1
	s_delay_alu instid0(VALU_DEP_3) | instskip(NEXT) | instid1(VALU_DEP_1)
	v_clz_i32_u32_e32 v7, v7
	v_min_u32_e32 v7, 32, v7
	s_delay_alu instid0(VALU_DEP_1) | instskip(NEXT) | instid1(VALU_DEP_1)
	v_subrev_nc_u32_e32 v45, 28, v7
	v_lshlrev_b64_e32 v[46:47], v45, v[9:10]
	v_sub_nc_u32_e32 v45, 29, v7
	s_delay_alu instid0(VALU_DEP_2)
	v_and_b32_e32 v7, 7, v46
; %bb.471:                              ;   in Loop: Header=BB268_13 Depth=1
	s_wait_alu 0xfffe
	s_or_b32 exec_lo, exec_lo, s22
	v_lshlrev_b32_e32 v46, 8, v9
	v_lshl_add_u32 v45, v45, 10, 0x2000
	v_lshlrev_b32_e32 v7, 7, v7
	s_delay_alu instid0(VALU_DEP_3) | instskip(NEXT) | instid1(VALU_DEP_3)
	v_and_b32_e32 v46, 0x8000, v46
	v_and_b32_e32 v45, 0xfc00, v45
	s_delay_alu instid0(VALU_DEP_1)
	v_or3_b32 v45, v46, v45, v7
.LBB268_472:                            ;   in Loop: Header=BB268_13 Depth=1
	s_wait_alu 0xfffe
	s_or_b32 exec_lo, exec_lo, s21
.LBB268_473:                            ;   in Loop: Header=BB268_13 Depth=1
	s_wait_alu 0xfffe
	s_or_b32 exec_lo, exec_lo, s20
.LBB268_474:                            ;   in Loop: Header=BB268_13 Depth=1
	s_wait_alu 0xfffe
	s_or_b32 exec_lo, exec_lo, s19
	v_lshrrev_b16 v7, 8, v9
	s_mov_b32 s19, exec_lo
	s_delay_alu instid0(VALU_DEP_1)
	v_cmpx_ne_u16_e32 0, v7
	s_cbranch_execz .LBB268_482
; %bb.475:                              ;   in Loop: Header=BB268_13 Depth=1
	v_bfrev_b32_e32 v44, 1
	s_mov_b32 s20, exec_lo
	v_cmpx_ne_u16_e32 0x80, v7
	s_cbranch_execz .LBB268_481
; %bb.476:                              ;   in Loop: Header=BB268_13 Depth=1
	v_and_b32_e32 v46, 0xffff, v7
	v_mov_b32_e32 v44, 0x7c010000
	s_mov_b32 s21, exec_lo
	s_delay_alu instid0(VALU_DEP_2) | instskip(NEXT) | instid1(VALU_DEP_1)
	v_and_b32_e32 v56, 0x7f, v46
	v_cmpx_ne_u32_e32 0x7f, v56
	s_cbranch_execz .LBB268_480
; %bb.477:                              ;   in Loop: Header=BB268_13 Depth=1
	v_and_b32_e32 v44, 7, v46
	v_lshrrev_b32_e32 v47, 3, v56
	s_mov_b32 s22, exec_lo
	v_cmpx_gt_u32_e32 8, v56
; %bb.478:                              ;   in Loop: Header=BB268_13 Depth=1
	s_delay_alu instid0(VALU_DEP_3) | instskip(NEXT) | instid1(VALU_DEP_1)
	v_clz_i32_u32_e32 v44, v44
	v_min_u32_e32 v44, 32, v44
	s_delay_alu instid0(VALU_DEP_1) | instskip(NEXT) | instid1(VALU_DEP_1)
	v_subrev_nc_u32_e32 v47, 28, v44
	v_lshlrev_b64_e32 v[56:57], v47, v[7:8]
	v_sub_nc_u32_e32 v47, 29, v44
	s_delay_alu instid0(VALU_DEP_2)
	v_and_b32_e32 v44, 7, v56
; %bb.479:                              ;   in Loop: Header=BB268_13 Depth=1
	s_wait_alu 0xfffe
	s_or_b32 exec_lo, exec_lo, s22
	v_lshlrev_b32_e32 v7, 8, v46
	v_lshl_add_u32 v46, v47, 10, 0x2000
	v_lshlrev_b32_e32 v44, 23, v44
	s_delay_alu instid0(VALU_DEP_2) | instskip(NEXT) | instid1(VALU_DEP_1)
	v_and_or_b32 v7, 0x8000, v7, v46
	v_lshl_or_b32 v44, v7, 16, v44
.LBB268_480:                            ;   in Loop: Header=BB268_13 Depth=1
	s_wait_alu 0xfffe
	s_or_b32 exec_lo, exec_lo, s21
.LBB268_481:                            ;   in Loop: Header=BB268_13 Depth=1
	s_wait_alu 0xfffe
	s_or_b32 exec_lo, exec_lo, s20
.LBB268_482:                            ;   in Loop: Header=BB268_13 Depth=1
	s_wait_alu 0xfffe
	s_or_b32 exec_lo, exec_lo, s19
	v_lshrrev_b32_e32 v7, 16, v9
	v_mov_b32_e32 v46, 0
	s_mov_b32 s19, exec_lo
	s_delay_alu instid0(VALU_DEP_2) | instskip(NEXT) | instid1(VALU_DEP_1)
	v_dual_mov_b32 v47, 0 :: v_dual_and_b32 v56, 0xff, v7
	v_cmpx_ne_u16_e32 0, v56
	s_cbranch_execz .LBB268_490
; %bb.483:                              ;   in Loop: Header=BB268_13 Depth=1
	v_mov_b32_e32 v47, 0x8000
	s_mov_b32 s20, exec_lo
	v_cmpx_ne_u16_e32 0x80, v56
	s_cbranch_execz .LBB268_489
; %bb.484:                              ;   in Loop: Header=BB268_13 Depth=1
	v_bfe_u32 v57, v9, 16, 7
	v_mov_b32_e32 v47, 0x7c01
	s_mov_b32 s21, exec_lo
	s_delay_alu instid0(VALU_DEP_2)
	v_cmpx_ne_u32_e32 0x7f, v57
	s_cbranch_execz .LBB268_488
; %bb.485:                              ;   in Loop: Header=BB268_13 Depth=1
	v_and_b32_e32 v47, 7, v7
	v_lshrrev_b32_e32 v56, 3, v57
	s_mov_b32 s22, exec_lo
	v_cmpx_gt_u32_e32 8, v57
; %bb.486:                              ;   in Loop: Header=BB268_13 Depth=1
	s_delay_alu instid0(VALU_DEP_3) | instskip(NEXT) | instid1(VALU_DEP_1)
	v_clz_i32_u32_e32 v47, v47
	v_min_u32_e32 v47, 32, v47
	s_delay_alu instid0(VALU_DEP_1) | instskip(NEXT) | instid1(VALU_DEP_1)
	v_subrev_nc_u32_e32 v56, 28, v47
	v_lshlrev_b64_e32 v[57:58], v56, v[7:8]
	v_sub_nc_u32_e32 v56, 29, v47
	s_delay_alu instid0(VALU_DEP_2)
	v_and_b32_e32 v47, 7, v57
; %bb.487:                              ;   in Loop: Header=BB268_13 Depth=1
	s_wait_alu 0xfffe
	s_or_b32 exec_lo, exec_lo, s22
	v_lshlrev_b32_e32 v7, 8, v7
	v_lshl_add_u32 v56, v56, 10, 0x2000
	v_lshlrev_b32_e32 v47, 7, v47
	s_delay_alu instid0(VALU_DEP_3) | instskip(NEXT) | instid1(VALU_DEP_3)
	v_and_b32_e32 v7, 0x8000, v7
	v_and_b32_e32 v56, 0xfc00, v56
	s_delay_alu instid0(VALU_DEP_1)
	v_or3_b32 v47, v7, v56, v47
.LBB268_488:                            ;   in Loop: Header=BB268_13 Depth=1
	s_wait_alu 0xfffe
	s_or_b32 exec_lo, exec_lo, s21
.LBB268_489:                            ;   in Loop: Header=BB268_13 Depth=1
	s_wait_alu 0xfffe
	s_or_b32 exec_lo, exec_lo, s20
.LBB268_490:                            ;   in Loop: Header=BB268_13 Depth=1
	s_wait_alu 0xfffe
	s_or_b32 exec_lo, exec_lo, s19
	s_delay_alu instid0(SALU_CYCLE_1)
	s_mov_b32 s19, exec_lo
	v_cmpx_lt_u32_e32 0xffffff, v9
	s_cbranch_execz .LBB268_498
; %bb.491:                              ;   in Loop: Header=BB268_13 Depth=1
	v_lshrrev_b32_e32 v7, 24, v9
	v_bfrev_b32_e32 v46, 1
	s_mov_b32 s20, exec_lo
	s_delay_alu instid0(VALU_DEP_2)
	v_cmpx_ne_u32_e32 0x80, v7
	s_cbranch_execz .LBB268_497
; %bb.492:                              ;   in Loop: Header=BB268_13 Depth=1
	v_and_b32_e32 v56, 0x7f, v7
	v_mov_b32_e32 v46, 0x7c010000
	s_mov_b32 s21, exec_lo
	s_delay_alu instid0(VALU_DEP_2)
	v_cmpx_ne_u32_e32 0x7f, v56
	s_cbranch_execz .LBB268_496
; %bb.493:                              ;   in Loop: Header=BB268_13 Depth=1
	v_and_b32_e32 v9, 7, v7
	v_lshrrev_b32_e32 v46, 3, v56
	s_mov_b32 s22, exec_lo
	v_cmpx_gt_u32_e32 8, v56
; %bb.494:                              ;   in Loop: Header=BB268_13 Depth=1
	s_delay_alu instid0(VALU_DEP_3) | instskip(NEXT) | instid1(VALU_DEP_1)
	v_clz_i32_u32_e32 v9, v9
	v_min_u32_e32 v9, 32, v9
	s_delay_alu instid0(VALU_DEP_1) | instskip(NEXT) | instid1(VALU_DEP_1)
	v_subrev_nc_u32_e32 v46, 28, v9
	v_lshlrev_b64_e32 v[56:57], v46, v[7:8]
	v_sub_nc_u32_e32 v46, 29, v9
	s_delay_alu instid0(VALU_DEP_2)
	v_and_b32_e32 v9, 7, v56
; %bb.495:                              ;   in Loop: Header=BB268_13 Depth=1
	s_wait_alu 0xfffe
	s_or_b32 exec_lo, exec_lo, s22
	v_lshlrev_b32_e32 v7, 8, v7
	v_lshl_add_u32 v46, v46, 10, 0x2000
	v_lshlrev_b32_e32 v9, 23, v9
	s_delay_alu instid0(VALU_DEP_2) | instskip(NEXT) | instid1(VALU_DEP_1)
	v_and_or_b32 v7, 0x8000, v7, v46
	v_lshl_or_b32 v46, v7, 16, v9
.LBB268_496:                            ;   in Loop: Header=BB268_13 Depth=1
	s_wait_alu 0xfffe
	s_or_b32 exec_lo, exec_lo, s21
.LBB268_497:                            ;   in Loop: Header=BB268_13 Depth=1
	s_wait_alu 0xfffe
	s_or_b32 exec_lo, exec_lo, s20
.LBB268_498:                            ;   in Loop: Header=BB268_13 Depth=1
	s_wait_alu 0xfffe
	s_or_b32 exec_lo, exec_lo, s19
	flat_load_b32 v9, v[28:29] offset:1800
	v_mov_b32_e32 v57, 0
	s_mov_b32 s19, exec_lo
	s_wait_loadcnt_dscnt 0x0
	v_dual_mov_b32 v56, 0 :: v_dual_and_b32 v7, 0xff, v9
	s_delay_alu instid0(VALU_DEP_1)
	v_cmpx_ne_u16_e32 0, v7
	s_cbranch_execz .LBB268_506
; %bb.499:                              ;   in Loop: Header=BB268_13 Depth=1
	v_mov_b32_e32 v57, 0x8000
	s_mov_b32 s20, exec_lo
	v_cmpx_ne_u16_e32 0x80, v7
	s_cbranch_execz .LBB268_505
; %bb.500:                              ;   in Loop: Header=BB268_13 Depth=1
	v_and_b32_e32 v58, 0x7f, v9
	v_mov_b32_e32 v57, 0x7c01
	s_mov_b32 s21, exec_lo
	s_delay_alu instid0(VALU_DEP_2)
	v_cmpx_ne_u32_e32 0x7f, v58
	s_cbranch_execz .LBB268_504
; %bb.501:                              ;   in Loop: Header=BB268_13 Depth=1
	v_and_b32_e32 v7, 7, v9
	v_lshrrev_b32_e32 v57, 3, v58
	s_mov_b32 s22, exec_lo
	v_cmpx_gt_u32_e32 8, v58
; %bb.502:                              ;   in Loop: Header=BB268_13 Depth=1
	s_delay_alu instid0(VALU_DEP_3) | instskip(NEXT) | instid1(VALU_DEP_1)
	v_clz_i32_u32_e32 v7, v7
	v_min_u32_e32 v7, 32, v7
	s_delay_alu instid0(VALU_DEP_1) | instskip(NEXT) | instid1(VALU_DEP_1)
	v_subrev_nc_u32_e32 v57, 28, v7
	v_lshlrev_b64_e32 v[58:59], v57, v[9:10]
	v_sub_nc_u32_e32 v57, 29, v7
	s_delay_alu instid0(VALU_DEP_2)
	v_and_b32_e32 v7, 7, v58
; %bb.503:                              ;   in Loop: Header=BB268_13 Depth=1
	s_wait_alu 0xfffe
	s_or_b32 exec_lo, exec_lo, s22
	v_lshlrev_b32_e32 v58, 8, v9
	v_lshl_add_u32 v57, v57, 10, 0x2000
	v_lshlrev_b32_e32 v7, 7, v7
	s_delay_alu instid0(VALU_DEP_3) | instskip(NEXT) | instid1(VALU_DEP_3)
	v_and_b32_e32 v58, 0x8000, v58
	v_and_b32_e32 v57, 0xfc00, v57
	s_delay_alu instid0(VALU_DEP_1)
	v_or3_b32 v57, v58, v57, v7
.LBB268_504:                            ;   in Loop: Header=BB268_13 Depth=1
	s_wait_alu 0xfffe
	s_or_b32 exec_lo, exec_lo, s21
.LBB268_505:                            ;   in Loop: Header=BB268_13 Depth=1
	s_wait_alu 0xfffe
	s_or_b32 exec_lo, exec_lo, s20
.LBB268_506:                            ;   in Loop: Header=BB268_13 Depth=1
	s_wait_alu 0xfffe
	s_or_b32 exec_lo, exec_lo, s19
	v_lshrrev_b16 v7, 8, v9
	s_mov_b32 s19, exec_lo
	s_delay_alu instid0(VALU_DEP_1)
	v_cmpx_ne_u16_e32 0, v7
	s_cbranch_execz .LBB268_514
; %bb.507:                              ;   in Loop: Header=BB268_13 Depth=1
	v_bfrev_b32_e32 v56, 1
	s_mov_b32 s20, exec_lo
	v_cmpx_ne_u16_e32 0x80, v7
	s_cbranch_execz .LBB268_513
; %bb.508:                              ;   in Loop: Header=BB268_13 Depth=1
	v_and_b32_e32 v58, 0xffff, v7
	v_mov_b32_e32 v56, 0x7c010000
	s_mov_b32 s21, exec_lo
	s_delay_alu instid0(VALU_DEP_2) | instskip(NEXT) | instid1(VALU_DEP_1)
	v_and_b32_e32 v60, 0x7f, v58
	v_cmpx_ne_u32_e32 0x7f, v60
	s_cbranch_execz .LBB268_512
; %bb.509:                              ;   in Loop: Header=BB268_13 Depth=1
	v_and_b32_e32 v56, 7, v58
	v_lshrrev_b32_e32 v59, 3, v60
	s_mov_b32 s22, exec_lo
	v_cmpx_gt_u32_e32 8, v60
; %bb.510:                              ;   in Loop: Header=BB268_13 Depth=1
	s_delay_alu instid0(VALU_DEP_3) | instskip(NEXT) | instid1(VALU_DEP_1)
	v_clz_i32_u32_e32 v56, v56
	v_min_u32_e32 v56, 32, v56
	s_delay_alu instid0(VALU_DEP_1) | instskip(NEXT) | instid1(VALU_DEP_1)
	v_subrev_nc_u32_e32 v59, 28, v56
	v_lshlrev_b64_e32 v[60:61], v59, v[7:8]
	v_sub_nc_u32_e32 v59, 29, v56
	s_delay_alu instid0(VALU_DEP_2)
	v_and_b32_e32 v56, 7, v60
; %bb.511:                              ;   in Loop: Header=BB268_13 Depth=1
	s_wait_alu 0xfffe
	s_or_b32 exec_lo, exec_lo, s22
	v_lshlrev_b32_e32 v7, 8, v58
	v_lshl_add_u32 v58, v59, 10, 0x2000
	v_lshlrev_b32_e32 v56, 23, v56
	s_delay_alu instid0(VALU_DEP_2) | instskip(NEXT) | instid1(VALU_DEP_1)
	v_and_or_b32 v7, 0x8000, v7, v58
	v_lshl_or_b32 v56, v7, 16, v56
.LBB268_512:                            ;   in Loop: Header=BB268_13 Depth=1
	s_wait_alu 0xfffe
	s_or_b32 exec_lo, exec_lo, s21
.LBB268_513:                            ;   in Loop: Header=BB268_13 Depth=1
	s_wait_alu 0xfffe
	s_or_b32 exec_lo, exec_lo, s20
.LBB268_514:                            ;   in Loop: Header=BB268_13 Depth=1
	s_wait_alu 0xfffe
	s_or_b32 exec_lo, exec_lo, s19
	v_lshrrev_b32_e32 v7, 16, v9
	v_mov_b32_e32 v58, 0
	s_mov_b32 s19, exec_lo
	s_delay_alu instid0(VALU_DEP_2) | instskip(NEXT) | instid1(VALU_DEP_1)
	v_dual_mov_b32 v59, 0 :: v_dual_and_b32 v60, 0xff, v7
	v_cmpx_ne_u16_e32 0, v60
	s_cbranch_execz .LBB268_522
; %bb.515:                              ;   in Loop: Header=BB268_13 Depth=1
	v_mov_b32_e32 v59, 0x8000
	s_mov_b32 s20, exec_lo
	v_cmpx_ne_u16_e32 0x80, v60
	s_cbranch_execz .LBB268_521
; %bb.516:                              ;   in Loop: Header=BB268_13 Depth=1
	v_bfe_u32 v61, v9, 16, 7
	v_mov_b32_e32 v59, 0x7c01
	s_mov_b32 s21, exec_lo
	s_delay_alu instid0(VALU_DEP_2)
	v_cmpx_ne_u32_e32 0x7f, v61
	s_cbranch_execz .LBB268_520
; %bb.517:                              ;   in Loop: Header=BB268_13 Depth=1
	v_and_b32_e32 v59, 7, v7
	v_lshrrev_b32_e32 v60, 3, v61
	s_mov_b32 s22, exec_lo
	v_cmpx_gt_u32_e32 8, v61
; %bb.518:                              ;   in Loop: Header=BB268_13 Depth=1
	s_delay_alu instid0(VALU_DEP_3) | instskip(NEXT) | instid1(VALU_DEP_1)
	v_clz_i32_u32_e32 v59, v59
	v_min_u32_e32 v61, 32, v59
	s_delay_alu instid0(VALU_DEP_1) | instskip(NEXT) | instid1(VALU_DEP_1)
	v_subrev_nc_u32_e32 v59, 28, v61
	v_lshlrev_b64_e32 v[59:60], v59, v[7:8]
	v_sub_nc_u32_e32 v60, 29, v61
	s_delay_alu instid0(VALU_DEP_2)
	v_and_b32_e32 v59, 7, v59
; %bb.519:                              ;   in Loop: Header=BB268_13 Depth=1
	s_wait_alu 0xfffe
	s_or_b32 exec_lo, exec_lo, s22
	v_lshlrev_b32_e32 v7, 8, v7
	v_lshl_add_u32 v60, v60, 10, 0x2000
	v_lshlrev_b32_e32 v59, 7, v59
	s_delay_alu instid0(VALU_DEP_3) | instskip(NEXT) | instid1(VALU_DEP_3)
	v_and_b32_e32 v7, 0x8000, v7
	v_and_b32_e32 v60, 0xfc00, v60
	s_delay_alu instid0(VALU_DEP_1)
	v_or3_b32 v59, v7, v60, v59
.LBB268_520:                            ;   in Loop: Header=BB268_13 Depth=1
	s_wait_alu 0xfffe
	s_or_b32 exec_lo, exec_lo, s21
.LBB268_521:                            ;   in Loop: Header=BB268_13 Depth=1
	s_wait_alu 0xfffe
	s_or_b32 exec_lo, exec_lo, s20
.LBB268_522:                            ;   in Loop: Header=BB268_13 Depth=1
	s_wait_alu 0xfffe
	s_or_b32 exec_lo, exec_lo, s19
	s_delay_alu instid0(SALU_CYCLE_1)
	s_mov_b32 s19, exec_lo
	v_cmpx_lt_u32_e32 0xffffff, v9
	s_cbranch_execz .LBB268_530
; %bb.523:                              ;   in Loop: Header=BB268_13 Depth=1
	v_lshrrev_b32_e32 v7, 24, v9
	v_bfrev_b32_e32 v58, 1
	s_mov_b32 s20, exec_lo
	s_delay_alu instid0(VALU_DEP_2)
	v_cmpx_ne_u32_e32 0x80, v7
	s_cbranch_execz .LBB268_529
; %bb.524:                              ;   in Loop: Header=BB268_13 Depth=1
	v_and_b32_e32 v60, 0x7f, v7
	v_mov_b32_e32 v58, 0x7c010000
	s_mov_b32 s21, exec_lo
	s_delay_alu instid0(VALU_DEP_2)
	v_cmpx_ne_u32_e32 0x7f, v60
	s_cbranch_execz .LBB268_528
; %bb.525:                              ;   in Loop: Header=BB268_13 Depth=1
	v_and_b32_e32 v9, 7, v7
	v_lshrrev_b32_e32 v58, 3, v60
	s_mov_b32 s22, exec_lo
	v_cmpx_gt_u32_e32 8, v60
; %bb.526:                              ;   in Loop: Header=BB268_13 Depth=1
	s_delay_alu instid0(VALU_DEP_3) | instskip(NEXT) | instid1(VALU_DEP_1)
	v_clz_i32_u32_e32 v9, v9
	v_min_u32_e32 v9, 32, v9
	s_delay_alu instid0(VALU_DEP_1) | instskip(NEXT) | instid1(VALU_DEP_1)
	v_subrev_nc_u32_e32 v58, 28, v9
	v_lshlrev_b64_e32 v[60:61], v58, v[7:8]
	v_sub_nc_u32_e32 v58, 29, v9
	s_delay_alu instid0(VALU_DEP_2)
	v_and_b32_e32 v9, 7, v60
; %bb.527:                              ;   in Loop: Header=BB268_13 Depth=1
	s_wait_alu 0xfffe
	s_or_b32 exec_lo, exec_lo, s22
	v_lshlrev_b32_e32 v7, 8, v7
	v_lshl_add_u32 v58, v58, 10, 0x2000
	v_lshlrev_b32_e32 v9, 23, v9
	s_delay_alu instid0(VALU_DEP_2) | instskip(NEXT) | instid1(VALU_DEP_1)
	v_and_or_b32 v7, 0x8000, v7, v58
	v_lshl_or_b32 v58, v7, 16, v9
.LBB268_528:                            ;   in Loop: Header=BB268_13 Depth=1
	s_wait_alu 0xfffe
	s_or_b32 exec_lo, exec_lo, s21
.LBB268_529:                            ;   in Loop: Header=BB268_13 Depth=1
	s_wait_alu 0xfffe
	s_or_b32 exec_lo, exec_lo, s20
.LBB268_530:                            ;   in Loop: Header=BB268_13 Depth=1
	s_wait_alu 0xfffe
	s_or_b32 exec_lo, exec_lo, s19
	flat_load_b32 v9, v[28:29] offset:2048
	v_mov_b32_e32 v61, 0
	s_mov_b32 s19, exec_lo
	s_wait_loadcnt_dscnt 0x0
	v_dual_mov_b32 v60, 0 :: v_dual_and_b32 v7, 0xff, v9
	s_delay_alu instid0(VALU_DEP_1)
	v_cmpx_ne_u16_e32 0, v7
	s_cbranch_execz .LBB268_538
; %bb.531:                              ;   in Loop: Header=BB268_13 Depth=1
	v_mov_b32_e32 v61, 0x8000
	s_mov_b32 s20, exec_lo
	v_cmpx_ne_u16_e32 0x80, v7
	s_cbranch_execz .LBB268_537
; %bb.532:                              ;   in Loop: Header=BB268_13 Depth=1
	v_and_b32_e32 v62, 0x7f, v9
	v_mov_b32_e32 v61, 0x7c01
	s_mov_b32 s21, exec_lo
	s_delay_alu instid0(VALU_DEP_2)
	v_cmpx_ne_u32_e32 0x7f, v62
	s_cbranch_execz .LBB268_536
; %bb.533:                              ;   in Loop: Header=BB268_13 Depth=1
	v_and_b32_e32 v7, 7, v9
	v_lshrrev_b32_e32 v61, 3, v62
	s_mov_b32 s22, exec_lo
	v_cmpx_gt_u32_e32 8, v62
; %bb.534:                              ;   in Loop: Header=BB268_13 Depth=1
	s_delay_alu instid0(VALU_DEP_3) | instskip(NEXT) | instid1(VALU_DEP_1)
	v_clz_i32_u32_e32 v7, v7
	v_min_u32_e32 v7, 32, v7
	s_delay_alu instid0(VALU_DEP_1) | instskip(NEXT) | instid1(VALU_DEP_1)
	v_subrev_nc_u32_e32 v61, 28, v7
	v_lshlrev_b64_e32 v[62:63], v61, v[9:10]
	v_sub_nc_u32_e32 v61, 29, v7
	s_delay_alu instid0(VALU_DEP_2)
	v_and_b32_e32 v7, 7, v62
; %bb.535:                              ;   in Loop: Header=BB268_13 Depth=1
	s_wait_alu 0xfffe
	s_or_b32 exec_lo, exec_lo, s22
	v_lshlrev_b32_e32 v62, 8, v9
	v_lshl_add_u32 v61, v61, 10, 0x2000
	v_lshlrev_b32_e32 v7, 7, v7
	s_delay_alu instid0(VALU_DEP_3) | instskip(NEXT) | instid1(VALU_DEP_3)
	v_and_b32_e32 v62, 0x8000, v62
	v_and_b32_e32 v61, 0xfc00, v61
	s_delay_alu instid0(VALU_DEP_1)
	v_or3_b32 v61, v62, v61, v7
.LBB268_536:                            ;   in Loop: Header=BB268_13 Depth=1
	s_wait_alu 0xfffe
	s_or_b32 exec_lo, exec_lo, s21
.LBB268_537:                            ;   in Loop: Header=BB268_13 Depth=1
	s_wait_alu 0xfffe
	s_or_b32 exec_lo, exec_lo, s20
.LBB268_538:                            ;   in Loop: Header=BB268_13 Depth=1
	s_wait_alu 0xfffe
	s_or_b32 exec_lo, exec_lo, s19
	v_lshrrev_b16 v7, 8, v9
	s_mov_b32 s19, exec_lo
	s_delay_alu instid0(VALU_DEP_1)
	v_cmpx_ne_u16_e32 0, v7
	s_cbranch_execz .LBB268_546
; %bb.539:                              ;   in Loop: Header=BB268_13 Depth=1
	v_bfrev_b32_e32 v60, 1
	s_mov_b32 s20, exec_lo
	v_cmpx_ne_u16_e32 0x80, v7
	s_cbranch_execz .LBB268_545
; %bb.540:                              ;   in Loop: Header=BB268_13 Depth=1
	v_and_b32_e32 v62, 0xffff, v7
	v_mov_b32_e32 v60, 0x7c010000
	s_mov_b32 s21, exec_lo
	s_delay_alu instid0(VALU_DEP_2) | instskip(NEXT) | instid1(VALU_DEP_1)
	v_and_b32_e32 v72, 0x7f, v62
	v_cmpx_ne_u32_e32 0x7f, v72
	s_cbranch_execz .LBB268_544
; %bb.541:                              ;   in Loop: Header=BB268_13 Depth=1
	v_and_b32_e32 v60, 7, v62
	v_lshrrev_b32_e32 v63, 3, v72
	s_mov_b32 s22, exec_lo
	v_cmpx_gt_u32_e32 8, v72
; %bb.542:                              ;   in Loop: Header=BB268_13 Depth=1
	s_delay_alu instid0(VALU_DEP_3) | instskip(NEXT) | instid1(VALU_DEP_1)
	v_clz_i32_u32_e32 v60, v60
	v_min_u32_e32 v60, 32, v60
	s_delay_alu instid0(VALU_DEP_1) | instskip(NEXT) | instid1(VALU_DEP_1)
	v_subrev_nc_u32_e32 v63, 28, v60
	v_lshlrev_b64_e32 v[72:73], v63, v[7:8]
	v_sub_nc_u32_e32 v63, 29, v60
	s_delay_alu instid0(VALU_DEP_2)
	v_and_b32_e32 v60, 7, v72
; %bb.543:                              ;   in Loop: Header=BB268_13 Depth=1
	s_wait_alu 0xfffe
	s_or_b32 exec_lo, exec_lo, s22
	v_lshlrev_b32_e32 v7, 8, v62
	v_lshl_add_u32 v62, v63, 10, 0x2000
	v_lshlrev_b32_e32 v60, 23, v60
	s_delay_alu instid0(VALU_DEP_2) | instskip(NEXT) | instid1(VALU_DEP_1)
	v_and_or_b32 v7, 0x8000, v7, v62
	v_lshl_or_b32 v60, v7, 16, v60
.LBB268_544:                            ;   in Loop: Header=BB268_13 Depth=1
	s_wait_alu 0xfffe
	s_or_b32 exec_lo, exec_lo, s21
.LBB268_545:                            ;   in Loop: Header=BB268_13 Depth=1
	s_wait_alu 0xfffe
	s_or_b32 exec_lo, exec_lo, s20
.LBB268_546:                            ;   in Loop: Header=BB268_13 Depth=1
	s_wait_alu 0xfffe
	s_or_b32 exec_lo, exec_lo, s19
	v_lshrrev_b32_e32 v7, 16, v9
	v_mov_b32_e32 v62, 0
	s_mov_b32 s19, exec_lo
	s_delay_alu instid0(VALU_DEP_2) | instskip(NEXT) | instid1(VALU_DEP_1)
	v_dual_mov_b32 v63, 0 :: v_dual_and_b32 v72, 0xff, v7
	v_cmpx_ne_u16_e32 0, v72
	s_cbranch_execz .LBB268_554
; %bb.547:                              ;   in Loop: Header=BB268_13 Depth=1
	v_mov_b32_e32 v63, 0x8000
	s_mov_b32 s20, exec_lo
	v_cmpx_ne_u16_e32 0x80, v72
	s_cbranch_execz .LBB268_553
; %bb.548:                              ;   in Loop: Header=BB268_13 Depth=1
	v_bfe_u32 v73, v9, 16, 7
	v_mov_b32_e32 v63, 0x7c01
	s_mov_b32 s21, exec_lo
	s_delay_alu instid0(VALU_DEP_2)
	v_cmpx_ne_u32_e32 0x7f, v73
	s_cbranch_execz .LBB268_552
; %bb.549:                              ;   in Loop: Header=BB268_13 Depth=1
	v_and_b32_e32 v63, 7, v7
	v_lshrrev_b32_e32 v72, 3, v73
	s_mov_b32 s22, exec_lo
	v_cmpx_gt_u32_e32 8, v73
; %bb.550:                              ;   in Loop: Header=BB268_13 Depth=1
	s_delay_alu instid0(VALU_DEP_3) | instskip(NEXT) | instid1(VALU_DEP_1)
	v_clz_i32_u32_e32 v63, v63
	v_min_u32_e32 v63, 32, v63
	s_delay_alu instid0(VALU_DEP_1) | instskip(NEXT) | instid1(VALU_DEP_1)
	v_subrev_nc_u32_e32 v72, 28, v63
	v_lshlrev_b64_e32 v[73:74], v72, v[7:8]
	v_sub_nc_u32_e32 v72, 29, v63
	s_delay_alu instid0(VALU_DEP_2)
	v_and_b32_e32 v63, 7, v73
; %bb.551:                              ;   in Loop: Header=BB268_13 Depth=1
	s_wait_alu 0xfffe
	s_or_b32 exec_lo, exec_lo, s22
	v_lshlrev_b32_e32 v7, 8, v7
	v_lshl_add_u32 v72, v72, 10, 0x2000
	v_lshlrev_b32_e32 v63, 7, v63
	s_delay_alu instid0(VALU_DEP_3) | instskip(NEXT) | instid1(VALU_DEP_3)
	v_and_b32_e32 v7, 0x8000, v7
	v_and_b32_e32 v72, 0xfc00, v72
	s_delay_alu instid0(VALU_DEP_1)
	v_or3_b32 v63, v7, v72, v63
.LBB268_552:                            ;   in Loop: Header=BB268_13 Depth=1
	s_wait_alu 0xfffe
	s_or_b32 exec_lo, exec_lo, s21
.LBB268_553:                            ;   in Loop: Header=BB268_13 Depth=1
	s_wait_alu 0xfffe
	s_or_b32 exec_lo, exec_lo, s20
.LBB268_554:                            ;   in Loop: Header=BB268_13 Depth=1
	s_wait_alu 0xfffe
	s_or_b32 exec_lo, exec_lo, s19
	s_delay_alu instid0(SALU_CYCLE_1)
	s_mov_b32 s19, exec_lo
	v_cmpx_lt_u32_e32 0xffffff, v9
	s_cbranch_execz .LBB268_562
; %bb.555:                              ;   in Loop: Header=BB268_13 Depth=1
	v_lshrrev_b32_e32 v7, 24, v9
	v_bfrev_b32_e32 v62, 1
	s_mov_b32 s20, exec_lo
	s_delay_alu instid0(VALU_DEP_2)
	v_cmpx_ne_u32_e32 0x80, v7
	s_cbranch_execz .LBB268_561
; %bb.556:                              ;   in Loop: Header=BB268_13 Depth=1
	v_and_b32_e32 v72, 0x7f, v7
	v_mov_b32_e32 v62, 0x7c010000
	s_mov_b32 s21, exec_lo
	s_delay_alu instid0(VALU_DEP_2)
	v_cmpx_ne_u32_e32 0x7f, v72
	s_cbranch_execz .LBB268_560
; %bb.557:                              ;   in Loop: Header=BB268_13 Depth=1
	v_and_b32_e32 v9, 7, v7
	v_lshrrev_b32_e32 v62, 3, v72
	s_mov_b32 s22, exec_lo
	v_cmpx_gt_u32_e32 8, v72
; %bb.558:                              ;   in Loop: Header=BB268_13 Depth=1
	s_delay_alu instid0(VALU_DEP_3) | instskip(NEXT) | instid1(VALU_DEP_1)
	v_clz_i32_u32_e32 v9, v9
	v_min_u32_e32 v9, 32, v9
	s_delay_alu instid0(VALU_DEP_1) | instskip(NEXT) | instid1(VALU_DEP_1)
	v_subrev_nc_u32_e32 v62, 28, v9
	v_lshlrev_b64_e32 v[72:73], v62, v[7:8]
	v_sub_nc_u32_e32 v62, 29, v9
	s_delay_alu instid0(VALU_DEP_2)
	v_and_b32_e32 v9, 7, v72
; %bb.559:                              ;   in Loop: Header=BB268_13 Depth=1
	s_wait_alu 0xfffe
	s_or_b32 exec_lo, exec_lo, s22
	v_lshlrev_b32_e32 v7, 8, v7
	v_lshl_add_u32 v62, v62, 10, 0x2000
	v_lshlrev_b32_e32 v9, 23, v9
	s_delay_alu instid0(VALU_DEP_2) | instskip(NEXT) | instid1(VALU_DEP_1)
	v_and_or_b32 v7, 0x8000, v7, v62
	v_lshl_or_b32 v62, v7, 16, v9
.LBB268_560:                            ;   in Loop: Header=BB268_13 Depth=1
	s_wait_alu 0xfffe
	s_or_b32 exec_lo, exec_lo, s21
.LBB268_561:                            ;   in Loop: Header=BB268_13 Depth=1
	s_wait_alu 0xfffe
	s_or_b32 exec_lo, exec_lo, s20
.LBB268_562:                            ;   in Loop: Header=BB268_13 Depth=1
	s_wait_alu 0xfffe
	s_or_b32 exec_lo, exec_lo, s19
	flat_load_b32 v9, v[28:29] offset:2056
	v_mov_b32_e32 v73, 0
	s_mov_b32 s19, exec_lo
	s_wait_loadcnt_dscnt 0x0
	v_dual_mov_b32 v72, 0 :: v_dual_and_b32 v7, 0xff, v9
	s_delay_alu instid0(VALU_DEP_1)
	v_cmpx_ne_u16_e32 0, v7
	s_cbranch_execz .LBB268_570
; %bb.563:                              ;   in Loop: Header=BB268_13 Depth=1
	v_mov_b32_e32 v73, 0x8000
	s_mov_b32 s20, exec_lo
	v_cmpx_ne_u16_e32 0x80, v7
	s_cbranch_execz .LBB268_569
; %bb.564:                              ;   in Loop: Header=BB268_13 Depth=1
	v_and_b32_e32 v74, 0x7f, v9
	v_mov_b32_e32 v73, 0x7c01
	s_mov_b32 s21, exec_lo
	s_delay_alu instid0(VALU_DEP_2)
	v_cmpx_ne_u32_e32 0x7f, v74
	s_cbranch_execz .LBB268_568
; %bb.565:                              ;   in Loop: Header=BB268_13 Depth=1
	v_and_b32_e32 v7, 7, v9
	v_lshrrev_b32_e32 v73, 3, v74
	s_mov_b32 s22, exec_lo
	v_cmpx_gt_u32_e32 8, v74
; %bb.566:                              ;   in Loop: Header=BB268_13 Depth=1
	s_delay_alu instid0(VALU_DEP_3) | instskip(NEXT) | instid1(VALU_DEP_1)
	v_clz_i32_u32_e32 v7, v7
	v_min_u32_e32 v7, 32, v7
	s_delay_alu instid0(VALU_DEP_1) | instskip(NEXT) | instid1(VALU_DEP_1)
	v_subrev_nc_u32_e32 v73, 28, v7
	v_lshlrev_b64_e32 v[74:75], v73, v[9:10]
	v_sub_nc_u32_e32 v73, 29, v7
	s_delay_alu instid0(VALU_DEP_2)
	v_and_b32_e32 v7, 7, v74
; %bb.567:                              ;   in Loop: Header=BB268_13 Depth=1
	s_wait_alu 0xfffe
	s_or_b32 exec_lo, exec_lo, s22
	v_lshlrev_b32_e32 v74, 8, v9
	v_lshl_add_u32 v73, v73, 10, 0x2000
	v_lshlrev_b32_e32 v7, 7, v7
	s_delay_alu instid0(VALU_DEP_3) | instskip(NEXT) | instid1(VALU_DEP_3)
	v_and_b32_e32 v74, 0x8000, v74
	v_and_b32_e32 v73, 0xfc00, v73
	s_delay_alu instid0(VALU_DEP_1)
	v_or3_b32 v73, v74, v73, v7
.LBB268_568:                            ;   in Loop: Header=BB268_13 Depth=1
	s_wait_alu 0xfffe
	s_or_b32 exec_lo, exec_lo, s21
.LBB268_569:                            ;   in Loop: Header=BB268_13 Depth=1
	s_wait_alu 0xfffe
	s_or_b32 exec_lo, exec_lo, s20
.LBB268_570:                            ;   in Loop: Header=BB268_13 Depth=1
	s_wait_alu 0xfffe
	s_or_b32 exec_lo, exec_lo, s19
	v_lshrrev_b16 v7, 8, v9
	s_mov_b32 s19, exec_lo
	s_delay_alu instid0(VALU_DEP_1)
	v_cmpx_ne_u16_e32 0, v7
	s_cbranch_execz .LBB268_578
; %bb.571:                              ;   in Loop: Header=BB268_13 Depth=1
	v_bfrev_b32_e32 v72, 1
	s_mov_b32 s20, exec_lo
	v_cmpx_ne_u16_e32 0x80, v7
	s_cbranch_execz .LBB268_577
; %bb.572:                              ;   in Loop: Header=BB268_13 Depth=1
	v_and_b32_e32 v74, 0xffff, v7
	v_mov_b32_e32 v72, 0x7c010000
	s_mov_b32 s21, exec_lo
	s_delay_alu instid0(VALU_DEP_2) | instskip(NEXT) | instid1(VALU_DEP_1)
	v_and_b32_e32 v76, 0x7f, v74
	v_cmpx_ne_u32_e32 0x7f, v76
	s_cbranch_execz .LBB268_576
; %bb.573:                              ;   in Loop: Header=BB268_13 Depth=1
	v_and_b32_e32 v72, 7, v74
	v_lshrrev_b32_e32 v75, 3, v76
	s_mov_b32 s22, exec_lo
	v_cmpx_gt_u32_e32 8, v76
; %bb.574:                              ;   in Loop: Header=BB268_13 Depth=1
	s_delay_alu instid0(VALU_DEP_3) | instskip(NEXT) | instid1(VALU_DEP_1)
	v_clz_i32_u32_e32 v72, v72
	v_min_u32_e32 v72, 32, v72
	s_delay_alu instid0(VALU_DEP_1) | instskip(NEXT) | instid1(VALU_DEP_1)
	v_subrev_nc_u32_e32 v75, 28, v72
	v_lshlrev_b64_e32 v[76:77], v75, v[7:8]
	v_sub_nc_u32_e32 v75, 29, v72
	s_delay_alu instid0(VALU_DEP_2)
	v_and_b32_e32 v72, 7, v76
; %bb.575:                              ;   in Loop: Header=BB268_13 Depth=1
	s_wait_alu 0xfffe
	s_or_b32 exec_lo, exec_lo, s22
	v_lshlrev_b32_e32 v7, 8, v74
	v_lshl_add_u32 v74, v75, 10, 0x2000
	v_lshlrev_b32_e32 v72, 23, v72
	s_delay_alu instid0(VALU_DEP_2) | instskip(NEXT) | instid1(VALU_DEP_1)
	v_and_or_b32 v7, 0x8000, v7, v74
	v_lshl_or_b32 v72, v7, 16, v72
.LBB268_576:                            ;   in Loop: Header=BB268_13 Depth=1
	s_wait_alu 0xfffe
	s_or_b32 exec_lo, exec_lo, s21
.LBB268_577:                            ;   in Loop: Header=BB268_13 Depth=1
	s_wait_alu 0xfffe
	s_or_b32 exec_lo, exec_lo, s20
.LBB268_578:                            ;   in Loop: Header=BB268_13 Depth=1
	s_wait_alu 0xfffe
	s_or_b32 exec_lo, exec_lo, s19
	v_lshrrev_b32_e32 v7, 16, v9
	v_mov_b32_e32 v74, 0
	s_mov_b32 s19, exec_lo
	s_delay_alu instid0(VALU_DEP_2) | instskip(NEXT) | instid1(VALU_DEP_1)
	v_dual_mov_b32 v75, 0 :: v_dual_and_b32 v76, 0xff, v7
	v_cmpx_ne_u16_e32 0, v76
	s_cbranch_execz .LBB268_586
; %bb.579:                              ;   in Loop: Header=BB268_13 Depth=1
	v_mov_b32_e32 v75, 0x8000
	s_mov_b32 s20, exec_lo
	v_cmpx_ne_u16_e32 0x80, v76
	s_cbranch_execz .LBB268_585
; %bb.580:                              ;   in Loop: Header=BB268_13 Depth=1
	v_bfe_u32 v77, v9, 16, 7
	v_mov_b32_e32 v75, 0x7c01
	s_mov_b32 s21, exec_lo
	s_delay_alu instid0(VALU_DEP_2)
	v_cmpx_ne_u32_e32 0x7f, v77
	s_cbranch_execz .LBB268_584
; %bb.581:                              ;   in Loop: Header=BB268_13 Depth=1
	v_and_b32_e32 v75, 7, v7
	v_lshrrev_b32_e32 v76, 3, v77
	s_mov_b32 s22, exec_lo
	v_cmpx_gt_u32_e32 8, v77
; %bb.582:                              ;   in Loop: Header=BB268_13 Depth=1
	s_delay_alu instid0(VALU_DEP_3) | instskip(NEXT) | instid1(VALU_DEP_1)
	v_clz_i32_u32_e32 v75, v75
	v_min_u32_e32 v77, 32, v75
	s_delay_alu instid0(VALU_DEP_1) | instskip(NEXT) | instid1(VALU_DEP_1)
	v_subrev_nc_u32_e32 v75, 28, v77
	v_lshlrev_b64_e32 v[75:76], v75, v[7:8]
	v_sub_nc_u32_e32 v76, 29, v77
	s_delay_alu instid0(VALU_DEP_2)
	v_and_b32_e32 v75, 7, v75
; %bb.583:                              ;   in Loop: Header=BB268_13 Depth=1
	s_wait_alu 0xfffe
	s_or_b32 exec_lo, exec_lo, s22
	v_lshlrev_b32_e32 v7, 8, v7
	v_lshl_add_u32 v76, v76, 10, 0x2000
	v_lshlrev_b32_e32 v75, 7, v75
	s_delay_alu instid0(VALU_DEP_3) | instskip(NEXT) | instid1(VALU_DEP_3)
	v_and_b32_e32 v7, 0x8000, v7
	v_and_b32_e32 v76, 0xfc00, v76
	s_delay_alu instid0(VALU_DEP_1)
	v_or3_b32 v75, v7, v76, v75
.LBB268_584:                            ;   in Loop: Header=BB268_13 Depth=1
	s_wait_alu 0xfffe
	s_or_b32 exec_lo, exec_lo, s21
.LBB268_585:                            ;   in Loop: Header=BB268_13 Depth=1
	s_wait_alu 0xfffe
	s_or_b32 exec_lo, exec_lo, s20
.LBB268_586:                            ;   in Loop: Header=BB268_13 Depth=1
	s_wait_alu 0xfffe
	s_or_b32 exec_lo, exec_lo, s19
	s_delay_alu instid0(SALU_CYCLE_1)
	s_mov_b32 s19, exec_lo
	v_cmpx_lt_u32_e32 0xffffff, v9
	s_cbranch_execz .LBB268_594
; %bb.587:                              ;   in Loop: Header=BB268_13 Depth=1
	v_lshrrev_b32_e32 v7, 24, v9
	v_bfrev_b32_e32 v74, 1
	s_mov_b32 s20, exec_lo
	s_delay_alu instid0(VALU_DEP_2)
	v_cmpx_ne_u32_e32 0x80, v7
	s_cbranch_execz .LBB268_593
; %bb.588:                              ;   in Loop: Header=BB268_13 Depth=1
	v_and_b32_e32 v76, 0x7f, v7
	v_mov_b32_e32 v74, 0x7c010000
	s_mov_b32 s21, exec_lo
	s_delay_alu instid0(VALU_DEP_2)
	v_cmpx_ne_u32_e32 0x7f, v76
	s_cbranch_execz .LBB268_592
; %bb.589:                              ;   in Loop: Header=BB268_13 Depth=1
	v_and_b32_e32 v9, 7, v7
	v_lshrrev_b32_e32 v74, 3, v76
	s_mov_b32 s22, exec_lo
	v_cmpx_gt_u32_e32 8, v76
; %bb.590:                              ;   in Loop: Header=BB268_13 Depth=1
	s_delay_alu instid0(VALU_DEP_3) | instskip(NEXT) | instid1(VALU_DEP_1)
	v_clz_i32_u32_e32 v9, v9
	v_min_u32_e32 v9, 32, v9
	s_delay_alu instid0(VALU_DEP_1) | instskip(NEXT) | instid1(VALU_DEP_1)
	v_subrev_nc_u32_e32 v74, 28, v9
	v_lshlrev_b64_e32 v[76:77], v74, v[7:8]
	v_sub_nc_u32_e32 v74, 29, v9
	s_delay_alu instid0(VALU_DEP_2)
	v_and_b32_e32 v9, 7, v76
; %bb.591:                              ;   in Loop: Header=BB268_13 Depth=1
	s_wait_alu 0xfffe
	s_or_b32 exec_lo, exec_lo, s22
	v_lshlrev_b32_e32 v7, 8, v7
	v_lshl_add_u32 v74, v74, 10, 0x2000
	v_lshlrev_b32_e32 v9, 23, v9
	s_delay_alu instid0(VALU_DEP_2) | instskip(NEXT) | instid1(VALU_DEP_1)
	v_and_or_b32 v7, 0x8000, v7, v74
	v_lshl_or_b32 v74, v7, 16, v9
.LBB268_592:                            ;   in Loop: Header=BB268_13 Depth=1
	s_wait_alu 0xfffe
	s_or_b32 exec_lo, exec_lo, s21
.LBB268_593:                            ;   in Loop: Header=BB268_13 Depth=1
	s_wait_alu 0xfffe
	s_or_b32 exec_lo, exec_lo, s20
.LBB268_594:                            ;   in Loop: Header=BB268_13 Depth=1
	s_wait_alu 0xfffe
	s_or_b32 exec_lo, exec_lo, s19
	flat_load_b32 v9, v[28:29] offset:2304
	v_mov_b32_e32 v77, 0
	s_mov_b32 s19, exec_lo
	s_wait_loadcnt_dscnt 0x0
	v_dual_mov_b32 v76, 0 :: v_dual_and_b32 v7, 0xff, v9
	s_delay_alu instid0(VALU_DEP_1)
	v_cmpx_ne_u16_e32 0, v7
	s_cbranch_execz .LBB268_602
; %bb.595:                              ;   in Loop: Header=BB268_13 Depth=1
	v_mov_b32_e32 v77, 0x8000
	s_mov_b32 s20, exec_lo
	v_cmpx_ne_u16_e32 0x80, v7
	s_cbranch_execz .LBB268_601
; %bb.596:                              ;   in Loop: Header=BB268_13 Depth=1
	v_and_b32_e32 v78, 0x7f, v9
	v_mov_b32_e32 v77, 0x7c01
	s_mov_b32 s21, exec_lo
	s_delay_alu instid0(VALU_DEP_2)
	v_cmpx_ne_u32_e32 0x7f, v78
	s_cbranch_execz .LBB268_600
; %bb.597:                              ;   in Loop: Header=BB268_13 Depth=1
	v_and_b32_e32 v7, 7, v9
	v_lshrrev_b32_e32 v77, 3, v78
	s_mov_b32 s22, exec_lo
	v_cmpx_gt_u32_e32 8, v78
; %bb.598:                              ;   in Loop: Header=BB268_13 Depth=1
	s_delay_alu instid0(VALU_DEP_3) | instskip(NEXT) | instid1(VALU_DEP_1)
	v_clz_i32_u32_e32 v7, v7
	v_min_u32_e32 v7, 32, v7
	s_delay_alu instid0(VALU_DEP_1) | instskip(NEXT) | instid1(VALU_DEP_1)
	v_subrev_nc_u32_e32 v77, 28, v7
	v_lshlrev_b64_e32 v[78:79], v77, v[9:10]
	v_sub_nc_u32_e32 v77, 29, v7
	s_delay_alu instid0(VALU_DEP_2)
	v_and_b32_e32 v7, 7, v78
; %bb.599:                              ;   in Loop: Header=BB268_13 Depth=1
	s_wait_alu 0xfffe
	s_or_b32 exec_lo, exec_lo, s22
	v_lshlrev_b32_e32 v78, 8, v9
	v_lshl_add_u32 v77, v77, 10, 0x2000
	v_lshlrev_b32_e32 v7, 7, v7
	s_delay_alu instid0(VALU_DEP_3) | instskip(NEXT) | instid1(VALU_DEP_3)
	v_and_b32_e32 v78, 0x8000, v78
	v_and_b32_e32 v77, 0xfc00, v77
	s_delay_alu instid0(VALU_DEP_1)
	v_or3_b32 v77, v78, v77, v7
.LBB268_600:                            ;   in Loop: Header=BB268_13 Depth=1
	s_wait_alu 0xfffe
	s_or_b32 exec_lo, exec_lo, s21
.LBB268_601:                            ;   in Loop: Header=BB268_13 Depth=1
	s_wait_alu 0xfffe
	s_or_b32 exec_lo, exec_lo, s20
.LBB268_602:                            ;   in Loop: Header=BB268_13 Depth=1
	s_wait_alu 0xfffe
	s_or_b32 exec_lo, exec_lo, s19
	v_lshrrev_b16 v7, 8, v9
	s_mov_b32 s19, exec_lo
	s_delay_alu instid0(VALU_DEP_1)
	v_cmpx_ne_u16_e32 0, v7
	s_cbranch_execz .LBB268_610
; %bb.603:                              ;   in Loop: Header=BB268_13 Depth=1
	v_bfrev_b32_e32 v76, 1
	s_mov_b32 s20, exec_lo
	v_cmpx_ne_u16_e32 0x80, v7
	s_cbranch_execz .LBB268_609
; %bb.604:                              ;   in Loop: Header=BB268_13 Depth=1
	v_and_b32_e32 v78, 0xffff, v7
	v_mov_b32_e32 v76, 0x7c010000
	s_mov_b32 s21, exec_lo
	s_delay_alu instid0(VALU_DEP_2) | instskip(NEXT) | instid1(VALU_DEP_1)
	v_and_b32_e32 v88, 0x7f, v78
	v_cmpx_ne_u32_e32 0x7f, v88
	s_cbranch_execz .LBB268_608
; %bb.605:                              ;   in Loop: Header=BB268_13 Depth=1
	v_and_b32_e32 v76, 7, v78
	v_lshrrev_b32_e32 v79, 3, v88
	s_mov_b32 s22, exec_lo
	v_cmpx_gt_u32_e32 8, v88
; %bb.606:                              ;   in Loop: Header=BB268_13 Depth=1
	s_delay_alu instid0(VALU_DEP_3) | instskip(NEXT) | instid1(VALU_DEP_1)
	v_clz_i32_u32_e32 v76, v76
	v_min_u32_e32 v76, 32, v76
	s_delay_alu instid0(VALU_DEP_1) | instskip(NEXT) | instid1(VALU_DEP_1)
	v_subrev_nc_u32_e32 v79, 28, v76
	v_lshlrev_b64_e32 v[88:89], v79, v[7:8]
	v_sub_nc_u32_e32 v79, 29, v76
	s_delay_alu instid0(VALU_DEP_2)
	v_and_b32_e32 v76, 7, v88
; %bb.607:                              ;   in Loop: Header=BB268_13 Depth=1
	s_wait_alu 0xfffe
	s_or_b32 exec_lo, exec_lo, s22
	v_lshlrev_b32_e32 v7, 8, v78
	v_lshl_add_u32 v78, v79, 10, 0x2000
	v_lshlrev_b32_e32 v76, 23, v76
	s_delay_alu instid0(VALU_DEP_2) | instskip(NEXT) | instid1(VALU_DEP_1)
	v_and_or_b32 v7, 0x8000, v7, v78
	v_lshl_or_b32 v76, v7, 16, v76
.LBB268_608:                            ;   in Loop: Header=BB268_13 Depth=1
	s_wait_alu 0xfffe
	s_or_b32 exec_lo, exec_lo, s21
.LBB268_609:                            ;   in Loop: Header=BB268_13 Depth=1
	s_wait_alu 0xfffe
	s_or_b32 exec_lo, exec_lo, s20
.LBB268_610:                            ;   in Loop: Header=BB268_13 Depth=1
	s_wait_alu 0xfffe
	s_or_b32 exec_lo, exec_lo, s19
	v_lshrrev_b32_e32 v7, 16, v9
	v_mov_b32_e32 v78, 0
	s_mov_b32 s19, exec_lo
	s_delay_alu instid0(VALU_DEP_2) | instskip(NEXT) | instid1(VALU_DEP_1)
	v_dual_mov_b32 v79, 0 :: v_dual_and_b32 v88, 0xff, v7
	v_cmpx_ne_u16_e32 0, v88
	s_cbranch_execz .LBB268_618
; %bb.611:                              ;   in Loop: Header=BB268_13 Depth=1
	v_mov_b32_e32 v79, 0x8000
	s_mov_b32 s20, exec_lo
	v_cmpx_ne_u16_e32 0x80, v88
	s_cbranch_execz .LBB268_617
; %bb.612:                              ;   in Loop: Header=BB268_13 Depth=1
	v_bfe_u32 v89, v9, 16, 7
	v_mov_b32_e32 v79, 0x7c01
	s_mov_b32 s21, exec_lo
	s_delay_alu instid0(VALU_DEP_2)
	v_cmpx_ne_u32_e32 0x7f, v89
	s_cbranch_execz .LBB268_616
; %bb.613:                              ;   in Loop: Header=BB268_13 Depth=1
	v_and_b32_e32 v79, 7, v7
	v_lshrrev_b32_e32 v88, 3, v89
	s_mov_b32 s22, exec_lo
	v_cmpx_gt_u32_e32 8, v89
; %bb.614:                              ;   in Loop: Header=BB268_13 Depth=1
	s_delay_alu instid0(VALU_DEP_3) | instskip(NEXT) | instid1(VALU_DEP_1)
	v_clz_i32_u32_e32 v79, v79
	v_min_u32_e32 v79, 32, v79
	s_delay_alu instid0(VALU_DEP_1) | instskip(NEXT) | instid1(VALU_DEP_1)
	v_subrev_nc_u32_e32 v88, 28, v79
	v_lshlrev_b64_e32 v[89:90], v88, v[7:8]
	v_sub_nc_u32_e32 v88, 29, v79
	s_delay_alu instid0(VALU_DEP_2)
	v_and_b32_e32 v79, 7, v89
; %bb.615:                              ;   in Loop: Header=BB268_13 Depth=1
	s_wait_alu 0xfffe
	s_or_b32 exec_lo, exec_lo, s22
	v_lshlrev_b32_e32 v7, 8, v7
	v_lshl_add_u32 v88, v88, 10, 0x2000
	v_lshlrev_b32_e32 v79, 7, v79
	s_delay_alu instid0(VALU_DEP_3) | instskip(NEXT) | instid1(VALU_DEP_3)
	v_and_b32_e32 v7, 0x8000, v7
	v_and_b32_e32 v88, 0xfc00, v88
	s_delay_alu instid0(VALU_DEP_1)
	v_or3_b32 v79, v7, v88, v79
.LBB268_616:                            ;   in Loop: Header=BB268_13 Depth=1
	s_wait_alu 0xfffe
	s_or_b32 exec_lo, exec_lo, s21
.LBB268_617:                            ;   in Loop: Header=BB268_13 Depth=1
	s_wait_alu 0xfffe
	s_or_b32 exec_lo, exec_lo, s20
.LBB268_618:                            ;   in Loop: Header=BB268_13 Depth=1
	s_wait_alu 0xfffe
	s_or_b32 exec_lo, exec_lo, s19
	s_delay_alu instid0(SALU_CYCLE_1)
	s_mov_b32 s19, exec_lo
	v_cmpx_lt_u32_e32 0xffffff, v9
	s_cbranch_execz .LBB268_626
; %bb.619:                              ;   in Loop: Header=BB268_13 Depth=1
	v_lshrrev_b32_e32 v7, 24, v9
	v_bfrev_b32_e32 v78, 1
	s_mov_b32 s20, exec_lo
	s_delay_alu instid0(VALU_DEP_2)
	v_cmpx_ne_u32_e32 0x80, v7
	s_cbranch_execz .LBB268_625
; %bb.620:                              ;   in Loop: Header=BB268_13 Depth=1
	v_and_b32_e32 v88, 0x7f, v7
	v_mov_b32_e32 v78, 0x7c010000
	s_mov_b32 s21, exec_lo
	s_delay_alu instid0(VALU_DEP_2)
	v_cmpx_ne_u32_e32 0x7f, v88
	s_cbranch_execz .LBB268_624
; %bb.621:                              ;   in Loop: Header=BB268_13 Depth=1
	v_and_b32_e32 v9, 7, v7
	v_lshrrev_b32_e32 v78, 3, v88
	s_mov_b32 s22, exec_lo
	v_cmpx_gt_u32_e32 8, v88
; %bb.622:                              ;   in Loop: Header=BB268_13 Depth=1
	s_delay_alu instid0(VALU_DEP_3) | instskip(NEXT) | instid1(VALU_DEP_1)
	v_clz_i32_u32_e32 v9, v9
	v_min_u32_e32 v9, 32, v9
	s_delay_alu instid0(VALU_DEP_1) | instskip(NEXT) | instid1(VALU_DEP_1)
	v_subrev_nc_u32_e32 v78, 28, v9
	v_lshlrev_b64_e32 v[88:89], v78, v[7:8]
	v_sub_nc_u32_e32 v78, 29, v9
	s_delay_alu instid0(VALU_DEP_2)
	v_and_b32_e32 v9, 7, v88
; %bb.623:                              ;   in Loop: Header=BB268_13 Depth=1
	s_wait_alu 0xfffe
	s_or_b32 exec_lo, exec_lo, s22
	v_lshlrev_b32_e32 v7, 8, v7
	v_lshl_add_u32 v78, v78, 10, 0x2000
	v_lshlrev_b32_e32 v9, 23, v9
	s_delay_alu instid0(VALU_DEP_2) | instskip(NEXT) | instid1(VALU_DEP_1)
	v_and_or_b32 v7, 0x8000, v7, v78
	v_lshl_or_b32 v78, v7, 16, v9
.LBB268_624:                            ;   in Loop: Header=BB268_13 Depth=1
	s_wait_alu 0xfffe
	s_or_b32 exec_lo, exec_lo, s21
.LBB268_625:                            ;   in Loop: Header=BB268_13 Depth=1
	s_wait_alu 0xfffe
	s_or_b32 exec_lo, exec_lo, s20
.LBB268_626:                            ;   in Loop: Header=BB268_13 Depth=1
	s_wait_alu 0xfffe
	s_or_b32 exec_lo, exec_lo, s19
	flat_load_b32 v9, v[28:29] offset:2312
	v_mov_b32_e32 v89, 0
	s_mov_b32 s19, exec_lo
	s_wait_loadcnt_dscnt 0x0
	v_dual_mov_b32 v88, 0 :: v_dual_and_b32 v7, 0xff, v9
	s_delay_alu instid0(VALU_DEP_1)
	v_cmpx_ne_u16_e32 0, v7
	s_cbranch_execz .LBB268_634
; %bb.627:                              ;   in Loop: Header=BB268_13 Depth=1
	v_mov_b32_e32 v89, 0x8000
	s_mov_b32 s20, exec_lo
	v_cmpx_ne_u16_e32 0x80, v7
	s_cbranch_execz .LBB268_633
; %bb.628:                              ;   in Loop: Header=BB268_13 Depth=1
	v_and_b32_e32 v90, 0x7f, v9
	v_mov_b32_e32 v89, 0x7c01
	s_mov_b32 s21, exec_lo
	s_delay_alu instid0(VALU_DEP_2)
	v_cmpx_ne_u32_e32 0x7f, v90
	s_cbranch_execz .LBB268_632
; %bb.629:                              ;   in Loop: Header=BB268_13 Depth=1
	v_and_b32_e32 v7, 7, v9
	v_lshrrev_b32_e32 v89, 3, v90
	s_mov_b32 s22, exec_lo
	v_cmpx_gt_u32_e32 8, v90
; %bb.630:                              ;   in Loop: Header=BB268_13 Depth=1
	s_delay_alu instid0(VALU_DEP_3) | instskip(NEXT) | instid1(VALU_DEP_1)
	v_clz_i32_u32_e32 v7, v7
	v_min_u32_e32 v7, 32, v7
	s_delay_alu instid0(VALU_DEP_1) | instskip(NEXT) | instid1(VALU_DEP_1)
	v_subrev_nc_u32_e32 v89, 28, v7
	v_lshlrev_b64_e32 v[90:91], v89, v[9:10]
	v_sub_nc_u32_e32 v89, 29, v7
	s_delay_alu instid0(VALU_DEP_2)
	v_and_b32_e32 v7, 7, v90
; %bb.631:                              ;   in Loop: Header=BB268_13 Depth=1
	s_wait_alu 0xfffe
	s_or_b32 exec_lo, exec_lo, s22
	v_lshlrev_b32_e32 v90, 8, v9
	v_lshl_add_u32 v89, v89, 10, 0x2000
	v_lshlrev_b32_e32 v7, 7, v7
	s_delay_alu instid0(VALU_DEP_3) | instskip(NEXT) | instid1(VALU_DEP_3)
	v_and_b32_e32 v90, 0x8000, v90
	v_and_b32_e32 v89, 0xfc00, v89
	s_delay_alu instid0(VALU_DEP_1)
	v_or3_b32 v89, v90, v89, v7
.LBB268_632:                            ;   in Loop: Header=BB268_13 Depth=1
	s_wait_alu 0xfffe
	s_or_b32 exec_lo, exec_lo, s21
.LBB268_633:                            ;   in Loop: Header=BB268_13 Depth=1
	s_wait_alu 0xfffe
	s_or_b32 exec_lo, exec_lo, s20
.LBB268_634:                            ;   in Loop: Header=BB268_13 Depth=1
	s_wait_alu 0xfffe
	s_or_b32 exec_lo, exec_lo, s19
	v_lshrrev_b16 v7, 8, v9
	s_mov_b32 s19, exec_lo
	s_delay_alu instid0(VALU_DEP_1)
	v_cmpx_ne_u16_e32 0, v7
	s_cbranch_execz .LBB268_642
; %bb.635:                              ;   in Loop: Header=BB268_13 Depth=1
	v_bfrev_b32_e32 v88, 1
	s_mov_b32 s20, exec_lo
	v_cmpx_ne_u16_e32 0x80, v7
	s_cbranch_execz .LBB268_641
; %bb.636:                              ;   in Loop: Header=BB268_13 Depth=1
	v_and_b32_e32 v90, 0xffff, v7
	v_mov_b32_e32 v88, 0x7c010000
	s_mov_b32 s21, exec_lo
	s_delay_alu instid0(VALU_DEP_2) | instskip(NEXT) | instid1(VALU_DEP_1)
	v_and_b32_e32 v92, 0x7f, v90
	v_cmpx_ne_u32_e32 0x7f, v92
	s_cbranch_execz .LBB268_640
; %bb.637:                              ;   in Loop: Header=BB268_13 Depth=1
	v_and_b32_e32 v88, 7, v90
	v_lshrrev_b32_e32 v91, 3, v92
	s_mov_b32 s22, exec_lo
	v_cmpx_gt_u32_e32 8, v92
; %bb.638:                              ;   in Loop: Header=BB268_13 Depth=1
	s_delay_alu instid0(VALU_DEP_3) | instskip(NEXT) | instid1(VALU_DEP_1)
	v_clz_i32_u32_e32 v88, v88
	v_min_u32_e32 v88, 32, v88
	s_delay_alu instid0(VALU_DEP_1) | instskip(NEXT) | instid1(VALU_DEP_1)
	v_subrev_nc_u32_e32 v91, 28, v88
	v_lshlrev_b64_e32 v[92:93], v91, v[7:8]
	v_sub_nc_u32_e32 v91, 29, v88
	s_delay_alu instid0(VALU_DEP_2)
	v_and_b32_e32 v88, 7, v92
; %bb.639:                              ;   in Loop: Header=BB268_13 Depth=1
	s_wait_alu 0xfffe
	s_or_b32 exec_lo, exec_lo, s22
	v_lshlrev_b32_e32 v7, 8, v90
	v_lshl_add_u32 v90, v91, 10, 0x2000
	v_lshlrev_b32_e32 v88, 23, v88
	s_delay_alu instid0(VALU_DEP_2) | instskip(NEXT) | instid1(VALU_DEP_1)
	v_and_or_b32 v7, 0x8000, v7, v90
	v_lshl_or_b32 v88, v7, 16, v88
.LBB268_640:                            ;   in Loop: Header=BB268_13 Depth=1
	s_wait_alu 0xfffe
	s_or_b32 exec_lo, exec_lo, s21
.LBB268_641:                            ;   in Loop: Header=BB268_13 Depth=1
	s_wait_alu 0xfffe
	s_or_b32 exec_lo, exec_lo, s20
.LBB268_642:                            ;   in Loop: Header=BB268_13 Depth=1
	s_wait_alu 0xfffe
	s_or_b32 exec_lo, exec_lo, s19
	v_lshrrev_b32_e32 v7, 16, v9
	v_mov_b32_e32 v90, 0
	s_mov_b32 s19, exec_lo
	s_delay_alu instid0(VALU_DEP_2) | instskip(NEXT) | instid1(VALU_DEP_1)
	v_dual_mov_b32 v91, 0 :: v_dual_and_b32 v92, 0xff, v7
	v_cmpx_ne_u16_e32 0, v92
	s_cbranch_execz .LBB268_650
; %bb.643:                              ;   in Loop: Header=BB268_13 Depth=1
	v_mov_b32_e32 v91, 0x8000
	s_mov_b32 s20, exec_lo
	v_cmpx_ne_u16_e32 0x80, v92
	s_cbranch_execz .LBB268_649
; %bb.644:                              ;   in Loop: Header=BB268_13 Depth=1
	v_bfe_u32 v93, v9, 16, 7
	v_mov_b32_e32 v91, 0x7c01
	s_mov_b32 s21, exec_lo
	s_delay_alu instid0(VALU_DEP_2)
	v_cmpx_ne_u32_e32 0x7f, v93
	s_cbranch_execz .LBB268_648
; %bb.645:                              ;   in Loop: Header=BB268_13 Depth=1
	v_and_b32_e32 v91, 7, v7
	v_lshrrev_b32_e32 v92, 3, v93
	s_mov_b32 s22, exec_lo
	v_cmpx_gt_u32_e32 8, v93
; %bb.646:                              ;   in Loop: Header=BB268_13 Depth=1
	s_delay_alu instid0(VALU_DEP_3) | instskip(NEXT) | instid1(VALU_DEP_1)
	v_clz_i32_u32_e32 v91, v91
	v_min_u32_e32 v93, 32, v91
	s_delay_alu instid0(VALU_DEP_1) | instskip(NEXT) | instid1(VALU_DEP_1)
	v_subrev_nc_u32_e32 v91, 28, v93
	v_lshlrev_b64_e32 v[91:92], v91, v[7:8]
	v_sub_nc_u32_e32 v92, 29, v93
	s_delay_alu instid0(VALU_DEP_2)
	v_and_b32_e32 v91, 7, v91
; %bb.647:                              ;   in Loop: Header=BB268_13 Depth=1
	s_wait_alu 0xfffe
	s_or_b32 exec_lo, exec_lo, s22
	v_lshlrev_b32_e32 v7, 8, v7
	v_lshl_add_u32 v92, v92, 10, 0x2000
	v_lshlrev_b32_e32 v91, 7, v91
	s_delay_alu instid0(VALU_DEP_3) | instskip(NEXT) | instid1(VALU_DEP_3)
	v_and_b32_e32 v7, 0x8000, v7
	v_and_b32_e32 v92, 0xfc00, v92
	s_delay_alu instid0(VALU_DEP_1)
	v_or3_b32 v91, v7, v92, v91
.LBB268_648:                            ;   in Loop: Header=BB268_13 Depth=1
	s_wait_alu 0xfffe
	s_or_b32 exec_lo, exec_lo, s21
.LBB268_649:                            ;   in Loop: Header=BB268_13 Depth=1
	s_wait_alu 0xfffe
	s_or_b32 exec_lo, exec_lo, s20
.LBB268_650:                            ;   in Loop: Header=BB268_13 Depth=1
	s_wait_alu 0xfffe
	s_or_b32 exec_lo, exec_lo, s19
	s_delay_alu instid0(SALU_CYCLE_1)
	s_mov_b32 s19, exec_lo
	v_cmpx_lt_u32_e32 0xffffff, v9
	s_cbranch_execz .LBB268_658
; %bb.651:                              ;   in Loop: Header=BB268_13 Depth=1
	v_lshrrev_b32_e32 v7, 24, v9
	v_bfrev_b32_e32 v90, 1
	s_mov_b32 s20, exec_lo
	s_delay_alu instid0(VALU_DEP_2)
	v_cmpx_ne_u32_e32 0x80, v7
	s_cbranch_execz .LBB268_657
; %bb.652:                              ;   in Loop: Header=BB268_13 Depth=1
	v_and_b32_e32 v92, 0x7f, v7
	v_mov_b32_e32 v90, 0x7c010000
	s_mov_b32 s21, exec_lo
	s_delay_alu instid0(VALU_DEP_2)
	v_cmpx_ne_u32_e32 0x7f, v92
	s_cbranch_execz .LBB268_656
; %bb.653:                              ;   in Loop: Header=BB268_13 Depth=1
	v_and_b32_e32 v9, 7, v7
	v_lshrrev_b32_e32 v90, 3, v92
	s_mov_b32 s22, exec_lo
	v_cmpx_gt_u32_e32 8, v92
; %bb.654:                              ;   in Loop: Header=BB268_13 Depth=1
	s_delay_alu instid0(VALU_DEP_3) | instskip(NEXT) | instid1(VALU_DEP_1)
	v_clz_i32_u32_e32 v9, v9
	v_min_u32_e32 v9, 32, v9
	s_delay_alu instid0(VALU_DEP_1) | instskip(NEXT) | instid1(VALU_DEP_1)
	v_subrev_nc_u32_e32 v90, 28, v9
	v_lshlrev_b64_e32 v[92:93], v90, v[7:8]
	v_sub_nc_u32_e32 v90, 29, v9
	s_delay_alu instid0(VALU_DEP_2)
	v_and_b32_e32 v9, 7, v92
; %bb.655:                              ;   in Loop: Header=BB268_13 Depth=1
	s_wait_alu 0xfffe
	s_or_b32 exec_lo, exec_lo, s22
	v_lshlrev_b32_e32 v7, 8, v7
	v_lshl_add_u32 v90, v90, 10, 0x2000
	v_lshlrev_b32_e32 v9, 23, v9
	s_delay_alu instid0(VALU_DEP_2) | instskip(NEXT) | instid1(VALU_DEP_1)
	v_and_or_b32 v7, 0x8000, v7, v90
	v_lshl_or_b32 v90, v7, 16, v9
.LBB268_656:                            ;   in Loop: Header=BB268_13 Depth=1
	s_wait_alu 0xfffe
	s_or_b32 exec_lo, exec_lo, s21
.LBB268_657:                            ;   in Loop: Header=BB268_13 Depth=1
	s_wait_alu 0xfffe
	s_or_b32 exec_lo, exec_lo, s20
.LBB268_658:                            ;   in Loop: Header=BB268_13 Depth=1
	s_wait_alu 0xfffe
	s_or_b32 exec_lo, exec_lo, s19
	flat_load_b32 v9, v[28:29] offset:2560
	v_mov_b32_e32 v93, 0
	s_mov_b32 s19, exec_lo
	s_wait_loadcnt_dscnt 0x0
	v_dual_mov_b32 v92, 0 :: v_dual_and_b32 v7, 0xff, v9
	s_delay_alu instid0(VALU_DEP_1)
	v_cmpx_ne_u16_e32 0, v7
	s_cbranch_execz .LBB268_666
; %bb.659:                              ;   in Loop: Header=BB268_13 Depth=1
	v_mov_b32_e32 v93, 0x8000
	s_mov_b32 s20, exec_lo
	v_cmpx_ne_u16_e32 0x80, v7
	s_cbranch_execz .LBB268_665
; %bb.660:                              ;   in Loop: Header=BB268_13 Depth=1
	v_and_b32_e32 v94, 0x7f, v9
	v_mov_b32_e32 v93, 0x7c01
	s_mov_b32 s21, exec_lo
	s_delay_alu instid0(VALU_DEP_2)
	v_cmpx_ne_u32_e32 0x7f, v94
	s_cbranch_execz .LBB268_664
; %bb.661:                              ;   in Loop: Header=BB268_13 Depth=1
	v_and_b32_e32 v7, 7, v9
	v_lshrrev_b32_e32 v93, 3, v94
	s_mov_b32 s22, exec_lo
	v_cmpx_gt_u32_e32 8, v94
; %bb.662:                              ;   in Loop: Header=BB268_13 Depth=1
	s_delay_alu instid0(VALU_DEP_3) | instskip(NEXT) | instid1(VALU_DEP_1)
	v_clz_i32_u32_e32 v7, v7
	v_min_u32_e32 v7, 32, v7
	s_delay_alu instid0(VALU_DEP_1) | instskip(NEXT) | instid1(VALU_DEP_1)
	v_subrev_nc_u32_e32 v93, 28, v7
	v_lshlrev_b64_e32 v[94:95], v93, v[9:10]
	v_sub_nc_u32_e32 v93, 29, v7
	s_delay_alu instid0(VALU_DEP_2)
	v_and_b32_e32 v7, 7, v94
; %bb.663:                              ;   in Loop: Header=BB268_13 Depth=1
	s_wait_alu 0xfffe
	s_or_b32 exec_lo, exec_lo, s22
	v_lshlrev_b32_e32 v94, 8, v9
	v_lshl_add_u32 v93, v93, 10, 0x2000
	v_lshlrev_b32_e32 v7, 7, v7
	s_delay_alu instid0(VALU_DEP_3) | instskip(NEXT) | instid1(VALU_DEP_3)
	v_and_b32_e32 v94, 0x8000, v94
	v_and_b32_e32 v93, 0xfc00, v93
	s_delay_alu instid0(VALU_DEP_1)
	v_or3_b32 v93, v94, v93, v7
.LBB268_664:                            ;   in Loop: Header=BB268_13 Depth=1
	s_wait_alu 0xfffe
	s_or_b32 exec_lo, exec_lo, s21
.LBB268_665:                            ;   in Loop: Header=BB268_13 Depth=1
	s_wait_alu 0xfffe
	s_or_b32 exec_lo, exec_lo, s20
.LBB268_666:                            ;   in Loop: Header=BB268_13 Depth=1
	s_wait_alu 0xfffe
	s_or_b32 exec_lo, exec_lo, s19
	v_lshrrev_b16 v7, 8, v9
	s_mov_b32 s19, exec_lo
	s_delay_alu instid0(VALU_DEP_1)
	v_cmpx_ne_u16_e32 0, v7
	s_cbranch_execz .LBB268_674
; %bb.667:                              ;   in Loop: Header=BB268_13 Depth=1
	v_bfrev_b32_e32 v92, 1
	s_mov_b32 s20, exec_lo
	v_cmpx_ne_u16_e32 0x80, v7
	s_cbranch_execz .LBB268_673
; %bb.668:                              ;   in Loop: Header=BB268_13 Depth=1
	v_and_b32_e32 v94, 0xffff, v7
	v_mov_b32_e32 v92, 0x7c010000
	s_mov_b32 s21, exec_lo
	s_delay_alu instid0(VALU_DEP_2) | instskip(NEXT) | instid1(VALU_DEP_1)
	v_and_b32_e32 v104, 0x7f, v94
	v_cmpx_ne_u32_e32 0x7f, v104
	s_cbranch_execz .LBB268_672
; %bb.669:                              ;   in Loop: Header=BB268_13 Depth=1
	v_and_b32_e32 v92, 7, v94
	v_lshrrev_b32_e32 v95, 3, v104
	s_mov_b32 s22, exec_lo
	v_cmpx_gt_u32_e32 8, v104
; %bb.670:                              ;   in Loop: Header=BB268_13 Depth=1
	s_delay_alu instid0(VALU_DEP_3) | instskip(NEXT) | instid1(VALU_DEP_1)
	v_clz_i32_u32_e32 v92, v92
	v_min_u32_e32 v92, 32, v92
	s_delay_alu instid0(VALU_DEP_1) | instskip(NEXT) | instid1(VALU_DEP_1)
	v_subrev_nc_u32_e32 v95, 28, v92
	v_lshlrev_b64_e32 v[104:105], v95, v[7:8]
	v_sub_nc_u32_e32 v95, 29, v92
	s_delay_alu instid0(VALU_DEP_2)
	v_and_b32_e32 v92, 7, v104
; %bb.671:                              ;   in Loop: Header=BB268_13 Depth=1
	s_wait_alu 0xfffe
	s_or_b32 exec_lo, exec_lo, s22
	v_lshlrev_b32_e32 v7, 8, v94
	v_lshl_add_u32 v94, v95, 10, 0x2000
	v_lshlrev_b32_e32 v92, 23, v92
	s_delay_alu instid0(VALU_DEP_2) | instskip(NEXT) | instid1(VALU_DEP_1)
	v_and_or_b32 v7, 0x8000, v7, v94
	v_lshl_or_b32 v92, v7, 16, v92
.LBB268_672:                            ;   in Loop: Header=BB268_13 Depth=1
	s_wait_alu 0xfffe
	s_or_b32 exec_lo, exec_lo, s21
.LBB268_673:                            ;   in Loop: Header=BB268_13 Depth=1
	s_wait_alu 0xfffe
	s_or_b32 exec_lo, exec_lo, s20
.LBB268_674:                            ;   in Loop: Header=BB268_13 Depth=1
	s_wait_alu 0xfffe
	s_or_b32 exec_lo, exec_lo, s19
	v_lshrrev_b32_e32 v7, 16, v9
	v_mov_b32_e32 v94, 0
	s_mov_b32 s19, exec_lo
	s_delay_alu instid0(VALU_DEP_2) | instskip(NEXT) | instid1(VALU_DEP_1)
	v_dual_mov_b32 v95, 0 :: v_dual_and_b32 v104, 0xff, v7
	v_cmpx_ne_u16_e32 0, v104
	s_cbranch_execz .LBB268_682
; %bb.675:                              ;   in Loop: Header=BB268_13 Depth=1
	v_mov_b32_e32 v95, 0x8000
	s_mov_b32 s20, exec_lo
	v_cmpx_ne_u16_e32 0x80, v104
	s_cbranch_execz .LBB268_681
; %bb.676:                              ;   in Loop: Header=BB268_13 Depth=1
	v_bfe_u32 v105, v9, 16, 7
	v_mov_b32_e32 v95, 0x7c01
	s_mov_b32 s21, exec_lo
	s_delay_alu instid0(VALU_DEP_2)
	v_cmpx_ne_u32_e32 0x7f, v105
	s_cbranch_execz .LBB268_680
; %bb.677:                              ;   in Loop: Header=BB268_13 Depth=1
	v_and_b32_e32 v95, 7, v7
	v_lshrrev_b32_e32 v104, 3, v105
	s_mov_b32 s22, exec_lo
	v_cmpx_gt_u32_e32 8, v105
; %bb.678:                              ;   in Loop: Header=BB268_13 Depth=1
	s_delay_alu instid0(VALU_DEP_3) | instskip(NEXT) | instid1(VALU_DEP_1)
	v_clz_i32_u32_e32 v95, v95
	v_min_u32_e32 v95, 32, v95
	s_delay_alu instid0(VALU_DEP_1) | instskip(NEXT) | instid1(VALU_DEP_1)
	v_subrev_nc_u32_e32 v104, 28, v95
	v_lshlrev_b64_e32 v[105:106], v104, v[7:8]
	v_sub_nc_u32_e32 v104, 29, v95
	s_delay_alu instid0(VALU_DEP_2)
	v_and_b32_e32 v95, 7, v105
; %bb.679:                              ;   in Loop: Header=BB268_13 Depth=1
	s_wait_alu 0xfffe
	s_or_b32 exec_lo, exec_lo, s22
	v_lshlrev_b32_e32 v7, 8, v7
	v_lshl_add_u32 v104, v104, 10, 0x2000
	v_lshlrev_b32_e32 v95, 7, v95
	s_delay_alu instid0(VALU_DEP_3) | instskip(NEXT) | instid1(VALU_DEP_3)
	v_and_b32_e32 v7, 0x8000, v7
	v_and_b32_e32 v104, 0xfc00, v104
	s_delay_alu instid0(VALU_DEP_1)
	v_or3_b32 v95, v7, v104, v95
.LBB268_680:                            ;   in Loop: Header=BB268_13 Depth=1
	s_wait_alu 0xfffe
	s_or_b32 exec_lo, exec_lo, s21
.LBB268_681:                            ;   in Loop: Header=BB268_13 Depth=1
	s_wait_alu 0xfffe
	s_or_b32 exec_lo, exec_lo, s20
.LBB268_682:                            ;   in Loop: Header=BB268_13 Depth=1
	s_wait_alu 0xfffe
	s_or_b32 exec_lo, exec_lo, s19
	s_delay_alu instid0(SALU_CYCLE_1)
	s_mov_b32 s19, exec_lo
	v_cmpx_lt_u32_e32 0xffffff, v9
	s_cbranch_execz .LBB268_690
; %bb.683:                              ;   in Loop: Header=BB268_13 Depth=1
	v_lshrrev_b32_e32 v7, 24, v9
	v_bfrev_b32_e32 v94, 1
	s_mov_b32 s20, exec_lo
	s_delay_alu instid0(VALU_DEP_2)
	v_cmpx_ne_u32_e32 0x80, v7
	s_cbranch_execz .LBB268_689
; %bb.684:                              ;   in Loop: Header=BB268_13 Depth=1
	v_and_b32_e32 v104, 0x7f, v7
	v_mov_b32_e32 v94, 0x7c010000
	s_mov_b32 s21, exec_lo
	s_delay_alu instid0(VALU_DEP_2)
	v_cmpx_ne_u32_e32 0x7f, v104
	s_cbranch_execz .LBB268_688
; %bb.685:                              ;   in Loop: Header=BB268_13 Depth=1
	v_and_b32_e32 v9, 7, v7
	v_lshrrev_b32_e32 v94, 3, v104
	s_mov_b32 s22, exec_lo
	v_cmpx_gt_u32_e32 8, v104
; %bb.686:                              ;   in Loop: Header=BB268_13 Depth=1
	s_delay_alu instid0(VALU_DEP_3) | instskip(NEXT) | instid1(VALU_DEP_1)
	v_clz_i32_u32_e32 v9, v9
	v_min_u32_e32 v9, 32, v9
	s_delay_alu instid0(VALU_DEP_1) | instskip(NEXT) | instid1(VALU_DEP_1)
	v_subrev_nc_u32_e32 v94, 28, v9
	v_lshlrev_b64_e32 v[104:105], v94, v[7:8]
	v_sub_nc_u32_e32 v94, 29, v9
	s_delay_alu instid0(VALU_DEP_2)
	v_and_b32_e32 v9, 7, v104
; %bb.687:                              ;   in Loop: Header=BB268_13 Depth=1
	s_wait_alu 0xfffe
	s_or_b32 exec_lo, exec_lo, s22
	v_lshlrev_b32_e32 v7, 8, v7
	v_lshl_add_u32 v94, v94, 10, 0x2000
	v_lshlrev_b32_e32 v9, 23, v9
	s_delay_alu instid0(VALU_DEP_2) | instskip(NEXT) | instid1(VALU_DEP_1)
	v_and_or_b32 v7, 0x8000, v7, v94
	v_lshl_or_b32 v94, v7, 16, v9
.LBB268_688:                            ;   in Loop: Header=BB268_13 Depth=1
	s_wait_alu 0xfffe
	s_or_b32 exec_lo, exec_lo, s21
.LBB268_689:                            ;   in Loop: Header=BB268_13 Depth=1
	s_wait_alu 0xfffe
	s_or_b32 exec_lo, exec_lo, s20
.LBB268_690:                            ;   in Loop: Header=BB268_13 Depth=1
	s_wait_alu 0xfffe
	s_or_b32 exec_lo, exec_lo, s19
	flat_load_b32 v9, v[28:29] offset:2568
	v_mov_b32_e32 v105, 0
	s_mov_b32 s19, exec_lo
	s_wait_loadcnt_dscnt 0x0
	v_dual_mov_b32 v104, 0 :: v_dual_and_b32 v7, 0xff, v9
	s_delay_alu instid0(VALU_DEP_1)
	v_cmpx_ne_u16_e32 0, v7
	s_cbranch_execz .LBB268_698
; %bb.691:                              ;   in Loop: Header=BB268_13 Depth=1
	v_mov_b32_e32 v105, 0x8000
	s_mov_b32 s20, exec_lo
	v_cmpx_ne_u16_e32 0x80, v7
	s_cbranch_execz .LBB268_697
; %bb.692:                              ;   in Loop: Header=BB268_13 Depth=1
	v_and_b32_e32 v106, 0x7f, v9
	v_mov_b32_e32 v105, 0x7c01
	s_mov_b32 s21, exec_lo
	s_delay_alu instid0(VALU_DEP_2)
	v_cmpx_ne_u32_e32 0x7f, v106
	s_cbranch_execz .LBB268_696
; %bb.693:                              ;   in Loop: Header=BB268_13 Depth=1
	v_and_b32_e32 v7, 7, v9
	v_lshrrev_b32_e32 v105, 3, v106
	s_mov_b32 s22, exec_lo
	v_cmpx_gt_u32_e32 8, v106
; %bb.694:                              ;   in Loop: Header=BB268_13 Depth=1
	s_delay_alu instid0(VALU_DEP_3) | instskip(NEXT) | instid1(VALU_DEP_1)
	v_clz_i32_u32_e32 v7, v7
	v_min_u32_e32 v7, 32, v7
	s_delay_alu instid0(VALU_DEP_1) | instskip(NEXT) | instid1(VALU_DEP_1)
	v_subrev_nc_u32_e32 v105, 28, v7
	v_lshlrev_b64_e32 v[106:107], v105, v[9:10]
	v_sub_nc_u32_e32 v105, 29, v7
	s_delay_alu instid0(VALU_DEP_2)
	v_and_b32_e32 v7, 7, v106
; %bb.695:                              ;   in Loop: Header=BB268_13 Depth=1
	s_wait_alu 0xfffe
	s_or_b32 exec_lo, exec_lo, s22
	v_lshlrev_b32_e32 v106, 8, v9
	v_lshl_add_u32 v105, v105, 10, 0x2000
	v_lshlrev_b32_e32 v7, 7, v7
	s_delay_alu instid0(VALU_DEP_3) | instskip(NEXT) | instid1(VALU_DEP_3)
	v_and_b32_e32 v106, 0x8000, v106
	v_and_b32_e32 v105, 0xfc00, v105
	s_delay_alu instid0(VALU_DEP_1)
	v_or3_b32 v105, v106, v105, v7
.LBB268_696:                            ;   in Loop: Header=BB268_13 Depth=1
	s_wait_alu 0xfffe
	s_or_b32 exec_lo, exec_lo, s21
.LBB268_697:                            ;   in Loop: Header=BB268_13 Depth=1
	s_wait_alu 0xfffe
	s_or_b32 exec_lo, exec_lo, s20
.LBB268_698:                            ;   in Loop: Header=BB268_13 Depth=1
	s_wait_alu 0xfffe
	s_or_b32 exec_lo, exec_lo, s19
	v_lshrrev_b16 v7, 8, v9
	s_mov_b32 s19, exec_lo
	s_delay_alu instid0(VALU_DEP_1)
	v_cmpx_ne_u16_e32 0, v7
	s_cbranch_execz .LBB268_706
; %bb.699:                              ;   in Loop: Header=BB268_13 Depth=1
	v_bfrev_b32_e32 v104, 1
	s_mov_b32 s20, exec_lo
	v_cmpx_ne_u16_e32 0x80, v7
	s_cbranch_execz .LBB268_705
; %bb.700:                              ;   in Loop: Header=BB268_13 Depth=1
	v_and_b32_e32 v106, 0xffff, v7
	v_mov_b32_e32 v104, 0x7c010000
	s_mov_b32 s21, exec_lo
	s_delay_alu instid0(VALU_DEP_2) | instskip(NEXT) | instid1(VALU_DEP_1)
	v_and_b32_e32 v108, 0x7f, v106
	v_cmpx_ne_u32_e32 0x7f, v108
	s_cbranch_execz .LBB268_704
; %bb.701:                              ;   in Loop: Header=BB268_13 Depth=1
	v_and_b32_e32 v104, 7, v106
	v_lshrrev_b32_e32 v107, 3, v108
	s_mov_b32 s22, exec_lo
	v_cmpx_gt_u32_e32 8, v108
; %bb.702:                              ;   in Loop: Header=BB268_13 Depth=1
	s_delay_alu instid0(VALU_DEP_3) | instskip(NEXT) | instid1(VALU_DEP_1)
	v_clz_i32_u32_e32 v104, v104
	v_min_u32_e32 v104, 32, v104
	s_delay_alu instid0(VALU_DEP_1) | instskip(NEXT) | instid1(VALU_DEP_1)
	v_subrev_nc_u32_e32 v107, 28, v104
	v_lshlrev_b64_e32 v[108:109], v107, v[7:8]
	v_sub_nc_u32_e32 v107, 29, v104
	s_delay_alu instid0(VALU_DEP_2)
	v_and_b32_e32 v104, 7, v108
; %bb.703:                              ;   in Loop: Header=BB268_13 Depth=1
	s_wait_alu 0xfffe
	s_or_b32 exec_lo, exec_lo, s22
	v_lshlrev_b32_e32 v7, 8, v106
	v_lshl_add_u32 v106, v107, 10, 0x2000
	v_lshlrev_b32_e32 v104, 23, v104
	s_delay_alu instid0(VALU_DEP_2) | instskip(NEXT) | instid1(VALU_DEP_1)
	v_and_or_b32 v7, 0x8000, v7, v106
	v_lshl_or_b32 v104, v7, 16, v104
.LBB268_704:                            ;   in Loop: Header=BB268_13 Depth=1
	s_wait_alu 0xfffe
	s_or_b32 exec_lo, exec_lo, s21
.LBB268_705:                            ;   in Loop: Header=BB268_13 Depth=1
	s_wait_alu 0xfffe
	s_or_b32 exec_lo, exec_lo, s20
.LBB268_706:                            ;   in Loop: Header=BB268_13 Depth=1
	s_wait_alu 0xfffe
	s_or_b32 exec_lo, exec_lo, s19
	v_lshrrev_b32_e32 v7, 16, v9
	v_mov_b32_e32 v106, 0
	s_mov_b32 s19, exec_lo
	s_delay_alu instid0(VALU_DEP_2) | instskip(NEXT) | instid1(VALU_DEP_1)
	v_dual_mov_b32 v107, 0 :: v_dual_and_b32 v108, 0xff, v7
	v_cmpx_ne_u16_e32 0, v108
	s_cbranch_execz .LBB268_714
; %bb.707:                              ;   in Loop: Header=BB268_13 Depth=1
	v_mov_b32_e32 v107, 0x8000
	s_mov_b32 s20, exec_lo
	v_cmpx_ne_u16_e32 0x80, v108
	s_cbranch_execz .LBB268_713
; %bb.708:                              ;   in Loop: Header=BB268_13 Depth=1
	v_bfe_u32 v109, v9, 16, 7
	v_mov_b32_e32 v107, 0x7c01
	s_mov_b32 s21, exec_lo
	s_delay_alu instid0(VALU_DEP_2)
	v_cmpx_ne_u32_e32 0x7f, v109
	s_cbranch_execz .LBB268_712
; %bb.709:                              ;   in Loop: Header=BB268_13 Depth=1
	v_and_b32_e32 v107, 7, v7
	v_lshrrev_b32_e32 v108, 3, v109
	s_mov_b32 s22, exec_lo
	v_cmpx_gt_u32_e32 8, v109
; %bb.710:                              ;   in Loop: Header=BB268_13 Depth=1
	s_delay_alu instid0(VALU_DEP_3) | instskip(NEXT) | instid1(VALU_DEP_1)
	v_clz_i32_u32_e32 v107, v107
	v_min_u32_e32 v109, 32, v107
	s_delay_alu instid0(VALU_DEP_1) | instskip(NEXT) | instid1(VALU_DEP_1)
	v_subrev_nc_u32_e32 v107, 28, v109
	v_lshlrev_b64_e32 v[107:108], v107, v[7:8]
	v_sub_nc_u32_e32 v108, 29, v109
	s_delay_alu instid0(VALU_DEP_2)
	v_and_b32_e32 v107, 7, v107
; %bb.711:                              ;   in Loop: Header=BB268_13 Depth=1
	s_wait_alu 0xfffe
	s_or_b32 exec_lo, exec_lo, s22
	v_lshlrev_b32_e32 v7, 8, v7
	v_lshl_add_u32 v108, v108, 10, 0x2000
	v_lshlrev_b32_e32 v107, 7, v107
	s_delay_alu instid0(VALU_DEP_3) | instskip(NEXT) | instid1(VALU_DEP_3)
	v_and_b32_e32 v7, 0x8000, v7
	v_and_b32_e32 v108, 0xfc00, v108
	s_delay_alu instid0(VALU_DEP_1)
	v_or3_b32 v107, v7, v108, v107
.LBB268_712:                            ;   in Loop: Header=BB268_13 Depth=1
	s_wait_alu 0xfffe
	s_or_b32 exec_lo, exec_lo, s21
.LBB268_713:                            ;   in Loop: Header=BB268_13 Depth=1
	s_wait_alu 0xfffe
	s_or_b32 exec_lo, exec_lo, s20
.LBB268_714:                            ;   in Loop: Header=BB268_13 Depth=1
	s_wait_alu 0xfffe
	s_or_b32 exec_lo, exec_lo, s19
	s_delay_alu instid0(SALU_CYCLE_1)
	s_mov_b32 s19, exec_lo
	v_cmpx_lt_u32_e32 0xffffff, v9
	s_cbranch_execz .LBB268_722
; %bb.715:                              ;   in Loop: Header=BB268_13 Depth=1
	v_lshrrev_b32_e32 v7, 24, v9
	v_bfrev_b32_e32 v106, 1
	s_mov_b32 s20, exec_lo
	s_delay_alu instid0(VALU_DEP_2)
	v_cmpx_ne_u32_e32 0x80, v7
	s_cbranch_execz .LBB268_721
; %bb.716:                              ;   in Loop: Header=BB268_13 Depth=1
	v_and_b32_e32 v108, 0x7f, v7
	v_mov_b32_e32 v106, 0x7c010000
	s_mov_b32 s21, exec_lo
	s_delay_alu instid0(VALU_DEP_2)
	v_cmpx_ne_u32_e32 0x7f, v108
	s_cbranch_execz .LBB268_720
; %bb.717:                              ;   in Loop: Header=BB268_13 Depth=1
	v_and_b32_e32 v9, 7, v7
	v_lshrrev_b32_e32 v106, 3, v108
	s_mov_b32 s22, exec_lo
	v_cmpx_gt_u32_e32 8, v108
; %bb.718:                              ;   in Loop: Header=BB268_13 Depth=1
	s_delay_alu instid0(VALU_DEP_3) | instskip(NEXT) | instid1(VALU_DEP_1)
	v_clz_i32_u32_e32 v9, v9
	v_min_u32_e32 v9, 32, v9
	s_delay_alu instid0(VALU_DEP_1) | instskip(NEXT) | instid1(VALU_DEP_1)
	v_subrev_nc_u32_e32 v106, 28, v9
	v_lshlrev_b64_e32 v[108:109], v106, v[7:8]
	v_sub_nc_u32_e32 v106, 29, v9
	s_delay_alu instid0(VALU_DEP_2)
	v_and_b32_e32 v9, 7, v108
; %bb.719:                              ;   in Loop: Header=BB268_13 Depth=1
	s_wait_alu 0xfffe
	s_or_b32 exec_lo, exec_lo, s22
	v_lshlrev_b32_e32 v7, 8, v7
	v_lshl_add_u32 v106, v106, 10, 0x2000
	v_lshlrev_b32_e32 v9, 23, v9
	s_delay_alu instid0(VALU_DEP_2) | instskip(NEXT) | instid1(VALU_DEP_1)
	v_and_or_b32 v7, 0x8000, v7, v106
	v_lshl_or_b32 v106, v7, 16, v9
.LBB268_720:                            ;   in Loop: Header=BB268_13 Depth=1
	s_wait_alu 0xfffe
	s_or_b32 exec_lo, exec_lo, s21
.LBB268_721:                            ;   in Loop: Header=BB268_13 Depth=1
	s_wait_alu 0xfffe
	s_or_b32 exec_lo, exec_lo, s20
.LBB268_722:                            ;   in Loop: Header=BB268_13 Depth=1
	s_wait_alu 0xfffe
	s_or_b32 exec_lo, exec_lo, s19
	flat_load_b32 v9, v[28:29] offset:2816
	v_mov_b32_e32 v109, 0
	s_mov_b32 s19, exec_lo
	s_wait_loadcnt_dscnt 0x0
	v_dual_mov_b32 v108, 0 :: v_dual_and_b32 v7, 0xff, v9
	s_delay_alu instid0(VALU_DEP_1)
	v_cmpx_ne_u16_e32 0, v7
	s_cbranch_execz .LBB268_730
; %bb.723:                              ;   in Loop: Header=BB268_13 Depth=1
	v_mov_b32_e32 v109, 0x8000
	s_mov_b32 s20, exec_lo
	v_cmpx_ne_u16_e32 0x80, v7
	s_cbranch_execz .LBB268_729
; %bb.724:                              ;   in Loop: Header=BB268_13 Depth=1
	v_and_b32_e32 v110, 0x7f, v9
	v_mov_b32_e32 v109, 0x7c01
	s_mov_b32 s21, exec_lo
	s_delay_alu instid0(VALU_DEP_2)
	v_cmpx_ne_u32_e32 0x7f, v110
	s_cbranch_execz .LBB268_728
; %bb.725:                              ;   in Loop: Header=BB268_13 Depth=1
	v_and_b32_e32 v7, 7, v9
	v_lshrrev_b32_e32 v109, 3, v110
	s_mov_b32 s22, exec_lo
	v_cmpx_gt_u32_e32 8, v110
; %bb.726:                              ;   in Loop: Header=BB268_13 Depth=1
	s_delay_alu instid0(VALU_DEP_3) | instskip(NEXT) | instid1(VALU_DEP_1)
	v_clz_i32_u32_e32 v7, v7
	v_min_u32_e32 v7, 32, v7
	s_delay_alu instid0(VALU_DEP_1) | instskip(NEXT) | instid1(VALU_DEP_1)
	v_subrev_nc_u32_e32 v109, 28, v7
	v_lshlrev_b64_e32 v[110:111], v109, v[9:10]
	v_sub_nc_u32_e32 v109, 29, v7
	s_delay_alu instid0(VALU_DEP_2)
	v_and_b32_e32 v7, 7, v110
; %bb.727:                              ;   in Loop: Header=BB268_13 Depth=1
	s_wait_alu 0xfffe
	s_or_b32 exec_lo, exec_lo, s22
	v_lshlrev_b32_e32 v110, 8, v9
	v_lshl_add_u32 v109, v109, 10, 0x2000
	v_lshlrev_b32_e32 v7, 7, v7
	s_delay_alu instid0(VALU_DEP_3) | instskip(NEXT) | instid1(VALU_DEP_3)
	v_and_b32_e32 v110, 0x8000, v110
	v_and_b32_e32 v109, 0xfc00, v109
	s_delay_alu instid0(VALU_DEP_1)
	v_or3_b32 v109, v110, v109, v7
.LBB268_728:                            ;   in Loop: Header=BB268_13 Depth=1
	s_wait_alu 0xfffe
	s_or_b32 exec_lo, exec_lo, s21
.LBB268_729:                            ;   in Loop: Header=BB268_13 Depth=1
	s_wait_alu 0xfffe
	s_or_b32 exec_lo, exec_lo, s20
.LBB268_730:                            ;   in Loop: Header=BB268_13 Depth=1
	s_wait_alu 0xfffe
	s_or_b32 exec_lo, exec_lo, s19
	v_lshrrev_b16 v7, 8, v9
	s_mov_b32 s19, exec_lo
	s_delay_alu instid0(VALU_DEP_1)
	v_cmpx_ne_u16_e32 0, v7
	s_cbranch_execz .LBB268_738
; %bb.731:                              ;   in Loop: Header=BB268_13 Depth=1
	v_bfrev_b32_e32 v108, 1
	s_mov_b32 s20, exec_lo
	v_cmpx_ne_u16_e32 0x80, v7
	s_cbranch_execz .LBB268_737
; %bb.732:                              ;   in Loop: Header=BB268_13 Depth=1
	v_and_b32_e32 v110, 0xffff, v7
	v_mov_b32_e32 v108, 0x7c010000
	s_mov_b32 s21, exec_lo
	s_delay_alu instid0(VALU_DEP_2) | instskip(NEXT) | instid1(VALU_DEP_1)
	v_and_b32_e32 v120, 0x7f, v110
	v_cmpx_ne_u32_e32 0x7f, v120
	s_cbranch_execz .LBB268_736
; %bb.733:                              ;   in Loop: Header=BB268_13 Depth=1
	v_and_b32_e32 v108, 7, v110
	v_lshrrev_b32_e32 v111, 3, v120
	s_mov_b32 s22, exec_lo
	v_cmpx_gt_u32_e32 8, v120
; %bb.734:                              ;   in Loop: Header=BB268_13 Depth=1
	s_delay_alu instid0(VALU_DEP_3) | instskip(NEXT) | instid1(VALU_DEP_1)
	v_clz_i32_u32_e32 v108, v108
	v_min_u32_e32 v108, 32, v108
	s_delay_alu instid0(VALU_DEP_1) | instskip(NEXT) | instid1(VALU_DEP_1)
	v_subrev_nc_u32_e32 v111, 28, v108
	v_lshlrev_b64_e32 v[120:121], v111, v[7:8]
	v_sub_nc_u32_e32 v111, 29, v108
	s_delay_alu instid0(VALU_DEP_2)
	v_and_b32_e32 v108, 7, v120
; %bb.735:                              ;   in Loop: Header=BB268_13 Depth=1
	s_wait_alu 0xfffe
	s_or_b32 exec_lo, exec_lo, s22
	v_lshlrev_b32_e32 v7, 8, v110
	v_lshl_add_u32 v110, v111, 10, 0x2000
	v_lshlrev_b32_e32 v108, 23, v108
	s_delay_alu instid0(VALU_DEP_2) | instskip(NEXT) | instid1(VALU_DEP_1)
	v_and_or_b32 v7, 0x8000, v7, v110
	v_lshl_or_b32 v108, v7, 16, v108
.LBB268_736:                            ;   in Loop: Header=BB268_13 Depth=1
	s_wait_alu 0xfffe
	s_or_b32 exec_lo, exec_lo, s21
.LBB268_737:                            ;   in Loop: Header=BB268_13 Depth=1
	s_wait_alu 0xfffe
	s_or_b32 exec_lo, exec_lo, s20
.LBB268_738:                            ;   in Loop: Header=BB268_13 Depth=1
	s_wait_alu 0xfffe
	s_or_b32 exec_lo, exec_lo, s19
	v_lshrrev_b32_e32 v7, 16, v9
	v_mov_b32_e32 v110, 0
	s_mov_b32 s19, exec_lo
	s_delay_alu instid0(VALU_DEP_2) | instskip(NEXT) | instid1(VALU_DEP_1)
	v_dual_mov_b32 v111, 0 :: v_dual_and_b32 v120, 0xff, v7
	v_cmpx_ne_u16_e32 0, v120
	s_cbranch_execz .LBB268_746
; %bb.739:                              ;   in Loop: Header=BB268_13 Depth=1
	v_mov_b32_e32 v111, 0x8000
	s_mov_b32 s20, exec_lo
	v_cmpx_ne_u16_e32 0x80, v120
	s_cbranch_execz .LBB268_745
; %bb.740:                              ;   in Loop: Header=BB268_13 Depth=1
	v_bfe_u32 v121, v9, 16, 7
	v_mov_b32_e32 v111, 0x7c01
	s_mov_b32 s21, exec_lo
	s_delay_alu instid0(VALU_DEP_2)
	v_cmpx_ne_u32_e32 0x7f, v121
	s_cbranch_execz .LBB268_744
; %bb.741:                              ;   in Loop: Header=BB268_13 Depth=1
	v_and_b32_e32 v111, 7, v7
	v_lshrrev_b32_e32 v120, 3, v121
	s_mov_b32 s22, exec_lo
	v_cmpx_gt_u32_e32 8, v121
; %bb.742:                              ;   in Loop: Header=BB268_13 Depth=1
	s_delay_alu instid0(VALU_DEP_3) | instskip(NEXT) | instid1(VALU_DEP_1)
	v_clz_i32_u32_e32 v111, v111
	v_min_u32_e32 v111, 32, v111
	s_delay_alu instid0(VALU_DEP_1) | instskip(NEXT) | instid1(VALU_DEP_1)
	v_subrev_nc_u32_e32 v120, 28, v111
	v_lshlrev_b64_e32 v[121:122], v120, v[7:8]
	v_sub_nc_u32_e32 v120, 29, v111
	s_delay_alu instid0(VALU_DEP_2)
	v_and_b32_e32 v111, 7, v121
; %bb.743:                              ;   in Loop: Header=BB268_13 Depth=1
	s_wait_alu 0xfffe
	s_or_b32 exec_lo, exec_lo, s22
	v_lshlrev_b32_e32 v7, 8, v7
	v_lshl_add_u32 v120, v120, 10, 0x2000
	v_lshlrev_b32_e32 v111, 7, v111
	s_delay_alu instid0(VALU_DEP_3) | instskip(NEXT) | instid1(VALU_DEP_3)
	v_and_b32_e32 v7, 0x8000, v7
	v_and_b32_e32 v120, 0xfc00, v120
	s_delay_alu instid0(VALU_DEP_1)
	v_or3_b32 v111, v7, v120, v111
.LBB268_744:                            ;   in Loop: Header=BB268_13 Depth=1
	s_wait_alu 0xfffe
	s_or_b32 exec_lo, exec_lo, s21
.LBB268_745:                            ;   in Loop: Header=BB268_13 Depth=1
	s_wait_alu 0xfffe
	s_or_b32 exec_lo, exec_lo, s20
.LBB268_746:                            ;   in Loop: Header=BB268_13 Depth=1
	s_wait_alu 0xfffe
	s_or_b32 exec_lo, exec_lo, s19
	s_delay_alu instid0(SALU_CYCLE_1)
	s_mov_b32 s19, exec_lo
	v_cmpx_lt_u32_e32 0xffffff, v9
	s_cbranch_execz .LBB268_754
; %bb.747:                              ;   in Loop: Header=BB268_13 Depth=1
	v_lshrrev_b32_e32 v7, 24, v9
	v_bfrev_b32_e32 v110, 1
	s_mov_b32 s20, exec_lo
	s_delay_alu instid0(VALU_DEP_2)
	v_cmpx_ne_u32_e32 0x80, v7
	s_cbranch_execz .LBB268_753
; %bb.748:                              ;   in Loop: Header=BB268_13 Depth=1
	v_and_b32_e32 v120, 0x7f, v7
	v_mov_b32_e32 v110, 0x7c010000
	s_mov_b32 s21, exec_lo
	s_delay_alu instid0(VALU_DEP_2)
	v_cmpx_ne_u32_e32 0x7f, v120
	s_cbranch_execz .LBB268_752
; %bb.749:                              ;   in Loop: Header=BB268_13 Depth=1
	v_and_b32_e32 v9, 7, v7
	v_lshrrev_b32_e32 v110, 3, v120
	s_mov_b32 s22, exec_lo
	v_cmpx_gt_u32_e32 8, v120
; %bb.750:                              ;   in Loop: Header=BB268_13 Depth=1
	s_delay_alu instid0(VALU_DEP_3) | instskip(NEXT) | instid1(VALU_DEP_1)
	v_clz_i32_u32_e32 v9, v9
	v_min_u32_e32 v9, 32, v9
	s_delay_alu instid0(VALU_DEP_1) | instskip(NEXT) | instid1(VALU_DEP_1)
	v_subrev_nc_u32_e32 v110, 28, v9
	v_lshlrev_b64_e32 v[120:121], v110, v[7:8]
	v_sub_nc_u32_e32 v110, 29, v9
	s_delay_alu instid0(VALU_DEP_2)
	v_and_b32_e32 v9, 7, v120
; %bb.751:                              ;   in Loop: Header=BB268_13 Depth=1
	s_wait_alu 0xfffe
	s_or_b32 exec_lo, exec_lo, s22
	v_lshlrev_b32_e32 v7, 8, v7
	v_lshl_add_u32 v110, v110, 10, 0x2000
	v_lshlrev_b32_e32 v9, 23, v9
	s_delay_alu instid0(VALU_DEP_2) | instskip(NEXT) | instid1(VALU_DEP_1)
	v_and_or_b32 v7, 0x8000, v7, v110
	v_lshl_or_b32 v110, v7, 16, v9
.LBB268_752:                            ;   in Loop: Header=BB268_13 Depth=1
	s_wait_alu 0xfffe
	s_or_b32 exec_lo, exec_lo, s21
.LBB268_753:                            ;   in Loop: Header=BB268_13 Depth=1
	s_wait_alu 0xfffe
	s_or_b32 exec_lo, exec_lo, s20
.LBB268_754:                            ;   in Loop: Header=BB268_13 Depth=1
	s_wait_alu 0xfffe
	s_or_b32 exec_lo, exec_lo, s19
	flat_load_b32 v9, v[28:29] offset:2824
	v_mov_b32_e32 v29, 0
	s_mov_b32 s19, exec_lo
	s_wait_loadcnt_dscnt 0x0
	v_dual_mov_b32 v28, 0 :: v_dual_and_b32 v7, 0xff, v9
	s_delay_alu instid0(VALU_DEP_1)
	v_cmpx_ne_u16_e32 0, v7
	s_cbranch_execz .LBB268_762
; %bb.755:                              ;   in Loop: Header=BB268_13 Depth=1
	v_mov_b32_e32 v29, 0x8000
	s_mov_b32 s20, exec_lo
	v_cmpx_ne_u16_e32 0x80, v7
	s_cbranch_execz .LBB268_761
; %bb.756:                              ;   in Loop: Header=BB268_13 Depth=1
	v_and_b32_e32 v120, 0x7f, v9
	v_mov_b32_e32 v29, 0x7c01
	s_mov_b32 s21, exec_lo
	s_delay_alu instid0(VALU_DEP_2)
	v_cmpx_ne_u32_e32 0x7f, v120
	s_cbranch_execz .LBB268_760
; %bb.757:                              ;   in Loop: Header=BB268_13 Depth=1
	v_and_b32_e32 v7, 7, v9
	v_lshrrev_b32_e32 v29, 3, v120
	s_mov_b32 s22, exec_lo
	v_cmpx_gt_u32_e32 8, v120
; %bb.758:                              ;   in Loop: Header=BB268_13 Depth=1
	s_delay_alu instid0(VALU_DEP_3) | instskip(NEXT) | instid1(VALU_DEP_1)
	v_clz_i32_u32_e32 v7, v7
	v_min_u32_e32 v7, 32, v7
	s_delay_alu instid0(VALU_DEP_1) | instskip(NEXT) | instid1(VALU_DEP_1)
	v_subrev_nc_u32_e32 v29, 28, v7
	v_lshlrev_b64_e32 v[120:121], v29, v[9:10]
	v_sub_nc_u32_e32 v29, 29, v7
	s_delay_alu instid0(VALU_DEP_2)
	v_and_b32_e32 v7, 7, v120
; %bb.759:                              ;   in Loop: Header=BB268_13 Depth=1
	s_wait_alu 0xfffe
	s_or_b32 exec_lo, exec_lo, s22
	v_lshlrev_b32_e32 v120, 8, v9
	v_lshl_add_u32 v29, v29, 10, 0x2000
	v_lshlrev_b32_e32 v7, 7, v7
	s_delay_alu instid0(VALU_DEP_3) | instskip(NEXT) | instid1(VALU_DEP_3)
	v_and_b32_e32 v120, 0x8000, v120
	v_and_b32_e32 v29, 0xfc00, v29
	s_delay_alu instid0(VALU_DEP_1)
	v_or3_b32 v29, v120, v29, v7
.LBB268_760:                            ;   in Loop: Header=BB268_13 Depth=1
	s_wait_alu 0xfffe
	s_or_b32 exec_lo, exec_lo, s21
.LBB268_761:                            ;   in Loop: Header=BB268_13 Depth=1
	s_wait_alu 0xfffe
	s_or_b32 exec_lo, exec_lo, s20
.LBB268_762:                            ;   in Loop: Header=BB268_13 Depth=1
	s_wait_alu 0xfffe
	s_or_b32 exec_lo, exec_lo, s19
	v_lshrrev_b16 v7, 8, v9
	s_mov_b32 s19, exec_lo
	s_delay_alu instid0(VALU_DEP_1)
	v_cmpx_ne_u16_e32 0, v7
	s_cbranch_execz .LBB268_770
; %bb.763:                              ;   in Loop: Header=BB268_13 Depth=1
	v_bfrev_b32_e32 v28, 1
	s_mov_b32 s20, exec_lo
	v_cmpx_ne_u16_e32 0x80, v7
	s_cbranch_execz .LBB268_769
; %bb.764:                              ;   in Loop: Header=BB268_13 Depth=1
	v_and_b32_e32 v120, 0xffff, v7
	v_mov_b32_e32 v28, 0x7c010000
	s_mov_b32 s21, exec_lo
	s_delay_alu instid0(VALU_DEP_2) | instskip(NEXT) | instid1(VALU_DEP_1)
	v_and_b32_e32 v122, 0x7f, v120
	v_cmpx_ne_u32_e32 0x7f, v122
	s_cbranch_execz .LBB268_768
; %bb.765:                              ;   in Loop: Header=BB268_13 Depth=1
	v_and_b32_e32 v28, 7, v120
	v_lshrrev_b32_e32 v121, 3, v122
	s_mov_b32 s22, exec_lo
	v_cmpx_gt_u32_e32 8, v122
; %bb.766:                              ;   in Loop: Header=BB268_13 Depth=1
	s_delay_alu instid0(VALU_DEP_3) | instskip(NEXT) | instid1(VALU_DEP_1)
	v_clz_i32_u32_e32 v28, v28
	v_min_u32_e32 v28, 32, v28
	s_delay_alu instid0(VALU_DEP_1) | instskip(NEXT) | instid1(VALU_DEP_1)
	v_subrev_nc_u32_e32 v121, 28, v28
	v_lshlrev_b64_e32 v[122:123], v121, v[7:8]
	v_sub_nc_u32_e32 v121, 29, v28
	s_delay_alu instid0(VALU_DEP_2)
	v_and_b32_e32 v28, 7, v122
; %bb.767:                              ;   in Loop: Header=BB268_13 Depth=1
	s_wait_alu 0xfffe
	s_or_b32 exec_lo, exec_lo, s22
	v_lshlrev_b32_e32 v7, 8, v120
	v_lshl_add_u32 v120, v121, 10, 0x2000
	v_lshlrev_b32_e32 v28, 23, v28
	s_delay_alu instid0(VALU_DEP_2) | instskip(NEXT) | instid1(VALU_DEP_1)
	v_and_or_b32 v7, 0x8000, v7, v120
	v_lshl_or_b32 v28, v7, 16, v28
.LBB268_768:                            ;   in Loop: Header=BB268_13 Depth=1
	s_wait_alu 0xfffe
	s_or_b32 exec_lo, exec_lo, s21
.LBB268_769:                            ;   in Loop: Header=BB268_13 Depth=1
	s_wait_alu 0xfffe
	s_or_b32 exec_lo, exec_lo, s20
.LBB268_770:                            ;   in Loop: Header=BB268_13 Depth=1
	s_wait_alu 0xfffe
	s_or_b32 exec_lo, exec_lo, s19
	v_lshrrev_b32_e32 v7, 16, v9
	v_mov_b32_e32 v120, 0
	s_mov_b32 s19, exec_lo
	s_delay_alu instid0(VALU_DEP_2) | instskip(NEXT) | instid1(VALU_DEP_1)
	v_dual_mov_b32 v121, 0 :: v_dual_and_b32 v122, 0xff, v7
	v_cmpx_ne_u16_e32 0, v122
	s_cbranch_execz .LBB268_778
; %bb.771:                              ;   in Loop: Header=BB268_13 Depth=1
	v_mov_b32_e32 v121, 0x8000
	s_mov_b32 s20, exec_lo
	v_cmpx_ne_u16_e32 0x80, v122
	s_cbranch_execz .LBB268_777
; %bb.772:                              ;   in Loop: Header=BB268_13 Depth=1
	v_bfe_u32 v123, v9, 16, 7
	v_mov_b32_e32 v121, 0x7c01
	s_mov_b32 s21, exec_lo
	s_delay_alu instid0(VALU_DEP_2)
	v_cmpx_ne_u32_e32 0x7f, v123
	s_cbranch_execz .LBB268_776
; %bb.773:                              ;   in Loop: Header=BB268_13 Depth=1
	v_and_b32_e32 v121, 7, v7
	v_lshrrev_b32_e32 v122, 3, v123
	s_mov_b32 s22, exec_lo
	v_cmpx_gt_u32_e32 8, v123
; %bb.774:                              ;   in Loop: Header=BB268_13 Depth=1
	s_delay_alu instid0(VALU_DEP_3) | instskip(NEXT) | instid1(VALU_DEP_1)
	v_clz_i32_u32_e32 v121, v121
	v_min_u32_e32 v123, 32, v121
	s_delay_alu instid0(VALU_DEP_1) | instskip(NEXT) | instid1(VALU_DEP_1)
	v_subrev_nc_u32_e32 v121, 28, v123
	v_lshlrev_b64_e32 v[121:122], v121, v[7:8]
	v_sub_nc_u32_e32 v122, 29, v123
	s_delay_alu instid0(VALU_DEP_2)
	v_and_b32_e32 v121, 7, v121
; %bb.775:                              ;   in Loop: Header=BB268_13 Depth=1
	s_wait_alu 0xfffe
	s_or_b32 exec_lo, exec_lo, s22
	v_lshlrev_b32_e32 v7, 8, v7
	v_lshl_add_u32 v122, v122, 10, 0x2000
	v_lshlrev_b32_e32 v121, 7, v121
	s_delay_alu instid0(VALU_DEP_3) | instskip(NEXT) | instid1(VALU_DEP_3)
	v_and_b32_e32 v7, 0x8000, v7
	v_and_b32_e32 v122, 0xfc00, v122
	s_delay_alu instid0(VALU_DEP_1)
	v_or3_b32 v121, v7, v122, v121
.LBB268_776:                            ;   in Loop: Header=BB268_13 Depth=1
	s_wait_alu 0xfffe
	s_or_b32 exec_lo, exec_lo, s21
.LBB268_777:                            ;   in Loop: Header=BB268_13 Depth=1
	s_wait_alu 0xfffe
	s_or_b32 exec_lo, exec_lo, s20
.LBB268_778:                            ;   in Loop: Header=BB268_13 Depth=1
	s_wait_alu 0xfffe
	s_or_b32 exec_lo, exec_lo, s19
	s_delay_alu instid0(SALU_CYCLE_1)
	s_mov_b32 s19, exec_lo
	v_cmpx_lt_u32_e32 0xffffff, v9
	s_cbranch_execz .LBB268_786
; %bb.779:                              ;   in Loop: Header=BB268_13 Depth=1
	v_lshrrev_b32_e32 v7, 24, v9
	v_bfrev_b32_e32 v120, 1
	s_mov_b32 s20, exec_lo
	s_delay_alu instid0(VALU_DEP_2)
	v_cmpx_ne_u32_e32 0x80, v7
	s_cbranch_execz .LBB268_785
; %bb.780:                              ;   in Loop: Header=BB268_13 Depth=1
	v_and_b32_e32 v122, 0x7f, v7
	v_mov_b32_e32 v120, 0x7c010000
	s_mov_b32 s21, exec_lo
	s_delay_alu instid0(VALU_DEP_2)
	v_cmpx_ne_u32_e32 0x7f, v122
	s_cbranch_execz .LBB268_784
; %bb.781:                              ;   in Loop: Header=BB268_13 Depth=1
	v_and_b32_e32 v9, 7, v7
	v_lshrrev_b32_e32 v120, 3, v122
	s_mov_b32 s22, exec_lo
	v_cmpx_gt_u32_e32 8, v122
; %bb.782:                              ;   in Loop: Header=BB268_13 Depth=1
	s_delay_alu instid0(VALU_DEP_3) | instskip(NEXT) | instid1(VALU_DEP_1)
	v_clz_i32_u32_e32 v9, v9
	v_min_u32_e32 v9, 32, v9
	s_delay_alu instid0(VALU_DEP_1) | instskip(NEXT) | instid1(VALU_DEP_1)
	v_subrev_nc_u32_e32 v120, 28, v9
	v_lshlrev_b64_e32 v[122:123], v120, v[7:8]
	v_sub_nc_u32_e32 v120, 29, v9
	s_delay_alu instid0(VALU_DEP_2)
	v_and_b32_e32 v9, 7, v122
; %bb.783:                              ;   in Loop: Header=BB268_13 Depth=1
	s_wait_alu 0xfffe
	s_or_b32 exec_lo, exec_lo, s22
	v_lshlrev_b32_e32 v7, 8, v7
	v_lshl_add_u32 v120, v120, 10, 0x2000
	v_lshlrev_b32_e32 v9, 23, v9
	s_delay_alu instid0(VALU_DEP_2) | instskip(NEXT) | instid1(VALU_DEP_1)
	v_and_or_b32 v7, 0x8000, v7, v120
	v_lshl_or_b32 v120, v7, 16, v9
.LBB268_784:                            ;   in Loop: Header=BB268_13 Depth=1
	s_wait_alu 0xfffe
	s_or_b32 exec_lo, exec_lo, s21
.LBB268_785:                            ;   in Loop: Header=BB268_13 Depth=1
	s_wait_alu 0xfffe
	s_or_b32 exec_lo, exec_lo, s20
.LBB268_786:                            ;   in Loop: Header=BB268_13 Depth=1
	s_wait_alu 0xfffe
	s_or_b32 exec_lo, exec_lo, s19
	ds_load_b64 v[122:123], v68
	v_or_b32_e32 v7, v84, v85
	v_or_b32_e32 v9, v86, v87
	;; [unrolled: 1-line block ×3, first 2 shown]
	v_fma_mixlo_f16 v84, v83, v84, 0 op_sel:[0,1,0] op_sel_hi:[0,1,0]
	v_fma_mixlo_f16 v86, v83, v86, 0 op_sel:[0,1,0] op_sel_hi:[0,1,0]
	v_fma_mixlo_f16 v7, v83, v7, 0 op_sel_hi:[0,1,0]
	v_fma_mixlo_f16 v9, v83, v9, 0 op_sel_hi:[0,1,0]
	;; [unrolled: 1-line block ×3, first 2 shown]
	v_and_b32_e32 v84, 0xffff, v84
	v_and_b32_e32 v126, 0xffff, v86
	;; [unrolled: 1-line block ×5, first 2 shown]
	v_or_b32_e32 v29, v28, v29
	v_fma_mixlo_f16 v28, v83, v28, 0 op_sel:[0,1,0] op_sel_hi:[0,1,0]
	s_delay_alu instid0(VALU_DEP_2)
	v_fma_mixlo_f16 v29, v83, v29, 0 op_sel_hi:[0,1,0]
	s_wait_dscnt 0x0
	v_lshrrev_b32_e32 v124, 16, v122
	v_and_b32_e32 v122, 0xffff, v122
	v_lshrrev_b32_e32 v125, 16, v123
	v_and_b32_e32 v123, 0xffff, v123
	;;#ASMSTART
	v_cvt_f32_f16 v9, v122;
	;;#ASMEND
	;;#ASMSTART
	v_cvt_f32_f16 v86, v124;
	;;#ASMEND
	;; [unrolled: 3-line block ×8, first 2 shown]
	ds_load_b64 v[84:85], v68 offset:8
	s_wait_dscnt 0x0
	v_and_b32_e32 v7, 0xffff, v84
	;;#ASMSTART
	v_cvt_f32_f16 v7, v7;
	;;#ASMEND
	v_lshrrev_b32_e32 v84, 16, v84
	;;#ASMSTART
	v_cvt_f32_f16 v84, v84;
	;;#ASMEND
	;;#ASMSTART
	v_cvt_f32_f16 v126, v136;
	;;#ASMEND
	v_mul_f32_e32 v7, v7, v126
	s_delay_alu instid0(VALU_DEP_1) | instskip(SKIP_1) | instid1(VALU_DEP_1)
	v_fmac_f32_e32 v7, v9, v87
	v_fma_mixlo_f16 v9, v83, v96, 0 op_sel:[0,1,0] op_sel_hi:[0,1,0]
	v_and_b32_e32 v9, 0xffff, v9
	;;#ASMSTART
	v_cvt_f32_f16 v9, v9;
	;;#ASMEND
	s_delay_alu instid0(VALU_DEP_1) | instskip(SKIP_1) | instid1(VALU_DEP_2)
	v_mul_f32_e32 v9, v84, v9
	v_or_b32_e32 v84, v98, v99
	v_fmac_f32_e32 v9, v86, v97
	s_delay_alu instid0(VALU_DEP_2) | instskip(SKIP_2) | instid1(VALU_DEP_3)
	v_fma_mixlo_f16 v84, v83, v84, 0 op_sel_hi:[0,1,0]
	v_lshrrev_b32_e32 v86, 16, v85
	v_and_b32_e32 v85, 0xffff, v85
	v_and_b32_e32 v87, 0xffff, v84
	;;#ASMSTART
	v_cvt_f32_f16 v84, v85;
	;;#ASMEND
	;;#ASMSTART
	v_cvt_f32_f16 v85, v86;
	;;#ASMEND
	;; [unrolled: 3-line block ×3, first 2 shown]
	v_mul_f32_e32 v84, v84, v86
	v_fma_mixlo_f16 v86, v83, v98, 0 op_sel:[0,1,0] op_sel_hi:[0,1,0]
	s_delay_alu instid0(VALU_DEP_2) | instskip(NEXT) | instid1(VALU_DEP_2)
	v_fmac_f32_e32 v84, v122, v124
	v_and_b32_e32 v86, 0xffff, v86
	;;#ASMSTART
	v_cvt_f32_f16 v86, v86;
	;;#ASMEND
	s_delay_alu instid0(VALU_DEP_1) | instskip(SKIP_1) | instid1(VALU_DEP_1)
	v_mul_f32_e32 v85, v85, v86
	v_or_b32_e32 v86, v100, v101
	v_fma_mixlo_f16 v86, v83, v86, 0 op_sel_hi:[0,1,0]
	s_delay_alu instid0(VALU_DEP_1)
	v_and_b32_e32 v97, 0xffff, v86
	ds_load_b64 v[86:87], v68 offset:16
	s_wait_dscnt 0x0
	v_dual_fmac_f32 v85, v123, v125 :: v_dual_and_b32 v96, 0xffff, v86
	;;#ASMSTART
	v_cvt_f32_f16 v96, v96;
	;;#ASMEND
	v_lshrrev_b32_e32 v86, 16, v86
	;;#ASMSTART
	v_cvt_f32_f16 v86, v86;
	;;#ASMEND
	;;#ASMSTART
	v_cvt_f32_f16 v97, v97;
	;;#ASMEND
	v_fmac_f32_e32 v7, v96, v97
	v_fma_mixlo_f16 v96, v83, v100, 0 op_sel:[0,1,0] op_sel_hi:[0,1,0]
	s_delay_alu instid0(VALU_DEP_1) | instskip(SKIP_1) | instid1(VALU_DEP_1)
	v_and_b32_e32 v96, 0xffff, v96
	;;#ASMSTART
	v_cvt_f32_f16 v96, v96;
	;;#ASMEND
	v_fmac_f32_e32 v9, v86, v96
	v_or_b32_e32 v86, v102, v103
	v_lshrrev_b32_e32 v96, 16, v87
	v_and_b32_e32 v87, 0xffff, v87
	s_delay_alu instid0(VALU_DEP_3) | instskip(NEXT) | instid1(VALU_DEP_1)
	v_fma_mixlo_f16 v86, v83, v86, 0 op_sel_hi:[0,1,0]
	v_and_b32_e32 v97, 0xffff, v86
	;;#ASMSTART
	v_cvt_f32_f16 v86, v87;
	;;#ASMEND
	;;#ASMSTART
	v_cvt_f32_f16 v87, v96;
	;;#ASMEND
	;;#ASMSTART
	v_cvt_f32_f16 v96, v97;
	;;#ASMEND
	v_fmac_f32_e32 v84, v86, v96
	v_fma_mixlo_f16 v86, v83, v102, 0 op_sel:[0,1,0] op_sel_hi:[0,1,0]
	s_delay_alu instid0(VALU_DEP_1) | instskip(SKIP_1) | instid1(VALU_DEP_1)
	v_and_b32_e32 v86, 0xffff, v86
	;;#ASMSTART
	v_cvt_f32_f16 v86, v86;
	;;#ASMEND
	v_fmac_f32_e32 v85, v87, v86
	v_or_b32_e32 v86, v112, v113
	s_delay_alu instid0(VALU_DEP_1) | instskip(NEXT) | instid1(VALU_DEP_1)
	v_fma_mixlo_f16 v86, v83, v86, 0 op_sel_hi:[0,1,0]
	v_and_b32_e32 v97, 0xffff, v86
	ds_load_b64 v[86:87], v68 offset:24
	s_wait_dscnt 0x0
	v_and_b32_e32 v96, 0xffff, v86
	;;#ASMSTART
	v_cvt_f32_f16 v96, v96;
	;;#ASMEND
	v_lshrrev_b32_e32 v86, 16, v86
	;;#ASMSTART
	v_cvt_f32_f16 v86, v86;
	;;#ASMEND
	;;#ASMSTART
	v_cvt_f32_f16 v97, v97;
	;;#ASMEND
	v_fmac_f32_e32 v7, v96, v97
	v_fma_mixlo_f16 v96, v83, v112, 0 op_sel:[0,1,0] op_sel_hi:[0,1,0]
	s_delay_alu instid0(VALU_DEP_1) | instskip(SKIP_1) | instid1(VALU_DEP_1)
	v_and_b32_e32 v96, 0xffff, v96
	;;#ASMSTART
	v_cvt_f32_f16 v96, v96;
	;;#ASMEND
	v_fmac_f32_e32 v9, v86, v96
	v_or_b32_e32 v86, v114, v115
	v_lshrrev_b32_e32 v96, 16, v87
	v_and_b32_e32 v87, 0xffff, v87
	s_delay_alu instid0(VALU_DEP_3) | instskip(NEXT) | instid1(VALU_DEP_1)
	v_fma_mixlo_f16 v86, v83, v86, 0 op_sel_hi:[0,1,0]
	v_and_b32_e32 v97, 0xffff, v86
	;;#ASMSTART
	v_cvt_f32_f16 v86, v87;
	;;#ASMEND
	;;#ASMSTART
	v_cvt_f32_f16 v87, v96;
	;;#ASMEND
	;;#ASMSTART
	v_cvt_f32_f16 v96, v97;
	;;#ASMEND
	v_fmac_f32_e32 v84, v86, v96
	v_fma_mixlo_f16 v86, v83, v114, 0 op_sel:[0,1,0] op_sel_hi:[0,1,0]
	s_delay_alu instid0(VALU_DEP_1) | instskip(SKIP_1) | instid1(VALU_DEP_1)
	v_and_b32_e32 v86, 0xffff, v86
	;;#ASMSTART
	v_cvt_f32_f16 v86, v86;
	;;#ASMEND
	v_fmac_f32_e32 v85, v87, v86
	v_or_b32_e32 v86, v116, v117
	s_delay_alu instid0(VALU_DEP_1) | instskip(NEXT) | instid1(VALU_DEP_1)
	v_fma_mixlo_f16 v86, v83, v86, 0 op_sel_hi:[0,1,0]
	v_and_b32_e32 v97, 0xffff, v86
	ds_load_b64 v[86:87], v68 offset:32
	s_wait_dscnt 0x0
	v_and_b32_e32 v96, 0xffff, v86
	;; [unrolled: 48-line block ×8, first 2 shown]
	;;#ASMSTART
	v_cvt_f32_f16 v96, v96;
	;;#ASMEND
	v_lshrrev_b32_e32 v86, 16, v86
	;;#ASMSTART
	v_cvt_f32_f16 v86, v86;
	;;#ASMEND
	;;#ASMSTART
	v_cvt_f32_f16 v97, v97;
	;;#ASMEND
	v_fmac_f32_e32 v7, v96, v97
	v_fma_mixlo_f16 v96, v83, v164, 0 op_sel:[0,1,0] op_sel_hi:[0,1,0]
	s_delay_alu instid0(VALU_DEP_1) | instskip(SKIP_1) | instid1(VALU_DEP_1)
	v_and_b32_e32 v96, 0xffff, v96
	;;#ASMSTART
	v_cvt_f32_f16 v96, v96;
	;;#ASMEND
	v_fmac_f32_e32 v9, v86, v96
	v_or_b32_e32 v86, v166, v167
	v_lshrrev_b32_e32 v96, 16, v87
	v_and_b32_e32 v87, 0xffff, v87
	s_delay_alu instid0(VALU_DEP_3) | instskip(NEXT) | instid1(VALU_DEP_1)
	v_fma_mixlo_f16 v86, v83, v86, 0 op_sel_hi:[0,1,0]
	v_and_b32_e32 v97, 0xffff, v86
	;;#ASMSTART
	v_cvt_f32_f16 v86, v87;
	;;#ASMEND
	;;#ASMSTART
	v_cvt_f32_f16 v87, v96;
	;;#ASMEND
	;;#ASMSTART
	v_cvt_f32_f16 v96, v97;
	;;#ASMEND
	v_fmac_f32_e32 v84, v86, v96
	v_fma_mixlo_f16 v86, v83, v166, 0 op_sel:[0,1,0] op_sel_hi:[0,1,0]
	s_delay_alu instid0(VALU_DEP_1) | instskip(SKIP_1) | instid1(VALU_DEP_1)
	v_and_b32_e32 v86, 0xffff, v86
	;;#ASMSTART
	v_cvt_f32_f16 v86, v86;
	;;#ASMEND
	v_fmac_f32_e32 v85, v87, v86
	v_or_b32_e32 v86, v176, v177
	s_delay_alu instid0(VALU_DEP_1)
	v_fma_mixlo_f16 v96, v83, v86, 0 op_sel_hi:[0,1,0]
	ds_load_b64 v[86:87], v68 offset:88
	v_and_b32_e32 v96, 0xffff, v96
	s_wait_dscnt 0x0
	v_and_b32_e32 v97, 0xffff, v86
	v_lshrrev_b32_e32 v86, 16, v86
	;;#ASMSTART
	v_cvt_f32_f16 v97, v97;
	;;#ASMEND
	;;#ASMSTART
	v_cvt_f32_f16 v86, v86;
	;;#ASMEND
	;;#ASMSTART
	v_cvt_f32_f16 v96, v96;
	;;#ASMEND
	v_fmac_f32_e32 v7, v97, v96
	v_fma_mixlo_f16 v96, v83, v176, 0 op_sel:[0,1,0] op_sel_hi:[0,1,0]
	s_delay_alu instid0(VALU_DEP_1) | instskip(SKIP_1) | instid1(VALU_DEP_1)
	v_and_b32_e32 v96, 0xffff, v96
	;;#ASMSTART
	v_cvt_f32_f16 v96, v96;
	;;#ASMEND
	v_fmac_f32_e32 v9, v86, v96
	v_or_b32_e32 v86, v178, v179
	v_lshrrev_b32_e32 v96, 16, v87
	v_and_b32_e32 v87, 0xffff, v87
	s_delay_alu instid0(VALU_DEP_3) | instskip(NEXT) | instid1(VALU_DEP_1)
	v_fma_mixlo_f16 v86, v83, v86, 0 op_sel_hi:[0,1,0]
	v_and_b32_e32 v97, 0xffff, v86
	;;#ASMSTART
	v_cvt_f32_f16 v86, v87;
	;;#ASMEND
	;;#ASMSTART
	v_cvt_f32_f16 v87, v96;
	;;#ASMEND
	;;#ASMSTART
	v_cvt_f32_f16 v96, v97;
	;;#ASMEND
	v_fmac_f32_e32 v84, v86, v96
	v_fma_mixlo_f16 v86, v83, v178, 0 op_sel:[0,1,0] op_sel_hi:[0,1,0]
	s_delay_alu instid0(VALU_DEP_1) | instskip(SKIP_1) | instid1(VALU_DEP_1)
	v_and_b32_e32 v86, 0xffff, v86
	;;#ASMSTART
	v_cvt_f32_f16 v86, v86;
	;;#ASMEND
	v_fmac_f32_e32 v85, v87, v86
	v_or_b32_e32 v86, v180, v181
	s_delay_alu instid0(VALU_DEP_1)
	v_fma_mixlo_f16 v96, v83, v86, 0 op_sel_hi:[0,1,0]
	ds_load_b64 v[86:87], v68 offset:96
	v_and_b32_e32 v96, 0xffff, v96
	s_wait_dscnt 0x0
	v_and_b32_e32 v97, 0xffff, v86
	v_lshrrev_b32_e32 v86, 16, v86
	;;#ASMSTART
	v_cvt_f32_f16 v97, v97;
	;;#ASMEND
	;; [unrolled: 48-line block ×11, first 2 shown]
	;;#ASMSTART
	v_cvt_f32_f16 v86, v86;
	;;#ASMEND
	;;#ASMSTART
	v_cvt_f32_f16 v96, v96;
	;;#ASMEND
	v_fmac_f32_e32 v7, v97, v96
	v_fma_mixlo_f16 v96, v83, v104, 0 op_sel:[0,1,0] op_sel_hi:[0,1,0]
	v_and_b32_e32 v97, 0xffff, v87
	v_lshrrev_b32_e32 v87, 16, v87
	s_delay_alu instid0(VALU_DEP_3) | instskip(SKIP_1) | instid1(VALU_DEP_1)
	v_and_b32_e32 v96, 0xffff, v96
	;;#ASMSTART
	v_cvt_f32_f16 v96, v96;
	;;#ASMEND
	v_fmac_f32_e32 v9, v86, v96
	v_or_b32_e32 v86, v106, v107
	v_fma_mixlo_f16 v96, v83, v106, 0 op_sel:[0,1,0] op_sel_hi:[0,1,0]
	s_delay_alu instid0(VALU_DEP_2) | instskip(NEXT) | instid1(VALU_DEP_2)
	v_fma_mixlo_f16 v86, v83, v86, 0 op_sel_hi:[0,1,0]
	v_and_b32_e32 v99, 0xffff, v96
	s_delay_alu instid0(VALU_DEP_2)
	v_and_b32_e32 v98, 0xffff, v86
	;;#ASMSTART
	v_cvt_f32_f16 v86, v97;
	;;#ASMEND
	;;#ASMSTART
	v_cvt_f32_f16 v96, v87;
	;;#ASMEND
	;;#ASMSTART
	v_cvt_f32_f16 v87, v98;
	;;#ASMEND
	v_fmac_f32_e32 v84, v86, v87
	;;#ASMSTART
	v_cvt_f32_f16 v97, v99;
	;;#ASMEND
	ds_load_b64 v[86:87], v68 offset:176
	v_or_b32_e32 v98, v108, v109
	v_fmac_f32_e32 v85, v96, v97
	v_or_b32_e32 v96, v110, v111
	s_delay_alu instid0(VALU_DEP_3) | instskip(NEXT) | instid1(VALU_DEP_1)
	v_fma_mixlo_f16 v98, v83, v98, 0 op_sel_hi:[0,1,0]
	v_and_b32_e32 v100, 0xffff, v98
	v_fma_mixlo_f16 v98, v83, v108, 0 op_sel:[0,1,0] op_sel_hi:[0,1,0]
	s_delay_alu instid0(VALU_DEP_1)
	v_and_b32_e32 v98, 0xffff, v98
	s_wait_dscnt 0x0
	v_and_b32_e32 v99, 0xffff, v86
	v_lshrrev_b32_e32 v97, 16, v86
	;;#ASMSTART
	v_cvt_f32_f16 v86, v99;
	;;#ASMEND
	;;#ASMSTART
	v_cvt_f32_f16 v97, v97;
	;;#ASMEND
	;; [unrolled: 3-line block ×3, first 2 shown]
	v_fmac_f32_e32 v7, v86, v99
	v_fma_mixlo_f16 v86, v83, v96, 0 op_sel_hi:[0,1,0]
	v_fma_mixlo_f16 v96, v83, v110, 0 op_sel:[0,1,0] op_sel_hi:[0,1,0]
	v_and_b32_e32 v99, 0xffff, v87
	v_lshrrev_b32_e32 v87, 16, v87
	s_delay_alu instid0(VALU_DEP_4) | instskip(NEXT) | instid1(VALU_DEP_4)
	v_and_b32_e32 v86, 0xffff, v86
	v_and_b32_e32 v101, 0xffff, v96
	;;#ASMSTART
	v_cvt_f32_f16 v96, v98;
	;;#ASMEND
	;;#ASMSTART
	v_cvt_f32_f16 v98, v99;
	;;#ASMEND
	;; [unrolled: 3-line block ×5, first 2 shown]
	ds_load_b64 v[86:87], v68 offset:184
	v_fmac_f32_e32 v9, v97, v96
	v_fmac_f32_e32 v84, v98, v100
	v_and_b32_e32 v98, 0xffff, v29
	s_wait_dscnt 0x0
	v_and_b32_e32 v96, 0xffff, v86
	v_lshrrev_b32_e32 v97, 16, v86
	v_or_b32_e32 v86, v120, v121
	;;#ASMSTART
	v_cvt_f32_f16 v29, v96;
	;;#ASMEND
	;;#ASMSTART
	v_cvt_f32_f16 v96, v97;
	;;#ASMEND
	;; [unrolled: 3-line block ×3, first 2 shown]
	v_fmac_f32_e32 v7, v29, v97
	v_fma_mixlo_f16 v29, v83, v86, 0 op_sel_hi:[0,1,0]
	v_and_b32_e32 v86, 0xffff, v28
	v_fma_mixlo_f16 v28, v83, v120, 0 op_sel:[0,1,0] op_sel_hi:[0,1,0]
	v_and_b32_e32 v83, 0xffff, v87
	v_fmac_f32_e32 v85, v99, v101
	v_and_b32_e32 v97, 0xffff, v29
	;;#ASMSTART
	v_cvt_f32_f16 v29, v86;
	;;#ASMEND
	v_dual_fmac_f32 v9, v96, v29 :: v_dual_and_b32 v28, 0xffff, v28
	v_lshrrev_b32_e32 v87, 16, v87
	;;#ASMSTART
	v_cvt_f32_f16 v29, v83;
	;;#ASMEND
	;;#ASMSTART
	v_cvt_f32_f16 v83, v87;
	;;#ASMEND
	s_delay_alu instid0(VALU_DEP_2)
	v_add_f32_e32 v7, v7, v9
	v_xor_b32_e32 v9, 1, v64
	;;#ASMSTART
	v_cvt_f32_f16 v86, v97;
	;;#ASMEND
	v_fmac_f32_e32 v84, v29, v86
	;;#ASMSTART
	v_cvt_f32_f16 v28, v28;
	;;#ASMEND
	v_fmac_f32_e32 v85, v83, v28
	v_cmp_gt_i32_e64 s2, 32, v9
	s_delay_alu instid0(VALU_DEP_3) | instskip(SKIP_1) | instid1(VALU_DEP_2)
	v_add_f32_e32 v7, v7, v84
	s_wait_alu 0xf1ff
	v_cndmask_b32_e64 v9, v64, v9, s2
	s_delay_alu instid0(VALU_DEP_2) | instskip(NEXT) | instid1(VALU_DEP_2)
	v_add_f32_e32 v7, v85, v7
	v_lshlrev_b32_e32 v9, 2, v9
	ds_bpermute_b32 v9, v9, v7
	s_and_saveexec_b32 s19, vcc_lo
	s_cbranch_execz .LBB268_11
; %bb.787:                              ;   in Loop: Header=BB268_13 Depth=1
	s_load_b32 s20, s[8:9], 0x0
	s_wait_dscnt 0x0
	v_add_f32_e32 v7, v7, v9
	v_add_nc_u32_e32 v28, v80, v69
	s_delay_alu instid0(VALU_DEP_1) | instskip(NEXT) | instid1(VALU_DEP_1)
	v_cvt_f32_i32_e32 v28, v28
	v_mul_f32_e32 v28, v55, v28
	s_delay_alu instid0(VALU_DEP_1) | instskip(SKIP_1) | instid1(VALU_DEP_1)
	v_cndmask_b32_e64 v9, 0, v28, s1
	v_add_nc_u32_e32 v28, v66, v69
	v_cmp_lt_i32_e64 s2, v28, v34
	s_wait_kmcnt 0x0
	v_add_nc_u32_e32 v28, s20, v71
	v_fmac_f32_e32 v9, v13, v7
	v_max_num_f32_e32 v7, v67, v67
	s_delay_alu instid0(VALU_DEP_1) | instskip(SKIP_2) | instid1(VALU_DEP_2)
	v_max_num_f32_e32 v7, v7, v9
	s_wait_alu 0xf1ff
	v_cndmask_b32_e64 v9, 0, v9, s2
	v_cndmask_b32_e64 v67, v67, v7, s2
	ds_store_b32 v28, v9
	s_branch .LBB268_11
.LBB268_788:
	s_or_b32 exec_lo, exec_lo, s18
.LBB268_789:
	s_wait_alu 0xfffe
	s_or_b32 exec_lo, exec_lo, s17
	v_xor_b32_e32 v7, 16, v64
	v_xor_b32_e32 v8, 8, v64
	v_and_b32_e32 v13, 31, v33
	v_lshlrev_b32_e32 v24, 2, v37
	s_delay_alu instid0(VALU_DEP_4)
	v_cmp_gt_i32_e32 vcc_lo, 32, v7
	s_wait_alu 0xfffd
	v_cndmask_b32_e32 v7, v64, v7, vcc_lo
	v_cmp_gt_i32_e32 vcc_lo, 32, v8
	s_wait_dscnt 0x0
	s_wait_alu 0xfffd
	v_dual_max_num_f32 v9, v67, v67 :: v_dual_cndmask_b32 v8, v64, v8
	s_delay_alu instid0(VALU_DEP_1) | instskip(SKIP_4) | instid1(VALU_DEP_1)
	v_lshlrev_b32_e32 v20, 2, v8
	v_lshlrev_b32_e32 v19, 2, v7
	ds_bpermute_b32 v7, v19, v67
	s_wait_dscnt 0x0
	v_max_num_f32_e32 v7, v7, v7
	v_max_num_f32_e32 v7, v9, v7
	v_xor_b32_e32 v9, 4, v64
	ds_bpermute_b32 v8, v20, v7
	v_cmp_gt_i32_e32 vcc_lo, 32, v9
	s_wait_alu 0xfffd
	v_cndmask_b32_e32 v9, v64, v9, vcc_lo
	s_delay_alu instid0(VALU_DEP_1) | instskip(SKIP_1) | instid1(VALU_DEP_1)
	v_lshlrev_b32_e32 v21, 2, v9
	v_xor_b32_e32 v9, 2, v64
	v_cmp_gt_i32_e32 vcc_lo, 32, v9
	s_wait_dscnt 0x0
	v_max_num_f32_e32 v8, v8, v8
	s_wait_alu 0xfffd
	v_cndmask_b32_e32 v9, v64, v9, vcc_lo
	v_cmp_eq_u32_e32 vcc_lo, 0, v13
	s_delay_alu instid0(VALU_DEP_3) | instskip(NEXT) | instid1(VALU_DEP_3)
	v_max_num_f32_e32 v7, v7, v8
	v_lshlrev_b32_e32 v9, 2, v9
	ds_bpermute_b32 v8, v21, v7
	s_wait_dscnt 0x0
	v_max_num_f32_e32 v8, v8, v8
	s_delay_alu instid0(VALU_DEP_1)
	v_max_num_f32_e32 v7, v7, v8
	ds_bpermute_b32 v8, v9, v7
	s_and_saveexec_b32 s1, vcc_lo
	s_cbranch_execz .LBB268_791
; %bb.790:
	s_wait_dscnt 0x0
	v_dual_max_num_f32 v8, v8, v8 :: v_dual_max_num_f32 v7, v7, v7
	s_delay_alu instid0(VALU_DEP_1)
	v_max_num_f32_e32 v7, v7, v8
	ds_store_b32 v24, v7 offset:384
.LBB268_791:
	s_wait_alu 0xfffe
	s_or_b32 exec_lo, exec_lo, s1
	v_cmp_gt_u32_e64 s1, 4, v13
	v_mov_b32_e32 v7, 0xff7fffff
	v_lshlrev_b32_e32 v25, 2, v13
	s_wait_loadcnt_dscnt 0x0
	s_barrier_signal -1
	s_barrier_wait -1
	global_inv scope:SCOPE_SE
	s_and_saveexec_b32 s2, s1
; %bb.792:
	ds_load_b32 v7, v25 offset:384
; %bb.793:
	s_wait_alu 0xfffe
	s_or_b32 exec_lo, exec_lo, s2
	s_wait_dscnt 0x0
	ds_bpermute_b32 v8, v9, v7
	v_xor_b32_e32 v18, 1, v64
	v_max_num_f32_e32 v7, v7, v7
	v_subrev_nc_u32_e32 v29, s16, v48
	v_mov_b32_e32 v28, 0
	s_delay_alu instid0(VALU_DEP_4) | instskip(SKIP_1) | instid1(VALU_DEP_1)
	v_cmp_gt_i32_e64 s2, 32, v18
	s_wait_alu 0xf1ff
	v_cndmask_b32_e64 v18, v64, v18, s2
	s_wait_dscnt 0x0
	v_max_num_f32_e32 v8, v8, v8
	s_delay_alu instid0(VALU_DEP_1) | instskip(SKIP_3) | instid1(VALU_DEP_1)
	v_dual_max_num_f32 v7, v7, v8 :: v_dual_lshlrev_b32 v18, 2, v18
	ds_bpermute_b32 v8, v18, v7
	s_wait_dscnt 0x0
	v_max_num_f32_e32 v8, v8, v8
	v_max_num_f32_e32 v7, v7, v8
	v_lshl_add_u32 v8, v29, 4, s15
	ds_bpermute_b32 v7, v28, v7
	v_min_i32_e32 v8, v8, v34
	s_delay_alu instid0(VALU_DEP_1) | instskip(NEXT) | instid1(VALU_DEP_1)
	v_subrev_nc_u32_e32 v8, s15, v8
	v_cmp_lt_i32_e64 s2, v33, v8
	s_and_saveexec_b32 s8, s2
	s_cbranch_execz .LBB268_797
; %bb.794:
	s_getpc_b64 s[16:17]
	s_wait_alu 0xfffe
	s_sext_i32_i16 s17, s17
	s_add_co_u32 s16, s16, llvm.amdgcn.dynlds.offset.table@rel32@lo+12
	s_wait_alu 0xfffe
	s_add_co_ci_u32 s17, s17, llvm.amdgcn.dynlds.offset.table@rel32@hi+24
	s_wait_kmcnt 0x0
	s_ashr_i32 s7, s6, 31
	v_dual_mov_b32 v28, 0 :: v_dual_mov_b32 v55, v33
	s_wait_alu 0xfffe
	s_lshl_b64 s[18:19], s[6:7], 2
	s_mov_b32 s7, 0
	s_wait_alu 0xfffe
	s_add_nc_u64 s[16:17], s[16:17], s[18:19]
	s_load_b32 s3, s[16:17], 0x0
	s_wait_kmcnt 0x0
	v_lshl_add_u32 v29, v33, 2, s3
.LBB268_795:                            ; =>This Inner Loop Header: Depth=1
	ds_load_b32 v64, v29
	s_wait_dscnt 0x0
	v_sub_f32_e32 v64, v64, v7
	s_delay_alu instid0(VALU_DEP_1) | instskip(NEXT) | instid1(VALU_DEP_1)
	v_mul_f32_e32 v64, 0x3fb8aa3b, v64
	v_exp_f32_e32 v64, v64
	s_delay_alu instid0(TRANS32_DEP_1) | instskip(NEXT) | instid1(VALU_DEP_1)
	v_dual_add_f32 v28, v28, v64 :: v_dual_add_nc_u32 v55, 0x80, v55
	v_cmp_ge_i32_e64 s3, v55, v8
	ds_store_b32 v29, v64
	v_add_nc_u32_e32 v29, 0x200, v29
	s_or_b32 s7, s3, s7
	s_wait_alu 0xfffe
	s_and_not1_b32 exec_lo, exec_lo, s7
	s_cbranch_execnz .LBB268_795
; %bb.796:
	s_or_b32 exec_lo, exec_lo, s7
.LBB268_797:
	s_wait_alu 0xfffe
	s_or_b32 exec_lo, exec_lo, s8
	ds_bpermute_b32 v19, v19, v28
	s_wait_dscnt 0x0
	v_add_f32_e32 v19, v28, v19
	ds_bpermute_b32 v20, v20, v19
	s_wait_dscnt 0x0
	v_add_f32_e32 v19, v19, v20
	;; [unrolled: 3-line block ×5, first 2 shown]
	s_and_saveexec_b32 s3, vcc_lo
; %bb.798:
	ds_store_b32 v24, v19 offset:400
; %bb.799:
	s_wait_alu 0xfffe
	s_or_b32 exec_lo, exec_lo, s3
	s_wait_loadcnt_dscnt 0x0
	s_barrier_signal -1
	s_barrier_wait -1
	global_inv scope:SCOPE_SE
	s_and_saveexec_b32 s3, s1
; %bb.800:
	ds_load_b32 v19, v25 offset:400
; %bb.801:
	s_wait_alu 0xfffe
	s_or_b32 exec_lo, exec_lo, s3
	s_wait_dscnt 0x0
	ds_bpermute_b32 v9, v9, v19
	s_wait_dscnt 0x0
	v_add_f32_e32 v9, v19, v9
	ds_bpermute_b32 v19, v18, v9
	s_wait_dscnt 0x0
	v_add_f32_e32 v9, v9, v19
	v_mov_b32_e32 v19, 0
	ds_bpermute_b32 v9, v19, v9
	s_and_saveexec_b32 s1, s2
	s_cbranch_execz .LBB268_804
; %bb.802:
	s_wait_dscnt 0x0
	v_add_f32_e32 v20, 0x358637bd, v9
	s_wait_kmcnt 0x0
	s_ashr_i32 s7, s6, 31
	s_getpc_b64 s[2:3]
	s_wait_alu 0xfffe
	s_sext_i32_i16 s3, s3
	s_add_co_u32 s2, s2, llvm.amdgcn.dynlds.offset.table@rel32@lo+12
	s_wait_alu 0xfffe
	s_add_co_ci_u32 s3, s3, llvm.amdgcn.dynlds.offset.table@rel32@hi+24
	s_lshl_b64 s[8:9], s[6:7], 2
	s_wait_alu 0xfffe
	s_add_nc_u64 s[2:3], s[2:3], s[8:9]
	v_div_scale_f32 v19, null, v20, v20, 1.0
	v_div_scale_f32 v25, vcc_lo, 1.0, v20, 1.0
	s_load_b32 s2, s[2:3], 0x0
	v_rcp_f32_e32 v21, v19
	s_delay_alu instid0(TRANS32_DEP_1) | instskip(NEXT) | instid1(VALU_DEP_1)
	v_fma_f32 v24, -v19, v21, 1.0
	v_fmac_f32_e32 v21, v24, v21
	s_delay_alu instid0(VALU_DEP_1) | instskip(NEXT) | instid1(VALU_DEP_1)
	v_mul_f32_e32 v24, v25, v21
	v_fma_f32 v28, -v19, v24, v25
	s_delay_alu instid0(VALU_DEP_1) | instskip(NEXT) | instid1(VALU_DEP_1)
	v_fmac_f32_e32 v24, v28, v21
	v_fma_f32 v19, -v19, v24, v25
	s_delay_alu instid0(VALU_DEP_1) | instskip(SKIP_3) | instid1(VALU_DEP_2)
	v_div_fmas_f32 v21, v19, v21, v24
	s_wait_kmcnt 0x0
	v_lshl_add_u32 v19, v33, 2, s2
	s_mov_b32 s2, 0
	v_div_fixup_f32 v20, v21, v20, 1.0
	v_mov_b32_e32 v21, v33
.LBB268_803:                            ; =>This Inner Loop Header: Depth=1
	ds_load_b32 v24, v19
	s_wait_dscnt 0x0
	v_dual_mul_f32 v24, v20, v24 :: v_dual_add_nc_u32 v21, 0x80, v21
	s_delay_alu instid0(VALU_DEP_1)
	v_cmp_ge_i32_e32 vcc_lo, v21, v8
	ds_store_b32 v19, v24
	v_add_nc_u32_e32 v19, 0x200, v19
	s_wait_alu 0xfffe
	s_or_b32 s2, vcc_lo, s2
	s_wait_alu 0xfffe
	s_and_not1_b32 exec_lo, exec_lo, s2
	s_cbranch_execnz .LBB268_803
.LBB268_804:
	s_wait_alu 0xfffe
	s_or_b32 exec_lo, exec_lo, s1
	s_and_b32 s1, 0xffff, s14
	s_wait_loadcnt_dscnt 0x0
	s_wait_alu 0xfffe
	s_cmp_lg_u32 s1, 0
	s_barrier_signal -1
	s_cselect_b32 s1, -1, 0
	s_barrier_wait -1
	s_wait_alu 0xfffe
	s_cmp_lg_u32 s1, 0
	global_inv scope:SCOPE_SE
	s_wait_kmcnt 0x0
	s_add_co_ci_u32 s1, s5, 0
	s_mov_b32 s5, exec_lo
	s_wait_alu 0xfffe
	s_mul_i32 s2, s1, s12
	s_wait_alu 0xfffe
	s_mul_i32 s2, s2, s13
	v_cmpx_eq_u32_e32 0, v33
	s_cbranch_execz .LBB268_806
; %bb.805:
	s_wait_alu 0xfffe
	s_ashr_i32 s3, s2, 31
	s_mul_i32 s8, s1, ttmp9
	s_wait_alu 0xfffe
	s_lshl_b64 s[12:13], s[2:3], 2
	s_ashr_i32 s9, s8, 31
	s_wait_alu 0xfffe
	v_add_co_u32 v2, vcc_lo, v2, s12
	s_wait_alu 0xfffd
	v_add_co_ci_u32_e64 v3, null, s13, v3, vcc_lo
	s_lshl_b64 s[8:9], s[8:9], 2
	s_lshl_b32 s3, s11, 2
	s_wait_alu 0xfffe
	v_add_co_u32 v2, vcc_lo, v2, s8
	s_wait_alu 0xfffd
	v_add_co_ci_u32_e64 v3, null, s9, v3, vcc_lo
	v_add_co_u32 v0, vcc_lo, v0, s12
	s_wait_alu 0xfffd
	v_add_co_ci_u32_e64 v1, null, s13, v1, vcc_lo
	s_delay_alu instid0(VALU_DEP_2) | instskip(SKIP_1) | instid1(VALU_DEP_2)
	v_add_co_u32 v8, vcc_lo, v0, s8
	s_wait_alu 0xfffd
	v_add_co_ci_u32_e64 v19, null, s9, v1, vcc_lo
	v_add_co_u32 v0, vcc_lo, v2, s3
	s_wait_alu 0xfffd
	v_add_co_ci_u32_e64 v1, null, 0, v3, vcc_lo
	v_add_co_u32 v2, vcc_lo, v8, s3
	s_wait_alu 0xfffd
	v_add_co_ci_u32_e64 v3, null, 0, v19, vcc_lo
	flat_store_b32 v[0:1], v7
	flat_store_b32 v[2:3], v9
.LBB268_806:
	s_or_b32 exec_lo, exec_lo, s5
	s_getpc_b64 s[8:9]
	s_wait_alu 0xfffe
	s_sext_i32_i16 s9, s9
	s_add_co_u32 s8, s8, llvm.amdgcn.dynlds.offset.table@rel32@lo+12
	s_wait_alu 0xfffe
	s_add_co_ci_u32 s9, s9, llvm.amdgcn.dynlds.offset.table@rel32@hi+24
	s_ashr_i32 s7, s6, 31
	v_dual_mov_b32 v67, 0 :: v_dual_mov_b32 v66, 0
	s_wait_alu 0xfffe
	s_lshl_b64 s[6:7], s[6:7], 2
	v_dual_mov_b32 v65, 0 :: v_dual_mov_b32 v64, 0
	s_wait_alu 0xfffe
	s_add_nc_u64 s[6:7], s[8:9], s[6:7]
	v_dual_mov_b32 v55, 0 :: v_dual_mov_b32 v28, 0
	s_load_b32 s5, s[6:7], 0x0
	v_dual_mov_b32 v29, 0 :: v_dual_mov_b32 v24, 0
	v_dual_mov_b32 v25, 0 :: v_dual_mov_b32 v20, 0
	v_mov_b32_e32 v21, 0
	s_wait_kmcnt 0x0
	v_dual_mov_b32 v19, 0 :: v_dual_mov_b32 v68, s5
	s_and_saveexec_b32 s3, s0
	s_cbranch_execz .LBB268_1604
; %bb.807:
	v_max_i32_e32 v30, v30, v53
	v_add_co_u32 v2, vcc_lo, v10, v51
	s_wait_alu 0xfffd
	v_add_co_ci_u32_e64 v3, null, v11, v54, vcc_lo
	s_delay_alu instid0(VALU_DEP_3) | instskip(SKIP_3) | instid1(VALU_DEP_4)
	v_cvt_f32_u32_e32 v0, v30
	v_sub_nc_u32_e32 v11, 0, v30
	v_dual_mov_b32 v19, 0 :: v_dual_and_b32 v10, 1, v33
	v_mov_b32_e32 v65, 0
	v_rcp_iflag_f32_e32 v0, v0
	v_and_b32_e32 v53, 8, v50
	s_delay_alu instid0(VALU_DEP_3)
	v_lshlrev_b32_e32 v10, 5, v10
	v_dual_mov_b32 v20, 0 :: v_dual_and_b32 v7, 0xf8, v50
	v_add_co_u32 v8, vcc_lo, v16, v12
	s_wait_alu 0xfffd
	v_add_co_ci_u32_e64 v9, null, 0, v17, vcc_lo
	v_lshl_or_b32 v10, v37, 6, v10
	s_delay_alu instid0(TRANS32_DEP_1) | instskip(SKIP_3) | instid1(VALU_DEP_3)
	v_mul_f32_e32 v0, 0x4f7ffffe, v0
	v_add_co_u32 v2, vcc_lo, v2, v7
	s_wait_alu 0xfffd
	v_add_co_ci_u32_e64 v3, null, 0, v3, vcc_lo
	v_cvt_u32_f32_e32 v0, v0
	v_add_co_u32 v7, vcc_lo, v14, v8
	v_dual_mov_b32 v1, 0 :: v_dual_add_nc_u32 v50, -1, v52
	s_delay_alu instid0(VALU_DEP_3)
	v_mul_lo_u32 v11, v11, v0
	v_dual_mov_b32 v21, 0 :: v_dual_mov_b32 v24, 0
	v_dual_mov_b32 v25, 0 :: v_dual_mov_b32 v28, 0
	;; [unrolled: 1-line block ×4, first 2 shown]
	v_mul_hi_u32 v11, v0, v11
	s_wait_alu 0xfffd
	v_add_co_ci_u32_e64 v8, null, v15, v9, vcc_lo
	v_dual_mov_b32 v67, 0 :: v_dual_add_nc_u32 v14, s5, v10
	s_mov_b32 s8, -1
	s_mov_b32 s9, 0xffffff
	s_mov_b32 s5, 0
	s_delay_alu instid0(VALU_DEP_3)
	v_add_nc_u32_e32 v15, v0, v11
	s_branch .LBB268_810
.LBB268_808:                            ;   in Loop: Header=BB268_810 Depth=1
	s_wait_alu 0xfffe
	s_or_b32 exec_lo, exec_lo, s0
	v_dual_add_f32 v11, v11, v12 :: v_dual_add_f32 v12, v117, v118
	v_dual_add_f32 v54, v113, v114 :: v_dual_add_f32 v69, v99, v100
	s_delay_alu instid0(VALU_DEP_2) | instskip(SKIP_1) | instid1(VALU_DEP_3)
	v_dual_add_f32 v20, v20, v11 :: v_dual_add_f32 v21, v21, v12
	v_dual_add_f32 v11, v103, v112 :: v_dual_add_f32 v12, v101, v102
	;; [unrolled: 1-line block ×3, first 2 shown]
	s_delay_alu instid0(VALU_DEP_2) | instskip(NEXT) | instid1(VALU_DEP_3)
	v_dual_add_f32 v55, v55, v69 :: v_dual_add_f32 v28, v28, v11
	v_add_f32_e32 v29, v29, v12
	;;#ASMSTART
	v_pk_mul_f16 v12, v81, v119;

	;;#ASMEND
	;;#ASMSTART
	v_pk_mul_f16 v10, v70, v10;

	;;#ASMEND
	;; [unrolled: 4-line block ×4, first 2 shown]
	;;#ASMSTART
	v_pk_add_f16 v10, v12, v10;

	;;#ASMEND
	;;#ASMSTART
	v_pk_add_f16 v9, v10, v9;

	;;#ASMEND
	;;#ASMSTART
	v_pk_add_f16 v0, v9, v0;

	;;#ASMEND
	v_dual_add_f32 v11, v97, v98 :: v_dual_and_b32 v12, 0xffff, v0
	v_add_f32_e32 v24, v24, v16
	v_lshrrev_b32_e32 v16, 16, v0
	;;#ASMSTART
	v_cvt_f32_f16 v12, v12;
	;;#ASMEND
	v_dual_add_f32 v0, v87, v96 :: v_dual_add_f32 v9, v85, v86
	;;#ASMSTART
	v_cvt_f32_f16 v16, v16;
	;;#ASMEND
	s_delay_alu instid0(VALU_DEP_2) | instskip(SKIP_1) | instid1(VALU_DEP_3)
	v_add_f32_e32 v12, v12, v16
	v_add_f32_e32 v10, v17, v51
	v_dual_add_f32 v64, v64, v11 :: v_dual_add_f32 v65, v65, v0
	s_delay_alu instid0(VALU_DEP_3) | instskip(NEXT) | instid1(VALU_DEP_3)
	v_dual_add_f32 v66, v66, v9 :: v_dual_add_f32 v19, v19, v12
	v_add_f32_e32 v67, v67, v10
.LBB268_809:                            ;   in Loop: Header=BB268_810 Depth=1
	s_wait_alu 0xfffe
	s_or_b32 exec_lo, exec_lo, s12
	v_add_nc_u32_e32 v23, 4, v23
	v_add_co_u32 v7, s0, v7, 16
	s_wait_alu 0xf1ff
	v_add_co_ci_u32_e64 v8, null, 0, v8, s0
	s_delay_alu instid0(VALU_DEP_3)
	v_cmp_ge_i32_e32 vcc_lo, v23, v48
	v_add_nc_u32_e32 v39, 64, v39
	v_add_nc_u32_e32 v14, 0x100, v14
	s_or_b32 s5, vcc_lo, s5
	s_wait_alu 0xfffe
	s_and_not1_b32 exec_lo, exec_lo, s5
	s_cbranch_execz .LBB268_1603
.LBB268_810:                            ; =>This Inner Loop Header: Depth=1
	v_sub_nc_u32_e32 v0, 0, v39
	s_delay_alu instid0(VALU_DEP_1) | instskip(NEXT) | instid1(VALU_DEP_1)
	v_max_i32_e32 v0, v39, v0
	v_mul_hi_u32 v9, v0, v36
	s_delay_alu instid0(VALU_DEP_1) | instskip(NEXT) | instid1(VALU_DEP_1)
	v_mul_lo_u32 v10, v9, v35
	v_sub_nc_u32_e32 v0, v0, v10
	v_add_nc_u32_e32 v10, 1, v9
	s_delay_alu instid0(VALU_DEP_2) | instskip(SKIP_2) | instid1(VALU_DEP_2)
	v_sub_nc_u32_e32 v11, v0, v35
	v_cmp_ge_u32_e32 vcc_lo, v0, v35
	s_wait_alu 0xfffd
	v_dual_cndmask_b32 v9, v9, v10 :: v_dual_cndmask_b32 v0, v0, v11
	v_ashrrev_i32_e32 v10, 31, v39
	s_delay_alu instid0(VALU_DEP_2) | instskip(NEXT) | instid1(VALU_DEP_3)
	v_add_nc_u32_e32 v11, 1, v9
	v_cmp_ge_u32_e32 vcc_lo, v0, v35
	s_delay_alu instid0(VALU_DEP_3) | instskip(SKIP_1) | instid1(VALU_DEP_3)
	v_xor_b32_e32 v10, v10, v38
	s_wait_alu 0xfffd
	v_cndmask_b32_e32 v0, v9, v11, vcc_lo
	s_delay_alu instid0(VALU_DEP_1) | instskip(NEXT) | instid1(VALU_DEP_1)
	v_xor_b32_e32 v0, v0, v10
	v_sub_nc_u32_e32 v0, v0, v10
	s_delay_alu instid0(VALU_DEP_1) | instskip(SKIP_1) | instid1(VALU_DEP_2)
	v_add_nc_u32_e32 v9, v0, v6
	v_cmp_gt_i32_e64 s0, v0, v49
	v_sub_nc_u32_e32 v10, 0, v9
	s_delay_alu instid0(VALU_DEP_1) | instskip(NEXT) | instid1(VALU_DEP_1)
	v_max_i32_e32 v10, v9, v10
	v_mul_hi_u32 v11, v10, v15
	s_delay_alu instid0(VALU_DEP_1) | instskip(NEXT) | instid1(VALU_DEP_1)
	v_mul_lo_u32 v11, v11, v30
	v_sub_nc_u32_e32 v10, v10, v11
	s_delay_alu instid0(VALU_DEP_1) | instskip(SKIP_2) | instid1(VALU_DEP_2)
	v_sub_nc_u32_e32 v11, v10, v30
	v_cmp_ge_u32_e32 vcc_lo, v10, v30
	s_wait_alu 0xfffd
	v_cndmask_b32_e32 v10, v10, v11, vcc_lo
	v_ashrrev_i32_e32 v9, 31, v9
	s_delay_alu instid0(VALU_DEP_2) | instskip(SKIP_2) | instid1(VALU_DEP_2)
	v_sub_nc_u32_e32 v11, v10, v30
	v_cmp_ge_u32_e32 vcc_lo, v10, v30
	s_wait_alu 0xfffd
	v_cndmask_b32_e32 v10, v10, v11, vcc_lo
	s_delay_alu instid0(VALU_DEP_1) | instskip(NEXT) | instid1(VALU_DEP_1)
	v_xor_b32_e32 v10, v10, v9
	v_sub_nc_u32_e32 v9, v10, v9
	s_delay_alu instid0(VALU_DEP_1)
	v_cmp_eq_u32_e32 vcc_lo, 0, v9
	s_or_b32 s0, vcc_lo, s0
	s_wait_alu 0xfffe
	s_and_saveexec_b32 s12, s0
	s_cbranch_execz .LBB268_809
; %bb.811:                              ;   in Loop: Header=BB268_810 Depth=1
	flat_load_b32 v0, v[7:8]
	ds_load_2addr_b64 v[68:71], v14 offset1:1
	ds_load_2addr_b64 v[81:84], v14 offset0:2 offset1:3
	s_mov_b32 s0, exec_lo
	s_wait_dscnt 0x1
	;;#ASMSTART
	v_cvt_f16_f32 v17, v68;

	;;#ASMEND
	;;#ASMSTART
	v_cvt_f16_f32 v51, v69;

	;;#ASMEND
	;; [unrolled: 4-line block ×4, first 2 shown]
	s_wait_dscnt 0x0
	;;#ASMSTART
	v_cvt_f16_f32 v81, v81;

	;;#ASMEND
	;;#ASMSTART
	v_cvt_f16_f32 v68, v82;

	;;#ASMEND
	;; [unrolled: 4-line block ×4, first 2 shown]
	v_mov_b32_e32 v71, 0
	v_mov_b32_e32 v69, 0
	s_wait_loadcnt 0x0
	v_mad_co_i64_i32 v[9:10], null, v0, v22, v[2:3]
	flat_load_b64 v[11:12], v[9:10]
	flat_load_b32 v54, v[26:27]
	s_wait_loadcnt_dscnt 0x101
	v_and_b32_e32 v0, 0xff, v11
	s_delay_alu instid0(VALU_DEP_1)
	v_cmpx_ne_u16_e32 0, v0
	s_cbranch_execz .LBB268_819
; %bb.812:                              ;   in Loop: Header=BB268_810 Depth=1
	v_mov_b32_e32 v71, 0x8000
	s_mov_b32 s13, exec_lo
	v_cmpx_ne_u16_e32 0x80, v0
	s_cbranch_execz .LBB268_818
; %bb.813:                              ;   in Loop: Header=BB268_810 Depth=1
	v_and_b32_e32 v80, 0x7f, v11
	v_mov_b32_e32 v71, 0x7c01
	s_mov_b32 s14, exec_lo
	s_delay_alu instid0(VALU_DEP_2)
	v_cmpx_ne_u32_e32 0x7f, v80
	s_cbranch_execz .LBB268_817
; %bb.814:                              ;   in Loop: Header=BB268_810 Depth=1
	v_and_b32_e32 v0, 7, v11
	v_lshrrev_b32_e32 v16, 3, v80
	s_mov_b32 s15, exec_lo
	v_cmpx_gt_u32_e32 8, v80
; %bb.815:                              ;   in Loop: Header=BB268_810 Depth=1
	s_delay_alu instid0(VALU_DEP_3) | instskip(NEXT) | instid1(VALU_DEP_1)
	v_clz_i32_u32_e32 v0, v0
	v_min_u32_e32 v0, 32, v0
	s_delay_alu instid0(VALU_DEP_1) | instskip(NEXT) | instid1(VALU_DEP_1)
	v_subrev_nc_u32_e32 v16, 28, v0
	v_lshlrev_b64_e32 v[82:83], v16, v[11:12]
	v_sub_nc_u32_e32 v16, 29, v0
	s_delay_alu instid0(VALU_DEP_2)
	v_and_b32_e32 v0, 7, v82
; %bb.816:                              ;   in Loop: Header=BB268_810 Depth=1
	s_wait_alu 0xfffe
	s_or_b32 exec_lo, exec_lo, s15
	v_lshlrev_b32_e32 v71, 8, v11
	v_lshl_add_u32 v16, v16, 10, 0x2000
	v_lshlrev_b32_e32 v0, 7, v0
	s_delay_alu instid0(VALU_DEP_3) | instskip(NEXT) | instid1(VALU_DEP_3)
	v_and_b32_e32 v71, 0x8000, v71
	v_and_b32_e32 v16, 0xfc00, v16
	s_delay_alu instid0(VALU_DEP_1)
	v_or3_b32 v71, v71, v16, v0
.LBB268_817:                            ;   in Loop: Header=BB268_810 Depth=1
	s_wait_alu 0xfffe
	s_or_b32 exec_lo, exec_lo, s14
.LBB268_818:                            ;   in Loop: Header=BB268_810 Depth=1
	s_wait_alu 0xfffe
	s_or_b32 exec_lo, exec_lo, s13
.LBB268_819:                            ;   in Loop: Header=BB268_810 Depth=1
	s_wait_alu 0xfffe
	s_or_b32 exec_lo, exec_lo, s0
	v_lshrrev_b16 v0, 8, v11
	s_mov_b32 s0, exec_lo
	s_delay_alu instid0(VALU_DEP_1)
	v_cmpx_ne_u16_e32 0, v0
	s_cbranch_execz .LBB268_827
; %bb.820:                              ;   in Loop: Header=BB268_810 Depth=1
	v_bfrev_b32_e32 v69, 1
	s_mov_b32 s13, exec_lo
	v_cmpx_ne_u16_e32 0x80, v0
	s_cbranch_execz .LBB268_826
; %bb.821:                              ;   in Loop: Header=BB268_810 Depth=1
	v_and_b32_e32 v16, 0xffff, v0
	v_mov_b32_e32 v69, 0x7c010000
	s_mov_b32 s14, exec_lo
	s_delay_alu instid0(VALU_DEP_2) | instskip(NEXT) | instid1(VALU_DEP_1)
	v_and_b32_e32 v82, 0x7f, v16
	v_cmpx_ne_u32_e32 0x7f, v82
	s_cbranch_execz .LBB268_825
; %bb.822:                              ;   in Loop: Header=BB268_810 Depth=1
	v_and_b32_e32 v69, 7, v16
	v_lshrrev_b32_e32 v80, 3, v82
	s_mov_b32 s15, exec_lo
	v_cmpx_gt_u32_e32 8, v82
; %bb.823:                              ;   in Loop: Header=BB268_810 Depth=1
	s_delay_alu instid0(VALU_DEP_3) | instskip(NEXT) | instid1(VALU_DEP_1)
	v_clz_i32_u32_e32 v69, v69
	v_min_u32_e32 v69, 32, v69
	s_delay_alu instid0(VALU_DEP_1) | instskip(NEXT) | instid1(VALU_DEP_1)
	v_subrev_nc_u32_e32 v80, 28, v69
	v_lshlrev_b64_e32 v[82:83], v80, v[0:1]
	v_sub_nc_u32_e32 v80, 29, v69
	s_delay_alu instid0(VALU_DEP_2)
	v_and_b32_e32 v69, 7, v82
; %bb.824:                              ;   in Loop: Header=BB268_810 Depth=1
	s_wait_alu 0xfffe
	s_or_b32 exec_lo, exec_lo, s15
	v_lshlrev_b32_e32 v0, 8, v16
	v_lshl_add_u32 v16, v80, 10, 0x2000
	s_delay_alu instid0(VALU_DEP_1) | instskip(SKIP_1) | instid1(VALU_DEP_1)
	v_and_or_b32 v0, 0x8000, v0, v16
	v_lshlrev_b32_e32 v16, 23, v69
	v_lshl_or_b32 v69, v0, 16, v16
.LBB268_825:                            ;   in Loop: Header=BB268_810 Depth=1
	s_wait_alu 0xfffe
	s_or_b32 exec_lo, exec_lo, s14
.LBB268_826:                            ;   in Loop: Header=BB268_810 Depth=1
	s_wait_alu 0xfffe
	s_or_b32 exec_lo, exec_lo, s13
.LBB268_827:                            ;   in Loop: Header=BB268_810 Depth=1
	s_wait_alu 0xfffe
	s_or_b32 exec_lo, exec_lo, s0
	v_lshrrev_b32_e32 v0, 16, v11
	v_mov_b32_e32 v80, 0
	v_mov_b32_e32 v16, 0
	s_mov_b32 s0, exec_lo
	s_delay_alu instid0(VALU_DEP_3) | instskip(NEXT) | instid1(VALU_DEP_1)
	v_and_b32_e32 v82, 0xff, v0
	v_cmpx_ne_u16_e32 0, v82
	s_cbranch_execz .LBB268_835
; %bb.828:                              ;   in Loop: Header=BB268_810 Depth=1
	v_mov_b32_e32 v16, 0x8000
	s_mov_b32 s13, exec_lo
	v_cmpx_ne_u16_e32 0x80, v82
	s_cbranch_execz .LBB268_834
; %bb.829:                              ;   in Loop: Header=BB268_810 Depth=1
	v_bfe_u32 v83, v11, 16, 7
	v_mov_b32_e32 v16, 0x7c01
	s_mov_b32 s14, exec_lo
	s_delay_alu instid0(VALU_DEP_2)
	v_cmpx_ne_u32_e32 0x7f, v83
	s_cbranch_execz .LBB268_833
; %bb.830:                              ;   in Loop: Header=BB268_810 Depth=1
	v_and_b32_e32 v16, 7, v0
	v_lshrrev_b32_e32 v82, 3, v83
	s_mov_b32 s15, exec_lo
	v_cmpx_gt_u32_e32 8, v83
; %bb.831:                              ;   in Loop: Header=BB268_810 Depth=1
	s_delay_alu instid0(VALU_DEP_3) | instskip(NEXT) | instid1(VALU_DEP_1)
	v_clz_i32_u32_e32 v16, v16
	v_min_u32_e32 v16, 32, v16
	s_delay_alu instid0(VALU_DEP_1) | instskip(NEXT) | instid1(VALU_DEP_1)
	v_subrev_nc_u32_e32 v82, 28, v16
	v_lshlrev_b64_e32 v[83:84], v82, v[0:1]
	v_sub_nc_u32_e32 v82, 29, v16
	s_delay_alu instid0(VALU_DEP_2)
	v_and_b32_e32 v16, 7, v83
; %bb.832:                              ;   in Loop: Header=BB268_810 Depth=1
	s_wait_alu 0xfffe
	s_or_b32 exec_lo, exec_lo, s15
	v_lshlrev_b32_e32 v0, 8, v0
	v_lshl_add_u32 v82, v82, 10, 0x2000
	v_lshlrev_b32_e32 v16, 7, v16
	s_delay_alu instid0(VALU_DEP_3) | instskip(NEXT) | instid1(VALU_DEP_3)
	v_and_b32_e32 v0, 0x8000, v0
	v_and_b32_e32 v82, 0xfc00, v82
	s_delay_alu instid0(VALU_DEP_1)
	v_or3_b32 v16, v0, v82, v16
.LBB268_833:                            ;   in Loop: Header=BB268_810 Depth=1
	s_wait_alu 0xfffe
	s_or_b32 exec_lo, exec_lo, s14
.LBB268_834:                            ;   in Loop: Header=BB268_810 Depth=1
	s_wait_alu 0xfffe
	s_or_b32 exec_lo, exec_lo, s13
.LBB268_835:                            ;   in Loop: Header=BB268_810 Depth=1
	s_wait_alu 0xfffe
	s_or_b32 exec_lo, exec_lo, s0
	s_delay_alu instid0(SALU_CYCLE_1)
	s_mov_b32 s0, exec_lo
	v_cmpx_lt_u32_e32 0xffffff, v11
	s_cbranch_execz .LBB268_843
; %bb.836:                              ;   in Loop: Header=BB268_810 Depth=1
	v_lshrrev_b32_e32 v0, 24, v11
	v_bfrev_b32_e32 v80, 1
	s_mov_b32 s13, exec_lo
	s_delay_alu instid0(VALU_DEP_2)
	v_cmpx_ne_u32_e32 0x80, v0
	s_cbranch_execz .LBB268_842
; %bb.837:                              ;   in Loop: Header=BB268_810 Depth=1
	v_and_b32_e32 v83, 0x7f, v0
	v_mov_b32_e32 v80, 0x7c010000
	s_mov_b32 s14, exec_lo
	s_delay_alu instid0(VALU_DEP_2)
	v_cmpx_ne_u32_e32 0x7f, v83
	s_cbranch_execz .LBB268_841
; %bb.838:                              ;   in Loop: Header=BB268_810 Depth=1
	v_and_b32_e32 v80, 7, v0
	v_lshrrev_b32_e32 v82, 3, v83
	s_mov_b32 s15, exec_lo
	v_cmpx_gt_u32_e32 8, v83
; %bb.839:                              ;   in Loop: Header=BB268_810 Depth=1
	s_delay_alu instid0(VALU_DEP_3) | instskip(NEXT) | instid1(VALU_DEP_1)
	v_clz_i32_u32_e32 v80, v80
	v_min_u32_e32 v80, 32, v80
	s_delay_alu instid0(VALU_DEP_1) | instskip(NEXT) | instid1(VALU_DEP_1)
	v_subrev_nc_u32_e32 v82, 28, v80
	v_lshlrev_b64_e32 v[83:84], v82, v[0:1]
	v_sub_nc_u32_e32 v82, 29, v80
	s_delay_alu instid0(VALU_DEP_2)
	v_and_b32_e32 v80, 7, v83
; %bb.840:                              ;   in Loop: Header=BB268_810 Depth=1
	s_wait_alu 0xfffe
	s_or_b32 exec_lo, exec_lo, s15
	v_lshlrev_b32_e32 v0, 8, v0
	v_lshl_add_u32 v82, v82, 10, 0x2000
	v_lshlrev_b32_e32 v80, 23, v80
	s_delay_alu instid0(VALU_DEP_2) | instskip(NEXT) | instid1(VALU_DEP_1)
	v_and_or_b32 v0, 0x8000, v0, v82
	v_lshl_or_b32 v80, v0, 16, v80
.LBB268_841:                            ;   in Loop: Header=BB268_810 Depth=1
	s_wait_alu 0xfffe
	s_or_b32 exec_lo, exec_lo, s14
.LBB268_842:                            ;   in Loop: Header=BB268_810 Depth=1
	s_wait_alu 0xfffe
	s_or_b32 exec_lo, exec_lo, s13
.LBB268_843:                            ;   in Loop: Header=BB268_810 Depth=1
	s_wait_alu 0xfffe
	s_or_b32 exec_lo, exec_lo, s0
	v_dual_mov_b32 v83, 0 :: v_dual_and_b32 v84, 0xff, v12
	v_mov_b32_e32 v0, v12
	v_mov_b32_e32 v82, 0
	s_mov_b32 s0, exec_lo
	s_delay_alu instid0(VALU_DEP_3)
	v_cmpx_ne_u16_e32 0, v84
	s_cbranch_execz .LBB268_851
; %bb.844:                              ;   in Loop: Header=BB268_810 Depth=1
	v_mov_b32_e32 v83, 0x8000
	s_mov_b32 s13, exec_lo
	v_cmpx_ne_u16_e32 0x80, v84
	s_cbranch_execz .LBB268_850
; %bb.845:                              ;   in Loop: Header=BB268_810 Depth=1
	v_and_b32_e32 v87, 0x7f, v12
	v_mov_b32_e32 v83, 0x7c01
	s_mov_b32 s14, exec_lo
	s_delay_alu instid0(VALU_DEP_2)
	v_cmpx_ne_u32_e32 0x7f, v87
	s_cbranch_execz .LBB268_849
; %bb.846:                              ;   in Loop: Header=BB268_810 Depth=1
	v_and_b32_e32 v83, 7, v12
	v_lshrrev_b32_e32 v84, 3, v87
	s_mov_b32 s15, exec_lo
	v_cmpx_gt_u32_e32 8, v87
; %bb.847:                              ;   in Loop: Header=BB268_810 Depth=1
	s_delay_alu instid0(VALU_DEP_3) | instskip(NEXT) | instid1(VALU_DEP_1)
	v_clz_i32_u32_e32 v83, v83
	v_min_u32_e32 v87, 32, v83
	s_delay_alu instid0(VALU_DEP_1) | instskip(NEXT) | instid1(VALU_DEP_1)
	v_subrev_nc_u32_e32 v83, 28, v87
	v_lshlrev_b64_e32 v[83:84], v83, v[0:1]
	v_sub_nc_u32_e32 v84, 29, v87
	s_delay_alu instid0(VALU_DEP_2)
	v_and_b32_e32 v83, 7, v83
; %bb.848:                              ;   in Loop: Header=BB268_810 Depth=1
	s_wait_alu 0xfffe
	s_or_b32 exec_lo, exec_lo, s15
	v_lshlrev_b32_e32 v87, 8, v12
	v_lshl_add_u32 v84, v84, 10, 0x2000
	v_lshlrev_b32_e32 v83, 7, v83
	s_delay_alu instid0(VALU_DEP_3) | instskip(NEXT) | instid1(VALU_DEP_3)
	v_and_b32_e32 v87, 0x8000, v87
	v_and_b32_e32 v84, 0xfc00, v84
	s_delay_alu instid0(VALU_DEP_1)
	v_or3_b32 v83, v87, v84, v83
.LBB268_849:                            ;   in Loop: Header=BB268_810 Depth=1
	s_wait_alu 0xfffe
	s_or_b32 exec_lo, exec_lo, s14
.LBB268_850:                            ;   in Loop: Header=BB268_810 Depth=1
	s_wait_alu 0xfffe
	s_or_b32 exec_lo, exec_lo, s13
.LBB268_851:                            ;   in Loop: Header=BB268_810 Depth=1
	s_wait_alu 0xfffe
	s_or_b32 exec_lo, exec_lo, s0
	v_lshrrev_b16 v0, 8, v0
	v_mov_b32_e32 v84, 0
	s_mov_b32 s0, exec_lo
	s_delay_alu instid0(VALU_DEP_2)
	v_cmpx_ne_u16_e32 0, v0
	s_cbranch_execz .LBB268_859
; %bb.852:                              ;   in Loop: Header=BB268_810 Depth=1
	v_bfrev_b32_e32 v84, 1
	s_mov_b32 s13, exec_lo
	v_cmpx_ne_u16_e32 0x80, v0
	s_cbranch_execz .LBB268_858
; %bb.853:                              ;   in Loop: Header=BB268_810 Depth=1
	v_and_b32_e32 v87, 0xffff, v0
	v_mov_b32_e32 v84, 0x7c010000
	s_mov_b32 s14, exec_lo
	s_delay_alu instid0(VALU_DEP_2) | instskip(NEXT) | instid1(VALU_DEP_1)
	v_and_b32_e32 v97, 0x7f, v87
	v_cmpx_ne_u32_e32 0x7f, v97
	s_cbranch_execz .LBB268_857
; %bb.854:                              ;   in Loop: Header=BB268_810 Depth=1
	v_and_b32_e32 v84, 7, v87
	v_lshrrev_b32_e32 v96, 3, v97
	s_mov_b32 s15, exec_lo
	v_cmpx_gt_u32_e32 8, v97
; %bb.855:                              ;   in Loop: Header=BB268_810 Depth=1
	s_delay_alu instid0(VALU_DEP_3) | instskip(NEXT) | instid1(VALU_DEP_1)
	v_clz_i32_u32_e32 v84, v84
	v_min_u32_e32 v84, 32, v84
	s_delay_alu instid0(VALU_DEP_1) | instskip(NEXT) | instid1(VALU_DEP_1)
	v_subrev_nc_u32_e32 v96, 28, v84
	v_lshlrev_b64_e32 v[97:98], v96, v[0:1]
	v_sub_nc_u32_e32 v96, 29, v84
	s_delay_alu instid0(VALU_DEP_2)
	v_and_b32_e32 v84, 7, v97
; %bb.856:                              ;   in Loop: Header=BB268_810 Depth=1
	s_wait_alu 0xfffe
	s_or_b32 exec_lo, exec_lo, s15
	v_lshlrev_b32_e32 v0, 8, v87
	v_lshl_add_u32 v87, v96, 10, 0x2000
	v_lshlrev_b32_e32 v84, 23, v84
	s_delay_alu instid0(VALU_DEP_2) | instskip(NEXT) | instid1(VALU_DEP_1)
	v_and_or_b32 v0, 0x8000, v0, v87
	v_lshl_or_b32 v84, v0, 16, v84
.LBB268_857:                            ;   in Loop: Header=BB268_810 Depth=1
	s_wait_alu 0xfffe
	s_or_b32 exec_lo, exec_lo, s14
.LBB268_858:                            ;   in Loop: Header=BB268_810 Depth=1
	s_wait_alu 0xfffe
	s_or_b32 exec_lo, exec_lo, s13
.LBB268_859:                            ;   in Loop: Header=BB268_810 Depth=1
	s_wait_alu 0xfffe
	s_or_b32 exec_lo, exec_lo, s0
	v_lshrrev_b32_e32 v0, 16, v12
	s_mov_b32 s0, exec_lo
	s_delay_alu instid0(VALU_DEP_1) | instskip(NEXT) | instid1(VALU_DEP_1)
	v_and_b32_e32 v87, 0xff, v0
	v_cmpx_ne_u16_e32 0, v87
	s_cbranch_execz .LBB268_867
; %bb.860:                              ;   in Loop: Header=BB268_810 Depth=1
	v_mov_b32_e32 v82, 0x8000
	s_mov_b32 s13, exec_lo
	v_cmpx_ne_u16_e32 0x80, v87
	s_cbranch_execz .LBB268_866
; %bb.861:                              ;   in Loop: Header=BB268_810 Depth=1
	v_bfe_u32 v96, v12, 16, 7
	v_mov_b32_e32 v82, 0x7c01
	s_mov_b32 s14, exec_lo
	s_delay_alu instid0(VALU_DEP_2)
	v_cmpx_ne_u32_e32 0x7f, v96
	s_cbranch_execz .LBB268_865
; %bb.862:                              ;   in Loop: Header=BB268_810 Depth=1
	v_and_b32_e32 v82, 7, v0
	v_lshrrev_b32_e32 v87, 3, v96
	s_mov_b32 s15, exec_lo
	v_cmpx_gt_u32_e32 8, v96
; %bb.863:                              ;   in Loop: Header=BB268_810 Depth=1
	s_delay_alu instid0(VALU_DEP_3) | instskip(NEXT) | instid1(VALU_DEP_1)
	v_clz_i32_u32_e32 v82, v82
	v_min_u32_e32 v82, 32, v82
	s_delay_alu instid0(VALU_DEP_1) | instskip(NEXT) | instid1(VALU_DEP_1)
	v_subrev_nc_u32_e32 v87, 28, v82
	v_lshlrev_b64_e32 v[96:97], v87, v[0:1]
	v_sub_nc_u32_e32 v87, 29, v82
	s_delay_alu instid0(VALU_DEP_2)
	v_and_b32_e32 v82, 7, v96
; %bb.864:                              ;   in Loop: Header=BB268_810 Depth=1
	s_wait_alu 0xfffe
	s_or_b32 exec_lo, exec_lo, s15
	v_lshlrev_b32_e32 v0, 8, v0
	v_lshl_add_u32 v87, v87, 10, 0x2000
	v_lshlrev_b32_e32 v82, 7, v82
	s_delay_alu instid0(VALU_DEP_3) | instskip(NEXT) | instid1(VALU_DEP_3)
	v_and_b32_e32 v0, 0x8000, v0
	v_and_b32_e32 v87, 0xfc00, v87
	s_delay_alu instid0(VALU_DEP_1)
	v_or3_b32 v82, v0, v87, v82
.LBB268_865:                            ;   in Loop: Header=BB268_810 Depth=1
	s_wait_alu 0xfffe
	s_or_b32 exec_lo, exec_lo, s14
.LBB268_866:                            ;   in Loop: Header=BB268_810 Depth=1
	s_wait_alu 0xfffe
	s_or_b32 exec_lo, exec_lo, s13
.LBB268_867:                            ;   in Loop: Header=BB268_810 Depth=1
	s_wait_alu 0xfffe
	s_or_b32 exec_lo, exec_lo, s0
	v_cmp_lt_u64_e32 vcc_lo, s[8:9], v[11:12]
	v_mov_b32_e32 v11, 0
	s_and_saveexec_b32 s0, vcc_lo
	s_cbranch_execz .LBB268_875
; %bb.868:                              ;   in Loop: Header=BB268_810 Depth=1
	v_lshrrev_b32_e32 v0, 24, v12
	v_bfrev_b32_e32 v11, 1
	s_mov_b32 s13, exec_lo
	s_delay_alu instid0(VALU_DEP_2)
	v_cmpx_ne_u32_e32 0x80, v0
	s_cbranch_execz .LBB268_874
; %bb.869:                              ;   in Loop: Header=BB268_810 Depth=1
	v_and_b32_e32 v87, 0x7f, v0
	v_mov_b32_e32 v11, 0x7c010000
	s_mov_b32 s14, exec_lo
	s_delay_alu instid0(VALU_DEP_2)
	v_cmpx_ne_u32_e32 0x7f, v87
	s_cbranch_execz .LBB268_873
; %bb.870:                              ;   in Loop: Header=BB268_810 Depth=1
	v_and_b32_e32 v11, 7, v0
	v_lshrrev_b32_e32 v12, 3, v87
	s_mov_b32 s15, exec_lo
	v_cmpx_gt_u32_e32 8, v87
; %bb.871:                              ;   in Loop: Header=BB268_810 Depth=1
	s_delay_alu instid0(VALU_DEP_3) | instskip(NEXT) | instid1(VALU_DEP_1)
	v_clz_i32_u32_e32 v11, v11
	v_min_u32_e32 v87, 32, v11
	s_delay_alu instid0(VALU_DEP_1) | instskip(NEXT) | instid1(VALU_DEP_1)
	v_subrev_nc_u32_e32 v11, 28, v87
	v_lshlrev_b64_e32 v[11:12], v11, v[0:1]
	v_sub_nc_u32_e32 v12, 29, v87
	s_delay_alu instid0(VALU_DEP_2)
	v_and_b32_e32 v11, 7, v11
; %bb.872:                              ;   in Loop: Header=BB268_810 Depth=1
	s_wait_alu 0xfffe
	s_or_b32 exec_lo, exec_lo, s15
	v_lshlrev_b32_e32 v0, 8, v0
	v_lshl_add_u32 v12, v12, 10, 0x2000
	v_lshlrev_b32_e32 v11, 23, v11
	s_delay_alu instid0(VALU_DEP_2) | instskip(NEXT) | instid1(VALU_DEP_1)
	v_and_or_b32 v0, 0x8000, v0, v12
	v_lshl_or_b32 v11, v0, 16, v11
.LBB268_873:                            ;   in Loop: Header=BB268_810 Depth=1
	s_wait_alu 0xfffe
	s_or_b32 exec_lo, exec_lo, s14
.LBB268_874:                            ;   in Loop: Header=BB268_810 Depth=1
	s_wait_alu 0xfffe
	s_or_b32 exec_lo, exec_lo, s13
.LBB268_875:                            ;   in Loop: Header=BB268_810 Depth=1
	s_wait_alu 0xfffe
	s_or_b32 exec_lo, exec_lo, s0
	v_or_b32_e32 v0, v80, v16
	s_wait_loadcnt_dscnt 0x0
	v_fma_mixlo_f16 v12, v54, v80, 0 op_sel:[0,1,0] op_sel_hi:[0,1,0]
	v_or_b32_e32 v71, v69, v71
	v_fma_mixlo_f16 v69, v54, v69, 0 op_sel:[0,1,0] op_sel_hi:[0,1,0]
	v_or_b32_e32 v80, v84, v83
	v_fma_mixlo_f16 v0, v54, v0, 0 op_sel_hi:[0,1,0]
	v_or_b32_e32 v82, v11, v82
	v_fma_mixlo_f16 v11, v54, v11, 0 op_sel:[0,1,0] op_sel_hi:[0,1,0]
	v_lshlrev_b32_e32 v101, 16, v69
	v_fma_mixlo_f16 v69, v54, v84, 0 op_sel:[0,1,0] op_sel_hi:[0,1,0]
	v_and_b32_e32 v98, 0xffff, v0
	v_fma_mixlo_f16 v0, v54, v71, 0 op_sel_hi:[0,1,0]
	v_fma_mixlo_f16 v71, v54, v80, 0 op_sel_hi:[0,1,0]
	;; [unrolled: 1-line block ×3, first 2 shown]
	v_add_nc_u32_e32 v16, v53, v39
	v_lshlrev_b32_e32 v12, 16, v12
	v_and_b32_e32 v103, 0xffff, v0
	v_lshlrev_b32_e32 v99, 16, v69
	v_and_b32_e32 v102, 0xffff, v71
	;; [unrolled: 2-line block ×3, first 2 shown]
	v_cmp_eq_u32_e32 vcc_lo, v50, v23
	v_or_b32_e32 v0, v12, v98
	v_or_b32_e32 v11, v101, v103
	;; [unrolled: 1-line block ×4, first 2 shown]
	v_add_nc_u32_e32 v84, 1, v16
	v_add_nc_u32_e32 v83, 2, v16
	;; [unrolled: 1-line block ×7, first 2 shown]
	s_and_saveexec_b32 s13, vcc_lo
	s_cbranch_execz .LBB268_877
; %bb.876:                              ;   in Loop: Header=BB268_810 Depth=1
	v_cmp_lt_i32_e64 s0, v16, v34
	s_wait_alu 0xf1ff
	s_delay_alu instid0(VALU_DEP_1) | instskip(SKIP_2) | instid1(VALU_DEP_1)
	v_cndmask_b32_e64 v0, 0, v103, s0
	v_cmp_lt_i32_e64 s0, v84, v34
	s_wait_alu 0xf1ff
	v_cndmask_b32_e64 v11, 0, v101, s0
	v_cmp_lt_i32_e64 s0, v83, v34
	s_delay_alu instid0(VALU_DEP_2) | instskip(SKIP_1) | instid1(VALU_DEP_2)
	v_or_b32_e32 v11, v0, v11
	s_wait_alu 0xf1ff
	v_cndmask_b32_e64 v87, 0, v98, s0
	v_cmp_lt_i32_e64 s0, v82, v34
	s_wait_alu 0xf1ff
	s_delay_alu instid0(VALU_DEP_1) | instskip(SKIP_1) | instid1(VALU_DEP_2)
	v_cndmask_b32_e64 v12, 0, v12, s0
	v_cmp_lt_i32_e64 s0, v80, v34
	v_or_b32_e32 v0, v87, v12
	s_wait_alu 0xf1ff
	s_delay_alu instid0(VALU_DEP_2) | instskip(SKIP_2) | instid1(VALU_DEP_1)
	v_cndmask_b32_e64 v97, 0, v102, s0
	v_cmp_lt_i32_e64 s0, v71, v34
	s_wait_alu 0xf1ff
	v_cndmask_b32_e64 v98, 0, v99, s0
	v_cmp_lt_i32_e64 s0, v69, v34
	s_delay_alu instid0(VALU_DEP_2) | instskip(SKIP_1) | instid1(VALU_DEP_2)
	v_or_b32_e32 v87, v97, v98
	s_wait_alu 0xf1ff
	v_cndmask_b32_e64 v99, 0, v100, s0
	v_cmp_lt_i32_e64 s0, v54, v34
	s_wait_alu 0xf1ff
	s_delay_alu instid0(VALU_DEP_1) | instskip(NEXT) | instid1(VALU_DEP_1)
	v_cndmask_b32_e64 v96, 0, v96, s0
	v_or_b32_e32 v97, v99, v96
.LBB268_877:                            ;   in Loop: Header=BB268_810 Depth=1
	s_wait_alu 0xfffe
	s_or_b32 exec_lo, exec_lo, s13
	v_and_b32_e32 v12, 0xffff, v17
	v_and_b32_e32 v17, 0xffff, v70
	;; [unrolled: 1-line block ×4, first 2 shown]
	s_mov_b32 s13, exec_lo
	v_lshl_or_b32 v81, v51, 16, v12
	v_lshl_or_b32 v70, v52, 16, v17
	;;#ASMSTART
	v_pk_mul_f16 v11, v81, v11;

	;;#ASMEND
	;;#ASMSTART
	v_pk_mul_f16 v0, v70, v0;

	;;#ASMEND
	v_lshl_or_b32 v68, v68, 16, v96
	v_lshl_or_b32 v52, v85, 16, v86
	;;#ASMSTART
	v_pk_mul_f16 v12, v68, v87;

	;;#ASMEND
	;;#ASMSTART
	v_pk_mul_f16 v17, v52, v97;

	;;#ASMEND
	;;#ASMSTART
	v_pk_add_f16 v0, v11, v0;

	;;#ASMEND
	;;#ASMSTART
	v_pk_add_f16 v0, v0, v12;
	;; [unrolled: 4-line block ×3, first 2 shown]

	;;#ASMEND
	v_and_b32_e32 v11, 0xffff, v0
	v_lshrrev_b32_e32 v0, 16, v0
	;;#ASMSTART
	v_cvt_f32_f16 v17, v11;
	;;#ASMEND
	;;#ASMSTART
	v_cvt_f32_f16 v51, v0;
	;;#ASMEND
	flat_load_b64 v[11:12], v[9:10] offset:256
	flat_load_b32 v85, v[26:27]
	v_dual_mov_b32 v86, 0 :: v_dual_mov_b32 v87, 0
	s_wait_loadcnt_dscnt 0x101
	v_and_b32_e32 v0, 0xff, v11
	s_delay_alu instid0(VALU_DEP_1)
	v_cmpx_ne_u16_e32 0, v0
	s_cbranch_execz .LBB268_885
; %bb.878:                              ;   in Loop: Header=BB268_810 Depth=1
	v_mov_b32_e32 v87, 0x8000
	s_mov_b32 s14, exec_lo
	v_cmpx_ne_u16_e32 0x80, v0
	s_cbranch_execz .LBB268_884
; %bb.879:                              ;   in Loop: Header=BB268_810 Depth=1
	v_and_b32_e32 v96, 0x7f, v11
	v_mov_b32_e32 v87, 0x7c01
	s_mov_b32 s15, exec_lo
	s_delay_alu instid0(VALU_DEP_2)
	v_cmpx_ne_u32_e32 0x7f, v96
	s_cbranch_execz .LBB268_883
; %bb.880:                              ;   in Loop: Header=BB268_810 Depth=1
	v_and_b32_e32 v0, 7, v11
	v_lshrrev_b32_e32 v87, 3, v96
	s_mov_b32 s16, exec_lo
	v_cmpx_gt_u32_e32 8, v96
; %bb.881:                              ;   in Loop: Header=BB268_810 Depth=1
	s_delay_alu instid0(VALU_DEP_3) | instskip(NEXT) | instid1(VALU_DEP_1)
	v_clz_i32_u32_e32 v0, v0
	v_min_u32_e32 v0, 32, v0
	s_delay_alu instid0(VALU_DEP_1) | instskip(NEXT) | instid1(VALU_DEP_1)
	v_subrev_nc_u32_e32 v87, 28, v0
	v_lshlrev_b64_e32 v[96:97], v87, v[11:12]
	v_sub_nc_u32_e32 v87, 29, v0
	s_delay_alu instid0(VALU_DEP_2)
	v_and_b32_e32 v0, 7, v96
; %bb.882:                              ;   in Loop: Header=BB268_810 Depth=1
	s_wait_alu 0xfffe
	s_or_b32 exec_lo, exec_lo, s16
	v_lshlrev_b32_e32 v96, 8, v11
	v_lshl_add_u32 v87, v87, 10, 0x2000
	v_lshlrev_b32_e32 v0, 7, v0
	s_delay_alu instid0(VALU_DEP_3) | instskip(NEXT) | instid1(VALU_DEP_3)
	v_and_b32_e32 v96, 0x8000, v96
	v_and_b32_e32 v87, 0xfc00, v87
	s_delay_alu instid0(VALU_DEP_1)
	v_or3_b32 v87, v96, v87, v0
.LBB268_883:                            ;   in Loop: Header=BB268_810 Depth=1
	s_wait_alu 0xfffe
	s_or_b32 exec_lo, exec_lo, s15
.LBB268_884:                            ;   in Loop: Header=BB268_810 Depth=1
	s_wait_alu 0xfffe
	s_or_b32 exec_lo, exec_lo, s14
.LBB268_885:                            ;   in Loop: Header=BB268_810 Depth=1
	s_wait_alu 0xfffe
	s_or_b32 exec_lo, exec_lo, s13
	v_lshrrev_b16 v0, 8, v11
	s_mov_b32 s13, exec_lo
	s_delay_alu instid0(VALU_DEP_1)
	v_cmpx_ne_u16_e32 0, v0
	s_cbranch_execz .LBB268_893
; %bb.886:                              ;   in Loop: Header=BB268_810 Depth=1
	v_bfrev_b32_e32 v86, 1
	s_mov_b32 s14, exec_lo
	v_cmpx_ne_u16_e32 0x80, v0
	s_cbranch_execz .LBB268_892
; %bb.887:                              ;   in Loop: Header=BB268_810 Depth=1
	v_and_b32_e32 v96, 0xffff, v0
	v_mov_b32_e32 v86, 0x7c010000
	s_mov_b32 s15, exec_lo
	s_delay_alu instid0(VALU_DEP_2) | instskip(NEXT) | instid1(VALU_DEP_1)
	v_and_b32_e32 v98, 0x7f, v96
	v_cmpx_ne_u32_e32 0x7f, v98
	s_cbranch_execz .LBB268_891
; %bb.888:                              ;   in Loop: Header=BB268_810 Depth=1
	v_and_b32_e32 v86, 7, v96
	v_lshrrev_b32_e32 v97, 3, v98
	s_mov_b32 s16, exec_lo
	v_cmpx_gt_u32_e32 8, v98
; %bb.889:                              ;   in Loop: Header=BB268_810 Depth=1
	s_delay_alu instid0(VALU_DEP_3) | instskip(NEXT) | instid1(VALU_DEP_1)
	v_clz_i32_u32_e32 v86, v86
	v_min_u32_e32 v86, 32, v86
	s_delay_alu instid0(VALU_DEP_1) | instskip(NEXT) | instid1(VALU_DEP_1)
	v_subrev_nc_u32_e32 v97, 28, v86
	v_lshlrev_b64_e32 v[98:99], v97, v[0:1]
	v_sub_nc_u32_e32 v97, 29, v86
	s_delay_alu instid0(VALU_DEP_2)
	v_and_b32_e32 v86, 7, v98
; %bb.890:                              ;   in Loop: Header=BB268_810 Depth=1
	s_wait_alu 0xfffe
	s_or_b32 exec_lo, exec_lo, s16
	v_lshlrev_b32_e32 v0, 8, v96
	v_lshl_add_u32 v96, v97, 10, 0x2000
	v_lshlrev_b32_e32 v86, 23, v86
	s_delay_alu instid0(VALU_DEP_2) | instskip(NEXT) | instid1(VALU_DEP_1)
	v_and_or_b32 v0, 0x8000, v0, v96
	v_lshl_or_b32 v86, v0, 16, v86
.LBB268_891:                            ;   in Loop: Header=BB268_810 Depth=1
	s_wait_alu 0xfffe
	s_or_b32 exec_lo, exec_lo, s15
.LBB268_892:                            ;   in Loop: Header=BB268_810 Depth=1
	s_wait_alu 0xfffe
	s_or_b32 exec_lo, exec_lo, s14
.LBB268_893:                            ;   in Loop: Header=BB268_810 Depth=1
	s_wait_alu 0xfffe
	s_or_b32 exec_lo, exec_lo, s13
	v_lshrrev_b32_e32 v0, 16, v11
	v_mov_b32_e32 v96, 0
	s_mov_b32 s13, exec_lo
	s_delay_alu instid0(VALU_DEP_2) | instskip(NEXT) | instid1(VALU_DEP_1)
	v_dual_mov_b32 v97, 0 :: v_dual_and_b32 v98, 0xff, v0
	v_cmpx_ne_u16_e32 0, v98
	s_cbranch_execz .LBB268_901
; %bb.894:                              ;   in Loop: Header=BB268_810 Depth=1
	v_mov_b32_e32 v97, 0x8000
	s_mov_b32 s14, exec_lo
	v_cmpx_ne_u16_e32 0x80, v98
	s_cbranch_execz .LBB268_900
; %bb.895:                              ;   in Loop: Header=BB268_810 Depth=1
	v_bfe_u32 v99, v11, 16, 7
	v_mov_b32_e32 v97, 0x7c01
	s_mov_b32 s15, exec_lo
	s_delay_alu instid0(VALU_DEP_2)
	v_cmpx_ne_u32_e32 0x7f, v99
	s_cbranch_execz .LBB268_899
; %bb.896:                              ;   in Loop: Header=BB268_810 Depth=1
	v_and_b32_e32 v97, 7, v0
	v_lshrrev_b32_e32 v98, 3, v99
	s_mov_b32 s16, exec_lo
	v_cmpx_gt_u32_e32 8, v99
; %bb.897:                              ;   in Loop: Header=BB268_810 Depth=1
	s_delay_alu instid0(VALU_DEP_3) | instskip(NEXT) | instid1(VALU_DEP_1)
	v_clz_i32_u32_e32 v97, v97
	v_min_u32_e32 v99, 32, v97
	s_delay_alu instid0(VALU_DEP_1) | instskip(NEXT) | instid1(VALU_DEP_1)
	v_subrev_nc_u32_e32 v97, 28, v99
	v_lshlrev_b64_e32 v[97:98], v97, v[0:1]
	v_sub_nc_u32_e32 v98, 29, v99
	s_delay_alu instid0(VALU_DEP_2)
	v_and_b32_e32 v97, 7, v97
; %bb.898:                              ;   in Loop: Header=BB268_810 Depth=1
	s_wait_alu 0xfffe
	s_or_b32 exec_lo, exec_lo, s16
	v_lshlrev_b32_e32 v0, 8, v0
	v_lshl_add_u32 v98, v98, 10, 0x2000
	v_lshlrev_b32_e32 v97, 7, v97
	s_delay_alu instid0(VALU_DEP_3) | instskip(NEXT) | instid1(VALU_DEP_3)
	v_and_b32_e32 v0, 0x8000, v0
	v_and_b32_e32 v98, 0xfc00, v98
	s_delay_alu instid0(VALU_DEP_1)
	v_or3_b32 v97, v0, v98, v97
.LBB268_899:                            ;   in Loop: Header=BB268_810 Depth=1
	s_wait_alu 0xfffe
	s_or_b32 exec_lo, exec_lo, s15
.LBB268_900:                            ;   in Loop: Header=BB268_810 Depth=1
	s_wait_alu 0xfffe
	s_or_b32 exec_lo, exec_lo, s14
.LBB268_901:                            ;   in Loop: Header=BB268_810 Depth=1
	s_wait_alu 0xfffe
	s_or_b32 exec_lo, exec_lo, s13
	s_delay_alu instid0(SALU_CYCLE_1)
	s_mov_b32 s13, exec_lo
	v_cmpx_lt_u32_e32 0xffffff, v11
	s_cbranch_execz .LBB268_909
; %bb.902:                              ;   in Loop: Header=BB268_810 Depth=1
	v_lshrrev_b32_e32 v0, 24, v11
	v_bfrev_b32_e32 v96, 1
	s_mov_b32 s14, exec_lo
	s_delay_alu instid0(VALU_DEP_2)
	v_cmpx_ne_u32_e32 0x80, v0
	s_cbranch_execz .LBB268_908
; %bb.903:                              ;   in Loop: Header=BB268_810 Depth=1
	v_and_b32_e32 v99, 0x7f, v0
	v_mov_b32_e32 v96, 0x7c010000
	s_mov_b32 s15, exec_lo
	s_delay_alu instid0(VALU_DEP_2)
	v_cmpx_ne_u32_e32 0x7f, v99
	s_cbranch_execz .LBB268_907
; %bb.904:                              ;   in Loop: Header=BB268_810 Depth=1
	v_and_b32_e32 v96, 7, v0
	v_lshrrev_b32_e32 v98, 3, v99
	s_mov_b32 s16, exec_lo
	v_cmpx_gt_u32_e32 8, v99
; %bb.905:                              ;   in Loop: Header=BB268_810 Depth=1
	s_delay_alu instid0(VALU_DEP_3) | instskip(NEXT) | instid1(VALU_DEP_1)
	v_clz_i32_u32_e32 v96, v96
	v_min_u32_e32 v96, 32, v96
	s_delay_alu instid0(VALU_DEP_1) | instskip(NEXT) | instid1(VALU_DEP_1)
	v_subrev_nc_u32_e32 v98, 28, v96
	v_lshlrev_b64_e32 v[99:100], v98, v[0:1]
	v_sub_nc_u32_e32 v98, 29, v96
	s_delay_alu instid0(VALU_DEP_2)
	v_and_b32_e32 v96, 7, v99
; %bb.906:                              ;   in Loop: Header=BB268_810 Depth=1
	s_wait_alu 0xfffe
	s_or_b32 exec_lo, exec_lo, s16
	v_lshlrev_b32_e32 v0, 8, v0
	v_lshl_add_u32 v98, v98, 10, 0x2000
	v_lshlrev_b32_e32 v96, 23, v96
	s_delay_alu instid0(VALU_DEP_2) | instskip(NEXT) | instid1(VALU_DEP_1)
	v_and_or_b32 v0, 0x8000, v0, v98
	v_lshl_or_b32 v96, v0, 16, v96
.LBB268_907:                            ;   in Loop: Header=BB268_810 Depth=1
	s_wait_alu 0xfffe
	s_or_b32 exec_lo, exec_lo, s15
.LBB268_908:                            ;   in Loop: Header=BB268_810 Depth=1
	s_wait_alu 0xfffe
	s_or_b32 exec_lo, exec_lo, s14
.LBB268_909:                            ;   in Loop: Header=BB268_810 Depth=1
	s_wait_alu 0xfffe
	s_or_b32 exec_lo, exec_lo, s13
	v_dual_mov_b32 v99, 0 :: v_dual_and_b32 v100, 0xff, v12
	v_mov_b32_e32 v0, v12
	v_mov_b32_e32 v98, 0
	s_mov_b32 s13, exec_lo
	s_delay_alu instid0(VALU_DEP_3)
	v_cmpx_ne_u16_e32 0, v100
	s_cbranch_execz .LBB268_917
; %bb.910:                              ;   in Loop: Header=BB268_810 Depth=1
	v_mov_b32_e32 v99, 0x8000
	s_mov_b32 s14, exec_lo
	v_cmpx_ne_u16_e32 0x80, v100
	s_cbranch_execz .LBB268_916
; %bb.911:                              ;   in Loop: Header=BB268_810 Depth=1
	v_and_b32_e32 v101, 0x7f, v12
	v_mov_b32_e32 v99, 0x7c01
	s_mov_b32 s15, exec_lo
	s_delay_alu instid0(VALU_DEP_2)
	v_cmpx_ne_u32_e32 0x7f, v101
	s_cbranch_execz .LBB268_915
; %bb.912:                              ;   in Loop: Header=BB268_810 Depth=1
	v_and_b32_e32 v99, 7, v12
	v_lshrrev_b32_e32 v100, 3, v101
	s_mov_b32 s16, exec_lo
	v_cmpx_gt_u32_e32 8, v101
; %bb.913:                              ;   in Loop: Header=BB268_810 Depth=1
	s_delay_alu instid0(VALU_DEP_3) | instskip(NEXT) | instid1(VALU_DEP_1)
	v_clz_i32_u32_e32 v99, v99
	v_min_u32_e32 v101, 32, v99
	s_delay_alu instid0(VALU_DEP_1) | instskip(NEXT) | instid1(VALU_DEP_1)
	v_subrev_nc_u32_e32 v99, 28, v101
	v_lshlrev_b64_e32 v[99:100], v99, v[0:1]
	v_sub_nc_u32_e32 v100, 29, v101
	s_delay_alu instid0(VALU_DEP_2)
	v_and_b32_e32 v99, 7, v99
; %bb.914:                              ;   in Loop: Header=BB268_810 Depth=1
	s_wait_alu 0xfffe
	s_or_b32 exec_lo, exec_lo, s16
	v_lshlrev_b32_e32 v101, 8, v12
	v_lshl_add_u32 v100, v100, 10, 0x2000
	v_lshlrev_b32_e32 v99, 7, v99
	s_delay_alu instid0(VALU_DEP_3) | instskip(NEXT) | instid1(VALU_DEP_3)
	v_and_b32_e32 v101, 0x8000, v101
	v_and_b32_e32 v100, 0xfc00, v100
	s_delay_alu instid0(VALU_DEP_1)
	v_or3_b32 v99, v101, v100, v99
.LBB268_915:                            ;   in Loop: Header=BB268_810 Depth=1
	s_wait_alu 0xfffe
	s_or_b32 exec_lo, exec_lo, s15
.LBB268_916:                            ;   in Loop: Header=BB268_810 Depth=1
	s_wait_alu 0xfffe
	s_or_b32 exec_lo, exec_lo, s14
.LBB268_917:                            ;   in Loop: Header=BB268_810 Depth=1
	s_wait_alu 0xfffe
	s_or_b32 exec_lo, exec_lo, s13
	v_lshrrev_b16 v0, 8, v0
	v_mov_b32_e32 v100, 0
	s_mov_b32 s13, exec_lo
	s_delay_alu instid0(VALU_DEP_2)
	v_cmpx_ne_u16_e32 0, v0
	s_cbranch_execz .LBB268_925
; %bb.918:                              ;   in Loop: Header=BB268_810 Depth=1
	v_bfrev_b32_e32 v100, 1
	s_mov_b32 s14, exec_lo
	v_cmpx_ne_u16_e32 0x80, v0
	s_cbranch_execz .LBB268_924
; %bb.919:                              ;   in Loop: Header=BB268_810 Depth=1
	v_and_b32_e32 v101, 0xffff, v0
	v_mov_b32_e32 v100, 0x7c010000
	s_mov_b32 s15, exec_lo
	s_delay_alu instid0(VALU_DEP_2) | instskip(NEXT) | instid1(VALU_DEP_1)
	v_and_b32_e32 v103, 0x7f, v101
	v_cmpx_ne_u32_e32 0x7f, v103
	s_cbranch_execz .LBB268_923
; %bb.920:                              ;   in Loop: Header=BB268_810 Depth=1
	v_and_b32_e32 v100, 7, v101
	v_lshrrev_b32_e32 v102, 3, v103
	s_mov_b32 s16, exec_lo
	v_cmpx_gt_u32_e32 8, v103
; %bb.921:                              ;   in Loop: Header=BB268_810 Depth=1
	s_delay_alu instid0(VALU_DEP_3) | instskip(NEXT) | instid1(VALU_DEP_1)
	v_clz_i32_u32_e32 v100, v100
	v_min_u32_e32 v100, 32, v100
	s_delay_alu instid0(VALU_DEP_1) | instskip(NEXT) | instid1(VALU_DEP_1)
	v_subrev_nc_u32_e32 v102, 28, v100
	v_lshlrev_b64_e32 v[112:113], v102, v[0:1]
	v_sub_nc_u32_e32 v102, 29, v100
	s_delay_alu instid0(VALU_DEP_2)
	v_and_b32_e32 v100, 7, v112
; %bb.922:                              ;   in Loop: Header=BB268_810 Depth=1
	s_wait_alu 0xfffe
	s_or_b32 exec_lo, exec_lo, s16
	v_lshlrev_b32_e32 v0, 8, v101
	v_lshl_add_u32 v101, v102, 10, 0x2000
	v_lshlrev_b32_e32 v100, 23, v100
	s_delay_alu instid0(VALU_DEP_2) | instskip(NEXT) | instid1(VALU_DEP_1)
	v_and_or_b32 v0, 0x8000, v0, v101
	v_lshl_or_b32 v100, v0, 16, v100
.LBB268_923:                            ;   in Loop: Header=BB268_810 Depth=1
	s_wait_alu 0xfffe
	s_or_b32 exec_lo, exec_lo, s15
.LBB268_924:                            ;   in Loop: Header=BB268_810 Depth=1
	s_wait_alu 0xfffe
	s_or_b32 exec_lo, exec_lo, s14
.LBB268_925:                            ;   in Loop: Header=BB268_810 Depth=1
	s_wait_alu 0xfffe
	s_or_b32 exec_lo, exec_lo, s13
	v_lshrrev_b32_e32 v0, 16, v12
	s_mov_b32 s13, exec_lo
	s_delay_alu instid0(VALU_DEP_1) | instskip(NEXT) | instid1(VALU_DEP_1)
	v_and_b32_e32 v101, 0xff, v0
	v_cmpx_ne_u16_e32 0, v101
	s_cbranch_execz .LBB268_933
; %bb.926:                              ;   in Loop: Header=BB268_810 Depth=1
	v_mov_b32_e32 v98, 0x8000
	s_mov_b32 s14, exec_lo
	v_cmpx_ne_u16_e32 0x80, v101
	s_cbranch_execz .LBB268_932
; %bb.927:                              ;   in Loop: Header=BB268_810 Depth=1
	v_bfe_u32 v102, v12, 16, 7
	v_mov_b32_e32 v98, 0x7c01
	s_mov_b32 s15, exec_lo
	s_delay_alu instid0(VALU_DEP_2)
	v_cmpx_ne_u32_e32 0x7f, v102
	s_cbranch_execz .LBB268_931
; %bb.928:                              ;   in Loop: Header=BB268_810 Depth=1
	v_and_b32_e32 v98, 7, v0
	v_lshrrev_b32_e32 v101, 3, v102
	s_mov_b32 s16, exec_lo
	v_cmpx_gt_u32_e32 8, v102
; %bb.929:                              ;   in Loop: Header=BB268_810 Depth=1
	s_delay_alu instid0(VALU_DEP_3) | instskip(NEXT) | instid1(VALU_DEP_1)
	v_clz_i32_u32_e32 v98, v98
	v_min_u32_e32 v98, 32, v98
	s_delay_alu instid0(VALU_DEP_1) | instskip(NEXT) | instid1(VALU_DEP_1)
	v_subrev_nc_u32_e32 v101, 28, v98
	v_lshlrev_b64_e32 v[102:103], v101, v[0:1]
	v_sub_nc_u32_e32 v101, 29, v98
	s_delay_alu instid0(VALU_DEP_2)
	v_and_b32_e32 v98, 7, v102
; %bb.930:                              ;   in Loop: Header=BB268_810 Depth=1
	s_wait_alu 0xfffe
	s_or_b32 exec_lo, exec_lo, s16
	v_lshlrev_b32_e32 v0, 8, v0
	v_lshl_add_u32 v101, v101, 10, 0x2000
	v_lshlrev_b32_e32 v98, 7, v98
	s_delay_alu instid0(VALU_DEP_3) | instskip(NEXT) | instid1(VALU_DEP_3)
	v_and_b32_e32 v0, 0x8000, v0
	v_and_b32_e32 v101, 0xfc00, v101
	s_delay_alu instid0(VALU_DEP_1)
	v_or3_b32 v98, v0, v101, v98
.LBB268_931:                            ;   in Loop: Header=BB268_810 Depth=1
	s_wait_alu 0xfffe
	s_or_b32 exec_lo, exec_lo, s15
.LBB268_932:                            ;   in Loop: Header=BB268_810 Depth=1
	s_wait_alu 0xfffe
	s_or_b32 exec_lo, exec_lo, s14
.LBB268_933:                            ;   in Loop: Header=BB268_810 Depth=1
	s_wait_alu 0xfffe
	s_or_b32 exec_lo, exec_lo, s13
	v_cmp_lt_u64_e64 s0, s[8:9], v[11:12]
	v_mov_b32_e32 v11, 0
	s_and_saveexec_b32 s13, s0
	s_cbranch_execz .LBB268_941
; %bb.934:                              ;   in Loop: Header=BB268_810 Depth=1
	v_lshrrev_b32_e32 v0, 24, v12
	v_bfrev_b32_e32 v11, 1
	s_mov_b32 s14, exec_lo
	s_delay_alu instid0(VALU_DEP_2)
	v_cmpx_ne_u32_e32 0x80, v0
	s_cbranch_execz .LBB268_940
; %bb.935:                              ;   in Loop: Header=BB268_810 Depth=1
	v_and_b32_e32 v101, 0x7f, v0
	v_mov_b32_e32 v11, 0x7c010000
	s_mov_b32 s15, exec_lo
	s_delay_alu instid0(VALU_DEP_2)
	v_cmpx_ne_u32_e32 0x7f, v101
	s_cbranch_execz .LBB268_939
; %bb.936:                              ;   in Loop: Header=BB268_810 Depth=1
	v_and_b32_e32 v11, 7, v0
	v_lshrrev_b32_e32 v12, 3, v101
	s_mov_b32 s16, exec_lo
	v_cmpx_gt_u32_e32 8, v101
; %bb.937:                              ;   in Loop: Header=BB268_810 Depth=1
	s_delay_alu instid0(VALU_DEP_3) | instskip(NEXT) | instid1(VALU_DEP_1)
	v_clz_i32_u32_e32 v11, v11
	v_min_u32_e32 v101, 32, v11
	s_delay_alu instid0(VALU_DEP_1) | instskip(NEXT) | instid1(VALU_DEP_1)
	v_subrev_nc_u32_e32 v11, 28, v101
	v_lshlrev_b64_e32 v[11:12], v11, v[0:1]
	v_sub_nc_u32_e32 v12, 29, v101
	s_delay_alu instid0(VALU_DEP_2)
	v_and_b32_e32 v11, 7, v11
; %bb.938:                              ;   in Loop: Header=BB268_810 Depth=1
	s_wait_alu 0xfffe
	s_or_b32 exec_lo, exec_lo, s16
	v_lshlrev_b32_e32 v0, 8, v0
	v_lshl_add_u32 v12, v12, 10, 0x2000
	v_lshlrev_b32_e32 v11, 23, v11
	s_delay_alu instid0(VALU_DEP_2) | instskip(NEXT) | instid1(VALU_DEP_1)
	v_and_or_b32 v0, 0x8000, v0, v12
	v_lshl_or_b32 v11, v0, 16, v11
.LBB268_939:                            ;   in Loop: Header=BB268_810 Depth=1
	s_wait_alu 0xfffe
	s_or_b32 exec_lo, exec_lo, s15
.LBB268_940:                            ;   in Loop: Header=BB268_810 Depth=1
	s_wait_alu 0xfffe
	s_or_b32 exec_lo, exec_lo, s14
.LBB268_941:                            ;   in Loop: Header=BB268_810 Depth=1
	s_wait_alu 0xfffe
	s_or_b32 exec_lo, exec_lo, s13
	v_or_b32_e32 v0, v96, v97
	s_wait_loadcnt_dscnt 0x0
	v_fma_mixlo_f16 v12, v85, v96, 0 op_sel:[0,1,0] op_sel_hi:[0,1,0]
	v_or_b32_e32 v96, v86, v87
	v_fma_mixlo_f16 v86, v85, v86, 0 op_sel:[0,1,0] op_sel_hi:[0,1,0]
	v_or_b32_e32 v97, v100, v99
	v_or_b32_e32 v98, v11, v98
	v_fma_mixlo_f16 v99, v85, v0, 0 op_sel_hi:[0,1,0]
	v_fma_mixlo_f16 v11, v85, v11, 0 op_sel:[0,1,0] op_sel_hi:[0,1,0]
	v_lshlrev_b32_e32 v87, 16, v86
	v_fma_mixlo_f16 v86, v85, v96, 0 op_sel_hi:[0,1,0]
	v_fma_mixlo_f16 v96, v85, v100, 0 op_sel:[0,1,0] op_sel_hi:[0,1,0]
	v_fma_mixlo_f16 v97, v85, v97, 0 op_sel_hi:[0,1,0]
	v_fma_mixlo_f16 v98, v85, v98, 0 op_sel_hi:[0,1,0]
	v_lshlrev_b32_e32 v0, 16, v12
	v_and_b32_e32 v12, 0xffff, v99
	v_and_b32_e32 v101, 0xffff, v86
	v_lshlrev_b32_e32 v85, 16, v96
	v_and_b32_e32 v97, 0xffff, v97
	v_lshlrev_b32_e32 v11, 16, v11
	v_and_b32_e32 v86, 0xffff, v98
	v_or_b32_e32 v96, v0, v12
	v_or_b32_e32 v100, v87, v101
	;; [unrolled: 1-line block ×3, first 2 shown]
	s_delay_alu instid0(VALU_DEP_4)
	v_or_b32_e32 v98, v11, v86
	s_and_saveexec_b32 s13, vcc_lo
	s_cbranch_execz .LBB268_943
; %bb.942:                              ;   in Loop: Header=BB268_810 Depth=1
	v_cmp_lt_i32_e64 s0, v16, v34
	s_wait_alu 0xf1ff
	s_delay_alu instid0(VALU_DEP_1) | instskip(SKIP_2) | instid1(VALU_DEP_1)
	v_cndmask_b32_e64 v96, 0, v101, s0
	v_cmp_lt_i32_e64 s0, v84, v34
	s_wait_alu 0xf1ff
	v_cndmask_b32_e64 v87, 0, v87, s0
	v_cmp_lt_i32_e64 s0, v83, v34
	s_delay_alu instid0(VALU_DEP_2) | instskip(SKIP_1) | instid1(VALU_DEP_2)
	v_or_b32_e32 v100, v96, v87
	s_wait_alu 0xf1ff
	v_cndmask_b32_e64 v12, 0, v12, s0
	v_cmp_lt_i32_e64 s0, v82, v34
	s_wait_alu 0xf1ff
	s_delay_alu instid0(VALU_DEP_1) | instskip(SKIP_1) | instid1(VALU_DEP_2)
	v_cndmask_b32_e64 v0, 0, v0, s0
	v_cmp_lt_i32_e64 s0, v80, v34
	v_or_b32_e32 v96, v12, v0
	s_wait_alu 0xf1ff
	s_delay_alu instid0(VALU_DEP_2) | instskip(SKIP_2) | instid1(VALU_DEP_1)
	v_cndmask_b32_e64 v97, 0, v97, s0
	v_cmp_lt_i32_e64 s0, v71, v34
	s_wait_alu 0xf1ff
	v_cndmask_b32_e64 v85, 0, v85, s0
	v_cmp_lt_i32_e64 s0, v69, v34
	s_delay_alu instid0(VALU_DEP_2) | instskip(SKIP_1) | instid1(VALU_DEP_2)
	v_or_b32_e32 v99, v97, v85
	s_wait_alu 0xf1ff
	v_cndmask_b32_e64 v86, 0, v86, s0
	v_cmp_lt_i32_e64 s0, v54, v34
	s_wait_alu 0xf1ff
	s_delay_alu instid0(VALU_DEP_1) | instskip(NEXT) | instid1(VALU_DEP_1)
	v_cndmask_b32_e64 v11, 0, v11, s0
	v_or_b32_e32 v98, v86, v11
.LBB268_943:                            ;   in Loop: Header=BB268_810 Depth=1
	s_wait_alu 0xfffe
	s_or_b32 exec_lo, exec_lo, s13
	;;#ASMSTART
	v_pk_mul_f16 v0, v81, v100;

	;;#ASMEND
	;;#ASMSTART
	v_pk_mul_f16 v11, v70, v96;

	;;#ASMEND
	;; [unrolled: 4-line block ×4, first 2 shown]
	;;#ASMSTART
	v_pk_add_f16 v0, v0, v11;

	;;#ASMEND
	;;#ASMSTART
	v_pk_add_f16 v0, v0, v12;

	;;#ASMEND
	;; [unrolled: 4-line block ×3, first 2 shown]
	v_dual_mov_b32 v96, 0 :: v_dual_and_b32 v11, 0xffff, v0
	v_lshrrev_b32_e32 v0, 16, v0
	;;#ASMSTART
	v_cvt_f32_f16 v85, v11;
	;;#ASMEND
	;;#ASMSTART
	v_cvt_f32_f16 v86, v0;
	;;#ASMEND
	flat_load_b64 v[11:12], v[9:10] offset:512
	flat_load_b32 v87, v[26:27]
	s_mov_b32 s13, exec_lo
	s_wait_loadcnt_dscnt 0x101
	v_dual_mov_b32 v97, 0 :: v_dual_and_b32 v0, 0xff, v11
	s_delay_alu instid0(VALU_DEP_1)
	v_cmpx_ne_u16_e32 0, v0
	s_cbranch_execz .LBB268_951
; %bb.944:                              ;   in Loop: Header=BB268_810 Depth=1
	v_mov_b32_e32 v97, 0x8000
	s_mov_b32 s14, exec_lo
	v_cmpx_ne_u16_e32 0x80, v0
	s_cbranch_execz .LBB268_950
; %bb.945:                              ;   in Loop: Header=BB268_810 Depth=1
	v_and_b32_e32 v98, 0x7f, v11
	v_mov_b32_e32 v97, 0x7c01
	s_mov_b32 s15, exec_lo
	s_delay_alu instid0(VALU_DEP_2)
	v_cmpx_ne_u32_e32 0x7f, v98
	s_cbranch_execz .LBB268_949
; %bb.946:                              ;   in Loop: Header=BB268_810 Depth=1
	v_and_b32_e32 v0, 7, v11
	v_lshrrev_b32_e32 v97, 3, v98
	s_mov_b32 s16, exec_lo
	v_cmpx_gt_u32_e32 8, v98
; %bb.947:                              ;   in Loop: Header=BB268_810 Depth=1
	s_delay_alu instid0(VALU_DEP_3) | instskip(NEXT) | instid1(VALU_DEP_1)
	v_clz_i32_u32_e32 v0, v0
	v_min_u32_e32 v0, 32, v0
	s_delay_alu instid0(VALU_DEP_1) | instskip(NEXT) | instid1(VALU_DEP_1)
	v_subrev_nc_u32_e32 v97, 28, v0
	v_lshlrev_b64_e32 v[98:99], v97, v[11:12]
	v_sub_nc_u32_e32 v97, 29, v0
	s_delay_alu instid0(VALU_DEP_2)
	v_and_b32_e32 v0, 7, v98
; %bb.948:                              ;   in Loop: Header=BB268_810 Depth=1
	s_wait_alu 0xfffe
	s_or_b32 exec_lo, exec_lo, s16
	v_lshlrev_b32_e32 v98, 8, v11
	v_lshl_add_u32 v97, v97, 10, 0x2000
	v_lshlrev_b32_e32 v0, 7, v0
	s_delay_alu instid0(VALU_DEP_3) | instskip(NEXT) | instid1(VALU_DEP_3)
	v_and_b32_e32 v98, 0x8000, v98
	v_and_b32_e32 v97, 0xfc00, v97
	s_delay_alu instid0(VALU_DEP_1)
	v_or3_b32 v97, v98, v97, v0
.LBB268_949:                            ;   in Loop: Header=BB268_810 Depth=1
	s_wait_alu 0xfffe
	s_or_b32 exec_lo, exec_lo, s15
.LBB268_950:                            ;   in Loop: Header=BB268_810 Depth=1
	s_wait_alu 0xfffe
	s_or_b32 exec_lo, exec_lo, s14
.LBB268_951:                            ;   in Loop: Header=BB268_810 Depth=1
	s_wait_alu 0xfffe
	s_or_b32 exec_lo, exec_lo, s13
	v_lshrrev_b16 v0, 8, v11
	s_mov_b32 s13, exec_lo
	s_delay_alu instid0(VALU_DEP_1)
	v_cmpx_ne_u16_e32 0, v0
	s_cbranch_execz .LBB268_959
; %bb.952:                              ;   in Loop: Header=BB268_810 Depth=1
	v_bfrev_b32_e32 v96, 1
	s_mov_b32 s14, exec_lo
	v_cmpx_ne_u16_e32 0x80, v0
	s_cbranch_execz .LBB268_958
; %bb.953:                              ;   in Loop: Header=BB268_810 Depth=1
	v_and_b32_e32 v98, 0xffff, v0
	v_mov_b32_e32 v96, 0x7c010000
	s_mov_b32 s15, exec_lo
	s_delay_alu instid0(VALU_DEP_2) | instskip(NEXT) | instid1(VALU_DEP_1)
	v_and_b32_e32 v100, 0x7f, v98
	v_cmpx_ne_u32_e32 0x7f, v100
	s_cbranch_execz .LBB268_957
; %bb.954:                              ;   in Loop: Header=BB268_810 Depth=1
	v_and_b32_e32 v96, 7, v98
	v_lshrrev_b32_e32 v99, 3, v100
	s_mov_b32 s16, exec_lo
	v_cmpx_gt_u32_e32 8, v100
; %bb.955:                              ;   in Loop: Header=BB268_810 Depth=1
	s_delay_alu instid0(VALU_DEP_3) | instskip(NEXT) | instid1(VALU_DEP_1)
	v_clz_i32_u32_e32 v96, v96
	v_min_u32_e32 v96, 32, v96
	s_delay_alu instid0(VALU_DEP_1) | instskip(NEXT) | instid1(VALU_DEP_1)
	v_subrev_nc_u32_e32 v99, 28, v96
	v_lshlrev_b64_e32 v[100:101], v99, v[0:1]
	v_sub_nc_u32_e32 v99, 29, v96
	s_delay_alu instid0(VALU_DEP_2)
	v_and_b32_e32 v96, 7, v100
; %bb.956:                              ;   in Loop: Header=BB268_810 Depth=1
	s_wait_alu 0xfffe
	s_or_b32 exec_lo, exec_lo, s16
	v_lshlrev_b32_e32 v0, 8, v98
	v_lshl_add_u32 v98, v99, 10, 0x2000
	v_lshlrev_b32_e32 v96, 23, v96
	s_delay_alu instid0(VALU_DEP_2) | instskip(NEXT) | instid1(VALU_DEP_1)
	v_and_or_b32 v0, 0x8000, v0, v98
	v_lshl_or_b32 v96, v0, 16, v96
.LBB268_957:                            ;   in Loop: Header=BB268_810 Depth=1
	s_wait_alu 0xfffe
	s_or_b32 exec_lo, exec_lo, s15
.LBB268_958:                            ;   in Loop: Header=BB268_810 Depth=1
	s_wait_alu 0xfffe
	s_or_b32 exec_lo, exec_lo, s14
.LBB268_959:                            ;   in Loop: Header=BB268_810 Depth=1
	s_wait_alu 0xfffe
	s_or_b32 exec_lo, exec_lo, s13
	v_lshrrev_b32_e32 v0, 16, v11
	v_mov_b32_e32 v98, 0
	s_mov_b32 s13, exec_lo
	s_delay_alu instid0(VALU_DEP_2) | instskip(NEXT) | instid1(VALU_DEP_1)
	v_dual_mov_b32 v99, 0 :: v_dual_and_b32 v100, 0xff, v0
	v_cmpx_ne_u16_e32 0, v100
	s_cbranch_execz .LBB268_967
; %bb.960:                              ;   in Loop: Header=BB268_810 Depth=1
	v_mov_b32_e32 v99, 0x8000
	s_mov_b32 s14, exec_lo
	v_cmpx_ne_u16_e32 0x80, v100
	s_cbranch_execz .LBB268_966
; %bb.961:                              ;   in Loop: Header=BB268_810 Depth=1
	v_bfe_u32 v101, v11, 16, 7
	v_mov_b32_e32 v99, 0x7c01
	s_mov_b32 s15, exec_lo
	s_delay_alu instid0(VALU_DEP_2)
	v_cmpx_ne_u32_e32 0x7f, v101
	s_cbranch_execz .LBB268_965
; %bb.962:                              ;   in Loop: Header=BB268_810 Depth=1
	v_and_b32_e32 v99, 7, v0
	v_lshrrev_b32_e32 v100, 3, v101
	s_mov_b32 s16, exec_lo
	v_cmpx_gt_u32_e32 8, v101
; %bb.963:                              ;   in Loop: Header=BB268_810 Depth=1
	s_delay_alu instid0(VALU_DEP_3) | instskip(NEXT) | instid1(VALU_DEP_1)
	v_clz_i32_u32_e32 v99, v99
	v_min_u32_e32 v101, 32, v99
	s_delay_alu instid0(VALU_DEP_1) | instskip(NEXT) | instid1(VALU_DEP_1)
	v_subrev_nc_u32_e32 v99, 28, v101
	v_lshlrev_b64_e32 v[99:100], v99, v[0:1]
	v_sub_nc_u32_e32 v100, 29, v101
	s_delay_alu instid0(VALU_DEP_2)
	v_and_b32_e32 v99, 7, v99
; %bb.964:                              ;   in Loop: Header=BB268_810 Depth=1
	s_wait_alu 0xfffe
	s_or_b32 exec_lo, exec_lo, s16
	v_lshlrev_b32_e32 v0, 8, v0
	v_lshl_add_u32 v100, v100, 10, 0x2000
	v_lshlrev_b32_e32 v99, 7, v99
	s_delay_alu instid0(VALU_DEP_3) | instskip(NEXT) | instid1(VALU_DEP_3)
	v_and_b32_e32 v0, 0x8000, v0
	v_and_b32_e32 v100, 0xfc00, v100
	s_delay_alu instid0(VALU_DEP_1)
	v_or3_b32 v99, v0, v100, v99
.LBB268_965:                            ;   in Loop: Header=BB268_810 Depth=1
	s_wait_alu 0xfffe
	s_or_b32 exec_lo, exec_lo, s15
.LBB268_966:                            ;   in Loop: Header=BB268_810 Depth=1
	s_wait_alu 0xfffe
	s_or_b32 exec_lo, exec_lo, s14
.LBB268_967:                            ;   in Loop: Header=BB268_810 Depth=1
	s_wait_alu 0xfffe
	s_or_b32 exec_lo, exec_lo, s13
	s_delay_alu instid0(SALU_CYCLE_1)
	s_mov_b32 s13, exec_lo
	v_cmpx_lt_u32_e32 0xffffff, v11
	s_cbranch_execz .LBB268_975
; %bb.968:                              ;   in Loop: Header=BB268_810 Depth=1
	v_lshrrev_b32_e32 v0, 24, v11
	v_bfrev_b32_e32 v98, 1
	s_mov_b32 s14, exec_lo
	s_delay_alu instid0(VALU_DEP_2)
	v_cmpx_ne_u32_e32 0x80, v0
	s_cbranch_execz .LBB268_974
; %bb.969:                              ;   in Loop: Header=BB268_810 Depth=1
	v_and_b32_e32 v101, 0x7f, v0
	v_mov_b32_e32 v98, 0x7c010000
	s_mov_b32 s15, exec_lo
	s_delay_alu instid0(VALU_DEP_2)
	v_cmpx_ne_u32_e32 0x7f, v101
	s_cbranch_execz .LBB268_973
; %bb.970:                              ;   in Loop: Header=BB268_810 Depth=1
	v_and_b32_e32 v98, 7, v0
	v_lshrrev_b32_e32 v100, 3, v101
	s_mov_b32 s16, exec_lo
	v_cmpx_gt_u32_e32 8, v101
; %bb.971:                              ;   in Loop: Header=BB268_810 Depth=1
	s_delay_alu instid0(VALU_DEP_3) | instskip(NEXT) | instid1(VALU_DEP_1)
	v_clz_i32_u32_e32 v98, v98
	v_min_u32_e32 v98, 32, v98
	s_delay_alu instid0(VALU_DEP_1) | instskip(NEXT) | instid1(VALU_DEP_1)
	v_subrev_nc_u32_e32 v100, 28, v98
	v_lshlrev_b64_e32 v[101:102], v100, v[0:1]
	v_sub_nc_u32_e32 v100, 29, v98
	s_delay_alu instid0(VALU_DEP_2)
	v_and_b32_e32 v98, 7, v101
; %bb.972:                              ;   in Loop: Header=BB268_810 Depth=1
	s_wait_alu 0xfffe
	s_or_b32 exec_lo, exec_lo, s16
	v_lshlrev_b32_e32 v0, 8, v0
	v_lshl_add_u32 v100, v100, 10, 0x2000
	v_lshlrev_b32_e32 v98, 23, v98
	s_delay_alu instid0(VALU_DEP_2) | instskip(NEXT) | instid1(VALU_DEP_1)
	v_and_or_b32 v0, 0x8000, v0, v100
	v_lshl_or_b32 v98, v0, 16, v98
.LBB268_973:                            ;   in Loop: Header=BB268_810 Depth=1
	s_wait_alu 0xfffe
	s_or_b32 exec_lo, exec_lo, s15
.LBB268_974:                            ;   in Loop: Header=BB268_810 Depth=1
	s_wait_alu 0xfffe
	s_or_b32 exec_lo, exec_lo, s14
.LBB268_975:                            ;   in Loop: Header=BB268_810 Depth=1
	s_wait_alu 0xfffe
	s_or_b32 exec_lo, exec_lo, s13
	v_dual_mov_b32 v101, 0 :: v_dual_and_b32 v102, 0xff, v12
	v_mov_b32_e32 v0, v12
	v_mov_b32_e32 v100, 0
	s_mov_b32 s13, exec_lo
	s_delay_alu instid0(VALU_DEP_3)
	v_cmpx_ne_u16_e32 0, v102
	s_cbranch_execz .LBB268_983
; %bb.976:                              ;   in Loop: Header=BB268_810 Depth=1
	v_mov_b32_e32 v101, 0x8000
	s_mov_b32 s14, exec_lo
	v_cmpx_ne_u16_e32 0x80, v102
	s_cbranch_execz .LBB268_982
; %bb.977:                              ;   in Loop: Header=BB268_810 Depth=1
	v_and_b32_e32 v103, 0x7f, v12
	v_mov_b32_e32 v101, 0x7c01
	s_mov_b32 s15, exec_lo
	s_delay_alu instid0(VALU_DEP_2)
	v_cmpx_ne_u32_e32 0x7f, v103
	s_cbranch_execz .LBB268_981
; %bb.978:                              ;   in Loop: Header=BB268_810 Depth=1
	v_and_b32_e32 v101, 7, v12
	v_lshrrev_b32_e32 v102, 3, v103
	s_mov_b32 s16, exec_lo
	v_cmpx_gt_u32_e32 8, v103
; %bb.979:                              ;   in Loop: Header=BB268_810 Depth=1
	s_delay_alu instid0(VALU_DEP_3) | instskip(NEXT) | instid1(VALU_DEP_1)
	v_clz_i32_u32_e32 v101, v101
	v_min_u32_e32 v103, 32, v101
	s_delay_alu instid0(VALU_DEP_1) | instskip(NEXT) | instid1(VALU_DEP_1)
	v_subrev_nc_u32_e32 v101, 28, v103
	v_lshlrev_b64_e32 v[101:102], v101, v[0:1]
	v_sub_nc_u32_e32 v102, 29, v103
	s_delay_alu instid0(VALU_DEP_2)
	v_and_b32_e32 v101, 7, v101
; %bb.980:                              ;   in Loop: Header=BB268_810 Depth=1
	s_wait_alu 0xfffe
	s_or_b32 exec_lo, exec_lo, s16
	v_lshlrev_b32_e32 v103, 8, v12
	v_lshl_add_u32 v102, v102, 10, 0x2000
	v_lshlrev_b32_e32 v101, 7, v101
	s_delay_alu instid0(VALU_DEP_3) | instskip(NEXT) | instid1(VALU_DEP_3)
	v_and_b32_e32 v103, 0x8000, v103
	v_and_b32_e32 v102, 0xfc00, v102
	s_delay_alu instid0(VALU_DEP_1)
	v_or3_b32 v101, v103, v102, v101
.LBB268_981:                            ;   in Loop: Header=BB268_810 Depth=1
	s_wait_alu 0xfffe
	s_or_b32 exec_lo, exec_lo, s15
.LBB268_982:                            ;   in Loop: Header=BB268_810 Depth=1
	s_wait_alu 0xfffe
	s_or_b32 exec_lo, exec_lo, s14
.LBB268_983:                            ;   in Loop: Header=BB268_810 Depth=1
	s_wait_alu 0xfffe
	s_or_b32 exec_lo, exec_lo, s13
	v_lshrrev_b16 v0, 8, v0
	v_mov_b32_e32 v102, 0
	s_mov_b32 s13, exec_lo
	s_delay_alu instid0(VALU_DEP_2)
	v_cmpx_ne_u16_e32 0, v0
	s_cbranch_execz .LBB268_991
; %bb.984:                              ;   in Loop: Header=BB268_810 Depth=1
	v_bfrev_b32_e32 v102, 1
	s_mov_b32 s14, exec_lo
	v_cmpx_ne_u16_e32 0x80, v0
	s_cbranch_execz .LBB268_990
; %bb.985:                              ;   in Loop: Header=BB268_810 Depth=1
	v_and_b32_e32 v103, 0xffff, v0
	v_mov_b32_e32 v102, 0x7c010000
	s_mov_b32 s15, exec_lo
	s_delay_alu instid0(VALU_DEP_2) | instskip(NEXT) | instid1(VALU_DEP_1)
	v_and_b32_e32 v113, 0x7f, v103
	v_cmpx_ne_u32_e32 0x7f, v113
	s_cbranch_execz .LBB268_989
; %bb.986:                              ;   in Loop: Header=BB268_810 Depth=1
	v_and_b32_e32 v102, 7, v103
	v_lshrrev_b32_e32 v112, 3, v113
	s_mov_b32 s16, exec_lo
	v_cmpx_gt_u32_e32 8, v113
; %bb.987:                              ;   in Loop: Header=BB268_810 Depth=1
	s_delay_alu instid0(VALU_DEP_3) | instskip(NEXT) | instid1(VALU_DEP_1)
	v_clz_i32_u32_e32 v102, v102
	v_min_u32_e32 v102, 32, v102
	s_delay_alu instid0(VALU_DEP_1) | instskip(NEXT) | instid1(VALU_DEP_1)
	v_subrev_nc_u32_e32 v112, 28, v102
	v_lshlrev_b64_e32 v[113:114], v112, v[0:1]
	v_sub_nc_u32_e32 v112, 29, v102
	s_delay_alu instid0(VALU_DEP_2)
	v_and_b32_e32 v102, 7, v113
; %bb.988:                              ;   in Loop: Header=BB268_810 Depth=1
	s_wait_alu 0xfffe
	s_or_b32 exec_lo, exec_lo, s16
	v_lshlrev_b32_e32 v0, 8, v103
	v_lshl_add_u32 v103, v112, 10, 0x2000
	v_lshlrev_b32_e32 v102, 23, v102
	s_delay_alu instid0(VALU_DEP_2) | instskip(NEXT) | instid1(VALU_DEP_1)
	v_and_or_b32 v0, 0x8000, v0, v103
	v_lshl_or_b32 v102, v0, 16, v102
.LBB268_989:                            ;   in Loop: Header=BB268_810 Depth=1
	s_wait_alu 0xfffe
	s_or_b32 exec_lo, exec_lo, s15
.LBB268_990:                            ;   in Loop: Header=BB268_810 Depth=1
	s_wait_alu 0xfffe
	s_or_b32 exec_lo, exec_lo, s14
.LBB268_991:                            ;   in Loop: Header=BB268_810 Depth=1
	s_wait_alu 0xfffe
	s_or_b32 exec_lo, exec_lo, s13
	v_lshrrev_b32_e32 v0, 16, v12
	s_mov_b32 s13, exec_lo
	s_delay_alu instid0(VALU_DEP_1) | instskip(NEXT) | instid1(VALU_DEP_1)
	v_and_b32_e32 v103, 0xff, v0
	v_cmpx_ne_u16_e32 0, v103
	s_cbranch_execz .LBB268_999
; %bb.992:                              ;   in Loop: Header=BB268_810 Depth=1
	v_mov_b32_e32 v100, 0x8000
	s_mov_b32 s14, exec_lo
	v_cmpx_ne_u16_e32 0x80, v103
	s_cbranch_execz .LBB268_998
; %bb.993:                              ;   in Loop: Header=BB268_810 Depth=1
	v_bfe_u32 v112, v12, 16, 7
	v_mov_b32_e32 v100, 0x7c01
	s_mov_b32 s15, exec_lo
	s_delay_alu instid0(VALU_DEP_2)
	v_cmpx_ne_u32_e32 0x7f, v112
	s_cbranch_execz .LBB268_997
; %bb.994:                              ;   in Loop: Header=BB268_810 Depth=1
	v_and_b32_e32 v100, 7, v0
	v_lshrrev_b32_e32 v103, 3, v112
	s_mov_b32 s16, exec_lo
	v_cmpx_gt_u32_e32 8, v112
; %bb.995:                              ;   in Loop: Header=BB268_810 Depth=1
	s_delay_alu instid0(VALU_DEP_3) | instskip(NEXT) | instid1(VALU_DEP_1)
	v_clz_i32_u32_e32 v100, v100
	v_min_u32_e32 v100, 32, v100
	s_delay_alu instid0(VALU_DEP_1) | instskip(NEXT) | instid1(VALU_DEP_1)
	v_subrev_nc_u32_e32 v103, 28, v100
	v_lshlrev_b64_e32 v[112:113], v103, v[0:1]
	v_sub_nc_u32_e32 v103, 29, v100
	s_delay_alu instid0(VALU_DEP_2)
	v_and_b32_e32 v100, 7, v112
; %bb.996:                              ;   in Loop: Header=BB268_810 Depth=1
	s_wait_alu 0xfffe
	s_or_b32 exec_lo, exec_lo, s16
	v_lshlrev_b32_e32 v0, 8, v0
	v_lshl_add_u32 v103, v103, 10, 0x2000
	v_lshlrev_b32_e32 v100, 7, v100
	s_delay_alu instid0(VALU_DEP_3) | instskip(NEXT) | instid1(VALU_DEP_3)
	v_and_b32_e32 v0, 0x8000, v0
	v_and_b32_e32 v103, 0xfc00, v103
	s_delay_alu instid0(VALU_DEP_1)
	v_or3_b32 v100, v0, v103, v100
.LBB268_997:                            ;   in Loop: Header=BB268_810 Depth=1
	s_wait_alu 0xfffe
	s_or_b32 exec_lo, exec_lo, s15
.LBB268_998:                            ;   in Loop: Header=BB268_810 Depth=1
	s_wait_alu 0xfffe
	s_or_b32 exec_lo, exec_lo, s14
.LBB268_999:                            ;   in Loop: Header=BB268_810 Depth=1
	s_wait_alu 0xfffe
	s_or_b32 exec_lo, exec_lo, s13
	v_cmp_lt_u64_e64 s0, s[8:9], v[11:12]
	v_mov_b32_e32 v11, 0
	s_and_saveexec_b32 s13, s0
	s_cbranch_execz .LBB268_1007
; %bb.1000:                             ;   in Loop: Header=BB268_810 Depth=1
	v_lshrrev_b32_e32 v0, 24, v12
	v_bfrev_b32_e32 v11, 1
	s_mov_b32 s14, exec_lo
	s_delay_alu instid0(VALU_DEP_2)
	v_cmpx_ne_u32_e32 0x80, v0
	s_cbranch_execz .LBB268_1006
; %bb.1001:                             ;   in Loop: Header=BB268_810 Depth=1
	v_and_b32_e32 v103, 0x7f, v0
	v_mov_b32_e32 v11, 0x7c010000
	s_mov_b32 s15, exec_lo
	s_delay_alu instid0(VALU_DEP_2)
	v_cmpx_ne_u32_e32 0x7f, v103
	s_cbranch_execz .LBB268_1005
; %bb.1002:                             ;   in Loop: Header=BB268_810 Depth=1
	v_and_b32_e32 v11, 7, v0
	v_lshrrev_b32_e32 v12, 3, v103
	s_mov_b32 s16, exec_lo
	v_cmpx_gt_u32_e32 8, v103
; %bb.1003:                             ;   in Loop: Header=BB268_810 Depth=1
	s_delay_alu instid0(VALU_DEP_3) | instskip(NEXT) | instid1(VALU_DEP_1)
	v_clz_i32_u32_e32 v11, v11
	v_min_u32_e32 v103, 32, v11
	s_delay_alu instid0(VALU_DEP_1) | instskip(NEXT) | instid1(VALU_DEP_1)
	v_subrev_nc_u32_e32 v11, 28, v103
	v_lshlrev_b64_e32 v[11:12], v11, v[0:1]
	v_sub_nc_u32_e32 v12, 29, v103
	s_delay_alu instid0(VALU_DEP_2)
	v_and_b32_e32 v11, 7, v11
; %bb.1004:                             ;   in Loop: Header=BB268_810 Depth=1
	s_wait_alu 0xfffe
	s_or_b32 exec_lo, exec_lo, s16
	v_lshlrev_b32_e32 v0, 8, v0
	v_lshl_add_u32 v12, v12, 10, 0x2000
	v_lshlrev_b32_e32 v11, 23, v11
	s_delay_alu instid0(VALU_DEP_2) | instskip(NEXT) | instid1(VALU_DEP_1)
	v_and_or_b32 v0, 0x8000, v0, v12
	v_lshl_or_b32 v11, v0, 16, v11
.LBB268_1005:                           ;   in Loop: Header=BB268_810 Depth=1
	s_wait_alu 0xfffe
	s_or_b32 exec_lo, exec_lo, s15
.LBB268_1006:                           ;   in Loop: Header=BB268_810 Depth=1
	s_wait_alu 0xfffe
	s_or_b32 exec_lo, exec_lo, s14
.LBB268_1007:                           ;   in Loop: Header=BB268_810 Depth=1
	s_wait_alu 0xfffe
	s_or_b32 exec_lo, exec_lo, s13
	v_or_b32_e32 v0, v98, v99
	s_wait_loadcnt_dscnt 0x0
	v_fma_mixlo_f16 v12, v87, v98, 0 op_sel:[0,1,0] op_sel_hi:[0,1,0]
	v_or_b32_e32 v98, v96, v97
	v_fma_mixlo_f16 v96, v87, v96, 0 op_sel:[0,1,0] op_sel_hi:[0,1,0]
	v_or_b32_e32 v99, v102, v101
	v_or_b32_e32 v100, v11, v100
	v_fma_mixlo_f16 v101, v87, v0, 0 op_sel_hi:[0,1,0]
	v_fma_mixlo_f16 v11, v87, v11, 0 op_sel:[0,1,0] op_sel_hi:[0,1,0]
	v_lshlrev_b32_e32 v97, 16, v96
	v_fma_mixlo_f16 v96, v87, v98, 0 op_sel_hi:[0,1,0]
	v_fma_mixlo_f16 v98, v87, v102, 0 op_sel:[0,1,0] op_sel_hi:[0,1,0]
	v_fma_mixlo_f16 v99, v87, v99, 0 op_sel_hi:[0,1,0]
	v_fma_mixlo_f16 v100, v87, v100, 0 op_sel_hi:[0,1,0]
	v_lshlrev_b32_e32 v0, 16, v12
	v_and_b32_e32 v12, 0xffff, v101
	v_and_b32_e32 v103, 0xffff, v96
	v_lshlrev_b32_e32 v87, 16, v98
	v_and_b32_e32 v99, 0xffff, v99
	v_lshlrev_b32_e32 v11, 16, v11
	v_and_b32_e32 v96, 0xffff, v100
	v_or_b32_e32 v98, v0, v12
	v_or_b32_e32 v102, v97, v103
	;; [unrolled: 1-line block ×3, first 2 shown]
	s_delay_alu instid0(VALU_DEP_4)
	v_or_b32_e32 v100, v11, v96
	s_and_saveexec_b32 s13, vcc_lo
	s_cbranch_execz .LBB268_1009
; %bb.1008:                             ;   in Loop: Header=BB268_810 Depth=1
	v_cmp_lt_i32_e64 s0, v16, v34
	s_wait_alu 0xf1ff
	s_delay_alu instid0(VALU_DEP_1) | instskip(SKIP_2) | instid1(VALU_DEP_1)
	v_cndmask_b32_e64 v98, 0, v103, s0
	v_cmp_lt_i32_e64 s0, v84, v34
	s_wait_alu 0xf1ff
	v_cndmask_b32_e64 v97, 0, v97, s0
	v_cmp_lt_i32_e64 s0, v83, v34
	s_delay_alu instid0(VALU_DEP_2) | instskip(SKIP_1) | instid1(VALU_DEP_2)
	v_or_b32_e32 v102, v98, v97
	s_wait_alu 0xf1ff
	v_cndmask_b32_e64 v12, 0, v12, s0
	v_cmp_lt_i32_e64 s0, v82, v34
	s_wait_alu 0xf1ff
	s_delay_alu instid0(VALU_DEP_1) | instskip(SKIP_1) | instid1(VALU_DEP_2)
	v_cndmask_b32_e64 v0, 0, v0, s0
	v_cmp_lt_i32_e64 s0, v80, v34
	v_or_b32_e32 v98, v12, v0
	s_wait_alu 0xf1ff
	s_delay_alu instid0(VALU_DEP_2) | instskip(SKIP_2) | instid1(VALU_DEP_1)
	v_cndmask_b32_e64 v99, 0, v99, s0
	v_cmp_lt_i32_e64 s0, v71, v34
	s_wait_alu 0xf1ff
	v_cndmask_b32_e64 v87, 0, v87, s0
	v_cmp_lt_i32_e64 s0, v69, v34
	s_delay_alu instid0(VALU_DEP_2) | instskip(SKIP_1) | instid1(VALU_DEP_2)
	v_or_b32_e32 v101, v99, v87
	s_wait_alu 0xf1ff
	v_cndmask_b32_e64 v96, 0, v96, s0
	v_cmp_lt_i32_e64 s0, v54, v34
	s_wait_alu 0xf1ff
	s_delay_alu instid0(VALU_DEP_1) | instskip(NEXT) | instid1(VALU_DEP_1)
	v_cndmask_b32_e64 v11, 0, v11, s0
	v_or_b32_e32 v100, v96, v11
.LBB268_1009:                           ;   in Loop: Header=BB268_810 Depth=1
	s_wait_alu 0xfffe
	s_or_b32 exec_lo, exec_lo, s13
	;;#ASMSTART
	v_pk_mul_f16 v0, v81, v102;

	;;#ASMEND
	;;#ASMSTART
	v_pk_mul_f16 v11, v70, v98;

	;;#ASMEND
	;; [unrolled: 4-line block ×4, first 2 shown]
	;;#ASMSTART
	v_pk_add_f16 v0, v0, v11;

	;;#ASMEND
	;;#ASMSTART
	v_pk_add_f16 v0, v0, v12;

	;;#ASMEND
	;; [unrolled: 4-line block ×3, first 2 shown]
	v_dual_mov_b32 v98, 0 :: v_dual_and_b32 v11, 0xffff, v0
	v_lshrrev_b32_e32 v0, 16, v0
	;;#ASMSTART
	v_cvt_f32_f16 v87, v11;
	;;#ASMEND
	;;#ASMSTART
	v_cvt_f32_f16 v96, v0;
	;;#ASMEND
	flat_load_b64 v[11:12], v[9:10] offset:768
	flat_load_b32 v97, v[26:27]
	s_mov_b32 s13, exec_lo
	s_wait_loadcnt_dscnt 0x101
	v_dual_mov_b32 v99, 0 :: v_dual_and_b32 v0, 0xff, v11
	s_delay_alu instid0(VALU_DEP_1)
	v_cmpx_ne_u16_e32 0, v0
	s_cbranch_execz .LBB268_1017
; %bb.1010:                             ;   in Loop: Header=BB268_810 Depth=1
	v_mov_b32_e32 v99, 0x8000
	s_mov_b32 s14, exec_lo
	v_cmpx_ne_u16_e32 0x80, v0
	s_cbranch_execz .LBB268_1016
; %bb.1011:                             ;   in Loop: Header=BB268_810 Depth=1
	v_and_b32_e32 v100, 0x7f, v11
	v_mov_b32_e32 v99, 0x7c01
	s_mov_b32 s15, exec_lo
	s_delay_alu instid0(VALU_DEP_2)
	v_cmpx_ne_u32_e32 0x7f, v100
	s_cbranch_execz .LBB268_1015
; %bb.1012:                             ;   in Loop: Header=BB268_810 Depth=1
	v_and_b32_e32 v0, 7, v11
	v_lshrrev_b32_e32 v99, 3, v100
	s_mov_b32 s16, exec_lo
	v_cmpx_gt_u32_e32 8, v100
; %bb.1013:                             ;   in Loop: Header=BB268_810 Depth=1
	s_delay_alu instid0(VALU_DEP_3) | instskip(NEXT) | instid1(VALU_DEP_1)
	v_clz_i32_u32_e32 v0, v0
	v_min_u32_e32 v0, 32, v0
	s_delay_alu instid0(VALU_DEP_1) | instskip(NEXT) | instid1(VALU_DEP_1)
	v_subrev_nc_u32_e32 v99, 28, v0
	v_lshlrev_b64_e32 v[100:101], v99, v[11:12]
	v_sub_nc_u32_e32 v99, 29, v0
	s_delay_alu instid0(VALU_DEP_2)
	v_and_b32_e32 v0, 7, v100
; %bb.1014:                             ;   in Loop: Header=BB268_810 Depth=1
	s_wait_alu 0xfffe
	s_or_b32 exec_lo, exec_lo, s16
	v_lshlrev_b32_e32 v100, 8, v11
	v_lshl_add_u32 v99, v99, 10, 0x2000
	v_lshlrev_b32_e32 v0, 7, v0
	s_delay_alu instid0(VALU_DEP_3) | instskip(NEXT) | instid1(VALU_DEP_3)
	v_and_b32_e32 v100, 0x8000, v100
	v_and_b32_e32 v99, 0xfc00, v99
	s_delay_alu instid0(VALU_DEP_1)
	v_or3_b32 v99, v100, v99, v0
.LBB268_1015:                           ;   in Loop: Header=BB268_810 Depth=1
	s_wait_alu 0xfffe
	s_or_b32 exec_lo, exec_lo, s15
.LBB268_1016:                           ;   in Loop: Header=BB268_810 Depth=1
	s_wait_alu 0xfffe
	s_or_b32 exec_lo, exec_lo, s14
.LBB268_1017:                           ;   in Loop: Header=BB268_810 Depth=1
	s_wait_alu 0xfffe
	s_or_b32 exec_lo, exec_lo, s13
	v_lshrrev_b16 v0, 8, v11
	s_mov_b32 s13, exec_lo
	s_delay_alu instid0(VALU_DEP_1)
	v_cmpx_ne_u16_e32 0, v0
	s_cbranch_execz .LBB268_1025
; %bb.1018:                             ;   in Loop: Header=BB268_810 Depth=1
	v_bfrev_b32_e32 v98, 1
	s_mov_b32 s14, exec_lo
	v_cmpx_ne_u16_e32 0x80, v0
	s_cbranch_execz .LBB268_1024
; %bb.1019:                             ;   in Loop: Header=BB268_810 Depth=1
	v_and_b32_e32 v100, 0xffff, v0
	v_mov_b32_e32 v98, 0x7c010000
	s_mov_b32 s15, exec_lo
	s_delay_alu instid0(VALU_DEP_2) | instskip(NEXT) | instid1(VALU_DEP_1)
	v_and_b32_e32 v102, 0x7f, v100
	v_cmpx_ne_u32_e32 0x7f, v102
	s_cbranch_execz .LBB268_1023
; %bb.1020:                             ;   in Loop: Header=BB268_810 Depth=1
	v_and_b32_e32 v98, 7, v100
	v_lshrrev_b32_e32 v101, 3, v102
	s_mov_b32 s16, exec_lo
	v_cmpx_gt_u32_e32 8, v102
; %bb.1021:                             ;   in Loop: Header=BB268_810 Depth=1
	s_delay_alu instid0(VALU_DEP_3) | instskip(NEXT) | instid1(VALU_DEP_1)
	v_clz_i32_u32_e32 v98, v98
	v_min_u32_e32 v98, 32, v98
	s_delay_alu instid0(VALU_DEP_1) | instskip(NEXT) | instid1(VALU_DEP_1)
	v_subrev_nc_u32_e32 v101, 28, v98
	v_lshlrev_b64_e32 v[102:103], v101, v[0:1]
	v_sub_nc_u32_e32 v101, 29, v98
	s_delay_alu instid0(VALU_DEP_2)
	v_and_b32_e32 v98, 7, v102
; %bb.1022:                             ;   in Loop: Header=BB268_810 Depth=1
	s_wait_alu 0xfffe
	s_or_b32 exec_lo, exec_lo, s16
	v_lshlrev_b32_e32 v0, 8, v100
	v_lshl_add_u32 v100, v101, 10, 0x2000
	v_lshlrev_b32_e32 v98, 23, v98
	s_delay_alu instid0(VALU_DEP_2) | instskip(NEXT) | instid1(VALU_DEP_1)
	v_and_or_b32 v0, 0x8000, v0, v100
	v_lshl_or_b32 v98, v0, 16, v98
.LBB268_1023:                           ;   in Loop: Header=BB268_810 Depth=1
	s_wait_alu 0xfffe
	s_or_b32 exec_lo, exec_lo, s15
.LBB268_1024:                           ;   in Loop: Header=BB268_810 Depth=1
	s_wait_alu 0xfffe
	s_or_b32 exec_lo, exec_lo, s14
.LBB268_1025:                           ;   in Loop: Header=BB268_810 Depth=1
	s_wait_alu 0xfffe
	s_or_b32 exec_lo, exec_lo, s13
	v_lshrrev_b32_e32 v0, 16, v11
	v_mov_b32_e32 v100, 0
	s_mov_b32 s13, exec_lo
	s_delay_alu instid0(VALU_DEP_2) | instskip(NEXT) | instid1(VALU_DEP_1)
	v_dual_mov_b32 v101, 0 :: v_dual_and_b32 v102, 0xff, v0
	v_cmpx_ne_u16_e32 0, v102
	s_cbranch_execz .LBB268_1033
; %bb.1026:                             ;   in Loop: Header=BB268_810 Depth=1
	v_mov_b32_e32 v101, 0x8000
	s_mov_b32 s14, exec_lo
	v_cmpx_ne_u16_e32 0x80, v102
	s_cbranch_execz .LBB268_1032
; %bb.1027:                             ;   in Loop: Header=BB268_810 Depth=1
	v_bfe_u32 v103, v11, 16, 7
	v_mov_b32_e32 v101, 0x7c01
	s_mov_b32 s15, exec_lo
	s_delay_alu instid0(VALU_DEP_2)
	v_cmpx_ne_u32_e32 0x7f, v103
	s_cbranch_execz .LBB268_1031
; %bb.1028:                             ;   in Loop: Header=BB268_810 Depth=1
	v_and_b32_e32 v101, 7, v0
	v_lshrrev_b32_e32 v102, 3, v103
	s_mov_b32 s16, exec_lo
	v_cmpx_gt_u32_e32 8, v103
; %bb.1029:                             ;   in Loop: Header=BB268_810 Depth=1
	s_delay_alu instid0(VALU_DEP_3) | instskip(NEXT) | instid1(VALU_DEP_1)
	v_clz_i32_u32_e32 v101, v101
	v_min_u32_e32 v103, 32, v101
	s_delay_alu instid0(VALU_DEP_1) | instskip(NEXT) | instid1(VALU_DEP_1)
	v_subrev_nc_u32_e32 v101, 28, v103
	v_lshlrev_b64_e32 v[101:102], v101, v[0:1]
	v_sub_nc_u32_e32 v102, 29, v103
	s_delay_alu instid0(VALU_DEP_2)
	v_and_b32_e32 v101, 7, v101
; %bb.1030:                             ;   in Loop: Header=BB268_810 Depth=1
	s_wait_alu 0xfffe
	s_or_b32 exec_lo, exec_lo, s16
	v_lshlrev_b32_e32 v0, 8, v0
	v_lshl_add_u32 v102, v102, 10, 0x2000
	v_lshlrev_b32_e32 v101, 7, v101
	s_delay_alu instid0(VALU_DEP_3) | instskip(NEXT) | instid1(VALU_DEP_3)
	v_and_b32_e32 v0, 0x8000, v0
	v_and_b32_e32 v102, 0xfc00, v102
	s_delay_alu instid0(VALU_DEP_1)
	v_or3_b32 v101, v0, v102, v101
.LBB268_1031:                           ;   in Loop: Header=BB268_810 Depth=1
	s_wait_alu 0xfffe
	s_or_b32 exec_lo, exec_lo, s15
.LBB268_1032:                           ;   in Loop: Header=BB268_810 Depth=1
	s_wait_alu 0xfffe
	s_or_b32 exec_lo, exec_lo, s14
.LBB268_1033:                           ;   in Loop: Header=BB268_810 Depth=1
	s_wait_alu 0xfffe
	s_or_b32 exec_lo, exec_lo, s13
	s_delay_alu instid0(SALU_CYCLE_1)
	s_mov_b32 s13, exec_lo
	v_cmpx_lt_u32_e32 0xffffff, v11
	s_cbranch_execz .LBB268_1041
; %bb.1034:                             ;   in Loop: Header=BB268_810 Depth=1
	v_lshrrev_b32_e32 v0, 24, v11
	v_bfrev_b32_e32 v100, 1
	s_mov_b32 s14, exec_lo
	s_delay_alu instid0(VALU_DEP_2)
	v_cmpx_ne_u32_e32 0x80, v0
	s_cbranch_execz .LBB268_1040
; %bb.1035:                             ;   in Loop: Header=BB268_810 Depth=1
	v_and_b32_e32 v103, 0x7f, v0
	v_mov_b32_e32 v100, 0x7c010000
	s_mov_b32 s15, exec_lo
	s_delay_alu instid0(VALU_DEP_2)
	v_cmpx_ne_u32_e32 0x7f, v103
	s_cbranch_execz .LBB268_1039
; %bb.1036:                             ;   in Loop: Header=BB268_810 Depth=1
	v_and_b32_e32 v100, 7, v0
	v_lshrrev_b32_e32 v102, 3, v103
	s_mov_b32 s16, exec_lo
	v_cmpx_gt_u32_e32 8, v103
; %bb.1037:                             ;   in Loop: Header=BB268_810 Depth=1
	s_delay_alu instid0(VALU_DEP_3) | instskip(NEXT) | instid1(VALU_DEP_1)
	v_clz_i32_u32_e32 v100, v100
	v_min_u32_e32 v100, 32, v100
	s_delay_alu instid0(VALU_DEP_1) | instskip(NEXT) | instid1(VALU_DEP_1)
	v_subrev_nc_u32_e32 v102, 28, v100
	v_lshlrev_b64_e32 v[112:113], v102, v[0:1]
	v_sub_nc_u32_e32 v102, 29, v100
	s_delay_alu instid0(VALU_DEP_2)
	v_and_b32_e32 v100, 7, v112
; %bb.1038:                             ;   in Loop: Header=BB268_810 Depth=1
	s_wait_alu 0xfffe
	s_or_b32 exec_lo, exec_lo, s16
	v_lshlrev_b32_e32 v0, 8, v0
	v_lshl_add_u32 v102, v102, 10, 0x2000
	v_lshlrev_b32_e32 v100, 23, v100
	s_delay_alu instid0(VALU_DEP_2) | instskip(NEXT) | instid1(VALU_DEP_1)
	v_and_or_b32 v0, 0x8000, v0, v102
	v_lshl_or_b32 v100, v0, 16, v100
.LBB268_1039:                           ;   in Loop: Header=BB268_810 Depth=1
	s_wait_alu 0xfffe
	s_or_b32 exec_lo, exec_lo, s15
.LBB268_1040:                           ;   in Loop: Header=BB268_810 Depth=1
	s_wait_alu 0xfffe
	s_or_b32 exec_lo, exec_lo, s14
.LBB268_1041:                           ;   in Loop: Header=BB268_810 Depth=1
	s_wait_alu 0xfffe
	s_or_b32 exec_lo, exec_lo, s13
	v_dual_mov_b32 v103, 0 :: v_dual_and_b32 v112, 0xff, v12
	v_mov_b32_e32 v0, v12
	v_mov_b32_e32 v102, 0
	s_mov_b32 s13, exec_lo
	s_delay_alu instid0(VALU_DEP_3)
	v_cmpx_ne_u16_e32 0, v112
	s_cbranch_execz .LBB268_1049
; %bb.1042:                             ;   in Loop: Header=BB268_810 Depth=1
	v_mov_b32_e32 v103, 0x8000
	s_mov_b32 s14, exec_lo
	v_cmpx_ne_u16_e32 0x80, v112
	s_cbranch_execz .LBB268_1048
; %bb.1043:                             ;   in Loop: Header=BB268_810 Depth=1
	v_and_b32_e32 v113, 0x7f, v12
	v_mov_b32_e32 v103, 0x7c01
	s_mov_b32 s15, exec_lo
	s_delay_alu instid0(VALU_DEP_2)
	v_cmpx_ne_u32_e32 0x7f, v113
	s_cbranch_execz .LBB268_1047
; %bb.1044:                             ;   in Loop: Header=BB268_810 Depth=1
	v_and_b32_e32 v103, 7, v12
	v_lshrrev_b32_e32 v112, 3, v113
	s_mov_b32 s16, exec_lo
	v_cmpx_gt_u32_e32 8, v113
; %bb.1045:                             ;   in Loop: Header=BB268_810 Depth=1
	s_delay_alu instid0(VALU_DEP_3) | instskip(NEXT) | instid1(VALU_DEP_1)
	v_clz_i32_u32_e32 v103, v103
	v_min_u32_e32 v103, 32, v103
	s_delay_alu instid0(VALU_DEP_1) | instskip(NEXT) | instid1(VALU_DEP_1)
	v_subrev_nc_u32_e32 v112, 28, v103
	v_lshlrev_b64_e32 v[113:114], v112, v[0:1]
	v_sub_nc_u32_e32 v112, 29, v103
	s_delay_alu instid0(VALU_DEP_2)
	v_and_b32_e32 v103, 7, v113
; %bb.1046:                             ;   in Loop: Header=BB268_810 Depth=1
	s_wait_alu 0xfffe
	s_or_b32 exec_lo, exec_lo, s16
	v_lshlrev_b32_e32 v113, 8, v12
	v_lshl_add_u32 v112, v112, 10, 0x2000
	v_lshlrev_b32_e32 v103, 7, v103
	s_delay_alu instid0(VALU_DEP_3) | instskip(NEXT) | instid1(VALU_DEP_3)
	v_and_b32_e32 v113, 0x8000, v113
	v_and_b32_e32 v112, 0xfc00, v112
	s_delay_alu instid0(VALU_DEP_1)
	v_or3_b32 v103, v113, v112, v103
.LBB268_1047:                           ;   in Loop: Header=BB268_810 Depth=1
	s_wait_alu 0xfffe
	s_or_b32 exec_lo, exec_lo, s15
.LBB268_1048:                           ;   in Loop: Header=BB268_810 Depth=1
	s_wait_alu 0xfffe
	s_or_b32 exec_lo, exec_lo, s14
.LBB268_1049:                           ;   in Loop: Header=BB268_810 Depth=1
	s_wait_alu 0xfffe
	s_or_b32 exec_lo, exec_lo, s13
	v_lshrrev_b16 v0, 8, v0
	v_mov_b32_e32 v112, 0
	s_mov_b32 s13, exec_lo
	s_delay_alu instid0(VALU_DEP_2)
	v_cmpx_ne_u16_e32 0, v0
	s_cbranch_execz .LBB268_1057
; %bb.1050:                             ;   in Loop: Header=BB268_810 Depth=1
	v_bfrev_b32_e32 v112, 1
	s_mov_b32 s14, exec_lo
	v_cmpx_ne_u16_e32 0x80, v0
	s_cbranch_execz .LBB268_1056
; %bb.1051:                             ;   in Loop: Header=BB268_810 Depth=1
	v_and_b32_e32 v113, 0xffff, v0
	v_mov_b32_e32 v112, 0x7c010000
	s_mov_b32 s15, exec_lo
	s_delay_alu instid0(VALU_DEP_2) | instskip(NEXT) | instid1(VALU_DEP_1)
	v_and_b32_e32 v115, 0x7f, v113
	v_cmpx_ne_u32_e32 0x7f, v115
	s_cbranch_execz .LBB268_1055
; %bb.1052:                             ;   in Loop: Header=BB268_810 Depth=1
	v_and_b32_e32 v112, 7, v113
	v_lshrrev_b32_e32 v114, 3, v115
	s_mov_b32 s16, exec_lo
	v_cmpx_gt_u32_e32 8, v115
; %bb.1053:                             ;   in Loop: Header=BB268_810 Depth=1
	s_delay_alu instid0(VALU_DEP_3) | instskip(NEXT) | instid1(VALU_DEP_1)
	v_clz_i32_u32_e32 v112, v112
	v_min_u32_e32 v112, 32, v112
	s_delay_alu instid0(VALU_DEP_1) | instskip(NEXT) | instid1(VALU_DEP_1)
	v_subrev_nc_u32_e32 v114, 28, v112
	v_lshlrev_b64_e32 v[115:116], v114, v[0:1]
	v_sub_nc_u32_e32 v114, 29, v112
	s_delay_alu instid0(VALU_DEP_2)
	v_and_b32_e32 v112, 7, v115
; %bb.1054:                             ;   in Loop: Header=BB268_810 Depth=1
	s_wait_alu 0xfffe
	s_or_b32 exec_lo, exec_lo, s16
	v_lshlrev_b32_e32 v0, 8, v113
	v_lshl_add_u32 v113, v114, 10, 0x2000
	v_lshlrev_b32_e32 v112, 23, v112
	s_delay_alu instid0(VALU_DEP_2) | instskip(NEXT) | instid1(VALU_DEP_1)
	v_and_or_b32 v0, 0x8000, v0, v113
	v_lshl_or_b32 v112, v0, 16, v112
.LBB268_1055:                           ;   in Loop: Header=BB268_810 Depth=1
	s_wait_alu 0xfffe
	s_or_b32 exec_lo, exec_lo, s15
.LBB268_1056:                           ;   in Loop: Header=BB268_810 Depth=1
	s_wait_alu 0xfffe
	s_or_b32 exec_lo, exec_lo, s14
.LBB268_1057:                           ;   in Loop: Header=BB268_810 Depth=1
	s_wait_alu 0xfffe
	s_or_b32 exec_lo, exec_lo, s13
	v_lshrrev_b32_e32 v0, 16, v12
	s_mov_b32 s13, exec_lo
	s_delay_alu instid0(VALU_DEP_1) | instskip(NEXT) | instid1(VALU_DEP_1)
	v_and_b32_e32 v113, 0xff, v0
	v_cmpx_ne_u16_e32 0, v113
	s_cbranch_execz .LBB268_1065
; %bb.1058:                             ;   in Loop: Header=BB268_810 Depth=1
	v_mov_b32_e32 v102, 0x8000
	s_mov_b32 s14, exec_lo
	v_cmpx_ne_u16_e32 0x80, v113
	s_cbranch_execz .LBB268_1064
; %bb.1059:                             ;   in Loop: Header=BB268_810 Depth=1
	v_bfe_u32 v114, v12, 16, 7
	v_mov_b32_e32 v102, 0x7c01
	s_mov_b32 s15, exec_lo
	s_delay_alu instid0(VALU_DEP_2)
	v_cmpx_ne_u32_e32 0x7f, v114
	s_cbranch_execz .LBB268_1063
; %bb.1060:                             ;   in Loop: Header=BB268_810 Depth=1
	v_and_b32_e32 v102, 7, v0
	v_lshrrev_b32_e32 v113, 3, v114
	s_mov_b32 s16, exec_lo
	v_cmpx_gt_u32_e32 8, v114
; %bb.1061:                             ;   in Loop: Header=BB268_810 Depth=1
	s_delay_alu instid0(VALU_DEP_3) | instskip(NEXT) | instid1(VALU_DEP_1)
	v_clz_i32_u32_e32 v102, v102
	v_min_u32_e32 v102, 32, v102
	s_delay_alu instid0(VALU_DEP_1) | instskip(NEXT) | instid1(VALU_DEP_1)
	v_subrev_nc_u32_e32 v113, 28, v102
	v_lshlrev_b64_e32 v[114:115], v113, v[0:1]
	v_sub_nc_u32_e32 v113, 29, v102
	s_delay_alu instid0(VALU_DEP_2)
	v_and_b32_e32 v102, 7, v114
; %bb.1062:                             ;   in Loop: Header=BB268_810 Depth=1
	s_wait_alu 0xfffe
	s_or_b32 exec_lo, exec_lo, s16
	v_lshlrev_b32_e32 v0, 8, v0
	v_lshl_add_u32 v113, v113, 10, 0x2000
	v_lshlrev_b32_e32 v102, 7, v102
	s_delay_alu instid0(VALU_DEP_3) | instskip(NEXT) | instid1(VALU_DEP_3)
	v_and_b32_e32 v0, 0x8000, v0
	v_and_b32_e32 v113, 0xfc00, v113
	s_delay_alu instid0(VALU_DEP_1)
	v_or3_b32 v102, v0, v113, v102
.LBB268_1063:                           ;   in Loop: Header=BB268_810 Depth=1
	s_wait_alu 0xfffe
	s_or_b32 exec_lo, exec_lo, s15
.LBB268_1064:                           ;   in Loop: Header=BB268_810 Depth=1
	s_wait_alu 0xfffe
	s_or_b32 exec_lo, exec_lo, s14
.LBB268_1065:                           ;   in Loop: Header=BB268_810 Depth=1
	s_wait_alu 0xfffe
	s_or_b32 exec_lo, exec_lo, s13
	v_cmp_lt_u64_e64 s0, s[8:9], v[11:12]
	v_mov_b32_e32 v11, 0
	s_and_saveexec_b32 s13, s0
	s_cbranch_execz .LBB268_1073
; %bb.1066:                             ;   in Loop: Header=BB268_810 Depth=1
	v_lshrrev_b32_e32 v0, 24, v12
	v_bfrev_b32_e32 v11, 1
	s_mov_b32 s14, exec_lo
	s_delay_alu instid0(VALU_DEP_2)
	v_cmpx_ne_u32_e32 0x80, v0
	s_cbranch_execz .LBB268_1072
; %bb.1067:                             ;   in Loop: Header=BB268_810 Depth=1
	v_and_b32_e32 v113, 0x7f, v0
	v_mov_b32_e32 v11, 0x7c010000
	s_mov_b32 s15, exec_lo
	s_delay_alu instid0(VALU_DEP_2)
	v_cmpx_ne_u32_e32 0x7f, v113
	s_cbranch_execz .LBB268_1071
; %bb.1068:                             ;   in Loop: Header=BB268_810 Depth=1
	v_and_b32_e32 v11, 7, v0
	v_lshrrev_b32_e32 v12, 3, v113
	s_mov_b32 s16, exec_lo
	v_cmpx_gt_u32_e32 8, v113
; %bb.1069:                             ;   in Loop: Header=BB268_810 Depth=1
	s_delay_alu instid0(VALU_DEP_3) | instskip(NEXT) | instid1(VALU_DEP_1)
	v_clz_i32_u32_e32 v11, v11
	v_min_u32_e32 v113, 32, v11
	s_delay_alu instid0(VALU_DEP_1) | instskip(NEXT) | instid1(VALU_DEP_1)
	v_subrev_nc_u32_e32 v11, 28, v113
	v_lshlrev_b64_e32 v[11:12], v11, v[0:1]
	v_sub_nc_u32_e32 v12, 29, v113
	s_delay_alu instid0(VALU_DEP_2)
	v_and_b32_e32 v11, 7, v11
; %bb.1070:                             ;   in Loop: Header=BB268_810 Depth=1
	s_wait_alu 0xfffe
	s_or_b32 exec_lo, exec_lo, s16
	v_lshlrev_b32_e32 v0, 8, v0
	v_lshl_add_u32 v12, v12, 10, 0x2000
	v_lshlrev_b32_e32 v11, 23, v11
	s_delay_alu instid0(VALU_DEP_2) | instskip(NEXT) | instid1(VALU_DEP_1)
	v_and_or_b32 v0, 0x8000, v0, v12
	v_lshl_or_b32 v11, v0, 16, v11
.LBB268_1071:                           ;   in Loop: Header=BB268_810 Depth=1
	s_wait_alu 0xfffe
	s_or_b32 exec_lo, exec_lo, s15
.LBB268_1072:                           ;   in Loop: Header=BB268_810 Depth=1
	s_wait_alu 0xfffe
	s_or_b32 exec_lo, exec_lo, s14
.LBB268_1073:                           ;   in Loop: Header=BB268_810 Depth=1
	s_wait_alu 0xfffe
	s_or_b32 exec_lo, exec_lo, s13
	v_or_b32_e32 v0, v100, v101
	s_wait_loadcnt_dscnt 0x0
	v_fma_mixlo_f16 v12, v97, v100, 0 op_sel:[0,1,0] op_sel_hi:[0,1,0]
	v_or_b32_e32 v100, v98, v99
	v_fma_mixlo_f16 v98, v97, v98, 0 op_sel:[0,1,0] op_sel_hi:[0,1,0]
	v_or_b32_e32 v101, v112, v103
	v_or_b32_e32 v102, v11, v102
	v_fma_mixlo_f16 v103, v97, v0, 0 op_sel_hi:[0,1,0]
	v_fma_mixlo_f16 v11, v97, v11, 0 op_sel:[0,1,0] op_sel_hi:[0,1,0]
	v_lshlrev_b32_e32 v99, 16, v98
	v_fma_mixlo_f16 v98, v97, v100, 0 op_sel_hi:[0,1,0]
	v_fma_mixlo_f16 v100, v97, v112, 0 op_sel:[0,1,0] op_sel_hi:[0,1,0]
	v_fma_mixlo_f16 v101, v97, v101, 0 op_sel_hi:[0,1,0]
	v_fma_mixlo_f16 v102, v97, v102, 0 op_sel_hi:[0,1,0]
	v_lshlrev_b32_e32 v0, 16, v12
	v_and_b32_e32 v12, 0xffff, v103
	v_and_b32_e32 v113, 0xffff, v98
	v_lshlrev_b32_e32 v97, 16, v100
	v_and_b32_e32 v101, 0xffff, v101
	v_lshlrev_b32_e32 v11, 16, v11
	v_and_b32_e32 v98, 0xffff, v102
	v_or_b32_e32 v100, v0, v12
	v_or_b32_e32 v112, v99, v113
	;; [unrolled: 1-line block ×3, first 2 shown]
	s_delay_alu instid0(VALU_DEP_4)
	v_or_b32_e32 v102, v11, v98
	s_and_saveexec_b32 s13, vcc_lo
	s_cbranch_execz .LBB268_1075
; %bb.1074:                             ;   in Loop: Header=BB268_810 Depth=1
	v_cmp_lt_i32_e64 s0, v16, v34
	s_wait_alu 0xf1ff
	s_delay_alu instid0(VALU_DEP_1) | instskip(SKIP_2) | instid1(VALU_DEP_1)
	v_cndmask_b32_e64 v100, 0, v113, s0
	v_cmp_lt_i32_e64 s0, v84, v34
	s_wait_alu 0xf1ff
	v_cndmask_b32_e64 v99, 0, v99, s0
	v_cmp_lt_i32_e64 s0, v83, v34
	s_delay_alu instid0(VALU_DEP_2) | instskip(SKIP_1) | instid1(VALU_DEP_2)
	v_or_b32_e32 v112, v100, v99
	s_wait_alu 0xf1ff
	v_cndmask_b32_e64 v12, 0, v12, s0
	v_cmp_lt_i32_e64 s0, v82, v34
	s_wait_alu 0xf1ff
	s_delay_alu instid0(VALU_DEP_1) | instskip(SKIP_1) | instid1(VALU_DEP_2)
	v_cndmask_b32_e64 v0, 0, v0, s0
	v_cmp_lt_i32_e64 s0, v80, v34
	v_or_b32_e32 v100, v12, v0
	s_wait_alu 0xf1ff
	s_delay_alu instid0(VALU_DEP_2) | instskip(SKIP_2) | instid1(VALU_DEP_1)
	v_cndmask_b32_e64 v101, 0, v101, s0
	v_cmp_lt_i32_e64 s0, v71, v34
	s_wait_alu 0xf1ff
	v_cndmask_b32_e64 v97, 0, v97, s0
	v_cmp_lt_i32_e64 s0, v69, v34
	s_delay_alu instid0(VALU_DEP_2) | instskip(SKIP_1) | instid1(VALU_DEP_2)
	v_or_b32_e32 v103, v101, v97
	s_wait_alu 0xf1ff
	v_cndmask_b32_e64 v98, 0, v98, s0
	v_cmp_lt_i32_e64 s0, v54, v34
	s_wait_alu 0xf1ff
	s_delay_alu instid0(VALU_DEP_1) | instskip(NEXT) | instid1(VALU_DEP_1)
	v_cndmask_b32_e64 v11, 0, v11, s0
	v_or_b32_e32 v102, v98, v11
.LBB268_1075:                           ;   in Loop: Header=BB268_810 Depth=1
	s_wait_alu 0xfffe
	s_or_b32 exec_lo, exec_lo, s13
	;;#ASMSTART
	v_pk_mul_f16 v0, v81, v112;

	;;#ASMEND
	;;#ASMSTART
	v_pk_mul_f16 v11, v70, v100;

	;;#ASMEND
	;; [unrolled: 4-line block ×4, first 2 shown]
	;;#ASMSTART
	v_pk_add_f16 v0, v0, v11;

	;;#ASMEND
	;;#ASMSTART
	v_pk_add_f16 v0, v0, v12;

	;;#ASMEND
	;;#ASMSTART
	v_pk_add_f16 v0, v0, v97;

	;;#ASMEND
	v_dual_mov_b32 v100, 0 :: v_dual_and_b32 v11, 0xffff, v0
	v_lshrrev_b32_e32 v0, 16, v0
	;;#ASMSTART
	v_cvt_f32_f16 v97, v11;
	;;#ASMEND
	;;#ASMSTART
	v_cvt_f32_f16 v98, v0;
	;;#ASMEND
	flat_load_b64 v[11:12], v[9:10] offset:1024
	flat_load_b32 v99, v[26:27]
	s_mov_b32 s13, exec_lo
	s_wait_loadcnt_dscnt 0x101
	v_dual_mov_b32 v101, 0 :: v_dual_and_b32 v0, 0xff, v11
	s_delay_alu instid0(VALU_DEP_1)
	v_cmpx_ne_u16_e32 0, v0
	s_cbranch_execz .LBB268_1083
; %bb.1076:                             ;   in Loop: Header=BB268_810 Depth=1
	v_mov_b32_e32 v101, 0x8000
	s_mov_b32 s14, exec_lo
	v_cmpx_ne_u16_e32 0x80, v0
	s_cbranch_execz .LBB268_1082
; %bb.1077:                             ;   in Loop: Header=BB268_810 Depth=1
	v_and_b32_e32 v102, 0x7f, v11
	v_mov_b32_e32 v101, 0x7c01
	s_mov_b32 s15, exec_lo
	s_delay_alu instid0(VALU_DEP_2)
	v_cmpx_ne_u32_e32 0x7f, v102
	s_cbranch_execz .LBB268_1081
; %bb.1078:                             ;   in Loop: Header=BB268_810 Depth=1
	v_and_b32_e32 v0, 7, v11
	v_lshrrev_b32_e32 v101, 3, v102
	s_mov_b32 s16, exec_lo
	v_cmpx_gt_u32_e32 8, v102
; %bb.1079:                             ;   in Loop: Header=BB268_810 Depth=1
	s_delay_alu instid0(VALU_DEP_3) | instskip(NEXT) | instid1(VALU_DEP_1)
	v_clz_i32_u32_e32 v0, v0
	v_min_u32_e32 v0, 32, v0
	s_delay_alu instid0(VALU_DEP_1) | instskip(NEXT) | instid1(VALU_DEP_1)
	v_subrev_nc_u32_e32 v101, 28, v0
	v_lshlrev_b64_e32 v[102:103], v101, v[11:12]
	v_sub_nc_u32_e32 v101, 29, v0
	s_delay_alu instid0(VALU_DEP_2)
	v_and_b32_e32 v0, 7, v102
; %bb.1080:                             ;   in Loop: Header=BB268_810 Depth=1
	s_wait_alu 0xfffe
	s_or_b32 exec_lo, exec_lo, s16
	v_lshlrev_b32_e32 v102, 8, v11
	v_lshl_add_u32 v101, v101, 10, 0x2000
	v_lshlrev_b32_e32 v0, 7, v0
	s_delay_alu instid0(VALU_DEP_3) | instskip(NEXT) | instid1(VALU_DEP_3)
	v_and_b32_e32 v102, 0x8000, v102
	v_and_b32_e32 v101, 0xfc00, v101
	s_delay_alu instid0(VALU_DEP_1)
	v_or3_b32 v101, v102, v101, v0
.LBB268_1081:                           ;   in Loop: Header=BB268_810 Depth=1
	s_wait_alu 0xfffe
	s_or_b32 exec_lo, exec_lo, s15
.LBB268_1082:                           ;   in Loop: Header=BB268_810 Depth=1
	s_wait_alu 0xfffe
	s_or_b32 exec_lo, exec_lo, s14
.LBB268_1083:                           ;   in Loop: Header=BB268_810 Depth=1
	s_wait_alu 0xfffe
	s_or_b32 exec_lo, exec_lo, s13
	v_lshrrev_b16 v0, 8, v11
	s_mov_b32 s13, exec_lo
	s_delay_alu instid0(VALU_DEP_1)
	v_cmpx_ne_u16_e32 0, v0
	s_cbranch_execz .LBB268_1091
; %bb.1084:                             ;   in Loop: Header=BB268_810 Depth=1
	v_bfrev_b32_e32 v100, 1
	s_mov_b32 s14, exec_lo
	v_cmpx_ne_u16_e32 0x80, v0
	s_cbranch_execz .LBB268_1090
; %bb.1085:                             ;   in Loop: Header=BB268_810 Depth=1
	v_and_b32_e32 v102, 0xffff, v0
	v_mov_b32_e32 v100, 0x7c010000
	s_mov_b32 s15, exec_lo
	s_delay_alu instid0(VALU_DEP_2) | instskip(NEXT) | instid1(VALU_DEP_1)
	v_and_b32_e32 v112, 0x7f, v102
	v_cmpx_ne_u32_e32 0x7f, v112
	s_cbranch_execz .LBB268_1089
; %bb.1086:                             ;   in Loop: Header=BB268_810 Depth=1
	v_and_b32_e32 v100, 7, v102
	v_lshrrev_b32_e32 v103, 3, v112
	s_mov_b32 s16, exec_lo
	v_cmpx_gt_u32_e32 8, v112
; %bb.1087:                             ;   in Loop: Header=BB268_810 Depth=1
	s_delay_alu instid0(VALU_DEP_3) | instskip(NEXT) | instid1(VALU_DEP_1)
	v_clz_i32_u32_e32 v100, v100
	v_min_u32_e32 v100, 32, v100
	s_delay_alu instid0(VALU_DEP_1) | instskip(NEXT) | instid1(VALU_DEP_1)
	v_subrev_nc_u32_e32 v103, 28, v100
	v_lshlrev_b64_e32 v[112:113], v103, v[0:1]
	v_sub_nc_u32_e32 v103, 29, v100
	s_delay_alu instid0(VALU_DEP_2)
	v_and_b32_e32 v100, 7, v112
; %bb.1088:                             ;   in Loop: Header=BB268_810 Depth=1
	s_wait_alu 0xfffe
	s_or_b32 exec_lo, exec_lo, s16
	v_lshlrev_b32_e32 v0, 8, v102
	v_lshl_add_u32 v102, v103, 10, 0x2000
	v_lshlrev_b32_e32 v100, 23, v100
	s_delay_alu instid0(VALU_DEP_2) | instskip(NEXT) | instid1(VALU_DEP_1)
	v_and_or_b32 v0, 0x8000, v0, v102
	v_lshl_or_b32 v100, v0, 16, v100
.LBB268_1089:                           ;   in Loop: Header=BB268_810 Depth=1
	s_wait_alu 0xfffe
	s_or_b32 exec_lo, exec_lo, s15
.LBB268_1090:                           ;   in Loop: Header=BB268_810 Depth=1
	s_wait_alu 0xfffe
	s_or_b32 exec_lo, exec_lo, s14
.LBB268_1091:                           ;   in Loop: Header=BB268_810 Depth=1
	s_wait_alu 0xfffe
	s_or_b32 exec_lo, exec_lo, s13
	v_lshrrev_b32_e32 v0, 16, v11
	v_mov_b32_e32 v102, 0
	s_mov_b32 s13, exec_lo
	s_delay_alu instid0(VALU_DEP_2) | instskip(NEXT) | instid1(VALU_DEP_1)
	v_dual_mov_b32 v103, 0 :: v_dual_and_b32 v112, 0xff, v0
	v_cmpx_ne_u16_e32 0, v112
	s_cbranch_execz .LBB268_1099
; %bb.1092:                             ;   in Loop: Header=BB268_810 Depth=1
	v_mov_b32_e32 v103, 0x8000
	s_mov_b32 s14, exec_lo
	v_cmpx_ne_u16_e32 0x80, v112
	s_cbranch_execz .LBB268_1098
; %bb.1093:                             ;   in Loop: Header=BB268_810 Depth=1
	v_bfe_u32 v113, v11, 16, 7
	v_mov_b32_e32 v103, 0x7c01
	s_mov_b32 s15, exec_lo
	s_delay_alu instid0(VALU_DEP_2)
	v_cmpx_ne_u32_e32 0x7f, v113
	s_cbranch_execz .LBB268_1097
; %bb.1094:                             ;   in Loop: Header=BB268_810 Depth=1
	v_and_b32_e32 v103, 7, v0
	v_lshrrev_b32_e32 v112, 3, v113
	s_mov_b32 s16, exec_lo
	v_cmpx_gt_u32_e32 8, v113
; %bb.1095:                             ;   in Loop: Header=BB268_810 Depth=1
	s_delay_alu instid0(VALU_DEP_3) | instskip(NEXT) | instid1(VALU_DEP_1)
	v_clz_i32_u32_e32 v103, v103
	v_min_u32_e32 v103, 32, v103
	s_delay_alu instid0(VALU_DEP_1) | instskip(NEXT) | instid1(VALU_DEP_1)
	v_subrev_nc_u32_e32 v112, 28, v103
	v_lshlrev_b64_e32 v[113:114], v112, v[0:1]
	v_sub_nc_u32_e32 v112, 29, v103
	s_delay_alu instid0(VALU_DEP_2)
	v_and_b32_e32 v103, 7, v113
; %bb.1096:                             ;   in Loop: Header=BB268_810 Depth=1
	s_wait_alu 0xfffe
	s_or_b32 exec_lo, exec_lo, s16
	v_lshlrev_b32_e32 v0, 8, v0
	v_lshl_add_u32 v112, v112, 10, 0x2000
	v_lshlrev_b32_e32 v103, 7, v103
	s_delay_alu instid0(VALU_DEP_3) | instskip(NEXT) | instid1(VALU_DEP_3)
	v_and_b32_e32 v0, 0x8000, v0
	v_and_b32_e32 v112, 0xfc00, v112
	s_delay_alu instid0(VALU_DEP_1)
	v_or3_b32 v103, v0, v112, v103
.LBB268_1097:                           ;   in Loop: Header=BB268_810 Depth=1
	s_wait_alu 0xfffe
	s_or_b32 exec_lo, exec_lo, s15
.LBB268_1098:                           ;   in Loop: Header=BB268_810 Depth=1
	s_wait_alu 0xfffe
	s_or_b32 exec_lo, exec_lo, s14
.LBB268_1099:                           ;   in Loop: Header=BB268_810 Depth=1
	s_wait_alu 0xfffe
	s_or_b32 exec_lo, exec_lo, s13
	s_delay_alu instid0(SALU_CYCLE_1)
	s_mov_b32 s13, exec_lo
	v_cmpx_lt_u32_e32 0xffffff, v11
	s_cbranch_execz .LBB268_1107
; %bb.1100:                             ;   in Loop: Header=BB268_810 Depth=1
	v_lshrrev_b32_e32 v0, 24, v11
	v_bfrev_b32_e32 v102, 1
	s_mov_b32 s14, exec_lo
	s_delay_alu instid0(VALU_DEP_2)
	v_cmpx_ne_u32_e32 0x80, v0
	s_cbranch_execz .LBB268_1106
; %bb.1101:                             ;   in Loop: Header=BB268_810 Depth=1
	v_and_b32_e32 v113, 0x7f, v0
	v_mov_b32_e32 v102, 0x7c010000
	s_mov_b32 s15, exec_lo
	s_delay_alu instid0(VALU_DEP_2)
	v_cmpx_ne_u32_e32 0x7f, v113
	s_cbranch_execz .LBB268_1105
; %bb.1102:                             ;   in Loop: Header=BB268_810 Depth=1
	v_and_b32_e32 v102, 7, v0
	v_lshrrev_b32_e32 v112, 3, v113
	s_mov_b32 s16, exec_lo
	v_cmpx_gt_u32_e32 8, v113
; %bb.1103:                             ;   in Loop: Header=BB268_810 Depth=1
	s_delay_alu instid0(VALU_DEP_3) | instskip(NEXT) | instid1(VALU_DEP_1)
	v_clz_i32_u32_e32 v102, v102
	v_min_u32_e32 v102, 32, v102
	s_delay_alu instid0(VALU_DEP_1) | instskip(NEXT) | instid1(VALU_DEP_1)
	v_subrev_nc_u32_e32 v112, 28, v102
	v_lshlrev_b64_e32 v[113:114], v112, v[0:1]
	v_sub_nc_u32_e32 v112, 29, v102
	s_delay_alu instid0(VALU_DEP_2)
	v_and_b32_e32 v102, 7, v113
; %bb.1104:                             ;   in Loop: Header=BB268_810 Depth=1
	s_wait_alu 0xfffe
	s_or_b32 exec_lo, exec_lo, s16
	v_lshlrev_b32_e32 v0, 8, v0
	v_lshl_add_u32 v112, v112, 10, 0x2000
	v_lshlrev_b32_e32 v102, 23, v102
	s_delay_alu instid0(VALU_DEP_2) | instskip(NEXT) | instid1(VALU_DEP_1)
	v_and_or_b32 v0, 0x8000, v0, v112
	v_lshl_or_b32 v102, v0, 16, v102
.LBB268_1105:                           ;   in Loop: Header=BB268_810 Depth=1
	s_wait_alu 0xfffe
	s_or_b32 exec_lo, exec_lo, s15
.LBB268_1106:                           ;   in Loop: Header=BB268_810 Depth=1
	s_wait_alu 0xfffe
	s_or_b32 exec_lo, exec_lo, s14
.LBB268_1107:                           ;   in Loop: Header=BB268_810 Depth=1
	s_wait_alu 0xfffe
	s_or_b32 exec_lo, exec_lo, s13
	v_dual_mov_b32 v113, 0 :: v_dual_and_b32 v114, 0xff, v12
	v_mov_b32_e32 v0, v12
	v_mov_b32_e32 v112, 0
	s_mov_b32 s13, exec_lo
	s_delay_alu instid0(VALU_DEP_3)
	v_cmpx_ne_u16_e32 0, v114
	s_cbranch_execz .LBB268_1115
; %bb.1108:                             ;   in Loop: Header=BB268_810 Depth=1
	v_mov_b32_e32 v113, 0x8000
	s_mov_b32 s14, exec_lo
	v_cmpx_ne_u16_e32 0x80, v114
	s_cbranch_execz .LBB268_1114
; %bb.1109:                             ;   in Loop: Header=BB268_810 Depth=1
	v_and_b32_e32 v115, 0x7f, v12
	v_mov_b32_e32 v113, 0x7c01
	s_mov_b32 s15, exec_lo
	s_delay_alu instid0(VALU_DEP_2)
	v_cmpx_ne_u32_e32 0x7f, v115
	s_cbranch_execz .LBB268_1113
; %bb.1110:                             ;   in Loop: Header=BB268_810 Depth=1
	v_and_b32_e32 v113, 7, v12
	v_lshrrev_b32_e32 v114, 3, v115
	s_mov_b32 s16, exec_lo
	v_cmpx_gt_u32_e32 8, v115
; %bb.1111:                             ;   in Loop: Header=BB268_810 Depth=1
	s_delay_alu instid0(VALU_DEP_3) | instskip(NEXT) | instid1(VALU_DEP_1)
	v_clz_i32_u32_e32 v113, v113
	v_min_u32_e32 v115, 32, v113
	s_delay_alu instid0(VALU_DEP_1) | instskip(NEXT) | instid1(VALU_DEP_1)
	v_subrev_nc_u32_e32 v113, 28, v115
	v_lshlrev_b64_e32 v[113:114], v113, v[0:1]
	v_sub_nc_u32_e32 v114, 29, v115
	s_delay_alu instid0(VALU_DEP_2)
	v_and_b32_e32 v113, 7, v113
; %bb.1112:                             ;   in Loop: Header=BB268_810 Depth=1
	s_wait_alu 0xfffe
	s_or_b32 exec_lo, exec_lo, s16
	v_lshlrev_b32_e32 v115, 8, v12
	v_lshl_add_u32 v114, v114, 10, 0x2000
	v_lshlrev_b32_e32 v113, 7, v113
	s_delay_alu instid0(VALU_DEP_3) | instskip(NEXT) | instid1(VALU_DEP_3)
	v_and_b32_e32 v115, 0x8000, v115
	v_and_b32_e32 v114, 0xfc00, v114
	s_delay_alu instid0(VALU_DEP_1)
	v_or3_b32 v113, v115, v114, v113
.LBB268_1113:                           ;   in Loop: Header=BB268_810 Depth=1
	s_wait_alu 0xfffe
	s_or_b32 exec_lo, exec_lo, s15
.LBB268_1114:                           ;   in Loop: Header=BB268_810 Depth=1
	s_wait_alu 0xfffe
	s_or_b32 exec_lo, exec_lo, s14
.LBB268_1115:                           ;   in Loop: Header=BB268_810 Depth=1
	s_wait_alu 0xfffe
	s_or_b32 exec_lo, exec_lo, s13
	v_lshrrev_b16 v0, 8, v0
	v_mov_b32_e32 v114, 0
	s_mov_b32 s13, exec_lo
	s_delay_alu instid0(VALU_DEP_2)
	v_cmpx_ne_u16_e32 0, v0
	s_cbranch_execz .LBB268_1123
; %bb.1116:                             ;   in Loop: Header=BB268_810 Depth=1
	v_bfrev_b32_e32 v114, 1
	s_mov_b32 s14, exec_lo
	v_cmpx_ne_u16_e32 0x80, v0
	s_cbranch_execz .LBB268_1122
; %bb.1117:                             ;   in Loop: Header=BB268_810 Depth=1
	v_and_b32_e32 v115, 0xffff, v0
	v_mov_b32_e32 v114, 0x7c010000
	s_mov_b32 s15, exec_lo
	s_delay_alu instid0(VALU_DEP_2) | instskip(NEXT) | instid1(VALU_DEP_1)
	v_and_b32_e32 v117, 0x7f, v115
	v_cmpx_ne_u32_e32 0x7f, v117
	s_cbranch_execz .LBB268_1121
; %bb.1118:                             ;   in Loop: Header=BB268_810 Depth=1
	v_and_b32_e32 v114, 7, v115
	v_lshrrev_b32_e32 v116, 3, v117
	s_mov_b32 s16, exec_lo
	v_cmpx_gt_u32_e32 8, v117
; %bb.1119:                             ;   in Loop: Header=BB268_810 Depth=1
	s_delay_alu instid0(VALU_DEP_3) | instskip(NEXT) | instid1(VALU_DEP_1)
	v_clz_i32_u32_e32 v114, v114
	v_min_u32_e32 v114, 32, v114
	s_delay_alu instid0(VALU_DEP_1) | instskip(NEXT) | instid1(VALU_DEP_1)
	v_subrev_nc_u32_e32 v116, 28, v114
	v_lshlrev_b64_e32 v[117:118], v116, v[0:1]
	v_sub_nc_u32_e32 v116, 29, v114
	s_delay_alu instid0(VALU_DEP_2)
	v_and_b32_e32 v114, 7, v117
; %bb.1120:                             ;   in Loop: Header=BB268_810 Depth=1
	s_wait_alu 0xfffe
	s_or_b32 exec_lo, exec_lo, s16
	v_lshlrev_b32_e32 v0, 8, v115
	v_lshl_add_u32 v115, v116, 10, 0x2000
	v_lshlrev_b32_e32 v114, 23, v114
	s_delay_alu instid0(VALU_DEP_2) | instskip(NEXT) | instid1(VALU_DEP_1)
	v_and_or_b32 v0, 0x8000, v0, v115
	v_lshl_or_b32 v114, v0, 16, v114
.LBB268_1121:                           ;   in Loop: Header=BB268_810 Depth=1
	s_wait_alu 0xfffe
	s_or_b32 exec_lo, exec_lo, s15
.LBB268_1122:                           ;   in Loop: Header=BB268_810 Depth=1
	s_wait_alu 0xfffe
	s_or_b32 exec_lo, exec_lo, s14
.LBB268_1123:                           ;   in Loop: Header=BB268_810 Depth=1
	s_wait_alu 0xfffe
	s_or_b32 exec_lo, exec_lo, s13
	v_lshrrev_b32_e32 v0, 16, v12
	s_mov_b32 s13, exec_lo
	s_delay_alu instid0(VALU_DEP_1) | instskip(NEXT) | instid1(VALU_DEP_1)
	v_and_b32_e32 v115, 0xff, v0
	v_cmpx_ne_u16_e32 0, v115
	s_cbranch_execz .LBB268_1131
; %bb.1124:                             ;   in Loop: Header=BB268_810 Depth=1
	v_mov_b32_e32 v112, 0x8000
	s_mov_b32 s14, exec_lo
	v_cmpx_ne_u16_e32 0x80, v115
	s_cbranch_execz .LBB268_1130
; %bb.1125:                             ;   in Loop: Header=BB268_810 Depth=1
	v_bfe_u32 v116, v12, 16, 7
	v_mov_b32_e32 v112, 0x7c01
	s_mov_b32 s15, exec_lo
	s_delay_alu instid0(VALU_DEP_2)
	v_cmpx_ne_u32_e32 0x7f, v116
	s_cbranch_execz .LBB268_1129
; %bb.1126:                             ;   in Loop: Header=BB268_810 Depth=1
	v_and_b32_e32 v112, 7, v0
	v_lshrrev_b32_e32 v115, 3, v116
	s_mov_b32 s16, exec_lo
	v_cmpx_gt_u32_e32 8, v116
; %bb.1127:                             ;   in Loop: Header=BB268_810 Depth=1
	s_delay_alu instid0(VALU_DEP_3) | instskip(NEXT) | instid1(VALU_DEP_1)
	v_clz_i32_u32_e32 v112, v112
	v_min_u32_e32 v112, 32, v112
	s_delay_alu instid0(VALU_DEP_1) | instskip(NEXT) | instid1(VALU_DEP_1)
	v_subrev_nc_u32_e32 v115, 28, v112
	v_lshlrev_b64_e32 v[116:117], v115, v[0:1]
	v_sub_nc_u32_e32 v115, 29, v112
	s_delay_alu instid0(VALU_DEP_2)
	v_and_b32_e32 v112, 7, v116
; %bb.1128:                             ;   in Loop: Header=BB268_810 Depth=1
	s_wait_alu 0xfffe
	s_or_b32 exec_lo, exec_lo, s16
	v_lshlrev_b32_e32 v0, 8, v0
	v_lshl_add_u32 v115, v115, 10, 0x2000
	v_lshlrev_b32_e32 v112, 7, v112
	s_delay_alu instid0(VALU_DEP_3) | instskip(NEXT) | instid1(VALU_DEP_3)
	v_and_b32_e32 v0, 0x8000, v0
	v_and_b32_e32 v115, 0xfc00, v115
	s_delay_alu instid0(VALU_DEP_1)
	v_or3_b32 v112, v0, v115, v112
.LBB268_1129:                           ;   in Loop: Header=BB268_810 Depth=1
	s_wait_alu 0xfffe
	s_or_b32 exec_lo, exec_lo, s15
.LBB268_1130:                           ;   in Loop: Header=BB268_810 Depth=1
	s_wait_alu 0xfffe
	s_or_b32 exec_lo, exec_lo, s14
.LBB268_1131:                           ;   in Loop: Header=BB268_810 Depth=1
	s_wait_alu 0xfffe
	s_or_b32 exec_lo, exec_lo, s13
	v_cmp_lt_u64_e64 s0, s[8:9], v[11:12]
	v_mov_b32_e32 v11, 0
	s_and_saveexec_b32 s13, s0
	s_cbranch_execz .LBB268_1139
; %bb.1132:                             ;   in Loop: Header=BB268_810 Depth=1
	v_lshrrev_b32_e32 v0, 24, v12
	v_bfrev_b32_e32 v11, 1
	s_mov_b32 s14, exec_lo
	s_delay_alu instid0(VALU_DEP_2)
	v_cmpx_ne_u32_e32 0x80, v0
	s_cbranch_execz .LBB268_1138
; %bb.1133:                             ;   in Loop: Header=BB268_810 Depth=1
	v_and_b32_e32 v115, 0x7f, v0
	v_mov_b32_e32 v11, 0x7c010000
	s_mov_b32 s15, exec_lo
	s_delay_alu instid0(VALU_DEP_2)
	v_cmpx_ne_u32_e32 0x7f, v115
	s_cbranch_execz .LBB268_1137
; %bb.1134:                             ;   in Loop: Header=BB268_810 Depth=1
	v_and_b32_e32 v11, 7, v0
	v_lshrrev_b32_e32 v12, 3, v115
	s_mov_b32 s16, exec_lo
	v_cmpx_gt_u32_e32 8, v115
; %bb.1135:                             ;   in Loop: Header=BB268_810 Depth=1
	s_delay_alu instid0(VALU_DEP_3) | instskip(NEXT) | instid1(VALU_DEP_1)
	v_clz_i32_u32_e32 v11, v11
	v_min_u32_e32 v115, 32, v11
	s_delay_alu instid0(VALU_DEP_1) | instskip(NEXT) | instid1(VALU_DEP_1)
	v_subrev_nc_u32_e32 v11, 28, v115
	v_lshlrev_b64_e32 v[11:12], v11, v[0:1]
	v_sub_nc_u32_e32 v12, 29, v115
	s_delay_alu instid0(VALU_DEP_2)
	v_and_b32_e32 v11, 7, v11
; %bb.1136:                             ;   in Loop: Header=BB268_810 Depth=1
	s_wait_alu 0xfffe
	s_or_b32 exec_lo, exec_lo, s16
	v_lshlrev_b32_e32 v0, 8, v0
	v_lshl_add_u32 v12, v12, 10, 0x2000
	v_lshlrev_b32_e32 v11, 23, v11
	s_delay_alu instid0(VALU_DEP_2) | instskip(NEXT) | instid1(VALU_DEP_1)
	v_and_or_b32 v0, 0x8000, v0, v12
	v_lshl_or_b32 v11, v0, 16, v11
.LBB268_1137:                           ;   in Loop: Header=BB268_810 Depth=1
	s_wait_alu 0xfffe
	s_or_b32 exec_lo, exec_lo, s15
.LBB268_1138:                           ;   in Loop: Header=BB268_810 Depth=1
	s_wait_alu 0xfffe
	s_or_b32 exec_lo, exec_lo, s14
.LBB268_1139:                           ;   in Loop: Header=BB268_810 Depth=1
	s_wait_alu 0xfffe
	s_or_b32 exec_lo, exec_lo, s13
	v_or_b32_e32 v0, v102, v103
	s_wait_loadcnt_dscnt 0x0
	v_fma_mixlo_f16 v12, v99, v102, 0 op_sel:[0,1,0] op_sel_hi:[0,1,0]
	v_or_b32_e32 v102, v100, v101
	v_fma_mixlo_f16 v100, v99, v100, 0 op_sel:[0,1,0] op_sel_hi:[0,1,0]
	v_or_b32_e32 v103, v114, v113
	v_or_b32_e32 v112, v11, v112
	v_fma_mixlo_f16 v113, v99, v0, 0 op_sel_hi:[0,1,0]
	v_fma_mixlo_f16 v11, v99, v11, 0 op_sel:[0,1,0] op_sel_hi:[0,1,0]
	v_lshlrev_b32_e32 v101, 16, v100
	v_fma_mixlo_f16 v100, v99, v102, 0 op_sel_hi:[0,1,0]
	v_fma_mixlo_f16 v102, v99, v114, 0 op_sel:[0,1,0] op_sel_hi:[0,1,0]
	v_fma_mixlo_f16 v103, v99, v103, 0 op_sel_hi:[0,1,0]
	v_fma_mixlo_f16 v112, v99, v112, 0 op_sel_hi:[0,1,0]
	v_lshlrev_b32_e32 v0, 16, v12
	v_and_b32_e32 v12, 0xffff, v113
	v_and_b32_e32 v115, 0xffff, v100
	v_lshlrev_b32_e32 v99, 16, v102
	v_and_b32_e32 v103, 0xffff, v103
	v_lshlrev_b32_e32 v11, 16, v11
	v_and_b32_e32 v100, 0xffff, v112
	v_or_b32_e32 v102, v0, v12
	v_or_b32_e32 v114, v101, v115
	;; [unrolled: 1-line block ×3, first 2 shown]
	s_delay_alu instid0(VALU_DEP_4)
	v_or_b32_e32 v112, v11, v100
	s_and_saveexec_b32 s13, vcc_lo
	s_cbranch_execz .LBB268_1141
; %bb.1140:                             ;   in Loop: Header=BB268_810 Depth=1
	v_cmp_lt_i32_e64 s0, v16, v34
	s_wait_alu 0xf1ff
	s_delay_alu instid0(VALU_DEP_1) | instskip(SKIP_2) | instid1(VALU_DEP_1)
	v_cndmask_b32_e64 v102, 0, v115, s0
	v_cmp_lt_i32_e64 s0, v84, v34
	s_wait_alu 0xf1ff
	v_cndmask_b32_e64 v101, 0, v101, s0
	v_cmp_lt_i32_e64 s0, v83, v34
	s_delay_alu instid0(VALU_DEP_2) | instskip(SKIP_1) | instid1(VALU_DEP_2)
	v_or_b32_e32 v114, v102, v101
	s_wait_alu 0xf1ff
	v_cndmask_b32_e64 v12, 0, v12, s0
	v_cmp_lt_i32_e64 s0, v82, v34
	s_wait_alu 0xf1ff
	s_delay_alu instid0(VALU_DEP_1) | instskip(SKIP_1) | instid1(VALU_DEP_2)
	v_cndmask_b32_e64 v0, 0, v0, s0
	v_cmp_lt_i32_e64 s0, v80, v34
	v_or_b32_e32 v102, v12, v0
	s_wait_alu 0xf1ff
	s_delay_alu instid0(VALU_DEP_2) | instskip(SKIP_2) | instid1(VALU_DEP_1)
	v_cndmask_b32_e64 v103, 0, v103, s0
	v_cmp_lt_i32_e64 s0, v71, v34
	s_wait_alu 0xf1ff
	v_cndmask_b32_e64 v99, 0, v99, s0
	v_cmp_lt_i32_e64 s0, v69, v34
	s_delay_alu instid0(VALU_DEP_2) | instskip(SKIP_1) | instid1(VALU_DEP_2)
	v_or_b32_e32 v113, v103, v99
	s_wait_alu 0xf1ff
	v_cndmask_b32_e64 v100, 0, v100, s0
	v_cmp_lt_i32_e64 s0, v54, v34
	s_wait_alu 0xf1ff
	s_delay_alu instid0(VALU_DEP_1) | instskip(NEXT) | instid1(VALU_DEP_1)
	v_cndmask_b32_e64 v11, 0, v11, s0
	v_or_b32_e32 v112, v100, v11
.LBB268_1141:                           ;   in Loop: Header=BB268_810 Depth=1
	s_wait_alu 0xfffe
	s_or_b32 exec_lo, exec_lo, s13
	;;#ASMSTART
	v_pk_mul_f16 v0, v81, v114;

	;;#ASMEND
	;;#ASMSTART
	v_pk_mul_f16 v11, v70, v102;

	;;#ASMEND
	;; [unrolled: 4-line block ×4, first 2 shown]
	;;#ASMSTART
	v_pk_add_f16 v0, v0, v11;

	;;#ASMEND
	;;#ASMSTART
	v_pk_add_f16 v0, v0, v12;

	;;#ASMEND
	;; [unrolled: 4-line block ×3, first 2 shown]
	v_dual_mov_b32 v102, 0 :: v_dual_and_b32 v11, 0xffff, v0
	v_lshrrev_b32_e32 v0, 16, v0
	;;#ASMSTART
	v_cvt_f32_f16 v99, v11;
	;;#ASMEND
	;;#ASMSTART
	v_cvt_f32_f16 v100, v0;
	;;#ASMEND
	flat_load_b64 v[11:12], v[9:10] offset:1280
	flat_load_b32 v101, v[26:27]
	s_mov_b32 s13, exec_lo
	s_wait_loadcnt_dscnt 0x101
	v_dual_mov_b32 v103, 0 :: v_dual_and_b32 v0, 0xff, v11
	s_delay_alu instid0(VALU_DEP_1)
	v_cmpx_ne_u16_e32 0, v0
	s_cbranch_execz .LBB268_1149
; %bb.1142:                             ;   in Loop: Header=BB268_810 Depth=1
	v_mov_b32_e32 v103, 0x8000
	s_mov_b32 s14, exec_lo
	v_cmpx_ne_u16_e32 0x80, v0
	s_cbranch_execz .LBB268_1148
; %bb.1143:                             ;   in Loop: Header=BB268_810 Depth=1
	v_and_b32_e32 v112, 0x7f, v11
	v_mov_b32_e32 v103, 0x7c01
	s_mov_b32 s15, exec_lo
	s_delay_alu instid0(VALU_DEP_2)
	v_cmpx_ne_u32_e32 0x7f, v112
	s_cbranch_execz .LBB268_1147
; %bb.1144:                             ;   in Loop: Header=BB268_810 Depth=1
	v_and_b32_e32 v0, 7, v11
	v_lshrrev_b32_e32 v103, 3, v112
	s_mov_b32 s16, exec_lo
	v_cmpx_gt_u32_e32 8, v112
; %bb.1145:                             ;   in Loop: Header=BB268_810 Depth=1
	s_delay_alu instid0(VALU_DEP_3) | instskip(NEXT) | instid1(VALU_DEP_1)
	v_clz_i32_u32_e32 v0, v0
	v_min_u32_e32 v0, 32, v0
	s_delay_alu instid0(VALU_DEP_1) | instskip(NEXT) | instid1(VALU_DEP_1)
	v_subrev_nc_u32_e32 v103, 28, v0
	v_lshlrev_b64_e32 v[112:113], v103, v[11:12]
	v_sub_nc_u32_e32 v103, 29, v0
	s_delay_alu instid0(VALU_DEP_2)
	v_and_b32_e32 v0, 7, v112
; %bb.1146:                             ;   in Loop: Header=BB268_810 Depth=1
	s_wait_alu 0xfffe
	s_or_b32 exec_lo, exec_lo, s16
	v_lshlrev_b32_e32 v112, 8, v11
	v_lshl_add_u32 v103, v103, 10, 0x2000
	v_lshlrev_b32_e32 v0, 7, v0
	s_delay_alu instid0(VALU_DEP_3) | instskip(NEXT) | instid1(VALU_DEP_3)
	v_and_b32_e32 v112, 0x8000, v112
	v_and_b32_e32 v103, 0xfc00, v103
	s_delay_alu instid0(VALU_DEP_1)
	v_or3_b32 v103, v112, v103, v0
.LBB268_1147:                           ;   in Loop: Header=BB268_810 Depth=1
	s_wait_alu 0xfffe
	s_or_b32 exec_lo, exec_lo, s15
.LBB268_1148:                           ;   in Loop: Header=BB268_810 Depth=1
	s_wait_alu 0xfffe
	s_or_b32 exec_lo, exec_lo, s14
.LBB268_1149:                           ;   in Loop: Header=BB268_810 Depth=1
	s_wait_alu 0xfffe
	s_or_b32 exec_lo, exec_lo, s13
	v_lshrrev_b16 v0, 8, v11
	s_mov_b32 s13, exec_lo
	s_delay_alu instid0(VALU_DEP_1)
	v_cmpx_ne_u16_e32 0, v0
	s_cbranch_execz .LBB268_1157
; %bb.1150:                             ;   in Loop: Header=BB268_810 Depth=1
	v_bfrev_b32_e32 v102, 1
	s_mov_b32 s14, exec_lo
	v_cmpx_ne_u16_e32 0x80, v0
	s_cbranch_execz .LBB268_1156
; %bb.1151:                             ;   in Loop: Header=BB268_810 Depth=1
	v_and_b32_e32 v112, 0xffff, v0
	v_mov_b32_e32 v102, 0x7c010000
	s_mov_b32 s15, exec_lo
	s_delay_alu instid0(VALU_DEP_2) | instskip(NEXT) | instid1(VALU_DEP_1)
	v_and_b32_e32 v114, 0x7f, v112
	v_cmpx_ne_u32_e32 0x7f, v114
	s_cbranch_execz .LBB268_1155
; %bb.1152:                             ;   in Loop: Header=BB268_810 Depth=1
	v_and_b32_e32 v102, 7, v112
	v_lshrrev_b32_e32 v113, 3, v114
	s_mov_b32 s16, exec_lo
	v_cmpx_gt_u32_e32 8, v114
; %bb.1153:                             ;   in Loop: Header=BB268_810 Depth=1
	s_delay_alu instid0(VALU_DEP_3) | instskip(NEXT) | instid1(VALU_DEP_1)
	v_clz_i32_u32_e32 v102, v102
	v_min_u32_e32 v102, 32, v102
	s_delay_alu instid0(VALU_DEP_1) | instskip(NEXT) | instid1(VALU_DEP_1)
	v_subrev_nc_u32_e32 v113, 28, v102
	v_lshlrev_b64_e32 v[114:115], v113, v[0:1]
	v_sub_nc_u32_e32 v113, 29, v102
	s_delay_alu instid0(VALU_DEP_2)
	v_and_b32_e32 v102, 7, v114
; %bb.1154:                             ;   in Loop: Header=BB268_810 Depth=1
	s_wait_alu 0xfffe
	s_or_b32 exec_lo, exec_lo, s16
	v_lshlrev_b32_e32 v0, 8, v112
	v_lshl_add_u32 v112, v113, 10, 0x2000
	v_lshlrev_b32_e32 v102, 23, v102
	s_delay_alu instid0(VALU_DEP_2) | instskip(NEXT) | instid1(VALU_DEP_1)
	v_and_or_b32 v0, 0x8000, v0, v112
	v_lshl_or_b32 v102, v0, 16, v102
.LBB268_1155:                           ;   in Loop: Header=BB268_810 Depth=1
	s_wait_alu 0xfffe
	s_or_b32 exec_lo, exec_lo, s15
.LBB268_1156:                           ;   in Loop: Header=BB268_810 Depth=1
	s_wait_alu 0xfffe
	s_or_b32 exec_lo, exec_lo, s14
.LBB268_1157:                           ;   in Loop: Header=BB268_810 Depth=1
	s_wait_alu 0xfffe
	s_or_b32 exec_lo, exec_lo, s13
	v_lshrrev_b32_e32 v0, 16, v11
	v_mov_b32_e32 v112, 0
	s_mov_b32 s13, exec_lo
	s_delay_alu instid0(VALU_DEP_2) | instskip(NEXT) | instid1(VALU_DEP_1)
	v_dual_mov_b32 v113, 0 :: v_dual_and_b32 v114, 0xff, v0
	v_cmpx_ne_u16_e32 0, v114
	s_cbranch_execz .LBB268_1165
; %bb.1158:                             ;   in Loop: Header=BB268_810 Depth=1
	v_mov_b32_e32 v113, 0x8000
	s_mov_b32 s14, exec_lo
	v_cmpx_ne_u16_e32 0x80, v114
	s_cbranch_execz .LBB268_1164
; %bb.1159:                             ;   in Loop: Header=BB268_810 Depth=1
	v_bfe_u32 v115, v11, 16, 7
	v_mov_b32_e32 v113, 0x7c01
	s_mov_b32 s15, exec_lo
	s_delay_alu instid0(VALU_DEP_2)
	v_cmpx_ne_u32_e32 0x7f, v115
	s_cbranch_execz .LBB268_1163
; %bb.1160:                             ;   in Loop: Header=BB268_810 Depth=1
	v_and_b32_e32 v113, 7, v0
	v_lshrrev_b32_e32 v114, 3, v115
	s_mov_b32 s16, exec_lo
	v_cmpx_gt_u32_e32 8, v115
; %bb.1161:                             ;   in Loop: Header=BB268_810 Depth=1
	s_delay_alu instid0(VALU_DEP_3) | instskip(NEXT) | instid1(VALU_DEP_1)
	v_clz_i32_u32_e32 v113, v113
	v_min_u32_e32 v115, 32, v113
	s_delay_alu instid0(VALU_DEP_1) | instskip(NEXT) | instid1(VALU_DEP_1)
	v_subrev_nc_u32_e32 v113, 28, v115
	v_lshlrev_b64_e32 v[113:114], v113, v[0:1]
	v_sub_nc_u32_e32 v114, 29, v115
	s_delay_alu instid0(VALU_DEP_2)
	v_and_b32_e32 v113, 7, v113
; %bb.1162:                             ;   in Loop: Header=BB268_810 Depth=1
	s_wait_alu 0xfffe
	s_or_b32 exec_lo, exec_lo, s16
	v_lshlrev_b32_e32 v0, 8, v0
	v_lshl_add_u32 v114, v114, 10, 0x2000
	v_lshlrev_b32_e32 v113, 7, v113
	s_delay_alu instid0(VALU_DEP_3) | instskip(NEXT) | instid1(VALU_DEP_3)
	v_and_b32_e32 v0, 0x8000, v0
	v_and_b32_e32 v114, 0xfc00, v114
	s_delay_alu instid0(VALU_DEP_1)
	v_or3_b32 v113, v0, v114, v113
.LBB268_1163:                           ;   in Loop: Header=BB268_810 Depth=1
	s_wait_alu 0xfffe
	s_or_b32 exec_lo, exec_lo, s15
.LBB268_1164:                           ;   in Loop: Header=BB268_810 Depth=1
	s_wait_alu 0xfffe
	s_or_b32 exec_lo, exec_lo, s14
.LBB268_1165:                           ;   in Loop: Header=BB268_810 Depth=1
	s_wait_alu 0xfffe
	s_or_b32 exec_lo, exec_lo, s13
	s_delay_alu instid0(SALU_CYCLE_1)
	s_mov_b32 s13, exec_lo
	v_cmpx_lt_u32_e32 0xffffff, v11
	s_cbranch_execz .LBB268_1173
; %bb.1166:                             ;   in Loop: Header=BB268_810 Depth=1
	v_lshrrev_b32_e32 v0, 24, v11
	v_bfrev_b32_e32 v112, 1
	s_mov_b32 s14, exec_lo
	s_delay_alu instid0(VALU_DEP_2)
	v_cmpx_ne_u32_e32 0x80, v0
	s_cbranch_execz .LBB268_1172
; %bb.1167:                             ;   in Loop: Header=BB268_810 Depth=1
	v_and_b32_e32 v115, 0x7f, v0
	v_mov_b32_e32 v112, 0x7c010000
	s_mov_b32 s15, exec_lo
	s_delay_alu instid0(VALU_DEP_2)
	v_cmpx_ne_u32_e32 0x7f, v115
	s_cbranch_execz .LBB268_1171
; %bb.1168:                             ;   in Loop: Header=BB268_810 Depth=1
	v_and_b32_e32 v112, 7, v0
	v_lshrrev_b32_e32 v114, 3, v115
	s_mov_b32 s16, exec_lo
	v_cmpx_gt_u32_e32 8, v115
; %bb.1169:                             ;   in Loop: Header=BB268_810 Depth=1
	s_delay_alu instid0(VALU_DEP_3) | instskip(NEXT) | instid1(VALU_DEP_1)
	v_clz_i32_u32_e32 v112, v112
	v_min_u32_e32 v112, 32, v112
	s_delay_alu instid0(VALU_DEP_1) | instskip(NEXT) | instid1(VALU_DEP_1)
	v_subrev_nc_u32_e32 v114, 28, v112
	v_lshlrev_b64_e32 v[115:116], v114, v[0:1]
	v_sub_nc_u32_e32 v114, 29, v112
	s_delay_alu instid0(VALU_DEP_2)
	v_and_b32_e32 v112, 7, v115
; %bb.1170:                             ;   in Loop: Header=BB268_810 Depth=1
	s_wait_alu 0xfffe
	s_or_b32 exec_lo, exec_lo, s16
	v_lshlrev_b32_e32 v0, 8, v0
	v_lshl_add_u32 v114, v114, 10, 0x2000
	v_lshlrev_b32_e32 v112, 23, v112
	s_delay_alu instid0(VALU_DEP_2) | instskip(NEXT) | instid1(VALU_DEP_1)
	v_and_or_b32 v0, 0x8000, v0, v114
	v_lshl_or_b32 v112, v0, 16, v112
.LBB268_1171:                           ;   in Loop: Header=BB268_810 Depth=1
	s_wait_alu 0xfffe
	s_or_b32 exec_lo, exec_lo, s15
.LBB268_1172:                           ;   in Loop: Header=BB268_810 Depth=1
	s_wait_alu 0xfffe
	s_or_b32 exec_lo, exec_lo, s14
.LBB268_1173:                           ;   in Loop: Header=BB268_810 Depth=1
	s_wait_alu 0xfffe
	s_or_b32 exec_lo, exec_lo, s13
	v_dual_mov_b32 v115, 0 :: v_dual_and_b32 v116, 0xff, v12
	v_mov_b32_e32 v0, v12
	v_mov_b32_e32 v114, 0
	s_mov_b32 s13, exec_lo
	s_delay_alu instid0(VALU_DEP_3)
	v_cmpx_ne_u16_e32 0, v116
	s_cbranch_execz .LBB268_1181
; %bb.1174:                             ;   in Loop: Header=BB268_810 Depth=1
	v_mov_b32_e32 v115, 0x8000
	s_mov_b32 s14, exec_lo
	v_cmpx_ne_u16_e32 0x80, v116
	s_cbranch_execz .LBB268_1180
; %bb.1175:                             ;   in Loop: Header=BB268_810 Depth=1
	v_and_b32_e32 v117, 0x7f, v12
	v_mov_b32_e32 v115, 0x7c01
	s_mov_b32 s15, exec_lo
	s_delay_alu instid0(VALU_DEP_2)
	v_cmpx_ne_u32_e32 0x7f, v117
	s_cbranch_execz .LBB268_1179
; %bb.1176:                             ;   in Loop: Header=BB268_810 Depth=1
	v_and_b32_e32 v115, 7, v12
	v_lshrrev_b32_e32 v116, 3, v117
	s_mov_b32 s16, exec_lo
	v_cmpx_gt_u32_e32 8, v117
; %bb.1177:                             ;   in Loop: Header=BB268_810 Depth=1
	s_delay_alu instid0(VALU_DEP_3) | instskip(NEXT) | instid1(VALU_DEP_1)
	v_clz_i32_u32_e32 v115, v115
	v_min_u32_e32 v117, 32, v115
	s_delay_alu instid0(VALU_DEP_1) | instskip(NEXT) | instid1(VALU_DEP_1)
	v_subrev_nc_u32_e32 v115, 28, v117
	v_lshlrev_b64_e32 v[115:116], v115, v[0:1]
	v_sub_nc_u32_e32 v116, 29, v117
	s_delay_alu instid0(VALU_DEP_2)
	v_and_b32_e32 v115, 7, v115
; %bb.1178:                             ;   in Loop: Header=BB268_810 Depth=1
	s_wait_alu 0xfffe
	s_or_b32 exec_lo, exec_lo, s16
	v_lshlrev_b32_e32 v117, 8, v12
	v_lshl_add_u32 v116, v116, 10, 0x2000
	v_lshlrev_b32_e32 v115, 7, v115
	s_delay_alu instid0(VALU_DEP_3) | instskip(NEXT) | instid1(VALU_DEP_3)
	v_and_b32_e32 v117, 0x8000, v117
	v_and_b32_e32 v116, 0xfc00, v116
	s_delay_alu instid0(VALU_DEP_1)
	v_or3_b32 v115, v117, v116, v115
.LBB268_1179:                           ;   in Loop: Header=BB268_810 Depth=1
	s_wait_alu 0xfffe
	s_or_b32 exec_lo, exec_lo, s15
.LBB268_1180:                           ;   in Loop: Header=BB268_810 Depth=1
	s_wait_alu 0xfffe
	s_or_b32 exec_lo, exec_lo, s14
.LBB268_1181:                           ;   in Loop: Header=BB268_810 Depth=1
	s_wait_alu 0xfffe
	s_or_b32 exec_lo, exec_lo, s13
	v_lshrrev_b16 v0, 8, v0
	v_mov_b32_e32 v116, 0
	s_mov_b32 s13, exec_lo
	s_delay_alu instid0(VALU_DEP_2)
	v_cmpx_ne_u16_e32 0, v0
	s_cbranch_execz .LBB268_1189
; %bb.1182:                             ;   in Loop: Header=BB268_810 Depth=1
	v_bfrev_b32_e32 v116, 1
	s_mov_b32 s14, exec_lo
	v_cmpx_ne_u16_e32 0x80, v0
	s_cbranch_execz .LBB268_1188
; %bb.1183:                             ;   in Loop: Header=BB268_810 Depth=1
	v_and_b32_e32 v117, 0xffff, v0
	v_mov_b32_e32 v116, 0x7c010000
	s_mov_b32 s15, exec_lo
	s_delay_alu instid0(VALU_DEP_2) | instskip(NEXT) | instid1(VALU_DEP_1)
	v_and_b32_e32 v119, 0x7f, v117
	v_cmpx_ne_u32_e32 0x7f, v119
	s_cbranch_execz .LBB268_1187
; %bb.1184:                             ;   in Loop: Header=BB268_810 Depth=1
	v_and_b32_e32 v116, 7, v117
	v_lshrrev_b32_e32 v118, 3, v119
	s_mov_b32 s16, exec_lo
	v_cmpx_gt_u32_e32 8, v119
; %bb.1185:                             ;   in Loop: Header=BB268_810 Depth=1
	s_delay_alu instid0(VALU_DEP_3) | instskip(NEXT) | instid1(VALU_DEP_1)
	v_clz_i32_u32_e32 v116, v116
	v_min_u32_e32 v116, 32, v116
	s_delay_alu instid0(VALU_DEP_1) | instskip(NEXT) | instid1(VALU_DEP_1)
	v_subrev_nc_u32_e32 v118, 28, v116
	v_lshlrev_b64_e32 v[128:129], v118, v[0:1]
	v_sub_nc_u32_e32 v118, 29, v116
	s_delay_alu instid0(VALU_DEP_2)
	v_and_b32_e32 v116, 7, v128
; %bb.1186:                             ;   in Loop: Header=BB268_810 Depth=1
	s_wait_alu 0xfffe
	s_or_b32 exec_lo, exec_lo, s16
	v_lshlrev_b32_e32 v0, 8, v117
	v_lshl_add_u32 v117, v118, 10, 0x2000
	v_lshlrev_b32_e32 v116, 23, v116
	s_delay_alu instid0(VALU_DEP_2) | instskip(NEXT) | instid1(VALU_DEP_1)
	v_and_or_b32 v0, 0x8000, v0, v117
	v_lshl_or_b32 v116, v0, 16, v116
.LBB268_1187:                           ;   in Loop: Header=BB268_810 Depth=1
	s_wait_alu 0xfffe
	s_or_b32 exec_lo, exec_lo, s15
.LBB268_1188:                           ;   in Loop: Header=BB268_810 Depth=1
	s_wait_alu 0xfffe
	s_or_b32 exec_lo, exec_lo, s14
.LBB268_1189:                           ;   in Loop: Header=BB268_810 Depth=1
	s_wait_alu 0xfffe
	s_or_b32 exec_lo, exec_lo, s13
	v_lshrrev_b32_e32 v0, 16, v12
	s_mov_b32 s13, exec_lo
	s_delay_alu instid0(VALU_DEP_1) | instskip(NEXT) | instid1(VALU_DEP_1)
	v_and_b32_e32 v117, 0xff, v0
	v_cmpx_ne_u16_e32 0, v117
	s_cbranch_execz .LBB268_1197
; %bb.1190:                             ;   in Loop: Header=BB268_810 Depth=1
	v_mov_b32_e32 v114, 0x8000
	s_mov_b32 s14, exec_lo
	v_cmpx_ne_u16_e32 0x80, v117
	s_cbranch_execz .LBB268_1196
; %bb.1191:                             ;   in Loop: Header=BB268_810 Depth=1
	v_bfe_u32 v118, v12, 16, 7
	v_mov_b32_e32 v114, 0x7c01
	s_mov_b32 s15, exec_lo
	s_delay_alu instid0(VALU_DEP_2)
	v_cmpx_ne_u32_e32 0x7f, v118
	s_cbranch_execz .LBB268_1195
; %bb.1192:                             ;   in Loop: Header=BB268_810 Depth=1
	v_and_b32_e32 v114, 7, v0
	v_lshrrev_b32_e32 v117, 3, v118
	s_mov_b32 s16, exec_lo
	v_cmpx_gt_u32_e32 8, v118
; %bb.1193:                             ;   in Loop: Header=BB268_810 Depth=1
	s_delay_alu instid0(VALU_DEP_3) | instskip(NEXT) | instid1(VALU_DEP_1)
	v_clz_i32_u32_e32 v114, v114
	v_min_u32_e32 v114, 32, v114
	s_delay_alu instid0(VALU_DEP_1) | instskip(NEXT) | instid1(VALU_DEP_1)
	v_subrev_nc_u32_e32 v117, 28, v114
	v_lshlrev_b64_e32 v[118:119], v117, v[0:1]
	v_sub_nc_u32_e32 v117, 29, v114
	s_delay_alu instid0(VALU_DEP_2)
	v_and_b32_e32 v114, 7, v118
; %bb.1194:                             ;   in Loop: Header=BB268_810 Depth=1
	s_wait_alu 0xfffe
	s_or_b32 exec_lo, exec_lo, s16
	v_lshlrev_b32_e32 v0, 8, v0
	v_lshl_add_u32 v117, v117, 10, 0x2000
	v_lshlrev_b32_e32 v114, 7, v114
	s_delay_alu instid0(VALU_DEP_3) | instskip(NEXT) | instid1(VALU_DEP_3)
	v_and_b32_e32 v0, 0x8000, v0
	v_and_b32_e32 v117, 0xfc00, v117
	s_delay_alu instid0(VALU_DEP_1)
	v_or3_b32 v114, v0, v117, v114
.LBB268_1195:                           ;   in Loop: Header=BB268_810 Depth=1
	s_wait_alu 0xfffe
	s_or_b32 exec_lo, exec_lo, s15
.LBB268_1196:                           ;   in Loop: Header=BB268_810 Depth=1
	s_wait_alu 0xfffe
	s_or_b32 exec_lo, exec_lo, s14
.LBB268_1197:                           ;   in Loop: Header=BB268_810 Depth=1
	s_wait_alu 0xfffe
	s_or_b32 exec_lo, exec_lo, s13
	v_cmp_lt_u64_e64 s0, s[8:9], v[11:12]
	v_mov_b32_e32 v11, 0
	s_and_saveexec_b32 s13, s0
	s_cbranch_execz .LBB268_1205
; %bb.1198:                             ;   in Loop: Header=BB268_810 Depth=1
	v_lshrrev_b32_e32 v0, 24, v12
	v_bfrev_b32_e32 v11, 1
	s_mov_b32 s14, exec_lo
	s_delay_alu instid0(VALU_DEP_2)
	v_cmpx_ne_u32_e32 0x80, v0
	s_cbranch_execz .LBB268_1204
; %bb.1199:                             ;   in Loop: Header=BB268_810 Depth=1
	v_and_b32_e32 v117, 0x7f, v0
	v_mov_b32_e32 v11, 0x7c010000
	s_mov_b32 s15, exec_lo
	s_delay_alu instid0(VALU_DEP_2)
	v_cmpx_ne_u32_e32 0x7f, v117
	s_cbranch_execz .LBB268_1203
; %bb.1200:                             ;   in Loop: Header=BB268_810 Depth=1
	v_and_b32_e32 v11, 7, v0
	v_lshrrev_b32_e32 v12, 3, v117
	s_mov_b32 s16, exec_lo
	v_cmpx_gt_u32_e32 8, v117
; %bb.1201:                             ;   in Loop: Header=BB268_810 Depth=1
	s_delay_alu instid0(VALU_DEP_3) | instskip(NEXT) | instid1(VALU_DEP_1)
	v_clz_i32_u32_e32 v11, v11
	v_min_u32_e32 v117, 32, v11
	s_delay_alu instid0(VALU_DEP_1) | instskip(NEXT) | instid1(VALU_DEP_1)
	v_subrev_nc_u32_e32 v11, 28, v117
	v_lshlrev_b64_e32 v[11:12], v11, v[0:1]
	v_sub_nc_u32_e32 v12, 29, v117
	s_delay_alu instid0(VALU_DEP_2)
	v_and_b32_e32 v11, 7, v11
; %bb.1202:                             ;   in Loop: Header=BB268_810 Depth=1
	s_wait_alu 0xfffe
	s_or_b32 exec_lo, exec_lo, s16
	v_lshlrev_b32_e32 v0, 8, v0
	v_lshl_add_u32 v12, v12, 10, 0x2000
	v_lshlrev_b32_e32 v11, 23, v11
	s_delay_alu instid0(VALU_DEP_2) | instskip(NEXT) | instid1(VALU_DEP_1)
	v_and_or_b32 v0, 0x8000, v0, v12
	v_lshl_or_b32 v11, v0, 16, v11
.LBB268_1203:                           ;   in Loop: Header=BB268_810 Depth=1
	s_wait_alu 0xfffe
	s_or_b32 exec_lo, exec_lo, s15
.LBB268_1204:                           ;   in Loop: Header=BB268_810 Depth=1
	s_wait_alu 0xfffe
	s_or_b32 exec_lo, exec_lo, s14
.LBB268_1205:                           ;   in Loop: Header=BB268_810 Depth=1
	s_wait_alu 0xfffe
	s_or_b32 exec_lo, exec_lo, s13
	v_or_b32_e32 v0, v112, v113
	s_wait_loadcnt_dscnt 0x0
	v_fma_mixlo_f16 v12, v101, v112, 0 op_sel:[0,1,0] op_sel_hi:[0,1,0]
	v_or_b32_e32 v112, v102, v103
	v_fma_mixlo_f16 v102, v101, v102, 0 op_sel:[0,1,0] op_sel_hi:[0,1,0]
	v_or_b32_e32 v113, v116, v115
	v_or_b32_e32 v114, v11, v114
	v_fma_mixlo_f16 v115, v101, v0, 0 op_sel_hi:[0,1,0]
	v_fma_mixlo_f16 v11, v101, v11, 0 op_sel:[0,1,0] op_sel_hi:[0,1,0]
	v_lshlrev_b32_e32 v103, 16, v102
	v_fma_mixlo_f16 v102, v101, v112, 0 op_sel_hi:[0,1,0]
	v_fma_mixlo_f16 v112, v101, v116, 0 op_sel:[0,1,0] op_sel_hi:[0,1,0]
	v_fma_mixlo_f16 v113, v101, v113, 0 op_sel_hi:[0,1,0]
	v_fma_mixlo_f16 v114, v101, v114, 0 op_sel_hi:[0,1,0]
	v_lshlrev_b32_e32 v0, 16, v12
	v_and_b32_e32 v12, 0xffff, v115
	v_and_b32_e32 v117, 0xffff, v102
	v_lshlrev_b32_e32 v101, 16, v112
	v_and_b32_e32 v113, 0xffff, v113
	v_lshlrev_b32_e32 v11, 16, v11
	v_and_b32_e32 v102, 0xffff, v114
	v_or_b32_e32 v112, v0, v12
	v_or_b32_e32 v116, v103, v117
	;; [unrolled: 1-line block ×3, first 2 shown]
	s_delay_alu instid0(VALU_DEP_4)
	v_or_b32_e32 v114, v11, v102
	s_and_saveexec_b32 s13, vcc_lo
	s_cbranch_execz .LBB268_1207
; %bb.1206:                             ;   in Loop: Header=BB268_810 Depth=1
	v_cmp_lt_i32_e64 s0, v16, v34
	s_wait_alu 0xf1ff
	s_delay_alu instid0(VALU_DEP_1) | instskip(SKIP_2) | instid1(VALU_DEP_1)
	v_cndmask_b32_e64 v112, 0, v117, s0
	v_cmp_lt_i32_e64 s0, v84, v34
	s_wait_alu 0xf1ff
	v_cndmask_b32_e64 v103, 0, v103, s0
	v_cmp_lt_i32_e64 s0, v83, v34
	s_delay_alu instid0(VALU_DEP_2) | instskip(SKIP_1) | instid1(VALU_DEP_2)
	v_or_b32_e32 v116, v112, v103
	s_wait_alu 0xf1ff
	v_cndmask_b32_e64 v12, 0, v12, s0
	v_cmp_lt_i32_e64 s0, v82, v34
	s_wait_alu 0xf1ff
	s_delay_alu instid0(VALU_DEP_1) | instskip(SKIP_1) | instid1(VALU_DEP_2)
	v_cndmask_b32_e64 v0, 0, v0, s0
	v_cmp_lt_i32_e64 s0, v80, v34
	v_or_b32_e32 v112, v12, v0
	s_wait_alu 0xf1ff
	s_delay_alu instid0(VALU_DEP_2) | instskip(SKIP_2) | instid1(VALU_DEP_1)
	v_cndmask_b32_e64 v113, 0, v113, s0
	v_cmp_lt_i32_e64 s0, v71, v34
	s_wait_alu 0xf1ff
	v_cndmask_b32_e64 v101, 0, v101, s0
	v_cmp_lt_i32_e64 s0, v69, v34
	s_delay_alu instid0(VALU_DEP_2) | instskip(SKIP_1) | instid1(VALU_DEP_2)
	v_or_b32_e32 v115, v113, v101
	s_wait_alu 0xf1ff
	v_cndmask_b32_e64 v102, 0, v102, s0
	v_cmp_lt_i32_e64 s0, v54, v34
	s_wait_alu 0xf1ff
	s_delay_alu instid0(VALU_DEP_1) | instskip(NEXT) | instid1(VALU_DEP_1)
	v_cndmask_b32_e64 v11, 0, v11, s0
	v_or_b32_e32 v114, v102, v11
.LBB268_1207:                           ;   in Loop: Header=BB268_810 Depth=1
	s_wait_alu 0xfffe
	s_or_b32 exec_lo, exec_lo, s13
	;;#ASMSTART
	v_pk_mul_f16 v0, v81, v116;

	;;#ASMEND
	;;#ASMSTART
	v_pk_mul_f16 v11, v70, v112;

	;;#ASMEND
	;; [unrolled: 4-line block ×4, first 2 shown]
	;;#ASMSTART
	v_pk_add_f16 v0, v0, v11;

	;;#ASMEND
	;;#ASMSTART
	v_pk_add_f16 v0, v0, v12;

	;;#ASMEND
	;; [unrolled: 4-line block ×3, first 2 shown]
	v_dual_mov_b32 v112, 0 :: v_dual_and_b32 v11, 0xffff, v0
	v_lshrrev_b32_e32 v0, 16, v0
	;;#ASMSTART
	v_cvt_f32_f16 v101, v11;
	;;#ASMEND
	;;#ASMSTART
	v_cvt_f32_f16 v102, v0;
	;;#ASMEND
	flat_load_b64 v[11:12], v[9:10] offset:1536
	flat_load_b32 v103, v[26:27]
	s_mov_b32 s13, exec_lo
	s_wait_loadcnt_dscnt 0x101
	v_dual_mov_b32 v113, 0 :: v_dual_and_b32 v0, 0xff, v11
	s_delay_alu instid0(VALU_DEP_1)
	v_cmpx_ne_u16_e32 0, v0
	s_cbranch_execz .LBB268_1215
; %bb.1208:                             ;   in Loop: Header=BB268_810 Depth=1
	v_mov_b32_e32 v113, 0x8000
	s_mov_b32 s14, exec_lo
	v_cmpx_ne_u16_e32 0x80, v0
	s_cbranch_execz .LBB268_1214
; %bb.1209:                             ;   in Loop: Header=BB268_810 Depth=1
	v_and_b32_e32 v114, 0x7f, v11
	v_mov_b32_e32 v113, 0x7c01
	s_mov_b32 s15, exec_lo
	s_delay_alu instid0(VALU_DEP_2)
	v_cmpx_ne_u32_e32 0x7f, v114
	s_cbranch_execz .LBB268_1213
; %bb.1210:                             ;   in Loop: Header=BB268_810 Depth=1
	v_and_b32_e32 v0, 7, v11
	v_lshrrev_b32_e32 v113, 3, v114
	s_mov_b32 s16, exec_lo
	v_cmpx_gt_u32_e32 8, v114
; %bb.1211:                             ;   in Loop: Header=BB268_810 Depth=1
	s_delay_alu instid0(VALU_DEP_3) | instskip(NEXT) | instid1(VALU_DEP_1)
	v_clz_i32_u32_e32 v0, v0
	v_min_u32_e32 v0, 32, v0
	s_delay_alu instid0(VALU_DEP_1) | instskip(NEXT) | instid1(VALU_DEP_1)
	v_subrev_nc_u32_e32 v113, 28, v0
	v_lshlrev_b64_e32 v[114:115], v113, v[11:12]
	v_sub_nc_u32_e32 v113, 29, v0
	s_delay_alu instid0(VALU_DEP_2)
	v_and_b32_e32 v0, 7, v114
; %bb.1212:                             ;   in Loop: Header=BB268_810 Depth=1
	s_wait_alu 0xfffe
	s_or_b32 exec_lo, exec_lo, s16
	v_lshlrev_b32_e32 v114, 8, v11
	v_lshl_add_u32 v113, v113, 10, 0x2000
	v_lshlrev_b32_e32 v0, 7, v0
	s_delay_alu instid0(VALU_DEP_3) | instskip(NEXT) | instid1(VALU_DEP_3)
	v_and_b32_e32 v114, 0x8000, v114
	v_and_b32_e32 v113, 0xfc00, v113
	s_delay_alu instid0(VALU_DEP_1)
	v_or3_b32 v113, v114, v113, v0
.LBB268_1213:                           ;   in Loop: Header=BB268_810 Depth=1
	s_wait_alu 0xfffe
	s_or_b32 exec_lo, exec_lo, s15
.LBB268_1214:                           ;   in Loop: Header=BB268_810 Depth=1
	s_wait_alu 0xfffe
	s_or_b32 exec_lo, exec_lo, s14
.LBB268_1215:                           ;   in Loop: Header=BB268_810 Depth=1
	s_wait_alu 0xfffe
	s_or_b32 exec_lo, exec_lo, s13
	v_lshrrev_b16 v0, 8, v11
	s_mov_b32 s13, exec_lo
	s_delay_alu instid0(VALU_DEP_1)
	v_cmpx_ne_u16_e32 0, v0
	s_cbranch_execz .LBB268_1223
; %bb.1216:                             ;   in Loop: Header=BB268_810 Depth=1
	v_bfrev_b32_e32 v112, 1
	s_mov_b32 s14, exec_lo
	v_cmpx_ne_u16_e32 0x80, v0
	s_cbranch_execz .LBB268_1222
; %bb.1217:                             ;   in Loop: Header=BB268_810 Depth=1
	v_and_b32_e32 v114, 0xffff, v0
	v_mov_b32_e32 v112, 0x7c010000
	s_mov_b32 s15, exec_lo
	s_delay_alu instid0(VALU_DEP_2) | instskip(NEXT) | instid1(VALU_DEP_1)
	v_and_b32_e32 v116, 0x7f, v114
	v_cmpx_ne_u32_e32 0x7f, v116
	s_cbranch_execz .LBB268_1221
; %bb.1218:                             ;   in Loop: Header=BB268_810 Depth=1
	v_and_b32_e32 v112, 7, v114
	v_lshrrev_b32_e32 v115, 3, v116
	s_mov_b32 s16, exec_lo
	v_cmpx_gt_u32_e32 8, v116
; %bb.1219:                             ;   in Loop: Header=BB268_810 Depth=1
	s_delay_alu instid0(VALU_DEP_3) | instskip(NEXT) | instid1(VALU_DEP_1)
	v_clz_i32_u32_e32 v112, v112
	v_min_u32_e32 v112, 32, v112
	s_delay_alu instid0(VALU_DEP_1) | instskip(NEXT) | instid1(VALU_DEP_1)
	v_subrev_nc_u32_e32 v115, 28, v112
	v_lshlrev_b64_e32 v[116:117], v115, v[0:1]
	v_sub_nc_u32_e32 v115, 29, v112
	s_delay_alu instid0(VALU_DEP_2)
	v_and_b32_e32 v112, 7, v116
; %bb.1220:                             ;   in Loop: Header=BB268_810 Depth=1
	s_wait_alu 0xfffe
	s_or_b32 exec_lo, exec_lo, s16
	v_lshlrev_b32_e32 v0, 8, v114
	v_lshl_add_u32 v114, v115, 10, 0x2000
	v_lshlrev_b32_e32 v112, 23, v112
	s_delay_alu instid0(VALU_DEP_2) | instskip(NEXT) | instid1(VALU_DEP_1)
	v_and_or_b32 v0, 0x8000, v0, v114
	v_lshl_or_b32 v112, v0, 16, v112
.LBB268_1221:                           ;   in Loop: Header=BB268_810 Depth=1
	s_wait_alu 0xfffe
	s_or_b32 exec_lo, exec_lo, s15
.LBB268_1222:                           ;   in Loop: Header=BB268_810 Depth=1
	s_wait_alu 0xfffe
	s_or_b32 exec_lo, exec_lo, s14
.LBB268_1223:                           ;   in Loop: Header=BB268_810 Depth=1
	s_wait_alu 0xfffe
	s_or_b32 exec_lo, exec_lo, s13
	v_lshrrev_b32_e32 v0, 16, v11
	v_mov_b32_e32 v114, 0
	s_mov_b32 s13, exec_lo
	s_delay_alu instid0(VALU_DEP_2) | instskip(NEXT) | instid1(VALU_DEP_1)
	v_dual_mov_b32 v115, 0 :: v_dual_and_b32 v116, 0xff, v0
	v_cmpx_ne_u16_e32 0, v116
	s_cbranch_execz .LBB268_1231
; %bb.1224:                             ;   in Loop: Header=BB268_810 Depth=1
	v_mov_b32_e32 v115, 0x8000
	s_mov_b32 s14, exec_lo
	v_cmpx_ne_u16_e32 0x80, v116
	s_cbranch_execz .LBB268_1230
; %bb.1225:                             ;   in Loop: Header=BB268_810 Depth=1
	v_bfe_u32 v117, v11, 16, 7
	v_mov_b32_e32 v115, 0x7c01
	s_mov_b32 s15, exec_lo
	s_delay_alu instid0(VALU_DEP_2)
	v_cmpx_ne_u32_e32 0x7f, v117
	s_cbranch_execz .LBB268_1229
; %bb.1226:                             ;   in Loop: Header=BB268_810 Depth=1
	v_and_b32_e32 v115, 7, v0
	v_lshrrev_b32_e32 v116, 3, v117
	s_mov_b32 s16, exec_lo
	v_cmpx_gt_u32_e32 8, v117
; %bb.1227:                             ;   in Loop: Header=BB268_810 Depth=1
	s_delay_alu instid0(VALU_DEP_3) | instskip(NEXT) | instid1(VALU_DEP_1)
	v_clz_i32_u32_e32 v115, v115
	v_min_u32_e32 v117, 32, v115
	s_delay_alu instid0(VALU_DEP_1) | instskip(NEXT) | instid1(VALU_DEP_1)
	v_subrev_nc_u32_e32 v115, 28, v117
	v_lshlrev_b64_e32 v[115:116], v115, v[0:1]
	v_sub_nc_u32_e32 v116, 29, v117
	s_delay_alu instid0(VALU_DEP_2)
	v_and_b32_e32 v115, 7, v115
; %bb.1228:                             ;   in Loop: Header=BB268_810 Depth=1
	s_wait_alu 0xfffe
	s_or_b32 exec_lo, exec_lo, s16
	v_lshlrev_b32_e32 v0, 8, v0
	v_lshl_add_u32 v116, v116, 10, 0x2000
	v_lshlrev_b32_e32 v115, 7, v115
	s_delay_alu instid0(VALU_DEP_3) | instskip(NEXT) | instid1(VALU_DEP_3)
	v_and_b32_e32 v0, 0x8000, v0
	v_and_b32_e32 v116, 0xfc00, v116
	s_delay_alu instid0(VALU_DEP_1)
	v_or3_b32 v115, v0, v116, v115
.LBB268_1229:                           ;   in Loop: Header=BB268_810 Depth=1
	s_wait_alu 0xfffe
	s_or_b32 exec_lo, exec_lo, s15
.LBB268_1230:                           ;   in Loop: Header=BB268_810 Depth=1
	s_wait_alu 0xfffe
	s_or_b32 exec_lo, exec_lo, s14
.LBB268_1231:                           ;   in Loop: Header=BB268_810 Depth=1
	s_wait_alu 0xfffe
	s_or_b32 exec_lo, exec_lo, s13
	s_delay_alu instid0(SALU_CYCLE_1)
	s_mov_b32 s13, exec_lo
	v_cmpx_lt_u32_e32 0xffffff, v11
	s_cbranch_execz .LBB268_1239
; %bb.1232:                             ;   in Loop: Header=BB268_810 Depth=1
	v_lshrrev_b32_e32 v0, 24, v11
	v_bfrev_b32_e32 v114, 1
	s_mov_b32 s14, exec_lo
	s_delay_alu instid0(VALU_DEP_2)
	v_cmpx_ne_u32_e32 0x80, v0
	s_cbranch_execz .LBB268_1238
; %bb.1233:                             ;   in Loop: Header=BB268_810 Depth=1
	v_and_b32_e32 v117, 0x7f, v0
	v_mov_b32_e32 v114, 0x7c010000
	s_mov_b32 s15, exec_lo
	s_delay_alu instid0(VALU_DEP_2)
	v_cmpx_ne_u32_e32 0x7f, v117
	s_cbranch_execz .LBB268_1237
; %bb.1234:                             ;   in Loop: Header=BB268_810 Depth=1
	v_and_b32_e32 v114, 7, v0
	v_lshrrev_b32_e32 v116, 3, v117
	s_mov_b32 s16, exec_lo
	v_cmpx_gt_u32_e32 8, v117
; %bb.1235:                             ;   in Loop: Header=BB268_810 Depth=1
	s_delay_alu instid0(VALU_DEP_3) | instskip(NEXT) | instid1(VALU_DEP_1)
	v_clz_i32_u32_e32 v114, v114
	v_min_u32_e32 v114, 32, v114
	s_delay_alu instid0(VALU_DEP_1) | instskip(NEXT) | instid1(VALU_DEP_1)
	v_subrev_nc_u32_e32 v116, 28, v114
	v_lshlrev_b64_e32 v[117:118], v116, v[0:1]
	v_sub_nc_u32_e32 v116, 29, v114
	s_delay_alu instid0(VALU_DEP_2)
	v_and_b32_e32 v114, 7, v117
; %bb.1236:                             ;   in Loop: Header=BB268_810 Depth=1
	s_wait_alu 0xfffe
	s_or_b32 exec_lo, exec_lo, s16
	v_lshlrev_b32_e32 v0, 8, v0
	v_lshl_add_u32 v116, v116, 10, 0x2000
	v_lshlrev_b32_e32 v114, 23, v114
	s_delay_alu instid0(VALU_DEP_2) | instskip(NEXT) | instid1(VALU_DEP_1)
	v_and_or_b32 v0, 0x8000, v0, v116
	v_lshl_or_b32 v114, v0, 16, v114
.LBB268_1237:                           ;   in Loop: Header=BB268_810 Depth=1
	s_wait_alu 0xfffe
	s_or_b32 exec_lo, exec_lo, s15
.LBB268_1238:                           ;   in Loop: Header=BB268_810 Depth=1
	s_wait_alu 0xfffe
	s_or_b32 exec_lo, exec_lo, s14
.LBB268_1239:                           ;   in Loop: Header=BB268_810 Depth=1
	s_wait_alu 0xfffe
	s_or_b32 exec_lo, exec_lo, s13
	v_dual_mov_b32 v117, 0 :: v_dual_and_b32 v118, 0xff, v12
	v_mov_b32_e32 v0, v12
	v_mov_b32_e32 v116, 0
	s_mov_b32 s13, exec_lo
	s_delay_alu instid0(VALU_DEP_3)
	v_cmpx_ne_u16_e32 0, v118
	s_cbranch_execz .LBB268_1247
; %bb.1240:                             ;   in Loop: Header=BB268_810 Depth=1
	v_mov_b32_e32 v117, 0x8000
	s_mov_b32 s14, exec_lo
	v_cmpx_ne_u16_e32 0x80, v118
	s_cbranch_execz .LBB268_1246
; %bb.1241:                             ;   in Loop: Header=BB268_810 Depth=1
	v_and_b32_e32 v119, 0x7f, v12
	v_mov_b32_e32 v117, 0x7c01
	s_mov_b32 s15, exec_lo
	s_delay_alu instid0(VALU_DEP_2)
	v_cmpx_ne_u32_e32 0x7f, v119
	s_cbranch_execz .LBB268_1245
; %bb.1242:                             ;   in Loop: Header=BB268_810 Depth=1
	v_and_b32_e32 v117, 7, v12
	v_lshrrev_b32_e32 v118, 3, v119
	s_mov_b32 s16, exec_lo
	v_cmpx_gt_u32_e32 8, v119
; %bb.1243:                             ;   in Loop: Header=BB268_810 Depth=1
	s_delay_alu instid0(VALU_DEP_3) | instskip(NEXT) | instid1(VALU_DEP_1)
	v_clz_i32_u32_e32 v117, v117
	v_min_u32_e32 v119, 32, v117
	s_delay_alu instid0(VALU_DEP_1) | instskip(NEXT) | instid1(VALU_DEP_1)
	v_subrev_nc_u32_e32 v117, 28, v119
	v_lshlrev_b64_e32 v[117:118], v117, v[0:1]
	v_sub_nc_u32_e32 v118, 29, v119
	s_delay_alu instid0(VALU_DEP_2)
	v_and_b32_e32 v117, 7, v117
; %bb.1244:                             ;   in Loop: Header=BB268_810 Depth=1
	s_wait_alu 0xfffe
	s_or_b32 exec_lo, exec_lo, s16
	v_lshlrev_b32_e32 v119, 8, v12
	v_lshl_add_u32 v118, v118, 10, 0x2000
	v_lshlrev_b32_e32 v117, 7, v117
	s_delay_alu instid0(VALU_DEP_3) | instskip(NEXT) | instid1(VALU_DEP_3)
	v_and_b32_e32 v119, 0x8000, v119
	v_and_b32_e32 v118, 0xfc00, v118
	s_delay_alu instid0(VALU_DEP_1)
	v_or3_b32 v117, v119, v118, v117
.LBB268_1245:                           ;   in Loop: Header=BB268_810 Depth=1
	s_wait_alu 0xfffe
	s_or_b32 exec_lo, exec_lo, s15
.LBB268_1246:                           ;   in Loop: Header=BB268_810 Depth=1
	s_wait_alu 0xfffe
	s_or_b32 exec_lo, exec_lo, s14
.LBB268_1247:                           ;   in Loop: Header=BB268_810 Depth=1
	s_wait_alu 0xfffe
	s_or_b32 exec_lo, exec_lo, s13
	v_lshrrev_b16 v0, 8, v0
	v_mov_b32_e32 v118, 0
	s_mov_b32 s13, exec_lo
	s_delay_alu instid0(VALU_DEP_2)
	v_cmpx_ne_u16_e32 0, v0
	s_cbranch_execz .LBB268_1255
; %bb.1248:                             ;   in Loop: Header=BB268_810 Depth=1
	v_bfrev_b32_e32 v118, 1
	s_mov_b32 s14, exec_lo
	v_cmpx_ne_u16_e32 0x80, v0
	s_cbranch_execz .LBB268_1254
; %bb.1249:                             ;   in Loop: Header=BB268_810 Depth=1
	v_and_b32_e32 v119, 0xffff, v0
	v_mov_b32_e32 v118, 0x7c010000
	s_mov_b32 s15, exec_lo
	s_delay_alu instid0(VALU_DEP_2) | instskip(NEXT) | instid1(VALU_DEP_1)
	v_and_b32_e32 v129, 0x7f, v119
	v_cmpx_ne_u32_e32 0x7f, v129
	s_cbranch_execz .LBB268_1253
; %bb.1250:                             ;   in Loop: Header=BB268_810 Depth=1
	v_and_b32_e32 v118, 7, v119
	v_lshrrev_b32_e32 v128, 3, v129
	s_mov_b32 s16, exec_lo
	v_cmpx_gt_u32_e32 8, v129
; %bb.1251:                             ;   in Loop: Header=BB268_810 Depth=1
	s_delay_alu instid0(VALU_DEP_3) | instskip(NEXT) | instid1(VALU_DEP_1)
	v_clz_i32_u32_e32 v118, v118
	v_min_u32_e32 v118, 32, v118
	s_delay_alu instid0(VALU_DEP_1) | instskip(NEXT) | instid1(VALU_DEP_1)
	v_subrev_nc_u32_e32 v128, 28, v118
	v_lshlrev_b64_e32 v[129:130], v128, v[0:1]
	v_sub_nc_u32_e32 v128, 29, v118
	s_delay_alu instid0(VALU_DEP_2)
	v_and_b32_e32 v118, 7, v129
; %bb.1252:                             ;   in Loop: Header=BB268_810 Depth=1
	s_wait_alu 0xfffe
	s_or_b32 exec_lo, exec_lo, s16
	v_lshlrev_b32_e32 v0, 8, v119
	v_lshl_add_u32 v119, v128, 10, 0x2000
	v_lshlrev_b32_e32 v118, 23, v118
	s_delay_alu instid0(VALU_DEP_2) | instskip(NEXT) | instid1(VALU_DEP_1)
	v_and_or_b32 v0, 0x8000, v0, v119
	v_lshl_or_b32 v118, v0, 16, v118
.LBB268_1253:                           ;   in Loop: Header=BB268_810 Depth=1
	s_wait_alu 0xfffe
	s_or_b32 exec_lo, exec_lo, s15
.LBB268_1254:                           ;   in Loop: Header=BB268_810 Depth=1
	s_wait_alu 0xfffe
	s_or_b32 exec_lo, exec_lo, s14
.LBB268_1255:                           ;   in Loop: Header=BB268_810 Depth=1
	s_wait_alu 0xfffe
	s_or_b32 exec_lo, exec_lo, s13
	v_lshrrev_b32_e32 v0, 16, v12
	s_mov_b32 s13, exec_lo
	s_delay_alu instid0(VALU_DEP_1) | instskip(NEXT) | instid1(VALU_DEP_1)
	v_and_b32_e32 v119, 0xff, v0
	v_cmpx_ne_u16_e32 0, v119
	s_cbranch_execz .LBB268_1263
; %bb.1256:                             ;   in Loop: Header=BB268_810 Depth=1
	v_mov_b32_e32 v116, 0x8000
	s_mov_b32 s14, exec_lo
	v_cmpx_ne_u16_e32 0x80, v119
	s_cbranch_execz .LBB268_1262
; %bb.1257:                             ;   in Loop: Header=BB268_810 Depth=1
	v_bfe_u32 v128, v12, 16, 7
	v_mov_b32_e32 v116, 0x7c01
	s_mov_b32 s15, exec_lo
	s_delay_alu instid0(VALU_DEP_2)
	v_cmpx_ne_u32_e32 0x7f, v128
	s_cbranch_execz .LBB268_1261
; %bb.1258:                             ;   in Loop: Header=BB268_810 Depth=1
	v_and_b32_e32 v116, 7, v0
	v_lshrrev_b32_e32 v119, 3, v128
	s_mov_b32 s16, exec_lo
	v_cmpx_gt_u32_e32 8, v128
; %bb.1259:                             ;   in Loop: Header=BB268_810 Depth=1
	s_delay_alu instid0(VALU_DEP_3) | instskip(NEXT) | instid1(VALU_DEP_1)
	v_clz_i32_u32_e32 v116, v116
	v_min_u32_e32 v116, 32, v116
	s_delay_alu instid0(VALU_DEP_1) | instskip(NEXT) | instid1(VALU_DEP_1)
	v_subrev_nc_u32_e32 v119, 28, v116
	v_lshlrev_b64_e32 v[128:129], v119, v[0:1]
	v_sub_nc_u32_e32 v119, 29, v116
	s_delay_alu instid0(VALU_DEP_2)
	v_and_b32_e32 v116, 7, v128
; %bb.1260:                             ;   in Loop: Header=BB268_810 Depth=1
	s_wait_alu 0xfffe
	s_or_b32 exec_lo, exec_lo, s16
	v_lshlrev_b32_e32 v0, 8, v0
	v_lshl_add_u32 v119, v119, 10, 0x2000
	v_lshlrev_b32_e32 v116, 7, v116
	s_delay_alu instid0(VALU_DEP_3) | instskip(NEXT) | instid1(VALU_DEP_3)
	v_and_b32_e32 v0, 0x8000, v0
	v_and_b32_e32 v119, 0xfc00, v119
	s_delay_alu instid0(VALU_DEP_1)
	v_or3_b32 v116, v0, v119, v116
.LBB268_1261:                           ;   in Loop: Header=BB268_810 Depth=1
	s_wait_alu 0xfffe
	s_or_b32 exec_lo, exec_lo, s15
.LBB268_1262:                           ;   in Loop: Header=BB268_810 Depth=1
	s_wait_alu 0xfffe
	s_or_b32 exec_lo, exec_lo, s14
.LBB268_1263:                           ;   in Loop: Header=BB268_810 Depth=1
	s_wait_alu 0xfffe
	s_or_b32 exec_lo, exec_lo, s13
	v_cmp_lt_u64_e64 s0, s[8:9], v[11:12]
	v_mov_b32_e32 v11, 0
	s_and_saveexec_b32 s13, s0
	s_cbranch_execz .LBB268_1271
; %bb.1264:                             ;   in Loop: Header=BB268_810 Depth=1
	v_lshrrev_b32_e32 v0, 24, v12
	v_bfrev_b32_e32 v11, 1
	s_mov_b32 s14, exec_lo
	s_delay_alu instid0(VALU_DEP_2)
	v_cmpx_ne_u32_e32 0x80, v0
	s_cbranch_execz .LBB268_1270
; %bb.1265:                             ;   in Loop: Header=BB268_810 Depth=1
	v_and_b32_e32 v119, 0x7f, v0
	v_mov_b32_e32 v11, 0x7c010000
	s_mov_b32 s15, exec_lo
	s_delay_alu instid0(VALU_DEP_2)
	v_cmpx_ne_u32_e32 0x7f, v119
	s_cbranch_execz .LBB268_1269
; %bb.1266:                             ;   in Loop: Header=BB268_810 Depth=1
	v_and_b32_e32 v11, 7, v0
	v_lshrrev_b32_e32 v12, 3, v119
	s_mov_b32 s16, exec_lo
	v_cmpx_gt_u32_e32 8, v119
; %bb.1267:                             ;   in Loop: Header=BB268_810 Depth=1
	s_delay_alu instid0(VALU_DEP_3) | instskip(NEXT) | instid1(VALU_DEP_1)
	v_clz_i32_u32_e32 v11, v11
	v_min_u32_e32 v119, 32, v11
	s_delay_alu instid0(VALU_DEP_1) | instskip(NEXT) | instid1(VALU_DEP_1)
	v_subrev_nc_u32_e32 v11, 28, v119
	v_lshlrev_b64_e32 v[11:12], v11, v[0:1]
	v_sub_nc_u32_e32 v12, 29, v119
	s_delay_alu instid0(VALU_DEP_2)
	v_and_b32_e32 v11, 7, v11
; %bb.1268:                             ;   in Loop: Header=BB268_810 Depth=1
	s_wait_alu 0xfffe
	s_or_b32 exec_lo, exec_lo, s16
	v_lshlrev_b32_e32 v0, 8, v0
	v_lshl_add_u32 v12, v12, 10, 0x2000
	v_lshlrev_b32_e32 v11, 23, v11
	s_delay_alu instid0(VALU_DEP_2) | instskip(NEXT) | instid1(VALU_DEP_1)
	v_and_or_b32 v0, 0x8000, v0, v12
	v_lshl_or_b32 v11, v0, 16, v11
.LBB268_1269:                           ;   in Loop: Header=BB268_810 Depth=1
	s_wait_alu 0xfffe
	s_or_b32 exec_lo, exec_lo, s15
.LBB268_1270:                           ;   in Loop: Header=BB268_810 Depth=1
	s_wait_alu 0xfffe
	s_or_b32 exec_lo, exec_lo, s14
.LBB268_1271:                           ;   in Loop: Header=BB268_810 Depth=1
	s_wait_alu 0xfffe
	s_or_b32 exec_lo, exec_lo, s13
	v_or_b32_e32 v0, v114, v115
	s_wait_loadcnt_dscnt 0x0
	v_fma_mixlo_f16 v12, v103, v114, 0 op_sel:[0,1,0] op_sel_hi:[0,1,0]
	v_or_b32_e32 v114, v112, v113
	v_fma_mixlo_f16 v112, v103, v112, 0 op_sel:[0,1,0] op_sel_hi:[0,1,0]
	v_or_b32_e32 v115, v118, v117
	v_or_b32_e32 v116, v11, v116
	v_fma_mixlo_f16 v117, v103, v0, 0 op_sel_hi:[0,1,0]
	v_fma_mixlo_f16 v11, v103, v11, 0 op_sel:[0,1,0] op_sel_hi:[0,1,0]
	v_lshlrev_b32_e32 v113, 16, v112
	v_fma_mixlo_f16 v112, v103, v114, 0 op_sel_hi:[0,1,0]
	v_fma_mixlo_f16 v114, v103, v118, 0 op_sel:[0,1,0] op_sel_hi:[0,1,0]
	v_fma_mixlo_f16 v115, v103, v115, 0 op_sel_hi:[0,1,0]
	v_fma_mixlo_f16 v116, v103, v116, 0 op_sel_hi:[0,1,0]
	v_lshlrev_b32_e32 v0, 16, v12
	v_and_b32_e32 v12, 0xffff, v117
	v_and_b32_e32 v119, 0xffff, v112
	v_lshlrev_b32_e32 v103, 16, v114
	v_and_b32_e32 v115, 0xffff, v115
	v_lshlrev_b32_e32 v11, 16, v11
	v_and_b32_e32 v112, 0xffff, v116
	v_or_b32_e32 v114, v0, v12
	v_or_b32_e32 v118, v113, v119
	;; [unrolled: 1-line block ×3, first 2 shown]
	s_delay_alu instid0(VALU_DEP_4)
	v_or_b32_e32 v116, v11, v112
	s_and_saveexec_b32 s13, vcc_lo
	s_cbranch_execz .LBB268_1273
; %bb.1272:                             ;   in Loop: Header=BB268_810 Depth=1
	v_cmp_lt_i32_e64 s0, v16, v34
	s_wait_alu 0xf1ff
	s_delay_alu instid0(VALU_DEP_1) | instskip(SKIP_2) | instid1(VALU_DEP_1)
	v_cndmask_b32_e64 v114, 0, v119, s0
	v_cmp_lt_i32_e64 s0, v84, v34
	s_wait_alu 0xf1ff
	v_cndmask_b32_e64 v113, 0, v113, s0
	v_cmp_lt_i32_e64 s0, v83, v34
	s_delay_alu instid0(VALU_DEP_2) | instskip(SKIP_1) | instid1(VALU_DEP_2)
	v_or_b32_e32 v118, v114, v113
	s_wait_alu 0xf1ff
	v_cndmask_b32_e64 v12, 0, v12, s0
	v_cmp_lt_i32_e64 s0, v82, v34
	s_wait_alu 0xf1ff
	s_delay_alu instid0(VALU_DEP_1) | instskip(SKIP_1) | instid1(VALU_DEP_2)
	v_cndmask_b32_e64 v0, 0, v0, s0
	v_cmp_lt_i32_e64 s0, v80, v34
	v_or_b32_e32 v114, v12, v0
	s_wait_alu 0xf1ff
	s_delay_alu instid0(VALU_DEP_2) | instskip(SKIP_2) | instid1(VALU_DEP_1)
	v_cndmask_b32_e64 v115, 0, v115, s0
	v_cmp_lt_i32_e64 s0, v71, v34
	s_wait_alu 0xf1ff
	v_cndmask_b32_e64 v103, 0, v103, s0
	v_cmp_lt_i32_e64 s0, v69, v34
	s_delay_alu instid0(VALU_DEP_2) | instskip(SKIP_1) | instid1(VALU_DEP_2)
	v_or_b32_e32 v117, v115, v103
	s_wait_alu 0xf1ff
	v_cndmask_b32_e64 v112, 0, v112, s0
	v_cmp_lt_i32_e64 s0, v54, v34
	s_wait_alu 0xf1ff
	s_delay_alu instid0(VALU_DEP_1) | instskip(NEXT) | instid1(VALU_DEP_1)
	v_cndmask_b32_e64 v11, 0, v11, s0
	v_or_b32_e32 v116, v112, v11
.LBB268_1273:                           ;   in Loop: Header=BB268_810 Depth=1
	s_wait_alu 0xfffe
	s_or_b32 exec_lo, exec_lo, s13
	;;#ASMSTART
	v_pk_mul_f16 v0, v81, v118;

	;;#ASMEND
	;;#ASMSTART
	v_pk_mul_f16 v11, v70, v114;

	;;#ASMEND
	;; [unrolled: 4-line block ×4, first 2 shown]
	;;#ASMSTART
	v_pk_add_f16 v0, v0, v11;

	;;#ASMEND
	;;#ASMSTART
	v_pk_add_f16 v0, v0, v12;

	;;#ASMEND
	;; [unrolled: 4-line block ×3, first 2 shown]
	v_dual_mov_b32 v114, 0 :: v_dual_and_b32 v11, 0xffff, v0
	v_lshrrev_b32_e32 v0, 16, v0
	;;#ASMSTART
	v_cvt_f32_f16 v103, v11;
	;;#ASMEND
	;;#ASMSTART
	v_cvt_f32_f16 v112, v0;
	;;#ASMEND
	flat_load_b64 v[11:12], v[9:10] offset:1792
	flat_load_b32 v113, v[26:27]
	s_mov_b32 s13, exec_lo
	s_wait_loadcnt_dscnt 0x101
	v_dual_mov_b32 v115, 0 :: v_dual_and_b32 v0, 0xff, v11
	s_delay_alu instid0(VALU_DEP_1)
	v_cmpx_ne_u16_e32 0, v0
	s_cbranch_execz .LBB268_1281
; %bb.1274:                             ;   in Loop: Header=BB268_810 Depth=1
	v_mov_b32_e32 v115, 0x8000
	s_mov_b32 s14, exec_lo
	v_cmpx_ne_u16_e32 0x80, v0
	s_cbranch_execz .LBB268_1280
; %bb.1275:                             ;   in Loop: Header=BB268_810 Depth=1
	v_and_b32_e32 v116, 0x7f, v11
	v_mov_b32_e32 v115, 0x7c01
	s_mov_b32 s15, exec_lo
	s_delay_alu instid0(VALU_DEP_2)
	v_cmpx_ne_u32_e32 0x7f, v116
	s_cbranch_execz .LBB268_1279
; %bb.1276:                             ;   in Loop: Header=BB268_810 Depth=1
	v_and_b32_e32 v0, 7, v11
	v_lshrrev_b32_e32 v115, 3, v116
	s_mov_b32 s16, exec_lo
	v_cmpx_gt_u32_e32 8, v116
; %bb.1277:                             ;   in Loop: Header=BB268_810 Depth=1
	s_delay_alu instid0(VALU_DEP_3) | instskip(NEXT) | instid1(VALU_DEP_1)
	v_clz_i32_u32_e32 v0, v0
	v_min_u32_e32 v0, 32, v0
	s_delay_alu instid0(VALU_DEP_1) | instskip(NEXT) | instid1(VALU_DEP_1)
	v_subrev_nc_u32_e32 v115, 28, v0
	v_lshlrev_b64_e32 v[116:117], v115, v[11:12]
	v_sub_nc_u32_e32 v115, 29, v0
	s_delay_alu instid0(VALU_DEP_2)
	v_and_b32_e32 v0, 7, v116
; %bb.1278:                             ;   in Loop: Header=BB268_810 Depth=1
	s_wait_alu 0xfffe
	s_or_b32 exec_lo, exec_lo, s16
	v_lshlrev_b32_e32 v116, 8, v11
	v_lshl_add_u32 v115, v115, 10, 0x2000
	v_lshlrev_b32_e32 v0, 7, v0
	s_delay_alu instid0(VALU_DEP_3) | instskip(NEXT) | instid1(VALU_DEP_3)
	v_and_b32_e32 v116, 0x8000, v116
	v_and_b32_e32 v115, 0xfc00, v115
	s_delay_alu instid0(VALU_DEP_1)
	v_or3_b32 v115, v116, v115, v0
.LBB268_1279:                           ;   in Loop: Header=BB268_810 Depth=1
	s_wait_alu 0xfffe
	s_or_b32 exec_lo, exec_lo, s15
.LBB268_1280:                           ;   in Loop: Header=BB268_810 Depth=1
	s_wait_alu 0xfffe
	s_or_b32 exec_lo, exec_lo, s14
.LBB268_1281:                           ;   in Loop: Header=BB268_810 Depth=1
	s_wait_alu 0xfffe
	s_or_b32 exec_lo, exec_lo, s13
	v_lshrrev_b16 v0, 8, v11
	s_mov_b32 s13, exec_lo
	s_delay_alu instid0(VALU_DEP_1)
	v_cmpx_ne_u16_e32 0, v0
	s_cbranch_execz .LBB268_1289
; %bb.1282:                             ;   in Loop: Header=BB268_810 Depth=1
	v_bfrev_b32_e32 v114, 1
	s_mov_b32 s14, exec_lo
	v_cmpx_ne_u16_e32 0x80, v0
	s_cbranch_execz .LBB268_1288
; %bb.1283:                             ;   in Loop: Header=BB268_810 Depth=1
	v_and_b32_e32 v116, 0xffff, v0
	v_mov_b32_e32 v114, 0x7c010000
	s_mov_b32 s15, exec_lo
	s_delay_alu instid0(VALU_DEP_2) | instskip(NEXT) | instid1(VALU_DEP_1)
	v_and_b32_e32 v118, 0x7f, v116
	v_cmpx_ne_u32_e32 0x7f, v118
	s_cbranch_execz .LBB268_1287
; %bb.1284:                             ;   in Loop: Header=BB268_810 Depth=1
	v_and_b32_e32 v114, 7, v116
	v_lshrrev_b32_e32 v117, 3, v118
	s_mov_b32 s16, exec_lo
	v_cmpx_gt_u32_e32 8, v118
; %bb.1285:                             ;   in Loop: Header=BB268_810 Depth=1
	s_delay_alu instid0(VALU_DEP_3) | instskip(NEXT) | instid1(VALU_DEP_1)
	v_clz_i32_u32_e32 v114, v114
	v_min_u32_e32 v114, 32, v114
	s_delay_alu instid0(VALU_DEP_1) | instskip(NEXT) | instid1(VALU_DEP_1)
	v_subrev_nc_u32_e32 v117, 28, v114
	v_lshlrev_b64_e32 v[118:119], v117, v[0:1]
	v_sub_nc_u32_e32 v117, 29, v114
	s_delay_alu instid0(VALU_DEP_2)
	v_and_b32_e32 v114, 7, v118
; %bb.1286:                             ;   in Loop: Header=BB268_810 Depth=1
	s_wait_alu 0xfffe
	s_or_b32 exec_lo, exec_lo, s16
	v_lshlrev_b32_e32 v0, 8, v116
	v_lshl_add_u32 v116, v117, 10, 0x2000
	v_lshlrev_b32_e32 v114, 23, v114
	s_delay_alu instid0(VALU_DEP_2) | instskip(NEXT) | instid1(VALU_DEP_1)
	v_and_or_b32 v0, 0x8000, v0, v116
	v_lshl_or_b32 v114, v0, 16, v114
.LBB268_1287:                           ;   in Loop: Header=BB268_810 Depth=1
	s_wait_alu 0xfffe
	s_or_b32 exec_lo, exec_lo, s15
.LBB268_1288:                           ;   in Loop: Header=BB268_810 Depth=1
	s_wait_alu 0xfffe
	s_or_b32 exec_lo, exec_lo, s14
.LBB268_1289:                           ;   in Loop: Header=BB268_810 Depth=1
	s_wait_alu 0xfffe
	s_or_b32 exec_lo, exec_lo, s13
	v_lshrrev_b32_e32 v0, 16, v11
	v_mov_b32_e32 v116, 0
	s_mov_b32 s13, exec_lo
	s_delay_alu instid0(VALU_DEP_2) | instskip(NEXT) | instid1(VALU_DEP_1)
	v_dual_mov_b32 v117, 0 :: v_dual_and_b32 v118, 0xff, v0
	v_cmpx_ne_u16_e32 0, v118
	s_cbranch_execz .LBB268_1297
; %bb.1290:                             ;   in Loop: Header=BB268_810 Depth=1
	v_mov_b32_e32 v117, 0x8000
	s_mov_b32 s14, exec_lo
	v_cmpx_ne_u16_e32 0x80, v118
	s_cbranch_execz .LBB268_1296
; %bb.1291:                             ;   in Loop: Header=BB268_810 Depth=1
	v_bfe_u32 v119, v11, 16, 7
	v_mov_b32_e32 v117, 0x7c01
	s_mov_b32 s15, exec_lo
	s_delay_alu instid0(VALU_DEP_2)
	v_cmpx_ne_u32_e32 0x7f, v119
	s_cbranch_execz .LBB268_1295
; %bb.1292:                             ;   in Loop: Header=BB268_810 Depth=1
	v_and_b32_e32 v117, 7, v0
	v_lshrrev_b32_e32 v118, 3, v119
	s_mov_b32 s16, exec_lo
	v_cmpx_gt_u32_e32 8, v119
; %bb.1293:                             ;   in Loop: Header=BB268_810 Depth=1
	s_delay_alu instid0(VALU_DEP_3) | instskip(NEXT) | instid1(VALU_DEP_1)
	v_clz_i32_u32_e32 v117, v117
	v_min_u32_e32 v119, 32, v117
	s_delay_alu instid0(VALU_DEP_1) | instskip(NEXT) | instid1(VALU_DEP_1)
	v_subrev_nc_u32_e32 v117, 28, v119
	v_lshlrev_b64_e32 v[117:118], v117, v[0:1]
	v_sub_nc_u32_e32 v118, 29, v119
	s_delay_alu instid0(VALU_DEP_2)
	v_and_b32_e32 v117, 7, v117
; %bb.1294:                             ;   in Loop: Header=BB268_810 Depth=1
	s_wait_alu 0xfffe
	s_or_b32 exec_lo, exec_lo, s16
	v_lshlrev_b32_e32 v0, 8, v0
	v_lshl_add_u32 v118, v118, 10, 0x2000
	v_lshlrev_b32_e32 v117, 7, v117
	s_delay_alu instid0(VALU_DEP_3) | instskip(NEXT) | instid1(VALU_DEP_3)
	v_and_b32_e32 v0, 0x8000, v0
	v_and_b32_e32 v118, 0xfc00, v118
	s_delay_alu instid0(VALU_DEP_1)
	v_or3_b32 v117, v0, v118, v117
.LBB268_1295:                           ;   in Loop: Header=BB268_810 Depth=1
	s_wait_alu 0xfffe
	s_or_b32 exec_lo, exec_lo, s15
.LBB268_1296:                           ;   in Loop: Header=BB268_810 Depth=1
	s_wait_alu 0xfffe
	s_or_b32 exec_lo, exec_lo, s14
.LBB268_1297:                           ;   in Loop: Header=BB268_810 Depth=1
	s_wait_alu 0xfffe
	s_or_b32 exec_lo, exec_lo, s13
	s_delay_alu instid0(SALU_CYCLE_1)
	s_mov_b32 s13, exec_lo
	v_cmpx_lt_u32_e32 0xffffff, v11
	s_cbranch_execz .LBB268_1305
; %bb.1298:                             ;   in Loop: Header=BB268_810 Depth=1
	v_lshrrev_b32_e32 v0, 24, v11
	v_bfrev_b32_e32 v116, 1
	s_mov_b32 s14, exec_lo
	s_delay_alu instid0(VALU_DEP_2)
	v_cmpx_ne_u32_e32 0x80, v0
	s_cbranch_execz .LBB268_1304
; %bb.1299:                             ;   in Loop: Header=BB268_810 Depth=1
	v_and_b32_e32 v119, 0x7f, v0
	v_mov_b32_e32 v116, 0x7c010000
	s_mov_b32 s15, exec_lo
	s_delay_alu instid0(VALU_DEP_2)
	v_cmpx_ne_u32_e32 0x7f, v119
	s_cbranch_execz .LBB268_1303
; %bb.1300:                             ;   in Loop: Header=BB268_810 Depth=1
	v_and_b32_e32 v116, 7, v0
	v_lshrrev_b32_e32 v118, 3, v119
	s_mov_b32 s16, exec_lo
	v_cmpx_gt_u32_e32 8, v119
; %bb.1301:                             ;   in Loop: Header=BB268_810 Depth=1
	s_delay_alu instid0(VALU_DEP_3) | instskip(NEXT) | instid1(VALU_DEP_1)
	v_clz_i32_u32_e32 v116, v116
	v_min_u32_e32 v116, 32, v116
	s_delay_alu instid0(VALU_DEP_1) | instskip(NEXT) | instid1(VALU_DEP_1)
	v_subrev_nc_u32_e32 v118, 28, v116
	v_lshlrev_b64_e32 v[128:129], v118, v[0:1]
	v_sub_nc_u32_e32 v118, 29, v116
	s_delay_alu instid0(VALU_DEP_2)
	v_and_b32_e32 v116, 7, v128
; %bb.1302:                             ;   in Loop: Header=BB268_810 Depth=1
	s_wait_alu 0xfffe
	s_or_b32 exec_lo, exec_lo, s16
	v_lshlrev_b32_e32 v0, 8, v0
	v_lshl_add_u32 v118, v118, 10, 0x2000
	v_lshlrev_b32_e32 v116, 23, v116
	s_delay_alu instid0(VALU_DEP_2) | instskip(NEXT) | instid1(VALU_DEP_1)
	v_and_or_b32 v0, 0x8000, v0, v118
	v_lshl_or_b32 v116, v0, 16, v116
.LBB268_1303:                           ;   in Loop: Header=BB268_810 Depth=1
	s_wait_alu 0xfffe
	s_or_b32 exec_lo, exec_lo, s15
.LBB268_1304:                           ;   in Loop: Header=BB268_810 Depth=1
	s_wait_alu 0xfffe
	s_or_b32 exec_lo, exec_lo, s14
.LBB268_1305:                           ;   in Loop: Header=BB268_810 Depth=1
	s_wait_alu 0xfffe
	s_or_b32 exec_lo, exec_lo, s13
	v_dual_mov_b32 v119, 0 :: v_dual_and_b32 v128, 0xff, v12
	v_mov_b32_e32 v0, v12
	v_mov_b32_e32 v118, 0
	s_mov_b32 s13, exec_lo
	s_delay_alu instid0(VALU_DEP_3)
	v_cmpx_ne_u16_e64 0, v128
	s_cbranch_execz .LBB268_1313
; %bb.1306:                             ;   in Loop: Header=BB268_810 Depth=1
	v_mov_b32_e32 v119, 0x8000
	s_mov_b32 s14, exec_lo
	v_cmpx_ne_u16_e64 0x80, v128
	s_cbranch_execz .LBB268_1312
; %bb.1307:                             ;   in Loop: Header=BB268_810 Depth=1
	v_and_b32_e32 v129, 0x7f, v12
	v_mov_b32_e32 v119, 0x7c01
	s_mov_b32 s15, exec_lo
	s_delay_alu instid0(VALU_DEP_2)
	v_cmpx_ne_u32_e32 0x7f, v129
	s_cbranch_execz .LBB268_1311
; %bb.1308:                             ;   in Loop: Header=BB268_810 Depth=1
	v_and_b32_e32 v119, 7, v12
	v_lshrrev_b32_e32 v128, 3, v129
	s_mov_b32 s16, exec_lo
	v_cmpx_gt_u32_e32 8, v129
; %bb.1309:                             ;   in Loop: Header=BB268_810 Depth=1
	s_delay_alu instid0(VALU_DEP_3) | instskip(NEXT) | instid1(VALU_DEP_1)
	v_clz_i32_u32_e32 v119, v119
	v_min_u32_e32 v119, 32, v119
	s_delay_alu instid0(VALU_DEP_1) | instskip(NEXT) | instid1(VALU_DEP_1)
	v_subrev_nc_u32_e32 v128, 28, v119
	v_lshlrev_b64_e32 v[129:130], v128, v[0:1]
	v_sub_nc_u32_e32 v128, 29, v119
	s_delay_alu instid0(VALU_DEP_2)
	v_and_b32_e32 v119, 7, v129
; %bb.1310:                             ;   in Loop: Header=BB268_810 Depth=1
	s_wait_alu 0xfffe
	s_or_b32 exec_lo, exec_lo, s16
	v_lshlrev_b32_e32 v129, 8, v12
	v_lshl_add_u32 v128, v128, 10, 0x2000
	v_lshlrev_b32_e32 v119, 7, v119
	s_delay_alu instid0(VALU_DEP_3) | instskip(NEXT) | instid1(VALU_DEP_3)
	v_and_b32_e32 v129, 0x8000, v129
	v_and_b32_e32 v128, 0xfc00, v128
	s_delay_alu instid0(VALU_DEP_1)
	v_or3_b32 v119, v129, v128, v119
.LBB268_1311:                           ;   in Loop: Header=BB268_810 Depth=1
	s_wait_alu 0xfffe
	s_or_b32 exec_lo, exec_lo, s15
.LBB268_1312:                           ;   in Loop: Header=BB268_810 Depth=1
	s_wait_alu 0xfffe
	s_or_b32 exec_lo, exec_lo, s14
.LBB268_1313:                           ;   in Loop: Header=BB268_810 Depth=1
	s_wait_alu 0xfffe
	s_or_b32 exec_lo, exec_lo, s13
	v_lshrrev_b16 v0, 8, v0
	v_mov_b32_e32 v128, 0
	s_mov_b32 s13, exec_lo
	s_delay_alu instid0(VALU_DEP_2)
	v_cmpx_ne_u16_e32 0, v0
	s_cbranch_execz .LBB268_1321
; %bb.1314:                             ;   in Loop: Header=BB268_810 Depth=1
	v_bfrev_b32_e32 v128, 1
	s_mov_b32 s14, exec_lo
	v_cmpx_ne_u16_e32 0x80, v0
	s_cbranch_execz .LBB268_1320
; %bb.1315:                             ;   in Loop: Header=BB268_810 Depth=1
	v_and_b32_e32 v129, 0xffff, v0
	v_mov_b32_e32 v128, 0x7c010000
	s_mov_b32 s15, exec_lo
	s_delay_alu instid0(VALU_DEP_2) | instskip(NEXT) | instid1(VALU_DEP_1)
	v_and_b32_e32 v131, 0x7f, v129
	v_cmpx_ne_u32_e32 0x7f, v131
	s_cbranch_execz .LBB268_1319
; %bb.1316:                             ;   in Loop: Header=BB268_810 Depth=1
	v_and_b32_e32 v128, 7, v129
	v_lshrrev_b32_e32 v130, 3, v131
	s_mov_b32 s16, exec_lo
	v_cmpx_gt_u32_e32 8, v131
; %bb.1317:                             ;   in Loop: Header=BB268_810 Depth=1
	s_delay_alu instid0(VALU_DEP_3) | instskip(NEXT) | instid1(VALU_DEP_1)
	v_clz_i32_u32_e32 v128, v128
	v_min_u32_e32 v128, 32, v128
	s_delay_alu instid0(VALU_DEP_1) | instskip(NEXT) | instid1(VALU_DEP_1)
	v_subrev_nc_u32_e32 v130, 28, v128
	v_lshlrev_b64_e32 v[131:132], v130, v[0:1]
	v_sub_nc_u32_e32 v130, 29, v128
	s_delay_alu instid0(VALU_DEP_2)
	v_and_b32_e32 v128, 7, v131
; %bb.1318:                             ;   in Loop: Header=BB268_810 Depth=1
	s_wait_alu 0xfffe
	s_or_b32 exec_lo, exec_lo, s16
	v_lshlrev_b32_e32 v0, 8, v129
	v_lshl_add_u32 v129, v130, 10, 0x2000
	v_lshlrev_b32_e32 v128, 23, v128
	s_delay_alu instid0(VALU_DEP_2) | instskip(NEXT) | instid1(VALU_DEP_1)
	v_and_or_b32 v0, 0x8000, v0, v129
	v_lshl_or_b32 v128, v0, 16, v128
.LBB268_1319:                           ;   in Loop: Header=BB268_810 Depth=1
	s_wait_alu 0xfffe
	s_or_b32 exec_lo, exec_lo, s15
.LBB268_1320:                           ;   in Loop: Header=BB268_810 Depth=1
	s_wait_alu 0xfffe
	s_or_b32 exec_lo, exec_lo, s14
.LBB268_1321:                           ;   in Loop: Header=BB268_810 Depth=1
	s_wait_alu 0xfffe
	s_or_b32 exec_lo, exec_lo, s13
	v_lshrrev_b32_e32 v0, 16, v12
	s_mov_b32 s13, exec_lo
	s_delay_alu instid0(VALU_DEP_1) | instskip(NEXT) | instid1(VALU_DEP_1)
	v_and_b32_e32 v129, 0xff, v0
	v_cmpx_ne_u16_e64 0, v129
	s_cbranch_execz .LBB268_1329
; %bb.1322:                             ;   in Loop: Header=BB268_810 Depth=1
	v_mov_b32_e32 v118, 0x8000
	s_mov_b32 s14, exec_lo
	v_cmpx_ne_u16_e64 0x80, v129
	s_cbranch_execz .LBB268_1328
; %bb.1323:                             ;   in Loop: Header=BB268_810 Depth=1
	v_bfe_u32 v130, v12, 16, 7
	v_mov_b32_e32 v118, 0x7c01
	s_mov_b32 s15, exec_lo
	s_delay_alu instid0(VALU_DEP_2)
	v_cmpx_ne_u32_e32 0x7f, v130
	s_cbranch_execz .LBB268_1327
; %bb.1324:                             ;   in Loop: Header=BB268_810 Depth=1
	v_and_b32_e32 v118, 7, v0
	v_lshrrev_b32_e32 v129, 3, v130
	s_mov_b32 s16, exec_lo
	v_cmpx_gt_u32_e32 8, v130
; %bb.1325:                             ;   in Loop: Header=BB268_810 Depth=1
	s_delay_alu instid0(VALU_DEP_3) | instskip(NEXT) | instid1(VALU_DEP_1)
	v_clz_i32_u32_e32 v118, v118
	v_min_u32_e32 v118, 32, v118
	s_delay_alu instid0(VALU_DEP_1) | instskip(NEXT) | instid1(VALU_DEP_1)
	v_subrev_nc_u32_e32 v129, 28, v118
	v_lshlrev_b64_e32 v[130:131], v129, v[0:1]
	v_sub_nc_u32_e32 v129, 29, v118
	s_delay_alu instid0(VALU_DEP_2)
	v_and_b32_e32 v118, 7, v130
; %bb.1326:                             ;   in Loop: Header=BB268_810 Depth=1
	s_wait_alu 0xfffe
	s_or_b32 exec_lo, exec_lo, s16
	v_lshlrev_b32_e32 v0, 8, v0
	v_lshl_add_u32 v129, v129, 10, 0x2000
	v_lshlrev_b32_e32 v118, 7, v118
	s_delay_alu instid0(VALU_DEP_3) | instskip(NEXT) | instid1(VALU_DEP_3)
	v_and_b32_e32 v0, 0x8000, v0
	v_and_b32_e32 v129, 0xfc00, v129
	s_delay_alu instid0(VALU_DEP_1)
	v_or3_b32 v118, v0, v129, v118
.LBB268_1327:                           ;   in Loop: Header=BB268_810 Depth=1
	s_wait_alu 0xfffe
	s_or_b32 exec_lo, exec_lo, s15
.LBB268_1328:                           ;   in Loop: Header=BB268_810 Depth=1
	s_wait_alu 0xfffe
	s_or_b32 exec_lo, exec_lo, s14
.LBB268_1329:                           ;   in Loop: Header=BB268_810 Depth=1
	s_wait_alu 0xfffe
	s_or_b32 exec_lo, exec_lo, s13
	v_cmp_lt_u64_e64 s0, s[8:9], v[11:12]
	v_mov_b32_e32 v11, 0
	s_and_saveexec_b32 s13, s0
	s_cbranch_execz .LBB268_1337
; %bb.1330:                             ;   in Loop: Header=BB268_810 Depth=1
	v_lshrrev_b32_e32 v0, 24, v12
	v_bfrev_b32_e32 v11, 1
	s_mov_b32 s14, exec_lo
	s_delay_alu instid0(VALU_DEP_2)
	v_cmpx_ne_u32_e32 0x80, v0
	s_cbranch_execz .LBB268_1336
; %bb.1331:                             ;   in Loop: Header=BB268_810 Depth=1
	v_and_b32_e32 v129, 0x7f, v0
	v_mov_b32_e32 v11, 0x7c010000
	s_mov_b32 s15, exec_lo
	s_delay_alu instid0(VALU_DEP_2)
	v_cmpx_ne_u32_e32 0x7f, v129
	s_cbranch_execz .LBB268_1335
; %bb.1332:                             ;   in Loop: Header=BB268_810 Depth=1
	v_and_b32_e32 v11, 7, v0
	v_lshrrev_b32_e32 v12, 3, v129
	s_mov_b32 s16, exec_lo
	v_cmpx_gt_u32_e32 8, v129
; %bb.1333:                             ;   in Loop: Header=BB268_810 Depth=1
	s_delay_alu instid0(VALU_DEP_3) | instskip(NEXT) | instid1(VALU_DEP_1)
	v_clz_i32_u32_e32 v11, v11
	v_min_u32_e32 v129, 32, v11
	s_delay_alu instid0(VALU_DEP_1) | instskip(NEXT) | instid1(VALU_DEP_1)
	v_subrev_nc_u32_e32 v11, 28, v129
	v_lshlrev_b64_e32 v[11:12], v11, v[0:1]
	v_sub_nc_u32_e32 v12, 29, v129
	s_delay_alu instid0(VALU_DEP_2)
	v_and_b32_e32 v11, 7, v11
; %bb.1334:                             ;   in Loop: Header=BB268_810 Depth=1
	s_wait_alu 0xfffe
	s_or_b32 exec_lo, exec_lo, s16
	v_lshlrev_b32_e32 v0, 8, v0
	v_lshl_add_u32 v12, v12, 10, 0x2000
	v_lshlrev_b32_e32 v11, 23, v11
	s_delay_alu instid0(VALU_DEP_2) | instskip(NEXT) | instid1(VALU_DEP_1)
	v_and_or_b32 v0, 0x8000, v0, v12
	v_lshl_or_b32 v11, v0, 16, v11
.LBB268_1335:                           ;   in Loop: Header=BB268_810 Depth=1
	s_wait_alu 0xfffe
	s_or_b32 exec_lo, exec_lo, s15
.LBB268_1336:                           ;   in Loop: Header=BB268_810 Depth=1
	s_wait_alu 0xfffe
	s_or_b32 exec_lo, exec_lo, s14
.LBB268_1337:                           ;   in Loop: Header=BB268_810 Depth=1
	s_wait_alu 0xfffe
	s_or_b32 exec_lo, exec_lo, s13
	v_or_b32_e32 v0, v116, v117
	s_wait_loadcnt_dscnt 0x0
	v_fma_mixlo_f16 v12, v113, v116, 0 op_sel:[0,1,0] op_sel_hi:[0,1,0]
	v_or_b32_e32 v116, v114, v115
	v_fma_mixlo_f16 v114, v113, v114, 0 op_sel:[0,1,0] op_sel_hi:[0,1,0]
	v_or_b32_e32 v117, v128, v119
	v_or_b32_e32 v118, v11, v118
	v_fma_mixlo_f16 v119, v113, v0, 0 op_sel_hi:[0,1,0]
	v_fma_mixlo_f16 v11, v113, v11, 0 op_sel:[0,1,0] op_sel_hi:[0,1,0]
	v_lshlrev_b32_e32 v115, 16, v114
	v_fma_mixlo_f16 v114, v113, v116, 0 op_sel_hi:[0,1,0]
	v_fma_mixlo_f16 v116, v113, v128, 0 op_sel:[0,1,0] op_sel_hi:[0,1,0]
	v_fma_mixlo_f16 v117, v113, v117, 0 op_sel_hi:[0,1,0]
	v_fma_mixlo_f16 v118, v113, v118, 0 op_sel_hi:[0,1,0]
	v_lshlrev_b32_e32 v0, 16, v12
	v_and_b32_e32 v12, 0xffff, v119
	v_and_b32_e32 v129, 0xffff, v114
	v_lshlrev_b32_e32 v113, 16, v116
	v_and_b32_e32 v117, 0xffff, v117
	v_lshlrev_b32_e32 v11, 16, v11
	v_and_b32_e32 v114, 0xffff, v118
	v_or_b32_e32 v116, v0, v12
	v_or_b32_e32 v128, v115, v129
	;; [unrolled: 1-line block ×3, first 2 shown]
	s_delay_alu instid0(VALU_DEP_4)
	v_or_b32_e32 v118, v11, v114
	s_and_saveexec_b32 s13, vcc_lo
	s_cbranch_execz .LBB268_1339
; %bb.1338:                             ;   in Loop: Header=BB268_810 Depth=1
	v_cmp_lt_i32_e64 s0, v16, v34
	s_wait_alu 0xf1ff
	s_delay_alu instid0(VALU_DEP_1) | instskip(SKIP_2) | instid1(VALU_DEP_1)
	v_cndmask_b32_e64 v116, 0, v129, s0
	v_cmp_lt_i32_e64 s0, v84, v34
	s_wait_alu 0xf1ff
	v_cndmask_b32_e64 v115, 0, v115, s0
	v_cmp_lt_i32_e64 s0, v83, v34
	s_delay_alu instid0(VALU_DEP_2) | instskip(SKIP_1) | instid1(VALU_DEP_2)
	v_or_b32_e32 v128, v116, v115
	s_wait_alu 0xf1ff
	v_cndmask_b32_e64 v12, 0, v12, s0
	v_cmp_lt_i32_e64 s0, v82, v34
	s_wait_alu 0xf1ff
	s_delay_alu instid0(VALU_DEP_1) | instskip(SKIP_1) | instid1(VALU_DEP_2)
	v_cndmask_b32_e64 v0, 0, v0, s0
	v_cmp_lt_i32_e64 s0, v80, v34
	v_or_b32_e32 v116, v12, v0
	s_wait_alu 0xf1ff
	s_delay_alu instid0(VALU_DEP_2) | instskip(SKIP_2) | instid1(VALU_DEP_1)
	v_cndmask_b32_e64 v117, 0, v117, s0
	v_cmp_lt_i32_e64 s0, v71, v34
	s_wait_alu 0xf1ff
	v_cndmask_b32_e64 v113, 0, v113, s0
	v_cmp_lt_i32_e64 s0, v69, v34
	s_delay_alu instid0(VALU_DEP_2) | instskip(SKIP_1) | instid1(VALU_DEP_2)
	v_or_b32_e32 v119, v117, v113
	s_wait_alu 0xf1ff
	v_cndmask_b32_e64 v114, 0, v114, s0
	v_cmp_lt_i32_e64 s0, v54, v34
	s_wait_alu 0xf1ff
	s_delay_alu instid0(VALU_DEP_1) | instskip(NEXT) | instid1(VALU_DEP_1)
	v_cndmask_b32_e64 v11, 0, v11, s0
	v_or_b32_e32 v118, v114, v11
.LBB268_1339:                           ;   in Loop: Header=BB268_810 Depth=1
	s_wait_alu 0xfffe
	s_or_b32 exec_lo, exec_lo, s13
	;;#ASMSTART
	v_pk_mul_f16 v0, v81, v128;

	;;#ASMEND
	;;#ASMSTART
	v_pk_mul_f16 v11, v70, v116;

	;;#ASMEND
	;; [unrolled: 4-line block ×4, first 2 shown]
	;;#ASMSTART
	v_pk_add_f16 v0, v0, v11;

	;;#ASMEND
	;;#ASMSTART
	v_pk_add_f16 v0, v0, v12;

	;;#ASMEND
	;; [unrolled: 4-line block ×3, first 2 shown]
	v_dual_mov_b32 v116, 0 :: v_dual_and_b32 v11, 0xffff, v0
	v_lshrrev_b32_e32 v0, 16, v0
	;;#ASMSTART
	v_cvt_f32_f16 v113, v11;
	;;#ASMEND
	;;#ASMSTART
	v_cvt_f32_f16 v114, v0;
	;;#ASMEND
	flat_load_b64 v[11:12], v[9:10] offset:2048
	flat_load_b32 v115, v[26:27]
	s_mov_b32 s13, exec_lo
	s_wait_loadcnt_dscnt 0x101
	v_dual_mov_b32 v117, 0 :: v_dual_and_b32 v0, 0xff, v11
	s_delay_alu instid0(VALU_DEP_1)
	v_cmpx_ne_u16_e32 0, v0
	s_cbranch_execz .LBB268_1347
; %bb.1340:                             ;   in Loop: Header=BB268_810 Depth=1
	v_mov_b32_e32 v117, 0x8000
	s_mov_b32 s14, exec_lo
	v_cmpx_ne_u16_e32 0x80, v0
	s_cbranch_execz .LBB268_1346
; %bb.1341:                             ;   in Loop: Header=BB268_810 Depth=1
	v_and_b32_e32 v118, 0x7f, v11
	v_mov_b32_e32 v117, 0x7c01
	s_mov_b32 s15, exec_lo
	s_delay_alu instid0(VALU_DEP_2)
	v_cmpx_ne_u32_e32 0x7f, v118
	s_cbranch_execz .LBB268_1345
; %bb.1342:                             ;   in Loop: Header=BB268_810 Depth=1
	v_and_b32_e32 v0, 7, v11
	v_lshrrev_b32_e32 v117, 3, v118
	s_mov_b32 s16, exec_lo
	v_cmpx_gt_u32_e32 8, v118
; %bb.1343:                             ;   in Loop: Header=BB268_810 Depth=1
	s_delay_alu instid0(VALU_DEP_3) | instskip(NEXT) | instid1(VALU_DEP_1)
	v_clz_i32_u32_e32 v0, v0
	v_min_u32_e32 v0, 32, v0
	s_delay_alu instid0(VALU_DEP_1) | instskip(NEXT) | instid1(VALU_DEP_1)
	v_subrev_nc_u32_e32 v117, 28, v0
	v_lshlrev_b64_e32 v[118:119], v117, v[11:12]
	v_sub_nc_u32_e32 v117, 29, v0
	s_delay_alu instid0(VALU_DEP_2)
	v_and_b32_e32 v0, 7, v118
; %bb.1344:                             ;   in Loop: Header=BB268_810 Depth=1
	s_wait_alu 0xfffe
	s_or_b32 exec_lo, exec_lo, s16
	v_lshlrev_b32_e32 v118, 8, v11
	v_lshl_add_u32 v117, v117, 10, 0x2000
	v_lshlrev_b32_e32 v0, 7, v0
	s_delay_alu instid0(VALU_DEP_3) | instskip(NEXT) | instid1(VALU_DEP_3)
	v_and_b32_e32 v118, 0x8000, v118
	v_and_b32_e32 v117, 0xfc00, v117
	s_delay_alu instid0(VALU_DEP_1)
	v_or3_b32 v117, v118, v117, v0
.LBB268_1345:                           ;   in Loop: Header=BB268_810 Depth=1
	s_wait_alu 0xfffe
	s_or_b32 exec_lo, exec_lo, s15
.LBB268_1346:                           ;   in Loop: Header=BB268_810 Depth=1
	s_wait_alu 0xfffe
	s_or_b32 exec_lo, exec_lo, s14
.LBB268_1347:                           ;   in Loop: Header=BB268_810 Depth=1
	s_wait_alu 0xfffe
	s_or_b32 exec_lo, exec_lo, s13
	v_lshrrev_b16 v0, 8, v11
	s_mov_b32 s13, exec_lo
	s_delay_alu instid0(VALU_DEP_1)
	v_cmpx_ne_u16_e32 0, v0
	s_cbranch_execz .LBB268_1355
; %bb.1348:                             ;   in Loop: Header=BB268_810 Depth=1
	v_bfrev_b32_e32 v116, 1
	s_mov_b32 s14, exec_lo
	v_cmpx_ne_u16_e32 0x80, v0
	s_cbranch_execz .LBB268_1354
; %bb.1349:                             ;   in Loop: Header=BB268_810 Depth=1
	v_and_b32_e32 v118, 0xffff, v0
	v_mov_b32_e32 v116, 0x7c010000
	s_mov_b32 s15, exec_lo
	s_delay_alu instid0(VALU_DEP_2) | instskip(NEXT) | instid1(VALU_DEP_1)
	v_and_b32_e32 v128, 0x7f, v118
	v_cmpx_ne_u32_e32 0x7f, v128
	s_cbranch_execz .LBB268_1353
; %bb.1350:                             ;   in Loop: Header=BB268_810 Depth=1
	v_and_b32_e32 v116, 7, v118
	v_lshrrev_b32_e32 v119, 3, v128
	s_mov_b32 s16, exec_lo
	v_cmpx_gt_u32_e32 8, v128
; %bb.1351:                             ;   in Loop: Header=BB268_810 Depth=1
	s_delay_alu instid0(VALU_DEP_3) | instskip(NEXT) | instid1(VALU_DEP_1)
	v_clz_i32_u32_e32 v116, v116
	v_min_u32_e32 v116, 32, v116
	s_delay_alu instid0(VALU_DEP_1) | instskip(NEXT) | instid1(VALU_DEP_1)
	v_subrev_nc_u32_e32 v119, 28, v116
	v_lshlrev_b64_e32 v[128:129], v119, v[0:1]
	v_sub_nc_u32_e32 v119, 29, v116
	s_delay_alu instid0(VALU_DEP_2)
	v_and_b32_e32 v116, 7, v128
; %bb.1352:                             ;   in Loop: Header=BB268_810 Depth=1
	s_wait_alu 0xfffe
	s_or_b32 exec_lo, exec_lo, s16
	v_lshlrev_b32_e32 v0, 8, v118
	v_lshl_add_u32 v118, v119, 10, 0x2000
	v_lshlrev_b32_e32 v116, 23, v116
	s_delay_alu instid0(VALU_DEP_2) | instskip(NEXT) | instid1(VALU_DEP_1)
	v_and_or_b32 v0, 0x8000, v0, v118
	v_lshl_or_b32 v116, v0, 16, v116
.LBB268_1353:                           ;   in Loop: Header=BB268_810 Depth=1
	s_wait_alu 0xfffe
	s_or_b32 exec_lo, exec_lo, s15
.LBB268_1354:                           ;   in Loop: Header=BB268_810 Depth=1
	s_wait_alu 0xfffe
	s_or_b32 exec_lo, exec_lo, s14
.LBB268_1355:                           ;   in Loop: Header=BB268_810 Depth=1
	s_wait_alu 0xfffe
	s_or_b32 exec_lo, exec_lo, s13
	v_lshrrev_b32_e32 v0, 16, v11
	v_mov_b32_e32 v118, 0
	s_mov_b32 s13, exec_lo
	s_delay_alu instid0(VALU_DEP_2) | instskip(NEXT) | instid1(VALU_DEP_1)
	v_dual_mov_b32 v119, 0 :: v_dual_and_b32 v128, 0xff, v0
	v_cmpx_ne_u16_e64 0, v128
	s_cbranch_execz .LBB268_1363
; %bb.1356:                             ;   in Loop: Header=BB268_810 Depth=1
	v_mov_b32_e32 v119, 0x8000
	s_mov_b32 s14, exec_lo
	v_cmpx_ne_u16_e64 0x80, v128
	s_cbranch_execz .LBB268_1362
; %bb.1357:                             ;   in Loop: Header=BB268_810 Depth=1
	v_bfe_u32 v129, v11, 16, 7
	v_mov_b32_e32 v119, 0x7c01
	s_mov_b32 s15, exec_lo
	s_delay_alu instid0(VALU_DEP_2)
	v_cmpx_ne_u32_e32 0x7f, v129
	s_cbranch_execz .LBB268_1361
; %bb.1358:                             ;   in Loop: Header=BB268_810 Depth=1
	v_and_b32_e32 v119, 7, v0
	v_lshrrev_b32_e32 v128, 3, v129
	s_mov_b32 s16, exec_lo
	v_cmpx_gt_u32_e32 8, v129
; %bb.1359:                             ;   in Loop: Header=BB268_810 Depth=1
	s_delay_alu instid0(VALU_DEP_3) | instskip(NEXT) | instid1(VALU_DEP_1)
	v_clz_i32_u32_e32 v119, v119
	v_min_u32_e32 v119, 32, v119
	s_delay_alu instid0(VALU_DEP_1) | instskip(NEXT) | instid1(VALU_DEP_1)
	v_subrev_nc_u32_e32 v128, 28, v119
	v_lshlrev_b64_e32 v[129:130], v128, v[0:1]
	v_sub_nc_u32_e32 v128, 29, v119
	s_delay_alu instid0(VALU_DEP_2)
	v_and_b32_e32 v119, 7, v129
; %bb.1360:                             ;   in Loop: Header=BB268_810 Depth=1
	s_wait_alu 0xfffe
	s_or_b32 exec_lo, exec_lo, s16
	v_lshlrev_b32_e32 v0, 8, v0
	v_lshl_add_u32 v128, v128, 10, 0x2000
	v_lshlrev_b32_e32 v119, 7, v119
	s_delay_alu instid0(VALU_DEP_3) | instskip(NEXT) | instid1(VALU_DEP_3)
	v_and_b32_e32 v0, 0x8000, v0
	v_and_b32_e32 v128, 0xfc00, v128
	s_delay_alu instid0(VALU_DEP_1)
	v_or3_b32 v119, v0, v128, v119
.LBB268_1361:                           ;   in Loop: Header=BB268_810 Depth=1
	s_wait_alu 0xfffe
	s_or_b32 exec_lo, exec_lo, s15
.LBB268_1362:                           ;   in Loop: Header=BB268_810 Depth=1
	s_wait_alu 0xfffe
	s_or_b32 exec_lo, exec_lo, s14
.LBB268_1363:                           ;   in Loop: Header=BB268_810 Depth=1
	s_wait_alu 0xfffe
	s_or_b32 exec_lo, exec_lo, s13
	s_delay_alu instid0(SALU_CYCLE_1)
	s_mov_b32 s13, exec_lo
	v_cmpx_lt_u32_e32 0xffffff, v11
	s_cbranch_execz .LBB268_1371
; %bb.1364:                             ;   in Loop: Header=BB268_810 Depth=1
	v_lshrrev_b32_e32 v0, 24, v11
	v_bfrev_b32_e32 v118, 1
	s_mov_b32 s14, exec_lo
	s_delay_alu instid0(VALU_DEP_2)
	v_cmpx_ne_u32_e32 0x80, v0
	s_cbranch_execz .LBB268_1370
; %bb.1365:                             ;   in Loop: Header=BB268_810 Depth=1
	v_and_b32_e32 v129, 0x7f, v0
	v_mov_b32_e32 v118, 0x7c010000
	s_mov_b32 s15, exec_lo
	s_delay_alu instid0(VALU_DEP_2)
	v_cmpx_ne_u32_e32 0x7f, v129
	s_cbranch_execz .LBB268_1369
; %bb.1366:                             ;   in Loop: Header=BB268_810 Depth=1
	v_and_b32_e32 v118, 7, v0
	v_lshrrev_b32_e32 v128, 3, v129
	s_mov_b32 s16, exec_lo
	v_cmpx_gt_u32_e32 8, v129
; %bb.1367:                             ;   in Loop: Header=BB268_810 Depth=1
	s_delay_alu instid0(VALU_DEP_3) | instskip(NEXT) | instid1(VALU_DEP_1)
	v_clz_i32_u32_e32 v118, v118
	v_min_u32_e32 v118, 32, v118
	s_delay_alu instid0(VALU_DEP_1) | instskip(NEXT) | instid1(VALU_DEP_1)
	v_subrev_nc_u32_e32 v128, 28, v118
	v_lshlrev_b64_e32 v[129:130], v128, v[0:1]
	v_sub_nc_u32_e32 v128, 29, v118
	s_delay_alu instid0(VALU_DEP_2)
	v_and_b32_e32 v118, 7, v129
; %bb.1368:                             ;   in Loop: Header=BB268_810 Depth=1
	s_wait_alu 0xfffe
	s_or_b32 exec_lo, exec_lo, s16
	v_lshlrev_b32_e32 v0, 8, v0
	v_lshl_add_u32 v128, v128, 10, 0x2000
	v_lshlrev_b32_e32 v118, 23, v118
	s_delay_alu instid0(VALU_DEP_2) | instskip(NEXT) | instid1(VALU_DEP_1)
	v_and_or_b32 v0, 0x8000, v0, v128
	v_lshl_or_b32 v118, v0, 16, v118
.LBB268_1369:                           ;   in Loop: Header=BB268_810 Depth=1
	s_wait_alu 0xfffe
	s_or_b32 exec_lo, exec_lo, s15
.LBB268_1370:                           ;   in Loop: Header=BB268_810 Depth=1
	s_wait_alu 0xfffe
	s_or_b32 exec_lo, exec_lo, s14
.LBB268_1371:                           ;   in Loop: Header=BB268_810 Depth=1
	s_wait_alu 0xfffe
	s_or_b32 exec_lo, exec_lo, s13
	v_dual_mov_b32 v129, 0 :: v_dual_and_b32 v130, 0xff, v12
	v_mov_b32_e32 v0, v12
	v_mov_b32_e32 v128, 0
	s_mov_b32 s13, exec_lo
	s_delay_alu instid0(VALU_DEP_3)
	v_cmpx_ne_u16_e64 0, v130
	s_cbranch_execz .LBB268_1379
; %bb.1372:                             ;   in Loop: Header=BB268_810 Depth=1
	v_mov_b32_e32 v129, 0x8000
	s_mov_b32 s14, exec_lo
	v_cmpx_ne_u16_e64 0x80, v130
	s_cbranch_execz .LBB268_1378
; %bb.1373:                             ;   in Loop: Header=BB268_810 Depth=1
	v_and_b32_e32 v131, 0x7f, v12
	v_mov_b32_e32 v129, 0x7c01
	s_mov_b32 s15, exec_lo
	s_delay_alu instid0(VALU_DEP_2)
	v_cmpx_ne_u32_e32 0x7f, v131
	s_cbranch_execz .LBB268_1377
; %bb.1374:                             ;   in Loop: Header=BB268_810 Depth=1
	v_and_b32_e32 v129, 7, v12
	v_lshrrev_b32_e32 v130, 3, v131
	s_mov_b32 s16, exec_lo
	v_cmpx_gt_u32_e32 8, v131
; %bb.1375:                             ;   in Loop: Header=BB268_810 Depth=1
	s_delay_alu instid0(VALU_DEP_3) | instskip(NEXT) | instid1(VALU_DEP_1)
	v_clz_i32_u32_e32 v129, v129
	v_min_u32_e32 v131, 32, v129
	s_delay_alu instid0(VALU_DEP_1) | instskip(NEXT) | instid1(VALU_DEP_1)
	v_subrev_nc_u32_e32 v129, 28, v131
	v_lshlrev_b64_e32 v[129:130], v129, v[0:1]
	v_sub_nc_u32_e32 v130, 29, v131
	s_delay_alu instid0(VALU_DEP_2)
	v_and_b32_e32 v129, 7, v129
; %bb.1376:                             ;   in Loop: Header=BB268_810 Depth=1
	s_wait_alu 0xfffe
	s_or_b32 exec_lo, exec_lo, s16
	v_lshlrev_b32_e32 v131, 8, v12
	v_lshl_add_u32 v130, v130, 10, 0x2000
	v_lshlrev_b32_e32 v129, 7, v129
	s_delay_alu instid0(VALU_DEP_3) | instskip(NEXT) | instid1(VALU_DEP_3)
	v_and_b32_e32 v131, 0x8000, v131
	v_and_b32_e32 v130, 0xfc00, v130
	s_delay_alu instid0(VALU_DEP_1)
	v_or3_b32 v129, v131, v130, v129
.LBB268_1377:                           ;   in Loop: Header=BB268_810 Depth=1
	s_wait_alu 0xfffe
	s_or_b32 exec_lo, exec_lo, s15
.LBB268_1378:                           ;   in Loop: Header=BB268_810 Depth=1
	s_wait_alu 0xfffe
	s_or_b32 exec_lo, exec_lo, s14
.LBB268_1379:                           ;   in Loop: Header=BB268_810 Depth=1
	s_wait_alu 0xfffe
	s_or_b32 exec_lo, exec_lo, s13
	v_lshrrev_b16 v0, 8, v0
	v_mov_b32_e32 v130, 0
	s_mov_b32 s13, exec_lo
	s_delay_alu instid0(VALU_DEP_2)
	v_cmpx_ne_u16_e32 0, v0
	s_cbranch_execz .LBB268_1387
; %bb.1380:                             ;   in Loop: Header=BB268_810 Depth=1
	v_bfrev_b32_e32 v130, 1
	s_mov_b32 s14, exec_lo
	v_cmpx_ne_u16_e32 0x80, v0
	s_cbranch_execz .LBB268_1386
; %bb.1381:                             ;   in Loop: Header=BB268_810 Depth=1
	v_and_b32_e32 v131, 0xffff, v0
	v_mov_b32_e32 v130, 0x7c010000
	s_mov_b32 s15, exec_lo
	s_delay_alu instid0(VALU_DEP_2) | instskip(NEXT) | instid1(VALU_DEP_1)
	v_and_b32_e32 v133, 0x7f, v131
	v_cmpx_ne_u32_e32 0x7f, v133
	s_cbranch_execz .LBB268_1385
; %bb.1382:                             ;   in Loop: Header=BB268_810 Depth=1
	v_and_b32_e32 v130, 7, v131
	v_lshrrev_b32_e32 v132, 3, v133
	s_mov_b32 s16, exec_lo
	v_cmpx_gt_u32_e32 8, v133
; %bb.1383:                             ;   in Loop: Header=BB268_810 Depth=1
	s_delay_alu instid0(VALU_DEP_3) | instskip(NEXT) | instid1(VALU_DEP_1)
	v_clz_i32_u32_e32 v130, v130
	v_min_u32_e32 v130, 32, v130
	s_delay_alu instid0(VALU_DEP_1) | instskip(NEXT) | instid1(VALU_DEP_1)
	v_subrev_nc_u32_e32 v132, 28, v130
	v_lshlrev_b64_e32 v[133:134], v132, v[0:1]
	v_sub_nc_u32_e32 v132, 29, v130
	s_delay_alu instid0(VALU_DEP_2)
	v_and_b32_e32 v130, 7, v133
; %bb.1384:                             ;   in Loop: Header=BB268_810 Depth=1
	s_wait_alu 0xfffe
	s_or_b32 exec_lo, exec_lo, s16
	v_lshlrev_b32_e32 v0, 8, v131
	v_lshl_add_u32 v131, v132, 10, 0x2000
	v_lshlrev_b32_e32 v130, 23, v130
	s_delay_alu instid0(VALU_DEP_2) | instskip(NEXT) | instid1(VALU_DEP_1)
	v_and_or_b32 v0, 0x8000, v0, v131
	v_lshl_or_b32 v130, v0, 16, v130
.LBB268_1385:                           ;   in Loop: Header=BB268_810 Depth=1
	s_wait_alu 0xfffe
	s_or_b32 exec_lo, exec_lo, s15
.LBB268_1386:                           ;   in Loop: Header=BB268_810 Depth=1
	s_wait_alu 0xfffe
	s_or_b32 exec_lo, exec_lo, s14
.LBB268_1387:                           ;   in Loop: Header=BB268_810 Depth=1
	s_wait_alu 0xfffe
	s_or_b32 exec_lo, exec_lo, s13
	v_lshrrev_b32_e32 v0, 16, v12
	s_mov_b32 s13, exec_lo
	s_delay_alu instid0(VALU_DEP_1) | instskip(NEXT) | instid1(VALU_DEP_1)
	v_and_b32_e32 v131, 0xff, v0
	v_cmpx_ne_u16_e64 0, v131
	s_cbranch_execz .LBB268_1395
; %bb.1388:                             ;   in Loop: Header=BB268_810 Depth=1
	v_mov_b32_e32 v128, 0x8000
	s_mov_b32 s14, exec_lo
	v_cmpx_ne_u16_e64 0x80, v131
	s_cbranch_execz .LBB268_1394
; %bb.1389:                             ;   in Loop: Header=BB268_810 Depth=1
	v_bfe_u32 v132, v12, 16, 7
	v_mov_b32_e32 v128, 0x7c01
	s_mov_b32 s15, exec_lo
	s_delay_alu instid0(VALU_DEP_2)
	v_cmpx_ne_u32_e32 0x7f, v132
	s_cbranch_execz .LBB268_1393
; %bb.1390:                             ;   in Loop: Header=BB268_810 Depth=1
	v_and_b32_e32 v128, 7, v0
	v_lshrrev_b32_e32 v131, 3, v132
	s_mov_b32 s16, exec_lo
	v_cmpx_gt_u32_e32 8, v132
; %bb.1391:                             ;   in Loop: Header=BB268_810 Depth=1
	s_delay_alu instid0(VALU_DEP_3) | instskip(NEXT) | instid1(VALU_DEP_1)
	v_clz_i32_u32_e32 v128, v128
	v_min_u32_e32 v128, 32, v128
	s_delay_alu instid0(VALU_DEP_1) | instskip(NEXT) | instid1(VALU_DEP_1)
	v_subrev_nc_u32_e32 v131, 28, v128
	v_lshlrev_b64_e32 v[132:133], v131, v[0:1]
	v_sub_nc_u32_e32 v131, 29, v128
	s_delay_alu instid0(VALU_DEP_2)
	v_and_b32_e32 v128, 7, v132
; %bb.1392:                             ;   in Loop: Header=BB268_810 Depth=1
	s_wait_alu 0xfffe
	s_or_b32 exec_lo, exec_lo, s16
	v_lshlrev_b32_e32 v0, 8, v0
	v_lshl_add_u32 v131, v131, 10, 0x2000
	v_lshlrev_b32_e32 v128, 7, v128
	s_delay_alu instid0(VALU_DEP_3) | instskip(NEXT) | instid1(VALU_DEP_3)
	v_and_b32_e32 v0, 0x8000, v0
	v_and_b32_e32 v131, 0xfc00, v131
	s_delay_alu instid0(VALU_DEP_1)
	v_or3_b32 v128, v0, v131, v128
.LBB268_1393:                           ;   in Loop: Header=BB268_810 Depth=1
	s_wait_alu 0xfffe
	s_or_b32 exec_lo, exec_lo, s15
.LBB268_1394:                           ;   in Loop: Header=BB268_810 Depth=1
	s_wait_alu 0xfffe
	s_or_b32 exec_lo, exec_lo, s14
.LBB268_1395:                           ;   in Loop: Header=BB268_810 Depth=1
	s_wait_alu 0xfffe
	s_or_b32 exec_lo, exec_lo, s13
	v_cmp_lt_u64_e64 s0, s[8:9], v[11:12]
	v_mov_b32_e32 v11, 0
	s_and_saveexec_b32 s13, s0
	s_cbranch_execz .LBB268_1403
; %bb.1396:                             ;   in Loop: Header=BB268_810 Depth=1
	v_lshrrev_b32_e32 v0, 24, v12
	v_bfrev_b32_e32 v11, 1
	s_mov_b32 s14, exec_lo
	s_delay_alu instid0(VALU_DEP_2)
	v_cmpx_ne_u32_e32 0x80, v0
	s_cbranch_execz .LBB268_1402
; %bb.1397:                             ;   in Loop: Header=BB268_810 Depth=1
	v_and_b32_e32 v131, 0x7f, v0
	v_mov_b32_e32 v11, 0x7c010000
	s_mov_b32 s15, exec_lo
	s_delay_alu instid0(VALU_DEP_2)
	v_cmpx_ne_u32_e32 0x7f, v131
	s_cbranch_execz .LBB268_1401
; %bb.1398:                             ;   in Loop: Header=BB268_810 Depth=1
	v_and_b32_e32 v11, 7, v0
	v_lshrrev_b32_e32 v12, 3, v131
	s_mov_b32 s16, exec_lo
	v_cmpx_gt_u32_e32 8, v131
; %bb.1399:                             ;   in Loop: Header=BB268_810 Depth=1
	s_delay_alu instid0(VALU_DEP_3) | instskip(NEXT) | instid1(VALU_DEP_1)
	v_clz_i32_u32_e32 v11, v11
	v_min_u32_e32 v131, 32, v11
	s_delay_alu instid0(VALU_DEP_1) | instskip(NEXT) | instid1(VALU_DEP_1)
	v_subrev_nc_u32_e32 v11, 28, v131
	v_lshlrev_b64_e32 v[11:12], v11, v[0:1]
	v_sub_nc_u32_e32 v12, 29, v131
	s_delay_alu instid0(VALU_DEP_2)
	v_and_b32_e32 v11, 7, v11
; %bb.1400:                             ;   in Loop: Header=BB268_810 Depth=1
	s_wait_alu 0xfffe
	s_or_b32 exec_lo, exec_lo, s16
	v_lshlrev_b32_e32 v0, 8, v0
	v_lshl_add_u32 v12, v12, 10, 0x2000
	v_lshlrev_b32_e32 v11, 23, v11
	s_delay_alu instid0(VALU_DEP_2) | instskip(NEXT) | instid1(VALU_DEP_1)
	v_and_or_b32 v0, 0x8000, v0, v12
	v_lshl_or_b32 v11, v0, 16, v11
.LBB268_1401:                           ;   in Loop: Header=BB268_810 Depth=1
	s_wait_alu 0xfffe
	s_or_b32 exec_lo, exec_lo, s15
.LBB268_1402:                           ;   in Loop: Header=BB268_810 Depth=1
	s_wait_alu 0xfffe
	s_or_b32 exec_lo, exec_lo, s14
.LBB268_1403:                           ;   in Loop: Header=BB268_810 Depth=1
	s_wait_alu 0xfffe
	s_or_b32 exec_lo, exec_lo, s13
	v_or_b32_e32 v0, v118, v119
	s_wait_loadcnt_dscnt 0x0
	v_fma_mixlo_f16 v12, v115, v118, 0 op_sel:[0,1,0] op_sel_hi:[0,1,0]
	v_or_b32_e32 v118, v116, v117
	v_fma_mixlo_f16 v116, v115, v116, 0 op_sel:[0,1,0] op_sel_hi:[0,1,0]
	v_or_b32_e32 v119, v130, v129
	v_or_b32_e32 v128, v11, v128
	v_fma_mixlo_f16 v129, v115, v0, 0 op_sel_hi:[0,1,0]
	v_fma_mixlo_f16 v11, v115, v11, 0 op_sel:[0,1,0] op_sel_hi:[0,1,0]
	v_lshlrev_b32_e32 v117, 16, v116
	v_fma_mixlo_f16 v116, v115, v118, 0 op_sel_hi:[0,1,0]
	v_fma_mixlo_f16 v118, v115, v130, 0 op_sel:[0,1,0] op_sel_hi:[0,1,0]
	v_fma_mixlo_f16 v119, v115, v119, 0 op_sel_hi:[0,1,0]
	v_fma_mixlo_f16 v128, v115, v128, 0 op_sel_hi:[0,1,0]
	v_lshlrev_b32_e32 v0, 16, v12
	v_and_b32_e32 v12, 0xffff, v129
	v_and_b32_e32 v131, 0xffff, v116
	v_lshlrev_b32_e32 v115, 16, v118
	v_and_b32_e32 v119, 0xffff, v119
	v_lshlrev_b32_e32 v11, 16, v11
	v_and_b32_e32 v116, 0xffff, v128
	v_or_b32_e32 v118, v0, v12
	v_or_b32_e32 v130, v117, v131
	;; [unrolled: 1-line block ×3, first 2 shown]
	s_delay_alu instid0(VALU_DEP_4)
	v_or_b32_e32 v128, v11, v116
	s_and_saveexec_b32 s13, vcc_lo
	s_cbranch_execz .LBB268_1405
; %bb.1404:                             ;   in Loop: Header=BB268_810 Depth=1
	v_cmp_lt_i32_e64 s0, v16, v34
	s_wait_alu 0xf1ff
	s_delay_alu instid0(VALU_DEP_1) | instskip(SKIP_2) | instid1(VALU_DEP_1)
	v_cndmask_b32_e64 v118, 0, v131, s0
	v_cmp_lt_i32_e64 s0, v84, v34
	s_wait_alu 0xf1ff
	v_cndmask_b32_e64 v117, 0, v117, s0
	v_cmp_lt_i32_e64 s0, v83, v34
	s_delay_alu instid0(VALU_DEP_2) | instskip(SKIP_1) | instid1(VALU_DEP_2)
	v_or_b32_e32 v130, v118, v117
	s_wait_alu 0xf1ff
	v_cndmask_b32_e64 v12, 0, v12, s0
	v_cmp_lt_i32_e64 s0, v82, v34
	s_wait_alu 0xf1ff
	s_delay_alu instid0(VALU_DEP_1) | instskip(SKIP_1) | instid1(VALU_DEP_2)
	v_cndmask_b32_e64 v0, 0, v0, s0
	v_cmp_lt_i32_e64 s0, v80, v34
	v_or_b32_e32 v118, v12, v0
	s_wait_alu 0xf1ff
	s_delay_alu instid0(VALU_DEP_2) | instskip(SKIP_2) | instid1(VALU_DEP_1)
	v_cndmask_b32_e64 v119, 0, v119, s0
	v_cmp_lt_i32_e64 s0, v71, v34
	s_wait_alu 0xf1ff
	v_cndmask_b32_e64 v115, 0, v115, s0
	v_cmp_lt_i32_e64 s0, v69, v34
	s_delay_alu instid0(VALU_DEP_2) | instskip(SKIP_1) | instid1(VALU_DEP_2)
	v_or_b32_e32 v129, v119, v115
	s_wait_alu 0xf1ff
	v_cndmask_b32_e64 v116, 0, v116, s0
	v_cmp_lt_i32_e64 s0, v54, v34
	s_wait_alu 0xf1ff
	s_delay_alu instid0(VALU_DEP_1) | instskip(NEXT) | instid1(VALU_DEP_1)
	v_cndmask_b32_e64 v11, 0, v11, s0
	v_or_b32_e32 v128, v116, v11
.LBB268_1405:                           ;   in Loop: Header=BB268_810 Depth=1
	s_wait_alu 0xfffe
	s_or_b32 exec_lo, exec_lo, s13
	;;#ASMSTART
	v_pk_mul_f16 v0, v81, v130;

	;;#ASMEND
	;;#ASMSTART
	v_pk_mul_f16 v11, v70, v118;

	;;#ASMEND
	;; [unrolled: 4-line block ×4, first 2 shown]
	;;#ASMSTART
	v_pk_add_f16 v0, v0, v11;

	;;#ASMEND
	;;#ASMSTART
	v_pk_add_f16 v0, v0, v12;

	;;#ASMEND
	;; [unrolled: 4-line block ×3, first 2 shown]
	v_dual_mov_b32 v118, 0 :: v_dual_and_b32 v11, 0xffff, v0
	v_lshrrev_b32_e32 v0, 16, v0
	;;#ASMSTART
	v_cvt_f32_f16 v115, v11;
	;;#ASMEND
	;;#ASMSTART
	v_cvt_f32_f16 v116, v0;
	;;#ASMEND
	flat_load_b64 v[11:12], v[9:10] offset:2304
	flat_load_b32 v117, v[26:27]
	s_mov_b32 s13, exec_lo
	s_wait_loadcnt_dscnt 0x101
	v_dual_mov_b32 v119, 0 :: v_dual_and_b32 v0, 0xff, v11
	s_delay_alu instid0(VALU_DEP_1)
	v_cmpx_ne_u16_e32 0, v0
	s_cbranch_execz .LBB268_1413
; %bb.1406:                             ;   in Loop: Header=BB268_810 Depth=1
	v_mov_b32_e32 v119, 0x8000
	s_mov_b32 s14, exec_lo
	v_cmpx_ne_u16_e32 0x80, v0
	s_cbranch_execz .LBB268_1412
; %bb.1407:                             ;   in Loop: Header=BB268_810 Depth=1
	v_and_b32_e32 v128, 0x7f, v11
	v_mov_b32_e32 v119, 0x7c01
	s_mov_b32 s15, exec_lo
	s_delay_alu instid0(VALU_DEP_2)
	v_cmpx_ne_u32_e32 0x7f, v128
	s_cbranch_execz .LBB268_1411
; %bb.1408:                             ;   in Loop: Header=BB268_810 Depth=1
	v_and_b32_e32 v0, 7, v11
	v_lshrrev_b32_e32 v119, 3, v128
	s_mov_b32 s16, exec_lo
	v_cmpx_gt_u32_e32 8, v128
; %bb.1409:                             ;   in Loop: Header=BB268_810 Depth=1
	s_delay_alu instid0(VALU_DEP_3) | instskip(NEXT) | instid1(VALU_DEP_1)
	v_clz_i32_u32_e32 v0, v0
	v_min_u32_e32 v0, 32, v0
	s_delay_alu instid0(VALU_DEP_1) | instskip(NEXT) | instid1(VALU_DEP_1)
	v_subrev_nc_u32_e32 v119, 28, v0
	v_lshlrev_b64_e32 v[128:129], v119, v[11:12]
	v_sub_nc_u32_e32 v119, 29, v0
	s_delay_alu instid0(VALU_DEP_2)
	v_and_b32_e32 v0, 7, v128
; %bb.1410:                             ;   in Loop: Header=BB268_810 Depth=1
	s_wait_alu 0xfffe
	s_or_b32 exec_lo, exec_lo, s16
	v_lshlrev_b32_e32 v128, 8, v11
	v_lshl_add_u32 v119, v119, 10, 0x2000
	v_lshlrev_b32_e32 v0, 7, v0
	s_delay_alu instid0(VALU_DEP_3) | instskip(NEXT) | instid1(VALU_DEP_3)
	v_and_b32_e32 v128, 0x8000, v128
	v_and_b32_e32 v119, 0xfc00, v119
	s_delay_alu instid0(VALU_DEP_1)
	v_or3_b32 v119, v128, v119, v0
.LBB268_1411:                           ;   in Loop: Header=BB268_810 Depth=1
	s_wait_alu 0xfffe
	s_or_b32 exec_lo, exec_lo, s15
.LBB268_1412:                           ;   in Loop: Header=BB268_810 Depth=1
	s_wait_alu 0xfffe
	s_or_b32 exec_lo, exec_lo, s14
.LBB268_1413:                           ;   in Loop: Header=BB268_810 Depth=1
	s_wait_alu 0xfffe
	s_or_b32 exec_lo, exec_lo, s13
	v_lshrrev_b16 v0, 8, v11
	s_mov_b32 s13, exec_lo
	s_delay_alu instid0(VALU_DEP_1)
	v_cmpx_ne_u16_e32 0, v0
	s_cbranch_execz .LBB268_1421
; %bb.1414:                             ;   in Loop: Header=BB268_810 Depth=1
	v_bfrev_b32_e32 v118, 1
	s_mov_b32 s14, exec_lo
	v_cmpx_ne_u16_e32 0x80, v0
	s_cbranch_execz .LBB268_1420
; %bb.1415:                             ;   in Loop: Header=BB268_810 Depth=1
	v_and_b32_e32 v128, 0xffff, v0
	v_mov_b32_e32 v118, 0x7c010000
	s_mov_b32 s15, exec_lo
	s_delay_alu instid0(VALU_DEP_2) | instskip(NEXT) | instid1(VALU_DEP_1)
	v_and_b32_e32 v130, 0x7f, v128
	v_cmpx_ne_u32_e32 0x7f, v130
	s_cbranch_execz .LBB268_1419
; %bb.1416:                             ;   in Loop: Header=BB268_810 Depth=1
	v_and_b32_e32 v118, 7, v128
	v_lshrrev_b32_e32 v129, 3, v130
	s_mov_b32 s16, exec_lo
	v_cmpx_gt_u32_e32 8, v130
; %bb.1417:                             ;   in Loop: Header=BB268_810 Depth=1
	s_delay_alu instid0(VALU_DEP_3) | instskip(NEXT) | instid1(VALU_DEP_1)
	v_clz_i32_u32_e32 v118, v118
	v_min_u32_e32 v118, 32, v118
	s_delay_alu instid0(VALU_DEP_1) | instskip(NEXT) | instid1(VALU_DEP_1)
	v_subrev_nc_u32_e32 v129, 28, v118
	v_lshlrev_b64_e32 v[130:131], v129, v[0:1]
	v_sub_nc_u32_e32 v129, 29, v118
	s_delay_alu instid0(VALU_DEP_2)
	v_and_b32_e32 v118, 7, v130
; %bb.1418:                             ;   in Loop: Header=BB268_810 Depth=1
	s_wait_alu 0xfffe
	s_or_b32 exec_lo, exec_lo, s16
	v_lshlrev_b32_e32 v0, 8, v128
	v_lshl_add_u32 v128, v129, 10, 0x2000
	v_lshlrev_b32_e32 v118, 23, v118
	s_delay_alu instid0(VALU_DEP_2) | instskip(NEXT) | instid1(VALU_DEP_1)
	v_and_or_b32 v0, 0x8000, v0, v128
	v_lshl_or_b32 v118, v0, 16, v118
.LBB268_1419:                           ;   in Loop: Header=BB268_810 Depth=1
	s_wait_alu 0xfffe
	s_or_b32 exec_lo, exec_lo, s15
.LBB268_1420:                           ;   in Loop: Header=BB268_810 Depth=1
	s_wait_alu 0xfffe
	s_or_b32 exec_lo, exec_lo, s14
.LBB268_1421:                           ;   in Loop: Header=BB268_810 Depth=1
	s_wait_alu 0xfffe
	s_or_b32 exec_lo, exec_lo, s13
	v_lshrrev_b32_e32 v0, 16, v11
	v_mov_b32_e32 v128, 0
	s_mov_b32 s13, exec_lo
	s_delay_alu instid0(VALU_DEP_2) | instskip(NEXT) | instid1(VALU_DEP_1)
	v_dual_mov_b32 v129, 0 :: v_dual_and_b32 v130, 0xff, v0
	v_cmpx_ne_u16_e64 0, v130
	s_cbranch_execz .LBB268_1429
; %bb.1422:                             ;   in Loop: Header=BB268_810 Depth=1
	v_mov_b32_e32 v129, 0x8000
	s_mov_b32 s14, exec_lo
	v_cmpx_ne_u16_e64 0x80, v130
	s_cbranch_execz .LBB268_1428
; %bb.1423:                             ;   in Loop: Header=BB268_810 Depth=1
	v_bfe_u32 v131, v11, 16, 7
	v_mov_b32_e32 v129, 0x7c01
	s_mov_b32 s15, exec_lo
	s_delay_alu instid0(VALU_DEP_2)
	v_cmpx_ne_u32_e32 0x7f, v131
	s_cbranch_execz .LBB268_1427
; %bb.1424:                             ;   in Loop: Header=BB268_810 Depth=1
	v_and_b32_e32 v129, 7, v0
	v_lshrrev_b32_e32 v130, 3, v131
	s_mov_b32 s16, exec_lo
	v_cmpx_gt_u32_e32 8, v131
; %bb.1425:                             ;   in Loop: Header=BB268_810 Depth=1
	s_delay_alu instid0(VALU_DEP_3) | instskip(NEXT) | instid1(VALU_DEP_1)
	v_clz_i32_u32_e32 v129, v129
	v_min_u32_e32 v131, 32, v129
	s_delay_alu instid0(VALU_DEP_1) | instskip(NEXT) | instid1(VALU_DEP_1)
	v_subrev_nc_u32_e32 v129, 28, v131
	v_lshlrev_b64_e32 v[129:130], v129, v[0:1]
	v_sub_nc_u32_e32 v130, 29, v131
	s_delay_alu instid0(VALU_DEP_2)
	v_and_b32_e32 v129, 7, v129
; %bb.1426:                             ;   in Loop: Header=BB268_810 Depth=1
	s_wait_alu 0xfffe
	s_or_b32 exec_lo, exec_lo, s16
	v_lshlrev_b32_e32 v0, 8, v0
	v_lshl_add_u32 v130, v130, 10, 0x2000
	v_lshlrev_b32_e32 v129, 7, v129
	s_delay_alu instid0(VALU_DEP_3) | instskip(NEXT) | instid1(VALU_DEP_3)
	v_and_b32_e32 v0, 0x8000, v0
	v_and_b32_e32 v130, 0xfc00, v130
	s_delay_alu instid0(VALU_DEP_1)
	v_or3_b32 v129, v0, v130, v129
.LBB268_1427:                           ;   in Loop: Header=BB268_810 Depth=1
	s_wait_alu 0xfffe
	s_or_b32 exec_lo, exec_lo, s15
.LBB268_1428:                           ;   in Loop: Header=BB268_810 Depth=1
	s_wait_alu 0xfffe
	s_or_b32 exec_lo, exec_lo, s14
.LBB268_1429:                           ;   in Loop: Header=BB268_810 Depth=1
	s_wait_alu 0xfffe
	s_or_b32 exec_lo, exec_lo, s13
	s_delay_alu instid0(SALU_CYCLE_1)
	s_mov_b32 s13, exec_lo
	v_cmpx_lt_u32_e32 0xffffff, v11
	s_cbranch_execz .LBB268_1437
; %bb.1430:                             ;   in Loop: Header=BB268_810 Depth=1
	v_lshrrev_b32_e32 v0, 24, v11
	v_bfrev_b32_e32 v128, 1
	s_mov_b32 s14, exec_lo
	s_delay_alu instid0(VALU_DEP_2)
	v_cmpx_ne_u32_e32 0x80, v0
	s_cbranch_execz .LBB268_1436
; %bb.1431:                             ;   in Loop: Header=BB268_810 Depth=1
	v_and_b32_e32 v131, 0x7f, v0
	v_mov_b32_e32 v128, 0x7c010000
	s_mov_b32 s15, exec_lo
	s_delay_alu instid0(VALU_DEP_2)
	v_cmpx_ne_u32_e32 0x7f, v131
	s_cbranch_execz .LBB268_1435
; %bb.1432:                             ;   in Loop: Header=BB268_810 Depth=1
	v_and_b32_e32 v128, 7, v0
	v_lshrrev_b32_e32 v130, 3, v131
	s_mov_b32 s16, exec_lo
	v_cmpx_gt_u32_e32 8, v131
; %bb.1433:                             ;   in Loop: Header=BB268_810 Depth=1
	s_delay_alu instid0(VALU_DEP_3) | instskip(NEXT) | instid1(VALU_DEP_1)
	v_clz_i32_u32_e32 v128, v128
	v_min_u32_e32 v128, 32, v128
	s_delay_alu instid0(VALU_DEP_1) | instskip(NEXT) | instid1(VALU_DEP_1)
	v_subrev_nc_u32_e32 v130, 28, v128
	v_lshlrev_b64_e32 v[131:132], v130, v[0:1]
	v_sub_nc_u32_e32 v130, 29, v128
	s_delay_alu instid0(VALU_DEP_2)
	v_and_b32_e32 v128, 7, v131
; %bb.1434:                             ;   in Loop: Header=BB268_810 Depth=1
	s_wait_alu 0xfffe
	s_or_b32 exec_lo, exec_lo, s16
	v_lshlrev_b32_e32 v0, 8, v0
	v_lshl_add_u32 v130, v130, 10, 0x2000
	v_lshlrev_b32_e32 v128, 23, v128
	s_delay_alu instid0(VALU_DEP_2) | instskip(NEXT) | instid1(VALU_DEP_1)
	v_and_or_b32 v0, 0x8000, v0, v130
	v_lshl_or_b32 v128, v0, 16, v128
.LBB268_1435:                           ;   in Loop: Header=BB268_810 Depth=1
	s_wait_alu 0xfffe
	s_or_b32 exec_lo, exec_lo, s15
.LBB268_1436:                           ;   in Loop: Header=BB268_810 Depth=1
	s_wait_alu 0xfffe
	s_or_b32 exec_lo, exec_lo, s14
.LBB268_1437:                           ;   in Loop: Header=BB268_810 Depth=1
	s_wait_alu 0xfffe
	s_or_b32 exec_lo, exec_lo, s13
	v_dual_mov_b32 v131, 0 :: v_dual_and_b32 v132, 0xff, v12
	v_mov_b32_e32 v0, v12
	v_mov_b32_e32 v130, 0
	s_mov_b32 s13, exec_lo
	s_delay_alu instid0(VALU_DEP_3)
	v_cmpx_ne_u16_e64 0, v132
	s_cbranch_execz .LBB268_1445
; %bb.1438:                             ;   in Loop: Header=BB268_810 Depth=1
	v_mov_b32_e32 v131, 0x8000
	s_mov_b32 s14, exec_lo
	v_cmpx_ne_u16_e64 0x80, v132
	s_cbranch_execz .LBB268_1444
; %bb.1439:                             ;   in Loop: Header=BB268_810 Depth=1
	v_and_b32_e32 v133, 0x7f, v12
	v_mov_b32_e32 v131, 0x7c01
	s_mov_b32 s15, exec_lo
	s_delay_alu instid0(VALU_DEP_2)
	v_cmpx_ne_u32_e32 0x7f, v133
	s_cbranch_execz .LBB268_1443
; %bb.1440:                             ;   in Loop: Header=BB268_810 Depth=1
	v_and_b32_e32 v131, 7, v12
	v_lshrrev_b32_e32 v132, 3, v133
	s_mov_b32 s16, exec_lo
	v_cmpx_gt_u32_e32 8, v133
; %bb.1441:                             ;   in Loop: Header=BB268_810 Depth=1
	s_delay_alu instid0(VALU_DEP_3) | instskip(NEXT) | instid1(VALU_DEP_1)
	v_clz_i32_u32_e32 v131, v131
	v_min_u32_e32 v133, 32, v131
	s_delay_alu instid0(VALU_DEP_1) | instskip(NEXT) | instid1(VALU_DEP_1)
	v_subrev_nc_u32_e32 v131, 28, v133
	v_lshlrev_b64_e32 v[131:132], v131, v[0:1]
	v_sub_nc_u32_e32 v132, 29, v133
	s_delay_alu instid0(VALU_DEP_2)
	v_and_b32_e32 v131, 7, v131
; %bb.1442:                             ;   in Loop: Header=BB268_810 Depth=1
	s_wait_alu 0xfffe
	s_or_b32 exec_lo, exec_lo, s16
	v_lshlrev_b32_e32 v133, 8, v12
	v_lshl_add_u32 v132, v132, 10, 0x2000
	v_lshlrev_b32_e32 v131, 7, v131
	s_delay_alu instid0(VALU_DEP_3) | instskip(NEXT) | instid1(VALU_DEP_3)
	v_and_b32_e32 v133, 0x8000, v133
	v_and_b32_e32 v132, 0xfc00, v132
	s_delay_alu instid0(VALU_DEP_1)
	v_or3_b32 v131, v133, v132, v131
.LBB268_1443:                           ;   in Loop: Header=BB268_810 Depth=1
	s_wait_alu 0xfffe
	s_or_b32 exec_lo, exec_lo, s15
.LBB268_1444:                           ;   in Loop: Header=BB268_810 Depth=1
	s_wait_alu 0xfffe
	s_or_b32 exec_lo, exec_lo, s14
.LBB268_1445:                           ;   in Loop: Header=BB268_810 Depth=1
	s_wait_alu 0xfffe
	s_or_b32 exec_lo, exec_lo, s13
	v_lshrrev_b16 v0, 8, v0
	v_mov_b32_e32 v132, 0
	s_mov_b32 s13, exec_lo
	s_delay_alu instid0(VALU_DEP_2)
	v_cmpx_ne_u16_e32 0, v0
	s_cbranch_execz .LBB268_1453
; %bb.1446:                             ;   in Loop: Header=BB268_810 Depth=1
	v_bfrev_b32_e32 v132, 1
	s_mov_b32 s14, exec_lo
	v_cmpx_ne_u16_e32 0x80, v0
	s_cbranch_execz .LBB268_1452
; %bb.1447:                             ;   in Loop: Header=BB268_810 Depth=1
	v_and_b32_e32 v133, 0xffff, v0
	v_mov_b32_e32 v132, 0x7c010000
	s_mov_b32 s15, exec_lo
	s_delay_alu instid0(VALU_DEP_2) | instskip(NEXT) | instid1(VALU_DEP_1)
	v_and_b32_e32 v135, 0x7f, v133
	v_cmpx_ne_u32_e32 0x7f, v135
	s_cbranch_execz .LBB268_1451
; %bb.1448:                             ;   in Loop: Header=BB268_810 Depth=1
	v_and_b32_e32 v132, 7, v133
	v_lshrrev_b32_e32 v134, 3, v135
	s_mov_b32 s16, exec_lo
	v_cmpx_gt_u32_e32 8, v135
; %bb.1449:                             ;   in Loop: Header=BB268_810 Depth=1
	s_delay_alu instid0(VALU_DEP_3) | instskip(NEXT) | instid1(VALU_DEP_1)
	v_clz_i32_u32_e32 v132, v132
	v_min_u32_e32 v132, 32, v132
	s_delay_alu instid0(VALU_DEP_1) | instskip(NEXT) | instid1(VALU_DEP_1)
	v_subrev_nc_u32_e32 v134, 28, v132
	v_lshlrev_b64_e32 v[144:145], v134, v[0:1]
	v_sub_nc_u32_e32 v134, 29, v132
	s_delay_alu instid0(VALU_DEP_2)
	v_and_b32_e32 v132, 7, v144
; %bb.1450:                             ;   in Loop: Header=BB268_810 Depth=1
	s_wait_alu 0xfffe
	s_or_b32 exec_lo, exec_lo, s16
	v_lshlrev_b32_e32 v0, 8, v133
	v_lshl_add_u32 v133, v134, 10, 0x2000
	v_lshlrev_b32_e32 v132, 23, v132
	s_delay_alu instid0(VALU_DEP_2) | instskip(NEXT) | instid1(VALU_DEP_1)
	v_and_or_b32 v0, 0x8000, v0, v133
	v_lshl_or_b32 v132, v0, 16, v132
.LBB268_1451:                           ;   in Loop: Header=BB268_810 Depth=1
	s_wait_alu 0xfffe
	s_or_b32 exec_lo, exec_lo, s15
.LBB268_1452:                           ;   in Loop: Header=BB268_810 Depth=1
	s_wait_alu 0xfffe
	s_or_b32 exec_lo, exec_lo, s14
.LBB268_1453:                           ;   in Loop: Header=BB268_810 Depth=1
	s_wait_alu 0xfffe
	s_or_b32 exec_lo, exec_lo, s13
	v_lshrrev_b32_e32 v0, 16, v12
	s_mov_b32 s13, exec_lo
	s_delay_alu instid0(VALU_DEP_1) | instskip(NEXT) | instid1(VALU_DEP_1)
	v_and_b32_e32 v133, 0xff, v0
	v_cmpx_ne_u16_e64 0, v133
	s_cbranch_execz .LBB268_1461
; %bb.1454:                             ;   in Loop: Header=BB268_810 Depth=1
	v_mov_b32_e32 v130, 0x8000
	s_mov_b32 s14, exec_lo
	v_cmpx_ne_u16_e64 0x80, v133
	s_cbranch_execz .LBB268_1460
; %bb.1455:                             ;   in Loop: Header=BB268_810 Depth=1
	v_bfe_u32 v134, v12, 16, 7
	v_mov_b32_e32 v130, 0x7c01
	s_mov_b32 s15, exec_lo
	s_delay_alu instid0(VALU_DEP_2)
	v_cmpx_ne_u32_e32 0x7f, v134
	s_cbranch_execz .LBB268_1459
; %bb.1456:                             ;   in Loop: Header=BB268_810 Depth=1
	v_and_b32_e32 v130, 7, v0
	v_lshrrev_b32_e32 v133, 3, v134
	s_mov_b32 s16, exec_lo
	v_cmpx_gt_u32_e32 8, v134
; %bb.1457:                             ;   in Loop: Header=BB268_810 Depth=1
	s_delay_alu instid0(VALU_DEP_3) | instskip(NEXT) | instid1(VALU_DEP_1)
	v_clz_i32_u32_e32 v130, v130
	v_min_u32_e32 v130, 32, v130
	s_delay_alu instid0(VALU_DEP_1) | instskip(NEXT) | instid1(VALU_DEP_1)
	v_subrev_nc_u32_e32 v133, 28, v130
	v_lshlrev_b64_e32 v[134:135], v133, v[0:1]
	v_sub_nc_u32_e32 v133, 29, v130
	s_delay_alu instid0(VALU_DEP_2)
	v_and_b32_e32 v130, 7, v134
; %bb.1458:                             ;   in Loop: Header=BB268_810 Depth=1
	s_wait_alu 0xfffe
	s_or_b32 exec_lo, exec_lo, s16
	v_lshlrev_b32_e32 v0, 8, v0
	v_lshl_add_u32 v133, v133, 10, 0x2000
	v_lshlrev_b32_e32 v130, 7, v130
	s_delay_alu instid0(VALU_DEP_3) | instskip(NEXT) | instid1(VALU_DEP_3)
	v_and_b32_e32 v0, 0x8000, v0
	v_and_b32_e32 v133, 0xfc00, v133
	s_delay_alu instid0(VALU_DEP_1)
	v_or3_b32 v130, v0, v133, v130
.LBB268_1459:                           ;   in Loop: Header=BB268_810 Depth=1
	s_wait_alu 0xfffe
	s_or_b32 exec_lo, exec_lo, s15
.LBB268_1460:                           ;   in Loop: Header=BB268_810 Depth=1
	s_wait_alu 0xfffe
	s_or_b32 exec_lo, exec_lo, s14
.LBB268_1461:                           ;   in Loop: Header=BB268_810 Depth=1
	s_wait_alu 0xfffe
	s_or_b32 exec_lo, exec_lo, s13
	v_cmp_lt_u64_e64 s0, s[8:9], v[11:12]
	v_mov_b32_e32 v11, 0
	s_and_saveexec_b32 s13, s0
	s_cbranch_execz .LBB268_1469
; %bb.1462:                             ;   in Loop: Header=BB268_810 Depth=1
	v_lshrrev_b32_e32 v0, 24, v12
	v_bfrev_b32_e32 v11, 1
	s_mov_b32 s14, exec_lo
	s_delay_alu instid0(VALU_DEP_2)
	v_cmpx_ne_u32_e32 0x80, v0
	s_cbranch_execz .LBB268_1468
; %bb.1463:                             ;   in Loop: Header=BB268_810 Depth=1
	v_and_b32_e32 v133, 0x7f, v0
	v_mov_b32_e32 v11, 0x7c010000
	s_mov_b32 s15, exec_lo
	s_delay_alu instid0(VALU_DEP_2)
	v_cmpx_ne_u32_e32 0x7f, v133
	s_cbranch_execz .LBB268_1467
; %bb.1464:                             ;   in Loop: Header=BB268_810 Depth=1
	v_and_b32_e32 v11, 7, v0
	v_lshrrev_b32_e32 v12, 3, v133
	s_mov_b32 s16, exec_lo
	v_cmpx_gt_u32_e32 8, v133
; %bb.1465:                             ;   in Loop: Header=BB268_810 Depth=1
	s_delay_alu instid0(VALU_DEP_3) | instskip(NEXT) | instid1(VALU_DEP_1)
	v_clz_i32_u32_e32 v11, v11
	v_min_u32_e32 v133, 32, v11
	s_delay_alu instid0(VALU_DEP_1) | instskip(NEXT) | instid1(VALU_DEP_1)
	v_subrev_nc_u32_e32 v11, 28, v133
	v_lshlrev_b64_e32 v[11:12], v11, v[0:1]
	v_sub_nc_u32_e32 v12, 29, v133
	s_delay_alu instid0(VALU_DEP_2)
	v_and_b32_e32 v11, 7, v11
; %bb.1466:                             ;   in Loop: Header=BB268_810 Depth=1
	s_wait_alu 0xfffe
	s_or_b32 exec_lo, exec_lo, s16
	v_lshlrev_b32_e32 v0, 8, v0
	v_lshl_add_u32 v12, v12, 10, 0x2000
	v_lshlrev_b32_e32 v11, 23, v11
	s_delay_alu instid0(VALU_DEP_2) | instskip(NEXT) | instid1(VALU_DEP_1)
	v_and_or_b32 v0, 0x8000, v0, v12
	v_lshl_or_b32 v11, v0, 16, v11
.LBB268_1467:                           ;   in Loop: Header=BB268_810 Depth=1
	s_wait_alu 0xfffe
	s_or_b32 exec_lo, exec_lo, s15
.LBB268_1468:                           ;   in Loop: Header=BB268_810 Depth=1
	s_wait_alu 0xfffe
	s_or_b32 exec_lo, exec_lo, s14
.LBB268_1469:                           ;   in Loop: Header=BB268_810 Depth=1
	s_wait_alu 0xfffe
	s_or_b32 exec_lo, exec_lo, s13
	v_or_b32_e32 v0, v128, v129
	s_wait_loadcnt_dscnt 0x0
	v_fma_mixlo_f16 v12, v117, v128, 0 op_sel:[0,1,0] op_sel_hi:[0,1,0]
	v_or_b32_e32 v128, v118, v119
	v_fma_mixlo_f16 v118, v117, v118, 0 op_sel:[0,1,0] op_sel_hi:[0,1,0]
	v_or_b32_e32 v129, v132, v131
	v_or_b32_e32 v130, v11, v130
	v_fma_mixlo_f16 v131, v117, v0, 0 op_sel_hi:[0,1,0]
	v_fma_mixlo_f16 v11, v117, v11, 0 op_sel:[0,1,0] op_sel_hi:[0,1,0]
	v_lshlrev_b32_e32 v119, 16, v118
	v_fma_mixlo_f16 v118, v117, v128, 0 op_sel_hi:[0,1,0]
	v_fma_mixlo_f16 v128, v117, v132, 0 op_sel:[0,1,0] op_sel_hi:[0,1,0]
	v_fma_mixlo_f16 v129, v117, v129, 0 op_sel_hi:[0,1,0]
	v_fma_mixlo_f16 v130, v117, v130, 0 op_sel_hi:[0,1,0]
	v_lshlrev_b32_e32 v0, 16, v12
	v_and_b32_e32 v12, 0xffff, v131
	v_and_b32_e32 v133, 0xffff, v118
	v_lshlrev_b32_e32 v117, 16, v128
	v_and_b32_e32 v129, 0xffff, v129
	v_lshlrev_b32_e32 v11, 16, v11
	v_and_b32_e32 v118, 0xffff, v130
	v_or_b32_e32 v128, v0, v12
	v_or_b32_e32 v132, v119, v133
	;; [unrolled: 1-line block ×3, first 2 shown]
	s_delay_alu instid0(VALU_DEP_4)
	v_or_b32_e32 v130, v11, v118
	s_and_saveexec_b32 s13, vcc_lo
	s_cbranch_execz .LBB268_1471
; %bb.1470:                             ;   in Loop: Header=BB268_810 Depth=1
	v_cmp_lt_i32_e64 s0, v16, v34
	s_wait_alu 0xf1ff
	s_delay_alu instid0(VALU_DEP_1) | instskip(SKIP_2) | instid1(VALU_DEP_1)
	v_cndmask_b32_e64 v128, 0, v133, s0
	v_cmp_lt_i32_e64 s0, v84, v34
	s_wait_alu 0xf1ff
	v_cndmask_b32_e64 v119, 0, v119, s0
	v_cmp_lt_i32_e64 s0, v83, v34
	s_delay_alu instid0(VALU_DEP_2) | instskip(SKIP_1) | instid1(VALU_DEP_2)
	v_or_b32_e32 v132, v128, v119
	s_wait_alu 0xf1ff
	v_cndmask_b32_e64 v12, 0, v12, s0
	v_cmp_lt_i32_e64 s0, v82, v34
	s_wait_alu 0xf1ff
	s_delay_alu instid0(VALU_DEP_1) | instskip(SKIP_1) | instid1(VALU_DEP_2)
	v_cndmask_b32_e64 v0, 0, v0, s0
	v_cmp_lt_i32_e64 s0, v80, v34
	v_or_b32_e32 v128, v12, v0
	s_wait_alu 0xf1ff
	s_delay_alu instid0(VALU_DEP_2) | instskip(SKIP_2) | instid1(VALU_DEP_1)
	v_cndmask_b32_e64 v129, 0, v129, s0
	v_cmp_lt_i32_e64 s0, v71, v34
	s_wait_alu 0xf1ff
	v_cndmask_b32_e64 v117, 0, v117, s0
	v_cmp_lt_i32_e64 s0, v69, v34
	s_delay_alu instid0(VALU_DEP_2) | instskip(SKIP_1) | instid1(VALU_DEP_2)
	v_or_b32_e32 v131, v129, v117
	s_wait_alu 0xf1ff
	v_cndmask_b32_e64 v118, 0, v118, s0
	v_cmp_lt_i32_e64 s0, v54, v34
	s_wait_alu 0xf1ff
	s_delay_alu instid0(VALU_DEP_1) | instskip(NEXT) | instid1(VALU_DEP_1)
	v_cndmask_b32_e64 v11, 0, v11, s0
	v_or_b32_e32 v130, v118, v11
.LBB268_1471:                           ;   in Loop: Header=BB268_810 Depth=1
	s_wait_alu 0xfffe
	s_or_b32 exec_lo, exec_lo, s13
	;;#ASMSTART
	v_pk_mul_f16 v0, v81, v132;

	;;#ASMEND
	;;#ASMSTART
	v_pk_mul_f16 v11, v70, v128;

	;;#ASMEND
	;; [unrolled: 4-line block ×4, first 2 shown]
	;;#ASMSTART
	v_pk_add_f16 v0, v0, v11;

	;;#ASMEND
	;;#ASMSTART
	v_pk_add_f16 v0, v0, v12;

	;;#ASMEND
	;; [unrolled: 4-line block ×3, first 2 shown]
	v_dual_mov_b32 v128, 0 :: v_dual_and_b32 v11, 0xffff, v0
	v_lshrrev_b32_e32 v0, 16, v0
	;;#ASMSTART
	v_cvt_f32_f16 v117, v11;
	;;#ASMEND
	;;#ASMSTART
	v_cvt_f32_f16 v118, v0;
	;;#ASMEND
	flat_load_b64 v[11:12], v[9:10] offset:2560
	flat_load_b32 v119, v[26:27]
	s_mov_b32 s13, exec_lo
	s_wait_loadcnt_dscnt 0x101
	v_dual_mov_b32 v129, 0 :: v_dual_and_b32 v0, 0xff, v11
	s_delay_alu instid0(VALU_DEP_1)
	v_cmpx_ne_u16_e32 0, v0
	s_cbranch_execz .LBB268_1479
; %bb.1472:                             ;   in Loop: Header=BB268_810 Depth=1
	v_mov_b32_e32 v129, 0x8000
	s_mov_b32 s14, exec_lo
	v_cmpx_ne_u16_e32 0x80, v0
	s_cbranch_execz .LBB268_1478
; %bb.1473:                             ;   in Loop: Header=BB268_810 Depth=1
	v_and_b32_e32 v130, 0x7f, v11
	v_mov_b32_e32 v129, 0x7c01
	s_mov_b32 s15, exec_lo
	s_delay_alu instid0(VALU_DEP_2)
	v_cmpx_ne_u32_e32 0x7f, v130
	s_cbranch_execz .LBB268_1477
; %bb.1474:                             ;   in Loop: Header=BB268_810 Depth=1
	v_and_b32_e32 v0, 7, v11
	v_lshrrev_b32_e32 v129, 3, v130
	s_mov_b32 s16, exec_lo
	v_cmpx_gt_u32_e32 8, v130
; %bb.1475:                             ;   in Loop: Header=BB268_810 Depth=1
	s_delay_alu instid0(VALU_DEP_3) | instskip(NEXT) | instid1(VALU_DEP_1)
	v_clz_i32_u32_e32 v0, v0
	v_min_u32_e32 v0, 32, v0
	s_delay_alu instid0(VALU_DEP_1) | instskip(NEXT) | instid1(VALU_DEP_1)
	v_subrev_nc_u32_e32 v129, 28, v0
	v_lshlrev_b64_e32 v[130:131], v129, v[11:12]
	v_sub_nc_u32_e32 v129, 29, v0
	s_delay_alu instid0(VALU_DEP_2)
	v_and_b32_e32 v0, 7, v130
; %bb.1476:                             ;   in Loop: Header=BB268_810 Depth=1
	s_wait_alu 0xfffe
	s_or_b32 exec_lo, exec_lo, s16
	v_lshlrev_b32_e32 v130, 8, v11
	v_lshl_add_u32 v129, v129, 10, 0x2000
	v_lshlrev_b32_e32 v0, 7, v0
	s_delay_alu instid0(VALU_DEP_3) | instskip(NEXT) | instid1(VALU_DEP_3)
	v_and_b32_e32 v130, 0x8000, v130
	v_and_b32_e32 v129, 0xfc00, v129
	s_delay_alu instid0(VALU_DEP_1)
	v_or3_b32 v129, v130, v129, v0
.LBB268_1477:                           ;   in Loop: Header=BB268_810 Depth=1
	s_wait_alu 0xfffe
	s_or_b32 exec_lo, exec_lo, s15
.LBB268_1478:                           ;   in Loop: Header=BB268_810 Depth=1
	s_wait_alu 0xfffe
	s_or_b32 exec_lo, exec_lo, s14
.LBB268_1479:                           ;   in Loop: Header=BB268_810 Depth=1
	s_wait_alu 0xfffe
	s_or_b32 exec_lo, exec_lo, s13
	v_lshrrev_b16 v0, 8, v11
	s_mov_b32 s13, exec_lo
	s_delay_alu instid0(VALU_DEP_1)
	v_cmpx_ne_u16_e32 0, v0
	s_cbranch_execz .LBB268_1487
; %bb.1480:                             ;   in Loop: Header=BB268_810 Depth=1
	v_bfrev_b32_e32 v128, 1
	s_mov_b32 s14, exec_lo
	v_cmpx_ne_u16_e32 0x80, v0
	s_cbranch_execz .LBB268_1486
; %bb.1481:                             ;   in Loop: Header=BB268_810 Depth=1
	v_and_b32_e32 v130, 0xffff, v0
	v_mov_b32_e32 v128, 0x7c010000
	s_mov_b32 s15, exec_lo
	s_delay_alu instid0(VALU_DEP_2) | instskip(NEXT) | instid1(VALU_DEP_1)
	v_and_b32_e32 v132, 0x7f, v130
	v_cmpx_ne_u32_e32 0x7f, v132
	s_cbranch_execz .LBB268_1485
; %bb.1482:                             ;   in Loop: Header=BB268_810 Depth=1
	v_and_b32_e32 v128, 7, v130
	v_lshrrev_b32_e32 v131, 3, v132
	s_mov_b32 s16, exec_lo
	v_cmpx_gt_u32_e32 8, v132
; %bb.1483:                             ;   in Loop: Header=BB268_810 Depth=1
	s_delay_alu instid0(VALU_DEP_3) | instskip(NEXT) | instid1(VALU_DEP_1)
	v_clz_i32_u32_e32 v128, v128
	v_min_u32_e32 v128, 32, v128
	s_delay_alu instid0(VALU_DEP_1) | instskip(NEXT) | instid1(VALU_DEP_1)
	v_subrev_nc_u32_e32 v131, 28, v128
	v_lshlrev_b64_e32 v[132:133], v131, v[0:1]
	v_sub_nc_u32_e32 v131, 29, v128
	s_delay_alu instid0(VALU_DEP_2)
	v_and_b32_e32 v128, 7, v132
; %bb.1484:                             ;   in Loop: Header=BB268_810 Depth=1
	s_wait_alu 0xfffe
	s_or_b32 exec_lo, exec_lo, s16
	v_lshlrev_b32_e32 v0, 8, v130
	v_lshl_add_u32 v130, v131, 10, 0x2000
	v_lshlrev_b32_e32 v128, 23, v128
	s_delay_alu instid0(VALU_DEP_2) | instskip(NEXT) | instid1(VALU_DEP_1)
	v_and_or_b32 v0, 0x8000, v0, v130
	v_lshl_or_b32 v128, v0, 16, v128
.LBB268_1485:                           ;   in Loop: Header=BB268_810 Depth=1
	s_wait_alu 0xfffe
	s_or_b32 exec_lo, exec_lo, s15
.LBB268_1486:                           ;   in Loop: Header=BB268_810 Depth=1
	s_wait_alu 0xfffe
	s_or_b32 exec_lo, exec_lo, s14
.LBB268_1487:                           ;   in Loop: Header=BB268_810 Depth=1
	s_wait_alu 0xfffe
	s_or_b32 exec_lo, exec_lo, s13
	v_lshrrev_b32_e32 v0, 16, v11
	v_mov_b32_e32 v130, 0
	s_mov_b32 s13, exec_lo
	s_delay_alu instid0(VALU_DEP_2) | instskip(NEXT) | instid1(VALU_DEP_1)
	v_dual_mov_b32 v131, 0 :: v_dual_and_b32 v132, 0xff, v0
	v_cmpx_ne_u16_e64 0, v132
	s_cbranch_execz .LBB268_1495
; %bb.1488:                             ;   in Loop: Header=BB268_810 Depth=1
	v_mov_b32_e32 v131, 0x8000
	s_mov_b32 s14, exec_lo
	v_cmpx_ne_u16_e64 0x80, v132
	s_cbranch_execz .LBB268_1494
; %bb.1489:                             ;   in Loop: Header=BB268_810 Depth=1
	v_bfe_u32 v133, v11, 16, 7
	v_mov_b32_e32 v131, 0x7c01
	s_mov_b32 s15, exec_lo
	s_delay_alu instid0(VALU_DEP_2)
	v_cmpx_ne_u32_e32 0x7f, v133
	s_cbranch_execz .LBB268_1493
; %bb.1490:                             ;   in Loop: Header=BB268_810 Depth=1
	v_and_b32_e32 v131, 7, v0
	v_lshrrev_b32_e32 v132, 3, v133
	s_mov_b32 s16, exec_lo
	v_cmpx_gt_u32_e32 8, v133
; %bb.1491:                             ;   in Loop: Header=BB268_810 Depth=1
	s_delay_alu instid0(VALU_DEP_3) | instskip(NEXT) | instid1(VALU_DEP_1)
	v_clz_i32_u32_e32 v131, v131
	v_min_u32_e32 v133, 32, v131
	s_delay_alu instid0(VALU_DEP_1) | instskip(NEXT) | instid1(VALU_DEP_1)
	v_subrev_nc_u32_e32 v131, 28, v133
	v_lshlrev_b64_e32 v[131:132], v131, v[0:1]
	v_sub_nc_u32_e32 v132, 29, v133
	s_delay_alu instid0(VALU_DEP_2)
	v_and_b32_e32 v131, 7, v131
; %bb.1492:                             ;   in Loop: Header=BB268_810 Depth=1
	s_wait_alu 0xfffe
	s_or_b32 exec_lo, exec_lo, s16
	v_lshlrev_b32_e32 v0, 8, v0
	v_lshl_add_u32 v132, v132, 10, 0x2000
	v_lshlrev_b32_e32 v131, 7, v131
	s_delay_alu instid0(VALU_DEP_3) | instskip(NEXT) | instid1(VALU_DEP_3)
	v_and_b32_e32 v0, 0x8000, v0
	v_and_b32_e32 v132, 0xfc00, v132
	s_delay_alu instid0(VALU_DEP_1)
	v_or3_b32 v131, v0, v132, v131
.LBB268_1493:                           ;   in Loop: Header=BB268_810 Depth=1
	s_wait_alu 0xfffe
	s_or_b32 exec_lo, exec_lo, s15
.LBB268_1494:                           ;   in Loop: Header=BB268_810 Depth=1
	s_wait_alu 0xfffe
	s_or_b32 exec_lo, exec_lo, s14
.LBB268_1495:                           ;   in Loop: Header=BB268_810 Depth=1
	s_wait_alu 0xfffe
	s_or_b32 exec_lo, exec_lo, s13
	s_delay_alu instid0(SALU_CYCLE_1)
	s_mov_b32 s13, exec_lo
	v_cmpx_lt_u32_e32 0xffffff, v11
	s_cbranch_execz .LBB268_1503
; %bb.1496:                             ;   in Loop: Header=BB268_810 Depth=1
	v_lshrrev_b32_e32 v0, 24, v11
	v_bfrev_b32_e32 v130, 1
	s_mov_b32 s14, exec_lo
	s_delay_alu instid0(VALU_DEP_2)
	v_cmpx_ne_u32_e32 0x80, v0
	s_cbranch_execz .LBB268_1502
; %bb.1497:                             ;   in Loop: Header=BB268_810 Depth=1
	v_and_b32_e32 v133, 0x7f, v0
	v_mov_b32_e32 v130, 0x7c010000
	s_mov_b32 s15, exec_lo
	s_delay_alu instid0(VALU_DEP_2)
	v_cmpx_ne_u32_e32 0x7f, v133
	s_cbranch_execz .LBB268_1501
; %bb.1498:                             ;   in Loop: Header=BB268_810 Depth=1
	v_and_b32_e32 v130, 7, v0
	v_lshrrev_b32_e32 v132, 3, v133
	s_mov_b32 s16, exec_lo
	v_cmpx_gt_u32_e32 8, v133
; %bb.1499:                             ;   in Loop: Header=BB268_810 Depth=1
	s_delay_alu instid0(VALU_DEP_3) | instskip(NEXT) | instid1(VALU_DEP_1)
	v_clz_i32_u32_e32 v130, v130
	v_min_u32_e32 v130, 32, v130
	s_delay_alu instid0(VALU_DEP_1) | instskip(NEXT) | instid1(VALU_DEP_1)
	v_subrev_nc_u32_e32 v132, 28, v130
	v_lshlrev_b64_e32 v[133:134], v132, v[0:1]
	v_sub_nc_u32_e32 v132, 29, v130
	s_delay_alu instid0(VALU_DEP_2)
	v_and_b32_e32 v130, 7, v133
; %bb.1500:                             ;   in Loop: Header=BB268_810 Depth=1
	s_wait_alu 0xfffe
	s_or_b32 exec_lo, exec_lo, s16
	v_lshlrev_b32_e32 v0, 8, v0
	v_lshl_add_u32 v132, v132, 10, 0x2000
	v_lshlrev_b32_e32 v130, 23, v130
	s_delay_alu instid0(VALU_DEP_2) | instskip(NEXT) | instid1(VALU_DEP_1)
	v_and_or_b32 v0, 0x8000, v0, v132
	v_lshl_or_b32 v130, v0, 16, v130
.LBB268_1501:                           ;   in Loop: Header=BB268_810 Depth=1
	s_wait_alu 0xfffe
	s_or_b32 exec_lo, exec_lo, s15
.LBB268_1502:                           ;   in Loop: Header=BB268_810 Depth=1
	s_wait_alu 0xfffe
	s_or_b32 exec_lo, exec_lo, s14
.LBB268_1503:                           ;   in Loop: Header=BB268_810 Depth=1
	s_wait_alu 0xfffe
	s_or_b32 exec_lo, exec_lo, s13
	v_dual_mov_b32 v133, 0 :: v_dual_and_b32 v134, 0xff, v12
	v_mov_b32_e32 v0, v12
	v_mov_b32_e32 v132, 0
	s_mov_b32 s13, exec_lo
	s_delay_alu instid0(VALU_DEP_3)
	v_cmpx_ne_u16_e64 0, v134
	s_cbranch_execz .LBB268_1511
; %bb.1504:                             ;   in Loop: Header=BB268_810 Depth=1
	v_mov_b32_e32 v133, 0x8000
	s_mov_b32 s14, exec_lo
	v_cmpx_ne_u16_e64 0x80, v134
	s_cbranch_execz .LBB268_1510
; %bb.1505:                             ;   in Loop: Header=BB268_810 Depth=1
	v_and_b32_e32 v135, 0x7f, v12
	v_mov_b32_e32 v133, 0x7c01
	s_mov_b32 s15, exec_lo
	s_delay_alu instid0(VALU_DEP_2)
	v_cmpx_ne_u32_e32 0x7f, v135
	s_cbranch_execz .LBB268_1509
; %bb.1506:                             ;   in Loop: Header=BB268_810 Depth=1
	v_and_b32_e32 v133, 7, v12
	v_lshrrev_b32_e32 v134, 3, v135
	s_mov_b32 s16, exec_lo
	v_cmpx_gt_u32_e32 8, v135
; %bb.1507:                             ;   in Loop: Header=BB268_810 Depth=1
	s_delay_alu instid0(VALU_DEP_3) | instskip(NEXT) | instid1(VALU_DEP_1)
	v_clz_i32_u32_e32 v133, v133
	v_min_u32_e32 v135, 32, v133
	s_delay_alu instid0(VALU_DEP_1) | instskip(NEXT) | instid1(VALU_DEP_1)
	v_subrev_nc_u32_e32 v133, 28, v135
	v_lshlrev_b64_e32 v[133:134], v133, v[0:1]
	v_sub_nc_u32_e32 v134, 29, v135
	s_delay_alu instid0(VALU_DEP_2)
	v_and_b32_e32 v133, 7, v133
; %bb.1508:                             ;   in Loop: Header=BB268_810 Depth=1
	s_wait_alu 0xfffe
	s_or_b32 exec_lo, exec_lo, s16
	v_lshlrev_b32_e32 v135, 8, v12
	v_lshl_add_u32 v134, v134, 10, 0x2000
	v_lshlrev_b32_e32 v133, 7, v133
	s_delay_alu instid0(VALU_DEP_3) | instskip(NEXT) | instid1(VALU_DEP_3)
	v_and_b32_e32 v135, 0x8000, v135
	v_and_b32_e32 v134, 0xfc00, v134
	s_delay_alu instid0(VALU_DEP_1)
	v_or3_b32 v133, v135, v134, v133
.LBB268_1509:                           ;   in Loop: Header=BB268_810 Depth=1
	s_wait_alu 0xfffe
	s_or_b32 exec_lo, exec_lo, s15
.LBB268_1510:                           ;   in Loop: Header=BB268_810 Depth=1
	s_wait_alu 0xfffe
	s_or_b32 exec_lo, exec_lo, s14
.LBB268_1511:                           ;   in Loop: Header=BB268_810 Depth=1
	s_wait_alu 0xfffe
	s_or_b32 exec_lo, exec_lo, s13
	v_lshrrev_b16 v0, 8, v0
	v_mov_b32_e32 v134, 0
	s_mov_b32 s13, exec_lo
	s_delay_alu instid0(VALU_DEP_2)
	v_cmpx_ne_u16_e32 0, v0
	s_cbranch_execz .LBB268_1519
; %bb.1512:                             ;   in Loop: Header=BB268_810 Depth=1
	v_bfrev_b32_e32 v134, 1
	s_mov_b32 s14, exec_lo
	v_cmpx_ne_u16_e32 0x80, v0
	s_cbranch_execz .LBB268_1518
; %bb.1513:                             ;   in Loop: Header=BB268_810 Depth=1
	v_and_b32_e32 v135, 0xffff, v0
	v_mov_b32_e32 v134, 0x7c010000
	s_mov_b32 s15, exec_lo
	s_delay_alu instid0(VALU_DEP_2) | instskip(NEXT) | instid1(VALU_DEP_1)
	v_and_b32_e32 v145, 0x7f, v135
	v_cmpx_ne_u32_e32 0x7f, v145
	s_cbranch_execz .LBB268_1517
; %bb.1514:                             ;   in Loop: Header=BB268_810 Depth=1
	v_and_b32_e32 v134, 7, v135
	v_lshrrev_b32_e32 v144, 3, v145
	s_mov_b32 s16, exec_lo
	v_cmpx_gt_u32_e32 8, v145
; %bb.1515:                             ;   in Loop: Header=BB268_810 Depth=1
	s_delay_alu instid0(VALU_DEP_3) | instskip(NEXT) | instid1(VALU_DEP_1)
	v_clz_i32_u32_e32 v134, v134
	v_min_u32_e32 v134, 32, v134
	s_delay_alu instid0(VALU_DEP_1) | instskip(NEXT) | instid1(VALU_DEP_1)
	v_subrev_nc_u32_e32 v144, 28, v134
	v_lshlrev_b64_e32 v[145:146], v144, v[0:1]
	v_sub_nc_u32_e32 v144, 29, v134
	s_delay_alu instid0(VALU_DEP_2)
	v_and_b32_e32 v134, 7, v145
; %bb.1516:                             ;   in Loop: Header=BB268_810 Depth=1
	s_wait_alu 0xfffe
	s_or_b32 exec_lo, exec_lo, s16
	v_lshlrev_b32_e32 v0, 8, v135
	v_lshl_add_u32 v135, v144, 10, 0x2000
	v_lshlrev_b32_e32 v134, 23, v134
	s_delay_alu instid0(VALU_DEP_2) | instskip(NEXT) | instid1(VALU_DEP_1)
	v_and_or_b32 v0, 0x8000, v0, v135
	v_lshl_or_b32 v134, v0, 16, v134
.LBB268_1517:                           ;   in Loop: Header=BB268_810 Depth=1
	s_wait_alu 0xfffe
	s_or_b32 exec_lo, exec_lo, s15
.LBB268_1518:                           ;   in Loop: Header=BB268_810 Depth=1
	s_wait_alu 0xfffe
	s_or_b32 exec_lo, exec_lo, s14
.LBB268_1519:                           ;   in Loop: Header=BB268_810 Depth=1
	s_wait_alu 0xfffe
	s_or_b32 exec_lo, exec_lo, s13
	v_lshrrev_b32_e32 v0, 16, v12
	s_mov_b32 s13, exec_lo
	s_delay_alu instid0(VALU_DEP_1) | instskip(NEXT) | instid1(VALU_DEP_1)
	v_and_b32_e32 v135, 0xff, v0
	v_cmpx_ne_u16_e64 0, v135
	s_cbranch_execz .LBB268_1527
; %bb.1520:                             ;   in Loop: Header=BB268_810 Depth=1
	v_mov_b32_e32 v132, 0x8000
	s_mov_b32 s14, exec_lo
	v_cmpx_ne_u16_e64 0x80, v135
	s_cbranch_execz .LBB268_1526
; %bb.1521:                             ;   in Loop: Header=BB268_810 Depth=1
	v_bfe_u32 v144, v12, 16, 7
	v_mov_b32_e32 v132, 0x7c01
	s_mov_b32 s15, exec_lo
	s_delay_alu instid0(VALU_DEP_2)
	v_cmpx_ne_u32_e32 0x7f, v144
	s_cbranch_execz .LBB268_1525
; %bb.1522:                             ;   in Loop: Header=BB268_810 Depth=1
	v_and_b32_e32 v132, 7, v0
	v_lshrrev_b32_e32 v135, 3, v144
	s_mov_b32 s16, exec_lo
	v_cmpx_gt_u32_e32 8, v144
; %bb.1523:                             ;   in Loop: Header=BB268_810 Depth=1
	s_delay_alu instid0(VALU_DEP_3) | instskip(NEXT) | instid1(VALU_DEP_1)
	v_clz_i32_u32_e32 v132, v132
	v_min_u32_e32 v132, 32, v132
	s_delay_alu instid0(VALU_DEP_1) | instskip(NEXT) | instid1(VALU_DEP_1)
	v_subrev_nc_u32_e32 v135, 28, v132
	v_lshlrev_b64_e32 v[144:145], v135, v[0:1]
	v_sub_nc_u32_e32 v135, 29, v132
	s_delay_alu instid0(VALU_DEP_2)
	v_and_b32_e32 v132, 7, v144
; %bb.1524:                             ;   in Loop: Header=BB268_810 Depth=1
	s_wait_alu 0xfffe
	s_or_b32 exec_lo, exec_lo, s16
	v_lshlrev_b32_e32 v0, 8, v0
	v_lshl_add_u32 v135, v135, 10, 0x2000
	v_lshlrev_b32_e32 v132, 7, v132
	s_delay_alu instid0(VALU_DEP_3) | instskip(NEXT) | instid1(VALU_DEP_3)
	v_and_b32_e32 v0, 0x8000, v0
	v_and_b32_e32 v135, 0xfc00, v135
	s_delay_alu instid0(VALU_DEP_1)
	v_or3_b32 v132, v0, v135, v132
.LBB268_1525:                           ;   in Loop: Header=BB268_810 Depth=1
	s_wait_alu 0xfffe
	s_or_b32 exec_lo, exec_lo, s15
.LBB268_1526:                           ;   in Loop: Header=BB268_810 Depth=1
	s_wait_alu 0xfffe
	s_or_b32 exec_lo, exec_lo, s14
.LBB268_1527:                           ;   in Loop: Header=BB268_810 Depth=1
	s_wait_alu 0xfffe
	s_or_b32 exec_lo, exec_lo, s13
	v_cmp_lt_u64_e64 s0, s[8:9], v[11:12]
	v_mov_b32_e32 v11, 0
	s_and_saveexec_b32 s13, s0
	s_cbranch_execz .LBB268_1535
; %bb.1528:                             ;   in Loop: Header=BB268_810 Depth=1
	v_lshrrev_b32_e32 v0, 24, v12
	v_bfrev_b32_e32 v11, 1
	s_mov_b32 s14, exec_lo
	s_delay_alu instid0(VALU_DEP_2)
	v_cmpx_ne_u32_e32 0x80, v0
	s_cbranch_execz .LBB268_1534
; %bb.1529:                             ;   in Loop: Header=BB268_810 Depth=1
	v_and_b32_e32 v135, 0x7f, v0
	v_mov_b32_e32 v11, 0x7c010000
	s_mov_b32 s15, exec_lo
	s_delay_alu instid0(VALU_DEP_2)
	v_cmpx_ne_u32_e32 0x7f, v135
	s_cbranch_execz .LBB268_1533
; %bb.1530:                             ;   in Loop: Header=BB268_810 Depth=1
	v_and_b32_e32 v11, 7, v0
	v_lshrrev_b32_e32 v12, 3, v135
	s_mov_b32 s16, exec_lo
	v_cmpx_gt_u32_e32 8, v135
; %bb.1531:                             ;   in Loop: Header=BB268_810 Depth=1
	s_delay_alu instid0(VALU_DEP_3) | instskip(NEXT) | instid1(VALU_DEP_1)
	v_clz_i32_u32_e32 v11, v11
	v_min_u32_e32 v135, 32, v11
	s_delay_alu instid0(VALU_DEP_1) | instskip(NEXT) | instid1(VALU_DEP_1)
	v_subrev_nc_u32_e32 v11, 28, v135
	v_lshlrev_b64_e32 v[11:12], v11, v[0:1]
	v_sub_nc_u32_e32 v12, 29, v135
	s_delay_alu instid0(VALU_DEP_2)
	v_and_b32_e32 v11, 7, v11
; %bb.1532:                             ;   in Loop: Header=BB268_810 Depth=1
	s_wait_alu 0xfffe
	s_or_b32 exec_lo, exec_lo, s16
	v_lshlrev_b32_e32 v0, 8, v0
	v_lshl_add_u32 v12, v12, 10, 0x2000
	v_lshlrev_b32_e32 v11, 23, v11
	s_delay_alu instid0(VALU_DEP_2) | instskip(NEXT) | instid1(VALU_DEP_1)
	v_and_or_b32 v0, 0x8000, v0, v12
	v_lshl_or_b32 v11, v0, 16, v11
.LBB268_1533:                           ;   in Loop: Header=BB268_810 Depth=1
	s_wait_alu 0xfffe
	s_or_b32 exec_lo, exec_lo, s15
.LBB268_1534:                           ;   in Loop: Header=BB268_810 Depth=1
	s_wait_alu 0xfffe
	s_or_b32 exec_lo, exec_lo, s14
.LBB268_1535:                           ;   in Loop: Header=BB268_810 Depth=1
	s_wait_alu 0xfffe
	s_or_b32 exec_lo, exec_lo, s13
	v_or_b32_e32 v0, v130, v131
	s_wait_loadcnt_dscnt 0x0
	v_fma_mixlo_f16 v12, v119, v130, 0 op_sel:[0,1,0] op_sel_hi:[0,1,0]
	v_or_b32_e32 v130, v128, v129
	v_fma_mixlo_f16 v128, v119, v128, 0 op_sel:[0,1,0] op_sel_hi:[0,1,0]
	v_or_b32_e32 v131, v134, v133
	v_or_b32_e32 v132, v11, v132
	v_fma_mixlo_f16 v133, v119, v0, 0 op_sel_hi:[0,1,0]
	v_fma_mixlo_f16 v11, v119, v11, 0 op_sel:[0,1,0] op_sel_hi:[0,1,0]
	v_lshlrev_b32_e32 v129, 16, v128
	v_fma_mixlo_f16 v128, v119, v130, 0 op_sel_hi:[0,1,0]
	v_fma_mixlo_f16 v130, v119, v134, 0 op_sel:[0,1,0] op_sel_hi:[0,1,0]
	v_fma_mixlo_f16 v131, v119, v131, 0 op_sel_hi:[0,1,0]
	v_fma_mixlo_f16 v132, v119, v132, 0 op_sel_hi:[0,1,0]
	v_lshlrev_b32_e32 v0, 16, v12
	v_and_b32_e32 v12, 0xffff, v133
	v_and_b32_e32 v135, 0xffff, v128
	v_lshlrev_b32_e32 v119, 16, v130
	v_and_b32_e32 v131, 0xffff, v131
	v_lshlrev_b32_e32 v11, 16, v11
	v_and_b32_e32 v128, 0xffff, v132
	v_or_b32_e32 v130, v0, v12
	v_or_b32_e32 v134, v129, v135
	v_or_b32_e32 v133, v119, v131
	s_delay_alu instid0(VALU_DEP_4)
	v_or_b32_e32 v132, v11, v128
	s_and_saveexec_b32 s13, vcc_lo
	s_cbranch_execz .LBB268_1537
; %bb.1536:                             ;   in Loop: Header=BB268_810 Depth=1
	v_cmp_lt_i32_e64 s0, v16, v34
	s_wait_alu 0xf1ff
	s_delay_alu instid0(VALU_DEP_1) | instskip(SKIP_2) | instid1(VALU_DEP_1)
	v_cndmask_b32_e64 v130, 0, v135, s0
	v_cmp_lt_i32_e64 s0, v84, v34
	s_wait_alu 0xf1ff
	v_cndmask_b32_e64 v129, 0, v129, s0
	v_cmp_lt_i32_e64 s0, v83, v34
	s_delay_alu instid0(VALU_DEP_2) | instskip(SKIP_1) | instid1(VALU_DEP_2)
	v_or_b32_e32 v134, v130, v129
	s_wait_alu 0xf1ff
	v_cndmask_b32_e64 v12, 0, v12, s0
	v_cmp_lt_i32_e64 s0, v82, v34
	s_wait_alu 0xf1ff
	s_delay_alu instid0(VALU_DEP_1) | instskip(SKIP_1) | instid1(VALU_DEP_2)
	v_cndmask_b32_e64 v0, 0, v0, s0
	v_cmp_lt_i32_e64 s0, v80, v34
	v_or_b32_e32 v130, v12, v0
	s_wait_alu 0xf1ff
	s_delay_alu instid0(VALU_DEP_2) | instskip(SKIP_2) | instid1(VALU_DEP_1)
	v_cndmask_b32_e64 v131, 0, v131, s0
	v_cmp_lt_i32_e64 s0, v71, v34
	s_wait_alu 0xf1ff
	v_cndmask_b32_e64 v119, 0, v119, s0
	v_cmp_lt_i32_e64 s0, v69, v34
	s_delay_alu instid0(VALU_DEP_2) | instskip(SKIP_1) | instid1(VALU_DEP_2)
	v_or_b32_e32 v133, v131, v119
	s_wait_alu 0xf1ff
	v_cndmask_b32_e64 v128, 0, v128, s0
	v_cmp_lt_i32_e64 s0, v54, v34
	s_wait_alu 0xf1ff
	s_delay_alu instid0(VALU_DEP_1) | instskip(NEXT) | instid1(VALU_DEP_1)
	v_cndmask_b32_e64 v11, 0, v11, s0
	v_or_b32_e32 v132, v128, v11
.LBB268_1537:                           ;   in Loop: Header=BB268_810 Depth=1
	s_wait_alu 0xfffe
	s_or_b32 exec_lo, exec_lo, s13
	;;#ASMSTART
	v_pk_mul_f16 v0, v81, v134;

	;;#ASMEND
	;;#ASMSTART
	v_pk_mul_f16 v11, v70, v130;

	;;#ASMEND
	;; [unrolled: 4-line block ×4, first 2 shown]
	;;#ASMSTART
	v_pk_add_f16 v0, v0, v11;

	;;#ASMEND
	;;#ASMSTART
	v_pk_add_f16 v0, v0, v12;

	;;#ASMEND
	;; [unrolled: 4-line block ×3, first 2 shown]
	v_dual_mov_b32 v128, 0 :: v_dual_and_b32 v11, 0xffff, v0
	v_lshrrev_b32_e32 v0, 16, v0
	;;#ASMSTART
	v_cvt_f32_f16 v11, v11;
	;;#ASMEND
	;;#ASMSTART
	v_cvt_f32_f16 v12, v0;
	;;#ASMEND
	flat_load_b64 v[9:10], v[9:10] offset:2816
	flat_load_b32 v119, v[26:27]
	s_mov_b32 s13, exec_lo
	s_wait_loadcnt_dscnt 0x101
	v_dual_mov_b32 v129, 0 :: v_dual_and_b32 v0, 0xff, v9
	s_delay_alu instid0(VALU_DEP_1)
	v_cmpx_ne_u16_e32 0, v0
	s_cbranch_execz .LBB268_1545
; %bb.1538:                             ;   in Loop: Header=BB268_810 Depth=1
	v_mov_b32_e32 v129, 0x8000
	s_mov_b32 s14, exec_lo
	v_cmpx_ne_u16_e32 0x80, v0
	s_cbranch_execz .LBB268_1544
; %bb.1539:                             ;   in Loop: Header=BB268_810 Depth=1
	v_and_b32_e32 v130, 0x7f, v9
	v_mov_b32_e32 v129, 0x7c01
	s_mov_b32 s15, exec_lo
	s_delay_alu instid0(VALU_DEP_2)
	v_cmpx_ne_u32_e32 0x7f, v130
	s_cbranch_execz .LBB268_1543
; %bb.1540:                             ;   in Loop: Header=BB268_810 Depth=1
	v_and_b32_e32 v0, 7, v9
	v_lshrrev_b32_e32 v129, 3, v130
	s_mov_b32 s16, exec_lo
	v_cmpx_gt_u32_e32 8, v130
; %bb.1541:                             ;   in Loop: Header=BB268_810 Depth=1
	s_delay_alu instid0(VALU_DEP_3) | instskip(NEXT) | instid1(VALU_DEP_1)
	v_clz_i32_u32_e32 v0, v0
	v_min_u32_e32 v0, 32, v0
	s_delay_alu instid0(VALU_DEP_1) | instskip(NEXT) | instid1(VALU_DEP_1)
	v_subrev_nc_u32_e32 v129, 28, v0
	v_lshlrev_b64_e32 v[130:131], v129, v[9:10]
	v_sub_nc_u32_e32 v129, 29, v0
	s_delay_alu instid0(VALU_DEP_2)
	v_and_b32_e32 v0, 7, v130
; %bb.1542:                             ;   in Loop: Header=BB268_810 Depth=1
	s_wait_alu 0xfffe
	s_or_b32 exec_lo, exec_lo, s16
	v_lshlrev_b32_e32 v130, 8, v9
	v_lshl_add_u32 v129, v129, 10, 0x2000
	v_lshlrev_b32_e32 v0, 7, v0
	s_delay_alu instid0(VALU_DEP_3) | instskip(NEXT) | instid1(VALU_DEP_3)
	v_and_b32_e32 v130, 0x8000, v130
	v_and_b32_e32 v129, 0xfc00, v129
	s_delay_alu instid0(VALU_DEP_1)
	v_or3_b32 v129, v130, v129, v0
.LBB268_1543:                           ;   in Loop: Header=BB268_810 Depth=1
	s_wait_alu 0xfffe
	s_or_b32 exec_lo, exec_lo, s15
.LBB268_1544:                           ;   in Loop: Header=BB268_810 Depth=1
	s_wait_alu 0xfffe
	s_or_b32 exec_lo, exec_lo, s14
.LBB268_1545:                           ;   in Loop: Header=BB268_810 Depth=1
	s_wait_alu 0xfffe
	s_or_b32 exec_lo, exec_lo, s13
	v_lshrrev_b16 v0, 8, v9
	s_mov_b32 s13, exec_lo
	s_delay_alu instid0(VALU_DEP_1)
	v_cmpx_ne_u16_e32 0, v0
	s_cbranch_execz .LBB268_1553
; %bb.1546:                             ;   in Loop: Header=BB268_810 Depth=1
	v_bfrev_b32_e32 v128, 1
	s_mov_b32 s14, exec_lo
	v_cmpx_ne_u16_e32 0x80, v0
	s_cbranch_execz .LBB268_1552
; %bb.1547:                             ;   in Loop: Header=BB268_810 Depth=1
	v_and_b32_e32 v130, 0xffff, v0
	v_mov_b32_e32 v128, 0x7c010000
	s_mov_b32 s15, exec_lo
	s_delay_alu instid0(VALU_DEP_2) | instskip(NEXT) | instid1(VALU_DEP_1)
	v_and_b32_e32 v132, 0x7f, v130
	v_cmpx_ne_u32_e32 0x7f, v132
	s_cbranch_execz .LBB268_1551
; %bb.1548:                             ;   in Loop: Header=BB268_810 Depth=1
	v_and_b32_e32 v128, 7, v130
	v_lshrrev_b32_e32 v131, 3, v132
	s_mov_b32 s16, exec_lo
	v_cmpx_gt_u32_e32 8, v132
; %bb.1549:                             ;   in Loop: Header=BB268_810 Depth=1
	s_delay_alu instid0(VALU_DEP_3) | instskip(NEXT) | instid1(VALU_DEP_1)
	v_clz_i32_u32_e32 v128, v128
	v_min_u32_e32 v128, 32, v128
	s_delay_alu instid0(VALU_DEP_1) | instskip(NEXT) | instid1(VALU_DEP_1)
	v_subrev_nc_u32_e32 v131, 28, v128
	v_lshlrev_b64_e32 v[132:133], v131, v[0:1]
	v_sub_nc_u32_e32 v131, 29, v128
	s_delay_alu instid0(VALU_DEP_2)
	v_and_b32_e32 v128, 7, v132
; %bb.1550:                             ;   in Loop: Header=BB268_810 Depth=1
	s_wait_alu 0xfffe
	s_or_b32 exec_lo, exec_lo, s16
	v_lshlrev_b32_e32 v0, 8, v130
	v_lshl_add_u32 v130, v131, 10, 0x2000
	v_lshlrev_b32_e32 v128, 23, v128
	s_delay_alu instid0(VALU_DEP_2) | instskip(NEXT) | instid1(VALU_DEP_1)
	v_and_or_b32 v0, 0x8000, v0, v130
	v_lshl_or_b32 v128, v0, 16, v128
.LBB268_1551:                           ;   in Loop: Header=BB268_810 Depth=1
	s_wait_alu 0xfffe
	s_or_b32 exec_lo, exec_lo, s15
.LBB268_1552:                           ;   in Loop: Header=BB268_810 Depth=1
	s_wait_alu 0xfffe
	s_or_b32 exec_lo, exec_lo, s14
.LBB268_1553:                           ;   in Loop: Header=BB268_810 Depth=1
	s_wait_alu 0xfffe
	s_or_b32 exec_lo, exec_lo, s13
	v_lshrrev_b32_e32 v0, 16, v9
	v_mov_b32_e32 v130, 0
	s_mov_b32 s13, exec_lo
	s_delay_alu instid0(VALU_DEP_2) | instskip(NEXT) | instid1(VALU_DEP_1)
	v_dual_mov_b32 v131, 0 :: v_dual_and_b32 v132, 0xff, v0
	v_cmpx_ne_u16_e64 0, v132
	s_cbranch_execz .LBB268_1561
; %bb.1554:                             ;   in Loop: Header=BB268_810 Depth=1
	v_mov_b32_e32 v131, 0x8000
	s_mov_b32 s14, exec_lo
	v_cmpx_ne_u16_e64 0x80, v132
	s_cbranch_execz .LBB268_1560
; %bb.1555:                             ;   in Loop: Header=BB268_810 Depth=1
	v_bfe_u32 v133, v9, 16, 7
	v_mov_b32_e32 v131, 0x7c01
	s_mov_b32 s15, exec_lo
	s_delay_alu instid0(VALU_DEP_2)
	v_cmpx_ne_u32_e32 0x7f, v133
	s_cbranch_execz .LBB268_1559
; %bb.1556:                             ;   in Loop: Header=BB268_810 Depth=1
	v_and_b32_e32 v131, 7, v0
	v_lshrrev_b32_e32 v132, 3, v133
	s_mov_b32 s16, exec_lo
	v_cmpx_gt_u32_e32 8, v133
; %bb.1557:                             ;   in Loop: Header=BB268_810 Depth=1
	s_delay_alu instid0(VALU_DEP_3) | instskip(NEXT) | instid1(VALU_DEP_1)
	v_clz_i32_u32_e32 v131, v131
	v_min_u32_e32 v133, 32, v131
	s_delay_alu instid0(VALU_DEP_1) | instskip(NEXT) | instid1(VALU_DEP_1)
	v_subrev_nc_u32_e32 v131, 28, v133
	v_lshlrev_b64_e32 v[131:132], v131, v[0:1]
	v_sub_nc_u32_e32 v132, 29, v133
	s_delay_alu instid0(VALU_DEP_2)
	v_and_b32_e32 v131, 7, v131
; %bb.1558:                             ;   in Loop: Header=BB268_810 Depth=1
	s_wait_alu 0xfffe
	s_or_b32 exec_lo, exec_lo, s16
	v_lshlrev_b32_e32 v0, 8, v0
	v_lshl_add_u32 v132, v132, 10, 0x2000
	v_lshlrev_b32_e32 v131, 7, v131
	s_delay_alu instid0(VALU_DEP_3) | instskip(NEXT) | instid1(VALU_DEP_3)
	v_and_b32_e32 v0, 0x8000, v0
	v_and_b32_e32 v132, 0xfc00, v132
	s_delay_alu instid0(VALU_DEP_1)
	v_or3_b32 v131, v0, v132, v131
.LBB268_1559:                           ;   in Loop: Header=BB268_810 Depth=1
	s_wait_alu 0xfffe
	s_or_b32 exec_lo, exec_lo, s15
.LBB268_1560:                           ;   in Loop: Header=BB268_810 Depth=1
	s_wait_alu 0xfffe
	s_or_b32 exec_lo, exec_lo, s14
.LBB268_1561:                           ;   in Loop: Header=BB268_810 Depth=1
	s_wait_alu 0xfffe
	s_or_b32 exec_lo, exec_lo, s13
	s_delay_alu instid0(SALU_CYCLE_1)
	s_mov_b32 s13, exec_lo
	v_cmpx_lt_u32_e32 0xffffff, v9
	s_cbranch_execz .LBB268_1569
; %bb.1562:                             ;   in Loop: Header=BB268_810 Depth=1
	v_lshrrev_b32_e32 v0, 24, v9
	v_bfrev_b32_e32 v130, 1
	s_mov_b32 s14, exec_lo
	s_delay_alu instid0(VALU_DEP_2)
	v_cmpx_ne_u32_e32 0x80, v0
	s_cbranch_execz .LBB268_1568
; %bb.1563:                             ;   in Loop: Header=BB268_810 Depth=1
	v_and_b32_e32 v133, 0x7f, v0
	v_mov_b32_e32 v130, 0x7c010000
	s_mov_b32 s15, exec_lo
	s_delay_alu instid0(VALU_DEP_2)
	v_cmpx_ne_u32_e32 0x7f, v133
	s_cbranch_execz .LBB268_1567
; %bb.1564:                             ;   in Loop: Header=BB268_810 Depth=1
	v_and_b32_e32 v130, 7, v0
	v_lshrrev_b32_e32 v132, 3, v133
	s_mov_b32 s16, exec_lo
	v_cmpx_gt_u32_e32 8, v133
; %bb.1565:                             ;   in Loop: Header=BB268_810 Depth=1
	s_delay_alu instid0(VALU_DEP_3) | instskip(NEXT) | instid1(VALU_DEP_1)
	v_clz_i32_u32_e32 v130, v130
	v_min_u32_e32 v130, 32, v130
	s_delay_alu instid0(VALU_DEP_1) | instskip(NEXT) | instid1(VALU_DEP_1)
	v_subrev_nc_u32_e32 v132, 28, v130
	v_lshlrev_b64_e32 v[133:134], v132, v[0:1]
	v_sub_nc_u32_e32 v132, 29, v130
	s_delay_alu instid0(VALU_DEP_2)
	v_and_b32_e32 v130, 7, v133
; %bb.1566:                             ;   in Loop: Header=BB268_810 Depth=1
	s_wait_alu 0xfffe
	s_or_b32 exec_lo, exec_lo, s16
	v_lshlrev_b32_e32 v0, 8, v0
	v_lshl_add_u32 v132, v132, 10, 0x2000
	v_lshlrev_b32_e32 v130, 23, v130
	s_delay_alu instid0(VALU_DEP_2) | instskip(NEXT) | instid1(VALU_DEP_1)
	v_and_or_b32 v0, 0x8000, v0, v132
	v_lshl_or_b32 v130, v0, 16, v130
.LBB268_1567:                           ;   in Loop: Header=BB268_810 Depth=1
	s_wait_alu 0xfffe
	s_or_b32 exec_lo, exec_lo, s15
.LBB268_1568:                           ;   in Loop: Header=BB268_810 Depth=1
	s_wait_alu 0xfffe
	s_or_b32 exec_lo, exec_lo, s14
.LBB268_1569:                           ;   in Loop: Header=BB268_810 Depth=1
	s_wait_alu 0xfffe
	s_or_b32 exec_lo, exec_lo, s13
	v_dual_mov_b32 v133, 0 :: v_dual_and_b32 v134, 0xff, v10
	v_mov_b32_e32 v0, v10
	v_mov_b32_e32 v132, 0
	s_mov_b32 s13, exec_lo
	s_delay_alu instid0(VALU_DEP_3)
	v_cmpx_ne_u16_e64 0, v134
	s_cbranch_execz .LBB268_1577
; %bb.1570:                             ;   in Loop: Header=BB268_810 Depth=1
	v_mov_b32_e32 v133, 0x8000
	s_mov_b32 s14, exec_lo
	v_cmpx_ne_u16_e64 0x80, v134
	s_cbranch_execz .LBB268_1576
; %bb.1571:                             ;   in Loop: Header=BB268_810 Depth=1
	v_and_b32_e32 v135, 0x7f, v10
	v_mov_b32_e32 v133, 0x7c01
	s_mov_b32 s15, exec_lo
	s_delay_alu instid0(VALU_DEP_2)
	v_cmpx_ne_u32_e32 0x7f, v135
	s_cbranch_execz .LBB268_1575
; %bb.1572:                             ;   in Loop: Header=BB268_810 Depth=1
	v_and_b32_e32 v133, 7, v10
	v_lshrrev_b32_e32 v134, 3, v135
	s_mov_b32 s16, exec_lo
	v_cmpx_gt_u32_e32 8, v135
; %bb.1573:                             ;   in Loop: Header=BB268_810 Depth=1
	s_delay_alu instid0(VALU_DEP_3) | instskip(NEXT) | instid1(VALU_DEP_1)
	v_clz_i32_u32_e32 v133, v133
	v_min_u32_e32 v135, 32, v133
	s_delay_alu instid0(VALU_DEP_1) | instskip(NEXT) | instid1(VALU_DEP_1)
	v_subrev_nc_u32_e32 v133, 28, v135
	v_lshlrev_b64_e32 v[133:134], v133, v[0:1]
	v_sub_nc_u32_e32 v134, 29, v135
	s_delay_alu instid0(VALU_DEP_2)
	v_and_b32_e32 v133, 7, v133
; %bb.1574:                             ;   in Loop: Header=BB268_810 Depth=1
	s_wait_alu 0xfffe
	s_or_b32 exec_lo, exec_lo, s16
	v_lshlrev_b32_e32 v135, 8, v10
	v_lshl_add_u32 v134, v134, 10, 0x2000
	v_lshlrev_b32_e32 v133, 7, v133
	s_delay_alu instid0(VALU_DEP_3) | instskip(NEXT) | instid1(VALU_DEP_3)
	v_and_b32_e32 v135, 0x8000, v135
	v_and_b32_e32 v134, 0xfc00, v134
	s_delay_alu instid0(VALU_DEP_1)
	v_or3_b32 v133, v135, v134, v133
.LBB268_1575:                           ;   in Loop: Header=BB268_810 Depth=1
	s_wait_alu 0xfffe
	s_or_b32 exec_lo, exec_lo, s15
.LBB268_1576:                           ;   in Loop: Header=BB268_810 Depth=1
	s_wait_alu 0xfffe
	s_or_b32 exec_lo, exec_lo, s14
.LBB268_1577:                           ;   in Loop: Header=BB268_810 Depth=1
	s_wait_alu 0xfffe
	s_or_b32 exec_lo, exec_lo, s13
	v_lshrrev_b16 v0, 8, v0
	v_mov_b32_e32 v134, 0
	s_mov_b32 s13, exec_lo
	s_delay_alu instid0(VALU_DEP_2)
	v_cmpx_ne_u16_e32 0, v0
	s_cbranch_execz .LBB268_1585
; %bb.1578:                             ;   in Loop: Header=BB268_810 Depth=1
	v_bfrev_b32_e32 v134, 1
	s_mov_b32 s14, exec_lo
	v_cmpx_ne_u16_e32 0x80, v0
	s_cbranch_execz .LBB268_1584
; %bb.1579:                             ;   in Loop: Header=BB268_810 Depth=1
	v_and_b32_e32 v135, 0xffff, v0
	v_mov_b32_e32 v134, 0x7c010000
	s_mov_b32 s15, exec_lo
	s_delay_alu instid0(VALU_DEP_2) | instskip(NEXT) | instid1(VALU_DEP_1)
	v_and_b32_e32 v145, 0x7f, v135
	v_cmpx_ne_u32_e32 0x7f, v145
	s_cbranch_execz .LBB268_1583
; %bb.1580:                             ;   in Loop: Header=BB268_810 Depth=1
	v_and_b32_e32 v134, 7, v135
	v_lshrrev_b32_e32 v144, 3, v145
	s_mov_b32 s16, exec_lo
	v_cmpx_gt_u32_e32 8, v145
; %bb.1581:                             ;   in Loop: Header=BB268_810 Depth=1
	s_delay_alu instid0(VALU_DEP_3) | instskip(NEXT) | instid1(VALU_DEP_1)
	v_clz_i32_u32_e32 v134, v134
	v_min_u32_e32 v134, 32, v134
	s_delay_alu instid0(VALU_DEP_1) | instskip(NEXT) | instid1(VALU_DEP_1)
	v_subrev_nc_u32_e32 v144, 28, v134
	v_lshlrev_b64_e32 v[145:146], v144, v[0:1]
	v_sub_nc_u32_e32 v144, 29, v134
	s_delay_alu instid0(VALU_DEP_2)
	v_and_b32_e32 v134, 7, v145
; %bb.1582:                             ;   in Loop: Header=BB268_810 Depth=1
	s_wait_alu 0xfffe
	s_or_b32 exec_lo, exec_lo, s16
	v_lshlrev_b32_e32 v0, 8, v135
	v_lshl_add_u32 v135, v144, 10, 0x2000
	v_lshlrev_b32_e32 v134, 23, v134
	s_delay_alu instid0(VALU_DEP_2) | instskip(NEXT) | instid1(VALU_DEP_1)
	v_and_or_b32 v0, 0x8000, v0, v135
	v_lshl_or_b32 v134, v0, 16, v134
.LBB268_1583:                           ;   in Loop: Header=BB268_810 Depth=1
	s_wait_alu 0xfffe
	s_or_b32 exec_lo, exec_lo, s15
.LBB268_1584:                           ;   in Loop: Header=BB268_810 Depth=1
	s_wait_alu 0xfffe
	s_or_b32 exec_lo, exec_lo, s14
.LBB268_1585:                           ;   in Loop: Header=BB268_810 Depth=1
	s_wait_alu 0xfffe
	s_or_b32 exec_lo, exec_lo, s13
	v_lshrrev_b32_e32 v0, 16, v10
	s_mov_b32 s13, exec_lo
	s_delay_alu instid0(VALU_DEP_1) | instskip(NEXT) | instid1(VALU_DEP_1)
	v_and_b32_e32 v135, 0xff, v0
	v_cmpx_ne_u16_e64 0, v135
	s_cbranch_execz .LBB268_1593
; %bb.1586:                             ;   in Loop: Header=BB268_810 Depth=1
	v_mov_b32_e32 v132, 0x8000
	s_mov_b32 s14, exec_lo
	v_cmpx_ne_u16_e64 0x80, v135
	s_cbranch_execz .LBB268_1592
; %bb.1587:                             ;   in Loop: Header=BB268_810 Depth=1
	v_bfe_u32 v144, v10, 16, 7
	v_mov_b32_e32 v132, 0x7c01
	s_mov_b32 s15, exec_lo
	s_delay_alu instid0(VALU_DEP_2)
	v_cmpx_ne_u32_e32 0x7f, v144
	s_cbranch_execz .LBB268_1591
; %bb.1588:                             ;   in Loop: Header=BB268_810 Depth=1
	v_and_b32_e32 v132, 7, v0
	v_lshrrev_b32_e32 v135, 3, v144
	s_mov_b32 s16, exec_lo
	v_cmpx_gt_u32_e32 8, v144
; %bb.1589:                             ;   in Loop: Header=BB268_810 Depth=1
	s_delay_alu instid0(VALU_DEP_3) | instskip(NEXT) | instid1(VALU_DEP_1)
	v_clz_i32_u32_e32 v132, v132
	v_min_u32_e32 v132, 32, v132
	s_delay_alu instid0(VALU_DEP_1) | instskip(NEXT) | instid1(VALU_DEP_1)
	v_subrev_nc_u32_e32 v135, 28, v132
	v_lshlrev_b64_e32 v[144:145], v135, v[0:1]
	v_sub_nc_u32_e32 v135, 29, v132
	s_delay_alu instid0(VALU_DEP_2)
	v_and_b32_e32 v132, 7, v144
; %bb.1590:                             ;   in Loop: Header=BB268_810 Depth=1
	s_wait_alu 0xfffe
	s_or_b32 exec_lo, exec_lo, s16
	v_lshlrev_b32_e32 v0, 8, v0
	v_lshl_add_u32 v135, v135, 10, 0x2000
	v_lshlrev_b32_e32 v132, 7, v132
	s_delay_alu instid0(VALU_DEP_3) | instskip(NEXT) | instid1(VALU_DEP_3)
	v_and_b32_e32 v0, 0x8000, v0
	v_and_b32_e32 v135, 0xfc00, v135
	s_delay_alu instid0(VALU_DEP_1)
	v_or3_b32 v132, v0, v135, v132
.LBB268_1591:                           ;   in Loop: Header=BB268_810 Depth=1
	s_wait_alu 0xfffe
	s_or_b32 exec_lo, exec_lo, s15
.LBB268_1592:                           ;   in Loop: Header=BB268_810 Depth=1
	s_wait_alu 0xfffe
	s_or_b32 exec_lo, exec_lo, s14
.LBB268_1593:                           ;   in Loop: Header=BB268_810 Depth=1
	s_wait_alu 0xfffe
	s_or_b32 exec_lo, exec_lo, s13
	v_cmp_lt_u64_e64 s0, s[8:9], v[9:10]
	v_mov_b32_e32 v9, 0
	s_and_saveexec_b32 s13, s0
	s_cbranch_execz .LBB268_1601
; %bb.1594:                             ;   in Loop: Header=BB268_810 Depth=1
	v_lshrrev_b32_e32 v0, 24, v10
	v_bfrev_b32_e32 v9, 1
	s_mov_b32 s14, exec_lo
	s_delay_alu instid0(VALU_DEP_2)
	v_cmpx_ne_u32_e32 0x80, v0
	s_cbranch_execz .LBB268_1600
; %bb.1595:                             ;   in Loop: Header=BB268_810 Depth=1
	v_and_b32_e32 v135, 0x7f, v0
	v_mov_b32_e32 v9, 0x7c010000
	s_mov_b32 s15, exec_lo
	s_delay_alu instid0(VALU_DEP_2)
	v_cmpx_ne_u32_e32 0x7f, v135
	s_cbranch_execz .LBB268_1599
; %bb.1596:                             ;   in Loop: Header=BB268_810 Depth=1
	v_and_b32_e32 v9, 7, v0
	v_lshrrev_b32_e32 v10, 3, v135
	s_mov_b32 s16, exec_lo
	v_cmpx_gt_u32_e32 8, v135
; %bb.1597:                             ;   in Loop: Header=BB268_810 Depth=1
	s_delay_alu instid0(VALU_DEP_3) | instskip(NEXT) | instid1(VALU_DEP_1)
	v_clz_i32_u32_e32 v9, v9
	v_min_u32_e32 v135, 32, v9
	s_delay_alu instid0(VALU_DEP_1) | instskip(NEXT) | instid1(VALU_DEP_1)
	v_subrev_nc_u32_e32 v9, 28, v135
	v_lshlrev_b64_e32 v[9:10], v9, v[0:1]
	v_sub_nc_u32_e32 v10, 29, v135
	s_delay_alu instid0(VALU_DEP_2)
	v_and_b32_e32 v9, 7, v9
; %bb.1598:                             ;   in Loop: Header=BB268_810 Depth=1
	s_wait_alu 0xfffe
	s_or_b32 exec_lo, exec_lo, s16
	v_lshlrev_b32_e32 v0, 8, v0
	v_lshl_add_u32 v10, v10, 10, 0x2000
	v_lshlrev_b32_e32 v9, 23, v9
	s_delay_alu instid0(VALU_DEP_2) | instskip(NEXT) | instid1(VALU_DEP_1)
	v_and_or_b32 v0, 0x8000, v0, v10
	v_lshl_or_b32 v9, v0, 16, v9
.LBB268_1599:                           ;   in Loop: Header=BB268_810 Depth=1
	s_wait_alu 0xfffe
	s_or_b32 exec_lo, exec_lo, s15
.LBB268_1600:                           ;   in Loop: Header=BB268_810 Depth=1
	s_wait_alu 0xfffe
	s_or_b32 exec_lo, exec_lo, s14
.LBB268_1601:                           ;   in Loop: Header=BB268_810 Depth=1
	s_wait_alu 0xfffe
	s_or_b32 exec_lo, exec_lo, s13
	v_or_b32_e32 v0, v130, v131
	s_wait_loadcnt_dscnt 0x0
	v_fma_mixlo_f16 v10, v119, v130, 0 op_sel:[0,1,0] op_sel_hi:[0,1,0]
	v_or_b32_e32 v129, v128, v129
	v_fma_mixlo_f16 v130, v119, v128, 0 op_sel:[0,1,0] op_sel_hi:[0,1,0]
	v_or_b32_e32 v131, v134, v133
	v_fma_mixlo_f16 v0, v119, v0, 0 op_sel_hi:[0,1,0]
	v_or_b32_e32 v132, v9, v132
	v_lshlrev_b32_e32 v128, 16, v10
	v_lshlrev_b32_e32 v133, 16, v130
	v_fma_mixlo_f16 v10, v119, v129, 0 op_sel_hi:[0,1,0]
	v_and_b32_e32 v130, 0xffff, v0
	v_fma_mixlo_f16 v0, v119, v134, 0 op_sel:[0,1,0] op_sel_hi:[0,1,0]
	v_fma_mixlo_f16 v129, v119, v131, 0 op_sel_hi:[0,1,0]
	v_fma_mixlo_f16 v9, v119, v9, 0 op_sel:[0,1,0] op_sel_hi:[0,1,0]
	v_fma_mixlo_f16 v119, v119, v132, 0 op_sel_hi:[0,1,0]
	v_and_b32_e32 v135, 0xffff, v10
	v_lshlrev_b32_e32 v131, 16, v0
	v_and_b32_e32 v134, 0xffff, v129
	v_lshlrev_b32_e32 v129, 16, v9
	v_and_b32_e32 v132, 0xffff, v119
	v_or_b32_e32 v10, v128, v130
	v_or_b32_e32 v119, v133, v135
	;; [unrolled: 1-line block ×3, first 2 shown]
	s_delay_alu instid0(VALU_DEP_4)
	v_or_b32_e32 v0, v129, v132
	s_and_saveexec_b32 s0, vcc_lo
	s_cbranch_execz .LBB268_808
; %bb.1602:                             ;   in Loop: Header=BB268_810 Depth=1
	v_cmp_lt_i32_e32 vcc_lo, v16, v34
	s_wait_alu 0xfffd
	v_cndmask_b32_e32 v0, 0, v135, vcc_lo
	v_cmp_lt_i32_e32 vcc_lo, v84, v34
	s_wait_alu 0xfffd
	v_cndmask_b32_e32 v9, 0, v133, vcc_lo
	v_cmp_lt_i32_e32 vcc_lo, v83, v34
	s_delay_alu instid0(VALU_DEP_2)
	v_or_b32_e32 v119, v0, v9
	s_wait_alu 0xfffd
	v_cndmask_b32_e32 v10, 0, v130, vcc_lo
	v_cmp_lt_i32_e32 vcc_lo, v82, v34
	s_wait_alu 0xfffd
	v_cndmask_b32_e32 v16, 0, v128, vcc_lo
	v_cmp_lt_i32_e32 vcc_lo, v80, v34
	;; [unrolled: 3-line block ×4, first 2 shown]
	v_or_b32_e32 v10, v10, v16
	s_wait_alu 0xfffd
	v_cndmask_b32_e32 v69, 0, v132, vcc_lo
	v_cmp_lt_i32_e32 vcc_lo, v54, v34
	v_or_b32_e32 v9, v80, v71
	s_wait_alu 0xfffd
	v_cndmask_b32_e32 v54, 0, v129, vcc_lo
	s_delay_alu instid0(VALU_DEP_1)
	v_or_b32_e32 v0, v69, v54
	s_branch .LBB268_808
.LBB268_1603:
	s_or_b32 exec_lo, exec_lo, s5
	s_load_b32 s0, s[6:7], 0x0
	s_wait_kmcnt 0x0
	v_mov_b32_e32 v68, s0
.LBB268_1604:
	s_wait_alu 0xfffe
	s_or_b32 exec_lo, exec_lo, s3
	ds_bpermute_b32 v0, v18, v67
	ds_bpermute_b32 v1, v18, v66
	;; [unrolled: 1-line block ×12, first 2 shown]
	v_lshrrev_b32_e32 v13, 1, v13
	s_mov_b32 s0, exec_lo
	s_wait_storecnt 0x0
	s_wait_loadcnt_dscnt 0x0
	s_barrier_signal -1
	s_barrier_wait -1
	global_inv scope:SCOPE_SE
	v_add_f32_e32 v14, v67, v0
	v_dual_add_f32 v12, v66, v1 :: v_dual_add_f32 v11, v65, v2
	v_dual_add_f32 v10, v64, v3 :: v_dual_add_f32 v9, v55, v6
	v_add_f32_e32 v8, v29, v7
	v_add_f32_e32 v3, v28, v15
	v_dual_add_f32 v1, v25, v16 :: v_dual_add_f32 v0, v24, v17
	v_dual_add_f32 v6, v21, v22 :: v_dual_and_b32 v17, 0x3c1, v33
	v_dual_add_f32 v7, v20, v23 :: v_dual_add_f32 v2, v19, v18
	v_lshl_add_u32 v15, v13, 2, v68
	v_mul_u32_u24_e32 v16, 0x300, v37
	s_delay_alu instid0(VALU_DEP_4)
	v_cmpx_eq_u32_e32 64, v17
	s_cbranch_execz .LBB268_1606
; %bb.1605:
	s_delay_alu instid0(VALU_DEP_2) | instskip(NEXT) | instid1(VALU_DEP_1)
	v_add_nc_u32_e32 v17, v15, v16
	v_add_nc_u32_e32 v18, 0xfffffa00, v17
	;; [unrolled: 1-line block ×13, first 2 shown]
	ds_store_b32 v18, v14
	ds_store_b32 v19, v12
	;; [unrolled: 1-line block ×12, first 2 shown]
.LBB268_1606:
	s_wait_alu 0xfffe
	s_or_b32 exec_lo, exec_lo, s0
	v_lshlrev_b32_e32 v13, 2, v13
	s_mov_b32 s3, exec_lo
	v_cmp_eq_u32_e32 vcc_lo, 0, v31
	s_wait_loadcnt_dscnt 0x0
	s_barrier_signal -1
	v_add3_u32 v13, v68, v16, v13
	s_barrier_wait -1
	global_inv scope:SCOPE_SE
	v_cmpx_gt_u32_e32 64, v33
	s_cbranch_execz .LBB268_1621
; %bb.1607:
	s_and_saveexec_b32 s0, vcc_lo
	s_cbranch_execnz .LBB268_1641
; %bb.1608:
	s_wait_alu 0xfffe
	s_or_b32 exec_lo, exec_lo, s0
	s_and_saveexec_b32 s0, vcc_lo
	s_cbranch_execnz .LBB268_1642
.LBB268_1609:
	s_wait_alu 0xfffe
	s_or_b32 exec_lo, exec_lo, s0
	s_and_saveexec_b32 s0, vcc_lo
	s_cbranch_execnz .LBB268_1643
.LBB268_1610:
	s_wait_alu 0xfffe
	s_or_b32 exec_lo, exec_lo, s0
	s_and_saveexec_b32 s0, vcc_lo
	s_cbranch_execnz .LBB268_1644
.LBB268_1611:
	s_wait_alu 0xfffe
	s_or_b32 exec_lo, exec_lo, s0
	s_and_saveexec_b32 s0, vcc_lo
	s_cbranch_execnz .LBB268_1645
.LBB268_1612:
	s_wait_alu 0xfffe
	s_or_b32 exec_lo, exec_lo, s0
	s_and_saveexec_b32 s0, vcc_lo
	s_cbranch_execnz .LBB268_1646
.LBB268_1613:
	s_wait_alu 0xfffe
	s_or_b32 exec_lo, exec_lo, s0
	s_and_saveexec_b32 s0, vcc_lo
	s_cbranch_execnz .LBB268_1647
.LBB268_1614:
	s_wait_alu 0xfffe
	s_or_b32 exec_lo, exec_lo, s0
	s_and_saveexec_b32 s0, vcc_lo
	s_cbranch_execnz .LBB268_1648
.LBB268_1615:
	s_wait_alu 0xfffe
	s_or_b32 exec_lo, exec_lo, s0
	s_and_saveexec_b32 s0, vcc_lo
	s_cbranch_execnz .LBB268_1649
.LBB268_1616:
	s_wait_alu 0xfffe
	s_or_b32 exec_lo, exec_lo, s0
	s_and_saveexec_b32 s0, vcc_lo
	s_cbranch_execnz .LBB268_1650
.LBB268_1617:
	s_wait_alu 0xfffe
	s_or_b32 exec_lo, exec_lo, s0
	s_and_saveexec_b32 s0, vcc_lo
	s_cbranch_execnz .LBB268_1651
.LBB268_1618:
	s_wait_alu 0xfffe
	s_or_b32 exec_lo, exec_lo, s0
	s_and_saveexec_b32 s0, vcc_lo
	s_cbranch_execz .LBB268_1620
.LBB268_1619:
	ds_load_b32 v16, v13 offset:704
	s_wait_dscnt 0x0
	v_add_f32_e32 v2, v16, v2
.LBB268_1620:
	s_wait_alu 0xfffe
	s_or_b32 exec_lo, exec_lo, s0
.LBB268_1621:
	s_wait_alu 0xfffe
	s_or_b32 exec_lo, exec_lo, s3
	v_and_b32_e32 v16, 0x3e1, v33
	s_mov_b32 s3, exec_lo
	s_wait_loadcnt 0x0
	s_barrier_signal -1
	s_barrier_wait -1
	global_inv scope:SCOPE_SE
	v_cmpx_eq_u32_e32 32, v16
	s_cbranch_execz .LBB268_1623
; %bb.1622:
	ds_store_2addr_b32 v15, v14, v12 offset1:16
	ds_store_2addr_b32 v15, v11, v10 offset0:32 offset1:48
	ds_store_2addr_b32 v15, v9, v8 offset0:64 offset1:80
	;; [unrolled: 1-line block ×5, first 2 shown]
.LBB268_1623:
	s_wait_alu 0xfffe
	s_or_b32 exec_lo, exec_lo, s3
	s_delay_alu instid0(SALU_CYCLE_1)
	s_mov_b32 s3, exec_lo
	s_wait_loadcnt_dscnt 0x0
	s_barrier_signal -1
	s_barrier_wait -1
	global_inv scope:SCOPE_SE
	v_cmpx_gt_u32_e32 32, v33
	s_cbranch_execz .LBB268_1638
; %bb.1624:
	s_and_saveexec_b32 s0, vcc_lo
	s_cbranch_execnz .LBB268_1652
; %bb.1625:
	s_wait_alu 0xfffe
	s_or_b32 exec_lo, exec_lo, s0
	s_and_saveexec_b32 s0, vcc_lo
	s_cbranch_execnz .LBB268_1653
.LBB268_1626:
	s_wait_alu 0xfffe
	s_or_b32 exec_lo, exec_lo, s0
	s_and_saveexec_b32 s0, vcc_lo
	s_cbranch_execnz .LBB268_1654
.LBB268_1627:
	s_wait_alu 0xfffe
	s_or_b32 exec_lo, exec_lo, s0
	s_and_saveexec_b32 s0, vcc_lo
	s_cbranch_execnz .LBB268_1655
.LBB268_1628:
	s_wait_alu 0xfffe
	s_or_b32 exec_lo, exec_lo, s0
	s_and_saveexec_b32 s0, vcc_lo
	s_cbranch_execnz .LBB268_1656
.LBB268_1629:
	s_wait_alu 0xfffe
	s_or_b32 exec_lo, exec_lo, s0
	s_and_saveexec_b32 s0, vcc_lo
	s_cbranch_execnz .LBB268_1657
.LBB268_1630:
	s_wait_alu 0xfffe
	s_or_b32 exec_lo, exec_lo, s0
	s_and_saveexec_b32 s0, vcc_lo
	s_cbranch_execnz .LBB268_1658
.LBB268_1631:
	s_wait_alu 0xfffe
	s_or_b32 exec_lo, exec_lo, s0
	s_and_saveexec_b32 s0, vcc_lo
	s_cbranch_execnz .LBB268_1659
.LBB268_1632:
	s_wait_alu 0xfffe
	s_or_b32 exec_lo, exec_lo, s0
	s_and_saveexec_b32 s0, vcc_lo
	s_cbranch_execnz .LBB268_1660
.LBB268_1633:
	s_wait_alu 0xfffe
	s_or_b32 exec_lo, exec_lo, s0
	s_and_saveexec_b32 s0, vcc_lo
	s_cbranch_execnz .LBB268_1661
.LBB268_1634:
	s_wait_alu 0xfffe
	s_or_b32 exec_lo, exec_lo, s0
	s_and_saveexec_b32 s0, vcc_lo
	s_cbranch_execnz .LBB268_1662
.LBB268_1635:
	s_wait_alu 0xfffe
	s_or_b32 exec_lo, exec_lo, s0
	s_and_saveexec_b32 s0, vcc_lo
	s_cbranch_execz .LBB268_1637
.LBB268_1636:
	ds_load_b32 v13, v13 offset:704
	s_wait_dscnt 0x0
	v_add_f32_e32 v2, v13, v2
.LBB268_1637:
	s_wait_alu 0xfffe
	s_or_b32 exec_lo, exec_lo, s0
.LBB268_1638:
	s_wait_alu 0xfffe
	s_or_b32 exec_lo, exec_lo, s3
	v_cmp_eq_u32_e32 vcc_lo, 0, v16
	s_wait_loadcnt 0x0
	s_barrier_signal -1
	s_barrier_wait -1
	global_inv scope:SCOPE_SE
	s_and_b32 exec_lo, exec_lo, vcc_lo
	s_cbranch_execz .LBB268_1640
; %bb.1639:
	s_mul_i32 s0, s2, 0xc0
	s_mul_i32 s2, s4, s1
	s_wait_alu 0xfffe
	s_ashr_i32 s1, s0, 31
	s_ashr_i32 s3, s2, 31
	s_wait_alu 0xfffe
	s_lshl_b64 s[0:1], s[0:1], 1
	s_mulk_i32 s11, 0x180
	s_wait_alu 0xfffe
	v_add_co_u32 v4, vcc_lo, v4, s0
	s_wait_alu 0xfffd
	v_add_co_ci_u32_e64 v5, null, s1, v5, vcc_lo
	s_lshl_b64 s[0:1], s[2:3], 1
	v_lshlrev_b32_e32 v13, 1, v32
	s_wait_alu 0xfffe
	v_add_co_u32 v4, vcc_lo, v4, s0
	s_wait_alu 0xfffd
	v_add_co_ci_u32_e64 v5, null, s1, v5, vcc_lo
	s_delay_alu instid0(VALU_DEP_2) | instskip(SKIP_1) | instid1(VALU_DEP_2)
	v_add_co_u32 v4, vcc_lo, v4, s11
	s_wait_alu 0xfffd
	v_add_co_ci_u32_e64 v5, null, 0, v5, vcc_lo
	s_delay_alu instid0(VALU_DEP_2) | instskip(SKIP_1) | instid1(VALU_DEP_2)
	v_add_co_u32 v4, vcc_lo, v4, v13
	s_wait_alu 0xfffd
	v_add_co_ci_u32_e64 v5, null, 0, v5, vcc_lo
	;;#ASMSTART
	v_cvt_f16_f32 v13, v14;

	;;#ASMEND
	flat_store_b16 v[4:5], v13
	;;#ASMSTART
	v_cvt_f16_f32 v12, v12;

	;;#ASMEND
	flat_store_b16 v[4:5], v12 offset:32
	;;#ASMSTART
	v_cvt_f16_f32 v11, v11;

	;;#ASMEND
	flat_store_b16 v[4:5], v11 offset:64
	;; [unrolled: 5-line block ×11, first 2 shown]
.LBB268_1640:
	s_or_b32 exec_lo, exec_lo, s10
	s_clause 0x1f
	scratch_load_b32 v136, off, s32 offset:8
	scratch_load_b32 v127, off, s32 offset:12
	scratch_load_b32 v126, off, s32 offset:16
	scratch_load_b32 v125, off, s32 offset:20
	scratch_load_b32 v124, off, s32 offset:24
	scratch_load_b32 v123, off, s32 offset:28
	scratch_load_b32 v122, off, s32 offset:32
	scratch_load_b32 v121, off, s32 offset:36
	scratch_load_b32 v120, off, s32 offset:40
	scratch_load_b32 v111, off, s32 offset:44
	scratch_load_b32 v110, off, s32 offset:48
	scratch_load_b32 v109, off, s32 offset:52
	scratch_load_b32 v108, off, s32 offset:56
	scratch_load_b32 v107, off, s32 offset:60
	scratch_load_b32 v106, off, s32 offset:64
	scratch_load_b32 v105, off, s32 offset:68
	scratch_load_b32 v104, off, s32 offset:72
	scratch_load_b32 v95, off, s32 offset:76
	scratch_load_b32 v94, off, s32 offset:80
	scratch_load_b32 v93, off, s32 offset:84
	scratch_load_b32 v92, off, s32 offset:88
	scratch_load_b32 v91, off, s32 offset:92
	scratch_load_b32 v90, off, s32 offset:96
	scratch_load_b32 v89, off, s32 offset:100
	scratch_load_b32 v88, off, s32 offset:104
	scratch_load_b32 v79, off, s32 offset:108
	scratch_load_b32 v78, off, s32 offset:112
	scratch_load_b32 v77, off, s32 offset:116
	scratch_load_b32 v76, off, s32 offset:120
	scratch_load_b32 v75, off, s32 offset:124
	scratch_load_b32 v74, off, s32 offset:128
	scratch_load_b32 v73, off, s32 offset:132
	s_clause 0x10
	scratch_load_b32 v72, off, s32 offset:136
	scratch_load_b32 v63, off, s32 offset:140
	;; [unrolled: 1-line block ×17, first 2 shown]
	s_wait_loadcnt_dscnt 0x0
	s_setpc_b64 s[30:31]
.LBB268_1641:
	ds_load_b32 v16, v13
	s_wait_dscnt 0x0
	v_add_f32_e32 v14, v16, v14
	s_wait_alu 0xfffe
	s_or_b32 exec_lo, exec_lo, s0
	s_and_saveexec_b32 s0, vcc_lo
	s_cbranch_execz .LBB268_1609
.LBB268_1642:
	ds_load_b32 v16, v13 offset:64
	s_wait_dscnt 0x0
	v_add_f32_e32 v12, v16, v12
	s_wait_alu 0xfffe
	s_or_b32 exec_lo, exec_lo, s0
	s_and_saveexec_b32 s0, vcc_lo
	s_cbranch_execz .LBB268_1610
.LBB268_1643:
	ds_load_b32 v16, v13 offset:128
	s_wait_dscnt 0x0
	v_add_f32_e32 v11, v16, v11
	s_wait_alu 0xfffe
	s_or_b32 exec_lo, exec_lo, s0
	s_and_saveexec_b32 s0, vcc_lo
	s_cbranch_execz .LBB268_1611
.LBB268_1644:
	ds_load_b32 v16, v13 offset:192
	s_wait_dscnt 0x0
	v_add_f32_e32 v10, v16, v10
	s_wait_alu 0xfffe
	s_or_b32 exec_lo, exec_lo, s0
	s_and_saveexec_b32 s0, vcc_lo
	s_cbranch_execz .LBB268_1612
.LBB268_1645:
	ds_load_b32 v16, v13 offset:256
	s_wait_dscnt 0x0
	v_add_f32_e32 v9, v16, v9
	s_wait_alu 0xfffe
	s_or_b32 exec_lo, exec_lo, s0
	s_and_saveexec_b32 s0, vcc_lo
	s_cbranch_execz .LBB268_1613
.LBB268_1646:
	ds_load_b32 v16, v13 offset:320
	s_wait_dscnt 0x0
	v_add_f32_e32 v8, v16, v8
	s_wait_alu 0xfffe
	s_or_b32 exec_lo, exec_lo, s0
	s_and_saveexec_b32 s0, vcc_lo
	s_cbranch_execz .LBB268_1614
.LBB268_1647:
	ds_load_b32 v16, v13 offset:384
	s_wait_dscnt 0x0
	v_add_f32_e32 v3, v16, v3
	s_wait_alu 0xfffe
	s_or_b32 exec_lo, exec_lo, s0
	s_and_saveexec_b32 s0, vcc_lo
	s_cbranch_execz .LBB268_1615
.LBB268_1648:
	ds_load_b32 v16, v13 offset:448
	s_wait_dscnt 0x0
	v_add_f32_e32 v1, v16, v1
	s_wait_alu 0xfffe
	s_or_b32 exec_lo, exec_lo, s0
	s_and_saveexec_b32 s0, vcc_lo
	s_cbranch_execz .LBB268_1616
.LBB268_1649:
	ds_load_b32 v16, v13 offset:512
	s_wait_dscnt 0x0
	v_add_f32_e32 v0, v16, v0
	s_wait_alu 0xfffe
	s_or_b32 exec_lo, exec_lo, s0
	s_and_saveexec_b32 s0, vcc_lo
	s_cbranch_execz .LBB268_1617
.LBB268_1650:
	ds_load_b32 v16, v13 offset:576
	s_wait_dscnt 0x0
	v_add_f32_e32 v6, v16, v6
	s_wait_alu 0xfffe
	s_or_b32 exec_lo, exec_lo, s0
	s_and_saveexec_b32 s0, vcc_lo
	s_cbranch_execz .LBB268_1618
.LBB268_1651:
	ds_load_b32 v16, v13 offset:640
	s_wait_dscnt 0x0
	v_add_f32_e32 v7, v16, v7
	s_wait_alu 0xfffe
	s_or_b32 exec_lo, exec_lo, s0
	s_and_saveexec_b32 s0, vcc_lo
	s_cbranch_execnz .LBB268_1619
	s_branch .LBB268_1620
.LBB268_1652:
	ds_load_b32 v15, v13
	s_wait_dscnt 0x0
	v_add_f32_e32 v14, v15, v14
	s_wait_alu 0xfffe
	s_or_b32 exec_lo, exec_lo, s0
	s_and_saveexec_b32 s0, vcc_lo
	s_cbranch_execz .LBB268_1626
.LBB268_1653:
	ds_load_b32 v15, v13 offset:64
	s_wait_dscnt 0x0
	v_add_f32_e32 v12, v15, v12
	s_wait_alu 0xfffe
	s_or_b32 exec_lo, exec_lo, s0
	s_and_saveexec_b32 s0, vcc_lo
	s_cbranch_execz .LBB268_1627
.LBB268_1654:
	ds_load_b32 v15, v13 offset:128
	s_wait_dscnt 0x0
	v_add_f32_e32 v11, v15, v11
	s_wait_alu 0xfffe
	s_or_b32 exec_lo, exec_lo, s0
	s_and_saveexec_b32 s0, vcc_lo
	s_cbranch_execz .LBB268_1628
.LBB268_1655:
	ds_load_b32 v15, v13 offset:192
	s_wait_dscnt 0x0
	v_add_f32_e32 v10, v15, v10
	s_wait_alu 0xfffe
	s_or_b32 exec_lo, exec_lo, s0
	s_and_saveexec_b32 s0, vcc_lo
	s_cbranch_execz .LBB268_1629
.LBB268_1656:
	ds_load_b32 v15, v13 offset:256
	s_wait_dscnt 0x0
	v_add_f32_e32 v9, v15, v9
	s_wait_alu 0xfffe
	s_or_b32 exec_lo, exec_lo, s0
	s_and_saveexec_b32 s0, vcc_lo
	s_cbranch_execz .LBB268_1630
.LBB268_1657:
	ds_load_b32 v15, v13 offset:320
	s_wait_dscnt 0x0
	v_add_f32_e32 v8, v15, v8
	s_wait_alu 0xfffe
	s_or_b32 exec_lo, exec_lo, s0
	s_and_saveexec_b32 s0, vcc_lo
	s_cbranch_execz .LBB268_1631
.LBB268_1658:
	ds_load_b32 v15, v13 offset:384
	s_wait_dscnt 0x0
	v_add_f32_e32 v3, v15, v3
	s_wait_alu 0xfffe
	s_or_b32 exec_lo, exec_lo, s0
	s_and_saveexec_b32 s0, vcc_lo
	s_cbranch_execz .LBB268_1632
.LBB268_1659:
	ds_load_b32 v15, v13 offset:448
	s_wait_dscnt 0x0
	v_add_f32_e32 v1, v15, v1
	s_wait_alu 0xfffe
	s_or_b32 exec_lo, exec_lo, s0
	s_and_saveexec_b32 s0, vcc_lo
	s_cbranch_execz .LBB268_1633
.LBB268_1660:
	ds_load_b32 v15, v13 offset:512
	s_wait_dscnt 0x0
	v_add_f32_e32 v0, v15, v0
	s_wait_alu 0xfffe
	s_or_b32 exec_lo, exec_lo, s0
	s_and_saveexec_b32 s0, vcc_lo
	s_cbranch_execz .LBB268_1634
.LBB268_1661:
	ds_load_b32 v15, v13 offset:576
	s_wait_dscnt 0x0
	v_add_f32_e32 v6, v15, v6
	s_wait_alu 0xfffe
	s_or_b32 exec_lo, exec_lo, s0
	s_and_saveexec_b32 s0, vcc_lo
	s_cbranch_execz .LBB268_1635
.LBB268_1662:
	ds_load_b32 v15, v13 offset:640
	s_wait_dscnt 0x0
	v_add_f32_e32 v7, v15, v7
	s_wait_alu 0xfffe
	s_or_b32 exec_lo, exec_lo, s0
	s_and_saveexec_b32 s0, vcc_lo
	s_cbranch_execnz .LBB268_1636
	s_branch .LBB268_1637
.Lfunc_end268:
	.size	_ZN4vllm22paged_attention_kernelIthLi192ELi16ELi128ELNS_18Fp8KVCacheDataTypeE1ELb1ELi512EEEvPfS2_PT_PKS3_PKT0_S9_ifPKiSB_iPKfiiiSD_SD_iiiii, .Lfunc_end268-_ZN4vllm22paged_attention_kernelIthLi192ELi16ELi128ELNS_18Fp8KVCacheDataTypeE1ELb1ELi512EEEvPfS2_PT_PKS3_PKT0_S9_ifPKiSB_iPKfiiiSD_SD_iiiii
                                        ; -- End function
	.set .L_ZN4vllm22paged_attention_kernelIthLi192ELi16ELi128ELNS_18Fp8KVCacheDataTypeE1ELb1ELi512EEEvPfS2_PT_PKS3_PKT0_S9_ifPKiSB_iPKfiiiSD_SD_iiiii.num_vgpr, 184
	.set .L_ZN4vllm22paged_attention_kernelIthLi192ELi16ELi128ELNS_18Fp8KVCacheDataTypeE1ELb1ELi512EEEvPfS2_PT_PKS3_PKT0_S9_ifPKiSB_iPKfiiiSD_SD_iiiii.num_agpr, 0
	.set .L_ZN4vllm22paged_attention_kernelIthLi192ELi16ELi128ELNS_18Fp8KVCacheDataTypeE1ELb1ELi512EEEvPfS2_PT_PKS3_PKT0_S9_ifPKiSB_iPKfiiiSD_SD_iiiii.numbered_sgpr, 33
	.set .L_ZN4vllm22paged_attention_kernelIthLi192ELi16ELi128ELNS_18Fp8KVCacheDataTypeE1ELb1ELi512EEEvPfS2_PT_PKS3_PKT0_S9_ifPKiSB_iPKfiiiSD_SD_iiiii.num_named_barrier, 0
	.set .L_ZN4vllm22paged_attention_kernelIthLi192ELi16ELi128ELNS_18Fp8KVCacheDataTypeE1ELb1ELi512EEEvPfS2_PT_PKS3_PKT0_S9_ifPKiSB_iPKfiiiSD_SD_iiiii.private_seg_size, 208
	.set .L_ZN4vllm22paged_attention_kernelIthLi192ELi16ELi128ELNS_18Fp8KVCacheDataTypeE1ELb1ELi512EEEvPfS2_PT_PKS3_PKT0_S9_ifPKiSB_iPKfiiiSD_SD_iiiii.uses_vcc, 1
	.set .L_ZN4vllm22paged_attention_kernelIthLi192ELi16ELi128ELNS_18Fp8KVCacheDataTypeE1ELb1ELi512EEEvPfS2_PT_PKS3_PKT0_S9_ifPKiSB_iPKfiiiSD_SD_iiiii.uses_flat_scratch, 1
	.set .L_ZN4vllm22paged_attention_kernelIthLi192ELi16ELi128ELNS_18Fp8KVCacheDataTypeE1ELb1ELi512EEEvPfS2_PT_PKS3_PKT0_S9_ifPKiSB_iPKfiiiSD_SD_iiiii.has_dyn_sized_stack, 0
	.set .L_ZN4vllm22paged_attention_kernelIthLi192ELi16ELi128ELNS_18Fp8KVCacheDataTypeE1ELb1ELi512EEEvPfS2_PT_PKS3_PKT0_S9_ifPKiSB_iPKfiiiSD_SD_iiiii.has_recursion, 0
	.set .L_ZN4vllm22paged_attention_kernelIthLi192ELi16ELi128ELNS_18Fp8KVCacheDataTypeE1ELb1ELi512EEEvPfS2_PT_PKS3_PKT0_S9_ifPKiSB_iPKfiiiSD_SD_iiiii.has_indirect_call, 0
	.section	.AMDGPU.csdata,"",@progbits
; Function info:
; codeLenInByte = 65548
; TotalNumSgprs: 35
; NumVgprs: 184
; ScratchSize: 208
; MemoryBound: 0
	.section	.text._ZN4vllm25paged_attention_v2_kernelIthLi192ELi16ELi128ELNS_18Fp8KVCacheDataTypeE1ELb1ELi512EEEvPfS2_PT_PKS3_PKT0_S9_ifPKiSB_iPKfiiiSD_SD_iiiii,"axG",@progbits,_ZN4vllm25paged_attention_v2_kernelIthLi192ELi16ELi128ELNS_18Fp8KVCacheDataTypeE1ELb1ELi512EEEvPfS2_PT_PKS3_PKT0_S9_ifPKiSB_iPKfiiiSD_SD_iiiii,comdat
	.protected	_ZN4vllm25paged_attention_v2_kernelIthLi192ELi16ELi128ELNS_18Fp8KVCacheDataTypeE1ELb1ELi512EEEvPfS2_PT_PKS3_PKT0_S9_ifPKiSB_iPKfiiiSD_SD_iiiii ; -- Begin function _ZN4vllm25paged_attention_v2_kernelIthLi192ELi16ELi128ELNS_18Fp8KVCacheDataTypeE1ELb1ELi512EEEvPfS2_PT_PKS3_PKT0_S9_ifPKiSB_iPKfiiiSD_SD_iiiii
	.globl	_ZN4vllm25paged_attention_v2_kernelIthLi192ELi16ELi128ELNS_18Fp8KVCacheDataTypeE1ELb1ELi512EEEvPfS2_PT_PKS3_PKT0_S9_ifPKiSB_iPKfiiiSD_SD_iiiii
	.p2align	8
	.type	_ZN4vllm25paged_attention_v2_kernelIthLi192ELi16ELi128ELNS_18Fp8KVCacheDataTypeE1ELb1ELi512EEEvPfS2_PT_PKS3_PKT0_S9_ifPKiSB_iPKfiiiSD_SD_iiiii,@function
_ZN4vllm25paged_attention_v2_kernelIthLi192ELi16ELi128ELNS_18Fp8KVCacheDataTypeE1ELb1ELi512EEEvPfS2_PT_PKS3_PKT0_S9_ifPKiSB_iPKfiiiSD_SD_iiiii: ; @_ZN4vllm25paged_attention_v2_kernelIthLi192ELi16ELi128ELNS_18Fp8KVCacheDataTypeE1ELb1ELi512EEEvPfS2_PT_PKS3_PKT0_S9_ifPKiSB_iPKfiiiSD_SD_iiiii
; %bb.0:
	s_clause 0x3
	s_load_b256 s[12:19], s[0:1], 0x68
	s_load_b32 s4, s[0:1], 0x88
	s_load_b256 s[20:27], s[0:1], 0x0
	s_load_b256 s[36:43], s[0:1], 0x20
	s_mov_b32 s32, 0
	v_mov_b32_e32 v31, v0
	s_getpc_b64 s[2:3]
	s_sext_i32_i16 s3, s3
	s_add_co_u32 s2, s2, _ZN4vllm22paged_attention_kernelIthLi192ELi16ELi128ELNS_18Fp8KVCacheDataTypeE1ELb1ELi512EEEvPfS2_PT_PKS3_PKT0_S9_ifPKiSB_iPKfiiiSD_SD_iiiii@rel32@lo+8
	s_add_co_ci_u32 s3, s3, _ZN4vllm22paged_attention_kernelIthLi192ELi16ELi128ELNS_18Fp8KVCacheDataTypeE1ELb1ELi512EEEvPfS2_PT_PKS3_PKT0_S9_ifPKiSB_iPKfiiiSD_SD_iiiii@rel32@hi+16
	s_add_nc_u64 s[8:9], s[0:1], 0x90
	s_wait_kmcnt 0x0
	v_dual_mov_b32 v1, s19 :: v_dual_mov_b32 v2, s4
	s_clause 0x2
	s_load_b96 s[4:6], s[0:1], 0x40
	s_load_b64 s[10:11], s[0:1], 0x50
	s_load_b96 s[28:30], s[0:1], 0x58
	v_dual_mov_b32 v0, s20 :: v_dual_mov_b32 v3, s23
	v_mov_b32_e32 v4, s24
	scratch_store_b64 off, v[1:2], s32
	v_dual_mov_b32 v1, s21 :: v_dual_mov_b32 v2, s22
	v_dual_mov_b32 v5, s25 :: v_dual_mov_b32 v6, s26
	v_dual_mov_b32 v7, s27 :: v_dual_mov_b32 v8, s36
	v_dual_mov_b32 v9, s37 :: v_dual_mov_b32 v10, s38
	v_dual_mov_b32 v11, s39 :: v_dual_mov_b32 v12, s40
	v_dual_mov_b32 v13, s41 :: v_dual_mov_b32 v14, s42
	s_wait_kmcnt 0x0
	v_dual_mov_b32 v15, s43 :: v_dual_mov_b32 v16, s4
	v_dual_mov_b32 v17, s5 :: v_dual_mov_b32 v18, s6
	;; [unrolled: 1-line block ×8, first 2 shown]
	s_mov_b32 s15, 7
	s_wait_alu 0xfffe
	s_swappc_b64 s[30:31], s[2:3]
	s_endpgm
	.section	.rodata,"a",@progbits
	.p2align	6, 0x0
	.amdhsa_kernel _ZN4vllm25paged_attention_v2_kernelIthLi192ELi16ELi128ELNS_18Fp8KVCacheDataTypeE1ELb1ELi512EEEvPfS2_PT_PKS3_PKT0_S9_ifPKiSB_iPKfiiiSD_SD_iiiii
		.amdhsa_group_segment_fixed_size 416
		.amdhsa_private_segment_fixed_size 208
		.amdhsa_kernarg_size 400
		.amdhsa_user_sgpr_count 2
		.amdhsa_user_sgpr_dispatch_ptr 0
		.amdhsa_user_sgpr_queue_ptr 0
		.amdhsa_user_sgpr_kernarg_segment_ptr 1
		.amdhsa_user_sgpr_dispatch_id 0
		.amdhsa_user_sgpr_private_segment_size 0
		.amdhsa_wavefront_size32 1
		.amdhsa_uses_dynamic_stack 0
		.amdhsa_enable_private_segment 1
		.amdhsa_system_sgpr_workgroup_id_x 1
		.amdhsa_system_sgpr_workgroup_id_y 1
		.amdhsa_system_sgpr_workgroup_id_z 1
		.amdhsa_system_sgpr_workgroup_info 0
		.amdhsa_system_vgpr_workitem_id 0
		.amdhsa_next_free_vgpr 184
		.amdhsa_next_free_sgpr 44
		.amdhsa_reserve_vcc 1
		.amdhsa_float_round_mode_32 0
		.amdhsa_float_round_mode_16_64 0
		.amdhsa_float_denorm_mode_32 3
		.amdhsa_float_denorm_mode_16_64 3
		.amdhsa_fp16_overflow 0
		.amdhsa_workgroup_processor_mode 1
		.amdhsa_memory_ordered 1
		.amdhsa_forward_progress 1
		.amdhsa_inst_pref_size 3
		.amdhsa_round_robin_scheduling 0
		.amdhsa_exception_fp_ieee_invalid_op 0
		.amdhsa_exception_fp_denorm_src 0
		.amdhsa_exception_fp_ieee_div_zero 0
		.amdhsa_exception_fp_ieee_overflow 0
		.amdhsa_exception_fp_ieee_underflow 0
		.amdhsa_exception_fp_ieee_inexact 0
		.amdhsa_exception_int_div_zero 0
	.end_amdhsa_kernel
	.section	.text._ZN4vllm25paged_attention_v2_kernelIthLi192ELi16ELi128ELNS_18Fp8KVCacheDataTypeE1ELb1ELi512EEEvPfS2_PT_PKS3_PKT0_S9_ifPKiSB_iPKfiiiSD_SD_iiiii,"axG",@progbits,_ZN4vllm25paged_attention_v2_kernelIthLi192ELi16ELi128ELNS_18Fp8KVCacheDataTypeE1ELb1ELi512EEEvPfS2_PT_PKS3_PKT0_S9_ifPKiSB_iPKfiiiSD_SD_iiiii,comdat
.Lfunc_end269:
	.size	_ZN4vllm25paged_attention_v2_kernelIthLi192ELi16ELi128ELNS_18Fp8KVCacheDataTypeE1ELb1ELi512EEEvPfS2_PT_PKS3_PKT0_S9_ifPKiSB_iPKfiiiSD_SD_iiiii, .Lfunc_end269-_ZN4vllm25paged_attention_v2_kernelIthLi192ELi16ELi128ELNS_18Fp8KVCacheDataTypeE1ELb1ELi512EEEvPfS2_PT_PKS3_PKT0_S9_ifPKiSB_iPKfiiiSD_SD_iiiii
                                        ; -- End function
	.set _ZN4vllm25paged_attention_v2_kernelIthLi192ELi16ELi128ELNS_18Fp8KVCacheDataTypeE1ELb1ELi512EEEvPfS2_PT_PKS3_PKT0_S9_ifPKiSB_iPKfiiiSD_SD_iiiii.num_vgpr, max(32, .L_ZN4vllm22paged_attention_kernelIthLi192ELi16ELi128ELNS_18Fp8KVCacheDataTypeE1ELb1ELi512EEEvPfS2_PT_PKS3_PKT0_S9_ifPKiSB_iPKfiiiSD_SD_iiiii.num_vgpr)
	.set _ZN4vllm25paged_attention_v2_kernelIthLi192ELi16ELi128ELNS_18Fp8KVCacheDataTypeE1ELb1ELi512EEEvPfS2_PT_PKS3_PKT0_S9_ifPKiSB_iPKfiiiSD_SD_iiiii.num_agpr, max(0, .L_ZN4vllm22paged_attention_kernelIthLi192ELi16ELi128ELNS_18Fp8KVCacheDataTypeE1ELb1ELi512EEEvPfS2_PT_PKS3_PKT0_S9_ifPKiSB_iPKfiiiSD_SD_iiiii.num_agpr)
	.set _ZN4vllm25paged_attention_v2_kernelIthLi192ELi16ELi128ELNS_18Fp8KVCacheDataTypeE1ELb1ELi512EEEvPfS2_PT_PKS3_PKT0_S9_ifPKiSB_iPKfiiiSD_SD_iiiii.numbered_sgpr, max(44, .L_ZN4vllm22paged_attention_kernelIthLi192ELi16ELi128ELNS_18Fp8KVCacheDataTypeE1ELb1ELi512EEEvPfS2_PT_PKS3_PKT0_S9_ifPKiSB_iPKfiiiSD_SD_iiiii.numbered_sgpr)
	.set _ZN4vllm25paged_attention_v2_kernelIthLi192ELi16ELi128ELNS_18Fp8KVCacheDataTypeE1ELb1ELi512EEEvPfS2_PT_PKS3_PKT0_S9_ifPKiSB_iPKfiiiSD_SD_iiiii.num_named_barrier, max(0, .L_ZN4vllm22paged_attention_kernelIthLi192ELi16ELi128ELNS_18Fp8KVCacheDataTypeE1ELb1ELi512EEEvPfS2_PT_PKS3_PKT0_S9_ifPKiSB_iPKfiiiSD_SD_iiiii.num_named_barrier)
	.set _ZN4vllm25paged_attention_v2_kernelIthLi192ELi16ELi128ELNS_18Fp8KVCacheDataTypeE1ELb1ELi512EEEvPfS2_PT_PKS3_PKT0_S9_ifPKiSB_iPKfiiiSD_SD_iiiii.private_seg_size, 0+max(.L_ZN4vllm22paged_attention_kernelIthLi192ELi16ELi128ELNS_18Fp8KVCacheDataTypeE1ELb1ELi512EEEvPfS2_PT_PKS3_PKT0_S9_ifPKiSB_iPKfiiiSD_SD_iiiii.private_seg_size)
	.set _ZN4vllm25paged_attention_v2_kernelIthLi192ELi16ELi128ELNS_18Fp8KVCacheDataTypeE1ELb1ELi512EEEvPfS2_PT_PKS3_PKT0_S9_ifPKiSB_iPKfiiiSD_SD_iiiii.uses_vcc, or(1, .L_ZN4vllm22paged_attention_kernelIthLi192ELi16ELi128ELNS_18Fp8KVCacheDataTypeE1ELb1ELi512EEEvPfS2_PT_PKS3_PKT0_S9_ifPKiSB_iPKfiiiSD_SD_iiiii.uses_vcc)
	.set _ZN4vllm25paged_attention_v2_kernelIthLi192ELi16ELi128ELNS_18Fp8KVCacheDataTypeE1ELb1ELi512EEEvPfS2_PT_PKS3_PKT0_S9_ifPKiSB_iPKfiiiSD_SD_iiiii.uses_flat_scratch, or(0, .L_ZN4vllm22paged_attention_kernelIthLi192ELi16ELi128ELNS_18Fp8KVCacheDataTypeE1ELb1ELi512EEEvPfS2_PT_PKS3_PKT0_S9_ifPKiSB_iPKfiiiSD_SD_iiiii.uses_flat_scratch)
	.set _ZN4vllm25paged_attention_v2_kernelIthLi192ELi16ELi128ELNS_18Fp8KVCacheDataTypeE1ELb1ELi512EEEvPfS2_PT_PKS3_PKT0_S9_ifPKiSB_iPKfiiiSD_SD_iiiii.has_dyn_sized_stack, or(0, .L_ZN4vllm22paged_attention_kernelIthLi192ELi16ELi128ELNS_18Fp8KVCacheDataTypeE1ELb1ELi512EEEvPfS2_PT_PKS3_PKT0_S9_ifPKiSB_iPKfiiiSD_SD_iiiii.has_dyn_sized_stack)
	.set _ZN4vllm25paged_attention_v2_kernelIthLi192ELi16ELi128ELNS_18Fp8KVCacheDataTypeE1ELb1ELi512EEEvPfS2_PT_PKS3_PKT0_S9_ifPKiSB_iPKfiiiSD_SD_iiiii.has_recursion, or(0, .L_ZN4vllm22paged_attention_kernelIthLi192ELi16ELi128ELNS_18Fp8KVCacheDataTypeE1ELb1ELi512EEEvPfS2_PT_PKS3_PKT0_S9_ifPKiSB_iPKfiiiSD_SD_iiiii.has_recursion)
	.set _ZN4vllm25paged_attention_v2_kernelIthLi192ELi16ELi128ELNS_18Fp8KVCacheDataTypeE1ELb1ELi512EEEvPfS2_PT_PKS3_PKT0_S9_ifPKiSB_iPKfiiiSD_SD_iiiii.has_indirect_call, or(0, .L_ZN4vllm22paged_attention_kernelIthLi192ELi16ELi128ELNS_18Fp8KVCacheDataTypeE1ELb1ELi512EEEvPfS2_PT_PKS3_PKT0_S9_ifPKiSB_iPKfiiiSD_SD_iiiii.has_indirect_call)
	.section	.AMDGPU.csdata,"",@progbits
; Kernel info:
; codeLenInByte = 272
; TotalNumSgprs: 46
; NumVgprs: 184
; ScratchSize: 208
; MemoryBound: 0
; FloatMode: 240
; IeeeMode: 1
; LDSByteSize: 416 bytes/workgroup (compile time only)
; SGPRBlocks: 0
; VGPRBlocks: 22
; NumSGPRsForWavesPerEU: 46
; NumVGPRsForWavesPerEU: 184
; Occupancy: 8
; WaveLimiterHint : 1
; COMPUTE_PGM_RSRC2:SCRATCH_EN: 1
; COMPUTE_PGM_RSRC2:USER_SGPR: 2
; COMPUTE_PGM_RSRC2:TRAP_HANDLER: 0
; COMPUTE_PGM_RSRC2:TGID_X_EN: 1
; COMPUTE_PGM_RSRC2:TGID_Y_EN: 1
; COMPUTE_PGM_RSRC2:TGID_Z_EN: 1
; COMPUTE_PGM_RSRC2:TIDIG_COMP_CNT: 0
	.text
	.p2align	2                               ; -- Begin function _ZN4vllm22paged_attention_kernelIthLi256ELi16ELi128ELNS_18Fp8KVCacheDataTypeE1ELb1ELi512EEEvPfS2_PT_PKS3_PKT0_S9_ifPKiSB_iPKfiiiSD_SD_iiiii
	.type	_ZN4vllm22paged_attention_kernelIthLi256ELi16ELi128ELNS_18Fp8KVCacheDataTypeE1ELb1ELi512EEEvPfS2_PT_PKS3_PKT0_S9_ifPKiSB_iPKfiiiSD_SD_iiiii,@function
_ZN4vllm22paged_attention_kernelIthLi256ELi16ELi128ELNS_18Fp8KVCacheDataTypeE1ELb1ELi512EEEvPfS2_PT_PKS3_PKT0_S9_ifPKiSB_iPKfiiiSD_SD_iiiii: ; @_ZN4vllm22paged_attention_kernelIthLi256ELi16ELi128ELNS_18Fp8KVCacheDataTypeE1ELb1ELi512EEEvPfS2_PT_PKS3_PKT0_S9_ifPKiSB_iPKfiiiSD_SD_iiiii
; %bb.0:
	s_wait_loadcnt_dscnt 0x0
	s_wait_expcnt 0x0
	s_wait_samplecnt 0x0
	s_wait_bvhcnt 0x0
	s_wait_kmcnt 0x0
	s_clause 0x1f
	scratch_store_b32 off, v40, s32 offset:320
	; meta instruction
	scratch_store_b32 off, v41, s32 offset:316
	; meta instruction
	scratch_store_b32 off, v42, s32 offset:312
	; meta instruction
	scratch_store_b32 off, v43, s32 offset:308
	; meta instruction
	scratch_store_b32 off, v44, s32 offset:304
	; meta instruction
	scratch_store_b32 off, v45, s32 offset:300
	; meta instruction
	scratch_store_b32 off, v46, s32 offset:296
	; meta instruction
	scratch_store_b32 off, v47, s32 offset:292
	; meta instruction
	scratch_store_b32 off, v56, s32 offset:288
	; meta instruction
	scratch_store_b32 off, v57, s32 offset:284
	; meta instruction
	scratch_store_b32 off, v58, s32 offset:280
	; meta instruction
	scratch_store_b32 off, v59, s32 offset:276
	; meta instruction
	scratch_store_b32 off, v60, s32 offset:272
	; meta instruction
	scratch_store_b32 off, v61, s32 offset:268
	; meta instruction
	scratch_store_b32 off, v62, s32 offset:264
	; meta instruction
	scratch_store_b32 off, v63, s32 offset:260
	; meta instruction
	scratch_store_b32 off, v72, s32 offset:256
	; meta instruction
	scratch_store_b32 off, v73, s32 offset:252
	; meta instruction
	scratch_store_b32 off, v74, s32 offset:248
	; meta instruction
	scratch_store_b32 off, v75, s32 offset:244
	; meta instruction
	scratch_store_b32 off, v76, s32 offset:240
	; meta instruction
	scratch_store_b32 off, v77, s32 offset:236
	; meta instruction
	scratch_store_b32 off, v78, s32 offset:232
	; meta instruction
	scratch_store_b32 off, v79, s32 offset:228
	; meta instruction
	scratch_store_b32 off, v88, s32 offset:224
	; meta instruction
	scratch_store_b32 off, v89, s32 offset:220
	; meta instruction
	scratch_store_b32 off, v90, s32 offset:216
	; meta instruction
	scratch_store_b32 off, v91, s32 offset:212
	; meta instruction
	scratch_store_b32 off, v92, s32 offset:208
	; meta instruction
	scratch_store_b32 off, v93, s32 offset:204
	; meta instruction
	scratch_store_b32 off, v94, s32 offset:200
	; meta instruction
	scratch_store_b32 off, v95, s32 offset:196
	s_clause 0x1f
	scratch_store_b32 off, v104, s32 offset:192
	; meta instruction
	scratch_store_b32 off, v105, s32 offset:188
	; meta instruction
	;; [unrolled: 2-line block ×31, first 2 shown]
	scratch_store_b32 off, v159, s32 offset:68
	s_clause 0xe
	scratch_store_b32 off, v168, s32 offset:64
	; meta instruction
	scratch_store_b32 off, v169, s32 offset:60
	; meta instruction
	;; [unrolled: 2-line block ×14, first 2 shown]
	scratch_store_b32 off, v190, s32 offset:8
	s_and_b32 s14, ttmp7, 0xffff
	s_lshr_b32 s5, ttmp7, 16
	s_wait_alu 0xfffe
	s_lshl_b32 s0, s14, 2
	s_lshl_b32 s13, s5, 9
	s_wait_alu 0xfffe
	v_add_co_u32 v16, vcc_lo, v16, s0
	s_wait_alu 0xfffd
	v_add_co_ci_u32_e64 v17, null, 0, v17, vcc_lo
	s_mov_b32 s12, exec_lo
	flat_load_b32 v34, v[16:17]
	s_clause 0x1
	scratch_load_b32 v36, off, s32 offset:4
	scratch_load_b32 v38, off, s32
	s_wait_loadcnt_dscnt 0x200
	v_cmpx_lt_i32_e64 s13, v34
	s_cbranch_execz .LBB270_2168
; %bb.1:
	v_mov_b32_e32 v55, 0
	v_sub_nc_u32_e32 v16, 0, v12
	s_clause 0x1
	s_load_u16 s0, s[8:9], 0x12
	s_load_b32 s1, s[8:9], 0x0
	s_mov_b32 s10, s15
	global_load_u16 v33, v55, s[8:9] offset:22
	v_max_i32_e32 v16, v12, v16
	s_delay_alu instid0(VALU_DEP_1) | instskip(SKIP_1) | instid1(VALU_DEP_2)
	v_cvt_f32_u32_e32 v17, v16
	v_sub_nc_u32_e32 v32, 0, v16
	v_rcp_iflag_f32_e32 v17, v17
	s_wait_kmcnt 0x0
	s_cmp_lg_u32 s0, 0
	s_cselect_b32 s0, -1, 0
	s_delay_alu instid0(TRANS32_DEP_1)
	v_mul_f32_e32 v17, 0x4f7ffffe, v17
	s_wait_alu 0xfffe
	s_cmp_lg_u32 s0, 0
	s_add_co_ci_u32 s15, s1, 0
	s_abs_i32 s1, ttmp9
	v_cvt_u32_f32_e32 v17, v17
	s_wait_alu 0xfffe
	s_abs_i32 s0, s15
	s_delay_alu instid0(VALU_DEP_1) | instskip(NEXT) | instid1(VALU_DEP_1)
	v_mul_lo_u32 v32, v32, v17
	v_mul_hi_u32 v32, v17, v32
	s_delay_alu instid0(VALU_DEP_1) | instskip(SKIP_1) | instid1(VALU_DEP_1)
	v_add_nc_u32_e32 v17, v17, v32
	s_wait_alu 0xfffe
	v_mul_hi_u32 v17, s0, v17
	s_delay_alu instid0(VALU_DEP_1) | instskip(SKIP_1) | instid1(VALU_DEP_2)
	v_mul_lo_u32 v32, v17, v16
	v_add_nc_u32_e32 v35, 1, v17
	v_sub_nc_u32_e32 v32, s0, v32
	s_mov_b32 s0, exec_lo
	s_delay_alu instid0(VALU_DEP_1) | instskip(SKIP_2) | instid1(VALU_DEP_2)
	v_sub_nc_u32_e32 v37, v32, v16
	v_cmp_ge_u32_e32 vcc_lo, v32, v16
	s_wait_alu 0xfffd
	v_dual_cndmask_b32 v17, v17, v35 :: v_dual_cndmask_b32 v32, v32, v37
	v_xor_b32_e32 v35, s15, v12
	s_delay_alu instid0(VALU_DEP_2) | instskip(NEXT) | instid1(VALU_DEP_3)
	v_add_nc_u32_e32 v37, 1, v17
	v_cmp_ge_u32_e32 vcc_lo, v32, v16
	s_delay_alu instid0(VALU_DEP_3) | instskip(SKIP_1) | instid1(VALU_DEP_3)
	v_ashrrev_i32_e32 v35, 31, v35
	s_wait_alu 0xfffd
	v_cndmask_b32_e32 v16, v17, v37, vcc_lo
	s_delay_alu instid0(VALU_DEP_1) | instskip(NEXT) | instid1(VALU_DEP_1)
	v_xor_b32_e32 v16, v16, v35
	v_sub_nc_u32_e32 v32, v16, v35
	s_delay_alu instid0(VALU_DEP_1) | instskip(NEXT) | instid1(VALU_DEP_1)
	v_sub_nc_u32_e32 v16, 0, v32
	v_max_i32_e32 v37, v32, v16
	s_delay_alu instid0(VALU_DEP_1) | instskip(SKIP_1) | instid1(VALU_DEP_2)
	v_cvt_f32_u32_e32 v16, v37
	v_sub_nc_u32_e32 v17, 0, v37
	v_rcp_iflag_f32_e32 v16, v16
	s_delay_alu instid0(TRANS32_DEP_1) | instskip(NEXT) | instid1(VALU_DEP_1)
	v_mul_f32_e32 v16, 0x4f7ffffe, v16
	v_cvt_u32_f32_e32 v16, v16
	s_delay_alu instid0(VALU_DEP_1) | instskip(NEXT) | instid1(VALU_DEP_1)
	v_mul_lo_u32 v17, v17, v16
	v_mul_hi_u32 v17, v16, v17
	s_delay_alu instid0(VALU_DEP_1) | instskip(NEXT) | instid1(VALU_DEP_1)
	v_add_nc_u32_e32 v16, v16, v17
	v_mad_co_u64_u32 v[16:17], null, s1, v16, 0
	s_wait_loadcnt 0x0
	v_readfirstlane_b32 s16, v33
	v_cmpx_ne_u64_e32 0, v[19:20]
	s_cbranch_execz .LBB270_3
; %bb.2:
	s_wait_alu 0xfffe
	s_mov_b32 s2, ttmp9
	s_ashr_i32 s3, ttmp9, 31
	s_wait_alu 0xfffe
	s_lshl_b64 s[2:3], s[2:3], 2
	s_wait_alu 0xfffe
	v_add_co_u32 v19, vcc_lo, v19, s2
	s_wait_alu 0xfffd
	v_add_co_ci_u32_e64 v20, null, s3, v20, vcc_lo
	flat_load_b32 v55, v[19:20]
.LBB270_3:
	s_wait_alu 0xfffe
	s_or_b32 exec_lo, exec_lo, s0
	v_and_b32_e32 v33, 0x3ff, v31
	v_ashrrev_i32_e32 v16, 31, v32
	v_bfe_u32 v32, v31, 1, 9
	v_and_b32_e32 v31, 1, v31
	s_ashr_i32 s2, ttmp9, 31
	v_cmp_gt_u32_e64 s0, 64, v33
	v_lshlrev_b32_e32 v50, 3, v33
	s_lshl_b32 s6, ttmp9, 8
	s_and_saveexec_b32 s3, s0
	s_cbranch_execz .LBB270_5
; %bb.4:
	v_mul_lo_u32 v19, v21, s14
	s_wait_alu 0xfffe
	s_ashr_i32 s7, s6, 31
	s_wait_alu 0xfffe
	s_lshl_b64 s[18:19], s[6:7], 1
	s_delay_alu instid0(VALU_DEP_1) | instskip(NEXT) | instid1(VALU_DEP_1)
	v_ashrrev_i32_e32 v20, 31, v19
	v_lshlrev_b64_e32 v[19:20], 1, v[19:20]
	s_delay_alu instid0(VALU_DEP_1) | instskip(SKIP_1) | instid1(VALU_DEP_2)
	v_add_co_u32 v6, vcc_lo, v6, v19
	s_wait_alu 0xfffd
	v_add_co_ci_u32_e64 v7, null, v7, v20, vcc_lo
	v_lshlrev_b32_e32 v19, 3, v32
	s_wait_alu 0xfffe
	v_add_co_u32 v6, vcc_lo, v6, s18
	s_wait_alu 0xfffd
	v_add_co_ci_u32_e64 v7, null, s19, v7, vcc_lo
	v_lshl_add_u32 v19, v31, 8, v19
	s_delay_alu instid0(VALU_DEP_3) | instskip(SKIP_1) | instid1(VALU_DEP_3)
	v_add_co_u32 v6, vcc_lo, v6, v50
	s_wait_alu 0xfffd
	v_add_co_ci_u32_e64 v7, null, 0, v7, vcc_lo
	flat_load_b64 v[6:7], v[6:7]
	s_wait_loadcnt_dscnt 0x0
	ds_store_b64 v19, v[6:7]
.LBB270_5:
	s_wait_alu 0xfffe
	s_or_b32 exec_lo, exec_lo, s3
	v_sub_nc_u32_e32 v6, 0, v38
	v_mul_lo_u32 v7, v17, v37
	v_add_nc_u32_e32 v20, 1, v17
	v_xor_b32_e32 v48, s2, v16
	s_wait_storecnt 0x0
	s_wait_loadcnt_dscnt 0x0
	v_max_i32_e32 v35, v38, v6
	s_barrier_signal -1
	s_barrier_wait -1
	global_inv scope:SCOPE_SE
	v_sub_nc_u32_e32 v19, s1, v7
	v_cvt_f32_u32_e32 v6, v35
	v_sub_nc_u32_e32 v7, 0, v35
	s_mov_b32 s1, exec_lo
	s_delay_alu instid0(VALU_DEP_3) | instskip(NEXT) | instid1(VALU_DEP_3)
	v_cmp_ge_u32_e32 vcc_lo, v19, v37
	v_rcp_iflag_f32_e32 v6, v6
	v_sub_nc_u32_e32 v21, v19, v37
	s_wait_alu 0xfffd
	v_cndmask_b32_e32 v17, v17, v20, vcc_lo
	s_delay_alu instid0(VALU_DEP_2) | instskip(NEXT) | instid1(VALU_DEP_2)
	v_cndmask_b32_e32 v19, v19, v21, vcc_lo
	v_add_nc_u32_e32 v20, 1, v17
	s_delay_alu instid0(TRANS32_DEP_1) | instskip(NEXT) | instid1(VALU_DEP_3)
	v_mul_f32_e32 v6, 0x4f7ffffe, v6
	v_cmp_ge_u32_e32 vcc_lo, v19, v37
	s_delay_alu instid0(VALU_DEP_2) | instskip(SKIP_2) | instid1(VALU_DEP_2)
	v_cvt_u32_f32_e32 v6, v6
	s_wait_alu 0xfffd
	v_cndmask_b32_e32 v16, v17, v20, vcc_lo
	v_mul_lo_u32 v39, v7, v6
	v_add_nc_u32_e32 v7, -1, v34
	s_delay_alu instid0(VALU_DEP_2) | instskip(NEXT) | instid1(VALU_DEP_2)
	v_mul_hi_u32 v21, v6, v39
	v_sub_nc_u32_e32 v39, 0, v7
	s_delay_alu instid0(VALU_DEP_1) | instskip(NEXT) | instid1(VALU_DEP_3)
	v_max_i32_e32 v19, v7, v39
	v_add_nc_u32_e32 v37, v6, v21
	v_xor_b32_e32 v6, v16, v48
	s_delay_alu instid0(VALU_DEP_2) | instskip(NEXT) | instid1(VALU_DEP_2)
	v_mad_co_u64_u32 v[16:17], null, v19, v37, 0
	v_sub_nc_u32_e32 v16, v6, v48
                                        ; implicit-def: $vgpr6
	v_cmpx_gt_i32_e32 0, v36
	s_wait_alu 0xfffe
	s_xor_b32 s1, exec_lo, s1
; %bb.6:
	s_delay_alu instid0(VALU_DEP_2) | instskip(NEXT) | instid1(VALU_DEP_1)
	v_mad_co_u64_u32 v[20:21], null, v28, v12, v[16:17]
                                        ; implicit-def: $vgpr28
	v_mul_lo_u32 v6, v20, v36
                                        ; implicit-def: $vgpr36
	s_delay_alu instid0(VALU_DEP_1)
	v_sub_nc_u32_e32 v6, 1, v6
; %bb.7:
	s_wait_alu 0xfffe
	s_or_saveexec_b32 s1, s1
	v_ashrrev_i32_e32 v12, 31, v7
	v_ashrrev_i32_e32 v38, 31, v38
	s_wait_alu 0xfffe
	s_xor_b32 exec_lo, exec_lo, s1
; %bb.8:
	s_mov_b32 s2, ttmp9
	s_wait_alu 0xfffe
	v_mad_co_u64_u32 v[6:7], null, s15, v28, s[2:3]
	s_delay_alu instid0(VALU_DEP_1)
	v_mad_co_u64_u32 v[6:7], null, v6, v36, 1
; %bb.9:
	s_or_b32 exec_lo, exec_lo, s1
	v_mul_lo_u32 v7, v17, v35
	v_lshrrev_b32_e32 v36, 5, v33
	s_lshl_b32 s17, s5, 5
	v_mul_lo_u32 v52, v16, v23
	s_load_b32 s7, s[8:9], 0x8
	v_xor_b32_e32 v12, v12, v38
	v_or_b32_e32 v23, s17, v36
	v_mul_lo_u32 v18, v18, s14
	v_sub_nc_u32_e32 v7, v19, v7
	v_add_nc_u32_e32 v19, 1, v17
	s_add_co_i32 s1, s17, 32
	v_mov_b32_e32 v67, 0xff7fffff
	v_sub_nc_u32_e32 v53, 0, v30
	v_sub_nc_u32_e32 v28, v7, v35
	v_cmp_ge_u32_e32 vcc_lo, v7, v35
	v_add_nc_u32_e32 v20, 15, v34
	v_lshl_add_u32 v39, v36, 4, s13
	v_ashrrev_i32_e32 v54, 31, v52
	v_mbcnt_lo_u32_b32 v64, -1, 0
	s_wait_alu 0xfffd
	v_cndmask_b32_e32 v17, v17, v19, vcc_lo
	v_ashrrev_i32_e32 v21, 31, v20
	v_cndmask_b32_e32 v7, v7, v28, vcc_lo
	s_delay_alu instid0(VALU_DEP_2) | instskip(NEXT) | instid1(VALU_DEP_4)
	v_lshrrev_b32_e32 v19, 28, v21
	v_add_nc_u32_e32 v21, 1, v17
	s_delay_alu instid0(VALU_DEP_3) | instskip(NEXT) | instid1(VALU_DEP_3)
	v_cmp_ge_u32_e32 vcc_lo, v7, v35
	v_add_nc_u32_e32 v19, v20, v19
	s_wait_alu 0xfffd
	s_delay_alu instid0(VALU_DEP_3) | instskip(NEXT) | instid1(VALU_DEP_2)
	v_cndmask_b32_e32 v7, v17, v21, vcc_lo
	v_ashrrev_i32_e32 v51, 4, v19
	v_ashrrev_i32_e32 v19, 31, v18
	s_delay_alu instid0(VALU_DEP_3) | instskip(SKIP_1) | instid1(VALU_DEP_3)
	v_xor_b32_e32 v7, v7, v12
	s_wait_alu 0xfffe
	v_min_i32_e32 v48, s1, v51
	s_delay_alu instid0(VALU_DEP_3) | instskip(NEXT) | instid1(VALU_DEP_3)
	v_lshlrev_b64_e32 v[16:17], 2, v[18:19]
	v_sub_nc_u32_e32 v7, v7, v12
	v_lshlrev_b32_e32 v12, 2, v23
	s_delay_alu instid0(VALU_DEP_4) | instskip(NEXT) | instid1(VALU_DEP_3)
	v_cmp_lt_i32_e64 s1, v23, v48
	v_sub_nc_u32_e32 v49, v7, v29
	s_and_saveexec_b32 s18, s1
	s_cbranch_execz .LBB270_1045
; %bb.10:
	v_max_i32_e32 v65, v30, v53
	v_bfe_u32 v66, v33, 1, 4
	s_ashr_i32 s11, s10, 31
	s_getpc_b64 s[8:9]
	s_wait_alu 0xfffe
	s_sext_i32_i16 s9, s9
	s_add_co_u32 s8, s8, llvm.amdgcn.dynlds.offset.table@rel32@lo+12
	s_wait_alu 0xfffe
	s_add_co_ci_u32 s9, s9, llvm.amdgcn.dynlds.offset.table@rel32@hi+24
	s_lshl_b64 s[20:21], s[10:11], 2
	v_cvt_f32_u32_e32 v7, v65
	v_sub_nc_u32_e32 v80, v66, v34
	v_sub_nc_u32_e32 v28, 0, v65
	s_wait_alu 0xfffe
	s_add_nc_u64 s[8:9], s[8:9], s[20:21]
	v_add_co_u32 v18, s3, v16, v12
	v_rcp_iflag_f32_e32 v7, v7
	s_load_b32 s11, s[8:9], 0x0
	v_add_co_u32 v20, s2, v8, v52
	v_add_co_ci_u32_e64 v19, null, 0, v17, s3
	v_dual_mov_b32 v70, 0xff7fffff :: v_dual_lshlrev_b32 v29, 4, v66
	s_wait_alu 0xf1ff
	v_add_co_ci_u32_e64 v9, null, v9, v54, s2
	s_delay_alu instid0(TRANS32_DEP_1) | instskip(SKIP_2) | instid1(VALU_DEP_3)
	v_dual_mul_f32 v7, 0x4f7ffffe, v7 :: v_dual_add_nc_u32 v80, 1, v80
	v_add_co_u32 v18, s3, v14, v18
	v_dual_mov_b32 v8, 0 :: v_dual_lshlrev_b32 v21, 2, v31
	v_cvt_u32_f32_e32 v7, v7
	s_wait_alu 0xf1ff
	v_add_co_ci_u32_e64 v19, null, v15, v19, s3
	v_add_co_u32 v20, s3, v20, v29
	s_delay_alu instid0(VALU_DEP_3)
	v_mul_lo_u32 v28, v28, v7
	v_dual_mov_b32 v82, v23 :: v_dual_lshlrev_b32 v67, 2, v66
	s_wait_alu 0xf1ff
	v_add_co_ci_u32_e64 v9, null, 0, v9, s3
	v_add_co_u32 v20, s3, v20, v21
	v_lshlrev_b32_e32 v68, 8, v31
	v_mul_hi_u32 v28, v7, v28
	v_cmp_neq_f32_e64 s2, 0, v55
	v_lshl_add_u32 v69, v36, 4, s13
	v_lshl_or_b32 v71, v36, 6, v67
	s_wait_alu 0xf1ff
	v_add_co_ci_u32_e64 v21, null, 0, v9, s3
	v_mov_b32_e32 v67, 0xff7fffff
	s_mov_b32 s19, 0
	v_add_nc_u32_e32 v81, v7, v28
	v_cmp_eq_u32_e32 vcc_lo, 0, v31
	s_branch .LBB270_13
.LBB270_11:                             ;   in Loop: Header=BB270_13 Depth=1
	s_wait_alu 0xfffe
	s_or_b32 exec_lo, exec_lo, s20
.LBB270_12:                             ;   in Loop: Header=BB270_13 Depth=1
	s_wait_alu 0xfffe
	s_or_b32 exec_lo, exec_lo, s4
	v_add_nc_u32_e32 v82, 4, v82
	v_add_co_u32 v18, s4, v18, 16
	s_wait_alu 0xf1ff
	v_add_co_ci_u32_e64 v19, null, 0, v19, s4
	s_delay_alu instid0(VALU_DEP_3)
	v_cmp_ge_i32_e64 s3, v82, v48
	v_add_nc_u32_e32 v69, 64, v69
	v_add_nc_u32_e32 v71, 0x100, v71
	s_or_b32 s19, s3, s19
	s_wait_alu 0xfffe
	s_and_not1_b32 exec_lo, exec_lo, s19
	s_cbranch_execz .LBB270_1044
.LBB270_13:                             ; =>This Inner Loop Header: Depth=1
	v_sub_nc_u32_e32 v7, 0, v69
	s_delay_alu instid0(VALU_DEP_1) | instskip(SKIP_1) | instid1(VALU_DEP_1)
	v_max_i32_e32 v7, v69, v7
	s_wait_dscnt 0x0
	v_mul_hi_u32 v9, v7, v37
	s_delay_alu instid0(VALU_DEP_1) | instskip(NEXT) | instid1(VALU_DEP_1)
	v_mul_lo_u32 v28, v9, v35
	v_sub_nc_u32_e32 v7, v7, v28
	v_add_nc_u32_e32 v28, 1, v9
	s_delay_alu instid0(VALU_DEP_2) | instskip(SKIP_2) | instid1(VALU_DEP_1)
	v_sub_nc_u32_e32 v29, v7, v35
	v_cmp_ge_u32_e64 s3, v7, v35
	s_wait_alu 0xf1ff
	v_cndmask_b32_e64 v9, v9, v28, s3
	s_delay_alu instid0(VALU_DEP_3) | instskip(SKIP_1) | instid1(VALU_DEP_3)
	v_cndmask_b32_e64 v7, v7, v29, s3
	v_ashrrev_i32_e32 v28, 31, v69
	v_add_nc_u32_e32 v29, 1, v9
	s_delay_alu instid0(VALU_DEP_3) | instskip(NEXT) | instid1(VALU_DEP_3)
	v_cmp_ge_u32_e64 s3, v7, v35
	v_xor_b32_e32 v28, v28, v38
	s_wait_alu 0xf1ff
	s_delay_alu instid0(VALU_DEP_2) | instskip(NEXT) | instid1(VALU_DEP_1)
	v_cndmask_b32_e64 v7, v9, v29, s3
	v_xor_b32_e32 v7, v7, v28
	s_delay_alu instid0(VALU_DEP_1) | instskip(NEXT) | instid1(VALU_DEP_1)
	v_sub_nc_u32_e32 v7, v7, v28
	v_add_nc_u32_e32 v9, v7, v6
	v_cmp_le_i32_e64 s4, v7, v49
	s_delay_alu instid0(VALU_DEP_2) | instskip(NEXT) | instid1(VALU_DEP_1)
	v_sub_nc_u32_e32 v28, 0, v9
	v_max_i32_e32 v28, v9, v28
	v_ashrrev_i32_e32 v9, 31, v9
	s_delay_alu instid0(VALU_DEP_2) | instskip(NEXT) | instid1(VALU_DEP_1)
	v_mul_hi_u32 v29, v28, v81
	v_mul_lo_u32 v29, v29, v65
	s_delay_alu instid0(VALU_DEP_1) | instskip(NEXT) | instid1(VALU_DEP_1)
	v_sub_nc_u32_e32 v28, v28, v29
	v_sub_nc_u32_e32 v29, v28, v65
	v_cmp_ge_u32_e64 s3, v28, v65
	s_wait_alu 0xf1ff
	s_delay_alu instid0(VALU_DEP_1) | instskip(NEXT) | instid1(VALU_DEP_1)
	v_cndmask_b32_e64 v28, v28, v29, s3
	v_sub_nc_u32_e32 v29, v28, v65
	v_cmp_ge_u32_e64 s3, v28, v65
	s_wait_alu 0xf1ff
	s_delay_alu instid0(VALU_DEP_1) | instskip(NEXT) | instid1(VALU_DEP_1)
	v_cndmask_b32_e64 v28, v28, v29, s3
	v_xor_b32_e32 v28, v28, v9
	s_delay_alu instid0(VALU_DEP_1) | instskip(NEXT) | instid1(VALU_DEP_1)
	v_sub_nc_u32_e32 v9, v28, v9
	v_cmp_ne_u32_e64 s3, 0, v9
	s_and_b32 s3, s3, s4
	s_wait_alu 0xfffe
	s_and_saveexec_b32 s4, s3
	s_wait_alu 0xfffe
	s_xor_b32 s3, exec_lo, s4
	s_cbranch_execz .LBB270_17
; %bb.14:                               ;   in Loop: Header=BB270_13 Depth=1
	s_and_saveexec_b32 s4, vcc_lo
	s_cbranch_execz .LBB270_16
; %bb.15:                               ;   in Loop: Header=BB270_13 Depth=1
	s_wait_kmcnt 0x0
	v_add_nc_u32_e32 v7, s11, v71
	ds_store_b32 v7, v70
.LBB270_16:                             ;   in Loop: Header=BB270_13 Depth=1
	s_wait_alu 0xfffe
	s_or_b32 exec_lo, exec_lo, s4
.LBB270_17:                             ;   in Loop: Header=BB270_13 Depth=1
	s_wait_alu 0xfffe
	s_and_not1_saveexec_b32 s4, s3
	s_cbranch_execz .LBB270_12
; %bb.18:                               ;   in Loop: Header=BB270_13 Depth=1
	flat_load_b32 v7, v[18:19]
	v_mov_b32_e32 v85, 0
	s_mov_b32 s20, exec_lo
	v_mov_b32_e32 v84, 0
	s_wait_loadcnt_dscnt 0x0
	v_mad_co_i64_i32 v[28:29], null, v7, v22, v[20:21]
	flat_load_b32 v9, v[28:29]
	flat_load_b32 v83, v[24:25]
	s_wait_loadcnt_dscnt 0x101
	v_and_b32_e32 v7, 0xff, v9
	s_delay_alu instid0(VALU_DEP_1)
	v_cmpx_ne_u16_e32 0, v7
	s_cbranch_execz .LBB270_26
; %bb.19:                               ;   in Loop: Header=BB270_13 Depth=1
	v_mov_b32_e32 v85, 0x8000
	s_mov_b32 s21, exec_lo
	v_cmpx_ne_u16_e32 0x80, v7
	s_cbranch_execz .LBB270_25
; %bb.20:                               ;   in Loop: Header=BB270_13 Depth=1
	v_and_b32_e32 v86, 0x7f, v9
	v_mov_b32_e32 v85, 0x7c01
	s_mov_b32 s22, exec_lo
	s_delay_alu instid0(VALU_DEP_2)
	v_cmpx_ne_u32_e32 0x7f, v86
	s_cbranch_execz .LBB270_24
; %bb.21:                               ;   in Loop: Header=BB270_13 Depth=1
	v_and_b32_e32 v7, 7, v9
	v_lshrrev_b32_e32 v85, 3, v86
	s_mov_b32 s23, exec_lo
	v_cmpx_gt_u32_e32 8, v86
; %bb.22:                               ;   in Loop: Header=BB270_13 Depth=1
	s_delay_alu instid0(VALU_DEP_3) | instskip(NEXT) | instid1(VALU_DEP_1)
	v_clz_i32_u32_e32 v7, v7
	v_min_u32_e32 v7, 32, v7
	s_delay_alu instid0(VALU_DEP_1) | instskip(NEXT) | instid1(VALU_DEP_1)
	v_subrev_nc_u32_e32 v85, 28, v7
	v_lshlrev_b64_e32 v[86:87], v85, v[9:10]
	v_sub_nc_u32_e32 v85, 29, v7
	s_delay_alu instid0(VALU_DEP_2)
	v_and_b32_e32 v7, 7, v86
; %bb.23:                               ;   in Loop: Header=BB270_13 Depth=1
	s_wait_alu 0xfffe
	s_or_b32 exec_lo, exec_lo, s23
	v_lshlrev_b32_e32 v86, 8, v9
	v_lshl_add_u32 v85, v85, 10, 0x2000
	v_lshlrev_b32_e32 v7, 7, v7
	s_delay_alu instid0(VALU_DEP_3) | instskip(NEXT) | instid1(VALU_DEP_3)
	v_and_b32_e32 v86, 0x8000, v86
	v_and_b32_e32 v85, 0xfc00, v85
	s_delay_alu instid0(VALU_DEP_1)
	v_or3_b32 v85, v86, v85, v7
.LBB270_24:                             ;   in Loop: Header=BB270_13 Depth=1
	s_wait_alu 0xfffe
	s_or_b32 exec_lo, exec_lo, s22
.LBB270_25:                             ;   in Loop: Header=BB270_13 Depth=1
	s_wait_alu 0xfffe
	s_or_b32 exec_lo, exec_lo, s21
.LBB270_26:                             ;   in Loop: Header=BB270_13 Depth=1
	s_wait_alu 0xfffe
	s_or_b32 exec_lo, exec_lo, s20
	v_lshrrev_b16 v7, 8, v9
	s_mov_b32 s20, exec_lo
	s_delay_alu instid0(VALU_DEP_1)
	v_cmpx_ne_u16_e32 0, v7
	s_cbranch_execz .LBB270_34
; %bb.27:                               ;   in Loop: Header=BB270_13 Depth=1
	v_bfrev_b32_e32 v84, 1
	s_mov_b32 s21, exec_lo
	v_cmpx_ne_u16_e32 0x80, v7
	s_cbranch_execz .LBB270_33
; %bb.28:                               ;   in Loop: Header=BB270_13 Depth=1
	v_and_b32_e32 v86, 0xffff, v7
	v_mov_b32_e32 v84, 0x7c010000
	s_mov_b32 s22, exec_lo
	s_delay_alu instid0(VALU_DEP_2) | instskip(NEXT) | instid1(VALU_DEP_1)
	v_and_b32_e32 v96, 0x7f, v86
	v_cmpx_ne_u32_e32 0x7f, v96
	s_cbranch_execz .LBB270_32
; %bb.29:                               ;   in Loop: Header=BB270_13 Depth=1
	v_and_b32_e32 v84, 7, v86
	v_lshrrev_b32_e32 v87, 3, v96
	s_mov_b32 s23, exec_lo
	v_cmpx_gt_u32_e32 8, v96
; %bb.30:                               ;   in Loop: Header=BB270_13 Depth=1
	s_delay_alu instid0(VALU_DEP_3) | instskip(NEXT) | instid1(VALU_DEP_1)
	v_clz_i32_u32_e32 v84, v84
	v_min_u32_e32 v84, 32, v84
	s_delay_alu instid0(VALU_DEP_1) | instskip(NEXT) | instid1(VALU_DEP_1)
	v_subrev_nc_u32_e32 v87, 28, v84
	v_lshlrev_b64_e32 v[96:97], v87, v[7:8]
	v_sub_nc_u32_e32 v87, 29, v84
	s_delay_alu instid0(VALU_DEP_2)
	v_and_b32_e32 v84, 7, v96
; %bb.31:                               ;   in Loop: Header=BB270_13 Depth=1
	s_wait_alu 0xfffe
	s_or_b32 exec_lo, exec_lo, s23
	v_lshlrev_b32_e32 v7, 8, v86
	v_lshl_add_u32 v86, v87, 10, 0x2000
	v_lshlrev_b32_e32 v84, 23, v84
	s_delay_alu instid0(VALU_DEP_2) | instskip(NEXT) | instid1(VALU_DEP_1)
	v_and_or_b32 v7, 0x8000, v7, v86
	v_lshl_or_b32 v84, v7, 16, v84
.LBB270_32:                             ;   in Loop: Header=BB270_13 Depth=1
	s_wait_alu 0xfffe
	s_or_b32 exec_lo, exec_lo, s22
.LBB270_33:                             ;   in Loop: Header=BB270_13 Depth=1
	s_wait_alu 0xfffe
	s_or_b32 exec_lo, exec_lo, s21
.LBB270_34:                             ;   in Loop: Header=BB270_13 Depth=1
	s_wait_alu 0xfffe
	s_or_b32 exec_lo, exec_lo, s20
	v_lshrrev_b32_e32 v7, 16, v9
	v_mov_b32_e32 v86, 0
	s_mov_b32 s20, exec_lo
	s_delay_alu instid0(VALU_DEP_2) | instskip(NEXT) | instid1(VALU_DEP_1)
	v_dual_mov_b32 v87, 0 :: v_dual_and_b32 v96, 0xff, v7
	v_cmpx_ne_u16_e32 0, v96
	s_cbranch_execz .LBB270_42
; %bb.35:                               ;   in Loop: Header=BB270_13 Depth=1
	v_mov_b32_e32 v87, 0x8000
	s_mov_b32 s21, exec_lo
	v_cmpx_ne_u16_e32 0x80, v96
	s_cbranch_execz .LBB270_41
; %bb.36:                               ;   in Loop: Header=BB270_13 Depth=1
	v_bfe_u32 v97, v9, 16, 7
	v_mov_b32_e32 v87, 0x7c01
	s_mov_b32 s22, exec_lo
	s_delay_alu instid0(VALU_DEP_2)
	v_cmpx_ne_u32_e32 0x7f, v97
	s_cbranch_execz .LBB270_40
; %bb.37:                               ;   in Loop: Header=BB270_13 Depth=1
	v_and_b32_e32 v87, 7, v7
	v_lshrrev_b32_e32 v96, 3, v97
	s_mov_b32 s23, exec_lo
	v_cmpx_gt_u32_e32 8, v97
; %bb.38:                               ;   in Loop: Header=BB270_13 Depth=1
	s_delay_alu instid0(VALU_DEP_3) | instskip(NEXT) | instid1(VALU_DEP_1)
	v_clz_i32_u32_e32 v87, v87
	v_min_u32_e32 v87, 32, v87
	s_delay_alu instid0(VALU_DEP_1) | instskip(NEXT) | instid1(VALU_DEP_1)
	v_subrev_nc_u32_e32 v96, 28, v87
	v_lshlrev_b64_e32 v[97:98], v96, v[7:8]
	v_sub_nc_u32_e32 v96, 29, v87
	s_delay_alu instid0(VALU_DEP_2)
	v_and_b32_e32 v87, 7, v97
; %bb.39:                               ;   in Loop: Header=BB270_13 Depth=1
	s_wait_alu 0xfffe
	s_or_b32 exec_lo, exec_lo, s23
	v_lshlrev_b32_e32 v7, 8, v7
	v_lshl_add_u32 v96, v96, 10, 0x2000
	v_lshlrev_b32_e32 v87, 7, v87
	s_delay_alu instid0(VALU_DEP_3) | instskip(NEXT) | instid1(VALU_DEP_3)
	v_and_b32_e32 v7, 0x8000, v7
	v_and_b32_e32 v96, 0xfc00, v96
	s_delay_alu instid0(VALU_DEP_1)
	v_or3_b32 v87, v7, v96, v87
.LBB270_40:                             ;   in Loop: Header=BB270_13 Depth=1
	s_wait_alu 0xfffe
	s_or_b32 exec_lo, exec_lo, s22
.LBB270_41:                             ;   in Loop: Header=BB270_13 Depth=1
	s_wait_alu 0xfffe
	s_or_b32 exec_lo, exec_lo, s21
.LBB270_42:                             ;   in Loop: Header=BB270_13 Depth=1
	s_wait_alu 0xfffe
	s_or_b32 exec_lo, exec_lo, s20
	s_delay_alu instid0(SALU_CYCLE_1)
	s_mov_b32 s20, exec_lo
	v_cmpx_lt_u32_e32 0xffffff, v9
	s_cbranch_execz .LBB270_50
; %bb.43:                               ;   in Loop: Header=BB270_13 Depth=1
	v_lshrrev_b32_e32 v7, 24, v9
	v_bfrev_b32_e32 v86, 1
	s_mov_b32 s21, exec_lo
	s_delay_alu instid0(VALU_DEP_2)
	v_cmpx_ne_u32_e32 0x80, v7
	s_cbranch_execz .LBB270_49
; %bb.44:                               ;   in Loop: Header=BB270_13 Depth=1
	v_and_b32_e32 v96, 0x7f, v7
	v_mov_b32_e32 v86, 0x7c010000
	s_mov_b32 s22, exec_lo
	s_delay_alu instid0(VALU_DEP_2)
	v_cmpx_ne_u32_e32 0x7f, v96
	s_cbranch_execz .LBB270_48
; %bb.45:                               ;   in Loop: Header=BB270_13 Depth=1
	v_and_b32_e32 v9, 7, v7
	v_lshrrev_b32_e32 v86, 3, v96
	s_mov_b32 s23, exec_lo
	v_cmpx_gt_u32_e32 8, v96
; %bb.46:                               ;   in Loop: Header=BB270_13 Depth=1
	s_delay_alu instid0(VALU_DEP_3) | instskip(NEXT) | instid1(VALU_DEP_1)
	v_clz_i32_u32_e32 v9, v9
	v_min_u32_e32 v9, 32, v9
	s_delay_alu instid0(VALU_DEP_1) | instskip(NEXT) | instid1(VALU_DEP_1)
	v_subrev_nc_u32_e32 v86, 28, v9
	v_lshlrev_b64_e32 v[96:97], v86, v[7:8]
	v_sub_nc_u32_e32 v86, 29, v9
	s_delay_alu instid0(VALU_DEP_2)
	v_and_b32_e32 v9, 7, v96
; %bb.47:                               ;   in Loop: Header=BB270_13 Depth=1
	s_wait_alu 0xfffe
	s_or_b32 exec_lo, exec_lo, s23
	v_lshlrev_b32_e32 v7, 8, v7
	v_lshl_add_u32 v86, v86, 10, 0x2000
	v_lshlrev_b32_e32 v9, 23, v9
	s_delay_alu instid0(VALU_DEP_2) | instskip(NEXT) | instid1(VALU_DEP_1)
	v_and_or_b32 v7, 0x8000, v7, v86
	v_lshl_or_b32 v86, v7, 16, v9
.LBB270_48:                             ;   in Loop: Header=BB270_13 Depth=1
	s_wait_alu 0xfffe
	s_or_b32 exec_lo, exec_lo, s22
.LBB270_49:                             ;   in Loop: Header=BB270_13 Depth=1
	s_wait_alu 0xfffe
	s_or_b32 exec_lo, exec_lo, s21
.LBB270_50:                             ;   in Loop: Header=BB270_13 Depth=1
	s_wait_alu 0xfffe
	s_or_b32 exec_lo, exec_lo, s20
	flat_load_b32 v9, v[28:29] offset:8
	v_mov_b32_e32 v97, 0
	s_mov_b32 s20, exec_lo
	s_wait_loadcnt_dscnt 0x0
	v_dual_mov_b32 v96, 0 :: v_dual_and_b32 v7, 0xff, v9
	s_delay_alu instid0(VALU_DEP_1)
	v_cmpx_ne_u16_e32 0, v7
	s_cbranch_execz .LBB270_58
; %bb.51:                               ;   in Loop: Header=BB270_13 Depth=1
	v_mov_b32_e32 v97, 0x8000
	s_mov_b32 s21, exec_lo
	v_cmpx_ne_u16_e32 0x80, v7
	s_cbranch_execz .LBB270_57
; %bb.52:                               ;   in Loop: Header=BB270_13 Depth=1
	v_and_b32_e32 v98, 0x7f, v9
	v_mov_b32_e32 v97, 0x7c01
	s_mov_b32 s22, exec_lo
	s_delay_alu instid0(VALU_DEP_2)
	v_cmpx_ne_u32_e32 0x7f, v98
	s_cbranch_execz .LBB270_56
; %bb.53:                               ;   in Loop: Header=BB270_13 Depth=1
	v_and_b32_e32 v7, 7, v9
	v_lshrrev_b32_e32 v97, 3, v98
	s_mov_b32 s23, exec_lo
	v_cmpx_gt_u32_e32 8, v98
; %bb.54:                               ;   in Loop: Header=BB270_13 Depth=1
	s_delay_alu instid0(VALU_DEP_3) | instskip(NEXT) | instid1(VALU_DEP_1)
	v_clz_i32_u32_e32 v7, v7
	v_min_u32_e32 v7, 32, v7
	s_delay_alu instid0(VALU_DEP_1) | instskip(NEXT) | instid1(VALU_DEP_1)
	v_subrev_nc_u32_e32 v97, 28, v7
	v_lshlrev_b64_e32 v[98:99], v97, v[9:10]
	v_sub_nc_u32_e32 v97, 29, v7
	s_delay_alu instid0(VALU_DEP_2)
	v_and_b32_e32 v7, 7, v98
; %bb.55:                               ;   in Loop: Header=BB270_13 Depth=1
	s_wait_alu 0xfffe
	s_or_b32 exec_lo, exec_lo, s23
	v_lshlrev_b32_e32 v98, 8, v9
	v_lshl_add_u32 v97, v97, 10, 0x2000
	v_lshlrev_b32_e32 v7, 7, v7
	s_delay_alu instid0(VALU_DEP_3) | instskip(NEXT) | instid1(VALU_DEP_3)
	v_and_b32_e32 v98, 0x8000, v98
	v_and_b32_e32 v97, 0xfc00, v97
	s_delay_alu instid0(VALU_DEP_1)
	v_or3_b32 v97, v98, v97, v7
.LBB270_56:                             ;   in Loop: Header=BB270_13 Depth=1
	s_wait_alu 0xfffe
	s_or_b32 exec_lo, exec_lo, s22
.LBB270_57:                             ;   in Loop: Header=BB270_13 Depth=1
	s_wait_alu 0xfffe
	s_or_b32 exec_lo, exec_lo, s21
.LBB270_58:                             ;   in Loop: Header=BB270_13 Depth=1
	s_wait_alu 0xfffe
	s_or_b32 exec_lo, exec_lo, s20
	v_lshrrev_b16 v7, 8, v9
	s_mov_b32 s20, exec_lo
	s_delay_alu instid0(VALU_DEP_1)
	v_cmpx_ne_u16_e32 0, v7
	s_cbranch_execz .LBB270_66
; %bb.59:                               ;   in Loop: Header=BB270_13 Depth=1
	v_bfrev_b32_e32 v96, 1
	s_mov_b32 s21, exec_lo
	v_cmpx_ne_u16_e32 0x80, v7
	s_cbranch_execz .LBB270_65
; %bb.60:                               ;   in Loop: Header=BB270_13 Depth=1
	v_and_b32_e32 v98, 0xffff, v7
	v_mov_b32_e32 v96, 0x7c010000
	s_mov_b32 s22, exec_lo
	s_delay_alu instid0(VALU_DEP_2) | instskip(NEXT) | instid1(VALU_DEP_1)
	v_and_b32_e32 v100, 0x7f, v98
	v_cmpx_ne_u32_e32 0x7f, v100
	s_cbranch_execz .LBB270_64
; %bb.61:                               ;   in Loop: Header=BB270_13 Depth=1
	v_and_b32_e32 v96, 7, v98
	v_lshrrev_b32_e32 v99, 3, v100
	s_mov_b32 s23, exec_lo
	v_cmpx_gt_u32_e32 8, v100
; %bb.62:                               ;   in Loop: Header=BB270_13 Depth=1
	s_delay_alu instid0(VALU_DEP_3) | instskip(NEXT) | instid1(VALU_DEP_1)
	v_clz_i32_u32_e32 v96, v96
	v_min_u32_e32 v96, 32, v96
	s_delay_alu instid0(VALU_DEP_1) | instskip(NEXT) | instid1(VALU_DEP_1)
	v_subrev_nc_u32_e32 v99, 28, v96
	v_lshlrev_b64_e32 v[100:101], v99, v[7:8]
	v_sub_nc_u32_e32 v99, 29, v96
	s_delay_alu instid0(VALU_DEP_2)
	v_and_b32_e32 v96, 7, v100
; %bb.63:                               ;   in Loop: Header=BB270_13 Depth=1
	s_wait_alu 0xfffe
	s_or_b32 exec_lo, exec_lo, s23
	v_lshlrev_b32_e32 v7, 8, v98
	v_lshl_add_u32 v98, v99, 10, 0x2000
	v_lshlrev_b32_e32 v96, 23, v96
	s_delay_alu instid0(VALU_DEP_2) | instskip(NEXT) | instid1(VALU_DEP_1)
	v_and_or_b32 v7, 0x8000, v7, v98
	v_lshl_or_b32 v96, v7, 16, v96
.LBB270_64:                             ;   in Loop: Header=BB270_13 Depth=1
	s_wait_alu 0xfffe
	s_or_b32 exec_lo, exec_lo, s22
.LBB270_65:                             ;   in Loop: Header=BB270_13 Depth=1
	s_wait_alu 0xfffe
	s_or_b32 exec_lo, exec_lo, s21
.LBB270_66:                             ;   in Loop: Header=BB270_13 Depth=1
	s_wait_alu 0xfffe
	s_or_b32 exec_lo, exec_lo, s20
	v_lshrrev_b32_e32 v7, 16, v9
	v_mov_b32_e32 v98, 0
	s_mov_b32 s20, exec_lo
	s_delay_alu instid0(VALU_DEP_2) | instskip(NEXT) | instid1(VALU_DEP_1)
	v_dual_mov_b32 v99, 0 :: v_dual_and_b32 v100, 0xff, v7
	v_cmpx_ne_u16_e32 0, v100
	s_cbranch_execz .LBB270_74
; %bb.67:                               ;   in Loop: Header=BB270_13 Depth=1
	v_mov_b32_e32 v99, 0x8000
	s_mov_b32 s21, exec_lo
	v_cmpx_ne_u16_e32 0x80, v100
	s_cbranch_execz .LBB270_73
; %bb.68:                               ;   in Loop: Header=BB270_13 Depth=1
	v_bfe_u32 v101, v9, 16, 7
	v_mov_b32_e32 v99, 0x7c01
	s_mov_b32 s22, exec_lo
	s_delay_alu instid0(VALU_DEP_2)
	v_cmpx_ne_u32_e32 0x7f, v101
	s_cbranch_execz .LBB270_72
; %bb.69:                               ;   in Loop: Header=BB270_13 Depth=1
	v_and_b32_e32 v99, 7, v7
	v_lshrrev_b32_e32 v100, 3, v101
	s_mov_b32 s23, exec_lo
	v_cmpx_gt_u32_e32 8, v101
; %bb.70:                               ;   in Loop: Header=BB270_13 Depth=1
	s_delay_alu instid0(VALU_DEP_3) | instskip(NEXT) | instid1(VALU_DEP_1)
	v_clz_i32_u32_e32 v99, v99
	v_min_u32_e32 v101, 32, v99
	s_delay_alu instid0(VALU_DEP_1) | instskip(NEXT) | instid1(VALU_DEP_1)
	v_subrev_nc_u32_e32 v99, 28, v101
	v_lshlrev_b64_e32 v[99:100], v99, v[7:8]
	v_sub_nc_u32_e32 v100, 29, v101
	s_delay_alu instid0(VALU_DEP_2)
	v_and_b32_e32 v99, 7, v99
; %bb.71:                               ;   in Loop: Header=BB270_13 Depth=1
	s_wait_alu 0xfffe
	s_or_b32 exec_lo, exec_lo, s23
	v_lshlrev_b32_e32 v7, 8, v7
	v_lshl_add_u32 v100, v100, 10, 0x2000
	v_lshlrev_b32_e32 v99, 7, v99
	s_delay_alu instid0(VALU_DEP_3) | instskip(NEXT) | instid1(VALU_DEP_3)
	v_and_b32_e32 v7, 0x8000, v7
	v_and_b32_e32 v100, 0xfc00, v100
	s_delay_alu instid0(VALU_DEP_1)
	v_or3_b32 v99, v7, v100, v99
.LBB270_72:                             ;   in Loop: Header=BB270_13 Depth=1
	s_wait_alu 0xfffe
	s_or_b32 exec_lo, exec_lo, s22
.LBB270_73:                             ;   in Loop: Header=BB270_13 Depth=1
	s_wait_alu 0xfffe
	s_or_b32 exec_lo, exec_lo, s21
.LBB270_74:                             ;   in Loop: Header=BB270_13 Depth=1
	s_wait_alu 0xfffe
	s_or_b32 exec_lo, exec_lo, s20
	s_delay_alu instid0(SALU_CYCLE_1)
	s_mov_b32 s20, exec_lo
	v_cmpx_lt_u32_e32 0xffffff, v9
	s_cbranch_execz .LBB270_82
; %bb.75:                               ;   in Loop: Header=BB270_13 Depth=1
	v_lshrrev_b32_e32 v7, 24, v9
	v_bfrev_b32_e32 v98, 1
	s_mov_b32 s21, exec_lo
	s_delay_alu instid0(VALU_DEP_2)
	v_cmpx_ne_u32_e32 0x80, v7
	s_cbranch_execz .LBB270_81
; %bb.76:                               ;   in Loop: Header=BB270_13 Depth=1
	v_and_b32_e32 v100, 0x7f, v7
	v_mov_b32_e32 v98, 0x7c010000
	s_mov_b32 s22, exec_lo
	s_delay_alu instid0(VALU_DEP_2)
	v_cmpx_ne_u32_e32 0x7f, v100
	s_cbranch_execz .LBB270_80
; %bb.77:                               ;   in Loop: Header=BB270_13 Depth=1
	v_and_b32_e32 v9, 7, v7
	v_lshrrev_b32_e32 v98, 3, v100
	s_mov_b32 s23, exec_lo
	v_cmpx_gt_u32_e32 8, v100
; %bb.78:                               ;   in Loop: Header=BB270_13 Depth=1
	s_delay_alu instid0(VALU_DEP_3) | instskip(NEXT) | instid1(VALU_DEP_1)
	v_clz_i32_u32_e32 v9, v9
	v_min_u32_e32 v9, 32, v9
	s_delay_alu instid0(VALU_DEP_1) | instskip(NEXT) | instid1(VALU_DEP_1)
	v_subrev_nc_u32_e32 v98, 28, v9
	v_lshlrev_b64_e32 v[100:101], v98, v[7:8]
	v_sub_nc_u32_e32 v98, 29, v9
	s_delay_alu instid0(VALU_DEP_2)
	v_and_b32_e32 v9, 7, v100
; %bb.79:                               ;   in Loop: Header=BB270_13 Depth=1
	s_wait_alu 0xfffe
	s_or_b32 exec_lo, exec_lo, s23
	v_lshlrev_b32_e32 v7, 8, v7
	v_lshl_add_u32 v98, v98, 10, 0x2000
	v_lshlrev_b32_e32 v9, 23, v9
	s_delay_alu instid0(VALU_DEP_2) | instskip(NEXT) | instid1(VALU_DEP_1)
	v_and_or_b32 v7, 0x8000, v7, v98
	v_lshl_or_b32 v98, v7, 16, v9
.LBB270_80:                             ;   in Loop: Header=BB270_13 Depth=1
	s_wait_alu 0xfffe
	s_or_b32 exec_lo, exec_lo, s22
.LBB270_81:                             ;   in Loop: Header=BB270_13 Depth=1
	s_wait_alu 0xfffe
	s_or_b32 exec_lo, exec_lo, s21
.LBB270_82:                             ;   in Loop: Header=BB270_13 Depth=1
	s_wait_alu 0xfffe
	s_or_b32 exec_lo, exec_lo, s20
	flat_load_b32 v9, v[28:29] offset:256
	v_mov_b32_e32 v101, 0
	s_mov_b32 s20, exec_lo
	s_wait_loadcnt_dscnt 0x0
	v_dual_mov_b32 v100, 0 :: v_dual_and_b32 v7, 0xff, v9
	s_delay_alu instid0(VALU_DEP_1)
	v_cmpx_ne_u16_e32 0, v7
	s_cbranch_execz .LBB270_90
; %bb.83:                               ;   in Loop: Header=BB270_13 Depth=1
	v_mov_b32_e32 v101, 0x8000
	s_mov_b32 s21, exec_lo
	v_cmpx_ne_u16_e32 0x80, v7
	s_cbranch_execz .LBB270_89
; %bb.84:                               ;   in Loop: Header=BB270_13 Depth=1
	v_and_b32_e32 v102, 0x7f, v9
	v_mov_b32_e32 v101, 0x7c01
	s_mov_b32 s22, exec_lo
	s_delay_alu instid0(VALU_DEP_2)
	v_cmpx_ne_u32_e32 0x7f, v102
	s_cbranch_execz .LBB270_88
; %bb.85:                               ;   in Loop: Header=BB270_13 Depth=1
	v_and_b32_e32 v7, 7, v9
	v_lshrrev_b32_e32 v101, 3, v102
	s_mov_b32 s23, exec_lo
	v_cmpx_gt_u32_e32 8, v102
; %bb.86:                               ;   in Loop: Header=BB270_13 Depth=1
	s_delay_alu instid0(VALU_DEP_3) | instskip(NEXT) | instid1(VALU_DEP_1)
	v_clz_i32_u32_e32 v7, v7
	v_min_u32_e32 v7, 32, v7
	s_delay_alu instid0(VALU_DEP_1) | instskip(NEXT) | instid1(VALU_DEP_1)
	v_subrev_nc_u32_e32 v101, 28, v7
	v_lshlrev_b64_e32 v[102:103], v101, v[9:10]
	v_sub_nc_u32_e32 v101, 29, v7
	s_delay_alu instid0(VALU_DEP_2)
	v_and_b32_e32 v7, 7, v102
; %bb.87:                               ;   in Loop: Header=BB270_13 Depth=1
	s_wait_alu 0xfffe
	s_or_b32 exec_lo, exec_lo, s23
	v_lshlrev_b32_e32 v102, 8, v9
	v_lshl_add_u32 v101, v101, 10, 0x2000
	v_lshlrev_b32_e32 v7, 7, v7
	s_delay_alu instid0(VALU_DEP_3) | instskip(NEXT) | instid1(VALU_DEP_3)
	v_and_b32_e32 v102, 0x8000, v102
	v_and_b32_e32 v101, 0xfc00, v101
	s_delay_alu instid0(VALU_DEP_1)
	v_or3_b32 v101, v102, v101, v7
.LBB270_88:                             ;   in Loop: Header=BB270_13 Depth=1
	s_wait_alu 0xfffe
	s_or_b32 exec_lo, exec_lo, s22
.LBB270_89:                             ;   in Loop: Header=BB270_13 Depth=1
	s_wait_alu 0xfffe
	s_or_b32 exec_lo, exec_lo, s21
.LBB270_90:                             ;   in Loop: Header=BB270_13 Depth=1
	s_wait_alu 0xfffe
	s_or_b32 exec_lo, exec_lo, s20
	v_lshrrev_b16 v7, 8, v9
	s_mov_b32 s20, exec_lo
	s_delay_alu instid0(VALU_DEP_1)
	v_cmpx_ne_u16_e32 0, v7
	s_cbranch_execz .LBB270_98
; %bb.91:                               ;   in Loop: Header=BB270_13 Depth=1
	v_bfrev_b32_e32 v100, 1
	s_mov_b32 s21, exec_lo
	v_cmpx_ne_u16_e32 0x80, v7
	s_cbranch_execz .LBB270_97
; %bb.92:                               ;   in Loop: Header=BB270_13 Depth=1
	v_and_b32_e32 v102, 0xffff, v7
	v_mov_b32_e32 v100, 0x7c010000
	s_mov_b32 s22, exec_lo
	s_delay_alu instid0(VALU_DEP_2) | instskip(NEXT) | instid1(VALU_DEP_1)
	v_and_b32_e32 v112, 0x7f, v102
	v_cmpx_ne_u32_e32 0x7f, v112
	s_cbranch_execz .LBB270_96
; %bb.93:                               ;   in Loop: Header=BB270_13 Depth=1
	v_and_b32_e32 v100, 7, v102
	v_lshrrev_b32_e32 v103, 3, v112
	s_mov_b32 s23, exec_lo
	v_cmpx_gt_u32_e32 8, v112
; %bb.94:                               ;   in Loop: Header=BB270_13 Depth=1
	s_delay_alu instid0(VALU_DEP_3) | instskip(NEXT) | instid1(VALU_DEP_1)
	v_clz_i32_u32_e32 v100, v100
	v_min_u32_e32 v100, 32, v100
	s_delay_alu instid0(VALU_DEP_1) | instskip(NEXT) | instid1(VALU_DEP_1)
	v_subrev_nc_u32_e32 v103, 28, v100
	v_lshlrev_b64_e32 v[112:113], v103, v[7:8]
	v_sub_nc_u32_e32 v103, 29, v100
	s_delay_alu instid0(VALU_DEP_2)
	v_and_b32_e32 v100, 7, v112
; %bb.95:                               ;   in Loop: Header=BB270_13 Depth=1
	s_wait_alu 0xfffe
	s_or_b32 exec_lo, exec_lo, s23
	v_lshlrev_b32_e32 v7, 8, v102
	v_lshl_add_u32 v102, v103, 10, 0x2000
	v_lshlrev_b32_e32 v100, 23, v100
	s_delay_alu instid0(VALU_DEP_2) | instskip(NEXT) | instid1(VALU_DEP_1)
	v_and_or_b32 v7, 0x8000, v7, v102
	v_lshl_or_b32 v100, v7, 16, v100
.LBB270_96:                             ;   in Loop: Header=BB270_13 Depth=1
	s_wait_alu 0xfffe
	s_or_b32 exec_lo, exec_lo, s22
.LBB270_97:                             ;   in Loop: Header=BB270_13 Depth=1
	s_wait_alu 0xfffe
	s_or_b32 exec_lo, exec_lo, s21
.LBB270_98:                             ;   in Loop: Header=BB270_13 Depth=1
	s_wait_alu 0xfffe
	s_or_b32 exec_lo, exec_lo, s20
	v_lshrrev_b32_e32 v7, 16, v9
	v_mov_b32_e32 v102, 0
	s_mov_b32 s20, exec_lo
	s_delay_alu instid0(VALU_DEP_2) | instskip(NEXT) | instid1(VALU_DEP_1)
	v_dual_mov_b32 v103, 0 :: v_dual_and_b32 v112, 0xff, v7
	v_cmpx_ne_u16_e32 0, v112
	s_cbranch_execz .LBB270_106
; %bb.99:                               ;   in Loop: Header=BB270_13 Depth=1
	v_mov_b32_e32 v103, 0x8000
	s_mov_b32 s21, exec_lo
	v_cmpx_ne_u16_e32 0x80, v112
	s_cbranch_execz .LBB270_105
; %bb.100:                              ;   in Loop: Header=BB270_13 Depth=1
	v_bfe_u32 v113, v9, 16, 7
	v_mov_b32_e32 v103, 0x7c01
	s_mov_b32 s22, exec_lo
	s_delay_alu instid0(VALU_DEP_2)
	v_cmpx_ne_u32_e32 0x7f, v113
	s_cbranch_execz .LBB270_104
; %bb.101:                              ;   in Loop: Header=BB270_13 Depth=1
	v_and_b32_e32 v103, 7, v7
	v_lshrrev_b32_e32 v112, 3, v113
	s_mov_b32 s23, exec_lo
	v_cmpx_gt_u32_e32 8, v113
; %bb.102:                              ;   in Loop: Header=BB270_13 Depth=1
	s_delay_alu instid0(VALU_DEP_3) | instskip(NEXT) | instid1(VALU_DEP_1)
	v_clz_i32_u32_e32 v103, v103
	v_min_u32_e32 v103, 32, v103
	s_delay_alu instid0(VALU_DEP_1) | instskip(NEXT) | instid1(VALU_DEP_1)
	v_subrev_nc_u32_e32 v112, 28, v103
	v_lshlrev_b64_e32 v[113:114], v112, v[7:8]
	v_sub_nc_u32_e32 v112, 29, v103
	s_delay_alu instid0(VALU_DEP_2)
	v_and_b32_e32 v103, 7, v113
; %bb.103:                              ;   in Loop: Header=BB270_13 Depth=1
	s_wait_alu 0xfffe
	s_or_b32 exec_lo, exec_lo, s23
	v_lshlrev_b32_e32 v7, 8, v7
	v_lshl_add_u32 v112, v112, 10, 0x2000
	v_lshlrev_b32_e32 v103, 7, v103
	s_delay_alu instid0(VALU_DEP_3) | instskip(NEXT) | instid1(VALU_DEP_3)
	v_and_b32_e32 v7, 0x8000, v7
	v_and_b32_e32 v112, 0xfc00, v112
	s_delay_alu instid0(VALU_DEP_1)
	v_or3_b32 v103, v7, v112, v103
.LBB270_104:                            ;   in Loop: Header=BB270_13 Depth=1
	s_wait_alu 0xfffe
	s_or_b32 exec_lo, exec_lo, s22
.LBB270_105:                            ;   in Loop: Header=BB270_13 Depth=1
	s_wait_alu 0xfffe
	s_or_b32 exec_lo, exec_lo, s21
.LBB270_106:                            ;   in Loop: Header=BB270_13 Depth=1
	s_wait_alu 0xfffe
	s_or_b32 exec_lo, exec_lo, s20
	s_delay_alu instid0(SALU_CYCLE_1)
	s_mov_b32 s20, exec_lo
	v_cmpx_lt_u32_e32 0xffffff, v9
	s_cbranch_execz .LBB270_114
; %bb.107:                              ;   in Loop: Header=BB270_13 Depth=1
	v_lshrrev_b32_e32 v7, 24, v9
	v_bfrev_b32_e32 v102, 1
	s_mov_b32 s21, exec_lo
	s_delay_alu instid0(VALU_DEP_2)
	v_cmpx_ne_u32_e32 0x80, v7
	s_cbranch_execz .LBB270_113
; %bb.108:                              ;   in Loop: Header=BB270_13 Depth=1
	v_and_b32_e32 v112, 0x7f, v7
	v_mov_b32_e32 v102, 0x7c010000
	s_mov_b32 s22, exec_lo
	s_delay_alu instid0(VALU_DEP_2)
	v_cmpx_ne_u32_e32 0x7f, v112
	s_cbranch_execz .LBB270_112
; %bb.109:                              ;   in Loop: Header=BB270_13 Depth=1
	v_and_b32_e32 v9, 7, v7
	v_lshrrev_b32_e32 v102, 3, v112
	s_mov_b32 s23, exec_lo
	v_cmpx_gt_u32_e32 8, v112
; %bb.110:                              ;   in Loop: Header=BB270_13 Depth=1
	s_delay_alu instid0(VALU_DEP_3) | instskip(NEXT) | instid1(VALU_DEP_1)
	v_clz_i32_u32_e32 v9, v9
	v_min_u32_e32 v9, 32, v9
	s_delay_alu instid0(VALU_DEP_1) | instskip(NEXT) | instid1(VALU_DEP_1)
	v_subrev_nc_u32_e32 v102, 28, v9
	v_lshlrev_b64_e32 v[112:113], v102, v[7:8]
	v_sub_nc_u32_e32 v102, 29, v9
	s_delay_alu instid0(VALU_DEP_2)
	v_and_b32_e32 v9, 7, v112
; %bb.111:                              ;   in Loop: Header=BB270_13 Depth=1
	s_wait_alu 0xfffe
	s_or_b32 exec_lo, exec_lo, s23
	v_lshlrev_b32_e32 v7, 8, v7
	v_lshl_add_u32 v102, v102, 10, 0x2000
	v_lshlrev_b32_e32 v9, 23, v9
	s_delay_alu instid0(VALU_DEP_2) | instskip(NEXT) | instid1(VALU_DEP_1)
	v_and_or_b32 v7, 0x8000, v7, v102
	v_lshl_or_b32 v102, v7, 16, v9
.LBB270_112:                            ;   in Loop: Header=BB270_13 Depth=1
	s_wait_alu 0xfffe
	s_or_b32 exec_lo, exec_lo, s22
.LBB270_113:                            ;   in Loop: Header=BB270_13 Depth=1
	s_wait_alu 0xfffe
	s_or_b32 exec_lo, exec_lo, s21
.LBB270_114:                            ;   in Loop: Header=BB270_13 Depth=1
	s_wait_alu 0xfffe
	s_or_b32 exec_lo, exec_lo, s20
	flat_load_b32 v9, v[28:29] offset:264
	v_mov_b32_e32 v113, 0
	s_mov_b32 s20, exec_lo
	s_wait_loadcnt_dscnt 0x0
	v_dual_mov_b32 v112, 0 :: v_dual_and_b32 v7, 0xff, v9
	s_delay_alu instid0(VALU_DEP_1)
	v_cmpx_ne_u16_e32 0, v7
	s_cbranch_execz .LBB270_122
; %bb.115:                              ;   in Loop: Header=BB270_13 Depth=1
	v_mov_b32_e32 v113, 0x8000
	s_mov_b32 s21, exec_lo
	v_cmpx_ne_u16_e32 0x80, v7
	s_cbranch_execz .LBB270_121
; %bb.116:                              ;   in Loop: Header=BB270_13 Depth=1
	v_and_b32_e32 v114, 0x7f, v9
	v_mov_b32_e32 v113, 0x7c01
	s_mov_b32 s22, exec_lo
	s_delay_alu instid0(VALU_DEP_2)
	v_cmpx_ne_u32_e32 0x7f, v114
	s_cbranch_execz .LBB270_120
; %bb.117:                              ;   in Loop: Header=BB270_13 Depth=1
	v_and_b32_e32 v7, 7, v9
	v_lshrrev_b32_e32 v113, 3, v114
	s_mov_b32 s23, exec_lo
	v_cmpx_gt_u32_e32 8, v114
; %bb.118:                              ;   in Loop: Header=BB270_13 Depth=1
	s_delay_alu instid0(VALU_DEP_3) | instskip(NEXT) | instid1(VALU_DEP_1)
	v_clz_i32_u32_e32 v7, v7
	v_min_u32_e32 v7, 32, v7
	s_delay_alu instid0(VALU_DEP_1) | instskip(NEXT) | instid1(VALU_DEP_1)
	v_subrev_nc_u32_e32 v113, 28, v7
	v_lshlrev_b64_e32 v[114:115], v113, v[9:10]
	v_sub_nc_u32_e32 v113, 29, v7
	s_delay_alu instid0(VALU_DEP_2)
	v_and_b32_e32 v7, 7, v114
; %bb.119:                              ;   in Loop: Header=BB270_13 Depth=1
	s_wait_alu 0xfffe
	s_or_b32 exec_lo, exec_lo, s23
	v_lshlrev_b32_e32 v114, 8, v9
	v_lshl_add_u32 v113, v113, 10, 0x2000
	v_lshlrev_b32_e32 v7, 7, v7
	s_delay_alu instid0(VALU_DEP_3) | instskip(NEXT) | instid1(VALU_DEP_3)
	v_and_b32_e32 v114, 0x8000, v114
	v_and_b32_e32 v113, 0xfc00, v113
	s_delay_alu instid0(VALU_DEP_1)
	v_or3_b32 v113, v114, v113, v7
.LBB270_120:                            ;   in Loop: Header=BB270_13 Depth=1
	s_wait_alu 0xfffe
	s_or_b32 exec_lo, exec_lo, s22
.LBB270_121:                            ;   in Loop: Header=BB270_13 Depth=1
	s_wait_alu 0xfffe
	s_or_b32 exec_lo, exec_lo, s21
.LBB270_122:                            ;   in Loop: Header=BB270_13 Depth=1
	s_wait_alu 0xfffe
	s_or_b32 exec_lo, exec_lo, s20
	v_lshrrev_b16 v7, 8, v9
	s_mov_b32 s20, exec_lo
	s_delay_alu instid0(VALU_DEP_1)
	v_cmpx_ne_u16_e32 0, v7
	s_cbranch_execz .LBB270_130
; %bb.123:                              ;   in Loop: Header=BB270_13 Depth=1
	v_bfrev_b32_e32 v112, 1
	s_mov_b32 s21, exec_lo
	v_cmpx_ne_u16_e32 0x80, v7
	s_cbranch_execz .LBB270_129
; %bb.124:                              ;   in Loop: Header=BB270_13 Depth=1
	v_and_b32_e32 v114, 0xffff, v7
	v_mov_b32_e32 v112, 0x7c010000
	s_mov_b32 s22, exec_lo
	s_delay_alu instid0(VALU_DEP_2) | instskip(NEXT) | instid1(VALU_DEP_1)
	v_and_b32_e32 v116, 0x7f, v114
	v_cmpx_ne_u32_e32 0x7f, v116
	s_cbranch_execz .LBB270_128
; %bb.125:                              ;   in Loop: Header=BB270_13 Depth=1
	v_and_b32_e32 v112, 7, v114
	v_lshrrev_b32_e32 v115, 3, v116
	s_mov_b32 s23, exec_lo
	v_cmpx_gt_u32_e32 8, v116
; %bb.126:                              ;   in Loop: Header=BB270_13 Depth=1
	s_delay_alu instid0(VALU_DEP_3) | instskip(NEXT) | instid1(VALU_DEP_1)
	v_clz_i32_u32_e32 v112, v112
	v_min_u32_e32 v112, 32, v112
	s_delay_alu instid0(VALU_DEP_1) | instskip(NEXT) | instid1(VALU_DEP_1)
	v_subrev_nc_u32_e32 v115, 28, v112
	v_lshlrev_b64_e32 v[116:117], v115, v[7:8]
	v_sub_nc_u32_e32 v115, 29, v112
	s_delay_alu instid0(VALU_DEP_2)
	v_and_b32_e32 v112, 7, v116
; %bb.127:                              ;   in Loop: Header=BB270_13 Depth=1
	s_wait_alu 0xfffe
	s_or_b32 exec_lo, exec_lo, s23
	v_lshlrev_b32_e32 v7, 8, v114
	v_lshl_add_u32 v114, v115, 10, 0x2000
	v_lshlrev_b32_e32 v112, 23, v112
	s_delay_alu instid0(VALU_DEP_2) | instskip(NEXT) | instid1(VALU_DEP_1)
	v_and_or_b32 v7, 0x8000, v7, v114
	v_lshl_or_b32 v112, v7, 16, v112
.LBB270_128:                            ;   in Loop: Header=BB270_13 Depth=1
	s_wait_alu 0xfffe
	s_or_b32 exec_lo, exec_lo, s22
.LBB270_129:                            ;   in Loop: Header=BB270_13 Depth=1
	s_wait_alu 0xfffe
	s_or_b32 exec_lo, exec_lo, s21
.LBB270_130:                            ;   in Loop: Header=BB270_13 Depth=1
	s_wait_alu 0xfffe
	s_or_b32 exec_lo, exec_lo, s20
	v_lshrrev_b32_e32 v7, 16, v9
	v_mov_b32_e32 v114, 0
	s_mov_b32 s20, exec_lo
	s_delay_alu instid0(VALU_DEP_2) | instskip(NEXT) | instid1(VALU_DEP_1)
	v_dual_mov_b32 v115, 0 :: v_dual_and_b32 v116, 0xff, v7
	v_cmpx_ne_u16_e32 0, v116
	s_cbranch_execz .LBB270_138
; %bb.131:                              ;   in Loop: Header=BB270_13 Depth=1
	v_mov_b32_e32 v115, 0x8000
	s_mov_b32 s21, exec_lo
	v_cmpx_ne_u16_e32 0x80, v116
	s_cbranch_execz .LBB270_137
; %bb.132:                              ;   in Loop: Header=BB270_13 Depth=1
	v_bfe_u32 v117, v9, 16, 7
	v_mov_b32_e32 v115, 0x7c01
	s_mov_b32 s22, exec_lo
	s_delay_alu instid0(VALU_DEP_2)
	v_cmpx_ne_u32_e32 0x7f, v117
	s_cbranch_execz .LBB270_136
; %bb.133:                              ;   in Loop: Header=BB270_13 Depth=1
	v_and_b32_e32 v115, 7, v7
	v_lshrrev_b32_e32 v116, 3, v117
	s_mov_b32 s23, exec_lo
	v_cmpx_gt_u32_e32 8, v117
; %bb.134:                              ;   in Loop: Header=BB270_13 Depth=1
	s_delay_alu instid0(VALU_DEP_3) | instskip(NEXT) | instid1(VALU_DEP_1)
	v_clz_i32_u32_e32 v115, v115
	v_min_u32_e32 v117, 32, v115
	s_delay_alu instid0(VALU_DEP_1) | instskip(NEXT) | instid1(VALU_DEP_1)
	v_subrev_nc_u32_e32 v115, 28, v117
	v_lshlrev_b64_e32 v[115:116], v115, v[7:8]
	v_sub_nc_u32_e32 v116, 29, v117
	s_delay_alu instid0(VALU_DEP_2)
	v_and_b32_e32 v115, 7, v115
; %bb.135:                              ;   in Loop: Header=BB270_13 Depth=1
	s_wait_alu 0xfffe
	s_or_b32 exec_lo, exec_lo, s23
	v_lshlrev_b32_e32 v7, 8, v7
	v_lshl_add_u32 v116, v116, 10, 0x2000
	v_lshlrev_b32_e32 v115, 7, v115
	s_delay_alu instid0(VALU_DEP_3) | instskip(NEXT) | instid1(VALU_DEP_3)
	v_and_b32_e32 v7, 0x8000, v7
	v_and_b32_e32 v116, 0xfc00, v116
	s_delay_alu instid0(VALU_DEP_1)
	v_or3_b32 v115, v7, v116, v115
.LBB270_136:                            ;   in Loop: Header=BB270_13 Depth=1
	s_wait_alu 0xfffe
	s_or_b32 exec_lo, exec_lo, s22
.LBB270_137:                            ;   in Loop: Header=BB270_13 Depth=1
	s_wait_alu 0xfffe
	s_or_b32 exec_lo, exec_lo, s21
.LBB270_138:                            ;   in Loop: Header=BB270_13 Depth=1
	s_wait_alu 0xfffe
	s_or_b32 exec_lo, exec_lo, s20
	s_delay_alu instid0(SALU_CYCLE_1)
	s_mov_b32 s20, exec_lo
	v_cmpx_lt_u32_e32 0xffffff, v9
	s_cbranch_execz .LBB270_146
; %bb.139:                              ;   in Loop: Header=BB270_13 Depth=1
	v_lshrrev_b32_e32 v7, 24, v9
	v_bfrev_b32_e32 v114, 1
	s_mov_b32 s21, exec_lo
	s_delay_alu instid0(VALU_DEP_2)
	v_cmpx_ne_u32_e32 0x80, v7
	s_cbranch_execz .LBB270_145
; %bb.140:                              ;   in Loop: Header=BB270_13 Depth=1
	v_and_b32_e32 v116, 0x7f, v7
	v_mov_b32_e32 v114, 0x7c010000
	s_mov_b32 s22, exec_lo
	s_delay_alu instid0(VALU_DEP_2)
	v_cmpx_ne_u32_e32 0x7f, v116
	s_cbranch_execz .LBB270_144
; %bb.141:                              ;   in Loop: Header=BB270_13 Depth=1
	v_and_b32_e32 v9, 7, v7
	v_lshrrev_b32_e32 v114, 3, v116
	s_mov_b32 s23, exec_lo
	v_cmpx_gt_u32_e32 8, v116
; %bb.142:                              ;   in Loop: Header=BB270_13 Depth=1
	s_delay_alu instid0(VALU_DEP_3) | instskip(NEXT) | instid1(VALU_DEP_1)
	v_clz_i32_u32_e32 v9, v9
	v_min_u32_e32 v9, 32, v9
	s_delay_alu instid0(VALU_DEP_1) | instskip(NEXT) | instid1(VALU_DEP_1)
	v_subrev_nc_u32_e32 v114, 28, v9
	v_lshlrev_b64_e32 v[116:117], v114, v[7:8]
	v_sub_nc_u32_e32 v114, 29, v9
	s_delay_alu instid0(VALU_DEP_2)
	v_and_b32_e32 v9, 7, v116
; %bb.143:                              ;   in Loop: Header=BB270_13 Depth=1
	s_wait_alu 0xfffe
	s_or_b32 exec_lo, exec_lo, s23
	v_lshlrev_b32_e32 v7, 8, v7
	v_lshl_add_u32 v114, v114, 10, 0x2000
	v_lshlrev_b32_e32 v9, 23, v9
	s_delay_alu instid0(VALU_DEP_2) | instskip(NEXT) | instid1(VALU_DEP_1)
	v_and_or_b32 v7, 0x8000, v7, v114
	v_lshl_or_b32 v114, v7, 16, v9
.LBB270_144:                            ;   in Loop: Header=BB270_13 Depth=1
	s_wait_alu 0xfffe
	s_or_b32 exec_lo, exec_lo, s22
.LBB270_145:                            ;   in Loop: Header=BB270_13 Depth=1
	s_wait_alu 0xfffe
	s_or_b32 exec_lo, exec_lo, s21
.LBB270_146:                            ;   in Loop: Header=BB270_13 Depth=1
	s_wait_alu 0xfffe
	s_or_b32 exec_lo, exec_lo, s20
	flat_load_b32 v9, v[28:29] offset:512
	v_mov_b32_e32 v117, 0
	s_mov_b32 s20, exec_lo
	s_wait_loadcnt_dscnt 0x0
	v_dual_mov_b32 v116, 0 :: v_dual_and_b32 v7, 0xff, v9
	s_delay_alu instid0(VALU_DEP_1)
	v_cmpx_ne_u16_e32 0, v7
	s_cbranch_execz .LBB270_154
; %bb.147:                              ;   in Loop: Header=BB270_13 Depth=1
	v_mov_b32_e32 v117, 0x8000
	s_mov_b32 s21, exec_lo
	v_cmpx_ne_u16_e32 0x80, v7
	s_cbranch_execz .LBB270_153
; %bb.148:                              ;   in Loop: Header=BB270_13 Depth=1
	v_and_b32_e32 v118, 0x7f, v9
	v_mov_b32_e32 v117, 0x7c01
	s_mov_b32 s22, exec_lo
	s_delay_alu instid0(VALU_DEP_2)
	v_cmpx_ne_u32_e32 0x7f, v118
	s_cbranch_execz .LBB270_152
; %bb.149:                              ;   in Loop: Header=BB270_13 Depth=1
	v_and_b32_e32 v7, 7, v9
	v_lshrrev_b32_e32 v117, 3, v118
	s_mov_b32 s23, exec_lo
	v_cmpx_gt_u32_e32 8, v118
; %bb.150:                              ;   in Loop: Header=BB270_13 Depth=1
	s_delay_alu instid0(VALU_DEP_3) | instskip(NEXT) | instid1(VALU_DEP_1)
	v_clz_i32_u32_e32 v7, v7
	v_min_u32_e32 v7, 32, v7
	s_delay_alu instid0(VALU_DEP_1) | instskip(NEXT) | instid1(VALU_DEP_1)
	v_subrev_nc_u32_e32 v117, 28, v7
	v_lshlrev_b64_e32 v[118:119], v117, v[9:10]
	v_sub_nc_u32_e32 v117, 29, v7
	s_delay_alu instid0(VALU_DEP_2)
	v_and_b32_e32 v7, 7, v118
; %bb.151:                              ;   in Loop: Header=BB270_13 Depth=1
	s_wait_alu 0xfffe
	s_or_b32 exec_lo, exec_lo, s23
	v_lshlrev_b32_e32 v118, 8, v9
	v_lshl_add_u32 v117, v117, 10, 0x2000
	v_lshlrev_b32_e32 v7, 7, v7
	s_delay_alu instid0(VALU_DEP_3) | instskip(NEXT) | instid1(VALU_DEP_3)
	v_and_b32_e32 v118, 0x8000, v118
	v_and_b32_e32 v117, 0xfc00, v117
	s_delay_alu instid0(VALU_DEP_1)
	v_or3_b32 v117, v118, v117, v7
.LBB270_152:                            ;   in Loop: Header=BB270_13 Depth=1
	s_wait_alu 0xfffe
	s_or_b32 exec_lo, exec_lo, s22
.LBB270_153:                            ;   in Loop: Header=BB270_13 Depth=1
	s_wait_alu 0xfffe
	s_or_b32 exec_lo, exec_lo, s21
.LBB270_154:                            ;   in Loop: Header=BB270_13 Depth=1
	s_wait_alu 0xfffe
	s_or_b32 exec_lo, exec_lo, s20
	v_lshrrev_b16 v7, 8, v9
	s_mov_b32 s20, exec_lo
	s_delay_alu instid0(VALU_DEP_1)
	v_cmpx_ne_u16_e32 0, v7
	s_cbranch_execz .LBB270_162
; %bb.155:                              ;   in Loop: Header=BB270_13 Depth=1
	v_bfrev_b32_e32 v116, 1
	s_mov_b32 s21, exec_lo
	v_cmpx_ne_u16_e32 0x80, v7
	s_cbranch_execz .LBB270_161
; %bb.156:                              ;   in Loop: Header=BB270_13 Depth=1
	v_and_b32_e32 v118, 0xffff, v7
	v_mov_b32_e32 v116, 0x7c010000
	s_mov_b32 s22, exec_lo
	s_delay_alu instid0(VALU_DEP_2) | instskip(NEXT) | instid1(VALU_DEP_1)
	v_and_b32_e32 v128, 0x7f, v118
	v_cmpx_ne_u32_e32 0x7f, v128
	s_cbranch_execz .LBB270_160
; %bb.157:                              ;   in Loop: Header=BB270_13 Depth=1
	v_and_b32_e32 v116, 7, v118
	v_lshrrev_b32_e32 v119, 3, v128
	s_mov_b32 s23, exec_lo
	v_cmpx_gt_u32_e32 8, v128
; %bb.158:                              ;   in Loop: Header=BB270_13 Depth=1
	s_delay_alu instid0(VALU_DEP_3) | instskip(NEXT) | instid1(VALU_DEP_1)
	v_clz_i32_u32_e32 v116, v116
	v_min_u32_e32 v116, 32, v116
	s_delay_alu instid0(VALU_DEP_1) | instskip(NEXT) | instid1(VALU_DEP_1)
	v_subrev_nc_u32_e32 v119, 28, v116
	v_lshlrev_b64_e32 v[128:129], v119, v[7:8]
	v_sub_nc_u32_e32 v119, 29, v116
	s_delay_alu instid0(VALU_DEP_2)
	v_and_b32_e32 v116, 7, v128
; %bb.159:                              ;   in Loop: Header=BB270_13 Depth=1
	s_wait_alu 0xfffe
	s_or_b32 exec_lo, exec_lo, s23
	v_lshlrev_b32_e32 v7, 8, v118
	v_lshl_add_u32 v118, v119, 10, 0x2000
	v_lshlrev_b32_e32 v116, 23, v116
	s_delay_alu instid0(VALU_DEP_2) | instskip(NEXT) | instid1(VALU_DEP_1)
	v_and_or_b32 v7, 0x8000, v7, v118
	v_lshl_or_b32 v116, v7, 16, v116
.LBB270_160:                            ;   in Loop: Header=BB270_13 Depth=1
	s_wait_alu 0xfffe
	s_or_b32 exec_lo, exec_lo, s22
.LBB270_161:                            ;   in Loop: Header=BB270_13 Depth=1
	s_wait_alu 0xfffe
	s_or_b32 exec_lo, exec_lo, s21
.LBB270_162:                            ;   in Loop: Header=BB270_13 Depth=1
	s_wait_alu 0xfffe
	s_or_b32 exec_lo, exec_lo, s20
	v_lshrrev_b32_e32 v7, 16, v9
	v_mov_b32_e32 v118, 0
	s_mov_b32 s20, exec_lo
	s_delay_alu instid0(VALU_DEP_2) | instskip(NEXT) | instid1(VALU_DEP_1)
	v_dual_mov_b32 v119, 0 :: v_dual_and_b32 v128, 0xff, v7
	v_cmpx_ne_u16_e64 0, v128
	s_cbranch_execz .LBB270_170
; %bb.163:                              ;   in Loop: Header=BB270_13 Depth=1
	v_mov_b32_e32 v119, 0x8000
	s_mov_b32 s21, exec_lo
	v_cmpx_ne_u16_e64 0x80, v128
	s_cbranch_execz .LBB270_169
; %bb.164:                              ;   in Loop: Header=BB270_13 Depth=1
	v_bfe_u32 v129, v9, 16, 7
	v_mov_b32_e32 v119, 0x7c01
	s_mov_b32 s22, exec_lo
	s_delay_alu instid0(VALU_DEP_2)
	v_cmpx_ne_u32_e32 0x7f, v129
	s_cbranch_execz .LBB270_168
; %bb.165:                              ;   in Loop: Header=BB270_13 Depth=1
	v_and_b32_e32 v119, 7, v7
	v_lshrrev_b32_e32 v128, 3, v129
	s_mov_b32 s23, exec_lo
	v_cmpx_gt_u32_e32 8, v129
; %bb.166:                              ;   in Loop: Header=BB270_13 Depth=1
	s_delay_alu instid0(VALU_DEP_3) | instskip(NEXT) | instid1(VALU_DEP_1)
	v_clz_i32_u32_e32 v119, v119
	v_min_u32_e32 v119, 32, v119
	s_delay_alu instid0(VALU_DEP_1) | instskip(NEXT) | instid1(VALU_DEP_1)
	v_subrev_nc_u32_e32 v128, 28, v119
	v_lshlrev_b64_e32 v[129:130], v128, v[7:8]
	v_sub_nc_u32_e32 v128, 29, v119
	s_delay_alu instid0(VALU_DEP_2)
	v_and_b32_e32 v119, 7, v129
; %bb.167:                              ;   in Loop: Header=BB270_13 Depth=1
	s_wait_alu 0xfffe
	s_or_b32 exec_lo, exec_lo, s23
	v_lshlrev_b32_e32 v7, 8, v7
	v_lshl_add_u32 v128, v128, 10, 0x2000
	v_lshlrev_b32_e32 v119, 7, v119
	s_delay_alu instid0(VALU_DEP_3) | instskip(NEXT) | instid1(VALU_DEP_3)
	v_and_b32_e32 v7, 0x8000, v7
	v_and_b32_e32 v128, 0xfc00, v128
	s_delay_alu instid0(VALU_DEP_1)
	v_or3_b32 v119, v7, v128, v119
.LBB270_168:                            ;   in Loop: Header=BB270_13 Depth=1
	s_wait_alu 0xfffe
	s_or_b32 exec_lo, exec_lo, s22
.LBB270_169:                            ;   in Loop: Header=BB270_13 Depth=1
	s_wait_alu 0xfffe
	s_or_b32 exec_lo, exec_lo, s21
.LBB270_170:                            ;   in Loop: Header=BB270_13 Depth=1
	s_wait_alu 0xfffe
	s_or_b32 exec_lo, exec_lo, s20
	s_delay_alu instid0(SALU_CYCLE_1)
	s_mov_b32 s20, exec_lo
	v_cmpx_lt_u32_e32 0xffffff, v9
	s_cbranch_execz .LBB270_178
; %bb.171:                              ;   in Loop: Header=BB270_13 Depth=1
	v_lshrrev_b32_e32 v7, 24, v9
	v_bfrev_b32_e32 v118, 1
	s_mov_b32 s21, exec_lo
	s_delay_alu instid0(VALU_DEP_2)
	v_cmpx_ne_u32_e32 0x80, v7
	s_cbranch_execz .LBB270_177
; %bb.172:                              ;   in Loop: Header=BB270_13 Depth=1
	v_and_b32_e32 v128, 0x7f, v7
	v_mov_b32_e32 v118, 0x7c010000
	s_mov_b32 s22, exec_lo
	s_delay_alu instid0(VALU_DEP_2)
	v_cmpx_ne_u32_e32 0x7f, v128
	s_cbranch_execz .LBB270_176
; %bb.173:                              ;   in Loop: Header=BB270_13 Depth=1
	v_and_b32_e32 v9, 7, v7
	v_lshrrev_b32_e32 v118, 3, v128
	s_mov_b32 s23, exec_lo
	v_cmpx_gt_u32_e32 8, v128
; %bb.174:                              ;   in Loop: Header=BB270_13 Depth=1
	s_delay_alu instid0(VALU_DEP_3) | instskip(NEXT) | instid1(VALU_DEP_1)
	v_clz_i32_u32_e32 v9, v9
	v_min_u32_e32 v9, 32, v9
	s_delay_alu instid0(VALU_DEP_1) | instskip(NEXT) | instid1(VALU_DEP_1)
	v_subrev_nc_u32_e32 v118, 28, v9
	v_lshlrev_b64_e32 v[128:129], v118, v[7:8]
	v_sub_nc_u32_e32 v118, 29, v9
	s_delay_alu instid0(VALU_DEP_2)
	v_and_b32_e32 v9, 7, v128
; %bb.175:                              ;   in Loop: Header=BB270_13 Depth=1
	s_wait_alu 0xfffe
	s_or_b32 exec_lo, exec_lo, s23
	v_lshlrev_b32_e32 v7, 8, v7
	v_lshl_add_u32 v118, v118, 10, 0x2000
	v_lshlrev_b32_e32 v9, 23, v9
	s_delay_alu instid0(VALU_DEP_2) | instskip(NEXT) | instid1(VALU_DEP_1)
	v_and_or_b32 v7, 0x8000, v7, v118
	v_lshl_or_b32 v118, v7, 16, v9
.LBB270_176:                            ;   in Loop: Header=BB270_13 Depth=1
	s_wait_alu 0xfffe
	s_or_b32 exec_lo, exec_lo, s22
.LBB270_177:                            ;   in Loop: Header=BB270_13 Depth=1
	s_wait_alu 0xfffe
	s_or_b32 exec_lo, exec_lo, s21
.LBB270_178:                            ;   in Loop: Header=BB270_13 Depth=1
	s_wait_alu 0xfffe
	s_or_b32 exec_lo, exec_lo, s20
	flat_load_b32 v9, v[28:29] offset:520
	v_mov_b32_e32 v129, 0
	s_mov_b32 s20, exec_lo
	s_wait_loadcnt_dscnt 0x0
	v_dual_mov_b32 v128, 0 :: v_dual_and_b32 v7, 0xff, v9
	s_delay_alu instid0(VALU_DEP_1)
	v_cmpx_ne_u16_e32 0, v7
	s_cbranch_execz .LBB270_186
; %bb.179:                              ;   in Loop: Header=BB270_13 Depth=1
	v_mov_b32_e32 v129, 0x8000
	s_mov_b32 s21, exec_lo
	v_cmpx_ne_u16_e32 0x80, v7
	s_cbranch_execz .LBB270_185
; %bb.180:                              ;   in Loop: Header=BB270_13 Depth=1
	v_and_b32_e32 v130, 0x7f, v9
	v_mov_b32_e32 v129, 0x7c01
	s_mov_b32 s22, exec_lo
	s_delay_alu instid0(VALU_DEP_2)
	v_cmpx_ne_u32_e32 0x7f, v130
	s_cbranch_execz .LBB270_184
; %bb.181:                              ;   in Loop: Header=BB270_13 Depth=1
	v_and_b32_e32 v7, 7, v9
	v_lshrrev_b32_e32 v129, 3, v130
	s_mov_b32 s23, exec_lo
	v_cmpx_gt_u32_e32 8, v130
; %bb.182:                              ;   in Loop: Header=BB270_13 Depth=1
	s_delay_alu instid0(VALU_DEP_3) | instskip(NEXT) | instid1(VALU_DEP_1)
	v_clz_i32_u32_e32 v7, v7
	v_min_u32_e32 v7, 32, v7
	s_delay_alu instid0(VALU_DEP_1) | instskip(NEXT) | instid1(VALU_DEP_1)
	v_subrev_nc_u32_e32 v129, 28, v7
	v_lshlrev_b64_e32 v[130:131], v129, v[9:10]
	v_sub_nc_u32_e32 v129, 29, v7
	s_delay_alu instid0(VALU_DEP_2)
	v_and_b32_e32 v7, 7, v130
; %bb.183:                              ;   in Loop: Header=BB270_13 Depth=1
	s_wait_alu 0xfffe
	s_or_b32 exec_lo, exec_lo, s23
	v_lshlrev_b32_e32 v130, 8, v9
	v_lshl_add_u32 v129, v129, 10, 0x2000
	v_lshlrev_b32_e32 v7, 7, v7
	s_delay_alu instid0(VALU_DEP_3) | instskip(NEXT) | instid1(VALU_DEP_3)
	v_and_b32_e32 v130, 0x8000, v130
	v_and_b32_e32 v129, 0xfc00, v129
	s_delay_alu instid0(VALU_DEP_1)
	v_or3_b32 v129, v130, v129, v7
.LBB270_184:                            ;   in Loop: Header=BB270_13 Depth=1
	s_wait_alu 0xfffe
	s_or_b32 exec_lo, exec_lo, s22
.LBB270_185:                            ;   in Loop: Header=BB270_13 Depth=1
	s_wait_alu 0xfffe
	s_or_b32 exec_lo, exec_lo, s21
.LBB270_186:                            ;   in Loop: Header=BB270_13 Depth=1
	s_wait_alu 0xfffe
	s_or_b32 exec_lo, exec_lo, s20
	v_lshrrev_b16 v7, 8, v9
	s_mov_b32 s20, exec_lo
	s_delay_alu instid0(VALU_DEP_1)
	v_cmpx_ne_u16_e32 0, v7
	s_cbranch_execz .LBB270_194
; %bb.187:                              ;   in Loop: Header=BB270_13 Depth=1
	v_bfrev_b32_e32 v128, 1
	s_mov_b32 s21, exec_lo
	v_cmpx_ne_u16_e32 0x80, v7
	s_cbranch_execz .LBB270_193
; %bb.188:                              ;   in Loop: Header=BB270_13 Depth=1
	v_and_b32_e32 v130, 0xffff, v7
	v_mov_b32_e32 v128, 0x7c010000
	s_mov_b32 s22, exec_lo
	s_delay_alu instid0(VALU_DEP_2) | instskip(NEXT) | instid1(VALU_DEP_1)
	v_and_b32_e32 v132, 0x7f, v130
	v_cmpx_ne_u32_e32 0x7f, v132
	s_cbranch_execz .LBB270_192
; %bb.189:                              ;   in Loop: Header=BB270_13 Depth=1
	v_and_b32_e32 v128, 7, v130
	v_lshrrev_b32_e32 v131, 3, v132
	s_mov_b32 s23, exec_lo
	v_cmpx_gt_u32_e32 8, v132
; %bb.190:                              ;   in Loop: Header=BB270_13 Depth=1
	s_delay_alu instid0(VALU_DEP_3) | instskip(NEXT) | instid1(VALU_DEP_1)
	v_clz_i32_u32_e32 v128, v128
	v_min_u32_e32 v128, 32, v128
	s_delay_alu instid0(VALU_DEP_1) | instskip(NEXT) | instid1(VALU_DEP_1)
	v_subrev_nc_u32_e32 v131, 28, v128
	v_lshlrev_b64_e32 v[132:133], v131, v[7:8]
	v_sub_nc_u32_e32 v131, 29, v128
	s_delay_alu instid0(VALU_DEP_2)
	v_and_b32_e32 v128, 7, v132
; %bb.191:                              ;   in Loop: Header=BB270_13 Depth=1
	s_wait_alu 0xfffe
	s_or_b32 exec_lo, exec_lo, s23
	v_lshlrev_b32_e32 v7, 8, v130
	v_lshl_add_u32 v130, v131, 10, 0x2000
	v_lshlrev_b32_e32 v128, 23, v128
	s_delay_alu instid0(VALU_DEP_2) | instskip(NEXT) | instid1(VALU_DEP_1)
	v_and_or_b32 v7, 0x8000, v7, v130
	v_lshl_or_b32 v128, v7, 16, v128
.LBB270_192:                            ;   in Loop: Header=BB270_13 Depth=1
	s_wait_alu 0xfffe
	s_or_b32 exec_lo, exec_lo, s22
.LBB270_193:                            ;   in Loop: Header=BB270_13 Depth=1
	s_wait_alu 0xfffe
	s_or_b32 exec_lo, exec_lo, s21
.LBB270_194:                            ;   in Loop: Header=BB270_13 Depth=1
	s_wait_alu 0xfffe
	s_or_b32 exec_lo, exec_lo, s20
	v_lshrrev_b32_e32 v7, 16, v9
	v_mov_b32_e32 v130, 0
	s_mov_b32 s20, exec_lo
	s_delay_alu instid0(VALU_DEP_2) | instskip(NEXT) | instid1(VALU_DEP_1)
	v_dual_mov_b32 v131, 0 :: v_dual_and_b32 v132, 0xff, v7
	v_cmpx_ne_u16_e64 0, v132
	s_cbranch_execz .LBB270_202
; %bb.195:                              ;   in Loop: Header=BB270_13 Depth=1
	v_mov_b32_e32 v131, 0x8000
	s_mov_b32 s21, exec_lo
	v_cmpx_ne_u16_e64 0x80, v132
	s_cbranch_execz .LBB270_201
; %bb.196:                              ;   in Loop: Header=BB270_13 Depth=1
	v_bfe_u32 v133, v9, 16, 7
	v_mov_b32_e32 v131, 0x7c01
	s_mov_b32 s22, exec_lo
	s_delay_alu instid0(VALU_DEP_2)
	v_cmpx_ne_u32_e32 0x7f, v133
	s_cbranch_execz .LBB270_200
; %bb.197:                              ;   in Loop: Header=BB270_13 Depth=1
	v_and_b32_e32 v131, 7, v7
	v_lshrrev_b32_e32 v132, 3, v133
	s_mov_b32 s23, exec_lo
	v_cmpx_gt_u32_e32 8, v133
; %bb.198:                              ;   in Loop: Header=BB270_13 Depth=1
	s_delay_alu instid0(VALU_DEP_3) | instskip(NEXT) | instid1(VALU_DEP_1)
	v_clz_i32_u32_e32 v131, v131
	v_min_u32_e32 v133, 32, v131
	s_delay_alu instid0(VALU_DEP_1) | instskip(NEXT) | instid1(VALU_DEP_1)
	v_subrev_nc_u32_e32 v131, 28, v133
	v_lshlrev_b64_e32 v[131:132], v131, v[7:8]
	v_sub_nc_u32_e32 v132, 29, v133
	s_delay_alu instid0(VALU_DEP_2)
	v_and_b32_e32 v131, 7, v131
; %bb.199:                              ;   in Loop: Header=BB270_13 Depth=1
	s_wait_alu 0xfffe
	s_or_b32 exec_lo, exec_lo, s23
	v_lshlrev_b32_e32 v7, 8, v7
	v_lshl_add_u32 v132, v132, 10, 0x2000
	v_lshlrev_b32_e32 v131, 7, v131
	s_delay_alu instid0(VALU_DEP_3) | instskip(NEXT) | instid1(VALU_DEP_3)
	v_and_b32_e32 v7, 0x8000, v7
	v_and_b32_e32 v132, 0xfc00, v132
	s_delay_alu instid0(VALU_DEP_1)
	v_or3_b32 v131, v7, v132, v131
.LBB270_200:                            ;   in Loop: Header=BB270_13 Depth=1
	s_wait_alu 0xfffe
	s_or_b32 exec_lo, exec_lo, s22
.LBB270_201:                            ;   in Loop: Header=BB270_13 Depth=1
	s_wait_alu 0xfffe
	s_or_b32 exec_lo, exec_lo, s21
.LBB270_202:                            ;   in Loop: Header=BB270_13 Depth=1
	s_wait_alu 0xfffe
	s_or_b32 exec_lo, exec_lo, s20
	s_delay_alu instid0(SALU_CYCLE_1)
	s_mov_b32 s20, exec_lo
	v_cmpx_lt_u32_e32 0xffffff, v9
	s_cbranch_execz .LBB270_210
; %bb.203:                              ;   in Loop: Header=BB270_13 Depth=1
	v_lshrrev_b32_e32 v7, 24, v9
	v_bfrev_b32_e32 v130, 1
	s_mov_b32 s21, exec_lo
	s_delay_alu instid0(VALU_DEP_2)
	v_cmpx_ne_u32_e32 0x80, v7
	s_cbranch_execz .LBB270_209
; %bb.204:                              ;   in Loop: Header=BB270_13 Depth=1
	v_and_b32_e32 v132, 0x7f, v7
	v_mov_b32_e32 v130, 0x7c010000
	s_mov_b32 s22, exec_lo
	s_delay_alu instid0(VALU_DEP_2)
	v_cmpx_ne_u32_e32 0x7f, v132
	s_cbranch_execz .LBB270_208
; %bb.205:                              ;   in Loop: Header=BB270_13 Depth=1
	v_and_b32_e32 v9, 7, v7
	v_lshrrev_b32_e32 v130, 3, v132
	s_mov_b32 s23, exec_lo
	v_cmpx_gt_u32_e32 8, v132
; %bb.206:                              ;   in Loop: Header=BB270_13 Depth=1
	s_delay_alu instid0(VALU_DEP_3) | instskip(NEXT) | instid1(VALU_DEP_1)
	v_clz_i32_u32_e32 v9, v9
	v_min_u32_e32 v9, 32, v9
	s_delay_alu instid0(VALU_DEP_1) | instskip(NEXT) | instid1(VALU_DEP_1)
	v_subrev_nc_u32_e32 v130, 28, v9
	v_lshlrev_b64_e32 v[132:133], v130, v[7:8]
	v_sub_nc_u32_e32 v130, 29, v9
	s_delay_alu instid0(VALU_DEP_2)
	v_and_b32_e32 v9, 7, v132
; %bb.207:                              ;   in Loop: Header=BB270_13 Depth=1
	s_wait_alu 0xfffe
	s_or_b32 exec_lo, exec_lo, s23
	v_lshlrev_b32_e32 v7, 8, v7
	v_lshl_add_u32 v130, v130, 10, 0x2000
	v_lshlrev_b32_e32 v9, 23, v9
	s_delay_alu instid0(VALU_DEP_2) | instskip(NEXT) | instid1(VALU_DEP_1)
	v_and_or_b32 v7, 0x8000, v7, v130
	v_lshl_or_b32 v130, v7, 16, v9
.LBB270_208:                            ;   in Loop: Header=BB270_13 Depth=1
	s_wait_alu 0xfffe
	s_or_b32 exec_lo, exec_lo, s22
.LBB270_209:                            ;   in Loop: Header=BB270_13 Depth=1
	s_wait_alu 0xfffe
	s_or_b32 exec_lo, exec_lo, s21
.LBB270_210:                            ;   in Loop: Header=BB270_13 Depth=1
	s_wait_alu 0xfffe
	s_or_b32 exec_lo, exec_lo, s20
	flat_load_b32 v9, v[28:29] offset:768
	v_mov_b32_e32 v133, 0
	s_mov_b32 s20, exec_lo
	s_wait_loadcnt_dscnt 0x0
	v_dual_mov_b32 v132, 0 :: v_dual_and_b32 v7, 0xff, v9
	s_delay_alu instid0(VALU_DEP_1)
	v_cmpx_ne_u16_e32 0, v7
	s_cbranch_execz .LBB270_218
; %bb.211:                              ;   in Loop: Header=BB270_13 Depth=1
	v_mov_b32_e32 v133, 0x8000
	s_mov_b32 s21, exec_lo
	v_cmpx_ne_u16_e32 0x80, v7
	s_cbranch_execz .LBB270_217
; %bb.212:                              ;   in Loop: Header=BB270_13 Depth=1
	v_and_b32_e32 v134, 0x7f, v9
	v_mov_b32_e32 v133, 0x7c01
	s_mov_b32 s22, exec_lo
	s_delay_alu instid0(VALU_DEP_2)
	v_cmpx_ne_u32_e32 0x7f, v134
	s_cbranch_execz .LBB270_216
; %bb.213:                              ;   in Loop: Header=BB270_13 Depth=1
	v_and_b32_e32 v7, 7, v9
	v_lshrrev_b32_e32 v133, 3, v134
	s_mov_b32 s23, exec_lo
	v_cmpx_gt_u32_e32 8, v134
; %bb.214:                              ;   in Loop: Header=BB270_13 Depth=1
	s_delay_alu instid0(VALU_DEP_3) | instskip(NEXT) | instid1(VALU_DEP_1)
	v_clz_i32_u32_e32 v7, v7
	v_min_u32_e32 v7, 32, v7
	s_delay_alu instid0(VALU_DEP_1) | instskip(NEXT) | instid1(VALU_DEP_1)
	v_subrev_nc_u32_e32 v133, 28, v7
	v_lshlrev_b64_e32 v[134:135], v133, v[9:10]
	v_sub_nc_u32_e32 v133, 29, v7
	s_delay_alu instid0(VALU_DEP_2)
	v_and_b32_e32 v7, 7, v134
; %bb.215:                              ;   in Loop: Header=BB270_13 Depth=1
	s_wait_alu 0xfffe
	s_or_b32 exec_lo, exec_lo, s23
	v_lshlrev_b32_e32 v134, 8, v9
	v_lshl_add_u32 v133, v133, 10, 0x2000
	v_lshlrev_b32_e32 v7, 7, v7
	s_delay_alu instid0(VALU_DEP_3) | instskip(NEXT) | instid1(VALU_DEP_3)
	v_and_b32_e32 v134, 0x8000, v134
	v_and_b32_e32 v133, 0xfc00, v133
	s_delay_alu instid0(VALU_DEP_1)
	v_or3_b32 v133, v134, v133, v7
.LBB270_216:                            ;   in Loop: Header=BB270_13 Depth=1
	s_wait_alu 0xfffe
	s_or_b32 exec_lo, exec_lo, s22
.LBB270_217:                            ;   in Loop: Header=BB270_13 Depth=1
	s_wait_alu 0xfffe
	s_or_b32 exec_lo, exec_lo, s21
.LBB270_218:                            ;   in Loop: Header=BB270_13 Depth=1
	s_wait_alu 0xfffe
	s_or_b32 exec_lo, exec_lo, s20
	v_lshrrev_b16 v7, 8, v9
	s_mov_b32 s20, exec_lo
	s_delay_alu instid0(VALU_DEP_1)
	v_cmpx_ne_u16_e32 0, v7
	s_cbranch_execz .LBB270_226
; %bb.219:                              ;   in Loop: Header=BB270_13 Depth=1
	v_bfrev_b32_e32 v132, 1
	s_mov_b32 s21, exec_lo
	v_cmpx_ne_u16_e32 0x80, v7
	s_cbranch_execz .LBB270_225
; %bb.220:                              ;   in Loop: Header=BB270_13 Depth=1
	v_and_b32_e32 v134, 0xffff, v7
	v_mov_b32_e32 v132, 0x7c010000
	s_mov_b32 s22, exec_lo
	s_delay_alu instid0(VALU_DEP_2) | instskip(NEXT) | instid1(VALU_DEP_1)
	v_and_b32_e32 v144, 0x7f, v134
	v_cmpx_ne_u32_e32 0x7f, v144
	s_cbranch_execz .LBB270_224
; %bb.221:                              ;   in Loop: Header=BB270_13 Depth=1
	v_and_b32_e32 v132, 7, v134
	v_lshrrev_b32_e32 v135, 3, v144
	s_mov_b32 s23, exec_lo
	v_cmpx_gt_u32_e32 8, v144
; %bb.222:                              ;   in Loop: Header=BB270_13 Depth=1
	s_delay_alu instid0(VALU_DEP_3) | instskip(NEXT) | instid1(VALU_DEP_1)
	v_clz_i32_u32_e32 v132, v132
	v_min_u32_e32 v132, 32, v132
	s_delay_alu instid0(VALU_DEP_1) | instskip(NEXT) | instid1(VALU_DEP_1)
	v_subrev_nc_u32_e32 v135, 28, v132
	v_lshlrev_b64_e32 v[144:145], v135, v[7:8]
	v_sub_nc_u32_e32 v135, 29, v132
	s_delay_alu instid0(VALU_DEP_2)
	v_and_b32_e32 v132, 7, v144
; %bb.223:                              ;   in Loop: Header=BB270_13 Depth=1
	s_wait_alu 0xfffe
	s_or_b32 exec_lo, exec_lo, s23
	v_lshlrev_b32_e32 v7, 8, v134
	v_lshl_add_u32 v134, v135, 10, 0x2000
	v_lshlrev_b32_e32 v132, 23, v132
	s_delay_alu instid0(VALU_DEP_2) | instskip(NEXT) | instid1(VALU_DEP_1)
	v_and_or_b32 v7, 0x8000, v7, v134
	v_lshl_or_b32 v132, v7, 16, v132
.LBB270_224:                            ;   in Loop: Header=BB270_13 Depth=1
	s_wait_alu 0xfffe
	s_or_b32 exec_lo, exec_lo, s22
.LBB270_225:                            ;   in Loop: Header=BB270_13 Depth=1
	s_wait_alu 0xfffe
	s_or_b32 exec_lo, exec_lo, s21
.LBB270_226:                            ;   in Loop: Header=BB270_13 Depth=1
	s_wait_alu 0xfffe
	s_or_b32 exec_lo, exec_lo, s20
	v_lshrrev_b32_e32 v7, 16, v9
	v_mov_b32_e32 v134, 0
	s_mov_b32 s20, exec_lo
	s_delay_alu instid0(VALU_DEP_2) | instskip(NEXT) | instid1(VALU_DEP_1)
	v_dual_mov_b32 v135, 0 :: v_dual_and_b32 v144, 0xff, v7
	v_cmpx_ne_u16_e64 0, v144
	s_cbranch_execz .LBB270_234
; %bb.227:                              ;   in Loop: Header=BB270_13 Depth=1
	v_mov_b32_e32 v135, 0x8000
	s_mov_b32 s21, exec_lo
	v_cmpx_ne_u16_e64 0x80, v144
	s_cbranch_execz .LBB270_233
; %bb.228:                              ;   in Loop: Header=BB270_13 Depth=1
	v_bfe_u32 v145, v9, 16, 7
	v_mov_b32_e32 v135, 0x7c01
	s_mov_b32 s22, exec_lo
	s_delay_alu instid0(VALU_DEP_2)
	v_cmpx_ne_u32_e32 0x7f, v145
	s_cbranch_execz .LBB270_232
; %bb.229:                              ;   in Loop: Header=BB270_13 Depth=1
	v_and_b32_e32 v135, 7, v7
	v_lshrrev_b32_e32 v144, 3, v145
	s_mov_b32 s23, exec_lo
	v_cmpx_gt_u32_e32 8, v145
; %bb.230:                              ;   in Loop: Header=BB270_13 Depth=1
	s_delay_alu instid0(VALU_DEP_3) | instskip(NEXT) | instid1(VALU_DEP_1)
	v_clz_i32_u32_e32 v135, v135
	v_min_u32_e32 v135, 32, v135
	s_delay_alu instid0(VALU_DEP_1) | instskip(NEXT) | instid1(VALU_DEP_1)
	v_subrev_nc_u32_e32 v144, 28, v135
	v_lshlrev_b64_e32 v[145:146], v144, v[7:8]
	v_sub_nc_u32_e32 v144, 29, v135
	s_delay_alu instid0(VALU_DEP_2)
	v_and_b32_e32 v135, 7, v145
; %bb.231:                              ;   in Loop: Header=BB270_13 Depth=1
	s_wait_alu 0xfffe
	s_or_b32 exec_lo, exec_lo, s23
	v_lshlrev_b32_e32 v7, 8, v7
	v_lshl_add_u32 v144, v144, 10, 0x2000
	v_lshlrev_b32_e32 v135, 7, v135
	s_delay_alu instid0(VALU_DEP_3) | instskip(NEXT) | instid1(VALU_DEP_3)
	v_and_b32_e32 v7, 0x8000, v7
	v_and_b32_e32 v144, 0xfc00, v144
	s_delay_alu instid0(VALU_DEP_1)
	v_or3_b32 v135, v7, v144, v135
.LBB270_232:                            ;   in Loop: Header=BB270_13 Depth=1
	s_wait_alu 0xfffe
	s_or_b32 exec_lo, exec_lo, s22
.LBB270_233:                            ;   in Loop: Header=BB270_13 Depth=1
	s_wait_alu 0xfffe
	s_or_b32 exec_lo, exec_lo, s21
.LBB270_234:                            ;   in Loop: Header=BB270_13 Depth=1
	s_wait_alu 0xfffe
	s_or_b32 exec_lo, exec_lo, s20
	s_delay_alu instid0(SALU_CYCLE_1)
	s_mov_b32 s20, exec_lo
	v_cmpx_lt_u32_e32 0xffffff, v9
	s_cbranch_execz .LBB270_242
; %bb.235:                              ;   in Loop: Header=BB270_13 Depth=1
	v_lshrrev_b32_e32 v7, 24, v9
	v_bfrev_b32_e32 v134, 1
	s_mov_b32 s21, exec_lo
	s_delay_alu instid0(VALU_DEP_2)
	v_cmpx_ne_u32_e32 0x80, v7
	s_cbranch_execz .LBB270_241
; %bb.236:                              ;   in Loop: Header=BB270_13 Depth=1
	v_and_b32_e32 v144, 0x7f, v7
	v_mov_b32_e32 v134, 0x7c010000
	s_mov_b32 s22, exec_lo
	s_delay_alu instid0(VALU_DEP_2)
	v_cmpx_ne_u32_e32 0x7f, v144
	s_cbranch_execz .LBB270_240
; %bb.237:                              ;   in Loop: Header=BB270_13 Depth=1
	v_and_b32_e32 v9, 7, v7
	v_lshrrev_b32_e32 v134, 3, v144
	s_mov_b32 s23, exec_lo
	v_cmpx_gt_u32_e32 8, v144
; %bb.238:                              ;   in Loop: Header=BB270_13 Depth=1
	s_delay_alu instid0(VALU_DEP_3) | instskip(NEXT) | instid1(VALU_DEP_1)
	v_clz_i32_u32_e32 v9, v9
	v_min_u32_e32 v9, 32, v9
	s_delay_alu instid0(VALU_DEP_1) | instskip(NEXT) | instid1(VALU_DEP_1)
	v_subrev_nc_u32_e32 v134, 28, v9
	v_lshlrev_b64_e32 v[144:145], v134, v[7:8]
	v_sub_nc_u32_e32 v134, 29, v9
	s_delay_alu instid0(VALU_DEP_2)
	v_and_b32_e32 v9, 7, v144
; %bb.239:                              ;   in Loop: Header=BB270_13 Depth=1
	s_wait_alu 0xfffe
	s_or_b32 exec_lo, exec_lo, s23
	v_lshlrev_b32_e32 v7, 8, v7
	v_lshl_add_u32 v134, v134, 10, 0x2000
	v_lshlrev_b32_e32 v9, 23, v9
	s_delay_alu instid0(VALU_DEP_2) | instskip(NEXT) | instid1(VALU_DEP_1)
	v_and_or_b32 v7, 0x8000, v7, v134
	v_lshl_or_b32 v134, v7, 16, v9
.LBB270_240:                            ;   in Loop: Header=BB270_13 Depth=1
	s_wait_alu 0xfffe
	s_or_b32 exec_lo, exec_lo, s22
.LBB270_241:                            ;   in Loop: Header=BB270_13 Depth=1
	s_wait_alu 0xfffe
	s_or_b32 exec_lo, exec_lo, s21
.LBB270_242:                            ;   in Loop: Header=BB270_13 Depth=1
	s_wait_alu 0xfffe
	s_or_b32 exec_lo, exec_lo, s20
	flat_load_b32 v9, v[28:29] offset:776
	v_mov_b32_e32 v145, 0
	s_mov_b32 s20, exec_lo
	s_wait_loadcnt_dscnt 0x0
	v_dual_mov_b32 v144, 0 :: v_dual_and_b32 v7, 0xff, v9
	s_delay_alu instid0(VALU_DEP_1)
	v_cmpx_ne_u16_e32 0, v7
	s_cbranch_execz .LBB270_250
; %bb.243:                              ;   in Loop: Header=BB270_13 Depth=1
	v_mov_b32_e32 v145, 0x8000
	s_mov_b32 s21, exec_lo
	v_cmpx_ne_u16_e32 0x80, v7
	s_cbranch_execz .LBB270_249
; %bb.244:                              ;   in Loop: Header=BB270_13 Depth=1
	v_and_b32_e32 v146, 0x7f, v9
	v_mov_b32_e32 v145, 0x7c01
	s_mov_b32 s22, exec_lo
	s_delay_alu instid0(VALU_DEP_2)
	v_cmpx_ne_u32_e32 0x7f, v146
	s_cbranch_execz .LBB270_248
; %bb.245:                              ;   in Loop: Header=BB270_13 Depth=1
	v_and_b32_e32 v7, 7, v9
	v_lshrrev_b32_e32 v145, 3, v146
	s_mov_b32 s23, exec_lo
	v_cmpx_gt_u32_e32 8, v146
; %bb.246:                              ;   in Loop: Header=BB270_13 Depth=1
	s_delay_alu instid0(VALU_DEP_3) | instskip(NEXT) | instid1(VALU_DEP_1)
	v_clz_i32_u32_e32 v7, v7
	v_min_u32_e32 v7, 32, v7
	s_delay_alu instid0(VALU_DEP_1) | instskip(NEXT) | instid1(VALU_DEP_1)
	v_subrev_nc_u32_e32 v145, 28, v7
	v_lshlrev_b64_e32 v[146:147], v145, v[9:10]
	v_sub_nc_u32_e32 v145, 29, v7
	s_delay_alu instid0(VALU_DEP_2)
	v_and_b32_e32 v7, 7, v146
; %bb.247:                              ;   in Loop: Header=BB270_13 Depth=1
	s_wait_alu 0xfffe
	s_or_b32 exec_lo, exec_lo, s23
	v_lshlrev_b32_e32 v146, 8, v9
	v_lshl_add_u32 v145, v145, 10, 0x2000
	v_lshlrev_b32_e32 v7, 7, v7
	s_delay_alu instid0(VALU_DEP_3) | instskip(NEXT) | instid1(VALU_DEP_3)
	v_and_b32_e32 v146, 0x8000, v146
	v_and_b32_e32 v145, 0xfc00, v145
	s_delay_alu instid0(VALU_DEP_1)
	v_or3_b32 v145, v146, v145, v7
.LBB270_248:                            ;   in Loop: Header=BB270_13 Depth=1
	s_wait_alu 0xfffe
	s_or_b32 exec_lo, exec_lo, s22
.LBB270_249:                            ;   in Loop: Header=BB270_13 Depth=1
	s_wait_alu 0xfffe
	s_or_b32 exec_lo, exec_lo, s21
.LBB270_250:                            ;   in Loop: Header=BB270_13 Depth=1
	s_wait_alu 0xfffe
	s_or_b32 exec_lo, exec_lo, s20
	v_lshrrev_b16 v7, 8, v9
	s_mov_b32 s20, exec_lo
	s_delay_alu instid0(VALU_DEP_1)
	v_cmpx_ne_u16_e32 0, v7
	s_cbranch_execz .LBB270_258
; %bb.251:                              ;   in Loop: Header=BB270_13 Depth=1
	v_bfrev_b32_e32 v144, 1
	s_mov_b32 s21, exec_lo
	v_cmpx_ne_u16_e32 0x80, v7
	s_cbranch_execz .LBB270_257
; %bb.252:                              ;   in Loop: Header=BB270_13 Depth=1
	v_and_b32_e32 v146, 0xffff, v7
	v_mov_b32_e32 v144, 0x7c010000
	s_mov_b32 s22, exec_lo
	s_delay_alu instid0(VALU_DEP_2) | instskip(NEXT) | instid1(VALU_DEP_1)
	v_and_b32_e32 v148, 0x7f, v146
	v_cmpx_ne_u32_e32 0x7f, v148
	s_cbranch_execz .LBB270_256
; %bb.253:                              ;   in Loop: Header=BB270_13 Depth=1
	v_and_b32_e32 v144, 7, v146
	v_lshrrev_b32_e32 v147, 3, v148
	s_mov_b32 s23, exec_lo
	v_cmpx_gt_u32_e32 8, v148
; %bb.254:                              ;   in Loop: Header=BB270_13 Depth=1
	s_delay_alu instid0(VALU_DEP_3) | instskip(NEXT) | instid1(VALU_DEP_1)
	v_clz_i32_u32_e32 v144, v144
	v_min_u32_e32 v144, 32, v144
	s_delay_alu instid0(VALU_DEP_1) | instskip(NEXT) | instid1(VALU_DEP_1)
	v_subrev_nc_u32_e32 v147, 28, v144
	v_lshlrev_b64_e32 v[148:149], v147, v[7:8]
	v_sub_nc_u32_e32 v147, 29, v144
	s_delay_alu instid0(VALU_DEP_2)
	v_and_b32_e32 v144, 7, v148
; %bb.255:                              ;   in Loop: Header=BB270_13 Depth=1
	s_wait_alu 0xfffe
	s_or_b32 exec_lo, exec_lo, s23
	v_lshlrev_b32_e32 v7, 8, v146
	v_lshl_add_u32 v146, v147, 10, 0x2000
	v_lshlrev_b32_e32 v144, 23, v144
	s_delay_alu instid0(VALU_DEP_2) | instskip(NEXT) | instid1(VALU_DEP_1)
	v_and_or_b32 v7, 0x8000, v7, v146
	v_lshl_or_b32 v144, v7, 16, v144
.LBB270_256:                            ;   in Loop: Header=BB270_13 Depth=1
	s_wait_alu 0xfffe
	s_or_b32 exec_lo, exec_lo, s22
.LBB270_257:                            ;   in Loop: Header=BB270_13 Depth=1
	s_wait_alu 0xfffe
	s_or_b32 exec_lo, exec_lo, s21
.LBB270_258:                            ;   in Loop: Header=BB270_13 Depth=1
	s_wait_alu 0xfffe
	s_or_b32 exec_lo, exec_lo, s20
	v_lshrrev_b32_e32 v7, 16, v9
	v_mov_b32_e32 v146, 0
	s_mov_b32 s20, exec_lo
	s_delay_alu instid0(VALU_DEP_2) | instskip(NEXT) | instid1(VALU_DEP_1)
	v_dual_mov_b32 v147, 0 :: v_dual_and_b32 v148, 0xff, v7
	v_cmpx_ne_u16_e64 0, v148
	s_cbranch_execz .LBB270_266
; %bb.259:                              ;   in Loop: Header=BB270_13 Depth=1
	v_mov_b32_e32 v147, 0x8000
	s_mov_b32 s21, exec_lo
	v_cmpx_ne_u16_e64 0x80, v148
	s_cbranch_execz .LBB270_265
; %bb.260:                              ;   in Loop: Header=BB270_13 Depth=1
	v_bfe_u32 v149, v9, 16, 7
	v_mov_b32_e32 v147, 0x7c01
	s_mov_b32 s22, exec_lo
	s_delay_alu instid0(VALU_DEP_2)
	v_cmpx_ne_u32_e32 0x7f, v149
	s_cbranch_execz .LBB270_264
; %bb.261:                              ;   in Loop: Header=BB270_13 Depth=1
	v_and_b32_e32 v147, 7, v7
	v_lshrrev_b32_e32 v148, 3, v149
	s_mov_b32 s23, exec_lo
	v_cmpx_gt_u32_e32 8, v149
; %bb.262:                              ;   in Loop: Header=BB270_13 Depth=1
	s_delay_alu instid0(VALU_DEP_3) | instskip(NEXT) | instid1(VALU_DEP_1)
	v_clz_i32_u32_e32 v147, v147
	v_min_u32_e32 v149, 32, v147
	s_delay_alu instid0(VALU_DEP_1) | instskip(NEXT) | instid1(VALU_DEP_1)
	v_subrev_nc_u32_e32 v147, 28, v149
	v_lshlrev_b64_e32 v[147:148], v147, v[7:8]
	v_sub_nc_u32_e32 v148, 29, v149
	s_delay_alu instid0(VALU_DEP_2)
	v_and_b32_e32 v147, 7, v147
; %bb.263:                              ;   in Loop: Header=BB270_13 Depth=1
	s_wait_alu 0xfffe
	s_or_b32 exec_lo, exec_lo, s23
	v_lshlrev_b32_e32 v7, 8, v7
	v_lshl_add_u32 v148, v148, 10, 0x2000
	v_lshlrev_b32_e32 v147, 7, v147
	s_delay_alu instid0(VALU_DEP_3) | instskip(NEXT) | instid1(VALU_DEP_3)
	v_and_b32_e32 v7, 0x8000, v7
	v_and_b32_e32 v148, 0xfc00, v148
	s_delay_alu instid0(VALU_DEP_1)
	v_or3_b32 v147, v7, v148, v147
.LBB270_264:                            ;   in Loop: Header=BB270_13 Depth=1
	s_wait_alu 0xfffe
	s_or_b32 exec_lo, exec_lo, s22
.LBB270_265:                            ;   in Loop: Header=BB270_13 Depth=1
	s_wait_alu 0xfffe
	s_or_b32 exec_lo, exec_lo, s21
.LBB270_266:                            ;   in Loop: Header=BB270_13 Depth=1
	s_wait_alu 0xfffe
	s_or_b32 exec_lo, exec_lo, s20
	s_delay_alu instid0(SALU_CYCLE_1)
	s_mov_b32 s20, exec_lo
	v_cmpx_lt_u32_e32 0xffffff, v9
	s_cbranch_execz .LBB270_274
; %bb.267:                              ;   in Loop: Header=BB270_13 Depth=1
	v_lshrrev_b32_e32 v7, 24, v9
	v_bfrev_b32_e32 v146, 1
	s_mov_b32 s21, exec_lo
	s_delay_alu instid0(VALU_DEP_2)
	v_cmpx_ne_u32_e32 0x80, v7
	s_cbranch_execz .LBB270_273
; %bb.268:                              ;   in Loop: Header=BB270_13 Depth=1
	v_and_b32_e32 v148, 0x7f, v7
	v_mov_b32_e32 v146, 0x7c010000
	s_mov_b32 s22, exec_lo
	s_delay_alu instid0(VALU_DEP_2)
	v_cmpx_ne_u32_e32 0x7f, v148
	s_cbranch_execz .LBB270_272
; %bb.269:                              ;   in Loop: Header=BB270_13 Depth=1
	v_and_b32_e32 v9, 7, v7
	v_lshrrev_b32_e32 v146, 3, v148
	s_mov_b32 s23, exec_lo
	v_cmpx_gt_u32_e32 8, v148
; %bb.270:                              ;   in Loop: Header=BB270_13 Depth=1
	s_delay_alu instid0(VALU_DEP_3) | instskip(NEXT) | instid1(VALU_DEP_1)
	v_clz_i32_u32_e32 v9, v9
	v_min_u32_e32 v9, 32, v9
	s_delay_alu instid0(VALU_DEP_1) | instskip(NEXT) | instid1(VALU_DEP_1)
	v_subrev_nc_u32_e32 v146, 28, v9
	v_lshlrev_b64_e32 v[148:149], v146, v[7:8]
	v_sub_nc_u32_e32 v146, 29, v9
	s_delay_alu instid0(VALU_DEP_2)
	v_and_b32_e32 v9, 7, v148
; %bb.271:                              ;   in Loop: Header=BB270_13 Depth=1
	s_wait_alu 0xfffe
	s_or_b32 exec_lo, exec_lo, s23
	v_lshlrev_b32_e32 v7, 8, v7
	v_lshl_add_u32 v146, v146, 10, 0x2000
	v_lshlrev_b32_e32 v9, 23, v9
	s_delay_alu instid0(VALU_DEP_2) | instskip(NEXT) | instid1(VALU_DEP_1)
	v_and_or_b32 v7, 0x8000, v7, v146
	v_lshl_or_b32 v146, v7, 16, v9
.LBB270_272:                            ;   in Loop: Header=BB270_13 Depth=1
	s_wait_alu 0xfffe
	s_or_b32 exec_lo, exec_lo, s22
.LBB270_273:                            ;   in Loop: Header=BB270_13 Depth=1
	s_wait_alu 0xfffe
	s_or_b32 exec_lo, exec_lo, s21
.LBB270_274:                            ;   in Loop: Header=BB270_13 Depth=1
	s_wait_alu 0xfffe
	s_or_b32 exec_lo, exec_lo, s20
	flat_load_b32 v9, v[28:29] offset:1024
	v_mov_b32_e32 v149, 0
	s_mov_b32 s20, exec_lo
	s_wait_loadcnt_dscnt 0x0
	v_dual_mov_b32 v148, 0 :: v_dual_and_b32 v7, 0xff, v9
	s_delay_alu instid0(VALU_DEP_1)
	v_cmpx_ne_u16_e32 0, v7
	s_cbranch_execz .LBB270_282
; %bb.275:                              ;   in Loop: Header=BB270_13 Depth=1
	v_mov_b32_e32 v149, 0x8000
	s_mov_b32 s21, exec_lo
	v_cmpx_ne_u16_e32 0x80, v7
	s_cbranch_execz .LBB270_281
; %bb.276:                              ;   in Loop: Header=BB270_13 Depth=1
	v_and_b32_e32 v150, 0x7f, v9
	v_mov_b32_e32 v149, 0x7c01
	s_mov_b32 s22, exec_lo
	s_delay_alu instid0(VALU_DEP_2)
	v_cmpx_ne_u32_e32 0x7f, v150
	s_cbranch_execz .LBB270_280
; %bb.277:                              ;   in Loop: Header=BB270_13 Depth=1
	v_and_b32_e32 v7, 7, v9
	v_lshrrev_b32_e32 v149, 3, v150
	s_mov_b32 s23, exec_lo
	v_cmpx_gt_u32_e32 8, v150
; %bb.278:                              ;   in Loop: Header=BB270_13 Depth=1
	s_delay_alu instid0(VALU_DEP_3) | instskip(NEXT) | instid1(VALU_DEP_1)
	v_clz_i32_u32_e32 v7, v7
	v_min_u32_e32 v7, 32, v7
	s_delay_alu instid0(VALU_DEP_1) | instskip(NEXT) | instid1(VALU_DEP_1)
	v_subrev_nc_u32_e32 v149, 28, v7
	v_lshlrev_b64_e32 v[150:151], v149, v[9:10]
	v_sub_nc_u32_e32 v149, 29, v7
	s_delay_alu instid0(VALU_DEP_2)
	v_and_b32_e32 v7, 7, v150
; %bb.279:                              ;   in Loop: Header=BB270_13 Depth=1
	s_wait_alu 0xfffe
	s_or_b32 exec_lo, exec_lo, s23
	v_lshlrev_b32_e32 v150, 8, v9
	v_lshl_add_u32 v149, v149, 10, 0x2000
	v_lshlrev_b32_e32 v7, 7, v7
	s_delay_alu instid0(VALU_DEP_3) | instskip(NEXT) | instid1(VALU_DEP_3)
	v_and_b32_e32 v150, 0x8000, v150
	v_and_b32_e32 v149, 0xfc00, v149
	s_delay_alu instid0(VALU_DEP_1)
	v_or3_b32 v149, v150, v149, v7
.LBB270_280:                            ;   in Loop: Header=BB270_13 Depth=1
	s_wait_alu 0xfffe
	s_or_b32 exec_lo, exec_lo, s22
.LBB270_281:                            ;   in Loop: Header=BB270_13 Depth=1
	s_wait_alu 0xfffe
	s_or_b32 exec_lo, exec_lo, s21
.LBB270_282:                            ;   in Loop: Header=BB270_13 Depth=1
	s_wait_alu 0xfffe
	s_or_b32 exec_lo, exec_lo, s20
	v_lshrrev_b16 v7, 8, v9
	s_mov_b32 s20, exec_lo
	s_delay_alu instid0(VALU_DEP_1)
	v_cmpx_ne_u16_e32 0, v7
	s_cbranch_execz .LBB270_290
; %bb.283:                              ;   in Loop: Header=BB270_13 Depth=1
	v_bfrev_b32_e32 v148, 1
	s_mov_b32 s21, exec_lo
	v_cmpx_ne_u16_e32 0x80, v7
	s_cbranch_execz .LBB270_289
; %bb.284:                              ;   in Loop: Header=BB270_13 Depth=1
	v_and_b32_e32 v150, 0xffff, v7
	v_mov_b32_e32 v148, 0x7c010000
	s_mov_b32 s22, exec_lo
	s_delay_alu instid0(VALU_DEP_2) | instskip(NEXT) | instid1(VALU_DEP_1)
	v_and_b32_e32 v160, 0x7f, v150
	v_cmpx_ne_u32_e32 0x7f, v160
	s_cbranch_execz .LBB270_288
; %bb.285:                              ;   in Loop: Header=BB270_13 Depth=1
	v_and_b32_e32 v148, 7, v150
	v_lshrrev_b32_e32 v151, 3, v160
	s_mov_b32 s23, exec_lo
	v_cmpx_gt_u32_e32 8, v160
; %bb.286:                              ;   in Loop: Header=BB270_13 Depth=1
	s_delay_alu instid0(VALU_DEP_3) | instskip(NEXT) | instid1(VALU_DEP_1)
	v_clz_i32_u32_e32 v148, v148
	v_min_u32_e32 v148, 32, v148
	s_delay_alu instid0(VALU_DEP_1) | instskip(NEXT) | instid1(VALU_DEP_1)
	v_subrev_nc_u32_e32 v151, 28, v148
	v_lshlrev_b64_e32 v[160:161], v151, v[7:8]
	v_sub_nc_u32_e32 v151, 29, v148
	s_delay_alu instid0(VALU_DEP_2)
	v_and_b32_e32 v148, 7, v160
; %bb.287:                              ;   in Loop: Header=BB270_13 Depth=1
	s_wait_alu 0xfffe
	s_or_b32 exec_lo, exec_lo, s23
	v_lshlrev_b32_e32 v7, 8, v150
	v_lshl_add_u32 v150, v151, 10, 0x2000
	v_lshlrev_b32_e32 v148, 23, v148
	s_delay_alu instid0(VALU_DEP_2) | instskip(NEXT) | instid1(VALU_DEP_1)
	v_and_or_b32 v7, 0x8000, v7, v150
	v_lshl_or_b32 v148, v7, 16, v148
.LBB270_288:                            ;   in Loop: Header=BB270_13 Depth=1
	s_wait_alu 0xfffe
	s_or_b32 exec_lo, exec_lo, s22
.LBB270_289:                            ;   in Loop: Header=BB270_13 Depth=1
	s_wait_alu 0xfffe
	s_or_b32 exec_lo, exec_lo, s21
.LBB270_290:                            ;   in Loop: Header=BB270_13 Depth=1
	s_wait_alu 0xfffe
	s_or_b32 exec_lo, exec_lo, s20
	v_lshrrev_b32_e32 v7, 16, v9
	v_mov_b32_e32 v150, 0
	s_mov_b32 s20, exec_lo
	s_delay_alu instid0(VALU_DEP_2) | instskip(NEXT) | instid1(VALU_DEP_1)
	v_dual_mov_b32 v151, 0 :: v_dual_and_b32 v160, 0xff, v7
	v_cmpx_ne_u16_e64 0, v160
	s_cbranch_execz .LBB270_298
; %bb.291:                              ;   in Loop: Header=BB270_13 Depth=1
	v_mov_b32_e32 v151, 0x8000
	s_mov_b32 s21, exec_lo
	v_cmpx_ne_u16_e64 0x80, v160
	s_cbranch_execz .LBB270_297
; %bb.292:                              ;   in Loop: Header=BB270_13 Depth=1
	v_bfe_u32 v161, v9, 16, 7
	v_mov_b32_e32 v151, 0x7c01
	s_mov_b32 s22, exec_lo
	s_delay_alu instid0(VALU_DEP_2)
	v_cmpx_ne_u32_e32 0x7f, v161
	s_cbranch_execz .LBB270_296
; %bb.293:                              ;   in Loop: Header=BB270_13 Depth=1
	v_and_b32_e32 v151, 7, v7
	v_lshrrev_b32_e32 v160, 3, v161
	s_mov_b32 s23, exec_lo
	v_cmpx_gt_u32_e32 8, v161
; %bb.294:                              ;   in Loop: Header=BB270_13 Depth=1
	s_delay_alu instid0(VALU_DEP_3) | instskip(NEXT) | instid1(VALU_DEP_1)
	v_clz_i32_u32_e32 v151, v151
	v_min_u32_e32 v151, 32, v151
	s_delay_alu instid0(VALU_DEP_1) | instskip(NEXT) | instid1(VALU_DEP_1)
	v_subrev_nc_u32_e32 v160, 28, v151
	v_lshlrev_b64_e32 v[161:162], v160, v[7:8]
	v_sub_nc_u32_e32 v160, 29, v151
	s_delay_alu instid0(VALU_DEP_2)
	v_and_b32_e32 v151, 7, v161
; %bb.295:                              ;   in Loop: Header=BB270_13 Depth=1
	s_wait_alu 0xfffe
	s_or_b32 exec_lo, exec_lo, s23
	v_lshlrev_b32_e32 v7, 8, v7
	v_lshl_add_u32 v160, v160, 10, 0x2000
	v_lshlrev_b32_e32 v151, 7, v151
	s_delay_alu instid0(VALU_DEP_3) | instskip(NEXT) | instid1(VALU_DEP_3)
	v_and_b32_e32 v7, 0x8000, v7
	v_and_b32_e32 v160, 0xfc00, v160
	s_delay_alu instid0(VALU_DEP_1)
	v_or3_b32 v151, v7, v160, v151
.LBB270_296:                            ;   in Loop: Header=BB270_13 Depth=1
	s_wait_alu 0xfffe
	s_or_b32 exec_lo, exec_lo, s22
.LBB270_297:                            ;   in Loop: Header=BB270_13 Depth=1
	s_wait_alu 0xfffe
	s_or_b32 exec_lo, exec_lo, s21
.LBB270_298:                            ;   in Loop: Header=BB270_13 Depth=1
	s_wait_alu 0xfffe
	s_or_b32 exec_lo, exec_lo, s20
	s_delay_alu instid0(SALU_CYCLE_1)
	s_mov_b32 s20, exec_lo
	v_cmpx_lt_u32_e32 0xffffff, v9
	s_cbranch_execz .LBB270_306
; %bb.299:                              ;   in Loop: Header=BB270_13 Depth=1
	v_lshrrev_b32_e32 v7, 24, v9
	v_bfrev_b32_e32 v150, 1
	s_mov_b32 s21, exec_lo
	s_delay_alu instid0(VALU_DEP_2)
	v_cmpx_ne_u32_e32 0x80, v7
	s_cbranch_execz .LBB270_305
; %bb.300:                              ;   in Loop: Header=BB270_13 Depth=1
	v_and_b32_e32 v160, 0x7f, v7
	v_mov_b32_e32 v150, 0x7c010000
	s_mov_b32 s22, exec_lo
	s_delay_alu instid0(VALU_DEP_2)
	v_cmpx_ne_u32_e32 0x7f, v160
	s_cbranch_execz .LBB270_304
; %bb.301:                              ;   in Loop: Header=BB270_13 Depth=1
	v_and_b32_e32 v9, 7, v7
	v_lshrrev_b32_e32 v150, 3, v160
	s_mov_b32 s23, exec_lo
	v_cmpx_gt_u32_e32 8, v160
; %bb.302:                              ;   in Loop: Header=BB270_13 Depth=1
	s_delay_alu instid0(VALU_DEP_3) | instskip(NEXT) | instid1(VALU_DEP_1)
	v_clz_i32_u32_e32 v9, v9
	v_min_u32_e32 v9, 32, v9
	s_delay_alu instid0(VALU_DEP_1) | instskip(NEXT) | instid1(VALU_DEP_1)
	v_subrev_nc_u32_e32 v150, 28, v9
	v_lshlrev_b64_e32 v[160:161], v150, v[7:8]
	v_sub_nc_u32_e32 v150, 29, v9
	s_delay_alu instid0(VALU_DEP_2)
	v_and_b32_e32 v9, 7, v160
; %bb.303:                              ;   in Loop: Header=BB270_13 Depth=1
	s_wait_alu 0xfffe
	s_or_b32 exec_lo, exec_lo, s23
	v_lshlrev_b32_e32 v7, 8, v7
	v_lshl_add_u32 v150, v150, 10, 0x2000
	v_lshlrev_b32_e32 v9, 23, v9
	s_delay_alu instid0(VALU_DEP_2) | instskip(NEXT) | instid1(VALU_DEP_1)
	v_and_or_b32 v7, 0x8000, v7, v150
	v_lshl_or_b32 v150, v7, 16, v9
.LBB270_304:                            ;   in Loop: Header=BB270_13 Depth=1
	s_wait_alu 0xfffe
	s_or_b32 exec_lo, exec_lo, s22
.LBB270_305:                            ;   in Loop: Header=BB270_13 Depth=1
	s_wait_alu 0xfffe
	s_or_b32 exec_lo, exec_lo, s21
.LBB270_306:                            ;   in Loop: Header=BB270_13 Depth=1
	s_wait_alu 0xfffe
	s_or_b32 exec_lo, exec_lo, s20
	flat_load_b32 v9, v[28:29] offset:1032
	v_mov_b32_e32 v161, 0
	s_mov_b32 s20, exec_lo
	s_wait_loadcnt_dscnt 0x0
	v_dual_mov_b32 v160, 0 :: v_dual_and_b32 v7, 0xff, v9
	s_delay_alu instid0(VALU_DEP_1)
	v_cmpx_ne_u16_e32 0, v7
	s_cbranch_execz .LBB270_314
; %bb.307:                              ;   in Loop: Header=BB270_13 Depth=1
	v_mov_b32_e32 v161, 0x8000
	s_mov_b32 s21, exec_lo
	v_cmpx_ne_u16_e32 0x80, v7
	s_cbranch_execz .LBB270_313
; %bb.308:                              ;   in Loop: Header=BB270_13 Depth=1
	v_and_b32_e32 v162, 0x7f, v9
	v_mov_b32_e32 v161, 0x7c01
	s_mov_b32 s22, exec_lo
	s_delay_alu instid0(VALU_DEP_2)
	v_cmpx_ne_u32_e32 0x7f, v162
	s_cbranch_execz .LBB270_312
; %bb.309:                              ;   in Loop: Header=BB270_13 Depth=1
	v_and_b32_e32 v7, 7, v9
	v_lshrrev_b32_e32 v161, 3, v162
	s_mov_b32 s23, exec_lo
	v_cmpx_gt_u32_e32 8, v162
; %bb.310:                              ;   in Loop: Header=BB270_13 Depth=1
	s_delay_alu instid0(VALU_DEP_3) | instskip(NEXT) | instid1(VALU_DEP_1)
	v_clz_i32_u32_e32 v7, v7
	v_min_u32_e32 v7, 32, v7
	s_delay_alu instid0(VALU_DEP_1) | instskip(NEXT) | instid1(VALU_DEP_1)
	v_subrev_nc_u32_e32 v161, 28, v7
	v_lshlrev_b64_e32 v[162:163], v161, v[9:10]
	v_sub_nc_u32_e32 v161, 29, v7
	s_delay_alu instid0(VALU_DEP_2)
	v_and_b32_e32 v7, 7, v162
; %bb.311:                              ;   in Loop: Header=BB270_13 Depth=1
	s_wait_alu 0xfffe
	s_or_b32 exec_lo, exec_lo, s23
	v_lshlrev_b32_e32 v162, 8, v9
	v_lshl_add_u32 v161, v161, 10, 0x2000
	v_lshlrev_b32_e32 v7, 7, v7
	s_delay_alu instid0(VALU_DEP_3) | instskip(NEXT) | instid1(VALU_DEP_3)
	v_and_b32_e32 v162, 0x8000, v162
	v_and_b32_e32 v161, 0xfc00, v161
	s_delay_alu instid0(VALU_DEP_1)
	v_or3_b32 v161, v162, v161, v7
.LBB270_312:                            ;   in Loop: Header=BB270_13 Depth=1
	s_wait_alu 0xfffe
	s_or_b32 exec_lo, exec_lo, s22
.LBB270_313:                            ;   in Loop: Header=BB270_13 Depth=1
	s_wait_alu 0xfffe
	s_or_b32 exec_lo, exec_lo, s21
.LBB270_314:                            ;   in Loop: Header=BB270_13 Depth=1
	s_wait_alu 0xfffe
	s_or_b32 exec_lo, exec_lo, s20
	v_lshrrev_b16 v7, 8, v9
	s_mov_b32 s20, exec_lo
	s_delay_alu instid0(VALU_DEP_1)
	v_cmpx_ne_u16_e32 0, v7
	s_cbranch_execz .LBB270_322
; %bb.315:                              ;   in Loop: Header=BB270_13 Depth=1
	v_bfrev_b32_e32 v160, 1
	s_mov_b32 s21, exec_lo
	v_cmpx_ne_u16_e32 0x80, v7
	s_cbranch_execz .LBB270_321
; %bb.316:                              ;   in Loop: Header=BB270_13 Depth=1
	v_and_b32_e32 v162, 0xffff, v7
	v_mov_b32_e32 v160, 0x7c010000
	s_mov_b32 s22, exec_lo
	s_delay_alu instid0(VALU_DEP_2) | instskip(NEXT) | instid1(VALU_DEP_1)
	v_and_b32_e32 v164, 0x7f, v162
	v_cmpx_ne_u32_e32 0x7f, v164
	s_cbranch_execz .LBB270_320
; %bb.317:                              ;   in Loop: Header=BB270_13 Depth=1
	v_and_b32_e32 v160, 7, v162
	v_lshrrev_b32_e32 v163, 3, v164
	s_mov_b32 s23, exec_lo
	v_cmpx_gt_u32_e32 8, v164
; %bb.318:                              ;   in Loop: Header=BB270_13 Depth=1
	s_delay_alu instid0(VALU_DEP_3) | instskip(NEXT) | instid1(VALU_DEP_1)
	v_clz_i32_u32_e32 v160, v160
	v_min_u32_e32 v160, 32, v160
	s_delay_alu instid0(VALU_DEP_1) | instskip(NEXT) | instid1(VALU_DEP_1)
	v_subrev_nc_u32_e32 v163, 28, v160
	v_lshlrev_b64_e32 v[164:165], v163, v[7:8]
	v_sub_nc_u32_e32 v163, 29, v160
	s_delay_alu instid0(VALU_DEP_2)
	v_and_b32_e32 v160, 7, v164
; %bb.319:                              ;   in Loop: Header=BB270_13 Depth=1
	s_wait_alu 0xfffe
	s_or_b32 exec_lo, exec_lo, s23
	v_lshlrev_b32_e32 v7, 8, v162
	v_lshl_add_u32 v162, v163, 10, 0x2000
	v_lshlrev_b32_e32 v160, 23, v160
	s_delay_alu instid0(VALU_DEP_2) | instskip(NEXT) | instid1(VALU_DEP_1)
	v_and_or_b32 v7, 0x8000, v7, v162
	v_lshl_or_b32 v160, v7, 16, v160
.LBB270_320:                            ;   in Loop: Header=BB270_13 Depth=1
	s_wait_alu 0xfffe
	s_or_b32 exec_lo, exec_lo, s22
.LBB270_321:                            ;   in Loop: Header=BB270_13 Depth=1
	s_wait_alu 0xfffe
	s_or_b32 exec_lo, exec_lo, s21
.LBB270_322:                            ;   in Loop: Header=BB270_13 Depth=1
	s_wait_alu 0xfffe
	s_or_b32 exec_lo, exec_lo, s20
	v_lshrrev_b32_e32 v7, 16, v9
	v_mov_b32_e32 v162, 0
	s_mov_b32 s20, exec_lo
	s_delay_alu instid0(VALU_DEP_2) | instskip(NEXT) | instid1(VALU_DEP_1)
	v_dual_mov_b32 v163, 0 :: v_dual_and_b32 v164, 0xff, v7
	v_cmpx_ne_u16_e64 0, v164
	s_cbranch_execz .LBB270_330
; %bb.323:                              ;   in Loop: Header=BB270_13 Depth=1
	v_mov_b32_e32 v163, 0x8000
	s_mov_b32 s21, exec_lo
	v_cmpx_ne_u16_e64 0x80, v164
	s_cbranch_execz .LBB270_329
; %bb.324:                              ;   in Loop: Header=BB270_13 Depth=1
	v_bfe_u32 v165, v9, 16, 7
	v_mov_b32_e32 v163, 0x7c01
	s_mov_b32 s22, exec_lo
	s_delay_alu instid0(VALU_DEP_2)
	v_cmpx_ne_u32_e32 0x7f, v165
	s_cbranch_execz .LBB270_328
; %bb.325:                              ;   in Loop: Header=BB270_13 Depth=1
	v_and_b32_e32 v163, 7, v7
	v_lshrrev_b32_e32 v164, 3, v165
	s_mov_b32 s23, exec_lo
	v_cmpx_gt_u32_e32 8, v165
; %bb.326:                              ;   in Loop: Header=BB270_13 Depth=1
	s_delay_alu instid0(VALU_DEP_3) | instskip(NEXT) | instid1(VALU_DEP_1)
	v_clz_i32_u32_e32 v163, v163
	v_min_u32_e32 v165, 32, v163
	s_delay_alu instid0(VALU_DEP_1) | instskip(NEXT) | instid1(VALU_DEP_1)
	v_subrev_nc_u32_e32 v163, 28, v165
	v_lshlrev_b64_e32 v[163:164], v163, v[7:8]
	v_sub_nc_u32_e32 v164, 29, v165
	s_delay_alu instid0(VALU_DEP_2)
	v_and_b32_e32 v163, 7, v163
; %bb.327:                              ;   in Loop: Header=BB270_13 Depth=1
	s_wait_alu 0xfffe
	s_or_b32 exec_lo, exec_lo, s23
	v_lshlrev_b32_e32 v7, 8, v7
	v_lshl_add_u32 v164, v164, 10, 0x2000
	v_lshlrev_b32_e32 v163, 7, v163
	s_delay_alu instid0(VALU_DEP_3) | instskip(NEXT) | instid1(VALU_DEP_3)
	v_and_b32_e32 v7, 0x8000, v7
	v_and_b32_e32 v164, 0xfc00, v164
	s_delay_alu instid0(VALU_DEP_1)
	v_or3_b32 v163, v7, v164, v163
.LBB270_328:                            ;   in Loop: Header=BB270_13 Depth=1
	s_wait_alu 0xfffe
	s_or_b32 exec_lo, exec_lo, s22
.LBB270_329:                            ;   in Loop: Header=BB270_13 Depth=1
	s_wait_alu 0xfffe
	s_or_b32 exec_lo, exec_lo, s21
.LBB270_330:                            ;   in Loop: Header=BB270_13 Depth=1
	s_wait_alu 0xfffe
	s_or_b32 exec_lo, exec_lo, s20
	s_delay_alu instid0(SALU_CYCLE_1)
	s_mov_b32 s20, exec_lo
	v_cmpx_lt_u32_e32 0xffffff, v9
	s_cbranch_execz .LBB270_338
; %bb.331:                              ;   in Loop: Header=BB270_13 Depth=1
	v_lshrrev_b32_e32 v7, 24, v9
	v_bfrev_b32_e32 v162, 1
	s_mov_b32 s21, exec_lo
	s_delay_alu instid0(VALU_DEP_2)
	v_cmpx_ne_u32_e32 0x80, v7
	s_cbranch_execz .LBB270_337
; %bb.332:                              ;   in Loop: Header=BB270_13 Depth=1
	v_and_b32_e32 v164, 0x7f, v7
	v_mov_b32_e32 v162, 0x7c010000
	s_mov_b32 s22, exec_lo
	s_delay_alu instid0(VALU_DEP_2)
	v_cmpx_ne_u32_e32 0x7f, v164
	s_cbranch_execz .LBB270_336
; %bb.333:                              ;   in Loop: Header=BB270_13 Depth=1
	v_and_b32_e32 v9, 7, v7
	v_lshrrev_b32_e32 v162, 3, v164
	s_mov_b32 s23, exec_lo
	v_cmpx_gt_u32_e32 8, v164
; %bb.334:                              ;   in Loop: Header=BB270_13 Depth=1
	s_delay_alu instid0(VALU_DEP_3) | instskip(NEXT) | instid1(VALU_DEP_1)
	v_clz_i32_u32_e32 v9, v9
	v_min_u32_e32 v9, 32, v9
	s_delay_alu instid0(VALU_DEP_1) | instskip(NEXT) | instid1(VALU_DEP_1)
	v_subrev_nc_u32_e32 v162, 28, v9
	v_lshlrev_b64_e32 v[164:165], v162, v[7:8]
	v_sub_nc_u32_e32 v162, 29, v9
	s_delay_alu instid0(VALU_DEP_2)
	v_and_b32_e32 v9, 7, v164
; %bb.335:                              ;   in Loop: Header=BB270_13 Depth=1
	s_wait_alu 0xfffe
	s_or_b32 exec_lo, exec_lo, s23
	v_lshlrev_b32_e32 v7, 8, v7
	v_lshl_add_u32 v162, v162, 10, 0x2000
	v_lshlrev_b32_e32 v9, 23, v9
	s_delay_alu instid0(VALU_DEP_2) | instskip(NEXT) | instid1(VALU_DEP_1)
	v_and_or_b32 v7, 0x8000, v7, v162
	v_lshl_or_b32 v162, v7, 16, v9
.LBB270_336:                            ;   in Loop: Header=BB270_13 Depth=1
	s_wait_alu 0xfffe
	s_or_b32 exec_lo, exec_lo, s22
.LBB270_337:                            ;   in Loop: Header=BB270_13 Depth=1
	s_wait_alu 0xfffe
	s_or_b32 exec_lo, exec_lo, s21
.LBB270_338:                            ;   in Loop: Header=BB270_13 Depth=1
	s_wait_alu 0xfffe
	s_or_b32 exec_lo, exec_lo, s20
	flat_load_b32 v9, v[28:29] offset:1280
	v_mov_b32_e32 v165, 0
	s_mov_b32 s20, exec_lo
	s_wait_loadcnt_dscnt 0x0
	v_dual_mov_b32 v164, 0 :: v_dual_and_b32 v7, 0xff, v9
	s_delay_alu instid0(VALU_DEP_1)
	v_cmpx_ne_u16_e32 0, v7
	s_cbranch_execz .LBB270_346
; %bb.339:                              ;   in Loop: Header=BB270_13 Depth=1
	v_mov_b32_e32 v165, 0x8000
	s_mov_b32 s21, exec_lo
	v_cmpx_ne_u16_e32 0x80, v7
	s_cbranch_execz .LBB270_345
; %bb.340:                              ;   in Loop: Header=BB270_13 Depth=1
	v_and_b32_e32 v166, 0x7f, v9
	v_mov_b32_e32 v165, 0x7c01
	s_mov_b32 s22, exec_lo
	s_delay_alu instid0(VALU_DEP_2)
	v_cmpx_ne_u32_e32 0x7f, v166
	s_cbranch_execz .LBB270_344
; %bb.341:                              ;   in Loop: Header=BB270_13 Depth=1
	v_and_b32_e32 v7, 7, v9
	v_lshrrev_b32_e32 v165, 3, v166
	s_mov_b32 s23, exec_lo
	v_cmpx_gt_u32_e32 8, v166
; %bb.342:                              ;   in Loop: Header=BB270_13 Depth=1
	s_delay_alu instid0(VALU_DEP_3) | instskip(NEXT) | instid1(VALU_DEP_1)
	v_clz_i32_u32_e32 v7, v7
	v_min_u32_e32 v7, 32, v7
	s_delay_alu instid0(VALU_DEP_1) | instskip(NEXT) | instid1(VALU_DEP_1)
	v_subrev_nc_u32_e32 v165, 28, v7
	v_lshlrev_b64_e32 v[166:167], v165, v[9:10]
	v_sub_nc_u32_e32 v165, 29, v7
	s_delay_alu instid0(VALU_DEP_2)
	v_and_b32_e32 v7, 7, v166
; %bb.343:                              ;   in Loop: Header=BB270_13 Depth=1
	s_wait_alu 0xfffe
	s_or_b32 exec_lo, exec_lo, s23
	v_lshlrev_b32_e32 v166, 8, v9
	v_lshl_add_u32 v165, v165, 10, 0x2000
	v_lshlrev_b32_e32 v7, 7, v7
	s_delay_alu instid0(VALU_DEP_3) | instskip(NEXT) | instid1(VALU_DEP_3)
	v_and_b32_e32 v166, 0x8000, v166
	v_and_b32_e32 v165, 0xfc00, v165
	s_delay_alu instid0(VALU_DEP_1)
	v_or3_b32 v165, v166, v165, v7
.LBB270_344:                            ;   in Loop: Header=BB270_13 Depth=1
	s_wait_alu 0xfffe
	s_or_b32 exec_lo, exec_lo, s22
.LBB270_345:                            ;   in Loop: Header=BB270_13 Depth=1
	s_wait_alu 0xfffe
	s_or_b32 exec_lo, exec_lo, s21
.LBB270_346:                            ;   in Loop: Header=BB270_13 Depth=1
	s_wait_alu 0xfffe
	s_or_b32 exec_lo, exec_lo, s20
	v_lshrrev_b16 v7, 8, v9
	s_mov_b32 s20, exec_lo
	s_delay_alu instid0(VALU_DEP_1)
	v_cmpx_ne_u16_e32 0, v7
	s_cbranch_execz .LBB270_354
; %bb.347:                              ;   in Loop: Header=BB270_13 Depth=1
	v_bfrev_b32_e32 v164, 1
	s_mov_b32 s21, exec_lo
	v_cmpx_ne_u16_e32 0x80, v7
	s_cbranch_execz .LBB270_353
; %bb.348:                              ;   in Loop: Header=BB270_13 Depth=1
	v_and_b32_e32 v166, 0xffff, v7
	v_mov_b32_e32 v164, 0x7c010000
	s_mov_b32 s22, exec_lo
	s_delay_alu instid0(VALU_DEP_2) | instskip(NEXT) | instid1(VALU_DEP_1)
	v_and_b32_e32 v176, 0x7f, v166
	v_cmpx_ne_u32_e32 0x7f, v176
	s_cbranch_execz .LBB270_352
; %bb.349:                              ;   in Loop: Header=BB270_13 Depth=1
	v_and_b32_e32 v164, 7, v166
	v_lshrrev_b32_e32 v167, 3, v176
	s_mov_b32 s23, exec_lo
	v_cmpx_gt_u32_e32 8, v176
; %bb.350:                              ;   in Loop: Header=BB270_13 Depth=1
	s_delay_alu instid0(VALU_DEP_3) | instskip(NEXT) | instid1(VALU_DEP_1)
	v_clz_i32_u32_e32 v164, v164
	v_min_u32_e32 v164, 32, v164
	s_delay_alu instid0(VALU_DEP_1) | instskip(NEXT) | instid1(VALU_DEP_1)
	v_subrev_nc_u32_e32 v167, 28, v164
	v_lshlrev_b64_e32 v[176:177], v167, v[7:8]
	v_sub_nc_u32_e32 v167, 29, v164
	s_delay_alu instid0(VALU_DEP_2)
	v_and_b32_e32 v164, 7, v176
; %bb.351:                              ;   in Loop: Header=BB270_13 Depth=1
	s_wait_alu 0xfffe
	s_or_b32 exec_lo, exec_lo, s23
	v_lshlrev_b32_e32 v7, 8, v166
	v_lshl_add_u32 v166, v167, 10, 0x2000
	v_lshlrev_b32_e32 v164, 23, v164
	s_delay_alu instid0(VALU_DEP_2) | instskip(NEXT) | instid1(VALU_DEP_1)
	v_and_or_b32 v7, 0x8000, v7, v166
	v_lshl_or_b32 v164, v7, 16, v164
.LBB270_352:                            ;   in Loop: Header=BB270_13 Depth=1
	s_wait_alu 0xfffe
	s_or_b32 exec_lo, exec_lo, s22
.LBB270_353:                            ;   in Loop: Header=BB270_13 Depth=1
	s_wait_alu 0xfffe
	s_or_b32 exec_lo, exec_lo, s21
.LBB270_354:                            ;   in Loop: Header=BB270_13 Depth=1
	s_wait_alu 0xfffe
	s_or_b32 exec_lo, exec_lo, s20
	v_lshrrev_b32_e32 v7, 16, v9
	v_mov_b32_e32 v166, 0
	s_mov_b32 s20, exec_lo
	s_delay_alu instid0(VALU_DEP_2) | instskip(NEXT) | instid1(VALU_DEP_1)
	v_dual_mov_b32 v167, 0 :: v_dual_and_b32 v176, 0xff, v7
	v_cmpx_ne_u16_e64 0, v176
	s_cbranch_execz .LBB270_362
; %bb.355:                              ;   in Loop: Header=BB270_13 Depth=1
	v_mov_b32_e32 v167, 0x8000
	s_mov_b32 s21, exec_lo
	v_cmpx_ne_u16_e64 0x80, v176
	s_cbranch_execz .LBB270_361
; %bb.356:                              ;   in Loop: Header=BB270_13 Depth=1
	v_bfe_u32 v177, v9, 16, 7
	v_mov_b32_e32 v167, 0x7c01
	s_mov_b32 s22, exec_lo
	s_delay_alu instid0(VALU_DEP_2)
	v_cmpx_ne_u32_e32 0x7f, v177
	s_cbranch_execz .LBB270_360
; %bb.357:                              ;   in Loop: Header=BB270_13 Depth=1
	v_and_b32_e32 v167, 7, v7
	v_lshrrev_b32_e32 v176, 3, v177
	s_mov_b32 s23, exec_lo
	v_cmpx_gt_u32_e32 8, v177
; %bb.358:                              ;   in Loop: Header=BB270_13 Depth=1
	s_delay_alu instid0(VALU_DEP_3) | instskip(NEXT) | instid1(VALU_DEP_1)
	v_clz_i32_u32_e32 v167, v167
	v_min_u32_e32 v167, 32, v167
	s_delay_alu instid0(VALU_DEP_1) | instskip(NEXT) | instid1(VALU_DEP_1)
	v_subrev_nc_u32_e32 v176, 28, v167
	v_lshlrev_b64_e32 v[177:178], v176, v[7:8]
	v_sub_nc_u32_e32 v176, 29, v167
	s_delay_alu instid0(VALU_DEP_2)
	v_and_b32_e32 v167, 7, v177
; %bb.359:                              ;   in Loop: Header=BB270_13 Depth=1
	s_wait_alu 0xfffe
	s_or_b32 exec_lo, exec_lo, s23
	v_lshlrev_b32_e32 v7, 8, v7
	v_lshl_add_u32 v176, v176, 10, 0x2000
	v_lshlrev_b32_e32 v167, 7, v167
	s_delay_alu instid0(VALU_DEP_3) | instskip(NEXT) | instid1(VALU_DEP_3)
	v_and_b32_e32 v7, 0x8000, v7
	v_and_b32_e32 v176, 0xfc00, v176
	s_delay_alu instid0(VALU_DEP_1)
	v_or3_b32 v167, v7, v176, v167
.LBB270_360:                            ;   in Loop: Header=BB270_13 Depth=1
	s_wait_alu 0xfffe
	s_or_b32 exec_lo, exec_lo, s22
.LBB270_361:                            ;   in Loop: Header=BB270_13 Depth=1
	s_wait_alu 0xfffe
	s_or_b32 exec_lo, exec_lo, s21
.LBB270_362:                            ;   in Loop: Header=BB270_13 Depth=1
	s_wait_alu 0xfffe
	s_or_b32 exec_lo, exec_lo, s20
	s_delay_alu instid0(SALU_CYCLE_1)
	s_mov_b32 s20, exec_lo
	v_cmpx_lt_u32_e32 0xffffff, v9
	s_cbranch_execz .LBB270_370
; %bb.363:                              ;   in Loop: Header=BB270_13 Depth=1
	v_lshrrev_b32_e32 v7, 24, v9
	v_bfrev_b32_e32 v166, 1
	s_mov_b32 s21, exec_lo
	s_delay_alu instid0(VALU_DEP_2)
	v_cmpx_ne_u32_e32 0x80, v7
	s_cbranch_execz .LBB270_369
; %bb.364:                              ;   in Loop: Header=BB270_13 Depth=1
	v_and_b32_e32 v176, 0x7f, v7
	v_mov_b32_e32 v166, 0x7c010000
	s_mov_b32 s22, exec_lo
	s_delay_alu instid0(VALU_DEP_2)
	v_cmpx_ne_u32_e32 0x7f, v176
	s_cbranch_execz .LBB270_368
; %bb.365:                              ;   in Loop: Header=BB270_13 Depth=1
	v_and_b32_e32 v9, 7, v7
	v_lshrrev_b32_e32 v166, 3, v176
	s_mov_b32 s23, exec_lo
	v_cmpx_gt_u32_e32 8, v176
; %bb.366:                              ;   in Loop: Header=BB270_13 Depth=1
	s_delay_alu instid0(VALU_DEP_3) | instskip(NEXT) | instid1(VALU_DEP_1)
	v_clz_i32_u32_e32 v9, v9
	v_min_u32_e32 v9, 32, v9
	s_delay_alu instid0(VALU_DEP_1) | instskip(NEXT) | instid1(VALU_DEP_1)
	v_subrev_nc_u32_e32 v166, 28, v9
	v_lshlrev_b64_e32 v[176:177], v166, v[7:8]
	v_sub_nc_u32_e32 v166, 29, v9
	s_delay_alu instid0(VALU_DEP_2)
	v_and_b32_e32 v9, 7, v176
; %bb.367:                              ;   in Loop: Header=BB270_13 Depth=1
	s_wait_alu 0xfffe
	s_or_b32 exec_lo, exec_lo, s23
	v_lshlrev_b32_e32 v7, 8, v7
	v_lshl_add_u32 v166, v166, 10, 0x2000
	v_lshlrev_b32_e32 v9, 23, v9
	s_delay_alu instid0(VALU_DEP_2) | instskip(NEXT) | instid1(VALU_DEP_1)
	v_and_or_b32 v7, 0x8000, v7, v166
	v_lshl_or_b32 v166, v7, 16, v9
.LBB270_368:                            ;   in Loop: Header=BB270_13 Depth=1
	s_wait_alu 0xfffe
	s_or_b32 exec_lo, exec_lo, s22
.LBB270_369:                            ;   in Loop: Header=BB270_13 Depth=1
	s_wait_alu 0xfffe
	s_or_b32 exec_lo, exec_lo, s21
.LBB270_370:                            ;   in Loop: Header=BB270_13 Depth=1
	s_wait_alu 0xfffe
	s_or_b32 exec_lo, exec_lo, s20
	flat_load_b32 v9, v[28:29] offset:1288
	v_mov_b32_e32 v177, 0
	s_mov_b32 s20, exec_lo
	s_wait_loadcnt_dscnt 0x0
	v_dual_mov_b32 v176, 0 :: v_dual_and_b32 v7, 0xff, v9
	s_delay_alu instid0(VALU_DEP_1)
	v_cmpx_ne_u16_e32 0, v7
	s_cbranch_execz .LBB270_378
; %bb.371:                              ;   in Loop: Header=BB270_13 Depth=1
	v_mov_b32_e32 v177, 0x8000
	s_mov_b32 s21, exec_lo
	v_cmpx_ne_u16_e32 0x80, v7
	s_cbranch_execz .LBB270_377
; %bb.372:                              ;   in Loop: Header=BB270_13 Depth=1
	v_and_b32_e32 v178, 0x7f, v9
	v_mov_b32_e32 v177, 0x7c01
	s_mov_b32 s22, exec_lo
	s_delay_alu instid0(VALU_DEP_2)
	v_cmpx_ne_u32_e32 0x7f, v178
	s_cbranch_execz .LBB270_376
; %bb.373:                              ;   in Loop: Header=BB270_13 Depth=1
	v_and_b32_e32 v7, 7, v9
	v_lshrrev_b32_e32 v177, 3, v178
	s_mov_b32 s23, exec_lo
	v_cmpx_gt_u32_e32 8, v178
; %bb.374:                              ;   in Loop: Header=BB270_13 Depth=1
	s_delay_alu instid0(VALU_DEP_3) | instskip(NEXT) | instid1(VALU_DEP_1)
	v_clz_i32_u32_e32 v7, v7
	v_min_u32_e32 v7, 32, v7
	s_delay_alu instid0(VALU_DEP_1) | instskip(NEXT) | instid1(VALU_DEP_1)
	v_subrev_nc_u32_e32 v177, 28, v7
	v_lshlrev_b64_e32 v[178:179], v177, v[9:10]
	v_sub_nc_u32_e32 v177, 29, v7
	s_delay_alu instid0(VALU_DEP_2)
	v_and_b32_e32 v7, 7, v178
; %bb.375:                              ;   in Loop: Header=BB270_13 Depth=1
	s_wait_alu 0xfffe
	s_or_b32 exec_lo, exec_lo, s23
	v_lshlrev_b32_e32 v178, 8, v9
	v_lshl_add_u32 v177, v177, 10, 0x2000
	v_lshlrev_b32_e32 v7, 7, v7
	s_delay_alu instid0(VALU_DEP_3) | instskip(NEXT) | instid1(VALU_DEP_3)
	v_and_b32_e32 v178, 0x8000, v178
	v_and_b32_e32 v177, 0xfc00, v177
	s_delay_alu instid0(VALU_DEP_1)
	v_or3_b32 v177, v178, v177, v7
.LBB270_376:                            ;   in Loop: Header=BB270_13 Depth=1
	s_wait_alu 0xfffe
	s_or_b32 exec_lo, exec_lo, s22
.LBB270_377:                            ;   in Loop: Header=BB270_13 Depth=1
	s_wait_alu 0xfffe
	s_or_b32 exec_lo, exec_lo, s21
.LBB270_378:                            ;   in Loop: Header=BB270_13 Depth=1
	s_wait_alu 0xfffe
	s_or_b32 exec_lo, exec_lo, s20
	v_lshrrev_b16 v7, 8, v9
	s_mov_b32 s20, exec_lo
	s_delay_alu instid0(VALU_DEP_1)
	v_cmpx_ne_u16_e32 0, v7
	s_cbranch_execz .LBB270_386
; %bb.379:                              ;   in Loop: Header=BB270_13 Depth=1
	v_bfrev_b32_e32 v176, 1
	s_mov_b32 s21, exec_lo
	v_cmpx_ne_u16_e32 0x80, v7
	s_cbranch_execz .LBB270_385
; %bb.380:                              ;   in Loop: Header=BB270_13 Depth=1
	v_and_b32_e32 v178, 0xffff, v7
	v_mov_b32_e32 v176, 0x7c010000
	s_mov_b32 s22, exec_lo
	s_delay_alu instid0(VALU_DEP_2) | instskip(NEXT) | instid1(VALU_DEP_1)
	v_and_b32_e32 v180, 0x7f, v178
	v_cmpx_ne_u32_e32 0x7f, v180
	s_cbranch_execz .LBB270_384
; %bb.381:                              ;   in Loop: Header=BB270_13 Depth=1
	v_and_b32_e32 v176, 7, v178
	v_lshrrev_b32_e32 v179, 3, v180
	s_mov_b32 s23, exec_lo
	v_cmpx_gt_u32_e32 8, v180
; %bb.382:                              ;   in Loop: Header=BB270_13 Depth=1
	s_delay_alu instid0(VALU_DEP_3) | instskip(NEXT) | instid1(VALU_DEP_1)
	v_clz_i32_u32_e32 v176, v176
	v_min_u32_e32 v176, 32, v176
	s_delay_alu instid0(VALU_DEP_1) | instskip(NEXT) | instid1(VALU_DEP_1)
	v_subrev_nc_u32_e32 v179, 28, v176
	v_lshlrev_b64_e32 v[180:181], v179, v[7:8]
	v_sub_nc_u32_e32 v179, 29, v176
	s_delay_alu instid0(VALU_DEP_2)
	v_and_b32_e32 v176, 7, v180
; %bb.383:                              ;   in Loop: Header=BB270_13 Depth=1
	s_wait_alu 0xfffe
	s_or_b32 exec_lo, exec_lo, s23
	v_lshlrev_b32_e32 v7, 8, v178
	v_lshl_add_u32 v178, v179, 10, 0x2000
	v_lshlrev_b32_e32 v176, 23, v176
	s_delay_alu instid0(VALU_DEP_2) | instskip(NEXT) | instid1(VALU_DEP_1)
	v_and_or_b32 v7, 0x8000, v7, v178
	v_lshl_or_b32 v176, v7, 16, v176
.LBB270_384:                            ;   in Loop: Header=BB270_13 Depth=1
	s_wait_alu 0xfffe
	s_or_b32 exec_lo, exec_lo, s22
.LBB270_385:                            ;   in Loop: Header=BB270_13 Depth=1
	s_wait_alu 0xfffe
	s_or_b32 exec_lo, exec_lo, s21
.LBB270_386:                            ;   in Loop: Header=BB270_13 Depth=1
	s_wait_alu 0xfffe
	s_or_b32 exec_lo, exec_lo, s20
	v_lshrrev_b32_e32 v7, 16, v9
	v_mov_b32_e32 v178, 0
	s_mov_b32 s20, exec_lo
	s_delay_alu instid0(VALU_DEP_2) | instskip(NEXT) | instid1(VALU_DEP_1)
	v_dual_mov_b32 v179, 0 :: v_dual_and_b32 v180, 0xff, v7
	v_cmpx_ne_u16_e64 0, v180
	s_cbranch_execz .LBB270_394
; %bb.387:                              ;   in Loop: Header=BB270_13 Depth=1
	v_mov_b32_e32 v179, 0x8000
	s_mov_b32 s21, exec_lo
	v_cmpx_ne_u16_e64 0x80, v180
	s_cbranch_execz .LBB270_393
; %bb.388:                              ;   in Loop: Header=BB270_13 Depth=1
	v_bfe_u32 v181, v9, 16, 7
	v_mov_b32_e32 v179, 0x7c01
	s_mov_b32 s22, exec_lo
	s_delay_alu instid0(VALU_DEP_2)
	v_cmpx_ne_u32_e32 0x7f, v181
	s_cbranch_execz .LBB270_392
; %bb.389:                              ;   in Loop: Header=BB270_13 Depth=1
	v_and_b32_e32 v179, 7, v7
	v_lshrrev_b32_e32 v180, 3, v181
	s_mov_b32 s23, exec_lo
	v_cmpx_gt_u32_e32 8, v181
; %bb.390:                              ;   in Loop: Header=BB270_13 Depth=1
	s_delay_alu instid0(VALU_DEP_3) | instskip(NEXT) | instid1(VALU_DEP_1)
	v_clz_i32_u32_e32 v179, v179
	v_min_u32_e32 v181, 32, v179
	s_delay_alu instid0(VALU_DEP_1) | instskip(NEXT) | instid1(VALU_DEP_1)
	v_subrev_nc_u32_e32 v179, 28, v181
	v_lshlrev_b64_e32 v[179:180], v179, v[7:8]
	v_sub_nc_u32_e32 v180, 29, v181
	s_delay_alu instid0(VALU_DEP_2)
	v_and_b32_e32 v179, 7, v179
; %bb.391:                              ;   in Loop: Header=BB270_13 Depth=1
	s_wait_alu 0xfffe
	s_or_b32 exec_lo, exec_lo, s23
	v_lshlrev_b32_e32 v7, 8, v7
	v_lshl_add_u32 v180, v180, 10, 0x2000
	v_lshlrev_b32_e32 v179, 7, v179
	s_delay_alu instid0(VALU_DEP_3) | instskip(NEXT) | instid1(VALU_DEP_3)
	v_and_b32_e32 v7, 0x8000, v7
	v_and_b32_e32 v180, 0xfc00, v180
	s_delay_alu instid0(VALU_DEP_1)
	v_or3_b32 v179, v7, v180, v179
.LBB270_392:                            ;   in Loop: Header=BB270_13 Depth=1
	s_wait_alu 0xfffe
	s_or_b32 exec_lo, exec_lo, s22
.LBB270_393:                            ;   in Loop: Header=BB270_13 Depth=1
	s_wait_alu 0xfffe
	s_or_b32 exec_lo, exec_lo, s21
.LBB270_394:                            ;   in Loop: Header=BB270_13 Depth=1
	s_wait_alu 0xfffe
	s_or_b32 exec_lo, exec_lo, s20
	s_delay_alu instid0(SALU_CYCLE_1)
	s_mov_b32 s20, exec_lo
	v_cmpx_lt_u32_e32 0xffffff, v9
	s_cbranch_execz .LBB270_402
; %bb.395:                              ;   in Loop: Header=BB270_13 Depth=1
	v_lshrrev_b32_e32 v7, 24, v9
	v_bfrev_b32_e32 v178, 1
	s_mov_b32 s21, exec_lo
	s_delay_alu instid0(VALU_DEP_2)
	v_cmpx_ne_u32_e32 0x80, v7
	s_cbranch_execz .LBB270_401
; %bb.396:                              ;   in Loop: Header=BB270_13 Depth=1
	v_and_b32_e32 v180, 0x7f, v7
	v_mov_b32_e32 v178, 0x7c010000
	s_mov_b32 s22, exec_lo
	s_delay_alu instid0(VALU_DEP_2)
	v_cmpx_ne_u32_e32 0x7f, v180
	s_cbranch_execz .LBB270_400
; %bb.397:                              ;   in Loop: Header=BB270_13 Depth=1
	v_and_b32_e32 v9, 7, v7
	v_lshrrev_b32_e32 v178, 3, v180
	s_mov_b32 s23, exec_lo
	v_cmpx_gt_u32_e32 8, v180
; %bb.398:                              ;   in Loop: Header=BB270_13 Depth=1
	s_delay_alu instid0(VALU_DEP_3) | instskip(NEXT) | instid1(VALU_DEP_1)
	v_clz_i32_u32_e32 v9, v9
	v_min_u32_e32 v9, 32, v9
	s_delay_alu instid0(VALU_DEP_1) | instskip(NEXT) | instid1(VALU_DEP_1)
	v_subrev_nc_u32_e32 v178, 28, v9
	v_lshlrev_b64_e32 v[180:181], v178, v[7:8]
	v_sub_nc_u32_e32 v178, 29, v9
	s_delay_alu instid0(VALU_DEP_2)
	v_and_b32_e32 v9, 7, v180
; %bb.399:                              ;   in Loop: Header=BB270_13 Depth=1
	s_wait_alu 0xfffe
	s_or_b32 exec_lo, exec_lo, s23
	v_lshlrev_b32_e32 v7, 8, v7
	v_lshl_add_u32 v178, v178, 10, 0x2000
	v_lshlrev_b32_e32 v9, 23, v9
	s_delay_alu instid0(VALU_DEP_2) | instskip(NEXT) | instid1(VALU_DEP_1)
	v_and_or_b32 v7, 0x8000, v7, v178
	v_lshl_or_b32 v178, v7, 16, v9
.LBB270_400:                            ;   in Loop: Header=BB270_13 Depth=1
	s_wait_alu 0xfffe
	s_or_b32 exec_lo, exec_lo, s22
.LBB270_401:                            ;   in Loop: Header=BB270_13 Depth=1
	s_wait_alu 0xfffe
	s_or_b32 exec_lo, exec_lo, s21
.LBB270_402:                            ;   in Loop: Header=BB270_13 Depth=1
	s_wait_alu 0xfffe
	s_or_b32 exec_lo, exec_lo, s20
	flat_load_b32 v9, v[28:29] offset:1536
	v_mov_b32_e32 v181, 0
	s_mov_b32 s20, exec_lo
	s_wait_loadcnt_dscnt 0x0
	v_dual_mov_b32 v180, 0 :: v_dual_and_b32 v7, 0xff, v9
	s_delay_alu instid0(VALU_DEP_1)
	v_cmpx_ne_u16_e32 0, v7
	s_cbranch_execz .LBB270_410
; %bb.403:                              ;   in Loop: Header=BB270_13 Depth=1
	v_mov_b32_e32 v181, 0x8000
	s_mov_b32 s21, exec_lo
	v_cmpx_ne_u16_e32 0x80, v7
	s_cbranch_execz .LBB270_409
; %bb.404:                              ;   in Loop: Header=BB270_13 Depth=1
	v_and_b32_e32 v182, 0x7f, v9
	v_mov_b32_e32 v181, 0x7c01
	s_mov_b32 s22, exec_lo
	s_delay_alu instid0(VALU_DEP_2)
	v_cmpx_ne_u32_e32 0x7f, v182
	s_cbranch_execz .LBB270_408
; %bb.405:                              ;   in Loop: Header=BB270_13 Depth=1
	v_and_b32_e32 v7, 7, v9
	v_lshrrev_b32_e32 v181, 3, v182
	s_mov_b32 s23, exec_lo
	v_cmpx_gt_u32_e32 8, v182
; %bb.406:                              ;   in Loop: Header=BB270_13 Depth=1
	s_delay_alu instid0(VALU_DEP_3) | instskip(NEXT) | instid1(VALU_DEP_1)
	v_clz_i32_u32_e32 v7, v7
	v_min_u32_e32 v7, 32, v7
	s_delay_alu instid0(VALU_DEP_1) | instskip(NEXT) | instid1(VALU_DEP_1)
	v_subrev_nc_u32_e32 v181, 28, v7
	v_lshlrev_b64_e32 v[182:183], v181, v[9:10]
	v_sub_nc_u32_e32 v181, 29, v7
	s_delay_alu instid0(VALU_DEP_2)
	v_and_b32_e32 v7, 7, v182
; %bb.407:                              ;   in Loop: Header=BB270_13 Depth=1
	s_wait_alu 0xfffe
	s_or_b32 exec_lo, exec_lo, s23
	v_lshlrev_b32_e32 v182, 8, v9
	v_lshl_add_u32 v181, v181, 10, 0x2000
	v_lshlrev_b32_e32 v7, 7, v7
	s_delay_alu instid0(VALU_DEP_3) | instskip(NEXT) | instid1(VALU_DEP_3)
	v_and_b32_e32 v182, 0x8000, v182
	v_and_b32_e32 v181, 0xfc00, v181
	s_delay_alu instid0(VALU_DEP_1)
	v_or3_b32 v181, v182, v181, v7
.LBB270_408:                            ;   in Loop: Header=BB270_13 Depth=1
	s_wait_alu 0xfffe
	s_or_b32 exec_lo, exec_lo, s22
.LBB270_409:                            ;   in Loop: Header=BB270_13 Depth=1
	s_wait_alu 0xfffe
	s_or_b32 exec_lo, exec_lo, s21
.LBB270_410:                            ;   in Loop: Header=BB270_13 Depth=1
	s_wait_alu 0xfffe
	s_or_b32 exec_lo, exec_lo, s20
	v_lshrrev_b16 v7, 8, v9
	s_mov_b32 s20, exec_lo
	s_delay_alu instid0(VALU_DEP_1)
	v_cmpx_ne_u16_e32 0, v7
	s_cbranch_execz .LBB270_418
; %bb.411:                              ;   in Loop: Header=BB270_13 Depth=1
	v_bfrev_b32_e32 v180, 1
	s_mov_b32 s21, exec_lo
	v_cmpx_ne_u16_e32 0x80, v7
	s_cbranch_execz .LBB270_417
; %bb.412:                              ;   in Loop: Header=BB270_13 Depth=1
	v_and_b32_e32 v182, 0xffff, v7
	v_mov_b32_e32 v180, 0x7c010000
	s_mov_b32 s22, exec_lo
	s_delay_alu instid0(VALU_DEP_2) | instskip(NEXT) | instid1(VALU_DEP_1)
	v_and_b32_e32 v40, 0x7f, v182
	v_cmpx_ne_u32_e32 0x7f, v40
	s_cbranch_execz .LBB270_416
; %bb.413:                              ;   in Loop: Header=BB270_13 Depth=1
	v_and_b32_e32 v180, 7, v182
	v_lshrrev_b32_e32 v183, 3, v40
	s_mov_b32 s23, exec_lo
	v_cmpx_gt_u32_e32 8, v40
; %bb.414:                              ;   in Loop: Header=BB270_13 Depth=1
	s_delay_alu instid0(VALU_DEP_3) | instskip(NEXT) | instid1(VALU_DEP_1)
	v_clz_i32_u32_e32 v180, v180
	v_min_u32_e32 v180, 32, v180
	s_delay_alu instid0(VALU_DEP_1) | instskip(NEXT) | instid1(VALU_DEP_1)
	v_subrev_nc_u32_e32 v183, 28, v180
	v_lshlrev_b64_e32 v[40:41], v183, v[7:8]
	v_sub_nc_u32_e32 v183, 29, v180
	s_delay_alu instid0(VALU_DEP_2)
	v_and_b32_e32 v180, 7, v40
; %bb.415:                              ;   in Loop: Header=BB270_13 Depth=1
	s_wait_alu 0xfffe
	s_or_b32 exec_lo, exec_lo, s23
	v_lshlrev_b32_e32 v7, 8, v182
	v_lshl_add_u32 v182, v183, 10, 0x2000
	v_lshlrev_b32_e32 v180, 23, v180
	s_delay_alu instid0(VALU_DEP_2) | instskip(NEXT) | instid1(VALU_DEP_1)
	v_and_or_b32 v7, 0x8000, v7, v182
	v_lshl_or_b32 v180, v7, 16, v180
.LBB270_416:                            ;   in Loop: Header=BB270_13 Depth=1
	s_wait_alu 0xfffe
	s_or_b32 exec_lo, exec_lo, s22
.LBB270_417:                            ;   in Loop: Header=BB270_13 Depth=1
	s_wait_alu 0xfffe
	s_or_b32 exec_lo, exec_lo, s21
.LBB270_418:                            ;   in Loop: Header=BB270_13 Depth=1
	s_wait_alu 0xfffe
	s_or_b32 exec_lo, exec_lo, s20
	v_lshrrev_b32_e32 v7, 16, v9
	v_mov_b32_e32 v182, 0
	s_mov_b32 s20, exec_lo
	s_delay_alu instid0(VALU_DEP_2) | instskip(NEXT) | instid1(VALU_DEP_1)
	v_dual_mov_b32 v183, 0 :: v_dual_and_b32 v40, 0xff, v7
	v_cmpx_ne_u16_e32 0, v40
	s_cbranch_execz .LBB270_426
; %bb.419:                              ;   in Loop: Header=BB270_13 Depth=1
	v_mov_b32_e32 v183, 0x8000
	s_mov_b32 s21, exec_lo
	v_cmpx_ne_u16_e32 0x80, v40
	s_cbranch_execz .LBB270_425
; %bb.420:                              ;   in Loop: Header=BB270_13 Depth=1
	v_bfe_u32 v41, v9, 16, 7
	v_mov_b32_e32 v183, 0x7c01
	s_mov_b32 s22, exec_lo
	s_delay_alu instid0(VALU_DEP_2)
	v_cmpx_ne_u32_e32 0x7f, v41
	s_cbranch_execz .LBB270_424
; %bb.421:                              ;   in Loop: Header=BB270_13 Depth=1
	v_and_b32_e32 v183, 7, v7
	v_lshrrev_b32_e32 v40, 3, v41
	s_mov_b32 s23, exec_lo
	v_cmpx_gt_u32_e32 8, v41
; %bb.422:                              ;   in Loop: Header=BB270_13 Depth=1
	s_delay_alu instid0(VALU_DEP_3) | instskip(NEXT) | instid1(VALU_DEP_1)
	v_clz_i32_u32_e32 v183, v183
	v_min_u32_e32 v183, 32, v183
	s_delay_alu instid0(VALU_DEP_1) | instskip(NEXT) | instid1(VALU_DEP_1)
	v_subrev_nc_u32_e32 v40, 28, v183
	v_lshlrev_b64_e32 v[41:42], v40, v[7:8]
	v_sub_nc_u32_e32 v40, 29, v183
	s_delay_alu instid0(VALU_DEP_2)
	v_and_b32_e32 v183, 7, v41
; %bb.423:                              ;   in Loop: Header=BB270_13 Depth=1
	s_wait_alu 0xfffe
	s_or_b32 exec_lo, exec_lo, s23
	v_lshlrev_b32_e32 v7, 8, v7
	v_lshl_add_u32 v40, v40, 10, 0x2000
	v_lshlrev_b32_e32 v183, 7, v183
	s_delay_alu instid0(VALU_DEP_3) | instskip(NEXT) | instid1(VALU_DEP_3)
	v_and_b32_e32 v7, 0x8000, v7
	v_and_b32_e32 v40, 0xfc00, v40
	s_delay_alu instid0(VALU_DEP_1)
	v_or3_b32 v183, v7, v40, v183
.LBB270_424:                            ;   in Loop: Header=BB270_13 Depth=1
	s_wait_alu 0xfffe
	s_or_b32 exec_lo, exec_lo, s22
.LBB270_425:                            ;   in Loop: Header=BB270_13 Depth=1
	s_wait_alu 0xfffe
	s_or_b32 exec_lo, exec_lo, s21
.LBB270_426:                            ;   in Loop: Header=BB270_13 Depth=1
	s_wait_alu 0xfffe
	s_or_b32 exec_lo, exec_lo, s20
	s_delay_alu instid0(SALU_CYCLE_1)
	s_mov_b32 s20, exec_lo
	v_cmpx_lt_u32_e32 0xffffff, v9
	s_cbranch_execz .LBB270_434
; %bb.427:                              ;   in Loop: Header=BB270_13 Depth=1
	v_lshrrev_b32_e32 v7, 24, v9
	v_bfrev_b32_e32 v182, 1
	s_mov_b32 s21, exec_lo
	s_delay_alu instid0(VALU_DEP_2)
	v_cmpx_ne_u32_e32 0x80, v7
	s_cbranch_execz .LBB270_433
; %bb.428:                              ;   in Loop: Header=BB270_13 Depth=1
	v_and_b32_e32 v40, 0x7f, v7
	v_mov_b32_e32 v182, 0x7c010000
	s_mov_b32 s22, exec_lo
	s_delay_alu instid0(VALU_DEP_2)
	v_cmpx_ne_u32_e32 0x7f, v40
	s_cbranch_execz .LBB270_432
; %bb.429:                              ;   in Loop: Header=BB270_13 Depth=1
	v_and_b32_e32 v9, 7, v7
	v_lshrrev_b32_e32 v182, 3, v40
	s_mov_b32 s23, exec_lo
	v_cmpx_gt_u32_e32 8, v40
; %bb.430:                              ;   in Loop: Header=BB270_13 Depth=1
	s_delay_alu instid0(VALU_DEP_3) | instskip(NEXT) | instid1(VALU_DEP_1)
	v_clz_i32_u32_e32 v9, v9
	v_min_u32_e32 v9, 32, v9
	s_delay_alu instid0(VALU_DEP_1) | instskip(NEXT) | instid1(VALU_DEP_1)
	v_subrev_nc_u32_e32 v182, 28, v9
	v_lshlrev_b64_e32 v[40:41], v182, v[7:8]
	v_sub_nc_u32_e32 v182, 29, v9
	s_delay_alu instid0(VALU_DEP_2)
	v_and_b32_e32 v9, 7, v40
; %bb.431:                              ;   in Loop: Header=BB270_13 Depth=1
	s_wait_alu 0xfffe
	s_or_b32 exec_lo, exec_lo, s23
	v_lshlrev_b32_e32 v7, 8, v7
	v_lshl_add_u32 v182, v182, 10, 0x2000
	v_lshlrev_b32_e32 v9, 23, v9
	s_delay_alu instid0(VALU_DEP_2) | instskip(NEXT) | instid1(VALU_DEP_1)
	v_and_or_b32 v7, 0x8000, v7, v182
	v_lshl_or_b32 v182, v7, 16, v9
.LBB270_432:                            ;   in Loop: Header=BB270_13 Depth=1
	s_wait_alu 0xfffe
	s_or_b32 exec_lo, exec_lo, s22
.LBB270_433:                            ;   in Loop: Header=BB270_13 Depth=1
	s_wait_alu 0xfffe
	s_or_b32 exec_lo, exec_lo, s21
.LBB270_434:                            ;   in Loop: Header=BB270_13 Depth=1
	s_wait_alu 0xfffe
	s_or_b32 exec_lo, exec_lo, s20
	flat_load_b32 v9, v[28:29] offset:1544
	v_mov_b32_e32 v41, 0
	s_mov_b32 s20, exec_lo
	s_wait_loadcnt_dscnt 0x0
	v_dual_mov_b32 v40, 0 :: v_dual_and_b32 v7, 0xff, v9
	s_delay_alu instid0(VALU_DEP_1)
	v_cmpx_ne_u16_e32 0, v7
	s_cbranch_execz .LBB270_442
; %bb.435:                              ;   in Loop: Header=BB270_13 Depth=1
	v_mov_b32_e32 v41, 0x8000
	s_mov_b32 s21, exec_lo
	v_cmpx_ne_u16_e32 0x80, v7
	s_cbranch_execz .LBB270_441
; %bb.436:                              ;   in Loop: Header=BB270_13 Depth=1
	v_and_b32_e32 v42, 0x7f, v9
	v_mov_b32_e32 v41, 0x7c01
	s_mov_b32 s22, exec_lo
	s_delay_alu instid0(VALU_DEP_2)
	v_cmpx_ne_u32_e32 0x7f, v42
	s_cbranch_execz .LBB270_440
; %bb.437:                              ;   in Loop: Header=BB270_13 Depth=1
	v_and_b32_e32 v7, 7, v9
	v_lshrrev_b32_e32 v41, 3, v42
	s_mov_b32 s23, exec_lo
	v_cmpx_gt_u32_e32 8, v42
; %bb.438:                              ;   in Loop: Header=BB270_13 Depth=1
	s_delay_alu instid0(VALU_DEP_3) | instskip(NEXT) | instid1(VALU_DEP_1)
	v_clz_i32_u32_e32 v7, v7
	v_min_u32_e32 v7, 32, v7
	s_delay_alu instid0(VALU_DEP_1) | instskip(NEXT) | instid1(VALU_DEP_1)
	v_subrev_nc_u32_e32 v41, 28, v7
	v_lshlrev_b64_e32 v[42:43], v41, v[9:10]
	v_sub_nc_u32_e32 v41, 29, v7
	s_delay_alu instid0(VALU_DEP_2)
	v_and_b32_e32 v7, 7, v42
; %bb.439:                              ;   in Loop: Header=BB270_13 Depth=1
	s_wait_alu 0xfffe
	s_or_b32 exec_lo, exec_lo, s23
	v_lshlrev_b32_e32 v42, 8, v9
	v_lshl_add_u32 v41, v41, 10, 0x2000
	v_lshlrev_b32_e32 v7, 7, v7
	s_delay_alu instid0(VALU_DEP_3) | instskip(NEXT) | instid1(VALU_DEP_3)
	v_and_b32_e32 v42, 0x8000, v42
	v_and_b32_e32 v41, 0xfc00, v41
	s_delay_alu instid0(VALU_DEP_1)
	v_or3_b32 v41, v42, v41, v7
.LBB270_440:                            ;   in Loop: Header=BB270_13 Depth=1
	s_wait_alu 0xfffe
	s_or_b32 exec_lo, exec_lo, s22
.LBB270_441:                            ;   in Loop: Header=BB270_13 Depth=1
	s_wait_alu 0xfffe
	s_or_b32 exec_lo, exec_lo, s21
.LBB270_442:                            ;   in Loop: Header=BB270_13 Depth=1
	s_wait_alu 0xfffe
	s_or_b32 exec_lo, exec_lo, s20
	v_lshrrev_b16 v7, 8, v9
	s_mov_b32 s20, exec_lo
	s_delay_alu instid0(VALU_DEP_1)
	v_cmpx_ne_u16_e32 0, v7
	s_cbranch_execz .LBB270_450
; %bb.443:                              ;   in Loop: Header=BB270_13 Depth=1
	v_bfrev_b32_e32 v40, 1
	s_mov_b32 s21, exec_lo
	v_cmpx_ne_u16_e32 0x80, v7
	s_cbranch_execz .LBB270_449
; %bb.444:                              ;   in Loop: Header=BB270_13 Depth=1
	v_and_b32_e32 v42, 0xffff, v7
	v_mov_b32_e32 v40, 0x7c010000
	s_mov_b32 s22, exec_lo
	s_delay_alu instid0(VALU_DEP_2) | instskip(NEXT) | instid1(VALU_DEP_1)
	v_and_b32_e32 v44, 0x7f, v42
	v_cmpx_ne_u32_e32 0x7f, v44
	s_cbranch_execz .LBB270_448
; %bb.445:                              ;   in Loop: Header=BB270_13 Depth=1
	v_and_b32_e32 v40, 7, v42
	v_lshrrev_b32_e32 v43, 3, v44
	s_mov_b32 s23, exec_lo
	v_cmpx_gt_u32_e32 8, v44
; %bb.446:                              ;   in Loop: Header=BB270_13 Depth=1
	s_delay_alu instid0(VALU_DEP_3) | instskip(NEXT) | instid1(VALU_DEP_1)
	v_clz_i32_u32_e32 v40, v40
	v_min_u32_e32 v40, 32, v40
	s_delay_alu instid0(VALU_DEP_1) | instskip(NEXT) | instid1(VALU_DEP_1)
	v_subrev_nc_u32_e32 v43, 28, v40
	v_lshlrev_b64_e32 v[44:45], v43, v[7:8]
	v_sub_nc_u32_e32 v43, 29, v40
	s_delay_alu instid0(VALU_DEP_2)
	v_and_b32_e32 v40, 7, v44
; %bb.447:                              ;   in Loop: Header=BB270_13 Depth=1
	s_wait_alu 0xfffe
	s_or_b32 exec_lo, exec_lo, s23
	v_lshlrev_b32_e32 v7, 8, v42
	v_lshl_add_u32 v42, v43, 10, 0x2000
	v_lshlrev_b32_e32 v40, 23, v40
	s_delay_alu instid0(VALU_DEP_2) | instskip(NEXT) | instid1(VALU_DEP_1)
	v_and_or_b32 v7, 0x8000, v7, v42
	v_lshl_or_b32 v40, v7, 16, v40
.LBB270_448:                            ;   in Loop: Header=BB270_13 Depth=1
	s_wait_alu 0xfffe
	s_or_b32 exec_lo, exec_lo, s22
.LBB270_449:                            ;   in Loop: Header=BB270_13 Depth=1
	s_wait_alu 0xfffe
	s_or_b32 exec_lo, exec_lo, s21
.LBB270_450:                            ;   in Loop: Header=BB270_13 Depth=1
	s_wait_alu 0xfffe
	s_or_b32 exec_lo, exec_lo, s20
	v_lshrrev_b32_e32 v7, 16, v9
	v_mov_b32_e32 v42, 0
	s_mov_b32 s20, exec_lo
	s_delay_alu instid0(VALU_DEP_2) | instskip(NEXT) | instid1(VALU_DEP_1)
	v_dual_mov_b32 v43, 0 :: v_dual_and_b32 v44, 0xff, v7
	v_cmpx_ne_u16_e32 0, v44
	s_cbranch_execz .LBB270_458
; %bb.451:                              ;   in Loop: Header=BB270_13 Depth=1
	v_mov_b32_e32 v43, 0x8000
	s_mov_b32 s21, exec_lo
	v_cmpx_ne_u16_e32 0x80, v44
	s_cbranch_execz .LBB270_457
; %bb.452:                              ;   in Loop: Header=BB270_13 Depth=1
	v_bfe_u32 v45, v9, 16, 7
	v_mov_b32_e32 v43, 0x7c01
	s_mov_b32 s22, exec_lo
	s_delay_alu instid0(VALU_DEP_2)
	v_cmpx_ne_u32_e32 0x7f, v45
	s_cbranch_execz .LBB270_456
; %bb.453:                              ;   in Loop: Header=BB270_13 Depth=1
	v_and_b32_e32 v43, 7, v7
	v_lshrrev_b32_e32 v44, 3, v45
	s_mov_b32 s23, exec_lo
	v_cmpx_gt_u32_e32 8, v45
; %bb.454:                              ;   in Loop: Header=BB270_13 Depth=1
	s_delay_alu instid0(VALU_DEP_3) | instskip(NEXT) | instid1(VALU_DEP_1)
	v_clz_i32_u32_e32 v43, v43
	v_min_u32_e32 v45, 32, v43
	s_delay_alu instid0(VALU_DEP_1) | instskip(NEXT) | instid1(VALU_DEP_1)
	v_subrev_nc_u32_e32 v43, 28, v45
	v_lshlrev_b64_e32 v[43:44], v43, v[7:8]
	v_sub_nc_u32_e32 v44, 29, v45
	s_delay_alu instid0(VALU_DEP_2)
	v_and_b32_e32 v43, 7, v43
; %bb.455:                              ;   in Loop: Header=BB270_13 Depth=1
	s_wait_alu 0xfffe
	s_or_b32 exec_lo, exec_lo, s23
	v_lshlrev_b32_e32 v7, 8, v7
	v_lshl_add_u32 v44, v44, 10, 0x2000
	v_lshlrev_b32_e32 v43, 7, v43
	s_delay_alu instid0(VALU_DEP_3) | instskip(NEXT) | instid1(VALU_DEP_3)
	v_and_b32_e32 v7, 0x8000, v7
	v_and_b32_e32 v44, 0xfc00, v44
	s_delay_alu instid0(VALU_DEP_1)
	v_or3_b32 v43, v7, v44, v43
.LBB270_456:                            ;   in Loop: Header=BB270_13 Depth=1
	s_wait_alu 0xfffe
	s_or_b32 exec_lo, exec_lo, s22
.LBB270_457:                            ;   in Loop: Header=BB270_13 Depth=1
	s_wait_alu 0xfffe
	s_or_b32 exec_lo, exec_lo, s21
.LBB270_458:                            ;   in Loop: Header=BB270_13 Depth=1
	s_wait_alu 0xfffe
	s_or_b32 exec_lo, exec_lo, s20
	s_delay_alu instid0(SALU_CYCLE_1)
	s_mov_b32 s20, exec_lo
	v_cmpx_lt_u32_e32 0xffffff, v9
	s_cbranch_execz .LBB270_466
; %bb.459:                              ;   in Loop: Header=BB270_13 Depth=1
	v_lshrrev_b32_e32 v7, 24, v9
	v_bfrev_b32_e32 v42, 1
	s_mov_b32 s21, exec_lo
	s_delay_alu instid0(VALU_DEP_2)
	v_cmpx_ne_u32_e32 0x80, v7
	s_cbranch_execz .LBB270_465
; %bb.460:                              ;   in Loop: Header=BB270_13 Depth=1
	v_and_b32_e32 v44, 0x7f, v7
	v_mov_b32_e32 v42, 0x7c010000
	s_mov_b32 s22, exec_lo
	s_delay_alu instid0(VALU_DEP_2)
	v_cmpx_ne_u32_e32 0x7f, v44
	s_cbranch_execz .LBB270_464
; %bb.461:                              ;   in Loop: Header=BB270_13 Depth=1
	v_and_b32_e32 v9, 7, v7
	v_lshrrev_b32_e32 v42, 3, v44
	s_mov_b32 s23, exec_lo
	v_cmpx_gt_u32_e32 8, v44
; %bb.462:                              ;   in Loop: Header=BB270_13 Depth=1
	s_delay_alu instid0(VALU_DEP_3) | instskip(NEXT) | instid1(VALU_DEP_1)
	v_clz_i32_u32_e32 v9, v9
	v_min_u32_e32 v9, 32, v9
	s_delay_alu instid0(VALU_DEP_1) | instskip(NEXT) | instid1(VALU_DEP_1)
	v_subrev_nc_u32_e32 v42, 28, v9
	v_lshlrev_b64_e32 v[44:45], v42, v[7:8]
	v_sub_nc_u32_e32 v42, 29, v9
	s_delay_alu instid0(VALU_DEP_2)
	v_and_b32_e32 v9, 7, v44
; %bb.463:                              ;   in Loop: Header=BB270_13 Depth=1
	s_wait_alu 0xfffe
	s_or_b32 exec_lo, exec_lo, s23
	v_lshlrev_b32_e32 v7, 8, v7
	v_lshl_add_u32 v42, v42, 10, 0x2000
	v_lshlrev_b32_e32 v9, 23, v9
	s_delay_alu instid0(VALU_DEP_2) | instskip(NEXT) | instid1(VALU_DEP_1)
	v_and_or_b32 v7, 0x8000, v7, v42
	v_lshl_or_b32 v42, v7, 16, v9
.LBB270_464:                            ;   in Loop: Header=BB270_13 Depth=1
	s_wait_alu 0xfffe
	s_or_b32 exec_lo, exec_lo, s22
.LBB270_465:                            ;   in Loop: Header=BB270_13 Depth=1
	s_wait_alu 0xfffe
	s_or_b32 exec_lo, exec_lo, s21
.LBB270_466:                            ;   in Loop: Header=BB270_13 Depth=1
	s_wait_alu 0xfffe
	s_or_b32 exec_lo, exec_lo, s20
	flat_load_b32 v9, v[28:29] offset:1792
	v_mov_b32_e32 v45, 0
	s_mov_b32 s20, exec_lo
	s_wait_loadcnt_dscnt 0x0
	v_dual_mov_b32 v44, 0 :: v_dual_and_b32 v7, 0xff, v9
	s_delay_alu instid0(VALU_DEP_1)
	v_cmpx_ne_u16_e32 0, v7
	s_cbranch_execz .LBB270_474
; %bb.467:                              ;   in Loop: Header=BB270_13 Depth=1
	v_mov_b32_e32 v45, 0x8000
	s_mov_b32 s21, exec_lo
	v_cmpx_ne_u16_e32 0x80, v7
	s_cbranch_execz .LBB270_473
; %bb.468:                              ;   in Loop: Header=BB270_13 Depth=1
	v_and_b32_e32 v46, 0x7f, v9
	v_mov_b32_e32 v45, 0x7c01
	s_mov_b32 s22, exec_lo
	s_delay_alu instid0(VALU_DEP_2)
	v_cmpx_ne_u32_e32 0x7f, v46
	s_cbranch_execz .LBB270_472
; %bb.469:                              ;   in Loop: Header=BB270_13 Depth=1
	v_and_b32_e32 v7, 7, v9
	v_lshrrev_b32_e32 v45, 3, v46
	s_mov_b32 s23, exec_lo
	v_cmpx_gt_u32_e32 8, v46
; %bb.470:                              ;   in Loop: Header=BB270_13 Depth=1
	s_delay_alu instid0(VALU_DEP_3) | instskip(NEXT) | instid1(VALU_DEP_1)
	v_clz_i32_u32_e32 v7, v7
	v_min_u32_e32 v7, 32, v7
	s_delay_alu instid0(VALU_DEP_1) | instskip(NEXT) | instid1(VALU_DEP_1)
	v_subrev_nc_u32_e32 v45, 28, v7
	v_lshlrev_b64_e32 v[46:47], v45, v[9:10]
	v_sub_nc_u32_e32 v45, 29, v7
	s_delay_alu instid0(VALU_DEP_2)
	v_and_b32_e32 v7, 7, v46
; %bb.471:                              ;   in Loop: Header=BB270_13 Depth=1
	s_wait_alu 0xfffe
	s_or_b32 exec_lo, exec_lo, s23
	v_lshlrev_b32_e32 v46, 8, v9
	v_lshl_add_u32 v45, v45, 10, 0x2000
	v_lshlrev_b32_e32 v7, 7, v7
	s_delay_alu instid0(VALU_DEP_3) | instskip(NEXT) | instid1(VALU_DEP_3)
	v_and_b32_e32 v46, 0x8000, v46
	v_and_b32_e32 v45, 0xfc00, v45
	s_delay_alu instid0(VALU_DEP_1)
	v_or3_b32 v45, v46, v45, v7
.LBB270_472:                            ;   in Loop: Header=BB270_13 Depth=1
	s_wait_alu 0xfffe
	s_or_b32 exec_lo, exec_lo, s22
.LBB270_473:                            ;   in Loop: Header=BB270_13 Depth=1
	s_wait_alu 0xfffe
	s_or_b32 exec_lo, exec_lo, s21
.LBB270_474:                            ;   in Loop: Header=BB270_13 Depth=1
	s_wait_alu 0xfffe
	s_or_b32 exec_lo, exec_lo, s20
	v_lshrrev_b16 v7, 8, v9
	s_mov_b32 s20, exec_lo
	s_delay_alu instid0(VALU_DEP_1)
	v_cmpx_ne_u16_e32 0, v7
	s_cbranch_execz .LBB270_482
; %bb.475:                              ;   in Loop: Header=BB270_13 Depth=1
	v_bfrev_b32_e32 v44, 1
	s_mov_b32 s21, exec_lo
	v_cmpx_ne_u16_e32 0x80, v7
	s_cbranch_execz .LBB270_481
; %bb.476:                              ;   in Loop: Header=BB270_13 Depth=1
	v_and_b32_e32 v46, 0xffff, v7
	v_mov_b32_e32 v44, 0x7c010000
	s_mov_b32 s22, exec_lo
	s_delay_alu instid0(VALU_DEP_2) | instskip(NEXT) | instid1(VALU_DEP_1)
	v_and_b32_e32 v56, 0x7f, v46
	v_cmpx_ne_u32_e32 0x7f, v56
	s_cbranch_execz .LBB270_480
; %bb.477:                              ;   in Loop: Header=BB270_13 Depth=1
	v_and_b32_e32 v44, 7, v46
	v_lshrrev_b32_e32 v47, 3, v56
	s_mov_b32 s23, exec_lo
	v_cmpx_gt_u32_e32 8, v56
; %bb.478:                              ;   in Loop: Header=BB270_13 Depth=1
	s_delay_alu instid0(VALU_DEP_3) | instskip(NEXT) | instid1(VALU_DEP_1)
	v_clz_i32_u32_e32 v44, v44
	v_min_u32_e32 v44, 32, v44
	s_delay_alu instid0(VALU_DEP_1) | instskip(NEXT) | instid1(VALU_DEP_1)
	v_subrev_nc_u32_e32 v47, 28, v44
	v_lshlrev_b64_e32 v[56:57], v47, v[7:8]
	v_sub_nc_u32_e32 v47, 29, v44
	s_delay_alu instid0(VALU_DEP_2)
	v_and_b32_e32 v44, 7, v56
; %bb.479:                              ;   in Loop: Header=BB270_13 Depth=1
	s_wait_alu 0xfffe
	s_or_b32 exec_lo, exec_lo, s23
	v_lshlrev_b32_e32 v7, 8, v46
	v_lshl_add_u32 v46, v47, 10, 0x2000
	v_lshlrev_b32_e32 v44, 23, v44
	s_delay_alu instid0(VALU_DEP_2) | instskip(NEXT) | instid1(VALU_DEP_1)
	v_and_or_b32 v7, 0x8000, v7, v46
	v_lshl_or_b32 v44, v7, 16, v44
.LBB270_480:                            ;   in Loop: Header=BB270_13 Depth=1
	s_wait_alu 0xfffe
	s_or_b32 exec_lo, exec_lo, s22
.LBB270_481:                            ;   in Loop: Header=BB270_13 Depth=1
	s_wait_alu 0xfffe
	s_or_b32 exec_lo, exec_lo, s21
.LBB270_482:                            ;   in Loop: Header=BB270_13 Depth=1
	s_wait_alu 0xfffe
	s_or_b32 exec_lo, exec_lo, s20
	v_lshrrev_b32_e32 v7, 16, v9
	v_mov_b32_e32 v46, 0
	s_mov_b32 s20, exec_lo
	s_delay_alu instid0(VALU_DEP_2) | instskip(NEXT) | instid1(VALU_DEP_1)
	v_dual_mov_b32 v47, 0 :: v_dual_and_b32 v56, 0xff, v7
	v_cmpx_ne_u16_e32 0, v56
	s_cbranch_execz .LBB270_490
; %bb.483:                              ;   in Loop: Header=BB270_13 Depth=1
	v_mov_b32_e32 v47, 0x8000
	s_mov_b32 s21, exec_lo
	v_cmpx_ne_u16_e32 0x80, v56
	s_cbranch_execz .LBB270_489
; %bb.484:                              ;   in Loop: Header=BB270_13 Depth=1
	v_bfe_u32 v57, v9, 16, 7
	v_mov_b32_e32 v47, 0x7c01
	s_mov_b32 s22, exec_lo
	s_delay_alu instid0(VALU_DEP_2)
	v_cmpx_ne_u32_e32 0x7f, v57
	s_cbranch_execz .LBB270_488
; %bb.485:                              ;   in Loop: Header=BB270_13 Depth=1
	v_and_b32_e32 v47, 7, v7
	v_lshrrev_b32_e32 v56, 3, v57
	s_mov_b32 s23, exec_lo
	v_cmpx_gt_u32_e32 8, v57
; %bb.486:                              ;   in Loop: Header=BB270_13 Depth=1
	s_delay_alu instid0(VALU_DEP_3) | instskip(NEXT) | instid1(VALU_DEP_1)
	v_clz_i32_u32_e32 v47, v47
	v_min_u32_e32 v47, 32, v47
	s_delay_alu instid0(VALU_DEP_1) | instskip(NEXT) | instid1(VALU_DEP_1)
	v_subrev_nc_u32_e32 v56, 28, v47
	v_lshlrev_b64_e32 v[57:58], v56, v[7:8]
	v_sub_nc_u32_e32 v56, 29, v47
	s_delay_alu instid0(VALU_DEP_2)
	v_and_b32_e32 v47, 7, v57
; %bb.487:                              ;   in Loop: Header=BB270_13 Depth=1
	s_wait_alu 0xfffe
	s_or_b32 exec_lo, exec_lo, s23
	v_lshlrev_b32_e32 v7, 8, v7
	v_lshl_add_u32 v56, v56, 10, 0x2000
	v_lshlrev_b32_e32 v47, 7, v47
	s_delay_alu instid0(VALU_DEP_3) | instskip(NEXT) | instid1(VALU_DEP_3)
	v_and_b32_e32 v7, 0x8000, v7
	v_and_b32_e32 v56, 0xfc00, v56
	s_delay_alu instid0(VALU_DEP_1)
	v_or3_b32 v47, v7, v56, v47
.LBB270_488:                            ;   in Loop: Header=BB270_13 Depth=1
	s_wait_alu 0xfffe
	s_or_b32 exec_lo, exec_lo, s22
.LBB270_489:                            ;   in Loop: Header=BB270_13 Depth=1
	s_wait_alu 0xfffe
	s_or_b32 exec_lo, exec_lo, s21
.LBB270_490:                            ;   in Loop: Header=BB270_13 Depth=1
	s_wait_alu 0xfffe
	s_or_b32 exec_lo, exec_lo, s20
	s_delay_alu instid0(SALU_CYCLE_1)
	s_mov_b32 s20, exec_lo
	v_cmpx_lt_u32_e32 0xffffff, v9
	s_cbranch_execz .LBB270_498
; %bb.491:                              ;   in Loop: Header=BB270_13 Depth=1
	v_lshrrev_b32_e32 v7, 24, v9
	v_bfrev_b32_e32 v46, 1
	s_mov_b32 s21, exec_lo
	s_delay_alu instid0(VALU_DEP_2)
	v_cmpx_ne_u32_e32 0x80, v7
	s_cbranch_execz .LBB270_497
; %bb.492:                              ;   in Loop: Header=BB270_13 Depth=1
	v_and_b32_e32 v56, 0x7f, v7
	v_mov_b32_e32 v46, 0x7c010000
	s_mov_b32 s22, exec_lo
	s_delay_alu instid0(VALU_DEP_2)
	v_cmpx_ne_u32_e32 0x7f, v56
	s_cbranch_execz .LBB270_496
; %bb.493:                              ;   in Loop: Header=BB270_13 Depth=1
	v_and_b32_e32 v9, 7, v7
	v_lshrrev_b32_e32 v46, 3, v56
	s_mov_b32 s23, exec_lo
	v_cmpx_gt_u32_e32 8, v56
; %bb.494:                              ;   in Loop: Header=BB270_13 Depth=1
	s_delay_alu instid0(VALU_DEP_3) | instskip(NEXT) | instid1(VALU_DEP_1)
	v_clz_i32_u32_e32 v9, v9
	v_min_u32_e32 v9, 32, v9
	s_delay_alu instid0(VALU_DEP_1) | instskip(NEXT) | instid1(VALU_DEP_1)
	v_subrev_nc_u32_e32 v46, 28, v9
	v_lshlrev_b64_e32 v[56:57], v46, v[7:8]
	v_sub_nc_u32_e32 v46, 29, v9
	s_delay_alu instid0(VALU_DEP_2)
	v_and_b32_e32 v9, 7, v56
; %bb.495:                              ;   in Loop: Header=BB270_13 Depth=1
	s_wait_alu 0xfffe
	s_or_b32 exec_lo, exec_lo, s23
	v_lshlrev_b32_e32 v7, 8, v7
	v_lshl_add_u32 v46, v46, 10, 0x2000
	v_lshlrev_b32_e32 v9, 23, v9
	s_delay_alu instid0(VALU_DEP_2) | instskip(NEXT) | instid1(VALU_DEP_1)
	v_and_or_b32 v7, 0x8000, v7, v46
	v_lshl_or_b32 v46, v7, 16, v9
.LBB270_496:                            ;   in Loop: Header=BB270_13 Depth=1
	s_wait_alu 0xfffe
	s_or_b32 exec_lo, exec_lo, s22
.LBB270_497:                            ;   in Loop: Header=BB270_13 Depth=1
	s_wait_alu 0xfffe
	s_or_b32 exec_lo, exec_lo, s21
.LBB270_498:                            ;   in Loop: Header=BB270_13 Depth=1
	s_wait_alu 0xfffe
	s_or_b32 exec_lo, exec_lo, s20
	flat_load_b32 v9, v[28:29] offset:1800
	v_mov_b32_e32 v57, 0
	s_mov_b32 s20, exec_lo
	s_wait_loadcnt_dscnt 0x0
	v_dual_mov_b32 v56, 0 :: v_dual_and_b32 v7, 0xff, v9
	s_delay_alu instid0(VALU_DEP_1)
	v_cmpx_ne_u16_e32 0, v7
	s_cbranch_execz .LBB270_506
; %bb.499:                              ;   in Loop: Header=BB270_13 Depth=1
	v_mov_b32_e32 v57, 0x8000
	s_mov_b32 s21, exec_lo
	v_cmpx_ne_u16_e32 0x80, v7
	s_cbranch_execz .LBB270_505
; %bb.500:                              ;   in Loop: Header=BB270_13 Depth=1
	v_and_b32_e32 v58, 0x7f, v9
	v_mov_b32_e32 v57, 0x7c01
	s_mov_b32 s22, exec_lo
	s_delay_alu instid0(VALU_DEP_2)
	v_cmpx_ne_u32_e32 0x7f, v58
	s_cbranch_execz .LBB270_504
; %bb.501:                              ;   in Loop: Header=BB270_13 Depth=1
	v_and_b32_e32 v7, 7, v9
	v_lshrrev_b32_e32 v57, 3, v58
	s_mov_b32 s23, exec_lo
	v_cmpx_gt_u32_e32 8, v58
; %bb.502:                              ;   in Loop: Header=BB270_13 Depth=1
	s_delay_alu instid0(VALU_DEP_3) | instskip(NEXT) | instid1(VALU_DEP_1)
	v_clz_i32_u32_e32 v7, v7
	v_min_u32_e32 v7, 32, v7
	s_delay_alu instid0(VALU_DEP_1) | instskip(NEXT) | instid1(VALU_DEP_1)
	v_subrev_nc_u32_e32 v57, 28, v7
	v_lshlrev_b64_e32 v[58:59], v57, v[9:10]
	v_sub_nc_u32_e32 v57, 29, v7
	s_delay_alu instid0(VALU_DEP_2)
	v_and_b32_e32 v7, 7, v58
; %bb.503:                              ;   in Loop: Header=BB270_13 Depth=1
	s_wait_alu 0xfffe
	s_or_b32 exec_lo, exec_lo, s23
	v_lshlrev_b32_e32 v58, 8, v9
	v_lshl_add_u32 v57, v57, 10, 0x2000
	v_lshlrev_b32_e32 v7, 7, v7
	s_delay_alu instid0(VALU_DEP_3) | instskip(NEXT) | instid1(VALU_DEP_3)
	v_and_b32_e32 v58, 0x8000, v58
	v_and_b32_e32 v57, 0xfc00, v57
	s_delay_alu instid0(VALU_DEP_1)
	v_or3_b32 v57, v58, v57, v7
.LBB270_504:                            ;   in Loop: Header=BB270_13 Depth=1
	s_wait_alu 0xfffe
	s_or_b32 exec_lo, exec_lo, s22
.LBB270_505:                            ;   in Loop: Header=BB270_13 Depth=1
	s_wait_alu 0xfffe
	s_or_b32 exec_lo, exec_lo, s21
.LBB270_506:                            ;   in Loop: Header=BB270_13 Depth=1
	s_wait_alu 0xfffe
	s_or_b32 exec_lo, exec_lo, s20
	v_lshrrev_b16 v7, 8, v9
	s_mov_b32 s20, exec_lo
	s_delay_alu instid0(VALU_DEP_1)
	v_cmpx_ne_u16_e32 0, v7
	s_cbranch_execz .LBB270_514
; %bb.507:                              ;   in Loop: Header=BB270_13 Depth=1
	v_bfrev_b32_e32 v56, 1
	s_mov_b32 s21, exec_lo
	v_cmpx_ne_u16_e32 0x80, v7
	s_cbranch_execz .LBB270_513
; %bb.508:                              ;   in Loop: Header=BB270_13 Depth=1
	v_and_b32_e32 v58, 0xffff, v7
	v_mov_b32_e32 v56, 0x7c010000
	s_mov_b32 s22, exec_lo
	s_delay_alu instid0(VALU_DEP_2) | instskip(NEXT) | instid1(VALU_DEP_1)
	v_and_b32_e32 v60, 0x7f, v58
	v_cmpx_ne_u32_e32 0x7f, v60
	s_cbranch_execz .LBB270_512
; %bb.509:                              ;   in Loop: Header=BB270_13 Depth=1
	v_and_b32_e32 v56, 7, v58
	v_lshrrev_b32_e32 v59, 3, v60
	s_mov_b32 s23, exec_lo
	v_cmpx_gt_u32_e32 8, v60
; %bb.510:                              ;   in Loop: Header=BB270_13 Depth=1
	s_delay_alu instid0(VALU_DEP_3) | instskip(NEXT) | instid1(VALU_DEP_1)
	v_clz_i32_u32_e32 v56, v56
	v_min_u32_e32 v56, 32, v56
	s_delay_alu instid0(VALU_DEP_1) | instskip(NEXT) | instid1(VALU_DEP_1)
	v_subrev_nc_u32_e32 v59, 28, v56
	v_lshlrev_b64_e32 v[60:61], v59, v[7:8]
	v_sub_nc_u32_e32 v59, 29, v56
	s_delay_alu instid0(VALU_DEP_2)
	v_and_b32_e32 v56, 7, v60
; %bb.511:                              ;   in Loop: Header=BB270_13 Depth=1
	s_wait_alu 0xfffe
	s_or_b32 exec_lo, exec_lo, s23
	v_lshlrev_b32_e32 v7, 8, v58
	v_lshl_add_u32 v58, v59, 10, 0x2000
	v_lshlrev_b32_e32 v56, 23, v56
	s_delay_alu instid0(VALU_DEP_2) | instskip(NEXT) | instid1(VALU_DEP_1)
	v_and_or_b32 v7, 0x8000, v7, v58
	v_lshl_or_b32 v56, v7, 16, v56
.LBB270_512:                            ;   in Loop: Header=BB270_13 Depth=1
	s_wait_alu 0xfffe
	s_or_b32 exec_lo, exec_lo, s22
.LBB270_513:                            ;   in Loop: Header=BB270_13 Depth=1
	s_wait_alu 0xfffe
	s_or_b32 exec_lo, exec_lo, s21
.LBB270_514:                            ;   in Loop: Header=BB270_13 Depth=1
	s_wait_alu 0xfffe
	s_or_b32 exec_lo, exec_lo, s20
	v_lshrrev_b32_e32 v7, 16, v9
	v_mov_b32_e32 v58, 0
	s_mov_b32 s20, exec_lo
	s_delay_alu instid0(VALU_DEP_2) | instskip(NEXT) | instid1(VALU_DEP_1)
	v_dual_mov_b32 v59, 0 :: v_dual_and_b32 v60, 0xff, v7
	v_cmpx_ne_u16_e32 0, v60
	s_cbranch_execz .LBB270_522
; %bb.515:                              ;   in Loop: Header=BB270_13 Depth=1
	v_mov_b32_e32 v59, 0x8000
	s_mov_b32 s21, exec_lo
	v_cmpx_ne_u16_e32 0x80, v60
	s_cbranch_execz .LBB270_521
; %bb.516:                              ;   in Loop: Header=BB270_13 Depth=1
	v_bfe_u32 v61, v9, 16, 7
	v_mov_b32_e32 v59, 0x7c01
	s_mov_b32 s22, exec_lo
	s_delay_alu instid0(VALU_DEP_2)
	v_cmpx_ne_u32_e32 0x7f, v61
	s_cbranch_execz .LBB270_520
; %bb.517:                              ;   in Loop: Header=BB270_13 Depth=1
	v_and_b32_e32 v59, 7, v7
	v_lshrrev_b32_e32 v60, 3, v61
	s_mov_b32 s23, exec_lo
	v_cmpx_gt_u32_e32 8, v61
; %bb.518:                              ;   in Loop: Header=BB270_13 Depth=1
	s_delay_alu instid0(VALU_DEP_3) | instskip(NEXT) | instid1(VALU_DEP_1)
	v_clz_i32_u32_e32 v59, v59
	v_min_u32_e32 v61, 32, v59
	s_delay_alu instid0(VALU_DEP_1) | instskip(NEXT) | instid1(VALU_DEP_1)
	v_subrev_nc_u32_e32 v59, 28, v61
	v_lshlrev_b64_e32 v[59:60], v59, v[7:8]
	v_sub_nc_u32_e32 v60, 29, v61
	s_delay_alu instid0(VALU_DEP_2)
	v_and_b32_e32 v59, 7, v59
; %bb.519:                              ;   in Loop: Header=BB270_13 Depth=1
	s_wait_alu 0xfffe
	s_or_b32 exec_lo, exec_lo, s23
	v_lshlrev_b32_e32 v7, 8, v7
	v_lshl_add_u32 v60, v60, 10, 0x2000
	v_lshlrev_b32_e32 v59, 7, v59
	s_delay_alu instid0(VALU_DEP_3) | instskip(NEXT) | instid1(VALU_DEP_3)
	v_and_b32_e32 v7, 0x8000, v7
	v_and_b32_e32 v60, 0xfc00, v60
	s_delay_alu instid0(VALU_DEP_1)
	v_or3_b32 v59, v7, v60, v59
.LBB270_520:                            ;   in Loop: Header=BB270_13 Depth=1
	s_wait_alu 0xfffe
	s_or_b32 exec_lo, exec_lo, s22
.LBB270_521:                            ;   in Loop: Header=BB270_13 Depth=1
	s_wait_alu 0xfffe
	s_or_b32 exec_lo, exec_lo, s21
.LBB270_522:                            ;   in Loop: Header=BB270_13 Depth=1
	s_wait_alu 0xfffe
	s_or_b32 exec_lo, exec_lo, s20
	s_delay_alu instid0(SALU_CYCLE_1)
	s_mov_b32 s20, exec_lo
	v_cmpx_lt_u32_e32 0xffffff, v9
	s_cbranch_execz .LBB270_530
; %bb.523:                              ;   in Loop: Header=BB270_13 Depth=1
	v_lshrrev_b32_e32 v7, 24, v9
	v_bfrev_b32_e32 v58, 1
	s_mov_b32 s21, exec_lo
	s_delay_alu instid0(VALU_DEP_2)
	v_cmpx_ne_u32_e32 0x80, v7
	s_cbranch_execz .LBB270_529
; %bb.524:                              ;   in Loop: Header=BB270_13 Depth=1
	v_and_b32_e32 v60, 0x7f, v7
	v_mov_b32_e32 v58, 0x7c010000
	s_mov_b32 s22, exec_lo
	s_delay_alu instid0(VALU_DEP_2)
	v_cmpx_ne_u32_e32 0x7f, v60
	s_cbranch_execz .LBB270_528
; %bb.525:                              ;   in Loop: Header=BB270_13 Depth=1
	v_and_b32_e32 v9, 7, v7
	v_lshrrev_b32_e32 v58, 3, v60
	s_mov_b32 s23, exec_lo
	v_cmpx_gt_u32_e32 8, v60
; %bb.526:                              ;   in Loop: Header=BB270_13 Depth=1
	s_delay_alu instid0(VALU_DEP_3) | instskip(NEXT) | instid1(VALU_DEP_1)
	v_clz_i32_u32_e32 v9, v9
	v_min_u32_e32 v9, 32, v9
	s_delay_alu instid0(VALU_DEP_1) | instskip(NEXT) | instid1(VALU_DEP_1)
	v_subrev_nc_u32_e32 v58, 28, v9
	v_lshlrev_b64_e32 v[60:61], v58, v[7:8]
	v_sub_nc_u32_e32 v58, 29, v9
	s_delay_alu instid0(VALU_DEP_2)
	v_and_b32_e32 v9, 7, v60
; %bb.527:                              ;   in Loop: Header=BB270_13 Depth=1
	s_wait_alu 0xfffe
	s_or_b32 exec_lo, exec_lo, s23
	v_lshlrev_b32_e32 v7, 8, v7
	v_lshl_add_u32 v58, v58, 10, 0x2000
	v_lshlrev_b32_e32 v9, 23, v9
	s_delay_alu instid0(VALU_DEP_2) | instskip(NEXT) | instid1(VALU_DEP_1)
	v_and_or_b32 v7, 0x8000, v7, v58
	v_lshl_or_b32 v58, v7, 16, v9
.LBB270_528:                            ;   in Loop: Header=BB270_13 Depth=1
	s_wait_alu 0xfffe
	s_or_b32 exec_lo, exec_lo, s22
.LBB270_529:                            ;   in Loop: Header=BB270_13 Depth=1
	s_wait_alu 0xfffe
	s_or_b32 exec_lo, exec_lo, s21
.LBB270_530:                            ;   in Loop: Header=BB270_13 Depth=1
	s_wait_alu 0xfffe
	s_or_b32 exec_lo, exec_lo, s20
	flat_load_b32 v9, v[28:29] offset:2048
	v_mov_b32_e32 v61, 0
	s_mov_b32 s20, exec_lo
	s_wait_loadcnt_dscnt 0x0
	v_dual_mov_b32 v60, 0 :: v_dual_and_b32 v7, 0xff, v9
	s_delay_alu instid0(VALU_DEP_1)
	v_cmpx_ne_u16_e32 0, v7
	s_cbranch_execz .LBB270_538
; %bb.531:                              ;   in Loop: Header=BB270_13 Depth=1
	v_mov_b32_e32 v61, 0x8000
	s_mov_b32 s21, exec_lo
	v_cmpx_ne_u16_e32 0x80, v7
	s_cbranch_execz .LBB270_537
; %bb.532:                              ;   in Loop: Header=BB270_13 Depth=1
	v_and_b32_e32 v62, 0x7f, v9
	v_mov_b32_e32 v61, 0x7c01
	s_mov_b32 s22, exec_lo
	s_delay_alu instid0(VALU_DEP_2)
	v_cmpx_ne_u32_e32 0x7f, v62
	s_cbranch_execz .LBB270_536
; %bb.533:                              ;   in Loop: Header=BB270_13 Depth=1
	v_and_b32_e32 v7, 7, v9
	v_lshrrev_b32_e32 v61, 3, v62
	s_mov_b32 s23, exec_lo
	v_cmpx_gt_u32_e32 8, v62
; %bb.534:                              ;   in Loop: Header=BB270_13 Depth=1
	s_delay_alu instid0(VALU_DEP_3) | instskip(NEXT) | instid1(VALU_DEP_1)
	v_clz_i32_u32_e32 v7, v7
	v_min_u32_e32 v7, 32, v7
	s_delay_alu instid0(VALU_DEP_1) | instskip(NEXT) | instid1(VALU_DEP_1)
	v_subrev_nc_u32_e32 v61, 28, v7
	v_lshlrev_b64_e32 v[62:63], v61, v[9:10]
	v_sub_nc_u32_e32 v61, 29, v7
	s_delay_alu instid0(VALU_DEP_2)
	v_and_b32_e32 v7, 7, v62
; %bb.535:                              ;   in Loop: Header=BB270_13 Depth=1
	s_wait_alu 0xfffe
	s_or_b32 exec_lo, exec_lo, s23
	v_lshlrev_b32_e32 v62, 8, v9
	v_lshl_add_u32 v61, v61, 10, 0x2000
	v_lshlrev_b32_e32 v7, 7, v7
	s_delay_alu instid0(VALU_DEP_3) | instskip(NEXT) | instid1(VALU_DEP_3)
	v_and_b32_e32 v62, 0x8000, v62
	v_and_b32_e32 v61, 0xfc00, v61
	s_delay_alu instid0(VALU_DEP_1)
	v_or3_b32 v61, v62, v61, v7
.LBB270_536:                            ;   in Loop: Header=BB270_13 Depth=1
	s_wait_alu 0xfffe
	s_or_b32 exec_lo, exec_lo, s22
.LBB270_537:                            ;   in Loop: Header=BB270_13 Depth=1
	s_wait_alu 0xfffe
	s_or_b32 exec_lo, exec_lo, s21
.LBB270_538:                            ;   in Loop: Header=BB270_13 Depth=1
	s_wait_alu 0xfffe
	s_or_b32 exec_lo, exec_lo, s20
	v_lshrrev_b16 v7, 8, v9
	s_mov_b32 s20, exec_lo
	s_delay_alu instid0(VALU_DEP_1)
	v_cmpx_ne_u16_e32 0, v7
	s_cbranch_execz .LBB270_546
; %bb.539:                              ;   in Loop: Header=BB270_13 Depth=1
	v_bfrev_b32_e32 v60, 1
	s_mov_b32 s21, exec_lo
	v_cmpx_ne_u16_e32 0x80, v7
	s_cbranch_execz .LBB270_545
; %bb.540:                              ;   in Loop: Header=BB270_13 Depth=1
	v_and_b32_e32 v62, 0xffff, v7
	v_mov_b32_e32 v60, 0x7c010000
	s_mov_b32 s22, exec_lo
	s_delay_alu instid0(VALU_DEP_2) | instskip(NEXT) | instid1(VALU_DEP_1)
	v_and_b32_e32 v72, 0x7f, v62
	v_cmpx_ne_u32_e32 0x7f, v72
	s_cbranch_execz .LBB270_544
; %bb.541:                              ;   in Loop: Header=BB270_13 Depth=1
	v_and_b32_e32 v60, 7, v62
	v_lshrrev_b32_e32 v63, 3, v72
	s_mov_b32 s23, exec_lo
	v_cmpx_gt_u32_e32 8, v72
; %bb.542:                              ;   in Loop: Header=BB270_13 Depth=1
	s_delay_alu instid0(VALU_DEP_3) | instskip(NEXT) | instid1(VALU_DEP_1)
	v_clz_i32_u32_e32 v60, v60
	v_min_u32_e32 v60, 32, v60
	s_delay_alu instid0(VALU_DEP_1) | instskip(NEXT) | instid1(VALU_DEP_1)
	v_subrev_nc_u32_e32 v63, 28, v60
	v_lshlrev_b64_e32 v[72:73], v63, v[7:8]
	v_sub_nc_u32_e32 v63, 29, v60
	s_delay_alu instid0(VALU_DEP_2)
	v_and_b32_e32 v60, 7, v72
; %bb.543:                              ;   in Loop: Header=BB270_13 Depth=1
	s_wait_alu 0xfffe
	s_or_b32 exec_lo, exec_lo, s23
	v_lshlrev_b32_e32 v7, 8, v62
	v_lshl_add_u32 v62, v63, 10, 0x2000
	v_lshlrev_b32_e32 v60, 23, v60
	s_delay_alu instid0(VALU_DEP_2) | instskip(NEXT) | instid1(VALU_DEP_1)
	v_and_or_b32 v7, 0x8000, v7, v62
	v_lshl_or_b32 v60, v7, 16, v60
.LBB270_544:                            ;   in Loop: Header=BB270_13 Depth=1
	s_wait_alu 0xfffe
	s_or_b32 exec_lo, exec_lo, s22
.LBB270_545:                            ;   in Loop: Header=BB270_13 Depth=1
	s_wait_alu 0xfffe
	s_or_b32 exec_lo, exec_lo, s21
.LBB270_546:                            ;   in Loop: Header=BB270_13 Depth=1
	s_wait_alu 0xfffe
	s_or_b32 exec_lo, exec_lo, s20
	v_lshrrev_b32_e32 v7, 16, v9
	v_mov_b32_e32 v62, 0
	s_mov_b32 s20, exec_lo
	s_delay_alu instid0(VALU_DEP_2) | instskip(NEXT) | instid1(VALU_DEP_1)
	v_dual_mov_b32 v63, 0 :: v_dual_and_b32 v72, 0xff, v7
	v_cmpx_ne_u16_e32 0, v72
	s_cbranch_execz .LBB270_554
; %bb.547:                              ;   in Loop: Header=BB270_13 Depth=1
	v_mov_b32_e32 v63, 0x8000
	s_mov_b32 s21, exec_lo
	v_cmpx_ne_u16_e32 0x80, v72
	s_cbranch_execz .LBB270_553
; %bb.548:                              ;   in Loop: Header=BB270_13 Depth=1
	v_bfe_u32 v73, v9, 16, 7
	v_mov_b32_e32 v63, 0x7c01
	s_mov_b32 s22, exec_lo
	s_delay_alu instid0(VALU_DEP_2)
	v_cmpx_ne_u32_e32 0x7f, v73
	s_cbranch_execz .LBB270_552
; %bb.549:                              ;   in Loop: Header=BB270_13 Depth=1
	v_and_b32_e32 v63, 7, v7
	v_lshrrev_b32_e32 v72, 3, v73
	s_mov_b32 s23, exec_lo
	v_cmpx_gt_u32_e32 8, v73
; %bb.550:                              ;   in Loop: Header=BB270_13 Depth=1
	s_delay_alu instid0(VALU_DEP_3) | instskip(NEXT) | instid1(VALU_DEP_1)
	v_clz_i32_u32_e32 v63, v63
	v_min_u32_e32 v63, 32, v63
	s_delay_alu instid0(VALU_DEP_1) | instskip(NEXT) | instid1(VALU_DEP_1)
	v_subrev_nc_u32_e32 v72, 28, v63
	v_lshlrev_b64_e32 v[73:74], v72, v[7:8]
	v_sub_nc_u32_e32 v72, 29, v63
	s_delay_alu instid0(VALU_DEP_2)
	v_and_b32_e32 v63, 7, v73
; %bb.551:                              ;   in Loop: Header=BB270_13 Depth=1
	s_wait_alu 0xfffe
	s_or_b32 exec_lo, exec_lo, s23
	v_lshlrev_b32_e32 v7, 8, v7
	v_lshl_add_u32 v72, v72, 10, 0x2000
	v_lshlrev_b32_e32 v63, 7, v63
	s_delay_alu instid0(VALU_DEP_3) | instskip(NEXT) | instid1(VALU_DEP_3)
	v_and_b32_e32 v7, 0x8000, v7
	v_and_b32_e32 v72, 0xfc00, v72
	s_delay_alu instid0(VALU_DEP_1)
	v_or3_b32 v63, v7, v72, v63
.LBB270_552:                            ;   in Loop: Header=BB270_13 Depth=1
	s_wait_alu 0xfffe
	s_or_b32 exec_lo, exec_lo, s22
.LBB270_553:                            ;   in Loop: Header=BB270_13 Depth=1
	s_wait_alu 0xfffe
	s_or_b32 exec_lo, exec_lo, s21
.LBB270_554:                            ;   in Loop: Header=BB270_13 Depth=1
	s_wait_alu 0xfffe
	s_or_b32 exec_lo, exec_lo, s20
	s_delay_alu instid0(SALU_CYCLE_1)
	s_mov_b32 s20, exec_lo
	v_cmpx_lt_u32_e32 0xffffff, v9
	s_cbranch_execz .LBB270_562
; %bb.555:                              ;   in Loop: Header=BB270_13 Depth=1
	v_lshrrev_b32_e32 v7, 24, v9
	v_bfrev_b32_e32 v62, 1
	s_mov_b32 s21, exec_lo
	s_delay_alu instid0(VALU_DEP_2)
	v_cmpx_ne_u32_e32 0x80, v7
	s_cbranch_execz .LBB270_561
; %bb.556:                              ;   in Loop: Header=BB270_13 Depth=1
	v_and_b32_e32 v72, 0x7f, v7
	v_mov_b32_e32 v62, 0x7c010000
	s_mov_b32 s22, exec_lo
	s_delay_alu instid0(VALU_DEP_2)
	v_cmpx_ne_u32_e32 0x7f, v72
	s_cbranch_execz .LBB270_560
; %bb.557:                              ;   in Loop: Header=BB270_13 Depth=1
	v_and_b32_e32 v9, 7, v7
	v_lshrrev_b32_e32 v62, 3, v72
	s_mov_b32 s23, exec_lo
	v_cmpx_gt_u32_e32 8, v72
; %bb.558:                              ;   in Loop: Header=BB270_13 Depth=1
	s_delay_alu instid0(VALU_DEP_3) | instskip(NEXT) | instid1(VALU_DEP_1)
	v_clz_i32_u32_e32 v9, v9
	v_min_u32_e32 v9, 32, v9
	s_delay_alu instid0(VALU_DEP_1) | instskip(NEXT) | instid1(VALU_DEP_1)
	v_subrev_nc_u32_e32 v62, 28, v9
	v_lshlrev_b64_e32 v[72:73], v62, v[7:8]
	v_sub_nc_u32_e32 v62, 29, v9
	s_delay_alu instid0(VALU_DEP_2)
	v_and_b32_e32 v9, 7, v72
; %bb.559:                              ;   in Loop: Header=BB270_13 Depth=1
	s_wait_alu 0xfffe
	s_or_b32 exec_lo, exec_lo, s23
	v_lshlrev_b32_e32 v7, 8, v7
	v_lshl_add_u32 v62, v62, 10, 0x2000
	v_lshlrev_b32_e32 v9, 23, v9
	s_delay_alu instid0(VALU_DEP_2) | instskip(NEXT) | instid1(VALU_DEP_1)
	v_and_or_b32 v7, 0x8000, v7, v62
	v_lshl_or_b32 v62, v7, 16, v9
.LBB270_560:                            ;   in Loop: Header=BB270_13 Depth=1
	s_wait_alu 0xfffe
	s_or_b32 exec_lo, exec_lo, s22
.LBB270_561:                            ;   in Loop: Header=BB270_13 Depth=1
	s_wait_alu 0xfffe
	s_or_b32 exec_lo, exec_lo, s21
.LBB270_562:                            ;   in Loop: Header=BB270_13 Depth=1
	s_wait_alu 0xfffe
	s_or_b32 exec_lo, exec_lo, s20
	flat_load_b32 v9, v[28:29] offset:2056
	v_mov_b32_e32 v73, 0
	s_mov_b32 s20, exec_lo
	s_wait_loadcnt_dscnt 0x0
	v_dual_mov_b32 v72, 0 :: v_dual_and_b32 v7, 0xff, v9
	s_delay_alu instid0(VALU_DEP_1)
	v_cmpx_ne_u16_e32 0, v7
	s_cbranch_execz .LBB270_570
; %bb.563:                              ;   in Loop: Header=BB270_13 Depth=1
	v_mov_b32_e32 v73, 0x8000
	s_mov_b32 s21, exec_lo
	v_cmpx_ne_u16_e32 0x80, v7
	s_cbranch_execz .LBB270_569
; %bb.564:                              ;   in Loop: Header=BB270_13 Depth=1
	v_and_b32_e32 v74, 0x7f, v9
	v_mov_b32_e32 v73, 0x7c01
	s_mov_b32 s22, exec_lo
	s_delay_alu instid0(VALU_DEP_2)
	v_cmpx_ne_u32_e32 0x7f, v74
	s_cbranch_execz .LBB270_568
; %bb.565:                              ;   in Loop: Header=BB270_13 Depth=1
	v_and_b32_e32 v7, 7, v9
	v_lshrrev_b32_e32 v73, 3, v74
	s_mov_b32 s23, exec_lo
	v_cmpx_gt_u32_e32 8, v74
; %bb.566:                              ;   in Loop: Header=BB270_13 Depth=1
	s_delay_alu instid0(VALU_DEP_3) | instskip(NEXT) | instid1(VALU_DEP_1)
	v_clz_i32_u32_e32 v7, v7
	v_min_u32_e32 v7, 32, v7
	s_delay_alu instid0(VALU_DEP_1) | instskip(NEXT) | instid1(VALU_DEP_1)
	v_subrev_nc_u32_e32 v73, 28, v7
	v_lshlrev_b64_e32 v[74:75], v73, v[9:10]
	v_sub_nc_u32_e32 v73, 29, v7
	s_delay_alu instid0(VALU_DEP_2)
	v_and_b32_e32 v7, 7, v74
; %bb.567:                              ;   in Loop: Header=BB270_13 Depth=1
	s_wait_alu 0xfffe
	s_or_b32 exec_lo, exec_lo, s23
	v_lshlrev_b32_e32 v74, 8, v9
	v_lshl_add_u32 v73, v73, 10, 0x2000
	v_lshlrev_b32_e32 v7, 7, v7
	s_delay_alu instid0(VALU_DEP_3) | instskip(NEXT) | instid1(VALU_DEP_3)
	v_and_b32_e32 v74, 0x8000, v74
	v_and_b32_e32 v73, 0xfc00, v73
	s_delay_alu instid0(VALU_DEP_1)
	v_or3_b32 v73, v74, v73, v7
.LBB270_568:                            ;   in Loop: Header=BB270_13 Depth=1
	s_wait_alu 0xfffe
	s_or_b32 exec_lo, exec_lo, s22
.LBB270_569:                            ;   in Loop: Header=BB270_13 Depth=1
	s_wait_alu 0xfffe
	s_or_b32 exec_lo, exec_lo, s21
.LBB270_570:                            ;   in Loop: Header=BB270_13 Depth=1
	s_wait_alu 0xfffe
	s_or_b32 exec_lo, exec_lo, s20
	v_lshrrev_b16 v7, 8, v9
	s_mov_b32 s20, exec_lo
	s_delay_alu instid0(VALU_DEP_1)
	v_cmpx_ne_u16_e32 0, v7
	s_cbranch_execz .LBB270_578
; %bb.571:                              ;   in Loop: Header=BB270_13 Depth=1
	v_bfrev_b32_e32 v72, 1
	s_mov_b32 s21, exec_lo
	v_cmpx_ne_u16_e32 0x80, v7
	s_cbranch_execz .LBB270_577
; %bb.572:                              ;   in Loop: Header=BB270_13 Depth=1
	v_and_b32_e32 v74, 0xffff, v7
	v_mov_b32_e32 v72, 0x7c010000
	s_mov_b32 s22, exec_lo
	s_delay_alu instid0(VALU_DEP_2) | instskip(NEXT) | instid1(VALU_DEP_1)
	v_and_b32_e32 v76, 0x7f, v74
	v_cmpx_ne_u32_e32 0x7f, v76
	s_cbranch_execz .LBB270_576
; %bb.573:                              ;   in Loop: Header=BB270_13 Depth=1
	v_and_b32_e32 v72, 7, v74
	v_lshrrev_b32_e32 v75, 3, v76
	s_mov_b32 s23, exec_lo
	v_cmpx_gt_u32_e32 8, v76
; %bb.574:                              ;   in Loop: Header=BB270_13 Depth=1
	s_delay_alu instid0(VALU_DEP_3) | instskip(NEXT) | instid1(VALU_DEP_1)
	v_clz_i32_u32_e32 v72, v72
	v_min_u32_e32 v72, 32, v72
	s_delay_alu instid0(VALU_DEP_1) | instskip(NEXT) | instid1(VALU_DEP_1)
	v_subrev_nc_u32_e32 v75, 28, v72
	v_lshlrev_b64_e32 v[76:77], v75, v[7:8]
	v_sub_nc_u32_e32 v75, 29, v72
	s_delay_alu instid0(VALU_DEP_2)
	v_and_b32_e32 v72, 7, v76
; %bb.575:                              ;   in Loop: Header=BB270_13 Depth=1
	s_wait_alu 0xfffe
	s_or_b32 exec_lo, exec_lo, s23
	v_lshlrev_b32_e32 v7, 8, v74
	v_lshl_add_u32 v74, v75, 10, 0x2000
	v_lshlrev_b32_e32 v72, 23, v72
	s_delay_alu instid0(VALU_DEP_2) | instskip(NEXT) | instid1(VALU_DEP_1)
	v_and_or_b32 v7, 0x8000, v7, v74
	v_lshl_or_b32 v72, v7, 16, v72
.LBB270_576:                            ;   in Loop: Header=BB270_13 Depth=1
	s_wait_alu 0xfffe
	s_or_b32 exec_lo, exec_lo, s22
.LBB270_577:                            ;   in Loop: Header=BB270_13 Depth=1
	s_wait_alu 0xfffe
	s_or_b32 exec_lo, exec_lo, s21
.LBB270_578:                            ;   in Loop: Header=BB270_13 Depth=1
	s_wait_alu 0xfffe
	s_or_b32 exec_lo, exec_lo, s20
	v_lshrrev_b32_e32 v7, 16, v9
	v_mov_b32_e32 v74, 0
	s_mov_b32 s20, exec_lo
	s_delay_alu instid0(VALU_DEP_2) | instskip(NEXT) | instid1(VALU_DEP_1)
	v_dual_mov_b32 v75, 0 :: v_dual_and_b32 v76, 0xff, v7
	v_cmpx_ne_u16_e32 0, v76
	s_cbranch_execz .LBB270_586
; %bb.579:                              ;   in Loop: Header=BB270_13 Depth=1
	v_mov_b32_e32 v75, 0x8000
	s_mov_b32 s21, exec_lo
	v_cmpx_ne_u16_e32 0x80, v76
	s_cbranch_execz .LBB270_585
; %bb.580:                              ;   in Loop: Header=BB270_13 Depth=1
	v_bfe_u32 v77, v9, 16, 7
	v_mov_b32_e32 v75, 0x7c01
	s_mov_b32 s22, exec_lo
	s_delay_alu instid0(VALU_DEP_2)
	v_cmpx_ne_u32_e32 0x7f, v77
	s_cbranch_execz .LBB270_584
; %bb.581:                              ;   in Loop: Header=BB270_13 Depth=1
	v_and_b32_e32 v75, 7, v7
	v_lshrrev_b32_e32 v76, 3, v77
	s_mov_b32 s23, exec_lo
	v_cmpx_gt_u32_e32 8, v77
; %bb.582:                              ;   in Loop: Header=BB270_13 Depth=1
	s_delay_alu instid0(VALU_DEP_3) | instskip(NEXT) | instid1(VALU_DEP_1)
	v_clz_i32_u32_e32 v75, v75
	v_min_u32_e32 v77, 32, v75
	s_delay_alu instid0(VALU_DEP_1) | instskip(NEXT) | instid1(VALU_DEP_1)
	v_subrev_nc_u32_e32 v75, 28, v77
	v_lshlrev_b64_e32 v[75:76], v75, v[7:8]
	v_sub_nc_u32_e32 v76, 29, v77
	s_delay_alu instid0(VALU_DEP_2)
	v_and_b32_e32 v75, 7, v75
; %bb.583:                              ;   in Loop: Header=BB270_13 Depth=1
	s_wait_alu 0xfffe
	s_or_b32 exec_lo, exec_lo, s23
	v_lshlrev_b32_e32 v7, 8, v7
	v_lshl_add_u32 v76, v76, 10, 0x2000
	v_lshlrev_b32_e32 v75, 7, v75
	s_delay_alu instid0(VALU_DEP_3) | instskip(NEXT) | instid1(VALU_DEP_3)
	v_and_b32_e32 v7, 0x8000, v7
	v_and_b32_e32 v76, 0xfc00, v76
	s_delay_alu instid0(VALU_DEP_1)
	v_or3_b32 v75, v7, v76, v75
.LBB270_584:                            ;   in Loop: Header=BB270_13 Depth=1
	s_wait_alu 0xfffe
	s_or_b32 exec_lo, exec_lo, s22
.LBB270_585:                            ;   in Loop: Header=BB270_13 Depth=1
	s_wait_alu 0xfffe
	s_or_b32 exec_lo, exec_lo, s21
.LBB270_586:                            ;   in Loop: Header=BB270_13 Depth=1
	s_wait_alu 0xfffe
	s_or_b32 exec_lo, exec_lo, s20
	s_delay_alu instid0(SALU_CYCLE_1)
	s_mov_b32 s20, exec_lo
	v_cmpx_lt_u32_e32 0xffffff, v9
	s_cbranch_execz .LBB270_594
; %bb.587:                              ;   in Loop: Header=BB270_13 Depth=1
	v_lshrrev_b32_e32 v7, 24, v9
	v_bfrev_b32_e32 v74, 1
	s_mov_b32 s21, exec_lo
	s_delay_alu instid0(VALU_DEP_2)
	v_cmpx_ne_u32_e32 0x80, v7
	s_cbranch_execz .LBB270_593
; %bb.588:                              ;   in Loop: Header=BB270_13 Depth=1
	v_and_b32_e32 v76, 0x7f, v7
	v_mov_b32_e32 v74, 0x7c010000
	s_mov_b32 s22, exec_lo
	s_delay_alu instid0(VALU_DEP_2)
	v_cmpx_ne_u32_e32 0x7f, v76
	s_cbranch_execz .LBB270_592
; %bb.589:                              ;   in Loop: Header=BB270_13 Depth=1
	v_and_b32_e32 v9, 7, v7
	v_lshrrev_b32_e32 v74, 3, v76
	s_mov_b32 s23, exec_lo
	v_cmpx_gt_u32_e32 8, v76
; %bb.590:                              ;   in Loop: Header=BB270_13 Depth=1
	s_delay_alu instid0(VALU_DEP_3) | instskip(NEXT) | instid1(VALU_DEP_1)
	v_clz_i32_u32_e32 v9, v9
	v_min_u32_e32 v9, 32, v9
	s_delay_alu instid0(VALU_DEP_1) | instskip(NEXT) | instid1(VALU_DEP_1)
	v_subrev_nc_u32_e32 v74, 28, v9
	v_lshlrev_b64_e32 v[76:77], v74, v[7:8]
	v_sub_nc_u32_e32 v74, 29, v9
	s_delay_alu instid0(VALU_DEP_2)
	v_and_b32_e32 v9, 7, v76
; %bb.591:                              ;   in Loop: Header=BB270_13 Depth=1
	s_wait_alu 0xfffe
	s_or_b32 exec_lo, exec_lo, s23
	v_lshlrev_b32_e32 v7, 8, v7
	v_lshl_add_u32 v74, v74, 10, 0x2000
	v_lshlrev_b32_e32 v9, 23, v9
	s_delay_alu instid0(VALU_DEP_2) | instskip(NEXT) | instid1(VALU_DEP_1)
	v_and_or_b32 v7, 0x8000, v7, v74
	v_lshl_or_b32 v74, v7, 16, v9
.LBB270_592:                            ;   in Loop: Header=BB270_13 Depth=1
	s_wait_alu 0xfffe
	s_or_b32 exec_lo, exec_lo, s22
.LBB270_593:                            ;   in Loop: Header=BB270_13 Depth=1
	s_wait_alu 0xfffe
	s_or_b32 exec_lo, exec_lo, s21
.LBB270_594:                            ;   in Loop: Header=BB270_13 Depth=1
	s_wait_alu 0xfffe
	s_or_b32 exec_lo, exec_lo, s20
	flat_load_b32 v9, v[28:29] offset:2304
	v_mov_b32_e32 v89, 0
	s_mov_b32 s20, exec_lo
	s_wait_loadcnt_dscnt 0x0
	v_dual_mov_b32 v88, 0 :: v_dual_and_b32 v7, 0xff, v9
	s_delay_alu instid0(VALU_DEP_1)
	v_cmpx_ne_u16_e32 0, v7
	s_cbranch_execz .LBB270_602
; %bb.595:                              ;   in Loop: Header=BB270_13 Depth=1
	v_mov_b32_e32 v89, 0x8000
	s_mov_b32 s21, exec_lo
	v_cmpx_ne_u16_e32 0x80, v7
	s_cbranch_execz .LBB270_601
; %bb.596:                              ;   in Loop: Header=BB270_13 Depth=1
	v_and_b32_e32 v77, 0x7f, v9
	v_mov_b32_e32 v89, 0x7c01
	s_mov_b32 s22, exec_lo
	s_delay_alu instid0(VALU_DEP_2)
	v_cmpx_ne_u32_e32 0x7f, v77
	s_cbranch_execz .LBB270_600
; %bb.597:                              ;   in Loop: Header=BB270_13 Depth=1
	v_and_b32_e32 v7, 7, v9
	v_lshrrev_b32_e32 v76, 3, v77
	s_mov_b32 s23, exec_lo
	v_cmpx_gt_u32_e32 8, v77
; %bb.598:                              ;   in Loop: Header=BB270_13 Depth=1
	s_delay_alu instid0(VALU_DEP_3) | instskip(NEXT) | instid1(VALU_DEP_1)
	v_clz_i32_u32_e32 v7, v7
	v_min_u32_e32 v7, 32, v7
	s_delay_alu instid0(VALU_DEP_1) | instskip(NEXT) | instid1(VALU_DEP_1)
	v_subrev_nc_u32_e32 v76, 28, v7
	v_lshlrev_b64_e32 v[77:78], v76, v[9:10]
	v_sub_nc_u32_e32 v76, 29, v7
	s_delay_alu instid0(VALU_DEP_2)
	v_and_b32_e32 v7, 7, v77
; %bb.599:                              ;   in Loop: Header=BB270_13 Depth=1
	s_wait_alu 0xfffe
	s_or_b32 exec_lo, exec_lo, s23
	v_lshlrev_b32_e32 v77, 8, v9
	v_lshl_add_u32 v76, v76, 10, 0x2000
	v_lshlrev_b32_e32 v7, 7, v7
	s_delay_alu instid0(VALU_DEP_3) | instskip(NEXT) | instid1(VALU_DEP_3)
	v_and_b32_e32 v77, 0x8000, v77
	v_and_b32_e32 v76, 0xfc00, v76
	s_delay_alu instid0(VALU_DEP_1)
	v_or3_b32 v89, v77, v76, v7
.LBB270_600:                            ;   in Loop: Header=BB270_13 Depth=1
	s_wait_alu 0xfffe
	s_or_b32 exec_lo, exec_lo, s22
.LBB270_601:                            ;   in Loop: Header=BB270_13 Depth=1
	s_wait_alu 0xfffe
	s_or_b32 exec_lo, exec_lo, s21
.LBB270_602:                            ;   in Loop: Header=BB270_13 Depth=1
	s_wait_alu 0xfffe
	s_or_b32 exec_lo, exec_lo, s20
	v_lshrrev_b16 v7, 8, v9
	s_mov_b32 s20, exec_lo
	s_delay_alu instid0(VALU_DEP_1)
	v_cmpx_ne_u16_e32 0, v7
	s_cbranch_execz .LBB270_610
; %bb.603:                              ;   in Loop: Header=BB270_13 Depth=1
	v_bfrev_b32_e32 v88, 1
	s_mov_b32 s21, exec_lo
	v_cmpx_ne_u16_e32 0x80, v7
	s_cbranch_execz .LBB270_609
; %bb.604:                              ;   in Loop: Header=BB270_13 Depth=1
	v_and_b32_e32 v76, 0xffff, v7
	v_mov_b32_e32 v88, 0x7c010000
	s_mov_b32 s22, exec_lo
	s_delay_alu instid0(VALU_DEP_2) | instskip(NEXT) | instid1(VALU_DEP_1)
	v_and_b32_e32 v79, 0x7f, v76
	v_cmpx_ne_u32_e32 0x7f, v79
	s_cbranch_execz .LBB270_608
; %bb.605:                              ;   in Loop: Header=BB270_13 Depth=1
	v_and_b32_e32 v77, 7, v76
	v_lshrrev_b32_e32 v78, 3, v79
	s_mov_b32 s23, exec_lo
	v_cmpx_gt_u32_e32 8, v79
; %bb.606:                              ;   in Loop: Header=BB270_13 Depth=1
	s_delay_alu instid0(VALU_DEP_3) | instskip(NEXT) | instid1(VALU_DEP_1)
	v_clz_i32_u32_e32 v77, v77
	v_min_u32_e32 v79, 32, v77
	s_delay_alu instid0(VALU_DEP_1) | instskip(NEXT) | instid1(VALU_DEP_1)
	v_subrev_nc_u32_e32 v77, 28, v79
	v_lshlrev_b64_e32 v[77:78], v77, v[7:8]
	v_sub_nc_u32_e32 v78, 29, v79
	s_delay_alu instid0(VALU_DEP_2)
	v_and_b32_e32 v77, 7, v77
; %bb.607:                              ;   in Loop: Header=BB270_13 Depth=1
	s_wait_alu 0xfffe
	s_or_b32 exec_lo, exec_lo, s23
	v_lshlrev_b32_e32 v7, 8, v76
	v_lshl_add_u32 v76, v78, 10, 0x2000
	s_delay_alu instid0(VALU_DEP_1) | instskip(SKIP_1) | instid1(VALU_DEP_1)
	v_and_or_b32 v7, 0x8000, v7, v76
	v_lshlrev_b32_e32 v76, 23, v77
	v_lshl_or_b32 v88, v7, 16, v76
.LBB270_608:                            ;   in Loop: Header=BB270_13 Depth=1
	s_wait_alu 0xfffe
	s_or_b32 exec_lo, exec_lo, s22
.LBB270_609:                            ;   in Loop: Header=BB270_13 Depth=1
	s_wait_alu 0xfffe
	s_or_b32 exec_lo, exec_lo, s21
.LBB270_610:                            ;   in Loop: Header=BB270_13 Depth=1
	s_wait_alu 0xfffe
	s_or_b32 exec_lo, exec_lo, s20
	v_lshrrev_b32_e32 v7, 16, v9
	v_mov_b32_e32 v94, 0
	s_mov_b32 s20, exec_lo
	s_delay_alu instid0(VALU_DEP_2) | instskip(NEXT) | instid1(VALU_DEP_1)
	v_dual_mov_b32 v95, 0 :: v_dual_and_b32 v76, 0xff, v7
	v_cmpx_ne_u16_e32 0, v76
	s_cbranch_execz .LBB270_618
; %bb.611:                              ;   in Loop: Header=BB270_13 Depth=1
	v_mov_b32_e32 v95, 0x8000
	s_mov_b32 s21, exec_lo
	v_cmpx_ne_u16_e32 0x80, v76
	s_cbranch_execz .LBB270_617
; %bb.612:                              ;   in Loop: Header=BB270_13 Depth=1
	v_bfe_u32 v78, v9, 16, 7
	v_mov_b32_e32 v95, 0x7c01
	s_mov_b32 s22, exec_lo
	s_delay_alu instid0(VALU_DEP_2)
	v_cmpx_ne_u32_e32 0x7f, v78
	s_cbranch_execz .LBB270_616
; %bb.613:                              ;   in Loop: Header=BB270_13 Depth=1
	v_and_b32_e32 v76, 7, v7
	v_lshrrev_b32_e32 v77, 3, v78
	s_mov_b32 s23, exec_lo
	v_cmpx_gt_u32_e32 8, v78
; %bb.614:                              ;   in Loop: Header=BB270_13 Depth=1
	s_delay_alu instid0(VALU_DEP_3) | instskip(NEXT) | instid1(VALU_DEP_1)
	v_clz_i32_u32_e32 v76, v76
	v_min_u32_e32 v78, 32, v76
	s_delay_alu instid0(VALU_DEP_1) | instskip(NEXT) | instid1(VALU_DEP_1)
	v_subrev_nc_u32_e32 v76, 28, v78
	v_lshlrev_b64_e32 v[76:77], v76, v[7:8]
	v_sub_nc_u32_e32 v77, 29, v78
	s_delay_alu instid0(VALU_DEP_2)
	v_and_b32_e32 v76, 7, v76
; %bb.615:                              ;   in Loop: Header=BB270_13 Depth=1
	s_wait_alu 0xfffe
	s_or_b32 exec_lo, exec_lo, s23
	v_lshlrev_b32_e32 v7, 8, v7
	v_lshl_add_u32 v77, v77, 10, 0x2000
	v_lshlrev_b32_e32 v76, 7, v76
	s_delay_alu instid0(VALU_DEP_3) | instskip(NEXT) | instid1(VALU_DEP_3)
	v_and_b32_e32 v7, 0x8000, v7
	v_and_b32_e32 v77, 0xfc00, v77
	s_delay_alu instid0(VALU_DEP_1)
	v_or3_b32 v95, v7, v77, v76
.LBB270_616:                            ;   in Loop: Header=BB270_13 Depth=1
	s_wait_alu 0xfffe
	s_or_b32 exec_lo, exec_lo, s22
.LBB270_617:                            ;   in Loop: Header=BB270_13 Depth=1
	s_wait_alu 0xfffe
	s_or_b32 exec_lo, exec_lo, s21
.LBB270_618:                            ;   in Loop: Header=BB270_13 Depth=1
	s_wait_alu 0xfffe
	s_or_b32 exec_lo, exec_lo, s20
	s_delay_alu instid0(SALU_CYCLE_1)
	s_mov_b32 s20, exec_lo
	v_cmpx_lt_u32_e32 0xffffff, v9
	s_cbranch_execz .LBB270_626
; %bb.619:                              ;   in Loop: Header=BB270_13 Depth=1
	v_lshrrev_b32_e32 v7, 24, v9
	v_bfrev_b32_e32 v94, 1
	s_mov_b32 s21, exec_lo
	s_delay_alu instid0(VALU_DEP_2)
	v_cmpx_ne_u32_e32 0x80, v7
	s_cbranch_execz .LBB270_625
; %bb.620:                              ;   in Loop: Header=BB270_13 Depth=1
	v_and_b32_e32 v77, 0x7f, v7
	v_mov_b32_e32 v94, 0x7c010000
	s_mov_b32 s22, exec_lo
	s_delay_alu instid0(VALU_DEP_2)
	v_cmpx_ne_u32_e32 0x7f, v77
	s_cbranch_execz .LBB270_624
; %bb.621:                              ;   in Loop: Header=BB270_13 Depth=1
	v_and_b32_e32 v9, 7, v7
	v_lshrrev_b32_e32 v76, 3, v77
	s_mov_b32 s23, exec_lo
	v_cmpx_gt_u32_e32 8, v77
; %bb.622:                              ;   in Loop: Header=BB270_13 Depth=1
	s_delay_alu instid0(VALU_DEP_3) | instskip(NEXT) | instid1(VALU_DEP_1)
	v_clz_i32_u32_e32 v9, v9
	v_min_u32_e32 v9, 32, v9
	s_delay_alu instid0(VALU_DEP_1) | instskip(NEXT) | instid1(VALU_DEP_1)
	v_subrev_nc_u32_e32 v76, 28, v9
	v_lshlrev_b64_e32 v[77:78], v76, v[7:8]
	v_sub_nc_u32_e32 v76, 29, v9
	s_delay_alu instid0(VALU_DEP_2)
	v_and_b32_e32 v9, 7, v77
; %bb.623:                              ;   in Loop: Header=BB270_13 Depth=1
	s_wait_alu 0xfffe
	s_or_b32 exec_lo, exec_lo, s23
	v_lshlrev_b32_e32 v7, 8, v7
	v_lshl_add_u32 v76, v76, 10, 0x2000
	v_lshlrev_b32_e32 v9, 23, v9
	s_delay_alu instid0(VALU_DEP_2) | instskip(NEXT) | instid1(VALU_DEP_1)
	v_and_or_b32 v7, 0x8000, v7, v76
	v_lshl_or_b32 v94, v7, 16, v9
.LBB270_624:                            ;   in Loop: Header=BB270_13 Depth=1
	s_wait_alu 0xfffe
	s_or_b32 exec_lo, exec_lo, s22
.LBB270_625:                            ;   in Loop: Header=BB270_13 Depth=1
	s_wait_alu 0xfffe
	s_or_b32 exec_lo, exec_lo, s21
.LBB270_626:                            ;   in Loop: Header=BB270_13 Depth=1
	s_wait_alu 0xfffe
	s_or_b32 exec_lo, exec_lo, s20
	flat_load_b32 v9, v[28:29] offset:2312
	v_mov_b32_e32 v109, 0
	s_mov_b32 s20, exec_lo
	s_wait_loadcnt_dscnt 0x0
	v_dual_mov_b32 v108, 0 :: v_dual_and_b32 v7, 0xff, v9
	s_delay_alu instid0(VALU_DEP_1)
	v_cmpx_ne_u16_e32 0, v7
	s_cbranch_execz .LBB270_634
; %bb.627:                              ;   in Loop: Header=BB270_13 Depth=1
	v_mov_b32_e32 v109, 0x8000
	s_mov_b32 s21, exec_lo
	v_cmpx_ne_u16_e32 0x80, v7
	s_cbranch_execz .LBB270_633
; %bb.628:                              ;   in Loop: Header=BB270_13 Depth=1
	v_and_b32_e32 v77, 0x7f, v9
	v_mov_b32_e32 v109, 0x7c01
	s_mov_b32 s22, exec_lo
	s_delay_alu instid0(VALU_DEP_2)
	v_cmpx_ne_u32_e32 0x7f, v77
	s_cbranch_execz .LBB270_632
; %bb.629:                              ;   in Loop: Header=BB270_13 Depth=1
	v_and_b32_e32 v7, 7, v9
	v_lshrrev_b32_e32 v76, 3, v77
	s_mov_b32 s23, exec_lo
	v_cmpx_gt_u32_e32 8, v77
; %bb.630:                              ;   in Loop: Header=BB270_13 Depth=1
	s_delay_alu instid0(VALU_DEP_3) | instskip(NEXT) | instid1(VALU_DEP_1)
	v_clz_i32_u32_e32 v7, v7
	v_min_u32_e32 v7, 32, v7
	s_delay_alu instid0(VALU_DEP_1) | instskip(NEXT) | instid1(VALU_DEP_1)
	v_subrev_nc_u32_e32 v76, 28, v7
	v_lshlrev_b64_e32 v[77:78], v76, v[9:10]
	v_sub_nc_u32_e32 v76, 29, v7
	s_delay_alu instid0(VALU_DEP_2)
	v_and_b32_e32 v7, 7, v77
; %bb.631:                              ;   in Loop: Header=BB270_13 Depth=1
	s_wait_alu 0xfffe
	s_or_b32 exec_lo, exec_lo, s23
	v_lshlrev_b32_e32 v77, 8, v9
	v_lshl_add_u32 v76, v76, 10, 0x2000
	v_lshlrev_b32_e32 v7, 7, v7
	s_delay_alu instid0(VALU_DEP_3) | instskip(NEXT) | instid1(VALU_DEP_3)
	v_and_b32_e32 v77, 0x8000, v77
	v_and_b32_e32 v76, 0xfc00, v76
	s_delay_alu instid0(VALU_DEP_1)
	v_or3_b32 v109, v77, v76, v7
.LBB270_632:                            ;   in Loop: Header=BB270_13 Depth=1
	s_wait_alu 0xfffe
	s_or_b32 exec_lo, exec_lo, s22
.LBB270_633:                            ;   in Loop: Header=BB270_13 Depth=1
	s_wait_alu 0xfffe
	s_or_b32 exec_lo, exec_lo, s21
.LBB270_634:                            ;   in Loop: Header=BB270_13 Depth=1
	s_wait_alu 0xfffe
	s_or_b32 exec_lo, exec_lo, s20
	v_lshrrev_b16 v7, 8, v9
	s_mov_b32 s20, exec_lo
	s_delay_alu instid0(VALU_DEP_1)
	v_cmpx_ne_u16_e32 0, v7
	s_cbranch_execz .LBB270_642
; %bb.635:                              ;   in Loop: Header=BB270_13 Depth=1
	v_bfrev_b32_e32 v108, 1
	s_mov_b32 s21, exec_lo
	v_cmpx_ne_u16_e32 0x80, v7
	s_cbranch_execz .LBB270_641
; %bb.636:                              ;   in Loop: Header=BB270_13 Depth=1
	v_and_b32_e32 v76, 0xffff, v7
	v_mov_b32_e32 v108, 0x7c010000
	s_mov_b32 s22, exec_lo
	s_delay_alu instid0(VALU_DEP_2) | instskip(NEXT) | instid1(VALU_DEP_1)
	v_and_b32_e32 v79, 0x7f, v76
	v_cmpx_ne_u32_e32 0x7f, v79
	s_cbranch_execz .LBB270_640
; %bb.637:                              ;   in Loop: Header=BB270_13 Depth=1
	v_and_b32_e32 v77, 7, v76
	v_lshrrev_b32_e32 v78, 3, v79
	s_mov_b32 s23, exec_lo
	v_cmpx_gt_u32_e32 8, v79
; %bb.638:                              ;   in Loop: Header=BB270_13 Depth=1
	s_delay_alu instid0(VALU_DEP_3) | instskip(NEXT) | instid1(VALU_DEP_1)
	v_clz_i32_u32_e32 v77, v77
	v_min_u32_e32 v79, 32, v77
	s_delay_alu instid0(VALU_DEP_1) | instskip(NEXT) | instid1(VALU_DEP_1)
	v_subrev_nc_u32_e32 v77, 28, v79
	v_lshlrev_b64_e32 v[77:78], v77, v[7:8]
	v_sub_nc_u32_e32 v78, 29, v79
	s_delay_alu instid0(VALU_DEP_2)
	v_and_b32_e32 v77, 7, v77
; %bb.639:                              ;   in Loop: Header=BB270_13 Depth=1
	s_wait_alu 0xfffe
	s_or_b32 exec_lo, exec_lo, s23
	v_lshlrev_b32_e32 v7, 8, v76
	v_lshl_add_u32 v76, v78, 10, 0x2000
	s_delay_alu instid0(VALU_DEP_1) | instskip(SKIP_1) | instid1(VALU_DEP_1)
	v_and_or_b32 v7, 0x8000, v7, v76
	v_lshlrev_b32_e32 v76, 23, v77
	v_lshl_or_b32 v108, v7, 16, v76
.LBB270_640:                            ;   in Loop: Header=BB270_13 Depth=1
	s_wait_alu 0xfffe
	s_or_b32 exec_lo, exec_lo, s22
.LBB270_641:                            ;   in Loop: Header=BB270_13 Depth=1
	s_wait_alu 0xfffe
	s_or_b32 exec_lo, exec_lo, s21
.LBB270_642:                            ;   in Loop: Header=BB270_13 Depth=1
	s_wait_alu 0xfffe
	s_or_b32 exec_lo, exec_lo, s20
	v_lshrrev_b32_e32 v7, 16, v9
	v_mov_b32_e32 v125, 0
	s_mov_b32 s20, exec_lo
	s_delay_alu instid0(VALU_DEP_2) | instskip(NEXT) | instid1(VALU_DEP_1)
	v_dual_mov_b32 v123, 0 :: v_dual_and_b32 v76, 0xff, v7
	v_cmpx_ne_u16_e32 0, v76
	s_cbranch_execz .LBB270_650
; %bb.643:                              ;   in Loop: Header=BB270_13 Depth=1
	v_mov_b32_e32 v125, 0x8000
	s_mov_b32 s21, exec_lo
	v_cmpx_ne_u16_e32 0x80, v76
	s_cbranch_execz .LBB270_649
; %bb.644:                              ;   in Loop: Header=BB270_13 Depth=1
	v_bfe_u32 v78, v9, 16, 7
	v_mov_b32_e32 v125, 0x7c01
	s_mov_b32 s22, exec_lo
	s_delay_alu instid0(VALU_DEP_2)
	v_cmpx_ne_u32_e32 0x7f, v78
	s_cbranch_execz .LBB270_648
; %bb.645:                              ;   in Loop: Header=BB270_13 Depth=1
	v_and_b32_e32 v76, 7, v7
	v_lshrrev_b32_e32 v77, 3, v78
	s_mov_b32 s23, exec_lo
	v_cmpx_gt_u32_e32 8, v78
; %bb.646:                              ;   in Loop: Header=BB270_13 Depth=1
	s_delay_alu instid0(VALU_DEP_3) | instskip(NEXT) | instid1(VALU_DEP_1)
	v_clz_i32_u32_e32 v76, v76
	v_min_u32_e32 v78, 32, v76
	s_delay_alu instid0(VALU_DEP_1) | instskip(NEXT) | instid1(VALU_DEP_1)
	v_subrev_nc_u32_e32 v76, 28, v78
	v_lshlrev_b64_e32 v[76:77], v76, v[7:8]
	v_sub_nc_u32_e32 v77, 29, v78
	s_delay_alu instid0(VALU_DEP_2)
	v_and_b32_e32 v76, 7, v76
; %bb.647:                              ;   in Loop: Header=BB270_13 Depth=1
	s_wait_alu 0xfffe
	s_or_b32 exec_lo, exec_lo, s23
	v_lshlrev_b32_e32 v7, 8, v7
	v_lshl_add_u32 v77, v77, 10, 0x2000
	v_lshlrev_b32_e32 v76, 7, v76
	s_delay_alu instid0(VALU_DEP_3) | instskip(NEXT) | instid1(VALU_DEP_3)
	v_and_b32_e32 v7, 0x8000, v7
	v_and_b32_e32 v77, 0xfc00, v77
	s_delay_alu instid0(VALU_DEP_1)
	v_or3_b32 v125, v7, v77, v76
.LBB270_648:                            ;   in Loop: Header=BB270_13 Depth=1
	s_wait_alu 0xfffe
	s_or_b32 exec_lo, exec_lo, s22
.LBB270_649:                            ;   in Loop: Header=BB270_13 Depth=1
	s_wait_alu 0xfffe
	s_or_b32 exec_lo, exec_lo, s21
.LBB270_650:                            ;   in Loop: Header=BB270_13 Depth=1
	s_wait_alu 0xfffe
	s_or_b32 exec_lo, exec_lo, s20
	s_delay_alu instid0(SALU_CYCLE_1)
	s_mov_b32 s20, exec_lo
	v_cmpx_lt_u32_e32 0xffffff, v9
	s_cbranch_execz .LBB270_658
; %bb.651:                              ;   in Loop: Header=BB270_13 Depth=1
	v_lshrrev_b32_e32 v7, 24, v9
	v_bfrev_b32_e32 v123, 1
	s_mov_b32 s21, exec_lo
	s_delay_alu instid0(VALU_DEP_2)
	v_cmpx_ne_u32_e32 0x80, v7
	s_cbranch_execz .LBB270_657
; %bb.652:                              ;   in Loop: Header=BB270_13 Depth=1
	v_and_b32_e32 v77, 0x7f, v7
	v_mov_b32_e32 v123, 0x7c010000
	s_mov_b32 s22, exec_lo
	s_delay_alu instid0(VALU_DEP_2)
	v_cmpx_ne_u32_e32 0x7f, v77
	s_cbranch_execz .LBB270_656
; %bb.653:                              ;   in Loop: Header=BB270_13 Depth=1
	v_and_b32_e32 v9, 7, v7
	v_lshrrev_b32_e32 v76, 3, v77
	s_mov_b32 s23, exec_lo
	v_cmpx_gt_u32_e32 8, v77
; %bb.654:                              ;   in Loop: Header=BB270_13 Depth=1
	s_delay_alu instid0(VALU_DEP_3) | instskip(NEXT) | instid1(VALU_DEP_1)
	v_clz_i32_u32_e32 v9, v9
	v_min_u32_e32 v9, 32, v9
	s_delay_alu instid0(VALU_DEP_1) | instskip(NEXT) | instid1(VALU_DEP_1)
	v_subrev_nc_u32_e32 v76, 28, v9
	v_lshlrev_b64_e32 v[77:78], v76, v[7:8]
	v_sub_nc_u32_e32 v76, 29, v9
	s_delay_alu instid0(VALU_DEP_2)
	v_and_b32_e32 v9, 7, v77
; %bb.655:                              ;   in Loop: Header=BB270_13 Depth=1
	s_wait_alu 0xfffe
	s_or_b32 exec_lo, exec_lo, s23
	v_lshlrev_b32_e32 v7, 8, v7
	v_lshl_add_u32 v76, v76, 10, 0x2000
	v_lshlrev_b32_e32 v9, 23, v9
	s_delay_alu instid0(VALU_DEP_2) | instskip(NEXT) | instid1(VALU_DEP_1)
	v_and_or_b32 v7, 0x8000, v7, v76
	v_lshl_or_b32 v123, v7, 16, v9
.LBB270_656:                            ;   in Loop: Header=BB270_13 Depth=1
	s_wait_alu 0xfffe
	s_or_b32 exec_lo, exec_lo, s22
.LBB270_657:                            ;   in Loop: Header=BB270_13 Depth=1
	s_wait_alu 0xfffe
	s_or_b32 exec_lo, exec_lo, s21
.LBB270_658:                            ;   in Loop: Header=BB270_13 Depth=1
	s_wait_alu 0xfffe
	s_or_b32 exec_lo, exec_lo, s20
	flat_load_b32 v9, v[28:29] offset:2560
	v_mov_b32_e32 v139, 0
	s_mov_b32 s20, exec_lo
	s_wait_loadcnt_dscnt 0x0
	v_dual_mov_b32 v138, 0 :: v_dual_and_b32 v7, 0xff, v9
	s_delay_alu instid0(VALU_DEP_1)
	v_cmpx_ne_u16_e32 0, v7
	s_cbranch_execz .LBB270_666
; %bb.659:                              ;   in Loop: Header=BB270_13 Depth=1
	v_mov_b32_e32 v139, 0x8000
	s_mov_b32 s21, exec_lo
	v_cmpx_ne_u16_e32 0x80, v7
	s_cbranch_execz .LBB270_665
; %bb.660:                              ;   in Loop: Header=BB270_13 Depth=1
	v_and_b32_e32 v77, 0x7f, v9
	v_mov_b32_e32 v139, 0x7c01
	s_mov_b32 s22, exec_lo
	s_delay_alu instid0(VALU_DEP_2)
	v_cmpx_ne_u32_e32 0x7f, v77
	s_cbranch_execz .LBB270_664
; %bb.661:                              ;   in Loop: Header=BB270_13 Depth=1
	v_and_b32_e32 v7, 7, v9
	v_lshrrev_b32_e32 v76, 3, v77
	s_mov_b32 s23, exec_lo
	v_cmpx_gt_u32_e32 8, v77
; %bb.662:                              ;   in Loop: Header=BB270_13 Depth=1
	s_delay_alu instid0(VALU_DEP_3) | instskip(NEXT) | instid1(VALU_DEP_1)
	v_clz_i32_u32_e32 v7, v7
	v_min_u32_e32 v7, 32, v7
	s_delay_alu instid0(VALU_DEP_1) | instskip(NEXT) | instid1(VALU_DEP_1)
	v_subrev_nc_u32_e32 v76, 28, v7
	v_lshlrev_b64_e32 v[77:78], v76, v[9:10]
	v_sub_nc_u32_e32 v76, 29, v7
	s_delay_alu instid0(VALU_DEP_2)
	v_and_b32_e32 v7, 7, v77
; %bb.663:                              ;   in Loop: Header=BB270_13 Depth=1
	s_wait_alu 0xfffe
	s_or_b32 exec_lo, exec_lo, s23
	v_lshlrev_b32_e32 v77, 8, v9
	v_lshl_add_u32 v76, v76, 10, 0x2000
	v_lshlrev_b32_e32 v7, 7, v7
	s_delay_alu instid0(VALU_DEP_3) | instskip(NEXT) | instid1(VALU_DEP_3)
	v_and_b32_e32 v77, 0x8000, v77
	v_and_b32_e32 v76, 0xfc00, v76
	s_delay_alu instid0(VALU_DEP_1)
	v_or3_b32 v139, v77, v76, v7
.LBB270_664:                            ;   in Loop: Header=BB270_13 Depth=1
	s_wait_alu 0xfffe
	s_or_b32 exec_lo, exec_lo, s22
.LBB270_665:                            ;   in Loop: Header=BB270_13 Depth=1
	s_wait_alu 0xfffe
	s_or_b32 exec_lo, exec_lo, s21
.LBB270_666:                            ;   in Loop: Header=BB270_13 Depth=1
	s_wait_alu 0xfffe
	s_or_b32 exec_lo, exec_lo, s20
	v_lshrrev_b16 v7, 8, v9
	s_mov_b32 s20, exec_lo
	s_delay_alu instid0(VALU_DEP_1)
	v_cmpx_ne_u16_e32 0, v7
	s_cbranch_execz .LBB270_674
; %bb.667:                              ;   in Loop: Header=BB270_13 Depth=1
	v_bfrev_b32_e32 v138, 1
	s_mov_b32 s21, exec_lo
	v_cmpx_ne_u16_e32 0x80, v7
	s_cbranch_execz .LBB270_673
; %bb.668:                              ;   in Loop: Header=BB270_13 Depth=1
	v_and_b32_e32 v76, 0xffff, v7
	v_mov_b32_e32 v138, 0x7c010000
	s_mov_b32 s22, exec_lo
	s_delay_alu instid0(VALU_DEP_2) | instskip(NEXT) | instid1(VALU_DEP_1)
	v_and_b32_e32 v79, 0x7f, v76
	v_cmpx_ne_u32_e32 0x7f, v79
	s_cbranch_execz .LBB270_672
; %bb.669:                              ;   in Loop: Header=BB270_13 Depth=1
	v_and_b32_e32 v77, 7, v76
	v_lshrrev_b32_e32 v78, 3, v79
	s_mov_b32 s23, exec_lo
	v_cmpx_gt_u32_e32 8, v79
; %bb.670:                              ;   in Loop: Header=BB270_13 Depth=1
	s_delay_alu instid0(VALU_DEP_3) | instskip(NEXT) | instid1(VALU_DEP_1)
	v_clz_i32_u32_e32 v77, v77
	v_min_u32_e32 v79, 32, v77
	s_delay_alu instid0(VALU_DEP_1) | instskip(NEXT) | instid1(VALU_DEP_1)
	v_subrev_nc_u32_e32 v77, 28, v79
	v_lshlrev_b64_e32 v[77:78], v77, v[7:8]
	v_sub_nc_u32_e32 v78, 29, v79
	s_delay_alu instid0(VALU_DEP_2)
	v_and_b32_e32 v77, 7, v77
; %bb.671:                              ;   in Loop: Header=BB270_13 Depth=1
	s_wait_alu 0xfffe
	s_or_b32 exec_lo, exec_lo, s23
	v_lshlrev_b32_e32 v7, 8, v76
	v_lshl_add_u32 v76, v78, 10, 0x2000
	s_delay_alu instid0(VALU_DEP_1) | instskip(SKIP_1) | instid1(VALU_DEP_1)
	v_and_or_b32 v7, 0x8000, v7, v76
	v_lshlrev_b32_e32 v76, 23, v77
	v_lshl_or_b32 v138, v7, 16, v76
.LBB270_672:                            ;   in Loop: Header=BB270_13 Depth=1
	s_wait_alu 0xfffe
	s_or_b32 exec_lo, exec_lo, s22
.LBB270_673:                            ;   in Loop: Header=BB270_13 Depth=1
	s_wait_alu 0xfffe
	s_or_b32 exec_lo, exec_lo, s21
.LBB270_674:                            ;   in Loop: Header=BB270_13 Depth=1
	s_wait_alu 0xfffe
	s_or_b32 exec_lo, exec_lo, s20
	v_lshrrev_b32_e32 v7, 16, v9
	v_mov_b32_e32 v154, 0
	s_mov_b32 s20, exec_lo
	s_delay_alu instid0(VALU_DEP_2) | instskip(NEXT) | instid1(VALU_DEP_1)
	v_dual_mov_b32 v155, 0 :: v_dual_and_b32 v76, 0xff, v7
	v_cmpx_ne_u16_e32 0, v76
	s_cbranch_execz .LBB270_682
; %bb.675:                              ;   in Loop: Header=BB270_13 Depth=1
	v_mov_b32_e32 v155, 0x8000
	s_mov_b32 s21, exec_lo
	v_cmpx_ne_u16_e32 0x80, v76
	s_cbranch_execz .LBB270_681
; %bb.676:                              ;   in Loop: Header=BB270_13 Depth=1
	v_bfe_u32 v78, v9, 16, 7
	v_mov_b32_e32 v155, 0x7c01
	s_mov_b32 s22, exec_lo
	s_delay_alu instid0(VALU_DEP_2)
	v_cmpx_ne_u32_e32 0x7f, v78
	s_cbranch_execz .LBB270_680
; %bb.677:                              ;   in Loop: Header=BB270_13 Depth=1
	v_and_b32_e32 v76, 7, v7
	v_lshrrev_b32_e32 v77, 3, v78
	s_mov_b32 s23, exec_lo
	v_cmpx_gt_u32_e32 8, v78
; %bb.678:                              ;   in Loop: Header=BB270_13 Depth=1
	s_delay_alu instid0(VALU_DEP_3) | instskip(NEXT) | instid1(VALU_DEP_1)
	v_clz_i32_u32_e32 v76, v76
	v_min_u32_e32 v78, 32, v76
	s_delay_alu instid0(VALU_DEP_1) | instskip(NEXT) | instid1(VALU_DEP_1)
	v_subrev_nc_u32_e32 v76, 28, v78
	v_lshlrev_b64_e32 v[76:77], v76, v[7:8]
	v_sub_nc_u32_e32 v77, 29, v78
	s_delay_alu instid0(VALU_DEP_2)
	v_and_b32_e32 v76, 7, v76
; %bb.679:                              ;   in Loop: Header=BB270_13 Depth=1
	s_wait_alu 0xfffe
	s_or_b32 exec_lo, exec_lo, s23
	v_lshlrev_b32_e32 v7, 8, v7
	v_lshl_add_u32 v77, v77, 10, 0x2000
	v_lshlrev_b32_e32 v76, 7, v76
	s_delay_alu instid0(VALU_DEP_3) | instskip(NEXT) | instid1(VALU_DEP_3)
	v_and_b32_e32 v7, 0x8000, v7
	v_and_b32_e32 v77, 0xfc00, v77
	s_delay_alu instid0(VALU_DEP_1)
	v_or3_b32 v155, v7, v77, v76
.LBB270_680:                            ;   in Loop: Header=BB270_13 Depth=1
	s_wait_alu 0xfffe
	s_or_b32 exec_lo, exec_lo, s22
.LBB270_681:                            ;   in Loop: Header=BB270_13 Depth=1
	s_wait_alu 0xfffe
	s_or_b32 exec_lo, exec_lo, s21
.LBB270_682:                            ;   in Loop: Header=BB270_13 Depth=1
	s_wait_alu 0xfffe
	s_or_b32 exec_lo, exec_lo, s20
	s_delay_alu instid0(SALU_CYCLE_1)
	s_mov_b32 s20, exec_lo
	v_cmpx_lt_u32_e32 0xffffff, v9
	s_cbranch_execz .LBB270_690
; %bb.683:                              ;   in Loop: Header=BB270_13 Depth=1
	v_lshrrev_b32_e32 v7, 24, v9
	v_bfrev_b32_e32 v154, 1
	s_mov_b32 s21, exec_lo
	s_delay_alu instid0(VALU_DEP_2)
	v_cmpx_ne_u32_e32 0x80, v7
	s_cbranch_execz .LBB270_689
; %bb.684:                              ;   in Loop: Header=BB270_13 Depth=1
	v_and_b32_e32 v77, 0x7f, v7
	v_mov_b32_e32 v154, 0x7c010000
	s_mov_b32 s22, exec_lo
	s_delay_alu instid0(VALU_DEP_2)
	v_cmpx_ne_u32_e32 0x7f, v77
	s_cbranch_execz .LBB270_688
; %bb.685:                              ;   in Loop: Header=BB270_13 Depth=1
	v_and_b32_e32 v9, 7, v7
	v_lshrrev_b32_e32 v76, 3, v77
	s_mov_b32 s23, exec_lo
	v_cmpx_gt_u32_e32 8, v77
; %bb.686:                              ;   in Loop: Header=BB270_13 Depth=1
	s_delay_alu instid0(VALU_DEP_3) | instskip(NEXT) | instid1(VALU_DEP_1)
	v_clz_i32_u32_e32 v9, v9
	v_min_u32_e32 v9, 32, v9
	s_delay_alu instid0(VALU_DEP_1) | instskip(NEXT) | instid1(VALU_DEP_1)
	v_subrev_nc_u32_e32 v76, 28, v9
	v_lshlrev_b64_e32 v[77:78], v76, v[7:8]
	v_sub_nc_u32_e32 v76, 29, v9
	s_delay_alu instid0(VALU_DEP_2)
	v_and_b32_e32 v9, 7, v77
; %bb.687:                              ;   in Loop: Header=BB270_13 Depth=1
	s_wait_alu 0xfffe
	s_or_b32 exec_lo, exec_lo, s23
	v_lshlrev_b32_e32 v7, 8, v7
	v_lshl_add_u32 v76, v76, 10, 0x2000
	v_lshlrev_b32_e32 v9, 23, v9
	s_delay_alu instid0(VALU_DEP_2) | instskip(NEXT) | instid1(VALU_DEP_1)
	v_and_or_b32 v7, 0x8000, v7, v76
	v_lshl_or_b32 v154, v7, 16, v9
.LBB270_688:                            ;   in Loop: Header=BB270_13 Depth=1
	s_wait_alu 0xfffe
	s_or_b32 exec_lo, exec_lo, s22
.LBB270_689:                            ;   in Loop: Header=BB270_13 Depth=1
	s_wait_alu 0xfffe
	s_or_b32 exec_lo, exec_lo, s21
.LBB270_690:                            ;   in Loop: Header=BB270_13 Depth=1
	s_wait_alu 0xfffe
	s_or_b32 exec_lo, exec_lo, s20
	flat_load_b32 v9, v[28:29] offset:2568
	v_mov_b32_e32 v169, 0
	s_mov_b32 s20, exec_lo
	s_wait_loadcnt_dscnt 0x0
	v_dual_mov_b32 v168, 0 :: v_dual_and_b32 v7, 0xff, v9
	s_delay_alu instid0(VALU_DEP_1)
	v_cmpx_ne_u16_e32 0, v7
	s_cbranch_execz .LBB270_698
; %bb.691:                              ;   in Loop: Header=BB270_13 Depth=1
	v_mov_b32_e32 v169, 0x8000
	s_mov_b32 s21, exec_lo
	v_cmpx_ne_u16_e32 0x80, v7
	s_cbranch_execz .LBB270_697
; %bb.692:                              ;   in Loop: Header=BB270_13 Depth=1
	v_and_b32_e32 v77, 0x7f, v9
	v_mov_b32_e32 v169, 0x7c01
	s_mov_b32 s22, exec_lo
	s_delay_alu instid0(VALU_DEP_2)
	v_cmpx_ne_u32_e32 0x7f, v77
	s_cbranch_execz .LBB270_696
; %bb.693:                              ;   in Loop: Header=BB270_13 Depth=1
	v_and_b32_e32 v7, 7, v9
	v_lshrrev_b32_e32 v76, 3, v77
	s_mov_b32 s23, exec_lo
	v_cmpx_gt_u32_e32 8, v77
; %bb.694:                              ;   in Loop: Header=BB270_13 Depth=1
	s_delay_alu instid0(VALU_DEP_3) | instskip(NEXT) | instid1(VALU_DEP_1)
	v_clz_i32_u32_e32 v7, v7
	v_min_u32_e32 v7, 32, v7
	s_delay_alu instid0(VALU_DEP_1) | instskip(NEXT) | instid1(VALU_DEP_1)
	v_subrev_nc_u32_e32 v76, 28, v7
	v_lshlrev_b64_e32 v[77:78], v76, v[9:10]
	v_sub_nc_u32_e32 v76, 29, v7
	s_delay_alu instid0(VALU_DEP_2)
	v_and_b32_e32 v7, 7, v77
; %bb.695:                              ;   in Loop: Header=BB270_13 Depth=1
	s_wait_alu 0xfffe
	s_or_b32 exec_lo, exec_lo, s23
	v_lshlrev_b32_e32 v77, 8, v9
	v_lshl_add_u32 v76, v76, 10, 0x2000
	v_lshlrev_b32_e32 v7, 7, v7
	s_delay_alu instid0(VALU_DEP_3) | instskip(NEXT) | instid1(VALU_DEP_3)
	v_and_b32_e32 v77, 0x8000, v77
	v_and_b32_e32 v76, 0xfc00, v76
	s_delay_alu instid0(VALU_DEP_1)
	v_or3_b32 v169, v77, v76, v7
.LBB270_696:                            ;   in Loop: Header=BB270_13 Depth=1
	s_wait_alu 0xfffe
	s_or_b32 exec_lo, exec_lo, s22
.LBB270_697:                            ;   in Loop: Header=BB270_13 Depth=1
	s_wait_alu 0xfffe
	s_or_b32 exec_lo, exec_lo, s21
.LBB270_698:                            ;   in Loop: Header=BB270_13 Depth=1
	s_wait_alu 0xfffe
	s_or_b32 exec_lo, exec_lo, s20
	v_lshrrev_b16 v7, 8, v9
	s_mov_b32 s20, exec_lo
	s_delay_alu instid0(VALU_DEP_1)
	v_cmpx_ne_u16_e32 0, v7
	s_cbranch_execz .LBB270_706
; %bb.699:                              ;   in Loop: Header=BB270_13 Depth=1
	v_bfrev_b32_e32 v168, 1
	s_mov_b32 s21, exec_lo
	v_cmpx_ne_u16_e32 0x80, v7
	s_cbranch_execz .LBB270_705
; %bb.700:                              ;   in Loop: Header=BB270_13 Depth=1
	v_and_b32_e32 v76, 0xffff, v7
	v_mov_b32_e32 v168, 0x7c010000
	s_mov_b32 s22, exec_lo
	s_delay_alu instid0(VALU_DEP_2) | instskip(NEXT) | instid1(VALU_DEP_1)
	v_and_b32_e32 v79, 0x7f, v76
	v_cmpx_ne_u32_e32 0x7f, v79
	s_cbranch_execz .LBB270_704
; %bb.701:                              ;   in Loop: Header=BB270_13 Depth=1
	v_and_b32_e32 v77, 7, v76
	v_lshrrev_b32_e32 v78, 3, v79
	s_mov_b32 s23, exec_lo
	v_cmpx_gt_u32_e32 8, v79
; %bb.702:                              ;   in Loop: Header=BB270_13 Depth=1
	s_delay_alu instid0(VALU_DEP_3) | instskip(NEXT) | instid1(VALU_DEP_1)
	v_clz_i32_u32_e32 v77, v77
	v_min_u32_e32 v79, 32, v77
	s_delay_alu instid0(VALU_DEP_1) | instskip(NEXT) | instid1(VALU_DEP_1)
	v_subrev_nc_u32_e32 v77, 28, v79
	v_lshlrev_b64_e32 v[77:78], v77, v[7:8]
	v_sub_nc_u32_e32 v78, 29, v79
	s_delay_alu instid0(VALU_DEP_2)
	v_and_b32_e32 v77, 7, v77
; %bb.703:                              ;   in Loop: Header=BB270_13 Depth=1
	s_wait_alu 0xfffe
	s_or_b32 exec_lo, exec_lo, s23
	v_lshlrev_b32_e32 v7, 8, v76
	v_lshl_add_u32 v76, v78, 10, 0x2000
	s_delay_alu instid0(VALU_DEP_1) | instskip(SKIP_1) | instid1(VALU_DEP_1)
	v_and_or_b32 v7, 0x8000, v7, v76
	v_lshlrev_b32_e32 v76, 23, v77
	v_lshl_or_b32 v168, v7, 16, v76
.LBB270_704:                            ;   in Loop: Header=BB270_13 Depth=1
	s_wait_alu 0xfffe
	s_or_b32 exec_lo, exec_lo, s22
.LBB270_705:                            ;   in Loop: Header=BB270_13 Depth=1
	s_wait_alu 0xfffe
	s_or_b32 exec_lo, exec_lo, s21
.LBB270_706:                            ;   in Loop: Header=BB270_13 Depth=1
	s_wait_alu 0xfffe
	s_or_b32 exec_lo, exec_lo, s20
	v_lshrrev_b32_e32 v7, 16, v9
	v_mov_b32_e32 v172, 0
	s_mov_b32 s20, exec_lo
	s_delay_alu instid0(VALU_DEP_2) | instskip(NEXT) | instid1(VALU_DEP_1)
	v_dual_mov_b32 v173, 0 :: v_dual_and_b32 v76, 0xff, v7
	v_cmpx_ne_u16_e32 0, v76
	s_cbranch_execz .LBB270_714
; %bb.707:                              ;   in Loop: Header=BB270_13 Depth=1
	v_mov_b32_e32 v173, 0x8000
	s_mov_b32 s21, exec_lo
	v_cmpx_ne_u16_e32 0x80, v76
	s_cbranch_execz .LBB270_713
; %bb.708:                              ;   in Loop: Header=BB270_13 Depth=1
	v_bfe_u32 v78, v9, 16, 7
	v_mov_b32_e32 v173, 0x7c01
	s_mov_b32 s22, exec_lo
	s_delay_alu instid0(VALU_DEP_2)
	v_cmpx_ne_u32_e32 0x7f, v78
	s_cbranch_execz .LBB270_712
; %bb.709:                              ;   in Loop: Header=BB270_13 Depth=1
	v_and_b32_e32 v76, 7, v7
	v_lshrrev_b32_e32 v77, 3, v78
	s_mov_b32 s23, exec_lo
	v_cmpx_gt_u32_e32 8, v78
; %bb.710:                              ;   in Loop: Header=BB270_13 Depth=1
	s_delay_alu instid0(VALU_DEP_3) | instskip(NEXT) | instid1(VALU_DEP_1)
	v_clz_i32_u32_e32 v76, v76
	v_min_u32_e32 v78, 32, v76
	s_delay_alu instid0(VALU_DEP_1) | instskip(NEXT) | instid1(VALU_DEP_1)
	v_subrev_nc_u32_e32 v76, 28, v78
	v_lshlrev_b64_e32 v[76:77], v76, v[7:8]
	v_sub_nc_u32_e32 v77, 29, v78
	s_delay_alu instid0(VALU_DEP_2)
	v_and_b32_e32 v76, 7, v76
; %bb.711:                              ;   in Loop: Header=BB270_13 Depth=1
	s_wait_alu 0xfffe
	s_or_b32 exec_lo, exec_lo, s23
	v_lshlrev_b32_e32 v7, 8, v7
	v_lshl_add_u32 v77, v77, 10, 0x2000
	v_lshlrev_b32_e32 v76, 7, v76
	s_delay_alu instid0(VALU_DEP_3) | instskip(NEXT) | instid1(VALU_DEP_3)
	v_and_b32_e32 v7, 0x8000, v7
	v_and_b32_e32 v77, 0xfc00, v77
	s_delay_alu instid0(VALU_DEP_1)
	v_or3_b32 v173, v7, v77, v76
.LBB270_712:                            ;   in Loop: Header=BB270_13 Depth=1
	s_wait_alu 0xfffe
	s_or_b32 exec_lo, exec_lo, s22
.LBB270_713:                            ;   in Loop: Header=BB270_13 Depth=1
	s_wait_alu 0xfffe
	s_or_b32 exec_lo, exec_lo, s21
.LBB270_714:                            ;   in Loop: Header=BB270_13 Depth=1
	s_wait_alu 0xfffe
	s_or_b32 exec_lo, exec_lo, s20
	s_delay_alu instid0(SALU_CYCLE_1)
	s_mov_b32 s20, exec_lo
	v_cmpx_lt_u32_e32 0xffffff, v9
	s_cbranch_execz .LBB270_722
; %bb.715:                              ;   in Loop: Header=BB270_13 Depth=1
	v_lshrrev_b32_e32 v7, 24, v9
	v_bfrev_b32_e32 v172, 1
	s_mov_b32 s21, exec_lo
	s_delay_alu instid0(VALU_DEP_2)
	v_cmpx_ne_u32_e32 0x80, v7
	s_cbranch_execz .LBB270_721
; %bb.716:                              ;   in Loop: Header=BB270_13 Depth=1
	v_and_b32_e32 v77, 0x7f, v7
	v_mov_b32_e32 v172, 0x7c010000
	s_mov_b32 s22, exec_lo
	s_delay_alu instid0(VALU_DEP_2)
	v_cmpx_ne_u32_e32 0x7f, v77
	s_cbranch_execz .LBB270_720
; %bb.717:                              ;   in Loop: Header=BB270_13 Depth=1
	v_and_b32_e32 v9, 7, v7
	v_lshrrev_b32_e32 v76, 3, v77
	s_mov_b32 s23, exec_lo
	v_cmpx_gt_u32_e32 8, v77
; %bb.718:                              ;   in Loop: Header=BB270_13 Depth=1
	s_delay_alu instid0(VALU_DEP_3) | instskip(NEXT) | instid1(VALU_DEP_1)
	v_clz_i32_u32_e32 v9, v9
	v_min_u32_e32 v9, 32, v9
	s_delay_alu instid0(VALU_DEP_1) | instskip(NEXT) | instid1(VALU_DEP_1)
	v_subrev_nc_u32_e32 v76, 28, v9
	v_lshlrev_b64_e32 v[77:78], v76, v[7:8]
	v_sub_nc_u32_e32 v76, 29, v9
	s_delay_alu instid0(VALU_DEP_2)
	v_and_b32_e32 v9, 7, v77
; %bb.719:                              ;   in Loop: Header=BB270_13 Depth=1
	s_wait_alu 0xfffe
	s_or_b32 exec_lo, exec_lo, s23
	v_lshlrev_b32_e32 v7, 8, v7
	v_lshl_add_u32 v76, v76, 10, 0x2000
	v_lshlrev_b32_e32 v9, 23, v9
	s_delay_alu instid0(VALU_DEP_2) | instskip(NEXT) | instid1(VALU_DEP_1)
	v_and_or_b32 v7, 0x8000, v7, v76
	v_lshl_or_b32 v172, v7, 16, v9
.LBB270_720:                            ;   in Loop: Header=BB270_13 Depth=1
	s_wait_alu 0xfffe
	s_or_b32 exec_lo, exec_lo, s22
.LBB270_721:                            ;   in Loop: Header=BB270_13 Depth=1
	s_wait_alu 0xfffe
	s_or_b32 exec_lo, exec_lo, s21
.LBB270_722:                            ;   in Loop: Header=BB270_13 Depth=1
	s_wait_alu 0xfffe
	s_or_b32 exec_lo, exec_lo, s20
	flat_load_b32 v9, v[28:29] offset:2816
	v_mov_b32_e32 v157, 0
	s_mov_b32 s20, exec_lo
	s_wait_loadcnt_dscnt 0x0
	v_dual_mov_b32 v156, 0 :: v_dual_and_b32 v7, 0xff, v9
	s_delay_alu instid0(VALU_DEP_1)
	v_cmpx_ne_u16_e32 0, v7
	s_cbranch_execz .LBB270_730
; %bb.723:                              ;   in Loop: Header=BB270_13 Depth=1
	v_mov_b32_e32 v157, 0x8000
	s_mov_b32 s21, exec_lo
	v_cmpx_ne_u16_e32 0x80, v7
	s_cbranch_execz .LBB270_729
; %bb.724:                              ;   in Loop: Header=BB270_13 Depth=1
	v_and_b32_e32 v77, 0x7f, v9
	v_mov_b32_e32 v157, 0x7c01
	s_mov_b32 s22, exec_lo
	s_delay_alu instid0(VALU_DEP_2)
	v_cmpx_ne_u32_e32 0x7f, v77
	s_cbranch_execz .LBB270_728
; %bb.725:                              ;   in Loop: Header=BB270_13 Depth=1
	v_and_b32_e32 v7, 7, v9
	v_lshrrev_b32_e32 v76, 3, v77
	s_mov_b32 s23, exec_lo
	v_cmpx_gt_u32_e32 8, v77
; %bb.726:                              ;   in Loop: Header=BB270_13 Depth=1
	s_delay_alu instid0(VALU_DEP_3) | instskip(NEXT) | instid1(VALU_DEP_1)
	v_clz_i32_u32_e32 v7, v7
	v_min_u32_e32 v7, 32, v7
	s_delay_alu instid0(VALU_DEP_1) | instskip(NEXT) | instid1(VALU_DEP_1)
	v_subrev_nc_u32_e32 v76, 28, v7
	v_lshlrev_b64_e32 v[77:78], v76, v[9:10]
	v_sub_nc_u32_e32 v76, 29, v7
	s_delay_alu instid0(VALU_DEP_2)
	v_and_b32_e32 v7, 7, v77
; %bb.727:                              ;   in Loop: Header=BB270_13 Depth=1
	s_wait_alu 0xfffe
	s_or_b32 exec_lo, exec_lo, s23
	v_lshlrev_b32_e32 v77, 8, v9
	v_lshl_add_u32 v76, v76, 10, 0x2000
	v_lshlrev_b32_e32 v7, 7, v7
	s_delay_alu instid0(VALU_DEP_3) | instskip(NEXT) | instid1(VALU_DEP_3)
	v_and_b32_e32 v77, 0x8000, v77
	v_and_b32_e32 v76, 0xfc00, v76
	s_delay_alu instid0(VALU_DEP_1)
	v_or3_b32 v157, v77, v76, v7
.LBB270_728:                            ;   in Loop: Header=BB270_13 Depth=1
	s_wait_alu 0xfffe
	s_or_b32 exec_lo, exec_lo, s22
.LBB270_729:                            ;   in Loop: Header=BB270_13 Depth=1
	s_wait_alu 0xfffe
	s_or_b32 exec_lo, exec_lo, s21
.LBB270_730:                            ;   in Loop: Header=BB270_13 Depth=1
	s_wait_alu 0xfffe
	s_or_b32 exec_lo, exec_lo, s20
	v_lshrrev_b16 v7, 8, v9
	s_mov_b32 s20, exec_lo
	s_delay_alu instid0(VALU_DEP_1)
	v_cmpx_ne_u16_e32 0, v7
	s_cbranch_execz .LBB270_738
; %bb.731:                              ;   in Loop: Header=BB270_13 Depth=1
	v_bfrev_b32_e32 v156, 1
	s_mov_b32 s21, exec_lo
	v_cmpx_ne_u16_e32 0x80, v7
	s_cbranch_execz .LBB270_737
; %bb.732:                              ;   in Loop: Header=BB270_13 Depth=1
	v_and_b32_e32 v76, 0xffff, v7
	v_mov_b32_e32 v156, 0x7c010000
	s_mov_b32 s22, exec_lo
	s_delay_alu instid0(VALU_DEP_2) | instskip(NEXT) | instid1(VALU_DEP_1)
	v_and_b32_e32 v79, 0x7f, v76
	v_cmpx_ne_u32_e32 0x7f, v79
	s_cbranch_execz .LBB270_736
; %bb.733:                              ;   in Loop: Header=BB270_13 Depth=1
	v_and_b32_e32 v77, 7, v76
	v_lshrrev_b32_e32 v78, 3, v79
	s_mov_b32 s23, exec_lo
	v_cmpx_gt_u32_e32 8, v79
; %bb.734:                              ;   in Loop: Header=BB270_13 Depth=1
	s_delay_alu instid0(VALU_DEP_3) | instskip(NEXT) | instid1(VALU_DEP_1)
	v_clz_i32_u32_e32 v77, v77
	v_min_u32_e32 v79, 32, v77
	s_delay_alu instid0(VALU_DEP_1) | instskip(NEXT) | instid1(VALU_DEP_1)
	v_subrev_nc_u32_e32 v77, 28, v79
	v_lshlrev_b64_e32 v[77:78], v77, v[7:8]
	v_sub_nc_u32_e32 v78, 29, v79
	s_delay_alu instid0(VALU_DEP_2)
	v_and_b32_e32 v77, 7, v77
; %bb.735:                              ;   in Loop: Header=BB270_13 Depth=1
	s_wait_alu 0xfffe
	s_or_b32 exec_lo, exec_lo, s23
	v_lshlrev_b32_e32 v7, 8, v76
	v_lshl_add_u32 v76, v78, 10, 0x2000
	s_delay_alu instid0(VALU_DEP_1) | instskip(SKIP_1) | instid1(VALU_DEP_1)
	v_and_or_b32 v7, 0x8000, v7, v76
	v_lshlrev_b32_e32 v76, 23, v77
	v_lshl_or_b32 v156, v7, 16, v76
.LBB270_736:                            ;   in Loop: Header=BB270_13 Depth=1
	s_wait_alu 0xfffe
	s_or_b32 exec_lo, exec_lo, s22
.LBB270_737:                            ;   in Loop: Header=BB270_13 Depth=1
	s_wait_alu 0xfffe
	s_or_b32 exec_lo, exec_lo, s21
.LBB270_738:                            ;   in Loop: Header=BB270_13 Depth=1
	s_wait_alu 0xfffe
	s_or_b32 exec_lo, exec_lo, s20
	v_lshrrev_b32_e32 v7, 16, v9
	v_mov_b32_e32 v170, 0
	s_mov_b32 s20, exec_lo
	s_delay_alu instid0(VALU_DEP_2) | instskip(NEXT) | instid1(VALU_DEP_1)
	v_dual_mov_b32 v171, 0 :: v_dual_and_b32 v76, 0xff, v7
	v_cmpx_ne_u16_e32 0, v76
	s_cbranch_execz .LBB270_746
; %bb.739:                              ;   in Loop: Header=BB270_13 Depth=1
	v_mov_b32_e32 v171, 0x8000
	s_mov_b32 s21, exec_lo
	v_cmpx_ne_u16_e32 0x80, v76
	s_cbranch_execz .LBB270_745
; %bb.740:                              ;   in Loop: Header=BB270_13 Depth=1
	v_bfe_u32 v78, v9, 16, 7
	v_mov_b32_e32 v171, 0x7c01
	s_mov_b32 s22, exec_lo
	s_delay_alu instid0(VALU_DEP_2)
	v_cmpx_ne_u32_e32 0x7f, v78
	s_cbranch_execz .LBB270_744
; %bb.741:                              ;   in Loop: Header=BB270_13 Depth=1
	v_and_b32_e32 v76, 7, v7
	v_lshrrev_b32_e32 v77, 3, v78
	s_mov_b32 s23, exec_lo
	v_cmpx_gt_u32_e32 8, v78
; %bb.742:                              ;   in Loop: Header=BB270_13 Depth=1
	s_delay_alu instid0(VALU_DEP_3) | instskip(NEXT) | instid1(VALU_DEP_1)
	v_clz_i32_u32_e32 v76, v76
	v_min_u32_e32 v78, 32, v76
	s_delay_alu instid0(VALU_DEP_1) | instskip(NEXT) | instid1(VALU_DEP_1)
	v_subrev_nc_u32_e32 v76, 28, v78
	v_lshlrev_b64_e32 v[76:77], v76, v[7:8]
	v_sub_nc_u32_e32 v77, 29, v78
	s_delay_alu instid0(VALU_DEP_2)
	v_and_b32_e32 v76, 7, v76
; %bb.743:                              ;   in Loop: Header=BB270_13 Depth=1
	s_wait_alu 0xfffe
	s_or_b32 exec_lo, exec_lo, s23
	v_lshlrev_b32_e32 v7, 8, v7
	v_lshl_add_u32 v77, v77, 10, 0x2000
	v_lshlrev_b32_e32 v76, 7, v76
	s_delay_alu instid0(VALU_DEP_3) | instskip(NEXT) | instid1(VALU_DEP_3)
	v_and_b32_e32 v7, 0x8000, v7
	v_and_b32_e32 v77, 0xfc00, v77
	s_delay_alu instid0(VALU_DEP_1)
	v_or3_b32 v171, v7, v77, v76
.LBB270_744:                            ;   in Loop: Header=BB270_13 Depth=1
	s_wait_alu 0xfffe
	s_or_b32 exec_lo, exec_lo, s22
.LBB270_745:                            ;   in Loop: Header=BB270_13 Depth=1
	s_wait_alu 0xfffe
	s_or_b32 exec_lo, exec_lo, s21
.LBB270_746:                            ;   in Loop: Header=BB270_13 Depth=1
	s_wait_alu 0xfffe
	s_or_b32 exec_lo, exec_lo, s20
	s_delay_alu instid0(SALU_CYCLE_1)
	s_mov_b32 s20, exec_lo
	v_cmpx_lt_u32_e32 0xffffff, v9
	s_cbranch_execz .LBB270_754
; %bb.747:                              ;   in Loop: Header=BB270_13 Depth=1
	v_lshrrev_b32_e32 v7, 24, v9
	v_bfrev_b32_e32 v170, 1
	s_mov_b32 s21, exec_lo
	s_delay_alu instid0(VALU_DEP_2)
	v_cmpx_ne_u32_e32 0x80, v7
	s_cbranch_execz .LBB270_753
; %bb.748:                              ;   in Loop: Header=BB270_13 Depth=1
	v_and_b32_e32 v77, 0x7f, v7
	v_mov_b32_e32 v170, 0x7c010000
	s_mov_b32 s22, exec_lo
	s_delay_alu instid0(VALU_DEP_2)
	v_cmpx_ne_u32_e32 0x7f, v77
	s_cbranch_execz .LBB270_752
; %bb.749:                              ;   in Loop: Header=BB270_13 Depth=1
	v_and_b32_e32 v9, 7, v7
	v_lshrrev_b32_e32 v76, 3, v77
	s_mov_b32 s23, exec_lo
	v_cmpx_gt_u32_e32 8, v77
; %bb.750:                              ;   in Loop: Header=BB270_13 Depth=1
	s_delay_alu instid0(VALU_DEP_3) | instskip(NEXT) | instid1(VALU_DEP_1)
	v_clz_i32_u32_e32 v9, v9
	v_min_u32_e32 v9, 32, v9
	s_delay_alu instid0(VALU_DEP_1) | instskip(NEXT) | instid1(VALU_DEP_1)
	v_subrev_nc_u32_e32 v76, 28, v9
	v_lshlrev_b64_e32 v[77:78], v76, v[7:8]
	v_sub_nc_u32_e32 v76, 29, v9
	s_delay_alu instid0(VALU_DEP_2)
	v_and_b32_e32 v9, 7, v77
; %bb.751:                              ;   in Loop: Header=BB270_13 Depth=1
	s_wait_alu 0xfffe
	s_or_b32 exec_lo, exec_lo, s23
	v_lshlrev_b32_e32 v7, 8, v7
	v_lshl_add_u32 v76, v76, 10, 0x2000
	v_lshlrev_b32_e32 v9, 23, v9
	s_delay_alu instid0(VALU_DEP_2) | instskip(NEXT) | instid1(VALU_DEP_1)
	v_and_or_b32 v7, 0x8000, v7, v76
	v_lshl_or_b32 v170, v7, 16, v9
.LBB270_752:                            ;   in Loop: Header=BB270_13 Depth=1
	s_wait_alu 0xfffe
	s_or_b32 exec_lo, exec_lo, s22
.LBB270_753:                            ;   in Loop: Header=BB270_13 Depth=1
	s_wait_alu 0xfffe
	s_or_b32 exec_lo, exec_lo, s21
.LBB270_754:                            ;   in Loop: Header=BB270_13 Depth=1
	s_wait_alu 0xfffe
	s_or_b32 exec_lo, exec_lo, s20
	flat_load_b32 v9, v[28:29] offset:2824
	v_mov_b32_e32 v143, 0
	s_mov_b32 s20, exec_lo
	s_wait_loadcnt_dscnt 0x0
	v_dual_mov_b32 v142, 0 :: v_dual_and_b32 v7, 0xff, v9
	s_delay_alu instid0(VALU_DEP_1)
	v_cmpx_ne_u16_e32 0, v7
	s_cbranch_execz .LBB270_762
; %bb.755:                              ;   in Loop: Header=BB270_13 Depth=1
	v_mov_b32_e32 v143, 0x8000
	s_mov_b32 s21, exec_lo
	v_cmpx_ne_u16_e32 0x80, v7
	s_cbranch_execz .LBB270_761
; %bb.756:                              ;   in Loop: Header=BB270_13 Depth=1
	v_and_b32_e32 v77, 0x7f, v9
	v_mov_b32_e32 v143, 0x7c01
	s_mov_b32 s22, exec_lo
	s_delay_alu instid0(VALU_DEP_2)
	v_cmpx_ne_u32_e32 0x7f, v77
	s_cbranch_execz .LBB270_760
; %bb.757:                              ;   in Loop: Header=BB270_13 Depth=1
	v_and_b32_e32 v7, 7, v9
	v_lshrrev_b32_e32 v76, 3, v77
	s_mov_b32 s23, exec_lo
	v_cmpx_gt_u32_e32 8, v77
; %bb.758:                              ;   in Loop: Header=BB270_13 Depth=1
	s_delay_alu instid0(VALU_DEP_3) | instskip(NEXT) | instid1(VALU_DEP_1)
	v_clz_i32_u32_e32 v7, v7
	v_min_u32_e32 v7, 32, v7
	s_delay_alu instid0(VALU_DEP_1) | instskip(NEXT) | instid1(VALU_DEP_1)
	v_subrev_nc_u32_e32 v76, 28, v7
	v_lshlrev_b64_e32 v[77:78], v76, v[9:10]
	v_sub_nc_u32_e32 v76, 29, v7
	s_delay_alu instid0(VALU_DEP_2)
	v_and_b32_e32 v7, 7, v77
; %bb.759:                              ;   in Loop: Header=BB270_13 Depth=1
	s_wait_alu 0xfffe
	s_or_b32 exec_lo, exec_lo, s23
	v_lshlrev_b32_e32 v77, 8, v9
	v_lshl_add_u32 v76, v76, 10, 0x2000
	v_lshlrev_b32_e32 v7, 7, v7
	s_delay_alu instid0(VALU_DEP_3) | instskip(NEXT) | instid1(VALU_DEP_3)
	v_and_b32_e32 v77, 0x8000, v77
	v_and_b32_e32 v76, 0xfc00, v76
	s_delay_alu instid0(VALU_DEP_1)
	v_or3_b32 v143, v77, v76, v7
.LBB270_760:                            ;   in Loop: Header=BB270_13 Depth=1
	s_wait_alu 0xfffe
	s_or_b32 exec_lo, exec_lo, s22
.LBB270_761:                            ;   in Loop: Header=BB270_13 Depth=1
	s_wait_alu 0xfffe
	s_or_b32 exec_lo, exec_lo, s21
.LBB270_762:                            ;   in Loop: Header=BB270_13 Depth=1
	s_wait_alu 0xfffe
	s_or_b32 exec_lo, exec_lo, s20
	v_lshrrev_b16 v7, 8, v9
	s_mov_b32 s20, exec_lo
	s_delay_alu instid0(VALU_DEP_1)
	v_cmpx_ne_u16_e32 0, v7
	s_cbranch_execz .LBB270_770
; %bb.763:                              ;   in Loop: Header=BB270_13 Depth=1
	v_bfrev_b32_e32 v142, 1
	s_mov_b32 s21, exec_lo
	v_cmpx_ne_u16_e32 0x80, v7
	s_cbranch_execz .LBB270_769
; %bb.764:                              ;   in Loop: Header=BB270_13 Depth=1
	v_and_b32_e32 v76, 0xffff, v7
	v_mov_b32_e32 v142, 0x7c010000
	s_mov_b32 s22, exec_lo
	s_delay_alu instid0(VALU_DEP_2) | instskip(NEXT) | instid1(VALU_DEP_1)
	v_and_b32_e32 v79, 0x7f, v76
	v_cmpx_ne_u32_e32 0x7f, v79
	s_cbranch_execz .LBB270_768
; %bb.765:                              ;   in Loop: Header=BB270_13 Depth=1
	v_and_b32_e32 v77, 7, v76
	v_lshrrev_b32_e32 v78, 3, v79
	s_mov_b32 s23, exec_lo
	v_cmpx_gt_u32_e32 8, v79
; %bb.766:                              ;   in Loop: Header=BB270_13 Depth=1
	s_delay_alu instid0(VALU_DEP_3) | instskip(NEXT) | instid1(VALU_DEP_1)
	v_clz_i32_u32_e32 v77, v77
	v_min_u32_e32 v79, 32, v77
	s_delay_alu instid0(VALU_DEP_1) | instskip(NEXT) | instid1(VALU_DEP_1)
	v_subrev_nc_u32_e32 v77, 28, v79
	v_lshlrev_b64_e32 v[77:78], v77, v[7:8]
	v_sub_nc_u32_e32 v78, 29, v79
	s_delay_alu instid0(VALU_DEP_2)
	v_and_b32_e32 v77, 7, v77
; %bb.767:                              ;   in Loop: Header=BB270_13 Depth=1
	s_wait_alu 0xfffe
	s_or_b32 exec_lo, exec_lo, s23
	v_lshlrev_b32_e32 v7, 8, v76
	v_lshl_add_u32 v76, v78, 10, 0x2000
	s_delay_alu instid0(VALU_DEP_1) | instskip(SKIP_1) | instid1(VALU_DEP_1)
	v_and_or_b32 v7, 0x8000, v7, v76
	v_lshlrev_b32_e32 v76, 23, v77
	v_lshl_or_b32 v142, v7, 16, v76
.LBB270_768:                            ;   in Loop: Header=BB270_13 Depth=1
	s_wait_alu 0xfffe
	s_or_b32 exec_lo, exec_lo, s22
.LBB270_769:                            ;   in Loop: Header=BB270_13 Depth=1
	s_wait_alu 0xfffe
	s_or_b32 exec_lo, exec_lo, s21
.LBB270_770:                            ;   in Loop: Header=BB270_13 Depth=1
	s_wait_alu 0xfffe
	s_or_b32 exec_lo, exec_lo, s20
	v_lshrrev_b32_e32 v7, 16, v9
	v_mov_b32_e32 v158, 0
	s_mov_b32 s20, exec_lo
	s_delay_alu instid0(VALU_DEP_2) | instskip(NEXT) | instid1(VALU_DEP_1)
	v_dual_mov_b32 v159, 0 :: v_dual_and_b32 v76, 0xff, v7
	v_cmpx_ne_u16_e32 0, v76
	s_cbranch_execz .LBB270_778
; %bb.771:                              ;   in Loop: Header=BB270_13 Depth=1
	v_mov_b32_e32 v159, 0x8000
	s_mov_b32 s21, exec_lo
	v_cmpx_ne_u16_e32 0x80, v76
	s_cbranch_execz .LBB270_777
; %bb.772:                              ;   in Loop: Header=BB270_13 Depth=1
	v_bfe_u32 v78, v9, 16, 7
	v_mov_b32_e32 v159, 0x7c01
	s_mov_b32 s22, exec_lo
	s_delay_alu instid0(VALU_DEP_2)
	v_cmpx_ne_u32_e32 0x7f, v78
	s_cbranch_execz .LBB270_776
; %bb.773:                              ;   in Loop: Header=BB270_13 Depth=1
	v_and_b32_e32 v76, 7, v7
	v_lshrrev_b32_e32 v77, 3, v78
	s_mov_b32 s23, exec_lo
	v_cmpx_gt_u32_e32 8, v78
; %bb.774:                              ;   in Loop: Header=BB270_13 Depth=1
	s_delay_alu instid0(VALU_DEP_3) | instskip(NEXT) | instid1(VALU_DEP_1)
	v_clz_i32_u32_e32 v76, v76
	v_min_u32_e32 v78, 32, v76
	s_delay_alu instid0(VALU_DEP_1) | instskip(NEXT) | instid1(VALU_DEP_1)
	v_subrev_nc_u32_e32 v76, 28, v78
	v_lshlrev_b64_e32 v[76:77], v76, v[7:8]
	v_sub_nc_u32_e32 v77, 29, v78
	s_delay_alu instid0(VALU_DEP_2)
	v_and_b32_e32 v76, 7, v76
; %bb.775:                              ;   in Loop: Header=BB270_13 Depth=1
	s_wait_alu 0xfffe
	s_or_b32 exec_lo, exec_lo, s23
	v_lshlrev_b32_e32 v7, 8, v7
	v_lshl_add_u32 v77, v77, 10, 0x2000
	v_lshlrev_b32_e32 v76, 7, v76
	s_delay_alu instid0(VALU_DEP_3) | instskip(NEXT) | instid1(VALU_DEP_3)
	v_and_b32_e32 v7, 0x8000, v7
	v_and_b32_e32 v77, 0xfc00, v77
	s_delay_alu instid0(VALU_DEP_1)
	v_or3_b32 v159, v7, v77, v76
.LBB270_776:                            ;   in Loop: Header=BB270_13 Depth=1
	s_wait_alu 0xfffe
	s_or_b32 exec_lo, exec_lo, s22
.LBB270_777:                            ;   in Loop: Header=BB270_13 Depth=1
	s_wait_alu 0xfffe
	s_or_b32 exec_lo, exec_lo, s21
.LBB270_778:                            ;   in Loop: Header=BB270_13 Depth=1
	s_wait_alu 0xfffe
	s_or_b32 exec_lo, exec_lo, s20
	s_delay_alu instid0(SALU_CYCLE_1)
	s_mov_b32 s20, exec_lo
	v_cmpx_lt_u32_e32 0xffffff, v9
	s_cbranch_execz .LBB270_786
; %bb.779:                              ;   in Loop: Header=BB270_13 Depth=1
	v_lshrrev_b32_e32 v7, 24, v9
	v_bfrev_b32_e32 v158, 1
	s_mov_b32 s21, exec_lo
	s_delay_alu instid0(VALU_DEP_2)
	v_cmpx_ne_u32_e32 0x80, v7
	s_cbranch_execz .LBB270_785
; %bb.780:                              ;   in Loop: Header=BB270_13 Depth=1
	v_and_b32_e32 v77, 0x7f, v7
	v_mov_b32_e32 v158, 0x7c010000
	s_mov_b32 s22, exec_lo
	s_delay_alu instid0(VALU_DEP_2)
	v_cmpx_ne_u32_e32 0x7f, v77
	s_cbranch_execz .LBB270_784
; %bb.781:                              ;   in Loop: Header=BB270_13 Depth=1
	v_and_b32_e32 v9, 7, v7
	v_lshrrev_b32_e32 v76, 3, v77
	s_mov_b32 s23, exec_lo
	v_cmpx_gt_u32_e32 8, v77
; %bb.782:                              ;   in Loop: Header=BB270_13 Depth=1
	s_delay_alu instid0(VALU_DEP_3) | instskip(NEXT) | instid1(VALU_DEP_1)
	v_clz_i32_u32_e32 v9, v9
	v_min_u32_e32 v9, 32, v9
	s_delay_alu instid0(VALU_DEP_1) | instskip(NEXT) | instid1(VALU_DEP_1)
	v_subrev_nc_u32_e32 v76, 28, v9
	v_lshlrev_b64_e32 v[77:78], v76, v[7:8]
	v_sub_nc_u32_e32 v76, 29, v9
	s_delay_alu instid0(VALU_DEP_2)
	v_and_b32_e32 v9, 7, v77
; %bb.783:                              ;   in Loop: Header=BB270_13 Depth=1
	s_wait_alu 0xfffe
	s_or_b32 exec_lo, exec_lo, s23
	v_lshlrev_b32_e32 v7, 8, v7
	v_lshl_add_u32 v76, v76, 10, 0x2000
	v_lshlrev_b32_e32 v9, 23, v9
	s_delay_alu instid0(VALU_DEP_2) | instskip(NEXT) | instid1(VALU_DEP_1)
	v_and_or_b32 v7, 0x8000, v7, v76
	v_lshl_or_b32 v158, v7, 16, v9
.LBB270_784:                            ;   in Loop: Header=BB270_13 Depth=1
	s_wait_alu 0xfffe
	s_or_b32 exec_lo, exec_lo, s22
.LBB270_785:                            ;   in Loop: Header=BB270_13 Depth=1
	s_wait_alu 0xfffe
	s_or_b32 exec_lo, exec_lo, s21
.LBB270_786:                            ;   in Loop: Header=BB270_13 Depth=1
	s_wait_alu 0xfffe
	s_or_b32 exec_lo, exec_lo, s20
	flat_load_b32 v9, v[28:29] offset:3072
	v_mov_b32_e32 v137, 0
	s_mov_b32 s20, exec_lo
	s_wait_loadcnt_dscnt 0x0
	v_dual_mov_b32 v136, 0 :: v_dual_and_b32 v7, 0xff, v9
	s_delay_alu instid0(VALU_DEP_1)
	v_cmpx_ne_u16_e32 0, v7
	s_cbranch_execz .LBB270_794
; %bb.787:                              ;   in Loop: Header=BB270_13 Depth=1
	v_mov_b32_e32 v137, 0x8000
	s_mov_b32 s21, exec_lo
	v_cmpx_ne_u16_e32 0x80, v7
	s_cbranch_execz .LBB270_793
; %bb.788:                              ;   in Loop: Header=BB270_13 Depth=1
	v_and_b32_e32 v77, 0x7f, v9
	v_mov_b32_e32 v137, 0x7c01
	s_mov_b32 s22, exec_lo
	s_delay_alu instid0(VALU_DEP_2)
	v_cmpx_ne_u32_e32 0x7f, v77
	s_cbranch_execz .LBB270_792
; %bb.789:                              ;   in Loop: Header=BB270_13 Depth=1
	v_and_b32_e32 v7, 7, v9
	v_lshrrev_b32_e32 v76, 3, v77
	s_mov_b32 s23, exec_lo
	v_cmpx_gt_u32_e32 8, v77
; %bb.790:                              ;   in Loop: Header=BB270_13 Depth=1
	s_delay_alu instid0(VALU_DEP_3) | instskip(NEXT) | instid1(VALU_DEP_1)
	v_clz_i32_u32_e32 v7, v7
	v_min_u32_e32 v7, 32, v7
	s_delay_alu instid0(VALU_DEP_1) | instskip(NEXT) | instid1(VALU_DEP_1)
	v_subrev_nc_u32_e32 v76, 28, v7
	v_lshlrev_b64_e32 v[77:78], v76, v[9:10]
	v_sub_nc_u32_e32 v76, 29, v7
	s_delay_alu instid0(VALU_DEP_2)
	v_and_b32_e32 v7, 7, v77
; %bb.791:                              ;   in Loop: Header=BB270_13 Depth=1
	s_wait_alu 0xfffe
	s_or_b32 exec_lo, exec_lo, s23
	v_lshlrev_b32_e32 v77, 8, v9
	v_lshl_add_u32 v76, v76, 10, 0x2000
	v_lshlrev_b32_e32 v7, 7, v7
	s_delay_alu instid0(VALU_DEP_3) | instskip(NEXT) | instid1(VALU_DEP_3)
	v_and_b32_e32 v77, 0x8000, v77
	v_and_b32_e32 v76, 0xfc00, v76
	s_delay_alu instid0(VALU_DEP_1)
	v_or3_b32 v137, v77, v76, v7
.LBB270_792:                            ;   in Loop: Header=BB270_13 Depth=1
	s_wait_alu 0xfffe
	s_or_b32 exec_lo, exec_lo, s22
.LBB270_793:                            ;   in Loop: Header=BB270_13 Depth=1
	s_wait_alu 0xfffe
	s_or_b32 exec_lo, exec_lo, s21
.LBB270_794:                            ;   in Loop: Header=BB270_13 Depth=1
	s_wait_alu 0xfffe
	s_or_b32 exec_lo, exec_lo, s20
	v_lshrrev_b16 v7, 8, v9
	s_mov_b32 s20, exec_lo
	s_delay_alu instid0(VALU_DEP_1)
	v_cmpx_ne_u16_e32 0, v7
	s_cbranch_execz .LBB270_802
; %bb.795:                              ;   in Loop: Header=BB270_13 Depth=1
	v_bfrev_b32_e32 v136, 1
	s_mov_b32 s21, exec_lo
	v_cmpx_ne_u16_e32 0x80, v7
	s_cbranch_execz .LBB270_801
; %bb.796:                              ;   in Loop: Header=BB270_13 Depth=1
	v_and_b32_e32 v76, 0xffff, v7
	v_mov_b32_e32 v136, 0x7c010000
	s_mov_b32 s22, exec_lo
	s_delay_alu instid0(VALU_DEP_2) | instskip(NEXT) | instid1(VALU_DEP_1)
	v_and_b32_e32 v79, 0x7f, v76
	v_cmpx_ne_u32_e32 0x7f, v79
	s_cbranch_execz .LBB270_800
; %bb.797:                              ;   in Loop: Header=BB270_13 Depth=1
	v_and_b32_e32 v77, 7, v76
	v_lshrrev_b32_e32 v78, 3, v79
	s_mov_b32 s23, exec_lo
	v_cmpx_gt_u32_e32 8, v79
; %bb.798:                              ;   in Loop: Header=BB270_13 Depth=1
	s_delay_alu instid0(VALU_DEP_3) | instskip(NEXT) | instid1(VALU_DEP_1)
	v_clz_i32_u32_e32 v77, v77
	v_min_u32_e32 v79, 32, v77
	s_delay_alu instid0(VALU_DEP_1) | instskip(NEXT) | instid1(VALU_DEP_1)
	v_subrev_nc_u32_e32 v77, 28, v79
	v_lshlrev_b64_e32 v[77:78], v77, v[7:8]
	v_sub_nc_u32_e32 v78, 29, v79
	s_delay_alu instid0(VALU_DEP_2)
	v_and_b32_e32 v77, 7, v77
; %bb.799:                              ;   in Loop: Header=BB270_13 Depth=1
	s_wait_alu 0xfffe
	s_or_b32 exec_lo, exec_lo, s23
	v_lshlrev_b32_e32 v7, 8, v76
	v_lshl_add_u32 v76, v78, 10, 0x2000
	s_delay_alu instid0(VALU_DEP_1) | instskip(SKIP_1) | instid1(VALU_DEP_1)
	v_and_or_b32 v7, 0x8000, v7, v76
	v_lshlrev_b32_e32 v76, 23, v77
	v_lshl_or_b32 v136, v7, 16, v76
.LBB270_800:                            ;   in Loop: Header=BB270_13 Depth=1
	s_wait_alu 0xfffe
	s_or_b32 exec_lo, exec_lo, s22
.LBB270_801:                            ;   in Loop: Header=BB270_13 Depth=1
	s_wait_alu 0xfffe
	s_or_b32 exec_lo, exec_lo, s21
.LBB270_802:                            ;   in Loop: Header=BB270_13 Depth=1
	s_wait_alu 0xfffe
	s_or_b32 exec_lo, exec_lo, s20
	v_lshrrev_b32_e32 v7, 16, v9
	v_mov_b32_e32 v152, 0
	s_mov_b32 s20, exec_lo
	s_delay_alu instid0(VALU_DEP_2) | instskip(NEXT) | instid1(VALU_DEP_1)
	v_dual_mov_b32 v153, 0 :: v_dual_and_b32 v76, 0xff, v7
	v_cmpx_ne_u16_e32 0, v76
	s_cbranch_execz .LBB270_810
; %bb.803:                              ;   in Loop: Header=BB270_13 Depth=1
	v_mov_b32_e32 v153, 0x8000
	s_mov_b32 s21, exec_lo
	v_cmpx_ne_u16_e32 0x80, v76
	s_cbranch_execz .LBB270_809
; %bb.804:                              ;   in Loop: Header=BB270_13 Depth=1
	v_bfe_u32 v78, v9, 16, 7
	v_mov_b32_e32 v153, 0x7c01
	s_mov_b32 s22, exec_lo
	s_delay_alu instid0(VALU_DEP_2)
	v_cmpx_ne_u32_e32 0x7f, v78
	s_cbranch_execz .LBB270_808
; %bb.805:                              ;   in Loop: Header=BB270_13 Depth=1
	v_and_b32_e32 v76, 7, v7
	v_lshrrev_b32_e32 v77, 3, v78
	s_mov_b32 s23, exec_lo
	v_cmpx_gt_u32_e32 8, v78
; %bb.806:                              ;   in Loop: Header=BB270_13 Depth=1
	s_delay_alu instid0(VALU_DEP_3) | instskip(NEXT) | instid1(VALU_DEP_1)
	v_clz_i32_u32_e32 v76, v76
	v_min_u32_e32 v78, 32, v76
	s_delay_alu instid0(VALU_DEP_1) | instskip(NEXT) | instid1(VALU_DEP_1)
	v_subrev_nc_u32_e32 v76, 28, v78
	v_lshlrev_b64_e32 v[76:77], v76, v[7:8]
	v_sub_nc_u32_e32 v77, 29, v78
	s_delay_alu instid0(VALU_DEP_2)
	v_and_b32_e32 v76, 7, v76
; %bb.807:                              ;   in Loop: Header=BB270_13 Depth=1
	s_wait_alu 0xfffe
	s_or_b32 exec_lo, exec_lo, s23
	v_lshlrev_b32_e32 v7, 8, v7
	v_lshl_add_u32 v77, v77, 10, 0x2000
	v_lshlrev_b32_e32 v76, 7, v76
	s_delay_alu instid0(VALU_DEP_3) | instskip(NEXT) | instid1(VALU_DEP_3)
	v_and_b32_e32 v7, 0x8000, v7
	v_and_b32_e32 v77, 0xfc00, v77
	s_delay_alu instid0(VALU_DEP_1)
	v_or3_b32 v153, v7, v77, v76
.LBB270_808:                            ;   in Loop: Header=BB270_13 Depth=1
	s_wait_alu 0xfffe
	s_or_b32 exec_lo, exec_lo, s22
.LBB270_809:                            ;   in Loop: Header=BB270_13 Depth=1
	s_wait_alu 0xfffe
	s_or_b32 exec_lo, exec_lo, s21
.LBB270_810:                            ;   in Loop: Header=BB270_13 Depth=1
	s_wait_alu 0xfffe
	s_or_b32 exec_lo, exec_lo, s20
	s_delay_alu instid0(SALU_CYCLE_1)
	s_mov_b32 s20, exec_lo
	v_cmpx_lt_u32_e32 0xffffff, v9
	s_cbranch_execz .LBB270_818
; %bb.811:                              ;   in Loop: Header=BB270_13 Depth=1
	v_lshrrev_b32_e32 v7, 24, v9
	v_bfrev_b32_e32 v152, 1
	s_mov_b32 s21, exec_lo
	s_delay_alu instid0(VALU_DEP_2)
	v_cmpx_ne_u32_e32 0x80, v7
	s_cbranch_execz .LBB270_817
; %bb.812:                              ;   in Loop: Header=BB270_13 Depth=1
	v_and_b32_e32 v77, 0x7f, v7
	v_mov_b32_e32 v152, 0x7c010000
	s_mov_b32 s22, exec_lo
	s_delay_alu instid0(VALU_DEP_2)
	v_cmpx_ne_u32_e32 0x7f, v77
	s_cbranch_execz .LBB270_816
; %bb.813:                              ;   in Loop: Header=BB270_13 Depth=1
	v_and_b32_e32 v9, 7, v7
	v_lshrrev_b32_e32 v76, 3, v77
	s_mov_b32 s23, exec_lo
	v_cmpx_gt_u32_e32 8, v77
; %bb.814:                              ;   in Loop: Header=BB270_13 Depth=1
	s_delay_alu instid0(VALU_DEP_3) | instskip(NEXT) | instid1(VALU_DEP_1)
	v_clz_i32_u32_e32 v9, v9
	v_min_u32_e32 v9, 32, v9
	s_delay_alu instid0(VALU_DEP_1) | instskip(NEXT) | instid1(VALU_DEP_1)
	v_subrev_nc_u32_e32 v76, 28, v9
	v_lshlrev_b64_e32 v[77:78], v76, v[7:8]
	v_sub_nc_u32_e32 v76, 29, v9
	s_delay_alu instid0(VALU_DEP_2)
	v_and_b32_e32 v9, 7, v77
; %bb.815:                              ;   in Loop: Header=BB270_13 Depth=1
	s_wait_alu 0xfffe
	s_or_b32 exec_lo, exec_lo, s23
	v_lshlrev_b32_e32 v7, 8, v7
	v_lshl_add_u32 v76, v76, 10, 0x2000
	v_lshlrev_b32_e32 v9, 23, v9
	s_delay_alu instid0(VALU_DEP_2) | instskip(NEXT) | instid1(VALU_DEP_1)
	v_and_or_b32 v7, 0x8000, v7, v76
	v_lshl_or_b32 v152, v7, 16, v9
.LBB270_816:                            ;   in Loop: Header=BB270_13 Depth=1
	s_wait_alu 0xfffe
	s_or_b32 exec_lo, exec_lo, s22
.LBB270_817:                            ;   in Loop: Header=BB270_13 Depth=1
	s_wait_alu 0xfffe
	s_or_b32 exec_lo, exec_lo, s21
.LBB270_818:                            ;   in Loop: Header=BB270_13 Depth=1
	s_wait_alu 0xfffe
	s_or_b32 exec_lo, exec_lo, s20
	flat_load_b32 v9, v[28:29] offset:3080
	v_mov_b32_e32 v124, 0
	s_mov_b32 s20, exec_lo
	s_wait_loadcnt_dscnt 0x0
	v_dual_mov_b32 v122, 0 :: v_dual_and_b32 v7, 0xff, v9
	s_delay_alu instid0(VALU_DEP_1)
	v_cmpx_ne_u16_e32 0, v7
	s_cbranch_execz .LBB270_826
; %bb.819:                              ;   in Loop: Header=BB270_13 Depth=1
	v_mov_b32_e32 v124, 0x8000
	s_mov_b32 s21, exec_lo
	v_cmpx_ne_u16_e32 0x80, v7
	s_cbranch_execz .LBB270_825
; %bb.820:                              ;   in Loop: Header=BB270_13 Depth=1
	v_and_b32_e32 v77, 0x7f, v9
	v_mov_b32_e32 v124, 0x7c01
	s_mov_b32 s22, exec_lo
	s_delay_alu instid0(VALU_DEP_2)
	v_cmpx_ne_u32_e32 0x7f, v77
	s_cbranch_execz .LBB270_824
; %bb.821:                              ;   in Loop: Header=BB270_13 Depth=1
	v_and_b32_e32 v7, 7, v9
	v_lshrrev_b32_e32 v76, 3, v77
	s_mov_b32 s23, exec_lo
	v_cmpx_gt_u32_e32 8, v77
; %bb.822:                              ;   in Loop: Header=BB270_13 Depth=1
	s_delay_alu instid0(VALU_DEP_3) | instskip(NEXT) | instid1(VALU_DEP_1)
	v_clz_i32_u32_e32 v7, v7
	v_min_u32_e32 v7, 32, v7
	s_delay_alu instid0(VALU_DEP_1) | instskip(NEXT) | instid1(VALU_DEP_1)
	v_subrev_nc_u32_e32 v76, 28, v7
	v_lshlrev_b64_e32 v[77:78], v76, v[9:10]
	v_sub_nc_u32_e32 v76, 29, v7
	s_delay_alu instid0(VALU_DEP_2)
	v_and_b32_e32 v7, 7, v77
; %bb.823:                              ;   in Loop: Header=BB270_13 Depth=1
	s_wait_alu 0xfffe
	s_or_b32 exec_lo, exec_lo, s23
	v_lshlrev_b32_e32 v77, 8, v9
	v_lshl_add_u32 v76, v76, 10, 0x2000
	v_lshlrev_b32_e32 v7, 7, v7
	s_delay_alu instid0(VALU_DEP_3) | instskip(NEXT) | instid1(VALU_DEP_3)
	v_and_b32_e32 v77, 0x8000, v77
	v_and_b32_e32 v76, 0xfc00, v76
	s_delay_alu instid0(VALU_DEP_1)
	v_or3_b32 v124, v77, v76, v7
.LBB270_824:                            ;   in Loop: Header=BB270_13 Depth=1
	s_wait_alu 0xfffe
	s_or_b32 exec_lo, exec_lo, s22
.LBB270_825:                            ;   in Loop: Header=BB270_13 Depth=1
	s_wait_alu 0xfffe
	s_or_b32 exec_lo, exec_lo, s21
.LBB270_826:                            ;   in Loop: Header=BB270_13 Depth=1
	s_wait_alu 0xfffe
	s_or_b32 exec_lo, exec_lo, s20
	v_lshrrev_b16 v7, 8, v9
	s_mov_b32 s20, exec_lo
	s_delay_alu instid0(VALU_DEP_1)
	v_cmpx_ne_u16_e32 0, v7
	s_cbranch_execz .LBB270_834
; %bb.827:                              ;   in Loop: Header=BB270_13 Depth=1
	v_bfrev_b32_e32 v122, 1
	s_mov_b32 s21, exec_lo
	v_cmpx_ne_u16_e32 0x80, v7
	s_cbranch_execz .LBB270_833
; %bb.828:                              ;   in Loop: Header=BB270_13 Depth=1
	v_and_b32_e32 v76, 0xffff, v7
	v_mov_b32_e32 v122, 0x7c010000
	s_mov_b32 s22, exec_lo
	s_delay_alu instid0(VALU_DEP_2) | instskip(NEXT) | instid1(VALU_DEP_1)
	v_and_b32_e32 v79, 0x7f, v76
	v_cmpx_ne_u32_e32 0x7f, v79
	s_cbranch_execz .LBB270_832
; %bb.829:                              ;   in Loop: Header=BB270_13 Depth=1
	v_and_b32_e32 v77, 7, v76
	v_lshrrev_b32_e32 v78, 3, v79
	s_mov_b32 s23, exec_lo
	v_cmpx_gt_u32_e32 8, v79
; %bb.830:                              ;   in Loop: Header=BB270_13 Depth=1
	s_delay_alu instid0(VALU_DEP_3) | instskip(NEXT) | instid1(VALU_DEP_1)
	v_clz_i32_u32_e32 v77, v77
	v_min_u32_e32 v79, 32, v77
	s_delay_alu instid0(VALU_DEP_1) | instskip(NEXT) | instid1(VALU_DEP_1)
	v_subrev_nc_u32_e32 v77, 28, v79
	v_lshlrev_b64_e32 v[77:78], v77, v[7:8]
	v_sub_nc_u32_e32 v78, 29, v79
	s_delay_alu instid0(VALU_DEP_2)
	v_and_b32_e32 v77, 7, v77
; %bb.831:                              ;   in Loop: Header=BB270_13 Depth=1
	s_wait_alu 0xfffe
	s_or_b32 exec_lo, exec_lo, s23
	v_lshlrev_b32_e32 v7, 8, v76
	v_lshl_add_u32 v76, v78, 10, 0x2000
	s_delay_alu instid0(VALU_DEP_1) | instskip(SKIP_1) | instid1(VALU_DEP_1)
	v_and_or_b32 v7, 0x8000, v7, v76
	v_lshlrev_b32_e32 v76, 23, v77
	v_lshl_or_b32 v122, v7, 16, v76
.LBB270_832:                            ;   in Loop: Header=BB270_13 Depth=1
	s_wait_alu 0xfffe
	s_or_b32 exec_lo, exec_lo, s22
.LBB270_833:                            ;   in Loop: Header=BB270_13 Depth=1
	s_wait_alu 0xfffe
	s_or_b32 exec_lo, exec_lo, s21
.LBB270_834:                            ;   in Loop: Header=BB270_13 Depth=1
	s_wait_alu 0xfffe
	s_or_b32 exec_lo, exec_lo, s20
	v_lshrrev_b32_e32 v7, 16, v9
	v_mov_b32_e32 v140, 0
	s_mov_b32 s20, exec_lo
	s_delay_alu instid0(VALU_DEP_2) | instskip(NEXT) | instid1(VALU_DEP_1)
	v_dual_mov_b32 v141, 0 :: v_dual_and_b32 v76, 0xff, v7
	v_cmpx_ne_u16_e32 0, v76
	s_cbranch_execz .LBB270_842
; %bb.835:                              ;   in Loop: Header=BB270_13 Depth=1
	v_mov_b32_e32 v141, 0x8000
	s_mov_b32 s21, exec_lo
	v_cmpx_ne_u16_e32 0x80, v76
	s_cbranch_execz .LBB270_841
; %bb.836:                              ;   in Loop: Header=BB270_13 Depth=1
	v_bfe_u32 v78, v9, 16, 7
	v_mov_b32_e32 v141, 0x7c01
	s_mov_b32 s22, exec_lo
	s_delay_alu instid0(VALU_DEP_2)
	v_cmpx_ne_u32_e32 0x7f, v78
	s_cbranch_execz .LBB270_840
; %bb.837:                              ;   in Loop: Header=BB270_13 Depth=1
	v_and_b32_e32 v76, 7, v7
	v_lshrrev_b32_e32 v77, 3, v78
	s_mov_b32 s23, exec_lo
	v_cmpx_gt_u32_e32 8, v78
; %bb.838:                              ;   in Loop: Header=BB270_13 Depth=1
	s_delay_alu instid0(VALU_DEP_3) | instskip(NEXT) | instid1(VALU_DEP_1)
	v_clz_i32_u32_e32 v76, v76
	v_min_u32_e32 v78, 32, v76
	s_delay_alu instid0(VALU_DEP_1) | instskip(NEXT) | instid1(VALU_DEP_1)
	v_subrev_nc_u32_e32 v76, 28, v78
	v_lshlrev_b64_e32 v[76:77], v76, v[7:8]
	v_sub_nc_u32_e32 v77, 29, v78
	s_delay_alu instid0(VALU_DEP_2)
	v_and_b32_e32 v76, 7, v76
; %bb.839:                              ;   in Loop: Header=BB270_13 Depth=1
	s_wait_alu 0xfffe
	s_or_b32 exec_lo, exec_lo, s23
	v_lshlrev_b32_e32 v7, 8, v7
	v_lshl_add_u32 v77, v77, 10, 0x2000
	v_lshlrev_b32_e32 v76, 7, v76
	s_delay_alu instid0(VALU_DEP_3) | instskip(NEXT) | instid1(VALU_DEP_3)
	v_and_b32_e32 v7, 0x8000, v7
	v_and_b32_e32 v77, 0xfc00, v77
	s_delay_alu instid0(VALU_DEP_1)
	v_or3_b32 v141, v7, v77, v76
.LBB270_840:                            ;   in Loop: Header=BB270_13 Depth=1
	s_wait_alu 0xfffe
	s_or_b32 exec_lo, exec_lo, s22
.LBB270_841:                            ;   in Loop: Header=BB270_13 Depth=1
	s_wait_alu 0xfffe
	s_or_b32 exec_lo, exec_lo, s21
.LBB270_842:                            ;   in Loop: Header=BB270_13 Depth=1
	s_wait_alu 0xfffe
	s_or_b32 exec_lo, exec_lo, s20
	s_delay_alu instid0(SALU_CYCLE_1)
	s_mov_b32 s20, exec_lo
	v_cmpx_lt_u32_e32 0xffffff, v9
	s_cbranch_execz .LBB270_850
; %bb.843:                              ;   in Loop: Header=BB270_13 Depth=1
	v_lshrrev_b32_e32 v7, 24, v9
	v_bfrev_b32_e32 v140, 1
	s_mov_b32 s21, exec_lo
	s_delay_alu instid0(VALU_DEP_2)
	v_cmpx_ne_u32_e32 0x80, v7
	s_cbranch_execz .LBB270_849
; %bb.844:                              ;   in Loop: Header=BB270_13 Depth=1
	v_and_b32_e32 v77, 0x7f, v7
	v_mov_b32_e32 v140, 0x7c010000
	s_mov_b32 s22, exec_lo
	s_delay_alu instid0(VALU_DEP_2)
	v_cmpx_ne_u32_e32 0x7f, v77
	s_cbranch_execz .LBB270_848
; %bb.845:                              ;   in Loop: Header=BB270_13 Depth=1
	v_and_b32_e32 v9, 7, v7
	v_lshrrev_b32_e32 v76, 3, v77
	s_mov_b32 s23, exec_lo
	v_cmpx_gt_u32_e32 8, v77
; %bb.846:                              ;   in Loop: Header=BB270_13 Depth=1
	s_delay_alu instid0(VALU_DEP_3) | instskip(NEXT) | instid1(VALU_DEP_1)
	v_clz_i32_u32_e32 v9, v9
	v_min_u32_e32 v9, 32, v9
	s_delay_alu instid0(VALU_DEP_1) | instskip(NEXT) | instid1(VALU_DEP_1)
	v_subrev_nc_u32_e32 v76, 28, v9
	v_lshlrev_b64_e32 v[77:78], v76, v[7:8]
	v_sub_nc_u32_e32 v76, 29, v9
	s_delay_alu instid0(VALU_DEP_2)
	v_and_b32_e32 v9, 7, v77
; %bb.847:                              ;   in Loop: Header=BB270_13 Depth=1
	s_wait_alu 0xfffe
	s_or_b32 exec_lo, exec_lo, s23
	v_lshlrev_b32_e32 v7, 8, v7
	v_lshl_add_u32 v76, v76, 10, 0x2000
	v_lshlrev_b32_e32 v9, 23, v9
	s_delay_alu instid0(VALU_DEP_2) | instskip(NEXT) | instid1(VALU_DEP_1)
	v_and_or_b32 v7, 0x8000, v7, v76
	v_lshl_or_b32 v140, v7, 16, v9
.LBB270_848:                            ;   in Loop: Header=BB270_13 Depth=1
	s_wait_alu 0xfffe
	s_or_b32 exec_lo, exec_lo, s22
.LBB270_849:                            ;   in Loop: Header=BB270_13 Depth=1
	s_wait_alu 0xfffe
	s_or_b32 exec_lo, exec_lo, s21
.LBB270_850:                            ;   in Loop: Header=BB270_13 Depth=1
	s_wait_alu 0xfffe
	s_or_b32 exec_lo, exec_lo, s20
	flat_load_b32 v9, v[28:29] offset:3328
	v_mov_b32_e32 v111, 0
	s_mov_b32 s20, exec_lo
	s_wait_loadcnt_dscnt 0x0
	v_dual_mov_b32 v110, 0 :: v_dual_and_b32 v7, 0xff, v9
	s_delay_alu instid0(VALU_DEP_1)
	v_cmpx_ne_u16_e32 0, v7
	s_cbranch_execz .LBB270_858
; %bb.851:                              ;   in Loop: Header=BB270_13 Depth=1
	v_mov_b32_e32 v111, 0x8000
	s_mov_b32 s21, exec_lo
	v_cmpx_ne_u16_e32 0x80, v7
	s_cbranch_execz .LBB270_857
; %bb.852:                              ;   in Loop: Header=BB270_13 Depth=1
	v_and_b32_e32 v77, 0x7f, v9
	v_mov_b32_e32 v111, 0x7c01
	s_mov_b32 s22, exec_lo
	s_delay_alu instid0(VALU_DEP_2)
	v_cmpx_ne_u32_e32 0x7f, v77
	s_cbranch_execz .LBB270_856
; %bb.853:                              ;   in Loop: Header=BB270_13 Depth=1
	v_and_b32_e32 v7, 7, v9
	v_lshrrev_b32_e32 v76, 3, v77
	s_mov_b32 s23, exec_lo
	v_cmpx_gt_u32_e32 8, v77
; %bb.854:                              ;   in Loop: Header=BB270_13 Depth=1
	s_delay_alu instid0(VALU_DEP_3) | instskip(NEXT) | instid1(VALU_DEP_1)
	v_clz_i32_u32_e32 v7, v7
	v_min_u32_e32 v7, 32, v7
	s_delay_alu instid0(VALU_DEP_1) | instskip(NEXT) | instid1(VALU_DEP_1)
	v_subrev_nc_u32_e32 v76, 28, v7
	v_lshlrev_b64_e32 v[77:78], v76, v[9:10]
	v_sub_nc_u32_e32 v76, 29, v7
	s_delay_alu instid0(VALU_DEP_2)
	v_and_b32_e32 v7, 7, v77
; %bb.855:                              ;   in Loop: Header=BB270_13 Depth=1
	s_wait_alu 0xfffe
	s_or_b32 exec_lo, exec_lo, s23
	v_lshlrev_b32_e32 v77, 8, v9
	v_lshl_add_u32 v76, v76, 10, 0x2000
	v_lshlrev_b32_e32 v7, 7, v7
	s_delay_alu instid0(VALU_DEP_3) | instskip(NEXT) | instid1(VALU_DEP_3)
	v_and_b32_e32 v77, 0x8000, v77
	v_and_b32_e32 v76, 0xfc00, v76
	s_delay_alu instid0(VALU_DEP_1)
	v_or3_b32 v111, v77, v76, v7
.LBB270_856:                            ;   in Loop: Header=BB270_13 Depth=1
	s_wait_alu 0xfffe
	s_or_b32 exec_lo, exec_lo, s22
.LBB270_857:                            ;   in Loop: Header=BB270_13 Depth=1
	s_wait_alu 0xfffe
	s_or_b32 exec_lo, exec_lo, s21
.LBB270_858:                            ;   in Loop: Header=BB270_13 Depth=1
	s_wait_alu 0xfffe
	s_or_b32 exec_lo, exec_lo, s20
	v_lshrrev_b16 v7, 8, v9
	s_mov_b32 s20, exec_lo
	s_delay_alu instid0(VALU_DEP_1)
	v_cmpx_ne_u16_e32 0, v7
	s_cbranch_execz .LBB270_866
; %bb.859:                              ;   in Loop: Header=BB270_13 Depth=1
	v_bfrev_b32_e32 v110, 1
	s_mov_b32 s21, exec_lo
	v_cmpx_ne_u16_e32 0x80, v7
	s_cbranch_execz .LBB270_865
; %bb.860:                              ;   in Loop: Header=BB270_13 Depth=1
	v_and_b32_e32 v76, 0xffff, v7
	v_mov_b32_e32 v110, 0x7c010000
	s_mov_b32 s22, exec_lo
	s_delay_alu instid0(VALU_DEP_2) | instskip(NEXT) | instid1(VALU_DEP_1)
	v_and_b32_e32 v79, 0x7f, v76
	v_cmpx_ne_u32_e32 0x7f, v79
	s_cbranch_execz .LBB270_864
; %bb.861:                              ;   in Loop: Header=BB270_13 Depth=1
	v_and_b32_e32 v77, 7, v76
	v_lshrrev_b32_e32 v78, 3, v79
	s_mov_b32 s23, exec_lo
	v_cmpx_gt_u32_e32 8, v79
; %bb.862:                              ;   in Loop: Header=BB270_13 Depth=1
	s_delay_alu instid0(VALU_DEP_3) | instskip(NEXT) | instid1(VALU_DEP_1)
	v_clz_i32_u32_e32 v77, v77
	v_min_u32_e32 v79, 32, v77
	s_delay_alu instid0(VALU_DEP_1) | instskip(NEXT) | instid1(VALU_DEP_1)
	v_subrev_nc_u32_e32 v77, 28, v79
	v_lshlrev_b64_e32 v[77:78], v77, v[7:8]
	v_sub_nc_u32_e32 v78, 29, v79
	s_delay_alu instid0(VALU_DEP_2)
	v_and_b32_e32 v77, 7, v77
; %bb.863:                              ;   in Loop: Header=BB270_13 Depth=1
	s_wait_alu 0xfffe
	s_or_b32 exec_lo, exec_lo, s23
	v_lshlrev_b32_e32 v7, 8, v76
	v_lshl_add_u32 v76, v78, 10, 0x2000
	s_delay_alu instid0(VALU_DEP_1) | instskip(SKIP_1) | instid1(VALU_DEP_1)
	v_and_or_b32 v7, 0x8000, v7, v76
	v_lshlrev_b32_e32 v76, 23, v77
	v_lshl_or_b32 v110, v7, 16, v76
.LBB270_864:                            ;   in Loop: Header=BB270_13 Depth=1
	s_wait_alu 0xfffe
	s_or_b32 exec_lo, exec_lo, s22
.LBB270_865:                            ;   in Loop: Header=BB270_13 Depth=1
	s_wait_alu 0xfffe
	s_or_b32 exec_lo, exec_lo, s21
.LBB270_866:                            ;   in Loop: Header=BB270_13 Depth=1
	s_wait_alu 0xfffe
	s_or_b32 exec_lo, exec_lo, s20
	v_lshrrev_b32_e32 v7, 16, v9
	v_mov_b32_e32 v126, 0
	s_mov_b32 s20, exec_lo
	s_delay_alu instid0(VALU_DEP_2) | instskip(NEXT) | instid1(VALU_DEP_1)
	v_dual_mov_b32 v127, 0 :: v_dual_and_b32 v76, 0xff, v7
	v_cmpx_ne_u16_e32 0, v76
	s_cbranch_execz .LBB270_874
; %bb.867:                              ;   in Loop: Header=BB270_13 Depth=1
	v_mov_b32_e32 v127, 0x8000
	s_mov_b32 s21, exec_lo
	v_cmpx_ne_u16_e32 0x80, v76
	s_cbranch_execz .LBB270_873
; %bb.868:                              ;   in Loop: Header=BB270_13 Depth=1
	v_bfe_u32 v78, v9, 16, 7
	v_mov_b32_e32 v127, 0x7c01
	s_mov_b32 s22, exec_lo
	s_delay_alu instid0(VALU_DEP_2)
	v_cmpx_ne_u32_e32 0x7f, v78
	s_cbranch_execz .LBB270_872
; %bb.869:                              ;   in Loop: Header=BB270_13 Depth=1
	v_and_b32_e32 v76, 7, v7
	v_lshrrev_b32_e32 v77, 3, v78
	s_mov_b32 s23, exec_lo
	v_cmpx_gt_u32_e32 8, v78
; %bb.870:                              ;   in Loop: Header=BB270_13 Depth=1
	s_delay_alu instid0(VALU_DEP_3) | instskip(NEXT) | instid1(VALU_DEP_1)
	v_clz_i32_u32_e32 v76, v76
	v_min_u32_e32 v78, 32, v76
	s_delay_alu instid0(VALU_DEP_1) | instskip(NEXT) | instid1(VALU_DEP_1)
	v_subrev_nc_u32_e32 v76, 28, v78
	v_lshlrev_b64_e32 v[76:77], v76, v[7:8]
	v_sub_nc_u32_e32 v77, 29, v78
	s_delay_alu instid0(VALU_DEP_2)
	v_and_b32_e32 v76, 7, v76
; %bb.871:                              ;   in Loop: Header=BB270_13 Depth=1
	s_wait_alu 0xfffe
	s_or_b32 exec_lo, exec_lo, s23
	v_lshlrev_b32_e32 v7, 8, v7
	v_lshl_add_u32 v77, v77, 10, 0x2000
	v_lshlrev_b32_e32 v76, 7, v76
	s_delay_alu instid0(VALU_DEP_3) | instskip(NEXT) | instid1(VALU_DEP_3)
	v_and_b32_e32 v7, 0x8000, v7
	v_and_b32_e32 v77, 0xfc00, v77
	s_delay_alu instid0(VALU_DEP_1)
	v_or3_b32 v127, v7, v77, v76
.LBB270_872:                            ;   in Loop: Header=BB270_13 Depth=1
	s_wait_alu 0xfffe
	s_or_b32 exec_lo, exec_lo, s22
.LBB270_873:                            ;   in Loop: Header=BB270_13 Depth=1
	s_wait_alu 0xfffe
	s_or_b32 exec_lo, exec_lo, s21
.LBB270_874:                            ;   in Loop: Header=BB270_13 Depth=1
	s_wait_alu 0xfffe
	s_or_b32 exec_lo, exec_lo, s20
	s_delay_alu instid0(SALU_CYCLE_1)
	s_mov_b32 s20, exec_lo
	v_cmpx_lt_u32_e32 0xffffff, v9
	s_cbranch_execz .LBB270_882
; %bb.875:                              ;   in Loop: Header=BB270_13 Depth=1
	v_lshrrev_b32_e32 v7, 24, v9
	v_bfrev_b32_e32 v126, 1
	s_mov_b32 s21, exec_lo
	s_delay_alu instid0(VALU_DEP_2)
	v_cmpx_ne_u32_e32 0x80, v7
	s_cbranch_execz .LBB270_881
; %bb.876:                              ;   in Loop: Header=BB270_13 Depth=1
	v_and_b32_e32 v77, 0x7f, v7
	v_mov_b32_e32 v126, 0x7c010000
	s_mov_b32 s22, exec_lo
	s_delay_alu instid0(VALU_DEP_2)
	v_cmpx_ne_u32_e32 0x7f, v77
	s_cbranch_execz .LBB270_880
; %bb.877:                              ;   in Loop: Header=BB270_13 Depth=1
	v_and_b32_e32 v9, 7, v7
	v_lshrrev_b32_e32 v76, 3, v77
	s_mov_b32 s23, exec_lo
	v_cmpx_gt_u32_e32 8, v77
; %bb.878:                              ;   in Loop: Header=BB270_13 Depth=1
	s_delay_alu instid0(VALU_DEP_3) | instskip(NEXT) | instid1(VALU_DEP_1)
	v_clz_i32_u32_e32 v9, v9
	v_min_u32_e32 v9, 32, v9
	s_delay_alu instid0(VALU_DEP_1) | instskip(NEXT) | instid1(VALU_DEP_1)
	v_subrev_nc_u32_e32 v76, 28, v9
	v_lshlrev_b64_e32 v[77:78], v76, v[7:8]
	v_sub_nc_u32_e32 v76, 29, v9
	s_delay_alu instid0(VALU_DEP_2)
	v_and_b32_e32 v9, 7, v77
; %bb.879:                              ;   in Loop: Header=BB270_13 Depth=1
	s_wait_alu 0xfffe
	s_or_b32 exec_lo, exec_lo, s23
	v_lshlrev_b32_e32 v7, 8, v7
	v_lshl_add_u32 v76, v76, 10, 0x2000
	v_lshlrev_b32_e32 v9, 23, v9
	s_delay_alu instid0(VALU_DEP_2) | instskip(NEXT) | instid1(VALU_DEP_1)
	v_and_or_b32 v7, 0x8000, v7, v76
	v_lshl_or_b32 v126, v7, 16, v9
.LBB270_880:                            ;   in Loop: Header=BB270_13 Depth=1
	s_wait_alu 0xfffe
	s_or_b32 exec_lo, exec_lo, s22
.LBB270_881:                            ;   in Loop: Header=BB270_13 Depth=1
	s_wait_alu 0xfffe
	s_or_b32 exec_lo, exec_lo, s21
.LBB270_882:                            ;   in Loop: Header=BB270_13 Depth=1
	s_wait_alu 0xfffe
	s_or_b32 exec_lo, exec_lo, s20
	flat_load_b32 v9, v[28:29] offset:3336
	v_mov_b32_e32 v105, 0
	s_mov_b32 s20, exec_lo
	s_wait_loadcnt_dscnt 0x0
	v_dual_mov_b32 v104, 0 :: v_dual_and_b32 v7, 0xff, v9
	s_delay_alu instid0(VALU_DEP_1)
	v_cmpx_ne_u16_e32 0, v7
	s_cbranch_execz .LBB270_890
; %bb.883:                              ;   in Loop: Header=BB270_13 Depth=1
	v_mov_b32_e32 v105, 0x8000
	s_mov_b32 s21, exec_lo
	v_cmpx_ne_u16_e32 0x80, v7
	s_cbranch_execz .LBB270_889
; %bb.884:                              ;   in Loop: Header=BB270_13 Depth=1
	v_and_b32_e32 v77, 0x7f, v9
	v_mov_b32_e32 v105, 0x7c01
	s_mov_b32 s22, exec_lo
	s_delay_alu instid0(VALU_DEP_2)
	v_cmpx_ne_u32_e32 0x7f, v77
	s_cbranch_execz .LBB270_888
; %bb.885:                              ;   in Loop: Header=BB270_13 Depth=1
	v_and_b32_e32 v7, 7, v9
	v_lshrrev_b32_e32 v76, 3, v77
	s_mov_b32 s23, exec_lo
	v_cmpx_gt_u32_e32 8, v77
; %bb.886:                              ;   in Loop: Header=BB270_13 Depth=1
	s_delay_alu instid0(VALU_DEP_3) | instskip(NEXT) | instid1(VALU_DEP_1)
	v_clz_i32_u32_e32 v7, v7
	v_min_u32_e32 v7, 32, v7
	s_delay_alu instid0(VALU_DEP_1) | instskip(NEXT) | instid1(VALU_DEP_1)
	v_subrev_nc_u32_e32 v76, 28, v7
	v_lshlrev_b64_e32 v[77:78], v76, v[9:10]
	v_sub_nc_u32_e32 v76, 29, v7
	s_delay_alu instid0(VALU_DEP_2)
	v_and_b32_e32 v7, 7, v77
; %bb.887:                              ;   in Loop: Header=BB270_13 Depth=1
	s_wait_alu 0xfffe
	s_or_b32 exec_lo, exec_lo, s23
	v_lshlrev_b32_e32 v77, 8, v9
	v_lshl_add_u32 v76, v76, 10, 0x2000
	v_lshlrev_b32_e32 v7, 7, v7
	s_delay_alu instid0(VALU_DEP_3) | instskip(NEXT) | instid1(VALU_DEP_3)
	v_and_b32_e32 v77, 0x8000, v77
	v_and_b32_e32 v76, 0xfc00, v76
	s_delay_alu instid0(VALU_DEP_1)
	v_or3_b32 v105, v77, v76, v7
.LBB270_888:                            ;   in Loop: Header=BB270_13 Depth=1
	s_wait_alu 0xfffe
	s_or_b32 exec_lo, exec_lo, s22
.LBB270_889:                            ;   in Loop: Header=BB270_13 Depth=1
	s_wait_alu 0xfffe
	s_or_b32 exec_lo, exec_lo, s21
.LBB270_890:                            ;   in Loop: Header=BB270_13 Depth=1
	s_wait_alu 0xfffe
	s_or_b32 exec_lo, exec_lo, s20
	v_lshrrev_b16 v7, 8, v9
	s_mov_b32 s20, exec_lo
	s_delay_alu instid0(VALU_DEP_1)
	v_cmpx_ne_u16_e32 0, v7
	s_cbranch_execz .LBB270_898
; %bb.891:                              ;   in Loop: Header=BB270_13 Depth=1
	v_bfrev_b32_e32 v104, 1
	s_mov_b32 s21, exec_lo
	v_cmpx_ne_u16_e32 0x80, v7
	s_cbranch_execz .LBB270_897
; %bb.892:                              ;   in Loop: Header=BB270_13 Depth=1
	v_and_b32_e32 v76, 0xffff, v7
	v_mov_b32_e32 v104, 0x7c010000
	s_mov_b32 s22, exec_lo
	s_delay_alu instid0(VALU_DEP_2) | instskip(NEXT) | instid1(VALU_DEP_1)
	v_and_b32_e32 v79, 0x7f, v76
	v_cmpx_ne_u32_e32 0x7f, v79
	s_cbranch_execz .LBB270_896
; %bb.893:                              ;   in Loop: Header=BB270_13 Depth=1
	v_and_b32_e32 v77, 7, v76
	v_lshrrev_b32_e32 v78, 3, v79
	s_mov_b32 s23, exec_lo
	v_cmpx_gt_u32_e32 8, v79
; %bb.894:                              ;   in Loop: Header=BB270_13 Depth=1
	s_delay_alu instid0(VALU_DEP_3) | instskip(NEXT) | instid1(VALU_DEP_1)
	v_clz_i32_u32_e32 v77, v77
	v_min_u32_e32 v79, 32, v77
	s_delay_alu instid0(VALU_DEP_1) | instskip(NEXT) | instid1(VALU_DEP_1)
	v_subrev_nc_u32_e32 v77, 28, v79
	v_lshlrev_b64_e32 v[77:78], v77, v[7:8]
	v_sub_nc_u32_e32 v78, 29, v79
	s_delay_alu instid0(VALU_DEP_2)
	v_and_b32_e32 v77, 7, v77
; %bb.895:                              ;   in Loop: Header=BB270_13 Depth=1
	s_wait_alu 0xfffe
	s_or_b32 exec_lo, exec_lo, s23
	v_lshlrev_b32_e32 v7, 8, v76
	v_lshl_add_u32 v76, v78, 10, 0x2000
	s_delay_alu instid0(VALU_DEP_1) | instskip(SKIP_1) | instid1(VALU_DEP_1)
	v_and_or_b32 v7, 0x8000, v7, v76
	v_lshlrev_b32_e32 v76, 23, v77
	v_lshl_or_b32 v104, v7, 16, v76
.LBB270_896:                            ;   in Loop: Header=BB270_13 Depth=1
	s_wait_alu 0xfffe
	s_or_b32 exec_lo, exec_lo, s22
.LBB270_897:                            ;   in Loop: Header=BB270_13 Depth=1
	s_wait_alu 0xfffe
	s_or_b32 exec_lo, exec_lo, s21
.LBB270_898:                            ;   in Loop: Header=BB270_13 Depth=1
	s_wait_alu 0xfffe
	s_or_b32 exec_lo, exec_lo, s20
	v_lshrrev_b32_e32 v7, 16, v9
	v_mov_b32_e32 v120, 0
	s_mov_b32 s20, exec_lo
	s_delay_alu instid0(VALU_DEP_2) | instskip(NEXT) | instid1(VALU_DEP_1)
	v_dual_mov_b32 v121, 0 :: v_dual_and_b32 v76, 0xff, v7
	v_cmpx_ne_u16_e32 0, v76
	s_cbranch_execz .LBB270_906
; %bb.899:                              ;   in Loop: Header=BB270_13 Depth=1
	v_mov_b32_e32 v121, 0x8000
	s_mov_b32 s21, exec_lo
	v_cmpx_ne_u16_e32 0x80, v76
	s_cbranch_execz .LBB270_905
; %bb.900:                              ;   in Loop: Header=BB270_13 Depth=1
	v_bfe_u32 v78, v9, 16, 7
	v_mov_b32_e32 v121, 0x7c01
	s_mov_b32 s22, exec_lo
	s_delay_alu instid0(VALU_DEP_2)
	v_cmpx_ne_u32_e32 0x7f, v78
	s_cbranch_execz .LBB270_904
; %bb.901:                              ;   in Loop: Header=BB270_13 Depth=1
	v_and_b32_e32 v76, 7, v7
	v_lshrrev_b32_e32 v77, 3, v78
	s_mov_b32 s23, exec_lo
	v_cmpx_gt_u32_e32 8, v78
; %bb.902:                              ;   in Loop: Header=BB270_13 Depth=1
	s_delay_alu instid0(VALU_DEP_3) | instskip(NEXT) | instid1(VALU_DEP_1)
	v_clz_i32_u32_e32 v76, v76
	v_min_u32_e32 v78, 32, v76
	s_delay_alu instid0(VALU_DEP_1) | instskip(NEXT) | instid1(VALU_DEP_1)
	v_subrev_nc_u32_e32 v76, 28, v78
	v_lshlrev_b64_e32 v[76:77], v76, v[7:8]
	v_sub_nc_u32_e32 v77, 29, v78
	s_delay_alu instid0(VALU_DEP_2)
	v_and_b32_e32 v76, 7, v76
; %bb.903:                              ;   in Loop: Header=BB270_13 Depth=1
	s_wait_alu 0xfffe
	s_or_b32 exec_lo, exec_lo, s23
	v_lshlrev_b32_e32 v7, 8, v7
	v_lshl_add_u32 v77, v77, 10, 0x2000
	v_lshlrev_b32_e32 v76, 7, v76
	s_delay_alu instid0(VALU_DEP_3) | instskip(NEXT) | instid1(VALU_DEP_3)
	v_and_b32_e32 v7, 0x8000, v7
	v_and_b32_e32 v77, 0xfc00, v77
	s_delay_alu instid0(VALU_DEP_1)
	v_or3_b32 v121, v7, v77, v76
.LBB270_904:                            ;   in Loop: Header=BB270_13 Depth=1
	s_wait_alu 0xfffe
	s_or_b32 exec_lo, exec_lo, s22
.LBB270_905:                            ;   in Loop: Header=BB270_13 Depth=1
	s_wait_alu 0xfffe
	s_or_b32 exec_lo, exec_lo, s21
.LBB270_906:                            ;   in Loop: Header=BB270_13 Depth=1
	s_wait_alu 0xfffe
	s_or_b32 exec_lo, exec_lo, s20
	s_delay_alu instid0(SALU_CYCLE_1)
	s_mov_b32 s20, exec_lo
	v_cmpx_lt_u32_e32 0xffffff, v9
	s_cbranch_execz .LBB270_914
; %bb.907:                              ;   in Loop: Header=BB270_13 Depth=1
	v_lshrrev_b32_e32 v7, 24, v9
	v_bfrev_b32_e32 v120, 1
	s_mov_b32 s21, exec_lo
	s_delay_alu instid0(VALU_DEP_2)
	v_cmpx_ne_u32_e32 0x80, v7
	s_cbranch_execz .LBB270_913
; %bb.908:                              ;   in Loop: Header=BB270_13 Depth=1
	v_and_b32_e32 v77, 0x7f, v7
	v_mov_b32_e32 v120, 0x7c010000
	s_mov_b32 s22, exec_lo
	s_delay_alu instid0(VALU_DEP_2)
	v_cmpx_ne_u32_e32 0x7f, v77
	s_cbranch_execz .LBB270_912
; %bb.909:                              ;   in Loop: Header=BB270_13 Depth=1
	v_and_b32_e32 v9, 7, v7
	v_lshrrev_b32_e32 v76, 3, v77
	s_mov_b32 s23, exec_lo
	v_cmpx_gt_u32_e32 8, v77
; %bb.910:                              ;   in Loop: Header=BB270_13 Depth=1
	s_delay_alu instid0(VALU_DEP_3) | instskip(NEXT) | instid1(VALU_DEP_1)
	v_clz_i32_u32_e32 v9, v9
	v_min_u32_e32 v9, 32, v9
	s_delay_alu instid0(VALU_DEP_1) | instskip(NEXT) | instid1(VALU_DEP_1)
	v_subrev_nc_u32_e32 v76, 28, v9
	v_lshlrev_b64_e32 v[77:78], v76, v[7:8]
	v_sub_nc_u32_e32 v76, 29, v9
	s_delay_alu instid0(VALU_DEP_2)
	v_and_b32_e32 v9, 7, v77
; %bb.911:                              ;   in Loop: Header=BB270_13 Depth=1
	s_wait_alu 0xfffe
	s_or_b32 exec_lo, exec_lo, s23
	v_lshlrev_b32_e32 v7, 8, v7
	v_lshl_add_u32 v76, v76, 10, 0x2000
	v_lshlrev_b32_e32 v9, 23, v9
	s_delay_alu instid0(VALU_DEP_2) | instskip(NEXT) | instid1(VALU_DEP_1)
	v_and_or_b32 v7, 0x8000, v7, v76
	v_lshl_or_b32 v120, v7, 16, v9
.LBB270_912:                            ;   in Loop: Header=BB270_13 Depth=1
	s_wait_alu 0xfffe
	s_or_b32 exec_lo, exec_lo, s22
.LBB270_913:                            ;   in Loop: Header=BB270_13 Depth=1
	s_wait_alu 0xfffe
	s_or_b32 exec_lo, exec_lo, s21
.LBB270_914:                            ;   in Loop: Header=BB270_13 Depth=1
	s_wait_alu 0xfffe
	s_or_b32 exec_lo, exec_lo, s20
	flat_load_b32 v9, v[28:29] offset:3584
	v_mov_b32_e32 v91, 0
	s_mov_b32 s20, exec_lo
	s_wait_loadcnt_dscnt 0x0
	v_dual_mov_b32 v90, 0 :: v_dual_and_b32 v7, 0xff, v9
	s_delay_alu instid0(VALU_DEP_1)
	v_cmpx_ne_u16_e32 0, v7
	s_cbranch_execz .LBB270_922
; %bb.915:                              ;   in Loop: Header=BB270_13 Depth=1
	v_mov_b32_e32 v91, 0x8000
	s_mov_b32 s21, exec_lo
	v_cmpx_ne_u16_e32 0x80, v7
	s_cbranch_execz .LBB270_921
; %bb.916:                              ;   in Loop: Header=BB270_13 Depth=1
	v_and_b32_e32 v77, 0x7f, v9
	v_mov_b32_e32 v91, 0x7c01
	s_mov_b32 s22, exec_lo
	s_delay_alu instid0(VALU_DEP_2)
	v_cmpx_ne_u32_e32 0x7f, v77
	s_cbranch_execz .LBB270_920
; %bb.917:                              ;   in Loop: Header=BB270_13 Depth=1
	v_and_b32_e32 v7, 7, v9
	v_lshrrev_b32_e32 v76, 3, v77
	s_mov_b32 s23, exec_lo
	v_cmpx_gt_u32_e32 8, v77
; %bb.918:                              ;   in Loop: Header=BB270_13 Depth=1
	s_delay_alu instid0(VALU_DEP_3) | instskip(NEXT) | instid1(VALU_DEP_1)
	v_clz_i32_u32_e32 v7, v7
	v_min_u32_e32 v7, 32, v7
	s_delay_alu instid0(VALU_DEP_1) | instskip(NEXT) | instid1(VALU_DEP_1)
	v_subrev_nc_u32_e32 v76, 28, v7
	v_lshlrev_b64_e32 v[77:78], v76, v[9:10]
	v_sub_nc_u32_e32 v76, 29, v7
	s_delay_alu instid0(VALU_DEP_2)
	v_and_b32_e32 v7, 7, v77
; %bb.919:                              ;   in Loop: Header=BB270_13 Depth=1
	s_wait_alu 0xfffe
	s_or_b32 exec_lo, exec_lo, s23
	v_lshlrev_b32_e32 v77, 8, v9
	v_lshl_add_u32 v76, v76, 10, 0x2000
	v_lshlrev_b32_e32 v7, 7, v7
	s_delay_alu instid0(VALU_DEP_3) | instskip(NEXT) | instid1(VALU_DEP_3)
	v_and_b32_e32 v77, 0x8000, v77
	v_and_b32_e32 v76, 0xfc00, v76
	s_delay_alu instid0(VALU_DEP_1)
	v_or3_b32 v91, v77, v76, v7
.LBB270_920:                            ;   in Loop: Header=BB270_13 Depth=1
	s_wait_alu 0xfffe
	s_or_b32 exec_lo, exec_lo, s22
.LBB270_921:                            ;   in Loop: Header=BB270_13 Depth=1
	s_wait_alu 0xfffe
	s_or_b32 exec_lo, exec_lo, s21
.LBB270_922:                            ;   in Loop: Header=BB270_13 Depth=1
	s_wait_alu 0xfffe
	s_or_b32 exec_lo, exec_lo, s20
	v_lshrrev_b16 v7, 8, v9
	s_mov_b32 s20, exec_lo
	s_delay_alu instid0(VALU_DEP_1)
	v_cmpx_ne_u16_e32 0, v7
	s_cbranch_execz .LBB270_930
; %bb.923:                              ;   in Loop: Header=BB270_13 Depth=1
	v_bfrev_b32_e32 v90, 1
	s_mov_b32 s21, exec_lo
	v_cmpx_ne_u16_e32 0x80, v7
	s_cbranch_execz .LBB270_929
; %bb.924:                              ;   in Loop: Header=BB270_13 Depth=1
	v_and_b32_e32 v76, 0xffff, v7
	v_mov_b32_e32 v90, 0x7c010000
	s_mov_b32 s22, exec_lo
	s_delay_alu instid0(VALU_DEP_2) | instskip(NEXT) | instid1(VALU_DEP_1)
	v_and_b32_e32 v79, 0x7f, v76
	v_cmpx_ne_u32_e32 0x7f, v79
	s_cbranch_execz .LBB270_928
; %bb.925:                              ;   in Loop: Header=BB270_13 Depth=1
	v_and_b32_e32 v77, 7, v76
	v_lshrrev_b32_e32 v78, 3, v79
	s_mov_b32 s23, exec_lo
	v_cmpx_gt_u32_e32 8, v79
; %bb.926:                              ;   in Loop: Header=BB270_13 Depth=1
	s_delay_alu instid0(VALU_DEP_3) | instskip(NEXT) | instid1(VALU_DEP_1)
	v_clz_i32_u32_e32 v77, v77
	v_min_u32_e32 v79, 32, v77
	s_delay_alu instid0(VALU_DEP_1) | instskip(NEXT) | instid1(VALU_DEP_1)
	v_subrev_nc_u32_e32 v77, 28, v79
	v_lshlrev_b64_e32 v[77:78], v77, v[7:8]
	v_sub_nc_u32_e32 v78, 29, v79
	s_delay_alu instid0(VALU_DEP_2)
	v_and_b32_e32 v77, 7, v77
; %bb.927:                              ;   in Loop: Header=BB270_13 Depth=1
	s_wait_alu 0xfffe
	s_or_b32 exec_lo, exec_lo, s23
	v_lshlrev_b32_e32 v7, 8, v76
	v_lshl_add_u32 v76, v78, 10, 0x2000
	s_delay_alu instid0(VALU_DEP_1) | instskip(SKIP_1) | instid1(VALU_DEP_1)
	v_and_or_b32 v7, 0x8000, v7, v76
	v_lshlrev_b32_e32 v76, 23, v77
	v_lshl_or_b32 v90, v7, 16, v76
.LBB270_928:                            ;   in Loop: Header=BB270_13 Depth=1
	s_wait_alu 0xfffe
	s_or_b32 exec_lo, exec_lo, s22
.LBB270_929:                            ;   in Loop: Header=BB270_13 Depth=1
	s_wait_alu 0xfffe
	s_or_b32 exec_lo, exec_lo, s21
.LBB270_930:                            ;   in Loop: Header=BB270_13 Depth=1
	s_wait_alu 0xfffe
	s_or_b32 exec_lo, exec_lo, s20
	v_lshrrev_b32_e32 v7, 16, v9
	v_mov_b32_e32 v106, 0
	s_mov_b32 s20, exec_lo
	s_delay_alu instid0(VALU_DEP_2) | instskip(NEXT) | instid1(VALU_DEP_1)
	v_dual_mov_b32 v107, 0 :: v_dual_and_b32 v76, 0xff, v7
	v_cmpx_ne_u16_e32 0, v76
	s_cbranch_execz .LBB270_938
; %bb.931:                              ;   in Loop: Header=BB270_13 Depth=1
	v_mov_b32_e32 v107, 0x8000
	s_mov_b32 s21, exec_lo
	v_cmpx_ne_u16_e32 0x80, v76
	s_cbranch_execz .LBB270_937
; %bb.932:                              ;   in Loop: Header=BB270_13 Depth=1
	v_bfe_u32 v78, v9, 16, 7
	v_mov_b32_e32 v107, 0x7c01
	s_mov_b32 s22, exec_lo
	s_delay_alu instid0(VALU_DEP_2)
	v_cmpx_ne_u32_e32 0x7f, v78
	s_cbranch_execz .LBB270_936
; %bb.933:                              ;   in Loop: Header=BB270_13 Depth=1
	v_and_b32_e32 v76, 7, v7
	v_lshrrev_b32_e32 v77, 3, v78
	s_mov_b32 s23, exec_lo
	v_cmpx_gt_u32_e32 8, v78
; %bb.934:                              ;   in Loop: Header=BB270_13 Depth=1
	s_delay_alu instid0(VALU_DEP_3) | instskip(NEXT) | instid1(VALU_DEP_1)
	v_clz_i32_u32_e32 v76, v76
	v_min_u32_e32 v78, 32, v76
	s_delay_alu instid0(VALU_DEP_1) | instskip(NEXT) | instid1(VALU_DEP_1)
	v_subrev_nc_u32_e32 v76, 28, v78
	v_lshlrev_b64_e32 v[76:77], v76, v[7:8]
	v_sub_nc_u32_e32 v77, 29, v78
	s_delay_alu instid0(VALU_DEP_2)
	v_and_b32_e32 v76, 7, v76
; %bb.935:                              ;   in Loop: Header=BB270_13 Depth=1
	s_wait_alu 0xfffe
	s_or_b32 exec_lo, exec_lo, s23
	v_lshlrev_b32_e32 v7, 8, v7
	v_lshl_add_u32 v77, v77, 10, 0x2000
	v_lshlrev_b32_e32 v76, 7, v76
	s_delay_alu instid0(VALU_DEP_3) | instskip(NEXT) | instid1(VALU_DEP_3)
	v_and_b32_e32 v7, 0x8000, v7
	v_and_b32_e32 v77, 0xfc00, v77
	s_delay_alu instid0(VALU_DEP_1)
	v_or3_b32 v107, v7, v77, v76
.LBB270_936:                            ;   in Loop: Header=BB270_13 Depth=1
	s_wait_alu 0xfffe
	s_or_b32 exec_lo, exec_lo, s22
.LBB270_937:                            ;   in Loop: Header=BB270_13 Depth=1
	s_wait_alu 0xfffe
	s_or_b32 exec_lo, exec_lo, s21
.LBB270_938:                            ;   in Loop: Header=BB270_13 Depth=1
	s_wait_alu 0xfffe
	s_or_b32 exec_lo, exec_lo, s20
	s_delay_alu instid0(SALU_CYCLE_1)
	s_mov_b32 s20, exec_lo
	v_cmpx_lt_u32_e32 0xffffff, v9
	s_cbranch_execz .LBB270_946
; %bb.939:                              ;   in Loop: Header=BB270_13 Depth=1
	v_lshrrev_b32_e32 v7, 24, v9
	v_bfrev_b32_e32 v106, 1
	s_mov_b32 s21, exec_lo
	s_delay_alu instid0(VALU_DEP_2)
	v_cmpx_ne_u32_e32 0x80, v7
	s_cbranch_execz .LBB270_945
; %bb.940:                              ;   in Loop: Header=BB270_13 Depth=1
	v_and_b32_e32 v77, 0x7f, v7
	v_mov_b32_e32 v106, 0x7c010000
	s_mov_b32 s22, exec_lo
	s_delay_alu instid0(VALU_DEP_2)
	v_cmpx_ne_u32_e32 0x7f, v77
	s_cbranch_execz .LBB270_944
; %bb.941:                              ;   in Loop: Header=BB270_13 Depth=1
	v_and_b32_e32 v9, 7, v7
	v_lshrrev_b32_e32 v76, 3, v77
	s_mov_b32 s23, exec_lo
	v_cmpx_gt_u32_e32 8, v77
; %bb.942:                              ;   in Loop: Header=BB270_13 Depth=1
	s_delay_alu instid0(VALU_DEP_3) | instskip(NEXT) | instid1(VALU_DEP_1)
	v_clz_i32_u32_e32 v9, v9
	v_min_u32_e32 v9, 32, v9
	s_delay_alu instid0(VALU_DEP_1) | instskip(NEXT) | instid1(VALU_DEP_1)
	v_subrev_nc_u32_e32 v76, 28, v9
	v_lshlrev_b64_e32 v[77:78], v76, v[7:8]
	v_sub_nc_u32_e32 v76, 29, v9
	s_delay_alu instid0(VALU_DEP_2)
	v_and_b32_e32 v9, 7, v77
; %bb.943:                              ;   in Loop: Header=BB270_13 Depth=1
	s_wait_alu 0xfffe
	s_or_b32 exec_lo, exec_lo, s23
	v_lshlrev_b32_e32 v7, 8, v7
	v_lshl_add_u32 v76, v76, 10, 0x2000
	v_lshlrev_b32_e32 v9, 23, v9
	s_delay_alu instid0(VALU_DEP_2) | instskip(NEXT) | instid1(VALU_DEP_1)
	v_and_or_b32 v7, 0x8000, v7, v76
	v_lshl_or_b32 v106, v7, 16, v9
.LBB270_944:                            ;   in Loop: Header=BB270_13 Depth=1
	s_wait_alu 0xfffe
	s_or_b32 exec_lo, exec_lo, s22
.LBB270_945:                            ;   in Loop: Header=BB270_13 Depth=1
	s_wait_alu 0xfffe
	s_or_b32 exec_lo, exec_lo, s21
.LBB270_946:                            ;   in Loop: Header=BB270_13 Depth=1
	s_wait_alu 0xfffe
	s_or_b32 exec_lo, exec_lo, s20
	flat_load_b32 v9, v[28:29] offset:3592
	v_mov_b32_e32 v77, 0
	s_mov_b32 s20, exec_lo
	s_wait_loadcnt_dscnt 0x0
	v_dual_mov_b32 v76, 0 :: v_dual_and_b32 v7, 0xff, v9
	s_delay_alu instid0(VALU_DEP_1)
	v_cmpx_ne_u16_e32 0, v7
	s_cbranch_execz .LBB270_954
; %bb.947:                              ;   in Loop: Header=BB270_13 Depth=1
	v_mov_b32_e32 v77, 0x8000
	s_mov_b32 s21, exec_lo
	v_cmpx_ne_u16_e32 0x80, v7
	s_cbranch_execz .LBB270_953
; %bb.948:                              ;   in Loop: Header=BB270_13 Depth=1
	v_and_b32_e32 v78, 0x7f, v9
	v_mov_b32_e32 v77, 0x7c01
	s_mov_b32 s22, exec_lo
	s_delay_alu instid0(VALU_DEP_2)
	v_cmpx_ne_u32_e32 0x7f, v78
	s_cbranch_execz .LBB270_952
; %bb.949:                              ;   in Loop: Header=BB270_13 Depth=1
	v_and_b32_e32 v7, 7, v9
	v_lshrrev_b32_e32 v77, 3, v78
	s_mov_b32 s23, exec_lo
	v_cmpx_gt_u32_e32 8, v78
; %bb.950:                              ;   in Loop: Header=BB270_13 Depth=1
	s_delay_alu instid0(VALU_DEP_3) | instskip(NEXT) | instid1(VALU_DEP_1)
	v_clz_i32_u32_e32 v7, v7
	v_min_u32_e32 v7, 32, v7
	s_delay_alu instid0(VALU_DEP_1) | instskip(NEXT) | instid1(VALU_DEP_1)
	v_subrev_nc_u32_e32 v77, 28, v7
	v_lshlrev_b64_e32 v[78:79], v77, v[9:10]
	v_sub_nc_u32_e32 v77, 29, v7
	s_delay_alu instid0(VALU_DEP_2)
	v_and_b32_e32 v7, 7, v78
; %bb.951:                              ;   in Loop: Header=BB270_13 Depth=1
	s_wait_alu 0xfffe
	s_or_b32 exec_lo, exec_lo, s23
	v_lshlrev_b32_e32 v78, 8, v9
	v_lshl_add_u32 v77, v77, 10, 0x2000
	v_lshlrev_b32_e32 v7, 7, v7
	s_delay_alu instid0(VALU_DEP_3) | instskip(NEXT) | instid1(VALU_DEP_3)
	v_and_b32_e32 v78, 0x8000, v78
	v_and_b32_e32 v77, 0xfc00, v77
	s_delay_alu instid0(VALU_DEP_1)
	v_or3_b32 v77, v78, v77, v7
.LBB270_952:                            ;   in Loop: Header=BB270_13 Depth=1
	s_wait_alu 0xfffe
	s_or_b32 exec_lo, exec_lo, s22
.LBB270_953:                            ;   in Loop: Header=BB270_13 Depth=1
	s_wait_alu 0xfffe
	s_or_b32 exec_lo, exec_lo, s21
.LBB270_954:                            ;   in Loop: Header=BB270_13 Depth=1
	s_wait_alu 0xfffe
	s_or_b32 exec_lo, exec_lo, s20
	v_lshrrev_b16 v7, 8, v9
	s_mov_b32 s20, exec_lo
	s_delay_alu instid0(VALU_DEP_1)
	v_cmpx_ne_u16_e32 0, v7
	s_cbranch_execz .LBB270_962
; %bb.955:                              ;   in Loop: Header=BB270_13 Depth=1
	v_bfrev_b32_e32 v76, 1
	s_mov_b32 s21, exec_lo
	v_cmpx_ne_u16_e32 0x80, v7
	s_cbranch_execz .LBB270_961
; %bb.956:                              ;   in Loop: Header=BB270_13 Depth=1
	v_and_b32_e32 v78, 0xffff, v7
	v_mov_b32_e32 v76, 0x7c010000
	s_mov_b32 s22, exec_lo
	s_delay_alu instid0(VALU_DEP_2) | instskip(NEXT) | instid1(VALU_DEP_1)
	v_and_b32_e32 v92, 0x7f, v78
	v_cmpx_ne_u32_e32 0x7f, v92
	s_cbranch_execz .LBB270_960
; %bb.957:                              ;   in Loop: Header=BB270_13 Depth=1
	v_and_b32_e32 v76, 7, v78
	v_lshrrev_b32_e32 v79, 3, v92
	s_mov_b32 s23, exec_lo
	v_cmpx_gt_u32_e32 8, v92
; %bb.958:                              ;   in Loop: Header=BB270_13 Depth=1
	s_delay_alu instid0(VALU_DEP_3) | instskip(NEXT) | instid1(VALU_DEP_1)
	v_clz_i32_u32_e32 v76, v76
	v_min_u32_e32 v76, 32, v76
	s_delay_alu instid0(VALU_DEP_1) | instskip(NEXT) | instid1(VALU_DEP_1)
	v_subrev_nc_u32_e32 v79, 28, v76
	v_lshlrev_b64_e32 v[92:93], v79, v[7:8]
	v_sub_nc_u32_e32 v79, 29, v76
	s_delay_alu instid0(VALU_DEP_2)
	v_and_b32_e32 v76, 7, v92
; %bb.959:                              ;   in Loop: Header=BB270_13 Depth=1
	s_wait_alu 0xfffe
	s_or_b32 exec_lo, exec_lo, s23
	v_lshlrev_b32_e32 v7, 8, v78
	v_lshl_add_u32 v78, v79, 10, 0x2000
	v_lshlrev_b32_e32 v76, 23, v76
	s_delay_alu instid0(VALU_DEP_2) | instskip(NEXT) | instid1(VALU_DEP_1)
	v_and_or_b32 v7, 0x8000, v7, v78
	v_lshl_or_b32 v76, v7, 16, v76
.LBB270_960:                            ;   in Loop: Header=BB270_13 Depth=1
	s_wait_alu 0xfffe
	s_or_b32 exec_lo, exec_lo, s22
.LBB270_961:                            ;   in Loop: Header=BB270_13 Depth=1
	s_wait_alu 0xfffe
	s_or_b32 exec_lo, exec_lo, s21
.LBB270_962:                            ;   in Loop: Header=BB270_13 Depth=1
	s_wait_alu 0xfffe
	s_or_b32 exec_lo, exec_lo, s20
	v_lshrrev_b32_e32 v7, 16, v9
	v_mov_b32_e32 v92, 0
	s_mov_b32 s20, exec_lo
	s_delay_alu instid0(VALU_DEP_2) | instskip(NEXT) | instid1(VALU_DEP_1)
	v_dual_mov_b32 v93, 0 :: v_dual_and_b32 v78, 0xff, v7
	v_cmpx_ne_u16_e32 0, v78
	s_cbranch_execz .LBB270_970
; %bb.963:                              ;   in Loop: Header=BB270_13 Depth=1
	v_mov_b32_e32 v93, 0x8000
	s_mov_b32 s21, exec_lo
	v_cmpx_ne_u16_e32 0x80, v78
	s_cbranch_execz .LBB270_969
; %bb.964:                              ;   in Loop: Header=BB270_13 Depth=1
	v_bfe_u32 v174, v9, 16, 7
	v_mov_b32_e32 v93, 0x7c01
	s_mov_b32 s22, exec_lo
	s_delay_alu instid0(VALU_DEP_2)
	v_cmpx_ne_u32_e32 0x7f, v174
	s_cbranch_execz .LBB270_968
; %bb.965:                              ;   in Loop: Header=BB270_13 Depth=1
	v_and_b32_e32 v78, 7, v7
	v_lshrrev_b32_e32 v79, 3, v174
	s_mov_b32 s23, exec_lo
	v_cmpx_gt_u32_e32 8, v174
; %bb.966:                              ;   in Loop: Header=BB270_13 Depth=1
	s_delay_alu instid0(VALU_DEP_3) | instskip(NEXT) | instid1(VALU_DEP_1)
	v_clz_i32_u32_e32 v78, v78
	v_min_u32_e32 v93, 32, v78
	s_delay_alu instid0(VALU_DEP_1) | instskip(NEXT) | instid1(VALU_DEP_1)
	v_subrev_nc_u32_e32 v78, 28, v93
	v_lshlrev_b64_e32 v[78:79], v78, v[7:8]
	v_sub_nc_u32_e32 v79, 29, v93
	s_delay_alu instid0(VALU_DEP_2)
	v_and_b32_e32 v78, 7, v78
; %bb.967:                              ;   in Loop: Header=BB270_13 Depth=1
	s_wait_alu 0xfffe
	s_or_b32 exec_lo, exec_lo, s23
	v_lshlrev_b32_e32 v7, 8, v7
	v_lshl_add_u32 v79, v79, 10, 0x2000
	v_lshlrev_b32_e32 v78, 7, v78
	s_delay_alu instid0(VALU_DEP_3) | instskip(NEXT) | instid1(VALU_DEP_3)
	v_and_b32_e32 v7, 0x8000, v7
	v_and_b32_e32 v79, 0xfc00, v79
	s_delay_alu instid0(VALU_DEP_1)
	v_or3_b32 v93, v7, v79, v78
.LBB270_968:                            ;   in Loop: Header=BB270_13 Depth=1
	s_wait_alu 0xfffe
	s_or_b32 exec_lo, exec_lo, s22
.LBB270_969:                            ;   in Loop: Header=BB270_13 Depth=1
	s_wait_alu 0xfffe
	s_or_b32 exec_lo, exec_lo, s21
.LBB270_970:                            ;   in Loop: Header=BB270_13 Depth=1
	s_wait_alu 0xfffe
	s_or_b32 exec_lo, exec_lo, s20
	s_delay_alu instid0(SALU_CYCLE_1)
	s_mov_b32 s20, exec_lo
	v_cmpx_lt_u32_e32 0xffffff, v9
	s_cbranch_execz .LBB270_978
; %bb.971:                              ;   in Loop: Header=BB270_13 Depth=1
	v_lshrrev_b32_e32 v7, 24, v9
	v_bfrev_b32_e32 v92, 1
	s_mov_b32 s21, exec_lo
	s_delay_alu instid0(VALU_DEP_2)
	v_cmpx_ne_u32_e32 0x80, v7
	s_cbranch_execz .LBB270_977
; %bb.972:                              ;   in Loop: Header=BB270_13 Depth=1
	v_and_b32_e32 v79, 0x7f, v7
	v_mov_b32_e32 v92, 0x7c010000
	s_mov_b32 s22, exec_lo
	s_delay_alu instid0(VALU_DEP_2)
	v_cmpx_ne_u32_e32 0x7f, v79
	s_cbranch_execz .LBB270_976
; %bb.973:                              ;   in Loop: Header=BB270_13 Depth=1
	v_and_b32_e32 v9, 7, v7
	v_lshrrev_b32_e32 v78, 3, v79
	s_mov_b32 s23, exec_lo
	v_cmpx_gt_u32_e32 8, v79
; %bb.974:                              ;   in Loop: Header=BB270_13 Depth=1
	s_delay_alu instid0(VALU_DEP_3) | instskip(NEXT) | instid1(VALU_DEP_1)
	v_clz_i32_u32_e32 v9, v9
	v_min_u32_e32 v9, 32, v9
	s_delay_alu instid0(VALU_DEP_1) | instskip(NEXT) | instid1(VALU_DEP_1)
	v_subrev_nc_u32_e32 v78, 28, v9
	v_lshlrev_b64_e32 v[174:175], v78, v[7:8]
	v_sub_nc_u32_e32 v78, 29, v9
	s_delay_alu instid0(VALU_DEP_2)
	v_and_b32_e32 v9, 7, v174
; %bb.975:                              ;   in Loop: Header=BB270_13 Depth=1
	s_wait_alu 0xfffe
	s_or_b32 exec_lo, exec_lo, s23
	v_lshlrev_b32_e32 v7, 8, v7
	v_lshl_add_u32 v78, v78, 10, 0x2000
	v_lshlrev_b32_e32 v9, 23, v9
	s_delay_alu instid0(VALU_DEP_2) | instskip(NEXT) | instid1(VALU_DEP_1)
	v_and_or_b32 v7, 0x8000, v7, v78
	v_lshl_or_b32 v92, v7, 16, v9
.LBB270_976:                            ;   in Loop: Header=BB270_13 Depth=1
	s_wait_alu 0xfffe
	s_or_b32 exec_lo, exec_lo, s22
.LBB270_977:                            ;   in Loop: Header=BB270_13 Depth=1
	s_wait_alu 0xfffe
	s_or_b32 exec_lo, exec_lo, s21
.LBB270_978:                            ;   in Loop: Header=BB270_13 Depth=1
	s_wait_alu 0xfffe
	s_or_b32 exec_lo, exec_lo, s20
	flat_load_b32 v9, v[28:29] offset:3840
	v_mov_b32_e32 v79, 0
	s_mov_b32 s20, exec_lo
	s_wait_loadcnt_dscnt 0x0
	v_dual_mov_b32 v78, 0 :: v_dual_and_b32 v7, 0xff, v9
	s_delay_alu instid0(VALU_DEP_1)
	v_cmpx_ne_u16_e32 0, v7
	s_cbranch_execz .LBB270_986
; %bb.979:                              ;   in Loop: Header=BB270_13 Depth=1
	v_mov_b32_e32 v79, 0x8000
	s_mov_b32 s21, exec_lo
	v_cmpx_ne_u16_e32 0x80, v7
	s_cbranch_execz .LBB270_985
; %bb.980:                              ;   in Loop: Header=BB270_13 Depth=1
	v_and_b32_e32 v174, 0x7f, v9
	v_mov_b32_e32 v79, 0x7c01
	s_mov_b32 s22, exec_lo
	s_delay_alu instid0(VALU_DEP_2)
	v_cmpx_ne_u32_e32 0x7f, v174
	s_cbranch_execz .LBB270_984
; %bb.981:                              ;   in Loop: Header=BB270_13 Depth=1
	v_and_b32_e32 v7, 7, v9
	v_lshrrev_b32_e32 v79, 3, v174
	s_mov_b32 s23, exec_lo
	v_cmpx_gt_u32_e32 8, v174
; %bb.982:                              ;   in Loop: Header=BB270_13 Depth=1
	s_delay_alu instid0(VALU_DEP_3) | instskip(NEXT) | instid1(VALU_DEP_1)
	v_clz_i32_u32_e32 v7, v7
	v_min_u32_e32 v7, 32, v7
	s_delay_alu instid0(VALU_DEP_1) | instskip(NEXT) | instid1(VALU_DEP_1)
	v_subrev_nc_u32_e32 v79, 28, v7
	v_lshlrev_b64_e32 v[174:175], v79, v[9:10]
	v_sub_nc_u32_e32 v79, 29, v7
	s_delay_alu instid0(VALU_DEP_2)
	v_and_b32_e32 v7, 7, v174
; %bb.983:                              ;   in Loop: Header=BB270_13 Depth=1
	s_wait_alu 0xfffe
	s_or_b32 exec_lo, exec_lo, s23
	v_lshlrev_b32_e32 v174, 8, v9
	v_lshl_add_u32 v79, v79, 10, 0x2000
	v_lshlrev_b32_e32 v7, 7, v7
	s_delay_alu instid0(VALU_DEP_3) | instskip(NEXT) | instid1(VALU_DEP_3)
	v_and_b32_e32 v174, 0x8000, v174
	v_and_b32_e32 v79, 0xfc00, v79
	s_delay_alu instid0(VALU_DEP_1)
	v_or3_b32 v79, v174, v79, v7
.LBB270_984:                            ;   in Loop: Header=BB270_13 Depth=1
	s_wait_alu 0xfffe
	s_or_b32 exec_lo, exec_lo, s22
.LBB270_985:                            ;   in Loop: Header=BB270_13 Depth=1
	s_wait_alu 0xfffe
	s_or_b32 exec_lo, exec_lo, s21
.LBB270_986:                            ;   in Loop: Header=BB270_13 Depth=1
	s_wait_alu 0xfffe
	s_or_b32 exec_lo, exec_lo, s20
	v_lshrrev_b16 v7, 8, v9
	s_mov_b32 s20, exec_lo
	s_delay_alu instid0(VALU_DEP_1)
	v_cmpx_ne_u16_e32 0, v7
	s_cbranch_execz .LBB270_994
; %bb.987:                              ;   in Loop: Header=BB270_13 Depth=1
	v_bfrev_b32_e32 v78, 1
	s_mov_b32 s21, exec_lo
	v_cmpx_ne_u16_e32 0x80, v7
	s_cbranch_execz .LBB270_993
; %bb.988:                              ;   in Loop: Header=BB270_13 Depth=1
	v_and_b32_e32 v174, 0xffff, v7
	v_mov_b32_e32 v78, 0x7c010000
	s_mov_b32 s22, exec_lo
	s_delay_alu instid0(VALU_DEP_2) | instskip(NEXT) | instid1(VALU_DEP_1)
	v_and_b32_e32 v184, 0x7f, v174
	v_cmpx_ne_u32_e32 0x7f, v184
	s_cbranch_execz .LBB270_992
; %bb.989:                              ;   in Loop: Header=BB270_13 Depth=1
	v_and_b32_e32 v78, 7, v174
	v_lshrrev_b32_e32 v175, 3, v184
	s_mov_b32 s23, exec_lo
	v_cmpx_gt_u32_e32 8, v184
; %bb.990:                              ;   in Loop: Header=BB270_13 Depth=1
	s_delay_alu instid0(VALU_DEP_3) | instskip(NEXT) | instid1(VALU_DEP_1)
	v_clz_i32_u32_e32 v78, v78
	v_min_u32_e32 v78, 32, v78
	s_delay_alu instid0(VALU_DEP_1) | instskip(NEXT) | instid1(VALU_DEP_1)
	v_subrev_nc_u32_e32 v175, 28, v78
	v_lshlrev_b64_e32 v[184:185], v175, v[7:8]
	v_sub_nc_u32_e32 v175, 29, v78
	s_delay_alu instid0(VALU_DEP_2)
	v_and_b32_e32 v78, 7, v184
; %bb.991:                              ;   in Loop: Header=BB270_13 Depth=1
	s_wait_alu 0xfffe
	s_or_b32 exec_lo, exec_lo, s23
	v_lshlrev_b32_e32 v7, 8, v174
	v_lshl_add_u32 v174, v175, 10, 0x2000
	v_lshlrev_b32_e32 v78, 23, v78
	s_delay_alu instid0(VALU_DEP_2) | instskip(NEXT) | instid1(VALU_DEP_1)
	v_and_or_b32 v7, 0x8000, v7, v174
	v_lshl_or_b32 v78, v7, 16, v78
.LBB270_992:                            ;   in Loop: Header=BB270_13 Depth=1
	s_wait_alu 0xfffe
	s_or_b32 exec_lo, exec_lo, s22
.LBB270_993:                            ;   in Loop: Header=BB270_13 Depth=1
	s_wait_alu 0xfffe
	s_or_b32 exec_lo, exec_lo, s21
.LBB270_994:                            ;   in Loop: Header=BB270_13 Depth=1
	s_wait_alu 0xfffe
	s_or_b32 exec_lo, exec_lo, s20
	v_lshrrev_b32_e32 v7, 16, v9
	v_mov_b32_e32 v185, 0
	s_mov_b32 s20, exec_lo
	s_delay_alu instid0(VALU_DEP_2) | instskip(NEXT) | instid1(VALU_DEP_1)
	v_dual_mov_b32 v174, 0 :: v_dual_and_b32 v175, 0xff, v7
	v_cmpx_ne_u16_e64 0, v175
	s_cbranch_execz .LBB270_1002
; %bb.995:                              ;   in Loop: Header=BB270_13 Depth=1
	v_mov_b32_e32 v185, 0x8000
	s_mov_b32 s21, exec_lo
	v_cmpx_ne_u16_e64 0x80, v175
	s_cbranch_execz .LBB270_1001
; %bb.996:                              ;   in Loop: Header=BB270_13 Depth=1
	v_bfe_u32 v186, v9, 16, 7
	v_mov_b32_e32 v185, 0x7c01
	s_mov_b32 s22, exec_lo
	s_delay_alu instid0(VALU_DEP_2)
	v_cmpx_ne_u32_e32 0x7f, v186
	s_cbranch_execz .LBB270_1000
; %bb.997:                              ;   in Loop: Header=BB270_13 Depth=1
	v_and_b32_e32 v175, 7, v7
	v_lshrrev_b32_e32 v184, 3, v186
	s_mov_b32 s23, exec_lo
	v_cmpx_gt_u32_e32 8, v186
; %bb.998:                              ;   in Loop: Header=BB270_13 Depth=1
	s_delay_alu instid0(VALU_DEP_3) | instskip(NEXT) | instid1(VALU_DEP_1)
	v_clz_i32_u32_e32 v175, v175
	v_min_u32_e32 v175, 32, v175
	s_delay_alu instid0(VALU_DEP_1) | instskip(NEXT) | instid1(VALU_DEP_1)
	v_subrev_nc_u32_e32 v184, 28, v175
	v_lshlrev_b64_e32 v[185:186], v184, v[7:8]
	v_sub_nc_u32_e32 v184, 29, v175
	s_delay_alu instid0(VALU_DEP_2)
	v_and_b32_e32 v175, 7, v185
; %bb.999:                              ;   in Loop: Header=BB270_13 Depth=1
	s_wait_alu 0xfffe
	s_or_b32 exec_lo, exec_lo, s23
	v_lshlrev_b32_e32 v7, 8, v7
	v_lshl_add_u32 v184, v184, 10, 0x2000
	v_lshlrev_b32_e32 v175, 7, v175
	s_delay_alu instid0(VALU_DEP_3) | instskip(NEXT) | instid1(VALU_DEP_3)
	v_and_b32_e32 v7, 0x8000, v7
	v_and_b32_e32 v184, 0xfc00, v184
	s_delay_alu instid0(VALU_DEP_1)
	v_or3_b32 v185, v7, v184, v175
.LBB270_1000:                           ;   in Loop: Header=BB270_13 Depth=1
	s_wait_alu 0xfffe
	s_or_b32 exec_lo, exec_lo, s22
.LBB270_1001:                           ;   in Loop: Header=BB270_13 Depth=1
	s_wait_alu 0xfffe
	s_or_b32 exec_lo, exec_lo, s21
.LBB270_1002:                           ;   in Loop: Header=BB270_13 Depth=1
	s_wait_alu 0xfffe
	s_or_b32 exec_lo, exec_lo, s20
	s_delay_alu instid0(SALU_CYCLE_1)
	s_mov_b32 s20, exec_lo
	v_cmpx_lt_u32_e32 0xffffff, v9
	s_cbranch_execz .LBB270_1010
; %bb.1003:                             ;   in Loop: Header=BB270_13 Depth=1
	v_lshrrev_b32_e32 v7, 24, v9
	v_bfrev_b32_e32 v174, 1
	s_mov_b32 s21, exec_lo
	s_delay_alu instid0(VALU_DEP_2)
	v_cmpx_ne_u32_e32 0x80, v7
	s_cbranch_execz .LBB270_1009
; %bb.1004:                             ;   in Loop: Header=BB270_13 Depth=1
	v_and_b32_e32 v175, 0x7f, v7
	v_mov_b32_e32 v174, 0x7c010000
	s_mov_b32 s22, exec_lo
	s_delay_alu instid0(VALU_DEP_2)
	v_cmpx_ne_u32_e32 0x7f, v175
	s_cbranch_execz .LBB270_1008
; %bb.1005:                             ;   in Loop: Header=BB270_13 Depth=1
	v_and_b32_e32 v9, 7, v7
	v_lshrrev_b32_e32 v174, 3, v175
	s_mov_b32 s23, exec_lo
	v_cmpx_gt_u32_e32 8, v175
; %bb.1006:                             ;   in Loop: Header=BB270_13 Depth=1
	s_delay_alu instid0(VALU_DEP_3) | instskip(NEXT) | instid1(VALU_DEP_1)
	v_clz_i32_u32_e32 v9, v9
	v_min_u32_e32 v9, 32, v9
	s_delay_alu instid0(VALU_DEP_1) | instskip(NEXT) | instid1(VALU_DEP_1)
	v_subrev_nc_u32_e32 v174, 28, v9
	v_lshlrev_b64_e32 v[186:187], v174, v[7:8]
	v_sub_nc_u32_e32 v174, 29, v9
	s_delay_alu instid0(VALU_DEP_2)
	v_and_b32_e32 v9, 7, v186
; %bb.1007:                             ;   in Loop: Header=BB270_13 Depth=1
	s_wait_alu 0xfffe
	s_or_b32 exec_lo, exec_lo, s23
	v_lshlrev_b32_e32 v7, 8, v7
	v_lshl_add_u32 v174, v174, 10, 0x2000
	v_lshlrev_b32_e32 v9, 23, v9
	s_delay_alu instid0(VALU_DEP_2) | instskip(NEXT) | instid1(VALU_DEP_1)
	v_and_or_b32 v7, 0x8000, v7, v174
	v_lshl_or_b32 v174, v7, 16, v9
.LBB270_1008:                           ;   in Loop: Header=BB270_13 Depth=1
	s_wait_alu 0xfffe
	s_or_b32 exec_lo, exec_lo, s22
.LBB270_1009:                           ;   in Loop: Header=BB270_13 Depth=1
	s_wait_alu 0xfffe
	s_or_b32 exec_lo, exec_lo, s21
.LBB270_1010:                           ;   in Loop: Header=BB270_13 Depth=1
	s_wait_alu 0xfffe
	s_or_b32 exec_lo, exec_lo, s20
	flat_load_b32 v9, v[28:29] offset:3848
	v_mov_b32_e32 v175, 0
	s_mov_b32 s20, exec_lo
	s_wait_loadcnt_dscnt 0x0
	v_dual_mov_b32 v184, 0 :: v_dual_and_b32 v7, 0xff, v9
	s_delay_alu instid0(VALU_DEP_1)
	v_cmpx_ne_u16_e32 0, v7
	s_cbranch_execz .LBB270_1018
; %bb.1011:                             ;   in Loop: Header=BB270_13 Depth=1
	v_mov_b32_e32 v184, 0x8000
	s_mov_b32 s21, exec_lo
	v_cmpx_ne_u16_e32 0x80, v7
	s_cbranch_execz .LBB270_1017
; %bb.1012:                             ;   in Loop: Header=BB270_13 Depth=1
	v_and_b32_e32 v29, 0x7f, v9
	v_mov_b32_e32 v184, 0x7c01
	s_mov_b32 s22, exec_lo
	s_delay_alu instid0(VALU_DEP_2)
	v_cmpx_ne_u32_e32 0x7f, v29
	s_cbranch_execz .LBB270_1016
; %bb.1013:                             ;   in Loop: Header=BB270_13 Depth=1
	v_and_b32_e32 v7, 7, v9
	v_lshrrev_b32_e32 v28, 3, v29
	s_mov_b32 s23, exec_lo
	v_cmpx_gt_u32_e32 8, v29
; %bb.1014:                             ;   in Loop: Header=BB270_13 Depth=1
	s_delay_alu instid0(VALU_DEP_3) | instskip(NEXT) | instid1(VALU_DEP_1)
	v_clz_i32_u32_e32 v7, v7
	v_min_u32_e32 v7, 32, v7
	s_delay_alu instid0(VALU_DEP_1) | instskip(NEXT) | instid1(VALU_DEP_1)
	v_subrev_nc_u32_e32 v28, 28, v7
	v_lshlrev_b64_e32 v[186:187], v28, v[9:10]
	v_sub_nc_u32_e32 v28, 29, v7
	s_delay_alu instid0(VALU_DEP_2)
	v_and_b32_e32 v7, 7, v186
; %bb.1015:                             ;   in Loop: Header=BB270_13 Depth=1
	s_wait_alu 0xfffe
	s_or_b32 exec_lo, exec_lo, s23
	v_lshlrev_b32_e32 v29, 8, v9
	v_lshl_add_u32 v28, v28, 10, 0x2000
	v_lshlrev_b32_e32 v7, 7, v7
	s_delay_alu instid0(VALU_DEP_3) | instskip(NEXT) | instid1(VALU_DEP_3)
	v_and_b32_e32 v29, 0x8000, v29
	v_and_b32_e32 v28, 0xfc00, v28
	s_delay_alu instid0(VALU_DEP_1)
	v_or3_b32 v184, v29, v28, v7
.LBB270_1016:                           ;   in Loop: Header=BB270_13 Depth=1
	s_wait_alu 0xfffe
	s_or_b32 exec_lo, exec_lo, s22
.LBB270_1017:                           ;   in Loop: Header=BB270_13 Depth=1
	s_wait_alu 0xfffe
	s_or_b32 exec_lo, exec_lo, s21
.LBB270_1018:                           ;   in Loop: Header=BB270_13 Depth=1
	s_wait_alu 0xfffe
	s_or_b32 exec_lo, exec_lo, s20
	v_lshrrev_b16 v7, 8, v9
	s_mov_b32 s20, exec_lo
	s_delay_alu instid0(VALU_DEP_1)
	v_cmpx_ne_u16_e32 0, v7
	s_cbranch_execz .LBB270_1026
; %bb.1019:                             ;   in Loop: Header=BB270_13 Depth=1
	v_bfrev_b32_e32 v175, 1
	s_mov_b32 s21, exec_lo
	v_cmpx_ne_u16_e32 0x80, v7
	s_cbranch_execz .LBB270_1025
; %bb.1020:                             ;   in Loop: Header=BB270_13 Depth=1
	v_and_b32_e32 v28, 0xffff, v7
	v_mov_b32_e32 v175, 0x7c010000
	s_mov_b32 s22, exec_lo
	s_delay_alu instid0(VALU_DEP_2) | instskip(NEXT) | instid1(VALU_DEP_1)
	v_and_b32_e32 v186, 0x7f, v28
	v_cmpx_ne_u32_e32 0x7f, v186
	s_cbranch_execz .LBB270_1024
; %bb.1021:                             ;   in Loop: Header=BB270_13 Depth=1
	v_and_b32_e32 v29, 7, v28
	v_lshrrev_b32_e32 v175, 3, v186
	s_mov_b32 s23, exec_lo
	v_cmpx_gt_u32_e32 8, v186
; %bb.1022:                             ;   in Loop: Header=BB270_13 Depth=1
	s_delay_alu instid0(VALU_DEP_3) | instskip(NEXT) | instid1(VALU_DEP_1)
	v_clz_i32_u32_e32 v29, v29
	v_min_u32_e32 v29, 32, v29
	s_delay_alu instid0(VALU_DEP_1) | instskip(NEXT) | instid1(VALU_DEP_1)
	v_subrev_nc_u32_e32 v175, 28, v29
	v_lshlrev_b64_e32 v[186:187], v175, v[7:8]
	v_sub_nc_u32_e32 v175, 29, v29
	s_delay_alu instid0(VALU_DEP_2)
	v_and_b32_e32 v29, 7, v186
; %bb.1023:                             ;   in Loop: Header=BB270_13 Depth=1
	s_wait_alu 0xfffe
	s_or_b32 exec_lo, exec_lo, s23
	v_lshlrev_b32_e32 v7, 8, v28
	v_lshl_add_u32 v28, v175, 10, 0x2000
	s_delay_alu instid0(VALU_DEP_1) | instskip(SKIP_1) | instid1(VALU_DEP_1)
	v_and_or_b32 v7, 0x8000, v7, v28
	v_lshlrev_b32_e32 v28, 23, v29
	v_lshl_or_b32 v175, v7, 16, v28
.LBB270_1024:                           ;   in Loop: Header=BB270_13 Depth=1
	s_wait_alu 0xfffe
	s_or_b32 exec_lo, exec_lo, s22
.LBB270_1025:                           ;   in Loop: Header=BB270_13 Depth=1
	s_wait_alu 0xfffe
	s_or_b32 exec_lo, exec_lo, s21
.LBB270_1026:                           ;   in Loop: Header=BB270_13 Depth=1
	s_wait_alu 0xfffe
	s_or_b32 exec_lo, exec_lo, s20
	v_lshrrev_b32_e32 v7, 16, v9
	v_mov_b32_e32 v186, 0
	s_mov_b32 s20, exec_lo
	s_delay_alu instid0(VALU_DEP_2) | instskip(NEXT) | instid1(VALU_DEP_1)
	v_dual_mov_b32 v187, 0 :: v_dual_and_b32 v28, 0xff, v7
	v_cmpx_ne_u16_e32 0, v28
	s_cbranch_execz .LBB270_1034
; %bb.1027:                             ;   in Loop: Header=BB270_13 Depth=1
	v_mov_b32_e32 v187, 0x8000
	s_mov_b32 s21, exec_lo
	v_cmpx_ne_u16_e32 0x80, v28
	s_cbranch_execz .LBB270_1033
; %bb.1028:                             ;   in Loop: Header=BB270_13 Depth=1
	v_bfe_u32 v188, v9, 16, 7
	v_mov_b32_e32 v187, 0x7c01
	s_mov_b32 s22, exec_lo
	s_delay_alu instid0(VALU_DEP_2)
	v_cmpx_ne_u32_e32 0x7f, v188
	s_cbranch_execz .LBB270_1032
; %bb.1029:                             ;   in Loop: Header=BB270_13 Depth=1
	v_and_b32_e32 v28, 7, v7
	v_lshrrev_b32_e32 v29, 3, v188
	s_mov_b32 s23, exec_lo
	v_cmpx_gt_u32_e32 8, v188
; %bb.1030:                             ;   in Loop: Header=BB270_13 Depth=1
	s_delay_alu instid0(VALU_DEP_3) | instskip(NEXT) | instid1(VALU_DEP_1)
	v_clz_i32_u32_e32 v28, v28
	v_min_u32_e32 v187, 32, v28
	s_delay_alu instid0(VALU_DEP_1) | instskip(NEXT) | instid1(VALU_DEP_1)
	v_subrev_nc_u32_e32 v28, 28, v187
	v_lshlrev_b64_e32 v[28:29], v28, v[7:8]
	v_sub_nc_u32_e32 v29, 29, v187
	s_delay_alu instid0(VALU_DEP_2)
	v_and_b32_e32 v28, 7, v28
; %bb.1031:                             ;   in Loop: Header=BB270_13 Depth=1
	s_wait_alu 0xfffe
	s_or_b32 exec_lo, exec_lo, s23
	v_lshlrev_b32_e32 v7, 8, v7
	v_lshl_add_u32 v29, v29, 10, 0x2000
	v_lshlrev_b32_e32 v28, 7, v28
	s_delay_alu instid0(VALU_DEP_3) | instskip(NEXT) | instid1(VALU_DEP_3)
	v_and_b32_e32 v7, 0x8000, v7
	v_and_b32_e32 v29, 0xfc00, v29
	s_delay_alu instid0(VALU_DEP_1)
	v_or3_b32 v187, v7, v29, v28
.LBB270_1032:                           ;   in Loop: Header=BB270_13 Depth=1
	s_wait_alu 0xfffe
	s_or_b32 exec_lo, exec_lo, s22
.LBB270_1033:                           ;   in Loop: Header=BB270_13 Depth=1
	s_wait_alu 0xfffe
	s_or_b32 exec_lo, exec_lo, s21
.LBB270_1034:                           ;   in Loop: Header=BB270_13 Depth=1
	s_wait_alu 0xfffe
	s_or_b32 exec_lo, exec_lo, s20
	s_delay_alu instid0(SALU_CYCLE_1)
	s_mov_b32 s20, exec_lo
	v_cmpx_lt_u32_e32 0xffffff, v9
	s_cbranch_execz .LBB270_1042
; %bb.1035:                             ;   in Loop: Header=BB270_13 Depth=1
	v_lshrrev_b32_e32 v7, 24, v9
	v_bfrev_b32_e32 v186, 1
	s_mov_b32 s21, exec_lo
	s_delay_alu instid0(VALU_DEP_2)
	v_cmpx_ne_u32_e32 0x80, v7
	s_cbranch_execz .LBB270_1041
; %bb.1036:                             ;   in Loop: Header=BB270_13 Depth=1
	v_and_b32_e32 v29, 0x7f, v7
	v_mov_b32_e32 v186, 0x7c010000
	s_mov_b32 s22, exec_lo
	s_delay_alu instid0(VALU_DEP_2)
	v_cmpx_ne_u32_e32 0x7f, v29
	s_cbranch_execz .LBB270_1040
; %bb.1037:                             ;   in Loop: Header=BB270_13 Depth=1
	v_and_b32_e32 v9, 7, v7
	v_lshrrev_b32_e32 v28, 3, v29
	s_mov_b32 s23, exec_lo
	v_cmpx_gt_u32_e32 8, v29
; %bb.1038:                             ;   in Loop: Header=BB270_13 Depth=1
	s_delay_alu instid0(VALU_DEP_3) | instskip(NEXT) | instid1(VALU_DEP_1)
	v_clz_i32_u32_e32 v9, v9
	v_min_u32_e32 v9, 32, v9
	s_delay_alu instid0(VALU_DEP_1) | instskip(NEXT) | instid1(VALU_DEP_1)
	v_subrev_nc_u32_e32 v28, 28, v9
	v_lshlrev_b64_e32 v[188:189], v28, v[7:8]
	v_sub_nc_u32_e32 v28, 29, v9
	s_delay_alu instid0(VALU_DEP_2)
	v_and_b32_e32 v9, 7, v188
; %bb.1039:                             ;   in Loop: Header=BB270_13 Depth=1
	s_wait_alu 0xfffe
	s_or_b32 exec_lo, exec_lo, s23
	v_lshlrev_b32_e32 v7, 8, v7
	v_lshl_add_u32 v28, v28, 10, 0x2000
	v_lshlrev_b32_e32 v9, 23, v9
	s_delay_alu instid0(VALU_DEP_2) | instskip(NEXT) | instid1(VALU_DEP_1)
	v_and_or_b32 v7, 0x8000, v7, v28
	v_lshl_or_b32 v186, v7, 16, v9
.LBB270_1040:                           ;   in Loop: Header=BB270_13 Depth=1
	s_wait_alu 0xfffe
	s_or_b32 exec_lo, exec_lo, s22
.LBB270_1041:                           ;   in Loop: Header=BB270_13 Depth=1
	s_wait_alu 0xfffe
	s_or_b32 exec_lo, exec_lo, s21
.LBB270_1042:                           ;   in Loop: Header=BB270_13 Depth=1
	s_wait_alu 0xfffe
	s_or_b32 exec_lo, exec_lo, s20
	v_or_b32_e32 v7, v78, v79
	v_fma_mixlo_f16 v28, v83, v78, 0 op_sel:[0,1,0] op_sel_hi:[0,1,0]
	v_or_b32_e32 v77, v76, v77
	v_fma_mixlo_f16 v78, v83, v76, 0 op_sel:[0,1,0] op_sel_hi:[0,1,0]
	v_or_b32_e32 v76, v92, v93
	v_or_b32_e32 v91, v90, v91
	;; [unrolled: 1-line block ×3, first 2 shown]
	v_fma_mixlo_f16 v79, v83, v77, 0 op_sel_hi:[0,1,0]
	v_or_b32_e32 v111, v110, v111
	v_fma_mixlo_f16 v77, v83, v76, 0 op_sel_hi:[0,1,0]
	v_fma_mixlo_f16 v76, v83, v92, 0 op_sel:[0,1,0] op_sel_hi:[0,1,0]
	v_fma_mixlo_f16 v92, v83, v90, 0 op_sel:[0,1,0] op_sel_hi:[0,1,0]
	v_or_b32_e32 v90, v106, v107
	v_fma_mixlo_f16 v93, v83, v91, 0 op_sel_hi:[0,1,0]
	v_fma_mixlo_f16 v107, v83, v105, 0 op_sel_hi:[0,1,0]
	v_or_b32_e32 v124, v122, v124
	v_or_b32_e32 v137, v136, v137
	v_fma_mixlo_f16 v91, v83, v90, 0 op_sel_hi:[0,1,0]
	v_fma_mixlo_f16 v90, v83, v106, 0 op_sel:[0,1,0] op_sel_hi:[0,1,0]
	v_fma_mixlo_f16 v106, v83, v104, 0 op_sel:[0,1,0] op_sel_hi:[0,1,0]
	v_or_b32_e32 v104, v120, v121
	v_fma_mixlo_f16 v121, v83, v111, 0 op_sel_hi:[0,1,0]
	v_or_b32_e32 v143, v142, v143
	v_or_b32_e32 v157, v156, v157
	v_or_b32_e32 v169, v168, v169
	v_fma_mixlo_f16 v105, v83, v104, 0 op_sel_hi:[0,1,0]
	v_fma_mixlo_f16 v104, v83, v120, 0 op_sel:[0,1,0] op_sel_hi:[0,1,0]
	v_fma_mixlo_f16 v120, v83, v110, 0 op_sel:[0,1,0] op_sel_hi:[0,1,0]
	v_or_b32_e32 v110, v126, v127
	v_fma_mixlo_f16 v127, v83, v124, 0 op_sel_hi:[0,1,0]
	v_or_b32_e32 v139, v138, v139
	;; [unrolled: 8-line block ×8, first 2 shown]
	v_or_b32_e32 v97, v96, v97
	v_or_b32_e32 v85, v84, v85
	v_fma_mixlo_f16 v139, v83, v138, 0 op_sel_hi:[0,1,0]
	v_fma_mixlo_f16 v138, v83, v154, 0 op_sel:[0,1,0] op_sel_hi:[0,1,0]
	v_fma_mixlo_f16 v154, v83, v108, 0 op_sel:[0,1,0] op_sel_hi:[0,1,0]
	v_or_b32_e32 v108, v123, v125
	v_fma_mixlo_f16 v125, v83, v89, 0 op_sel_hi:[0,1,0]
	v_fma_mixlo_f16 v29, v83, v7, 0 op_sel_hi:[0,1,0]
	v_or_b32_e32 v7, v174, v185
	v_fma_mixlo_f16 v96, v83, v96, 0 op_sel:[0,1,0] op_sel_hi:[0,1,0]
	v_fma_mixlo_f16 v109, v83, v108, 0 op_sel_hi:[0,1,0]
	v_fma_mixlo_f16 v108, v83, v123, 0 op_sel:[0,1,0] op_sel_hi:[0,1,0]
	v_fma_mixlo_f16 v123, v83, v88, 0 op_sel:[0,1,0] op_sel_hi:[0,1,0]
	v_or_b32_e32 v88, v94, v95
	v_fma_mixlo_f16 v95, v83, v73, 0 op_sel_hi:[0,1,0]
	v_fma_mixlo_f16 v9, v83, v7, 0 op_sel_hi:[0,1,0]
	v_fma_mixlo_f16 v7, v83, v174, 0 op_sel:[0,1,0] op_sel_hi:[0,1,0]
	v_fma_mixlo_f16 v174, v83, v85, 0 op_sel_hi:[0,1,0]
	v_fma_mixlo_f16 v89, v83, v88, 0 op_sel_hi:[0,1,0]
	v_fma_mixlo_f16 v88, v83, v94, 0 op_sel:[0,1,0] op_sel_hi:[0,1,0]
	v_fma_mixlo_f16 v94, v83, v72, 0 op_sel:[0,1,0] op_sel_hi:[0,1,0]
	v_or_b32_e32 v72, v74, v75
	v_fma_mixlo_f16 v75, v83, v61, 0 op_sel_hi:[0,1,0]
	v_fma_mixlo_f16 v85, v83, v175, 0 op_sel:[0,1,0] op_sel_hi:[0,1,0]
	v_and_b32_e32 v29, 0xffff, v29
	v_and_b32_e32 v9, 0xffff, v9
	v_fma_mixlo_f16 v73, v83, v72, 0 op_sel_hi:[0,1,0]
	v_fma_mixlo_f16 v72, v83, v74, 0 op_sel:[0,1,0] op_sel_hi:[0,1,0]
	v_fma_mixlo_f16 v74, v83, v60, 0 op_sel:[0,1,0] op_sel_hi:[0,1,0]
	v_or_b32_e32 v60, v62, v63
	v_fma_mixlo_f16 v63, v83, v57, 0 op_sel_hi:[0,1,0]
	v_and_b32_e32 v7, 0xffff, v7
	v_and_b32_e32 v85, 0xffff, v85
	;; [unrolled: 1-line block ×3, first 2 shown]
	v_fma_mixlo_f16 v61, v83, v60, 0 op_sel_hi:[0,1,0]
	v_fma_mixlo_f16 v60, v83, v62, 0 op_sel:[0,1,0] op_sel_hi:[0,1,0]
	v_fma_mixlo_f16 v62, v83, v56, 0 op_sel:[0,1,0] op_sel_hi:[0,1,0]
	v_or_b32_e32 v56, v58, v59
	v_fma_mixlo_f16 v59, v83, v45, 0 op_sel_hi:[0,1,0]
	s_delay_alu instid0(VALU_DEP_2) | instskip(SKIP_4) | instid1(VALU_DEP_2)
	v_fma_mixlo_f16 v57, v83, v56, 0 op_sel_hi:[0,1,0]
	v_fma_mixlo_f16 v56, v83, v58, 0 op_sel:[0,1,0] op_sel_hi:[0,1,0]
	v_fma_mixlo_f16 v58, v83, v44, 0 op_sel:[0,1,0] op_sel_hi:[0,1,0]
	v_or_b32_e32 v44, v46, v47
	v_fma_mixlo_f16 v47, v83, v41, 0 op_sel_hi:[0,1,0]
	v_fma_mixlo_f16 v45, v83, v44, 0 op_sel_hi:[0,1,0]
	v_fma_mixlo_f16 v44, v83, v46, 0 op_sel:[0,1,0] op_sel_hi:[0,1,0]
	v_fma_mixlo_f16 v46, v83, v40, 0 op_sel:[0,1,0] op_sel_hi:[0,1,0]
	v_or_b32_e32 v40, v42, v43
	v_fma_mixlo_f16 v43, v83, v181, 0 op_sel_hi:[0,1,0]
	s_delay_alu instid0(VALU_DEP_2) | instskip(SKIP_4) | instid1(VALU_DEP_2)
	v_fma_mixlo_f16 v41, v83, v40, 0 op_sel_hi:[0,1,0]
	v_fma_mixlo_f16 v40, v83, v42, 0 op_sel:[0,1,0] op_sel_hi:[0,1,0]
	v_fma_mixlo_f16 v42, v83, v180, 0 op_sel:[0,1,0] op_sel_hi:[0,1,0]
	v_or_b32_e32 v180, v182, v183
	v_fma_mixlo_f16 v183, v83, v177, 0 op_sel_hi:[0,1,0]
	v_fma_mixlo_f16 v181, v83, v180, 0 op_sel_hi:[0,1,0]
	v_fma_mixlo_f16 v180, v83, v182, 0 op_sel:[0,1,0] op_sel_hi:[0,1,0]
	v_fma_mixlo_f16 v182, v83, v176, 0 op_sel:[0,1,0] op_sel_hi:[0,1,0]
	v_or_b32_e32 v176, v178, v179
	v_fma_mixlo_f16 v179, v83, v165, 0 op_sel_hi:[0,1,0]
	s_delay_alu instid0(VALU_DEP_2) | instskip(SKIP_4) | instid1(VALU_DEP_2)
	v_fma_mixlo_f16 v177, v83, v176, 0 op_sel_hi:[0,1,0]
	v_fma_mixlo_f16 v176, v83, v178, 0 op_sel:[0,1,0] op_sel_hi:[0,1,0]
	v_fma_mixlo_f16 v178, v83, v164, 0 op_sel:[0,1,0] op_sel_hi:[0,1,0]
	v_or_b32_e32 v164, v166, v167
	v_fma_mixlo_f16 v167, v83, v161, 0 op_sel_hi:[0,1,0]
	v_fma_mixlo_f16 v165, v83, v164, 0 op_sel_hi:[0,1,0]
	v_fma_mixlo_f16 v164, v83, v166, 0 op_sel:[0,1,0] op_sel_hi:[0,1,0]
	v_fma_mixlo_f16 v166, v83, v160, 0 op_sel:[0,1,0] op_sel_hi:[0,1,0]
	v_or_b32_e32 v160, v162, v163
	v_fma_mixlo_f16 v163, v83, v149, 0 op_sel_hi:[0,1,0]
	s_delay_alu instid0(VALU_DEP_2) | instskip(SKIP_4) | instid1(VALU_DEP_2)
	v_fma_mixlo_f16 v161, v83, v160, 0 op_sel_hi:[0,1,0]
	v_fma_mixlo_f16 v160, v83, v162, 0 op_sel:[0,1,0] op_sel_hi:[0,1,0]
	v_fma_mixlo_f16 v162, v83, v148, 0 op_sel:[0,1,0] op_sel_hi:[0,1,0]
	v_or_b32_e32 v148, v150, v151
	v_fma_mixlo_f16 v151, v83, v145, 0 op_sel_hi:[0,1,0]
	v_fma_mixlo_f16 v149, v83, v148, 0 op_sel_hi:[0,1,0]
	v_fma_mixlo_f16 v148, v83, v150, 0 op_sel:[0,1,0] op_sel_hi:[0,1,0]
	v_fma_mixlo_f16 v150, v83, v144, 0 op_sel:[0,1,0] op_sel_hi:[0,1,0]
	v_or_b32_e32 v144, v146, v147
	v_fma_mixlo_f16 v147, v83, v133, 0 op_sel_hi:[0,1,0]
	s_delay_alu instid0(VALU_DEP_2) | instskip(SKIP_4) | instid1(VALU_DEP_2)
	v_fma_mixlo_f16 v145, v83, v144, 0 op_sel_hi:[0,1,0]
	v_fma_mixlo_f16 v144, v83, v146, 0 op_sel:[0,1,0] op_sel_hi:[0,1,0]
	v_fma_mixlo_f16 v146, v83, v132, 0 op_sel:[0,1,0] op_sel_hi:[0,1,0]
	v_or_b32_e32 v132, v134, v135
	v_fma_mixlo_f16 v135, v83, v129, 0 op_sel_hi:[0,1,0]
	v_fma_mixlo_f16 v133, v83, v132, 0 op_sel_hi:[0,1,0]
	v_fma_mixlo_f16 v132, v83, v134, 0 op_sel:[0,1,0] op_sel_hi:[0,1,0]
	v_fma_mixlo_f16 v134, v83, v128, 0 op_sel:[0,1,0] op_sel_hi:[0,1,0]
	v_or_b32_e32 v128, v130, v131
	v_fma_mixlo_f16 v131, v83, v117, 0 op_sel_hi:[0,1,0]
	s_delay_alu instid0(VALU_DEP_2) | instskip(SKIP_4) | instid1(VALU_DEP_2)
	v_fma_mixlo_f16 v129, v83, v128, 0 op_sel_hi:[0,1,0]
	v_fma_mixlo_f16 v128, v83, v130, 0 op_sel:[0,1,0] op_sel_hi:[0,1,0]
	v_fma_mixlo_f16 v130, v83, v116, 0 op_sel:[0,1,0] op_sel_hi:[0,1,0]
	v_or_b32_e32 v116, v118, v119
	v_fma_mixlo_f16 v119, v83, v113, 0 op_sel_hi:[0,1,0]
	v_fma_mixlo_f16 v117, v83, v116, 0 op_sel_hi:[0,1,0]
	v_fma_mixlo_f16 v116, v83, v118, 0 op_sel:[0,1,0] op_sel_hi:[0,1,0]
	v_fma_mixlo_f16 v118, v83, v112, 0 op_sel:[0,1,0] op_sel_hi:[0,1,0]
	v_or_b32_e32 v112, v114, v115
	v_fma_mixlo_f16 v115, v83, v101, 0 op_sel_hi:[0,1,0]
	s_delay_alu instid0(VALU_DEP_2)
	v_fma_mixlo_f16 v113, v83, v112, 0 op_sel_hi:[0,1,0]
	v_fma_mixlo_f16 v112, v83, v114, 0 op_sel:[0,1,0] op_sel_hi:[0,1,0]
	v_fma_mixlo_f16 v114, v83, v100, 0 op_sel:[0,1,0] op_sel_hi:[0,1,0]
	v_or_b32_e32 v100, v102, v103
	v_fma_mixlo_f16 v103, v83, v84, 0 op_sel:[0,1,0] op_sel_hi:[0,1,0]
	v_or_b32_e32 v84, v86, v87
	v_fma_mixlo_f16 v87, v83, v86, 0 op_sel:[0,1,0] op_sel_hi:[0,1,0]
	v_and_b32_e32 v115, 0xffff, v115
	v_fma_mixlo_f16 v101, v83, v100, 0 op_sel_hi:[0,1,0]
	v_fma_mixlo_f16 v100, v83, v102, 0 op_sel:[0,1,0] op_sel_hi:[0,1,0]
	v_fma_mixlo_f16 v102, v83, v97, 0 op_sel_hi:[0,1,0]
	v_or_b32_e32 v97, v98, v99
	v_and_b32_e32 v103, 0xffff, v103
	v_and_b32_e32 v87, 0xffff, v87
	;; [unrolled: 1-line block ×4, first 2 shown]
	v_fma_mixlo_f16 v99, v83, v97, 0 op_sel_hi:[0,1,0]
	v_fma_mixlo_f16 v97, v83, v98, 0 op_sel:[0,1,0] op_sel_hi:[0,1,0]
	v_fma_mixlo_f16 v98, v83, v84, 0 op_sel_hi:[0,1,0]
	v_or_b32_e32 v84, v175, v184
	ds_load_b64 v[184:185], v68
	v_and_b32_e32 v101, 0xffff, v101
	v_and_b32_e32 v97, 0xffff, v97
	;; [unrolled: 1-line block ×3, first 2 shown]
	v_fma_mixlo_f16 v86, v83, v84, 0 op_sel_hi:[0,1,0]
	v_or_b32_e32 v84, v186, v187
	s_delay_alu instid0(VALU_DEP_1)
	v_fma_mixlo_f16 v84, v83, v84, 0 op_sel_hi:[0,1,0]
	v_fma_mixlo_f16 v83, v83, v186, 0 op_sel:[0,1,0] op_sel_hi:[0,1,0]
	s_wait_dscnt 0x0
	v_lshrrev_b32_e32 v175, 16, v184
	v_and_b32_e32 v184, 0xffff, v184
	;;#ASMSTART
	v_cvt_f32_f16 v184, v184;
	;;#ASMEND
	v_and_b32_e32 v174, 0xffff, v174
	;;#ASMSTART
	v_cvt_f32_f16 v186, v175;
	;;#ASMEND
	;;#ASMSTART
	v_cvt_f32_f16 v187, v174;
	;;#ASMEND
	;; [unrolled: 3-line block ×3, first 2 shown]
	v_lshrrev_b32_e32 v174, 16, v185
	v_and_b32_e32 v175, 0xffff, v185
	;;#ASMSTART
	v_cvt_f32_f16 v185, v175;
	;;#ASMEND
	;;#ASMSTART
	v_cvt_f32_f16 v188, v174;
	;;#ASMEND
	;; [unrolled: 3-line block ×4, first 2 shown]
	ds_load_b64 v[174:175], v68 offset:8
	v_and_b32_e32 v96, 0xffff, v96
	s_wait_dscnt 0x0
	v_and_b32_e32 v87, 0xffff, v174
	v_lshrrev_b32_e32 v190, 16, v174
	;;#ASMSTART
	v_cvt_f32_f16 v87, v87;
	;;#ASMEND
	;;#ASMSTART
	v_cvt_f32_f16 v174, v190;
	;;#ASMEND
	;;#ASMSTART
	v_cvt_f32_f16 v102, v102;
	;;#ASMEND
	;;#ASMSTART
	v_cvt_f32_f16 v96, v96;
	;;#ASMEND
	v_dual_mul_f32 v96, v174, v96 :: v_dual_mul_f32 v87, v87, v102
	v_and_b32_e32 v102, 0xffff, v175
	;;#ASMSTART
	v_cvt_f32_f16 v102, v102;
	;;#ASMEND
	s_delay_alu instid0(VALU_DEP_2)
	v_fmac_f32_e32 v96, v186, v103
	v_lshrrev_b32_e32 v103, 16, v175
	v_and_b32_e32 v99, 0xffff, v99
	;;#ASMSTART
	v_cvt_f32_f16 v103, v103;
	;;#ASMEND
	;;#ASMSTART
	v_cvt_f32_f16 v99, v99;
	;;#ASMEND
	;; [unrolled: 3-line block ×3, first 2 shown]
	s_delay_alu instid0(VALU_DEP_1) | instskip(SKIP_1) | instid1(VALU_DEP_2)
	v_mul_f32_e32 v97, v102, v99
	v_fmac_f32_e32 v87, v184, v187
	v_fmac_f32_e32 v97, v185, v98
	v_mul_f32_e32 v98, v103, v174
	ds_load_b64 v[102:103], v68 offset:16
	s_wait_dscnt 0x0
	v_dual_fmac_f32 v98, v188, v189 :: v_dual_and_b32 v99, 0xffff, v102
	v_lshrrev_b32_e32 v174, 16, v102
	;;#ASMSTART
	v_cvt_f32_f16 v99, v99;
	;;#ASMEND
	;;#ASMSTART
	v_cvt_f32_f16 v102, v174;
	;;#ASMEND
	;;#ASMSTART
	v_cvt_f32_f16 v115, v115;
	;;#ASMEND
	;;#ASMSTART
	v_cvt_f32_f16 v114, v114;
	;;#ASMEND
	v_dual_fmac_f32 v87, v99, v115 :: v_dual_fmac_f32 v96, v102, v114
	v_lshrrev_b32_e32 v102, 16, v103
	v_and_b32_e32 v99, 0xffff, v103
	v_and_b32_e32 v100, 0xffff, v100
	;;#ASMSTART
	v_cvt_f32_f16 v99, v99;
	;;#ASMEND
	;;#ASMSTART
	v_cvt_f32_f16 v102, v102;
	;;#ASMEND
	;; [unrolled: 3-line block ×4, first 2 shown]
	v_dual_fmac_f32 v97, v99, v101 :: v_dual_fmac_f32 v98, v102, v100
	ds_load_b64 v[99:100], v68 offset:24
	v_and_b32_e32 v102, 0xffff, v119
	v_and_b32_e32 v103, 0xffff, v118
	s_wait_dscnt 0x0
	v_lshrrev_b32_e32 v101, 16, v99
	v_and_b32_e32 v99, 0xffff, v99
	;;#ASMSTART
	v_cvt_f32_f16 v99, v99;
	;;#ASMEND
	;;#ASMSTART
	v_cvt_f32_f16 v101, v101;
	;;#ASMEND
	;;#ASMSTART
	v_cvt_f32_f16 v102, v102;
	;;#ASMEND
	;;#ASMSTART
	v_cvt_f32_f16 v103, v103;
	;;#ASMEND
	v_dual_fmac_f32 v87, v99, v102 :: v_dual_fmac_f32 v96, v101, v103
	v_lshrrev_b32_e32 v101, 16, v100
	v_and_b32_e32 v99, 0xffff, v100
	;;#ASMSTART
	v_cvt_f32_f16 v99, v99;
	;;#ASMEND
	;;#ASMSTART
	v_cvt_f32_f16 v100, v101;
	;;#ASMEND
	v_and_b32_e32 v101, 0xffff, v113
	v_and_b32_e32 v102, 0xffff, v112
	;;#ASMSTART
	v_cvt_f32_f16 v101, v101;
	;;#ASMEND
	;;#ASMSTART
	v_cvt_f32_f16 v102, v102;
	;;#ASMEND
	s_delay_alu instid0(VALU_DEP_1)
	v_dual_fmac_f32 v97, v99, v101 :: v_dual_fmac_f32 v98, v100, v102
	ds_load_b64 v[99:100], v68 offset:32
	v_and_b32_e32 v102, 0xffff, v131
	v_and_b32_e32 v103, 0xffff, v130
	s_wait_dscnt 0x0
	v_lshrrev_b32_e32 v101, 16, v99
	v_and_b32_e32 v99, 0xffff, v99
	;;#ASMSTART
	v_cvt_f32_f16 v99, v99;
	;;#ASMEND
	;;#ASMSTART
	v_cvt_f32_f16 v101, v101;
	;;#ASMEND
	;;#ASMSTART
	v_cvt_f32_f16 v102, v102;
	;;#ASMEND
	;;#ASMSTART
	v_cvt_f32_f16 v103, v103;
	;;#ASMEND
	v_dual_fmac_f32 v87, v99, v102 :: v_dual_and_b32 v102, 0xffff, v116
	v_fmac_f32_e32 v96, v101, v103
	v_lshrrev_b32_e32 v101, 16, v100
	v_and_b32_e32 v99, 0xffff, v100
	;;#ASMSTART
	v_cvt_f32_f16 v99, v99;
	;;#ASMEND
	;;#ASMSTART
	v_cvt_f32_f16 v100, v101;
	;;#ASMEND
	v_and_b32_e32 v101, 0xffff, v117
	;;#ASMSTART
	v_cvt_f32_f16 v101, v101;
	;;#ASMEND
	;;#ASMSTART
	v_cvt_f32_f16 v102, v102;
	;;#ASMEND
	s_delay_alu instid0(VALU_DEP_1)
	v_dual_fmac_f32 v97, v99, v101 :: v_dual_fmac_f32 v98, v100, v102
	ds_load_b64 v[99:100], v68 offset:40
	v_and_b32_e32 v102, 0xffff, v135
	v_and_b32_e32 v103, 0xffff, v134
	s_wait_dscnt 0x0
	v_lshrrev_b32_e32 v101, 16, v99
	v_and_b32_e32 v99, 0xffff, v99
	;;#ASMSTART
	v_cvt_f32_f16 v99, v99;
	;;#ASMEND
	;;#ASMSTART
	v_cvt_f32_f16 v101, v101;
	;;#ASMEND
	;;#ASMSTART
	v_cvt_f32_f16 v102, v102;
	;;#ASMEND
	;;#ASMSTART
	v_cvt_f32_f16 v103, v103;
	;;#ASMEND
	v_dual_fmac_f32 v87, v99, v102 :: v_dual_and_b32 v102, 0xffff, v128
	v_fmac_f32_e32 v96, v101, v103
	v_lshrrev_b32_e32 v101, 16, v100
	v_and_b32_e32 v99, 0xffff, v100
	;;#ASMSTART
	v_cvt_f32_f16 v99, v99;
	;;#ASMEND
	;;#ASMSTART
	v_cvt_f32_f16 v100, v101;
	;;#ASMEND
	;; [unrolled: 37-line block ×16, first 2 shown]
	v_and_b32_e32 v101, 0xffff, v109
	;;#ASMSTART
	v_cvt_f32_f16 v101, v101;
	;;#ASMEND
	;;#ASMSTART
	v_cvt_f32_f16 v102, v102;
	;;#ASMEND
	s_delay_alu instid0(VALU_DEP_1)
	v_dual_fmac_f32 v97, v99, v101 :: v_dual_fmac_f32 v98, v100, v102
	ds_load_b64 v[99:100], v68 offset:160
	v_and_b32_e32 v102, 0xffff, v173
	v_and_b32_e32 v103, 0xffff, v172
	s_wait_dscnt 0x0
	v_lshrrev_b32_e32 v101, 16, v99
	v_and_b32_e32 v99, 0xffff, v99
	;;#ASMSTART
	v_cvt_f32_f16 v99, v99;
	;;#ASMEND
	;;#ASMSTART
	v_cvt_f32_f16 v101, v101;
	;;#ASMEND
	;; [unrolled: 3-line block ×4, first 2 shown]
	v_dual_fmac_f32 v87, v99, v102 :: v_dual_fmac_f32 v96, v101, v103
	v_lshrrev_b32_e32 v101, 16, v100
	v_and_b32_e32 v99, 0xffff, v100
	;;#ASMSTART
	v_cvt_f32_f16 v99, v99;
	;;#ASMEND
	;;#ASMSTART
	v_cvt_f32_f16 v100, v101;
	;;#ASMEND
	v_and_b32_e32 v101, 0xffff, v139
	;;#ASMSTART
	v_cvt_f32_f16 v101, v101;
	;;#ASMEND
	s_delay_alu instid0(VALU_DEP_1) | instskip(SKIP_1) | instid1(VALU_DEP_1)
	v_dual_fmac_f32 v97, v99, v101 :: v_dual_and_b32 v102, 0xffff, v138
	;;#ASMSTART
	v_cvt_f32_f16 v102, v102;
	;;#ASMEND
	v_fmac_f32_e32 v98, v100, v102
	ds_load_b64 v[99:100], v68 offset:168
	v_and_b32_e32 v102, 0xffff, v171
	v_and_b32_e32 v103, 0xffff, v170
	s_wait_dscnt 0x0
	v_lshrrev_b32_e32 v101, 16, v99
	v_and_b32_e32 v99, 0xffff, v99
	;;#ASMSTART
	v_cvt_f32_f16 v99, v99;
	;;#ASMEND
	;;#ASMSTART
	v_cvt_f32_f16 v101, v101;
	;;#ASMEND
	;;#ASMSTART
	v_cvt_f32_f16 v102, v102;
	;;#ASMEND
	;;#ASMSTART
	v_cvt_f32_f16 v103, v103;
	;;#ASMEND
	v_dual_fmac_f32 v87, v99, v102 :: v_dual_and_b32 v102, 0xffff, v168
	v_fmac_f32_e32 v96, v101, v103
	v_lshrrev_b32_e32 v101, 16, v100
	v_and_b32_e32 v99, 0xffff, v100
	;;#ASMSTART
	v_cvt_f32_f16 v99, v99;
	;;#ASMEND
	;;#ASMSTART
	v_cvt_f32_f16 v100, v101;
	;;#ASMEND
	v_and_b32_e32 v101, 0xffff, v169
	;;#ASMSTART
	v_cvt_f32_f16 v101, v101;
	;;#ASMEND
	;;#ASMSTART
	v_cvt_f32_f16 v102, v102;
	;;#ASMEND
	s_delay_alu instid0(VALU_DEP_1)
	v_dual_fmac_f32 v97, v99, v101 :: v_dual_fmac_f32 v98, v100, v102
	ds_load_b64 v[99:100], v68 offset:176
	v_and_b32_e32 v102, 0xffff, v159
	v_and_b32_e32 v103, 0xffff, v158
	s_wait_dscnt 0x0
	v_lshrrev_b32_e32 v101, 16, v99
	v_and_b32_e32 v99, 0xffff, v99
	;;#ASMSTART
	v_cvt_f32_f16 v99, v99;
	;;#ASMEND
	;;#ASMSTART
	v_cvt_f32_f16 v101, v101;
	;;#ASMEND
	;; [unrolled: 3-line block ×4, first 2 shown]
	v_dual_fmac_f32 v87, v99, v102 :: v_dual_and_b32 v102, 0xffff, v156
	v_fmac_f32_e32 v96, v101, v103
	v_lshrrev_b32_e32 v101, 16, v100
	v_and_b32_e32 v99, 0xffff, v100
	;;#ASMSTART
	v_cvt_f32_f16 v99, v99;
	;;#ASMEND
	;;#ASMSTART
	v_cvt_f32_f16 v100, v101;
	;;#ASMEND
	v_and_b32_e32 v101, 0xffff, v157
	;;#ASMSTART
	v_cvt_f32_f16 v101, v101;
	;;#ASMEND
	;;#ASMSTART
	v_cvt_f32_f16 v102, v102;
	;;#ASMEND
	s_delay_alu instid0(VALU_DEP_1)
	v_dual_fmac_f32 v97, v99, v101 :: v_dual_fmac_f32 v98, v100, v102
	ds_load_b64 v[99:100], v68 offset:184
	v_and_b32_e32 v102, 0xffff, v153
	v_and_b32_e32 v103, 0xffff, v152
	s_wait_dscnt 0x0
	v_lshrrev_b32_e32 v101, 16, v99
	v_and_b32_e32 v99, 0xffff, v99
	;;#ASMSTART
	v_cvt_f32_f16 v99, v99;
	;;#ASMEND
	;;#ASMSTART
	v_cvt_f32_f16 v101, v101;
	;;#ASMEND
	;; [unrolled: 3-line block ×4, first 2 shown]
	v_dual_fmac_f32 v87, v99, v102 :: v_dual_fmac_f32 v96, v101, v103
	v_lshrrev_b32_e32 v101, 16, v100
	v_and_b32_e32 v99, 0xffff, v100
	;;#ASMSTART
	v_cvt_f32_f16 v99, v99;
	;;#ASMEND
	;;#ASMSTART
	v_cvt_f32_f16 v100, v101;
	;;#ASMEND
	v_and_b32_e32 v101, 0xffff, v143
	;;#ASMSTART
	v_cvt_f32_f16 v101, v101;
	;;#ASMEND
	s_delay_alu instid0(VALU_DEP_1) | instskip(SKIP_1) | instid1(VALU_DEP_1)
	v_dual_fmac_f32 v97, v99, v101 :: v_dual_and_b32 v102, 0xffff, v142
	;;#ASMSTART
	v_cvt_f32_f16 v102, v102;
	;;#ASMEND
	v_fmac_f32_e32 v98, v100, v102
	ds_load_b64 v[99:100], v68 offset:192
	v_and_b32_e32 v102, 0xffff, v141
	v_and_b32_e32 v103, 0xffff, v140
	s_wait_dscnt 0x0
	v_lshrrev_b32_e32 v101, 16, v99
	v_and_b32_e32 v99, 0xffff, v99
	;;#ASMSTART
	v_cvt_f32_f16 v99, v99;
	;;#ASMEND
	;;#ASMSTART
	v_cvt_f32_f16 v101, v101;
	;;#ASMEND
	;; [unrolled: 3-line block ×4, first 2 shown]
	v_dual_fmac_f32 v87, v99, v102 :: v_dual_and_b32 v102, 0xffff, v136
	v_fmac_f32_e32 v96, v101, v103
	v_lshrrev_b32_e32 v101, 16, v100
	v_and_b32_e32 v99, 0xffff, v100
	;;#ASMSTART
	v_cvt_f32_f16 v99, v99;
	;;#ASMEND
	;;#ASMSTART
	v_cvt_f32_f16 v100, v101;
	;;#ASMEND
	v_and_b32_e32 v101, 0xffff, v137
	;;#ASMSTART
	v_cvt_f32_f16 v101, v101;
	;;#ASMEND
	;;#ASMSTART
	v_cvt_f32_f16 v102, v102;
	;;#ASMEND
	s_delay_alu instid0(VALU_DEP_1)
	v_dual_fmac_f32 v97, v99, v101 :: v_dual_fmac_f32 v98, v100, v102
	ds_load_b64 v[99:100], v68 offset:200
	v_and_b32_e32 v102, 0xffff, v127
	v_and_b32_e32 v103, 0xffff, v126
	s_wait_dscnt 0x0
	v_lshrrev_b32_e32 v101, 16, v99
	v_and_b32_e32 v99, 0xffff, v99
	;;#ASMSTART
	v_cvt_f32_f16 v99, v99;
	;;#ASMEND
	;;#ASMSTART
	v_cvt_f32_f16 v101, v101;
	;;#ASMEND
	;; [unrolled: 3-line block ×4, first 2 shown]
	v_dual_fmac_f32 v87, v99, v102 :: v_dual_fmac_f32 v96, v101, v103
	v_lshrrev_b32_e32 v101, 16, v100
	v_and_b32_e32 v99, 0xffff, v100
	;;#ASMSTART
	v_cvt_f32_f16 v99, v99;
	;;#ASMEND
	;;#ASMSTART
	v_cvt_f32_f16 v100, v101;
	;;#ASMEND
	v_and_b32_e32 v101, 0xffff, v124
	;;#ASMSTART
	v_cvt_f32_f16 v101, v101;
	;;#ASMEND
	s_delay_alu instid0(VALU_DEP_1) | instskip(SKIP_1) | instid1(VALU_DEP_1)
	v_dual_fmac_f32 v97, v99, v101 :: v_dual_and_b32 v102, 0xffff, v122
	;;#ASMSTART
	v_cvt_f32_f16 v102, v102;
	;;#ASMEND
	v_fmac_f32_e32 v98, v100, v102
	ds_load_b64 v[99:100], v68 offset:208
	v_and_b32_e32 v102, 0xffff, v121
	v_and_b32_e32 v103, 0xffff, v120
	s_wait_dscnt 0x0
	v_lshrrev_b32_e32 v101, 16, v99
	v_and_b32_e32 v99, 0xffff, v99
	;;#ASMSTART
	v_cvt_f32_f16 v99, v99;
	;;#ASMEND
	;;#ASMSTART
	v_cvt_f32_f16 v101, v101;
	;;#ASMEND
	;; [unrolled: 3-line block ×4, first 2 shown]
	v_dual_fmac_f32 v87, v99, v102 :: v_dual_fmac_f32 v96, v101, v103
	v_lshrrev_b32_e32 v101, 16, v100
	v_and_b32_e32 v99, 0xffff, v100
	;;#ASMSTART
	v_cvt_f32_f16 v99, v99;
	;;#ASMEND
	;;#ASMSTART
	v_cvt_f32_f16 v100, v101;
	;;#ASMEND
	v_and_b32_e32 v101, 0xffff, v111
	;;#ASMSTART
	v_cvt_f32_f16 v101, v101;
	;;#ASMEND
	s_delay_alu instid0(VALU_DEP_1) | instskip(SKIP_1) | instid1(VALU_DEP_1)
	v_dual_fmac_f32 v97, v99, v101 :: v_dual_and_b32 v102, 0xffff, v110
	;;#ASMSTART
	v_cvt_f32_f16 v102, v102;
	;;#ASMEND
	v_fmac_f32_e32 v98, v100, v102
	ds_load_b64 v[99:100], v68 offset:216
	v_and_b32_e32 v102, 0xffff, v107
	v_and_b32_e32 v103, 0xffff, v106
	s_wait_dscnt 0x0
	v_lshrrev_b32_e32 v101, 16, v99
	v_and_b32_e32 v99, 0xffff, v99
	;;#ASMSTART
	v_cvt_f32_f16 v99, v99;
	;;#ASMEND
	;;#ASMSTART
	v_cvt_f32_f16 v101, v101;
	;;#ASMEND
	;; [unrolled: 3-line block ×4, first 2 shown]
	v_dual_fmac_f32 v87, v99, v102 :: v_dual_and_b32 v102, 0xffff, v104
	v_fmac_f32_e32 v96, v101, v103
	v_lshrrev_b32_e32 v101, 16, v100
	v_and_b32_e32 v99, 0xffff, v100
	;;#ASMSTART
	v_cvt_f32_f16 v99, v99;
	;;#ASMEND
	;;#ASMSTART
	v_cvt_f32_f16 v100, v101;
	;;#ASMEND
	v_and_b32_e32 v101, 0xffff, v105
	;;#ASMSTART
	v_cvt_f32_f16 v101, v101;
	;;#ASMEND
	;;#ASMSTART
	v_cvt_f32_f16 v102, v102;
	;;#ASMEND
	s_delay_alu instid0(VALU_DEP_1)
	v_dual_fmac_f32 v97, v99, v101 :: v_dual_fmac_f32 v98, v100, v102
	ds_load_b64 v[99:100], v68 offset:224
	v_and_b32_e32 v102, 0xffff, v93
	v_and_b32_e32 v103, 0xffff, v92
	s_wait_dscnt 0x0
	v_lshrrev_b32_e32 v101, 16, v99
	v_and_b32_e32 v99, 0xffff, v99
	;;#ASMSTART
	v_cvt_f32_f16 v99, v99;
	;;#ASMEND
	;;#ASMSTART
	v_cvt_f32_f16 v101, v101;
	;;#ASMEND
	;; [unrolled: 3-line block ×4, first 2 shown]
	v_dual_fmac_f32 v87, v99, v102 :: v_dual_fmac_f32 v96, v101, v103
	v_lshrrev_b32_e32 v101, 16, v100
	v_and_b32_e32 v99, 0xffff, v100
	;;#ASMSTART
	v_cvt_f32_f16 v99, v99;
	;;#ASMEND
	;;#ASMSTART
	v_cvt_f32_f16 v100, v101;
	;;#ASMEND
	v_and_b32_e32 v101, 0xffff, v91
	v_and_b32_e32 v102, 0xffff, v90
	;;#ASMSTART
	v_cvt_f32_f16 v101, v101;
	;;#ASMEND
	;;#ASMSTART
	v_cvt_f32_f16 v102, v102;
	;;#ASMEND
	s_delay_alu instid0(VALU_DEP_1)
	v_dual_fmac_f32 v97, v99, v101 :: v_dual_fmac_f32 v98, v100, v102
	ds_load_b64 v[99:100], v68 offset:232
	v_and_b32_e32 v102, 0xffff, v79
	v_and_b32_e32 v103, 0xffff, v78
	s_wait_dscnt 0x0
	v_lshrrev_b32_e32 v101, 16, v99
	v_and_b32_e32 v99, 0xffff, v99
	;;#ASMSTART
	v_cvt_f32_f16 v99, v99;
	;;#ASMEND
	;;#ASMSTART
	v_cvt_f32_f16 v101, v101;
	;;#ASMEND
	;; [unrolled: 3-line block ×4, first 2 shown]
	v_dual_fmac_f32 v87, v99, v102 :: v_dual_fmac_f32 v96, v101, v103
	v_lshrrev_b32_e32 v101, 16, v100
	v_and_b32_e32 v99, 0xffff, v100
	;;#ASMSTART
	v_cvt_f32_f16 v99, v99;
	;;#ASMEND
	;;#ASMSTART
	v_cvt_f32_f16 v100, v101;
	;;#ASMEND
	v_and_b32_e32 v101, 0xffff, v77
	v_and_b32_e32 v102, 0xffff, v76
	;;#ASMSTART
	v_cvt_f32_f16 v101, v101;
	;;#ASMEND
	;;#ASMSTART
	v_cvt_f32_f16 v102, v102;
	;;#ASMEND
	s_delay_alu instid0(VALU_DEP_1)
	v_dual_fmac_f32 v97, v99, v101 :: v_dual_fmac_f32 v98, v100, v102
	ds_load_b64 v[99:100], v68 offset:240
	s_wait_dscnt 0x0
	v_lshrrev_b32_e32 v101, 16, v99
	v_and_b32_e32 v99, 0xffff, v99
	;;#ASMSTART
	v_cvt_f32_f16 v99, v99;
	;;#ASMEND
	;;#ASMSTART
	v_cvt_f32_f16 v101, v101;
	;;#ASMEND
	;;#ASMSTART
	v_cvt_f32_f16 v29, v29;
	;;#ASMEND
	;;#ASMSTART
	v_cvt_f32_f16 v28, v28;
	;;#ASMEND
	v_dual_fmac_f32 v87, v99, v29 :: v_dual_fmac_f32 v96, v101, v28
	v_lshrrev_b32_e32 v29, 16, v100
	v_and_b32_e32 v28, 0xffff, v100
	;;#ASMSTART
	v_cvt_f32_f16 v28, v28;
	;;#ASMEND
	;;#ASMSTART
	v_cvt_f32_f16 v29, v29;
	;;#ASMEND
	;; [unrolled: 3-line block ×4, first 2 shown]
	v_dual_fmac_f32 v97, v28, v9 :: v_dual_fmac_f32 v98, v29, v7
	ds_load_b64 v[28:29], v68 offset:248
	s_wait_dscnt 0x0
	v_lshrrev_b32_e32 v9, 16, v28
	v_and_b32_e32 v7, 0xffff, v28
	;;#ASMSTART
	v_cvt_f32_f16 v7, v7;
	;;#ASMEND
	;;#ASMSTART
	v_cvt_f32_f16 v9, v9;
	;;#ASMEND
	v_and_b32_e32 v28, 0xffff, v86
	;;#ASMSTART
	v_cvt_f32_f16 v28, v28;
	;;#ASMEND
	;;#ASMSTART
	v_cvt_f32_f16 v85, v85;
	;;#ASMEND
	s_delay_alu instid0(VALU_DEP_1)
	v_dual_fmac_f32 v87, v7, v28 :: v_dual_fmac_f32 v96, v9, v85
	v_lshrrev_b32_e32 v9, 16, v29
	v_and_b32_e32 v7, 0xffff, v29
	;;#ASMSTART
	v_cvt_f32_f16 v7, v7;
	;;#ASMEND
	;;#ASMSTART
	v_cvt_f32_f16 v9, v9;
	;;#ASMEND
	v_and_b32_e32 v28, 0xffff, v84
	v_and_b32_e32 v29, 0xffff, v83
	;;#ASMSTART
	v_cvt_f32_f16 v28, v28;
	;;#ASMEND
	;;#ASMSTART
	v_cvt_f32_f16 v29, v29;
	;;#ASMEND
	s_delay_alu instid0(VALU_DEP_1) | instskip(SKIP_3) | instid1(VALU_DEP_3)
	v_fmac_f32_e32 v98, v9, v29
	v_xor_b32_e32 v9, 1, v64
	v_fmac_f32_e32 v97, v7, v28
	v_add_f32_e32 v7, v87, v96
	v_cmp_gt_i32_e64 s3, 32, v9
	s_delay_alu instid0(VALU_DEP_2) | instskip(SKIP_1) | instid1(VALU_DEP_2)
	v_add_f32_e32 v7, v7, v97
	s_wait_alu 0xf1ff
	v_cndmask_b32_e64 v9, v64, v9, s3
	s_delay_alu instid0(VALU_DEP_2) | instskip(NEXT) | instid1(VALU_DEP_2)
	v_add_f32_e32 v7, v98, v7
	v_lshlrev_b32_e32 v9, 2, v9
	ds_bpermute_b32 v9, v9, v7
	s_and_saveexec_b32 s20, vcc_lo
	s_cbranch_execz .LBB270_11
; %bb.1043:                             ;   in Loop: Header=BB270_13 Depth=1
	s_load_b32 s21, s[8:9], 0x0
	s_wait_dscnt 0x0
	v_add_f32_e32 v7, v7, v9
	v_add_nc_u32_e32 v28, v80, v69
	s_delay_alu instid0(VALU_DEP_1) | instskip(NEXT) | instid1(VALU_DEP_1)
	v_cvt_f32_i32_e32 v28, v28
	v_mul_f32_e32 v28, v55, v28
	s_delay_alu instid0(VALU_DEP_1) | instskip(SKIP_1) | instid1(VALU_DEP_1)
	v_cndmask_b32_e64 v9, 0, v28, s2
	v_add_nc_u32_e32 v28, v66, v69
	v_cmp_lt_i32_e64 s3, v28, v34
	s_wait_kmcnt 0x0
	v_add_nc_u32_e32 v28, s21, v71
	v_fmac_f32_e32 v9, v13, v7
	v_max_num_f32_e32 v7, v67, v67
	s_delay_alu instid0(VALU_DEP_1) | instskip(SKIP_2) | instid1(VALU_DEP_2)
	v_max_num_f32_e32 v7, v7, v9
	s_wait_alu 0xf1ff
	v_cndmask_b32_e64 v9, 0, v9, s3
	v_cndmask_b32_e64 v67, v67, v7, s3
	ds_store_b32 v28, v9
	s_branch .LBB270_11
.LBB270_1044:
	s_or_b32 exec_lo, exec_lo, s19
.LBB270_1045:
	s_wait_alu 0xfffe
	s_or_b32 exec_lo, exec_lo, s18
	v_xor_b32_e32 v7, 16, v64
	v_xor_b32_e32 v8, 8, v64
	v_and_b32_e32 v13, 31, v33
	v_lshlrev_b32_e32 v24, 2, v36
	s_delay_alu instid0(VALU_DEP_4)
	v_cmp_gt_i32_e32 vcc_lo, 32, v7
	s_wait_alu 0xfffd
	v_cndmask_b32_e32 v7, v64, v7, vcc_lo
	v_cmp_gt_i32_e32 vcc_lo, 32, v8
	s_wait_dscnt 0x0
	s_wait_alu 0xfffd
	v_dual_max_num_f32 v9, v67, v67 :: v_dual_cndmask_b32 v8, v64, v8
	s_delay_alu instid0(VALU_DEP_1) | instskip(SKIP_4) | instid1(VALU_DEP_1)
	v_lshlrev_b32_e32 v20, 2, v8
	v_lshlrev_b32_e32 v19, 2, v7
	ds_bpermute_b32 v7, v19, v67
	s_wait_dscnt 0x0
	v_max_num_f32_e32 v7, v7, v7
	v_max_num_f32_e32 v7, v9, v7
	v_xor_b32_e32 v9, 4, v64
	ds_bpermute_b32 v8, v20, v7
	v_cmp_gt_i32_e32 vcc_lo, 32, v9
	s_wait_alu 0xfffd
	v_cndmask_b32_e32 v9, v64, v9, vcc_lo
	s_delay_alu instid0(VALU_DEP_1) | instskip(SKIP_1) | instid1(VALU_DEP_1)
	v_lshlrev_b32_e32 v21, 2, v9
	v_xor_b32_e32 v9, 2, v64
	v_cmp_gt_i32_e32 vcc_lo, 32, v9
	s_wait_dscnt 0x0
	v_max_num_f32_e32 v8, v8, v8
	s_wait_alu 0xfffd
	v_cndmask_b32_e32 v9, v64, v9, vcc_lo
	v_cmp_eq_u32_e32 vcc_lo, 0, v13
	s_delay_alu instid0(VALU_DEP_3) | instskip(NEXT) | instid1(VALU_DEP_3)
	v_max_num_f32_e32 v7, v7, v8
	v_lshlrev_b32_e32 v9, 2, v9
	ds_bpermute_b32 v8, v21, v7
	s_wait_dscnt 0x0
	v_max_num_f32_e32 v8, v8, v8
	s_delay_alu instid0(VALU_DEP_1)
	v_max_num_f32_e32 v7, v7, v8
	ds_bpermute_b32 v8, v9, v7
	s_and_saveexec_b32 s2, vcc_lo
	s_cbranch_execz .LBB270_1047
; %bb.1046:
	s_wait_dscnt 0x0
	v_dual_max_num_f32 v8, v8, v8 :: v_dual_max_num_f32 v7, v7, v7
	s_delay_alu instid0(VALU_DEP_1)
	v_max_num_f32_e32 v7, v7, v8
	ds_store_b32 v24, v7 offset:512
.LBB270_1047:
	s_wait_alu 0xfffe
	s_or_b32 exec_lo, exec_lo, s2
	v_cmp_gt_u32_e64 s2, 4, v13
	v_mov_b32_e32 v7, 0xff7fffff
	v_lshlrev_b32_e32 v25, 2, v13
	s_wait_loadcnt_dscnt 0x0
	s_barrier_signal -1
	s_barrier_wait -1
	global_inv scope:SCOPE_SE
	s_and_saveexec_b32 s3, s2
; %bb.1048:
	ds_load_b32 v7, v25 offset:512
; %bb.1049:
	s_wait_alu 0xfffe
	s_or_b32 exec_lo, exec_lo, s3
	s_wait_dscnt 0x0
	ds_bpermute_b32 v8, v9, v7
	v_xor_b32_e32 v18, 1, v64
	v_max_num_f32_e32 v7, v7, v7
	v_subrev_nc_u32_e32 v29, s17, v48
	v_mov_b32_e32 v28, 0
	s_delay_alu instid0(VALU_DEP_4) | instskip(SKIP_1) | instid1(VALU_DEP_1)
	v_cmp_gt_i32_e64 s3, 32, v18
	s_wait_alu 0xf1ff
	v_cndmask_b32_e64 v18, v64, v18, s3
	s_wait_dscnt 0x0
	v_max_num_f32_e32 v8, v8, v8
	s_delay_alu instid0(VALU_DEP_1) | instskip(SKIP_3) | instid1(VALU_DEP_1)
	v_dual_max_num_f32 v7, v7, v8 :: v_dual_lshlrev_b32 v18, 2, v18
	ds_bpermute_b32 v8, v18, v7
	s_wait_dscnt 0x0
	v_max_num_f32_e32 v8, v8, v8
	v_max_num_f32_e32 v7, v7, v8
	v_lshl_add_u32 v8, v29, 4, s13
	ds_bpermute_b32 v7, v28, v7
	v_min_i32_e32 v8, v8, v34
	s_delay_alu instid0(VALU_DEP_1) | instskip(NEXT) | instid1(VALU_DEP_1)
	v_subrev_nc_u32_e32 v8, s13, v8
	v_cmp_lt_i32_e64 s3, v33, v8
	s_and_saveexec_b32 s8, s3
	s_cbranch_execz .LBB270_1053
; %bb.1050:
	s_getpc_b64 s[18:19]
	s_wait_alu 0xfffe
	s_sext_i32_i16 s19, s19
	s_add_co_u32 s18, s18, llvm.amdgcn.dynlds.offset.table@rel32@lo+12
	s_wait_alu 0xfffe
	s_add_co_ci_u32 s19, s19, llvm.amdgcn.dynlds.offset.table@rel32@hi+24
	s_wait_kmcnt 0x0
	s_ashr_i32 s11, s10, 31
	v_dual_mov_b32 v28, 0 :: v_dual_mov_b32 v55, v33
	s_wait_alu 0xfffe
	s_lshl_b64 s[20:21], s[10:11], 2
	s_mov_b32 s9, 0
	s_wait_alu 0xfffe
	s_add_nc_u64 s[18:19], s[18:19], s[20:21]
	s_load_b32 s4, s[18:19], 0x0
	s_wait_kmcnt 0x0
	v_lshl_add_u32 v29, v33, 2, s4
.LBB270_1051:                           ; =>This Inner Loop Header: Depth=1
	ds_load_b32 v64, v29
	s_wait_dscnt 0x0
	v_sub_f32_e32 v64, v64, v7
	s_delay_alu instid0(VALU_DEP_1) | instskip(NEXT) | instid1(VALU_DEP_1)
	v_mul_f32_e32 v64, 0x3fb8aa3b, v64
	v_exp_f32_e32 v64, v64
	s_delay_alu instid0(TRANS32_DEP_1) | instskip(NEXT) | instid1(VALU_DEP_1)
	v_dual_add_f32 v28, v28, v64 :: v_dual_add_nc_u32 v55, 0x80, v55
	v_cmp_ge_i32_e64 s4, v55, v8
	ds_store_b32 v29, v64
	v_add_nc_u32_e32 v29, 0x200, v29
	s_or_b32 s9, s4, s9
	s_wait_alu 0xfffe
	s_and_not1_b32 exec_lo, exec_lo, s9
	s_cbranch_execnz .LBB270_1051
; %bb.1052:
	s_or_b32 exec_lo, exec_lo, s9
.LBB270_1053:
	s_wait_alu 0xfffe
	s_or_b32 exec_lo, exec_lo, s8
	ds_bpermute_b32 v19, v19, v28
	s_wait_dscnt 0x0
	v_add_f32_e32 v19, v28, v19
	ds_bpermute_b32 v20, v20, v19
	s_wait_dscnt 0x0
	v_add_f32_e32 v19, v19, v20
	;; [unrolled: 3-line block ×5, first 2 shown]
	s_and_saveexec_b32 s4, vcc_lo
; %bb.1054:
	ds_store_b32 v24, v19 offset:528
; %bb.1055:
	s_wait_alu 0xfffe
	s_or_b32 exec_lo, exec_lo, s4
	s_wait_loadcnt_dscnt 0x0
	s_barrier_signal -1
	s_barrier_wait -1
	global_inv scope:SCOPE_SE
	s_and_saveexec_b32 s4, s2
; %bb.1056:
	ds_load_b32 v19, v25 offset:528
; %bb.1057:
	s_wait_alu 0xfffe
	s_or_b32 exec_lo, exec_lo, s4
	s_wait_dscnt 0x0
	ds_bpermute_b32 v9, v9, v19
	s_wait_dscnt 0x0
	v_add_f32_e32 v9, v19, v9
	ds_bpermute_b32 v19, v18, v9
	s_wait_dscnt 0x0
	v_add_f32_e32 v9, v9, v19
	v_mov_b32_e32 v19, 0
	ds_bpermute_b32 v9, v19, v9
	s_and_saveexec_b32 s2, s3
	s_cbranch_execz .LBB270_1060
; %bb.1058:
	s_wait_dscnt 0x0
	v_add_f32_e32 v20, 0x358637bd, v9
	s_wait_kmcnt 0x0
	s_ashr_i32 s11, s10, 31
	s_getpc_b64 s[8:9]
	s_wait_alu 0xfffe
	s_sext_i32_i16 s9, s9
	s_add_co_u32 s8, s8, llvm.amdgcn.dynlds.offset.table@rel32@lo+12
	s_wait_alu 0xfffe
	s_add_co_ci_u32 s9, s9, llvm.amdgcn.dynlds.offset.table@rel32@hi+24
	s_lshl_b64 s[18:19], s[10:11], 2
	s_wait_alu 0xfffe
	s_add_nc_u64 s[8:9], s[8:9], s[18:19]
	v_div_scale_f32 v19, null, v20, v20, 1.0
	v_div_scale_f32 v25, vcc_lo, 1.0, v20, 1.0
	s_load_b32 s3, s[8:9], 0x0
	v_rcp_f32_e32 v21, v19
	s_delay_alu instid0(TRANS32_DEP_1) | instskip(NEXT) | instid1(VALU_DEP_1)
	v_fma_f32 v24, -v19, v21, 1.0
	v_fmac_f32_e32 v21, v24, v21
	s_delay_alu instid0(VALU_DEP_1) | instskip(NEXT) | instid1(VALU_DEP_1)
	v_mul_f32_e32 v24, v25, v21
	v_fma_f32 v28, -v19, v24, v25
	s_delay_alu instid0(VALU_DEP_1) | instskip(NEXT) | instid1(VALU_DEP_1)
	v_fmac_f32_e32 v24, v28, v21
	v_fma_f32 v19, -v19, v24, v25
	s_delay_alu instid0(VALU_DEP_1) | instskip(SKIP_3) | instid1(VALU_DEP_2)
	v_div_fmas_f32 v21, v19, v21, v24
	s_wait_kmcnt 0x0
	v_lshl_add_u32 v19, v33, 2, s3
	s_mov_b32 s3, 0
	v_div_fixup_f32 v20, v21, v20, 1.0
	v_mov_b32_e32 v21, v33
.LBB270_1059:                           ; =>This Inner Loop Header: Depth=1
	ds_load_b32 v24, v19
	s_wait_dscnt 0x0
	v_dual_mul_f32 v24, v20, v24 :: v_dual_add_nc_u32 v21, 0x80, v21
	s_delay_alu instid0(VALU_DEP_1)
	v_cmp_ge_i32_e32 vcc_lo, v21, v8
	ds_store_b32 v19, v24
	v_add_nc_u32_e32 v19, 0x200, v19
	s_wait_alu 0xfffe
	s_or_b32 s3, vcc_lo, s3
	s_wait_alu 0xfffe
	s_and_not1_b32 exec_lo, exec_lo, s3
	s_cbranch_execnz .LBB270_1059
.LBB270_1060:
	s_wait_alu 0xfffe
	s_or_b32 exec_lo, exec_lo, s2
	s_and_b32 s2, 0xffff, s16
	s_mov_b32 s4, exec_lo
	s_wait_alu 0xfffe
	s_cmp_lg_u32 s2, 0
	s_wait_loadcnt_dscnt 0x0
	s_cselect_b32 s2, -1, 0
	s_barrier_signal -1
	s_wait_alu 0xfffe
	s_cmp_lg_u32 s2, 0
	s_barrier_wait -1
	s_wait_kmcnt 0x0
	s_add_co_ci_u32 s7, s7, 0
	global_inv scope:SCOPE_SE
	s_wait_alu 0xfffe
	s_mul_i32 s2, s7, s14
	s_wait_alu 0xfffe
	s_mul_i32 s2, s2, s15
	v_cmpx_eq_u32_e32 0, v33
	s_cbranch_execz .LBB270_1062
; %bb.1061:
	s_wait_alu 0xfffe
	s_ashr_i32 s3, s2, 31
	s_mul_i32 s8, s7, ttmp9
	s_wait_alu 0xfffe
	s_lshl_b64 s[14:15], s[2:3], 2
	s_ashr_i32 s9, s8, 31
	s_wait_alu 0xfffe
	v_add_co_u32 v2, vcc_lo, v2, s14
	s_wait_alu 0xfffd
	v_add_co_ci_u32_e64 v3, null, s15, v3, vcc_lo
	s_lshl_b64 s[8:9], s[8:9], 2
	s_lshl_b32 s3, s5, 2
	s_wait_alu 0xfffe
	v_add_co_u32 v2, vcc_lo, v2, s8
	s_wait_alu 0xfffd
	v_add_co_ci_u32_e64 v3, null, s9, v3, vcc_lo
	v_add_co_u32 v0, vcc_lo, v0, s14
	s_wait_alu 0xfffd
	v_add_co_ci_u32_e64 v1, null, s15, v1, vcc_lo
	s_delay_alu instid0(VALU_DEP_2) | instskip(SKIP_1) | instid1(VALU_DEP_2)
	v_add_co_u32 v8, vcc_lo, v0, s8
	s_wait_alu 0xfffd
	v_add_co_ci_u32_e64 v19, null, s9, v1, vcc_lo
	v_add_co_u32 v0, vcc_lo, v2, s3
	s_wait_alu 0xfffd
	v_add_co_ci_u32_e64 v1, null, 0, v3, vcc_lo
	;; [unrolled: 3-line block ×3, first 2 shown]
	flat_store_b32 v[0:1], v7
	flat_store_b32 v[2:3], v9
.LBB270_1062:
	s_or_b32 exec_lo, exec_lo, s4
	s_getpc_b64 s[4:5]
	s_wait_alu 0xfffe
	s_sext_i32_i16 s5, s5
	s_add_co_u32 s4, s4, llvm.amdgcn.dynlds.offset.table@rel32@lo+12
	s_wait_alu 0xfffe
	s_add_co_ci_u32 s5, s5, llvm.amdgcn.dynlds.offset.table@rel32@hi+24
	s_ashr_i32 s11, s10, 31
	v_dual_mov_b32 v70, 0 :: v_dual_mov_b32 v71, 0
	s_wait_alu 0xfffe
	s_lshl_b64 s[8:9], s[10:11], 2
	v_dual_mov_b32 v69, 0 :: v_dual_mov_b32 v68, 0
	s_wait_alu 0xfffe
	s_add_nc_u64 s[4:5], s[4:5], s[8:9]
	v_dual_mov_b32 v67, 0 :: v_dual_mov_b32 v66, 0
	s_load_b32 s8, s[4:5], 0x0
	v_dual_mov_b32 v65, 0 :: v_dual_mov_b32 v64, 0
	v_dual_mov_b32 v55, 0 :: v_dual_mov_b32 v28, 0
	;; [unrolled: 1-line block ×4, first 2 shown]
	v_mov_b32_e32 v21, 0
	s_wait_kmcnt 0x0
	v_dual_mov_b32 v19, 0 :: v_dual_mov_b32 v80, s8
	s_and_saveexec_b32 s3, s1
	s_cbranch_execz .LBB270_2124
; %bb.1063:
	v_max_i32_e32 v30, v30, v53
	v_add_co_u32 v2, vcc_lo, v10, v52
	s_wait_alu 0xfffd
	v_add_co_ci_u32_e64 v3, null, v11, v54, vcc_lo
	s_delay_alu instid0(VALU_DEP_3) | instskip(SKIP_3) | instid1(VALU_DEP_4)
	v_cvt_f32_u32_e32 v0, v30
	v_sub_nc_u32_e32 v11, 0, v30
	v_dual_mov_b32 v19, 0 :: v_dual_and_b32 v10, 1, v33
	v_mov_b32_e32 v67, 0
	v_rcp_iflag_f32_e32 v0, v0
	v_and_b32_e32 v53, 8, v50
	s_delay_alu instid0(VALU_DEP_3)
	v_lshlrev_b32_e32 v10, 5, v10
	v_dual_mov_b32 v20, 0 :: v_dual_and_b32 v7, 0xf8, v50
	v_add_co_u32 v8, vcc_lo, v16, v12
	s_wait_alu 0xfffd
	v_add_co_ci_u32_e64 v9, null, 0, v17, vcc_lo
	v_lshl_or_b32 v10, v36, 6, v10
	s_delay_alu instid0(TRANS32_DEP_1) | instskip(SKIP_3) | instid1(VALU_DEP_3)
	v_mul_f32_e32 v0, 0x4f7ffffe, v0
	v_add_co_u32 v2, vcc_lo, v2, v7
	s_wait_alu 0xfffd
	v_add_co_ci_u32_e64 v3, null, 0, v3, vcc_lo
	v_cvt_u32_f32_e32 v0, v0
	v_add_co_u32 v7, vcc_lo, v14, v8
	v_dual_mov_b32 v1, 0 :: v_dual_add_nc_u32 v50, -1, v51
	s_delay_alu instid0(VALU_DEP_3)
	v_mul_lo_u32 v11, v11, v0
	v_dual_mov_b32 v21, 0 :: v_dual_mov_b32 v24, 0
	v_dual_mov_b32 v25, 0 :: v_dual_mov_b32 v28, 0
	;; [unrolled: 1-line block ×4, first 2 shown]
	v_mul_hi_u32 v11, v0, v11
	v_dual_mov_b32 v65, 0 :: v_dual_mov_b32 v68, 0
	v_dual_mov_b32 v69, 0 :: v_dual_add_nc_u32 v14, s8, v10
	s_wait_alu 0xfffd
	v_add_co_ci_u32_e64 v8, null, v15, v9, vcc_lo
	v_mov_b32_e32 v71, 0
	v_dual_mov_b32 v70, 0 :: v_dual_add_nc_u32 v15, v0, v11
	s_mov_b32 s8, -1
	s_mov_b32 s9, 0xffffff
	s_mov_b32 s10, 0
	s_branch .LBB270_1066
.LBB270_1064:                           ;   in Loop: Header=BB270_1066 Depth=1
	s_wait_alu 0xfffe
	s_or_b32 exec_lo, exec_lo, s1
	v_dual_add_f32 v11, v11, v12 :: v_dual_add_f32 v12, v145, v146
	v_add_f32_e32 v16, v135, v144
	v_dual_add_f32 v82, v133, v134 :: v_dual_add_f32 v83, v131, v132
	s_delay_alu instid0(VALU_DEP_3) | instskip(SKIP_2) | instid1(VALU_DEP_4)
	v_dual_add_f32 v20, v20, v11 :: v_dual_add_f32 v21, v21, v12
	v_add_f32_e32 v11, v129, v130
	v_add_f32_e32 v12, v117, v118
	;; [unrolled: 1-line block ×3, first 2 shown]
	v_dual_add_f32 v24, v24, v16 :: v_dual_add_f32 v25, v25, v82
	s_delay_alu instid0(VALU_DEP_4)
	v_dual_add_f32 v29, v29, v11 :: v_dual_add_f32 v16, v115, v116
	v_add_f32_e32 v11, v119, v128
	v_add_f32_e32 v83, v103, v112
	;; [unrolled: 1-line block ×3, first 2 shown]
	;;#ASMSTART
	v_pk_mul_f16 v12, v81, v147;

	;;#ASMEND
	;;#ASMSTART
	v_pk_mul_f16 v10, v80, v10;

	;;#ASMEND
	;; [unrolled: 4-line block ×4, first 2 shown]
	v_dual_add_f32 v82, v113, v114 :: v_dual_add_f32 v55, v55, v11
	;;#ASMSTART
	v_pk_add_f16 v10, v12, v10;

	;;#ASMEND
	;;#ASMSTART
	v_pk_add_f16 v9, v10, v9;

	;;#ASMEND
	;;#ASMSTART
	v_pk_add_f16 v0, v9, v0;

	;;#ASMEND
	v_dual_add_f32 v11, v101, v102 :: v_dual_and_b32 v12, 0xffff, v0
	v_dual_add_f32 v65, v65, v16 :: v_dual_add_f32 v66, v66, v82
	v_lshrrev_b32_e32 v16, 16, v0
	;;#ASMSTART
	v_cvt_f32_f16 v12, v12;
	;;#ASMEND
	v_dual_add_f32 v0, v99, v100 :: v_dual_add_f32 v9, v97, v98
	v_add_f32_e32 v10, v17, v51
	;;#ASMSTART
	v_cvt_f32_f16 v16, v16;
	;;#ASMEND
	v_dual_add_f32 v12, v12, v16 :: v_dual_add_f32 v67, v67, v83
	s_delay_alu instid0(VALU_DEP_3) | instskip(NEXT) | instid1(VALU_DEP_3)
	v_dual_add_f32 v68, v68, v11 :: v_dual_add_f32 v69, v69, v0
	v_dual_add_f32 v71, v71, v9 :: v_dual_add_f32 v70, v70, v10
	s_delay_alu instid0(VALU_DEP_3)
	v_add_f32_e32 v19, v19, v12
.LBB270_1065:                           ;   in Loop: Header=BB270_1066 Depth=1
	s_wait_alu 0xfffe
	s_or_b32 exec_lo, exec_lo, s11
	v_add_nc_u32_e32 v23, 4, v23
	v_add_co_u32 v7, s1, v7, 16
	s_wait_alu 0xf1ff
	v_add_co_ci_u32_e64 v8, null, 0, v8, s1
	s_delay_alu instid0(VALU_DEP_3)
	v_cmp_ge_i32_e32 vcc_lo, v23, v48
	v_add_nc_u32_e32 v39, 64, v39
	v_add_nc_u32_e32 v14, 0x100, v14
	s_or_b32 s10, vcc_lo, s10
	s_wait_alu 0xfffe
	s_and_not1_b32 exec_lo, exec_lo, s10
	s_cbranch_execz .LBB270_2123
.LBB270_1066:                           ; =>This Inner Loop Header: Depth=1
	v_sub_nc_u32_e32 v0, 0, v39
	s_delay_alu instid0(VALU_DEP_1) | instskip(NEXT) | instid1(VALU_DEP_1)
	v_max_i32_e32 v0, v39, v0
	v_mul_hi_u32 v9, v0, v37
	s_delay_alu instid0(VALU_DEP_1) | instskip(NEXT) | instid1(VALU_DEP_1)
	v_mul_lo_u32 v10, v9, v35
	v_sub_nc_u32_e32 v0, v0, v10
	v_add_nc_u32_e32 v10, 1, v9
	s_delay_alu instid0(VALU_DEP_2) | instskip(SKIP_2) | instid1(VALU_DEP_2)
	v_sub_nc_u32_e32 v11, v0, v35
	v_cmp_ge_u32_e32 vcc_lo, v0, v35
	s_wait_alu 0xfffd
	v_dual_cndmask_b32 v9, v9, v10 :: v_dual_cndmask_b32 v0, v0, v11
	v_ashrrev_i32_e32 v10, 31, v39
	s_delay_alu instid0(VALU_DEP_2) | instskip(NEXT) | instid1(VALU_DEP_3)
	v_add_nc_u32_e32 v11, 1, v9
	v_cmp_ge_u32_e32 vcc_lo, v0, v35
	s_delay_alu instid0(VALU_DEP_3) | instskip(SKIP_1) | instid1(VALU_DEP_3)
	v_xor_b32_e32 v10, v10, v38
	s_wait_alu 0xfffd
	v_cndmask_b32_e32 v0, v9, v11, vcc_lo
	s_delay_alu instid0(VALU_DEP_1) | instskip(NEXT) | instid1(VALU_DEP_1)
	v_xor_b32_e32 v0, v0, v10
	v_sub_nc_u32_e32 v0, v0, v10
	s_delay_alu instid0(VALU_DEP_1) | instskip(SKIP_1) | instid1(VALU_DEP_2)
	v_add_nc_u32_e32 v9, v0, v6
	v_cmp_gt_i32_e64 s1, v0, v49
	v_sub_nc_u32_e32 v10, 0, v9
	s_delay_alu instid0(VALU_DEP_1) | instskip(NEXT) | instid1(VALU_DEP_1)
	v_max_i32_e32 v10, v9, v10
	v_mul_hi_u32 v11, v10, v15
	s_delay_alu instid0(VALU_DEP_1) | instskip(NEXT) | instid1(VALU_DEP_1)
	v_mul_lo_u32 v11, v11, v30
	v_sub_nc_u32_e32 v10, v10, v11
	s_delay_alu instid0(VALU_DEP_1) | instskip(SKIP_2) | instid1(VALU_DEP_2)
	v_sub_nc_u32_e32 v11, v10, v30
	v_cmp_ge_u32_e32 vcc_lo, v10, v30
	s_wait_alu 0xfffd
	v_cndmask_b32_e32 v10, v10, v11, vcc_lo
	v_ashrrev_i32_e32 v9, 31, v9
	s_delay_alu instid0(VALU_DEP_2) | instskip(SKIP_2) | instid1(VALU_DEP_2)
	v_sub_nc_u32_e32 v11, v10, v30
	v_cmp_ge_u32_e32 vcc_lo, v10, v30
	s_wait_alu 0xfffd
	v_cndmask_b32_e32 v10, v10, v11, vcc_lo
	s_delay_alu instid0(VALU_DEP_1) | instskip(NEXT) | instid1(VALU_DEP_1)
	v_xor_b32_e32 v10, v10, v9
	v_sub_nc_u32_e32 v9, v10, v9
	s_delay_alu instid0(VALU_DEP_1)
	v_cmp_eq_u32_e32 vcc_lo, 0, v9
	s_or_b32 s1, vcc_lo, s1
	s_wait_alu 0xfffe
	s_and_saveexec_b32 s11, s1
	s_cbranch_execz .LBB270_1065
; %bb.1067:                             ;   in Loop: Header=BB270_1066 Depth=1
	flat_load_b32 v0, v[7:8]
	ds_load_2addr_b64 v[80:83], v14 offset1:1
	ds_load_2addr_b64 v[84:87], v14 offset0:2 offset1:3
	s_mov_b32 s1, exec_lo
	s_wait_dscnt 0x1
	;;#ASMSTART
	v_cvt_f16_f32 v17, v80;

	;;#ASMEND
	;;#ASMSTART
	v_cvt_f16_f32 v51, v81;

	;;#ASMEND
	;; [unrolled: 4-line block ×4, first 2 shown]
	s_wait_dscnt 0x0
	;;#ASMSTART
	v_cvt_f16_f32 v81, v84;

	;;#ASMEND
	;;#ASMSTART
	v_cvt_f16_f32 v54, v85;

	;;#ASMEND
	;; [unrolled: 4-line block ×4, first 2 shown]
	v_dual_mov_b32 v84, 0 :: v_dual_mov_b32 v83, 0
	s_wait_loadcnt 0x0
	v_mad_co_i64_i32 v[9:10], null, v0, v22, v[2:3]
	flat_load_b64 v[11:12], v[9:10]
	flat_load_b32 v82, v[26:27]
	s_wait_loadcnt_dscnt 0x101
	v_and_b32_e32 v0, 0xff, v11
	s_delay_alu instid0(VALU_DEP_1)
	v_cmpx_ne_u16_e32 0, v0
	s_cbranch_execz .LBB270_1075
; %bb.1068:                             ;   in Loop: Header=BB270_1066 Depth=1
	v_mov_b32_e32 v84, 0x8000
	s_mov_b32 s14, exec_lo
	v_cmpx_ne_u16_e32 0x80, v0
	s_cbranch_execz .LBB270_1074
; %bb.1069:                             ;   in Loop: Header=BB270_1066 Depth=1
	v_and_b32_e32 v85, 0x7f, v11
	v_mov_b32_e32 v84, 0x7c01
	s_mov_b32 s15, exec_lo
	s_delay_alu instid0(VALU_DEP_2)
	v_cmpx_ne_u32_e32 0x7f, v85
	s_cbranch_execz .LBB270_1073
; %bb.1070:                             ;   in Loop: Header=BB270_1066 Depth=1
	v_and_b32_e32 v0, 7, v11
	v_lshrrev_b32_e32 v16, 3, v85
	s_mov_b32 s16, exec_lo
	v_cmpx_gt_u32_e32 8, v85
; %bb.1071:                             ;   in Loop: Header=BB270_1066 Depth=1
	s_delay_alu instid0(VALU_DEP_3) | instskip(NEXT) | instid1(VALU_DEP_1)
	v_clz_i32_u32_e32 v0, v0
	v_min_u32_e32 v0, 32, v0
	s_delay_alu instid0(VALU_DEP_1) | instskip(NEXT) | instid1(VALU_DEP_1)
	v_subrev_nc_u32_e32 v16, 28, v0
	v_lshlrev_b64_e32 v[84:85], v16, v[11:12]
	v_sub_nc_u32_e32 v16, 29, v0
	s_delay_alu instid0(VALU_DEP_2)
	v_and_b32_e32 v0, 7, v84
; %bb.1072:                             ;   in Loop: Header=BB270_1066 Depth=1
	s_wait_alu 0xfffe
	s_or_b32 exec_lo, exec_lo, s16
	v_lshlrev_b32_e32 v84, 8, v11
	v_lshl_add_u32 v16, v16, 10, 0x2000
	v_lshlrev_b32_e32 v0, 7, v0
	s_delay_alu instid0(VALU_DEP_3) | instskip(NEXT) | instid1(VALU_DEP_3)
	v_and_b32_e32 v84, 0x8000, v84
	v_and_b32_e32 v16, 0xfc00, v16
	s_delay_alu instid0(VALU_DEP_1)
	v_or3_b32 v84, v84, v16, v0
.LBB270_1073:                           ;   in Loop: Header=BB270_1066 Depth=1
	s_wait_alu 0xfffe
	s_or_b32 exec_lo, exec_lo, s15
.LBB270_1074:                           ;   in Loop: Header=BB270_1066 Depth=1
	s_wait_alu 0xfffe
	s_or_b32 exec_lo, exec_lo, s14
.LBB270_1075:                           ;   in Loop: Header=BB270_1066 Depth=1
	s_wait_alu 0xfffe
	s_or_b32 exec_lo, exec_lo, s1
	v_lshrrev_b16 v0, 8, v11
	s_mov_b32 s1, exec_lo
	s_delay_alu instid0(VALU_DEP_1)
	v_cmpx_ne_u16_e32 0, v0
	s_cbranch_execz .LBB270_1083
; %bb.1076:                             ;   in Loop: Header=BB270_1066 Depth=1
	v_bfrev_b32_e32 v83, 1
	s_mov_b32 s14, exec_lo
	v_cmpx_ne_u16_e32 0x80, v0
	s_cbranch_execz .LBB270_1082
; %bb.1077:                             ;   in Loop: Header=BB270_1066 Depth=1
	v_and_b32_e32 v16, 0xffff, v0
	v_mov_b32_e32 v83, 0x7c010000
	s_mov_b32 s15, exec_lo
	s_delay_alu instid0(VALU_DEP_2) | instskip(NEXT) | instid1(VALU_DEP_1)
	v_and_b32_e32 v86, 0x7f, v16
	v_cmpx_ne_u32_e32 0x7f, v86
	s_cbranch_execz .LBB270_1081
; %bb.1078:                             ;   in Loop: Header=BB270_1066 Depth=1
	v_and_b32_e32 v83, 7, v16
	v_lshrrev_b32_e32 v85, 3, v86
	s_mov_b32 s16, exec_lo
	v_cmpx_gt_u32_e32 8, v86
; %bb.1079:                             ;   in Loop: Header=BB270_1066 Depth=1
	s_delay_alu instid0(VALU_DEP_3) | instskip(NEXT) | instid1(VALU_DEP_1)
	v_clz_i32_u32_e32 v83, v83
	v_min_u32_e32 v83, 32, v83
	s_delay_alu instid0(VALU_DEP_1) | instskip(NEXT) | instid1(VALU_DEP_1)
	v_subrev_nc_u32_e32 v85, 28, v83
	v_lshlrev_b64_e32 v[86:87], v85, v[0:1]
	v_sub_nc_u32_e32 v85, 29, v83
	s_delay_alu instid0(VALU_DEP_2)
	v_and_b32_e32 v83, 7, v86
; %bb.1080:                             ;   in Loop: Header=BB270_1066 Depth=1
	s_wait_alu 0xfffe
	s_or_b32 exec_lo, exec_lo, s16
	v_lshlrev_b32_e32 v0, 8, v16
	v_lshl_add_u32 v16, v85, 10, 0x2000
	s_delay_alu instid0(VALU_DEP_1) | instskip(SKIP_1) | instid1(VALU_DEP_1)
	v_and_or_b32 v0, 0x8000, v0, v16
	v_lshlrev_b32_e32 v16, 23, v83
	v_lshl_or_b32 v83, v0, 16, v16
.LBB270_1081:                           ;   in Loop: Header=BB270_1066 Depth=1
	s_wait_alu 0xfffe
	s_or_b32 exec_lo, exec_lo, s15
.LBB270_1082:                           ;   in Loop: Header=BB270_1066 Depth=1
	s_wait_alu 0xfffe
	s_or_b32 exec_lo, exec_lo, s14
.LBB270_1083:                           ;   in Loop: Header=BB270_1066 Depth=1
	s_wait_alu 0xfffe
	s_or_b32 exec_lo, exec_lo, s1
	v_lshrrev_b32_e32 v0, 16, v11
	v_mov_b32_e32 v16, 0
	s_mov_b32 s1, exec_lo
	s_delay_alu instid0(VALU_DEP_2) | instskip(NEXT) | instid1(VALU_DEP_1)
	v_dual_mov_b32 v85, 0 :: v_dual_and_b32 v86, 0xff, v0
	v_cmpx_ne_u16_e32 0, v86
	s_cbranch_execz .LBB270_1091
; %bb.1084:                             ;   in Loop: Header=BB270_1066 Depth=1
	v_mov_b32_e32 v16, 0x8000
	s_mov_b32 s14, exec_lo
	v_cmpx_ne_u16_e32 0x80, v86
	s_cbranch_execz .LBB270_1090
; %bb.1085:                             ;   in Loop: Header=BB270_1066 Depth=1
	v_bfe_u32 v87, v11, 16, 7
	v_mov_b32_e32 v16, 0x7c01
	s_mov_b32 s15, exec_lo
	s_delay_alu instid0(VALU_DEP_2)
	v_cmpx_ne_u32_e32 0x7f, v87
	s_cbranch_execz .LBB270_1089
; %bb.1086:                             ;   in Loop: Header=BB270_1066 Depth=1
	v_and_b32_e32 v16, 7, v0
	v_lshrrev_b32_e32 v86, 3, v87
	s_mov_b32 s16, exec_lo
	v_cmpx_gt_u32_e32 8, v87
; %bb.1087:                             ;   in Loop: Header=BB270_1066 Depth=1
	s_delay_alu instid0(VALU_DEP_3) | instskip(NEXT) | instid1(VALU_DEP_1)
	v_clz_i32_u32_e32 v16, v16
	v_min_u32_e32 v16, 32, v16
	s_delay_alu instid0(VALU_DEP_1) | instskip(NEXT) | instid1(VALU_DEP_1)
	v_subrev_nc_u32_e32 v86, 28, v16
	v_lshlrev_b64_e32 v[99:100], v86, v[0:1]
	v_sub_nc_u32_e32 v86, 29, v16
	s_delay_alu instid0(VALU_DEP_2)
	v_and_b32_e32 v16, 7, v99
; %bb.1088:                             ;   in Loop: Header=BB270_1066 Depth=1
	s_wait_alu 0xfffe
	s_or_b32 exec_lo, exec_lo, s16
	v_lshlrev_b32_e32 v0, 8, v0
	v_lshl_add_u32 v86, v86, 10, 0x2000
	v_lshlrev_b32_e32 v16, 7, v16
	s_delay_alu instid0(VALU_DEP_3) | instskip(NEXT) | instid1(VALU_DEP_3)
	v_and_b32_e32 v0, 0x8000, v0
	v_and_b32_e32 v86, 0xfc00, v86
	s_delay_alu instid0(VALU_DEP_1)
	v_or3_b32 v16, v0, v86, v16
.LBB270_1089:                           ;   in Loop: Header=BB270_1066 Depth=1
	s_wait_alu 0xfffe
	s_or_b32 exec_lo, exec_lo, s15
.LBB270_1090:                           ;   in Loop: Header=BB270_1066 Depth=1
	s_wait_alu 0xfffe
	s_or_b32 exec_lo, exec_lo, s14
.LBB270_1091:                           ;   in Loop: Header=BB270_1066 Depth=1
	s_wait_alu 0xfffe
	s_or_b32 exec_lo, exec_lo, s1
	s_delay_alu instid0(SALU_CYCLE_1)
	s_mov_b32 s1, exec_lo
	v_cmpx_lt_u32_e32 0xffffff, v11
	s_cbranch_execz .LBB270_1099
; %bb.1092:                             ;   in Loop: Header=BB270_1066 Depth=1
	v_lshrrev_b32_e32 v0, 24, v11
	v_bfrev_b32_e32 v85, 1
	s_mov_b32 s14, exec_lo
	s_delay_alu instid0(VALU_DEP_2)
	v_cmpx_ne_u32_e32 0x80, v0
	s_cbranch_execz .LBB270_1098
; %bb.1093:                             ;   in Loop: Header=BB270_1066 Depth=1
	v_and_b32_e32 v87, 0x7f, v0
	v_mov_b32_e32 v85, 0x7c010000
	s_mov_b32 s15, exec_lo
	s_delay_alu instid0(VALU_DEP_2)
	v_cmpx_ne_u32_e32 0x7f, v87
	s_cbranch_execz .LBB270_1097
; %bb.1094:                             ;   in Loop: Header=BB270_1066 Depth=1
	v_and_b32_e32 v85, 7, v0
	v_lshrrev_b32_e32 v86, 3, v87
	s_mov_b32 s16, exec_lo
	v_cmpx_gt_u32_e32 8, v87
; %bb.1095:                             ;   in Loop: Header=BB270_1066 Depth=1
	s_delay_alu instid0(VALU_DEP_3) | instskip(NEXT) | instid1(VALU_DEP_1)
	v_clz_i32_u32_e32 v85, v85
	v_min_u32_e32 v87, 32, v85
	s_delay_alu instid0(VALU_DEP_1) | instskip(NEXT) | instid1(VALU_DEP_1)
	v_subrev_nc_u32_e32 v85, 28, v87
	v_lshlrev_b64_e32 v[85:86], v85, v[0:1]
	v_sub_nc_u32_e32 v86, 29, v87
	s_delay_alu instid0(VALU_DEP_2)
	v_and_b32_e32 v85, 7, v85
; %bb.1096:                             ;   in Loop: Header=BB270_1066 Depth=1
	s_wait_alu 0xfffe
	s_or_b32 exec_lo, exec_lo, s16
	v_lshlrev_b32_e32 v0, 8, v0
	v_lshl_add_u32 v86, v86, 10, 0x2000
	v_lshlrev_b32_e32 v85, 23, v85
	s_delay_alu instid0(VALU_DEP_2) | instskip(NEXT) | instid1(VALU_DEP_1)
	v_and_or_b32 v0, 0x8000, v0, v86
	v_lshl_or_b32 v85, v0, 16, v85
.LBB270_1097:                           ;   in Loop: Header=BB270_1066 Depth=1
	s_wait_alu 0xfffe
	s_or_b32 exec_lo, exec_lo, s15
.LBB270_1098:                           ;   in Loop: Header=BB270_1066 Depth=1
	s_wait_alu 0xfffe
	s_or_b32 exec_lo, exec_lo, s14
.LBB270_1099:                           ;   in Loop: Header=BB270_1066 Depth=1
	s_wait_alu 0xfffe
	s_or_b32 exec_lo, exec_lo, s1
	v_dual_mov_b32 v87, 0 :: v_dual_and_b32 v96, 0xff, v12
	v_mov_b32_e32 v0, v12
	v_mov_b32_e32 v86, 0
	s_mov_b32 s1, exec_lo
	s_delay_alu instid0(VALU_DEP_3)
	v_cmpx_ne_u16_e32 0, v96
	s_cbranch_execz .LBB270_1107
; %bb.1100:                             ;   in Loop: Header=BB270_1066 Depth=1
	v_mov_b32_e32 v87, 0x8000
	s_mov_b32 s14, exec_lo
	v_cmpx_ne_u16_e32 0x80, v96
	s_cbranch_execz .LBB270_1106
; %bb.1101:                             ;   in Loop: Header=BB270_1066 Depth=1
	v_and_b32_e32 v99, 0x7f, v12
	v_mov_b32_e32 v87, 0x7c01
	s_mov_b32 s15, exec_lo
	s_delay_alu instid0(VALU_DEP_2)
	v_cmpx_ne_u32_e32 0x7f, v99
	s_cbranch_execz .LBB270_1105
; %bb.1102:                             ;   in Loop: Header=BB270_1066 Depth=1
	v_and_b32_e32 v87, 7, v12
	v_lshrrev_b32_e32 v96, 3, v99
	s_mov_b32 s16, exec_lo
	v_cmpx_gt_u32_e32 8, v99
; %bb.1103:                             ;   in Loop: Header=BB270_1066 Depth=1
	s_delay_alu instid0(VALU_DEP_3) | instskip(NEXT) | instid1(VALU_DEP_1)
	v_clz_i32_u32_e32 v87, v87
	v_min_u32_e32 v87, 32, v87
	s_delay_alu instid0(VALU_DEP_1) | instskip(NEXT) | instid1(VALU_DEP_1)
	v_subrev_nc_u32_e32 v96, 28, v87
	v_lshlrev_b64_e32 v[99:100], v96, v[0:1]
	v_sub_nc_u32_e32 v96, 29, v87
	s_delay_alu instid0(VALU_DEP_2)
	v_and_b32_e32 v87, 7, v99
; %bb.1104:                             ;   in Loop: Header=BB270_1066 Depth=1
	s_wait_alu 0xfffe
	s_or_b32 exec_lo, exec_lo, s16
	v_lshlrev_b32_e32 v99, 8, v12
	v_lshl_add_u32 v96, v96, 10, 0x2000
	v_lshlrev_b32_e32 v87, 7, v87
	s_delay_alu instid0(VALU_DEP_3) | instskip(NEXT) | instid1(VALU_DEP_3)
	v_and_b32_e32 v99, 0x8000, v99
	v_and_b32_e32 v96, 0xfc00, v96
	s_delay_alu instid0(VALU_DEP_1)
	v_or3_b32 v87, v99, v96, v87
.LBB270_1105:                           ;   in Loop: Header=BB270_1066 Depth=1
	s_wait_alu 0xfffe
	s_or_b32 exec_lo, exec_lo, s15
.LBB270_1106:                           ;   in Loop: Header=BB270_1066 Depth=1
	s_wait_alu 0xfffe
	s_or_b32 exec_lo, exec_lo, s14
.LBB270_1107:                           ;   in Loop: Header=BB270_1066 Depth=1
	s_wait_alu 0xfffe
	s_or_b32 exec_lo, exec_lo, s1
	v_lshrrev_b16 v0, 8, v0
	v_mov_b32_e32 v96, 0
	s_mov_b32 s1, exec_lo
	s_delay_alu instid0(VALU_DEP_2)
	v_cmpx_ne_u16_e32 0, v0
	s_cbranch_execz .LBB270_1115
; %bb.1108:                             ;   in Loop: Header=BB270_1066 Depth=1
	v_bfrev_b32_e32 v96, 1
	s_mov_b32 s14, exec_lo
	v_cmpx_ne_u16_e32 0x80, v0
	s_cbranch_execz .LBB270_1114
; %bb.1109:                             ;   in Loop: Header=BB270_1066 Depth=1
	v_and_b32_e32 v99, 0xffff, v0
	v_mov_b32_e32 v96, 0x7c010000
	s_mov_b32 s15, exec_lo
	s_delay_alu instid0(VALU_DEP_2) | instskip(NEXT) | instid1(VALU_DEP_1)
	v_and_b32_e32 v101, 0x7f, v99
	v_cmpx_ne_u32_e32 0x7f, v101
	s_cbranch_execz .LBB270_1113
; %bb.1110:                             ;   in Loop: Header=BB270_1066 Depth=1
	v_and_b32_e32 v96, 7, v99
	v_lshrrev_b32_e32 v100, 3, v101
	s_mov_b32 s16, exec_lo
	v_cmpx_gt_u32_e32 8, v101
; %bb.1111:                             ;   in Loop: Header=BB270_1066 Depth=1
	s_delay_alu instid0(VALU_DEP_3) | instskip(NEXT) | instid1(VALU_DEP_1)
	v_clz_i32_u32_e32 v96, v96
	v_min_u32_e32 v96, 32, v96
	s_delay_alu instid0(VALU_DEP_1) | instskip(NEXT) | instid1(VALU_DEP_1)
	v_subrev_nc_u32_e32 v100, 28, v96
	v_lshlrev_b64_e32 v[101:102], v100, v[0:1]
	v_sub_nc_u32_e32 v100, 29, v96
	s_delay_alu instid0(VALU_DEP_2)
	v_and_b32_e32 v96, 7, v101
; %bb.1112:                             ;   in Loop: Header=BB270_1066 Depth=1
	s_wait_alu 0xfffe
	s_or_b32 exec_lo, exec_lo, s16
	v_lshlrev_b32_e32 v0, 8, v99
	v_lshl_add_u32 v99, v100, 10, 0x2000
	v_lshlrev_b32_e32 v96, 23, v96
	s_delay_alu instid0(VALU_DEP_2) | instskip(NEXT) | instid1(VALU_DEP_1)
	v_and_or_b32 v0, 0x8000, v0, v99
	v_lshl_or_b32 v96, v0, 16, v96
.LBB270_1113:                           ;   in Loop: Header=BB270_1066 Depth=1
	s_wait_alu 0xfffe
	s_or_b32 exec_lo, exec_lo, s15
.LBB270_1114:                           ;   in Loop: Header=BB270_1066 Depth=1
	s_wait_alu 0xfffe
	s_or_b32 exec_lo, exec_lo, s14
.LBB270_1115:                           ;   in Loop: Header=BB270_1066 Depth=1
	s_wait_alu 0xfffe
	s_or_b32 exec_lo, exec_lo, s1
	v_lshrrev_b32_e32 v0, 16, v12
	s_mov_b32 s1, exec_lo
	s_delay_alu instid0(VALU_DEP_1) | instskip(NEXT) | instid1(VALU_DEP_1)
	v_and_b32_e32 v99, 0xff, v0
	v_cmpx_ne_u16_e32 0, v99
	s_cbranch_execz .LBB270_1123
; %bb.1116:                             ;   in Loop: Header=BB270_1066 Depth=1
	v_mov_b32_e32 v86, 0x8000
	s_mov_b32 s14, exec_lo
	v_cmpx_ne_u16_e32 0x80, v99
	s_cbranch_execz .LBB270_1122
; %bb.1117:                             ;   in Loop: Header=BB270_1066 Depth=1
	v_bfe_u32 v100, v12, 16, 7
	v_mov_b32_e32 v86, 0x7c01
	s_mov_b32 s15, exec_lo
	s_delay_alu instid0(VALU_DEP_2)
	v_cmpx_ne_u32_e32 0x7f, v100
	s_cbranch_execz .LBB270_1121
; %bb.1118:                             ;   in Loop: Header=BB270_1066 Depth=1
	v_and_b32_e32 v86, 7, v0
	v_lshrrev_b32_e32 v99, 3, v100
	s_mov_b32 s16, exec_lo
	v_cmpx_gt_u32_e32 8, v100
; %bb.1119:                             ;   in Loop: Header=BB270_1066 Depth=1
	s_delay_alu instid0(VALU_DEP_3) | instskip(NEXT) | instid1(VALU_DEP_1)
	v_clz_i32_u32_e32 v86, v86
	v_min_u32_e32 v86, 32, v86
	s_delay_alu instid0(VALU_DEP_1) | instskip(NEXT) | instid1(VALU_DEP_1)
	v_subrev_nc_u32_e32 v99, 28, v86
	v_lshlrev_b64_e32 v[100:101], v99, v[0:1]
	v_sub_nc_u32_e32 v99, 29, v86
	s_delay_alu instid0(VALU_DEP_2)
	v_and_b32_e32 v86, 7, v100
; %bb.1120:                             ;   in Loop: Header=BB270_1066 Depth=1
	s_wait_alu 0xfffe
	s_or_b32 exec_lo, exec_lo, s16
	v_lshlrev_b32_e32 v0, 8, v0
	v_lshl_add_u32 v99, v99, 10, 0x2000
	v_lshlrev_b32_e32 v86, 7, v86
	s_delay_alu instid0(VALU_DEP_3) | instskip(NEXT) | instid1(VALU_DEP_3)
	v_and_b32_e32 v0, 0x8000, v0
	v_and_b32_e32 v99, 0xfc00, v99
	s_delay_alu instid0(VALU_DEP_1)
	v_or3_b32 v86, v0, v99, v86
.LBB270_1121:                           ;   in Loop: Header=BB270_1066 Depth=1
	s_wait_alu 0xfffe
	s_or_b32 exec_lo, exec_lo, s15
.LBB270_1122:                           ;   in Loop: Header=BB270_1066 Depth=1
	s_wait_alu 0xfffe
	s_or_b32 exec_lo, exec_lo, s14
.LBB270_1123:                           ;   in Loop: Header=BB270_1066 Depth=1
	s_wait_alu 0xfffe
	s_or_b32 exec_lo, exec_lo, s1
	v_cmp_lt_u64_e32 vcc_lo, s[8:9], v[11:12]
	v_mov_b32_e32 v11, 0
	s_and_saveexec_b32 s1, vcc_lo
	s_cbranch_execz .LBB270_1131
; %bb.1124:                             ;   in Loop: Header=BB270_1066 Depth=1
	v_lshrrev_b32_e32 v0, 24, v12
	v_bfrev_b32_e32 v11, 1
	s_mov_b32 s14, exec_lo
	s_delay_alu instid0(VALU_DEP_2)
	v_cmpx_ne_u32_e32 0x80, v0
	s_cbranch_execz .LBB270_1130
; %bb.1125:                             ;   in Loop: Header=BB270_1066 Depth=1
	v_and_b32_e32 v99, 0x7f, v0
	v_mov_b32_e32 v11, 0x7c010000
	s_mov_b32 s15, exec_lo
	s_delay_alu instid0(VALU_DEP_2)
	v_cmpx_ne_u32_e32 0x7f, v99
	s_cbranch_execz .LBB270_1129
; %bb.1126:                             ;   in Loop: Header=BB270_1066 Depth=1
	v_and_b32_e32 v11, 7, v0
	v_lshrrev_b32_e32 v12, 3, v99
	s_mov_b32 s16, exec_lo
	v_cmpx_gt_u32_e32 8, v99
; %bb.1127:                             ;   in Loop: Header=BB270_1066 Depth=1
	s_delay_alu instid0(VALU_DEP_3) | instskip(NEXT) | instid1(VALU_DEP_1)
	v_clz_i32_u32_e32 v11, v11
	v_min_u32_e32 v99, 32, v11
	s_delay_alu instid0(VALU_DEP_1) | instskip(NEXT) | instid1(VALU_DEP_1)
	v_subrev_nc_u32_e32 v11, 28, v99
	v_lshlrev_b64_e32 v[11:12], v11, v[0:1]
	v_sub_nc_u32_e32 v12, 29, v99
	s_delay_alu instid0(VALU_DEP_2)
	v_and_b32_e32 v11, 7, v11
; %bb.1128:                             ;   in Loop: Header=BB270_1066 Depth=1
	s_wait_alu 0xfffe
	s_or_b32 exec_lo, exec_lo, s16
	v_lshlrev_b32_e32 v0, 8, v0
	v_lshl_add_u32 v12, v12, 10, 0x2000
	v_lshlrev_b32_e32 v11, 23, v11
	s_delay_alu instid0(VALU_DEP_2) | instskip(NEXT) | instid1(VALU_DEP_1)
	v_and_or_b32 v0, 0x8000, v0, v12
	v_lshl_or_b32 v11, v0, 16, v11
.LBB270_1129:                           ;   in Loop: Header=BB270_1066 Depth=1
	s_wait_alu 0xfffe
	s_or_b32 exec_lo, exec_lo, s15
.LBB270_1130:                           ;   in Loop: Header=BB270_1066 Depth=1
	s_wait_alu 0xfffe
	s_or_b32 exec_lo, exec_lo, s14
.LBB270_1131:                           ;   in Loop: Header=BB270_1066 Depth=1
	s_wait_alu 0xfffe
	s_or_b32 exec_lo, exec_lo, s1
	v_or_b32_e32 v0, v85, v16
	s_wait_loadcnt_dscnt 0x0
	v_fma_mixlo_f16 v12, v82, v85, 0 op_sel:[0,1,0] op_sel_hi:[0,1,0]
	v_or_b32_e32 v84, v83, v84
	v_fma_mixlo_f16 v83, v82, v83, 0 op_sel:[0,1,0] op_sel_hi:[0,1,0]
	v_or_b32_e32 v85, v96, v87
	v_fma_mixlo_f16 v0, v82, v0, 0 op_sel_hi:[0,1,0]
	v_or_b32_e32 v86, v11, v86
	v_fma_mixlo_f16 v11, v82, v11, 0 op_sel:[0,1,0] op_sel_hi:[0,1,0]
	v_lshlrev_b32_e32 v113, 16, v83
	v_fma_mixlo_f16 v83, v82, v96, 0 op_sel:[0,1,0] op_sel_hi:[0,1,0]
	v_and_b32_e32 v102, 0xffff, v0
	v_fma_mixlo_f16 v0, v82, v84, 0 op_sel_hi:[0,1,0]
	v_fma_mixlo_f16 v84, v82, v85, 0 op_sel_hi:[0,1,0]
	;; [unrolled: 1-line block ×3, first 2 shown]
	v_add_nc_u32_e32 v16, v53, v39
	v_lshlrev_b32_e32 v12, 16, v12
	v_and_b32_e32 v115, 0xffff, v0
	v_lshlrev_b32_e32 v103, 16, v83
	v_and_b32_e32 v114, 0xffff, v84
	;; [unrolled: 2-line block ×3, first 2 shown]
	v_cmp_eq_u32_e32 vcc_lo, v50, v23
	v_or_b32_e32 v0, v12, v102
	v_or_b32_e32 v11, v113, v115
	;; [unrolled: 1-line block ×4, first 2 shown]
	v_add_nc_u32_e32 v96, 1, v16
	v_add_nc_u32_e32 v87, 2, v16
	v_add_nc_u32_e32 v86, 3, v16
	v_add_nc_u32_e32 v85, 4, v16
	v_add_nc_u32_e32 v84, 5, v16
	v_add_nc_u32_e32 v83, 6, v16
	v_add_nc_u32_e32 v82, 7, v16
	s_and_saveexec_b32 s14, vcc_lo
	s_cbranch_execz .LBB270_1133
; %bb.1132:                             ;   in Loop: Header=BB270_1066 Depth=1
	v_cmp_lt_i32_e64 s1, v16, v34
	s_wait_alu 0xf1ff
	s_delay_alu instid0(VALU_DEP_1) | instskip(SKIP_2) | instid1(VALU_DEP_1)
	v_cndmask_b32_e64 v0, 0, v115, s1
	v_cmp_lt_i32_e64 s1, v96, v34
	s_wait_alu 0xf1ff
	v_cndmask_b32_e64 v11, 0, v113, s1
	v_cmp_lt_i32_e64 s1, v87, v34
	s_delay_alu instid0(VALU_DEP_2) | instskip(SKIP_1) | instid1(VALU_DEP_2)
	v_or_b32_e32 v11, v0, v11
	s_wait_alu 0xf1ff
	v_cndmask_b32_e64 v99, 0, v102, s1
	v_cmp_lt_i32_e64 s1, v86, v34
	s_wait_alu 0xf1ff
	s_delay_alu instid0(VALU_DEP_1) | instskip(SKIP_1) | instid1(VALU_DEP_2)
	v_cndmask_b32_e64 v12, 0, v12, s1
	v_cmp_lt_i32_e64 s1, v85, v34
	v_or_b32_e32 v0, v99, v12
	s_wait_alu 0xf1ff
	s_delay_alu instid0(VALU_DEP_2) | instskip(SKIP_2) | instid1(VALU_DEP_1)
	v_cndmask_b32_e64 v101, 0, v114, s1
	v_cmp_lt_i32_e64 s1, v84, v34
	s_wait_alu 0xf1ff
	v_cndmask_b32_e64 v102, 0, v103, s1
	v_cmp_lt_i32_e64 s1, v83, v34
	s_delay_alu instid0(VALU_DEP_2) | instskip(SKIP_1) | instid1(VALU_DEP_2)
	v_or_b32_e32 v99, v101, v102
	s_wait_alu 0xf1ff
	v_cndmask_b32_e64 v103, 0, v112, s1
	v_cmp_lt_i32_e64 s1, v82, v34
	s_wait_alu 0xf1ff
	s_delay_alu instid0(VALU_DEP_1) | instskip(NEXT) | instid1(VALU_DEP_1)
	v_cndmask_b32_e64 v100, 0, v100, s1
	v_or_b32_e32 v101, v103, v100
.LBB270_1133:                           ;   in Loop: Header=BB270_1066 Depth=1
	s_wait_alu 0xfffe
	s_or_b32 exec_lo, exec_lo, s14
	v_and_b32_e32 v12, 0xffff, v17
	v_and_b32_e32 v17, 0xffff, v80
	;; [unrolled: 1-line block ×4, first 2 shown]
	s_mov_b32 s14, exec_lo
	v_lshl_or_b32 v81, v51, 16, v12
	v_lshl_or_b32 v80, v52, 16, v17
	;;#ASMSTART
	v_pk_mul_f16 v11, v81, v11;

	;;#ASMEND
	;;#ASMSTART
	v_pk_mul_f16 v0, v80, v0;

	;;#ASMEND
	v_lshl_or_b32 v54, v54, 16, v100
	v_lshl_or_b32 v52, v97, 16, v98
	;;#ASMSTART
	v_pk_mul_f16 v12, v54, v99;

	;;#ASMEND
	;;#ASMSTART
	v_pk_mul_f16 v17, v52, v101;

	;;#ASMEND
	;;#ASMSTART
	v_pk_add_f16 v0, v11, v0;

	;;#ASMEND
	;;#ASMSTART
	v_pk_add_f16 v0, v0, v12;
	;; [unrolled: 4-line block ×3, first 2 shown]

	;;#ASMEND
	v_and_b32_e32 v11, 0xffff, v0
	v_lshrrev_b32_e32 v0, 16, v0
	;;#ASMSTART
	v_cvt_f32_f16 v17, v11;
	;;#ASMEND
	;;#ASMSTART
	v_cvt_f32_f16 v51, v0;
	;;#ASMEND
	flat_load_b64 v[11:12], v[9:10] offset:256
	flat_load_b32 v97, v[26:27]
	v_dual_mov_b32 v98, 0 :: v_dual_mov_b32 v99, 0
	s_wait_loadcnt_dscnt 0x101
	v_and_b32_e32 v0, 0xff, v11
	s_delay_alu instid0(VALU_DEP_1)
	v_cmpx_ne_u16_e32 0, v0
	s_cbranch_execz .LBB270_1141
; %bb.1134:                             ;   in Loop: Header=BB270_1066 Depth=1
	v_mov_b32_e32 v99, 0x8000
	s_mov_b32 s15, exec_lo
	v_cmpx_ne_u16_e32 0x80, v0
	s_cbranch_execz .LBB270_1140
; %bb.1135:                             ;   in Loop: Header=BB270_1066 Depth=1
	v_and_b32_e32 v100, 0x7f, v11
	v_mov_b32_e32 v99, 0x7c01
	s_mov_b32 s16, exec_lo
	s_delay_alu instid0(VALU_DEP_2)
	v_cmpx_ne_u32_e32 0x7f, v100
	s_cbranch_execz .LBB270_1139
; %bb.1136:                             ;   in Loop: Header=BB270_1066 Depth=1
	v_and_b32_e32 v0, 7, v11
	v_lshrrev_b32_e32 v99, 3, v100
	s_mov_b32 s17, exec_lo
	v_cmpx_gt_u32_e32 8, v100
; %bb.1137:                             ;   in Loop: Header=BB270_1066 Depth=1
	s_delay_alu instid0(VALU_DEP_3) | instskip(NEXT) | instid1(VALU_DEP_1)
	v_clz_i32_u32_e32 v0, v0
	v_min_u32_e32 v0, 32, v0
	s_delay_alu instid0(VALU_DEP_1) | instskip(NEXT) | instid1(VALU_DEP_1)
	v_subrev_nc_u32_e32 v99, 28, v0
	v_lshlrev_b64_e32 v[100:101], v99, v[11:12]
	v_sub_nc_u32_e32 v99, 29, v0
	s_delay_alu instid0(VALU_DEP_2)
	v_and_b32_e32 v0, 7, v100
; %bb.1138:                             ;   in Loop: Header=BB270_1066 Depth=1
	s_wait_alu 0xfffe
	s_or_b32 exec_lo, exec_lo, s17
	v_lshlrev_b32_e32 v100, 8, v11
	v_lshl_add_u32 v99, v99, 10, 0x2000
	v_lshlrev_b32_e32 v0, 7, v0
	s_delay_alu instid0(VALU_DEP_3) | instskip(NEXT) | instid1(VALU_DEP_3)
	v_and_b32_e32 v100, 0x8000, v100
	v_and_b32_e32 v99, 0xfc00, v99
	s_delay_alu instid0(VALU_DEP_1)
	v_or3_b32 v99, v100, v99, v0
.LBB270_1139:                           ;   in Loop: Header=BB270_1066 Depth=1
	s_wait_alu 0xfffe
	s_or_b32 exec_lo, exec_lo, s16
.LBB270_1140:                           ;   in Loop: Header=BB270_1066 Depth=1
	s_wait_alu 0xfffe
	s_or_b32 exec_lo, exec_lo, s15
.LBB270_1141:                           ;   in Loop: Header=BB270_1066 Depth=1
	s_wait_alu 0xfffe
	s_or_b32 exec_lo, exec_lo, s14
	v_lshrrev_b16 v0, 8, v11
	s_mov_b32 s14, exec_lo
	s_delay_alu instid0(VALU_DEP_1)
	v_cmpx_ne_u16_e32 0, v0
	s_cbranch_execz .LBB270_1149
; %bb.1142:                             ;   in Loop: Header=BB270_1066 Depth=1
	v_bfrev_b32_e32 v98, 1
	s_mov_b32 s15, exec_lo
	v_cmpx_ne_u16_e32 0x80, v0
	s_cbranch_execz .LBB270_1148
; %bb.1143:                             ;   in Loop: Header=BB270_1066 Depth=1
	v_and_b32_e32 v100, 0xffff, v0
	v_mov_b32_e32 v98, 0x7c010000
	s_mov_b32 s16, exec_lo
	s_delay_alu instid0(VALU_DEP_2) | instskip(NEXT) | instid1(VALU_DEP_1)
	v_and_b32_e32 v102, 0x7f, v100
	v_cmpx_ne_u32_e32 0x7f, v102
	s_cbranch_execz .LBB270_1147
; %bb.1144:                             ;   in Loop: Header=BB270_1066 Depth=1
	v_and_b32_e32 v98, 7, v100
	v_lshrrev_b32_e32 v101, 3, v102
	s_mov_b32 s17, exec_lo
	v_cmpx_gt_u32_e32 8, v102
; %bb.1145:                             ;   in Loop: Header=BB270_1066 Depth=1
	s_delay_alu instid0(VALU_DEP_3) | instskip(NEXT) | instid1(VALU_DEP_1)
	v_clz_i32_u32_e32 v98, v98
	v_min_u32_e32 v98, 32, v98
	s_delay_alu instid0(VALU_DEP_1) | instskip(NEXT) | instid1(VALU_DEP_1)
	v_subrev_nc_u32_e32 v101, 28, v98
	v_lshlrev_b64_e32 v[102:103], v101, v[0:1]
	v_sub_nc_u32_e32 v101, 29, v98
	s_delay_alu instid0(VALU_DEP_2)
	v_and_b32_e32 v98, 7, v102
; %bb.1146:                             ;   in Loop: Header=BB270_1066 Depth=1
	s_wait_alu 0xfffe
	s_or_b32 exec_lo, exec_lo, s17
	v_lshlrev_b32_e32 v0, 8, v100
	v_lshl_add_u32 v100, v101, 10, 0x2000
	v_lshlrev_b32_e32 v98, 23, v98
	s_delay_alu instid0(VALU_DEP_2) | instskip(NEXT) | instid1(VALU_DEP_1)
	v_and_or_b32 v0, 0x8000, v0, v100
	v_lshl_or_b32 v98, v0, 16, v98
.LBB270_1147:                           ;   in Loop: Header=BB270_1066 Depth=1
	s_wait_alu 0xfffe
	s_or_b32 exec_lo, exec_lo, s16
.LBB270_1148:                           ;   in Loop: Header=BB270_1066 Depth=1
	s_wait_alu 0xfffe
	s_or_b32 exec_lo, exec_lo, s15
.LBB270_1149:                           ;   in Loop: Header=BB270_1066 Depth=1
	s_wait_alu 0xfffe
	s_or_b32 exec_lo, exec_lo, s14
	v_lshrrev_b32_e32 v0, 16, v11
	v_mov_b32_e32 v100, 0
	s_mov_b32 s14, exec_lo
	s_delay_alu instid0(VALU_DEP_2) | instskip(NEXT) | instid1(VALU_DEP_1)
	v_dual_mov_b32 v101, 0 :: v_dual_and_b32 v102, 0xff, v0
	v_cmpx_ne_u16_e32 0, v102
	s_cbranch_execz .LBB270_1157
; %bb.1150:                             ;   in Loop: Header=BB270_1066 Depth=1
	v_mov_b32_e32 v101, 0x8000
	s_mov_b32 s15, exec_lo
	v_cmpx_ne_u16_e32 0x80, v102
	s_cbranch_execz .LBB270_1156
; %bb.1151:                             ;   in Loop: Header=BB270_1066 Depth=1
	v_bfe_u32 v103, v11, 16, 7
	v_mov_b32_e32 v101, 0x7c01
	s_mov_b32 s16, exec_lo
	s_delay_alu instid0(VALU_DEP_2)
	v_cmpx_ne_u32_e32 0x7f, v103
	s_cbranch_execz .LBB270_1155
; %bb.1152:                             ;   in Loop: Header=BB270_1066 Depth=1
	v_and_b32_e32 v101, 7, v0
	v_lshrrev_b32_e32 v102, 3, v103
	s_mov_b32 s17, exec_lo
	v_cmpx_gt_u32_e32 8, v103
; %bb.1153:                             ;   in Loop: Header=BB270_1066 Depth=1
	s_delay_alu instid0(VALU_DEP_3) | instskip(NEXT) | instid1(VALU_DEP_1)
	v_clz_i32_u32_e32 v101, v101
	v_min_u32_e32 v103, 32, v101
	s_delay_alu instid0(VALU_DEP_1) | instskip(NEXT) | instid1(VALU_DEP_1)
	v_subrev_nc_u32_e32 v101, 28, v103
	v_lshlrev_b64_e32 v[101:102], v101, v[0:1]
	v_sub_nc_u32_e32 v102, 29, v103
	s_delay_alu instid0(VALU_DEP_2)
	v_and_b32_e32 v101, 7, v101
; %bb.1154:                             ;   in Loop: Header=BB270_1066 Depth=1
	s_wait_alu 0xfffe
	s_or_b32 exec_lo, exec_lo, s17
	v_lshlrev_b32_e32 v0, 8, v0
	v_lshl_add_u32 v102, v102, 10, 0x2000
	v_lshlrev_b32_e32 v101, 7, v101
	s_delay_alu instid0(VALU_DEP_3) | instskip(NEXT) | instid1(VALU_DEP_3)
	v_and_b32_e32 v0, 0x8000, v0
	v_and_b32_e32 v102, 0xfc00, v102
	s_delay_alu instid0(VALU_DEP_1)
	v_or3_b32 v101, v0, v102, v101
.LBB270_1155:                           ;   in Loop: Header=BB270_1066 Depth=1
	s_wait_alu 0xfffe
	s_or_b32 exec_lo, exec_lo, s16
.LBB270_1156:                           ;   in Loop: Header=BB270_1066 Depth=1
	s_wait_alu 0xfffe
	s_or_b32 exec_lo, exec_lo, s15
.LBB270_1157:                           ;   in Loop: Header=BB270_1066 Depth=1
	s_wait_alu 0xfffe
	s_or_b32 exec_lo, exec_lo, s14
	s_delay_alu instid0(SALU_CYCLE_1)
	s_mov_b32 s14, exec_lo
	v_cmpx_lt_u32_e32 0xffffff, v11
	s_cbranch_execz .LBB270_1165
; %bb.1158:                             ;   in Loop: Header=BB270_1066 Depth=1
	v_lshrrev_b32_e32 v0, 24, v11
	v_bfrev_b32_e32 v100, 1
	s_mov_b32 s15, exec_lo
	s_delay_alu instid0(VALU_DEP_2)
	v_cmpx_ne_u32_e32 0x80, v0
	s_cbranch_execz .LBB270_1164
; %bb.1159:                             ;   in Loop: Header=BB270_1066 Depth=1
	v_and_b32_e32 v103, 0x7f, v0
	v_mov_b32_e32 v100, 0x7c010000
	s_mov_b32 s16, exec_lo
	s_delay_alu instid0(VALU_DEP_2)
	v_cmpx_ne_u32_e32 0x7f, v103
	s_cbranch_execz .LBB270_1163
; %bb.1160:                             ;   in Loop: Header=BB270_1066 Depth=1
	v_and_b32_e32 v100, 7, v0
	v_lshrrev_b32_e32 v102, 3, v103
	s_mov_b32 s17, exec_lo
	v_cmpx_gt_u32_e32 8, v103
; %bb.1161:                             ;   in Loop: Header=BB270_1066 Depth=1
	s_delay_alu instid0(VALU_DEP_3) | instskip(NEXT) | instid1(VALU_DEP_1)
	v_clz_i32_u32_e32 v100, v100
	v_min_u32_e32 v100, 32, v100
	s_delay_alu instid0(VALU_DEP_1) | instskip(NEXT) | instid1(VALU_DEP_1)
	v_subrev_nc_u32_e32 v102, 28, v100
	v_lshlrev_b64_e32 v[112:113], v102, v[0:1]
	v_sub_nc_u32_e32 v102, 29, v100
	s_delay_alu instid0(VALU_DEP_2)
	v_and_b32_e32 v100, 7, v112
; %bb.1162:                             ;   in Loop: Header=BB270_1066 Depth=1
	s_wait_alu 0xfffe
	s_or_b32 exec_lo, exec_lo, s17
	v_lshlrev_b32_e32 v0, 8, v0
	v_lshl_add_u32 v102, v102, 10, 0x2000
	v_lshlrev_b32_e32 v100, 23, v100
	s_delay_alu instid0(VALU_DEP_2) | instskip(NEXT) | instid1(VALU_DEP_1)
	v_and_or_b32 v0, 0x8000, v0, v102
	v_lshl_or_b32 v100, v0, 16, v100
.LBB270_1163:                           ;   in Loop: Header=BB270_1066 Depth=1
	s_wait_alu 0xfffe
	s_or_b32 exec_lo, exec_lo, s16
.LBB270_1164:                           ;   in Loop: Header=BB270_1066 Depth=1
	s_wait_alu 0xfffe
	s_or_b32 exec_lo, exec_lo, s15
.LBB270_1165:                           ;   in Loop: Header=BB270_1066 Depth=1
	s_wait_alu 0xfffe
	s_or_b32 exec_lo, exec_lo, s14
	v_dual_mov_b32 v103, 0 :: v_dual_and_b32 v112, 0xff, v12
	v_mov_b32_e32 v0, v12
	v_mov_b32_e32 v102, 0
	s_mov_b32 s14, exec_lo
	s_delay_alu instid0(VALU_DEP_3)
	v_cmpx_ne_u16_e32 0, v112
	s_cbranch_execz .LBB270_1173
; %bb.1166:                             ;   in Loop: Header=BB270_1066 Depth=1
	v_mov_b32_e32 v103, 0x8000
	s_mov_b32 s15, exec_lo
	v_cmpx_ne_u16_e32 0x80, v112
	s_cbranch_execz .LBB270_1172
; %bb.1167:                             ;   in Loop: Header=BB270_1066 Depth=1
	v_and_b32_e32 v113, 0x7f, v12
	v_mov_b32_e32 v103, 0x7c01
	s_mov_b32 s16, exec_lo
	s_delay_alu instid0(VALU_DEP_2)
	v_cmpx_ne_u32_e32 0x7f, v113
	s_cbranch_execz .LBB270_1171
; %bb.1168:                             ;   in Loop: Header=BB270_1066 Depth=1
	v_and_b32_e32 v103, 7, v12
	v_lshrrev_b32_e32 v112, 3, v113
	s_mov_b32 s17, exec_lo
	v_cmpx_gt_u32_e32 8, v113
; %bb.1169:                             ;   in Loop: Header=BB270_1066 Depth=1
	s_delay_alu instid0(VALU_DEP_3) | instskip(NEXT) | instid1(VALU_DEP_1)
	v_clz_i32_u32_e32 v103, v103
	v_min_u32_e32 v103, 32, v103
	s_delay_alu instid0(VALU_DEP_1) | instskip(NEXT) | instid1(VALU_DEP_1)
	v_subrev_nc_u32_e32 v112, 28, v103
	v_lshlrev_b64_e32 v[113:114], v112, v[0:1]
	v_sub_nc_u32_e32 v112, 29, v103
	s_delay_alu instid0(VALU_DEP_2)
	v_and_b32_e32 v103, 7, v113
; %bb.1170:                             ;   in Loop: Header=BB270_1066 Depth=1
	s_wait_alu 0xfffe
	s_or_b32 exec_lo, exec_lo, s17
	v_lshlrev_b32_e32 v113, 8, v12
	v_lshl_add_u32 v112, v112, 10, 0x2000
	v_lshlrev_b32_e32 v103, 7, v103
	s_delay_alu instid0(VALU_DEP_3) | instskip(NEXT) | instid1(VALU_DEP_3)
	v_and_b32_e32 v113, 0x8000, v113
	v_and_b32_e32 v112, 0xfc00, v112
	s_delay_alu instid0(VALU_DEP_1)
	v_or3_b32 v103, v113, v112, v103
.LBB270_1171:                           ;   in Loop: Header=BB270_1066 Depth=1
	s_wait_alu 0xfffe
	s_or_b32 exec_lo, exec_lo, s16
.LBB270_1172:                           ;   in Loop: Header=BB270_1066 Depth=1
	s_wait_alu 0xfffe
	s_or_b32 exec_lo, exec_lo, s15
.LBB270_1173:                           ;   in Loop: Header=BB270_1066 Depth=1
	s_wait_alu 0xfffe
	s_or_b32 exec_lo, exec_lo, s14
	v_lshrrev_b16 v0, 8, v0
	v_mov_b32_e32 v112, 0
	s_mov_b32 s14, exec_lo
	s_delay_alu instid0(VALU_DEP_2)
	v_cmpx_ne_u16_e32 0, v0
	s_cbranch_execz .LBB270_1181
; %bb.1174:                             ;   in Loop: Header=BB270_1066 Depth=1
	v_bfrev_b32_e32 v112, 1
	s_mov_b32 s15, exec_lo
	v_cmpx_ne_u16_e32 0x80, v0
	s_cbranch_execz .LBB270_1180
; %bb.1175:                             ;   in Loop: Header=BB270_1066 Depth=1
	v_and_b32_e32 v113, 0xffff, v0
	v_mov_b32_e32 v112, 0x7c010000
	s_mov_b32 s16, exec_lo
	s_delay_alu instid0(VALU_DEP_2) | instskip(NEXT) | instid1(VALU_DEP_1)
	v_and_b32_e32 v115, 0x7f, v113
	v_cmpx_ne_u32_e32 0x7f, v115
	s_cbranch_execz .LBB270_1179
; %bb.1176:                             ;   in Loop: Header=BB270_1066 Depth=1
	v_and_b32_e32 v112, 7, v113
	v_lshrrev_b32_e32 v114, 3, v115
	s_mov_b32 s17, exec_lo
	v_cmpx_gt_u32_e32 8, v115
; %bb.1177:                             ;   in Loop: Header=BB270_1066 Depth=1
	s_delay_alu instid0(VALU_DEP_3) | instskip(NEXT) | instid1(VALU_DEP_1)
	v_clz_i32_u32_e32 v112, v112
	v_min_u32_e32 v112, 32, v112
	s_delay_alu instid0(VALU_DEP_1) | instskip(NEXT) | instid1(VALU_DEP_1)
	v_subrev_nc_u32_e32 v114, 28, v112
	v_lshlrev_b64_e32 v[115:116], v114, v[0:1]
	v_sub_nc_u32_e32 v114, 29, v112
	s_delay_alu instid0(VALU_DEP_2)
	v_and_b32_e32 v112, 7, v115
; %bb.1178:                             ;   in Loop: Header=BB270_1066 Depth=1
	s_wait_alu 0xfffe
	s_or_b32 exec_lo, exec_lo, s17
	v_lshlrev_b32_e32 v0, 8, v113
	v_lshl_add_u32 v113, v114, 10, 0x2000
	v_lshlrev_b32_e32 v112, 23, v112
	s_delay_alu instid0(VALU_DEP_2) | instskip(NEXT) | instid1(VALU_DEP_1)
	v_and_or_b32 v0, 0x8000, v0, v113
	v_lshl_or_b32 v112, v0, 16, v112
.LBB270_1179:                           ;   in Loop: Header=BB270_1066 Depth=1
	s_wait_alu 0xfffe
	s_or_b32 exec_lo, exec_lo, s16
.LBB270_1180:                           ;   in Loop: Header=BB270_1066 Depth=1
	s_wait_alu 0xfffe
	s_or_b32 exec_lo, exec_lo, s15
.LBB270_1181:                           ;   in Loop: Header=BB270_1066 Depth=1
	s_wait_alu 0xfffe
	s_or_b32 exec_lo, exec_lo, s14
	v_lshrrev_b32_e32 v0, 16, v12
	s_mov_b32 s14, exec_lo
	s_delay_alu instid0(VALU_DEP_1) | instskip(NEXT) | instid1(VALU_DEP_1)
	v_and_b32_e32 v113, 0xff, v0
	v_cmpx_ne_u16_e32 0, v113
	s_cbranch_execz .LBB270_1189
; %bb.1182:                             ;   in Loop: Header=BB270_1066 Depth=1
	v_mov_b32_e32 v102, 0x8000
	s_mov_b32 s15, exec_lo
	v_cmpx_ne_u16_e32 0x80, v113
	s_cbranch_execz .LBB270_1188
; %bb.1183:                             ;   in Loop: Header=BB270_1066 Depth=1
	v_bfe_u32 v114, v12, 16, 7
	v_mov_b32_e32 v102, 0x7c01
	s_mov_b32 s16, exec_lo
	s_delay_alu instid0(VALU_DEP_2)
	v_cmpx_ne_u32_e32 0x7f, v114
	s_cbranch_execz .LBB270_1187
; %bb.1184:                             ;   in Loop: Header=BB270_1066 Depth=1
	v_and_b32_e32 v102, 7, v0
	v_lshrrev_b32_e32 v113, 3, v114
	s_mov_b32 s17, exec_lo
	v_cmpx_gt_u32_e32 8, v114
; %bb.1185:                             ;   in Loop: Header=BB270_1066 Depth=1
	s_delay_alu instid0(VALU_DEP_3) | instskip(NEXT) | instid1(VALU_DEP_1)
	v_clz_i32_u32_e32 v102, v102
	v_min_u32_e32 v102, 32, v102
	s_delay_alu instid0(VALU_DEP_1) | instskip(NEXT) | instid1(VALU_DEP_1)
	v_subrev_nc_u32_e32 v113, 28, v102
	v_lshlrev_b64_e32 v[114:115], v113, v[0:1]
	v_sub_nc_u32_e32 v113, 29, v102
	s_delay_alu instid0(VALU_DEP_2)
	v_and_b32_e32 v102, 7, v114
; %bb.1186:                             ;   in Loop: Header=BB270_1066 Depth=1
	s_wait_alu 0xfffe
	s_or_b32 exec_lo, exec_lo, s17
	v_lshlrev_b32_e32 v0, 8, v0
	v_lshl_add_u32 v113, v113, 10, 0x2000
	v_lshlrev_b32_e32 v102, 7, v102
	s_delay_alu instid0(VALU_DEP_3) | instskip(NEXT) | instid1(VALU_DEP_3)
	v_and_b32_e32 v0, 0x8000, v0
	v_and_b32_e32 v113, 0xfc00, v113
	s_delay_alu instid0(VALU_DEP_1)
	v_or3_b32 v102, v0, v113, v102
.LBB270_1187:                           ;   in Loop: Header=BB270_1066 Depth=1
	s_wait_alu 0xfffe
	s_or_b32 exec_lo, exec_lo, s16
.LBB270_1188:                           ;   in Loop: Header=BB270_1066 Depth=1
	s_wait_alu 0xfffe
	s_or_b32 exec_lo, exec_lo, s15
.LBB270_1189:                           ;   in Loop: Header=BB270_1066 Depth=1
	s_wait_alu 0xfffe
	s_or_b32 exec_lo, exec_lo, s14
	v_cmp_lt_u64_e64 s1, s[8:9], v[11:12]
	v_mov_b32_e32 v11, 0
	s_and_saveexec_b32 s14, s1
	s_cbranch_execz .LBB270_1197
; %bb.1190:                             ;   in Loop: Header=BB270_1066 Depth=1
	v_lshrrev_b32_e32 v0, 24, v12
	v_bfrev_b32_e32 v11, 1
	s_mov_b32 s15, exec_lo
	s_delay_alu instid0(VALU_DEP_2)
	v_cmpx_ne_u32_e32 0x80, v0
	s_cbranch_execz .LBB270_1196
; %bb.1191:                             ;   in Loop: Header=BB270_1066 Depth=1
	v_and_b32_e32 v113, 0x7f, v0
	v_mov_b32_e32 v11, 0x7c010000
	s_mov_b32 s16, exec_lo
	s_delay_alu instid0(VALU_DEP_2)
	v_cmpx_ne_u32_e32 0x7f, v113
	s_cbranch_execz .LBB270_1195
; %bb.1192:                             ;   in Loop: Header=BB270_1066 Depth=1
	v_and_b32_e32 v11, 7, v0
	v_lshrrev_b32_e32 v12, 3, v113
	s_mov_b32 s17, exec_lo
	v_cmpx_gt_u32_e32 8, v113
; %bb.1193:                             ;   in Loop: Header=BB270_1066 Depth=1
	s_delay_alu instid0(VALU_DEP_3) | instskip(NEXT) | instid1(VALU_DEP_1)
	v_clz_i32_u32_e32 v11, v11
	v_min_u32_e32 v113, 32, v11
	s_delay_alu instid0(VALU_DEP_1) | instskip(NEXT) | instid1(VALU_DEP_1)
	v_subrev_nc_u32_e32 v11, 28, v113
	v_lshlrev_b64_e32 v[11:12], v11, v[0:1]
	v_sub_nc_u32_e32 v12, 29, v113
	s_delay_alu instid0(VALU_DEP_2)
	v_and_b32_e32 v11, 7, v11
; %bb.1194:                             ;   in Loop: Header=BB270_1066 Depth=1
	s_wait_alu 0xfffe
	s_or_b32 exec_lo, exec_lo, s17
	v_lshlrev_b32_e32 v0, 8, v0
	v_lshl_add_u32 v12, v12, 10, 0x2000
	v_lshlrev_b32_e32 v11, 23, v11
	s_delay_alu instid0(VALU_DEP_2) | instskip(NEXT) | instid1(VALU_DEP_1)
	v_and_or_b32 v0, 0x8000, v0, v12
	v_lshl_or_b32 v11, v0, 16, v11
.LBB270_1195:                           ;   in Loop: Header=BB270_1066 Depth=1
	s_wait_alu 0xfffe
	s_or_b32 exec_lo, exec_lo, s16
.LBB270_1196:                           ;   in Loop: Header=BB270_1066 Depth=1
	s_wait_alu 0xfffe
	s_or_b32 exec_lo, exec_lo, s15
.LBB270_1197:                           ;   in Loop: Header=BB270_1066 Depth=1
	s_wait_alu 0xfffe
	s_or_b32 exec_lo, exec_lo, s14
	v_or_b32_e32 v0, v100, v101
	s_wait_loadcnt_dscnt 0x0
	v_fma_mixlo_f16 v12, v97, v100, 0 op_sel:[0,1,0] op_sel_hi:[0,1,0]
	v_or_b32_e32 v100, v98, v99
	v_fma_mixlo_f16 v98, v97, v98, 0 op_sel:[0,1,0] op_sel_hi:[0,1,0]
	v_or_b32_e32 v101, v112, v103
	v_or_b32_e32 v102, v11, v102
	v_fma_mixlo_f16 v103, v97, v0, 0 op_sel_hi:[0,1,0]
	v_fma_mixlo_f16 v11, v97, v11, 0 op_sel:[0,1,0] op_sel_hi:[0,1,0]
	v_lshlrev_b32_e32 v99, 16, v98
	v_fma_mixlo_f16 v98, v97, v100, 0 op_sel_hi:[0,1,0]
	v_fma_mixlo_f16 v100, v97, v112, 0 op_sel:[0,1,0] op_sel_hi:[0,1,0]
	v_fma_mixlo_f16 v101, v97, v101, 0 op_sel_hi:[0,1,0]
	v_fma_mixlo_f16 v102, v97, v102, 0 op_sel_hi:[0,1,0]
	v_lshlrev_b32_e32 v0, 16, v12
	v_and_b32_e32 v12, 0xffff, v103
	v_and_b32_e32 v113, 0xffff, v98
	v_lshlrev_b32_e32 v97, 16, v100
	v_and_b32_e32 v101, 0xffff, v101
	v_lshlrev_b32_e32 v11, 16, v11
	v_and_b32_e32 v98, 0xffff, v102
	v_or_b32_e32 v100, v0, v12
	v_or_b32_e32 v112, v99, v113
	;; [unrolled: 1-line block ×3, first 2 shown]
	s_delay_alu instid0(VALU_DEP_4)
	v_or_b32_e32 v102, v11, v98
	s_and_saveexec_b32 s14, vcc_lo
	s_cbranch_execz .LBB270_1199
; %bb.1198:                             ;   in Loop: Header=BB270_1066 Depth=1
	v_cmp_lt_i32_e64 s1, v16, v34
	s_wait_alu 0xf1ff
	s_delay_alu instid0(VALU_DEP_1) | instskip(SKIP_2) | instid1(VALU_DEP_1)
	v_cndmask_b32_e64 v100, 0, v113, s1
	v_cmp_lt_i32_e64 s1, v96, v34
	s_wait_alu 0xf1ff
	v_cndmask_b32_e64 v99, 0, v99, s1
	v_cmp_lt_i32_e64 s1, v87, v34
	s_delay_alu instid0(VALU_DEP_2) | instskip(SKIP_1) | instid1(VALU_DEP_2)
	v_or_b32_e32 v112, v100, v99
	s_wait_alu 0xf1ff
	v_cndmask_b32_e64 v12, 0, v12, s1
	v_cmp_lt_i32_e64 s1, v86, v34
	s_wait_alu 0xf1ff
	s_delay_alu instid0(VALU_DEP_1) | instskip(SKIP_1) | instid1(VALU_DEP_2)
	v_cndmask_b32_e64 v0, 0, v0, s1
	v_cmp_lt_i32_e64 s1, v85, v34
	v_or_b32_e32 v100, v12, v0
	s_wait_alu 0xf1ff
	s_delay_alu instid0(VALU_DEP_2) | instskip(SKIP_2) | instid1(VALU_DEP_1)
	v_cndmask_b32_e64 v101, 0, v101, s1
	v_cmp_lt_i32_e64 s1, v84, v34
	s_wait_alu 0xf1ff
	v_cndmask_b32_e64 v97, 0, v97, s1
	v_cmp_lt_i32_e64 s1, v83, v34
	s_delay_alu instid0(VALU_DEP_2) | instskip(SKIP_1) | instid1(VALU_DEP_2)
	v_or_b32_e32 v103, v101, v97
	s_wait_alu 0xf1ff
	v_cndmask_b32_e64 v98, 0, v98, s1
	v_cmp_lt_i32_e64 s1, v82, v34
	s_wait_alu 0xf1ff
	s_delay_alu instid0(VALU_DEP_1) | instskip(NEXT) | instid1(VALU_DEP_1)
	v_cndmask_b32_e64 v11, 0, v11, s1
	v_or_b32_e32 v102, v98, v11
.LBB270_1199:                           ;   in Loop: Header=BB270_1066 Depth=1
	s_wait_alu 0xfffe
	s_or_b32 exec_lo, exec_lo, s14
	;;#ASMSTART
	v_pk_mul_f16 v0, v81, v112;

	;;#ASMEND
	;;#ASMSTART
	v_pk_mul_f16 v11, v80, v100;

	;;#ASMEND
	;; [unrolled: 4-line block ×4, first 2 shown]
	;;#ASMSTART
	v_pk_add_f16 v0, v0, v11;

	;;#ASMEND
	;;#ASMSTART
	v_pk_add_f16 v0, v0, v12;

	;;#ASMEND
	;;#ASMSTART
	v_pk_add_f16 v0, v0, v97;

	;;#ASMEND
	v_dual_mov_b32 v100, 0 :: v_dual_and_b32 v11, 0xffff, v0
	v_lshrrev_b32_e32 v0, 16, v0
	;;#ASMSTART
	v_cvt_f32_f16 v97, v11;
	;;#ASMEND
	;;#ASMSTART
	v_cvt_f32_f16 v98, v0;
	;;#ASMEND
	flat_load_b64 v[11:12], v[9:10] offset:512
	flat_load_b32 v99, v[26:27]
	s_mov_b32 s14, exec_lo
	s_wait_loadcnt_dscnt 0x101
	v_dual_mov_b32 v101, 0 :: v_dual_and_b32 v0, 0xff, v11
	s_delay_alu instid0(VALU_DEP_1)
	v_cmpx_ne_u16_e32 0, v0
	s_cbranch_execz .LBB270_1207
; %bb.1200:                             ;   in Loop: Header=BB270_1066 Depth=1
	v_mov_b32_e32 v101, 0x8000
	s_mov_b32 s15, exec_lo
	v_cmpx_ne_u16_e32 0x80, v0
	s_cbranch_execz .LBB270_1206
; %bb.1201:                             ;   in Loop: Header=BB270_1066 Depth=1
	v_and_b32_e32 v102, 0x7f, v11
	v_mov_b32_e32 v101, 0x7c01
	s_mov_b32 s16, exec_lo
	s_delay_alu instid0(VALU_DEP_2)
	v_cmpx_ne_u32_e32 0x7f, v102
	s_cbranch_execz .LBB270_1205
; %bb.1202:                             ;   in Loop: Header=BB270_1066 Depth=1
	v_and_b32_e32 v0, 7, v11
	v_lshrrev_b32_e32 v101, 3, v102
	s_mov_b32 s17, exec_lo
	v_cmpx_gt_u32_e32 8, v102
; %bb.1203:                             ;   in Loop: Header=BB270_1066 Depth=1
	s_delay_alu instid0(VALU_DEP_3) | instskip(NEXT) | instid1(VALU_DEP_1)
	v_clz_i32_u32_e32 v0, v0
	v_min_u32_e32 v0, 32, v0
	s_delay_alu instid0(VALU_DEP_1) | instskip(NEXT) | instid1(VALU_DEP_1)
	v_subrev_nc_u32_e32 v101, 28, v0
	v_lshlrev_b64_e32 v[102:103], v101, v[11:12]
	v_sub_nc_u32_e32 v101, 29, v0
	s_delay_alu instid0(VALU_DEP_2)
	v_and_b32_e32 v0, 7, v102
; %bb.1204:                             ;   in Loop: Header=BB270_1066 Depth=1
	s_wait_alu 0xfffe
	s_or_b32 exec_lo, exec_lo, s17
	v_lshlrev_b32_e32 v102, 8, v11
	v_lshl_add_u32 v101, v101, 10, 0x2000
	v_lshlrev_b32_e32 v0, 7, v0
	s_delay_alu instid0(VALU_DEP_3) | instskip(NEXT) | instid1(VALU_DEP_3)
	v_and_b32_e32 v102, 0x8000, v102
	v_and_b32_e32 v101, 0xfc00, v101
	s_delay_alu instid0(VALU_DEP_1)
	v_or3_b32 v101, v102, v101, v0
.LBB270_1205:                           ;   in Loop: Header=BB270_1066 Depth=1
	s_wait_alu 0xfffe
	s_or_b32 exec_lo, exec_lo, s16
.LBB270_1206:                           ;   in Loop: Header=BB270_1066 Depth=1
	s_wait_alu 0xfffe
	s_or_b32 exec_lo, exec_lo, s15
.LBB270_1207:                           ;   in Loop: Header=BB270_1066 Depth=1
	s_wait_alu 0xfffe
	s_or_b32 exec_lo, exec_lo, s14
	v_lshrrev_b16 v0, 8, v11
	s_mov_b32 s14, exec_lo
	s_delay_alu instid0(VALU_DEP_1)
	v_cmpx_ne_u16_e32 0, v0
	s_cbranch_execz .LBB270_1215
; %bb.1208:                             ;   in Loop: Header=BB270_1066 Depth=1
	v_bfrev_b32_e32 v100, 1
	s_mov_b32 s15, exec_lo
	v_cmpx_ne_u16_e32 0x80, v0
	s_cbranch_execz .LBB270_1214
; %bb.1209:                             ;   in Loop: Header=BB270_1066 Depth=1
	v_and_b32_e32 v102, 0xffff, v0
	v_mov_b32_e32 v100, 0x7c010000
	s_mov_b32 s16, exec_lo
	s_delay_alu instid0(VALU_DEP_2) | instskip(NEXT) | instid1(VALU_DEP_1)
	v_and_b32_e32 v112, 0x7f, v102
	v_cmpx_ne_u32_e32 0x7f, v112
	s_cbranch_execz .LBB270_1213
; %bb.1210:                             ;   in Loop: Header=BB270_1066 Depth=1
	v_and_b32_e32 v100, 7, v102
	v_lshrrev_b32_e32 v103, 3, v112
	s_mov_b32 s17, exec_lo
	v_cmpx_gt_u32_e32 8, v112
; %bb.1211:                             ;   in Loop: Header=BB270_1066 Depth=1
	s_delay_alu instid0(VALU_DEP_3) | instskip(NEXT) | instid1(VALU_DEP_1)
	v_clz_i32_u32_e32 v100, v100
	v_min_u32_e32 v100, 32, v100
	s_delay_alu instid0(VALU_DEP_1) | instskip(NEXT) | instid1(VALU_DEP_1)
	v_subrev_nc_u32_e32 v103, 28, v100
	v_lshlrev_b64_e32 v[112:113], v103, v[0:1]
	v_sub_nc_u32_e32 v103, 29, v100
	s_delay_alu instid0(VALU_DEP_2)
	v_and_b32_e32 v100, 7, v112
; %bb.1212:                             ;   in Loop: Header=BB270_1066 Depth=1
	s_wait_alu 0xfffe
	s_or_b32 exec_lo, exec_lo, s17
	v_lshlrev_b32_e32 v0, 8, v102
	v_lshl_add_u32 v102, v103, 10, 0x2000
	v_lshlrev_b32_e32 v100, 23, v100
	s_delay_alu instid0(VALU_DEP_2) | instskip(NEXT) | instid1(VALU_DEP_1)
	v_and_or_b32 v0, 0x8000, v0, v102
	v_lshl_or_b32 v100, v0, 16, v100
.LBB270_1213:                           ;   in Loop: Header=BB270_1066 Depth=1
	s_wait_alu 0xfffe
	s_or_b32 exec_lo, exec_lo, s16
.LBB270_1214:                           ;   in Loop: Header=BB270_1066 Depth=1
	s_wait_alu 0xfffe
	s_or_b32 exec_lo, exec_lo, s15
.LBB270_1215:                           ;   in Loop: Header=BB270_1066 Depth=1
	s_wait_alu 0xfffe
	s_or_b32 exec_lo, exec_lo, s14
	v_lshrrev_b32_e32 v0, 16, v11
	v_mov_b32_e32 v102, 0
	s_mov_b32 s14, exec_lo
	s_delay_alu instid0(VALU_DEP_2) | instskip(NEXT) | instid1(VALU_DEP_1)
	v_dual_mov_b32 v103, 0 :: v_dual_and_b32 v112, 0xff, v0
	v_cmpx_ne_u16_e32 0, v112
	s_cbranch_execz .LBB270_1223
; %bb.1216:                             ;   in Loop: Header=BB270_1066 Depth=1
	v_mov_b32_e32 v103, 0x8000
	s_mov_b32 s15, exec_lo
	v_cmpx_ne_u16_e32 0x80, v112
	s_cbranch_execz .LBB270_1222
; %bb.1217:                             ;   in Loop: Header=BB270_1066 Depth=1
	v_bfe_u32 v113, v11, 16, 7
	v_mov_b32_e32 v103, 0x7c01
	s_mov_b32 s16, exec_lo
	s_delay_alu instid0(VALU_DEP_2)
	v_cmpx_ne_u32_e32 0x7f, v113
	s_cbranch_execz .LBB270_1221
; %bb.1218:                             ;   in Loop: Header=BB270_1066 Depth=1
	v_and_b32_e32 v103, 7, v0
	v_lshrrev_b32_e32 v112, 3, v113
	s_mov_b32 s17, exec_lo
	v_cmpx_gt_u32_e32 8, v113
; %bb.1219:                             ;   in Loop: Header=BB270_1066 Depth=1
	s_delay_alu instid0(VALU_DEP_3) | instskip(NEXT) | instid1(VALU_DEP_1)
	v_clz_i32_u32_e32 v103, v103
	v_min_u32_e32 v103, 32, v103
	s_delay_alu instid0(VALU_DEP_1) | instskip(NEXT) | instid1(VALU_DEP_1)
	v_subrev_nc_u32_e32 v112, 28, v103
	v_lshlrev_b64_e32 v[113:114], v112, v[0:1]
	v_sub_nc_u32_e32 v112, 29, v103
	s_delay_alu instid0(VALU_DEP_2)
	v_and_b32_e32 v103, 7, v113
; %bb.1220:                             ;   in Loop: Header=BB270_1066 Depth=1
	s_wait_alu 0xfffe
	s_or_b32 exec_lo, exec_lo, s17
	v_lshlrev_b32_e32 v0, 8, v0
	v_lshl_add_u32 v112, v112, 10, 0x2000
	v_lshlrev_b32_e32 v103, 7, v103
	s_delay_alu instid0(VALU_DEP_3) | instskip(NEXT) | instid1(VALU_DEP_3)
	v_and_b32_e32 v0, 0x8000, v0
	v_and_b32_e32 v112, 0xfc00, v112
	s_delay_alu instid0(VALU_DEP_1)
	v_or3_b32 v103, v0, v112, v103
.LBB270_1221:                           ;   in Loop: Header=BB270_1066 Depth=1
	s_wait_alu 0xfffe
	s_or_b32 exec_lo, exec_lo, s16
.LBB270_1222:                           ;   in Loop: Header=BB270_1066 Depth=1
	s_wait_alu 0xfffe
	s_or_b32 exec_lo, exec_lo, s15
.LBB270_1223:                           ;   in Loop: Header=BB270_1066 Depth=1
	s_wait_alu 0xfffe
	s_or_b32 exec_lo, exec_lo, s14
	s_delay_alu instid0(SALU_CYCLE_1)
	s_mov_b32 s14, exec_lo
	v_cmpx_lt_u32_e32 0xffffff, v11
	s_cbranch_execz .LBB270_1231
; %bb.1224:                             ;   in Loop: Header=BB270_1066 Depth=1
	v_lshrrev_b32_e32 v0, 24, v11
	v_bfrev_b32_e32 v102, 1
	s_mov_b32 s15, exec_lo
	s_delay_alu instid0(VALU_DEP_2)
	v_cmpx_ne_u32_e32 0x80, v0
	s_cbranch_execz .LBB270_1230
; %bb.1225:                             ;   in Loop: Header=BB270_1066 Depth=1
	v_and_b32_e32 v113, 0x7f, v0
	v_mov_b32_e32 v102, 0x7c010000
	s_mov_b32 s16, exec_lo
	s_delay_alu instid0(VALU_DEP_2)
	v_cmpx_ne_u32_e32 0x7f, v113
	s_cbranch_execz .LBB270_1229
; %bb.1226:                             ;   in Loop: Header=BB270_1066 Depth=1
	v_and_b32_e32 v102, 7, v0
	v_lshrrev_b32_e32 v112, 3, v113
	s_mov_b32 s17, exec_lo
	v_cmpx_gt_u32_e32 8, v113
; %bb.1227:                             ;   in Loop: Header=BB270_1066 Depth=1
	s_delay_alu instid0(VALU_DEP_3) | instskip(NEXT) | instid1(VALU_DEP_1)
	v_clz_i32_u32_e32 v102, v102
	v_min_u32_e32 v102, 32, v102
	s_delay_alu instid0(VALU_DEP_1) | instskip(NEXT) | instid1(VALU_DEP_1)
	v_subrev_nc_u32_e32 v112, 28, v102
	v_lshlrev_b64_e32 v[113:114], v112, v[0:1]
	v_sub_nc_u32_e32 v112, 29, v102
	s_delay_alu instid0(VALU_DEP_2)
	v_and_b32_e32 v102, 7, v113
; %bb.1228:                             ;   in Loop: Header=BB270_1066 Depth=1
	s_wait_alu 0xfffe
	s_or_b32 exec_lo, exec_lo, s17
	v_lshlrev_b32_e32 v0, 8, v0
	v_lshl_add_u32 v112, v112, 10, 0x2000
	v_lshlrev_b32_e32 v102, 23, v102
	s_delay_alu instid0(VALU_DEP_2) | instskip(NEXT) | instid1(VALU_DEP_1)
	v_and_or_b32 v0, 0x8000, v0, v112
	v_lshl_or_b32 v102, v0, 16, v102
.LBB270_1229:                           ;   in Loop: Header=BB270_1066 Depth=1
	s_wait_alu 0xfffe
	s_or_b32 exec_lo, exec_lo, s16
.LBB270_1230:                           ;   in Loop: Header=BB270_1066 Depth=1
	s_wait_alu 0xfffe
	s_or_b32 exec_lo, exec_lo, s15
.LBB270_1231:                           ;   in Loop: Header=BB270_1066 Depth=1
	s_wait_alu 0xfffe
	s_or_b32 exec_lo, exec_lo, s14
	v_dual_mov_b32 v113, 0 :: v_dual_and_b32 v114, 0xff, v12
	v_mov_b32_e32 v0, v12
	v_mov_b32_e32 v112, 0
	s_mov_b32 s14, exec_lo
	s_delay_alu instid0(VALU_DEP_3)
	v_cmpx_ne_u16_e32 0, v114
	s_cbranch_execz .LBB270_1239
; %bb.1232:                             ;   in Loop: Header=BB270_1066 Depth=1
	v_mov_b32_e32 v113, 0x8000
	s_mov_b32 s15, exec_lo
	v_cmpx_ne_u16_e32 0x80, v114
	s_cbranch_execz .LBB270_1238
; %bb.1233:                             ;   in Loop: Header=BB270_1066 Depth=1
	v_and_b32_e32 v115, 0x7f, v12
	v_mov_b32_e32 v113, 0x7c01
	s_mov_b32 s16, exec_lo
	s_delay_alu instid0(VALU_DEP_2)
	v_cmpx_ne_u32_e32 0x7f, v115
	s_cbranch_execz .LBB270_1237
; %bb.1234:                             ;   in Loop: Header=BB270_1066 Depth=1
	v_and_b32_e32 v113, 7, v12
	v_lshrrev_b32_e32 v114, 3, v115
	s_mov_b32 s17, exec_lo
	v_cmpx_gt_u32_e32 8, v115
; %bb.1235:                             ;   in Loop: Header=BB270_1066 Depth=1
	s_delay_alu instid0(VALU_DEP_3) | instskip(NEXT) | instid1(VALU_DEP_1)
	v_clz_i32_u32_e32 v113, v113
	v_min_u32_e32 v115, 32, v113
	s_delay_alu instid0(VALU_DEP_1) | instskip(NEXT) | instid1(VALU_DEP_1)
	v_subrev_nc_u32_e32 v113, 28, v115
	v_lshlrev_b64_e32 v[113:114], v113, v[0:1]
	v_sub_nc_u32_e32 v114, 29, v115
	s_delay_alu instid0(VALU_DEP_2)
	v_and_b32_e32 v113, 7, v113
; %bb.1236:                             ;   in Loop: Header=BB270_1066 Depth=1
	s_wait_alu 0xfffe
	s_or_b32 exec_lo, exec_lo, s17
	v_lshlrev_b32_e32 v115, 8, v12
	v_lshl_add_u32 v114, v114, 10, 0x2000
	v_lshlrev_b32_e32 v113, 7, v113
	s_delay_alu instid0(VALU_DEP_3) | instskip(NEXT) | instid1(VALU_DEP_3)
	v_and_b32_e32 v115, 0x8000, v115
	v_and_b32_e32 v114, 0xfc00, v114
	s_delay_alu instid0(VALU_DEP_1)
	v_or3_b32 v113, v115, v114, v113
.LBB270_1237:                           ;   in Loop: Header=BB270_1066 Depth=1
	s_wait_alu 0xfffe
	s_or_b32 exec_lo, exec_lo, s16
.LBB270_1238:                           ;   in Loop: Header=BB270_1066 Depth=1
	s_wait_alu 0xfffe
	s_or_b32 exec_lo, exec_lo, s15
.LBB270_1239:                           ;   in Loop: Header=BB270_1066 Depth=1
	s_wait_alu 0xfffe
	s_or_b32 exec_lo, exec_lo, s14
	v_lshrrev_b16 v0, 8, v0
	v_mov_b32_e32 v114, 0
	s_mov_b32 s14, exec_lo
	s_delay_alu instid0(VALU_DEP_2)
	v_cmpx_ne_u16_e32 0, v0
	s_cbranch_execz .LBB270_1247
; %bb.1240:                             ;   in Loop: Header=BB270_1066 Depth=1
	v_bfrev_b32_e32 v114, 1
	s_mov_b32 s15, exec_lo
	v_cmpx_ne_u16_e32 0x80, v0
	s_cbranch_execz .LBB270_1246
; %bb.1241:                             ;   in Loop: Header=BB270_1066 Depth=1
	v_and_b32_e32 v115, 0xffff, v0
	v_mov_b32_e32 v114, 0x7c010000
	s_mov_b32 s16, exec_lo
	s_delay_alu instid0(VALU_DEP_2) | instskip(NEXT) | instid1(VALU_DEP_1)
	v_and_b32_e32 v117, 0x7f, v115
	v_cmpx_ne_u32_e32 0x7f, v117
	s_cbranch_execz .LBB270_1245
; %bb.1242:                             ;   in Loop: Header=BB270_1066 Depth=1
	v_and_b32_e32 v114, 7, v115
	v_lshrrev_b32_e32 v116, 3, v117
	s_mov_b32 s17, exec_lo
	v_cmpx_gt_u32_e32 8, v117
; %bb.1243:                             ;   in Loop: Header=BB270_1066 Depth=1
	s_delay_alu instid0(VALU_DEP_3) | instskip(NEXT) | instid1(VALU_DEP_1)
	v_clz_i32_u32_e32 v114, v114
	v_min_u32_e32 v114, 32, v114
	s_delay_alu instid0(VALU_DEP_1) | instskip(NEXT) | instid1(VALU_DEP_1)
	v_subrev_nc_u32_e32 v116, 28, v114
	v_lshlrev_b64_e32 v[117:118], v116, v[0:1]
	v_sub_nc_u32_e32 v116, 29, v114
	s_delay_alu instid0(VALU_DEP_2)
	v_and_b32_e32 v114, 7, v117
; %bb.1244:                             ;   in Loop: Header=BB270_1066 Depth=1
	s_wait_alu 0xfffe
	s_or_b32 exec_lo, exec_lo, s17
	v_lshlrev_b32_e32 v0, 8, v115
	v_lshl_add_u32 v115, v116, 10, 0x2000
	v_lshlrev_b32_e32 v114, 23, v114
	s_delay_alu instid0(VALU_DEP_2) | instskip(NEXT) | instid1(VALU_DEP_1)
	v_and_or_b32 v0, 0x8000, v0, v115
	v_lshl_or_b32 v114, v0, 16, v114
.LBB270_1245:                           ;   in Loop: Header=BB270_1066 Depth=1
	s_wait_alu 0xfffe
	s_or_b32 exec_lo, exec_lo, s16
.LBB270_1246:                           ;   in Loop: Header=BB270_1066 Depth=1
	s_wait_alu 0xfffe
	s_or_b32 exec_lo, exec_lo, s15
.LBB270_1247:                           ;   in Loop: Header=BB270_1066 Depth=1
	s_wait_alu 0xfffe
	s_or_b32 exec_lo, exec_lo, s14
	v_lshrrev_b32_e32 v0, 16, v12
	s_mov_b32 s14, exec_lo
	s_delay_alu instid0(VALU_DEP_1) | instskip(NEXT) | instid1(VALU_DEP_1)
	v_and_b32_e32 v115, 0xff, v0
	v_cmpx_ne_u16_e32 0, v115
	s_cbranch_execz .LBB270_1255
; %bb.1248:                             ;   in Loop: Header=BB270_1066 Depth=1
	v_mov_b32_e32 v112, 0x8000
	s_mov_b32 s15, exec_lo
	v_cmpx_ne_u16_e32 0x80, v115
	s_cbranch_execz .LBB270_1254
; %bb.1249:                             ;   in Loop: Header=BB270_1066 Depth=1
	v_bfe_u32 v116, v12, 16, 7
	v_mov_b32_e32 v112, 0x7c01
	s_mov_b32 s16, exec_lo
	s_delay_alu instid0(VALU_DEP_2)
	v_cmpx_ne_u32_e32 0x7f, v116
	s_cbranch_execz .LBB270_1253
; %bb.1250:                             ;   in Loop: Header=BB270_1066 Depth=1
	v_and_b32_e32 v112, 7, v0
	v_lshrrev_b32_e32 v115, 3, v116
	s_mov_b32 s17, exec_lo
	v_cmpx_gt_u32_e32 8, v116
; %bb.1251:                             ;   in Loop: Header=BB270_1066 Depth=1
	s_delay_alu instid0(VALU_DEP_3) | instskip(NEXT) | instid1(VALU_DEP_1)
	v_clz_i32_u32_e32 v112, v112
	v_min_u32_e32 v112, 32, v112
	s_delay_alu instid0(VALU_DEP_1) | instskip(NEXT) | instid1(VALU_DEP_1)
	v_subrev_nc_u32_e32 v115, 28, v112
	v_lshlrev_b64_e32 v[116:117], v115, v[0:1]
	v_sub_nc_u32_e32 v115, 29, v112
	s_delay_alu instid0(VALU_DEP_2)
	v_and_b32_e32 v112, 7, v116
; %bb.1252:                             ;   in Loop: Header=BB270_1066 Depth=1
	s_wait_alu 0xfffe
	s_or_b32 exec_lo, exec_lo, s17
	v_lshlrev_b32_e32 v0, 8, v0
	v_lshl_add_u32 v115, v115, 10, 0x2000
	v_lshlrev_b32_e32 v112, 7, v112
	s_delay_alu instid0(VALU_DEP_3) | instskip(NEXT) | instid1(VALU_DEP_3)
	v_and_b32_e32 v0, 0x8000, v0
	v_and_b32_e32 v115, 0xfc00, v115
	s_delay_alu instid0(VALU_DEP_1)
	v_or3_b32 v112, v0, v115, v112
.LBB270_1253:                           ;   in Loop: Header=BB270_1066 Depth=1
	s_wait_alu 0xfffe
	s_or_b32 exec_lo, exec_lo, s16
.LBB270_1254:                           ;   in Loop: Header=BB270_1066 Depth=1
	s_wait_alu 0xfffe
	s_or_b32 exec_lo, exec_lo, s15
.LBB270_1255:                           ;   in Loop: Header=BB270_1066 Depth=1
	s_wait_alu 0xfffe
	s_or_b32 exec_lo, exec_lo, s14
	v_cmp_lt_u64_e64 s1, s[8:9], v[11:12]
	v_mov_b32_e32 v11, 0
	s_and_saveexec_b32 s14, s1
	s_cbranch_execz .LBB270_1263
; %bb.1256:                             ;   in Loop: Header=BB270_1066 Depth=1
	v_lshrrev_b32_e32 v0, 24, v12
	v_bfrev_b32_e32 v11, 1
	s_mov_b32 s15, exec_lo
	s_delay_alu instid0(VALU_DEP_2)
	v_cmpx_ne_u32_e32 0x80, v0
	s_cbranch_execz .LBB270_1262
; %bb.1257:                             ;   in Loop: Header=BB270_1066 Depth=1
	v_and_b32_e32 v115, 0x7f, v0
	v_mov_b32_e32 v11, 0x7c010000
	s_mov_b32 s16, exec_lo
	s_delay_alu instid0(VALU_DEP_2)
	v_cmpx_ne_u32_e32 0x7f, v115
	s_cbranch_execz .LBB270_1261
; %bb.1258:                             ;   in Loop: Header=BB270_1066 Depth=1
	v_and_b32_e32 v11, 7, v0
	v_lshrrev_b32_e32 v12, 3, v115
	s_mov_b32 s17, exec_lo
	v_cmpx_gt_u32_e32 8, v115
; %bb.1259:                             ;   in Loop: Header=BB270_1066 Depth=1
	s_delay_alu instid0(VALU_DEP_3) | instskip(NEXT) | instid1(VALU_DEP_1)
	v_clz_i32_u32_e32 v11, v11
	v_min_u32_e32 v115, 32, v11
	s_delay_alu instid0(VALU_DEP_1) | instskip(NEXT) | instid1(VALU_DEP_1)
	v_subrev_nc_u32_e32 v11, 28, v115
	v_lshlrev_b64_e32 v[11:12], v11, v[0:1]
	v_sub_nc_u32_e32 v12, 29, v115
	s_delay_alu instid0(VALU_DEP_2)
	v_and_b32_e32 v11, 7, v11
; %bb.1260:                             ;   in Loop: Header=BB270_1066 Depth=1
	s_wait_alu 0xfffe
	s_or_b32 exec_lo, exec_lo, s17
	v_lshlrev_b32_e32 v0, 8, v0
	v_lshl_add_u32 v12, v12, 10, 0x2000
	v_lshlrev_b32_e32 v11, 23, v11
	s_delay_alu instid0(VALU_DEP_2) | instskip(NEXT) | instid1(VALU_DEP_1)
	v_and_or_b32 v0, 0x8000, v0, v12
	v_lshl_or_b32 v11, v0, 16, v11
.LBB270_1261:                           ;   in Loop: Header=BB270_1066 Depth=1
	s_wait_alu 0xfffe
	s_or_b32 exec_lo, exec_lo, s16
.LBB270_1262:                           ;   in Loop: Header=BB270_1066 Depth=1
	s_wait_alu 0xfffe
	s_or_b32 exec_lo, exec_lo, s15
.LBB270_1263:                           ;   in Loop: Header=BB270_1066 Depth=1
	s_wait_alu 0xfffe
	s_or_b32 exec_lo, exec_lo, s14
	v_or_b32_e32 v0, v102, v103
	s_wait_loadcnt_dscnt 0x0
	v_fma_mixlo_f16 v12, v99, v102, 0 op_sel:[0,1,0] op_sel_hi:[0,1,0]
	v_or_b32_e32 v102, v100, v101
	v_fma_mixlo_f16 v100, v99, v100, 0 op_sel:[0,1,0] op_sel_hi:[0,1,0]
	v_or_b32_e32 v103, v114, v113
	v_or_b32_e32 v112, v11, v112
	v_fma_mixlo_f16 v113, v99, v0, 0 op_sel_hi:[0,1,0]
	v_fma_mixlo_f16 v11, v99, v11, 0 op_sel:[0,1,0] op_sel_hi:[0,1,0]
	v_lshlrev_b32_e32 v101, 16, v100
	v_fma_mixlo_f16 v100, v99, v102, 0 op_sel_hi:[0,1,0]
	v_fma_mixlo_f16 v102, v99, v114, 0 op_sel:[0,1,0] op_sel_hi:[0,1,0]
	v_fma_mixlo_f16 v103, v99, v103, 0 op_sel_hi:[0,1,0]
	v_fma_mixlo_f16 v112, v99, v112, 0 op_sel_hi:[0,1,0]
	v_lshlrev_b32_e32 v0, 16, v12
	v_and_b32_e32 v12, 0xffff, v113
	v_and_b32_e32 v115, 0xffff, v100
	v_lshlrev_b32_e32 v99, 16, v102
	v_and_b32_e32 v103, 0xffff, v103
	v_lshlrev_b32_e32 v11, 16, v11
	v_and_b32_e32 v100, 0xffff, v112
	v_or_b32_e32 v102, v0, v12
	v_or_b32_e32 v114, v101, v115
	;; [unrolled: 1-line block ×3, first 2 shown]
	s_delay_alu instid0(VALU_DEP_4)
	v_or_b32_e32 v112, v11, v100
	s_and_saveexec_b32 s14, vcc_lo
	s_cbranch_execz .LBB270_1265
; %bb.1264:                             ;   in Loop: Header=BB270_1066 Depth=1
	v_cmp_lt_i32_e64 s1, v16, v34
	s_wait_alu 0xf1ff
	s_delay_alu instid0(VALU_DEP_1) | instskip(SKIP_2) | instid1(VALU_DEP_1)
	v_cndmask_b32_e64 v102, 0, v115, s1
	v_cmp_lt_i32_e64 s1, v96, v34
	s_wait_alu 0xf1ff
	v_cndmask_b32_e64 v101, 0, v101, s1
	v_cmp_lt_i32_e64 s1, v87, v34
	s_delay_alu instid0(VALU_DEP_2) | instskip(SKIP_1) | instid1(VALU_DEP_2)
	v_or_b32_e32 v114, v102, v101
	s_wait_alu 0xf1ff
	v_cndmask_b32_e64 v12, 0, v12, s1
	v_cmp_lt_i32_e64 s1, v86, v34
	s_wait_alu 0xf1ff
	s_delay_alu instid0(VALU_DEP_1) | instskip(SKIP_1) | instid1(VALU_DEP_2)
	v_cndmask_b32_e64 v0, 0, v0, s1
	v_cmp_lt_i32_e64 s1, v85, v34
	v_or_b32_e32 v102, v12, v0
	s_wait_alu 0xf1ff
	s_delay_alu instid0(VALU_DEP_2) | instskip(SKIP_2) | instid1(VALU_DEP_1)
	v_cndmask_b32_e64 v103, 0, v103, s1
	v_cmp_lt_i32_e64 s1, v84, v34
	s_wait_alu 0xf1ff
	v_cndmask_b32_e64 v99, 0, v99, s1
	v_cmp_lt_i32_e64 s1, v83, v34
	s_delay_alu instid0(VALU_DEP_2) | instskip(SKIP_1) | instid1(VALU_DEP_2)
	v_or_b32_e32 v113, v103, v99
	s_wait_alu 0xf1ff
	v_cndmask_b32_e64 v100, 0, v100, s1
	v_cmp_lt_i32_e64 s1, v82, v34
	s_wait_alu 0xf1ff
	s_delay_alu instid0(VALU_DEP_1) | instskip(NEXT) | instid1(VALU_DEP_1)
	v_cndmask_b32_e64 v11, 0, v11, s1
	v_or_b32_e32 v112, v100, v11
.LBB270_1265:                           ;   in Loop: Header=BB270_1066 Depth=1
	s_wait_alu 0xfffe
	s_or_b32 exec_lo, exec_lo, s14
	;;#ASMSTART
	v_pk_mul_f16 v0, v81, v114;

	;;#ASMEND
	;;#ASMSTART
	v_pk_mul_f16 v11, v80, v102;

	;;#ASMEND
	;; [unrolled: 4-line block ×4, first 2 shown]
	;;#ASMSTART
	v_pk_add_f16 v0, v0, v11;

	;;#ASMEND
	;;#ASMSTART
	v_pk_add_f16 v0, v0, v12;

	;;#ASMEND
	;; [unrolled: 4-line block ×3, first 2 shown]
	v_dual_mov_b32 v102, 0 :: v_dual_and_b32 v11, 0xffff, v0
	v_lshrrev_b32_e32 v0, 16, v0
	;;#ASMSTART
	v_cvt_f32_f16 v99, v11;
	;;#ASMEND
	;;#ASMSTART
	v_cvt_f32_f16 v100, v0;
	;;#ASMEND
	flat_load_b64 v[11:12], v[9:10] offset:768
	flat_load_b32 v101, v[26:27]
	s_mov_b32 s14, exec_lo
	s_wait_loadcnt_dscnt 0x101
	v_dual_mov_b32 v103, 0 :: v_dual_and_b32 v0, 0xff, v11
	s_delay_alu instid0(VALU_DEP_1)
	v_cmpx_ne_u16_e32 0, v0
	s_cbranch_execz .LBB270_1273
; %bb.1266:                             ;   in Loop: Header=BB270_1066 Depth=1
	v_mov_b32_e32 v103, 0x8000
	s_mov_b32 s15, exec_lo
	v_cmpx_ne_u16_e32 0x80, v0
	s_cbranch_execz .LBB270_1272
; %bb.1267:                             ;   in Loop: Header=BB270_1066 Depth=1
	v_and_b32_e32 v112, 0x7f, v11
	v_mov_b32_e32 v103, 0x7c01
	s_mov_b32 s16, exec_lo
	s_delay_alu instid0(VALU_DEP_2)
	v_cmpx_ne_u32_e32 0x7f, v112
	s_cbranch_execz .LBB270_1271
; %bb.1268:                             ;   in Loop: Header=BB270_1066 Depth=1
	v_and_b32_e32 v0, 7, v11
	v_lshrrev_b32_e32 v103, 3, v112
	s_mov_b32 s17, exec_lo
	v_cmpx_gt_u32_e32 8, v112
; %bb.1269:                             ;   in Loop: Header=BB270_1066 Depth=1
	s_delay_alu instid0(VALU_DEP_3) | instskip(NEXT) | instid1(VALU_DEP_1)
	v_clz_i32_u32_e32 v0, v0
	v_min_u32_e32 v0, 32, v0
	s_delay_alu instid0(VALU_DEP_1) | instskip(NEXT) | instid1(VALU_DEP_1)
	v_subrev_nc_u32_e32 v103, 28, v0
	v_lshlrev_b64_e32 v[112:113], v103, v[11:12]
	v_sub_nc_u32_e32 v103, 29, v0
	s_delay_alu instid0(VALU_DEP_2)
	v_and_b32_e32 v0, 7, v112
; %bb.1270:                             ;   in Loop: Header=BB270_1066 Depth=1
	s_wait_alu 0xfffe
	s_or_b32 exec_lo, exec_lo, s17
	v_lshlrev_b32_e32 v112, 8, v11
	v_lshl_add_u32 v103, v103, 10, 0x2000
	v_lshlrev_b32_e32 v0, 7, v0
	s_delay_alu instid0(VALU_DEP_3) | instskip(NEXT) | instid1(VALU_DEP_3)
	v_and_b32_e32 v112, 0x8000, v112
	v_and_b32_e32 v103, 0xfc00, v103
	s_delay_alu instid0(VALU_DEP_1)
	v_or3_b32 v103, v112, v103, v0
.LBB270_1271:                           ;   in Loop: Header=BB270_1066 Depth=1
	s_wait_alu 0xfffe
	s_or_b32 exec_lo, exec_lo, s16
.LBB270_1272:                           ;   in Loop: Header=BB270_1066 Depth=1
	s_wait_alu 0xfffe
	s_or_b32 exec_lo, exec_lo, s15
.LBB270_1273:                           ;   in Loop: Header=BB270_1066 Depth=1
	s_wait_alu 0xfffe
	s_or_b32 exec_lo, exec_lo, s14
	v_lshrrev_b16 v0, 8, v11
	s_mov_b32 s14, exec_lo
	s_delay_alu instid0(VALU_DEP_1)
	v_cmpx_ne_u16_e32 0, v0
	s_cbranch_execz .LBB270_1281
; %bb.1274:                             ;   in Loop: Header=BB270_1066 Depth=1
	v_bfrev_b32_e32 v102, 1
	s_mov_b32 s15, exec_lo
	v_cmpx_ne_u16_e32 0x80, v0
	s_cbranch_execz .LBB270_1280
; %bb.1275:                             ;   in Loop: Header=BB270_1066 Depth=1
	v_and_b32_e32 v112, 0xffff, v0
	v_mov_b32_e32 v102, 0x7c010000
	s_mov_b32 s16, exec_lo
	s_delay_alu instid0(VALU_DEP_2) | instskip(NEXT) | instid1(VALU_DEP_1)
	v_and_b32_e32 v114, 0x7f, v112
	v_cmpx_ne_u32_e32 0x7f, v114
	s_cbranch_execz .LBB270_1279
; %bb.1276:                             ;   in Loop: Header=BB270_1066 Depth=1
	v_and_b32_e32 v102, 7, v112
	v_lshrrev_b32_e32 v113, 3, v114
	s_mov_b32 s17, exec_lo
	v_cmpx_gt_u32_e32 8, v114
; %bb.1277:                             ;   in Loop: Header=BB270_1066 Depth=1
	s_delay_alu instid0(VALU_DEP_3) | instskip(NEXT) | instid1(VALU_DEP_1)
	v_clz_i32_u32_e32 v102, v102
	v_min_u32_e32 v102, 32, v102
	s_delay_alu instid0(VALU_DEP_1) | instskip(NEXT) | instid1(VALU_DEP_1)
	v_subrev_nc_u32_e32 v113, 28, v102
	v_lshlrev_b64_e32 v[114:115], v113, v[0:1]
	v_sub_nc_u32_e32 v113, 29, v102
	s_delay_alu instid0(VALU_DEP_2)
	v_and_b32_e32 v102, 7, v114
; %bb.1278:                             ;   in Loop: Header=BB270_1066 Depth=1
	s_wait_alu 0xfffe
	s_or_b32 exec_lo, exec_lo, s17
	v_lshlrev_b32_e32 v0, 8, v112
	v_lshl_add_u32 v112, v113, 10, 0x2000
	v_lshlrev_b32_e32 v102, 23, v102
	s_delay_alu instid0(VALU_DEP_2) | instskip(NEXT) | instid1(VALU_DEP_1)
	v_and_or_b32 v0, 0x8000, v0, v112
	v_lshl_or_b32 v102, v0, 16, v102
.LBB270_1279:                           ;   in Loop: Header=BB270_1066 Depth=1
	s_wait_alu 0xfffe
	s_or_b32 exec_lo, exec_lo, s16
.LBB270_1280:                           ;   in Loop: Header=BB270_1066 Depth=1
	s_wait_alu 0xfffe
	s_or_b32 exec_lo, exec_lo, s15
.LBB270_1281:                           ;   in Loop: Header=BB270_1066 Depth=1
	s_wait_alu 0xfffe
	s_or_b32 exec_lo, exec_lo, s14
	v_lshrrev_b32_e32 v0, 16, v11
	v_mov_b32_e32 v112, 0
	s_mov_b32 s14, exec_lo
	s_delay_alu instid0(VALU_DEP_2) | instskip(NEXT) | instid1(VALU_DEP_1)
	v_dual_mov_b32 v113, 0 :: v_dual_and_b32 v114, 0xff, v0
	v_cmpx_ne_u16_e32 0, v114
	s_cbranch_execz .LBB270_1289
; %bb.1282:                             ;   in Loop: Header=BB270_1066 Depth=1
	v_mov_b32_e32 v113, 0x8000
	s_mov_b32 s15, exec_lo
	v_cmpx_ne_u16_e32 0x80, v114
	s_cbranch_execz .LBB270_1288
; %bb.1283:                             ;   in Loop: Header=BB270_1066 Depth=1
	v_bfe_u32 v115, v11, 16, 7
	v_mov_b32_e32 v113, 0x7c01
	s_mov_b32 s16, exec_lo
	s_delay_alu instid0(VALU_DEP_2)
	v_cmpx_ne_u32_e32 0x7f, v115
	s_cbranch_execz .LBB270_1287
; %bb.1284:                             ;   in Loop: Header=BB270_1066 Depth=1
	v_and_b32_e32 v113, 7, v0
	v_lshrrev_b32_e32 v114, 3, v115
	s_mov_b32 s17, exec_lo
	v_cmpx_gt_u32_e32 8, v115
; %bb.1285:                             ;   in Loop: Header=BB270_1066 Depth=1
	s_delay_alu instid0(VALU_DEP_3) | instskip(NEXT) | instid1(VALU_DEP_1)
	v_clz_i32_u32_e32 v113, v113
	v_min_u32_e32 v115, 32, v113
	s_delay_alu instid0(VALU_DEP_1) | instskip(NEXT) | instid1(VALU_DEP_1)
	v_subrev_nc_u32_e32 v113, 28, v115
	v_lshlrev_b64_e32 v[113:114], v113, v[0:1]
	v_sub_nc_u32_e32 v114, 29, v115
	s_delay_alu instid0(VALU_DEP_2)
	v_and_b32_e32 v113, 7, v113
; %bb.1286:                             ;   in Loop: Header=BB270_1066 Depth=1
	s_wait_alu 0xfffe
	s_or_b32 exec_lo, exec_lo, s17
	v_lshlrev_b32_e32 v0, 8, v0
	v_lshl_add_u32 v114, v114, 10, 0x2000
	v_lshlrev_b32_e32 v113, 7, v113
	s_delay_alu instid0(VALU_DEP_3) | instskip(NEXT) | instid1(VALU_DEP_3)
	v_and_b32_e32 v0, 0x8000, v0
	v_and_b32_e32 v114, 0xfc00, v114
	s_delay_alu instid0(VALU_DEP_1)
	v_or3_b32 v113, v0, v114, v113
.LBB270_1287:                           ;   in Loop: Header=BB270_1066 Depth=1
	s_wait_alu 0xfffe
	s_or_b32 exec_lo, exec_lo, s16
.LBB270_1288:                           ;   in Loop: Header=BB270_1066 Depth=1
	s_wait_alu 0xfffe
	s_or_b32 exec_lo, exec_lo, s15
.LBB270_1289:                           ;   in Loop: Header=BB270_1066 Depth=1
	s_wait_alu 0xfffe
	s_or_b32 exec_lo, exec_lo, s14
	s_delay_alu instid0(SALU_CYCLE_1)
	s_mov_b32 s14, exec_lo
	v_cmpx_lt_u32_e32 0xffffff, v11
	s_cbranch_execz .LBB270_1297
; %bb.1290:                             ;   in Loop: Header=BB270_1066 Depth=1
	v_lshrrev_b32_e32 v0, 24, v11
	v_bfrev_b32_e32 v112, 1
	s_mov_b32 s15, exec_lo
	s_delay_alu instid0(VALU_DEP_2)
	v_cmpx_ne_u32_e32 0x80, v0
	s_cbranch_execz .LBB270_1296
; %bb.1291:                             ;   in Loop: Header=BB270_1066 Depth=1
	v_and_b32_e32 v115, 0x7f, v0
	v_mov_b32_e32 v112, 0x7c010000
	s_mov_b32 s16, exec_lo
	s_delay_alu instid0(VALU_DEP_2)
	v_cmpx_ne_u32_e32 0x7f, v115
	s_cbranch_execz .LBB270_1295
; %bb.1292:                             ;   in Loop: Header=BB270_1066 Depth=1
	v_and_b32_e32 v112, 7, v0
	v_lshrrev_b32_e32 v114, 3, v115
	s_mov_b32 s17, exec_lo
	v_cmpx_gt_u32_e32 8, v115
; %bb.1293:                             ;   in Loop: Header=BB270_1066 Depth=1
	s_delay_alu instid0(VALU_DEP_3) | instskip(NEXT) | instid1(VALU_DEP_1)
	v_clz_i32_u32_e32 v112, v112
	v_min_u32_e32 v112, 32, v112
	s_delay_alu instid0(VALU_DEP_1) | instskip(NEXT) | instid1(VALU_DEP_1)
	v_subrev_nc_u32_e32 v114, 28, v112
	v_lshlrev_b64_e32 v[115:116], v114, v[0:1]
	v_sub_nc_u32_e32 v114, 29, v112
	s_delay_alu instid0(VALU_DEP_2)
	v_and_b32_e32 v112, 7, v115
; %bb.1294:                             ;   in Loop: Header=BB270_1066 Depth=1
	s_wait_alu 0xfffe
	s_or_b32 exec_lo, exec_lo, s17
	v_lshlrev_b32_e32 v0, 8, v0
	v_lshl_add_u32 v114, v114, 10, 0x2000
	v_lshlrev_b32_e32 v112, 23, v112
	s_delay_alu instid0(VALU_DEP_2) | instskip(NEXT) | instid1(VALU_DEP_1)
	v_and_or_b32 v0, 0x8000, v0, v114
	v_lshl_or_b32 v112, v0, 16, v112
.LBB270_1295:                           ;   in Loop: Header=BB270_1066 Depth=1
	s_wait_alu 0xfffe
	s_or_b32 exec_lo, exec_lo, s16
.LBB270_1296:                           ;   in Loop: Header=BB270_1066 Depth=1
	s_wait_alu 0xfffe
	s_or_b32 exec_lo, exec_lo, s15
.LBB270_1297:                           ;   in Loop: Header=BB270_1066 Depth=1
	s_wait_alu 0xfffe
	s_or_b32 exec_lo, exec_lo, s14
	v_dual_mov_b32 v115, 0 :: v_dual_and_b32 v116, 0xff, v12
	v_mov_b32_e32 v0, v12
	v_mov_b32_e32 v114, 0
	s_mov_b32 s14, exec_lo
	s_delay_alu instid0(VALU_DEP_3)
	v_cmpx_ne_u16_e32 0, v116
	s_cbranch_execz .LBB270_1305
; %bb.1298:                             ;   in Loop: Header=BB270_1066 Depth=1
	v_mov_b32_e32 v115, 0x8000
	s_mov_b32 s15, exec_lo
	v_cmpx_ne_u16_e32 0x80, v116
	s_cbranch_execz .LBB270_1304
; %bb.1299:                             ;   in Loop: Header=BB270_1066 Depth=1
	v_and_b32_e32 v117, 0x7f, v12
	v_mov_b32_e32 v115, 0x7c01
	s_mov_b32 s16, exec_lo
	s_delay_alu instid0(VALU_DEP_2)
	v_cmpx_ne_u32_e32 0x7f, v117
	s_cbranch_execz .LBB270_1303
; %bb.1300:                             ;   in Loop: Header=BB270_1066 Depth=1
	v_and_b32_e32 v115, 7, v12
	v_lshrrev_b32_e32 v116, 3, v117
	s_mov_b32 s17, exec_lo
	v_cmpx_gt_u32_e32 8, v117
; %bb.1301:                             ;   in Loop: Header=BB270_1066 Depth=1
	s_delay_alu instid0(VALU_DEP_3) | instskip(NEXT) | instid1(VALU_DEP_1)
	v_clz_i32_u32_e32 v115, v115
	v_min_u32_e32 v117, 32, v115
	s_delay_alu instid0(VALU_DEP_1) | instskip(NEXT) | instid1(VALU_DEP_1)
	v_subrev_nc_u32_e32 v115, 28, v117
	v_lshlrev_b64_e32 v[115:116], v115, v[0:1]
	v_sub_nc_u32_e32 v116, 29, v117
	s_delay_alu instid0(VALU_DEP_2)
	v_and_b32_e32 v115, 7, v115
; %bb.1302:                             ;   in Loop: Header=BB270_1066 Depth=1
	s_wait_alu 0xfffe
	s_or_b32 exec_lo, exec_lo, s17
	v_lshlrev_b32_e32 v117, 8, v12
	v_lshl_add_u32 v116, v116, 10, 0x2000
	v_lshlrev_b32_e32 v115, 7, v115
	s_delay_alu instid0(VALU_DEP_3) | instskip(NEXT) | instid1(VALU_DEP_3)
	v_and_b32_e32 v117, 0x8000, v117
	v_and_b32_e32 v116, 0xfc00, v116
	s_delay_alu instid0(VALU_DEP_1)
	v_or3_b32 v115, v117, v116, v115
.LBB270_1303:                           ;   in Loop: Header=BB270_1066 Depth=1
	s_wait_alu 0xfffe
	s_or_b32 exec_lo, exec_lo, s16
.LBB270_1304:                           ;   in Loop: Header=BB270_1066 Depth=1
	s_wait_alu 0xfffe
	s_or_b32 exec_lo, exec_lo, s15
.LBB270_1305:                           ;   in Loop: Header=BB270_1066 Depth=1
	s_wait_alu 0xfffe
	s_or_b32 exec_lo, exec_lo, s14
	v_lshrrev_b16 v0, 8, v0
	v_mov_b32_e32 v116, 0
	s_mov_b32 s14, exec_lo
	s_delay_alu instid0(VALU_DEP_2)
	v_cmpx_ne_u16_e32 0, v0
	s_cbranch_execz .LBB270_1313
; %bb.1306:                             ;   in Loop: Header=BB270_1066 Depth=1
	v_bfrev_b32_e32 v116, 1
	s_mov_b32 s15, exec_lo
	v_cmpx_ne_u16_e32 0x80, v0
	s_cbranch_execz .LBB270_1312
; %bb.1307:                             ;   in Loop: Header=BB270_1066 Depth=1
	v_and_b32_e32 v117, 0xffff, v0
	v_mov_b32_e32 v116, 0x7c010000
	s_mov_b32 s16, exec_lo
	s_delay_alu instid0(VALU_DEP_2) | instskip(NEXT) | instid1(VALU_DEP_1)
	v_and_b32_e32 v119, 0x7f, v117
	v_cmpx_ne_u32_e32 0x7f, v119
	s_cbranch_execz .LBB270_1311
; %bb.1308:                             ;   in Loop: Header=BB270_1066 Depth=1
	v_and_b32_e32 v116, 7, v117
	v_lshrrev_b32_e32 v118, 3, v119
	s_mov_b32 s17, exec_lo
	v_cmpx_gt_u32_e32 8, v119
; %bb.1309:                             ;   in Loop: Header=BB270_1066 Depth=1
	s_delay_alu instid0(VALU_DEP_3) | instskip(NEXT) | instid1(VALU_DEP_1)
	v_clz_i32_u32_e32 v116, v116
	v_min_u32_e32 v116, 32, v116
	s_delay_alu instid0(VALU_DEP_1) | instskip(NEXT) | instid1(VALU_DEP_1)
	v_subrev_nc_u32_e32 v118, 28, v116
	v_lshlrev_b64_e32 v[128:129], v118, v[0:1]
	v_sub_nc_u32_e32 v118, 29, v116
	s_delay_alu instid0(VALU_DEP_2)
	v_and_b32_e32 v116, 7, v128
; %bb.1310:                             ;   in Loop: Header=BB270_1066 Depth=1
	s_wait_alu 0xfffe
	s_or_b32 exec_lo, exec_lo, s17
	v_lshlrev_b32_e32 v0, 8, v117
	v_lshl_add_u32 v117, v118, 10, 0x2000
	v_lshlrev_b32_e32 v116, 23, v116
	s_delay_alu instid0(VALU_DEP_2) | instskip(NEXT) | instid1(VALU_DEP_1)
	v_and_or_b32 v0, 0x8000, v0, v117
	v_lshl_or_b32 v116, v0, 16, v116
.LBB270_1311:                           ;   in Loop: Header=BB270_1066 Depth=1
	s_wait_alu 0xfffe
	s_or_b32 exec_lo, exec_lo, s16
.LBB270_1312:                           ;   in Loop: Header=BB270_1066 Depth=1
	s_wait_alu 0xfffe
	s_or_b32 exec_lo, exec_lo, s15
.LBB270_1313:                           ;   in Loop: Header=BB270_1066 Depth=1
	s_wait_alu 0xfffe
	s_or_b32 exec_lo, exec_lo, s14
	v_lshrrev_b32_e32 v0, 16, v12
	s_mov_b32 s14, exec_lo
	s_delay_alu instid0(VALU_DEP_1) | instskip(NEXT) | instid1(VALU_DEP_1)
	v_and_b32_e32 v117, 0xff, v0
	v_cmpx_ne_u16_e32 0, v117
	s_cbranch_execz .LBB270_1321
; %bb.1314:                             ;   in Loop: Header=BB270_1066 Depth=1
	v_mov_b32_e32 v114, 0x8000
	s_mov_b32 s15, exec_lo
	v_cmpx_ne_u16_e32 0x80, v117
	s_cbranch_execz .LBB270_1320
; %bb.1315:                             ;   in Loop: Header=BB270_1066 Depth=1
	v_bfe_u32 v118, v12, 16, 7
	v_mov_b32_e32 v114, 0x7c01
	s_mov_b32 s16, exec_lo
	s_delay_alu instid0(VALU_DEP_2)
	v_cmpx_ne_u32_e32 0x7f, v118
	s_cbranch_execz .LBB270_1319
; %bb.1316:                             ;   in Loop: Header=BB270_1066 Depth=1
	v_and_b32_e32 v114, 7, v0
	v_lshrrev_b32_e32 v117, 3, v118
	s_mov_b32 s17, exec_lo
	v_cmpx_gt_u32_e32 8, v118
; %bb.1317:                             ;   in Loop: Header=BB270_1066 Depth=1
	s_delay_alu instid0(VALU_DEP_3) | instskip(NEXT) | instid1(VALU_DEP_1)
	v_clz_i32_u32_e32 v114, v114
	v_min_u32_e32 v114, 32, v114
	s_delay_alu instid0(VALU_DEP_1) | instskip(NEXT) | instid1(VALU_DEP_1)
	v_subrev_nc_u32_e32 v117, 28, v114
	v_lshlrev_b64_e32 v[118:119], v117, v[0:1]
	v_sub_nc_u32_e32 v117, 29, v114
	s_delay_alu instid0(VALU_DEP_2)
	v_and_b32_e32 v114, 7, v118
; %bb.1318:                             ;   in Loop: Header=BB270_1066 Depth=1
	s_wait_alu 0xfffe
	s_or_b32 exec_lo, exec_lo, s17
	v_lshlrev_b32_e32 v0, 8, v0
	v_lshl_add_u32 v117, v117, 10, 0x2000
	v_lshlrev_b32_e32 v114, 7, v114
	s_delay_alu instid0(VALU_DEP_3) | instskip(NEXT) | instid1(VALU_DEP_3)
	v_and_b32_e32 v0, 0x8000, v0
	v_and_b32_e32 v117, 0xfc00, v117
	s_delay_alu instid0(VALU_DEP_1)
	v_or3_b32 v114, v0, v117, v114
.LBB270_1319:                           ;   in Loop: Header=BB270_1066 Depth=1
	s_wait_alu 0xfffe
	s_or_b32 exec_lo, exec_lo, s16
.LBB270_1320:                           ;   in Loop: Header=BB270_1066 Depth=1
	s_wait_alu 0xfffe
	s_or_b32 exec_lo, exec_lo, s15
.LBB270_1321:                           ;   in Loop: Header=BB270_1066 Depth=1
	s_wait_alu 0xfffe
	s_or_b32 exec_lo, exec_lo, s14
	v_cmp_lt_u64_e64 s1, s[8:9], v[11:12]
	v_mov_b32_e32 v11, 0
	s_and_saveexec_b32 s14, s1
	s_cbranch_execz .LBB270_1329
; %bb.1322:                             ;   in Loop: Header=BB270_1066 Depth=1
	v_lshrrev_b32_e32 v0, 24, v12
	v_bfrev_b32_e32 v11, 1
	s_mov_b32 s15, exec_lo
	s_delay_alu instid0(VALU_DEP_2)
	v_cmpx_ne_u32_e32 0x80, v0
	s_cbranch_execz .LBB270_1328
; %bb.1323:                             ;   in Loop: Header=BB270_1066 Depth=1
	v_and_b32_e32 v117, 0x7f, v0
	v_mov_b32_e32 v11, 0x7c010000
	s_mov_b32 s16, exec_lo
	s_delay_alu instid0(VALU_DEP_2)
	v_cmpx_ne_u32_e32 0x7f, v117
	s_cbranch_execz .LBB270_1327
; %bb.1324:                             ;   in Loop: Header=BB270_1066 Depth=1
	v_and_b32_e32 v11, 7, v0
	v_lshrrev_b32_e32 v12, 3, v117
	s_mov_b32 s17, exec_lo
	v_cmpx_gt_u32_e32 8, v117
; %bb.1325:                             ;   in Loop: Header=BB270_1066 Depth=1
	s_delay_alu instid0(VALU_DEP_3) | instskip(NEXT) | instid1(VALU_DEP_1)
	v_clz_i32_u32_e32 v11, v11
	v_min_u32_e32 v117, 32, v11
	s_delay_alu instid0(VALU_DEP_1) | instskip(NEXT) | instid1(VALU_DEP_1)
	v_subrev_nc_u32_e32 v11, 28, v117
	v_lshlrev_b64_e32 v[11:12], v11, v[0:1]
	v_sub_nc_u32_e32 v12, 29, v117
	s_delay_alu instid0(VALU_DEP_2)
	v_and_b32_e32 v11, 7, v11
; %bb.1326:                             ;   in Loop: Header=BB270_1066 Depth=1
	s_wait_alu 0xfffe
	s_or_b32 exec_lo, exec_lo, s17
	v_lshlrev_b32_e32 v0, 8, v0
	v_lshl_add_u32 v12, v12, 10, 0x2000
	v_lshlrev_b32_e32 v11, 23, v11
	s_delay_alu instid0(VALU_DEP_2) | instskip(NEXT) | instid1(VALU_DEP_1)
	v_and_or_b32 v0, 0x8000, v0, v12
	v_lshl_or_b32 v11, v0, 16, v11
.LBB270_1327:                           ;   in Loop: Header=BB270_1066 Depth=1
	s_wait_alu 0xfffe
	s_or_b32 exec_lo, exec_lo, s16
.LBB270_1328:                           ;   in Loop: Header=BB270_1066 Depth=1
	s_wait_alu 0xfffe
	s_or_b32 exec_lo, exec_lo, s15
.LBB270_1329:                           ;   in Loop: Header=BB270_1066 Depth=1
	s_wait_alu 0xfffe
	s_or_b32 exec_lo, exec_lo, s14
	v_or_b32_e32 v0, v112, v113
	s_wait_loadcnt_dscnt 0x0
	v_fma_mixlo_f16 v12, v101, v112, 0 op_sel:[0,1,0] op_sel_hi:[0,1,0]
	v_or_b32_e32 v112, v102, v103
	v_fma_mixlo_f16 v102, v101, v102, 0 op_sel:[0,1,0] op_sel_hi:[0,1,0]
	v_or_b32_e32 v113, v116, v115
	v_or_b32_e32 v114, v11, v114
	v_fma_mixlo_f16 v115, v101, v0, 0 op_sel_hi:[0,1,0]
	v_fma_mixlo_f16 v11, v101, v11, 0 op_sel:[0,1,0] op_sel_hi:[0,1,0]
	v_lshlrev_b32_e32 v103, 16, v102
	v_fma_mixlo_f16 v102, v101, v112, 0 op_sel_hi:[0,1,0]
	v_fma_mixlo_f16 v112, v101, v116, 0 op_sel:[0,1,0] op_sel_hi:[0,1,0]
	v_fma_mixlo_f16 v113, v101, v113, 0 op_sel_hi:[0,1,0]
	v_fma_mixlo_f16 v114, v101, v114, 0 op_sel_hi:[0,1,0]
	v_lshlrev_b32_e32 v0, 16, v12
	v_and_b32_e32 v12, 0xffff, v115
	v_and_b32_e32 v117, 0xffff, v102
	v_lshlrev_b32_e32 v101, 16, v112
	v_and_b32_e32 v113, 0xffff, v113
	v_lshlrev_b32_e32 v11, 16, v11
	v_and_b32_e32 v102, 0xffff, v114
	v_or_b32_e32 v112, v0, v12
	v_or_b32_e32 v116, v103, v117
	;; [unrolled: 1-line block ×3, first 2 shown]
	s_delay_alu instid0(VALU_DEP_4)
	v_or_b32_e32 v114, v11, v102
	s_and_saveexec_b32 s14, vcc_lo
	s_cbranch_execz .LBB270_1331
; %bb.1330:                             ;   in Loop: Header=BB270_1066 Depth=1
	v_cmp_lt_i32_e64 s1, v16, v34
	s_wait_alu 0xf1ff
	s_delay_alu instid0(VALU_DEP_1) | instskip(SKIP_2) | instid1(VALU_DEP_1)
	v_cndmask_b32_e64 v112, 0, v117, s1
	v_cmp_lt_i32_e64 s1, v96, v34
	s_wait_alu 0xf1ff
	v_cndmask_b32_e64 v103, 0, v103, s1
	v_cmp_lt_i32_e64 s1, v87, v34
	s_delay_alu instid0(VALU_DEP_2) | instskip(SKIP_1) | instid1(VALU_DEP_2)
	v_or_b32_e32 v116, v112, v103
	s_wait_alu 0xf1ff
	v_cndmask_b32_e64 v12, 0, v12, s1
	v_cmp_lt_i32_e64 s1, v86, v34
	s_wait_alu 0xf1ff
	s_delay_alu instid0(VALU_DEP_1) | instskip(SKIP_1) | instid1(VALU_DEP_2)
	v_cndmask_b32_e64 v0, 0, v0, s1
	v_cmp_lt_i32_e64 s1, v85, v34
	v_or_b32_e32 v112, v12, v0
	s_wait_alu 0xf1ff
	s_delay_alu instid0(VALU_DEP_2) | instskip(SKIP_2) | instid1(VALU_DEP_1)
	v_cndmask_b32_e64 v113, 0, v113, s1
	v_cmp_lt_i32_e64 s1, v84, v34
	s_wait_alu 0xf1ff
	v_cndmask_b32_e64 v101, 0, v101, s1
	v_cmp_lt_i32_e64 s1, v83, v34
	s_delay_alu instid0(VALU_DEP_2) | instskip(SKIP_1) | instid1(VALU_DEP_2)
	v_or_b32_e32 v115, v113, v101
	s_wait_alu 0xf1ff
	v_cndmask_b32_e64 v102, 0, v102, s1
	v_cmp_lt_i32_e64 s1, v82, v34
	s_wait_alu 0xf1ff
	s_delay_alu instid0(VALU_DEP_1) | instskip(NEXT) | instid1(VALU_DEP_1)
	v_cndmask_b32_e64 v11, 0, v11, s1
	v_or_b32_e32 v114, v102, v11
.LBB270_1331:                           ;   in Loop: Header=BB270_1066 Depth=1
	s_wait_alu 0xfffe
	s_or_b32 exec_lo, exec_lo, s14
	;;#ASMSTART
	v_pk_mul_f16 v0, v81, v116;

	;;#ASMEND
	;;#ASMSTART
	v_pk_mul_f16 v11, v80, v112;

	;;#ASMEND
	;; [unrolled: 4-line block ×4, first 2 shown]
	;;#ASMSTART
	v_pk_add_f16 v0, v0, v11;

	;;#ASMEND
	;;#ASMSTART
	v_pk_add_f16 v0, v0, v12;

	;;#ASMEND
	;; [unrolled: 4-line block ×3, first 2 shown]
	v_dual_mov_b32 v112, 0 :: v_dual_and_b32 v11, 0xffff, v0
	v_lshrrev_b32_e32 v0, 16, v0
	;;#ASMSTART
	v_cvt_f32_f16 v101, v11;
	;;#ASMEND
	;;#ASMSTART
	v_cvt_f32_f16 v102, v0;
	;;#ASMEND
	flat_load_b64 v[11:12], v[9:10] offset:1024
	flat_load_b32 v103, v[26:27]
	s_mov_b32 s14, exec_lo
	s_wait_loadcnt_dscnt 0x101
	v_dual_mov_b32 v113, 0 :: v_dual_and_b32 v0, 0xff, v11
	s_delay_alu instid0(VALU_DEP_1)
	v_cmpx_ne_u16_e32 0, v0
	s_cbranch_execz .LBB270_1339
; %bb.1332:                             ;   in Loop: Header=BB270_1066 Depth=1
	v_mov_b32_e32 v113, 0x8000
	s_mov_b32 s15, exec_lo
	v_cmpx_ne_u16_e32 0x80, v0
	s_cbranch_execz .LBB270_1338
; %bb.1333:                             ;   in Loop: Header=BB270_1066 Depth=1
	v_and_b32_e32 v114, 0x7f, v11
	v_mov_b32_e32 v113, 0x7c01
	s_mov_b32 s16, exec_lo
	s_delay_alu instid0(VALU_DEP_2)
	v_cmpx_ne_u32_e32 0x7f, v114
	s_cbranch_execz .LBB270_1337
; %bb.1334:                             ;   in Loop: Header=BB270_1066 Depth=1
	v_and_b32_e32 v0, 7, v11
	v_lshrrev_b32_e32 v113, 3, v114
	s_mov_b32 s17, exec_lo
	v_cmpx_gt_u32_e32 8, v114
; %bb.1335:                             ;   in Loop: Header=BB270_1066 Depth=1
	s_delay_alu instid0(VALU_DEP_3) | instskip(NEXT) | instid1(VALU_DEP_1)
	v_clz_i32_u32_e32 v0, v0
	v_min_u32_e32 v0, 32, v0
	s_delay_alu instid0(VALU_DEP_1) | instskip(NEXT) | instid1(VALU_DEP_1)
	v_subrev_nc_u32_e32 v113, 28, v0
	v_lshlrev_b64_e32 v[114:115], v113, v[11:12]
	v_sub_nc_u32_e32 v113, 29, v0
	s_delay_alu instid0(VALU_DEP_2)
	v_and_b32_e32 v0, 7, v114
; %bb.1336:                             ;   in Loop: Header=BB270_1066 Depth=1
	s_wait_alu 0xfffe
	s_or_b32 exec_lo, exec_lo, s17
	v_lshlrev_b32_e32 v114, 8, v11
	v_lshl_add_u32 v113, v113, 10, 0x2000
	v_lshlrev_b32_e32 v0, 7, v0
	s_delay_alu instid0(VALU_DEP_3) | instskip(NEXT) | instid1(VALU_DEP_3)
	v_and_b32_e32 v114, 0x8000, v114
	v_and_b32_e32 v113, 0xfc00, v113
	s_delay_alu instid0(VALU_DEP_1)
	v_or3_b32 v113, v114, v113, v0
.LBB270_1337:                           ;   in Loop: Header=BB270_1066 Depth=1
	s_wait_alu 0xfffe
	s_or_b32 exec_lo, exec_lo, s16
.LBB270_1338:                           ;   in Loop: Header=BB270_1066 Depth=1
	s_wait_alu 0xfffe
	s_or_b32 exec_lo, exec_lo, s15
.LBB270_1339:                           ;   in Loop: Header=BB270_1066 Depth=1
	s_wait_alu 0xfffe
	s_or_b32 exec_lo, exec_lo, s14
	v_lshrrev_b16 v0, 8, v11
	s_mov_b32 s14, exec_lo
	s_delay_alu instid0(VALU_DEP_1)
	v_cmpx_ne_u16_e32 0, v0
	s_cbranch_execz .LBB270_1347
; %bb.1340:                             ;   in Loop: Header=BB270_1066 Depth=1
	v_bfrev_b32_e32 v112, 1
	s_mov_b32 s15, exec_lo
	v_cmpx_ne_u16_e32 0x80, v0
	s_cbranch_execz .LBB270_1346
; %bb.1341:                             ;   in Loop: Header=BB270_1066 Depth=1
	v_and_b32_e32 v114, 0xffff, v0
	v_mov_b32_e32 v112, 0x7c010000
	s_mov_b32 s16, exec_lo
	s_delay_alu instid0(VALU_DEP_2) | instskip(NEXT) | instid1(VALU_DEP_1)
	v_and_b32_e32 v116, 0x7f, v114
	v_cmpx_ne_u32_e32 0x7f, v116
	s_cbranch_execz .LBB270_1345
; %bb.1342:                             ;   in Loop: Header=BB270_1066 Depth=1
	v_and_b32_e32 v112, 7, v114
	v_lshrrev_b32_e32 v115, 3, v116
	s_mov_b32 s17, exec_lo
	v_cmpx_gt_u32_e32 8, v116
; %bb.1343:                             ;   in Loop: Header=BB270_1066 Depth=1
	s_delay_alu instid0(VALU_DEP_3) | instskip(NEXT) | instid1(VALU_DEP_1)
	v_clz_i32_u32_e32 v112, v112
	v_min_u32_e32 v112, 32, v112
	s_delay_alu instid0(VALU_DEP_1) | instskip(NEXT) | instid1(VALU_DEP_1)
	v_subrev_nc_u32_e32 v115, 28, v112
	v_lshlrev_b64_e32 v[116:117], v115, v[0:1]
	v_sub_nc_u32_e32 v115, 29, v112
	s_delay_alu instid0(VALU_DEP_2)
	v_and_b32_e32 v112, 7, v116
; %bb.1344:                             ;   in Loop: Header=BB270_1066 Depth=1
	s_wait_alu 0xfffe
	s_or_b32 exec_lo, exec_lo, s17
	v_lshlrev_b32_e32 v0, 8, v114
	v_lshl_add_u32 v114, v115, 10, 0x2000
	v_lshlrev_b32_e32 v112, 23, v112
	s_delay_alu instid0(VALU_DEP_2) | instskip(NEXT) | instid1(VALU_DEP_1)
	v_and_or_b32 v0, 0x8000, v0, v114
	v_lshl_or_b32 v112, v0, 16, v112
.LBB270_1345:                           ;   in Loop: Header=BB270_1066 Depth=1
	s_wait_alu 0xfffe
	s_or_b32 exec_lo, exec_lo, s16
.LBB270_1346:                           ;   in Loop: Header=BB270_1066 Depth=1
	s_wait_alu 0xfffe
	s_or_b32 exec_lo, exec_lo, s15
.LBB270_1347:                           ;   in Loop: Header=BB270_1066 Depth=1
	s_wait_alu 0xfffe
	s_or_b32 exec_lo, exec_lo, s14
	v_lshrrev_b32_e32 v0, 16, v11
	v_mov_b32_e32 v114, 0
	s_mov_b32 s14, exec_lo
	s_delay_alu instid0(VALU_DEP_2) | instskip(NEXT) | instid1(VALU_DEP_1)
	v_dual_mov_b32 v115, 0 :: v_dual_and_b32 v116, 0xff, v0
	v_cmpx_ne_u16_e32 0, v116
	s_cbranch_execz .LBB270_1355
; %bb.1348:                             ;   in Loop: Header=BB270_1066 Depth=1
	v_mov_b32_e32 v115, 0x8000
	s_mov_b32 s15, exec_lo
	v_cmpx_ne_u16_e32 0x80, v116
	s_cbranch_execz .LBB270_1354
; %bb.1349:                             ;   in Loop: Header=BB270_1066 Depth=1
	v_bfe_u32 v117, v11, 16, 7
	v_mov_b32_e32 v115, 0x7c01
	s_mov_b32 s16, exec_lo
	s_delay_alu instid0(VALU_DEP_2)
	v_cmpx_ne_u32_e32 0x7f, v117
	s_cbranch_execz .LBB270_1353
; %bb.1350:                             ;   in Loop: Header=BB270_1066 Depth=1
	v_and_b32_e32 v115, 7, v0
	v_lshrrev_b32_e32 v116, 3, v117
	s_mov_b32 s17, exec_lo
	v_cmpx_gt_u32_e32 8, v117
; %bb.1351:                             ;   in Loop: Header=BB270_1066 Depth=1
	s_delay_alu instid0(VALU_DEP_3) | instskip(NEXT) | instid1(VALU_DEP_1)
	v_clz_i32_u32_e32 v115, v115
	v_min_u32_e32 v117, 32, v115
	s_delay_alu instid0(VALU_DEP_1) | instskip(NEXT) | instid1(VALU_DEP_1)
	v_subrev_nc_u32_e32 v115, 28, v117
	v_lshlrev_b64_e32 v[115:116], v115, v[0:1]
	v_sub_nc_u32_e32 v116, 29, v117
	s_delay_alu instid0(VALU_DEP_2)
	v_and_b32_e32 v115, 7, v115
; %bb.1352:                             ;   in Loop: Header=BB270_1066 Depth=1
	s_wait_alu 0xfffe
	s_or_b32 exec_lo, exec_lo, s17
	v_lshlrev_b32_e32 v0, 8, v0
	v_lshl_add_u32 v116, v116, 10, 0x2000
	v_lshlrev_b32_e32 v115, 7, v115
	s_delay_alu instid0(VALU_DEP_3) | instskip(NEXT) | instid1(VALU_DEP_3)
	v_and_b32_e32 v0, 0x8000, v0
	v_and_b32_e32 v116, 0xfc00, v116
	s_delay_alu instid0(VALU_DEP_1)
	v_or3_b32 v115, v0, v116, v115
.LBB270_1353:                           ;   in Loop: Header=BB270_1066 Depth=1
	s_wait_alu 0xfffe
	s_or_b32 exec_lo, exec_lo, s16
.LBB270_1354:                           ;   in Loop: Header=BB270_1066 Depth=1
	s_wait_alu 0xfffe
	s_or_b32 exec_lo, exec_lo, s15
.LBB270_1355:                           ;   in Loop: Header=BB270_1066 Depth=1
	s_wait_alu 0xfffe
	s_or_b32 exec_lo, exec_lo, s14
	s_delay_alu instid0(SALU_CYCLE_1)
	s_mov_b32 s14, exec_lo
	v_cmpx_lt_u32_e32 0xffffff, v11
	s_cbranch_execz .LBB270_1363
; %bb.1356:                             ;   in Loop: Header=BB270_1066 Depth=1
	v_lshrrev_b32_e32 v0, 24, v11
	v_bfrev_b32_e32 v114, 1
	s_mov_b32 s15, exec_lo
	s_delay_alu instid0(VALU_DEP_2)
	v_cmpx_ne_u32_e32 0x80, v0
	s_cbranch_execz .LBB270_1362
; %bb.1357:                             ;   in Loop: Header=BB270_1066 Depth=1
	v_and_b32_e32 v117, 0x7f, v0
	v_mov_b32_e32 v114, 0x7c010000
	s_mov_b32 s16, exec_lo
	s_delay_alu instid0(VALU_DEP_2)
	v_cmpx_ne_u32_e32 0x7f, v117
	s_cbranch_execz .LBB270_1361
; %bb.1358:                             ;   in Loop: Header=BB270_1066 Depth=1
	v_and_b32_e32 v114, 7, v0
	v_lshrrev_b32_e32 v116, 3, v117
	s_mov_b32 s17, exec_lo
	v_cmpx_gt_u32_e32 8, v117
; %bb.1359:                             ;   in Loop: Header=BB270_1066 Depth=1
	s_delay_alu instid0(VALU_DEP_3) | instskip(NEXT) | instid1(VALU_DEP_1)
	v_clz_i32_u32_e32 v114, v114
	v_min_u32_e32 v114, 32, v114
	s_delay_alu instid0(VALU_DEP_1) | instskip(NEXT) | instid1(VALU_DEP_1)
	v_subrev_nc_u32_e32 v116, 28, v114
	v_lshlrev_b64_e32 v[117:118], v116, v[0:1]
	v_sub_nc_u32_e32 v116, 29, v114
	s_delay_alu instid0(VALU_DEP_2)
	v_and_b32_e32 v114, 7, v117
; %bb.1360:                             ;   in Loop: Header=BB270_1066 Depth=1
	s_wait_alu 0xfffe
	s_or_b32 exec_lo, exec_lo, s17
	v_lshlrev_b32_e32 v0, 8, v0
	v_lshl_add_u32 v116, v116, 10, 0x2000
	v_lshlrev_b32_e32 v114, 23, v114
	s_delay_alu instid0(VALU_DEP_2) | instskip(NEXT) | instid1(VALU_DEP_1)
	v_and_or_b32 v0, 0x8000, v0, v116
	v_lshl_or_b32 v114, v0, 16, v114
.LBB270_1361:                           ;   in Loop: Header=BB270_1066 Depth=1
	s_wait_alu 0xfffe
	s_or_b32 exec_lo, exec_lo, s16
.LBB270_1362:                           ;   in Loop: Header=BB270_1066 Depth=1
	s_wait_alu 0xfffe
	s_or_b32 exec_lo, exec_lo, s15
.LBB270_1363:                           ;   in Loop: Header=BB270_1066 Depth=1
	s_wait_alu 0xfffe
	s_or_b32 exec_lo, exec_lo, s14
	v_dual_mov_b32 v117, 0 :: v_dual_and_b32 v118, 0xff, v12
	v_mov_b32_e32 v0, v12
	v_mov_b32_e32 v116, 0
	s_mov_b32 s14, exec_lo
	s_delay_alu instid0(VALU_DEP_3)
	v_cmpx_ne_u16_e32 0, v118
	s_cbranch_execz .LBB270_1371
; %bb.1364:                             ;   in Loop: Header=BB270_1066 Depth=1
	v_mov_b32_e32 v117, 0x8000
	s_mov_b32 s15, exec_lo
	v_cmpx_ne_u16_e32 0x80, v118
	s_cbranch_execz .LBB270_1370
; %bb.1365:                             ;   in Loop: Header=BB270_1066 Depth=1
	v_and_b32_e32 v119, 0x7f, v12
	v_mov_b32_e32 v117, 0x7c01
	s_mov_b32 s16, exec_lo
	s_delay_alu instid0(VALU_DEP_2)
	v_cmpx_ne_u32_e32 0x7f, v119
	s_cbranch_execz .LBB270_1369
; %bb.1366:                             ;   in Loop: Header=BB270_1066 Depth=1
	v_and_b32_e32 v117, 7, v12
	v_lshrrev_b32_e32 v118, 3, v119
	s_mov_b32 s17, exec_lo
	v_cmpx_gt_u32_e32 8, v119
; %bb.1367:                             ;   in Loop: Header=BB270_1066 Depth=1
	s_delay_alu instid0(VALU_DEP_3) | instskip(NEXT) | instid1(VALU_DEP_1)
	v_clz_i32_u32_e32 v117, v117
	v_min_u32_e32 v119, 32, v117
	s_delay_alu instid0(VALU_DEP_1) | instskip(NEXT) | instid1(VALU_DEP_1)
	v_subrev_nc_u32_e32 v117, 28, v119
	v_lshlrev_b64_e32 v[117:118], v117, v[0:1]
	v_sub_nc_u32_e32 v118, 29, v119
	s_delay_alu instid0(VALU_DEP_2)
	v_and_b32_e32 v117, 7, v117
; %bb.1368:                             ;   in Loop: Header=BB270_1066 Depth=1
	s_wait_alu 0xfffe
	s_or_b32 exec_lo, exec_lo, s17
	v_lshlrev_b32_e32 v119, 8, v12
	v_lshl_add_u32 v118, v118, 10, 0x2000
	v_lshlrev_b32_e32 v117, 7, v117
	s_delay_alu instid0(VALU_DEP_3) | instskip(NEXT) | instid1(VALU_DEP_3)
	v_and_b32_e32 v119, 0x8000, v119
	v_and_b32_e32 v118, 0xfc00, v118
	s_delay_alu instid0(VALU_DEP_1)
	v_or3_b32 v117, v119, v118, v117
.LBB270_1369:                           ;   in Loop: Header=BB270_1066 Depth=1
	s_wait_alu 0xfffe
	s_or_b32 exec_lo, exec_lo, s16
.LBB270_1370:                           ;   in Loop: Header=BB270_1066 Depth=1
	s_wait_alu 0xfffe
	s_or_b32 exec_lo, exec_lo, s15
.LBB270_1371:                           ;   in Loop: Header=BB270_1066 Depth=1
	s_wait_alu 0xfffe
	s_or_b32 exec_lo, exec_lo, s14
	v_lshrrev_b16 v0, 8, v0
	v_mov_b32_e32 v118, 0
	s_mov_b32 s14, exec_lo
	s_delay_alu instid0(VALU_DEP_2)
	v_cmpx_ne_u16_e32 0, v0
	s_cbranch_execz .LBB270_1379
; %bb.1372:                             ;   in Loop: Header=BB270_1066 Depth=1
	v_bfrev_b32_e32 v118, 1
	s_mov_b32 s15, exec_lo
	v_cmpx_ne_u16_e32 0x80, v0
	s_cbranch_execz .LBB270_1378
; %bb.1373:                             ;   in Loop: Header=BB270_1066 Depth=1
	v_and_b32_e32 v119, 0xffff, v0
	v_mov_b32_e32 v118, 0x7c010000
	s_mov_b32 s16, exec_lo
	s_delay_alu instid0(VALU_DEP_2) | instskip(NEXT) | instid1(VALU_DEP_1)
	v_and_b32_e32 v129, 0x7f, v119
	v_cmpx_ne_u32_e32 0x7f, v129
	s_cbranch_execz .LBB270_1377
; %bb.1374:                             ;   in Loop: Header=BB270_1066 Depth=1
	v_and_b32_e32 v118, 7, v119
	v_lshrrev_b32_e32 v128, 3, v129
	s_mov_b32 s17, exec_lo
	v_cmpx_gt_u32_e32 8, v129
; %bb.1375:                             ;   in Loop: Header=BB270_1066 Depth=1
	s_delay_alu instid0(VALU_DEP_3) | instskip(NEXT) | instid1(VALU_DEP_1)
	v_clz_i32_u32_e32 v118, v118
	v_min_u32_e32 v118, 32, v118
	s_delay_alu instid0(VALU_DEP_1) | instskip(NEXT) | instid1(VALU_DEP_1)
	v_subrev_nc_u32_e32 v128, 28, v118
	v_lshlrev_b64_e32 v[129:130], v128, v[0:1]
	v_sub_nc_u32_e32 v128, 29, v118
	s_delay_alu instid0(VALU_DEP_2)
	v_and_b32_e32 v118, 7, v129
; %bb.1376:                             ;   in Loop: Header=BB270_1066 Depth=1
	s_wait_alu 0xfffe
	s_or_b32 exec_lo, exec_lo, s17
	v_lshlrev_b32_e32 v0, 8, v119
	v_lshl_add_u32 v119, v128, 10, 0x2000
	v_lshlrev_b32_e32 v118, 23, v118
	s_delay_alu instid0(VALU_DEP_2) | instskip(NEXT) | instid1(VALU_DEP_1)
	v_and_or_b32 v0, 0x8000, v0, v119
	v_lshl_or_b32 v118, v0, 16, v118
.LBB270_1377:                           ;   in Loop: Header=BB270_1066 Depth=1
	s_wait_alu 0xfffe
	s_or_b32 exec_lo, exec_lo, s16
.LBB270_1378:                           ;   in Loop: Header=BB270_1066 Depth=1
	s_wait_alu 0xfffe
	s_or_b32 exec_lo, exec_lo, s15
.LBB270_1379:                           ;   in Loop: Header=BB270_1066 Depth=1
	s_wait_alu 0xfffe
	s_or_b32 exec_lo, exec_lo, s14
	v_lshrrev_b32_e32 v0, 16, v12
	s_mov_b32 s14, exec_lo
	s_delay_alu instid0(VALU_DEP_1) | instskip(NEXT) | instid1(VALU_DEP_1)
	v_and_b32_e32 v119, 0xff, v0
	v_cmpx_ne_u16_e32 0, v119
	s_cbranch_execz .LBB270_1387
; %bb.1380:                             ;   in Loop: Header=BB270_1066 Depth=1
	v_mov_b32_e32 v116, 0x8000
	s_mov_b32 s15, exec_lo
	v_cmpx_ne_u16_e32 0x80, v119
	s_cbranch_execz .LBB270_1386
; %bb.1381:                             ;   in Loop: Header=BB270_1066 Depth=1
	v_bfe_u32 v128, v12, 16, 7
	v_mov_b32_e32 v116, 0x7c01
	s_mov_b32 s16, exec_lo
	s_delay_alu instid0(VALU_DEP_2)
	v_cmpx_ne_u32_e32 0x7f, v128
	s_cbranch_execz .LBB270_1385
; %bb.1382:                             ;   in Loop: Header=BB270_1066 Depth=1
	v_and_b32_e32 v116, 7, v0
	v_lshrrev_b32_e32 v119, 3, v128
	s_mov_b32 s17, exec_lo
	v_cmpx_gt_u32_e32 8, v128
; %bb.1383:                             ;   in Loop: Header=BB270_1066 Depth=1
	s_delay_alu instid0(VALU_DEP_3) | instskip(NEXT) | instid1(VALU_DEP_1)
	v_clz_i32_u32_e32 v116, v116
	v_min_u32_e32 v116, 32, v116
	s_delay_alu instid0(VALU_DEP_1) | instskip(NEXT) | instid1(VALU_DEP_1)
	v_subrev_nc_u32_e32 v119, 28, v116
	v_lshlrev_b64_e32 v[128:129], v119, v[0:1]
	v_sub_nc_u32_e32 v119, 29, v116
	s_delay_alu instid0(VALU_DEP_2)
	v_and_b32_e32 v116, 7, v128
; %bb.1384:                             ;   in Loop: Header=BB270_1066 Depth=1
	s_wait_alu 0xfffe
	s_or_b32 exec_lo, exec_lo, s17
	v_lshlrev_b32_e32 v0, 8, v0
	v_lshl_add_u32 v119, v119, 10, 0x2000
	v_lshlrev_b32_e32 v116, 7, v116
	s_delay_alu instid0(VALU_DEP_3) | instskip(NEXT) | instid1(VALU_DEP_3)
	v_and_b32_e32 v0, 0x8000, v0
	v_and_b32_e32 v119, 0xfc00, v119
	s_delay_alu instid0(VALU_DEP_1)
	v_or3_b32 v116, v0, v119, v116
.LBB270_1385:                           ;   in Loop: Header=BB270_1066 Depth=1
	s_wait_alu 0xfffe
	s_or_b32 exec_lo, exec_lo, s16
.LBB270_1386:                           ;   in Loop: Header=BB270_1066 Depth=1
	s_wait_alu 0xfffe
	s_or_b32 exec_lo, exec_lo, s15
.LBB270_1387:                           ;   in Loop: Header=BB270_1066 Depth=1
	s_wait_alu 0xfffe
	s_or_b32 exec_lo, exec_lo, s14
	v_cmp_lt_u64_e64 s1, s[8:9], v[11:12]
	v_mov_b32_e32 v11, 0
	s_and_saveexec_b32 s14, s1
	s_cbranch_execz .LBB270_1395
; %bb.1388:                             ;   in Loop: Header=BB270_1066 Depth=1
	v_lshrrev_b32_e32 v0, 24, v12
	v_bfrev_b32_e32 v11, 1
	s_mov_b32 s15, exec_lo
	s_delay_alu instid0(VALU_DEP_2)
	v_cmpx_ne_u32_e32 0x80, v0
	s_cbranch_execz .LBB270_1394
; %bb.1389:                             ;   in Loop: Header=BB270_1066 Depth=1
	v_and_b32_e32 v119, 0x7f, v0
	v_mov_b32_e32 v11, 0x7c010000
	s_mov_b32 s16, exec_lo
	s_delay_alu instid0(VALU_DEP_2)
	v_cmpx_ne_u32_e32 0x7f, v119
	s_cbranch_execz .LBB270_1393
; %bb.1390:                             ;   in Loop: Header=BB270_1066 Depth=1
	v_and_b32_e32 v11, 7, v0
	v_lshrrev_b32_e32 v12, 3, v119
	s_mov_b32 s17, exec_lo
	v_cmpx_gt_u32_e32 8, v119
; %bb.1391:                             ;   in Loop: Header=BB270_1066 Depth=1
	s_delay_alu instid0(VALU_DEP_3) | instskip(NEXT) | instid1(VALU_DEP_1)
	v_clz_i32_u32_e32 v11, v11
	v_min_u32_e32 v119, 32, v11
	s_delay_alu instid0(VALU_DEP_1) | instskip(NEXT) | instid1(VALU_DEP_1)
	v_subrev_nc_u32_e32 v11, 28, v119
	v_lshlrev_b64_e32 v[11:12], v11, v[0:1]
	v_sub_nc_u32_e32 v12, 29, v119
	s_delay_alu instid0(VALU_DEP_2)
	v_and_b32_e32 v11, 7, v11
; %bb.1392:                             ;   in Loop: Header=BB270_1066 Depth=1
	s_wait_alu 0xfffe
	s_or_b32 exec_lo, exec_lo, s17
	v_lshlrev_b32_e32 v0, 8, v0
	v_lshl_add_u32 v12, v12, 10, 0x2000
	v_lshlrev_b32_e32 v11, 23, v11
	s_delay_alu instid0(VALU_DEP_2) | instskip(NEXT) | instid1(VALU_DEP_1)
	v_and_or_b32 v0, 0x8000, v0, v12
	v_lshl_or_b32 v11, v0, 16, v11
.LBB270_1393:                           ;   in Loop: Header=BB270_1066 Depth=1
	s_wait_alu 0xfffe
	s_or_b32 exec_lo, exec_lo, s16
.LBB270_1394:                           ;   in Loop: Header=BB270_1066 Depth=1
	s_wait_alu 0xfffe
	s_or_b32 exec_lo, exec_lo, s15
.LBB270_1395:                           ;   in Loop: Header=BB270_1066 Depth=1
	s_wait_alu 0xfffe
	s_or_b32 exec_lo, exec_lo, s14
	v_or_b32_e32 v0, v114, v115
	s_wait_loadcnt_dscnt 0x0
	v_fma_mixlo_f16 v12, v103, v114, 0 op_sel:[0,1,0] op_sel_hi:[0,1,0]
	v_or_b32_e32 v114, v112, v113
	v_fma_mixlo_f16 v112, v103, v112, 0 op_sel:[0,1,0] op_sel_hi:[0,1,0]
	v_or_b32_e32 v115, v118, v117
	v_or_b32_e32 v116, v11, v116
	v_fma_mixlo_f16 v117, v103, v0, 0 op_sel_hi:[0,1,0]
	v_fma_mixlo_f16 v11, v103, v11, 0 op_sel:[0,1,0] op_sel_hi:[0,1,0]
	v_lshlrev_b32_e32 v113, 16, v112
	v_fma_mixlo_f16 v112, v103, v114, 0 op_sel_hi:[0,1,0]
	v_fma_mixlo_f16 v114, v103, v118, 0 op_sel:[0,1,0] op_sel_hi:[0,1,0]
	v_fma_mixlo_f16 v115, v103, v115, 0 op_sel_hi:[0,1,0]
	v_fma_mixlo_f16 v116, v103, v116, 0 op_sel_hi:[0,1,0]
	v_lshlrev_b32_e32 v0, 16, v12
	v_and_b32_e32 v12, 0xffff, v117
	v_and_b32_e32 v119, 0xffff, v112
	v_lshlrev_b32_e32 v103, 16, v114
	v_and_b32_e32 v115, 0xffff, v115
	v_lshlrev_b32_e32 v11, 16, v11
	v_and_b32_e32 v112, 0xffff, v116
	v_or_b32_e32 v114, v0, v12
	v_or_b32_e32 v118, v113, v119
	;; [unrolled: 1-line block ×3, first 2 shown]
	s_delay_alu instid0(VALU_DEP_4)
	v_or_b32_e32 v116, v11, v112
	s_and_saveexec_b32 s14, vcc_lo
	s_cbranch_execz .LBB270_1397
; %bb.1396:                             ;   in Loop: Header=BB270_1066 Depth=1
	v_cmp_lt_i32_e64 s1, v16, v34
	s_wait_alu 0xf1ff
	s_delay_alu instid0(VALU_DEP_1) | instskip(SKIP_2) | instid1(VALU_DEP_1)
	v_cndmask_b32_e64 v114, 0, v119, s1
	v_cmp_lt_i32_e64 s1, v96, v34
	s_wait_alu 0xf1ff
	v_cndmask_b32_e64 v113, 0, v113, s1
	v_cmp_lt_i32_e64 s1, v87, v34
	s_delay_alu instid0(VALU_DEP_2) | instskip(SKIP_1) | instid1(VALU_DEP_2)
	v_or_b32_e32 v118, v114, v113
	s_wait_alu 0xf1ff
	v_cndmask_b32_e64 v12, 0, v12, s1
	v_cmp_lt_i32_e64 s1, v86, v34
	s_wait_alu 0xf1ff
	s_delay_alu instid0(VALU_DEP_1) | instskip(SKIP_1) | instid1(VALU_DEP_2)
	v_cndmask_b32_e64 v0, 0, v0, s1
	v_cmp_lt_i32_e64 s1, v85, v34
	v_or_b32_e32 v114, v12, v0
	s_wait_alu 0xf1ff
	s_delay_alu instid0(VALU_DEP_2) | instskip(SKIP_2) | instid1(VALU_DEP_1)
	v_cndmask_b32_e64 v115, 0, v115, s1
	v_cmp_lt_i32_e64 s1, v84, v34
	s_wait_alu 0xf1ff
	v_cndmask_b32_e64 v103, 0, v103, s1
	v_cmp_lt_i32_e64 s1, v83, v34
	s_delay_alu instid0(VALU_DEP_2) | instskip(SKIP_1) | instid1(VALU_DEP_2)
	v_or_b32_e32 v117, v115, v103
	s_wait_alu 0xf1ff
	v_cndmask_b32_e64 v112, 0, v112, s1
	v_cmp_lt_i32_e64 s1, v82, v34
	s_wait_alu 0xf1ff
	s_delay_alu instid0(VALU_DEP_1) | instskip(NEXT) | instid1(VALU_DEP_1)
	v_cndmask_b32_e64 v11, 0, v11, s1
	v_or_b32_e32 v116, v112, v11
.LBB270_1397:                           ;   in Loop: Header=BB270_1066 Depth=1
	s_wait_alu 0xfffe
	s_or_b32 exec_lo, exec_lo, s14
	;;#ASMSTART
	v_pk_mul_f16 v0, v81, v118;

	;;#ASMEND
	;;#ASMSTART
	v_pk_mul_f16 v11, v80, v114;

	;;#ASMEND
	;; [unrolled: 4-line block ×4, first 2 shown]
	;;#ASMSTART
	v_pk_add_f16 v0, v0, v11;

	;;#ASMEND
	;;#ASMSTART
	v_pk_add_f16 v0, v0, v12;

	;;#ASMEND
	;; [unrolled: 4-line block ×3, first 2 shown]
	v_dual_mov_b32 v114, 0 :: v_dual_and_b32 v11, 0xffff, v0
	v_lshrrev_b32_e32 v0, 16, v0
	;;#ASMSTART
	v_cvt_f32_f16 v103, v11;
	;;#ASMEND
	;;#ASMSTART
	v_cvt_f32_f16 v112, v0;
	;;#ASMEND
	flat_load_b64 v[11:12], v[9:10] offset:1280
	flat_load_b32 v113, v[26:27]
	s_mov_b32 s14, exec_lo
	s_wait_loadcnt_dscnt 0x101
	v_dual_mov_b32 v115, 0 :: v_dual_and_b32 v0, 0xff, v11
	s_delay_alu instid0(VALU_DEP_1)
	v_cmpx_ne_u16_e32 0, v0
	s_cbranch_execz .LBB270_1405
; %bb.1398:                             ;   in Loop: Header=BB270_1066 Depth=1
	v_mov_b32_e32 v115, 0x8000
	s_mov_b32 s15, exec_lo
	v_cmpx_ne_u16_e32 0x80, v0
	s_cbranch_execz .LBB270_1404
; %bb.1399:                             ;   in Loop: Header=BB270_1066 Depth=1
	v_and_b32_e32 v116, 0x7f, v11
	v_mov_b32_e32 v115, 0x7c01
	s_mov_b32 s16, exec_lo
	s_delay_alu instid0(VALU_DEP_2)
	v_cmpx_ne_u32_e32 0x7f, v116
	s_cbranch_execz .LBB270_1403
; %bb.1400:                             ;   in Loop: Header=BB270_1066 Depth=1
	v_and_b32_e32 v0, 7, v11
	v_lshrrev_b32_e32 v115, 3, v116
	s_mov_b32 s17, exec_lo
	v_cmpx_gt_u32_e32 8, v116
; %bb.1401:                             ;   in Loop: Header=BB270_1066 Depth=1
	s_delay_alu instid0(VALU_DEP_3) | instskip(NEXT) | instid1(VALU_DEP_1)
	v_clz_i32_u32_e32 v0, v0
	v_min_u32_e32 v0, 32, v0
	s_delay_alu instid0(VALU_DEP_1) | instskip(NEXT) | instid1(VALU_DEP_1)
	v_subrev_nc_u32_e32 v115, 28, v0
	v_lshlrev_b64_e32 v[116:117], v115, v[11:12]
	v_sub_nc_u32_e32 v115, 29, v0
	s_delay_alu instid0(VALU_DEP_2)
	v_and_b32_e32 v0, 7, v116
; %bb.1402:                             ;   in Loop: Header=BB270_1066 Depth=1
	s_wait_alu 0xfffe
	s_or_b32 exec_lo, exec_lo, s17
	v_lshlrev_b32_e32 v116, 8, v11
	v_lshl_add_u32 v115, v115, 10, 0x2000
	v_lshlrev_b32_e32 v0, 7, v0
	s_delay_alu instid0(VALU_DEP_3) | instskip(NEXT) | instid1(VALU_DEP_3)
	v_and_b32_e32 v116, 0x8000, v116
	v_and_b32_e32 v115, 0xfc00, v115
	s_delay_alu instid0(VALU_DEP_1)
	v_or3_b32 v115, v116, v115, v0
.LBB270_1403:                           ;   in Loop: Header=BB270_1066 Depth=1
	s_wait_alu 0xfffe
	s_or_b32 exec_lo, exec_lo, s16
.LBB270_1404:                           ;   in Loop: Header=BB270_1066 Depth=1
	s_wait_alu 0xfffe
	s_or_b32 exec_lo, exec_lo, s15
.LBB270_1405:                           ;   in Loop: Header=BB270_1066 Depth=1
	s_wait_alu 0xfffe
	s_or_b32 exec_lo, exec_lo, s14
	v_lshrrev_b16 v0, 8, v11
	s_mov_b32 s14, exec_lo
	s_delay_alu instid0(VALU_DEP_1)
	v_cmpx_ne_u16_e32 0, v0
	s_cbranch_execz .LBB270_1413
; %bb.1406:                             ;   in Loop: Header=BB270_1066 Depth=1
	v_bfrev_b32_e32 v114, 1
	s_mov_b32 s15, exec_lo
	v_cmpx_ne_u16_e32 0x80, v0
	s_cbranch_execz .LBB270_1412
; %bb.1407:                             ;   in Loop: Header=BB270_1066 Depth=1
	v_and_b32_e32 v116, 0xffff, v0
	v_mov_b32_e32 v114, 0x7c010000
	s_mov_b32 s16, exec_lo
	s_delay_alu instid0(VALU_DEP_2) | instskip(NEXT) | instid1(VALU_DEP_1)
	v_and_b32_e32 v118, 0x7f, v116
	v_cmpx_ne_u32_e32 0x7f, v118
	s_cbranch_execz .LBB270_1411
; %bb.1408:                             ;   in Loop: Header=BB270_1066 Depth=1
	v_and_b32_e32 v114, 7, v116
	v_lshrrev_b32_e32 v117, 3, v118
	s_mov_b32 s17, exec_lo
	v_cmpx_gt_u32_e32 8, v118
; %bb.1409:                             ;   in Loop: Header=BB270_1066 Depth=1
	s_delay_alu instid0(VALU_DEP_3) | instskip(NEXT) | instid1(VALU_DEP_1)
	v_clz_i32_u32_e32 v114, v114
	v_min_u32_e32 v114, 32, v114
	s_delay_alu instid0(VALU_DEP_1) | instskip(NEXT) | instid1(VALU_DEP_1)
	v_subrev_nc_u32_e32 v117, 28, v114
	v_lshlrev_b64_e32 v[118:119], v117, v[0:1]
	v_sub_nc_u32_e32 v117, 29, v114
	s_delay_alu instid0(VALU_DEP_2)
	v_and_b32_e32 v114, 7, v118
; %bb.1410:                             ;   in Loop: Header=BB270_1066 Depth=1
	s_wait_alu 0xfffe
	s_or_b32 exec_lo, exec_lo, s17
	v_lshlrev_b32_e32 v0, 8, v116
	v_lshl_add_u32 v116, v117, 10, 0x2000
	v_lshlrev_b32_e32 v114, 23, v114
	s_delay_alu instid0(VALU_DEP_2) | instskip(NEXT) | instid1(VALU_DEP_1)
	v_and_or_b32 v0, 0x8000, v0, v116
	v_lshl_or_b32 v114, v0, 16, v114
.LBB270_1411:                           ;   in Loop: Header=BB270_1066 Depth=1
	s_wait_alu 0xfffe
	s_or_b32 exec_lo, exec_lo, s16
.LBB270_1412:                           ;   in Loop: Header=BB270_1066 Depth=1
	s_wait_alu 0xfffe
	s_or_b32 exec_lo, exec_lo, s15
.LBB270_1413:                           ;   in Loop: Header=BB270_1066 Depth=1
	s_wait_alu 0xfffe
	s_or_b32 exec_lo, exec_lo, s14
	v_lshrrev_b32_e32 v0, 16, v11
	v_mov_b32_e32 v116, 0
	s_mov_b32 s14, exec_lo
	s_delay_alu instid0(VALU_DEP_2) | instskip(NEXT) | instid1(VALU_DEP_1)
	v_dual_mov_b32 v117, 0 :: v_dual_and_b32 v118, 0xff, v0
	v_cmpx_ne_u16_e32 0, v118
	s_cbranch_execz .LBB270_1421
; %bb.1414:                             ;   in Loop: Header=BB270_1066 Depth=1
	v_mov_b32_e32 v117, 0x8000
	s_mov_b32 s15, exec_lo
	v_cmpx_ne_u16_e32 0x80, v118
	s_cbranch_execz .LBB270_1420
; %bb.1415:                             ;   in Loop: Header=BB270_1066 Depth=1
	v_bfe_u32 v119, v11, 16, 7
	v_mov_b32_e32 v117, 0x7c01
	s_mov_b32 s16, exec_lo
	s_delay_alu instid0(VALU_DEP_2)
	v_cmpx_ne_u32_e32 0x7f, v119
	s_cbranch_execz .LBB270_1419
; %bb.1416:                             ;   in Loop: Header=BB270_1066 Depth=1
	v_and_b32_e32 v117, 7, v0
	v_lshrrev_b32_e32 v118, 3, v119
	s_mov_b32 s17, exec_lo
	v_cmpx_gt_u32_e32 8, v119
; %bb.1417:                             ;   in Loop: Header=BB270_1066 Depth=1
	s_delay_alu instid0(VALU_DEP_3) | instskip(NEXT) | instid1(VALU_DEP_1)
	v_clz_i32_u32_e32 v117, v117
	v_min_u32_e32 v119, 32, v117
	s_delay_alu instid0(VALU_DEP_1) | instskip(NEXT) | instid1(VALU_DEP_1)
	v_subrev_nc_u32_e32 v117, 28, v119
	v_lshlrev_b64_e32 v[117:118], v117, v[0:1]
	v_sub_nc_u32_e32 v118, 29, v119
	s_delay_alu instid0(VALU_DEP_2)
	v_and_b32_e32 v117, 7, v117
; %bb.1418:                             ;   in Loop: Header=BB270_1066 Depth=1
	s_wait_alu 0xfffe
	s_or_b32 exec_lo, exec_lo, s17
	v_lshlrev_b32_e32 v0, 8, v0
	v_lshl_add_u32 v118, v118, 10, 0x2000
	v_lshlrev_b32_e32 v117, 7, v117
	s_delay_alu instid0(VALU_DEP_3) | instskip(NEXT) | instid1(VALU_DEP_3)
	v_and_b32_e32 v0, 0x8000, v0
	v_and_b32_e32 v118, 0xfc00, v118
	s_delay_alu instid0(VALU_DEP_1)
	v_or3_b32 v117, v0, v118, v117
.LBB270_1419:                           ;   in Loop: Header=BB270_1066 Depth=1
	s_wait_alu 0xfffe
	s_or_b32 exec_lo, exec_lo, s16
.LBB270_1420:                           ;   in Loop: Header=BB270_1066 Depth=1
	s_wait_alu 0xfffe
	s_or_b32 exec_lo, exec_lo, s15
.LBB270_1421:                           ;   in Loop: Header=BB270_1066 Depth=1
	s_wait_alu 0xfffe
	s_or_b32 exec_lo, exec_lo, s14
	s_delay_alu instid0(SALU_CYCLE_1)
	s_mov_b32 s14, exec_lo
	v_cmpx_lt_u32_e32 0xffffff, v11
	s_cbranch_execz .LBB270_1429
; %bb.1422:                             ;   in Loop: Header=BB270_1066 Depth=1
	v_lshrrev_b32_e32 v0, 24, v11
	v_bfrev_b32_e32 v116, 1
	s_mov_b32 s15, exec_lo
	s_delay_alu instid0(VALU_DEP_2)
	v_cmpx_ne_u32_e32 0x80, v0
	s_cbranch_execz .LBB270_1428
; %bb.1423:                             ;   in Loop: Header=BB270_1066 Depth=1
	v_and_b32_e32 v119, 0x7f, v0
	v_mov_b32_e32 v116, 0x7c010000
	s_mov_b32 s16, exec_lo
	s_delay_alu instid0(VALU_DEP_2)
	v_cmpx_ne_u32_e32 0x7f, v119
	s_cbranch_execz .LBB270_1427
; %bb.1424:                             ;   in Loop: Header=BB270_1066 Depth=1
	v_and_b32_e32 v116, 7, v0
	v_lshrrev_b32_e32 v118, 3, v119
	s_mov_b32 s17, exec_lo
	v_cmpx_gt_u32_e32 8, v119
; %bb.1425:                             ;   in Loop: Header=BB270_1066 Depth=1
	s_delay_alu instid0(VALU_DEP_3) | instskip(NEXT) | instid1(VALU_DEP_1)
	v_clz_i32_u32_e32 v116, v116
	v_min_u32_e32 v116, 32, v116
	s_delay_alu instid0(VALU_DEP_1) | instskip(NEXT) | instid1(VALU_DEP_1)
	v_subrev_nc_u32_e32 v118, 28, v116
	v_lshlrev_b64_e32 v[128:129], v118, v[0:1]
	v_sub_nc_u32_e32 v118, 29, v116
	s_delay_alu instid0(VALU_DEP_2)
	v_and_b32_e32 v116, 7, v128
; %bb.1426:                             ;   in Loop: Header=BB270_1066 Depth=1
	s_wait_alu 0xfffe
	s_or_b32 exec_lo, exec_lo, s17
	v_lshlrev_b32_e32 v0, 8, v0
	v_lshl_add_u32 v118, v118, 10, 0x2000
	v_lshlrev_b32_e32 v116, 23, v116
	s_delay_alu instid0(VALU_DEP_2) | instskip(NEXT) | instid1(VALU_DEP_1)
	v_and_or_b32 v0, 0x8000, v0, v118
	v_lshl_or_b32 v116, v0, 16, v116
.LBB270_1427:                           ;   in Loop: Header=BB270_1066 Depth=1
	s_wait_alu 0xfffe
	s_or_b32 exec_lo, exec_lo, s16
.LBB270_1428:                           ;   in Loop: Header=BB270_1066 Depth=1
	s_wait_alu 0xfffe
	s_or_b32 exec_lo, exec_lo, s15
.LBB270_1429:                           ;   in Loop: Header=BB270_1066 Depth=1
	s_wait_alu 0xfffe
	s_or_b32 exec_lo, exec_lo, s14
	v_dual_mov_b32 v119, 0 :: v_dual_and_b32 v128, 0xff, v12
	v_mov_b32_e32 v0, v12
	v_mov_b32_e32 v118, 0
	s_mov_b32 s14, exec_lo
	s_delay_alu instid0(VALU_DEP_3)
	v_cmpx_ne_u16_e64 0, v128
	s_cbranch_execz .LBB270_1437
; %bb.1430:                             ;   in Loop: Header=BB270_1066 Depth=1
	v_mov_b32_e32 v119, 0x8000
	s_mov_b32 s15, exec_lo
	v_cmpx_ne_u16_e64 0x80, v128
	s_cbranch_execz .LBB270_1436
; %bb.1431:                             ;   in Loop: Header=BB270_1066 Depth=1
	v_and_b32_e32 v129, 0x7f, v12
	v_mov_b32_e32 v119, 0x7c01
	s_mov_b32 s16, exec_lo
	s_delay_alu instid0(VALU_DEP_2)
	v_cmpx_ne_u32_e32 0x7f, v129
	s_cbranch_execz .LBB270_1435
; %bb.1432:                             ;   in Loop: Header=BB270_1066 Depth=1
	v_and_b32_e32 v119, 7, v12
	v_lshrrev_b32_e32 v128, 3, v129
	s_mov_b32 s17, exec_lo
	v_cmpx_gt_u32_e32 8, v129
; %bb.1433:                             ;   in Loop: Header=BB270_1066 Depth=1
	s_delay_alu instid0(VALU_DEP_3) | instskip(NEXT) | instid1(VALU_DEP_1)
	v_clz_i32_u32_e32 v119, v119
	v_min_u32_e32 v119, 32, v119
	s_delay_alu instid0(VALU_DEP_1) | instskip(NEXT) | instid1(VALU_DEP_1)
	v_subrev_nc_u32_e32 v128, 28, v119
	v_lshlrev_b64_e32 v[129:130], v128, v[0:1]
	v_sub_nc_u32_e32 v128, 29, v119
	s_delay_alu instid0(VALU_DEP_2)
	v_and_b32_e32 v119, 7, v129
; %bb.1434:                             ;   in Loop: Header=BB270_1066 Depth=1
	s_wait_alu 0xfffe
	s_or_b32 exec_lo, exec_lo, s17
	v_lshlrev_b32_e32 v129, 8, v12
	v_lshl_add_u32 v128, v128, 10, 0x2000
	v_lshlrev_b32_e32 v119, 7, v119
	s_delay_alu instid0(VALU_DEP_3) | instskip(NEXT) | instid1(VALU_DEP_3)
	v_and_b32_e32 v129, 0x8000, v129
	v_and_b32_e32 v128, 0xfc00, v128
	s_delay_alu instid0(VALU_DEP_1)
	v_or3_b32 v119, v129, v128, v119
.LBB270_1435:                           ;   in Loop: Header=BB270_1066 Depth=1
	s_wait_alu 0xfffe
	s_or_b32 exec_lo, exec_lo, s16
.LBB270_1436:                           ;   in Loop: Header=BB270_1066 Depth=1
	s_wait_alu 0xfffe
	s_or_b32 exec_lo, exec_lo, s15
.LBB270_1437:                           ;   in Loop: Header=BB270_1066 Depth=1
	s_wait_alu 0xfffe
	s_or_b32 exec_lo, exec_lo, s14
	v_lshrrev_b16 v0, 8, v0
	v_mov_b32_e32 v128, 0
	s_mov_b32 s14, exec_lo
	s_delay_alu instid0(VALU_DEP_2)
	v_cmpx_ne_u16_e32 0, v0
	s_cbranch_execz .LBB270_1445
; %bb.1438:                             ;   in Loop: Header=BB270_1066 Depth=1
	v_bfrev_b32_e32 v128, 1
	s_mov_b32 s15, exec_lo
	v_cmpx_ne_u16_e32 0x80, v0
	s_cbranch_execz .LBB270_1444
; %bb.1439:                             ;   in Loop: Header=BB270_1066 Depth=1
	v_and_b32_e32 v129, 0xffff, v0
	v_mov_b32_e32 v128, 0x7c010000
	s_mov_b32 s16, exec_lo
	s_delay_alu instid0(VALU_DEP_2) | instskip(NEXT) | instid1(VALU_DEP_1)
	v_and_b32_e32 v131, 0x7f, v129
	v_cmpx_ne_u32_e32 0x7f, v131
	s_cbranch_execz .LBB270_1443
; %bb.1440:                             ;   in Loop: Header=BB270_1066 Depth=1
	v_and_b32_e32 v128, 7, v129
	v_lshrrev_b32_e32 v130, 3, v131
	s_mov_b32 s17, exec_lo
	v_cmpx_gt_u32_e32 8, v131
; %bb.1441:                             ;   in Loop: Header=BB270_1066 Depth=1
	s_delay_alu instid0(VALU_DEP_3) | instskip(NEXT) | instid1(VALU_DEP_1)
	v_clz_i32_u32_e32 v128, v128
	v_min_u32_e32 v128, 32, v128
	s_delay_alu instid0(VALU_DEP_1) | instskip(NEXT) | instid1(VALU_DEP_1)
	v_subrev_nc_u32_e32 v130, 28, v128
	v_lshlrev_b64_e32 v[131:132], v130, v[0:1]
	v_sub_nc_u32_e32 v130, 29, v128
	s_delay_alu instid0(VALU_DEP_2)
	v_and_b32_e32 v128, 7, v131
; %bb.1442:                             ;   in Loop: Header=BB270_1066 Depth=1
	s_wait_alu 0xfffe
	s_or_b32 exec_lo, exec_lo, s17
	v_lshlrev_b32_e32 v0, 8, v129
	v_lshl_add_u32 v129, v130, 10, 0x2000
	v_lshlrev_b32_e32 v128, 23, v128
	s_delay_alu instid0(VALU_DEP_2) | instskip(NEXT) | instid1(VALU_DEP_1)
	v_and_or_b32 v0, 0x8000, v0, v129
	v_lshl_or_b32 v128, v0, 16, v128
.LBB270_1443:                           ;   in Loop: Header=BB270_1066 Depth=1
	s_wait_alu 0xfffe
	s_or_b32 exec_lo, exec_lo, s16
.LBB270_1444:                           ;   in Loop: Header=BB270_1066 Depth=1
	s_wait_alu 0xfffe
	s_or_b32 exec_lo, exec_lo, s15
.LBB270_1445:                           ;   in Loop: Header=BB270_1066 Depth=1
	s_wait_alu 0xfffe
	s_or_b32 exec_lo, exec_lo, s14
	v_lshrrev_b32_e32 v0, 16, v12
	s_mov_b32 s14, exec_lo
	s_delay_alu instid0(VALU_DEP_1) | instskip(NEXT) | instid1(VALU_DEP_1)
	v_and_b32_e32 v129, 0xff, v0
	v_cmpx_ne_u16_e64 0, v129
	s_cbranch_execz .LBB270_1453
; %bb.1446:                             ;   in Loop: Header=BB270_1066 Depth=1
	v_mov_b32_e32 v118, 0x8000
	s_mov_b32 s15, exec_lo
	v_cmpx_ne_u16_e64 0x80, v129
	s_cbranch_execz .LBB270_1452
; %bb.1447:                             ;   in Loop: Header=BB270_1066 Depth=1
	v_bfe_u32 v130, v12, 16, 7
	v_mov_b32_e32 v118, 0x7c01
	s_mov_b32 s16, exec_lo
	s_delay_alu instid0(VALU_DEP_2)
	v_cmpx_ne_u32_e32 0x7f, v130
	s_cbranch_execz .LBB270_1451
; %bb.1448:                             ;   in Loop: Header=BB270_1066 Depth=1
	v_and_b32_e32 v118, 7, v0
	v_lshrrev_b32_e32 v129, 3, v130
	s_mov_b32 s17, exec_lo
	v_cmpx_gt_u32_e32 8, v130
; %bb.1449:                             ;   in Loop: Header=BB270_1066 Depth=1
	s_delay_alu instid0(VALU_DEP_3) | instskip(NEXT) | instid1(VALU_DEP_1)
	v_clz_i32_u32_e32 v118, v118
	v_min_u32_e32 v118, 32, v118
	s_delay_alu instid0(VALU_DEP_1) | instskip(NEXT) | instid1(VALU_DEP_1)
	v_subrev_nc_u32_e32 v129, 28, v118
	v_lshlrev_b64_e32 v[130:131], v129, v[0:1]
	v_sub_nc_u32_e32 v129, 29, v118
	s_delay_alu instid0(VALU_DEP_2)
	v_and_b32_e32 v118, 7, v130
; %bb.1450:                             ;   in Loop: Header=BB270_1066 Depth=1
	s_wait_alu 0xfffe
	s_or_b32 exec_lo, exec_lo, s17
	v_lshlrev_b32_e32 v0, 8, v0
	v_lshl_add_u32 v129, v129, 10, 0x2000
	v_lshlrev_b32_e32 v118, 7, v118
	s_delay_alu instid0(VALU_DEP_3) | instskip(NEXT) | instid1(VALU_DEP_3)
	v_and_b32_e32 v0, 0x8000, v0
	v_and_b32_e32 v129, 0xfc00, v129
	s_delay_alu instid0(VALU_DEP_1)
	v_or3_b32 v118, v0, v129, v118
.LBB270_1451:                           ;   in Loop: Header=BB270_1066 Depth=1
	s_wait_alu 0xfffe
	s_or_b32 exec_lo, exec_lo, s16
.LBB270_1452:                           ;   in Loop: Header=BB270_1066 Depth=1
	s_wait_alu 0xfffe
	s_or_b32 exec_lo, exec_lo, s15
.LBB270_1453:                           ;   in Loop: Header=BB270_1066 Depth=1
	s_wait_alu 0xfffe
	s_or_b32 exec_lo, exec_lo, s14
	v_cmp_lt_u64_e64 s1, s[8:9], v[11:12]
	v_mov_b32_e32 v11, 0
	s_and_saveexec_b32 s14, s1
	s_cbranch_execz .LBB270_1461
; %bb.1454:                             ;   in Loop: Header=BB270_1066 Depth=1
	v_lshrrev_b32_e32 v0, 24, v12
	v_bfrev_b32_e32 v11, 1
	s_mov_b32 s15, exec_lo
	s_delay_alu instid0(VALU_DEP_2)
	v_cmpx_ne_u32_e32 0x80, v0
	s_cbranch_execz .LBB270_1460
; %bb.1455:                             ;   in Loop: Header=BB270_1066 Depth=1
	v_and_b32_e32 v129, 0x7f, v0
	v_mov_b32_e32 v11, 0x7c010000
	s_mov_b32 s16, exec_lo
	s_delay_alu instid0(VALU_DEP_2)
	v_cmpx_ne_u32_e32 0x7f, v129
	s_cbranch_execz .LBB270_1459
; %bb.1456:                             ;   in Loop: Header=BB270_1066 Depth=1
	v_and_b32_e32 v11, 7, v0
	v_lshrrev_b32_e32 v12, 3, v129
	s_mov_b32 s17, exec_lo
	v_cmpx_gt_u32_e32 8, v129
; %bb.1457:                             ;   in Loop: Header=BB270_1066 Depth=1
	s_delay_alu instid0(VALU_DEP_3) | instskip(NEXT) | instid1(VALU_DEP_1)
	v_clz_i32_u32_e32 v11, v11
	v_min_u32_e32 v129, 32, v11
	s_delay_alu instid0(VALU_DEP_1) | instskip(NEXT) | instid1(VALU_DEP_1)
	v_subrev_nc_u32_e32 v11, 28, v129
	v_lshlrev_b64_e32 v[11:12], v11, v[0:1]
	v_sub_nc_u32_e32 v12, 29, v129
	s_delay_alu instid0(VALU_DEP_2)
	v_and_b32_e32 v11, 7, v11
; %bb.1458:                             ;   in Loop: Header=BB270_1066 Depth=1
	s_wait_alu 0xfffe
	s_or_b32 exec_lo, exec_lo, s17
	v_lshlrev_b32_e32 v0, 8, v0
	v_lshl_add_u32 v12, v12, 10, 0x2000
	v_lshlrev_b32_e32 v11, 23, v11
	s_delay_alu instid0(VALU_DEP_2) | instskip(NEXT) | instid1(VALU_DEP_1)
	v_and_or_b32 v0, 0x8000, v0, v12
	v_lshl_or_b32 v11, v0, 16, v11
.LBB270_1459:                           ;   in Loop: Header=BB270_1066 Depth=1
	s_wait_alu 0xfffe
	s_or_b32 exec_lo, exec_lo, s16
.LBB270_1460:                           ;   in Loop: Header=BB270_1066 Depth=1
	s_wait_alu 0xfffe
	s_or_b32 exec_lo, exec_lo, s15
.LBB270_1461:                           ;   in Loop: Header=BB270_1066 Depth=1
	s_wait_alu 0xfffe
	s_or_b32 exec_lo, exec_lo, s14
	v_or_b32_e32 v0, v116, v117
	s_wait_loadcnt_dscnt 0x0
	v_fma_mixlo_f16 v12, v113, v116, 0 op_sel:[0,1,0] op_sel_hi:[0,1,0]
	v_or_b32_e32 v116, v114, v115
	v_fma_mixlo_f16 v114, v113, v114, 0 op_sel:[0,1,0] op_sel_hi:[0,1,0]
	v_or_b32_e32 v117, v128, v119
	v_or_b32_e32 v118, v11, v118
	v_fma_mixlo_f16 v119, v113, v0, 0 op_sel_hi:[0,1,0]
	v_fma_mixlo_f16 v11, v113, v11, 0 op_sel:[0,1,0] op_sel_hi:[0,1,0]
	v_lshlrev_b32_e32 v115, 16, v114
	v_fma_mixlo_f16 v114, v113, v116, 0 op_sel_hi:[0,1,0]
	v_fma_mixlo_f16 v116, v113, v128, 0 op_sel:[0,1,0] op_sel_hi:[0,1,0]
	v_fma_mixlo_f16 v117, v113, v117, 0 op_sel_hi:[0,1,0]
	v_fma_mixlo_f16 v118, v113, v118, 0 op_sel_hi:[0,1,0]
	v_lshlrev_b32_e32 v0, 16, v12
	v_and_b32_e32 v12, 0xffff, v119
	v_and_b32_e32 v129, 0xffff, v114
	v_lshlrev_b32_e32 v113, 16, v116
	v_and_b32_e32 v117, 0xffff, v117
	v_lshlrev_b32_e32 v11, 16, v11
	v_and_b32_e32 v114, 0xffff, v118
	v_or_b32_e32 v116, v0, v12
	v_or_b32_e32 v128, v115, v129
	;; [unrolled: 1-line block ×3, first 2 shown]
	s_delay_alu instid0(VALU_DEP_4)
	v_or_b32_e32 v118, v11, v114
	s_and_saveexec_b32 s14, vcc_lo
	s_cbranch_execz .LBB270_1463
; %bb.1462:                             ;   in Loop: Header=BB270_1066 Depth=1
	v_cmp_lt_i32_e64 s1, v16, v34
	s_wait_alu 0xf1ff
	s_delay_alu instid0(VALU_DEP_1) | instskip(SKIP_2) | instid1(VALU_DEP_1)
	v_cndmask_b32_e64 v116, 0, v129, s1
	v_cmp_lt_i32_e64 s1, v96, v34
	s_wait_alu 0xf1ff
	v_cndmask_b32_e64 v115, 0, v115, s1
	v_cmp_lt_i32_e64 s1, v87, v34
	s_delay_alu instid0(VALU_DEP_2) | instskip(SKIP_1) | instid1(VALU_DEP_2)
	v_or_b32_e32 v128, v116, v115
	s_wait_alu 0xf1ff
	v_cndmask_b32_e64 v12, 0, v12, s1
	v_cmp_lt_i32_e64 s1, v86, v34
	s_wait_alu 0xf1ff
	s_delay_alu instid0(VALU_DEP_1) | instskip(SKIP_1) | instid1(VALU_DEP_2)
	v_cndmask_b32_e64 v0, 0, v0, s1
	v_cmp_lt_i32_e64 s1, v85, v34
	v_or_b32_e32 v116, v12, v0
	s_wait_alu 0xf1ff
	s_delay_alu instid0(VALU_DEP_2) | instskip(SKIP_2) | instid1(VALU_DEP_1)
	v_cndmask_b32_e64 v117, 0, v117, s1
	v_cmp_lt_i32_e64 s1, v84, v34
	s_wait_alu 0xf1ff
	v_cndmask_b32_e64 v113, 0, v113, s1
	v_cmp_lt_i32_e64 s1, v83, v34
	s_delay_alu instid0(VALU_DEP_2) | instskip(SKIP_1) | instid1(VALU_DEP_2)
	v_or_b32_e32 v119, v117, v113
	s_wait_alu 0xf1ff
	v_cndmask_b32_e64 v114, 0, v114, s1
	v_cmp_lt_i32_e64 s1, v82, v34
	s_wait_alu 0xf1ff
	s_delay_alu instid0(VALU_DEP_1) | instskip(NEXT) | instid1(VALU_DEP_1)
	v_cndmask_b32_e64 v11, 0, v11, s1
	v_or_b32_e32 v118, v114, v11
.LBB270_1463:                           ;   in Loop: Header=BB270_1066 Depth=1
	s_wait_alu 0xfffe
	s_or_b32 exec_lo, exec_lo, s14
	;;#ASMSTART
	v_pk_mul_f16 v0, v81, v128;

	;;#ASMEND
	;;#ASMSTART
	v_pk_mul_f16 v11, v80, v116;

	;;#ASMEND
	;; [unrolled: 4-line block ×4, first 2 shown]
	;;#ASMSTART
	v_pk_add_f16 v0, v0, v11;

	;;#ASMEND
	;;#ASMSTART
	v_pk_add_f16 v0, v0, v12;

	;;#ASMEND
	;; [unrolled: 4-line block ×3, first 2 shown]
	v_dual_mov_b32 v116, 0 :: v_dual_and_b32 v11, 0xffff, v0
	v_lshrrev_b32_e32 v0, 16, v0
	;;#ASMSTART
	v_cvt_f32_f16 v113, v11;
	;;#ASMEND
	;;#ASMSTART
	v_cvt_f32_f16 v114, v0;
	;;#ASMEND
	flat_load_b64 v[11:12], v[9:10] offset:1536
	flat_load_b32 v115, v[26:27]
	s_mov_b32 s14, exec_lo
	s_wait_loadcnt_dscnt 0x101
	v_dual_mov_b32 v117, 0 :: v_dual_and_b32 v0, 0xff, v11
	s_delay_alu instid0(VALU_DEP_1)
	v_cmpx_ne_u16_e32 0, v0
	s_cbranch_execz .LBB270_1471
; %bb.1464:                             ;   in Loop: Header=BB270_1066 Depth=1
	v_mov_b32_e32 v117, 0x8000
	s_mov_b32 s15, exec_lo
	v_cmpx_ne_u16_e32 0x80, v0
	s_cbranch_execz .LBB270_1470
; %bb.1465:                             ;   in Loop: Header=BB270_1066 Depth=1
	v_and_b32_e32 v118, 0x7f, v11
	v_mov_b32_e32 v117, 0x7c01
	s_mov_b32 s16, exec_lo
	s_delay_alu instid0(VALU_DEP_2)
	v_cmpx_ne_u32_e32 0x7f, v118
	s_cbranch_execz .LBB270_1469
; %bb.1466:                             ;   in Loop: Header=BB270_1066 Depth=1
	v_and_b32_e32 v0, 7, v11
	v_lshrrev_b32_e32 v117, 3, v118
	s_mov_b32 s17, exec_lo
	v_cmpx_gt_u32_e32 8, v118
; %bb.1467:                             ;   in Loop: Header=BB270_1066 Depth=1
	s_delay_alu instid0(VALU_DEP_3) | instskip(NEXT) | instid1(VALU_DEP_1)
	v_clz_i32_u32_e32 v0, v0
	v_min_u32_e32 v0, 32, v0
	s_delay_alu instid0(VALU_DEP_1) | instskip(NEXT) | instid1(VALU_DEP_1)
	v_subrev_nc_u32_e32 v117, 28, v0
	v_lshlrev_b64_e32 v[118:119], v117, v[11:12]
	v_sub_nc_u32_e32 v117, 29, v0
	s_delay_alu instid0(VALU_DEP_2)
	v_and_b32_e32 v0, 7, v118
; %bb.1468:                             ;   in Loop: Header=BB270_1066 Depth=1
	s_wait_alu 0xfffe
	s_or_b32 exec_lo, exec_lo, s17
	v_lshlrev_b32_e32 v118, 8, v11
	v_lshl_add_u32 v117, v117, 10, 0x2000
	v_lshlrev_b32_e32 v0, 7, v0
	s_delay_alu instid0(VALU_DEP_3) | instskip(NEXT) | instid1(VALU_DEP_3)
	v_and_b32_e32 v118, 0x8000, v118
	v_and_b32_e32 v117, 0xfc00, v117
	s_delay_alu instid0(VALU_DEP_1)
	v_or3_b32 v117, v118, v117, v0
.LBB270_1469:                           ;   in Loop: Header=BB270_1066 Depth=1
	s_wait_alu 0xfffe
	s_or_b32 exec_lo, exec_lo, s16
.LBB270_1470:                           ;   in Loop: Header=BB270_1066 Depth=1
	s_wait_alu 0xfffe
	s_or_b32 exec_lo, exec_lo, s15
.LBB270_1471:                           ;   in Loop: Header=BB270_1066 Depth=1
	s_wait_alu 0xfffe
	s_or_b32 exec_lo, exec_lo, s14
	v_lshrrev_b16 v0, 8, v11
	s_mov_b32 s14, exec_lo
	s_delay_alu instid0(VALU_DEP_1)
	v_cmpx_ne_u16_e32 0, v0
	s_cbranch_execz .LBB270_1479
; %bb.1472:                             ;   in Loop: Header=BB270_1066 Depth=1
	v_bfrev_b32_e32 v116, 1
	s_mov_b32 s15, exec_lo
	v_cmpx_ne_u16_e32 0x80, v0
	s_cbranch_execz .LBB270_1478
; %bb.1473:                             ;   in Loop: Header=BB270_1066 Depth=1
	v_and_b32_e32 v118, 0xffff, v0
	v_mov_b32_e32 v116, 0x7c010000
	s_mov_b32 s16, exec_lo
	s_delay_alu instid0(VALU_DEP_2) | instskip(NEXT) | instid1(VALU_DEP_1)
	v_and_b32_e32 v128, 0x7f, v118
	v_cmpx_ne_u32_e32 0x7f, v128
	s_cbranch_execz .LBB270_1477
; %bb.1474:                             ;   in Loop: Header=BB270_1066 Depth=1
	v_and_b32_e32 v116, 7, v118
	v_lshrrev_b32_e32 v119, 3, v128
	s_mov_b32 s17, exec_lo
	v_cmpx_gt_u32_e32 8, v128
; %bb.1475:                             ;   in Loop: Header=BB270_1066 Depth=1
	s_delay_alu instid0(VALU_DEP_3) | instskip(NEXT) | instid1(VALU_DEP_1)
	v_clz_i32_u32_e32 v116, v116
	v_min_u32_e32 v116, 32, v116
	s_delay_alu instid0(VALU_DEP_1) | instskip(NEXT) | instid1(VALU_DEP_1)
	v_subrev_nc_u32_e32 v119, 28, v116
	v_lshlrev_b64_e32 v[128:129], v119, v[0:1]
	v_sub_nc_u32_e32 v119, 29, v116
	s_delay_alu instid0(VALU_DEP_2)
	v_and_b32_e32 v116, 7, v128
; %bb.1476:                             ;   in Loop: Header=BB270_1066 Depth=1
	s_wait_alu 0xfffe
	s_or_b32 exec_lo, exec_lo, s17
	v_lshlrev_b32_e32 v0, 8, v118
	v_lshl_add_u32 v118, v119, 10, 0x2000
	v_lshlrev_b32_e32 v116, 23, v116
	s_delay_alu instid0(VALU_DEP_2) | instskip(NEXT) | instid1(VALU_DEP_1)
	v_and_or_b32 v0, 0x8000, v0, v118
	v_lshl_or_b32 v116, v0, 16, v116
.LBB270_1477:                           ;   in Loop: Header=BB270_1066 Depth=1
	s_wait_alu 0xfffe
	s_or_b32 exec_lo, exec_lo, s16
.LBB270_1478:                           ;   in Loop: Header=BB270_1066 Depth=1
	s_wait_alu 0xfffe
	s_or_b32 exec_lo, exec_lo, s15
.LBB270_1479:                           ;   in Loop: Header=BB270_1066 Depth=1
	s_wait_alu 0xfffe
	s_or_b32 exec_lo, exec_lo, s14
	v_lshrrev_b32_e32 v0, 16, v11
	v_mov_b32_e32 v118, 0
	s_mov_b32 s14, exec_lo
	s_delay_alu instid0(VALU_DEP_2) | instskip(NEXT) | instid1(VALU_DEP_1)
	v_dual_mov_b32 v119, 0 :: v_dual_and_b32 v128, 0xff, v0
	v_cmpx_ne_u16_e64 0, v128
	s_cbranch_execz .LBB270_1487
; %bb.1480:                             ;   in Loop: Header=BB270_1066 Depth=1
	v_mov_b32_e32 v119, 0x8000
	s_mov_b32 s15, exec_lo
	v_cmpx_ne_u16_e64 0x80, v128
	s_cbranch_execz .LBB270_1486
; %bb.1481:                             ;   in Loop: Header=BB270_1066 Depth=1
	v_bfe_u32 v129, v11, 16, 7
	v_mov_b32_e32 v119, 0x7c01
	s_mov_b32 s16, exec_lo
	s_delay_alu instid0(VALU_DEP_2)
	v_cmpx_ne_u32_e32 0x7f, v129
	s_cbranch_execz .LBB270_1485
; %bb.1482:                             ;   in Loop: Header=BB270_1066 Depth=1
	v_and_b32_e32 v119, 7, v0
	v_lshrrev_b32_e32 v128, 3, v129
	s_mov_b32 s17, exec_lo
	v_cmpx_gt_u32_e32 8, v129
; %bb.1483:                             ;   in Loop: Header=BB270_1066 Depth=1
	s_delay_alu instid0(VALU_DEP_3) | instskip(NEXT) | instid1(VALU_DEP_1)
	v_clz_i32_u32_e32 v119, v119
	v_min_u32_e32 v119, 32, v119
	s_delay_alu instid0(VALU_DEP_1) | instskip(NEXT) | instid1(VALU_DEP_1)
	v_subrev_nc_u32_e32 v128, 28, v119
	v_lshlrev_b64_e32 v[129:130], v128, v[0:1]
	v_sub_nc_u32_e32 v128, 29, v119
	s_delay_alu instid0(VALU_DEP_2)
	v_and_b32_e32 v119, 7, v129
; %bb.1484:                             ;   in Loop: Header=BB270_1066 Depth=1
	s_wait_alu 0xfffe
	s_or_b32 exec_lo, exec_lo, s17
	v_lshlrev_b32_e32 v0, 8, v0
	v_lshl_add_u32 v128, v128, 10, 0x2000
	v_lshlrev_b32_e32 v119, 7, v119
	s_delay_alu instid0(VALU_DEP_3) | instskip(NEXT) | instid1(VALU_DEP_3)
	v_and_b32_e32 v0, 0x8000, v0
	v_and_b32_e32 v128, 0xfc00, v128
	s_delay_alu instid0(VALU_DEP_1)
	v_or3_b32 v119, v0, v128, v119
.LBB270_1485:                           ;   in Loop: Header=BB270_1066 Depth=1
	s_wait_alu 0xfffe
	s_or_b32 exec_lo, exec_lo, s16
.LBB270_1486:                           ;   in Loop: Header=BB270_1066 Depth=1
	s_wait_alu 0xfffe
	s_or_b32 exec_lo, exec_lo, s15
.LBB270_1487:                           ;   in Loop: Header=BB270_1066 Depth=1
	s_wait_alu 0xfffe
	s_or_b32 exec_lo, exec_lo, s14
	s_delay_alu instid0(SALU_CYCLE_1)
	s_mov_b32 s14, exec_lo
	v_cmpx_lt_u32_e32 0xffffff, v11
	s_cbranch_execz .LBB270_1495
; %bb.1488:                             ;   in Loop: Header=BB270_1066 Depth=1
	v_lshrrev_b32_e32 v0, 24, v11
	v_bfrev_b32_e32 v118, 1
	s_mov_b32 s15, exec_lo
	s_delay_alu instid0(VALU_DEP_2)
	v_cmpx_ne_u32_e32 0x80, v0
	s_cbranch_execz .LBB270_1494
; %bb.1489:                             ;   in Loop: Header=BB270_1066 Depth=1
	v_and_b32_e32 v129, 0x7f, v0
	v_mov_b32_e32 v118, 0x7c010000
	s_mov_b32 s16, exec_lo
	s_delay_alu instid0(VALU_DEP_2)
	v_cmpx_ne_u32_e32 0x7f, v129
	s_cbranch_execz .LBB270_1493
; %bb.1490:                             ;   in Loop: Header=BB270_1066 Depth=1
	v_and_b32_e32 v118, 7, v0
	v_lshrrev_b32_e32 v128, 3, v129
	s_mov_b32 s17, exec_lo
	v_cmpx_gt_u32_e32 8, v129
; %bb.1491:                             ;   in Loop: Header=BB270_1066 Depth=1
	s_delay_alu instid0(VALU_DEP_3) | instskip(NEXT) | instid1(VALU_DEP_1)
	v_clz_i32_u32_e32 v118, v118
	v_min_u32_e32 v118, 32, v118
	s_delay_alu instid0(VALU_DEP_1) | instskip(NEXT) | instid1(VALU_DEP_1)
	v_subrev_nc_u32_e32 v128, 28, v118
	v_lshlrev_b64_e32 v[129:130], v128, v[0:1]
	v_sub_nc_u32_e32 v128, 29, v118
	s_delay_alu instid0(VALU_DEP_2)
	v_and_b32_e32 v118, 7, v129
; %bb.1492:                             ;   in Loop: Header=BB270_1066 Depth=1
	s_wait_alu 0xfffe
	s_or_b32 exec_lo, exec_lo, s17
	v_lshlrev_b32_e32 v0, 8, v0
	v_lshl_add_u32 v128, v128, 10, 0x2000
	v_lshlrev_b32_e32 v118, 23, v118
	s_delay_alu instid0(VALU_DEP_2) | instskip(NEXT) | instid1(VALU_DEP_1)
	v_and_or_b32 v0, 0x8000, v0, v128
	v_lshl_or_b32 v118, v0, 16, v118
.LBB270_1493:                           ;   in Loop: Header=BB270_1066 Depth=1
	s_wait_alu 0xfffe
	s_or_b32 exec_lo, exec_lo, s16
.LBB270_1494:                           ;   in Loop: Header=BB270_1066 Depth=1
	s_wait_alu 0xfffe
	s_or_b32 exec_lo, exec_lo, s15
.LBB270_1495:                           ;   in Loop: Header=BB270_1066 Depth=1
	s_wait_alu 0xfffe
	s_or_b32 exec_lo, exec_lo, s14
	v_dual_mov_b32 v129, 0 :: v_dual_and_b32 v130, 0xff, v12
	v_mov_b32_e32 v0, v12
	v_mov_b32_e32 v128, 0
	s_mov_b32 s14, exec_lo
	s_delay_alu instid0(VALU_DEP_3)
	v_cmpx_ne_u16_e64 0, v130
	s_cbranch_execz .LBB270_1503
; %bb.1496:                             ;   in Loop: Header=BB270_1066 Depth=1
	v_mov_b32_e32 v129, 0x8000
	s_mov_b32 s15, exec_lo
	v_cmpx_ne_u16_e64 0x80, v130
	s_cbranch_execz .LBB270_1502
; %bb.1497:                             ;   in Loop: Header=BB270_1066 Depth=1
	v_and_b32_e32 v131, 0x7f, v12
	v_mov_b32_e32 v129, 0x7c01
	s_mov_b32 s16, exec_lo
	s_delay_alu instid0(VALU_DEP_2)
	v_cmpx_ne_u32_e32 0x7f, v131
	s_cbranch_execz .LBB270_1501
; %bb.1498:                             ;   in Loop: Header=BB270_1066 Depth=1
	v_and_b32_e32 v129, 7, v12
	v_lshrrev_b32_e32 v130, 3, v131
	s_mov_b32 s17, exec_lo
	v_cmpx_gt_u32_e32 8, v131
; %bb.1499:                             ;   in Loop: Header=BB270_1066 Depth=1
	s_delay_alu instid0(VALU_DEP_3) | instskip(NEXT) | instid1(VALU_DEP_1)
	v_clz_i32_u32_e32 v129, v129
	v_min_u32_e32 v131, 32, v129
	s_delay_alu instid0(VALU_DEP_1) | instskip(NEXT) | instid1(VALU_DEP_1)
	v_subrev_nc_u32_e32 v129, 28, v131
	v_lshlrev_b64_e32 v[129:130], v129, v[0:1]
	v_sub_nc_u32_e32 v130, 29, v131
	s_delay_alu instid0(VALU_DEP_2)
	v_and_b32_e32 v129, 7, v129
; %bb.1500:                             ;   in Loop: Header=BB270_1066 Depth=1
	s_wait_alu 0xfffe
	s_or_b32 exec_lo, exec_lo, s17
	v_lshlrev_b32_e32 v131, 8, v12
	v_lshl_add_u32 v130, v130, 10, 0x2000
	v_lshlrev_b32_e32 v129, 7, v129
	s_delay_alu instid0(VALU_DEP_3) | instskip(NEXT) | instid1(VALU_DEP_3)
	v_and_b32_e32 v131, 0x8000, v131
	v_and_b32_e32 v130, 0xfc00, v130
	s_delay_alu instid0(VALU_DEP_1)
	v_or3_b32 v129, v131, v130, v129
.LBB270_1501:                           ;   in Loop: Header=BB270_1066 Depth=1
	s_wait_alu 0xfffe
	s_or_b32 exec_lo, exec_lo, s16
.LBB270_1502:                           ;   in Loop: Header=BB270_1066 Depth=1
	s_wait_alu 0xfffe
	s_or_b32 exec_lo, exec_lo, s15
.LBB270_1503:                           ;   in Loop: Header=BB270_1066 Depth=1
	s_wait_alu 0xfffe
	s_or_b32 exec_lo, exec_lo, s14
	v_lshrrev_b16 v0, 8, v0
	v_mov_b32_e32 v130, 0
	s_mov_b32 s14, exec_lo
	s_delay_alu instid0(VALU_DEP_2)
	v_cmpx_ne_u16_e32 0, v0
	s_cbranch_execz .LBB270_1511
; %bb.1504:                             ;   in Loop: Header=BB270_1066 Depth=1
	v_bfrev_b32_e32 v130, 1
	s_mov_b32 s15, exec_lo
	v_cmpx_ne_u16_e32 0x80, v0
	s_cbranch_execz .LBB270_1510
; %bb.1505:                             ;   in Loop: Header=BB270_1066 Depth=1
	v_and_b32_e32 v131, 0xffff, v0
	v_mov_b32_e32 v130, 0x7c010000
	s_mov_b32 s16, exec_lo
	s_delay_alu instid0(VALU_DEP_2) | instskip(NEXT) | instid1(VALU_DEP_1)
	v_and_b32_e32 v133, 0x7f, v131
	v_cmpx_ne_u32_e32 0x7f, v133
	s_cbranch_execz .LBB270_1509
; %bb.1506:                             ;   in Loop: Header=BB270_1066 Depth=1
	v_and_b32_e32 v130, 7, v131
	v_lshrrev_b32_e32 v132, 3, v133
	s_mov_b32 s17, exec_lo
	v_cmpx_gt_u32_e32 8, v133
; %bb.1507:                             ;   in Loop: Header=BB270_1066 Depth=1
	s_delay_alu instid0(VALU_DEP_3) | instskip(NEXT) | instid1(VALU_DEP_1)
	v_clz_i32_u32_e32 v130, v130
	v_min_u32_e32 v130, 32, v130
	s_delay_alu instid0(VALU_DEP_1) | instskip(NEXT) | instid1(VALU_DEP_1)
	v_subrev_nc_u32_e32 v132, 28, v130
	v_lshlrev_b64_e32 v[133:134], v132, v[0:1]
	v_sub_nc_u32_e32 v132, 29, v130
	s_delay_alu instid0(VALU_DEP_2)
	v_and_b32_e32 v130, 7, v133
; %bb.1508:                             ;   in Loop: Header=BB270_1066 Depth=1
	s_wait_alu 0xfffe
	s_or_b32 exec_lo, exec_lo, s17
	v_lshlrev_b32_e32 v0, 8, v131
	v_lshl_add_u32 v131, v132, 10, 0x2000
	v_lshlrev_b32_e32 v130, 23, v130
	s_delay_alu instid0(VALU_DEP_2) | instskip(NEXT) | instid1(VALU_DEP_1)
	v_and_or_b32 v0, 0x8000, v0, v131
	v_lshl_or_b32 v130, v0, 16, v130
.LBB270_1509:                           ;   in Loop: Header=BB270_1066 Depth=1
	s_wait_alu 0xfffe
	s_or_b32 exec_lo, exec_lo, s16
.LBB270_1510:                           ;   in Loop: Header=BB270_1066 Depth=1
	s_wait_alu 0xfffe
	s_or_b32 exec_lo, exec_lo, s15
.LBB270_1511:                           ;   in Loop: Header=BB270_1066 Depth=1
	s_wait_alu 0xfffe
	s_or_b32 exec_lo, exec_lo, s14
	v_lshrrev_b32_e32 v0, 16, v12
	s_mov_b32 s14, exec_lo
	s_delay_alu instid0(VALU_DEP_1) | instskip(NEXT) | instid1(VALU_DEP_1)
	v_and_b32_e32 v131, 0xff, v0
	v_cmpx_ne_u16_e64 0, v131
	s_cbranch_execz .LBB270_1519
; %bb.1512:                             ;   in Loop: Header=BB270_1066 Depth=1
	v_mov_b32_e32 v128, 0x8000
	s_mov_b32 s15, exec_lo
	v_cmpx_ne_u16_e64 0x80, v131
	s_cbranch_execz .LBB270_1518
; %bb.1513:                             ;   in Loop: Header=BB270_1066 Depth=1
	v_bfe_u32 v132, v12, 16, 7
	v_mov_b32_e32 v128, 0x7c01
	s_mov_b32 s16, exec_lo
	s_delay_alu instid0(VALU_DEP_2)
	v_cmpx_ne_u32_e32 0x7f, v132
	s_cbranch_execz .LBB270_1517
; %bb.1514:                             ;   in Loop: Header=BB270_1066 Depth=1
	v_and_b32_e32 v128, 7, v0
	v_lshrrev_b32_e32 v131, 3, v132
	s_mov_b32 s17, exec_lo
	v_cmpx_gt_u32_e32 8, v132
; %bb.1515:                             ;   in Loop: Header=BB270_1066 Depth=1
	s_delay_alu instid0(VALU_DEP_3) | instskip(NEXT) | instid1(VALU_DEP_1)
	v_clz_i32_u32_e32 v128, v128
	v_min_u32_e32 v128, 32, v128
	s_delay_alu instid0(VALU_DEP_1) | instskip(NEXT) | instid1(VALU_DEP_1)
	v_subrev_nc_u32_e32 v131, 28, v128
	v_lshlrev_b64_e32 v[132:133], v131, v[0:1]
	v_sub_nc_u32_e32 v131, 29, v128
	s_delay_alu instid0(VALU_DEP_2)
	v_and_b32_e32 v128, 7, v132
; %bb.1516:                             ;   in Loop: Header=BB270_1066 Depth=1
	s_wait_alu 0xfffe
	s_or_b32 exec_lo, exec_lo, s17
	v_lshlrev_b32_e32 v0, 8, v0
	v_lshl_add_u32 v131, v131, 10, 0x2000
	v_lshlrev_b32_e32 v128, 7, v128
	s_delay_alu instid0(VALU_DEP_3) | instskip(NEXT) | instid1(VALU_DEP_3)
	v_and_b32_e32 v0, 0x8000, v0
	v_and_b32_e32 v131, 0xfc00, v131
	s_delay_alu instid0(VALU_DEP_1)
	v_or3_b32 v128, v0, v131, v128
.LBB270_1517:                           ;   in Loop: Header=BB270_1066 Depth=1
	s_wait_alu 0xfffe
	s_or_b32 exec_lo, exec_lo, s16
.LBB270_1518:                           ;   in Loop: Header=BB270_1066 Depth=1
	s_wait_alu 0xfffe
	s_or_b32 exec_lo, exec_lo, s15
.LBB270_1519:                           ;   in Loop: Header=BB270_1066 Depth=1
	s_wait_alu 0xfffe
	s_or_b32 exec_lo, exec_lo, s14
	v_cmp_lt_u64_e64 s1, s[8:9], v[11:12]
	v_mov_b32_e32 v11, 0
	s_and_saveexec_b32 s14, s1
	s_cbranch_execz .LBB270_1527
; %bb.1520:                             ;   in Loop: Header=BB270_1066 Depth=1
	v_lshrrev_b32_e32 v0, 24, v12
	v_bfrev_b32_e32 v11, 1
	s_mov_b32 s15, exec_lo
	s_delay_alu instid0(VALU_DEP_2)
	v_cmpx_ne_u32_e32 0x80, v0
	s_cbranch_execz .LBB270_1526
; %bb.1521:                             ;   in Loop: Header=BB270_1066 Depth=1
	v_and_b32_e32 v131, 0x7f, v0
	v_mov_b32_e32 v11, 0x7c010000
	s_mov_b32 s16, exec_lo
	s_delay_alu instid0(VALU_DEP_2)
	v_cmpx_ne_u32_e32 0x7f, v131
	s_cbranch_execz .LBB270_1525
; %bb.1522:                             ;   in Loop: Header=BB270_1066 Depth=1
	v_and_b32_e32 v11, 7, v0
	v_lshrrev_b32_e32 v12, 3, v131
	s_mov_b32 s17, exec_lo
	v_cmpx_gt_u32_e32 8, v131
; %bb.1523:                             ;   in Loop: Header=BB270_1066 Depth=1
	s_delay_alu instid0(VALU_DEP_3) | instskip(NEXT) | instid1(VALU_DEP_1)
	v_clz_i32_u32_e32 v11, v11
	v_min_u32_e32 v131, 32, v11
	s_delay_alu instid0(VALU_DEP_1) | instskip(NEXT) | instid1(VALU_DEP_1)
	v_subrev_nc_u32_e32 v11, 28, v131
	v_lshlrev_b64_e32 v[11:12], v11, v[0:1]
	v_sub_nc_u32_e32 v12, 29, v131
	s_delay_alu instid0(VALU_DEP_2)
	v_and_b32_e32 v11, 7, v11
; %bb.1524:                             ;   in Loop: Header=BB270_1066 Depth=1
	s_wait_alu 0xfffe
	s_or_b32 exec_lo, exec_lo, s17
	v_lshlrev_b32_e32 v0, 8, v0
	v_lshl_add_u32 v12, v12, 10, 0x2000
	v_lshlrev_b32_e32 v11, 23, v11
	s_delay_alu instid0(VALU_DEP_2) | instskip(NEXT) | instid1(VALU_DEP_1)
	v_and_or_b32 v0, 0x8000, v0, v12
	v_lshl_or_b32 v11, v0, 16, v11
.LBB270_1525:                           ;   in Loop: Header=BB270_1066 Depth=1
	s_wait_alu 0xfffe
	s_or_b32 exec_lo, exec_lo, s16
.LBB270_1526:                           ;   in Loop: Header=BB270_1066 Depth=1
	s_wait_alu 0xfffe
	s_or_b32 exec_lo, exec_lo, s15
.LBB270_1527:                           ;   in Loop: Header=BB270_1066 Depth=1
	s_wait_alu 0xfffe
	s_or_b32 exec_lo, exec_lo, s14
	v_or_b32_e32 v0, v118, v119
	s_wait_loadcnt_dscnt 0x0
	v_fma_mixlo_f16 v12, v115, v118, 0 op_sel:[0,1,0] op_sel_hi:[0,1,0]
	v_or_b32_e32 v118, v116, v117
	v_fma_mixlo_f16 v116, v115, v116, 0 op_sel:[0,1,0] op_sel_hi:[0,1,0]
	v_or_b32_e32 v119, v130, v129
	v_or_b32_e32 v128, v11, v128
	v_fma_mixlo_f16 v129, v115, v0, 0 op_sel_hi:[0,1,0]
	v_fma_mixlo_f16 v11, v115, v11, 0 op_sel:[0,1,0] op_sel_hi:[0,1,0]
	v_lshlrev_b32_e32 v117, 16, v116
	v_fma_mixlo_f16 v116, v115, v118, 0 op_sel_hi:[0,1,0]
	v_fma_mixlo_f16 v118, v115, v130, 0 op_sel:[0,1,0] op_sel_hi:[0,1,0]
	v_fma_mixlo_f16 v119, v115, v119, 0 op_sel_hi:[0,1,0]
	v_fma_mixlo_f16 v128, v115, v128, 0 op_sel_hi:[0,1,0]
	v_lshlrev_b32_e32 v0, 16, v12
	v_and_b32_e32 v12, 0xffff, v129
	v_and_b32_e32 v131, 0xffff, v116
	v_lshlrev_b32_e32 v115, 16, v118
	v_and_b32_e32 v119, 0xffff, v119
	v_lshlrev_b32_e32 v11, 16, v11
	v_and_b32_e32 v116, 0xffff, v128
	v_or_b32_e32 v118, v0, v12
	v_or_b32_e32 v130, v117, v131
	;; [unrolled: 1-line block ×3, first 2 shown]
	s_delay_alu instid0(VALU_DEP_4)
	v_or_b32_e32 v128, v11, v116
	s_and_saveexec_b32 s14, vcc_lo
	s_cbranch_execz .LBB270_1529
; %bb.1528:                             ;   in Loop: Header=BB270_1066 Depth=1
	v_cmp_lt_i32_e64 s1, v16, v34
	s_wait_alu 0xf1ff
	s_delay_alu instid0(VALU_DEP_1) | instskip(SKIP_2) | instid1(VALU_DEP_1)
	v_cndmask_b32_e64 v118, 0, v131, s1
	v_cmp_lt_i32_e64 s1, v96, v34
	s_wait_alu 0xf1ff
	v_cndmask_b32_e64 v117, 0, v117, s1
	v_cmp_lt_i32_e64 s1, v87, v34
	s_delay_alu instid0(VALU_DEP_2) | instskip(SKIP_1) | instid1(VALU_DEP_2)
	v_or_b32_e32 v130, v118, v117
	s_wait_alu 0xf1ff
	v_cndmask_b32_e64 v12, 0, v12, s1
	v_cmp_lt_i32_e64 s1, v86, v34
	s_wait_alu 0xf1ff
	s_delay_alu instid0(VALU_DEP_1) | instskip(SKIP_1) | instid1(VALU_DEP_2)
	v_cndmask_b32_e64 v0, 0, v0, s1
	v_cmp_lt_i32_e64 s1, v85, v34
	v_or_b32_e32 v118, v12, v0
	s_wait_alu 0xf1ff
	s_delay_alu instid0(VALU_DEP_2) | instskip(SKIP_2) | instid1(VALU_DEP_1)
	v_cndmask_b32_e64 v119, 0, v119, s1
	v_cmp_lt_i32_e64 s1, v84, v34
	s_wait_alu 0xf1ff
	v_cndmask_b32_e64 v115, 0, v115, s1
	v_cmp_lt_i32_e64 s1, v83, v34
	s_delay_alu instid0(VALU_DEP_2) | instskip(SKIP_1) | instid1(VALU_DEP_2)
	v_or_b32_e32 v129, v119, v115
	s_wait_alu 0xf1ff
	v_cndmask_b32_e64 v116, 0, v116, s1
	v_cmp_lt_i32_e64 s1, v82, v34
	s_wait_alu 0xf1ff
	s_delay_alu instid0(VALU_DEP_1) | instskip(NEXT) | instid1(VALU_DEP_1)
	v_cndmask_b32_e64 v11, 0, v11, s1
	v_or_b32_e32 v128, v116, v11
.LBB270_1529:                           ;   in Loop: Header=BB270_1066 Depth=1
	s_wait_alu 0xfffe
	s_or_b32 exec_lo, exec_lo, s14
	;;#ASMSTART
	v_pk_mul_f16 v0, v81, v130;

	;;#ASMEND
	;;#ASMSTART
	v_pk_mul_f16 v11, v80, v118;

	;;#ASMEND
	;; [unrolled: 4-line block ×4, first 2 shown]
	;;#ASMSTART
	v_pk_add_f16 v0, v0, v11;

	;;#ASMEND
	;;#ASMSTART
	v_pk_add_f16 v0, v0, v12;

	;;#ASMEND
	;; [unrolled: 4-line block ×3, first 2 shown]
	v_dual_mov_b32 v118, 0 :: v_dual_and_b32 v11, 0xffff, v0
	v_lshrrev_b32_e32 v0, 16, v0
	;;#ASMSTART
	v_cvt_f32_f16 v115, v11;
	;;#ASMEND
	;;#ASMSTART
	v_cvt_f32_f16 v116, v0;
	;;#ASMEND
	flat_load_b64 v[11:12], v[9:10] offset:1792
	flat_load_b32 v117, v[26:27]
	s_mov_b32 s14, exec_lo
	s_wait_loadcnt_dscnt 0x101
	v_dual_mov_b32 v119, 0 :: v_dual_and_b32 v0, 0xff, v11
	s_delay_alu instid0(VALU_DEP_1)
	v_cmpx_ne_u16_e32 0, v0
	s_cbranch_execz .LBB270_1537
; %bb.1530:                             ;   in Loop: Header=BB270_1066 Depth=1
	v_mov_b32_e32 v119, 0x8000
	s_mov_b32 s15, exec_lo
	v_cmpx_ne_u16_e32 0x80, v0
	s_cbranch_execz .LBB270_1536
; %bb.1531:                             ;   in Loop: Header=BB270_1066 Depth=1
	v_and_b32_e32 v128, 0x7f, v11
	v_mov_b32_e32 v119, 0x7c01
	s_mov_b32 s16, exec_lo
	s_delay_alu instid0(VALU_DEP_2)
	v_cmpx_ne_u32_e32 0x7f, v128
	s_cbranch_execz .LBB270_1535
; %bb.1532:                             ;   in Loop: Header=BB270_1066 Depth=1
	v_and_b32_e32 v0, 7, v11
	v_lshrrev_b32_e32 v119, 3, v128
	s_mov_b32 s17, exec_lo
	v_cmpx_gt_u32_e32 8, v128
; %bb.1533:                             ;   in Loop: Header=BB270_1066 Depth=1
	s_delay_alu instid0(VALU_DEP_3) | instskip(NEXT) | instid1(VALU_DEP_1)
	v_clz_i32_u32_e32 v0, v0
	v_min_u32_e32 v0, 32, v0
	s_delay_alu instid0(VALU_DEP_1) | instskip(NEXT) | instid1(VALU_DEP_1)
	v_subrev_nc_u32_e32 v119, 28, v0
	v_lshlrev_b64_e32 v[128:129], v119, v[11:12]
	v_sub_nc_u32_e32 v119, 29, v0
	s_delay_alu instid0(VALU_DEP_2)
	v_and_b32_e32 v0, 7, v128
; %bb.1534:                             ;   in Loop: Header=BB270_1066 Depth=1
	s_wait_alu 0xfffe
	s_or_b32 exec_lo, exec_lo, s17
	v_lshlrev_b32_e32 v128, 8, v11
	v_lshl_add_u32 v119, v119, 10, 0x2000
	v_lshlrev_b32_e32 v0, 7, v0
	s_delay_alu instid0(VALU_DEP_3) | instskip(NEXT) | instid1(VALU_DEP_3)
	v_and_b32_e32 v128, 0x8000, v128
	v_and_b32_e32 v119, 0xfc00, v119
	s_delay_alu instid0(VALU_DEP_1)
	v_or3_b32 v119, v128, v119, v0
.LBB270_1535:                           ;   in Loop: Header=BB270_1066 Depth=1
	s_wait_alu 0xfffe
	s_or_b32 exec_lo, exec_lo, s16
.LBB270_1536:                           ;   in Loop: Header=BB270_1066 Depth=1
	s_wait_alu 0xfffe
	s_or_b32 exec_lo, exec_lo, s15
.LBB270_1537:                           ;   in Loop: Header=BB270_1066 Depth=1
	s_wait_alu 0xfffe
	s_or_b32 exec_lo, exec_lo, s14
	v_lshrrev_b16 v0, 8, v11
	s_mov_b32 s14, exec_lo
	s_delay_alu instid0(VALU_DEP_1)
	v_cmpx_ne_u16_e32 0, v0
	s_cbranch_execz .LBB270_1545
; %bb.1538:                             ;   in Loop: Header=BB270_1066 Depth=1
	v_bfrev_b32_e32 v118, 1
	s_mov_b32 s15, exec_lo
	v_cmpx_ne_u16_e32 0x80, v0
	s_cbranch_execz .LBB270_1544
; %bb.1539:                             ;   in Loop: Header=BB270_1066 Depth=1
	v_and_b32_e32 v128, 0xffff, v0
	v_mov_b32_e32 v118, 0x7c010000
	s_mov_b32 s16, exec_lo
	s_delay_alu instid0(VALU_DEP_2) | instskip(NEXT) | instid1(VALU_DEP_1)
	v_and_b32_e32 v130, 0x7f, v128
	v_cmpx_ne_u32_e32 0x7f, v130
	s_cbranch_execz .LBB270_1543
; %bb.1540:                             ;   in Loop: Header=BB270_1066 Depth=1
	v_and_b32_e32 v118, 7, v128
	v_lshrrev_b32_e32 v129, 3, v130
	s_mov_b32 s17, exec_lo
	v_cmpx_gt_u32_e32 8, v130
; %bb.1541:                             ;   in Loop: Header=BB270_1066 Depth=1
	s_delay_alu instid0(VALU_DEP_3) | instskip(NEXT) | instid1(VALU_DEP_1)
	v_clz_i32_u32_e32 v118, v118
	v_min_u32_e32 v118, 32, v118
	s_delay_alu instid0(VALU_DEP_1) | instskip(NEXT) | instid1(VALU_DEP_1)
	v_subrev_nc_u32_e32 v129, 28, v118
	v_lshlrev_b64_e32 v[130:131], v129, v[0:1]
	v_sub_nc_u32_e32 v129, 29, v118
	s_delay_alu instid0(VALU_DEP_2)
	v_and_b32_e32 v118, 7, v130
; %bb.1542:                             ;   in Loop: Header=BB270_1066 Depth=1
	s_wait_alu 0xfffe
	s_or_b32 exec_lo, exec_lo, s17
	v_lshlrev_b32_e32 v0, 8, v128
	v_lshl_add_u32 v128, v129, 10, 0x2000
	v_lshlrev_b32_e32 v118, 23, v118
	s_delay_alu instid0(VALU_DEP_2) | instskip(NEXT) | instid1(VALU_DEP_1)
	v_and_or_b32 v0, 0x8000, v0, v128
	v_lshl_or_b32 v118, v0, 16, v118
.LBB270_1543:                           ;   in Loop: Header=BB270_1066 Depth=1
	s_wait_alu 0xfffe
	s_or_b32 exec_lo, exec_lo, s16
.LBB270_1544:                           ;   in Loop: Header=BB270_1066 Depth=1
	s_wait_alu 0xfffe
	s_or_b32 exec_lo, exec_lo, s15
.LBB270_1545:                           ;   in Loop: Header=BB270_1066 Depth=1
	s_wait_alu 0xfffe
	s_or_b32 exec_lo, exec_lo, s14
	v_lshrrev_b32_e32 v0, 16, v11
	v_mov_b32_e32 v128, 0
	s_mov_b32 s14, exec_lo
	s_delay_alu instid0(VALU_DEP_2) | instskip(NEXT) | instid1(VALU_DEP_1)
	v_dual_mov_b32 v129, 0 :: v_dual_and_b32 v130, 0xff, v0
	v_cmpx_ne_u16_e64 0, v130
	s_cbranch_execz .LBB270_1553
; %bb.1546:                             ;   in Loop: Header=BB270_1066 Depth=1
	v_mov_b32_e32 v129, 0x8000
	s_mov_b32 s15, exec_lo
	v_cmpx_ne_u16_e64 0x80, v130
	s_cbranch_execz .LBB270_1552
; %bb.1547:                             ;   in Loop: Header=BB270_1066 Depth=1
	v_bfe_u32 v131, v11, 16, 7
	v_mov_b32_e32 v129, 0x7c01
	s_mov_b32 s16, exec_lo
	s_delay_alu instid0(VALU_DEP_2)
	v_cmpx_ne_u32_e32 0x7f, v131
	s_cbranch_execz .LBB270_1551
; %bb.1548:                             ;   in Loop: Header=BB270_1066 Depth=1
	v_and_b32_e32 v129, 7, v0
	v_lshrrev_b32_e32 v130, 3, v131
	s_mov_b32 s17, exec_lo
	v_cmpx_gt_u32_e32 8, v131
; %bb.1549:                             ;   in Loop: Header=BB270_1066 Depth=1
	s_delay_alu instid0(VALU_DEP_3) | instskip(NEXT) | instid1(VALU_DEP_1)
	v_clz_i32_u32_e32 v129, v129
	v_min_u32_e32 v131, 32, v129
	s_delay_alu instid0(VALU_DEP_1) | instskip(NEXT) | instid1(VALU_DEP_1)
	v_subrev_nc_u32_e32 v129, 28, v131
	v_lshlrev_b64_e32 v[129:130], v129, v[0:1]
	v_sub_nc_u32_e32 v130, 29, v131
	s_delay_alu instid0(VALU_DEP_2)
	v_and_b32_e32 v129, 7, v129
; %bb.1550:                             ;   in Loop: Header=BB270_1066 Depth=1
	s_wait_alu 0xfffe
	s_or_b32 exec_lo, exec_lo, s17
	v_lshlrev_b32_e32 v0, 8, v0
	v_lshl_add_u32 v130, v130, 10, 0x2000
	v_lshlrev_b32_e32 v129, 7, v129
	s_delay_alu instid0(VALU_DEP_3) | instskip(NEXT) | instid1(VALU_DEP_3)
	v_and_b32_e32 v0, 0x8000, v0
	v_and_b32_e32 v130, 0xfc00, v130
	s_delay_alu instid0(VALU_DEP_1)
	v_or3_b32 v129, v0, v130, v129
.LBB270_1551:                           ;   in Loop: Header=BB270_1066 Depth=1
	s_wait_alu 0xfffe
	s_or_b32 exec_lo, exec_lo, s16
.LBB270_1552:                           ;   in Loop: Header=BB270_1066 Depth=1
	s_wait_alu 0xfffe
	s_or_b32 exec_lo, exec_lo, s15
.LBB270_1553:                           ;   in Loop: Header=BB270_1066 Depth=1
	s_wait_alu 0xfffe
	s_or_b32 exec_lo, exec_lo, s14
	s_delay_alu instid0(SALU_CYCLE_1)
	s_mov_b32 s14, exec_lo
	v_cmpx_lt_u32_e32 0xffffff, v11
	s_cbranch_execz .LBB270_1561
; %bb.1554:                             ;   in Loop: Header=BB270_1066 Depth=1
	v_lshrrev_b32_e32 v0, 24, v11
	v_bfrev_b32_e32 v128, 1
	s_mov_b32 s15, exec_lo
	s_delay_alu instid0(VALU_DEP_2)
	v_cmpx_ne_u32_e32 0x80, v0
	s_cbranch_execz .LBB270_1560
; %bb.1555:                             ;   in Loop: Header=BB270_1066 Depth=1
	v_and_b32_e32 v131, 0x7f, v0
	v_mov_b32_e32 v128, 0x7c010000
	s_mov_b32 s16, exec_lo
	s_delay_alu instid0(VALU_DEP_2)
	v_cmpx_ne_u32_e32 0x7f, v131
	s_cbranch_execz .LBB270_1559
; %bb.1556:                             ;   in Loop: Header=BB270_1066 Depth=1
	v_and_b32_e32 v128, 7, v0
	v_lshrrev_b32_e32 v130, 3, v131
	s_mov_b32 s17, exec_lo
	v_cmpx_gt_u32_e32 8, v131
; %bb.1557:                             ;   in Loop: Header=BB270_1066 Depth=1
	s_delay_alu instid0(VALU_DEP_3) | instskip(NEXT) | instid1(VALU_DEP_1)
	v_clz_i32_u32_e32 v128, v128
	v_min_u32_e32 v128, 32, v128
	s_delay_alu instid0(VALU_DEP_1) | instskip(NEXT) | instid1(VALU_DEP_1)
	v_subrev_nc_u32_e32 v130, 28, v128
	v_lshlrev_b64_e32 v[131:132], v130, v[0:1]
	v_sub_nc_u32_e32 v130, 29, v128
	s_delay_alu instid0(VALU_DEP_2)
	v_and_b32_e32 v128, 7, v131
; %bb.1558:                             ;   in Loop: Header=BB270_1066 Depth=1
	s_wait_alu 0xfffe
	s_or_b32 exec_lo, exec_lo, s17
	v_lshlrev_b32_e32 v0, 8, v0
	v_lshl_add_u32 v130, v130, 10, 0x2000
	v_lshlrev_b32_e32 v128, 23, v128
	s_delay_alu instid0(VALU_DEP_2) | instskip(NEXT) | instid1(VALU_DEP_1)
	v_and_or_b32 v0, 0x8000, v0, v130
	v_lshl_or_b32 v128, v0, 16, v128
.LBB270_1559:                           ;   in Loop: Header=BB270_1066 Depth=1
	s_wait_alu 0xfffe
	s_or_b32 exec_lo, exec_lo, s16
.LBB270_1560:                           ;   in Loop: Header=BB270_1066 Depth=1
	s_wait_alu 0xfffe
	s_or_b32 exec_lo, exec_lo, s15
.LBB270_1561:                           ;   in Loop: Header=BB270_1066 Depth=1
	s_wait_alu 0xfffe
	s_or_b32 exec_lo, exec_lo, s14
	v_dual_mov_b32 v131, 0 :: v_dual_and_b32 v132, 0xff, v12
	v_mov_b32_e32 v0, v12
	v_mov_b32_e32 v130, 0
	s_mov_b32 s14, exec_lo
	s_delay_alu instid0(VALU_DEP_3)
	v_cmpx_ne_u16_e64 0, v132
	s_cbranch_execz .LBB270_1569
; %bb.1562:                             ;   in Loop: Header=BB270_1066 Depth=1
	v_mov_b32_e32 v131, 0x8000
	s_mov_b32 s15, exec_lo
	v_cmpx_ne_u16_e64 0x80, v132
	s_cbranch_execz .LBB270_1568
; %bb.1563:                             ;   in Loop: Header=BB270_1066 Depth=1
	v_and_b32_e32 v133, 0x7f, v12
	v_mov_b32_e32 v131, 0x7c01
	s_mov_b32 s16, exec_lo
	s_delay_alu instid0(VALU_DEP_2)
	v_cmpx_ne_u32_e32 0x7f, v133
	s_cbranch_execz .LBB270_1567
; %bb.1564:                             ;   in Loop: Header=BB270_1066 Depth=1
	v_and_b32_e32 v131, 7, v12
	v_lshrrev_b32_e32 v132, 3, v133
	s_mov_b32 s17, exec_lo
	v_cmpx_gt_u32_e32 8, v133
; %bb.1565:                             ;   in Loop: Header=BB270_1066 Depth=1
	s_delay_alu instid0(VALU_DEP_3) | instskip(NEXT) | instid1(VALU_DEP_1)
	v_clz_i32_u32_e32 v131, v131
	v_min_u32_e32 v133, 32, v131
	s_delay_alu instid0(VALU_DEP_1) | instskip(NEXT) | instid1(VALU_DEP_1)
	v_subrev_nc_u32_e32 v131, 28, v133
	v_lshlrev_b64_e32 v[131:132], v131, v[0:1]
	v_sub_nc_u32_e32 v132, 29, v133
	s_delay_alu instid0(VALU_DEP_2)
	v_and_b32_e32 v131, 7, v131
; %bb.1566:                             ;   in Loop: Header=BB270_1066 Depth=1
	s_wait_alu 0xfffe
	s_or_b32 exec_lo, exec_lo, s17
	v_lshlrev_b32_e32 v133, 8, v12
	v_lshl_add_u32 v132, v132, 10, 0x2000
	v_lshlrev_b32_e32 v131, 7, v131
	s_delay_alu instid0(VALU_DEP_3) | instskip(NEXT) | instid1(VALU_DEP_3)
	v_and_b32_e32 v133, 0x8000, v133
	v_and_b32_e32 v132, 0xfc00, v132
	s_delay_alu instid0(VALU_DEP_1)
	v_or3_b32 v131, v133, v132, v131
.LBB270_1567:                           ;   in Loop: Header=BB270_1066 Depth=1
	s_wait_alu 0xfffe
	s_or_b32 exec_lo, exec_lo, s16
.LBB270_1568:                           ;   in Loop: Header=BB270_1066 Depth=1
	s_wait_alu 0xfffe
	s_or_b32 exec_lo, exec_lo, s15
.LBB270_1569:                           ;   in Loop: Header=BB270_1066 Depth=1
	s_wait_alu 0xfffe
	s_or_b32 exec_lo, exec_lo, s14
	v_lshrrev_b16 v0, 8, v0
	v_mov_b32_e32 v132, 0
	s_mov_b32 s14, exec_lo
	s_delay_alu instid0(VALU_DEP_2)
	v_cmpx_ne_u16_e32 0, v0
	s_cbranch_execz .LBB270_1577
; %bb.1570:                             ;   in Loop: Header=BB270_1066 Depth=1
	v_bfrev_b32_e32 v132, 1
	s_mov_b32 s15, exec_lo
	v_cmpx_ne_u16_e32 0x80, v0
	s_cbranch_execz .LBB270_1576
; %bb.1571:                             ;   in Loop: Header=BB270_1066 Depth=1
	v_and_b32_e32 v133, 0xffff, v0
	v_mov_b32_e32 v132, 0x7c010000
	s_mov_b32 s16, exec_lo
	s_delay_alu instid0(VALU_DEP_2) | instskip(NEXT) | instid1(VALU_DEP_1)
	v_and_b32_e32 v135, 0x7f, v133
	v_cmpx_ne_u32_e32 0x7f, v135
	s_cbranch_execz .LBB270_1575
; %bb.1572:                             ;   in Loop: Header=BB270_1066 Depth=1
	v_and_b32_e32 v132, 7, v133
	v_lshrrev_b32_e32 v134, 3, v135
	s_mov_b32 s17, exec_lo
	v_cmpx_gt_u32_e32 8, v135
; %bb.1573:                             ;   in Loop: Header=BB270_1066 Depth=1
	s_delay_alu instid0(VALU_DEP_3) | instskip(NEXT) | instid1(VALU_DEP_1)
	v_clz_i32_u32_e32 v132, v132
	v_min_u32_e32 v132, 32, v132
	s_delay_alu instid0(VALU_DEP_1) | instskip(NEXT) | instid1(VALU_DEP_1)
	v_subrev_nc_u32_e32 v134, 28, v132
	v_lshlrev_b64_e32 v[144:145], v134, v[0:1]
	v_sub_nc_u32_e32 v134, 29, v132
	s_delay_alu instid0(VALU_DEP_2)
	v_and_b32_e32 v132, 7, v144
; %bb.1574:                             ;   in Loop: Header=BB270_1066 Depth=1
	s_wait_alu 0xfffe
	s_or_b32 exec_lo, exec_lo, s17
	v_lshlrev_b32_e32 v0, 8, v133
	v_lshl_add_u32 v133, v134, 10, 0x2000
	v_lshlrev_b32_e32 v132, 23, v132
	s_delay_alu instid0(VALU_DEP_2) | instskip(NEXT) | instid1(VALU_DEP_1)
	v_and_or_b32 v0, 0x8000, v0, v133
	v_lshl_or_b32 v132, v0, 16, v132
.LBB270_1575:                           ;   in Loop: Header=BB270_1066 Depth=1
	s_wait_alu 0xfffe
	s_or_b32 exec_lo, exec_lo, s16
.LBB270_1576:                           ;   in Loop: Header=BB270_1066 Depth=1
	s_wait_alu 0xfffe
	s_or_b32 exec_lo, exec_lo, s15
.LBB270_1577:                           ;   in Loop: Header=BB270_1066 Depth=1
	s_wait_alu 0xfffe
	s_or_b32 exec_lo, exec_lo, s14
	v_lshrrev_b32_e32 v0, 16, v12
	s_mov_b32 s14, exec_lo
	s_delay_alu instid0(VALU_DEP_1) | instskip(NEXT) | instid1(VALU_DEP_1)
	v_and_b32_e32 v133, 0xff, v0
	v_cmpx_ne_u16_e64 0, v133
	s_cbranch_execz .LBB270_1585
; %bb.1578:                             ;   in Loop: Header=BB270_1066 Depth=1
	v_mov_b32_e32 v130, 0x8000
	s_mov_b32 s15, exec_lo
	v_cmpx_ne_u16_e64 0x80, v133
	s_cbranch_execz .LBB270_1584
; %bb.1579:                             ;   in Loop: Header=BB270_1066 Depth=1
	v_bfe_u32 v134, v12, 16, 7
	v_mov_b32_e32 v130, 0x7c01
	s_mov_b32 s16, exec_lo
	s_delay_alu instid0(VALU_DEP_2)
	v_cmpx_ne_u32_e32 0x7f, v134
	s_cbranch_execz .LBB270_1583
; %bb.1580:                             ;   in Loop: Header=BB270_1066 Depth=1
	v_and_b32_e32 v130, 7, v0
	v_lshrrev_b32_e32 v133, 3, v134
	s_mov_b32 s17, exec_lo
	v_cmpx_gt_u32_e32 8, v134
; %bb.1581:                             ;   in Loop: Header=BB270_1066 Depth=1
	s_delay_alu instid0(VALU_DEP_3) | instskip(NEXT) | instid1(VALU_DEP_1)
	v_clz_i32_u32_e32 v130, v130
	v_min_u32_e32 v130, 32, v130
	s_delay_alu instid0(VALU_DEP_1) | instskip(NEXT) | instid1(VALU_DEP_1)
	v_subrev_nc_u32_e32 v133, 28, v130
	v_lshlrev_b64_e32 v[134:135], v133, v[0:1]
	v_sub_nc_u32_e32 v133, 29, v130
	s_delay_alu instid0(VALU_DEP_2)
	v_and_b32_e32 v130, 7, v134
; %bb.1582:                             ;   in Loop: Header=BB270_1066 Depth=1
	s_wait_alu 0xfffe
	s_or_b32 exec_lo, exec_lo, s17
	v_lshlrev_b32_e32 v0, 8, v0
	v_lshl_add_u32 v133, v133, 10, 0x2000
	v_lshlrev_b32_e32 v130, 7, v130
	s_delay_alu instid0(VALU_DEP_3) | instskip(NEXT) | instid1(VALU_DEP_3)
	v_and_b32_e32 v0, 0x8000, v0
	v_and_b32_e32 v133, 0xfc00, v133
	s_delay_alu instid0(VALU_DEP_1)
	v_or3_b32 v130, v0, v133, v130
.LBB270_1583:                           ;   in Loop: Header=BB270_1066 Depth=1
	s_wait_alu 0xfffe
	s_or_b32 exec_lo, exec_lo, s16
.LBB270_1584:                           ;   in Loop: Header=BB270_1066 Depth=1
	s_wait_alu 0xfffe
	s_or_b32 exec_lo, exec_lo, s15
.LBB270_1585:                           ;   in Loop: Header=BB270_1066 Depth=1
	s_wait_alu 0xfffe
	s_or_b32 exec_lo, exec_lo, s14
	v_cmp_lt_u64_e64 s1, s[8:9], v[11:12]
	v_mov_b32_e32 v11, 0
	s_and_saveexec_b32 s14, s1
	s_cbranch_execz .LBB270_1593
; %bb.1586:                             ;   in Loop: Header=BB270_1066 Depth=1
	v_lshrrev_b32_e32 v0, 24, v12
	v_bfrev_b32_e32 v11, 1
	s_mov_b32 s15, exec_lo
	s_delay_alu instid0(VALU_DEP_2)
	v_cmpx_ne_u32_e32 0x80, v0
	s_cbranch_execz .LBB270_1592
; %bb.1587:                             ;   in Loop: Header=BB270_1066 Depth=1
	v_and_b32_e32 v133, 0x7f, v0
	v_mov_b32_e32 v11, 0x7c010000
	s_mov_b32 s16, exec_lo
	s_delay_alu instid0(VALU_DEP_2)
	v_cmpx_ne_u32_e32 0x7f, v133
	s_cbranch_execz .LBB270_1591
; %bb.1588:                             ;   in Loop: Header=BB270_1066 Depth=1
	v_and_b32_e32 v11, 7, v0
	v_lshrrev_b32_e32 v12, 3, v133
	s_mov_b32 s17, exec_lo
	v_cmpx_gt_u32_e32 8, v133
; %bb.1589:                             ;   in Loop: Header=BB270_1066 Depth=1
	s_delay_alu instid0(VALU_DEP_3) | instskip(NEXT) | instid1(VALU_DEP_1)
	v_clz_i32_u32_e32 v11, v11
	v_min_u32_e32 v133, 32, v11
	s_delay_alu instid0(VALU_DEP_1) | instskip(NEXT) | instid1(VALU_DEP_1)
	v_subrev_nc_u32_e32 v11, 28, v133
	v_lshlrev_b64_e32 v[11:12], v11, v[0:1]
	v_sub_nc_u32_e32 v12, 29, v133
	s_delay_alu instid0(VALU_DEP_2)
	v_and_b32_e32 v11, 7, v11
; %bb.1590:                             ;   in Loop: Header=BB270_1066 Depth=1
	s_wait_alu 0xfffe
	s_or_b32 exec_lo, exec_lo, s17
	v_lshlrev_b32_e32 v0, 8, v0
	v_lshl_add_u32 v12, v12, 10, 0x2000
	v_lshlrev_b32_e32 v11, 23, v11
	s_delay_alu instid0(VALU_DEP_2) | instskip(NEXT) | instid1(VALU_DEP_1)
	v_and_or_b32 v0, 0x8000, v0, v12
	v_lshl_or_b32 v11, v0, 16, v11
.LBB270_1591:                           ;   in Loop: Header=BB270_1066 Depth=1
	s_wait_alu 0xfffe
	s_or_b32 exec_lo, exec_lo, s16
.LBB270_1592:                           ;   in Loop: Header=BB270_1066 Depth=1
	s_wait_alu 0xfffe
	s_or_b32 exec_lo, exec_lo, s15
.LBB270_1593:                           ;   in Loop: Header=BB270_1066 Depth=1
	s_wait_alu 0xfffe
	s_or_b32 exec_lo, exec_lo, s14
	v_or_b32_e32 v0, v128, v129
	s_wait_loadcnt_dscnt 0x0
	v_fma_mixlo_f16 v12, v117, v128, 0 op_sel:[0,1,0] op_sel_hi:[0,1,0]
	v_or_b32_e32 v128, v118, v119
	v_fma_mixlo_f16 v118, v117, v118, 0 op_sel:[0,1,0] op_sel_hi:[0,1,0]
	v_or_b32_e32 v129, v132, v131
	v_or_b32_e32 v130, v11, v130
	v_fma_mixlo_f16 v131, v117, v0, 0 op_sel_hi:[0,1,0]
	v_fma_mixlo_f16 v11, v117, v11, 0 op_sel:[0,1,0] op_sel_hi:[0,1,0]
	v_lshlrev_b32_e32 v119, 16, v118
	v_fma_mixlo_f16 v118, v117, v128, 0 op_sel_hi:[0,1,0]
	v_fma_mixlo_f16 v128, v117, v132, 0 op_sel:[0,1,0] op_sel_hi:[0,1,0]
	v_fma_mixlo_f16 v129, v117, v129, 0 op_sel_hi:[0,1,0]
	v_fma_mixlo_f16 v130, v117, v130, 0 op_sel_hi:[0,1,0]
	v_lshlrev_b32_e32 v0, 16, v12
	v_and_b32_e32 v12, 0xffff, v131
	v_and_b32_e32 v133, 0xffff, v118
	v_lshlrev_b32_e32 v117, 16, v128
	v_and_b32_e32 v129, 0xffff, v129
	v_lshlrev_b32_e32 v11, 16, v11
	v_and_b32_e32 v118, 0xffff, v130
	v_or_b32_e32 v128, v0, v12
	v_or_b32_e32 v132, v119, v133
	;; [unrolled: 1-line block ×3, first 2 shown]
	s_delay_alu instid0(VALU_DEP_4)
	v_or_b32_e32 v130, v11, v118
	s_and_saveexec_b32 s14, vcc_lo
	s_cbranch_execz .LBB270_1595
; %bb.1594:                             ;   in Loop: Header=BB270_1066 Depth=1
	v_cmp_lt_i32_e64 s1, v16, v34
	s_wait_alu 0xf1ff
	s_delay_alu instid0(VALU_DEP_1) | instskip(SKIP_2) | instid1(VALU_DEP_1)
	v_cndmask_b32_e64 v128, 0, v133, s1
	v_cmp_lt_i32_e64 s1, v96, v34
	s_wait_alu 0xf1ff
	v_cndmask_b32_e64 v119, 0, v119, s1
	v_cmp_lt_i32_e64 s1, v87, v34
	s_delay_alu instid0(VALU_DEP_2) | instskip(SKIP_1) | instid1(VALU_DEP_2)
	v_or_b32_e32 v132, v128, v119
	s_wait_alu 0xf1ff
	v_cndmask_b32_e64 v12, 0, v12, s1
	v_cmp_lt_i32_e64 s1, v86, v34
	s_wait_alu 0xf1ff
	s_delay_alu instid0(VALU_DEP_1) | instskip(SKIP_1) | instid1(VALU_DEP_2)
	v_cndmask_b32_e64 v0, 0, v0, s1
	v_cmp_lt_i32_e64 s1, v85, v34
	v_or_b32_e32 v128, v12, v0
	s_wait_alu 0xf1ff
	s_delay_alu instid0(VALU_DEP_2) | instskip(SKIP_2) | instid1(VALU_DEP_1)
	v_cndmask_b32_e64 v129, 0, v129, s1
	v_cmp_lt_i32_e64 s1, v84, v34
	s_wait_alu 0xf1ff
	v_cndmask_b32_e64 v117, 0, v117, s1
	v_cmp_lt_i32_e64 s1, v83, v34
	s_delay_alu instid0(VALU_DEP_2) | instskip(SKIP_1) | instid1(VALU_DEP_2)
	v_or_b32_e32 v131, v129, v117
	s_wait_alu 0xf1ff
	v_cndmask_b32_e64 v118, 0, v118, s1
	v_cmp_lt_i32_e64 s1, v82, v34
	s_wait_alu 0xf1ff
	s_delay_alu instid0(VALU_DEP_1) | instskip(NEXT) | instid1(VALU_DEP_1)
	v_cndmask_b32_e64 v11, 0, v11, s1
	v_or_b32_e32 v130, v118, v11
.LBB270_1595:                           ;   in Loop: Header=BB270_1066 Depth=1
	s_wait_alu 0xfffe
	s_or_b32 exec_lo, exec_lo, s14
	;;#ASMSTART
	v_pk_mul_f16 v0, v81, v132;

	;;#ASMEND
	;;#ASMSTART
	v_pk_mul_f16 v11, v80, v128;

	;;#ASMEND
	;;#ASMSTART
	v_pk_mul_f16 v12, v54, v131;

	;;#ASMEND
	;;#ASMSTART
	v_pk_mul_f16 v117, v52, v130;

	;;#ASMEND
	;;#ASMSTART
	v_pk_add_f16 v0, v0, v11;

	;;#ASMEND
	;;#ASMSTART
	v_pk_add_f16 v0, v0, v12;

	;;#ASMEND
	;;#ASMSTART
	v_pk_add_f16 v0, v0, v117;

	;;#ASMEND
	v_dual_mov_b32 v128, 0 :: v_dual_and_b32 v11, 0xffff, v0
	v_lshrrev_b32_e32 v0, 16, v0
	;;#ASMSTART
	v_cvt_f32_f16 v117, v11;
	;;#ASMEND
	;;#ASMSTART
	v_cvt_f32_f16 v118, v0;
	;;#ASMEND
	flat_load_b64 v[11:12], v[9:10] offset:2048
	flat_load_b32 v119, v[26:27]
	s_mov_b32 s14, exec_lo
	s_wait_loadcnt_dscnt 0x101
	v_dual_mov_b32 v129, 0 :: v_dual_and_b32 v0, 0xff, v11
	s_delay_alu instid0(VALU_DEP_1)
	v_cmpx_ne_u16_e32 0, v0
	s_cbranch_execz .LBB270_1603
; %bb.1596:                             ;   in Loop: Header=BB270_1066 Depth=1
	v_mov_b32_e32 v129, 0x8000
	s_mov_b32 s15, exec_lo
	v_cmpx_ne_u16_e32 0x80, v0
	s_cbranch_execz .LBB270_1602
; %bb.1597:                             ;   in Loop: Header=BB270_1066 Depth=1
	v_and_b32_e32 v130, 0x7f, v11
	v_mov_b32_e32 v129, 0x7c01
	s_mov_b32 s16, exec_lo
	s_delay_alu instid0(VALU_DEP_2)
	v_cmpx_ne_u32_e32 0x7f, v130
	s_cbranch_execz .LBB270_1601
; %bb.1598:                             ;   in Loop: Header=BB270_1066 Depth=1
	v_and_b32_e32 v0, 7, v11
	v_lshrrev_b32_e32 v129, 3, v130
	s_mov_b32 s17, exec_lo
	v_cmpx_gt_u32_e32 8, v130
; %bb.1599:                             ;   in Loop: Header=BB270_1066 Depth=1
	s_delay_alu instid0(VALU_DEP_3) | instskip(NEXT) | instid1(VALU_DEP_1)
	v_clz_i32_u32_e32 v0, v0
	v_min_u32_e32 v0, 32, v0
	s_delay_alu instid0(VALU_DEP_1) | instskip(NEXT) | instid1(VALU_DEP_1)
	v_subrev_nc_u32_e32 v129, 28, v0
	v_lshlrev_b64_e32 v[130:131], v129, v[11:12]
	v_sub_nc_u32_e32 v129, 29, v0
	s_delay_alu instid0(VALU_DEP_2)
	v_and_b32_e32 v0, 7, v130
; %bb.1600:                             ;   in Loop: Header=BB270_1066 Depth=1
	s_wait_alu 0xfffe
	s_or_b32 exec_lo, exec_lo, s17
	v_lshlrev_b32_e32 v130, 8, v11
	v_lshl_add_u32 v129, v129, 10, 0x2000
	v_lshlrev_b32_e32 v0, 7, v0
	s_delay_alu instid0(VALU_DEP_3) | instskip(NEXT) | instid1(VALU_DEP_3)
	v_and_b32_e32 v130, 0x8000, v130
	v_and_b32_e32 v129, 0xfc00, v129
	s_delay_alu instid0(VALU_DEP_1)
	v_or3_b32 v129, v130, v129, v0
.LBB270_1601:                           ;   in Loop: Header=BB270_1066 Depth=1
	s_wait_alu 0xfffe
	s_or_b32 exec_lo, exec_lo, s16
.LBB270_1602:                           ;   in Loop: Header=BB270_1066 Depth=1
	s_wait_alu 0xfffe
	s_or_b32 exec_lo, exec_lo, s15
.LBB270_1603:                           ;   in Loop: Header=BB270_1066 Depth=1
	s_wait_alu 0xfffe
	s_or_b32 exec_lo, exec_lo, s14
	v_lshrrev_b16 v0, 8, v11
	s_mov_b32 s14, exec_lo
	s_delay_alu instid0(VALU_DEP_1)
	v_cmpx_ne_u16_e32 0, v0
	s_cbranch_execz .LBB270_1611
; %bb.1604:                             ;   in Loop: Header=BB270_1066 Depth=1
	v_bfrev_b32_e32 v128, 1
	s_mov_b32 s15, exec_lo
	v_cmpx_ne_u16_e32 0x80, v0
	s_cbranch_execz .LBB270_1610
; %bb.1605:                             ;   in Loop: Header=BB270_1066 Depth=1
	v_and_b32_e32 v130, 0xffff, v0
	v_mov_b32_e32 v128, 0x7c010000
	s_mov_b32 s16, exec_lo
	s_delay_alu instid0(VALU_DEP_2) | instskip(NEXT) | instid1(VALU_DEP_1)
	v_and_b32_e32 v132, 0x7f, v130
	v_cmpx_ne_u32_e32 0x7f, v132
	s_cbranch_execz .LBB270_1609
; %bb.1606:                             ;   in Loop: Header=BB270_1066 Depth=1
	v_and_b32_e32 v128, 7, v130
	v_lshrrev_b32_e32 v131, 3, v132
	s_mov_b32 s17, exec_lo
	v_cmpx_gt_u32_e32 8, v132
; %bb.1607:                             ;   in Loop: Header=BB270_1066 Depth=1
	s_delay_alu instid0(VALU_DEP_3) | instskip(NEXT) | instid1(VALU_DEP_1)
	v_clz_i32_u32_e32 v128, v128
	v_min_u32_e32 v128, 32, v128
	s_delay_alu instid0(VALU_DEP_1) | instskip(NEXT) | instid1(VALU_DEP_1)
	v_subrev_nc_u32_e32 v131, 28, v128
	v_lshlrev_b64_e32 v[132:133], v131, v[0:1]
	v_sub_nc_u32_e32 v131, 29, v128
	s_delay_alu instid0(VALU_DEP_2)
	v_and_b32_e32 v128, 7, v132
; %bb.1608:                             ;   in Loop: Header=BB270_1066 Depth=1
	s_wait_alu 0xfffe
	s_or_b32 exec_lo, exec_lo, s17
	v_lshlrev_b32_e32 v0, 8, v130
	v_lshl_add_u32 v130, v131, 10, 0x2000
	v_lshlrev_b32_e32 v128, 23, v128
	s_delay_alu instid0(VALU_DEP_2) | instskip(NEXT) | instid1(VALU_DEP_1)
	v_and_or_b32 v0, 0x8000, v0, v130
	v_lshl_or_b32 v128, v0, 16, v128
.LBB270_1609:                           ;   in Loop: Header=BB270_1066 Depth=1
	s_wait_alu 0xfffe
	s_or_b32 exec_lo, exec_lo, s16
.LBB270_1610:                           ;   in Loop: Header=BB270_1066 Depth=1
	s_wait_alu 0xfffe
	s_or_b32 exec_lo, exec_lo, s15
.LBB270_1611:                           ;   in Loop: Header=BB270_1066 Depth=1
	s_wait_alu 0xfffe
	s_or_b32 exec_lo, exec_lo, s14
	v_lshrrev_b32_e32 v0, 16, v11
	v_mov_b32_e32 v130, 0
	s_mov_b32 s14, exec_lo
	s_delay_alu instid0(VALU_DEP_2) | instskip(NEXT) | instid1(VALU_DEP_1)
	v_dual_mov_b32 v131, 0 :: v_dual_and_b32 v132, 0xff, v0
	v_cmpx_ne_u16_e64 0, v132
	s_cbranch_execz .LBB270_1619
; %bb.1612:                             ;   in Loop: Header=BB270_1066 Depth=1
	v_mov_b32_e32 v131, 0x8000
	s_mov_b32 s15, exec_lo
	v_cmpx_ne_u16_e64 0x80, v132
	s_cbranch_execz .LBB270_1618
; %bb.1613:                             ;   in Loop: Header=BB270_1066 Depth=1
	v_bfe_u32 v133, v11, 16, 7
	v_mov_b32_e32 v131, 0x7c01
	s_mov_b32 s16, exec_lo
	s_delay_alu instid0(VALU_DEP_2)
	v_cmpx_ne_u32_e32 0x7f, v133
	s_cbranch_execz .LBB270_1617
; %bb.1614:                             ;   in Loop: Header=BB270_1066 Depth=1
	v_and_b32_e32 v131, 7, v0
	v_lshrrev_b32_e32 v132, 3, v133
	s_mov_b32 s17, exec_lo
	v_cmpx_gt_u32_e32 8, v133
; %bb.1615:                             ;   in Loop: Header=BB270_1066 Depth=1
	s_delay_alu instid0(VALU_DEP_3) | instskip(NEXT) | instid1(VALU_DEP_1)
	v_clz_i32_u32_e32 v131, v131
	v_min_u32_e32 v133, 32, v131
	s_delay_alu instid0(VALU_DEP_1) | instskip(NEXT) | instid1(VALU_DEP_1)
	v_subrev_nc_u32_e32 v131, 28, v133
	v_lshlrev_b64_e32 v[131:132], v131, v[0:1]
	v_sub_nc_u32_e32 v132, 29, v133
	s_delay_alu instid0(VALU_DEP_2)
	v_and_b32_e32 v131, 7, v131
; %bb.1616:                             ;   in Loop: Header=BB270_1066 Depth=1
	s_wait_alu 0xfffe
	s_or_b32 exec_lo, exec_lo, s17
	v_lshlrev_b32_e32 v0, 8, v0
	v_lshl_add_u32 v132, v132, 10, 0x2000
	v_lshlrev_b32_e32 v131, 7, v131
	s_delay_alu instid0(VALU_DEP_3) | instskip(NEXT) | instid1(VALU_DEP_3)
	v_and_b32_e32 v0, 0x8000, v0
	v_and_b32_e32 v132, 0xfc00, v132
	s_delay_alu instid0(VALU_DEP_1)
	v_or3_b32 v131, v0, v132, v131
.LBB270_1617:                           ;   in Loop: Header=BB270_1066 Depth=1
	s_wait_alu 0xfffe
	s_or_b32 exec_lo, exec_lo, s16
.LBB270_1618:                           ;   in Loop: Header=BB270_1066 Depth=1
	s_wait_alu 0xfffe
	s_or_b32 exec_lo, exec_lo, s15
.LBB270_1619:                           ;   in Loop: Header=BB270_1066 Depth=1
	s_wait_alu 0xfffe
	s_or_b32 exec_lo, exec_lo, s14
	s_delay_alu instid0(SALU_CYCLE_1)
	s_mov_b32 s14, exec_lo
	v_cmpx_lt_u32_e32 0xffffff, v11
	s_cbranch_execz .LBB270_1627
; %bb.1620:                             ;   in Loop: Header=BB270_1066 Depth=1
	v_lshrrev_b32_e32 v0, 24, v11
	v_bfrev_b32_e32 v130, 1
	s_mov_b32 s15, exec_lo
	s_delay_alu instid0(VALU_DEP_2)
	v_cmpx_ne_u32_e32 0x80, v0
	s_cbranch_execz .LBB270_1626
; %bb.1621:                             ;   in Loop: Header=BB270_1066 Depth=1
	v_and_b32_e32 v133, 0x7f, v0
	v_mov_b32_e32 v130, 0x7c010000
	s_mov_b32 s16, exec_lo
	s_delay_alu instid0(VALU_DEP_2)
	v_cmpx_ne_u32_e32 0x7f, v133
	s_cbranch_execz .LBB270_1625
; %bb.1622:                             ;   in Loop: Header=BB270_1066 Depth=1
	v_and_b32_e32 v130, 7, v0
	v_lshrrev_b32_e32 v132, 3, v133
	s_mov_b32 s17, exec_lo
	v_cmpx_gt_u32_e32 8, v133
; %bb.1623:                             ;   in Loop: Header=BB270_1066 Depth=1
	s_delay_alu instid0(VALU_DEP_3) | instskip(NEXT) | instid1(VALU_DEP_1)
	v_clz_i32_u32_e32 v130, v130
	v_min_u32_e32 v130, 32, v130
	s_delay_alu instid0(VALU_DEP_1) | instskip(NEXT) | instid1(VALU_DEP_1)
	v_subrev_nc_u32_e32 v132, 28, v130
	v_lshlrev_b64_e32 v[133:134], v132, v[0:1]
	v_sub_nc_u32_e32 v132, 29, v130
	s_delay_alu instid0(VALU_DEP_2)
	v_and_b32_e32 v130, 7, v133
; %bb.1624:                             ;   in Loop: Header=BB270_1066 Depth=1
	s_wait_alu 0xfffe
	s_or_b32 exec_lo, exec_lo, s17
	v_lshlrev_b32_e32 v0, 8, v0
	v_lshl_add_u32 v132, v132, 10, 0x2000
	v_lshlrev_b32_e32 v130, 23, v130
	s_delay_alu instid0(VALU_DEP_2) | instskip(NEXT) | instid1(VALU_DEP_1)
	v_and_or_b32 v0, 0x8000, v0, v132
	v_lshl_or_b32 v130, v0, 16, v130
.LBB270_1625:                           ;   in Loop: Header=BB270_1066 Depth=1
	s_wait_alu 0xfffe
	s_or_b32 exec_lo, exec_lo, s16
.LBB270_1626:                           ;   in Loop: Header=BB270_1066 Depth=1
	s_wait_alu 0xfffe
	s_or_b32 exec_lo, exec_lo, s15
.LBB270_1627:                           ;   in Loop: Header=BB270_1066 Depth=1
	s_wait_alu 0xfffe
	s_or_b32 exec_lo, exec_lo, s14
	v_dual_mov_b32 v133, 0 :: v_dual_and_b32 v134, 0xff, v12
	v_mov_b32_e32 v0, v12
	v_mov_b32_e32 v132, 0
	s_mov_b32 s14, exec_lo
	s_delay_alu instid0(VALU_DEP_3)
	v_cmpx_ne_u16_e64 0, v134
	s_cbranch_execz .LBB270_1635
; %bb.1628:                             ;   in Loop: Header=BB270_1066 Depth=1
	v_mov_b32_e32 v133, 0x8000
	s_mov_b32 s15, exec_lo
	v_cmpx_ne_u16_e64 0x80, v134
	s_cbranch_execz .LBB270_1634
; %bb.1629:                             ;   in Loop: Header=BB270_1066 Depth=1
	v_and_b32_e32 v135, 0x7f, v12
	v_mov_b32_e32 v133, 0x7c01
	s_mov_b32 s16, exec_lo
	s_delay_alu instid0(VALU_DEP_2)
	v_cmpx_ne_u32_e32 0x7f, v135
	s_cbranch_execz .LBB270_1633
; %bb.1630:                             ;   in Loop: Header=BB270_1066 Depth=1
	v_and_b32_e32 v133, 7, v12
	v_lshrrev_b32_e32 v134, 3, v135
	s_mov_b32 s17, exec_lo
	v_cmpx_gt_u32_e32 8, v135
; %bb.1631:                             ;   in Loop: Header=BB270_1066 Depth=1
	s_delay_alu instid0(VALU_DEP_3) | instskip(NEXT) | instid1(VALU_DEP_1)
	v_clz_i32_u32_e32 v133, v133
	v_min_u32_e32 v135, 32, v133
	s_delay_alu instid0(VALU_DEP_1) | instskip(NEXT) | instid1(VALU_DEP_1)
	v_subrev_nc_u32_e32 v133, 28, v135
	v_lshlrev_b64_e32 v[133:134], v133, v[0:1]
	v_sub_nc_u32_e32 v134, 29, v135
	s_delay_alu instid0(VALU_DEP_2)
	v_and_b32_e32 v133, 7, v133
; %bb.1632:                             ;   in Loop: Header=BB270_1066 Depth=1
	s_wait_alu 0xfffe
	s_or_b32 exec_lo, exec_lo, s17
	v_lshlrev_b32_e32 v135, 8, v12
	v_lshl_add_u32 v134, v134, 10, 0x2000
	v_lshlrev_b32_e32 v133, 7, v133
	s_delay_alu instid0(VALU_DEP_3) | instskip(NEXT) | instid1(VALU_DEP_3)
	v_and_b32_e32 v135, 0x8000, v135
	v_and_b32_e32 v134, 0xfc00, v134
	s_delay_alu instid0(VALU_DEP_1)
	v_or3_b32 v133, v135, v134, v133
.LBB270_1633:                           ;   in Loop: Header=BB270_1066 Depth=1
	s_wait_alu 0xfffe
	s_or_b32 exec_lo, exec_lo, s16
.LBB270_1634:                           ;   in Loop: Header=BB270_1066 Depth=1
	s_wait_alu 0xfffe
	s_or_b32 exec_lo, exec_lo, s15
.LBB270_1635:                           ;   in Loop: Header=BB270_1066 Depth=1
	s_wait_alu 0xfffe
	s_or_b32 exec_lo, exec_lo, s14
	v_lshrrev_b16 v0, 8, v0
	v_mov_b32_e32 v134, 0
	s_mov_b32 s14, exec_lo
	s_delay_alu instid0(VALU_DEP_2)
	v_cmpx_ne_u16_e32 0, v0
	s_cbranch_execz .LBB270_1643
; %bb.1636:                             ;   in Loop: Header=BB270_1066 Depth=1
	v_bfrev_b32_e32 v134, 1
	s_mov_b32 s15, exec_lo
	v_cmpx_ne_u16_e32 0x80, v0
	s_cbranch_execz .LBB270_1642
; %bb.1637:                             ;   in Loop: Header=BB270_1066 Depth=1
	v_and_b32_e32 v135, 0xffff, v0
	v_mov_b32_e32 v134, 0x7c010000
	s_mov_b32 s16, exec_lo
	s_delay_alu instid0(VALU_DEP_2) | instskip(NEXT) | instid1(VALU_DEP_1)
	v_and_b32_e32 v145, 0x7f, v135
	v_cmpx_ne_u32_e32 0x7f, v145
	s_cbranch_execz .LBB270_1641
; %bb.1638:                             ;   in Loop: Header=BB270_1066 Depth=1
	v_and_b32_e32 v134, 7, v135
	v_lshrrev_b32_e32 v144, 3, v145
	s_mov_b32 s17, exec_lo
	v_cmpx_gt_u32_e32 8, v145
; %bb.1639:                             ;   in Loop: Header=BB270_1066 Depth=1
	s_delay_alu instid0(VALU_DEP_3) | instskip(NEXT) | instid1(VALU_DEP_1)
	v_clz_i32_u32_e32 v134, v134
	v_min_u32_e32 v134, 32, v134
	s_delay_alu instid0(VALU_DEP_1) | instskip(NEXT) | instid1(VALU_DEP_1)
	v_subrev_nc_u32_e32 v144, 28, v134
	v_lshlrev_b64_e32 v[145:146], v144, v[0:1]
	v_sub_nc_u32_e32 v144, 29, v134
	s_delay_alu instid0(VALU_DEP_2)
	v_and_b32_e32 v134, 7, v145
; %bb.1640:                             ;   in Loop: Header=BB270_1066 Depth=1
	s_wait_alu 0xfffe
	s_or_b32 exec_lo, exec_lo, s17
	v_lshlrev_b32_e32 v0, 8, v135
	v_lshl_add_u32 v135, v144, 10, 0x2000
	v_lshlrev_b32_e32 v134, 23, v134
	s_delay_alu instid0(VALU_DEP_2) | instskip(NEXT) | instid1(VALU_DEP_1)
	v_and_or_b32 v0, 0x8000, v0, v135
	v_lshl_or_b32 v134, v0, 16, v134
.LBB270_1641:                           ;   in Loop: Header=BB270_1066 Depth=1
	s_wait_alu 0xfffe
	s_or_b32 exec_lo, exec_lo, s16
.LBB270_1642:                           ;   in Loop: Header=BB270_1066 Depth=1
	s_wait_alu 0xfffe
	s_or_b32 exec_lo, exec_lo, s15
.LBB270_1643:                           ;   in Loop: Header=BB270_1066 Depth=1
	s_wait_alu 0xfffe
	s_or_b32 exec_lo, exec_lo, s14
	v_lshrrev_b32_e32 v0, 16, v12
	s_mov_b32 s14, exec_lo
	s_delay_alu instid0(VALU_DEP_1) | instskip(NEXT) | instid1(VALU_DEP_1)
	v_and_b32_e32 v135, 0xff, v0
	v_cmpx_ne_u16_e64 0, v135
	s_cbranch_execz .LBB270_1651
; %bb.1644:                             ;   in Loop: Header=BB270_1066 Depth=1
	v_mov_b32_e32 v132, 0x8000
	s_mov_b32 s15, exec_lo
	v_cmpx_ne_u16_e64 0x80, v135
	s_cbranch_execz .LBB270_1650
; %bb.1645:                             ;   in Loop: Header=BB270_1066 Depth=1
	v_bfe_u32 v144, v12, 16, 7
	v_mov_b32_e32 v132, 0x7c01
	s_mov_b32 s16, exec_lo
	s_delay_alu instid0(VALU_DEP_2)
	v_cmpx_ne_u32_e32 0x7f, v144
	s_cbranch_execz .LBB270_1649
; %bb.1646:                             ;   in Loop: Header=BB270_1066 Depth=1
	v_and_b32_e32 v132, 7, v0
	v_lshrrev_b32_e32 v135, 3, v144
	s_mov_b32 s17, exec_lo
	v_cmpx_gt_u32_e32 8, v144
; %bb.1647:                             ;   in Loop: Header=BB270_1066 Depth=1
	s_delay_alu instid0(VALU_DEP_3) | instskip(NEXT) | instid1(VALU_DEP_1)
	v_clz_i32_u32_e32 v132, v132
	v_min_u32_e32 v132, 32, v132
	s_delay_alu instid0(VALU_DEP_1) | instskip(NEXT) | instid1(VALU_DEP_1)
	v_subrev_nc_u32_e32 v135, 28, v132
	v_lshlrev_b64_e32 v[144:145], v135, v[0:1]
	v_sub_nc_u32_e32 v135, 29, v132
	s_delay_alu instid0(VALU_DEP_2)
	v_and_b32_e32 v132, 7, v144
; %bb.1648:                             ;   in Loop: Header=BB270_1066 Depth=1
	s_wait_alu 0xfffe
	s_or_b32 exec_lo, exec_lo, s17
	v_lshlrev_b32_e32 v0, 8, v0
	v_lshl_add_u32 v135, v135, 10, 0x2000
	v_lshlrev_b32_e32 v132, 7, v132
	s_delay_alu instid0(VALU_DEP_3) | instskip(NEXT) | instid1(VALU_DEP_3)
	v_and_b32_e32 v0, 0x8000, v0
	v_and_b32_e32 v135, 0xfc00, v135
	s_delay_alu instid0(VALU_DEP_1)
	v_or3_b32 v132, v0, v135, v132
.LBB270_1649:                           ;   in Loop: Header=BB270_1066 Depth=1
	s_wait_alu 0xfffe
	s_or_b32 exec_lo, exec_lo, s16
.LBB270_1650:                           ;   in Loop: Header=BB270_1066 Depth=1
	s_wait_alu 0xfffe
	s_or_b32 exec_lo, exec_lo, s15
.LBB270_1651:                           ;   in Loop: Header=BB270_1066 Depth=1
	s_wait_alu 0xfffe
	s_or_b32 exec_lo, exec_lo, s14
	v_cmp_lt_u64_e64 s1, s[8:9], v[11:12]
	v_mov_b32_e32 v11, 0
	s_and_saveexec_b32 s14, s1
	s_cbranch_execz .LBB270_1659
; %bb.1652:                             ;   in Loop: Header=BB270_1066 Depth=1
	v_lshrrev_b32_e32 v0, 24, v12
	v_bfrev_b32_e32 v11, 1
	s_mov_b32 s15, exec_lo
	s_delay_alu instid0(VALU_DEP_2)
	v_cmpx_ne_u32_e32 0x80, v0
	s_cbranch_execz .LBB270_1658
; %bb.1653:                             ;   in Loop: Header=BB270_1066 Depth=1
	v_and_b32_e32 v135, 0x7f, v0
	v_mov_b32_e32 v11, 0x7c010000
	s_mov_b32 s16, exec_lo
	s_delay_alu instid0(VALU_DEP_2)
	v_cmpx_ne_u32_e32 0x7f, v135
	s_cbranch_execz .LBB270_1657
; %bb.1654:                             ;   in Loop: Header=BB270_1066 Depth=1
	v_and_b32_e32 v11, 7, v0
	v_lshrrev_b32_e32 v12, 3, v135
	s_mov_b32 s17, exec_lo
	v_cmpx_gt_u32_e32 8, v135
; %bb.1655:                             ;   in Loop: Header=BB270_1066 Depth=1
	s_delay_alu instid0(VALU_DEP_3) | instskip(NEXT) | instid1(VALU_DEP_1)
	v_clz_i32_u32_e32 v11, v11
	v_min_u32_e32 v135, 32, v11
	s_delay_alu instid0(VALU_DEP_1) | instskip(NEXT) | instid1(VALU_DEP_1)
	v_subrev_nc_u32_e32 v11, 28, v135
	v_lshlrev_b64_e32 v[11:12], v11, v[0:1]
	v_sub_nc_u32_e32 v12, 29, v135
	s_delay_alu instid0(VALU_DEP_2)
	v_and_b32_e32 v11, 7, v11
; %bb.1656:                             ;   in Loop: Header=BB270_1066 Depth=1
	s_wait_alu 0xfffe
	s_or_b32 exec_lo, exec_lo, s17
	v_lshlrev_b32_e32 v0, 8, v0
	v_lshl_add_u32 v12, v12, 10, 0x2000
	v_lshlrev_b32_e32 v11, 23, v11
	s_delay_alu instid0(VALU_DEP_2) | instskip(NEXT) | instid1(VALU_DEP_1)
	v_and_or_b32 v0, 0x8000, v0, v12
	v_lshl_or_b32 v11, v0, 16, v11
.LBB270_1657:                           ;   in Loop: Header=BB270_1066 Depth=1
	s_wait_alu 0xfffe
	s_or_b32 exec_lo, exec_lo, s16
.LBB270_1658:                           ;   in Loop: Header=BB270_1066 Depth=1
	s_wait_alu 0xfffe
	s_or_b32 exec_lo, exec_lo, s15
.LBB270_1659:                           ;   in Loop: Header=BB270_1066 Depth=1
	s_wait_alu 0xfffe
	s_or_b32 exec_lo, exec_lo, s14
	v_or_b32_e32 v0, v130, v131
	s_wait_loadcnt_dscnt 0x0
	v_fma_mixlo_f16 v12, v119, v130, 0 op_sel:[0,1,0] op_sel_hi:[0,1,0]
	v_or_b32_e32 v130, v128, v129
	v_fma_mixlo_f16 v128, v119, v128, 0 op_sel:[0,1,0] op_sel_hi:[0,1,0]
	v_or_b32_e32 v131, v134, v133
	v_or_b32_e32 v132, v11, v132
	v_fma_mixlo_f16 v133, v119, v0, 0 op_sel_hi:[0,1,0]
	v_fma_mixlo_f16 v11, v119, v11, 0 op_sel:[0,1,0] op_sel_hi:[0,1,0]
	v_lshlrev_b32_e32 v129, 16, v128
	v_fma_mixlo_f16 v128, v119, v130, 0 op_sel_hi:[0,1,0]
	v_fma_mixlo_f16 v130, v119, v134, 0 op_sel:[0,1,0] op_sel_hi:[0,1,0]
	v_fma_mixlo_f16 v131, v119, v131, 0 op_sel_hi:[0,1,0]
	v_fma_mixlo_f16 v132, v119, v132, 0 op_sel_hi:[0,1,0]
	v_lshlrev_b32_e32 v0, 16, v12
	v_and_b32_e32 v12, 0xffff, v133
	v_and_b32_e32 v135, 0xffff, v128
	v_lshlrev_b32_e32 v119, 16, v130
	v_and_b32_e32 v131, 0xffff, v131
	v_lshlrev_b32_e32 v11, 16, v11
	v_and_b32_e32 v128, 0xffff, v132
	v_or_b32_e32 v130, v0, v12
	v_or_b32_e32 v134, v129, v135
	;; [unrolled: 1-line block ×3, first 2 shown]
	s_delay_alu instid0(VALU_DEP_4)
	v_or_b32_e32 v132, v11, v128
	s_and_saveexec_b32 s14, vcc_lo
	s_cbranch_execz .LBB270_1661
; %bb.1660:                             ;   in Loop: Header=BB270_1066 Depth=1
	v_cmp_lt_i32_e64 s1, v16, v34
	s_wait_alu 0xf1ff
	s_delay_alu instid0(VALU_DEP_1) | instskip(SKIP_2) | instid1(VALU_DEP_1)
	v_cndmask_b32_e64 v130, 0, v135, s1
	v_cmp_lt_i32_e64 s1, v96, v34
	s_wait_alu 0xf1ff
	v_cndmask_b32_e64 v129, 0, v129, s1
	v_cmp_lt_i32_e64 s1, v87, v34
	s_delay_alu instid0(VALU_DEP_2) | instskip(SKIP_1) | instid1(VALU_DEP_2)
	v_or_b32_e32 v134, v130, v129
	s_wait_alu 0xf1ff
	v_cndmask_b32_e64 v12, 0, v12, s1
	v_cmp_lt_i32_e64 s1, v86, v34
	s_wait_alu 0xf1ff
	s_delay_alu instid0(VALU_DEP_1) | instskip(SKIP_1) | instid1(VALU_DEP_2)
	v_cndmask_b32_e64 v0, 0, v0, s1
	v_cmp_lt_i32_e64 s1, v85, v34
	v_or_b32_e32 v130, v12, v0
	s_wait_alu 0xf1ff
	s_delay_alu instid0(VALU_DEP_2) | instskip(SKIP_2) | instid1(VALU_DEP_1)
	v_cndmask_b32_e64 v131, 0, v131, s1
	v_cmp_lt_i32_e64 s1, v84, v34
	s_wait_alu 0xf1ff
	v_cndmask_b32_e64 v119, 0, v119, s1
	v_cmp_lt_i32_e64 s1, v83, v34
	s_delay_alu instid0(VALU_DEP_2) | instskip(SKIP_1) | instid1(VALU_DEP_2)
	v_or_b32_e32 v133, v131, v119
	s_wait_alu 0xf1ff
	v_cndmask_b32_e64 v128, 0, v128, s1
	v_cmp_lt_i32_e64 s1, v82, v34
	s_wait_alu 0xf1ff
	s_delay_alu instid0(VALU_DEP_1) | instskip(NEXT) | instid1(VALU_DEP_1)
	v_cndmask_b32_e64 v11, 0, v11, s1
	v_or_b32_e32 v132, v128, v11
.LBB270_1661:                           ;   in Loop: Header=BB270_1066 Depth=1
	s_wait_alu 0xfffe
	s_or_b32 exec_lo, exec_lo, s14
	;;#ASMSTART
	v_pk_mul_f16 v0, v81, v134;

	;;#ASMEND
	;;#ASMSTART
	v_pk_mul_f16 v11, v80, v130;

	;;#ASMEND
	;; [unrolled: 4-line block ×4, first 2 shown]
	;;#ASMSTART
	v_pk_add_f16 v0, v0, v11;

	;;#ASMEND
	;;#ASMSTART
	v_pk_add_f16 v0, v0, v12;

	;;#ASMEND
	;; [unrolled: 4-line block ×3, first 2 shown]
	v_dual_mov_b32 v130, 0 :: v_dual_and_b32 v11, 0xffff, v0
	v_lshrrev_b32_e32 v0, 16, v0
	;;#ASMSTART
	v_cvt_f32_f16 v119, v11;
	;;#ASMEND
	;;#ASMSTART
	v_cvt_f32_f16 v128, v0;
	;;#ASMEND
	flat_load_b64 v[11:12], v[9:10] offset:2304
	flat_load_b32 v129, v[26:27]
	s_mov_b32 s14, exec_lo
	s_wait_loadcnt_dscnt 0x101
	v_dual_mov_b32 v131, 0 :: v_dual_and_b32 v0, 0xff, v11
	s_delay_alu instid0(VALU_DEP_1)
	v_cmpx_ne_u16_e32 0, v0
	s_cbranch_execz .LBB270_1669
; %bb.1662:                             ;   in Loop: Header=BB270_1066 Depth=1
	v_mov_b32_e32 v131, 0x8000
	s_mov_b32 s15, exec_lo
	v_cmpx_ne_u16_e32 0x80, v0
	s_cbranch_execz .LBB270_1668
; %bb.1663:                             ;   in Loop: Header=BB270_1066 Depth=1
	v_and_b32_e32 v132, 0x7f, v11
	v_mov_b32_e32 v131, 0x7c01
	s_mov_b32 s16, exec_lo
	s_delay_alu instid0(VALU_DEP_2)
	v_cmpx_ne_u32_e32 0x7f, v132
	s_cbranch_execz .LBB270_1667
; %bb.1664:                             ;   in Loop: Header=BB270_1066 Depth=1
	v_and_b32_e32 v0, 7, v11
	v_lshrrev_b32_e32 v131, 3, v132
	s_mov_b32 s17, exec_lo
	v_cmpx_gt_u32_e32 8, v132
; %bb.1665:                             ;   in Loop: Header=BB270_1066 Depth=1
	s_delay_alu instid0(VALU_DEP_3) | instskip(NEXT) | instid1(VALU_DEP_1)
	v_clz_i32_u32_e32 v0, v0
	v_min_u32_e32 v0, 32, v0
	s_delay_alu instid0(VALU_DEP_1) | instskip(NEXT) | instid1(VALU_DEP_1)
	v_subrev_nc_u32_e32 v131, 28, v0
	v_lshlrev_b64_e32 v[132:133], v131, v[11:12]
	v_sub_nc_u32_e32 v131, 29, v0
	s_delay_alu instid0(VALU_DEP_2)
	v_and_b32_e32 v0, 7, v132
; %bb.1666:                             ;   in Loop: Header=BB270_1066 Depth=1
	s_wait_alu 0xfffe
	s_or_b32 exec_lo, exec_lo, s17
	v_lshlrev_b32_e32 v132, 8, v11
	v_lshl_add_u32 v131, v131, 10, 0x2000
	v_lshlrev_b32_e32 v0, 7, v0
	s_delay_alu instid0(VALU_DEP_3) | instskip(NEXT) | instid1(VALU_DEP_3)
	v_and_b32_e32 v132, 0x8000, v132
	v_and_b32_e32 v131, 0xfc00, v131
	s_delay_alu instid0(VALU_DEP_1)
	v_or3_b32 v131, v132, v131, v0
.LBB270_1667:                           ;   in Loop: Header=BB270_1066 Depth=1
	s_wait_alu 0xfffe
	s_or_b32 exec_lo, exec_lo, s16
.LBB270_1668:                           ;   in Loop: Header=BB270_1066 Depth=1
	s_wait_alu 0xfffe
	s_or_b32 exec_lo, exec_lo, s15
.LBB270_1669:                           ;   in Loop: Header=BB270_1066 Depth=1
	s_wait_alu 0xfffe
	s_or_b32 exec_lo, exec_lo, s14
	v_lshrrev_b16 v0, 8, v11
	s_mov_b32 s14, exec_lo
	s_delay_alu instid0(VALU_DEP_1)
	v_cmpx_ne_u16_e32 0, v0
	s_cbranch_execz .LBB270_1677
; %bb.1670:                             ;   in Loop: Header=BB270_1066 Depth=1
	v_bfrev_b32_e32 v130, 1
	s_mov_b32 s15, exec_lo
	v_cmpx_ne_u16_e32 0x80, v0
	s_cbranch_execz .LBB270_1676
; %bb.1671:                             ;   in Loop: Header=BB270_1066 Depth=1
	v_and_b32_e32 v132, 0xffff, v0
	v_mov_b32_e32 v130, 0x7c010000
	s_mov_b32 s16, exec_lo
	s_delay_alu instid0(VALU_DEP_2) | instskip(NEXT) | instid1(VALU_DEP_1)
	v_and_b32_e32 v134, 0x7f, v132
	v_cmpx_ne_u32_e32 0x7f, v134
	s_cbranch_execz .LBB270_1675
; %bb.1672:                             ;   in Loop: Header=BB270_1066 Depth=1
	v_and_b32_e32 v130, 7, v132
	v_lshrrev_b32_e32 v133, 3, v134
	s_mov_b32 s17, exec_lo
	v_cmpx_gt_u32_e32 8, v134
; %bb.1673:                             ;   in Loop: Header=BB270_1066 Depth=1
	s_delay_alu instid0(VALU_DEP_3) | instskip(NEXT) | instid1(VALU_DEP_1)
	v_clz_i32_u32_e32 v130, v130
	v_min_u32_e32 v130, 32, v130
	s_delay_alu instid0(VALU_DEP_1) | instskip(NEXT) | instid1(VALU_DEP_1)
	v_subrev_nc_u32_e32 v133, 28, v130
	v_lshlrev_b64_e32 v[134:135], v133, v[0:1]
	v_sub_nc_u32_e32 v133, 29, v130
	s_delay_alu instid0(VALU_DEP_2)
	v_and_b32_e32 v130, 7, v134
; %bb.1674:                             ;   in Loop: Header=BB270_1066 Depth=1
	s_wait_alu 0xfffe
	s_or_b32 exec_lo, exec_lo, s17
	v_lshlrev_b32_e32 v0, 8, v132
	v_lshl_add_u32 v132, v133, 10, 0x2000
	v_lshlrev_b32_e32 v130, 23, v130
	s_delay_alu instid0(VALU_DEP_2) | instskip(NEXT) | instid1(VALU_DEP_1)
	v_and_or_b32 v0, 0x8000, v0, v132
	v_lshl_or_b32 v130, v0, 16, v130
.LBB270_1675:                           ;   in Loop: Header=BB270_1066 Depth=1
	s_wait_alu 0xfffe
	s_or_b32 exec_lo, exec_lo, s16
.LBB270_1676:                           ;   in Loop: Header=BB270_1066 Depth=1
	s_wait_alu 0xfffe
	s_or_b32 exec_lo, exec_lo, s15
.LBB270_1677:                           ;   in Loop: Header=BB270_1066 Depth=1
	s_wait_alu 0xfffe
	s_or_b32 exec_lo, exec_lo, s14
	v_lshrrev_b32_e32 v0, 16, v11
	v_mov_b32_e32 v132, 0
	s_mov_b32 s14, exec_lo
	s_delay_alu instid0(VALU_DEP_2) | instskip(NEXT) | instid1(VALU_DEP_1)
	v_dual_mov_b32 v133, 0 :: v_dual_and_b32 v134, 0xff, v0
	v_cmpx_ne_u16_e64 0, v134
	s_cbranch_execz .LBB270_1685
; %bb.1678:                             ;   in Loop: Header=BB270_1066 Depth=1
	v_mov_b32_e32 v133, 0x8000
	s_mov_b32 s15, exec_lo
	v_cmpx_ne_u16_e64 0x80, v134
	s_cbranch_execz .LBB270_1684
; %bb.1679:                             ;   in Loop: Header=BB270_1066 Depth=1
	v_bfe_u32 v135, v11, 16, 7
	v_mov_b32_e32 v133, 0x7c01
	s_mov_b32 s16, exec_lo
	s_delay_alu instid0(VALU_DEP_2)
	v_cmpx_ne_u32_e32 0x7f, v135
	s_cbranch_execz .LBB270_1683
; %bb.1680:                             ;   in Loop: Header=BB270_1066 Depth=1
	v_and_b32_e32 v133, 7, v0
	v_lshrrev_b32_e32 v134, 3, v135
	s_mov_b32 s17, exec_lo
	v_cmpx_gt_u32_e32 8, v135
; %bb.1681:                             ;   in Loop: Header=BB270_1066 Depth=1
	s_delay_alu instid0(VALU_DEP_3) | instskip(NEXT) | instid1(VALU_DEP_1)
	v_clz_i32_u32_e32 v133, v133
	v_min_u32_e32 v135, 32, v133
	s_delay_alu instid0(VALU_DEP_1) | instskip(NEXT) | instid1(VALU_DEP_1)
	v_subrev_nc_u32_e32 v133, 28, v135
	v_lshlrev_b64_e32 v[133:134], v133, v[0:1]
	v_sub_nc_u32_e32 v134, 29, v135
	s_delay_alu instid0(VALU_DEP_2)
	v_and_b32_e32 v133, 7, v133
; %bb.1682:                             ;   in Loop: Header=BB270_1066 Depth=1
	s_wait_alu 0xfffe
	s_or_b32 exec_lo, exec_lo, s17
	v_lshlrev_b32_e32 v0, 8, v0
	v_lshl_add_u32 v134, v134, 10, 0x2000
	v_lshlrev_b32_e32 v133, 7, v133
	s_delay_alu instid0(VALU_DEP_3) | instskip(NEXT) | instid1(VALU_DEP_3)
	v_and_b32_e32 v0, 0x8000, v0
	v_and_b32_e32 v134, 0xfc00, v134
	s_delay_alu instid0(VALU_DEP_1)
	v_or3_b32 v133, v0, v134, v133
.LBB270_1683:                           ;   in Loop: Header=BB270_1066 Depth=1
	s_wait_alu 0xfffe
	s_or_b32 exec_lo, exec_lo, s16
.LBB270_1684:                           ;   in Loop: Header=BB270_1066 Depth=1
	s_wait_alu 0xfffe
	s_or_b32 exec_lo, exec_lo, s15
.LBB270_1685:                           ;   in Loop: Header=BB270_1066 Depth=1
	s_wait_alu 0xfffe
	s_or_b32 exec_lo, exec_lo, s14
	s_delay_alu instid0(SALU_CYCLE_1)
	s_mov_b32 s14, exec_lo
	v_cmpx_lt_u32_e32 0xffffff, v11
	s_cbranch_execz .LBB270_1693
; %bb.1686:                             ;   in Loop: Header=BB270_1066 Depth=1
	v_lshrrev_b32_e32 v0, 24, v11
	v_bfrev_b32_e32 v132, 1
	s_mov_b32 s15, exec_lo
	s_delay_alu instid0(VALU_DEP_2)
	v_cmpx_ne_u32_e32 0x80, v0
	s_cbranch_execz .LBB270_1692
; %bb.1687:                             ;   in Loop: Header=BB270_1066 Depth=1
	v_and_b32_e32 v135, 0x7f, v0
	v_mov_b32_e32 v132, 0x7c010000
	s_mov_b32 s16, exec_lo
	s_delay_alu instid0(VALU_DEP_2)
	v_cmpx_ne_u32_e32 0x7f, v135
	s_cbranch_execz .LBB270_1691
; %bb.1688:                             ;   in Loop: Header=BB270_1066 Depth=1
	v_and_b32_e32 v132, 7, v0
	v_lshrrev_b32_e32 v134, 3, v135
	s_mov_b32 s17, exec_lo
	v_cmpx_gt_u32_e32 8, v135
; %bb.1689:                             ;   in Loop: Header=BB270_1066 Depth=1
	s_delay_alu instid0(VALU_DEP_3) | instskip(NEXT) | instid1(VALU_DEP_1)
	v_clz_i32_u32_e32 v132, v132
	v_min_u32_e32 v132, 32, v132
	s_delay_alu instid0(VALU_DEP_1) | instskip(NEXT) | instid1(VALU_DEP_1)
	v_subrev_nc_u32_e32 v134, 28, v132
	v_lshlrev_b64_e32 v[144:145], v134, v[0:1]
	v_sub_nc_u32_e32 v134, 29, v132
	s_delay_alu instid0(VALU_DEP_2)
	v_and_b32_e32 v132, 7, v144
; %bb.1690:                             ;   in Loop: Header=BB270_1066 Depth=1
	s_wait_alu 0xfffe
	s_or_b32 exec_lo, exec_lo, s17
	v_lshlrev_b32_e32 v0, 8, v0
	v_lshl_add_u32 v134, v134, 10, 0x2000
	v_lshlrev_b32_e32 v132, 23, v132
	s_delay_alu instid0(VALU_DEP_2) | instskip(NEXT) | instid1(VALU_DEP_1)
	v_and_or_b32 v0, 0x8000, v0, v134
	v_lshl_or_b32 v132, v0, 16, v132
.LBB270_1691:                           ;   in Loop: Header=BB270_1066 Depth=1
	s_wait_alu 0xfffe
	s_or_b32 exec_lo, exec_lo, s16
.LBB270_1692:                           ;   in Loop: Header=BB270_1066 Depth=1
	s_wait_alu 0xfffe
	s_or_b32 exec_lo, exec_lo, s15
.LBB270_1693:                           ;   in Loop: Header=BB270_1066 Depth=1
	s_wait_alu 0xfffe
	s_or_b32 exec_lo, exec_lo, s14
	v_dual_mov_b32 v135, 0 :: v_dual_and_b32 v144, 0xff, v12
	v_mov_b32_e32 v0, v12
	v_mov_b32_e32 v134, 0
	s_mov_b32 s14, exec_lo
	s_delay_alu instid0(VALU_DEP_3)
	v_cmpx_ne_u16_e64 0, v144
	s_cbranch_execz .LBB270_1701
; %bb.1694:                             ;   in Loop: Header=BB270_1066 Depth=1
	v_mov_b32_e32 v135, 0x8000
	s_mov_b32 s15, exec_lo
	v_cmpx_ne_u16_e64 0x80, v144
	s_cbranch_execz .LBB270_1700
; %bb.1695:                             ;   in Loop: Header=BB270_1066 Depth=1
	v_and_b32_e32 v145, 0x7f, v12
	v_mov_b32_e32 v135, 0x7c01
	s_mov_b32 s16, exec_lo
	s_delay_alu instid0(VALU_DEP_2)
	v_cmpx_ne_u32_e32 0x7f, v145
	s_cbranch_execz .LBB270_1699
; %bb.1696:                             ;   in Loop: Header=BB270_1066 Depth=1
	v_and_b32_e32 v135, 7, v12
	v_lshrrev_b32_e32 v144, 3, v145
	s_mov_b32 s17, exec_lo
	v_cmpx_gt_u32_e32 8, v145
; %bb.1697:                             ;   in Loop: Header=BB270_1066 Depth=1
	s_delay_alu instid0(VALU_DEP_3) | instskip(NEXT) | instid1(VALU_DEP_1)
	v_clz_i32_u32_e32 v135, v135
	v_min_u32_e32 v135, 32, v135
	s_delay_alu instid0(VALU_DEP_1) | instskip(NEXT) | instid1(VALU_DEP_1)
	v_subrev_nc_u32_e32 v144, 28, v135
	v_lshlrev_b64_e32 v[145:146], v144, v[0:1]
	v_sub_nc_u32_e32 v144, 29, v135
	s_delay_alu instid0(VALU_DEP_2)
	v_and_b32_e32 v135, 7, v145
; %bb.1698:                             ;   in Loop: Header=BB270_1066 Depth=1
	s_wait_alu 0xfffe
	s_or_b32 exec_lo, exec_lo, s17
	v_lshlrev_b32_e32 v145, 8, v12
	v_lshl_add_u32 v144, v144, 10, 0x2000
	v_lshlrev_b32_e32 v135, 7, v135
	s_delay_alu instid0(VALU_DEP_3) | instskip(NEXT) | instid1(VALU_DEP_3)
	v_and_b32_e32 v145, 0x8000, v145
	v_and_b32_e32 v144, 0xfc00, v144
	s_delay_alu instid0(VALU_DEP_1)
	v_or3_b32 v135, v145, v144, v135
.LBB270_1699:                           ;   in Loop: Header=BB270_1066 Depth=1
	s_wait_alu 0xfffe
	s_or_b32 exec_lo, exec_lo, s16
.LBB270_1700:                           ;   in Loop: Header=BB270_1066 Depth=1
	s_wait_alu 0xfffe
	s_or_b32 exec_lo, exec_lo, s15
.LBB270_1701:                           ;   in Loop: Header=BB270_1066 Depth=1
	s_wait_alu 0xfffe
	s_or_b32 exec_lo, exec_lo, s14
	v_lshrrev_b16 v0, 8, v0
	v_mov_b32_e32 v144, 0
	s_mov_b32 s14, exec_lo
	s_delay_alu instid0(VALU_DEP_2)
	v_cmpx_ne_u16_e32 0, v0
	s_cbranch_execz .LBB270_1709
; %bb.1702:                             ;   in Loop: Header=BB270_1066 Depth=1
	v_bfrev_b32_e32 v144, 1
	s_mov_b32 s15, exec_lo
	v_cmpx_ne_u16_e32 0x80, v0
	s_cbranch_execz .LBB270_1708
; %bb.1703:                             ;   in Loop: Header=BB270_1066 Depth=1
	v_and_b32_e32 v145, 0xffff, v0
	v_mov_b32_e32 v144, 0x7c010000
	s_mov_b32 s16, exec_lo
	s_delay_alu instid0(VALU_DEP_2) | instskip(NEXT) | instid1(VALU_DEP_1)
	v_and_b32_e32 v147, 0x7f, v145
	v_cmpx_ne_u32_e32 0x7f, v147
	s_cbranch_execz .LBB270_1707
; %bb.1704:                             ;   in Loop: Header=BB270_1066 Depth=1
	v_and_b32_e32 v144, 7, v145
	v_lshrrev_b32_e32 v146, 3, v147
	s_mov_b32 s17, exec_lo
	v_cmpx_gt_u32_e32 8, v147
; %bb.1705:                             ;   in Loop: Header=BB270_1066 Depth=1
	s_delay_alu instid0(VALU_DEP_3) | instskip(NEXT) | instid1(VALU_DEP_1)
	v_clz_i32_u32_e32 v144, v144
	v_min_u32_e32 v144, 32, v144
	s_delay_alu instid0(VALU_DEP_1) | instskip(NEXT) | instid1(VALU_DEP_1)
	v_subrev_nc_u32_e32 v146, 28, v144
	v_lshlrev_b64_e32 v[147:148], v146, v[0:1]
	v_sub_nc_u32_e32 v146, 29, v144
	s_delay_alu instid0(VALU_DEP_2)
	v_and_b32_e32 v144, 7, v147
; %bb.1706:                             ;   in Loop: Header=BB270_1066 Depth=1
	s_wait_alu 0xfffe
	s_or_b32 exec_lo, exec_lo, s17
	v_lshlrev_b32_e32 v0, 8, v145
	v_lshl_add_u32 v145, v146, 10, 0x2000
	v_lshlrev_b32_e32 v144, 23, v144
	s_delay_alu instid0(VALU_DEP_2) | instskip(NEXT) | instid1(VALU_DEP_1)
	v_and_or_b32 v0, 0x8000, v0, v145
	v_lshl_or_b32 v144, v0, 16, v144
.LBB270_1707:                           ;   in Loop: Header=BB270_1066 Depth=1
	s_wait_alu 0xfffe
	s_or_b32 exec_lo, exec_lo, s16
.LBB270_1708:                           ;   in Loop: Header=BB270_1066 Depth=1
	s_wait_alu 0xfffe
	s_or_b32 exec_lo, exec_lo, s15
.LBB270_1709:                           ;   in Loop: Header=BB270_1066 Depth=1
	s_wait_alu 0xfffe
	s_or_b32 exec_lo, exec_lo, s14
	v_lshrrev_b32_e32 v0, 16, v12
	s_mov_b32 s14, exec_lo
	s_delay_alu instid0(VALU_DEP_1) | instskip(NEXT) | instid1(VALU_DEP_1)
	v_and_b32_e32 v145, 0xff, v0
	v_cmpx_ne_u16_e64 0, v145
	s_cbranch_execz .LBB270_1717
; %bb.1710:                             ;   in Loop: Header=BB270_1066 Depth=1
	v_mov_b32_e32 v134, 0x8000
	s_mov_b32 s15, exec_lo
	v_cmpx_ne_u16_e64 0x80, v145
	s_cbranch_execz .LBB270_1716
; %bb.1711:                             ;   in Loop: Header=BB270_1066 Depth=1
	v_bfe_u32 v146, v12, 16, 7
	v_mov_b32_e32 v134, 0x7c01
	s_mov_b32 s16, exec_lo
	s_delay_alu instid0(VALU_DEP_2)
	v_cmpx_ne_u32_e32 0x7f, v146
	s_cbranch_execz .LBB270_1715
; %bb.1712:                             ;   in Loop: Header=BB270_1066 Depth=1
	v_and_b32_e32 v134, 7, v0
	v_lshrrev_b32_e32 v145, 3, v146
	s_mov_b32 s17, exec_lo
	v_cmpx_gt_u32_e32 8, v146
; %bb.1713:                             ;   in Loop: Header=BB270_1066 Depth=1
	s_delay_alu instid0(VALU_DEP_3) | instskip(NEXT) | instid1(VALU_DEP_1)
	v_clz_i32_u32_e32 v134, v134
	v_min_u32_e32 v134, 32, v134
	s_delay_alu instid0(VALU_DEP_1) | instskip(NEXT) | instid1(VALU_DEP_1)
	v_subrev_nc_u32_e32 v145, 28, v134
	v_lshlrev_b64_e32 v[146:147], v145, v[0:1]
	v_sub_nc_u32_e32 v145, 29, v134
	s_delay_alu instid0(VALU_DEP_2)
	v_and_b32_e32 v134, 7, v146
; %bb.1714:                             ;   in Loop: Header=BB270_1066 Depth=1
	s_wait_alu 0xfffe
	s_or_b32 exec_lo, exec_lo, s17
	v_lshlrev_b32_e32 v0, 8, v0
	v_lshl_add_u32 v145, v145, 10, 0x2000
	v_lshlrev_b32_e32 v134, 7, v134
	s_delay_alu instid0(VALU_DEP_3) | instskip(NEXT) | instid1(VALU_DEP_3)
	v_and_b32_e32 v0, 0x8000, v0
	v_and_b32_e32 v145, 0xfc00, v145
	s_delay_alu instid0(VALU_DEP_1)
	v_or3_b32 v134, v0, v145, v134
.LBB270_1715:                           ;   in Loop: Header=BB270_1066 Depth=1
	s_wait_alu 0xfffe
	s_or_b32 exec_lo, exec_lo, s16
.LBB270_1716:                           ;   in Loop: Header=BB270_1066 Depth=1
	s_wait_alu 0xfffe
	s_or_b32 exec_lo, exec_lo, s15
.LBB270_1717:                           ;   in Loop: Header=BB270_1066 Depth=1
	s_wait_alu 0xfffe
	s_or_b32 exec_lo, exec_lo, s14
	v_cmp_lt_u64_e64 s1, s[8:9], v[11:12]
	v_mov_b32_e32 v11, 0
	s_and_saveexec_b32 s14, s1
	s_cbranch_execz .LBB270_1725
; %bb.1718:                             ;   in Loop: Header=BB270_1066 Depth=1
	v_lshrrev_b32_e32 v0, 24, v12
	v_bfrev_b32_e32 v11, 1
	s_mov_b32 s15, exec_lo
	s_delay_alu instid0(VALU_DEP_2)
	v_cmpx_ne_u32_e32 0x80, v0
	s_cbranch_execz .LBB270_1724
; %bb.1719:                             ;   in Loop: Header=BB270_1066 Depth=1
	v_and_b32_e32 v145, 0x7f, v0
	v_mov_b32_e32 v11, 0x7c010000
	s_mov_b32 s16, exec_lo
	s_delay_alu instid0(VALU_DEP_2)
	v_cmpx_ne_u32_e32 0x7f, v145
	s_cbranch_execz .LBB270_1723
; %bb.1720:                             ;   in Loop: Header=BB270_1066 Depth=1
	v_and_b32_e32 v11, 7, v0
	v_lshrrev_b32_e32 v12, 3, v145
	s_mov_b32 s17, exec_lo
	v_cmpx_gt_u32_e32 8, v145
; %bb.1721:                             ;   in Loop: Header=BB270_1066 Depth=1
	s_delay_alu instid0(VALU_DEP_3) | instskip(NEXT) | instid1(VALU_DEP_1)
	v_clz_i32_u32_e32 v11, v11
	v_min_u32_e32 v145, 32, v11
	s_delay_alu instid0(VALU_DEP_1) | instskip(NEXT) | instid1(VALU_DEP_1)
	v_subrev_nc_u32_e32 v11, 28, v145
	v_lshlrev_b64_e32 v[11:12], v11, v[0:1]
	v_sub_nc_u32_e32 v12, 29, v145
	s_delay_alu instid0(VALU_DEP_2)
	v_and_b32_e32 v11, 7, v11
; %bb.1722:                             ;   in Loop: Header=BB270_1066 Depth=1
	s_wait_alu 0xfffe
	s_or_b32 exec_lo, exec_lo, s17
	v_lshlrev_b32_e32 v0, 8, v0
	v_lshl_add_u32 v12, v12, 10, 0x2000
	v_lshlrev_b32_e32 v11, 23, v11
	s_delay_alu instid0(VALU_DEP_2) | instskip(NEXT) | instid1(VALU_DEP_1)
	v_and_or_b32 v0, 0x8000, v0, v12
	v_lshl_or_b32 v11, v0, 16, v11
.LBB270_1723:                           ;   in Loop: Header=BB270_1066 Depth=1
	s_wait_alu 0xfffe
	s_or_b32 exec_lo, exec_lo, s16
.LBB270_1724:                           ;   in Loop: Header=BB270_1066 Depth=1
	s_wait_alu 0xfffe
	s_or_b32 exec_lo, exec_lo, s15
.LBB270_1725:                           ;   in Loop: Header=BB270_1066 Depth=1
	s_wait_alu 0xfffe
	s_or_b32 exec_lo, exec_lo, s14
	v_or_b32_e32 v0, v132, v133
	s_wait_loadcnt_dscnt 0x0
	v_fma_mixlo_f16 v12, v129, v132, 0 op_sel:[0,1,0] op_sel_hi:[0,1,0]
	v_or_b32_e32 v132, v130, v131
	v_fma_mixlo_f16 v130, v129, v130, 0 op_sel:[0,1,0] op_sel_hi:[0,1,0]
	v_or_b32_e32 v133, v144, v135
	v_or_b32_e32 v134, v11, v134
	v_fma_mixlo_f16 v135, v129, v0, 0 op_sel_hi:[0,1,0]
	v_fma_mixlo_f16 v11, v129, v11, 0 op_sel:[0,1,0] op_sel_hi:[0,1,0]
	v_lshlrev_b32_e32 v131, 16, v130
	v_fma_mixlo_f16 v130, v129, v132, 0 op_sel_hi:[0,1,0]
	v_fma_mixlo_f16 v132, v129, v144, 0 op_sel:[0,1,0] op_sel_hi:[0,1,0]
	v_fma_mixlo_f16 v133, v129, v133, 0 op_sel_hi:[0,1,0]
	v_fma_mixlo_f16 v134, v129, v134, 0 op_sel_hi:[0,1,0]
	v_lshlrev_b32_e32 v0, 16, v12
	v_and_b32_e32 v12, 0xffff, v135
	v_and_b32_e32 v145, 0xffff, v130
	v_lshlrev_b32_e32 v129, 16, v132
	v_and_b32_e32 v133, 0xffff, v133
	v_lshlrev_b32_e32 v11, 16, v11
	v_and_b32_e32 v130, 0xffff, v134
	v_or_b32_e32 v132, v0, v12
	v_or_b32_e32 v144, v131, v145
	v_or_b32_e32 v135, v129, v133
	s_delay_alu instid0(VALU_DEP_4)
	v_or_b32_e32 v134, v11, v130
	s_and_saveexec_b32 s14, vcc_lo
	s_cbranch_execz .LBB270_1727
; %bb.1726:                             ;   in Loop: Header=BB270_1066 Depth=1
	v_cmp_lt_i32_e64 s1, v16, v34
	s_wait_alu 0xf1ff
	s_delay_alu instid0(VALU_DEP_1) | instskip(SKIP_2) | instid1(VALU_DEP_1)
	v_cndmask_b32_e64 v132, 0, v145, s1
	v_cmp_lt_i32_e64 s1, v96, v34
	s_wait_alu 0xf1ff
	v_cndmask_b32_e64 v131, 0, v131, s1
	v_cmp_lt_i32_e64 s1, v87, v34
	s_delay_alu instid0(VALU_DEP_2) | instskip(SKIP_1) | instid1(VALU_DEP_2)
	v_or_b32_e32 v144, v132, v131
	s_wait_alu 0xf1ff
	v_cndmask_b32_e64 v12, 0, v12, s1
	v_cmp_lt_i32_e64 s1, v86, v34
	s_wait_alu 0xf1ff
	s_delay_alu instid0(VALU_DEP_1) | instskip(SKIP_1) | instid1(VALU_DEP_2)
	v_cndmask_b32_e64 v0, 0, v0, s1
	v_cmp_lt_i32_e64 s1, v85, v34
	v_or_b32_e32 v132, v12, v0
	s_wait_alu 0xf1ff
	s_delay_alu instid0(VALU_DEP_2) | instskip(SKIP_2) | instid1(VALU_DEP_1)
	v_cndmask_b32_e64 v133, 0, v133, s1
	v_cmp_lt_i32_e64 s1, v84, v34
	s_wait_alu 0xf1ff
	v_cndmask_b32_e64 v129, 0, v129, s1
	v_cmp_lt_i32_e64 s1, v83, v34
	s_delay_alu instid0(VALU_DEP_2) | instskip(SKIP_1) | instid1(VALU_DEP_2)
	v_or_b32_e32 v135, v133, v129
	s_wait_alu 0xf1ff
	v_cndmask_b32_e64 v130, 0, v130, s1
	v_cmp_lt_i32_e64 s1, v82, v34
	s_wait_alu 0xf1ff
	s_delay_alu instid0(VALU_DEP_1) | instskip(NEXT) | instid1(VALU_DEP_1)
	v_cndmask_b32_e64 v11, 0, v11, s1
	v_or_b32_e32 v134, v130, v11
.LBB270_1727:                           ;   in Loop: Header=BB270_1066 Depth=1
	s_wait_alu 0xfffe
	s_or_b32 exec_lo, exec_lo, s14
	;;#ASMSTART
	v_pk_mul_f16 v0, v81, v144;

	;;#ASMEND
	;;#ASMSTART
	v_pk_mul_f16 v11, v80, v132;

	;;#ASMEND
	;; [unrolled: 4-line block ×4, first 2 shown]
	;;#ASMSTART
	v_pk_add_f16 v0, v0, v11;

	;;#ASMEND
	;;#ASMSTART
	v_pk_add_f16 v0, v0, v12;

	;;#ASMEND
	;;#ASMSTART
	v_pk_add_f16 v0, v0, v129;

	;;#ASMEND
	v_dual_mov_b32 v132, 0 :: v_dual_and_b32 v11, 0xffff, v0
	v_lshrrev_b32_e32 v0, 16, v0
	;;#ASMSTART
	v_cvt_f32_f16 v129, v11;
	;;#ASMEND
	;;#ASMSTART
	v_cvt_f32_f16 v130, v0;
	;;#ASMEND
	flat_load_b64 v[11:12], v[9:10] offset:2560
	flat_load_b32 v131, v[26:27]
	s_mov_b32 s14, exec_lo
	s_wait_loadcnt_dscnt 0x101
	v_dual_mov_b32 v133, 0 :: v_dual_and_b32 v0, 0xff, v11
	s_delay_alu instid0(VALU_DEP_1)
	v_cmpx_ne_u16_e32 0, v0
	s_cbranch_execz .LBB270_1735
; %bb.1728:                             ;   in Loop: Header=BB270_1066 Depth=1
	v_mov_b32_e32 v133, 0x8000
	s_mov_b32 s15, exec_lo
	v_cmpx_ne_u16_e32 0x80, v0
	s_cbranch_execz .LBB270_1734
; %bb.1729:                             ;   in Loop: Header=BB270_1066 Depth=1
	v_and_b32_e32 v134, 0x7f, v11
	v_mov_b32_e32 v133, 0x7c01
	s_mov_b32 s16, exec_lo
	s_delay_alu instid0(VALU_DEP_2)
	v_cmpx_ne_u32_e32 0x7f, v134
	s_cbranch_execz .LBB270_1733
; %bb.1730:                             ;   in Loop: Header=BB270_1066 Depth=1
	v_and_b32_e32 v0, 7, v11
	v_lshrrev_b32_e32 v133, 3, v134
	s_mov_b32 s17, exec_lo
	v_cmpx_gt_u32_e32 8, v134
; %bb.1731:                             ;   in Loop: Header=BB270_1066 Depth=1
	s_delay_alu instid0(VALU_DEP_3) | instskip(NEXT) | instid1(VALU_DEP_1)
	v_clz_i32_u32_e32 v0, v0
	v_min_u32_e32 v0, 32, v0
	s_delay_alu instid0(VALU_DEP_1) | instskip(NEXT) | instid1(VALU_DEP_1)
	v_subrev_nc_u32_e32 v133, 28, v0
	v_lshlrev_b64_e32 v[134:135], v133, v[11:12]
	v_sub_nc_u32_e32 v133, 29, v0
	s_delay_alu instid0(VALU_DEP_2)
	v_and_b32_e32 v0, 7, v134
; %bb.1732:                             ;   in Loop: Header=BB270_1066 Depth=1
	s_wait_alu 0xfffe
	s_or_b32 exec_lo, exec_lo, s17
	v_lshlrev_b32_e32 v134, 8, v11
	v_lshl_add_u32 v133, v133, 10, 0x2000
	v_lshlrev_b32_e32 v0, 7, v0
	s_delay_alu instid0(VALU_DEP_3) | instskip(NEXT) | instid1(VALU_DEP_3)
	v_and_b32_e32 v134, 0x8000, v134
	v_and_b32_e32 v133, 0xfc00, v133
	s_delay_alu instid0(VALU_DEP_1)
	v_or3_b32 v133, v134, v133, v0
.LBB270_1733:                           ;   in Loop: Header=BB270_1066 Depth=1
	s_wait_alu 0xfffe
	s_or_b32 exec_lo, exec_lo, s16
.LBB270_1734:                           ;   in Loop: Header=BB270_1066 Depth=1
	s_wait_alu 0xfffe
	s_or_b32 exec_lo, exec_lo, s15
.LBB270_1735:                           ;   in Loop: Header=BB270_1066 Depth=1
	s_wait_alu 0xfffe
	s_or_b32 exec_lo, exec_lo, s14
	v_lshrrev_b16 v0, 8, v11
	s_mov_b32 s14, exec_lo
	s_delay_alu instid0(VALU_DEP_1)
	v_cmpx_ne_u16_e32 0, v0
	s_cbranch_execz .LBB270_1743
; %bb.1736:                             ;   in Loop: Header=BB270_1066 Depth=1
	v_bfrev_b32_e32 v132, 1
	s_mov_b32 s15, exec_lo
	v_cmpx_ne_u16_e32 0x80, v0
	s_cbranch_execz .LBB270_1742
; %bb.1737:                             ;   in Loop: Header=BB270_1066 Depth=1
	v_and_b32_e32 v134, 0xffff, v0
	v_mov_b32_e32 v132, 0x7c010000
	s_mov_b32 s16, exec_lo
	s_delay_alu instid0(VALU_DEP_2) | instskip(NEXT) | instid1(VALU_DEP_1)
	v_and_b32_e32 v144, 0x7f, v134
	v_cmpx_ne_u32_e32 0x7f, v144
	s_cbranch_execz .LBB270_1741
; %bb.1738:                             ;   in Loop: Header=BB270_1066 Depth=1
	v_and_b32_e32 v132, 7, v134
	v_lshrrev_b32_e32 v135, 3, v144
	s_mov_b32 s17, exec_lo
	v_cmpx_gt_u32_e32 8, v144
; %bb.1739:                             ;   in Loop: Header=BB270_1066 Depth=1
	s_delay_alu instid0(VALU_DEP_3) | instskip(NEXT) | instid1(VALU_DEP_1)
	v_clz_i32_u32_e32 v132, v132
	v_min_u32_e32 v132, 32, v132
	s_delay_alu instid0(VALU_DEP_1) | instskip(NEXT) | instid1(VALU_DEP_1)
	v_subrev_nc_u32_e32 v135, 28, v132
	v_lshlrev_b64_e32 v[144:145], v135, v[0:1]
	v_sub_nc_u32_e32 v135, 29, v132
	s_delay_alu instid0(VALU_DEP_2)
	v_and_b32_e32 v132, 7, v144
; %bb.1740:                             ;   in Loop: Header=BB270_1066 Depth=1
	s_wait_alu 0xfffe
	s_or_b32 exec_lo, exec_lo, s17
	v_lshlrev_b32_e32 v0, 8, v134
	v_lshl_add_u32 v134, v135, 10, 0x2000
	v_lshlrev_b32_e32 v132, 23, v132
	s_delay_alu instid0(VALU_DEP_2) | instskip(NEXT) | instid1(VALU_DEP_1)
	v_and_or_b32 v0, 0x8000, v0, v134
	v_lshl_or_b32 v132, v0, 16, v132
.LBB270_1741:                           ;   in Loop: Header=BB270_1066 Depth=1
	s_wait_alu 0xfffe
	s_or_b32 exec_lo, exec_lo, s16
.LBB270_1742:                           ;   in Loop: Header=BB270_1066 Depth=1
	s_wait_alu 0xfffe
	s_or_b32 exec_lo, exec_lo, s15
.LBB270_1743:                           ;   in Loop: Header=BB270_1066 Depth=1
	s_wait_alu 0xfffe
	s_or_b32 exec_lo, exec_lo, s14
	v_lshrrev_b32_e32 v0, 16, v11
	v_mov_b32_e32 v134, 0
	s_mov_b32 s14, exec_lo
	s_delay_alu instid0(VALU_DEP_2) | instskip(NEXT) | instid1(VALU_DEP_1)
	v_dual_mov_b32 v135, 0 :: v_dual_and_b32 v144, 0xff, v0
	v_cmpx_ne_u16_e64 0, v144
	s_cbranch_execz .LBB270_1751
; %bb.1744:                             ;   in Loop: Header=BB270_1066 Depth=1
	v_mov_b32_e32 v135, 0x8000
	s_mov_b32 s15, exec_lo
	v_cmpx_ne_u16_e64 0x80, v144
	s_cbranch_execz .LBB270_1750
; %bb.1745:                             ;   in Loop: Header=BB270_1066 Depth=1
	v_bfe_u32 v145, v11, 16, 7
	v_mov_b32_e32 v135, 0x7c01
	s_mov_b32 s16, exec_lo
	s_delay_alu instid0(VALU_DEP_2)
	v_cmpx_ne_u32_e32 0x7f, v145
	s_cbranch_execz .LBB270_1749
; %bb.1746:                             ;   in Loop: Header=BB270_1066 Depth=1
	v_and_b32_e32 v135, 7, v0
	v_lshrrev_b32_e32 v144, 3, v145
	s_mov_b32 s17, exec_lo
	v_cmpx_gt_u32_e32 8, v145
; %bb.1747:                             ;   in Loop: Header=BB270_1066 Depth=1
	s_delay_alu instid0(VALU_DEP_3) | instskip(NEXT) | instid1(VALU_DEP_1)
	v_clz_i32_u32_e32 v135, v135
	v_min_u32_e32 v135, 32, v135
	s_delay_alu instid0(VALU_DEP_1) | instskip(NEXT) | instid1(VALU_DEP_1)
	v_subrev_nc_u32_e32 v144, 28, v135
	v_lshlrev_b64_e32 v[145:146], v144, v[0:1]
	v_sub_nc_u32_e32 v144, 29, v135
	s_delay_alu instid0(VALU_DEP_2)
	v_and_b32_e32 v135, 7, v145
; %bb.1748:                             ;   in Loop: Header=BB270_1066 Depth=1
	s_wait_alu 0xfffe
	s_or_b32 exec_lo, exec_lo, s17
	v_lshlrev_b32_e32 v0, 8, v0
	v_lshl_add_u32 v144, v144, 10, 0x2000
	v_lshlrev_b32_e32 v135, 7, v135
	s_delay_alu instid0(VALU_DEP_3) | instskip(NEXT) | instid1(VALU_DEP_3)
	v_and_b32_e32 v0, 0x8000, v0
	v_and_b32_e32 v144, 0xfc00, v144
	s_delay_alu instid0(VALU_DEP_1)
	v_or3_b32 v135, v0, v144, v135
.LBB270_1749:                           ;   in Loop: Header=BB270_1066 Depth=1
	s_wait_alu 0xfffe
	s_or_b32 exec_lo, exec_lo, s16
.LBB270_1750:                           ;   in Loop: Header=BB270_1066 Depth=1
	s_wait_alu 0xfffe
	s_or_b32 exec_lo, exec_lo, s15
.LBB270_1751:                           ;   in Loop: Header=BB270_1066 Depth=1
	s_wait_alu 0xfffe
	s_or_b32 exec_lo, exec_lo, s14
	s_delay_alu instid0(SALU_CYCLE_1)
	s_mov_b32 s14, exec_lo
	v_cmpx_lt_u32_e32 0xffffff, v11
	s_cbranch_execz .LBB270_1759
; %bb.1752:                             ;   in Loop: Header=BB270_1066 Depth=1
	v_lshrrev_b32_e32 v0, 24, v11
	v_bfrev_b32_e32 v134, 1
	s_mov_b32 s15, exec_lo
	s_delay_alu instid0(VALU_DEP_2)
	v_cmpx_ne_u32_e32 0x80, v0
	s_cbranch_execz .LBB270_1758
; %bb.1753:                             ;   in Loop: Header=BB270_1066 Depth=1
	v_and_b32_e32 v145, 0x7f, v0
	v_mov_b32_e32 v134, 0x7c010000
	s_mov_b32 s16, exec_lo
	s_delay_alu instid0(VALU_DEP_2)
	v_cmpx_ne_u32_e32 0x7f, v145
	s_cbranch_execz .LBB270_1757
; %bb.1754:                             ;   in Loop: Header=BB270_1066 Depth=1
	v_and_b32_e32 v134, 7, v0
	v_lshrrev_b32_e32 v144, 3, v145
	s_mov_b32 s17, exec_lo
	v_cmpx_gt_u32_e32 8, v145
; %bb.1755:                             ;   in Loop: Header=BB270_1066 Depth=1
	s_delay_alu instid0(VALU_DEP_3) | instskip(NEXT) | instid1(VALU_DEP_1)
	v_clz_i32_u32_e32 v134, v134
	v_min_u32_e32 v134, 32, v134
	s_delay_alu instid0(VALU_DEP_1) | instskip(NEXT) | instid1(VALU_DEP_1)
	v_subrev_nc_u32_e32 v144, 28, v134
	v_lshlrev_b64_e32 v[145:146], v144, v[0:1]
	v_sub_nc_u32_e32 v144, 29, v134
	s_delay_alu instid0(VALU_DEP_2)
	v_and_b32_e32 v134, 7, v145
; %bb.1756:                             ;   in Loop: Header=BB270_1066 Depth=1
	s_wait_alu 0xfffe
	s_or_b32 exec_lo, exec_lo, s17
	v_lshlrev_b32_e32 v0, 8, v0
	v_lshl_add_u32 v144, v144, 10, 0x2000
	v_lshlrev_b32_e32 v134, 23, v134
	s_delay_alu instid0(VALU_DEP_2) | instskip(NEXT) | instid1(VALU_DEP_1)
	v_and_or_b32 v0, 0x8000, v0, v144
	v_lshl_or_b32 v134, v0, 16, v134
.LBB270_1757:                           ;   in Loop: Header=BB270_1066 Depth=1
	s_wait_alu 0xfffe
	s_or_b32 exec_lo, exec_lo, s16
.LBB270_1758:                           ;   in Loop: Header=BB270_1066 Depth=1
	s_wait_alu 0xfffe
	s_or_b32 exec_lo, exec_lo, s15
.LBB270_1759:                           ;   in Loop: Header=BB270_1066 Depth=1
	s_wait_alu 0xfffe
	s_or_b32 exec_lo, exec_lo, s14
	v_dual_mov_b32 v145, 0 :: v_dual_and_b32 v146, 0xff, v12
	v_mov_b32_e32 v0, v12
	v_mov_b32_e32 v144, 0
	s_mov_b32 s14, exec_lo
	s_delay_alu instid0(VALU_DEP_3)
	v_cmpx_ne_u16_e64 0, v146
	s_cbranch_execz .LBB270_1767
; %bb.1760:                             ;   in Loop: Header=BB270_1066 Depth=1
	v_mov_b32_e32 v145, 0x8000
	s_mov_b32 s15, exec_lo
	v_cmpx_ne_u16_e64 0x80, v146
	s_cbranch_execz .LBB270_1766
; %bb.1761:                             ;   in Loop: Header=BB270_1066 Depth=1
	v_and_b32_e32 v147, 0x7f, v12
	v_mov_b32_e32 v145, 0x7c01
	s_mov_b32 s16, exec_lo
	s_delay_alu instid0(VALU_DEP_2)
	v_cmpx_ne_u32_e32 0x7f, v147
	s_cbranch_execz .LBB270_1765
; %bb.1762:                             ;   in Loop: Header=BB270_1066 Depth=1
	v_and_b32_e32 v145, 7, v12
	v_lshrrev_b32_e32 v146, 3, v147
	s_mov_b32 s17, exec_lo
	v_cmpx_gt_u32_e32 8, v147
; %bb.1763:                             ;   in Loop: Header=BB270_1066 Depth=1
	s_delay_alu instid0(VALU_DEP_3) | instskip(NEXT) | instid1(VALU_DEP_1)
	v_clz_i32_u32_e32 v145, v145
	v_min_u32_e32 v147, 32, v145
	s_delay_alu instid0(VALU_DEP_1) | instskip(NEXT) | instid1(VALU_DEP_1)
	v_subrev_nc_u32_e32 v145, 28, v147
	v_lshlrev_b64_e32 v[145:146], v145, v[0:1]
	v_sub_nc_u32_e32 v146, 29, v147
	s_delay_alu instid0(VALU_DEP_2)
	v_and_b32_e32 v145, 7, v145
; %bb.1764:                             ;   in Loop: Header=BB270_1066 Depth=1
	s_wait_alu 0xfffe
	s_or_b32 exec_lo, exec_lo, s17
	v_lshlrev_b32_e32 v147, 8, v12
	v_lshl_add_u32 v146, v146, 10, 0x2000
	v_lshlrev_b32_e32 v145, 7, v145
	s_delay_alu instid0(VALU_DEP_3) | instskip(NEXT) | instid1(VALU_DEP_3)
	v_and_b32_e32 v147, 0x8000, v147
	v_and_b32_e32 v146, 0xfc00, v146
	s_delay_alu instid0(VALU_DEP_1)
	v_or3_b32 v145, v147, v146, v145
.LBB270_1765:                           ;   in Loop: Header=BB270_1066 Depth=1
	s_wait_alu 0xfffe
	s_or_b32 exec_lo, exec_lo, s16
.LBB270_1766:                           ;   in Loop: Header=BB270_1066 Depth=1
	s_wait_alu 0xfffe
	s_or_b32 exec_lo, exec_lo, s15
.LBB270_1767:                           ;   in Loop: Header=BB270_1066 Depth=1
	s_wait_alu 0xfffe
	s_or_b32 exec_lo, exec_lo, s14
	v_lshrrev_b16 v0, 8, v0
	v_mov_b32_e32 v146, 0
	s_mov_b32 s14, exec_lo
	s_delay_alu instid0(VALU_DEP_2)
	v_cmpx_ne_u16_e32 0, v0
	s_cbranch_execz .LBB270_1775
; %bb.1768:                             ;   in Loop: Header=BB270_1066 Depth=1
	v_bfrev_b32_e32 v146, 1
	s_mov_b32 s15, exec_lo
	v_cmpx_ne_u16_e32 0x80, v0
	s_cbranch_execz .LBB270_1774
; %bb.1769:                             ;   in Loop: Header=BB270_1066 Depth=1
	v_and_b32_e32 v147, 0xffff, v0
	v_mov_b32_e32 v146, 0x7c010000
	s_mov_b32 s16, exec_lo
	s_delay_alu instid0(VALU_DEP_2) | instskip(NEXT) | instid1(VALU_DEP_1)
	v_and_b32_e32 v149, 0x7f, v147
	v_cmpx_ne_u32_e32 0x7f, v149
	s_cbranch_execz .LBB270_1773
; %bb.1770:                             ;   in Loop: Header=BB270_1066 Depth=1
	v_and_b32_e32 v146, 7, v147
	v_lshrrev_b32_e32 v148, 3, v149
	s_mov_b32 s17, exec_lo
	v_cmpx_gt_u32_e32 8, v149
; %bb.1771:                             ;   in Loop: Header=BB270_1066 Depth=1
	s_delay_alu instid0(VALU_DEP_3) | instskip(NEXT) | instid1(VALU_DEP_1)
	v_clz_i32_u32_e32 v146, v146
	v_min_u32_e32 v146, 32, v146
	s_delay_alu instid0(VALU_DEP_1) | instskip(NEXT) | instid1(VALU_DEP_1)
	v_subrev_nc_u32_e32 v148, 28, v146
	v_lshlrev_b64_e32 v[149:150], v148, v[0:1]
	v_sub_nc_u32_e32 v148, 29, v146
	s_delay_alu instid0(VALU_DEP_2)
	v_and_b32_e32 v146, 7, v149
; %bb.1772:                             ;   in Loop: Header=BB270_1066 Depth=1
	s_wait_alu 0xfffe
	s_or_b32 exec_lo, exec_lo, s17
	v_lshlrev_b32_e32 v0, 8, v147
	v_lshl_add_u32 v147, v148, 10, 0x2000
	v_lshlrev_b32_e32 v146, 23, v146
	s_delay_alu instid0(VALU_DEP_2) | instskip(NEXT) | instid1(VALU_DEP_1)
	v_and_or_b32 v0, 0x8000, v0, v147
	v_lshl_or_b32 v146, v0, 16, v146
.LBB270_1773:                           ;   in Loop: Header=BB270_1066 Depth=1
	s_wait_alu 0xfffe
	s_or_b32 exec_lo, exec_lo, s16
.LBB270_1774:                           ;   in Loop: Header=BB270_1066 Depth=1
	s_wait_alu 0xfffe
	s_or_b32 exec_lo, exec_lo, s15
.LBB270_1775:                           ;   in Loop: Header=BB270_1066 Depth=1
	s_wait_alu 0xfffe
	s_or_b32 exec_lo, exec_lo, s14
	v_lshrrev_b32_e32 v0, 16, v12
	s_mov_b32 s14, exec_lo
	s_delay_alu instid0(VALU_DEP_1) | instskip(NEXT) | instid1(VALU_DEP_1)
	v_and_b32_e32 v147, 0xff, v0
	v_cmpx_ne_u16_e64 0, v147
	s_cbranch_execz .LBB270_1783
; %bb.1776:                             ;   in Loop: Header=BB270_1066 Depth=1
	v_mov_b32_e32 v144, 0x8000
	s_mov_b32 s15, exec_lo
	v_cmpx_ne_u16_e64 0x80, v147
	s_cbranch_execz .LBB270_1782
; %bb.1777:                             ;   in Loop: Header=BB270_1066 Depth=1
	v_bfe_u32 v148, v12, 16, 7
	v_mov_b32_e32 v144, 0x7c01
	s_mov_b32 s16, exec_lo
	s_delay_alu instid0(VALU_DEP_2)
	v_cmpx_ne_u32_e32 0x7f, v148
	s_cbranch_execz .LBB270_1781
; %bb.1778:                             ;   in Loop: Header=BB270_1066 Depth=1
	v_and_b32_e32 v144, 7, v0
	v_lshrrev_b32_e32 v147, 3, v148
	s_mov_b32 s17, exec_lo
	v_cmpx_gt_u32_e32 8, v148
; %bb.1779:                             ;   in Loop: Header=BB270_1066 Depth=1
	s_delay_alu instid0(VALU_DEP_3) | instskip(NEXT) | instid1(VALU_DEP_1)
	v_clz_i32_u32_e32 v144, v144
	v_min_u32_e32 v144, 32, v144
	s_delay_alu instid0(VALU_DEP_1) | instskip(NEXT) | instid1(VALU_DEP_1)
	v_subrev_nc_u32_e32 v147, 28, v144
	v_lshlrev_b64_e32 v[148:149], v147, v[0:1]
	v_sub_nc_u32_e32 v147, 29, v144
	s_delay_alu instid0(VALU_DEP_2)
	v_and_b32_e32 v144, 7, v148
; %bb.1780:                             ;   in Loop: Header=BB270_1066 Depth=1
	s_wait_alu 0xfffe
	s_or_b32 exec_lo, exec_lo, s17
	v_lshlrev_b32_e32 v0, 8, v0
	v_lshl_add_u32 v147, v147, 10, 0x2000
	v_lshlrev_b32_e32 v144, 7, v144
	s_delay_alu instid0(VALU_DEP_3) | instskip(NEXT) | instid1(VALU_DEP_3)
	v_and_b32_e32 v0, 0x8000, v0
	v_and_b32_e32 v147, 0xfc00, v147
	s_delay_alu instid0(VALU_DEP_1)
	v_or3_b32 v144, v0, v147, v144
.LBB270_1781:                           ;   in Loop: Header=BB270_1066 Depth=1
	s_wait_alu 0xfffe
	s_or_b32 exec_lo, exec_lo, s16
.LBB270_1782:                           ;   in Loop: Header=BB270_1066 Depth=1
	s_wait_alu 0xfffe
	s_or_b32 exec_lo, exec_lo, s15
.LBB270_1783:                           ;   in Loop: Header=BB270_1066 Depth=1
	s_wait_alu 0xfffe
	s_or_b32 exec_lo, exec_lo, s14
	v_cmp_lt_u64_e64 s1, s[8:9], v[11:12]
	v_mov_b32_e32 v11, 0
	s_and_saveexec_b32 s14, s1
	s_cbranch_execz .LBB270_1791
; %bb.1784:                             ;   in Loop: Header=BB270_1066 Depth=1
	v_lshrrev_b32_e32 v0, 24, v12
	v_bfrev_b32_e32 v11, 1
	s_mov_b32 s15, exec_lo
	s_delay_alu instid0(VALU_DEP_2)
	v_cmpx_ne_u32_e32 0x80, v0
	s_cbranch_execz .LBB270_1790
; %bb.1785:                             ;   in Loop: Header=BB270_1066 Depth=1
	v_and_b32_e32 v147, 0x7f, v0
	v_mov_b32_e32 v11, 0x7c010000
	s_mov_b32 s16, exec_lo
	s_delay_alu instid0(VALU_DEP_2)
	v_cmpx_ne_u32_e32 0x7f, v147
	s_cbranch_execz .LBB270_1789
; %bb.1786:                             ;   in Loop: Header=BB270_1066 Depth=1
	v_and_b32_e32 v11, 7, v0
	v_lshrrev_b32_e32 v12, 3, v147
	s_mov_b32 s17, exec_lo
	v_cmpx_gt_u32_e32 8, v147
; %bb.1787:                             ;   in Loop: Header=BB270_1066 Depth=1
	s_delay_alu instid0(VALU_DEP_3) | instskip(NEXT) | instid1(VALU_DEP_1)
	v_clz_i32_u32_e32 v11, v11
	v_min_u32_e32 v147, 32, v11
	s_delay_alu instid0(VALU_DEP_1) | instskip(NEXT) | instid1(VALU_DEP_1)
	v_subrev_nc_u32_e32 v11, 28, v147
	v_lshlrev_b64_e32 v[11:12], v11, v[0:1]
	v_sub_nc_u32_e32 v12, 29, v147
	s_delay_alu instid0(VALU_DEP_2)
	v_and_b32_e32 v11, 7, v11
; %bb.1788:                             ;   in Loop: Header=BB270_1066 Depth=1
	s_wait_alu 0xfffe
	s_or_b32 exec_lo, exec_lo, s17
	v_lshlrev_b32_e32 v0, 8, v0
	v_lshl_add_u32 v12, v12, 10, 0x2000
	v_lshlrev_b32_e32 v11, 23, v11
	s_delay_alu instid0(VALU_DEP_2) | instskip(NEXT) | instid1(VALU_DEP_1)
	v_and_or_b32 v0, 0x8000, v0, v12
	v_lshl_or_b32 v11, v0, 16, v11
.LBB270_1789:                           ;   in Loop: Header=BB270_1066 Depth=1
	s_wait_alu 0xfffe
	s_or_b32 exec_lo, exec_lo, s16
.LBB270_1790:                           ;   in Loop: Header=BB270_1066 Depth=1
	s_wait_alu 0xfffe
	s_or_b32 exec_lo, exec_lo, s15
.LBB270_1791:                           ;   in Loop: Header=BB270_1066 Depth=1
	s_wait_alu 0xfffe
	s_or_b32 exec_lo, exec_lo, s14
	v_or_b32_e32 v0, v134, v135
	s_wait_loadcnt_dscnt 0x0
	v_fma_mixlo_f16 v12, v131, v134, 0 op_sel:[0,1,0] op_sel_hi:[0,1,0]
	v_or_b32_e32 v134, v132, v133
	v_fma_mixlo_f16 v132, v131, v132, 0 op_sel:[0,1,0] op_sel_hi:[0,1,0]
	v_or_b32_e32 v135, v146, v145
	v_or_b32_e32 v144, v11, v144
	v_fma_mixlo_f16 v145, v131, v0, 0 op_sel_hi:[0,1,0]
	v_fma_mixlo_f16 v11, v131, v11, 0 op_sel:[0,1,0] op_sel_hi:[0,1,0]
	v_lshlrev_b32_e32 v133, 16, v132
	v_fma_mixlo_f16 v132, v131, v134, 0 op_sel_hi:[0,1,0]
	v_fma_mixlo_f16 v134, v131, v146, 0 op_sel:[0,1,0] op_sel_hi:[0,1,0]
	v_fma_mixlo_f16 v135, v131, v135, 0 op_sel_hi:[0,1,0]
	v_fma_mixlo_f16 v144, v131, v144, 0 op_sel_hi:[0,1,0]
	v_lshlrev_b32_e32 v0, 16, v12
	v_and_b32_e32 v12, 0xffff, v145
	v_and_b32_e32 v147, 0xffff, v132
	v_lshlrev_b32_e32 v131, 16, v134
	v_and_b32_e32 v135, 0xffff, v135
	v_lshlrev_b32_e32 v11, 16, v11
	v_and_b32_e32 v132, 0xffff, v144
	v_or_b32_e32 v134, v0, v12
	v_or_b32_e32 v146, v133, v147
	;; [unrolled: 1-line block ×3, first 2 shown]
	s_delay_alu instid0(VALU_DEP_4)
	v_or_b32_e32 v144, v11, v132
	s_and_saveexec_b32 s14, vcc_lo
	s_cbranch_execz .LBB270_1793
; %bb.1792:                             ;   in Loop: Header=BB270_1066 Depth=1
	v_cmp_lt_i32_e64 s1, v16, v34
	s_wait_alu 0xf1ff
	s_delay_alu instid0(VALU_DEP_1) | instskip(SKIP_2) | instid1(VALU_DEP_1)
	v_cndmask_b32_e64 v134, 0, v147, s1
	v_cmp_lt_i32_e64 s1, v96, v34
	s_wait_alu 0xf1ff
	v_cndmask_b32_e64 v133, 0, v133, s1
	v_cmp_lt_i32_e64 s1, v87, v34
	s_delay_alu instid0(VALU_DEP_2) | instskip(SKIP_1) | instid1(VALU_DEP_2)
	v_or_b32_e32 v146, v134, v133
	s_wait_alu 0xf1ff
	v_cndmask_b32_e64 v12, 0, v12, s1
	v_cmp_lt_i32_e64 s1, v86, v34
	s_wait_alu 0xf1ff
	s_delay_alu instid0(VALU_DEP_1) | instskip(SKIP_1) | instid1(VALU_DEP_2)
	v_cndmask_b32_e64 v0, 0, v0, s1
	v_cmp_lt_i32_e64 s1, v85, v34
	v_or_b32_e32 v134, v12, v0
	s_wait_alu 0xf1ff
	s_delay_alu instid0(VALU_DEP_2) | instskip(SKIP_2) | instid1(VALU_DEP_1)
	v_cndmask_b32_e64 v135, 0, v135, s1
	v_cmp_lt_i32_e64 s1, v84, v34
	s_wait_alu 0xf1ff
	v_cndmask_b32_e64 v131, 0, v131, s1
	v_cmp_lt_i32_e64 s1, v83, v34
	s_delay_alu instid0(VALU_DEP_2) | instskip(SKIP_1) | instid1(VALU_DEP_2)
	v_or_b32_e32 v145, v135, v131
	s_wait_alu 0xf1ff
	v_cndmask_b32_e64 v132, 0, v132, s1
	v_cmp_lt_i32_e64 s1, v82, v34
	s_wait_alu 0xf1ff
	s_delay_alu instid0(VALU_DEP_1) | instskip(NEXT) | instid1(VALU_DEP_1)
	v_cndmask_b32_e64 v11, 0, v11, s1
	v_or_b32_e32 v144, v132, v11
.LBB270_1793:                           ;   in Loop: Header=BB270_1066 Depth=1
	s_wait_alu 0xfffe
	s_or_b32 exec_lo, exec_lo, s14
	;;#ASMSTART
	v_pk_mul_f16 v0, v81, v146;

	;;#ASMEND
	;;#ASMSTART
	v_pk_mul_f16 v11, v80, v134;

	;;#ASMEND
	;; [unrolled: 4-line block ×4, first 2 shown]
	;;#ASMSTART
	v_pk_add_f16 v0, v0, v11;

	;;#ASMEND
	;;#ASMSTART
	v_pk_add_f16 v0, v0, v12;

	;;#ASMEND
	;;#ASMSTART
	v_pk_add_f16 v0, v0, v131;

	;;#ASMEND
	v_dual_mov_b32 v134, 0 :: v_dual_and_b32 v11, 0xffff, v0
	v_lshrrev_b32_e32 v0, 16, v0
	;;#ASMSTART
	v_cvt_f32_f16 v131, v11;
	;;#ASMEND
	;;#ASMSTART
	v_cvt_f32_f16 v132, v0;
	;;#ASMEND
	flat_load_b64 v[11:12], v[9:10] offset:2816
	flat_load_b32 v133, v[26:27]
	s_mov_b32 s14, exec_lo
	s_wait_loadcnt_dscnt 0x101
	v_dual_mov_b32 v135, 0 :: v_dual_and_b32 v0, 0xff, v11
	s_delay_alu instid0(VALU_DEP_1)
	v_cmpx_ne_u16_e32 0, v0
	s_cbranch_execz .LBB270_1801
; %bb.1794:                             ;   in Loop: Header=BB270_1066 Depth=1
	v_mov_b32_e32 v135, 0x8000
	s_mov_b32 s15, exec_lo
	v_cmpx_ne_u16_e32 0x80, v0
	s_cbranch_execz .LBB270_1800
; %bb.1795:                             ;   in Loop: Header=BB270_1066 Depth=1
	v_and_b32_e32 v144, 0x7f, v11
	v_mov_b32_e32 v135, 0x7c01
	s_mov_b32 s16, exec_lo
	s_delay_alu instid0(VALU_DEP_2)
	v_cmpx_ne_u32_e32 0x7f, v144
	s_cbranch_execz .LBB270_1799
; %bb.1796:                             ;   in Loop: Header=BB270_1066 Depth=1
	v_and_b32_e32 v0, 7, v11
	v_lshrrev_b32_e32 v135, 3, v144
	s_mov_b32 s17, exec_lo
	v_cmpx_gt_u32_e32 8, v144
; %bb.1797:                             ;   in Loop: Header=BB270_1066 Depth=1
	s_delay_alu instid0(VALU_DEP_3) | instskip(NEXT) | instid1(VALU_DEP_1)
	v_clz_i32_u32_e32 v0, v0
	v_min_u32_e32 v0, 32, v0
	s_delay_alu instid0(VALU_DEP_1) | instskip(NEXT) | instid1(VALU_DEP_1)
	v_subrev_nc_u32_e32 v135, 28, v0
	v_lshlrev_b64_e32 v[144:145], v135, v[11:12]
	v_sub_nc_u32_e32 v135, 29, v0
	s_delay_alu instid0(VALU_DEP_2)
	v_and_b32_e32 v0, 7, v144
; %bb.1798:                             ;   in Loop: Header=BB270_1066 Depth=1
	s_wait_alu 0xfffe
	s_or_b32 exec_lo, exec_lo, s17
	v_lshlrev_b32_e32 v144, 8, v11
	v_lshl_add_u32 v135, v135, 10, 0x2000
	v_lshlrev_b32_e32 v0, 7, v0
	s_delay_alu instid0(VALU_DEP_3) | instskip(NEXT) | instid1(VALU_DEP_3)
	v_and_b32_e32 v144, 0x8000, v144
	v_and_b32_e32 v135, 0xfc00, v135
	s_delay_alu instid0(VALU_DEP_1)
	v_or3_b32 v135, v144, v135, v0
.LBB270_1799:                           ;   in Loop: Header=BB270_1066 Depth=1
	s_wait_alu 0xfffe
	s_or_b32 exec_lo, exec_lo, s16
.LBB270_1800:                           ;   in Loop: Header=BB270_1066 Depth=1
	s_wait_alu 0xfffe
	s_or_b32 exec_lo, exec_lo, s15
.LBB270_1801:                           ;   in Loop: Header=BB270_1066 Depth=1
	s_wait_alu 0xfffe
	s_or_b32 exec_lo, exec_lo, s14
	v_lshrrev_b16 v0, 8, v11
	s_mov_b32 s14, exec_lo
	s_delay_alu instid0(VALU_DEP_1)
	v_cmpx_ne_u16_e32 0, v0
	s_cbranch_execz .LBB270_1809
; %bb.1802:                             ;   in Loop: Header=BB270_1066 Depth=1
	v_bfrev_b32_e32 v134, 1
	s_mov_b32 s15, exec_lo
	v_cmpx_ne_u16_e32 0x80, v0
	s_cbranch_execz .LBB270_1808
; %bb.1803:                             ;   in Loop: Header=BB270_1066 Depth=1
	v_and_b32_e32 v144, 0xffff, v0
	v_mov_b32_e32 v134, 0x7c010000
	s_mov_b32 s16, exec_lo
	s_delay_alu instid0(VALU_DEP_2) | instskip(NEXT) | instid1(VALU_DEP_1)
	v_and_b32_e32 v146, 0x7f, v144
	v_cmpx_ne_u32_e32 0x7f, v146
	s_cbranch_execz .LBB270_1807
; %bb.1804:                             ;   in Loop: Header=BB270_1066 Depth=1
	v_and_b32_e32 v134, 7, v144
	v_lshrrev_b32_e32 v145, 3, v146
	s_mov_b32 s17, exec_lo
	v_cmpx_gt_u32_e32 8, v146
; %bb.1805:                             ;   in Loop: Header=BB270_1066 Depth=1
	s_delay_alu instid0(VALU_DEP_3) | instskip(NEXT) | instid1(VALU_DEP_1)
	v_clz_i32_u32_e32 v134, v134
	v_min_u32_e32 v134, 32, v134
	s_delay_alu instid0(VALU_DEP_1) | instskip(NEXT) | instid1(VALU_DEP_1)
	v_subrev_nc_u32_e32 v145, 28, v134
	v_lshlrev_b64_e32 v[146:147], v145, v[0:1]
	v_sub_nc_u32_e32 v145, 29, v134
	s_delay_alu instid0(VALU_DEP_2)
	v_and_b32_e32 v134, 7, v146
; %bb.1806:                             ;   in Loop: Header=BB270_1066 Depth=1
	s_wait_alu 0xfffe
	s_or_b32 exec_lo, exec_lo, s17
	v_lshlrev_b32_e32 v0, 8, v144
	v_lshl_add_u32 v144, v145, 10, 0x2000
	v_lshlrev_b32_e32 v134, 23, v134
	s_delay_alu instid0(VALU_DEP_2) | instskip(NEXT) | instid1(VALU_DEP_1)
	v_and_or_b32 v0, 0x8000, v0, v144
	v_lshl_or_b32 v134, v0, 16, v134
.LBB270_1807:                           ;   in Loop: Header=BB270_1066 Depth=1
	s_wait_alu 0xfffe
	s_or_b32 exec_lo, exec_lo, s16
.LBB270_1808:                           ;   in Loop: Header=BB270_1066 Depth=1
	s_wait_alu 0xfffe
	s_or_b32 exec_lo, exec_lo, s15
.LBB270_1809:                           ;   in Loop: Header=BB270_1066 Depth=1
	s_wait_alu 0xfffe
	s_or_b32 exec_lo, exec_lo, s14
	v_lshrrev_b32_e32 v0, 16, v11
	v_mov_b32_e32 v144, 0
	s_mov_b32 s14, exec_lo
	s_delay_alu instid0(VALU_DEP_2) | instskip(NEXT) | instid1(VALU_DEP_1)
	v_dual_mov_b32 v145, 0 :: v_dual_and_b32 v146, 0xff, v0
	v_cmpx_ne_u16_e64 0, v146
	s_cbranch_execz .LBB270_1817
; %bb.1810:                             ;   in Loop: Header=BB270_1066 Depth=1
	v_mov_b32_e32 v145, 0x8000
	s_mov_b32 s15, exec_lo
	v_cmpx_ne_u16_e64 0x80, v146
	s_cbranch_execz .LBB270_1816
; %bb.1811:                             ;   in Loop: Header=BB270_1066 Depth=1
	v_bfe_u32 v147, v11, 16, 7
	v_mov_b32_e32 v145, 0x7c01
	s_mov_b32 s16, exec_lo
	s_delay_alu instid0(VALU_DEP_2)
	v_cmpx_ne_u32_e32 0x7f, v147
	s_cbranch_execz .LBB270_1815
; %bb.1812:                             ;   in Loop: Header=BB270_1066 Depth=1
	v_and_b32_e32 v145, 7, v0
	v_lshrrev_b32_e32 v146, 3, v147
	s_mov_b32 s17, exec_lo
	v_cmpx_gt_u32_e32 8, v147
; %bb.1813:                             ;   in Loop: Header=BB270_1066 Depth=1
	s_delay_alu instid0(VALU_DEP_3) | instskip(NEXT) | instid1(VALU_DEP_1)
	v_clz_i32_u32_e32 v145, v145
	v_min_u32_e32 v147, 32, v145
	s_delay_alu instid0(VALU_DEP_1) | instskip(NEXT) | instid1(VALU_DEP_1)
	v_subrev_nc_u32_e32 v145, 28, v147
	v_lshlrev_b64_e32 v[145:146], v145, v[0:1]
	v_sub_nc_u32_e32 v146, 29, v147
	s_delay_alu instid0(VALU_DEP_2)
	v_and_b32_e32 v145, 7, v145
; %bb.1814:                             ;   in Loop: Header=BB270_1066 Depth=1
	s_wait_alu 0xfffe
	s_or_b32 exec_lo, exec_lo, s17
	v_lshlrev_b32_e32 v0, 8, v0
	v_lshl_add_u32 v146, v146, 10, 0x2000
	v_lshlrev_b32_e32 v145, 7, v145
	s_delay_alu instid0(VALU_DEP_3) | instskip(NEXT) | instid1(VALU_DEP_3)
	v_and_b32_e32 v0, 0x8000, v0
	v_and_b32_e32 v146, 0xfc00, v146
	s_delay_alu instid0(VALU_DEP_1)
	v_or3_b32 v145, v0, v146, v145
.LBB270_1815:                           ;   in Loop: Header=BB270_1066 Depth=1
	s_wait_alu 0xfffe
	s_or_b32 exec_lo, exec_lo, s16
.LBB270_1816:                           ;   in Loop: Header=BB270_1066 Depth=1
	s_wait_alu 0xfffe
	s_or_b32 exec_lo, exec_lo, s15
.LBB270_1817:                           ;   in Loop: Header=BB270_1066 Depth=1
	s_wait_alu 0xfffe
	s_or_b32 exec_lo, exec_lo, s14
	s_delay_alu instid0(SALU_CYCLE_1)
	s_mov_b32 s14, exec_lo
	v_cmpx_lt_u32_e32 0xffffff, v11
	s_cbranch_execz .LBB270_1825
; %bb.1818:                             ;   in Loop: Header=BB270_1066 Depth=1
	v_lshrrev_b32_e32 v0, 24, v11
	v_bfrev_b32_e32 v144, 1
	s_mov_b32 s15, exec_lo
	s_delay_alu instid0(VALU_DEP_2)
	v_cmpx_ne_u32_e32 0x80, v0
	s_cbranch_execz .LBB270_1824
; %bb.1819:                             ;   in Loop: Header=BB270_1066 Depth=1
	v_and_b32_e32 v147, 0x7f, v0
	v_mov_b32_e32 v144, 0x7c010000
	s_mov_b32 s16, exec_lo
	s_delay_alu instid0(VALU_DEP_2)
	v_cmpx_ne_u32_e32 0x7f, v147
	s_cbranch_execz .LBB270_1823
; %bb.1820:                             ;   in Loop: Header=BB270_1066 Depth=1
	v_and_b32_e32 v144, 7, v0
	v_lshrrev_b32_e32 v146, 3, v147
	s_mov_b32 s17, exec_lo
	v_cmpx_gt_u32_e32 8, v147
; %bb.1821:                             ;   in Loop: Header=BB270_1066 Depth=1
	s_delay_alu instid0(VALU_DEP_3) | instskip(NEXT) | instid1(VALU_DEP_1)
	v_clz_i32_u32_e32 v144, v144
	v_min_u32_e32 v144, 32, v144
	s_delay_alu instid0(VALU_DEP_1) | instskip(NEXT) | instid1(VALU_DEP_1)
	v_subrev_nc_u32_e32 v146, 28, v144
	v_lshlrev_b64_e32 v[147:148], v146, v[0:1]
	v_sub_nc_u32_e32 v146, 29, v144
	s_delay_alu instid0(VALU_DEP_2)
	v_and_b32_e32 v144, 7, v147
; %bb.1822:                             ;   in Loop: Header=BB270_1066 Depth=1
	s_wait_alu 0xfffe
	s_or_b32 exec_lo, exec_lo, s17
	v_lshlrev_b32_e32 v0, 8, v0
	v_lshl_add_u32 v146, v146, 10, 0x2000
	v_lshlrev_b32_e32 v144, 23, v144
	s_delay_alu instid0(VALU_DEP_2) | instskip(NEXT) | instid1(VALU_DEP_1)
	v_and_or_b32 v0, 0x8000, v0, v146
	v_lshl_or_b32 v144, v0, 16, v144
.LBB270_1823:                           ;   in Loop: Header=BB270_1066 Depth=1
	s_wait_alu 0xfffe
	s_or_b32 exec_lo, exec_lo, s16
.LBB270_1824:                           ;   in Loop: Header=BB270_1066 Depth=1
	s_wait_alu 0xfffe
	s_or_b32 exec_lo, exec_lo, s15
.LBB270_1825:                           ;   in Loop: Header=BB270_1066 Depth=1
	s_wait_alu 0xfffe
	s_or_b32 exec_lo, exec_lo, s14
	v_dual_mov_b32 v147, 0 :: v_dual_and_b32 v148, 0xff, v12
	v_mov_b32_e32 v0, v12
	v_mov_b32_e32 v146, 0
	s_mov_b32 s14, exec_lo
	s_delay_alu instid0(VALU_DEP_3)
	v_cmpx_ne_u16_e64 0, v148
	s_cbranch_execz .LBB270_1833
; %bb.1826:                             ;   in Loop: Header=BB270_1066 Depth=1
	v_mov_b32_e32 v147, 0x8000
	s_mov_b32 s15, exec_lo
	v_cmpx_ne_u16_e64 0x80, v148
	s_cbranch_execz .LBB270_1832
; %bb.1827:                             ;   in Loop: Header=BB270_1066 Depth=1
	v_and_b32_e32 v149, 0x7f, v12
	v_mov_b32_e32 v147, 0x7c01
	s_mov_b32 s16, exec_lo
	s_delay_alu instid0(VALU_DEP_2)
	v_cmpx_ne_u32_e32 0x7f, v149
	s_cbranch_execz .LBB270_1831
; %bb.1828:                             ;   in Loop: Header=BB270_1066 Depth=1
	v_and_b32_e32 v147, 7, v12
	v_lshrrev_b32_e32 v148, 3, v149
	s_mov_b32 s17, exec_lo
	v_cmpx_gt_u32_e32 8, v149
; %bb.1829:                             ;   in Loop: Header=BB270_1066 Depth=1
	s_delay_alu instid0(VALU_DEP_3) | instskip(NEXT) | instid1(VALU_DEP_1)
	v_clz_i32_u32_e32 v147, v147
	v_min_u32_e32 v149, 32, v147
	s_delay_alu instid0(VALU_DEP_1) | instskip(NEXT) | instid1(VALU_DEP_1)
	v_subrev_nc_u32_e32 v147, 28, v149
	v_lshlrev_b64_e32 v[147:148], v147, v[0:1]
	v_sub_nc_u32_e32 v148, 29, v149
	s_delay_alu instid0(VALU_DEP_2)
	v_and_b32_e32 v147, 7, v147
; %bb.1830:                             ;   in Loop: Header=BB270_1066 Depth=1
	s_wait_alu 0xfffe
	s_or_b32 exec_lo, exec_lo, s17
	v_lshlrev_b32_e32 v149, 8, v12
	v_lshl_add_u32 v148, v148, 10, 0x2000
	v_lshlrev_b32_e32 v147, 7, v147
	s_delay_alu instid0(VALU_DEP_3) | instskip(NEXT) | instid1(VALU_DEP_3)
	v_and_b32_e32 v149, 0x8000, v149
	v_and_b32_e32 v148, 0xfc00, v148
	s_delay_alu instid0(VALU_DEP_1)
	v_or3_b32 v147, v149, v148, v147
.LBB270_1831:                           ;   in Loop: Header=BB270_1066 Depth=1
	s_wait_alu 0xfffe
	s_or_b32 exec_lo, exec_lo, s16
.LBB270_1832:                           ;   in Loop: Header=BB270_1066 Depth=1
	s_wait_alu 0xfffe
	s_or_b32 exec_lo, exec_lo, s15
.LBB270_1833:                           ;   in Loop: Header=BB270_1066 Depth=1
	s_wait_alu 0xfffe
	s_or_b32 exec_lo, exec_lo, s14
	v_lshrrev_b16 v0, 8, v0
	v_mov_b32_e32 v148, 0
	s_mov_b32 s14, exec_lo
	s_delay_alu instid0(VALU_DEP_2)
	v_cmpx_ne_u16_e32 0, v0
	s_cbranch_execz .LBB270_1841
; %bb.1834:                             ;   in Loop: Header=BB270_1066 Depth=1
	v_bfrev_b32_e32 v148, 1
	s_mov_b32 s15, exec_lo
	v_cmpx_ne_u16_e32 0x80, v0
	s_cbranch_execz .LBB270_1840
; %bb.1835:                             ;   in Loop: Header=BB270_1066 Depth=1
	v_and_b32_e32 v149, 0xffff, v0
	v_mov_b32_e32 v148, 0x7c010000
	s_mov_b32 s16, exec_lo
	s_delay_alu instid0(VALU_DEP_2) | instskip(NEXT) | instid1(VALU_DEP_1)
	v_and_b32_e32 v151, 0x7f, v149
	v_cmpx_ne_u32_e32 0x7f, v151
	s_cbranch_execz .LBB270_1839
; %bb.1836:                             ;   in Loop: Header=BB270_1066 Depth=1
	v_and_b32_e32 v148, 7, v149
	v_lshrrev_b32_e32 v150, 3, v151
	s_mov_b32 s17, exec_lo
	v_cmpx_gt_u32_e32 8, v151
; %bb.1837:                             ;   in Loop: Header=BB270_1066 Depth=1
	s_delay_alu instid0(VALU_DEP_3) | instskip(NEXT) | instid1(VALU_DEP_1)
	v_clz_i32_u32_e32 v148, v148
	v_min_u32_e32 v148, 32, v148
	s_delay_alu instid0(VALU_DEP_1) | instskip(NEXT) | instid1(VALU_DEP_1)
	v_subrev_nc_u32_e32 v150, 28, v148
	v_lshlrev_b64_e32 v[160:161], v150, v[0:1]
	v_sub_nc_u32_e32 v150, 29, v148
	s_delay_alu instid0(VALU_DEP_2)
	v_and_b32_e32 v148, 7, v160
; %bb.1838:                             ;   in Loop: Header=BB270_1066 Depth=1
	s_wait_alu 0xfffe
	s_or_b32 exec_lo, exec_lo, s17
	v_lshlrev_b32_e32 v0, 8, v149
	v_lshl_add_u32 v149, v150, 10, 0x2000
	v_lshlrev_b32_e32 v148, 23, v148
	s_delay_alu instid0(VALU_DEP_2) | instskip(NEXT) | instid1(VALU_DEP_1)
	v_and_or_b32 v0, 0x8000, v0, v149
	v_lshl_or_b32 v148, v0, 16, v148
.LBB270_1839:                           ;   in Loop: Header=BB270_1066 Depth=1
	s_wait_alu 0xfffe
	s_or_b32 exec_lo, exec_lo, s16
.LBB270_1840:                           ;   in Loop: Header=BB270_1066 Depth=1
	s_wait_alu 0xfffe
	s_or_b32 exec_lo, exec_lo, s15
.LBB270_1841:                           ;   in Loop: Header=BB270_1066 Depth=1
	s_wait_alu 0xfffe
	s_or_b32 exec_lo, exec_lo, s14
	v_lshrrev_b32_e32 v0, 16, v12
	s_mov_b32 s14, exec_lo
	s_delay_alu instid0(VALU_DEP_1) | instskip(NEXT) | instid1(VALU_DEP_1)
	v_and_b32_e32 v149, 0xff, v0
	v_cmpx_ne_u16_e64 0, v149
	s_cbranch_execz .LBB270_1849
; %bb.1842:                             ;   in Loop: Header=BB270_1066 Depth=1
	v_mov_b32_e32 v146, 0x8000
	s_mov_b32 s15, exec_lo
	v_cmpx_ne_u16_e64 0x80, v149
	s_cbranch_execz .LBB270_1848
; %bb.1843:                             ;   in Loop: Header=BB270_1066 Depth=1
	v_bfe_u32 v150, v12, 16, 7
	v_mov_b32_e32 v146, 0x7c01
	s_mov_b32 s16, exec_lo
	s_delay_alu instid0(VALU_DEP_2)
	v_cmpx_ne_u32_e32 0x7f, v150
	s_cbranch_execz .LBB270_1847
; %bb.1844:                             ;   in Loop: Header=BB270_1066 Depth=1
	v_and_b32_e32 v146, 7, v0
	v_lshrrev_b32_e32 v149, 3, v150
	s_mov_b32 s17, exec_lo
	v_cmpx_gt_u32_e32 8, v150
; %bb.1845:                             ;   in Loop: Header=BB270_1066 Depth=1
	s_delay_alu instid0(VALU_DEP_3) | instskip(NEXT) | instid1(VALU_DEP_1)
	v_clz_i32_u32_e32 v146, v146
	v_min_u32_e32 v146, 32, v146
	s_delay_alu instid0(VALU_DEP_1) | instskip(NEXT) | instid1(VALU_DEP_1)
	v_subrev_nc_u32_e32 v149, 28, v146
	v_lshlrev_b64_e32 v[150:151], v149, v[0:1]
	v_sub_nc_u32_e32 v149, 29, v146
	s_delay_alu instid0(VALU_DEP_2)
	v_and_b32_e32 v146, 7, v150
; %bb.1846:                             ;   in Loop: Header=BB270_1066 Depth=1
	s_wait_alu 0xfffe
	s_or_b32 exec_lo, exec_lo, s17
	v_lshlrev_b32_e32 v0, 8, v0
	v_lshl_add_u32 v149, v149, 10, 0x2000
	v_lshlrev_b32_e32 v146, 7, v146
	s_delay_alu instid0(VALU_DEP_3) | instskip(NEXT) | instid1(VALU_DEP_3)
	v_and_b32_e32 v0, 0x8000, v0
	v_and_b32_e32 v149, 0xfc00, v149
	s_delay_alu instid0(VALU_DEP_1)
	v_or3_b32 v146, v0, v149, v146
.LBB270_1847:                           ;   in Loop: Header=BB270_1066 Depth=1
	s_wait_alu 0xfffe
	s_or_b32 exec_lo, exec_lo, s16
.LBB270_1848:                           ;   in Loop: Header=BB270_1066 Depth=1
	s_wait_alu 0xfffe
	s_or_b32 exec_lo, exec_lo, s15
.LBB270_1849:                           ;   in Loop: Header=BB270_1066 Depth=1
	s_wait_alu 0xfffe
	s_or_b32 exec_lo, exec_lo, s14
	v_cmp_lt_u64_e64 s1, s[8:9], v[11:12]
	v_mov_b32_e32 v11, 0
	s_and_saveexec_b32 s14, s1
	s_cbranch_execz .LBB270_1857
; %bb.1850:                             ;   in Loop: Header=BB270_1066 Depth=1
	v_lshrrev_b32_e32 v0, 24, v12
	v_bfrev_b32_e32 v11, 1
	s_mov_b32 s15, exec_lo
	s_delay_alu instid0(VALU_DEP_2)
	v_cmpx_ne_u32_e32 0x80, v0
	s_cbranch_execz .LBB270_1856
; %bb.1851:                             ;   in Loop: Header=BB270_1066 Depth=1
	v_and_b32_e32 v149, 0x7f, v0
	v_mov_b32_e32 v11, 0x7c010000
	s_mov_b32 s16, exec_lo
	s_delay_alu instid0(VALU_DEP_2)
	v_cmpx_ne_u32_e32 0x7f, v149
	s_cbranch_execz .LBB270_1855
; %bb.1852:                             ;   in Loop: Header=BB270_1066 Depth=1
	v_and_b32_e32 v11, 7, v0
	v_lshrrev_b32_e32 v12, 3, v149
	s_mov_b32 s17, exec_lo
	v_cmpx_gt_u32_e32 8, v149
; %bb.1853:                             ;   in Loop: Header=BB270_1066 Depth=1
	s_delay_alu instid0(VALU_DEP_3) | instskip(NEXT) | instid1(VALU_DEP_1)
	v_clz_i32_u32_e32 v11, v11
	v_min_u32_e32 v149, 32, v11
	s_delay_alu instid0(VALU_DEP_1) | instskip(NEXT) | instid1(VALU_DEP_1)
	v_subrev_nc_u32_e32 v11, 28, v149
	v_lshlrev_b64_e32 v[11:12], v11, v[0:1]
	v_sub_nc_u32_e32 v12, 29, v149
	s_delay_alu instid0(VALU_DEP_2)
	v_and_b32_e32 v11, 7, v11
; %bb.1854:                             ;   in Loop: Header=BB270_1066 Depth=1
	s_wait_alu 0xfffe
	s_or_b32 exec_lo, exec_lo, s17
	v_lshlrev_b32_e32 v0, 8, v0
	v_lshl_add_u32 v12, v12, 10, 0x2000
	v_lshlrev_b32_e32 v11, 23, v11
	s_delay_alu instid0(VALU_DEP_2) | instskip(NEXT) | instid1(VALU_DEP_1)
	v_and_or_b32 v0, 0x8000, v0, v12
	v_lshl_or_b32 v11, v0, 16, v11
.LBB270_1855:                           ;   in Loop: Header=BB270_1066 Depth=1
	s_wait_alu 0xfffe
	s_or_b32 exec_lo, exec_lo, s16
.LBB270_1856:                           ;   in Loop: Header=BB270_1066 Depth=1
	s_wait_alu 0xfffe
	s_or_b32 exec_lo, exec_lo, s15
.LBB270_1857:                           ;   in Loop: Header=BB270_1066 Depth=1
	s_wait_alu 0xfffe
	s_or_b32 exec_lo, exec_lo, s14
	v_or_b32_e32 v0, v144, v145
	s_wait_loadcnt_dscnt 0x0
	v_fma_mixlo_f16 v12, v133, v144, 0 op_sel:[0,1,0] op_sel_hi:[0,1,0]
	v_or_b32_e32 v144, v134, v135
	v_fma_mixlo_f16 v134, v133, v134, 0 op_sel:[0,1,0] op_sel_hi:[0,1,0]
	v_or_b32_e32 v145, v148, v147
	v_or_b32_e32 v146, v11, v146
	v_fma_mixlo_f16 v147, v133, v0, 0 op_sel_hi:[0,1,0]
	v_fma_mixlo_f16 v11, v133, v11, 0 op_sel:[0,1,0] op_sel_hi:[0,1,0]
	v_lshlrev_b32_e32 v135, 16, v134
	v_fma_mixlo_f16 v134, v133, v144, 0 op_sel_hi:[0,1,0]
	v_fma_mixlo_f16 v144, v133, v148, 0 op_sel:[0,1,0] op_sel_hi:[0,1,0]
	v_fma_mixlo_f16 v145, v133, v145, 0 op_sel_hi:[0,1,0]
	v_fma_mixlo_f16 v146, v133, v146, 0 op_sel_hi:[0,1,0]
	v_lshlrev_b32_e32 v0, 16, v12
	v_and_b32_e32 v12, 0xffff, v147
	v_and_b32_e32 v149, 0xffff, v134
	v_lshlrev_b32_e32 v133, 16, v144
	v_and_b32_e32 v145, 0xffff, v145
	v_lshlrev_b32_e32 v11, 16, v11
	v_and_b32_e32 v134, 0xffff, v146
	v_or_b32_e32 v144, v0, v12
	v_or_b32_e32 v148, v135, v149
	;; [unrolled: 1-line block ×3, first 2 shown]
	s_delay_alu instid0(VALU_DEP_4)
	v_or_b32_e32 v146, v11, v134
	s_and_saveexec_b32 s14, vcc_lo
	s_cbranch_execz .LBB270_1859
; %bb.1858:                             ;   in Loop: Header=BB270_1066 Depth=1
	v_cmp_lt_i32_e64 s1, v16, v34
	s_wait_alu 0xf1ff
	s_delay_alu instid0(VALU_DEP_1) | instskip(SKIP_2) | instid1(VALU_DEP_1)
	v_cndmask_b32_e64 v144, 0, v149, s1
	v_cmp_lt_i32_e64 s1, v96, v34
	s_wait_alu 0xf1ff
	v_cndmask_b32_e64 v135, 0, v135, s1
	v_cmp_lt_i32_e64 s1, v87, v34
	s_delay_alu instid0(VALU_DEP_2) | instskip(SKIP_1) | instid1(VALU_DEP_2)
	v_or_b32_e32 v148, v144, v135
	s_wait_alu 0xf1ff
	v_cndmask_b32_e64 v12, 0, v12, s1
	v_cmp_lt_i32_e64 s1, v86, v34
	s_wait_alu 0xf1ff
	s_delay_alu instid0(VALU_DEP_1) | instskip(SKIP_1) | instid1(VALU_DEP_2)
	v_cndmask_b32_e64 v0, 0, v0, s1
	v_cmp_lt_i32_e64 s1, v85, v34
	v_or_b32_e32 v144, v12, v0
	s_wait_alu 0xf1ff
	s_delay_alu instid0(VALU_DEP_2) | instskip(SKIP_2) | instid1(VALU_DEP_1)
	v_cndmask_b32_e64 v145, 0, v145, s1
	v_cmp_lt_i32_e64 s1, v84, v34
	s_wait_alu 0xf1ff
	v_cndmask_b32_e64 v133, 0, v133, s1
	v_cmp_lt_i32_e64 s1, v83, v34
	s_delay_alu instid0(VALU_DEP_2) | instskip(SKIP_1) | instid1(VALU_DEP_2)
	v_or_b32_e32 v147, v145, v133
	s_wait_alu 0xf1ff
	v_cndmask_b32_e64 v134, 0, v134, s1
	v_cmp_lt_i32_e64 s1, v82, v34
	s_wait_alu 0xf1ff
	s_delay_alu instid0(VALU_DEP_1) | instskip(NEXT) | instid1(VALU_DEP_1)
	v_cndmask_b32_e64 v11, 0, v11, s1
	v_or_b32_e32 v146, v134, v11
.LBB270_1859:                           ;   in Loop: Header=BB270_1066 Depth=1
	s_wait_alu 0xfffe
	s_or_b32 exec_lo, exec_lo, s14
	;;#ASMSTART
	v_pk_mul_f16 v0, v81, v148;

	;;#ASMEND
	;;#ASMSTART
	v_pk_mul_f16 v11, v80, v144;

	;;#ASMEND
	;; [unrolled: 4-line block ×4, first 2 shown]
	;;#ASMSTART
	v_pk_add_f16 v0, v0, v11;

	;;#ASMEND
	;;#ASMSTART
	v_pk_add_f16 v0, v0, v12;

	;;#ASMEND
	;; [unrolled: 4-line block ×3, first 2 shown]
	v_dual_mov_b32 v144, 0 :: v_dual_and_b32 v11, 0xffff, v0
	v_lshrrev_b32_e32 v0, 16, v0
	;;#ASMSTART
	v_cvt_f32_f16 v133, v11;
	;;#ASMEND
	;;#ASMSTART
	v_cvt_f32_f16 v134, v0;
	;;#ASMEND
	flat_load_b64 v[11:12], v[9:10] offset:3072
	flat_load_b32 v135, v[26:27]
	s_mov_b32 s14, exec_lo
	s_wait_loadcnt_dscnt 0x101
	v_dual_mov_b32 v145, 0 :: v_dual_and_b32 v0, 0xff, v11
	s_delay_alu instid0(VALU_DEP_1)
	v_cmpx_ne_u16_e32 0, v0
	s_cbranch_execz .LBB270_1867
; %bb.1860:                             ;   in Loop: Header=BB270_1066 Depth=1
	v_mov_b32_e32 v145, 0x8000
	s_mov_b32 s15, exec_lo
	v_cmpx_ne_u16_e32 0x80, v0
	s_cbranch_execz .LBB270_1866
; %bb.1861:                             ;   in Loop: Header=BB270_1066 Depth=1
	v_and_b32_e32 v146, 0x7f, v11
	v_mov_b32_e32 v145, 0x7c01
	s_mov_b32 s16, exec_lo
	s_delay_alu instid0(VALU_DEP_2)
	v_cmpx_ne_u32_e32 0x7f, v146
	s_cbranch_execz .LBB270_1865
; %bb.1862:                             ;   in Loop: Header=BB270_1066 Depth=1
	v_and_b32_e32 v0, 7, v11
	v_lshrrev_b32_e32 v145, 3, v146
	s_mov_b32 s17, exec_lo
	v_cmpx_gt_u32_e32 8, v146
; %bb.1863:                             ;   in Loop: Header=BB270_1066 Depth=1
	s_delay_alu instid0(VALU_DEP_3) | instskip(NEXT) | instid1(VALU_DEP_1)
	v_clz_i32_u32_e32 v0, v0
	v_min_u32_e32 v0, 32, v0
	s_delay_alu instid0(VALU_DEP_1) | instskip(NEXT) | instid1(VALU_DEP_1)
	v_subrev_nc_u32_e32 v145, 28, v0
	v_lshlrev_b64_e32 v[146:147], v145, v[11:12]
	v_sub_nc_u32_e32 v145, 29, v0
	s_delay_alu instid0(VALU_DEP_2)
	v_and_b32_e32 v0, 7, v146
; %bb.1864:                             ;   in Loop: Header=BB270_1066 Depth=1
	s_wait_alu 0xfffe
	s_or_b32 exec_lo, exec_lo, s17
	v_lshlrev_b32_e32 v146, 8, v11
	v_lshl_add_u32 v145, v145, 10, 0x2000
	v_lshlrev_b32_e32 v0, 7, v0
	s_delay_alu instid0(VALU_DEP_3) | instskip(NEXT) | instid1(VALU_DEP_3)
	v_and_b32_e32 v146, 0x8000, v146
	v_and_b32_e32 v145, 0xfc00, v145
	s_delay_alu instid0(VALU_DEP_1)
	v_or3_b32 v145, v146, v145, v0
.LBB270_1865:                           ;   in Loop: Header=BB270_1066 Depth=1
	s_wait_alu 0xfffe
	s_or_b32 exec_lo, exec_lo, s16
.LBB270_1866:                           ;   in Loop: Header=BB270_1066 Depth=1
	s_wait_alu 0xfffe
	s_or_b32 exec_lo, exec_lo, s15
.LBB270_1867:                           ;   in Loop: Header=BB270_1066 Depth=1
	s_wait_alu 0xfffe
	s_or_b32 exec_lo, exec_lo, s14
	v_lshrrev_b16 v0, 8, v11
	s_mov_b32 s14, exec_lo
	s_delay_alu instid0(VALU_DEP_1)
	v_cmpx_ne_u16_e32 0, v0
	s_cbranch_execz .LBB270_1875
; %bb.1868:                             ;   in Loop: Header=BB270_1066 Depth=1
	v_bfrev_b32_e32 v144, 1
	s_mov_b32 s15, exec_lo
	v_cmpx_ne_u16_e32 0x80, v0
	s_cbranch_execz .LBB270_1874
; %bb.1869:                             ;   in Loop: Header=BB270_1066 Depth=1
	v_and_b32_e32 v146, 0xffff, v0
	v_mov_b32_e32 v144, 0x7c010000
	s_mov_b32 s16, exec_lo
	s_delay_alu instid0(VALU_DEP_2) | instskip(NEXT) | instid1(VALU_DEP_1)
	v_and_b32_e32 v148, 0x7f, v146
	v_cmpx_ne_u32_e32 0x7f, v148
	s_cbranch_execz .LBB270_1873
; %bb.1870:                             ;   in Loop: Header=BB270_1066 Depth=1
	v_and_b32_e32 v144, 7, v146
	v_lshrrev_b32_e32 v147, 3, v148
	s_mov_b32 s17, exec_lo
	v_cmpx_gt_u32_e32 8, v148
; %bb.1871:                             ;   in Loop: Header=BB270_1066 Depth=1
	s_delay_alu instid0(VALU_DEP_3) | instskip(NEXT) | instid1(VALU_DEP_1)
	v_clz_i32_u32_e32 v144, v144
	v_min_u32_e32 v144, 32, v144
	s_delay_alu instid0(VALU_DEP_1) | instskip(NEXT) | instid1(VALU_DEP_1)
	v_subrev_nc_u32_e32 v147, 28, v144
	v_lshlrev_b64_e32 v[148:149], v147, v[0:1]
	v_sub_nc_u32_e32 v147, 29, v144
	s_delay_alu instid0(VALU_DEP_2)
	v_and_b32_e32 v144, 7, v148
; %bb.1872:                             ;   in Loop: Header=BB270_1066 Depth=1
	s_wait_alu 0xfffe
	s_or_b32 exec_lo, exec_lo, s17
	v_lshlrev_b32_e32 v0, 8, v146
	v_lshl_add_u32 v146, v147, 10, 0x2000
	v_lshlrev_b32_e32 v144, 23, v144
	s_delay_alu instid0(VALU_DEP_2) | instskip(NEXT) | instid1(VALU_DEP_1)
	v_and_or_b32 v0, 0x8000, v0, v146
	v_lshl_or_b32 v144, v0, 16, v144
.LBB270_1873:                           ;   in Loop: Header=BB270_1066 Depth=1
	s_wait_alu 0xfffe
	s_or_b32 exec_lo, exec_lo, s16
.LBB270_1874:                           ;   in Loop: Header=BB270_1066 Depth=1
	s_wait_alu 0xfffe
	s_or_b32 exec_lo, exec_lo, s15
.LBB270_1875:                           ;   in Loop: Header=BB270_1066 Depth=1
	s_wait_alu 0xfffe
	s_or_b32 exec_lo, exec_lo, s14
	v_lshrrev_b32_e32 v0, 16, v11
	v_mov_b32_e32 v146, 0
	s_mov_b32 s14, exec_lo
	s_delay_alu instid0(VALU_DEP_2) | instskip(NEXT) | instid1(VALU_DEP_1)
	v_dual_mov_b32 v147, 0 :: v_dual_and_b32 v148, 0xff, v0
	v_cmpx_ne_u16_e64 0, v148
	s_cbranch_execz .LBB270_1883
; %bb.1876:                             ;   in Loop: Header=BB270_1066 Depth=1
	v_mov_b32_e32 v147, 0x8000
	s_mov_b32 s15, exec_lo
	v_cmpx_ne_u16_e64 0x80, v148
	s_cbranch_execz .LBB270_1882
; %bb.1877:                             ;   in Loop: Header=BB270_1066 Depth=1
	v_bfe_u32 v149, v11, 16, 7
	v_mov_b32_e32 v147, 0x7c01
	s_mov_b32 s16, exec_lo
	s_delay_alu instid0(VALU_DEP_2)
	v_cmpx_ne_u32_e32 0x7f, v149
	s_cbranch_execz .LBB270_1881
; %bb.1878:                             ;   in Loop: Header=BB270_1066 Depth=1
	v_and_b32_e32 v147, 7, v0
	v_lshrrev_b32_e32 v148, 3, v149
	s_mov_b32 s17, exec_lo
	v_cmpx_gt_u32_e32 8, v149
; %bb.1879:                             ;   in Loop: Header=BB270_1066 Depth=1
	s_delay_alu instid0(VALU_DEP_3) | instskip(NEXT) | instid1(VALU_DEP_1)
	v_clz_i32_u32_e32 v147, v147
	v_min_u32_e32 v149, 32, v147
	s_delay_alu instid0(VALU_DEP_1) | instskip(NEXT) | instid1(VALU_DEP_1)
	v_subrev_nc_u32_e32 v147, 28, v149
	v_lshlrev_b64_e32 v[147:148], v147, v[0:1]
	v_sub_nc_u32_e32 v148, 29, v149
	s_delay_alu instid0(VALU_DEP_2)
	v_and_b32_e32 v147, 7, v147
; %bb.1880:                             ;   in Loop: Header=BB270_1066 Depth=1
	s_wait_alu 0xfffe
	s_or_b32 exec_lo, exec_lo, s17
	v_lshlrev_b32_e32 v0, 8, v0
	v_lshl_add_u32 v148, v148, 10, 0x2000
	v_lshlrev_b32_e32 v147, 7, v147
	s_delay_alu instid0(VALU_DEP_3) | instskip(NEXT) | instid1(VALU_DEP_3)
	v_and_b32_e32 v0, 0x8000, v0
	v_and_b32_e32 v148, 0xfc00, v148
	s_delay_alu instid0(VALU_DEP_1)
	v_or3_b32 v147, v0, v148, v147
.LBB270_1881:                           ;   in Loop: Header=BB270_1066 Depth=1
	s_wait_alu 0xfffe
	s_or_b32 exec_lo, exec_lo, s16
.LBB270_1882:                           ;   in Loop: Header=BB270_1066 Depth=1
	s_wait_alu 0xfffe
	s_or_b32 exec_lo, exec_lo, s15
.LBB270_1883:                           ;   in Loop: Header=BB270_1066 Depth=1
	s_wait_alu 0xfffe
	s_or_b32 exec_lo, exec_lo, s14
	s_delay_alu instid0(SALU_CYCLE_1)
	s_mov_b32 s14, exec_lo
	v_cmpx_lt_u32_e32 0xffffff, v11
	s_cbranch_execz .LBB270_1891
; %bb.1884:                             ;   in Loop: Header=BB270_1066 Depth=1
	v_lshrrev_b32_e32 v0, 24, v11
	v_bfrev_b32_e32 v146, 1
	s_mov_b32 s15, exec_lo
	s_delay_alu instid0(VALU_DEP_2)
	v_cmpx_ne_u32_e32 0x80, v0
	s_cbranch_execz .LBB270_1890
; %bb.1885:                             ;   in Loop: Header=BB270_1066 Depth=1
	v_and_b32_e32 v149, 0x7f, v0
	v_mov_b32_e32 v146, 0x7c010000
	s_mov_b32 s16, exec_lo
	s_delay_alu instid0(VALU_DEP_2)
	v_cmpx_ne_u32_e32 0x7f, v149
	s_cbranch_execz .LBB270_1889
; %bb.1886:                             ;   in Loop: Header=BB270_1066 Depth=1
	v_and_b32_e32 v146, 7, v0
	v_lshrrev_b32_e32 v148, 3, v149
	s_mov_b32 s17, exec_lo
	v_cmpx_gt_u32_e32 8, v149
; %bb.1887:                             ;   in Loop: Header=BB270_1066 Depth=1
	s_delay_alu instid0(VALU_DEP_3) | instskip(NEXT) | instid1(VALU_DEP_1)
	v_clz_i32_u32_e32 v146, v146
	v_min_u32_e32 v146, 32, v146
	s_delay_alu instid0(VALU_DEP_1) | instskip(NEXT) | instid1(VALU_DEP_1)
	v_subrev_nc_u32_e32 v148, 28, v146
	v_lshlrev_b64_e32 v[149:150], v148, v[0:1]
	v_sub_nc_u32_e32 v148, 29, v146
	s_delay_alu instid0(VALU_DEP_2)
	v_and_b32_e32 v146, 7, v149
; %bb.1888:                             ;   in Loop: Header=BB270_1066 Depth=1
	s_wait_alu 0xfffe
	s_or_b32 exec_lo, exec_lo, s17
	v_lshlrev_b32_e32 v0, 8, v0
	v_lshl_add_u32 v148, v148, 10, 0x2000
	v_lshlrev_b32_e32 v146, 23, v146
	s_delay_alu instid0(VALU_DEP_2) | instskip(NEXT) | instid1(VALU_DEP_1)
	v_and_or_b32 v0, 0x8000, v0, v148
	v_lshl_or_b32 v146, v0, 16, v146
.LBB270_1889:                           ;   in Loop: Header=BB270_1066 Depth=1
	s_wait_alu 0xfffe
	s_or_b32 exec_lo, exec_lo, s16
.LBB270_1890:                           ;   in Loop: Header=BB270_1066 Depth=1
	s_wait_alu 0xfffe
	s_or_b32 exec_lo, exec_lo, s15
.LBB270_1891:                           ;   in Loop: Header=BB270_1066 Depth=1
	s_wait_alu 0xfffe
	s_or_b32 exec_lo, exec_lo, s14
	v_dual_mov_b32 v149, 0 :: v_dual_and_b32 v150, 0xff, v12
	v_mov_b32_e32 v0, v12
	v_mov_b32_e32 v148, 0
	s_mov_b32 s14, exec_lo
	s_delay_alu instid0(VALU_DEP_3)
	v_cmpx_ne_u16_e64 0, v150
	s_cbranch_execz .LBB270_1899
; %bb.1892:                             ;   in Loop: Header=BB270_1066 Depth=1
	v_mov_b32_e32 v149, 0x8000
	s_mov_b32 s15, exec_lo
	v_cmpx_ne_u16_e64 0x80, v150
	s_cbranch_execz .LBB270_1898
; %bb.1893:                             ;   in Loop: Header=BB270_1066 Depth=1
	v_and_b32_e32 v151, 0x7f, v12
	v_mov_b32_e32 v149, 0x7c01
	s_mov_b32 s16, exec_lo
	s_delay_alu instid0(VALU_DEP_2)
	v_cmpx_ne_u32_e32 0x7f, v151
	s_cbranch_execz .LBB270_1897
; %bb.1894:                             ;   in Loop: Header=BB270_1066 Depth=1
	v_and_b32_e32 v149, 7, v12
	v_lshrrev_b32_e32 v150, 3, v151
	s_mov_b32 s17, exec_lo
	v_cmpx_gt_u32_e32 8, v151
; %bb.1895:                             ;   in Loop: Header=BB270_1066 Depth=1
	s_delay_alu instid0(VALU_DEP_3) | instskip(NEXT) | instid1(VALU_DEP_1)
	v_clz_i32_u32_e32 v149, v149
	v_min_u32_e32 v151, 32, v149
	s_delay_alu instid0(VALU_DEP_1) | instskip(NEXT) | instid1(VALU_DEP_1)
	v_subrev_nc_u32_e32 v149, 28, v151
	v_lshlrev_b64_e32 v[149:150], v149, v[0:1]
	v_sub_nc_u32_e32 v150, 29, v151
	s_delay_alu instid0(VALU_DEP_2)
	v_and_b32_e32 v149, 7, v149
; %bb.1896:                             ;   in Loop: Header=BB270_1066 Depth=1
	s_wait_alu 0xfffe
	s_or_b32 exec_lo, exec_lo, s17
	v_lshlrev_b32_e32 v151, 8, v12
	v_lshl_add_u32 v150, v150, 10, 0x2000
	v_lshlrev_b32_e32 v149, 7, v149
	s_delay_alu instid0(VALU_DEP_3) | instskip(NEXT) | instid1(VALU_DEP_3)
	v_and_b32_e32 v151, 0x8000, v151
	v_and_b32_e32 v150, 0xfc00, v150
	s_delay_alu instid0(VALU_DEP_1)
	v_or3_b32 v149, v151, v150, v149
.LBB270_1897:                           ;   in Loop: Header=BB270_1066 Depth=1
	s_wait_alu 0xfffe
	s_or_b32 exec_lo, exec_lo, s16
.LBB270_1898:                           ;   in Loop: Header=BB270_1066 Depth=1
	s_wait_alu 0xfffe
	s_or_b32 exec_lo, exec_lo, s15
.LBB270_1899:                           ;   in Loop: Header=BB270_1066 Depth=1
	s_wait_alu 0xfffe
	s_or_b32 exec_lo, exec_lo, s14
	v_lshrrev_b16 v0, 8, v0
	v_mov_b32_e32 v150, 0
	s_mov_b32 s14, exec_lo
	s_delay_alu instid0(VALU_DEP_2)
	v_cmpx_ne_u16_e32 0, v0
	s_cbranch_execz .LBB270_1907
; %bb.1900:                             ;   in Loop: Header=BB270_1066 Depth=1
	v_bfrev_b32_e32 v150, 1
	s_mov_b32 s15, exec_lo
	v_cmpx_ne_u16_e32 0x80, v0
	s_cbranch_execz .LBB270_1906
; %bb.1901:                             ;   in Loop: Header=BB270_1066 Depth=1
	v_and_b32_e32 v151, 0xffff, v0
	v_mov_b32_e32 v150, 0x7c010000
	s_mov_b32 s16, exec_lo
	s_delay_alu instid0(VALU_DEP_2) | instskip(NEXT) | instid1(VALU_DEP_1)
	v_and_b32_e32 v161, 0x7f, v151
	v_cmpx_ne_u32_e32 0x7f, v161
	s_cbranch_execz .LBB270_1905
; %bb.1902:                             ;   in Loop: Header=BB270_1066 Depth=1
	v_and_b32_e32 v150, 7, v151
	v_lshrrev_b32_e32 v160, 3, v161
	s_mov_b32 s17, exec_lo
	v_cmpx_gt_u32_e32 8, v161
; %bb.1903:                             ;   in Loop: Header=BB270_1066 Depth=1
	s_delay_alu instid0(VALU_DEP_3) | instskip(NEXT) | instid1(VALU_DEP_1)
	v_clz_i32_u32_e32 v150, v150
	v_min_u32_e32 v150, 32, v150
	s_delay_alu instid0(VALU_DEP_1) | instskip(NEXT) | instid1(VALU_DEP_1)
	v_subrev_nc_u32_e32 v160, 28, v150
	v_lshlrev_b64_e32 v[161:162], v160, v[0:1]
	v_sub_nc_u32_e32 v160, 29, v150
	s_delay_alu instid0(VALU_DEP_2)
	v_and_b32_e32 v150, 7, v161
; %bb.1904:                             ;   in Loop: Header=BB270_1066 Depth=1
	s_wait_alu 0xfffe
	s_or_b32 exec_lo, exec_lo, s17
	v_lshlrev_b32_e32 v0, 8, v151
	v_lshl_add_u32 v151, v160, 10, 0x2000
	v_lshlrev_b32_e32 v150, 23, v150
	s_delay_alu instid0(VALU_DEP_2) | instskip(NEXT) | instid1(VALU_DEP_1)
	v_and_or_b32 v0, 0x8000, v0, v151
	v_lshl_or_b32 v150, v0, 16, v150
.LBB270_1905:                           ;   in Loop: Header=BB270_1066 Depth=1
	s_wait_alu 0xfffe
	s_or_b32 exec_lo, exec_lo, s16
.LBB270_1906:                           ;   in Loop: Header=BB270_1066 Depth=1
	s_wait_alu 0xfffe
	s_or_b32 exec_lo, exec_lo, s15
.LBB270_1907:                           ;   in Loop: Header=BB270_1066 Depth=1
	s_wait_alu 0xfffe
	s_or_b32 exec_lo, exec_lo, s14
	v_lshrrev_b32_e32 v0, 16, v12
	s_mov_b32 s14, exec_lo
	s_delay_alu instid0(VALU_DEP_1) | instskip(NEXT) | instid1(VALU_DEP_1)
	v_and_b32_e32 v151, 0xff, v0
	v_cmpx_ne_u16_e64 0, v151
	s_cbranch_execz .LBB270_1915
; %bb.1908:                             ;   in Loop: Header=BB270_1066 Depth=1
	v_mov_b32_e32 v148, 0x8000
	s_mov_b32 s15, exec_lo
	v_cmpx_ne_u16_e64 0x80, v151
	s_cbranch_execz .LBB270_1914
; %bb.1909:                             ;   in Loop: Header=BB270_1066 Depth=1
	v_bfe_u32 v160, v12, 16, 7
	v_mov_b32_e32 v148, 0x7c01
	s_mov_b32 s16, exec_lo
	s_delay_alu instid0(VALU_DEP_2)
	v_cmpx_ne_u32_e32 0x7f, v160
	s_cbranch_execz .LBB270_1913
; %bb.1910:                             ;   in Loop: Header=BB270_1066 Depth=1
	v_and_b32_e32 v148, 7, v0
	v_lshrrev_b32_e32 v151, 3, v160
	s_mov_b32 s17, exec_lo
	v_cmpx_gt_u32_e32 8, v160
; %bb.1911:                             ;   in Loop: Header=BB270_1066 Depth=1
	s_delay_alu instid0(VALU_DEP_3) | instskip(NEXT) | instid1(VALU_DEP_1)
	v_clz_i32_u32_e32 v148, v148
	v_min_u32_e32 v148, 32, v148
	s_delay_alu instid0(VALU_DEP_1) | instskip(NEXT) | instid1(VALU_DEP_1)
	v_subrev_nc_u32_e32 v151, 28, v148
	v_lshlrev_b64_e32 v[160:161], v151, v[0:1]
	v_sub_nc_u32_e32 v151, 29, v148
	s_delay_alu instid0(VALU_DEP_2)
	v_and_b32_e32 v148, 7, v160
; %bb.1912:                             ;   in Loop: Header=BB270_1066 Depth=1
	s_wait_alu 0xfffe
	s_or_b32 exec_lo, exec_lo, s17
	v_lshlrev_b32_e32 v0, 8, v0
	v_lshl_add_u32 v151, v151, 10, 0x2000
	v_lshlrev_b32_e32 v148, 7, v148
	s_delay_alu instid0(VALU_DEP_3) | instskip(NEXT) | instid1(VALU_DEP_3)
	v_and_b32_e32 v0, 0x8000, v0
	v_and_b32_e32 v151, 0xfc00, v151
	s_delay_alu instid0(VALU_DEP_1)
	v_or3_b32 v148, v0, v151, v148
.LBB270_1913:                           ;   in Loop: Header=BB270_1066 Depth=1
	s_wait_alu 0xfffe
	s_or_b32 exec_lo, exec_lo, s16
.LBB270_1914:                           ;   in Loop: Header=BB270_1066 Depth=1
	s_wait_alu 0xfffe
	s_or_b32 exec_lo, exec_lo, s15
.LBB270_1915:                           ;   in Loop: Header=BB270_1066 Depth=1
	s_wait_alu 0xfffe
	s_or_b32 exec_lo, exec_lo, s14
	v_cmp_lt_u64_e64 s1, s[8:9], v[11:12]
	v_mov_b32_e32 v11, 0
	s_and_saveexec_b32 s14, s1
	s_cbranch_execz .LBB270_1923
; %bb.1916:                             ;   in Loop: Header=BB270_1066 Depth=1
	v_lshrrev_b32_e32 v0, 24, v12
	v_bfrev_b32_e32 v11, 1
	s_mov_b32 s15, exec_lo
	s_delay_alu instid0(VALU_DEP_2)
	v_cmpx_ne_u32_e32 0x80, v0
	s_cbranch_execz .LBB270_1922
; %bb.1917:                             ;   in Loop: Header=BB270_1066 Depth=1
	v_and_b32_e32 v151, 0x7f, v0
	v_mov_b32_e32 v11, 0x7c010000
	s_mov_b32 s16, exec_lo
	s_delay_alu instid0(VALU_DEP_2)
	v_cmpx_ne_u32_e32 0x7f, v151
	s_cbranch_execz .LBB270_1921
; %bb.1918:                             ;   in Loop: Header=BB270_1066 Depth=1
	v_and_b32_e32 v11, 7, v0
	v_lshrrev_b32_e32 v12, 3, v151
	s_mov_b32 s17, exec_lo
	v_cmpx_gt_u32_e32 8, v151
; %bb.1919:                             ;   in Loop: Header=BB270_1066 Depth=1
	s_delay_alu instid0(VALU_DEP_3) | instskip(NEXT) | instid1(VALU_DEP_1)
	v_clz_i32_u32_e32 v11, v11
	v_min_u32_e32 v151, 32, v11
	s_delay_alu instid0(VALU_DEP_1) | instskip(NEXT) | instid1(VALU_DEP_1)
	v_subrev_nc_u32_e32 v11, 28, v151
	v_lshlrev_b64_e32 v[11:12], v11, v[0:1]
	v_sub_nc_u32_e32 v12, 29, v151
	s_delay_alu instid0(VALU_DEP_2)
	v_and_b32_e32 v11, 7, v11
; %bb.1920:                             ;   in Loop: Header=BB270_1066 Depth=1
	s_wait_alu 0xfffe
	s_or_b32 exec_lo, exec_lo, s17
	v_lshlrev_b32_e32 v0, 8, v0
	v_lshl_add_u32 v12, v12, 10, 0x2000
	v_lshlrev_b32_e32 v11, 23, v11
	s_delay_alu instid0(VALU_DEP_2) | instskip(NEXT) | instid1(VALU_DEP_1)
	v_and_or_b32 v0, 0x8000, v0, v12
	v_lshl_or_b32 v11, v0, 16, v11
.LBB270_1921:                           ;   in Loop: Header=BB270_1066 Depth=1
	s_wait_alu 0xfffe
	s_or_b32 exec_lo, exec_lo, s16
.LBB270_1922:                           ;   in Loop: Header=BB270_1066 Depth=1
	s_wait_alu 0xfffe
	s_or_b32 exec_lo, exec_lo, s15
.LBB270_1923:                           ;   in Loop: Header=BB270_1066 Depth=1
	s_wait_alu 0xfffe
	s_or_b32 exec_lo, exec_lo, s14
	v_or_b32_e32 v0, v146, v147
	s_wait_loadcnt_dscnt 0x0
	v_fma_mixlo_f16 v12, v135, v146, 0 op_sel:[0,1,0] op_sel_hi:[0,1,0]
	v_or_b32_e32 v146, v144, v145
	v_fma_mixlo_f16 v144, v135, v144, 0 op_sel:[0,1,0] op_sel_hi:[0,1,0]
	v_or_b32_e32 v147, v150, v149
	v_or_b32_e32 v148, v11, v148
	v_fma_mixlo_f16 v149, v135, v0, 0 op_sel_hi:[0,1,0]
	v_fma_mixlo_f16 v11, v135, v11, 0 op_sel:[0,1,0] op_sel_hi:[0,1,0]
	v_lshlrev_b32_e32 v145, 16, v144
	v_fma_mixlo_f16 v144, v135, v146, 0 op_sel_hi:[0,1,0]
	v_fma_mixlo_f16 v146, v135, v150, 0 op_sel:[0,1,0] op_sel_hi:[0,1,0]
	v_fma_mixlo_f16 v147, v135, v147, 0 op_sel_hi:[0,1,0]
	v_fma_mixlo_f16 v148, v135, v148, 0 op_sel_hi:[0,1,0]
	v_lshlrev_b32_e32 v0, 16, v12
	v_and_b32_e32 v12, 0xffff, v149
	v_and_b32_e32 v151, 0xffff, v144
	v_lshlrev_b32_e32 v135, 16, v146
	v_and_b32_e32 v147, 0xffff, v147
	v_lshlrev_b32_e32 v11, 16, v11
	v_and_b32_e32 v144, 0xffff, v148
	v_or_b32_e32 v146, v0, v12
	v_or_b32_e32 v150, v145, v151
	;; [unrolled: 1-line block ×3, first 2 shown]
	s_delay_alu instid0(VALU_DEP_4)
	v_or_b32_e32 v148, v11, v144
	s_and_saveexec_b32 s14, vcc_lo
	s_cbranch_execz .LBB270_1925
; %bb.1924:                             ;   in Loop: Header=BB270_1066 Depth=1
	v_cmp_lt_i32_e64 s1, v16, v34
	s_wait_alu 0xf1ff
	s_delay_alu instid0(VALU_DEP_1) | instskip(SKIP_2) | instid1(VALU_DEP_1)
	v_cndmask_b32_e64 v146, 0, v151, s1
	v_cmp_lt_i32_e64 s1, v96, v34
	s_wait_alu 0xf1ff
	v_cndmask_b32_e64 v145, 0, v145, s1
	v_cmp_lt_i32_e64 s1, v87, v34
	s_delay_alu instid0(VALU_DEP_2) | instskip(SKIP_1) | instid1(VALU_DEP_2)
	v_or_b32_e32 v150, v146, v145
	s_wait_alu 0xf1ff
	v_cndmask_b32_e64 v12, 0, v12, s1
	v_cmp_lt_i32_e64 s1, v86, v34
	s_wait_alu 0xf1ff
	s_delay_alu instid0(VALU_DEP_1) | instskip(SKIP_1) | instid1(VALU_DEP_2)
	v_cndmask_b32_e64 v0, 0, v0, s1
	v_cmp_lt_i32_e64 s1, v85, v34
	v_or_b32_e32 v146, v12, v0
	s_wait_alu 0xf1ff
	s_delay_alu instid0(VALU_DEP_2) | instskip(SKIP_2) | instid1(VALU_DEP_1)
	v_cndmask_b32_e64 v147, 0, v147, s1
	v_cmp_lt_i32_e64 s1, v84, v34
	s_wait_alu 0xf1ff
	v_cndmask_b32_e64 v135, 0, v135, s1
	v_cmp_lt_i32_e64 s1, v83, v34
	s_delay_alu instid0(VALU_DEP_2) | instskip(SKIP_1) | instid1(VALU_DEP_2)
	v_or_b32_e32 v149, v147, v135
	s_wait_alu 0xf1ff
	v_cndmask_b32_e64 v144, 0, v144, s1
	v_cmp_lt_i32_e64 s1, v82, v34
	s_wait_alu 0xf1ff
	s_delay_alu instid0(VALU_DEP_1) | instskip(NEXT) | instid1(VALU_DEP_1)
	v_cndmask_b32_e64 v11, 0, v11, s1
	v_or_b32_e32 v148, v144, v11
.LBB270_1925:                           ;   in Loop: Header=BB270_1066 Depth=1
	s_wait_alu 0xfffe
	s_or_b32 exec_lo, exec_lo, s14
	;;#ASMSTART
	v_pk_mul_f16 v0, v81, v150;

	;;#ASMEND
	;;#ASMSTART
	v_pk_mul_f16 v11, v80, v146;

	;;#ASMEND
	;; [unrolled: 4-line block ×4, first 2 shown]
	;;#ASMSTART
	v_pk_add_f16 v0, v0, v11;

	;;#ASMEND
	;;#ASMSTART
	v_pk_add_f16 v0, v0, v12;

	;;#ASMEND
	;; [unrolled: 4-line block ×3, first 2 shown]
	v_dual_mov_b32 v146, 0 :: v_dual_and_b32 v11, 0xffff, v0
	v_lshrrev_b32_e32 v0, 16, v0
	;;#ASMSTART
	v_cvt_f32_f16 v135, v11;
	;;#ASMEND
	;;#ASMSTART
	v_cvt_f32_f16 v144, v0;
	;;#ASMEND
	flat_load_b64 v[11:12], v[9:10] offset:3328
	flat_load_b32 v145, v[26:27]
	s_mov_b32 s14, exec_lo
	s_wait_loadcnt_dscnt 0x101
	v_dual_mov_b32 v147, 0 :: v_dual_and_b32 v0, 0xff, v11
	s_delay_alu instid0(VALU_DEP_1)
	v_cmpx_ne_u16_e32 0, v0
	s_cbranch_execz .LBB270_1933
; %bb.1926:                             ;   in Loop: Header=BB270_1066 Depth=1
	v_mov_b32_e32 v147, 0x8000
	s_mov_b32 s15, exec_lo
	v_cmpx_ne_u16_e32 0x80, v0
	s_cbranch_execz .LBB270_1932
; %bb.1927:                             ;   in Loop: Header=BB270_1066 Depth=1
	v_and_b32_e32 v148, 0x7f, v11
	v_mov_b32_e32 v147, 0x7c01
	s_mov_b32 s16, exec_lo
	s_delay_alu instid0(VALU_DEP_2)
	v_cmpx_ne_u32_e32 0x7f, v148
	s_cbranch_execz .LBB270_1931
; %bb.1928:                             ;   in Loop: Header=BB270_1066 Depth=1
	v_and_b32_e32 v0, 7, v11
	v_lshrrev_b32_e32 v147, 3, v148
	s_mov_b32 s17, exec_lo
	v_cmpx_gt_u32_e32 8, v148
; %bb.1929:                             ;   in Loop: Header=BB270_1066 Depth=1
	s_delay_alu instid0(VALU_DEP_3) | instskip(NEXT) | instid1(VALU_DEP_1)
	v_clz_i32_u32_e32 v0, v0
	v_min_u32_e32 v0, 32, v0
	s_delay_alu instid0(VALU_DEP_1) | instskip(NEXT) | instid1(VALU_DEP_1)
	v_subrev_nc_u32_e32 v147, 28, v0
	v_lshlrev_b64_e32 v[148:149], v147, v[11:12]
	v_sub_nc_u32_e32 v147, 29, v0
	s_delay_alu instid0(VALU_DEP_2)
	v_and_b32_e32 v0, 7, v148
; %bb.1930:                             ;   in Loop: Header=BB270_1066 Depth=1
	s_wait_alu 0xfffe
	s_or_b32 exec_lo, exec_lo, s17
	v_lshlrev_b32_e32 v148, 8, v11
	v_lshl_add_u32 v147, v147, 10, 0x2000
	v_lshlrev_b32_e32 v0, 7, v0
	s_delay_alu instid0(VALU_DEP_3) | instskip(NEXT) | instid1(VALU_DEP_3)
	v_and_b32_e32 v148, 0x8000, v148
	v_and_b32_e32 v147, 0xfc00, v147
	s_delay_alu instid0(VALU_DEP_1)
	v_or3_b32 v147, v148, v147, v0
.LBB270_1931:                           ;   in Loop: Header=BB270_1066 Depth=1
	s_wait_alu 0xfffe
	s_or_b32 exec_lo, exec_lo, s16
.LBB270_1932:                           ;   in Loop: Header=BB270_1066 Depth=1
	s_wait_alu 0xfffe
	s_or_b32 exec_lo, exec_lo, s15
.LBB270_1933:                           ;   in Loop: Header=BB270_1066 Depth=1
	s_wait_alu 0xfffe
	s_or_b32 exec_lo, exec_lo, s14
	v_lshrrev_b16 v0, 8, v11
	s_mov_b32 s14, exec_lo
	s_delay_alu instid0(VALU_DEP_1)
	v_cmpx_ne_u16_e32 0, v0
	s_cbranch_execz .LBB270_1941
; %bb.1934:                             ;   in Loop: Header=BB270_1066 Depth=1
	v_bfrev_b32_e32 v146, 1
	s_mov_b32 s15, exec_lo
	v_cmpx_ne_u16_e32 0x80, v0
	s_cbranch_execz .LBB270_1940
; %bb.1935:                             ;   in Loop: Header=BB270_1066 Depth=1
	v_and_b32_e32 v148, 0xffff, v0
	v_mov_b32_e32 v146, 0x7c010000
	s_mov_b32 s16, exec_lo
	s_delay_alu instid0(VALU_DEP_2) | instskip(NEXT) | instid1(VALU_DEP_1)
	v_and_b32_e32 v150, 0x7f, v148
	v_cmpx_ne_u32_e32 0x7f, v150
	s_cbranch_execz .LBB270_1939
; %bb.1936:                             ;   in Loop: Header=BB270_1066 Depth=1
	v_and_b32_e32 v146, 7, v148
	v_lshrrev_b32_e32 v149, 3, v150
	s_mov_b32 s17, exec_lo
	v_cmpx_gt_u32_e32 8, v150
; %bb.1937:                             ;   in Loop: Header=BB270_1066 Depth=1
	s_delay_alu instid0(VALU_DEP_3) | instskip(NEXT) | instid1(VALU_DEP_1)
	v_clz_i32_u32_e32 v146, v146
	v_min_u32_e32 v146, 32, v146
	s_delay_alu instid0(VALU_DEP_1) | instskip(NEXT) | instid1(VALU_DEP_1)
	v_subrev_nc_u32_e32 v149, 28, v146
	v_lshlrev_b64_e32 v[150:151], v149, v[0:1]
	v_sub_nc_u32_e32 v149, 29, v146
	s_delay_alu instid0(VALU_DEP_2)
	v_and_b32_e32 v146, 7, v150
; %bb.1938:                             ;   in Loop: Header=BB270_1066 Depth=1
	s_wait_alu 0xfffe
	s_or_b32 exec_lo, exec_lo, s17
	v_lshlrev_b32_e32 v0, 8, v148
	v_lshl_add_u32 v148, v149, 10, 0x2000
	v_lshlrev_b32_e32 v146, 23, v146
	s_delay_alu instid0(VALU_DEP_2) | instskip(NEXT) | instid1(VALU_DEP_1)
	v_and_or_b32 v0, 0x8000, v0, v148
	v_lshl_or_b32 v146, v0, 16, v146
.LBB270_1939:                           ;   in Loop: Header=BB270_1066 Depth=1
	s_wait_alu 0xfffe
	s_or_b32 exec_lo, exec_lo, s16
.LBB270_1940:                           ;   in Loop: Header=BB270_1066 Depth=1
	s_wait_alu 0xfffe
	s_or_b32 exec_lo, exec_lo, s15
.LBB270_1941:                           ;   in Loop: Header=BB270_1066 Depth=1
	s_wait_alu 0xfffe
	s_or_b32 exec_lo, exec_lo, s14
	v_lshrrev_b32_e32 v0, 16, v11
	v_mov_b32_e32 v148, 0
	s_mov_b32 s14, exec_lo
	s_delay_alu instid0(VALU_DEP_2) | instskip(NEXT) | instid1(VALU_DEP_1)
	v_dual_mov_b32 v149, 0 :: v_dual_and_b32 v150, 0xff, v0
	v_cmpx_ne_u16_e64 0, v150
	s_cbranch_execz .LBB270_1949
; %bb.1942:                             ;   in Loop: Header=BB270_1066 Depth=1
	v_mov_b32_e32 v149, 0x8000
	s_mov_b32 s15, exec_lo
	v_cmpx_ne_u16_e64 0x80, v150
	s_cbranch_execz .LBB270_1948
; %bb.1943:                             ;   in Loop: Header=BB270_1066 Depth=1
	v_bfe_u32 v151, v11, 16, 7
	v_mov_b32_e32 v149, 0x7c01
	s_mov_b32 s16, exec_lo
	s_delay_alu instid0(VALU_DEP_2)
	v_cmpx_ne_u32_e32 0x7f, v151
	s_cbranch_execz .LBB270_1947
; %bb.1944:                             ;   in Loop: Header=BB270_1066 Depth=1
	v_and_b32_e32 v149, 7, v0
	v_lshrrev_b32_e32 v150, 3, v151
	s_mov_b32 s17, exec_lo
	v_cmpx_gt_u32_e32 8, v151
; %bb.1945:                             ;   in Loop: Header=BB270_1066 Depth=1
	s_delay_alu instid0(VALU_DEP_3) | instskip(NEXT) | instid1(VALU_DEP_1)
	v_clz_i32_u32_e32 v149, v149
	v_min_u32_e32 v151, 32, v149
	s_delay_alu instid0(VALU_DEP_1) | instskip(NEXT) | instid1(VALU_DEP_1)
	v_subrev_nc_u32_e32 v149, 28, v151
	v_lshlrev_b64_e32 v[149:150], v149, v[0:1]
	v_sub_nc_u32_e32 v150, 29, v151
	s_delay_alu instid0(VALU_DEP_2)
	v_and_b32_e32 v149, 7, v149
; %bb.1946:                             ;   in Loop: Header=BB270_1066 Depth=1
	s_wait_alu 0xfffe
	s_or_b32 exec_lo, exec_lo, s17
	v_lshlrev_b32_e32 v0, 8, v0
	v_lshl_add_u32 v150, v150, 10, 0x2000
	v_lshlrev_b32_e32 v149, 7, v149
	s_delay_alu instid0(VALU_DEP_3) | instskip(NEXT) | instid1(VALU_DEP_3)
	v_and_b32_e32 v0, 0x8000, v0
	v_and_b32_e32 v150, 0xfc00, v150
	s_delay_alu instid0(VALU_DEP_1)
	v_or3_b32 v149, v0, v150, v149
.LBB270_1947:                           ;   in Loop: Header=BB270_1066 Depth=1
	s_wait_alu 0xfffe
	s_or_b32 exec_lo, exec_lo, s16
.LBB270_1948:                           ;   in Loop: Header=BB270_1066 Depth=1
	s_wait_alu 0xfffe
	s_or_b32 exec_lo, exec_lo, s15
.LBB270_1949:                           ;   in Loop: Header=BB270_1066 Depth=1
	s_wait_alu 0xfffe
	s_or_b32 exec_lo, exec_lo, s14
	s_delay_alu instid0(SALU_CYCLE_1)
	s_mov_b32 s14, exec_lo
	v_cmpx_lt_u32_e32 0xffffff, v11
	s_cbranch_execz .LBB270_1957
; %bb.1950:                             ;   in Loop: Header=BB270_1066 Depth=1
	v_lshrrev_b32_e32 v0, 24, v11
	v_bfrev_b32_e32 v148, 1
	s_mov_b32 s15, exec_lo
	s_delay_alu instid0(VALU_DEP_2)
	v_cmpx_ne_u32_e32 0x80, v0
	s_cbranch_execz .LBB270_1956
; %bb.1951:                             ;   in Loop: Header=BB270_1066 Depth=1
	v_and_b32_e32 v151, 0x7f, v0
	v_mov_b32_e32 v148, 0x7c010000
	s_mov_b32 s16, exec_lo
	s_delay_alu instid0(VALU_DEP_2)
	v_cmpx_ne_u32_e32 0x7f, v151
	s_cbranch_execz .LBB270_1955
; %bb.1952:                             ;   in Loop: Header=BB270_1066 Depth=1
	v_and_b32_e32 v148, 7, v0
	v_lshrrev_b32_e32 v150, 3, v151
	s_mov_b32 s17, exec_lo
	v_cmpx_gt_u32_e32 8, v151
; %bb.1953:                             ;   in Loop: Header=BB270_1066 Depth=1
	s_delay_alu instid0(VALU_DEP_3) | instskip(NEXT) | instid1(VALU_DEP_1)
	v_clz_i32_u32_e32 v148, v148
	v_min_u32_e32 v148, 32, v148
	s_delay_alu instid0(VALU_DEP_1) | instskip(NEXT) | instid1(VALU_DEP_1)
	v_subrev_nc_u32_e32 v150, 28, v148
	v_lshlrev_b64_e32 v[160:161], v150, v[0:1]
	v_sub_nc_u32_e32 v150, 29, v148
	s_delay_alu instid0(VALU_DEP_2)
	v_and_b32_e32 v148, 7, v160
; %bb.1954:                             ;   in Loop: Header=BB270_1066 Depth=1
	s_wait_alu 0xfffe
	s_or_b32 exec_lo, exec_lo, s17
	v_lshlrev_b32_e32 v0, 8, v0
	v_lshl_add_u32 v150, v150, 10, 0x2000
	v_lshlrev_b32_e32 v148, 23, v148
	s_delay_alu instid0(VALU_DEP_2) | instskip(NEXT) | instid1(VALU_DEP_1)
	v_and_or_b32 v0, 0x8000, v0, v150
	v_lshl_or_b32 v148, v0, 16, v148
.LBB270_1955:                           ;   in Loop: Header=BB270_1066 Depth=1
	s_wait_alu 0xfffe
	s_or_b32 exec_lo, exec_lo, s16
.LBB270_1956:                           ;   in Loop: Header=BB270_1066 Depth=1
	s_wait_alu 0xfffe
	s_or_b32 exec_lo, exec_lo, s15
.LBB270_1957:                           ;   in Loop: Header=BB270_1066 Depth=1
	s_wait_alu 0xfffe
	s_or_b32 exec_lo, exec_lo, s14
	v_dual_mov_b32 v151, 0 :: v_dual_and_b32 v160, 0xff, v12
	v_mov_b32_e32 v0, v12
	v_mov_b32_e32 v150, 0
	s_mov_b32 s14, exec_lo
	s_delay_alu instid0(VALU_DEP_3)
	v_cmpx_ne_u16_e64 0, v160
	s_cbranch_execz .LBB270_1965
; %bb.1958:                             ;   in Loop: Header=BB270_1066 Depth=1
	v_mov_b32_e32 v151, 0x8000
	s_mov_b32 s15, exec_lo
	v_cmpx_ne_u16_e64 0x80, v160
	s_cbranch_execz .LBB270_1964
; %bb.1959:                             ;   in Loop: Header=BB270_1066 Depth=1
	v_and_b32_e32 v161, 0x7f, v12
	v_mov_b32_e32 v151, 0x7c01
	s_mov_b32 s16, exec_lo
	s_delay_alu instid0(VALU_DEP_2)
	v_cmpx_ne_u32_e32 0x7f, v161
	s_cbranch_execz .LBB270_1963
; %bb.1960:                             ;   in Loop: Header=BB270_1066 Depth=1
	v_and_b32_e32 v151, 7, v12
	v_lshrrev_b32_e32 v160, 3, v161
	s_mov_b32 s17, exec_lo
	v_cmpx_gt_u32_e32 8, v161
; %bb.1961:                             ;   in Loop: Header=BB270_1066 Depth=1
	s_delay_alu instid0(VALU_DEP_3) | instskip(NEXT) | instid1(VALU_DEP_1)
	v_clz_i32_u32_e32 v151, v151
	v_min_u32_e32 v151, 32, v151
	s_delay_alu instid0(VALU_DEP_1) | instskip(NEXT) | instid1(VALU_DEP_1)
	v_subrev_nc_u32_e32 v160, 28, v151
	v_lshlrev_b64_e32 v[161:162], v160, v[0:1]
	v_sub_nc_u32_e32 v160, 29, v151
	s_delay_alu instid0(VALU_DEP_2)
	v_and_b32_e32 v151, 7, v161
; %bb.1962:                             ;   in Loop: Header=BB270_1066 Depth=1
	s_wait_alu 0xfffe
	s_or_b32 exec_lo, exec_lo, s17
	v_lshlrev_b32_e32 v161, 8, v12
	v_lshl_add_u32 v160, v160, 10, 0x2000
	v_lshlrev_b32_e32 v151, 7, v151
	s_delay_alu instid0(VALU_DEP_3) | instskip(NEXT) | instid1(VALU_DEP_3)
	v_and_b32_e32 v161, 0x8000, v161
	v_and_b32_e32 v160, 0xfc00, v160
	s_delay_alu instid0(VALU_DEP_1)
	v_or3_b32 v151, v161, v160, v151
.LBB270_1963:                           ;   in Loop: Header=BB270_1066 Depth=1
	s_wait_alu 0xfffe
	s_or_b32 exec_lo, exec_lo, s16
.LBB270_1964:                           ;   in Loop: Header=BB270_1066 Depth=1
	s_wait_alu 0xfffe
	s_or_b32 exec_lo, exec_lo, s15
.LBB270_1965:                           ;   in Loop: Header=BB270_1066 Depth=1
	s_wait_alu 0xfffe
	s_or_b32 exec_lo, exec_lo, s14
	v_lshrrev_b16 v0, 8, v0
	v_mov_b32_e32 v160, 0
	s_mov_b32 s14, exec_lo
	s_delay_alu instid0(VALU_DEP_2)
	v_cmpx_ne_u16_e32 0, v0
	s_cbranch_execz .LBB270_1973
; %bb.1966:                             ;   in Loop: Header=BB270_1066 Depth=1
	v_bfrev_b32_e32 v160, 1
	s_mov_b32 s15, exec_lo
	v_cmpx_ne_u16_e32 0x80, v0
	s_cbranch_execz .LBB270_1972
; %bb.1967:                             ;   in Loop: Header=BB270_1066 Depth=1
	v_and_b32_e32 v161, 0xffff, v0
	v_mov_b32_e32 v160, 0x7c010000
	s_mov_b32 s16, exec_lo
	s_delay_alu instid0(VALU_DEP_2) | instskip(NEXT) | instid1(VALU_DEP_1)
	v_and_b32_e32 v163, 0x7f, v161
	v_cmpx_ne_u32_e32 0x7f, v163
	s_cbranch_execz .LBB270_1971
; %bb.1968:                             ;   in Loop: Header=BB270_1066 Depth=1
	v_and_b32_e32 v160, 7, v161
	v_lshrrev_b32_e32 v162, 3, v163
	s_mov_b32 s17, exec_lo
	v_cmpx_gt_u32_e32 8, v163
; %bb.1969:                             ;   in Loop: Header=BB270_1066 Depth=1
	s_delay_alu instid0(VALU_DEP_3) | instskip(NEXT) | instid1(VALU_DEP_1)
	v_clz_i32_u32_e32 v160, v160
	v_min_u32_e32 v160, 32, v160
	s_delay_alu instid0(VALU_DEP_1) | instskip(NEXT) | instid1(VALU_DEP_1)
	v_subrev_nc_u32_e32 v162, 28, v160
	v_lshlrev_b64_e32 v[163:164], v162, v[0:1]
	v_sub_nc_u32_e32 v162, 29, v160
	s_delay_alu instid0(VALU_DEP_2)
	v_and_b32_e32 v160, 7, v163
; %bb.1970:                             ;   in Loop: Header=BB270_1066 Depth=1
	s_wait_alu 0xfffe
	s_or_b32 exec_lo, exec_lo, s17
	v_lshlrev_b32_e32 v0, 8, v161
	v_lshl_add_u32 v161, v162, 10, 0x2000
	v_lshlrev_b32_e32 v160, 23, v160
	s_delay_alu instid0(VALU_DEP_2) | instskip(NEXT) | instid1(VALU_DEP_1)
	v_and_or_b32 v0, 0x8000, v0, v161
	v_lshl_or_b32 v160, v0, 16, v160
.LBB270_1971:                           ;   in Loop: Header=BB270_1066 Depth=1
	s_wait_alu 0xfffe
	s_or_b32 exec_lo, exec_lo, s16
.LBB270_1972:                           ;   in Loop: Header=BB270_1066 Depth=1
	s_wait_alu 0xfffe
	s_or_b32 exec_lo, exec_lo, s15
.LBB270_1973:                           ;   in Loop: Header=BB270_1066 Depth=1
	s_wait_alu 0xfffe
	s_or_b32 exec_lo, exec_lo, s14
	v_lshrrev_b32_e32 v0, 16, v12
	s_mov_b32 s14, exec_lo
	s_delay_alu instid0(VALU_DEP_1) | instskip(NEXT) | instid1(VALU_DEP_1)
	v_and_b32_e32 v161, 0xff, v0
	v_cmpx_ne_u16_e64 0, v161
	s_cbranch_execz .LBB270_1981
; %bb.1974:                             ;   in Loop: Header=BB270_1066 Depth=1
	v_mov_b32_e32 v150, 0x8000
	s_mov_b32 s15, exec_lo
	v_cmpx_ne_u16_e64 0x80, v161
	s_cbranch_execz .LBB270_1980
; %bb.1975:                             ;   in Loop: Header=BB270_1066 Depth=1
	v_bfe_u32 v162, v12, 16, 7
	v_mov_b32_e32 v150, 0x7c01
	s_mov_b32 s16, exec_lo
	s_delay_alu instid0(VALU_DEP_2)
	v_cmpx_ne_u32_e32 0x7f, v162
	s_cbranch_execz .LBB270_1979
; %bb.1976:                             ;   in Loop: Header=BB270_1066 Depth=1
	v_and_b32_e32 v150, 7, v0
	v_lshrrev_b32_e32 v161, 3, v162
	s_mov_b32 s17, exec_lo
	v_cmpx_gt_u32_e32 8, v162
; %bb.1977:                             ;   in Loop: Header=BB270_1066 Depth=1
	s_delay_alu instid0(VALU_DEP_3) | instskip(NEXT) | instid1(VALU_DEP_1)
	v_clz_i32_u32_e32 v150, v150
	v_min_u32_e32 v150, 32, v150
	s_delay_alu instid0(VALU_DEP_1) | instskip(NEXT) | instid1(VALU_DEP_1)
	v_subrev_nc_u32_e32 v161, 28, v150
	v_lshlrev_b64_e32 v[162:163], v161, v[0:1]
	v_sub_nc_u32_e32 v161, 29, v150
	s_delay_alu instid0(VALU_DEP_2)
	v_and_b32_e32 v150, 7, v162
; %bb.1978:                             ;   in Loop: Header=BB270_1066 Depth=1
	s_wait_alu 0xfffe
	s_or_b32 exec_lo, exec_lo, s17
	v_lshlrev_b32_e32 v0, 8, v0
	v_lshl_add_u32 v161, v161, 10, 0x2000
	v_lshlrev_b32_e32 v150, 7, v150
	s_delay_alu instid0(VALU_DEP_3) | instskip(NEXT) | instid1(VALU_DEP_3)
	v_and_b32_e32 v0, 0x8000, v0
	v_and_b32_e32 v161, 0xfc00, v161
	s_delay_alu instid0(VALU_DEP_1)
	v_or3_b32 v150, v0, v161, v150
.LBB270_1979:                           ;   in Loop: Header=BB270_1066 Depth=1
	s_wait_alu 0xfffe
	s_or_b32 exec_lo, exec_lo, s16
.LBB270_1980:                           ;   in Loop: Header=BB270_1066 Depth=1
	s_wait_alu 0xfffe
	s_or_b32 exec_lo, exec_lo, s15
.LBB270_1981:                           ;   in Loop: Header=BB270_1066 Depth=1
	s_wait_alu 0xfffe
	s_or_b32 exec_lo, exec_lo, s14
	v_cmp_lt_u64_e64 s1, s[8:9], v[11:12]
	v_mov_b32_e32 v11, 0
	s_and_saveexec_b32 s14, s1
	s_cbranch_execz .LBB270_1989
; %bb.1982:                             ;   in Loop: Header=BB270_1066 Depth=1
	v_lshrrev_b32_e32 v0, 24, v12
	v_bfrev_b32_e32 v11, 1
	s_mov_b32 s15, exec_lo
	s_delay_alu instid0(VALU_DEP_2)
	v_cmpx_ne_u32_e32 0x80, v0
	s_cbranch_execz .LBB270_1988
; %bb.1983:                             ;   in Loop: Header=BB270_1066 Depth=1
	v_and_b32_e32 v161, 0x7f, v0
	v_mov_b32_e32 v11, 0x7c010000
	s_mov_b32 s16, exec_lo
	s_delay_alu instid0(VALU_DEP_2)
	v_cmpx_ne_u32_e32 0x7f, v161
	s_cbranch_execz .LBB270_1987
; %bb.1984:                             ;   in Loop: Header=BB270_1066 Depth=1
	v_and_b32_e32 v11, 7, v0
	v_lshrrev_b32_e32 v12, 3, v161
	s_mov_b32 s17, exec_lo
	v_cmpx_gt_u32_e32 8, v161
; %bb.1985:                             ;   in Loop: Header=BB270_1066 Depth=1
	s_delay_alu instid0(VALU_DEP_3) | instskip(NEXT) | instid1(VALU_DEP_1)
	v_clz_i32_u32_e32 v11, v11
	v_min_u32_e32 v161, 32, v11
	s_delay_alu instid0(VALU_DEP_1) | instskip(NEXT) | instid1(VALU_DEP_1)
	v_subrev_nc_u32_e32 v11, 28, v161
	v_lshlrev_b64_e32 v[11:12], v11, v[0:1]
	v_sub_nc_u32_e32 v12, 29, v161
	s_delay_alu instid0(VALU_DEP_2)
	v_and_b32_e32 v11, 7, v11
; %bb.1986:                             ;   in Loop: Header=BB270_1066 Depth=1
	s_wait_alu 0xfffe
	s_or_b32 exec_lo, exec_lo, s17
	v_lshlrev_b32_e32 v0, 8, v0
	v_lshl_add_u32 v12, v12, 10, 0x2000
	v_lshlrev_b32_e32 v11, 23, v11
	s_delay_alu instid0(VALU_DEP_2) | instskip(NEXT) | instid1(VALU_DEP_1)
	v_and_or_b32 v0, 0x8000, v0, v12
	v_lshl_or_b32 v11, v0, 16, v11
.LBB270_1987:                           ;   in Loop: Header=BB270_1066 Depth=1
	s_wait_alu 0xfffe
	s_or_b32 exec_lo, exec_lo, s16
.LBB270_1988:                           ;   in Loop: Header=BB270_1066 Depth=1
	s_wait_alu 0xfffe
	s_or_b32 exec_lo, exec_lo, s15
.LBB270_1989:                           ;   in Loop: Header=BB270_1066 Depth=1
	s_wait_alu 0xfffe
	s_or_b32 exec_lo, exec_lo, s14
	v_or_b32_e32 v0, v148, v149
	s_wait_loadcnt_dscnt 0x0
	v_fma_mixlo_f16 v12, v145, v148, 0 op_sel:[0,1,0] op_sel_hi:[0,1,0]
	v_or_b32_e32 v148, v146, v147
	v_fma_mixlo_f16 v146, v145, v146, 0 op_sel:[0,1,0] op_sel_hi:[0,1,0]
	v_or_b32_e32 v149, v160, v151
	v_or_b32_e32 v150, v11, v150
	v_fma_mixlo_f16 v151, v145, v0, 0 op_sel_hi:[0,1,0]
	v_fma_mixlo_f16 v11, v145, v11, 0 op_sel:[0,1,0] op_sel_hi:[0,1,0]
	v_lshlrev_b32_e32 v147, 16, v146
	v_fma_mixlo_f16 v146, v145, v148, 0 op_sel_hi:[0,1,0]
	v_fma_mixlo_f16 v148, v145, v160, 0 op_sel:[0,1,0] op_sel_hi:[0,1,0]
	v_fma_mixlo_f16 v149, v145, v149, 0 op_sel_hi:[0,1,0]
	v_fma_mixlo_f16 v150, v145, v150, 0 op_sel_hi:[0,1,0]
	v_lshlrev_b32_e32 v0, 16, v12
	v_and_b32_e32 v12, 0xffff, v151
	v_and_b32_e32 v161, 0xffff, v146
	v_lshlrev_b32_e32 v145, 16, v148
	v_and_b32_e32 v149, 0xffff, v149
	v_lshlrev_b32_e32 v11, 16, v11
	v_and_b32_e32 v146, 0xffff, v150
	v_or_b32_e32 v148, v0, v12
	v_or_b32_e32 v160, v147, v161
	;; [unrolled: 1-line block ×3, first 2 shown]
	s_delay_alu instid0(VALU_DEP_4)
	v_or_b32_e32 v150, v11, v146
	s_and_saveexec_b32 s14, vcc_lo
	s_cbranch_execz .LBB270_1991
; %bb.1990:                             ;   in Loop: Header=BB270_1066 Depth=1
	v_cmp_lt_i32_e64 s1, v16, v34
	s_wait_alu 0xf1ff
	s_delay_alu instid0(VALU_DEP_1) | instskip(SKIP_2) | instid1(VALU_DEP_1)
	v_cndmask_b32_e64 v148, 0, v161, s1
	v_cmp_lt_i32_e64 s1, v96, v34
	s_wait_alu 0xf1ff
	v_cndmask_b32_e64 v147, 0, v147, s1
	v_cmp_lt_i32_e64 s1, v87, v34
	s_delay_alu instid0(VALU_DEP_2) | instskip(SKIP_1) | instid1(VALU_DEP_2)
	v_or_b32_e32 v160, v148, v147
	s_wait_alu 0xf1ff
	v_cndmask_b32_e64 v12, 0, v12, s1
	v_cmp_lt_i32_e64 s1, v86, v34
	s_wait_alu 0xf1ff
	s_delay_alu instid0(VALU_DEP_1) | instskip(SKIP_1) | instid1(VALU_DEP_2)
	v_cndmask_b32_e64 v0, 0, v0, s1
	v_cmp_lt_i32_e64 s1, v85, v34
	v_or_b32_e32 v148, v12, v0
	s_wait_alu 0xf1ff
	s_delay_alu instid0(VALU_DEP_2) | instskip(SKIP_2) | instid1(VALU_DEP_1)
	v_cndmask_b32_e64 v149, 0, v149, s1
	v_cmp_lt_i32_e64 s1, v84, v34
	s_wait_alu 0xf1ff
	v_cndmask_b32_e64 v145, 0, v145, s1
	v_cmp_lt_i32_e64 s1, v83, v34
	s_delay_alu instid0(VALU_DEP_2) | instskip(SKIP_1) | instid1(VALU_DEP_2)
	v_or_b32_e32 v151, v149, v145
	s_wait_alu 0xf1ff
	v_cndmask_b32_e64 v146, 0, v146, s1
	v_cmp_lt_i32_e64 s1, v82, v34
	s_wait_alu 0xf1ff
	s_delay_alu instid0(VALU_DEP_1) | instskip(NEXT) | instid1(VALU_DEP_1)
	v_cndmask_b32_e64 v11, 0, v11, s1
	v_or_b32_e32 v150, v146, v11
.LBB270_1991:                           ;   in Loop: Header=BB270_1066 Depth=1
	s_wait_alu 0xfffe
	s_or_b32 exec_lo, exec_lo, s14
	;;#ASMSTART
	v_pk_mul_f16 v0, v81, v160;

	;;#ASMEND
	;;#ASMSTART
	v_pk_mul_f16 v11, v80, v148;

	;;#ASMEND
	;; [unrolled: 4-line block ×4, first 2 shown]
	;;#ASMSTART
	v_pk_add_f16 v0, v0, v11;

	;;#ASMEND
	;;#ASMSTART
	v_pk_add_f16 v0, v0, v12;

	;;#ASMEND
	;; [unrolled: 4-line block ×3, first 2 shown]
	v_dual_mov_b32 v148, 0 :: v_dual_and_b32 v11, 0xffff, v0
	v_lshrrev_b32_e32 v0, 16, v0
	;;#ASMSTART
	v_cvt_f32_f16 v145, v11;
	;;#ASMEND
	;;#ASMSTART
	v_cvt_f32_f16 v146, v0;
	;;#ASMEND
	flat_load_b64 v[11:12], v[9:10] offset:3584
	flat_load_b32 v147, v[26:27]
	s_mov_b32 s14, exec_lo
	s_wait_loadcnt_dscnt 0x101
	v_dual_mov_b32 v149, 0 :: v_dual_and_b32 v0, 0xff, v11
	s_delay_alu instid0(VALU_DEP_1)
	v_cmpx_ne_u16_e32 0, v0
	s_cbranch_execz .LBB270_1999
; %bb.1992:                             ;   in Loop: Header=BB270_1066 Depth=1
	v_mov_b32_e32 v149, 0x8000
	s_mov_b32 s15, exec_lo
	v_cmpx_ne_u16_e32 0x80, v0
	s_cbranch_execz .LBB270_1998
; %bb.1993:                             ;   in Loop: Header=BB270_1066 Depth=1
	v_and_b32_e32 v150, 0x7f, v11
	v_mov_b32_e32 v149, 0x7c01
	s_mov_b32 s16, exec_lo
	s_delay_alu instid0(VALU_DEP_2)
	v_cmpx_ne_u32_e32 0x7f, v150
	s_cbranch_execz .LBB270_1997
; %bb.1994:                             ;   in Loop: Header=BB270_1066 Depth=1
	v_and_b32_e32 v0, 7, v11
	v_lshrrev_b32_e32 v149, 3, v150
	s_mov_b32 s17, exec_lo
	v_cmpx_gt_u32_e32 8, v150
; %bb.1995:                             ;   in Loop: Header=BB270_1066 Depth=1
	s_delay_alu instid0(VALU_DEP_3) | instskip(NEXT) | instid1(VALU_DEP_1)
	v_clz_i32_u32_e32 v0, v0
	v_min_u32_e32 v0, 32, v0
	s_delay_alu instid0(VALU_DEP_1) | instskip(NEXT) | instid1(VALU_DEP_1)
	v_subrev_nc_u32_e32 v149, 28, v0
	v_lshlrev_b64_e32 v[150:151], v149, v[11:12]
	v_sub_nc_u32_e32 v149, 29, v0
	s_delay_alu instid0(VALU_DEP_2)
	v_and_b32_e32 v0, 7, v150
; %bb.1996:                             ;   in Loop: Header=BB270_1066 Depth=1
	s_wait_alu 0xfffe
	s_or_b32 exec_lo, exec_lo, s17
	v_lshlrev_b32_e32 v150, 8, v11
	v_lshl_add_u32 v149, v149, 10, 0x2000
	v_lshlrev_b32_e32 v0, 7, v0
	s_delay_alu instid0(VALU_DEP_3) | instskip(NEXT) | instid1(VALU_DEP_3)
	v_and_b32_e32 v150, 0x8000, v150
	v_and_b32_e32 v149, 0xfc00, v149
	s_delay_alu instid0(VALU_DEP_1)
	v_or3_b32 v149, v150, v149, v0
.LBB270_1997:                           ;   in Loop: Header=BB270_1066 Depth=1
	s_wait_alu 0xfffe
	s_or_b32 exec_lo, exec_lo, s16
.LBB270_1998:                           ;   in Loop: Header=BB270_1066 Depth=1
	s_wait_alu 0xfffe
	s_or_b32 exec_lo, exec_lo, s15
.LBB270_1999:                           ;   in Loop: Header=BB270_1066 Depth=1
	s_wait_alu 0xfffe
	s_or_b32 exec_lo, exec_lo, s14
	v_lshrrev_b16 v0, 8, v11
	s_mov_b32 s14, exec_lo
	s_delay_alu instid0(VALU_DEP_1)
	v_cmpx_ne_u16_e32 0, v0
	s_cbranch_execz .LBB270_2007
; %bb.2000:                             ;   in Loop: Header=BB270_1066 Depth=1
	v_bfrev_b32_e32 v148, 1
	s_mov_b32 s15, exec_lo
	v_cmpx_ne_u16_e32 0x80, v0
	s_cbranch_execz .LBB270_2006
; %bb.2001:                             ;   in Loop: Header=BB270_1066 Depth=1
	v_and_b32_e32 v150, 0xffff, v0
	v_mov_b32_e32 v148, 0x7c010000
	s_mov_b32 s16, exec_lo
	s_delay_alu instid0(VALU_DEP_2) | instskip(NEXT) | instid1(VALU_DEP_1)
	v_and_b32_e32 v160, 0x7f, v150
	v_cmpx_ne_u32_e32 0x7f, v160
	s_cbranch_execz .LBB270_2005
; %bb.2002:                             ;   in Loop: Header=BB270_1066 Depth=1
	v_and_b32_e32 v148, 7, v150
	v_lshrrev_b32_e32 v151, 3, v160
	s_mov_b32 s17, exec_lo
	v_cmpx_gt_u32_e32 8, v160
; %bb.2003:                             ;   in Loop: Header=BB270_1066 Depth=1
	s_delay_alu instid0(VALU_DEP_3) | instskip(NEXT) | instid1(VALU_DEP_1)
	v_clz_i32_u32_e32 v148, v148
	v_min_u32_e32 v148, 32, v148
	s_delay_alu instid0(VALU_DEP_1) | instskip(NEXT) | instid1(VALU_DEP_1)
	v_subrev_nc_u32_e32 v151, 28, v148
	v_lshlrev_b64_e32 v[160:161], v151, v[0:1]
	v_sub_nc_u32_e32 v151, 29, v148
	s_delay_alu instid0(VALU_DEP_2)
	v_and_b32_e32 v148, 7, v160
; %bb.2004:                             ;   in Loop: Header=BB270_1066 Depth=1
	s_wait_alu 0xfffe
	s_or_b32 exec_lo, exec_lo, s17
	v_lshlrev_b32_e32 v0, 8, v150
	v_lshl_add_u32 v150, v151, 10, 0x2000
	v_lshlrev_b32_e32 v148, 23, v148
	s_delay_alu instid0(VALU_DEP_2) | instskip(NEXT) | instid1(VALU_DEP_1)
	v_and_or_b32 v0, 0x8000, v0, v150
	v_lshl_or_b32 v148, v0, 16, v148
.LBB270_2005:                           ;   in Loop: Header=BB270_1066 Depth=1
	s_wait_alu 0xfffe
	s_or_b32 exec_lo, exec_lo, s16
.LBB270_2006:                           ;   in Loop: Header=BB270_1066 Depth=1
	s_wait_alu 0xfffe
	s_or_b32 exec_lo, exec_lo, s15
.LBB270_2007:                           ;   in Loop: Header=BB270_1066 Depth=1
	s_wait_alu 0xfffe
	s_or_b32 exec_lo, exec_lo, s14
	v_lshrrev_b32_e32 v0, 16, v11
	v_mov_b32_e32 v150, 0
	s_mov_b32 s14, exec_lo
	s_delay_alu instid0(VALU_DEP_2) | instskip(NEXT) | instid1(VALU_DEP_1)
	v_dual_mov_b32 v151, 0 :: v_dual_and_b32 v160, 0xff, v0
	v_cmpx_ne_u16_e64 0, v160
	s_cbranch_execz .LBB270_2015
; %bb.2008:                             ;   in Loop: Header=BB270_1066 Depth=1
	v_mov_b32_e32 v151, 0x8000
	s_mov_b32 s15, exec_lo
	v_cmpx_ne_u16_e64 0x80, v160
	s_cbranch_execz .LBB270_2014
; %bb.2009:                             ;   in Loop: Header=BB270_1066 Depth=1
	v_bfe_u32 v161, v11, 16, 7
	v_mov_b32_e32 v151, 0x7c01
	s_mov_b32 s16, exec_lo
	s_delay_alu instid0(VALU_DEP_2)
	v_cmpx_ne_u32_e32 0x7f, v161
	s_cbranch_execz .LBB270_2013
; %bb.2010:                             ;   in Loop: Header=BB270_1066 Depth=1
	v_and_b32_e32 v151, 7, v0
	v_lshrrev_b32_e32 v160, 3, v161
	s_mov_b32 s17, exec_lo
	v_cmpx_gt_u32_e32 8, v161
; %bb.2011:                             ;   in Loop: Header=BB270_1066 Depth=1
	s_delay_alu instid0(VALU_DEP_3) | instskip(NEXT) | instid1(VALU_DEP_1)
	v_clz_i32_u32_e32 v151, v151
	v_min_u32_e32 v151, 32, v151
	s_delay_alu instid0(VALU_DEP_1) | instskip(NEXT) | instid1(VALU_DEP_1)
	v_subrev_nc_u32_e32 v160, 28, v151
	v_lshlrev_b64_e32 v[161:162], v160, v[0:1]
	v_sub_nc_u32_e32 v160, 29, v151
	s_delay_alu instid0(VALU_DEP_2)
	v_and_b32_e32 v151, 7, v161
; %bb.2012:                             ;   in Loop: Header=BB270_1066 Depth=1
	s_wait_alu 0xfffe
	s_or_b32 exec_lo, exec_lo, s17
	v_lshlrev_b32_e32 v0, 8, v0
	v_lshl_add_u32 v160, v160, 10, 0x2000
	v_lshlrev_b32_e32 v151, 7, v151
	s_delay_alu instid0(VALU_DEP_3) | instskip(NEXT) | instid1(VALU_DEP_3)
	v_and_b32_e32 v0, 0x8000, v0
	v_and_b32_e32 v160, 0xfc00, v160
	s_delay_alu instid0(VALU_DEP_1)
	v_or3_b32 v151, v0, v160, v151
.LBB270_2013:                           ;   in Loop: Header=BB270_1066 Depth=1
	s_wait_alu 0xfffe
	s_or_b32 exec_lo, exec_lo, s16
.LBB270_2014:                           ;   in Loop: Header=BB270_1066 Depth=1
	s_wait_alu 0xfffe
	s_or_b32 exec_lo, exec_lo, s15
.LBB270_2015:                           ;   in Loop: Header=BB270_1066 Depth=1
	s_wait_alu 0xfffe
	s_or_b32 exec_lo, exec_lo, s14
	s_delay_alu instid0(SALU_CYCLE_1)
	s_mov_b32 s14, exec_lo
	v_cmpx_lt_u32_e32 0xffffff, v11
	s_cbranch_execz .LBB270_2023
; %bb.2016:                             ;   in Loop: Header=BB270_1066 Depth=1
	v_lshrrev_b32_e32 v0, 24, v11
	v_bfrev_b32_e32 v150, 1
	s_mov_b32 s15, exec_lo
	s_delay_alu instid0(VALU_DEP_2)
	v_cmpx_ne_u32_e32 0x80, v0
	s_cbranch_execz .LBB270_2022
; %bb.2017:                             ;   in Loop: Header=BB270_1066 Depth=1
	v_and_b32_e32 v161, 0x7f, v0
	v_mov_b32_e32 v150, 0x7c010000
	s_mov_b32 s16, exec_lo
	s_delay_alu instid0(VALU_DEP_2)
	v_cmpx_ne_u32_e32 0x7f, v161
	s_cbranch_execz .LBB270_2021
; %bb.2018:                             ;   in Loop: Header=BB270_1066 Depth=1
	v_and_b32_e32 v150, 7, v0
	v_lshrrev_b32_e32 v160, 3, v161
	s_mov_b32 s17, exec_lo
	v_cmpx_gt_u32_e32 8, v161
; %bb.2019:                             ;   in Loop: Header=BB270_1066 Depth=1
	s_delay_alu instid0(VALU_DEP_3) | instskip(NEXT) | instid1(VALU_DEP_1)
	v_clz_i32_u32_e32 v150, v150
	v_min_u32_e32 v150, 32, v150
	s_delay_alu instid0(VALU_DEP_1) | instskip(NEXT) | instid1(VALU_DEP_1)
	v_subrev_nc_u32_e32 v160, 28, v150
	v_lshlrev_b64_e32 v[161:162], v160, v[0:1]
	v_sub_nc_u32_e32 v160, 29, v150
	s_delay_alu instid0(VALU_DEP_2)
	v_and_b32_e32 v150, 7, v161
; %bb.2020:                             ;   in Loop: Header=BB270_1066 Depth=1
	s_wait_alu 0xfffe
	s_or_b32 exec_lo, exec_lo, s17
	v_lshlrev_b32_e32 v0, 8, v0
	v_lshl_add_u32 v160, v160, 10, 0x2000
	v_lshlrev_b32_e32 v150, 23, v150
	s_delay_alu instid0(VALU_DEP_2) | instskip(NEXT) | instid1(VALU_DEP_1)
	v_and_or_b32 v0, 0x8000, v0, v160
	v_lshl_or_b32 v150, v0, 16, v150
.LBB270_2021:                           ;   in Loop: Header=BB270_1066 Depth=1
	s_wait_alu 0xfffe
	s_or_b32 exec_lo, exec_lo, s16
.LBB270_2022:                           ;   in Loop: Header=BB270_1066 Depth=1
	s_wait_alu 0xfffe
	s_or_b32 exec_lo, exec_lo, s15
.LBB270_2023:                           ;   in Loop: Header=BB270_1066 Depth=1
	s_wait_alu 0xfffe
	s_or_b32 exec_lo, exec_lo, s14
	v_dual_mov_b32 v161, 0 :: v_dual_and_b32 v162, 0xff, v12
	v_mov_b32_e32 v0, v12
	v_mov_b32_e32 v160, 0
	s_mov_b32 s14, exec_lo
	s_delay_alu instid0(VALU_DEP_3)
	v_cmpx_ne_u16_e64 0, v162
	s_cbranch_execz .LBB270_2031
; %bb.2024:                             ;   in Loop: Header=BB270_1066 Depth=1
	v_mov_b32_e32 v161, 0x8000
	s_mov_b32 s15, exec_lo
	v_cmpx_ne_u16_e64 0x80, v162
	s_cbranch_execz .LBB270_2030
; %bb.2025:                             ;   in Loop: Header=BB270_1066 Depth=1
	v_and_b32_e32 v163, 0x7f, v12
	v_mov_b32_e32 v161, 0x7c01
	s_mov_b32 s16, exec_lo
	s_delay_alu instid0(VALU_DEP_2)
	v_cmpx_ne_u32_e32 0x7f, v163
	s_cbranch_execz .LBB270_2029
; %bb.2026:                             ;   in Loop: Header=BB270_1066 Depth=1
	v_and_b32_e32 v161, 7, v12
	v_lshrrev_b32_e32 v162, 3, v163
	s_mov_b32 s17, exec_lo
	v_cmpx_gt_u32_e32 8, v163
; %bb.2027:                             ;   in Loop: Header=BB270_1066 Depth=1
	s_delay_alu instid0(VALU_DEP_3) | instskip(NEXT) | instid1(VALU_DEP_1)
	v_clz_i32_u32_e32 v161, v161
	v_min_u32_e32 v163, 32, v161
	s_delay_alu instid0(VALU_DEP_1) | instskip(NEXT) | instid1(VALU_DEP_1)
	v_subrev_nc_u32_e32 v161, 28, v163
	v_lshlrev_b64_e32 v[161:162], v161, v[0:1]
	v_sub_nc_u32_e32 v162, 29, v163
	s_delay_alu instid0(VALU_DEP_2)
	v_and_b32_e32 v161, 7, v161
; %bb.2028:                             ;   in Loop: Header=BB270_1066 Depth=1
	s_wait_alu 0xfffe
	s_or_b32 exec_lo, exec_lo, s17
	v_lshlrev_b32_e32 v163, 8, v12
	v_lshl_add_u32 v162, v162, 10, 0x2000
	v_lshlrev_b32_e32 v161, 7, v161
	s_delay_alu instid0(VALU_DEP_3) | instskip(NEXT) | instid1(VALU_DEP_3)
	v_and_b32_e32 v163, 0x8000, v163
	v_and_b32_e32 v162, 0xfc00, v162
	s_delay_alu instid0(VALU_DEP_1)
	v_or3_b32 v161, v163, v162, v161
.LBB270_2029:                           ;   in Loop: Header=BB270_1066 Depth=1
	s_wait_alu 0xfffe
	s_or_b32 exec_lo, exec_lo, s16
.LBB270_2030:                           ;   in Loop: Header=BB270_1066 Depth=1
	s_wait_alu 0xfffe
	s_or_b32 exec_lo, exec_lo, s15
.LBB270_2031:                           ;   in Loop: Header=BB270_1066 Depth=1
	s_wait_alu 0xfffe
	s_or_b32 exec_lo, exec_lo, s14
	v_lshrrev_b16 v0, 8, v0
	v_mov_b32_e32 v162, 0
	s_mov_b32 s14, exec_lo
	s_delay_alu instid0(VALU_DEP_2)
	v_cmpx_ne_u16_e32 0, v0
	s_cbranch_execz .LBB270_2039
; %bb.2032:                             ;   in Loop: Header=BB270_1066 Depth=1
	v_bfrev_b32_e32 v162, 1
	s_mov_b32 s15, exec_lo
	v_cmpx_ne_u16_e32 0x80, v0
	s_cbranch_execz .LBB270_2038
; %bb.2033:                             ;   in Loop: Header=BB270_1066 Depth=1
	v_and_b32_e32 v163, 0xffff, v0
	v_mov_b32_e32 v162, 0x7c010000
	s_mov_b32 s16, exec_lo
	s_delay_alu instid0(VALU_DEP_2) | instskip(NEXT) | instid1(VALU_DEP_1)
	v_and_b32_e32 v165, 0x7f, v163
	v_cmpx_ne_u32_e32 0x7f, v165
	s_cbranch_execz .LBB270_2037
; %bb.2034:                             ;   in Loop: Header=BB270_1066 Depth=1
	v_and_b32_e32 v162, 7, v163
	v_lshrrev_b32_e32 v164, 3, v165
	s_mov_b32 s17, exec_lo
	v_cmpx_gt_u32_e32 8, v165
; %bb.2035:                             ;   in Loop: Header=BB270_1066 Depth=1
	s_delay_alu instid0(VALU_DEP_3) | instskip(NEXT) | instid1(VALU_DEP_1)
	v_clz_i32_u32_e32 v162, v162
	v_min_u32_e32 v162, 32, v162
	s_delay_alu instid0(VALU_DEP_1) | instskip(NEXT) | instid1(VALU_DEP_1)
	v_subrev_nc_u32_e32 v164, 28, v162
	v_lshlrev_b64_e32 v[165:166], v164, v[0:1]
	v_sub_nc_u32_e32 v164, 29, v162
	s_delay_alu instid0(VALU_DEP_2)
	v_and_b32_e32 v162, 7, v165
; %bb.2036:                             ;   in Loop: Header=BB270_1066 Depth=1
	s_wait_alu 0xfffe
	s_or_b32 exec_lo, exec_lo, s17
	v_lshlrev_b32_e32 v0, 8, v163
	v_lshl_add_u32 v163, v164, 10, 0x2000
	v_lshlrev_b32_e32 v162, 23, v162
	s_delay_alu instid0(VALU_DEP_2) | instskip(NEXT) | instid1(VALU_DEP_1)
	v_and_or_b32 v0, 0x8000, v0, v163
	v_lshl_or_b32 v162, v0, 16, v162
.LBB270_2037:                           ;   in Loop: Header=BB270_1066 Depth=1
	s_wait_alu 0xfffe
	s_or_b32 exec_lo, exec_lo, s16
.LBB270_2038:                           ;   in Loop: Header=BB270_1066 Depth=1
	s_wait_alu 0xfffe
	s_or_b32 exec_lo, exec_lo, s15
.LBB270_2039:                           ;   in Loop: Header=BB270_1066 Depth=1
	s_wait_alu 0xfffe
	s_or_b32 exec_lo, exec_lo, s14
	v_lshrrev_b32_e32 v0, 16, v12
	s_mov_b32 s14, exec_lo
	s_delay_alu instid0(VALU_DEP_1) | instskip(NEXT) | instid1(VALU_DEP_1)
	v_and_b32_e32 v163, 0xff, v0
	v_cmpx_ne_u16_e64 0, v163
	s_cbranch_execz .LBB270_2047
; %bb.2040:                             ;   in Loop: Header=BB270_1066 Depth=1
	v_mov_b32_e32 v160, 0x8000
	s_mov_b32 s15, exec_lo
	v_cmpx_ne_u16_e64 0x80, v163
	s_cbranch_execz .LBB270_2046
; %bb.2041:                             ;   in Loop: Header=BB270_1066 Depth=1
	v_bfe_u32 v164, v12, 16, 7
	v_mov_b32_e32 v160, 0x7c01
	s_mov_b32 s16, exec_lo
	s_delay_alu instid0(VALU_DEP_2)
	v_cmpx_ne_u32_e32 0x7f, v164
	s_cbranch_execz .LBB270_2045
; %bb.2042:                             ;   in Loop: Header=BB270_1066 Depth=1
	v_and_b32_e32 v160, 7, v0
	v_lshrrev_b32_e32 v163, 3, v164
	s_mov_b32 s17, exec_lo
	v_cmpx_gt_u32_e32 8, v164
; %bb.2043:                             ;   in Loop: Header=BB270_1066 Depth=1
	s_delay_alu instid0(VALU_DEP_3) | instskip(NEXT) | instid1(VALU_DEP_1)
	v_clz_i32_u32_e32 v160, v160
	v_min_u32_e32 v160, 32, v160
	s_delay_alu instid0(VALU_DEP_1) | instskip(NEXT) | instid1(VALU_DEP_1)
	v_subrev_nc_u32_e32 v163, 28, v160
	v_lshlrev_b64_e32 v[164:165], v163, v[0:1]
	v_sub_nc_u32_e32 v163, 29, v160
	s_delay_alu instid0(VALU_DEP_2)
	v_and_b32_e32 v160, 7, v164
; %bb.2044:                             ;   in Loop: Header=BB270_1066 Depth=1
	s_wait_alu 0xfffe
	s_or_b32 exec_lo, exec_lo, s17
	v_lshlrev_b32_e32 v0, 8, v0
	v_lshl_add_u32 v163, v163, 10, 0x2000
	v_lshlrev_b32_e32 v160, 7, v160
	s_delay_alu instid0(VALU_DEP_3) | instskip(NEXT) | instid1(VALU_DEP_3)
	v_and_b32_e32 v0, 0x8000, v0
	v_and_b32_e32 v163, 0xfc00, v163
	s_delay_alu instid0(VALU_DEP_1)
	v_or3_b32 v160, v0, v163, v160
.LBB270_2045:                           ;   in Loop: Header=BB270_1066 Depth=1
	s_wait_alu 0xfffe
	s_or_b32 exec_lo, exec_lo, s16
.LBB270_2046:                           ;   in Loop: Header=BB270_1066 Depth=1
	s_wait_alu 0xfffe
	s_or_b32 exec_lo, exec_lo, s15
.LBB270_2047:                           ;   in Loop: Header=BB270_1066 Depth=1
	s_wait_alu 0xfffe
	s_or_b32 exec_lo, exec_lo, s14
	v_cmp_lt_u64_e64 s1, s[8:9], v[11:12]
	v_mov_b32_e32 v11, 0
	s_and_saveexec_b32 s14, s1
	s_cbranch_execz .LBB270_2055
; %bb.2048:                             ;   in Loop: Header=BB270_1066 Depth=1
	v_lshrrev_b32_e32 v0, 24, v12
	v_bfrev_b32_e32 v11, 1
	s_mov_b32 s15, exec_lo
	s_delay_alu instid0(VALU_DEP_2)
	v_cmpx_ne_u32_e32 0x80, v0
	s_cbranch_execz .LBB270_2054
; %bb.2049:                             ;   in Loop: Header=BB270_1066 Depth=1
	v_and_b32_e32 v163, 0x7f, v0
	v_mov_b32_e32 v11, 0x7c010000
	s_mov_b32 s16, exec_lo
	s_delay_alu instid0(VALU_DEP_2)
	v_cmpx_ne_u32_e32 0x7f, v163
	s_cbranch_execz .LBB270_2053
; %bb.2050:                             ;   in Loop: Header=BB270_1066 Depth=1
	v_and_b32_e32 v11, 7, v0
	v_lshrrev_b32_e32 v12, 3, v163
	s_mov_b32 s17, exec_lo
	v_cmpx_gt_u32_e32 8, v163
; %bb.2051:                             ;   in Loop: Header=BB270_1066 Depth=1
	s_delay_alu instid0(VALU_DEP_3) | instskip(NEXT) | instid1(VALU_DEP_1)
	v_clz_i32_u32_e32 v11, v11
	v_min_u32_e32 v163, 32, v11
	s_delay_alu instid0(VALU_DEP_1) | instskip(NEXT) | instid1(VALU_DEP_1)
	v_subrev_nc_u32_e32 v11, 28, v163
	v_lshlrev_b64_e32 v[11:12], v11, v[0:1]
	v_sub_nc_u32_e32 v12, 29, v163
	s_delay_alu instid0(VALU_DEP_2)
	v_and_b32_e32 v11, 7, v11
; %bb.2052:                             ;   in Loop: Header=BB270_1066 Depth=1
	s_wait_alu 0xfffe
	s_or_b32 exec_lo, exec_lo, s17
	v_lshlrev_b32_e32 v0, 8, v0
	v_lshl_add_u32 v12, v12, 10, 0x2000
	v_lshlrev_b32_e32 v11, 23, v11
	s_delay_alu instid0(VALU_DEP_2) | instskip(NEXT) | instid1(VALU_DEP_1)
	v_and_or_b32 v0, 0x8000, v0, v12
	v_lshl_or_b32 v11, v0, 16, v11
.LBB270_2053:                           ;   in Loop: Header=BB270_1066 Depth=1
	s_wait_alu 0xfffe
	s_or_b32 exec_lo, exec_lo, s16
.LBB270_2054:                           ;   in Loop: Header=BB270_1066 Depth=1
	s_wait_alu 0xfffe
	s_or_b32 exec_lo, exec_lo, s15
.LBB270_2055:                           ;   in Loop: Header=BB270_1066 Depth=1
	s_wait_alu 0xfffe
	s_or_b32 exec_lo, exec_lo, s14
	v_or_b32_e32 v0, v150, v151
	s_wait_loadcnt_dscnt 0x0
	v_fma_mixlo_f16 v12, v147, v150, 0 op_sel:[0,1,0] op_sel_hi:[0,1,0]
	v_or_b32_e32 v150, v148, v149
	v_fma_mixlo_f16 v148, v147, v148, 0 op_sel:[0,1,0] op_sel_hi:[0,1,0]
	v_or_b32_e32 v151, v162, v161
	v_or_b32_e32 v160, v11, v160
	v_fma_mixlo_f16 v161, v147, v0, 0 op_sel_hi:[0,1,0]
	v_fma_mixlo_f16 v11, v147, v11, 0 op_sel:[0,1,0] op_sel_hi:[0,1,0]
	v_lshlrev_b32_e32 v149, 16, v148
	v_fma_mixlo_f16 v148, v147, v150, 0 op_sel_hi:[0,1,0]
	v_fma_mixlo_f16 v150, v147, v162, 0 op_sel:[0,1,0] op_sel_hi:[0,1,0]
	v_fma_mixlo_f16 v151, v147, v151, 0 op_sel_hi:[0,1,0]
	v_fma_mixlo_f16 v160, v147, v160, 0 op_sel_hi:[0,1,0]
	v_lshlrev_b32_e32 v0, 16, v12
	v_and_b32_e32 v12, 0xffff, v161
	v_and_b32_e32 v163, 0xffff, v148
	v_lshlrev_b32_e32 v147, 16, v150
	v_and_b32_e32 v151, 0xffff, v151
	v_lshlrev_b32_e32 v11, 16, v11
	v_and_b32_e32 v148, 0xffff, v160
	v_or_b32_e32 v150, v0, v12
	v_or_b32_e32 v162, v149, v163
	;; [unrolled: 1-line block ×3, first 2 shown]
	s_delay_alu instid0(VALU_DEP_4)
	v_or_b32_e32 v160, v11, v148
	s_and_saveexec_b32 s14, vcc_lo
	s_cbranch_execz .LBB270_2057
; %bb.2056:                             ;   in Loop: Header=BB270_1066 Depth=1
	v_cmp_lt_i32_e64 s1, v16, v34
	s_wait_alu 0xf1ff
	s_delay_alu instid0(VALU_DEP_1) | instskip(SKIP_2) | instid1(VALU_DEP_1)
	v_cndmask_b32_e64 v150, 0, v163, s1
	v_cmp_lt_i32_e64 s1, v96, v34
	s_wait_alu 0xf1ff
	v_cndmask_b32_e64 v149, 0, v149, s1
	v_cmp_lt_i32_e64 s1, v87, v34
	s_delay_alu instid0(VALU_DEP_2) | instskip(SKIP_1) | instid1(VALU_DEP_2)
	v_or_b32_e32 v162, v150, v149
	s_wait_alu 0xf1ff
	v_cndmask_b32_e64 v12, 0, v12, s1
	v_cmp_lt_i32_e64 s1, v86, v34
	s_wait_alu 0xf1ff
	s_delay_alu instid0(VALU_DEP_1) | instskip(SKIP_1) | instid1(VALU_DEP_2)
	v_cndmask_b32_e64 v0, 0, v0, s1
	v_cmp_lt_i32_e64 s1, v85, v34
	v_or_b32_e32 v150, v12, v0
	s_wait_alu 0xf1ff
	s_delay_alu instid0(VALU_DEP_2) | instskip(SKIP_2) | instid1(VALU_DEP_1)
	v_cndmask_b32_e64 v151, 0, v151, s1
	v_cmp_lt_i32_e64 s1, v84, v34
	s_wait_alu 0xf1ff
	v_cndmask_b32_e64 v147, 0, v147, s1
	v_cmp_lt_i32_e64 s1, v83, v34
	s_delay_alu instid0(VALU_DEP_2) | instskip(SKIP_1) | instid1(VALU_DEP_2)
	v_or_b32_e32 v161, v151, v147
	s_wait_alu 0xf1ff
	v_cndmask_b32_e64 v148, 0, v148, s1
	v_cmp_lt_i32_e64 s1, v82, v34
	s_wait_alu 0xf1ff
	s_delay_alu instid0(VALU_DEP_1) | instskip(NEXT) | instid1(VALU_DEP_1)
	v_cndmask_b32_e64 v11, 0, v11, s1
	v_or_b32_e32 v160, v148, v11
.LBB270_2057:                           ;   in Loop: Header=BB270_1066 Depth=1
	s_wait_alu 0xfffe
	s_or_b32 exec_lo, exec_lo, s14
	;;#ASMSTART
	v_pk_mul_f16 v0, v81, v162;

	;;#ASMEND
	;;#ASMSTART
	v_pk_mul_f16 v11, v80, v150;

	;;#ASMEND
	;; [unrolled: 4-line block ×4, first 2 shown]
	;;#ASMSTART
	v_pk_add_f16 v0, v0, v11;

	;;#ASMEND
	;;#ASMSTART
	v_pk_add_f16 v0, v0, v12;

	;;#ASMEND
	;; [unrolled: 4-line block ×3, first 2 shown]
	v_dual_mov_b32 v148, 0 :: v_dual_and_b32 v11, 0xffff, v0
	v_lshrrev_b32_e32 v0, 16, v0
	;;#ASMSTART
	v_cvt_f32_f16 v11, v11;
	;;#ASMEND
	;;#ASMSTART
	v_cvt_f32_f16 v12, v0;
	;;#ASMEND
	flat_load_b64 v[9:10], v[9:10] offset:3840
	flat_load_b32 v147, v[26:27]
	s_mov_b32 s14, exec_lo
	s_wait_loadcnt_dscnt 0x101
	v_dual_mov_b32 v149, 0 :: v_dual_and_b32 v0, 0xff, v9
	s_delay_alu instid0(VALU_DEP_1)
	v_cmpx_ne_u16_e32 0, v0
	s_cbranch_execz .LBB270_2065
; %bb.2058:                             ;   in Loop: Header=BB270_1066 Depth=1
	v_mov_b32_e32 v149, 0x8000
	s_mov_b32 s15, exec_lo
	v_cmpx_ne_u16_e32 0x80, v0
	s_cbranch_execz .LBB270_2064
; %bb.2059:                             ;   in Loop: Header=BB270_1066 Depth=1
	v_and_b32_e32 v150, 0x7f, v9
	v_mov_b32_e32 v149, 0x7c01
	s_mov_b32 s16, exec_lo
	s_delay_alu instid0(VALU_DEP_2)
	v_cmpx_ne_u32_e32 0x7f, v150
	s_cbranch_execz .LBB270_2063
; %bb.2060:                             ;   in Loop: Header=BB270_1066 Depth=1
	v_and_b32_e32 v0, 7, v9
	v_lshrrev_b32_e32 v149, 3, v150
	s_mov_b32 s17, exec_lo
	v_cmpx_gt_u32_e32 8, v150
; %bb.2061:                             ;   in Loop: Header=BB270_1066 Depth=1
	s_delay_alu instid0(VALU_DEP_3) | instskip(NEXT) | instid1(VALU_DEP_1)
	v_clz_i32_u32_e32 v0, v0
	v_min_u32_e32 v0, 32, v0
	s_delay_alu instid0(VALU_DEP_1) | instskip(NEXT) | instid1(VALU_DEP_1)
	v_subrev_nc_u32_e32 v149, 28, v0
	v_lshlrev_b64_e32 v[150:151], v149, v[9:10]
	v_sub_nc_u32_e32 v149, 29, v0
	s_delay_alu instid0(VALU_DEP_2)
	v_and_b32_e32 v0, 7, v150
; %bb.2062:                             ;   in Loop: Header=BB270_1066 Depth=1
	s_wait_alu 0xfffe
	s_or_b32 exec_lo, exec_lo, s17
	v_lshlrev_b32_e32 v150, 8, v9
	v_lshl_add_u32 v149, v149, 10, 0x2000
	v_lshlrev_b32_e32 v0, 7, v0
	s_delay_alu instid0(VALU_DEP_3) | instskip(NEXT) | instid1(VALU_DEP_3)
	v_and_b32_e32 v150, 0x8000, v150
	v_and_b32_e32 v149, 0xfc00, v149
	s_delay_alu instid0(VALU_DEP_1)
	v_or3_b32 v149, v150, v149, v0
.LBB270_2063:                           ;   in Loop: Header=BB270_1066 Depth=1
	s_wait_alu 0xfffe
	s_or_b32 exec_lo, exec_lo, s16
.LBB270_2064:                           ;   in Loop: Header=BB270_1066 Depth=1
	s_wait_alu 0xfffe
	s_or_b32 exec_lo, exec_lo, s15
.LBB270_2065:                           ;   in Loop: Header=BB270_1066 Depth=1
	s_wait_alu 0xfffe
	s_or_b32 exec_lo, exec_lo, s14
	v_lshrrev_b16 v0, 8, v9
	s_mov_b32 s14, exec_lo
	s_delay_alu instid0(VALU_DEP_1)
	v_cmpx_ne_u16_e32 0, v0
	s_cbranch_execz .LBB270_2073
; %bb.2066:                             ;   in Loop: Header=BB270_1066 Depth=1
	v_bfrev_b32_e32 v148, 1
	s_mov_b32 s15, exec_lo
	v_cmpx_ne_u16_e32 0x80, v0
	s_cbranch_execz .LBB270_2072
; %bb.2067:                             ;   in Loop: Header=BB270_1066 Depth=1
	v_and_b32_e32 v150, 0xffff, v0
	v_mov_b32_e32 v148, 0x7c010000
	s_mov_b32 s16, exec_lo
	s_delay_alu instid0(VALU_DEP_2) | instskip(NEXT) | instid1(VALU_DEP_1)
	v_and_b32_e32 v160, 0x7f, v150
	v_cmpx_ne_u32_e32 0x7f, v160
	s_cbranch_execz .LBB270_2071
; %bb.2068:                             ;   in Loop: Header=BB270_1066 Depth=1
	v_and_b32_e32 v148, 7, v150
	v_lshrrev_b32_e32 v151, 3, v160
	s_mov_b32 s17, exec_lo
	v_cmpx_gt_u32_e32 8, v160
; %bb.2069:                             ;   in Loop: Header=BB270_1066 Depth=1
	s_delay_alu instid0(VALU_DEP_3) | instskip(NEXT) | instid1(VALU_DEP_1)
	v_clz_i32_u32_e32 v148, v148
	v_min_u32_e32 v148, 32, v148
	s_delay_alu instid0(VALU_DEP_1) | instskip(NEXT) | instid1(VALU_DEP_1)
	v_subrev_nc_u32_e32 v151, 28, v148
	v_lshlrev_b64_e32 v[160:161], v151, v[0:1]
	v_sub_nc_u32_e32 v151, 29, v148
	s_delay_alu instid0(VALU_DEP_2)
	v_and_b32_e32 v148, 7, v160
; %bb.2070:                             ;   in Loop: Header=BB270_1066 Depth=1
	s_wait_alu 0xfffe
	s_or_b32 exec_lo, exec_lo, s17
	v_lshlrev_b32_e32 v0, 8, v150
	v_lshl_add_u32 v150, v151, 10, 0x2000
	v_lshlrev_b32_e32 v148, 23, v148
	s_delay_alu instid0(VALU_DEP_2) | instskip(NEXT) | instid1(VALU_DEP_1)
	v_and_or_b32 v0, 0x8000, v0, v150
	v_lshl_or_b32 v148, v0, 16, v148
.LBB270_2071:                           ;   in Loop: Header=BB270_1066 Depth=1
	s_wait_alu 0xfffe
	s_or_b32 exec_lo, exec_lo, s16
.LBB270_2072:                           ;   in Loop: Header=BB270_1066 Depth=1
	s_wait_alu 0xfffe
	s_or_b32 exec_lo, exec_lo, s15
.LBB270_2073:                           ;   in Loop: Header=BB270_1066 Depth=1
	s_wait_alu 0xfffe
	s_or_b32 exec_lo, exec_lo, s14
	v_lshrrev_b32_e32 v0, 16, v9
	v_mov_b32_e32 v150, 0
	s_mov_b32 s14, exec_lo
	s_delay_alu instid0(VALU_DEP_2) | instskip(NEXT) | instid1(VALU_DEP_1)
	v_dual_mov_b32 v151, 0 :: v_dual_and_b32 v160, 0xff, v0
	v_cmpx_ne_u16_e64 0, v160
	s_cbranch_execz .LBB270_2081
; %bb.2074:                             ;   in Loop: Header=BB270_1066 Depth=1
	v_mov_b32_e32 v151, 0x8000
	s_mov_b32 s15, exec_lo
	v_cmpx_ne_u16_e64 0x80, v160
	s_cbranch_execz .LBB270_2080
; %bb.2075:                             ;   in Loop: Header=BB270_1066 Depth=1
	v_bfe_u32 v161, v9, 16, 7
	v_mov_b32_e32 v151, 0x7c01
	s_mov_b32 s16, exec_lo
	s_delay_alu instid0(VALU_DEP_2)
	v_cmpx_ne_u32_e32 0x7f, v161
	s_cbranch_execz .LBB270_2079
; %bb.2076:                             ;   in Loop: Header=BB270_1066 Depth=1
	v_and_b32_e32 v151, 7, v0
	v_lshrrev_b32_e32 v160, 3, v161
	s_mov_b32 s17, exec_lo
	v_cmpx_gt_u32_e32 8, v161
; %bb.2077:                             ;   in Loop: Header=BB270_1066 Depth=1
	s_delay_alu instid0(VALU_DEP_3) | instskip(NEXT) | instid1(VALU_DEP_1)
	v_clz_i32_u32_e32 v151, v151
	v_min_u32_e32 v151, 32, v151
	s_delay_alu instid0(VALU_DEP_1) | instskip(NEXT) | instid1(VALU_DEP_1)
	v_subrev_nc_u32_e32 v160, 28, v151
	v_lshlrev_b64_e32 v[161:162], v160, v[0:1]
	v_sub_nc_u32_e32 v160, 29, v151
	s_delay_alu instid0(VALU_DEP_2)
	v_and_b32_e32 v151, 7, v161
; %bb.2078:                             ;   in Loop: Header=BB270_1066 Depth=1
	s_wait_alu 0xfffe
	s_or_b32 exec_lo, exec_lo, s17
	v_lshlrev_b32_e32 v0, 8, v0
	v_lshl_add_u32 v160, v160, 10, 0x2000
	v_lshlrev_b32_e32 v151, 7, v151
	s_delay_alu instid0(VALU_DEP_3) | instskip(NEXT) | instid1(VALU_DEP_3)
	v_and_b32_e32 v0, 0x8000, v0
	v_and_b32_e32 v160, 0xfc00, v160
	s_delay_alu instid0(VALU_DEP_1)
	v_or3_b32 v151, v0, v160, v151
.LBB270_2079:                           ;   in Loop: Header=BB270_1066 Depth=1
	s_wait_alu 0xfffe
	s_or_b32 exec_lo, exec_lo, s16
.LBB270_2080:                           ;   in Loop: Header=BB270_1066 Depth=1
	s_wait_alu 0xfffe
	s_or_b32 exec_lo, exec_lo, s15
.LBB270_2081:                           ;   in Loop: Header=BB270_1066 Depth=1
	s_wait_alu 0xfffe
	s_or_b32 exec_lo, exec_lo, s14
	s_delay_alu instid0(SALU_CYCLE_1)
	s_mov_b32 s14, exec_lo
	v_cmpx_lt_u32_e32 0xffffff, v9
	s_cbranch_execz .LBB270_2089
; %bb.2082:                             ;   in Loop: Header=BB270_1066 Depth=1
	v_lshrrev_b32_e32 v0, 24, v9
	v_bfrev_b32_e32 v150, 1
	s_mov_b32 s15, exec_lo
	s_delay_alu instid0(VALU_DEP_2)
	v_cmpx_ne_u32_e32 0x80, v0
	s_cbranch_execz .LBB270_2088
; %bb.2083:                             ;   in Loop: Header=BB270_1066 Depth=1
	v_and_b32_e32 v161, 0x7f, v0
	v_mov_b32_e32 v150, 0x7c010000
	s_mov_b32 s16, exec_lo
	s_delay_alu instid0(VALU_DEP_2)
	v_cmpx_ne_u32_e32 0x7f, v161
	s_cbranch_execz .LBB270_2087
; %bb.2084:                             ;   in Loop: Header=BB270_1066 Depth=1
	v_and_b32_e32 v150, 7, v0
	v_lshrrev_b32_e32 v160, 3, v161
	s_mov_b32 s17, exec_lo
	v_cmpx_gt_u32_e32 8, v161
; %bb.2085:                             ;   in Loop: Header=BB270_1066 Depth=1
	s_delay_alu instid0(VALU_DEP_3) | instskip(NEXT) | instid1(VALU_DEP_1)
	v_clz_i32_u32_e32 v150, v150
	v_min_u32_e32 v150, 32, v150
	s_delay_alu instid0(VALU_DEP_1) | instskip(NEXT) | instid1(VALU_DEP_1)
	v_subrev_nc_u32_e32 v160, 28, v150
	v_lshlrev_b64_e32 v[161:162], v160, v[0:1]
	v_sub_nc_u32_e32 v160, 29, v150
	s_delay_alu instid0(VALU_DEP_2)
	v_and_b32_e32 v150, 7, v161
; %bb.2086:                             ;   in Loop: Header=BB270_1066 Depth=1
	s_wait_alu 0xfffe
	s_or_b32 exec_lo, exec_lo, s17
	v_lshlrev_b32_e32 v0, 8, v0
	v_lshl_add_u32 v160, v160, 10, 0x2000
	v_lshlrev_b32_e32 v150, 23, v150
	s_delay_alu instid0(VALU_DEP_2) | instskip(NEXT) | instid1(VALU_DEP_1)
	v_and_or_b32 v0, 0x8000, v0, v160
	v_lshl_or_b32 v150, v0, 16, v150
.LBB270_2087:                           ;   in Loop: Header=BB270_1066 Depth=1
	s_wait_alu 0xfffe
	s_or_b32 exec_lo, exec_lo, s16
.LBB270_2088:                           ;   in Loop: Header=BB270_1066 Depth=1
	s_wait_alu 0xfffe
	s_or_b32 exec_lo, exec_lo, s15
.LBB270_2089:                           ;   in Loop: Header=BB270_1066 Depth=1
	s_wait_alu 0xfffe
	s_or_b32 exec_lo, exec_lo, s14
	v_dual_mov_b32 v161, 0 :: v_dual_and_b32 v162, 0xff, v10
	v_mov_b32_e32 v0, v10
	v_mov_b32_e32 v160, 0
	s_mov_b32 s14, exec_lo
	s_delay_alu instid0(VALU_DEP_3)
	v_cmpx_ne_u16_e64 0, v162
	s_cbranch_execz .LBB270_2097
; %bb.2090:                             ;   in Loop: Header=BB270_1066 Depth=1
	v_mov_b32_e32 v161, 0x8000
	s_mov_b32 s15, exec_lo
	v_cmpx_ne_u16_e64 0x80, v162
	s_cbranch_execz .LBB270_2096
; %bb.2091:                             ;   in Loop: Header=BB270_1066 Depth=1
	v_and_b32_e32 v163, 0x7f, v10
	v_mov_b32_e32 v161, 0x7c01
	s_mov_b32 s16, exec_lo
	s_delay_alu instid0(VALU_DEP_2)
	v_cmpx_ne_u32_e32 0x7f, v163
	s_cbranch_execz .LBB270_2095
; %bb.2092:                             ;   in Loop: Header=BB270_1066 Depth=1
	v_and_b32_e32 v161, 7, v10
	v_lshrrev_b32_e32 v162, 3, v163
	s_mov_b32 s17, exec_lo
	v_cmpx_gt_u32_e32 8, v163
; %bb.2093:                             ;   in Loop: Header=BB270_1066 Depth=1
	s_delay_alu instid0(VALU_DEP_3) | instskip(NEXT) | instid1(VALU_DEP_1)
	v_clz_i32_u32_e32 v161, v161
	v_min_u32_e32 v163, 32, v161
	s_delay_alu instid0(VALU_DEP_1) | instskip(NEXT) | instid1(VALU_DEP_1)
	v_subrev_nc_u32_e32 v161, 28, v163
	v_lshlrev_b64_e32 v[161:162], v161, v[0:1]
	v_sub_nc_u32_e32 v162, 29, v163
	s_delay_alu instid0(VALU_DEP_2)
	v_and_b32_e32 v161, 7, v161
; %bb.2094:                             ;   in Loop: Header=BB270_1066 Depth=1
	s_wait_alu 0xfffe
	s_or_b32 exec_lo, exec_lo, s17
	v_lshlrev_b32_e32 v163, 8, v10
	v_lshl_add_u32 v162, v162, 10, 0x2000
	v_lshlrev_b32_e32 v161, 7, v161
	s_delay_alu instid0(VALU_DEP_3) | instskip(NEXT) | instid1(VALU_DEP_3)
	v_and_b32_e32 v163, 0x8000, v163
	v_and_b32_e32 v162, 0xfc00, v162
	s_delay_alu instid0(VALU_DEP_1)
	v_or3_b32 v161, v163, v162, v161
.LBB270_2095:                           ;   in Loop: Header=BB270_1066 Depth=1
	s_wait_alu 0xfffe
	s_or_b32 exec_lo, exec_lo, s16
.LBB270_2096:                           ;   in Loop: Header=BB270_1066 Depth=1
	s_wait_alu 0xfffe
	s_or_b32 exec_lo, exec_lo, s15
.LBB270_2097:                           ;   in Loop: Header=BB270_1066 Depth=1
	s_wait_alu 0xfffe
	s_or_b32 exec_lo, exec_lo, s14
	v_lshrrev_b16 v0, 8, v0
	v_mov_b32_e32 v162, 0
	s_mov_b32 s14, exec_lo
	s_delay_alu instid0(VALU_DEP_2)
	v_cmpx_ne_u16_e32 0, v0
	s_cbranch_execz .LBB270_2105
; %bb.2098:                             ;   in Loop: Header=BB270_1066 Depth=1
	v_bfrev_b32_e32 v162, 1
	s_mov_b32 s15, exec_lo
	v_cmpx_ne_u16_e32 0x80, v0
	s_cbranch_execz .LBB270_2104
; %bb.2099:                             ;   in Loop: Header=BB270_1066 Depth=1
	v_and_b32_e32 v163, 0xffff, v0
	v_mov_b32_e32 v162, 0x7c010000
	s_mov_b32 s16, exec_lo
	s_delay_alu instid0(VALU_DEP_2) | instskip(NEXT) | instid1(VALU_DEP_1)
	v_and_b32_e32 v165, 0x7f, v163
	v_cmpx_ne_u32_e32 0x7f, v165
	s_cbranch_execz .LBB270_2103
; %bb.2100:                             ;   in Loop: Header=BB270_1066 Depth=1
	v_and_b32_e32 v162, 7, v163
	v_lshrrev_b32_e32 v164, 3, v165
	s_mov_b32 s17, exec_lo
	v_cmpx_gt_u32_e32 8, v165
; %bb.2101:                             ;   in Loop: Header=BB270_1066 Depth=1
	s_delay_alu instid0(VALU_DEP_3) | instskip(NEXT) | instid1(VALU_DEP_1)
	v_clz_i32_u32_e32 v162, v162
	v_min_u32_e32 v162, 32, v162
	s_delay_alu instid0(VALU_DEP_1) | instskip(NEXT) | instid1(VALU_DEP_1)
	v_subrev_nc_u32_e32 v164, 28, v162
	v_lshlrev_b64_e32 v[165:166], v164, v[0:1]
	v_sub_nc_u32_e32 v164, 29, v162
	s_delay_alu instid0(VALU_DEP_2)
	v_and_b32_e32 v162, 7, v165
; %bb.2102:                             ;   in Loop: Header=BB270_1066 Depth=1
	s_wait_alu 0xfffe
	s_or_b32 exec_lo, exec_lo, s17
	v_lshlrev_b32_e32 v0, 8, v163
	v_lshl_add_u32 v163, v164, 10, 0x2000
	v_lshlrev_b32_e32 v162, 23, v162
	s_delay_alu instid0(VALU_DEP_2) | instskip(NEXT) | instid1(VALU_DEP_1)
	v_and_or_b32 v0, 0x8000, v0, v163
	v_lshl_or_b32 v162, v0, 16, v162
.LBB270_2103:                           ;   in Loop: Header=BB270_1066 Depth=1
	s_wait_alu 0xfffe
	s_or_b32 exec_lo, exec_lo, s16
.LBB270_2104:                           ;   in Loop: Header=BB270_1066 Depth=1
	s_wait_alu 0xfffe
	s_or_b32 exec_lo, exec_lo, s15
.LBB270_2105:                           ;   in Loop: Header=BB270_1066 Depth=1
	s_wait_alu 0xfffe
	s_or_b32 exec_lo, exec_lo, s14
	v_lshrrev_b32_e32 v0, 16, v10
	s_mov_b32 s14, exec_lo
	s_delay_alu instid0(VALU_DEP_1) | instskip(NEXT) | instid1(VALU_DEP_1)
	v_and_b32_e32 v163, 0xff, v0
	v_cmpx_ne_u16_e64 0, v163
	s_cbranch_execz .LBB270_2113
; %bb.2106:                             ;   in Loop: Header=BB270_1066 Depth=1
	v_mov_b32_e32 v160, 0x8000
	s_mov_b32 s15, exec_lo
	v_cmpx_ne_u16_e64 0x80, v163
	s_cbranch_execz .LBB270_2112
; %bb.2107:                             ;   in Loop: Header=BB270_1066 Depth=1
	v_bfe_u32 v164, v10, 16, 7
	v_mov_b32_e32 v160, 0x7c01
	s_mov_b32 s16, exec_lo
	s_delay_alu instid0(VALU_DEP_2)
	v_cmpx_ne_u32_e32 0x7f, v164
	s_cbranch_execz .LBB270_2111
; %bb.2108:                             ;   in Loop: Header=BB270_1066 Depth=1
	v_and_b32_e32 v160, 7, v0
	v_lshrrev_b32_e32 v163, 3, v164
	s_mov_b32 s17, exec_lo
	v_cmpx_gt_u32_e32 8, v164
; %bb.2109:                             ;   in Loop: Header=BB270_1066 Depth=1
	s_delay_alu instid0(VALU_DEP_3) | instskip(NEXT) | instid1(VALU_DEP_1)
	v_clz_i32_u32_e32 v160, v160
	v_min_u32_e32 v160, 32, v160
	s_delay_alu instid0(VALU_DEP_1) | instskip(NEXT) | instid1(VALU_DEP_1)
	v_subrev_nc_u32_e32 v163, 28, v160
	v_lshlrev_b64_e32 v[164:165], v163, v[0:1]
	v_sub_nc_u32_e32 v163, 29, v160
	s_delay_alu instid0(VALU_DEP_2)
	v_and_b32_e32 v160, 7, v164
; %bb.2110:                             ;   in Loop: Header=BB270_1066 Depth=1
	s_wait_alu 0xfffe
	s_or_b32 exec_lo, exec_lo, s17
	v_lshlrev_b32_e32 v0, 8, v0
	v_lshl_add_u32 v163, v163, 10, 0x2000
	v_lshlrev_b32_e32 v160, 7, v160
	s_delay_alu instid0(VALU_DEP_3) | instskip(NEXT) | instid1(VALU_DEP_3)
	v_and_b32_e32 v0, 0x8000, v0
	v_and_b32_e32 v163, 0xfc00, v163
	s_delay_alu instid0(VALU_DEP_1)
	v_or3_b32 v160, v0, v163, v160
.LBB270_2111:                           ;   in Loop: Header=BB270_1066 Depth=1
	s_wait_alu 0xfffe
	s_or_b32 exec_lo, exec_lo, s16
.LBB270_2112:                           ;   in Loop: Header=BB270_1066 Depth=1
	s_wait_alu 0xfffe
	s_or_b32 exec_lo, exec_lo, s15
.LBB270_2113:                           ;   in Loop: Header=BB270_1066 Depth=1
	s_wait_alu 0xfffe
	s_or_b32 exec_lo, exec_lo, s14
	v_cmp_lt_u64_e64 s1, s[8:9], v[9:10]
	v_mov_b32_e32 v9, 0
	s_and_saveexec_b32 s14, s1
	s_cbranch_execz .LBB270_2121
; %bb.2114:                             ;   in Loop: Header=BB270_1066 Depth=1
	v_lshrrev_b32_e32 v0, 24, v10
	v_bfrev_b32_e32 v9, 1
	s_mov_b32 s15, exec_lo
	s_delay_alu instid0(VALU_DEP_2)
	v_cmpx_ne_u32_e32 0x80, v0
	s_cbranch_execz .LBB270_2120
; %bb.2115:                             ;   in Loop: Header=BB270_1066 Depth=1
	v_and_b32_e32 v163, 0x7f, v0
	v_mov_b32_e32 v9, 0x7c010000
	s_mov_b32 s16, exec_lo
	s_delay_alu instid0(VALU_DEP_2)
	v_cmpx_ne_u32_e32 0x7f, v163
	s_cbranch_execz .LBB270_2119
; %bb.2116:                             ;   in Loop: Header=BB270_1066 Depth=1
	v_and_b32_e32 v9, 7, v0
	v_lshrrev_b32_e32 v10, 3, v163
	s_mov_b32 s17, exec_lo
	v_cmpx_gt_u32_e32 8, v163
; %bb.2117:                             ;   in Loop: Header=BB270_1066 Depth=1
	s_delay_alu instid0(VALU_DEP_3) | instskip(NEXT) | instid1(VALU_DEP_1)
	v_clz_i32_u32_e32 v9, v9
	v_min_u32_e32 v163, 32, v9
	s_delay_alu instid0(VALU_DEP_1) | instskip(NEXT) | instid1(VALU_DEP_1)
	v_subrev_nc_u32_e32 v9, 28, v163
	v_lshlrev_b64_e32 v[9:10], v9, v[0:1]
	v_sub_nc_u32_e32 v10, 29, v163
	s_delay_alu instid0(VALU_DEP_2)
	v_and_b32_e32 v9, 7, v9
; %bb.2118:                             ;   in Loop: Header=BB270_1066 Depth=1
	s_wait_alu 0xfffe
	s_or_b32 exec_lo, exec_lo, s17
	v_lshlrev_b32_e32 v0, 8, v0
	v_lshl_add_u32 v10, v10, 10, 0x2000
	v_lshlrev_b32_e32 v9, 23, v9
	s_delay_alu instid0(VALU_DEP_2) | instskip(NEXT) | instid1(VALU_DEP_1)
	v_and_or_b32 v0, 0x8000, v0, v10
	v_lshl_or_b32 v9, v0, 16, v9
.LBB270_2119:                           ;   in Loop: Header=BB270_1066 Depth=1
	s_wait_alu 0xfffe
	s_or_b32 exec_lo, exec_lo, s16
.LBB270_2120:                           ;   in Loop: Header=BB270_1066 Depth=1
	s_wait_alu 0xfffe
	s_or_b32 exec_lo, exec_lo, s15
.LBB270_2121:                           ;   in Loop: Header=BB270_1066 Depth=1
	s_wait_alu 0xfffe
	s_or_b32 exec_lo, exec_lo, s14
	v_or_b32_e32 v0, v150, v151
	s_wait_loadcnt_dscnt 0x0
	v_fma_mixlo_f16 v10, v147, v150, 0 op_sel:[0,1,0] op_sel_hi:[0,1,0]
	v_or_b32_e32 v149, v148, v149
	v_fma_mixlo_f16 v150, v147, v148, 0 op_sel:[0,1,0] op_sel_hi:[0,1,0]
	v_or_b32_e32 v151, v162, v161
	v_fma_mixlo_f16 v0, v147, v0, 0 op_sel_hi:[0,1,0]
	v_or_b32_e32 v160, v9, v160
	v_lshlrev_b32_e32 v148, 16, v10
	v_lshlrev_b32_e32 v161, 16, v150
	v_fma_mixlo_f16 v10, v147, v149, 0 op_sel_hi:[0,1,0]
	v_and_b32_e32 v150, 0xffff, v0
	v_fma_mixlo_f16 v0, v147, v162, 0 op_sel:[0,1,0] op_sel_hi:[0,1,0]
	v_fma_mixlo_f16 v149, v147, v151, 0 op_sel_hi:[0,1,0]
	v_fma_mixlo_f16 v9, v147, v9, 0 op_sel:[0,1,0] op_sel_hi:[0,1,0]
	v_fma_mixlo_f16 v147, v147, v160, 0 op_sel_hi:[0,1,0]
	v_and_b32_e32 v163, 0xffff, v10
	v_lshlrev_b32_e32 v151, 16, v0
	v_and_b32_e32 v162, 0xffff, v149
	v_lshlrev_b32_e32 v149, 16, v9
	v_and_b32_e32 v160, 0xffff, v147
	v_or_b32_e32 v10, v148, v150
	v_or_b32_e32 v147, v161, v163
	;; [unrolled: 1-line block ×3, first 2 shown]
	s_delay_alu instid0(VALU_DEP_4)
	v_or_b32_e32 v0, v149, v160
	s_and_saveexec_b32 s1, vcc_lo
	s_cbranch_execz .LBB270_1064
; %bb.2122:                             ;   in Loop: Header=BB270_1066 Depth=1
	v_cmp_lt_i32_e32 vcc_lo, v16, v34
	s_wait_alu 0xfffd
	v_cndmask_b32_e32 v0, 0, v163, vcc_lo
	v_cmp_lt_i32_e32 vcc_lo, v96, v34
	s_wait_alu 0xfffd
	v_cndmask_b32_e32 v9, 0, v161, vcc_lo
	v_cmp_lt_i32_e32 vcc_lo, v87, v34
	s_delay_alu instid0(VALU_DEP_2)
	v_or_b32_e32 v147, v0, v9
	s_wait_alu 0xfffd
	v_cndmask_b32_e32 v10, 0, v150, vcc_lo
	v_cmp_lt_i32_e32 vcc_lo, v86, v34
	s_wait_alu 0xfffd
	v_cndmask_b32_e32 v16, 0, v148, vcc_lo
	v_cmp_lt_i32_e32 vcc_lo, v85, v34
	s_wait_alu 0xfffd
	v_cndmask_b32_e32 v85, 0, v162, vcc_lo
	v_cmp_lt_i32_e32 vcc_lo, v84, v34
	s_wait_alu 0xfffd
	v_cndmask_b32_e32 v84, 0, v151, vcc_lo
	v_cmp_lt_i32_e32 vcc_lo, v83, v34
	s_delay_alu instid0(VALU_DEP_2)
	v_or_b32_e32 v9, v85, v84
	s_wait_alu 0xfffd
	v_cndmask_b32_e32 v83, 0, v160, vcc_lo
	v_cmp_lt_i32_e32 vcc_lo, v82, v34
	v_or_b32_e32 v10, v10, v16
	s_wait_alu 0xfffd
	v_cndmask_b32_e32 v82, 0, v149, vcc_lo
	s_delay_alu instid0(VALU_DEP_1)
	v_or_b32_e32 v0, v83, v82
	s_branch .LBB270_1064
.LBB270_2123:
	s_or_b32 exec_lo, exec_lo, s10
	s_load_b32 s1, s[4:5], 0x0
	s_wait_kmcnt 0x0
	v_mov_b32_e32 v80, s1
.LBB270_2124:
	s_wait_alu 0xfffe
	s_or_b32 exec_lo, exec_lo, s3
	ds_bpermute_b32 v0, v18, v70
	ds_bpermute_b32 v1, v18, v71
	ds_bpermute_b32 v2, v18, v69
	ds_bpermute_b32 v3, v18, v68
	ds_bpermute_b32 v6, v18, v67
	ds_bpermute_b32 v7, v18, v66
	ds_bpermute_b32 v8, v18, v65
	ds_bpermute_b32 v9, v18, v64
	ds_bpermute_b32 v22, v18, v55
	ds_bpermute_b32 v23, v18, v29
	ds_bpermute_b32 v26, v18, v28
	ds_bpermute_b32 v27, v18, v25
	ds_bpermute_b32 v30, v18, v24
	ds_bpermute_b32 v34, v18, v21
	ds_bpermute_b32 v35, v18, v20
	ds_bpermute_b32 v37, v18, v19
	v_lshrrev_b32_e32 v13, 1, v13
	s_mov_b32 s1, exec_lo
	s_wait_storecnt 0x0
	s_wait_loadcnt_dscnt 0x0
	s_barrier_signal -1
	v_dual_add_f32 v18, v70, v0 :: v_dual_add_f32 v17, v71, v1
	v_dual_add_f32 v16, v69, v2 :: v_dual_add_f32 v15, v68, v3
	v_add_f32_e32 v14, v67, v6
	v_dual_add_f32 v12, v66, v7 :: v_dual_add_f32 v11, v65, v8
	v_dual_add_f32 v10, v64, v9 :: v_dual_add_f32 v9, v55, v22
	;; [unrolled: 1-line block ×5, first 2 shown]
	v_and_b32_e32 v21, 0x3c1, v33
	v_add_f32_e32 v2, v19, v37
	v_lshl_add_u32 v19, v13, 2, v80
	v_lshlrev_b32_e32 v20, 10, v36
	s_barrier_wait -1
	global_inv scope:SCOPE_SE
	v_cmpx_eq_u32_e32 64, v21
	s_cbranch_execz .LBB270_2126
; %bb.2125:
	v_add_nc_u32_e32 v21, v19, v20
	s_delay_alu instid0(VALU_DEP_1)
	v_add_nc_u32_e32 v22, 0xfffff800, v21
	v_add_nc_u32_e32 v23, 0xfffff840, v21
	;; [unrolled: 1-line block ×8, first 2 shown]
	ds_store_b32 v22, v18
	ds_store_b32 v23, v17
	;; [unrolled: 1-line block ×8, first 2 shown]
	v_add_nc_u32_e32 v22, 0xfffffa00, v21
	v_add_nc_u32_e32 v23, 0xfffffa40, v21
	;; [unrolled: 1-line block ×8, first 2 shown]
	ds_store_b32 v22, v9
	ds_store_b32 v23, v8
	;; [unrolled: 1-line block ×8, first 2 shown]
.LBB270_2126:
	s_wait_alu 0xfffe
	s_or_b32 exec_lo, exec_lo, s1
	v_lshlrev_b32_e32 v13, 2, v13
	v_cmp_eq_u32_e32 vcc_lo, 0, v31
	s_wait_loadcnt_dscnt 0x0
	s_barrier_signal -1
	s_barrier_wait -1
	v_add3_u32 v13, v80, v20, v13
	global_inv scope:SCOPE_SE
	s_and_saveexec_b32 s1, s0
	s_cbranch_execz .LBB270_2145
; %bb.2127:
	s_and_saveexec_b32 s0, vcc_lo
	s_cbranch_execnz .LBB270_2169
; %bb.2128:
	s_wait_alu 0xfffe
	s_or_b32 exec_lo, exec_lo, s0
	s_and_saveexec_b32 s0, vcc_lo
	s_cbranch_execnz .LBB270_2170
.LBB270_2129:
	s_wait_alu 0xfffe
	s_or_b32 exec_lo, exec_lo, s0
	s_and_saveexec_b32 s0, vcc_lo
	s_cbranch_execnz .LBB270_2171
.LBB270_2130:
	s_wait_alu 0xfffe
	s_or_b32 exec_lo, exec_lo, s0
	s_and_saveexec_b32 s0, vcc_lo
	s_cbranch_execnz .LBB270_2172
.LBB270_2131:
	s_wait_alu 0xfffe
	s_or_b32 exec_lo, exec_lo, s0
	s_and_saveexec_b32 s0, vcc_lo
	s_cbranch_execnz .LBB270_2173
.LBB270_2132:
	s_wait_alu 0xfffe
	s_or_b32 exec_lo, exec_lo, s0
	s_and_saveexec_b32 s0, vcc_lo
	s_cbranch_execnz .LBB270_2174
.LBB270_2133:
	s_wait_alu 0xfffe
	s_or_b32 exec_lo, exec_lo, s0
	s_and_saveexec_b32 s0, vcc_lo
	s_cbranch_execnz .LBB270_2175
.LBB270_2134:
	s_wait_alu 0xfffe
	s_or_b32 exec_lo, exec_lo, s0
	s_and_saveexec_b32 s0, vcc_lo
	s_cbranch_execnz .LBB270_2176
.LBB270_2135:
	s_wait_alu 0xfffe
	s_or_b32 exec_lo, exec_lo, s0
	s_and_saveexec_b32 s0, vcc_lo
	s_cbranch_execnz .LBB270_2177
.LBB270_2136:
	s_wait_alu 0xfffe
	s_or_b32 exec_lo, exec_lo, s0
	s_and_saveexec_b32 s0, vcc_lo
	s_cbranch_execnz .LBB270_2178
.LBB270_2137:
	s_wait_alu 0xfffe
	s_or_b32 exec_lo, exec_lo, s0
	s_and_saveexec_b32 s0, vcc_lo
	s_cbranch_execnz .LBB270_2179
.LBB270_2138:
	s_wait_alu 0xfffe
	s_or_b32 exec_lo, exec_lo, s0
	s_and_saveexec_b32 s0, vcc_lo
	s_cbranch_execnz .LBB270_2180
.LBB270_2139:
	s_wait_alu 0xfffe
	s_or_b32 exec_lo, exec_lo, s0
	s_and_saveexec_b32 s0, vcc_lo
	s_cbranch_execnz .LBB270_2181
.LBB270_2140:
	s_wait_alu 0xfffe
	s_or_b32 exec_lo, exec_lo, s0
	s_and_saveexec_b32 s0, vcc_lo
	s_cbranch_execnz .LBB270_2182
.LBB270_2141:
	s_wait_alu 0xfffe
	s_or_b32 exec_lo, exec_lo, s0
	s_and_saveexec_b32 s0, vcc_lo
	s_cbranch_execnz .LBB270_2183
.LBB270_2142:
	s_wait_alu 0xfffe
	s_or_b32 exec_lo, exec_lo, s0
	s_and_saveexec_b32 s0, vcc_lo
	s_cbranch_execz .LBB270_2144
.LBB270_2143:
	ds_load_b32 v20, v13 offset:960
	s_wait_dscnt 0x0
	v_add_f32_e32 v2, v20, v2
.LBB270_2144:
	s_wait_alu 0xfffe
	s_or_b32 exec_lo, exec_lo, s0
.LBB270_2145:
	s_wait_alu 0xfffe
	s_or_b32 exec_lo, exec_lo, s1
	v_and_b32_e32 v20, 0x3e1, v33
	s_mov_b32 s1, exec_lo
	s_wait_loadcnt 0x0
	s_barrier_signal -1
	s_barrier_wait -1
	global_inv scope:SCOPE_SE
	v_cmpx_eq_u32_e32 32, v20
	s_cbranch_execz .LBB270_2147
; %bb.2146:
	ds_store_2addr_b32 v19, v18, v17 offset1:16
	ds_store_2addr_b32 v19, v16, v15 offset0:32 offset1:48
	ds_store_2addr_b32 v19, v14, v12 offset0:64 offset1:80
	;; [unrolled: 1-line block ×7, first 2 shown]
.LBB270_2147:
	s_wait_alu 0xfffe
	s_or_b32 exec_lo, exec_lo, s1
	s_delay_alu instid0(SALU_CYCLE_1)
	s_mov_b32 s1, exec_lo
	s_wait_loadcnt_dscnt 0x0
	s_barrier_signal -1
	s_barrier_wait -1
	global_inv scope:SCOPE_SE
	v_cmpx_gt_u32_e32 32, v33
	s_cbranch_execz .LBB270_2166
; %bb.2148:
	s_and_saveexec_b32 s0, vcc_lo
	s_cbranch_execnz .LBB270_2184
; %bb.2149:
	s_wait_alu 0xfffe
	s_or_b32 exec_lo, exec_lo, s0
	s_and_saveexec_b32 s0, vcc_lo
	s_cbranch_execnz .LBB270_2185
.LBB270_2150:
	s_wait_alu 0xfffe
	s_or_b32 exec_lo, exec_lo, s0
	s_and_saveexec_b32 s0, vcc_lo
	s_cbranch_execnz .LBB270_2186
.LBB270_2151:
	s_wait_alu 0xfffe
	s_or_b32 exec_lo, exec_lo, s0
	s_and_saveexec_b32 s0, vcc_lo
	s_cbranch_execnz .LBB270_2187
.LBB270_2152:
	s_wait_alu 0xfffe
	s_or_b32 exec_lo, exec_lo, s0
	s_and_saveexec_b32 s0, vcc_lo
	s_cbranch_execnz .LBB270_2188
.LBB270_2153:
	s_wait_alu 0xfffe
	s_or_b32 exec_lo, exec_lo, s0
	s_and_saveexec_b32 s0, vcc_lo
	s_cbranch_execnz .LBB270_2189
.LBB270_2154:
	s_wait_alu 0xfffe
	s_or_b32 exec_lo, exec_lo, s0
	s_and_saveexec_b32 s0, vcc_lo
	s_cbranch_execnz .LBB270_2190
.LBB270_2155:
	s_wait_alu 0xfffe
	s_or_b32 exec_lo, exec_lo, s0
	s_and_saveexec_b32 s0, vcc_lo
	s_cbranch_execnz .LBB270_2191
.LBB270_2156:
	s_wait_alu 0xfffe
	s_or_b32 exec_lo, exec_lo, s0
	s_and_saveexec_b32 s0, vcc_lo
	s_cbranch_execnz .LBB270_2192
.LBB270_2157:
	s_wait_alu 0xfffe
	s_or_b32 exec_lo, exec_lo, s0
	s_and_saveexec_b32 s0, vcc_lo
	s_cbranch_execnz .LBB270_2193
.LBB270_2158:
	s_wait_alu 0xfffe
	s_or_b32 exec_lo, exec_lo, s0
	s_and_saveexec_b32 s0, vcc_lo
	s_cbranch_execnz .LBB270_2194
.LBB270_2159:
	s_wait_alu 0xfffe
	s_or_b32 exec_lo, exec_lo, s0
	s_and_saveexec_b32 s0, vcc_lo
	s_cbranch_execnz .LBB270_2195
.LBB270_2160:
	s_wait_alu 0xfffe
	s_or_b32 exec_lo, exec_lo, s0
	s_and_saveexec_b32 s0, vcc_lo
	s_cbranch_execnz .LBB270_2196
.LBB270_2161:
	s_wait_alu 0xfffe
	s_or_b32 exec_lo, exec_lo, s0
	s_and_saveexec_b32 s0, vcc_lo
	s_cbranch_execnz .LBB270_2197
.LBB270_2162:
	s_wait_alu 0xfffe
	s_or_b32 exec_lo, exec_lo, s0
	s_and_saveexec_b32 s0, vcc_lo
	s_cbranch_execnz .LBB270_2198
.LBB270_2163:
	s_wait_alu 0xfffe
	s_or_b32 exec_lo, exec_lo, s0
	s_and_saveexec_b32 s0, vcc_lo
	s_cbranch_execz .LBB270_2165
.LBB270_2164:
	ds_load_b32 v13, v13 offset:960
	s_wait_dscnt 0x0
	v_add_f32_e32 v2, v13, v2
.LBB270_2165:
	s_wait_alu 0xfffe
	s_or_b32 exec_lo, exec_lo, s0
.LBB270_2166:
	s_wait_alu 0xfffe
	s_or_b32 exec_lo, exec_lo, s1
	v_cmp_eq_u32_e32 vcc_lo, 0, v20
	s_wait_loadcnt 0x0
	s_barrier_signal -1
	s_barrier_wait -1
	global_inv scope:SCOPE_SE
	s_and_b32 exec_lo, exec_lo, vcc_lo
	s_cbranch_execz .LBB270_2168
; %bb.2167:
	s_lshl_b32 s0, s2, 8
	s_mul_i32 s2, s6, s7
	s_wait_alu 0xfffe
	s_ashr_i32 s1, s0, 31
	s_ashr_i32 s3, s2, 31
	s_wait_alu 0xfffe
	s_lshl_b64 s[0:1], s[0:1], 1
	v_lshlrev_b32_e32 v13, 1, v32
	s_wait_alu 0xfffe
	v_add_co_u32 v4, vcc_lo, v4, s0
	s_wait_alu 0xfffd
	v_add_co_ci_u32_e64 v5, null, s1, v5, vcc_lo
	s_lshl_b64 s[0:1], s[2:3], 1
	s_wait_alu 0xfffe
	v_add_co_u32 v4, vcc_lo, v4, s0
	s_wait_alu 0xfffd
	v_add_co_ci_u32_e64 v5, null, s1, v5, vcc_lo
	s_delay_alu instid0(VALU_DEP_2) | instskip(SKIP_1) | instid1(VALU_DEP_2)
	v_add_co_u32 v4, vcc_lo, v4, s13
	s_wait_alu 0xfffd
	v_add_co_ci_u32_e64 v5, null, 0, v5, vcc_lo
	s_delay_alu instid0(VALU_DEP_2) | instskip(SKIP_1) | instid1(VALU_DEP_2)
	v_add_co_u32 v4, vcc_lo, v4, v13
	s_wait_alu 0xfffd
	v_add_co_ci_u32_e64 v5, null, 0, v5, vcc_lo
	;;#ASMSTART
	v_cvt_f16_f32 v13, v18;

	;;#ASMEND
	flat_store_b16 v[4:5], v13
	;;#ASMSTART
	v_cvt_f16_f32 v13, v17;

	;;#ASMEND
	flat_store_b16 v[4:5], v13 offset:32
	;;#ASMSTART
	v_cvt_f16_f32 v13, v16;

	;;#ASMEND
	flat_store_b16 v[4:5], v13 offset:64
	;; [unrolled: 5-line block ×15, first 2 shown]
.LBB270_2168:
	s_wait_alu 0xfffe
	s_or_b32 exec_lo, exec_lo, s12
	s_clause 0x1f
	scratch_load_b32 v190, off, s32 offset:8
	scratch_load_b32 v189, off, s32 offset:12
	;; [unrolled: 1-line block ×32, first 2 shown]
	s_clause 0x1f
	scratch_load_b32 v126, off, s32 offset:136
	scratch_load_b32 v125, off, s32 offset:140
	scratch_load_b32 v124, off, s32 offset:144
	scratch_load_b32 v123, off, s32 offset:148
	scratch_load_b32 v122, off, s32 offset:152
	scratch_load_b32 v121, off, s32 offset:156
	scratch_load_b32 v120, off, s32 offset:160
	scratch_load_b32 v111, off, s32 offset:164
	scratch_load_b32 v110, off, s32 offset:168
	scratch_load_b32 v109, off, s32 offset:172
	scratch_load_b32 v108, off, s32 offset:176
	scratch_load_b32 v107, off, s32 offset:180
	scratch_load_b32 v106, off, s32 offset:184
	scratch_load_b32 v105, off, s32 offset:188
	scratch_load_b32 v104, off, s32 offset:192
	scratch_load_b32 v95, off, s32 offset:196
	scratch_load_b32 v94, off, s32 offset:200
	scratch_load_b32 v93, off, s32 offset:204
	scratch_load_b32 v92, off, s32 offset:208
	scratch_load_b32 v91, off, s32 offset:212
	scratch_load_b32 v90, off, s32 offset:216
	scratch_load_b32 v89, off, s32 offset:220
	scratch_load_b32 v88, off, s32 offset:224
	scratch_load_b32 v79, off, s32 offset:228
	scratch_load_b32 v78, off, s32 offset:232
	scratch_load_b32 v77, off, s32 offset:236
	scratch_load_b32 v76, off, s32 offset:240
	scratch_load_b32 v75, off, s32 offset:244
	scratch_load_b32 v74, off, s32 offset:248
	scratch_load_b32 v73, off, s32 offset:252
	scratch_load_b32 v72, off, s32 offset:256
	scratch_load_b32 v63, off, s32 offset:260
	s_clause 0xe
	scratch_load_b32 v62, off, s32 offset:264
	scratch_load_b32 v61, off, s32 offset:268
	;; [unrolled: 1-line block ×15, first 2 shown]
	s_wait_loadcnt_dscnt 0x0
	s_setpc_b64 s[30:31]
.LBB270_2169:
	ds_load_b32 v20, v13
	s_wait_dscnt 0x0
	v_add_f32_e32 v18, v20, v18
	s_wait_alu 0xfffe
	s_or_b32 exec_lo, exec_lo, s0
	s_and_saveexec_b32 s0, vcc_lo
	s_cbranch_execz .LBB270_2129
.LBB270_2170:
	ds_load_b32 v20, v13 offset:64
	s_wait_dscnt 0x0
	v_add_f32_e32 v17, v20, v17
	s_wait_alu 0xfffe
	s_or_b32 exec_lo, exec_lo, s0
	s_and_saveexec_b32 s0, vcc_lo
	s_cbranch_execz .LBB270_2130
.LBB270_2171:
	ds_load_b32 v20, v13 offset:128
	s_wait_dscnt 0x0
	v_add_f32_e32 v16, v20, v16
	s_wait_alu 0xfffe
	s_or_b32 exec_lo, exec_lo, s0
	s_and_saveexec_b32 s0, vcc_lo
	s_cbranch_execz .LBB270_2131
.LBB270_2172:
	ds_load_b32 v20, v13 offset:192
	s_wait_dscnt 0x0
	v_add_f32_e32 v15, v20, v15
	s_wait_alu 0xfffe
	s_or_b32 exec_lo, exec_lo, s0
	s_and_saveexec_b32 s0, vcc_lo
	s_cbranch_execz .LBB270_2132
.LBB270_2173:
	ds_load_b32 v20, v13 offset:256
	s_wait_dscnt 0x0
	v_add_f32_e32 v14, v20, v14
	s_wait_alu 0xfffe
	s_or_b32 exec_lo, exec_lo, s0
	s_and_saveexec_b32 s0, vcc_lo
	s_cbranch_execz .LBB270_2133
.LBB270_2174:
	ds_load_b32 v20, v13 offset:320
	s_wait_dscnt 0x0
	v_add_f32_e32 v12, v20, v12
	s_wait_alu 0xfffe
	s_or_b32 exec_lo, exec_lo, s0
	s_and_saveexec_b32 s0, vcc_lo
	s_cbranch_execz .LBB270_2134
.LBB270_2175:
	ds_load_b32 v20, v13 offset:384
	s_wait_dscnt 0x0
	v_add_f32_e32 v11, v20, v11
	s_wait_alu 0xfffe
	s_or_b32 exec_lo, exec_lo, s0
	s_and_saveexec_b32 s0, vcc_lo
	s_cbranch_execz .LBB270_2135
.LBB270_2176:
	ds_load_b32 v20, v13 offset:448
	s_wait_dscnt 0x0
	v_add_f32_e32 v10, v20, v10
	s_wait_alu 0xfffe
	s_or_b32 exec_lo, exec_lo, s0
	s_and_saveexec_b32 s0, vcc_lo
	s_cbranch_execz .LBB270_2136
.LBB270_2177:
	ds_load_b32 v20, v13 offset:512
	s_wait_dscnt 0x0
	v_add_f32_e32 v9, v20, v9
	s_wait_alu 0xfffe
	s_or_b32 exec_lo, exec_lo, s0
	s_and_saveexec_b32 s0, vcc_lo
	s_cbranch_execz .LBB270_2137
.LBB270_2178:
	ds_load_b32 v20, v13 offset:576
	s_wait_dscnt 0x0
	v_add_f32_e32 v8, v20, v8
	s_wait_alu 0xfffe
	s_or_b32 exec_lo, exec_lo, s0
	s_and_saveexec_b32 s0, vcc_lo
	s_cbranch_execz .LBB270_2138
.LBB270_2179:
	ds_load_b32 v20, v13 offset:640
	s_wait_dscnt 0x0
	v_add_f32_e32 v3, v20, v3
	s_wait_alu 0xfffe
	s_or_b32 exec_lo, exec_lo, s0
	s_and_saveexec_b32 s0, vcc_lo
	s_cbranch_execz .LBB270_2139
.LBB270_2180:
	ds_load_b32 v20, v13 offset:704
	s_wait_dscnt 0x0
	v_add_f32_e32 v1, v20, v1
	s_wait_alu 0xfffe
	s_or_b32 exec_lo, exec_lo, s0
	s_and_saveexec_b32 s0, vcc_lo
	s_cbranch_execz .LBB270_2140
.LBB270_2181:
	ds_load_b32 v20, v13 offset:768
	s_wait_dscnt 0x0
	v_add_f32_e32 v0, v20, v0
	s_wait_alu 0xfffe
	s_or_b32 exec_lo, exec_lo, s0
	s_and_saveexec_b32 s0, vcc_lo
	s_cbranch_execz .LBB270_2141
.LBB270_2182:
	ds_load_b32 v20, v13 offset:832
	s_wait_dscnt 0x0
	v_add_f32_e32 v6, v20, v6
	s_wait_alu 0xfffe
	s_or_b32 exec_lo, exec_lo, s0
	s_and_saveexec_b32 s0, vcc_lo
	s_cbranch_execz .LBB270_2142
.LBB270_2183:
	ds_load_b32 v20, v13 offset:896
	s_wait_dscnt 0x0
	v_add_f32_e32 v7, v20, v7
	s_wait_alu 0xfffe
	s_or_b32 exec_lo, exec_lo, s0
	s_and_saveexec_b32 s0, vcc_lo
	s_cbranch_execnz .LBB270_2143
	s_branch .LBB270_2144
.LBB270_2184:
	ds_load_b32 v19, v13
	s_wait_dscnt 0x0
	v_add_f32_e32 v18, v19, v18
	s_wait_alu 0xfffe
	s_or_b32 exec_lo, exec_lo, s0
	s_and_saveexec_b32 s0, vcc_lo
	s_cbranch_execz .LBB270_2150
.LBB270_2185:
	ds_load_b32 v19, v13 offset:64
	s_wait_dscnt 0x0
	v_add_f32_e32 v17, v19, v17
	s_wait_alu 0xfffe
	s_or_b32 exec_lo, exec_lo, s0
	s_and_saveexec_b32 s0, vcc_lo
	s_cbranch_execz .LBB270_2151
.LBB270_2186:
	ds_load_b32 v19, v13 offset:128
	s_wait_dscnt 0x0
	v_add_f32_e32 v16, v19, v16
	s_wait_alu 0xfffe
	s_or_b32 exec_lo, exec_lo, s0
	s_and_saveexec_b32 s0, vcc_lo
	s_cbranch_execz .LBB270_2152
.LBB270_2187:
	ds_load_b32 v19, v13 offset:192
	s_wait_dscnt 0x0
	v_add_f32_e32 v15, v19, v15
	s_wait_alu 0xfffe
	s_or_b32 exec_lo, exec_lo, s0
	s_and_saveexec_b32 s0, vcc_lo
	s_cbranch_execz .LBB270_2153
.LBB270_2188:
	ds_load_b32 v19, v13 offset:256
	s_wait_dscnt 0x0
	v_add_f32_e32 v14, v19, v14
	s_wait_alu 0xfffe
	s_or_b32 exec_lo, exec_lo, s0
	s_and_saveexec_b32 s0, vcc_lo
	s_cbranch_execz .LBB270_2154
.LBB270_2189:
	ds_load_b32 v19, v13 offset:320
	s_wait_dscnt 0x0
	v_add_f32_e32 v12, v19, v12
	s_wait_alu 0xfffe
	s_or_b32 exec_lo, exec_lo, s0
	s_and_saveexec_b32 s0, vcc_lo
	s_cbranch_execz .LBB270_2155
.LBB270_2190:
	ds_load_b32 v19, v13 offset:384
	s_wait_dscnt 0x0
	v_add_f32_e32 v11, v19, v11
	s_wait_alu 0xfffe
	s_or_b32 exec_lo, exec_lo, s0
	s_and_saveexec_b32 s0, vcc_lo
	s_cbranch_execz .LBB270_2156
.LBB270_2191:
	ds_load_b32 v19, v13 offset:448
	s_wait_dscnt 0x0
	v_add_f32_e32 v10, v19, v10
	s_wait_alu 0xfffe
	s_or_b32 exec_lo, exec_lo, s0
	s_and_saveexec_b32 s0, vcc_lo
	s_cbranch_execz .LBB270_2157
.LBB270_2192:
	ds_load_b32 v19, v13 offset:512
	s_wait_dscnt 0x0
	v_add_f32_e32 v9, v19, v9
	s_wait_alu 0xfffe
	s_or_b32 exec_lo, exec_lo, s0
	s_and_saveexec_b32 s0, vcc_lo
	s_cbranch_execz .LBB270_2158
.LBB270_2193:
	ds_load_b32 v19, v13 offset:576
	s_wait_dscnt 0x0
	v_add_f32_e32 v8, v19, v8
	s_wait_alu 0xfffe
	s_or_b32 exec_lo, exec_lo, s0
	s_and_saveexec_b32 s0, vcc_lo
	s_cbranch_execz .LBB270_2159
.LBB270_2194:
	ds_load_b32 v19, v13 offset:640
	s_wait_dscnt 0x0
	v_add_f32_e32 v3, v19, v3
	s_wait_alu 0xfffe
	s_or_b32 exec_lo, exec_lo, s0
	s_and_saveexec_b32 s0, vcc_lo
	s_cbranch_execz .LBB270_2160
.LBB270_2195:
	ds_load_b32 v19, v13 offset:704
	s_wait_dscnt 0x0
	v_add_f32_e32 v1, v19, v1
	s_wait_alu 0xfffe
	s_or_b32 exec_lo, exec_lo, s0
	s_and_saveexec_b32 s0, vcc_lo
	s_cbranch_execz .LBB270_2161
.LBB270_2196:
	ds_load_b32 v19, v13 offset:768
	s_wait_dscnt 0x0
	v_add_f32_e32 v0, v19, v0
	s_wait_alu 0xfffe
	s_or_b32 exec_lo, exec_lo, s0
	s_and_saveexec_b32 s0, vcc_lo
	s_cbranch_execz .LBB270_2162
.LBB270_2197:
	ds_load_b32 v19, v13 offset:832
	s_wait_dscnt 0x0
	v_add_f32_e32 v6, v19, v6
	s_wait_alu 0xfffe
	s_or_b32 exec_lo, exec_lo, s0
	s_and_saveexec_b32 s0, vcc_lo
	s_cbranch_execz .LBB270_2163
.LBB270_2198:
	ds_load_b32 v19, v13 offset:896
	s_wait_dscnt 0x0
	v_add_f32_e32 v7, v19, v7
	s_wait_alu 0xfffe
	s_or_b32 exec_lo, exec_lo, s0
	s_and_saveexec_b32 s0, vcc_lo
	s_cbranch_execnz .LBB270_2164
	s_branch .LBB270_2165
.Lfunc_end270:
	.size	_ZN4vllm22paged_attention_kernelIthLi256ELi16ELi128ELNS_18Fp8KVCacheDataTypeE1ELb1ELi512EEEvPfS2_PT_PKS3_PKT0_S9_ifPKiSB_iPKfiiiSD_SD_iiiii, .Lfunc_end270-_ZN4vllm22paged_attention_kernelIthLi256ELi16ELi128ELNS_18Fp8KVCacheDataTypeE1ELb1ELi512EEEvPfS2_PT_PKS3_PKT0_S9_ifPKiSB_iPKfiiiSD_SD_iiiii
                                        ; -- End function
	.set .L_ZN4vllm22paged_attention_kernelIthLi256ELi16ELi128ELNS_18Fp8KVCacheDataTypeE1ELb1ELi512EEEvPfS2_PT_PKS3_PKT0_S9_ifPKiSB_iPKfiiiSD_SD_iiiii.num_vgpr, 191
	.set .L_ZN4vllm22paged_attention_kernelIthLi256ELi16ELi128ELNS_18Fp8KVCacheDataTypeE1ELb1ELi512EEEvPfS2_PT_PKS3_PKT0_S9_ifPKiSB_iPKfiiiSD_SD_iiiii.num_agpr, 0
	.set .L_ZN4vllm22paged_attention_kernelIthLi256ELi16ELi128ELNS_18Fp8KVCacheDataTypeE1ELb1ELi512EEEvPfS2_PT_PKS3_PKT0_S9_ifPKiSB_iPKfiiiSD_SD_iiiii.numbered_sgpr, 33
	.set .L_ZN4vllm22paged_attention_kernelIthLi256ELi16ELi128ELNS_18Fp8KVCacheDataTypeE1ELb1ELi512EEEvPfS2_PT_PKS3_PKT0_S9_ifPKiSB_iPKfiiiSD_SD_iiiii.num_named_barrier, 0
	.set .L_ZN4vllm22paged_attention_kernelIthLi256ELi16ELi128ELNS_18Fp8KVCacheDataTypeE1ELb1ELi512EEEvPfS2_PT_PKS3_PKT0_S9_ifPKiSB_iPKfiiiSD_SD_iiiii.private_seg_size, 328
	.set .L_ZN4vllm22paged_attention_kernelIthLi256ELi16ELi128ELNS_18Fp8KVCacheDataTypeE1ELb1ELi512EEEvPfS2_PT_PKS3_PKT0_S9_ifPKiSB_iPKfiiiSD_SD_iiiii.uses_vcc, 1
	.set .L_ZN4vllm22paged_attention_kernelIthLi256ELi16ELi128ELNS_18Fp8KVCacheDataTypeE1ELb1ELi512EEEvPfS2_PT_PKS3_PKT0_S9_ifPKiSB_iPKfiiiSD_SD_iiiii.uses_flat_scratch, 1
	.set .L_ZN4vllm22paged_attention_kernelIthLi256ELi16ELi128ELNS_18Fp8KVCacheDataTypeE1ELb1ELi512EEEvPfS2_PT_PKS3_PKT0_S9_ifPKiSB_iPKfiiiSD_SD_iiiii.has_dyn_sized_stack, 0
	.set .L_ZN4vllm22paged_attention_kernelIthLi256ELi16ELi128ELNS_18Fp8KVCacheDataTypeE1ELb1ELi512EEEvPfS2_PT_PKS3_PKT0_S9_ifPKiSB_iPKfiiiSD_SD_iiiii.has_recursion, 0
	.set .L_ZN4vllm22paged_attention_kernelIthLi256ELi16ELi128ELNS_18Fp8KVCacheDataTypeE1ELb1ELi512EEEvPfS2_PT_PKS3_PKT0_S9_ifPKiSB_iPKfiiiSD_SD_iiiii.has_indirect_call, 0
	.section	.AMDGPU.csdata,"",@progbits
; Function info:
; codeLenInByte = 85864
; TotalNumSgprs: 35
; NumVgprs: 191
; ScratchSize: 328
; MemoryBound: 0
	.section	.text._ZN4vllm25paged_attention_v2_kernelIthLi256ELi16ELi128ELNS_18Fp8KVCacheDataTypeE1ELb1ELi512EEEvPfS2_PT_PKS3_PKT0_S9_ifPKiSB_iPKfiiiSD_SD_iiiii,"axG",@progbits,_ZN4vllm25paged_attention_v2_kernelIthLi256ELi16ELi128ELNS_18Fp8KVCacheDataTypeE1ELb1ELi512EEEvPfS2_PT_PKS3_PKT0_S9_ifPKiSB_iPKfiiiSD_SD_iiiii,comdat
	.protected	_ZN4vllm25paged_attention_v2_kernelIthLi256ELi16ELi128ELNS_18Fp8KVCacheDataTypeE1ELb1ELi512EEEvPfS2_PT_PKS3_PKT0_S9_ifPKiSB_iPKfiiiSD_SD_iiiii ; -- Begin function _ZN4vllm25paged_attention_v2_kernelIthLi256ELi16ELi128ELNS_18Fp8KVCacheDataTypeE1ELb1ELi512EEEvPfS2_PT_PKS3_PKT0_S9_ifPKiSB_iPKfiiiSD_SD_iiiii
	.globl	_ZN4vllm25paged_attention_v2_kernelIthLi256ELi16ELi128ELNS_18Fp8KVCacheDataTypeE1ELb1ELi512EEEvPfS2_PT_PKS3_PKT0_S9_ifPKiSB_iPKfiiiSD_SD_iiiii
	.p2align	8
	.type	_ZN4vllm25paged_attention_v2_kernelIthLi256ELi16ELi128ELNS_18Fp8KVCacheDataTypeE1ELb1ELi512EEEvPfS2_PT_PKS3_PKT0_S9_ifPKiSB_iPKfiiiSD_SD_iiiii,@function
_ZN4vllm25paged_attention_v2_kernelIthLi256ELi16ELi128ELNS_18Fp8KVCacheDataTypeE1ELb1ELi512EEEvPfS2_PT_PKS3_PKT0_S9_ifPKiSB_iPKfiiiSD_SD_iiiii: ; @_ZN4vllm25paged_attention_v2_kernelIthLi256ELi16ELi128ELNS_18Fp8KVCacheDataTypeE1ELb1ELi512EEEvPfS2_PT_PKS3_PKT0_S9_ifPKiSB_iPKfiiiSD_SD_iiiii
; %bb.0:
	s_clause 0x3
	s_load_b256 s[12:19], s[0:1], 0x68
	s_load_b32 s4, s[0:1], 0x88
	s_load_b256 s[20:27], s[0:1], 0x0
	s_load_b256 s[36:43], s[0:1], 0x20
	s_mov_b32 s32, 0
	v_mov_b32_e32 v31, v0
	s_getpc_b64 s[2:3]
	s_sext_i32_i16 s3, s3
	s_add_co_u32 s2, s2, _ZN4vllm22paged_attention_kernelIthLi256ELi16ELi128ELNS_18Fp8KVCacheDataTypeE1ELb1ELi512EEEvPfS2_PT_PKS3_PKT0_S9_ifPKiSB_iPKfiiiSD_SD_iiiii@rel32@lo+8
	s_add_co_ci_u32 s3, s3, _ZN4vllm22paged_attention_kernelIthLi256ELi16ELi128ELNS_18Fp8KVCacheDataTypeE1ELb1ELi512EEEvPfS2_PT_PKS3_PKT0_S9_ifPKiSB_iPKfiiiSD_SD_iiiii@rel32@hi+16
	s_add_nc_u64 s[8:9], s[0:1], 0x90
	s_wait_kmcnt 0x0
	v_dual_mov_b32 v1, s19 :: v_dual_mov_b32 v2, s4
	s_clause 0x2
	s_load_b96 s[4:6], s[0:1], 0x40
	s_load_b64 s[10:11], s[0:1], 0x50
	s_load_b96 s[28:30], s[0:1], 0x58
	v_dual_mov_b32 v0, s20 :: v_dual_mov_b32 v3, s23
	v_mov_b32_e32 v4, s24
	scratch_store_b64 off, v[1:2], s32
	v_dual_mov_b32 v1, s21 :: v_dual_mov_b32 v2, s22
	v_dual_mov_b32 v5, s25 :: v_dual_mov_b32 v6, s26
	;; [unrolled: 1-line block ×6, first 2 shown]
	s_wait_kmcnt 0x0
	v_dual_mov_b32 v15, s43 :: v_dual_mov_b32 v16, s4
	v_dual_mov_b32 v17, s5 :: v_dual_mov_b32 v18, s6
	;; [unrolled: 1-line block ×8, first 2 shown]
	s_mov_b32 s15, 11
	s_wait_alu 0xfffe
	s_swappc_b64 s[30:31], s[2:3]
	s_endpgm
	.section	.rodata,"a",@progbits
	.p2align	6, 0x0
	.amdhsa_kernel _ZN4vllm25paged_attention_v2_kernelIthLi256ELi16ELi128ELNS_18Fp8KVCacheDataTypeE1ELb1ELi512EEEvPfS2_PT_PKS3_PKT0_S9_ifPKiSB_iPKfiiiSD_SD_iiiii
		.amdhsa_group_segment_fixed_size 544
		.amdhsa_private_segment_fixed_size 328
		.amdhsa_kernarg_size 400
		.amdhsa_user_sgpr_count 2
		.amdhsa_user_sgpr_dispatch_ptr 0
		.amdhsa_user_sgpr_queue_ptr 0
		.amdhsa_user_sgpr_kernarg_segment_ptr 1
		.amdhsa_user_sgpr_dispatch_id 0
		.amdhsa_user_sgpr_private_segment_size 0
		.amdhsa_wavefront_size32 1
		.amdhsa_uses_dynamic_stack 0
		.amdhsa_enable_private_segment 1
		.amdhsa_system_sgpr_workgroup_id_x 1
		.amdhsa_system_sgpr_workgroup_id_y 1
		.amdhsa_system_sgpr_workgroup_id_z 1
		.amdhsa_system_sgpr_workgroup_info 0
		.amdhsa_system_vgpr_workitem_id 0
		.amdhsa_next_free_vgpr 191
		.amdhsa_next_free_sgpr 44
		.amdhsa_reserve_vcc 1
		.amdhsa_float_round_mode_32 0
		.amdhsa_float_round_mode_16_64 0
		.amdhsa_float_denorm_mode_32 3
		.amdhsa_float_denorm_mode_16_64 3
		.amdhsa_fp16_overflow 0
		.amdhsa_workgroup_processor_mode 1
		.amdhsa_memory_ordered 1
		.amdhsa_forward_progress 1
		.amdhsa_inst_pref_size 3
		.amdhsa_round_robin_scheduling 0
		.amdhsa_exception_fp_ieee_invalid_op 0
		.amdhsa_exception_fp_denorm_src 0
		.amdhsa_exception_fp_ieee_div_zero 0
		.amdhsa_exception_fp_ieee_overflow 0
		.amdhsa_exception_fp_ieee_underflow 0
		.amdhsa_exception_fp_ieee_inexact 0
		.amdhsa_exception_int_div_zero 0
	.end_amdhsa_kernel
	.section	.text._ZN4vllm25paged_attention_v2_kernelIthLi256ELi16ELi128ELNS_18Fp8KVCacheDataTypeE1ELb1ELi512EEEvPfS2_PT_PKS3_PKT0_S9_ifPKiSB_iPKfiiiSD_SD_iiiii,"axG",@progbits,_ZN4vllm25paged_attention_v2_kernelIthLi256ELi16ELi128ELNS_18Fp8KVCacheDataTypeE1ELb1ELi512EEEvPfS2_PT_PKS3_PKT0_S9_ifPKiSB_iPKfiiiSD_SD_iiiii,comdat
.Lfunc_end271:
	.size	_ZN4vllm25paged_attention_v2_kernelIthLi256ELi16ELi128ELNS_18Fp8KVCacheDataTypeE1ELb1ELi512EEEvPfS2_PT_PKS3_PKT0_S9_ifPKiSB_iPKfiiiSD_SD_iiiii, .Lfunc_end271-_ZN4vllm25paged_attention_v2_kernelIthLi256ELi16ELi128ELNS_18Fp8KVCacheDataTypeE1ELb1ELi512EEEvPfS2_PT_PKS3_PKT0_S9_ifPKiSB_iPKfiiiSD_SD_iiiii
                                        ; -- End function
	.set _ZN4vllm25paged_attention_v2_kernelIthLi256ELi16ELi128ELNS_18Fp8KVCacheDataTypeE1ELb1ELi512EEEvPfS2_PT_PKS3_PKT0_S9_ifPKiSB_iPKfiiiSD_SD_iiiii.num_vgpr, max(32, .L_ZN4vllm22paged_attention_kernelIthLi256ELi16ELi128ELNS_18Fp8KVCacheDataTypeE1ELb1ELi512EEEvPfS2_PT_PKS3_PKT0_S9_ifPKiSB_iPKfiiiSD_SD_iiiii.num_vgpr)
	.set _ZN4vllm25paged_attention_v2_kernelIthLi256ELi16ELi128ELNS_18Fp8KVCacheDataTypeE1ELb1ELi512EEEvPfS2_PT_PKS3_PKT0_S9_ifPKiSB_iPKfiiiSD_SD_iiiii.num_agpr, max(0, .L_ZN4vllm22paged_attention_kernelIthLi256ELi16ELi128ELNS_18Fp8KVCacheDataTypeE1ELb1ELi512EEEvPfS2_PT_PKS3_PKT0_S9_ifPKiSB_iPKfiiiSD_SD_iiiii.num_agpr)
	.set _ZN4vllm25paged_attention_v2_kernelIthLi256ELi16ELi128ELNS_18Fp8KVCacheDataTypeE1ELb1ELi512EEEvPfS2_PT_PKS3_PKT0_S9_ifPKiSB_iPKfiiiSD_SD_iiiii.numbered_sgpr, max(44, .L_ZN4vllm22paged_attention_kernelIthLi256ELi16ELi128ELNS_18Fp8KVCacheDataTypeE1ELb1ELi512EEEvPfS2_PT_PKS3_PKT0_S9_ifPKiSB_iPKfiiiSD_SD_iiiii.numbered_sgpr)
	.set _ZN4vllm25paged_attention_v2_kernelIthLi256ELi16ELi128ELNS_18Fp8KVCacheDataTypeE1ELb1ELi512EEEvPfS2_PT_PKS3_PKT0_S9_ifPKiSB_iPKfiiiSD_SD_iiiii.num_named_barrier, max(0, .L_ZN4vllm22paged_attention_kernelIthLi256ELi16ELi128ELNS_18Fp8KVCacheDataTypeE1ELb1ELi512EEEvPfS2_PT_PKS3_PKT0_S9_ifPKiSB_iPKfiiiSD_SD_iiiii.num_named_barrier)
	.set _ZN4vllm25paged_attention_v2_kernelIthLi256ELi16ELi128ELNS_18Fp8KVCacheDataTypeE1ELb1ELi512EEEvPfS2_PT_PKS3_PKT0_S9_ifPKiSB_iPKfiiiSD_SD_iiiii.private_seg_size, 0+max(.L_ZN4vllm22paged_attention_kernelIthLi256ELi16ELi128ELNS_18Fp8KVCacheDataTypeE1ELb1ELi512EEEvPfS2_PT_PKS3_PKT0_S9_ifPKiSB_iPKfiiiSD_SD_iiiii.private_seg_size)
	.set _ZN4vllm25paged_attention_v2_kernelIthLi256ELi16ELi128ELNS_18Fp8KVCacheDataTypeE1ELb1ELi512EEEvPfS2_PT_PKS3_PKT0_S9_ifPKiSB_iPKfiiiSD_SD_iiiii.uses_vcc, or(1, .L_ZN4vllm22paged_attention_kernelIthLi256ELi16ELi128ELNS_18Fp8KVCacheDataTypeE1ELb1ELi512EEEvPfS2_PT_PKS3_PKT0_S9_ifPKiSB_iPKfiiiSD_SD_iiiii.uses_vcc)
	.set _ZN4vllm25paged_attention_v2_kernelIthLi256ELi16ELi128ELNS_18Fp8KVCacheDataTypeE1ELb1ELi512EEEvPfS2_PT_PKS3_PKT0_S9_ifPKiSB_iPKfiiiSD_SD_iiiii.uses_flat_scratch, or(0, .L_ZN4vllm22paged_attention_kernelIthLi256ELi16ELi128ELNS_18Fp8KVCacheDataTypeE1ELb1ELi512EEEvPfS2_PT_PKS3_PKT0_S9_ifPKiSB_iPKfiiiSD_SD_iiiii.uses_flat_scratch)
	.set _ZN4vllm25paged_attention_v2_kernelIthLi256ELi16ELi128ELNS_18Fp8KVCacheDataTypeE1ELb1ELi512EEEvPfS2_PT_PKS3_PKT0_S9_ifPKiSB_iPKfiiiSD_SD_iiiii.has_dyn_sized_stack, or(0, .L_ZN4vllm22paged_attention_kernelIthLi256ELi16ELi128ELNS_18Fp8KVCacheDataTypeE1ELb1ELi512EEEvPfS2_PT_PKS3_PKT0_S9_ifPKiSB_iPKfiiiSD_SD_iiiii.has_dyn_sized_stack)
	.set _ZN4vllm25paged_attention_v2_kernelIthLi256ELi16ELi128ELNS_18Fp8KVCacheDataTypeE1ELb1ELi512EEEvPfS2_PT_PKS3_PKT0_S9_ifPKiSB_iPKfiiiSD_SD_iiiii.has_recursion, or(0, .L_ZN4vllm22paged_attention_kernelIthLi256ELi16ELi128ELNS_18Fp8KVCacheDataTypeE1ELb1ELi512EEEvPfS2_PT_PKS3_PKT0_S9_ifPKiSB_iPKfiiiSD_SD_iiiii.has_recursion)
	.set _ZN4vllm25paged_attention_v2_kernelIthLi256ELi16ELi128ELNS_18Fp8KVCacheDataTypeE1ELb1ELi512EEEvPfS2_PT_PKS3_PKT0_S9_ifPKiSB_iPKfiiiSD_SD_iiiii.has_indirect_call, or(0, .L_ZN4vllm22paged_attention_kernelIthLi256ELi16ELi128ELNS_18Fp8KVCacheDataTypeE1ELb1ELi512EEEvPfS2_PT_PKS3_PKT0_S9_ifPKiSB_iPKfiiiSD_SD_iiiii.has_indirect_call)
	.section	.AMDGPU.csdata,"",@progbits
; Kernel info:
; codeLenInByte = 272
; TotalNumSgprs: 46
; NumVgprs: 191
; ScratchSize: 328
; MemoryBound: 0
; FloatMode: 240
; IeeeMode: 1
; LDSByteSize: 544 bytes/workgroup (compile time only)
; SGPRBlocks: 0
; VGPRBlocks: 23
; NumSGPRsForWavesPerEU: 46
; NumVGPRsForWavesPerEU: 191
; Occupancy: 8
; WaveLimiterHint : 1
; COMPUTE_PGM_RSRC2:SCRATCH_EN: 1
; COMPUTE_PGM_RSRC2:USER_SGPR: 2
; COMPUTE_PGM_RSRC2:TRAP_HANDLER: 0
; COMPUTE_PGM_RSRC2:TGID_X_EN: 1
; COMPUTE_PGM_RSRC2:TGID_Y_EN: 1
; COMPUTE_PGM_RSRC2:TGID_Z_EN: 1
; COMPUTE_PGM_RSRC2:TIDIG_COMP_CNT: 0
	.section	.text._ZN4vllm25paged_attention_v2_kernelIthLi32ELi16ELi128ELNS_18Fp8KVCacheDataTypeE1ELb0ELi512EEEvPfS2_PT_PKS3_PKT0_S9_ifPKiSB_iPKfiiiSD_SD_iiiii,"axG",@progbits,_ZN4vllm25paged_attention_v2_kernelIthLi32ELi16ELi128ELNS_18Fp8KVCacheDataTypeE1ELb0ELi512EEEvPfS2_PT_PKS3_PKT0_S9_ifPKiSB_iPKfiiiSD_SD_iiiii,comdat
	.protected	_ZN4vllm25paged_attention_v2_kernelIthLi32ELi16ELi128ELNS_18Fp8KVCacheDataTypeE1ELb0ELi512EEEvPfS2_PT_PKS3_PKT0_S9_ifPKiSB_iPKfiiiSD_SD_iiiii ; -- Begin function _ZN4vllm25paged_attention_v2_kernelIthLi32ELi16ELi128ELNS_18Fp8KVCacheDataTypeE1ELb0ELi512EEEvPfS2_PT_PKS3_PKT0_S9_ifPKiSB_iPKfiiiSD_SD_iiiii
	.globl	_ZN4vllm25paged_attention_v2_kernelIthLi32ELi16ELi128ELNS_18Fp8KVCacheDataTypeE1ELb0ELi512EEEvPfS2_PT_PKS3_PKT0_S9_ifPKiSB_iPKfiiiSD_SD_iiiii
	.p2align	8
	.type	_ZN4vllm25paged_attention_v2_kernelIthLi32ELi16ELi128ELNS_18Fp8KVCacheDataTypeE1ELb0ELi512EEEvPfS2_PT_PKS3_PKT0_S9_ifPKiSB_iPKfiiiSD_SD_iiiii,@function
_ZN4vllm25paged_attention_v2_kernelIthLi32ELi16ELi128ELNS_18Fp8KVCacheDataTypeE1ELb0ELi512EEEvPfS2_PT_PKS3_PKT0_S9_ifPKiSB_iPKfiiiSD_SD_iiiii: ; @_ZN4vllm25paged_attention_v2_kernelIthLi32ELi16ELi128ELNS_18Fp8KVCacheDataTypeE1ELb0ELi512EEEvPfS2_PT_PKS3_PKT0_S9_ifPKiSB_iPKfiiiSD_SD_iiiii
; %bb.0:
	s_load_b64 s[2:3], s[0:1], 0x40
	s_and_b32 s22, ttmp7, 0xffff
	s_lshr_b32 s29, ttmp7, 16
	s_lshl_b32 s4, s22, 2
	s_lshl_b32 s28, s29, 9
	s_wait_kmcnt 0x0
	s_load_b32 s26, s[2:3], s4 offset:0x0
	s_wait_kmcnt 0x0
	s_cmp_ge_i32 s28, s26
	s_cbranch_scc1 .LBB272_312
; %bb.1:
	s_clause 0x1
	s_load_b32 s23, s[0:1], 0x90
	s_load_b64 s[6:7], s[0:1], 0x30
	s_wait_kmcnt 0x0
	s_abs_i32 s5, s23
	s_abs_i32 s2, s6
	s_delay_alu instid0(SALU_CYCLE_1) | instskip(SKIP_1) | instid1(SALU_CYCLE_2)
	s_cvt_f32_u32 s3, s2
	s_sub_co_i32 s4, 0, s2
	v_rcp_iflag_f32_e32 v1, s3
	s_delay_alu instid0(TRANS32_DEP_1) | instskip(SKIP_2) | instid1(SALU_CYCLE_2)
	v_readfirstlane_b32 s3, v1
	s_mul_f32 s3, s3, 0x4f7ffffe
	s_wait_alu 0xfffe
	s_cvt_u32_f32 s3, s3
	s_wait_alu 0xfffe
	s_delay_alu instid0(SALU_CYCLE_2) | instskip(NEXT) | instid1(SALU_CYCLE_1)
	s_mul_i32 s4, s4, s3
	s_mul_hi_u32 s4, s3, s4
	s_delay_alu instid0(SALU_CYCLE_1)
	s_add_co_i32 s3, s3, s4
	s_xor_b32 s4, s23, s6
	s_wait_alu 0xfffe
	s_mul_hi_u32 s3, s5, s3
	s_ashr_i32 s4, s4, 31
	s_wait_alu 0xfffe
	s_mul_i32 s6, s3, s2
	s_delay_alu instid0(SALU_CYCLE_1)
	s_sub_co_i32 s5, s5, s6
	s_add_co_i32 s6, s3, 1
	s_sub_co_i32 s8, s5, s2
	s_cmp_ge_u32 s5, s2
	s_cselect_b32 s3, s6, s3
	s_cselect_b32 s5, s8, s5
	s_wait_alu 0xfffe
	s_add_co_i32 s6, s3, 1
	s_cmp_ge_u32 s5, s2
	s_load_b64 s[8:9], s[0:1], 0x50
	s_cselect_b32 s2, s6, s3
	s_mov_b32 s3, 0
	s_wait_alu 0xfffe
	s_xor_b32 s2, s2, s4
	s_mov_b32 s6, s3
	s_wait_alu 0xfffe
	s_sub_co_i32 s11, s2, s4
	s_delay_alu instid0(SALU_CYCLE_1) | instskip(NEXT) | instid1(SALU_CYCLE_1)
	s_abs_i32 s10, s11
	s_cvt_f32_u32 s2, s10
	s_wait_alu 0xfffe
	s_delay_alu instid0(SALU_CYCLE_2) | instskip(NEXT) | instid1(TRANS32_DEP_1)
	v_rcp_iflag_f32_e32 v1, s2
	v_readfirstlane_b32 s2, v1
	s_mul_f32 s2, s2, 0x4f7ffffe
	s_wait_alu 0xfffe
	s_delay_alu instid0(SALU_CYCLE_2) | instskip(SKIP_2) | instid1(SALU_CYCLE_1)
	s_cvt_u32_f32 s4, s2
	s_sub_co_i32 s2, 0, s10
	s_wait_alu 0xfffe
	s_mul_i32 s2, s2, s4
	s_wait_alu 0xfffe
	s_mul_hi_u32 s5, s4, s2
	s_abs_i32 s2, ttmp9
	s_add_co_i32 s4, s4, s5
	s_mov_b32 s5, s3
	s_wait_kmcnt 0x0
	s_cmp_eq_u64 s[8:9], 0
	s_cbranch_scc1 .LBB272_3
; %bb.2:
	s_mov_b32 s12, ttmp9
	s_ashr_i32 s13, ttmp9, 31
	s_delay_alu instid0(SALU_CYCLE_1) | instskip(NEXT) | instid1(SALU_CYCLE_1)
	s_lshl_b64 s[12:13], s[12:13], 2
	s_add_nc_u64 s[8:9], s[8:9], s[12:13]
	s_load_b32 s6, s[8:9], 0x0
.LBB272_3:
	s_load_b96 s[12:14], s[0:1], 0x58
	v_lshrrev_b32_e32 v11, 1, v0
	v_and_b32_e32 v12, 1, v0
	v_lshlrev_b32_e32 v10, 3, v0
	s_mul_u64 s[4:5], s[2:3], s[4:5]
	s_ashr_i32 s3, ttmp9, 31
	s_ashr_i32 s4, s11, 31
	s_lshl_b32 s16, ttmp9, 5
	s_mov_b32 s8, exec_lo
	v_cmpx_gt_u32_e32 8, v0
	s_cbranch_execz .LBB272_5
; %bb.4:
	s_load_b64 s[18:19], s[0:1], 0x18
	s_wait_kmcnt 0x0
	s_mul_i32 s20, s12, s22
	s_ashr_i32 s17, s16, 31
	s_ashr_i32 s21, s20, 31
	v_lshlrev_b32_e32 v3, 3, v11
	s_lshl_b64 s[20:21], s[20:21], 1
	s_delay_alu instid0(VALU_DEP_1) | instskip(SKIP_2) | instid1(SALU_CYCLE_1)
	v_lshl_add_u32 v3, v12, 5, v3
	s_add_nc_u64 s[18:19], s[18:19], s[20:21]
	s_lshl_b64 s[20:21], s[16:17], 1
	s_add_nc_u64 s[18:19], s[18:19], s[20:21]
	global_load_b64 v[1:2], v10, s[18:19]
	s_wait_loadcnt 0x0
	ds_store_b64 v3, v[1:2]
.LBB272_5:
	s_or_b32 exec_lo, exec_lo, s8
	s_add_co_i32 s8, s26, 15
	s_wait_alu 0xfffe
	s_xor_b32 s3, s3, s4
	s_ashr_i32 s9, s8, 31
	s_wait_kmcnt 0x0
	s_lshl_b32 s12, s29, 5
	s_lshr_b32 s4, s9, 28
	s_mul_i32 s9, s5, s10
	s_add_co_i32 s8, s8, s4
	s_add_co_i32 s4, s12, 32
	s_ashr_i32 s30, s8, 4
	s_load_b32 s8, s[0:1], 0x48
	s_sub_co_i32 s2, s2, s9
	s_min_i32 s27, s4, s30
	s_add_co_i32 s4, s5, 1
	s_wait_alu 0xfffe
	s_sub_co_i32 s9, s2, s10
	s_cmp_ge_u32 s2, s10
	v_lshrrev_b32_e32 v13, 5, v0
	s_cselect_b32 s4, s4, s5
	s_cselect_b32 s2, s9, s2
	s_add_co_i32 s5, s4, 1
	s_wait_alu 0xfffe
	s_cmp_ge_u32 s2, s10
	v_or_b32_e32 v14, s12, v13
	s_cselect_b32 s2, s5, s4
	v_mbcnt_lo_u32_b32 v16, -1, 0
	s_wait_alu 0xfffe
	s_xor_b32 s2, s2, s3
	s_mov_b32 s4, exec_lo
	s_wait_alu 0xfffe
	s_sub_co_i32 s3, s2, s3
	v_cmp_gt_i32_e64 s2, s27, v14
	s_wait_dscnt 0x0
	s_barrier_signal -1
	s_wait_kmcnt 0x0
	s_mul_i32 s18, s8, s22
	s_barrier_wait -1
	s_ashr_i32 s19, s18, 31
	global_inv scope:SCOPE_SE
                                        ; implicit-def: $vgpr2
                                        ; implicit-def: $vgpr18
	v_cmpx_le_i32_e64 s27, v14
	s_xor_b32 s4, exec_lo, s4
; %bb.6:
	v_mov_b32_e32 v2, 0
	v_mbcnt_lo_u32_b32 v16, -1, 0
	v_mov_b32_e32 v18, 32
; %bb.7:
	s_or_saveexec_b32 s24, s4
	s_clause 0x2
	s_load_b32 s17, s[0:1], 0x98
	s_load_b64 s[20:21], s[0:1], 0x38
	s_load_b128 s[8:11], s[0:1], 0x68
	v_mov_b32_e32 v17, 0xff7fffff
	v_lshlrev_b32_e32 v15, 2, v14
	s_mul_i32 s14, s3, s14
	s_xor_b32 exec_lo, exec_lo, s24
	s_cbranch_execz .LBB272_141
; %bb.8:
	s_load_b64 s[4:5], s[0:1], 0x20
	v_bfe_u32 v1, v0, 1, 4
	v_dual_mov_b32 v17, 0xff7fffff :: v_dual_lshlrev_b32 v4, 4, v13
	s_ashr_i32 s15, s14, 31
	s_cmp_neq_f32 s6, 0
	s_delay_alu instid0(VALU_DEP_2)
	v_dual_mov_b32 v22, v14 :: v_dual_lshlrev_b32 v5, 4, v1
	v_lshlrev_b32_e32 v6, 2, v1
	v_dual_mov_b32 v2, 0 :: v_dual_lshlrev_b32 v3, 2, v12
	v_add3_u32 v20, s28, v4, v1
	s_cselect_b32 s3, -1, 0
	s_lshl_b64 s[34:35], s[18:19], 2
	v_lshl_or_b32 v1, v13, 6, v6
	s_wait_kmcnt 0x0
	s_add_nc_u64 s[34:35], s[20:21], s[34:35]
	v_dual_mov_b32 v18, 32 :: v_dual_lshlrev_b32 v19, 5, v12
	s_mov_b32 s25, s13
	v_add_nc_u32_e32 v21, 0x60, v1
	s_add_nc_u64 s[4:5], s[4:5], s[14:15]
	s_mov_b32 s15, 0
	v_add_co_u32 v4, s4, s4, v5
	s_wait_alu 0xf1ff
	v_add_co_ci_u32_e64 v5, null, s5, 0, s4
	s_sub_co_i32 s31, 1, s26
	v_add_co_u32 v3, s4, v4, v3
	s_wait_alu 0xf1ff
	v_add_co_ci_u32_e64 v4, null, 0, v5, s4
	v_add_co_u32 v5, s4, s34, v15
	s_wait_alu 0xf1ff
	v_add_co_ci_u32_e64 v6, null, s35, 0, s4
	v_cmp_eq_u32_e32 vcc_lo, 0, v12
	s_branch .LBB272_10
.LBB272_9:                              ;   in Loop: Header=BB272_10 Depth=1
	s_wait_alu 0xfffe
	s_or_b32 exec_lo, exec_lo, s5
	v_add_nc_u32_e32 v22, 4, v22
	v_add_co_u32 v5, s5, v5, 16
	v_add_nc_u32_e32 v20, 64, v20
	v_add_nc_u32_e32 v21, 0x100, v21
	s_delay_alu instid0(VALU_DEP_4) | instskip(SKIP_3) | instid1(SALU_CYCLE_1)
	v_cmp_le_i32_e64 s4, s27, v22
	s_wait_alu 0xf1ff
	v_add_co_ci_u32_e64 v6, null, 0, v6, s5
	s_or_b32 s15, s4, s15
	s_and_not1_b32 exec_lo, exec_lo, s15
	s_cbranch_execz .LBB272_140
.LBB272_10:                             ; =>This Inner Loop Header: Depth=1
	global_load_b32 v1, v[5:6], off
	v_mov_b32_e32 v25, 0
	s_mov_b32 s5, exec_lo
	s_wait_loadcnt_dscnt 0x0
	v_mad_co_i64_i32 v[7:8], null, v1, s25, v[3:4]
	global_load_b32 v9, v[7:8], off
	s_wait_loadcnt 0x0
	v_dual_mov_b32 v24, 0 :: v_dual_and_b32 v1, 0xff, v9
	global_load_b32 v23, v24, s[8:9]
	v_cmpx_ne_u16_e32 0, v1
	s_cbranch_execz .LBB272_18
; %bb.11:                               ;   in Loop: Header=BB272_10 Depth=1
	v_mov_b32_e32 v25, 0x8000
	s_mov_b32 s33, exec_lo
	v_cmpx_ne_u16_e32 0x80, v1
	s_cbranch_execz .LBB272_17
; %bb.12:                               ;   in Loop: Header=BB272_10 Depth=1
	v_and_b32_e32 v26, 0x7f, v9
	v_mov_b32_e32 v25, 0x7c01
	s_mov_b32 s34, exec_lo
	s_delay_alu instid0(VALU_DEP_2)
	v_cmpx_ne_u32_e32 0x7f, v26
	s_cbranch_execz .LBB272_16
; %bb.13:                               ;   in Loop: Header=BB272_10 Depth=1
	v_and_b32_e32 v1, 7, v9
	v_lshrrev_b32_e32 v25, 3, v26
	s_mov_b32 s35, exec_lo
	v_cmpx_gt_u32_e32 8, v26
; %bb.14:                               ;   in Loop: Header=BB272_10 Depth=1
	s_delay_alu instid0(VALU_DEP_3) | instskip(NEXT) | instid1(VALU_DEP_1)
	v_clz_i32_u32_e32 v1, v1
	v_min_u32_e32 v1, 32, v1
	s_delay_alu instid0(VALU_DEP_1) | instskip(NEXT) | instid1(VALU_DEP_1)
	v_subrev_nc_u32_e32 v25, 28, v1
	v_lshlrev_b64_e32 v[26:27], v25, v[9:10]
	v_sub_nc_u32_e32 v25, 29, v1
	s_delay_alu instid0(VALU_DEP_2)
	v_and_b32_e32 v1, 7, v26
; %bb.15:                               ;   in Loop: Header=BB272_10 Depth=1
	s_wait_alu 0xfffe
	s_or_b32 exec_lo, exec_lo, s35
	v_lshlrev_b32_e32 v26, 8, v9
	v_lshl_add_u32 v25, v25, 10, 0x2000
	v_lshlrev_b32_e32 v1, 7, v1
	s_delay_alu instid0(VALU_DEP_3) | instskip(NEXT) | instid1(VALU_DEP_3)
	v_and_b32_e32 v26, 0x8000, v26
	v_and_b32_e32 v25, 0xfc00, v25
	s_delay_alu instid0(VALU_DEP_1)
	v_or3_b32 v25, v26, v25, v1
.LBB272_16:                             ;   in Loop: Header=BB272_10 Depth=1
	s_wait_alu 0xfffe
	s_or_b32 exec_lo, exec_lo, s34
.LBB272_17:                             ;   in Loop: Header=BB272_10 Depth=1
	s_delay_alu instid0(SALU_CYCLE_1)
	s_or_b32 exec_lo, exec_lo, s33
.LBB272_18:                             ;   in Loop: Header=BB272_10 Depth=1
	s_wait_alu 0xfffe
	s_or_b32 exec_lo, exec_lo, s5
	v_lshrrev_b16 v1, 8, v9
	s_mov_b32 s5, exec_lo
	s_delay_alu instid0(VALU_DEP_1)
	v_cmpx_ne_u16_e32 0, v1
	s_cbranch_execz .LBB272_26
; %bb.19:                               ;   in Loop: Header=BB272_10 Depth=1
	v_bfrev_b32_e32 v24, 1
	s_mov_b32 s33, exec_lo
	v_cmpx_ne_u16_e32 0x80, v1
	s_cbranch_execz .LBB272_25
; %bb.20:                               ;   in Loop: Header=BB272_10 Depth=1
	v_and_b32_e32 v26, 0xffff, v1
	v_mov_b32_e32 v24, 0x7c010000
	s_mov_b32 s34, exec_lo
	s_delay_alu instid0(VALU_DEP_2) | instskip(NEXT) | instid1(VALU_DEP_1)
	v_and_b32_e32 v28, 0x7f, v26
	v_cmpx_ne_u32_e32 0x7f, v28
	s_cbranch_execz .LBB272_24
; %bb.21:                               ;   in Loop: Header=BB272_10 Depth=1
	v_and_b32_e32 v24, 7, v26
	v_lshrrev_b32_e32 v27, 3, v28
	s_mov_b32 s35, exec_lo
	v_cmpx_gt_u32_e32 8, v28
; %bb.22:                               ;   in Loop: Header=BB272_10 Depth=1
	s_delay_alu instid0(VALU_DEP_3) | instskip(NEXT) | instid1(VALU_DEP_1)
	v_clz_i32_u32_e32 v24, v24
	v_min_u32_e32 v24, 32, v24
	s_delay_alu instid0(VALU_DEP_1) | instskip(NEXT) | instid1(VALU_DEP_1)
	v_subrev_nc_u32_e32 v27, 28, v24
	v_lshlrev_b64_e32 v[28:29], v27, v[1:2]
	v_sub_nc_u32_e32 v27, 29, v24
	s_delay_alu instid0(VALU_DEP_2)
	v_and_b32_e32 v24, 7, v28
; %bb.23:                               ;   in Loop: Header=BB272_10 Depth=1
	s_wait_alu 0xfffe
	s_or_b32 exec_lo, exec_lo, s35
	v_lshlrev_b32_e32 v1, 8, v26
	v_lshl_add_u32 v26, v27, 10, 0x2000
	v_lshlrev_b32_e32 v24, 23, v24
	s_delay_alu instid0(VALU_DEP_2) | instskip(NEXT) | instid1(VALU_DEP_1)
	v_and_or_b32 v1, 0x8000, v1, v26
	v_lshl_or_b32 v24, v1, 16, v24
.LBB272_24:                             ;   in Loop: Header=BB272_10 Depth=1
	s_wait_alu 0xfffe
	s_or_b32 exec_lo, exec_lo, s34
.LBB272_25:                             ;   in Loop: Header=BB272_10 Depth=1
	s_delay_alu instid0(SALU_CYCLE_1)
	s_or_b32 exec_lo, exec_lo, s33
.LBB272_26:                             ;   in Loop: Header=BB272_10 Depth=1
	s_wait_alu 0xfffe
	s_or_b32 exec_lo, exec_lo, s5
	v_lshrrev_b32_e32 v1, 16, v9
	v_mov_b32_e32 v26, 0
	s_mov_b32 s5, exec_lo
	s_delay_alu instid0(VALU_DEP_2) | instskip(NEXT) | instid1(VALU_DEP_1)
	v_dual_mov_b32 v27, 0 :: v_dual_and_b32 v28, 0xff, v1
	v_cmpx_ne_u16_e32 0, v28
	s_cbranch_execz .LBB272_34
; %bb.27:                               ;   in Loop: Header=BB272_10 Depth=1
	v_mov_b32_e32 v27, 0x8000
	s_mov_b32 s33, exec_lo
	v_cmpx_ne_u16_e32 0x80, v28
	s_cbranch_execz .LBB272_33
; %bb.28:                               ;   in Loop: Header=BB272_10 Depth=1
	v_bfe_u32 v29, v9, 16, 7
	v_mov_b32_e32 v27, 0x7c01
	s_mov_b32 s34, exec_lo
	s_delay_alu instid0(VALU_DEP_2)
	v_cmpx_ne_u32_e32 0x7f, v29
	s_cbranch_execz .LBB272_32
; %bb.29:                               ;   in Loop: Header=BB272_10 Depth=1
	v_and_b32_e32 v27, 7, v1
	v_lshrrev_b32_e32 v28, 3, v29
	s_mov_b32 s35, exec_lo
	v_cmpx_gt_u32_e32 8, v29
; %bb.30:                               ;   in Loop: Header=BB272_10 Depth=1
	s_delay_alu instid0(VALU_DEP_3) | instskip(NEXT) | instid1(VALU_DEP_1)
	v_clz_i32_u32_e32 v27, v27
	v_min_u32_e32 v29, 32, v27
	s_delay_alu instid0(VALU_DEP_1) | instskip(NEXT) | instid1(VALU_DEP_1)
	v_subrev_nc_u32_e32 v27, 28, v29
	v_lshlrev_b64_e32 v[27:28], v27, v[1:2]
	v_sub_nc_u32_e32 v28, 29, v29
	s_delay_alu instid0(VALU_DEP_2)
	v_and_b32_e32 v27, 7, v27
; %bb.31:                               ;   in Loop: Header=BB272_10 Depth=1
	s_wait_alu 0xfffe
	s_or_b32 exec_lo, exec_lo, s35
	v_lshlrev_b32_e32 v1, 8, v1
	v_lshl_add_u32 v28, v28, 10, 0x2000
	v_lshlrev_b32_e32 v27, 7, v27
	s_delay_alu instid0(VALU_DEP_3) | instskip(NEXT) | instid1(VALU_DEP_3)
	v_and_b32_e32 v1, 0x8000, v1
	v_and_b32_e32 v28, 0xfc00, v28
	s_delay_alu instid0(VALU_DEP_1)
	v_or3_b32 v27, v1, v28, v27
.LBB272_32:                             ;   in Loop: Header=BB272_10 Depth=1
	s_wait_alu 0xfffe
	s_or_b32 exec_lo, exec_lo, s34
.LBB272_33:                             ;   in Loop: Header=BB272_10 Depth=1
	s_delay_alu instid0(SALU_CYCLE_1)
	s_or_b32 exec_lo, exec_lo, s33
.LBB272_34:                             ;   in Loop: Header=BB272_10 Depth=1
	s_wait_alu 0xfffe
	s_or_b32 exec_lo, exec_lo, s5
	s_delay_alu instid0(SALU_CYCLE_1)
	s_mov_b32 s5, exec_lo
	v_cmpx_lt_u32_e32 0xffffff, v9
	s_cbranch_execz .LBB272_42
; %bb.35:                               ;   in Loop: Header=BB272_10 Depth=1
	v_lshrrev_b32_e32 v1, 24, v9
	v_bfrev_b32_e32 v26, 1
	s_mov_b32 s33, exec_lo
	s_delay_alu instid0(VALU_DEP_2)
	v_cmpx_ne_u32_e32 0x80, v1
	s_cbranch_execz .LBB272_41
; %bb.36:                               ;   in Loop: Header=BB272_10 Depth=1
	v_and_b32_e32 v28, 0x7f, v1
	v_mov_b32_e32 v26, 0x7c010000
	s_mov_b32 s34, exec_lo
	s_delay_alu instid0(VALU_DEP_2)
	v_cmpx_ne_u32_e32 0x7f, v28
	s_cbranch_execz .LBB272_40
; %bb.37:                               ;   in Loop: Header=BB272_10 Depth=1
	v_and_b32_e32 v9, 7, v1
	v_lshrrev_b32_e32 v26, 3, v28
	s_mov_b32 s35, exec_lo
	v_cmpx_gt_u32_e32 8, v28
; %bb.38:                               ;   in Loop: Header=BB272_10 Depth=1
	s_delay_alu instid0(VALU_DEP_3) | instskip(NEXT) | instid1(VALU_DEP_1)
	v_clz_i32_u32_e32 v9, v9
	v_min_u32_e32 v9, 32, v9
	s_delay_alu instid0(VALU_DEP_1) | instskip(NEXT) | instid1(VALU_DEP_1)
	v_subrev_nc_u32_e32 v26, 28, v9
	v_lshlrev_b64_e32 v[28:29], v26, v[1:2]
	v_sub_nc_u32_e32 v26, 29, v9
	s_delay_alu instid0(VALU_DEP_2)
	v_and_b32_e32 v9, 7, v28
; %bb.39:                               ;   in Loop: Header=BB272_10 Depth=1
	s_wait_alu 0xfffe
	s_or_b32 exec_lo, exec_lo, s35
	v_lshlrev_b32_e32 v1, 8, v1
	v_lshl_add_u32 v26, v26, 10, 0x2000
	v_lshlrev_b32_e32 v9, 23, v9
	s_delay_alu instid0(VALU_DEP_2) | instskip(NEXT) | instid1(VALU_DEP_1)
	v_and_or_b32 v1, 0x8000, v1, v26
	v_lshl_or_b32 v26, v1, 16, v9
.LBB272_40:                             ;   in Loop: Header=BB272_10 Depth=1
	s_wait_alu 0xfffe
	s_or_b32 exec_lo, exec_lo, s34
.LBB272_41:                             ;   in Loop: Header=BB272_10 Depth=1
	s_delay_alu instid0(SALU_CYCLE_1)
	s_or_b32 exec_lo, exec_lo, s33
.LBB272_42:                             ;   in Loop: Header=BB272_10 Depth=1
	s_wait_alu 0xfffe
	s_or_b32 exec_lo, exec_lo, s5
	global_load_b32 v9, v[7:8], off offset:8
	v_mov_b32_e32 v29, 0
	s_mov_b32 s5, exec_lo
	s_wait_loadcnt 0x0
	v_dual_mov_b32 v28, 0 :: v_dual_and_b32 v1, 0xff, v9
	s_delay_alu instid0(VALU_DEP_1)
	v_cmpx_ne_u16_e32 0, v1
	s_cbranch_execz .LBB272_50
; %bb.43:                               ;   in Loop: Header=BB272_10 Depth=1
	v_mov_b32_e32 v29, 0x8000
	s_mov_b32 s33, exec_lo
	v_cmpx_ne_u16_e32 0x80, v1
	s_cbranch_execz .LBB272_49
; %bb.44:                               ;   in Loop: Header=BB272_10 Depth=1
	v_and_b32_e32 v30, 0x7f, v9
	v_mov_b32_e32 v29, 0x7c01
	s_mov_b32 s34, exec_lo
	s_delay_alu instid0(VALU_DEP_2)
	v_cmpx_ne_u32_e32 0x7f, v30
	s_cbranch_execz .LBB272_48
; %bb.45:                               ;   in Loop: Header=BB272_10 Depth=1
	v_and_b32_e32 v1, 7, v9
	v_lshrrev_b32_e32 v29, 3, v30
	s_mov_b32 s35, exec_lo
	v_cmpx_gt_u32_e32 8, v30
; %bb.46:                               ;   in Loop: Header=BB272_10 Depth=1
	s_delay_alu instid0(VALU_DEP_3) | instskip(NEXT) | instid1(VALU_DEP_1)
	v_clz_i32_u32_e32 v1, v1
	v_min_u32_e32 v1, 32, v1
	s_delay_alu instid0(VALU_DEP_1) | instskip(NEXT) | instid1(VALU_DEP_1)
	v_subrev_nc_u32_e32 v29, 28, v1
	v_lshlrev_b64_e32 v[30:31], v29, v[9:10]
	v_sub_nc_u32_e32 v29, 29, v1
	s_delay_alu instid0(VALU_DEP_2)
	v_and_b32_e32 v1, 7, v30
; %bb.47:                               ;   in Loop: Header=BB272_10 Depth=1
	s_wait_alu 0xfffe
	s_or_b32 exec_lo, exec_lo, s35
	v_lshlrev_b32_e32 v30, 8, v9
	v_lshl_add_u32 v29, v29, 10, 0x2000
	v_lshlrev_b32_e32 v1, 7, v1
	s_delay_alu instid0(VALU_DEP_3) | instskip(NEXT) | instid1(VALU_DEP_3)
	v_and_b32_e32 v30, 0x8000, v30
	v_and_b32_e32 v29, 0xfc00, v29
	s_delay_alu instid0(VALU_DEP_1)
	v_or3_b32 v29, v30, v29, v1
.LBB272_48:                             ;   in Loop: Header=BB272_10 Depth=1
	s_wait_alu 0xfffe
	s_or_b32 exec_lo, exec_lo, s34
.LBB272_49:                             ;   in Loop: Header=BB272_10 Depth=1
	s_delay_alu instid0(SALU_CYCLE_1)
	s_or_b32 exec_lo, exec_lo, s33
.LBB272_50:                             ;   in Loop: Header=BB272_10 Depth=1
	s_wait_alu 0xfffe
	s_or_b32 exec_lo, exec_lo, s5
	v_lshrrev_b16 v1, 8, v9
	s_mov_b32 s5, exec_lo
	s_delay_alu instid0(VALU_DEP_1)
	v_cmpx_ne_u16_e32 0, v1
	s_cbranch_execz .LBB272_58
; %bb.51:                               ;   in Loop: Header=BB272_10 Depth=1
	v_bfrev_b32_e32 v28, 1
	s_mov_b32 s33, exec_lo
	v_cmpx_ne_u16_e32 0x80, v1
	s_cbranch_execz .LBB272_57
; %bb.52:                               ;   in Loop: Header=BB272_10 Depth=1
	v_and_b32_e32 v30, 0xffff, v1
	v_mov_b32_e32 v28, 0x7c010000
	s_mov_b32 s34, exec_lo
	s_delay_alu instid0(VALU_DEP_2) | instskip(NEXT) | instid1(VALU_DEP_1)
	v_and_b32_e32 v32, 0x7f, v30
	v_cmpx_ne_u32_e32 0x7f, v32
	s_cbranch_execz .LBB272_56
; %bb.53:                               ;   in Loop: Header=BB272_10 Depth=1
	v_and_b32_e32 v28, 7, v30
	v_lshrrev_b32_e32 v31, 3, v32
	s_mov_b32 s35, exec_lo
	v_cmpx_gt_u32_e32 8, v32
; %bb.54:                               ;   in Loop: Header=BB272_10 Depth=1
	s_delay_alu instid0(VALU_DEP_3) | instskip(NEXT) | instid1(VALU_DEP_1)
	v_clz_i32_u32_e32 v28, v28
	v_min_u32_e32 v28, 32, v28
	s_delay_alu instid0(VALU_DEP_1) | instskip(NEXT) | instid1(VALU_DEP_1)
	v_subrev_nc_u32_e32 v31, 28, v28
	v_lshlrev_b64_e32 v[32:33], v31, v[1:2]
	v_sub_nc_u32_e32 v31, 29, v28
	s_delay_alu instid0(VALU_DEP_2)
	v_and_b32_e32 v28, 7, v32
; %bb.55:                               ;   in Loop: Header=BB272_10 Depth=1
	s_wait_alu 0xfffe
	s_or_b32 exec_lo, exec_lo, s35
	v_lshlrev_b32_e32 v1, 8, v30
	v_lshl_add_u32 v30, v31, 10, 0x2000
	v_lshlrev_b32_e32 v28, 23, v28
	s_delay_alu instid0(VALU_DEP_2) | instskip(NEXT) | instid1(VALU_DEP_1)
	v_and_or_b32 v1, 0x8000, v1, v30
	v_lshl_or_b32 v28, v1, 16, v28
.LBB272_56:                             ;   in Loop: Header=BB272_10 Depth=1
	s_wait_alu 0xfffe
	s_or_b32 exec_lo, exec_lo, s34
.LBB272_57:                             ;   in Loop: Header=BB272_10 Depth=1
	s_delay_alu instid0(SALU_CYCLE_1)
	s_or_b32 exec_lo, exec_lo, s33
.LBB272_58:                             ;   in Loop: Header=BB272_10 Depth=1
	s_wait_alu 0xfffe
	s_or_b32 exec_lo, exec_lo, s5
	v_lshrrev_b32_e32 v1, 16, v9
	v_mov_b32_e32 v30, 0
	s_mov_b32 s5, exec_lo
	s_delay_alu instid0(VALU_DEP_2) | instskip(NEXT) | instid1(VALU_DEP_1)
	v_dual_mov_b32 v31, 0 :: v_dual_and_b32 v32, 0xff, v1
	v_cmpx_ne_u16_e32 0, v32
	s_cbranch_execz .LBB272_66
; %bb.59:                               ;   in Loop: Header=BB272_10 Depth=1
	v_mov_b32_e32 v31, 0x8000
	s_mov_b32 s33, exec_lo
	v_cmpx_ne_u16_e32 0x80, v32
	s_cbranch_execz .LBB272_65
; %bb.60:                               ;   in Loop: Header=BB272_10 Depth=1
	v_bfe_u32 v33, v9, 16, 7
	v_mov_b32_e32 v31, 0x7c01
	s_mov_b32 s34, exec_lo
	s_delay_alu instid0(VALU_DEP_2)
	v_cmpx_ne_u32_e32 0x7f, v33
	s_cbranch_execz .LBB272_64
; %bb.61:                               ;   in Loop: Header=BB272_10 Depth=1
	v_and_b32_e32 v31, 7, v1
	v_lshrrev_b32_e32 v32, 3, v33
	s_mov_b32 s35, exec_lo
	v_cmpx_gt_u32_e32 8, v33
; %bb.62:                               ;   in Loop: Header=BB272_10 Depth=1
	s_delay_alu instid0(VALU_DEP_3) | instskip(NEXT) | instid1(VALU_DEP_1)
	v_clz_i32_u32_e32 v31, v31
	v_min_u32_e32 v33, 32, v31
	s_delay_alu instid0(VALU_DEP_1) | instskip(NEXT) | instid1(VALU_DEP_1)
	v_subrev_nc_u32_e32 v31, 28, v33
	v_lshlrev_b64_e32 v[31:32], v31, v[1:2]
	v_sub_nc_u32_e32 v32, 29, v33
	s_delay_alu instid0(VALU_DEP_2)
	v_and_b32_e32 v31, 7, v31
; %bb.63:                               ;   in Loop: Header=BB272_10 Depth=1
	s_wait_alu 0xfffe
	s_or_b32 exec_lo, exec_lo, s35
	v_lshlrev_b32_e32 v1, 8, v1
	v_lshl_add_u32 v32, v32, 10, 0x2000
	v_lshlrev_b32_e32 v31, 7, v31
	s_delay_alu instid0(VALU_DEP_3) | instskip(NEXT) | instid1(VALU_DEP_3)
	v_and_b32_e32 v1, 0x8000, v1
	v_and_b32_e32 v32, 0xfc00, v32
	s_delay_alu instid0(VALU_DEP_1)
	v_or3_b32 v31, v1, v32, v31
.LBB272_64:                             ;   in Loop: Header=BB272_10 Depth=1
	s_wait_alu 0xfffe
	s_or_b32 exec_lo, exec_lo, s34
.LBB272_65:                             ;   in Loop: Header=BB272_10 Depth=1
	s_delay_alu instid0(SALU_CYCLE_1)
	s_or_b32 exec_lo, exec_lo, s33
.LBB272_66:                             ;   in Loop: Header=BB272_10 Depth=1
	s_wait_alu 0xfffe
	s_or_b32 exec_lo, exec_lo, s5
	s_delay_alu instid0(SALU_CYCLE_1)
	s_mov_b32 s5, exec_lo
	v_cmpx_lt_u32_e32 0xffffff, v9
	s_cbranch_execz .LBB272_74
; %bb.67:                               ;   in Loop: Header=BB272_10 Depth=1
	v_lshrrev_b32_e32 v1, 24, v9
	v_bfrev_b32_e32 v30, 1
	s_mov_b32 s33, exec_lo
	s_delay_alu instid0(VALU_DEP_2)
	v_cmpx_ne_u32_e32 0x80, v1
	s_cbranch_execz .LBB272_73
; %bb.68:                               ;   in Loop: Header=BB272_10 Depth=1
	v_and_b32_e32 v32, 0x7f, v1
	v_mov_b32_e32 v30, 0x7c010000
	s_mov_b32 s34, exec_lo
	s_delay_alu instid0(VALU_DEP_2)
	v_cmpx_ne_u32_e32 0x7f, v32
	s_cbranch_execz .LBB272_72
; %bb.69:                               ;   in Loop: Header=BB272_10 Depth=1
	v_and_b32_e32 v9, 7, v1
	v_lshrrev_b32_e32 v30, 3, v32
	s_mov_b32 s35, exec_lo
	v_cmpx_gt_u32_e32 8, v32
; %bb.70:                               ;   in Loop: Header=BB272_10 Depth=1
	s_delay_alu instid0(VALU_DEP_3) | instskip(NEXT) | instid1(VALU_DEP_1)
	v_clz_i32_u32_e32 v9, v9
	v_min_u32_e32 v9, 32, v9
	s_delay_alu instid0(VALU_DEP_1) | instskip(NEXT) | instid1(VALU_DEP_1)
	v_subrev_nc_u32_e32 v30, 28, v9
	v_lshlrev_b64_e32 v[32:33], v30, v[1:2]
	v_sub_nc_u32_e32 v30, 29, v9
	s_delay_alu instid0(VALU_DEP_2)
	v_and_b32_e32 v9, 7, v32
; %bb.71:                               ;   in Loop: Header=BB272_10 Depth=1
	s_wait_alu 0xfffe
	s_or_b32 exec_lo, exec_lo, s35
	v_lshlrev_b32_e32 v1, 8, v1
	v_lshl_add_u32 v30, v30, 10, 0x2000
	v_lshlrev_b32_e32 v9, 23, v9
	s_delay_alu instid0(VALU_DEP_2) | instskip(NEXT) | instid1(VALU_DEP_1)
	v_and_or_b32 v1, 0x8000, v1, v30
	v_lshl_or_b32 v30, v1, 16, v9
.LBB272_72:                             ;   in Loop: Header=BB272_10 Depth=1
	s_wait_alu 0xfffe
	s_or_b32 exec_lo, exec_lo, s34
.LBB272_73:                             ;   in Loop: Header=BB272_10 Depth=1
	s_delay_alu instid0(SALU_CYCLE_1)
	s_or_b32 exec_lo, exec_lo, s33
.LBB272_74:                             ;   in Loop: Header=BB272_10 Depth=1
	s_wait_alu 0xfffe
	s_or_b32 exec_lo, exec_lo, s5
	global_load_b32 v9, v[7:8], off offset:256
	v_mov_b32_e32 v33, 0
	s_mov_b32 s5, exec_lo
	s_wait_loadcnt 0x0
	v_dual_mov_b32 v32, 0 :: v_dual_and_b32 v1, 0xff, v9
	s_delay_alu instid0(VALU_DEP_1)
	v_cmpx_ne_u16_e32 0, v1
	s_cbranch_execz .LBB272_82
; %bb.75:                               ;   in Loop: Header=BB272_10 Depth=1
	v_mov_b32_e32 v33, 0x8000
	s_mov_b32 s33, exec_lo
	v_cmpx_ne_u16_e32 0x80, v1
	s_cbranch_execz .LBB272_81
; %bb.76:                               ;   in Loop: Header=BB272_10 Depth=1
	v_and_b32_e32 v34, 0x7f, v9
	v_mov_b32_e32 v33, 0x7c01
	s_mov_b32 s34, exec_lo
	s_delay_alu instid0(VALU_DEP_2)
	v_cmpx_ne_u32_e32 0x7f, v34
	s_cbranch_execz .LBB272_80
; %bb.77:                               ;   in Loop: Header=BB272_10 Depth=1
	v_and_b32_e32 v1, 7, v9
	v_lshrrev_b32_e32 v33, 3, v34
	s_mov_b32 s35, exec_lo
	v_cmpx_gt_u32_e32 8, v34
; %bb.78:                               ;   in Loop: Header=BB272_10 Depth=1
	s_delay_alu instid0(VALU_DEP_3) | instskip(NEXT) | instid1(VALU_DEP_1)
	v_clz_i32_u32_e32 v1, v1
	v_min_u32_e32 v1, 32, v1
	s_delay_alu instid0(VALU_DEP_1) | instskip(NEXT) | instid1(VALU_DEP_1)
	v_subrev_nc_u32_e32 v33, 28, v1
	v_lshlrev_b64_e32 v[34:35], v33, v[9:10]
	v_sub_nc_u32_e32 v33, 29, v1
	s_delay_alu instid0(VALU_DEP_2)
	v_and_b32_e32 v1, 7, v34
; %bb.79:                               ;   in Loop: Header=BB272_10 Depth=1
	s_wait_alu 0xfffe
	s_or_b32 exec_lo, exec_lo, s35
	v_lshlrev_b32_e32 v34, 8, v9
	v_lshl_add_u32 v33, v33, 10, 0x2000
	v_lshlrev_b32_e32 v1, 7, v1
	s_delay_alu instid0(VALU_DEP_3) | instskip(NEXT) | instid1(VALU_DEP_3)
	v_and_b32_e32 v34, 0x8000, v34
	v_and_b32_e32 v33, 0xfc00, v33
	s_delay_alu instid0(VALU_DEP_1)
	v_or3_b32 v33, v34, v33, v1
.LBB272_80:                             ;   in Loop: Header=BB272_10 Depth=1
	s_wait_alu 0xfffe
	s_or_b32 exec_lo, exec_lo, s34
.LBB272_81:                             ;   in Loop: Header=BB272_10 Depth=1
	s_delay_alu instid0(SALU_CYCLE_1)
	s_or_b32 exec_lo, exec_lo, s33
.LBB272_82:                             ;   in Loop: Header=BB272_10 Depth=1
	s_wait_alu 0xfffe
	s_or_b32 exec_lo, exec_lo, s5
	v_lshrrev_b16 v1, 8, v9
	s_mov_b32 s5, exec_lo
	s_delay_alu instid0(VALU_DEP_1)
	v_cmpx_ne_u16_e32 0, v1
	s_cbranch_execz .LBB272_90
; %bb.83:                               ;   in Loop: Header=BB272_10 Depth=1
	v_bfrev_b32_e32 v32, 1
	s_mov_b32 s33, exec_lo
	v_cmpx_ne_u16_e32 0x80, v1
	s_cbranch_execz .LBB272_89
; %bb.84:                               ;   in Loop: Header=BB272_10 Depth=1
	v_and_b32_e32 v34, 0xffff, v1
	v_mov_b32_e32 v32, 0x7c010000
	s_mov_b32 s34, exec_lo
	s_delay_alu instid0(VALU_DEP_2) | instskip(NEXT) | instid1(VALU_DEP_1)
	v_and_b32_e32 v36, 0x7f, v34
	v_cmpx_ne_u32_e32 0x7f, v36
	s_cbranch_execz .LBB272_88
; %bb.85:                               ;   in Loop: Header=BB272_10 Depth=1
	v_and_b32_e32 v32, 7, v34
	v_lshrrev_b32_e32 v35, 3, v36
	s_mov_b32 s35, exec_lo
	v_cmpx_gt_u32_e32 8, v36
; %bb.86:                               ;   in Loop: Header=BB272_10 Depth=1
	s_delay_alu instid0(VALU_DEP_3) | instskip(NEXT) | instid1(VALU_DEP_1)
	v_clz_i32_u32_e32 v32, v32
	v_min_u32_e32 v32, 32, v32
	s_delay_alu instid0(VALU_DEP_1) | instskip(NEXT) | instid1(VALU_DEP_1)
	v_subrev_nc_u32_e32 v35, 28, v32
	v_lshlrev_b64_e32 v[36:37], v35, v[1:2]
	v_sub_nc_u32_e32 v35, 29, v32
	s_delay_alu instid0(VALU_DEP_2)
	v_and_b32_e32 v32, 7, v36
; %bb.87:                               ;   in Loop: Header=BB272_10 Depth=1
	s_wait_alu 0xfffe
	s_or_b32 exec_lo, exec_lo, s35
	v_lshlrev_b32_e32 v1, 8, v34
	v_lshl_add_u32 v34, v35, 10, 0x2000
	v_lshlrev_b32_e32 v32, 23, v32
	s_delay_alu instid0(VALU_DEP_2) | instskip(NEXT) | instid1(VALU_DEP_1)
	v_and_or_b32 v1, 0x8000, v1, v34
	v_lshl_or_b32 v32, v1, 16, v32
.LBB272_88:                             ;   in Loop: Header=BB272_10 Depth=1
	s_wait_alu 0xfffe
	s_or_b32 exec_lo, exec_lo, s34
.LBB272_89:                             ;   in Loop: Header=BB272_10 Depth=1
	s_delay_alu instid0(SALU_CYCLE_1)
	s_or_b32 exec_lo, exec_lo, s33
.LBB272_90:                             ;   in Loop: Header=BB272_10 Depth=1
	s_wait_alu 0xfffe
	s_or_b32 exec_lo, exec_lo, s5
	v_lshrrev_b32_e32 v1, 16, v9
	v_mov_b32_e32 v34, 0
	s_mov_b32 s5, exec_lo
	s_delay_alu instid0(VALU_DEP_2) | instskip(NEXT) | instid1(VALU_DEP_1)
	v_dual_mov_b32 v35, 0 :: v_dual_and_b32 v36, 0xff, v1
	v_cmpx_ne_u16_e32 0, v36
	s_cbranch_execz .LBB272_98
; %bb.91:                               ;   in Loop: Header=BB272_10 Depth=1
	v_mov_b32_e32 v35, 0x8000
	s_mov_b32 s33, exec_lo
	v_cmpx_ne_u16_e32 0x80, v36
	s_cbranch_execz .LBB272_97
; %bb.92:                               ;   in Loop: Header=BB272_10 Depth=1
	v_bfe_u32 v37, v9, 16, 7
	v_mov_b32_e32 v35, 0x7c01
	s_mov_b32 s34, exec_lo
	s_delay_alu instid0(VALU_DEP_2)
	v_cmpx_ne_u32_e32 0x7f, v37
	s_cbranch_execz .LBB272_96
; %bb.93:                               ;   in Loop: Header=BB272_10 Depth=1
	v_and_b32_e32 v35, 7, v1
	v_lshrrev_b32_e32 v36, 3, v37
	s_mov_b32 s35, exec_lo
	v_cmpx_gt_u32_e32 8, v37
; %bb.94:                               ;   in Loop: Header=BB272_10 Depth=1
	s_delay_alu instid0(VALU_DEP_3) | instskip(NEXT) | instid1(VALU_DEP_1)
	v_clz_i32_u32_e32 v35, v35
	v_min_u32_e32 v37, 32, v35
	s_delay_alu instid0(VALU_DEP_1) | instskip(NEXT) | instid1(VALU_DEP_1)
	v_subrev_nc_u32_e32 v35, 28, v37
	v_lshlrev_b64_e32 v[35:36], v35, v[1:2]
	v_sub_nc_u32_e32 v36, 29, v37
	s_delay_alu instid0(VALU_DEP_2)
	v_and_b32_e32 v35, 7, v35
; %bb.95:                               ;   in Loop: Header=BB272_10 Depth=1
	s_wait_alu 0xfffe
	s_or_b32 exec_lo, exec_lo, s35
	v_lshlrev_b32_e32 v1, 8, v1
	v_lshl_add_u32 v36, v36, 10, 0x2000
	v_lshlrev_b32_e32 v35, 7, v35
	s_delay_alu instid0(VALU_DEP_3) | instskip(NEXT) | instid1(VALU_DEP_3)
	v_and_b32_e32 v1, 0x8000, v1
	v_and_b32_e32 v36, 0xfc00, v36
	s_delay_alu instid0(VALU_DEP_1)
	v_or3_b32 v35, v1, v36, v35
.LBB272_96:                             ;   in Loop: Header=BB272_10 Depth=1
	s_wait_alu 0xfffe
	s_or_b32 exec_lo, exec_lo, s34
.LBB272_97:                             ;   in Loop: Header=BB272_10 Depth=1
	s_delay_alu instid0(SALU_CYCLE_1)
	s_or_b32 exec_lo, exec_lo, s33
.LBB272_98:                             ;   in Loop: Header=BB272_10 Depth=1
	s_wait_alu 0xfffe
	s_or_b32 exec_lo, exec_lo, s5
	s_delay_alu instid0(SALU_CYCLE_1)
	s_mov_b32 s5, exec_lo
	v_cmpx_lt_u32_e32 0xffffff, v9
	s_cbranch_execz .LBB272_106
; %bb.99:                               ;   in Loop: Header=BB272_10 Depth=1
	v_lshrrev_b32_e32 v1, 24, v9
	v_bfrev_b32_e32 v34, 1
	s_mov_b32 s33, exec_lo
	s_delay_alu instid0(VALU_DEP_2)
	v_cmpx_ne_u32_e32 0x80, v1
	s_cbranch_execz .LBB272_105
; %bb.100:                              ;   in Loop: Header=BB272_10 Depth=1
	v_and_b32_e32 v36, 0x7f, v1
	v_mov_b32_e32 v34, 0x7c010000
	s_mov_b32 s34, exec_lo
	s_delay_alu instid0(VALU_DEP_2)
	v_cmpx_ne_u32_e32 0x7f, v36
	s_cbranch_execz .LBB272_104
; %bb.101:                              ;   in Loop: Header=BB272_10 Depth=1
	v_and_b32_e32 v9, 7, v1
	v_lshrrev_b32_e32 v34, 3, v36
	s_mov_b32 s35, exec_lo
	v_cmpx_gt_u32_e32 8, v36
; %bb.102:                              ;   in Loop: Header=BB272_10 Depth=1
	s_delay_alu instid0(VALU_DEP_3) | instskip(NEXT) | instid1(VALU_DEP_1)
	v_clz_i32_u32_e32 v9, v9
	v_min_u32_e32 v9, 32, v9
	s_delay_alu instid0(VALU_DEP_1) | instskip(NEXT) | instid1(VALU_DEP_1)
	v_subrev_nc_u32_e32 v34, 28, v9
	v_lshlrev_b64_e32 v[36:37], v34, v[1:2]
	v_sub_nc_u32_e32 v34, 29, v9
	s_delay_alu instid0(VALU_DEP_2)
	v_and_b32_e32 v9, 7, v36
; %bb.103:                              ;   in Loop: Header=BB272_10 Depth=1
	s_wait_alu 0xfffe
	s_or_b32 exec_lo, exec_lo, s35
	v_lshlrev_b32_e32 v1, 8, v1
	v_lshl_add_u32 v34, v34, 10, 0x2000
	v_lshlrev_b32_e32 v9, 23, v9
	s_delay_alu instid0(VALU_DEP_2) | instskip(NEXT) | instid1(VALU_DEP_1)
	v_and_or_b32 v1, 0x8000, v1, v34
	v_lshl_or_b32 v34, v1, 16, v9
.LBB272_104:                            ;   in Loop: Header=BB272_10 Depth=1
	s_wait_alu 0xfffe
	s_or_b32 exec_lo, exec_lo, s34
.LBB272_105:                            ;   in Loop: Header=BB272_10 Depth=1
	s_delay_alu instid0(SALU_CYCLE_1)
	s_or_b32 exec_lo, exec_lo, s33
.LBB272_106:                            ;   in Loop: Header=BB272_10 Depth=1
	s_wait_alu 0xfffe
	s_or_b32 exec_lo, exec_lo, s5
	global_load_b32 v7, v[7:8], off offset:264
	v_mov_b32_e32 v9, 0
	s_mov_b32 s5, exec_lo
	s_wait_loadcnt 0x0
	v_dual_mov_b32 v8, 0 :: v_dual_and_b32 v1, 0xff, v7
	s_delay_alu instid0(VALU_DEP_1)
	v_cmpx_ne_u16_e32 0, v1
	s_cbranch_execz .LBB272_114
; %bb.107:                              ;   in Loop: Header=BB272_10 Depth=1
	v_mov_b32_e32 v9, 0x8000
	s_mov_b32 s33, exec_lo
	v_cmpx_ne_u16_e32 0x80, v1
	s_cbranch_execz .LBB272_113
; %bb.108:                              ;   in Loop: Header=BB272_10 Depth=1
	v_and_b32_e32 v36, 0x7f, v7
	v_mov_b32_e32 v9, 0x7c01
	s_mov_b32 s34, exec_lo
	s_delay_alu instid0(VALU_DEP_2)
	v_cmpx_ne_u32_e32 0x7f, v36
	s_cbranch_execz .LBB272_112
; %bb.109:                              ;   in Loop: Header=BB272_10 Depth=1
	v_and_b32_e32 v1, 7, v7
	v_lshrrev_b32_e32 v9, 3, v36
	s_mov_b32 s35, exec_lo
	v_cmpx_gt_u32_e32 8, v36
; %bb.110:                              ;   in Loop: Header=BB272_10 Depth=1
	s_delay_alu instid0(VALU_DEP_3) | instskip(NEXT) | instid1(VALU_DEP_1)
	v_clz_i32_u32_e32 v1, v1
	v_min_u32_e32 v1, 32, v1
	s_delay_alu instid0(VALU_DEP_1) | instskip(NEXT) | instid1(VALU_DEP_1)
	v_subrev_nc_u32_e32 v9, 28, v1
	v_lshlrev_b64_e32 v[36:37], v9, v[7:8]
	v_sub_nc_u32_e32 v9, 29, v1
	s_delay_alu instid0(VALU_DEP_2)
	v_and_b32_e32 v1, 7, v36
; %bb.111:                              ;   in Loop: Header=BB272_10 Depth=1
	s_wait_alu 0xfffe
	s_or_b32 exec_lo, exec_lo, s35
	v_lshlrev_b32_e32 v36, 8, v7
	v_lshl_add_u32 v9, v9, 10, 0x2000
	v_lshlrev_b32_e32 v1, 7, v1
	s_delay_alu instid0(VALU_DEP_3) | instskip(NEXT) | instid1(VALU_DEP_3)
	v_and_b32_e32 v36, 0x8000, v36
	v_and_b32_e32 v9, 0xfc00, v9
	s_delay_alu instid0(VALU_DEP_1)
	v_or3_b32 v9, v36, v9, v1
.LBB272_112:                            ;   in Loop: Header=BB272_10 Depth=1
	s_wait_alu 0xfffe
	s_or_b32 exec_lo, exec_lo, s34
.LBB272_113:                            ;   in Loop: Header=BB272_10 Depth=1
	s_delay_alu instid0(SALU_CYCLE_1)
	s_or_b32 exec_lo, exec_lo, s33
.LBB272_114:                            ;   in Loop: Header=BB272_10 Depth=1
	s_wait_alu 0xfffe
	s_or_b32 exec_lo, exec_lo, s5
	v_lshrrev_b16 v1, 8, v7
	s_mov_b32 s5, exec_lo
	s_delay_alu instid0(VALU_DEP_1)
	v_cmpx_ne_u16_e32 0, v1
	s_cbranch_execz .LBB272_122
; %bb.115:                              ;   in Loop: Header=BB272_10 Depth=1
	v_bfrev_b32_e32 v8, 1
	s_mov_b32 s33, exec_lo
	v_cmpx_ne_u16_e32 0x80, v1
	s_cbranch_execz .LBB272_121
; %bb.116:                              ;   in Loop: Header=BB272_10 Depth=1
	v_and_b32_e32 v36, 0xffff, v1
	v_mov_b32_e32 v8, 0x7c010000
	s_mov_b32 s34, exec_lo
	s_delay_alu instid0(VALU_DEP_2) | instskip(NEXT) | instid1(VALU_DEP_1)
	v_and_b32_e32 v38, 0x7f, v36
	v_cmpx_ne_u32_e32 0x7f, v38
	s_cbranch_execz .LBB272_120
; %bb.117:                              ;   in Loop: Header=BB272_10 Depth=1
	v_and_b32_e32 v8, 7, v36
	v_lshrrev_b32_e32 v37, 3, v38
	s_mov_b32 s35, exec_lo
	v_cmpx_gt_u32_e32 8, v38
; %bb.118:                              ;   in Loop: Header=BB272_10 Depth=1
	s_delay_alu instid0(VALU_DEP_3) | instskip(NEXT) | instid1(VALU_DEP_1)
	v_clz_i32_u32_e32 v8, v8
	v_min_u32_e32 v8, 32, v8
	s_delay_alu instid0(VALU_DEP_1) | instskip(NEXT) | instid1(VALU_DEP_1)
	v_subrev_nc_u32_e32 v37, 28, v8
	v_lshlrev_b64_e32 v[38:39], v37, v[1:2]
	v_sub_nc_u32_e32 v37, 29, v8
	s_delay_alu instid0(VALU_DEP_2)
	v_and_b32_e32 v8, 7, v38
; %bb.119:                              ;   in Loop: Header=BB272_10 Depth=1
	s_wait_alu 0xfffe
	s_or_b32 exec_lo, exec_lo, s35
	v_lshlrev_b32_e32 v1, 8, v36
	v_lshl_add_u32 v36, v37, 10, 0x2000
	v_lshlrev_b32_e32 v8, 23, v8
	s_delay_alu instid0(VALU_DEP_2) | instskip(NEXT) | instid1(VALU_DEP_1)
	v_and_or_b32 v1, 0x8000, v1, v36
	v_lshl_or_b32 v8, v1, 16, v8
.LBB272_120:                            ;   in Loop: Header=BB272_10 Depth=1
	s_wait_alu 0xfffe
	s_or_b32 exec_lo, exec_lo, s34
.LBB272_121:                            ;   in Loop: Header=BB272_10 Depth=1
	s_delay_alu instid0(SALU_CYCLE_1)
	s_or_b32 exec_lo, exec_lo, s33
.LBB272_122:                            ;   in Loop: Header=BB272_10 Depth=1
	s_wait_alu 0xfffe
	s_or_b32 exec_lo, exec_lo, s5
	v_lshrrev_b32_e32 v1, 16, v7
	v_mov_b32_e32 v36, 0
	s_mov_b32 s5, exec_lo
	s_delay_alu instid0(VALU_DEP_2) | instskip(NEXT) | instid1(VALU_DEP_1)
	v_dual_mov_b32 v37, 0 :: v_dual_and_b32 v38, 0xff, v1
	v_cmpx_ne_u16_e32 0, v38
	s_cbranch_execz .LBB272_130
; %bb.123:                              ;   in Loop: Header=BB272_10 Depth=1
	v_mov_b32_e32 v37, 0x8000
	s_mov_b32 s33, exec_lo
	v_cmpx_ne_u16_e32 0x80, v38
	s_cbranch_execz .LBB272_129
; %bb.124:                              ;   in Loop: Header=BB272_10 Depth=1
	v_bfe_u32 v39, v7, 16, 7
	v_mov_b32_e32 v37, 0x7c01
	s_mov_b32 s34, exec_lo
	s_delay_alu instid0(VALU_DEP_2)
	v_cmpx_ne_u32_e32 0x7f, v39
	s_cbranch_execz .LBB272_128
; %bb.125:                              ;   in Loop: Header=BB272_10 Depth=1
	v_and_b32_e32 v37, 7, v1
	v_lshrrev_b32_e32 v38, 3, v39
	s_mov_b32 s35, exec_lo
	v_cmpx_gt_u32_e32 8, v39
; %bb.126:                              ;   in Loop: Header=BB272_10 Depth=1
	s_delay_alu instid0(VALU_DEP_3) | instskip(NEXT) | instid1(VALU_DEP_1)
	v_clz_i32_u32_e32 v37, v37
	v_min_u32_e32 v39, 32, v37
	s_delay_alu instid0(VALU_DEP_1) | instskip(NEXT) | instid1(VALU_DEP_1)
	v_subrev_nc_u32_e32 v37, 28, v39
	v_lshlrev_b64_e32 v[37:38], v37, v[1:2]
	v_sub_nc_u32_e32 v38, 29, v39
	s_delay_alu instid0(VALU_DEP_2)
	v_and_b32_e32 v37, 7, v37
; %bb.127:                              ;   in Loop: Header=BB272_10 Depth=1
	s_wait_alu 0xfffe
	s_or_b32 exec_lo, exec_lo, s35
	v_lshlrev_b32_e32 v1, 8, v1
	v_lshl_add_u32 v38, v38, 10, 0x2000
	v_lshlrev_b32_e32 v37, 7, v37
	s_delay_alu instid0(VALU_DEP_3) | instskip(NEXT) | instid1(VALU_DEP_3)
	v_and_b32_e32 v1, 0x8000, v1
	v_and_b32_e32 v38, 0xfc00, v38
	s_delay_alu instid0(VALU_DEP_1)
	v_or3_b32 v37, v1, v38, v37
.LBB272_128:                            ;   in Loop: Header=BB272_10 Depth=1
	s_wait_alu 0xfffe
	s_or_b32 exec_lo, exec_lo, s34
.LBB272_129:                            ;   in Loop: Header=BB272_10 Depth=1
	s_delay_alu instid0(SALU_CYCLE_1)
	s_or_b32 exec_lo, exec_lo, s33
.LBB272_130:                            ;   in Loop: Header=BB272_10 Depth=1
	s_wait_alu 0xfffe
	s_or_b32 exec_lo, exec_lo, s5
	s_delay_alu instid0(SALU_CYCLE_1)
	s_mov_b32 s5, exec_lo
	v_cmpx_lt_u32_e32 0xffffff, v7
	s_cbranch_execz .LBB272_138
; %bb.131:                              ;   in Loop: Header=BB272_10 Depth=1
	v_lshrrev_b32_e32 v1, 24, v7
	v_bfrev_b32_e32 v36, 1
	s_mov_b32 s33, exec_lo
	s_delay_alu instid0(VALU_DEP_2)
	v_cmpx_ne_u32_e32 0x80, v1
	s_cbranch_execz .LBB272_137
; %bb.132:                              ;   in Loop: Header=BB272_10 Depth=1
	v_and_b32_e32 v38, 0x7f, v1
	v_mov_b32_e32 v36, 0x7c010000
	s_mov_b32 s34, exec_lo
	s_delay_alu instid0(VALU_DEP_2)
	v_cmpx_ne_u32_e32 0x7f, v38
	s_cbranch_execz .LBB272_136
; %bb.133:                              ;   in Loop: Header=BB272_10 Depth=1
	v_and_b32_e32 v7, 7, v1
	v_lshrrev_b32_e32 v36, 3, v38
	s_mov_b32 s35, exec_lo
	v_cmpx_gt_u32_e32 8, v38
; %bb.134:                              ;   in Loop: Header=BB272_10 Depth=1
	s_delay_alu instid0(VALU_DEP_3) | instskip(NEXT) | instid1(VALU_DEP_1)
	v_clz_i32_u32_e32 v7, v7
	v_min_u32_e32 v7, 32, v7
	s_delay_alu instid0(VALU_DEP_1) | instskip(NEXT) | instid1(VALU_DEP_1)
	v_subrev_nc_u32_e32 v36, 28, v7
	v_lshlrev_b64_e32 v[38:39], v36, v[1:2]
	v_sub_nc_u32_e32 v36, 29, v7
	s_delay_alu instid0(VALU_DEP_2)
	v_and_b32_e32 v7, 7, v38
; %bb.135:                              ;   in Loop: Header=BB272_10 Depth=1
	s_wait_alu 0xfffe
	s_or_b32 exec_lo, exec_lo, s35
	v_lshlrev_b32_e32 v1, 8, v1
	v_lshl_add_u32 v36, v36, 10, 0x2000
	v_lshlrev_b32_e32 v7, 23, v7
	s_delay_alu instid0(VALU_DEP_2) | instskip(NEXT) | instid1(VALU_DEP_1)
	v_and_or_b32 v1, 0x8000, v1, v36
	v_lshl_or_b32 v36, v1, 16, v7
.LBB272_136:                            ;   in Loop: Header=BB272_10 Depth=1
	s_wait_alu 0xfffe
	s_or_b32 exec_lo, exec_lo, s34
.LBB272_137:                            ;   in Loop: Header=BB272_10 Depth=1
	s_delay_alu instid0(SALU_CYCLE_1)
	s_or_b32 exec_lo, exec_lo, s33
.LBB272_138:                            ;   in Loop: Header=BB272_10 Depth=1
	s_wait_alu 0xfffe
	s_or_b32 exec_lo, exec_lo, s5
	ds_load_b64 v[38:39], v19
	v_or_b32_e32 v1, v24, v25
	v_or_b32_e32 v7, v26, v27
	v_fma_mixlo_f16 v24, v23, v24, 0 op_sel:[0,1,0] op_sel_hi:[0,1,0]
	v_fma_mixlo_f16 v25, v23, v26, 0 op_sel:[0,1,0] op_sel_hi:[0,1,0]
	v_or_b32_e32 v9, v8, v9
	v_fma_mixlo_f16 v1, v23, v1, 0 op_sel_hi:[0,1,0]
	v_fma_mixlo_f16 v7, v23, v7, 0 op_sel_hi:[0,1,0]
	v_and_b32_e32 v24, 0xffff, v24
	v_and_b32_e32 v25, 0xffff, v25
	v_fma_mixlo_f16 v9, v23, v9, 0 op_sel_hi:[0,1,0]
	v_and_b32_e32 v27, 0xffff, v1
	v_or_b32_e32 v37, v36, v37
	v_fma_mixlo_f16 v36, v23, v36, 0 op_sel:[0,1,0] op_sel_hi:[0,1,0]
	s_wait_dscnt 0x0
	v_and_b32_e32 v1, 0xffff, v38
	v_lshrrev_b32_e32 v26, 16, v38
	v_lshrrev_b32_e32 v40, 16, v39
	v_and_b32_e32 v39, 0xffff, v39
	;;#ASMSTART
	v_cvt_f32_f16 v1, v1;
	;;#ASMEND
	;;#ASMSTART
	v_cvt_f32_f16 v26, v26;
	;;#ASMEND
	;; [unrolled: 3-line block ×5, first 2 shown]
	v_and_b32_e32 v7, 0xffff, v7
	;;#ASMSTART
	v_cvt_f32_f16 v40, v40;
	;;#ASMEND
	;;#ASMSTART
	v_cvt_f32_f16 v41, v7;
	;;#ASMEND
	;; [unrolled: 3-line block ×3, first 2 shown]
	ds_load_b64 v[24:25], v19 offset:8
	v_or_b32_e32 v7, v28, v29
	v_or_b32_e32 v29, v30, v31
	v_fma_mixlo_f16 v28, v23, v28, 0 op_sel:[0,1,0] op_sel_hi:[0,1,0]
	v_fma_mixlo_f16 v30, v23, v30, 0 op_sel:[0,1,0] op_sel_hi:[0,1,0]
	s_delay_alu instid0(VALU_DEP_4) | instskip(NEXT) | instid1(VALU_DEP_4)
	v_fma_mixlo_f16 v7, v23, v7, 0 op_sel_hi:[0,1,0]
	v_fma_mixlo_f16 v29, v23, v29, 0 op_sel_hi:[0,1,0]
	s_delay_alu instid0(VALU_DEP_4) | instskip(NEXT) | instid1(VALU_DEP_4)
	v_and_b32_e32 v31, 0xffff, v28
	v_and_b32_e32 v46, 0xffff, v30
	s_delay_alu instid0(VALU_DEP_4) | instskip(NEXT) | instid1(VALU_DEP_4)
	v_and_b32_e32 v7, 0xffff, v7
	v_and_b32_e32 v45, 0xffff, v29
	s_wait_dscnt 0x0
	v_and_b32_e32 v28, 0xffff, v24
	;;#ASMSTART
	v_cvt_f32_f16 v28, v28;
	;;#ASMEND
	v_lshrrev_b32_e32 v24, 16, v24
	;;#ASMSTART
	v_cvt_f32_f16 v29, v24;
	;;#ASMEND
	;;#ASMSTART
	v_cvt_f32_f16 v30, v7;
	;;#ASMEND
	v_mul_f32_e32 v28, v28, v30
	v_lshrrev_b32_e32 v44, 16, v25
	v_and_b32_e32 v25, 0xffff, v25
	v_or_b32_e32 v7, v32, v33
	v_or_b32_e32 v33, v34, v35
	v_fmac_f32_e32 v28, v1, v27
	;;#ASMSTART
	v_cvt_f32_f16 v31, v31;
	;;#ASMEND
	;;#ASMSTART
	v_cvt_f32_f16 v43, v25;
	;;#ASMEND
	;; [unrolled: 3-line block ×5, first 2 shown]
	ds_load_b64 v[24:25], v19 offset:16
	v_fma_mixlo_f16 v32, v23, v32, 0 op_sel:[0,1,0] op_sel_hi:[0,1,0]
	v_fma_mixlo_f16 v34, v23, v34, 0 op_sel:[0,1,0] op_sel_hi:[0,1,0]
	;; [unrolled: 1-line block ×3, first 2 shown]
	v_fma_mixlo_f16 v7, v23, v7, 0 op_sel_hi:[0,1,0]
	v_fma_mixlo_f16 v8, v23, v33, 0 op_sel_hi:[0,1,0]
	v_mul_f32_e32 v29, v29, v31
	v_and_b32_e32 v31, 0xffff, v9
	v_mul_f32_e32 v9, v44, v46
	v_and_b32_e32 v33, 0xffff, v32
	v_and_b32_e32 v49, 0xffff, v34
	;; [unrolled: 1-line block ×3, first 2 shown]
	s_delay_alu instid0(VALU_DEP_4)
	v_dual_fmac_f32 v9, v40, v42 :: v_dual_and_b32 v8, 0xffff, v8
	v_dual_fmac_f32 v29, v26, v38 :: v_dual_mul_f32 v30, v43, v45
	v_fma_mixlo_f16 v23, v23, v37, 0 op_sel_hi:[0,1,0]
	v_and_b32_e32 v35, 0xffff, v35
	s_wait_dscnt 0x0
	v_and_b32_e32 v32, 0xffff, v24
	v_lshrrev_b32_e32 v34, 16, v24
	v_lshrrev_b32_e32 v47, 16, v25
	v_and_b32_e32 v48, 0xffff, v25
	;;#ASMSTART
	v_cvt_f32_f16 v24, v32;
	;;#ASMEND
	;;#ASMSTART
	v_cvt_f32_f16 v25, v34;
	;;#ASMEND
	;; [unrolled: 3-line block ×8, first 2 shown]
	ds_load_b64 v[7:8], v19 offset:24
	v_fmac_f32_e32 v30, v39, v41
	v_dual_fmac_f32 v28, v24, v32 :: v_dual_fmac_f32 v29, v25, v33
	v_dual_fmac_f32 v9, v47, v49 :: v_dual_and_b32 v36, 0xffff, v36
	s_wait_dscnt 0x0
	s_delay_alu instid0(VALU_DEP_3)
	v_dual_fmac_f32 v30, v34, v48 :: v_dual_and_b32 v1, 0xffff, v7
	v_lshrrev_b32_e32 v7, 16, v7
	v_lshrrev_b32_e32 v24, 16, v8
	v_and_b32_e32 v25, 0xffff, v8
	;;#ASMSTART
	v_cvt_f32_f16 v1, v1;
	;;#ASMEND
	;;#ASMSTART
	v_cvt_f32_f16 v7, v7;
	;;#ASMEND
	;; [unrolled: 3-line block ×3, first 2 shown]
	v_fmac_f32_e32 v28, v1, v8
	v_and_b32_e32 v26, 0xffff, v23
	;;#ASMSTART
	v_cvt_f32_f16 v23, v35;
	;;#ASMEND
	v_fmac_f32_e32 v29, v7, v23
	;;#ASMSTART
	v_cvt_f32_f16 v1, v25;
	;;#ASMEND
	;;#ASMSTART
	v_cvt_f32_f16 v7, v24;
	;;#ASMEND
	;; [unrolled: 3-line block ×3, first 2 shown]
	v_fmac_f32_e32 v30, v1, v8
	v_xor_b32_e32 v8, 1, v16
	v_add_f32_e32 v1, v28, v29
	;;#ASMSTART
	v_cvt_f32_f16 v23, v36;
	;;#ASMEND
	v_fmac_f32_e32 v9, v7, v23
	s_delay_alu instid0(VALU_DEP_3) | instskip(NEXT) | instid1(VALU_DEP_3)
	v_cmp_gt_i32_e64 s4, 32, v8
	v_add_f32_e32 v1, v1, v30
	s_wait_alu 0xf1ff
	s_delay_alu instid0(VALU_DEP_2) | instskip(NEXT) | instid1(VALU_DEP_2)
	v_cndmask_b32_e64 v7, v16, v8, s4
	v_add_f32_e32 v1, v9, v1
	s_delay_alu instid0(VALU_DEP_2)
	v_lshlrev_b32_e32 v7, 2, v7
	ds_bpermute_b32 v7, v7, v1
	s_and_saveexec_b32 s5, vcc_lo
	s_cbranch_execz .LBB272_9
; %bb.139:                              ;   in Loop: Header=BB272_10 Depth=1
	s_wait_dscnt 0x0
	v_dual_add_f32 v1, v1, v7 :: v_dual_add_nc_u32 v8, s31, v20
	v_cmp_gt_i32_e64 s4, s26, v20
	s_delay_alu instid0(VALU_DEP_2) | instskip(NEXT) | instid1(VALU_DEP_1)
	v_cvt_f32_i32_e32 v8, v8
	v_mul_f32_e32 v8, s6, v8
	s_delay_alu instid0(VALU_DEP_1) | instskip(SKIP_1) | instid1(VALU_DEP_2)
	v_cndmask_b32_e64 v7, 0, v8, s3
	v_max_num_f32_e32 v8, v17, v17
	v_fmac_f32_e32 v7, s7, v1
	s_delay_alu instid0(VALU_DEP_1) | instskip(SKIP_2) | instid1(VALU_DEP_2)
	v_max_num_f32_e32 v1, v8, v7
	s_wait_alu 0xf1ff
	v_cndmask_b32_e64 v7, 0, v7, s4
	v_cndmask_b32_e64 v17, v17, v1, s4
	ds_store_b32 v21, v7
	s_branch .LBB272_9
.LBB272_140:
	s_or_b32 exec_lo, exec_lo, s15
.LBB272_141:
	s_delay_alu instid0(SALU_CYCLE_1)
	s_or_b32 exec_lo, exec_lo, s24
	v_xor_b32_e32 v1, 16, v16
	v_xor_b32_e32 v3, 8, v16
	s_wait_dscnt 0x0
	v_xor_b32_e32 v7, 2, v16
	s_load_b128 s[4:7], s[0:1], 0x0
	s_wait_kmcnt 0x0
	s_clause 0x1
	s_load_b64 s[8:9], s[0:1], 0x10
	s_load_b64 s[24:25], s[0:1], 0x28
	v_cmp_lt_i32_e32 vcc_lo, v1, v18
	v_cndmask_b32_e32 v1, v16, v1, vcc_lo
	v_cmp_lt_i32_e32 vcc_lo, v3, v18
	s_wait_alu 0xfffd
	s_delay_alu instid0(VALU_DEP_2)
	v_dual_cndmask_b32 v3, v16, v3 :: v_dual_lshlrev_b32 v4, 2, v1
	v_max_num_f32_e32 v6, v17, v17
	ds_bpermute_b32 v1, v4, v17
	v_lshlrev_b32_e32 v5, 2, v3
	v_and_b32_e32 v17, 31, v0
	s_wait_dscnt 0x0
	v_max_num_f32_e32 v1, v1, v1
	s_delay_alu instid0(VALU_DEP_1)
	v_max_num_f32_e32 v1, v6, v1
	v_xor_b32_e32 v6, 4, v16
	ds_bpermute_b32 v3, v5, v1
	v_cmp_lt_i32_e32 vcc_lo, v6, v18
	s_wait_alu 0xfffd
	v_cndmask_b32_e32 v6, v16, v6, vcc_lo
	v_cmp_lt_i32_e32 vcc_lo, v7, v18
	s_wait_alu 0xfffd
	s_delay_alu instid0(VALU_DEP_2) | instskip(SKIP_3) | instid1(VALU_DEP_1)
	v_dual_cndmask_b32 v7, v16, v7 :: v_dual_lshlrev_b32 v6, 2, v6
	v_cmp_eq_u32_e32 vcc_lo, 0, v17
	s_wait_dscnt 0x0
	v_max_num_f32_e32 v3, v3, v3
	v_max_num_f32_e32 v1, v1, v3
	ds_bpermute_b32 v3, v6, v1
	s_wait_dscnt 0x0
	v_max_num_f32_e32 v3, v3, v3
	s_delay_alu instid0(VALU_DEP_1)
	v_max_num_f32_e32 v1, v1, v3
	v_lshlrev_b32_e32 v3, 2, v7
	v_lshlrev_b32_e32 v7, 2, v13
	ds_bpermute_b32 v8, v3, v1
	s_and_saveexec_b32 s0, vcc_lo
	s_cbranch_execz .LBB272_143
; %bb.142:
	s_wait_dscnt 0x0
	v_dual_max_num_f32 v8, v8, v8 :: v_dual_max_num_f32 v1, v1, v1
	s_delay_alu instid0(VALU_DEP_1)
	v_max_num_f32_e32 v1, v1, v8
	ds_store_b32 v7, v1 offset:64
.LBB272_143:
	s_or_b32 exec_lo, exec_lo, s0
	v_cmp_gt_u32_e64 s0, 4, v17
	s_wait_dscnt 0x0
	v_dual_mov_b32 v1, 0xff7fffff :: v_dual_lshlrev_b32 v8, 2, v17
	s_wait_loadcnt 0x0
	s_barrier_signal -1
	s_barrier_wait -1
	global_inv scope:SCOPE_SE
	s_and_saveexec_b32 s1, s0
; %bb.144:
	ds_load_b32 v1, v8 offset:64
; %bb.145:
	s_or_b32 exec_lo, exec_lo, s1
	s_wait_dscnt 0x0
	ds_bpermute_b32 v9, v3, v1
	v_xor_b32_e32 v19, 1, v16
	v_lshlrev_b32_e32 v2, 2, v2
	s_delay_alu instid0(VALU_DEP_2) | instskip(NEXT) | instid1(VALU_DEP_1)
	v_cmp_lt_i32_e64 s1, v19, v18
	v_cndmask_b32_e64 v18, v16, v19, s1
	v_max_num_f32_e32 v1, v1, v1
	s_sub_co_i32 s1, s27, s12
	s_wait_alu 0xfffe
	s_lshl_b32 s1, s1, 4
	v_lshlrev_b32_e32 v18, 2, v18
	s_wait_alu 0xfffe
	s_add_co_i32 s1, s1, s28
	s_wait_alu 0xfffe
	s_min_i32 s1, s1, s26
	s_wait_dscnt 0x0
	v_max_num_f32_e32 v9, v9, v9
	s_wait_alu 0xfffe
	s_sub_co_i32 s15, s1, s28
	s_delay_alu instid0(SALU_CYCLE_1) | instskip(NEXT) | instid1(VALU_DEP_2)
	v_cmp_gt_i32_e64 s1, s15, v0
	v_max_num_f32_e32 v1, v1, v9
	ds_bpermute_b32 v9, v18, v1
	s_wait_dscnt 0x0
	v_max_num_f32_e32 v9, v9, v9
	s_delay_alu instid0(VALU_DEP_1)
	v_max_num_f32_e32 v1, v1, v9
	v_mov_b32_e32 v9, 0
	ds_bpermute_b32 v1, v2, v1
	v_lshl_add_u32 v2, v0, 2, 0x60
	s_and_saveexec_b32 s31, s1
	s_cbranch_execz .LBB272_149
; %bb.146:
	v_lshl_add_u32 v19, v0, 2, 0x60
	v_dual_mov_b32 v9, 0 :: v_dual_mov_b32 v20, v0
	s_mov_b32 s33, 0
.LBB272_147:                            ; =>This Inner Loop Header: Depth=1
	ds_load_b32 v21, v19
	v_add_nc_u32_e32 v20, 0x80, v20
	s_delay_alu instid0(VALU_DEP_1) | instskip(SKIP_3) | instid1(VALU_DEP_1)
	v_cmp_le_i32_e64 s3, s15, v20
	s_or_b32 s33, s3, s33
	s_wait_dscnt 0x0
	v_sub_f32_e32 v21, v21, v1
	v_mul_f32_e32 v21, 0x3fb8aa3b, v21
	s_delay_alu instid0(VALU_DEP_1)
	v_exp_f32_e32 v21, v21
	ds_store_b32 v19, v21
	v_add_f32_e32 v9, v9, v21
	v_add_nc_u32_e32 v19, 0x200, v19
	s_and_not1_b32 exec_lo, exec_lo, s33
	s_cbranch_execnz .LBB272_147
; %bb.148:
	s_or_b32 exec_lo, exec_lo, s33
.LBB272_149:
	s_wait_alu 0xfffe
	s_or_b32 exec_lo, exec_lo, s31
	ds_bpermute_b32 v4, v4, v9
	s_wait_dscnt 0x0
	v_add_f32_e32 v4, v9, v4
	ds_bpermute_b32 v5, v5, v4
	s_wait_dscnt 0x0
	v_add_f32_e32 v4, v4, v5
	;; [unrolled: 3-line block ×5, first 2 shown]
	s_and_saveexec_b32 s3, vcc_lo
; %bb.150:
	ds_store_b32 v7, v4 offset:80
; %bb.151:
	s_wait_alu 0xfffe
	s_or_b32 exec_lo, exec_lo, s3
	s_wait_loadcnt_dscnt 0x0
	s_barrier_signal -1
	s_barrier_wait -1
	global_inv scope:SCOPE_SE
	s_and_saveexec_b32 s3, s0
; %bb.152:
	ds_load_b32 v4, v8 offset:80
; %bb.153:
	s_wait_alu 0xfffe
	s_or_b32 exec_lo, exec_lo, s3
	s_wait_dscnt 0x0
	ds_bpermute_b32 v3, v3, v4
	v_lshlrev_b32_e32 v5, 2, v16
	s_wait_dscnt 0x0
	v_add_f32_e32 v3, v4, v3
	ds_bpermute_b32 v4, v18, v3
	s_wait_dscnt 0x0
	v_dual_add_f32 v3, v3, v4 :: v_dual_and_b32 v4, 0xffffff80, v5
	ds_bpermute_b32 v3, v4, v3
	s_and_saveexec_b32 s0, s1
	s_cbranch_execz .LBB272_156
; %bb.154:
	s_wait_dscnt 0x0
	v_add_f32_e32 v4, 0x358637bd, v3
	s_mov_b32 s1, 0
	s_delay_alu instid0(VALU_DEP_1) | instskip(SKIP_1) | instid1(VALU_DEP_2)
	v_div_scale_f32 v5, null, v4, v4, 1.0
	v_div_scale_f32 v8, vcc_lo, 1.0, v4, 1.0
	v_rcp_f32_e32 v6, v5
	s_delay_alu instid0(TRANS32_DEP_1) | instskip(NEXT) | instid1(VALU_DEP_1)
	v_fma_f32 v7, -v5, v6, 1.0
	v_fmac_f32_e32 v6, v7, v6
	s_delay_alu instid0(VALU_DEP_1) | instskip(NEXT) | instid1(VALU_DEP_1)
	v_mul_f32_e32 v7, v8, v6
	v_fma_f32 v9, -v5, v7, v8
	s_delay_alu instid0(VALU_DEP_1) | instskip(NEXT) | instid1(VALU_DEP_1)
	v_fmac_f32_e32 v7, v9, v6
	v_fma_f32 v5, -v5, v7, v8
	s_wait_alu 0xfffd
	s_delay_alu instid0(VALU_DEP_1) | instskip(NEXT) | instid1(VALU_DEP_1)
	v_div_fmas_f32 v5, v5, v6, v7
	v_div_fixup_f32 v4, v5, v4, 1.0
	v_mov_b32_e32 v5, v0
.LBB272_155:                            ; =>This Inner Loop Header: Depth=1
	ds_load_b32 v6, v2
	s_wait_dscnt 0x0
	v_dual_mul_f32 v6, v4, v6 :: v_dual_add_nc_u32 v5, 0x80, v5
	s_delay_alu instid0(VALU_DEP_1)
	v_cmp_le_i32_e32 vcc_lo, s15, v5
	ds_store_b32 v2, v6
	v_add_nc_u32_e32 v2, 0x200, v2
	s_wait_alu 0xfffe
	s_or_b32 s1, vcc_lo, s1
	s_wait_alu 0xfffe
	s_and_not1_b32 exec_lo, exec_lo, s1
	s_cbranch_execnz .LBB272_155
.LBB272_156:
	s_wait_alu 0xfffe
	s_or_b32 exec_lo, exec_lo, s0
	s_mul_i32 s0, s17, s22
	s_wait_loadcnt_dscnt 0x0
	s_wait_alu 0xfffe
	s_mul_i32 s22, s0, s23
	s_mov_b32 s0, exec_lo
	s_barrier_signal -1
	s_barrier_wait -1
	global_inv scope:SCOPE_SE
	v_cmpx_eq_u32_e32 0, v0
	s_cbranch_execz .LBB272_158
; %bb.157:
	s_ashr_i32 s23, s22, 31
	s_wait_alu 0xfffe
	s_mul_i32 s34, s17, ttmp9
	s_lshl_b32 s1, s29, 2
	s_lshl_b64 s[36:37], s[22:23], 2
	s_wait_alu 0xfffe
	s_ashr_i32 s35, s34, 31
	v_mov_b32_e32 v2, s1
	s_add_nc_u64 s[6:7], s[6:7], s[36:37]
	s_wait_alu 0xfffe
	s_lshl_b64 s[34:35], s[34:35], 2
	s_add_nc_u64 s[4:5], s[4:5], s[36:37]
	s_wait_alu 0xfffe
	s_add_nc_u64 s[6:7], s[6:7], s[34:35]
	s_add_nc_u64 s[4:5], s[4:5], s[34:35]
	s_clause 0x1
	global_store_b32 v2, v1, s[6:7]
	global_store_b32 v2, v3, s[4:5]
.LBB272_158:
	s_wait_alu 0xfffe
	s_or_b32 exec_lo, exec_lo, s0
	v_dual_mov_b32 v16, 0 :: v_dual_mov_b32 v19, 0
	s_and_saveexec_b32 s1, s2
	s_cbranch_execz .LBB272_294
; %bb.159:
	v_dual_mov_b32 v16, 0 :: v_dual_lshlrev_b32 v3, 5, v12
	v_dual_mov_b32 v19, 0 :: v_dual_and_b32 v4, 0xf8, v10
	s_ashr_i32 s15, s14, 31
	s_delay_alu instid0(VALU_DEP_2)
	v_lshl_or_b32 v6, v13, 6, v3
	s_wait_kmcnt 0x0
	s_wait_alu 0xfffe
	s_add_nc_u64 s[6:7], s[24:25], s[14:15]
	v_dual_mov_b32 v2, 0 :: v_dual_and_b32 v1, 8, v10
	s_wait_alu 0xfffe
	v_add_co_u32 v3, s0, s6, v4
	v_lshl_add_u32 v5, v13, 4, s28
	s_wait_alu 0xf1ff
	v_add_co_ci_u32_e64 v4, null, s7, 0, s0
	s_lshl_b64 s[6:7], s[18:19], 2
	v_add_nc_u32_e32 v21, 0x60, v6
	s_wait_alu 0xfffe
	s_add_nc_u64 s[6:7], s[20:21], s[6:7]
	v_add3_u32 v20, v5, v1, 7
	s_wait_alu 0xfffe
	v_add_co_u32 v5, s0, s6, v15
	s_wait_alu 0xf1ff
	v_add_co_ci_u32_e64 v6, null, s7, 0, s0
	s_mov_b32 s2, -1
	s_mov_b32 s4, s13
	s_mov_b32 s3, 0xffffff
	s_add_co_i32 s30, s30, -1
	s_mov_b32 s5, 0
	s_branch .LBB272_161
.LBB272_160:                            ;   in Loop: Header=BB272_161 Depth=1
	s_wait_alu 0xfffe
	s_or_b32 exec_lo, exec_lo, s0
	;;#ASMSTART
	v_pk_mul_f16 v1, v31, v38;

	;;#ASMEND
	;;#ASMSTART
	v_pk_mul_f16 v7, v28, v34;

	;;#ASMEND
	;; [unrolled: 4-line block ×4, first 2 shown]
	;;#ASMSTART
	v_pk_add_f16 v1, v1, v7;

	;;#ASMEND
	;;#ASMSTART
	v_pk_add_f16 v1, v1, v8;

	;;#ASMEND
	;; [unrolled: 4-line block ×3, first 2 shown]
	v_and_b32_e32 v7, 0xffff, v1
	v_lshrrev_b32_e32 v8, 16, v1
	;;#ASMSTART
	v_cvt_f32_f16 v7, v7;
	;;#ASMEND
	;;#ASMSTART
	v_cvt_f32_f16 v8, v8;
	;;#ASMEND
	s_delay_alu instid0(VALU_DEP_1) | instskip(SKIP_2) | instid1(VALU_DEP_3)
	v_dual_add_f32 v7, v7, v8 :: v_dual_add_nc_u32 v14, 4, v14
	v_add_f32_e32 v1, v29, v30
	v_add_co_u32 v5, s0, v5, 16
	v_add_f32_e32 v16, v16, v7
	s_delay_alu instid0(VALU_DEP_4) | instskip(NEXT) | instid1(VALU_DEP_4)
	v_cmp_le_i32_e32 vcc_lo, s27, v14
	v_dual_add_f32 v19, v19, v1 :: v_dual_add_nc_u32 v20, 64, v20
	v_add_nc_u32_e32 v21, 0x100, v21
	s_wait_alu 0xf1ff
	v_add_co_ci_u32_e64 v6, null, 0, v6, s0
	s_or_b32 s5, vcc_lo, s5
	s_wait_alu 0xfffe
	s_and_not1_b32 exec_lo, exec_lo, s5
	s_cbranch_execz .LBB272_293
.LBB272_161:                            ; =>This Inner Loop Header: Depth=1
	global_load_b32 v1, v[5:6], off
	ds_load_2addr_b64 v[22:25], v21 offset1:1
	ds_load_2addr_b64 v[32:35], v21 offset0:2 offset1:3
	s_mov_b32 s0, exec_lo
	s_wait_dscnt 0x1
	;;#ASMSTART
	v_cvt_f16_f32 v26, v22;

	;;#ASMEND
	;;#ASMSTART
	v_cvt_f16_f32 v27, v23;

	;;#ASMEND
	;; [unrolled: 4-line block ×4, first 2 shown]
	s_wait_dscnt 0x0
	;;#ASMSTART
	v_cvt_f16_f32 v32, v32;

	;;#ASMEND
	;;#ASMSTART
	v_cvt_f16_f32 v29, v33;

	;;#ASMEND
	;; [unrolled: 4-line block ×4, first 2 shown]
	v_mov_b32_e32 v22, 0
	s_wait_loadcnt 0x0
	s_wait_alu 0xfffe
	v_mad_co_i64_i32 v[7:8], null, v1, s4, v[3:4]
	global_load_b64 v[9:10], v[7:8], off
	global_load_b32 v15, v2, s[10:11]
	s_wait_loadcnt 0x1
	v_and_b32_e32 v1, 0xff, v9
	s_delay_alu instid0(VALU_DEP_1)
	v_cmpx_ne_u16_e32 0, v1
	s_cbranch_execz .LBB272_169
; %bb.162:                              ;   in Loop: Header=BB272_161 Depth=1
	v_mov_b32_e32 v22, 0x8000
	s_mov_b32 s6, exec_lo
	v_cmpx_ne_u16_e32 0x80, v1
	s_cbranch_execz .LBB272_168
; %bb.163:                              ;   in Loop: Header=BB272_161 Depth=1
	v_and_b32_e32 v23, 0x7f, v9
	v_mov_b32_e32 v22, 0x7c01
	s_mov_b32 s7, exec_lo
	s_delay_alu instid0(VALU_DEP_2)
	v_cmpx_ne_u32_e32 0x7f, v23
	s_cbranch_execz .LBB272_167
; %bb.164:                              ;   in Loop: Header=BB272_161 Depth=1
	v_and_b32_e32 v1, 7, v9
	v_lshrrev_b32_e32 v22, 3, v23
	s_mov_b32 s13, exec_lo
	v_cmpx_gt_u32_e32 8, v23
; %bb.165:                              ;   in Loop: Header=BB272_161 Depth=1
	s_delay_alu instid0(VALU_DEP_3) | instskip(NEXT) | instid1(VALU_DEP_1)
	v_clz_i32_u32_e32 v1, v1
	v_min_u32_e32 v1, 32, v1
	s_delay_alu instid0(VALU_DEP_1) | instskip(NEXT) | instid1(VALU_DEP_1)
	v_subrev_nc_u32_e32 v22, 28, v1
	v_lshlrev_b64_e32 v[23:24], v22, v[9:10]
	v_sub_nc_u32_e32 v22, 29, v1
	s_delay_alu instid0(VALU_DEP_2)
	v_and_b32_e32 v1, 7, v23
; %bb.166:                              ;   in Loop: Header=BB272_161 Depth=1
	s_wait_alu 0xfffe
	s_or_b32 exec_lo, exec_lo, s13
	v_lshlrev_b32_e32 v23, 8, v9
	v_lshl_add_u32 v22, v22, 10, 0x2000
	v_lshlrev_b32_e32 v1, 7, v1
	s_delay_alu instid0(VALU_DEP_3) | instskip(NEXT) | instid1(VALU_DEP_3)
	v_and_b32_e32 v23, 0x8000, v23
	v_and_b32_e32 v22, 0xfc00, v22
	s_delay_alu instid0(VALU_DEP_1)
	v_or3_b32 v22, v23, v22, v1
.LBB272_167:                            ;   in Loop: Header=BB272_161 Depth=1
	s_wait_alu 0xfffe
	s_or_b32 exec_lo, exec_lo, s7
.LBB272_168:                            ;   in Loop: Header=BB272_161 Depth=1
	s_wait_alu 0xfffe
	s_or_b32 exec_lo, exec_lo, s6
.LBB272_169:                            ;   in Loop: Header=BB272_161 Depth=1
	s_delay_alu instid0(SALU_CYCLE_1) | instskip(SKIP_3) | instid1(VALU_DEP_2)
	s_or_b32 exec_lo, exec_lo, s0
	v_lshrrev_b16 v1, 8, v9
	v_dual_mov_b32 v24, 0 :: v_dual_mov_b32 v23, 0
	s_mov_b32 s0, exec_lo
	v_cmpx_ne_u16_e32 0, v1
	s_cbranch_execz .LBB272_177
; %bb.170:                              ;   in Loop: Header=BB272_161 Depth=1
	v_bfrev_b32_e32 v23, 1
	s_mov_b32 s6, exec_lo
	v_cmpx_ne_u16_e32 0x80, v1
	s_cbranch_execz .LBB272_176
; %bb.171:                              ;   in Loop: Header=BB272_161 Depth=1
	v_and_b32_e32 v25, 0xffff, v1
	v_mov_b32_e32 v23, 0x7c010000
	s_mov_b32 s7, exec_lo
	s_delay_alu instid0(VALU_DEP_2) | instskip(NEXT) | instid1(VALU_DEP_1)
	v_and_b32_e32 v35, 0x7f, v25
	v_cmpx_ne_u32_e32 0x7f, v35
	s_cbranch_execz .LBB272_175
; %bb.172:                              ;   in Loop: Header=BB272_161 Depth=1
	v_and_b32_e32 v23, 7, v25
	v_lshrrev_b32_e32 v34, 3, v35
	s_mov_b32 s13, exec_lo
	v_cmpx_gt_u32_e32 8, v35
; %bb.173:                              ;   in Loop: Header=BB272_161 Depth=1
	s_delay_alu instid0(VALU_DEP_3) | instskip(NEXT) | instid1(VALU_DEP_1)
	v_clz_i32_u32_e32 v23, v23
	v_min_u32_e32 v23, 32, v23
	s_delay_alu instid0(VALU_DEP_1) | instskip(NEXT) | instid1(VALU_DEP_1)
	v_subrev_nc_u32_e32 v34, 28, v23
	v_lshlrev_b64_e32 v[35:36], v34, v[1:2]
	v_sub_nc_u32_e32 v34, 29, v23
	s_delay_alu instid0(VALU_DEP_2)
	v_and_b32_e32 v23, 7, v35
; %bb.174:                              ;   in Loop: Header=BB272_161 Depth=1
	s_wait_alu 0xfffe
	s_or_b32 exec_lo, exec_lo, s13
	v_lshlrev_b32_e32 v1, 8, v25
	v_lshl_add_u32 v25, v34, 10, 0x2000
	v_lshlrev_b32_e32 v23, 23, v23
	s_delay_alu instid0(VALU_DEP_2) | instskip(NEXT) | instid1(VALU_DEP_1)
	v_and_or_b32 v1, 0x8000, v1, v25
	v_lshl_or_b32 v23, v1, 16, v23
.LBB272_175:                            ;   in Loop: Header=BB272_161 Depth=1
	s_wait_alu 0xfffe
	s_or_b32 exec_lo, exec_lo, s7
.LBB272_176:                            ;   in Loop: Header=BB272_161 Depth=1
	s_wait_alu 0xfffe
	s_or_b32 exec_lo, exec_lo, s6
.LBB272_177:                            ;   in Loop: Header=BB272_161 Depth=1
	s_wait_alu 0xfffe
	s_or_b32 exec_lo, exec_lo, s0
	v_lshrrev_b32_e32 v1, 16, v9
	s_mov_b32 s0, exec_lo
	s_delay_alu instid0(VALU_DEP_1) | instskip(NEXT) | instid1(VALU_DEP_1)
	v_and_b32_e32 v25, 0xff, v1
	v_cmpx_ne_u16_e32 0, v25
	s_cbranch_execz .LBB272_185
; %bb.178:                              ;   in Loop: Header=BB272_161 Depth=1
	v_mov_b32_e32 v24, 0x8000
	s_mov_b32 s6, exec_lo
	v_cmpx_ne_u16_e32 0x80, v25
	s_cbranch_execz .LBB272_184
; %bb.179:                              ;   in Loop: Header=BB272_161 Depth=1
	v_bfe_u32 v34, v9, 16, 7
	v_mov_b32_e32 v24, 0x7c01
	s_mov_b32 s7, exec_lo
	s_delay_alu instid0(VALU_DEP_2)
	v_cmpx_ne_u32_e32 0x7f, v34
	s_cbranch_execz .LBB272_183
; %bb.180:                              ;   in Loop: Header=BB272_161 Depth=1
	v_and_b32_e32 v24, 7, v1
	v_lshrrev_b32_e32 v25, 3, v34
	s_mov_b32 s13, exec_lo
	v_cmpx_gt_u32_e32 8, v34
; %bb.181:                              ;   in Loop: Header=BB272_161 Depth=1
	s_delay_alu instid0(VALU_DEP_3) | instskip(NEXT) | instid1(VALU_DEP_1)
	v_clz_i32_u32_e32 v24, v24
	v_min_u32_e32 v34, 32, v24
	s_delay_alu instid0(VALU_DEP_1) | instskip(NEXT) | instid1(VALU_DEP_1)
	v_subrev_nc_u32_e32 v24, 28, v34
	v_lshlrev_b64_e32 v[24:25], v24, v[1:2]
	v_sub_nc_u32_e32 v25, 29, v34
	s_delay_alu instid0(VALU_DEP_2)
	v_and_b32_e32 v24, 7, v24
; %bb.182:                              ;   in Loop: Header=BB272_161 Depth=1
	s_wait_alu 0xfffe
	s_or_b32 exec_lo, exec_lo, s13
	v_lshlrev_b32_e32 v1, 8, v1
	v_lshl_add_u32 v25, v25, 10, 0x2000
	v_lshlrev_b32_e32 v24, 7, v24
	s_delay_alu instid0(VALU_DEP_3) | instskip(NEXT) | instid1(VALU_DEP_3)
	v_and_b32_e32 v1, 0x8000, v1
	v_and_b32_e32 v25, 0xfc00, v25
	s_delay_alu instid0(VALU_DEP_1)
	v_or3_b32 v24, v1, v25, v24
.LBB272_183:                            ;   in Loop: Header=BB272_161 Depth=1
	s_wait_alu 0xfffe
	s_or_b32 exec_lo, exec_lo, s7
.LBB272_184:                            ;   in Loop: Header=BB272_161 Depth=1
	s_wait_alu 0xfffe
	s_or_b32 exec_lo, exec_lo, s6
.LBB272_185:                            ;   in Loop: Header=BB272_161 Depth=1
	s_wait_alu 0xfffe
	s_or_b32 exec_lo, exec_lo, s0
	v_dual_mov_b32 v25, 0 :: v_dual_mov_b32 v34, 0
	s_mov_b32 s0, exec_lo
	v_cmpx_lt_u32_e32 0xffffff, v9
	s_cbranch_execz .LBB272_193
; %bb.186:                              ;   in Loop: Header=BB272_161 Depth=1
	v_lshrrev_b32_e32 v1, 24, v9
	v_bfrev_b32_e32 v34, 1
	s_mov_b32 s6, exec_lo
	s_delay_alu instid0(VALU_DEP_2)
	v_cmpx_ne_u32_e32 0x80, v1
	s_cbranch_execz .LBB272_192
; %bb.187:                              ;   in Loop: Header=BB272_161 Depth=1
	v_and_b32_e32 v36, 0x7f, v1
	v_mov_b32_e32 v34, 0x7c010000
	s_mov_b32 s7, exec_lo
	s_delay_alu instid0(VALU_DEP_2)
	v_cmpx_ne_u32_e32 0x7f, v36
	s_cbranch_execz .LBB272_191
; %bb.188:                              ;   in Loop: Header=BB272_161 Depth=1
	v_and_b32_e32 v34, 7, v1
	v_lshrrev_b32_e32 v35, 3, v36
	s_mov_b32 s13, exec_lo
	v_cmpx_gt_u32_e32 8, v36
; %bb.189:                              ;   in Loop: Header=BB272_161 Depth=1
	s_delay_alu instid0(VALU_DEP_3) | instskip(NEXT) | instid1(VALU_DEP_1)
	v_clz_i32_u32_e32 v34, v34
	v_min_u32_e32 v36, 32, v34
	s_delay_alu instid0(VALU_DEP_1) | instskip(NEXT) | instid1(VALU_DEP_1)
	v_subrev_nc_u32_e32 v34, 28, v36
	v_lshlrev_b64_e32 v[34:35], v34, v[1:2]
	v_sub_nc_u32_e32 v35, 29, v36
	s_delay_alu instid0(VALU_DEP_2)
	v_and_b32_e32 v34, 7, v34
; %bb.190:                              ;   in Loop: Header=BB272_161 Depth=1
	s_wait_alu 0xfffe
	s_or_b32 exec_lo, exec_lo, s13
	v_lshlrev_b32_e32 v1, 8, v1
	v_lshl_add_u32 v35, v35, 10, 0x2000
	v_lshlrev_b32_e32 v34, 23, v34
	s_delay_alu instid0(VALU_DEP_2) | instskip(NEXT) | instid1(VALU_DEP_1)
	v_and_or_b32 v1, 0x8000, v1, v35
	v_lshl_or_b32 v34, v1, 16, v34
.LBB272_191:                            ;   in Loop: Header=BB272_161 Depth=1
	s_wait_alu 0xfffe
	s_or_b32 exec_lo, exec_lo, s7
.LBB272_192:                            ;   in Loop: Header=BB272_161 Depth=1
	s_wait_alu 0xfffe
	s_or_b32 exec_lo, exec_lo, s6
.LBB272_193:                            ;   in Loop: Header=BB272_161 Depth=1
	s_wait_alu 0xfffe
	s_or_b32 exec_lo, exec_lo, s0
	v_and_b32_e32 v35, 0xff, v10
	v_mov_b32_e32 v1, v10
	s_mov_b32 s0, exec_lo
	s_delay_alu instid0(VALU_DEP_2)
	v_cmpx_ne_u16_e32 0, v35
	s_cbranch_execz .LBB272_201
; %bb.194:                              ;   in Loop: Header=BB272_161 Depth=1
	v_mov_b32_e32 v25, 0x8000
	s_mov_b32 s6, exec_lo
	v_cmpx_ne_u16_e32 0x80, v35
	s_cbranch_execz .LBB272_200
; %bb.195:                              ;   in Loop: Header=BB272_161 Depth=1
	v_and_b32_e32 v36, 0x7f, v10
	v_mov_b32_e32 v25, 0x7c01
	s_mov_b32 s7, exec_lo
	s_delay_alu instid0(VALU_DEP_2)
	v_cmpx_ne_u32_e32 0x7f, v36
	s_cbranch_execz .LBB272_199
; %bb.196:                              ;   in Loop: Header=BB272_161 Depth=1
	v_and_b32_e32 v25, 7, v10
	v_lshrrev_b32_e32 v35, 3, v36
	s_mov_b32 s13, exec_lo
	v_cmpx_gt_u32_e32 8, v36
; %bb.197:                              ;   in Loop: Header=BB272_161 Depth=1
	s_delay_alu instid0(VALU_DEP_3) | instskip(NEXT) | instid1(VALU_DEP_1)
	v_clz_i32_u32_e32 v25, v25
	v_min_u32_e32 v25, 32, v25
	s_delay_alu instid0(VALU_DEP_1) | instskip(NEXT) | instid1(VALU_DEP_1)
	v_subrev_nc_u32_e32 v35, 28, v25
	v_lshlrev_b64_e32 v[36:37], v35, v[1:2]
	v_sub_nc_u32_e32 v35, 29, v25
	s_delay_alu instid0(VALU_DEP_2)
	v_and_b32_e32 v25, 7, v36
; %bb.198:                              ;   in Loop: Header=BB272_161 Depth=1
	s_wait_alu 0xfffe
	s_or_b32 exec_lo, exec_lo, s13
	v_lshlrev_b32_e32 v36, 8, v10
	v_lshl_add_u32 v35, v35, 10, 0x2000
	v_lshlrev_b32_e32 v25, 7, v25
	s_delay_alu instid0(VALU_DEP_3) | instskip(NEXT) | instid1(VALU_DEP_3)
	v_and_b32_e32 v36, 0x8000, v36
	v_and_b32_e32 v35, 0xfc00, v35
	s_delay_alu instid0(VALU_DEP_1)
	v_or3_b32 v25, v36, v35, v25
.LBB272_199:                            ;   in Loop: Header=BB272_161 Depth=1
	s_wait_alu 0xfffe
	s_or_b32 exec_lo, exec_lo, s7
.LBB272_200:                            ;   in Loop: Header=BB272_161 Depth=1
	s_wait_alu 0xfffe
	s_or_b32 exec_lo, exec_lo, s6
.LBB272_201:                            ;   in Loop: Header=BB272_161 Depth=1
	s_wait_alu 0xfffe
	s_or_b32 exec_lo, exec_lo, s0
	v_lshrrev_b16 v1, 8, v1
	v_dual_mov_b32 v36, 0 :: v_dual_mov_b32 v35, 0
	s_mov_b32 s0, exec_lo
	s_delay_alu instid0(VALU_DEP_2)
	v_cmpx_ne_u16_e32 0, v1
	s_cbranch_execz .LBB272_209
; %bb.202:                              ;   in Loop: Header=BB272_161 Depth=1
	v_bfrev_b32_e32 v35, 1
	s_mov_b32 s6, exec_lo
	v_cmpx_ne_u16_e32 0x80, v1
	s_cbranch_execz .LBB272_208
; %bb.203:                              ;   in Loop: Header=BB272_161 Depth=1
	v_and_b32_e32 v37, 0xffff, v1
	v_mov_b32_e32 v35, 0x7c010000
	s_mov_b32 s7, exec_lo
	s_delay_alu instid0(VALU_DEP_2) | instskip(NEXT) | instid1(VALU_DEP_1)
	v_and_b32_e32 v39, 0x7f, v37
	v_cmpx_ne_u32_e32 0x7f, v39
	s_cbranch_execz .LBB272_207
; %bb.204:                              ;   in Loop: Header=BB272_161 Depth=1
	v_and_b32_e32 v35, 7, v37
	v_lshrrev_b32_e32 v38, 3, v39
	s_mov_b32 s13, exec_lo
	v_cmpx_gt_u32_e32 8, v39
; %bb.205:                              ;   in Loop: Header=BB272_161 Depth=1
	s_delay_alu instid0(VALU_DEP_3) | instskip(NEXT) | instid1(VALU_DEP_1)
	v_clz_i32_u32_e32 v35, v35
	v_min_u32_e32 v35, 32, v35
	s_delay_alu instid0(VALU_DEP_1) | instskip(NEXT) | instid1(VALU_DEP_1)
	v_subrev_nc_u32_e32 v38, 28, v35
	v_lshlrev_b64_e32 v[39:40], v38, v[1:2]
	v_sub_nc_u32_e32 v38, 29, v35
	s_delay_alu instid0(VALU_DEP_2)
	v_and_b32_e32 v35, 7, v39
; %bb.206:                              ;   in Loop: Header=BB272_161 Depth=1
	s_wait_alu 0xfffe
	s_or_b32 exec_lo, exec_lo, s13
	v_lshlrev_b32_e32 v1, 8, v37
	v_lshl_add_u32 v37, v38, 10, 0x2000
	v_lshlrev_b32_e32 v35, 23, v35
	s_delay_alu instid0(VALU_DEP_2) | instskip(NEXT) | instid1(VALU_DEP_1)
	v_and_or_b32 v1, 0x8000, v1, v37
	v_lshl_or_b32 v35, v1, 16, v35
.LBB272_207:                            ;   in Loop: Header=BB272_161 Depth=1
	s_wait_alu 0xfffe
	s_or_b32 exec_lo, exec_lo, s7
.LBB272_208:                            ;   in Loop: Header=BB272_161 Depth=1
	s_wait_alu 0xfffe
	s_or_b32 exec_lo, exec_lo, s6
.LBB272_209:                            ;   in Loop: Header=BB272_161 Depth=1
	s_wait_alu 0xfffe
	s_or_b32 exec_lo, exec_lo, s0
	v_lshrrev_b32_e32 v1, 16, v10
	s_mov_b32 s0, exec_lo
	s_delay_alu instid0(VALU_DEP_1) | instskip(NEXT) | instid1(VALU_DEP_1)
	v_and_b32_e32 v37, 0xff, v1
	v_cmpx_ne_u16_e32 0, v37
	s_cbranch_execz .LBB272_217
; %bb.210:                              ;   in Loop: Header=BB272_161 Depth=1
	v_mov_b32_e32 v36, 0x8000
	s_mov_b32 s6, exec_lo
	v_cmpx_ne_u16_e32 0x80, v37
	s_cbranch_execz .LBB272_216
; %bb.211:                              ;   in Loop: Header=BB272_161 Depth=1
	v_bfe_u32 v38, v10, 16, 7
	v_mov_b32_e32 v36, 0x7c01
	s_mov_b32 s7, exec_lo
	s_delay_alu instid0(VALU_DEP_2)
	v_cmpx_ne_u32_e32 0x7f, v38
	s_cbranch_execz .LBB272_215
; %bb.212:                              ;   in Loop: Header=BB272_161 Depth=1
	v_and_b32_e32 v36, 7, v1
	v_lshrrev_b32_e32 v37, 3, v38
	s_mov_b32 s13, exec_lo
	v_cmpx_gt_u32_e32 8, v38
; %bb.213:                              ;   in Loop: Header=BB272_161 Depth=1
	s_delay_alu instid0(VALU_DEP_3) | instskip(NEXT) | instid1(VALU_DEP_1)
	v_clz_i32_u32_e32 v36, v36
	v_min_u32_e32 v38, 32, v36
	s_delay_alu instid0(VALU_DEP_1) | instskip(NEXT) | instid1(VALU_DEP_1)
	v_subrev_nc_u32_e32 v36, 28, v38
	v_lshlrev_b64_e32 v[36:37], v36, v[1:2]
	v_sub_nc_u32_e32 v37, 29, v38
	s_delay_alu instid0(VALU_DEP_2)
	v_and_b32_e32 v36, 7, v36
; %bb.214:                              ;   in Loop: Header=BB272_161 Depth=1
	s_wait_alu 0xfffe
	s_or_b32 exec_lo, exec_lo, s13
	v_lshlrev_b32_e32 v1, 8, v1
	v_lshl_add_u32 v37, v37, 10, 0x2000
	v_lshlrev_b32_e32 v36, 7, v36
	s_delay_alu instid0(VALU_DEP_3) | instskip(NEXT) | instid1(VALU_DEP_3)
	v_and_b32_e32 v1, 0x8000, v1
	v_and_b32_e32 v37, 0xfc00, v37
	s_delay_alu instid0(VALU_DEP_1)
	v_or3_b32 v36, v1, v37, v36
.LBB272_215:                            ;   in Loop: Header=BB272_161 Depth=1
	s_wait_alu 0xfffe
	s_or_b32 exec_lo, exec_lo, s7
.LBB272_216:                            ;   in Loop: Header=BB272_161 Depth=1
	s_wait_alu 0xfffe
	s_or_b32 exec_lo, exec_lo, s6
.LBB272_217:                            ;   in Loop: Header=BB272_161 Depth=1
	s_wait_alu 0xfffe
	s_or_b32 exec_lo, exec_lo, s0
	v_mov_b32_e32 v37, 0
	s_mov_b32 s0, exec_lo
	v_cmpx_lt_u64_e64 s[2:3], v[9:10]
	s_cbranch_execz .LBB272_225
; %bb.218:                              ;   in Loop: Header=BB272_161 Depth=1
	v_lshrrev_b32_e32 v1, 24, v10
	v_bfrev_b32_e32 v37, 1
	s_mov_b32 s6, exec_lo
	s_delay_alu instid0(VALU_DEP_2)
	v_cmpx_ne_u32_e32 0x80, v1
	s_cbranch_execz .LBB272_224
; %bb.219:                              ;   in Loop: Header=BB272_161 Depth=1
	v_and_b32_e32 v38, 0x7f, v1
	v_mov_b32_e32 v37, 0x7c010000
	s_mov_b32 s7, exec_lo
	s_delay_alu instid0(VALU_DEP_2)
	v_cmpx_ne_u32_e32 0x7f, v38
	s_cbranch_execz .LBB272_223
; %bb.220:                              ;   in Loop: Header=BB272_161 Depth=1
	v_and_b32_e32 v9, 7, v1
	v_lshrrev_b32_e32 v10, 3, v38
	s_mov_b32 s13, exec_lo
	v_cmpx_gt_u32_e32 8, v38
; %bb.221:                              ;   in Loop: Header=BB272_161 Depth=1
	s_delay_alu instid0(VALU_DEP_3) | instskip(NEXT) | instid1(VALU_DEP_1)
	v_clz_i32_u32_e32 v9, v9
	v_min_u32_e32 v37, 32, v9
	s_delay_alu instid0(VALU_DEP_1) | instskip(NEXT) | instid1(VALU_DEP_1)
	v_subrev_nc_u32_e32 v9, 28, v37
	v_lshlrev_b64_e32 v[9:10], v9, v[1:2]
	v_sub_nc_u32_e32 v10, 29, v37
	s_delay_alu instid0(VALU_DEP_2)
	v_and_b32_e32 v9, 7, v9
; %bb.222:                              ;   in Loop: Header=BB272_161 Depth=1
	s_wait_alu 0xfffe
	s_or_b32 exec_lo, exec_lo, s13
	v_lshlrev_b32_e32 v1, 8, v1
	v_lshl_add_u32 v10, v10, 10, 0x2000
	v_lshlrev_b32_e32 v9, 23, v9
	s_delay_alu instid0(VALU_DEP_2) | instskip(NEXT) | instid1(VALU_DEP_1)
	v_and_or_b32 v1, 0x8000, v1, v10
	v_lshl_or_b32 v37, v1, 16, v9
.LBB272_223:                            ;   in Loop: Header=BB272_161 Depth=1
	s_wait_alu 0xfffe
	s_or_b32 exec_lo, exec_lo, s7
.LBB272_224:                            ;   in Loop: Header=BB272_161 Depth=1
	s_wait_alu 0xfffe
	s_or_b32 exec_lo, exec_lo, s6
.LBB272_225:                            ;   in Loop: Header=BB272_161 Depth=1
	s_wait_alu 0xfffe
	s_or_b32 exec_lo, exec_lo, s0
	v_or_b32_e32 v1, v34, v24
	s_wait_loadcnt 0x0
	v_fma_mixlo_f16 v10, v15, v34, 0 op_sel:[0,1,0] op_sel_hi:[0,1,0]
	v_or_b32_e32 v22, v23, v22
	v_fma_mixlo_f16 v23, v15, v23, 0 op_sel:[0,1,0] op_sel_hi:[0,1,0]
	v_or_b32_e32 v24, v35, v25
	v_fma_mixlo_f16 v1, v15, v1, 0 op_sel_hi:[0,1,0]
	v_or_b32_e32 v25, v37, v36
	v_lshlrev_b32_e32 v34, 16, v10
	v_lshlrev_b32_e32 v42, 16, v23
	v_fma_mixlo_f16 v10, v15, v35, 0 op_sel:[0,1,0] op_sel_hi:[0,1,0]
	v_and_b32_e32 v39, 0xffff, v1
	v_fma_mixlo_f16 v1, v15, v22, 0 op_sel_hi:[0,1,0]
	v_fma_mixlo_f16 v22, v15, v24, 0 op_sel_hi:[0,1,0]
	v_fma_mixlo_f16 v23, v15, v37, 0 op_sel:[0,1,0] op_sel_hi:[0,1,0]
	v_fma_mixlo_f16 v15, v15, v25, 0 op_sel_hi:[0,1,0]
	v_lshlrev_b32_e32 v40, 16, v10
	v_and_b32_e32 v44, 0xffff, v1
	v_and_b32_e32 v43, 0xffff, v22
	v_lshlrev_b32_e32 v37, 16, v23
	v_and_b32_e32 v41, 0xffff, v15
	v_add_nc_u32_e32 v9, -7, v20
	v_cmp_eq_u32_e32 vcc_lo, s30, v14
	v_or_b32_e32 v1, v34, v39
	v_or_b32_e32 v35, v42, v44
	;; [unrolled: 1-line block ×4, first 2 shown]
	v_add_nc_u32_e32 v25, -6, v20
	v_add_nc_u32_e32 v24, -5, v20
	;; [unrolled: 1-line block ×6, first 2 shown]
	s_and_saveexec_b32 s6, vcc_lo
	s_cbranch_execz .LBB272_227
; %bb.226:                              ;   in Loop: Header=BB272_161 Depth=1
	v_cmp_gt_i32_e64 s0, s26, v9
	s_wait_alu 0xf1ff
	s_delay_alu instid0(VALU_DEP_1) | instskip(SKIP_2) | instid1(VALU_DEP_1)
	v_cndmask_b32_e64 v1, 0, v44, s0
	v_cmp_gt_i32_e64 s0, s26, v25
	s_wait_alu 0xf1ff
	v_cndmask_b32_e64 v35, 0, v42, s0
	v_cmp_gt_i32_e64 s0, s26, v24
	s_delay_alu instid0(VALU_DEP_2) | instskip(SKIP_1) | instid1(VALU_DEP_2)
	v_or_b32_e32 v35, v35, v1
	s_wait_alu 0xf1ff
	v_cndmask_b32_e64 v36, 0, v39, s0
	v_cmp_gt_i32_e64 s0, s26, v23
	s_wait_alu 0xf1ff
	s_delay_alu instid0(VALU_DEP_1) | instskip(SKIP_1) | instid1(VALU_DEP_2)
	v_cndmask_b32_e64 v34, 0, v34, s0
	v_cmp_gt_i32_e64 s0, s26, v22
	v_or_b32_e32 v1, v34, v36
	s_wait_alu 0xf1ff
	s_delay_alu instid0(VALU_DEP_2) | instskip(SKIP_2) | instid1(VALU_DEP_1)
	v_cndmask_b32_e64 v38, 0, v43, s0
	v_cmp_gt_i32_e64 s0, s26, v15
	s_wait_alu 0xf1ff
	v_cndmask_b32_e64 v39, 0, v40, s0
	v_cmp_gt_i32_e64 s0, s26, v10
	s_delay_alu instid0(VALU_DEP_2) | instskip(SKIP_1) | instid1(VALU_DEP_2)
	v_or_b32_e32 v36, v39, v38
	s_wait_alu 0xf1ff
	v_cndmask_b32_e64 v40, 0, v41, s0
	v_cmp_gt_i32_e64 s0, s26, v20
	s_wait_alu 0xf1ff
	s_delay_alu instid0(VALU_DEP_1) | instskip(NEXT) | instid1(VALU_DEP_1)
	v_cndmask_b32_e64 v37, 0, v37, s0
	v_or_b32_e32 v38, v37, v40
.LBB272_227:                            ;   in Loop: Header=BB272_161 Depth=1
	s_wait_alu 0xfffe
	s_or_b32 exec_lo, exec_lo, s6
	v_and_b32_e32 v26, 0xffff, v26
	v_and_b32_e32 v34, 0xffff, v31
	;; [unrolled: 1-line block ×4, first 2 shown]
	s_mov_b32 s6, exec_lo
	v_lshl_or_b32 v31, v27, 16, v26
	v_lshl_or_b32 v28, v28, 16, v34
	;; [unrolled: 1-line block ×3, first 2 shown]
	;;#ASMSTART
	v_pk_mul_f16 v29, v31, v35;

	;;#ASMEND
	;;#ASMSTART
	v_pk_mul_f16 v1, v28, v1;

	;;#ASMEND
	v_mov_b32_e32 v34, 0
	v_lshl_or_b32 v26, v30, 16, v33
	;;#ASMSTART
	v_pk_mul_f16 v30, v27, v36;

	;;#ASMEND
	;;#ASMSTART
	v_pk_mul_f16 v32, v26, v38;

	;;#ASMEND
	;;#ASMSTART
	v_pk_add_f16 v1, v29, v1;

	;;#ASMEND
	;;#ASMSTART
	v_pk_add_f16 v1, v1, v30;
	;; [unrolled: 4-line block ×3, first 2 shown]

	;;#ASMEND
	v_and_b32_e32 v29, 0xffff, v1
	v_lshrrev_b32_e32 v1, 16, v1
	;;#ASMSTART
	v_cvt_f32_f16 v29, v29;
	;;#ASMEND
	;;#ASMSTART
	v_cvt_f32_f16 v30, v1;
	;;#ASMEND
	global_load_b64 v[7:8], v[7:8], off offset:256
	v_mov_b32_e32 v33, 0
	global_load_b32 v32, v33, s[10:11]
	s_wait_loadcnt 0x1
	v_and_b32_e32 v1, 0xff, v7
	s_delay_alu instid0(VALU_DEP_1)
	v_cmpx_ne_u16_e32 0, v1
	s_cbranch_execz .LBB272_235
; %bb.228:                              ;   in Loop: Header=BB272_161 Depth=1
	v_mov_b32_e32 v34, 0x8000
	s_mov_b32 s7, exec_lo
	v_cmpx_ne_u16_e32 0x80, v1
	s_cbranch_execz .LBB272_234
; %bb.229:                              ;   in Loop: Header=BB272_161 Depth=1
	v_and_b32_e32 v35, 0x7f, v7
	v_mov_b32_e32 v34, 0x7c01
	s_mov_b32 s13, exec_lo
	s_delay_alu instid0(VALU_DEP_2)
	v_cmpx_ne_u32_e32 0x7f, v35
	s_cbranch_execz .LBB272_233
; %bb.230:                              ;   in Loop: Header=BB272_161 Depth=1
	v_and_b32_e32 v1, 7, v7
	v_lshrrev_b32_e32 v34, 3, v35
	s_mov_b32 s14, exec_lo
	v_cmpx_gt_u32_e32 8, v35
; %bb.231:                              ;   in Loop: Header=BB272_161 Depth=1
	s_delay_alu instid0(VALU_DEP_3) | instskip(NEXT) | instid1(VALU_DEP_1)
	v_clz_i32_u32_e32 v1, v1
	v_min_u32_e32 v1, 32, v1
	s_delay_alu instid0(VALU_DEP_1) | instskip(NEXT) | instid1(VALU_DEP_1)
	v_subrev_nc_u32_e32 v34, 28, v1
	v_lshlrev_b64_e32 v[35:36], v34, v[7:8]
	v_sub_nc_u32_e32 v34, 29, v1
	s_delay_alu instid0(VALU_DEP_2)
	v_and_b32_e32 v1, 7, v35
; %bb.232:                              ;   in Loop: Header=BB272_161 Depth=1
	s_wait_alu 0xfffe
	s_or_b32 exec_lo, exec_lo, s14
	v_lshlrev_b32_e32 v35, 8, v7
	v_lshl_add_u32 v34, v34, 10, 0x2000
	v_lshlrev_b32_e32 v1, 7, v1
	s_delay_alu instid0(VALU_DEP_3) | instskip(NEXT) | instid1(VALU_DEP_3)
	v_and_b32_e32 v35, 0x8000, v35
	v_and_b32_e32 v34, 0xfc00, v34
	s_delay_alu instid0(VALU_DEP_1)
	v_or3_b32 v34, v35, v34, v1
.LBB272_233:                            ;   in Loop: Header=BB272_161 Depth=1
	s_wait_alu 0xfffe
	s_or_b32 exec_lo, exec_lo, s13
.LBB272_234:                            ;   in Loop: Header=BB272_161 Depth=1
	s_wait_alu 0xfffe
	s_or_b32 exec_lo, exec_lo, s7
.LBB272_235:                            ;   in Loop: Header=BB272_161 Depth=1
	s_wait_alu 0xfffe
	s_or_b32 exec_lo, exec_lo, s6
	v_lshrrev_b16 v1, 8, v7
	s_mov_b32 s6, exec_lo
	s_delay_alu instid0(VALU_DEP_1)
	v_cmpx_ne_u16_e32 0, v1
	s_cbranch_execz .LBB272_243
; %bb.236:                              ;   in Loop: Header=BB272_161 Depth=1
	v_bfrev_b32_e32 v33, 1
	s_mov_b32 s7, exec_lo
	v_cmpx_ne_u16_e32 0x80, v1
	s_cbranch_execz .LBB272_242
; %bb.237:                              ;   in Loop: Header=BB272_161 Depth=1
	v_and_b32_e32 v35, 0xffff, v1
	v_mov_b32_e32 v33, 0x7c010000
	s_mov_b32 s13, exec_lo
	s_delay_alu instid0(VALU_DEP_2) | instskip(NEXT) | instid1(VALU_DEP_1)
	v_and_b32_e32 v37, 0x7f, v35
	v_cmpx_ne_u32_e32 0x7f, v37
	s_cbranch_execz .LBB272_241
; %bb.238:                              ;   in Loop: Header=BB272_161 Depth=1
	v_and_b32_e32 v33, 7, v35
	v_lshrrev_b32_e32 v36, 3, v37
	s_mov_b32 s14, exec_lo
	v_cmpx_gt_u32_e32 8, v37
; %bb.239:                              ;   in Loop: Header=BB272_161 Depth=1
	s_delay_alu instid0(VALU_DEP_3) | instskip(NEXT) | instid1(VALU_DEP_1)
	v_clz_i32_u32_e32 v33, v33
	v_min_u32_e32 v33, 32, v33
	s_delay_alu instid0(VALU_DEP_1) | instskip(NEXT) | instid1(VALU_DEP_1)
	v_subrev_nc_u32_e32 v36, 28, v33
	v_lshlrev_b64_e32 v[37:38], v36, v[1:2]
	v_sub_nc_u32_e32 v36, 29, v33
	s_delay_alu instid0(VALU_DEP_2)
	v_and_b32_e32 v33, 7, v37
; %bb.240:                              ;   in Loop: Header=BB272_161 Depth=1
	s_wait_alu 0xfffe
	s_or_b32 exec_lo, exec_lo, s14
	v_lshlrev_b32_e32 v1, 8, v35
	v_lshl_add_u32 v35, v36, 10, 0x2000
	v_lshlrev_b32_e32 v33, 23, v33
	s_delay_alu instid0(VALU_DEP_2) | instskip(NEXT) | instid1(VALU_DEP_1)
	v_and_or_b32 v1, 0x8000, v1, v35
	v_lshl_or_b32 v33, v1, 16, v33
.LBB272_241:                            ;   in Loop: Header=BB272_161 Depth=1
	s_wait_alu 0xfffe
	s_or_b32 exec_lo, exec_lo, s13
.LBB272_242:                            ;   in Loop: Header=BB272_161 Depth=1
	s_wait_alu 0xfffe
	s_or_b32 exec_lo, exec_lo, s7
.LBB272_243:                            ;   in Loop: Header=BB272_161 Depth=1
	s_wait_alu 0xfffe
	s_or_b32 exec_lo, exec_lo, s6
	v_lshrrev_b32_e32 v1, 16, v7
	v_mov_b32_e32 v35, 0
	s_mov_b32 s6, exec_lo
	s_delay_alu instid0(VALU_DEP_2) | instskip(NEXT) | instid1(VALU_DEP_1)
	v_dual_mov_b32 v36, 0 :: v_dual_and_b32 v37, 0xff, v1
	v_cmpx_ne_u16_e32 0, v37
	s_cbranch_execz .LBB272_251
; %bb.244:                              ;   in Loop: Header=BB272_161 Depth=1
	v_mov_b32_e32 v36, 0x8000
	s_mov_b32 s7, exec_lo
	v_cmpx_ne_u16_e32 0x80, v37
	s_cbranch_execz .LBB272_250
; %bb.245:                              ;   in Loop: Header=BB272_161 Depth=1
	v_bfe_u32 v38, v7, 16, 7
	v_mov_b32_e32 v36, 0x7c01
	s_mov_b32 s13, exec_lo
	s_delay_alu instid0(VALU_DEP_2)
	v_cmpx_ne_u32_e32 0x7f, v38
	s_cbranch_execz .LBB272_249
; %bb.246:                              ;   in Loop: Header=BB272_161 Depth=1
	v_and_b32_e32 v36, 7, v1
	v_lshrrev_b32_e32 v37, 3, v38
	s_mov_b32 s14, exec_lo
	v_cmpx_gt_u32_e32 8, v38
; %bb.247:                              ;   in Loop: Header=BB272_161 Depth=1
	s_delay_alu instid0(VALU_DEP_3) | instskip(NEXT) | instid1(VALU_DEP_1)
	v_clz_i32_u32_e32 v36, v36
	v_min_u32_e32 v38, 32, v36
	s_delay_alu instid0(VALU_DEP_1) | instskip(NEXT) | instid1(VALU_DEP_1)
	v_subrev_nc_u32_e32 v36, 28, v38
	v_lshlrev_b64_e32 v[36:37], v36, v[1:2]
	v_sub_nc_u32_e32 v37, 29, v38
	s_delay_alu instid0(VALU_DEP_2)
	v_and_b32_e32 v36, 7, v36
; %bb.248:                              ;   in Loop: Header=BB272_161 Depth=1
	s_wait_alu 0xfffe
	s_or_b32 exec_lo, exec_lo, s14
	v_lshlrev_b32_e32 v1, 8, v1
	v_lshl_add_u32 v37, v37, 10, 0x2000
	v_lshlrev_b32_e32 v36, 7, v36
	s_delay_alu instid0(VALU_DEP_3) | instskip(NEXT) | instid1(VALU_DEP_3)
	v_and_b32_e32 v1, 0x8000, v1
	v_and_b32_e32 v37, 0xfc00, v37
	s_delay_alu instid0(VALU_DEP_1)
	v_or3_b32 v36, v1, v37, v36
.LBB272_249:                            ;   in Loop: Header=BB272_161 Depth=1
	s_wait_alu 0xfffe
	s_or_b32 exec_lo, exec_lo, s13
.LBB272_250:                            ;   in Loop: Header=BB272_161 Depth=1
	s_wait_alu 0xfffe
	s_or_b32 exec_lo, exec_lo, s7
.LBB272_251:                            ;   in Loop: Header=BB272_161 Depth=1
	s_wait_alu 0xfffe
	s_or_b32 exec_lo, exec_lo, s6
	s_delay_alu instid0(SALU_CYCLE_1)
	s_mov_b32 s6, exec_lo
	v_cmpx_lt_u32_e32 0xffffff, v7
	s_cbranch_execz .LBB272_259
; %bb.252:                              ;   in Loop: Header=BB272_161 Depth=1
	v_lshrrev_b32_e32 v1, 24, v7
	v_bfrev_b32_e32 v35, 1
	s_mov_b32 s7, exec_lo
	s_delay_alu instid0(VALU_DEP_2)
	v_cmpx_ne_u32_e32 0x80, v1
	s_cbranch_execz .LBB272_258
; %bb.253:                              ;   in Loop: Header=BB272_161 Depth=1
	v_and_b32_e32 v38, 0x7f, v1
	v_mov_b32_e32 v35, 0x7c010000
	s_mov_b32 s13, exec_lo
	s_delay_alu instid0(VALU_DEP_2)
	v_cmpx_ne_u32_e32 0x7f, v38
	s_cbranch_execz .LBB272_257
; %bb.254:                              ;   in Loop: Header=BB272_161 Depth=1
	v_and_b32_e32 v35, 7, v1
	v_lshrrev_b32_e32 v37, 3, v38
	s_mov_b32 s14, exec_lo
	v_cmpx_gt_u32_e32 8, v38
; %bb.255:                              ;   in Loop: Header=BB272_161 Depth=1
	s_delay_alu instid0(VALU_DEP_3) | instskip(NEXT) | instid1(VALU_DEP_1)
	v_clz_i32_u32_e32 v35, v35
	v_min_u32_e32 v35, 32, v35
	s_delay_alu instid0(VALU_DEP_1) | instskip(NEXT) | instid1(VALU_DEP_1)
	v_subrev_nc_u32_e32 v37, 28, v35
	v_lshlrev_b64_e32 v[38:39], v37, v[1:2]
	v_sub_nc_u32_e32 v37, 29, v35
	s_delay_alu instid0(VALU_DEP_2)
	v_and_b32_e32 v35, 7, v38
; %bb.256:                              ;   in Loop: Header=BB272_161 Depth=1
	s_wait_alu 0xfffe
	s_or_b32 exec_lo, exec_lo, s14
	v_lshlrev_b32_e32 v1, 8, v1
	v_lshl_add_u32 v37, v37, 10, 0x2000
	v_lshlrev_b32_e32 v35, 23, v35
	s_delay_alu instid0(VALU_DEP_2) | instskip(NEXT) | instid1(VALU_DEP_1)
	v_and_or_b32 v1, 0x8000, v1, v37
	v_lshl_or_b32 v35, v1, 16, v35
.LBB272_257:                            ;   in Loop: Header=BB272_161 Depth=1
	s_wait_alu 0xfffe
	s_or_b32 exec_lo, exec_lo, s13
.LBB272_258:                            ;   in Loop: Header=BB272_161 Depth=1
	s_wait_alu 0xfffe
	s_or_b32 exec_lo, exec_lo, s7
.LBB272_259:                            ;   in Loop: Header=BB272_161 Depth=1
	s_wait_alu 0xfffe
	s_or_b32 exec_lo, exec_lo, s6
	v_dual_mov_b32 v38, 0 :: v_dual_and_b32 v39, 0xff, v8
	v_mov_b32_e32 v1, v8
	v_mov_b32_e32 v37, 0
	s_mov_b32 s6, exec_lo
	s_delay_alu instid0(VALU_DEP_3)
	v_cmpx_ne_u16_e32 0, v39
	s_cbranch_execz .LBB272_267
; %bb.260:                              ;   in Loop: Header=BB272_161 Depth=1
	v_mov_b32_e32 v38, 0x8000
	s_mov_b32 s7, exec_lo
	v_cmpx_ne_u16_e32 0x80, v39
	s_cbranch_execz .LBB272_266
; %bb.261:                              ;   in Loop: Header=BB272_161 Depth=1
	v_and_b32_e32 v40, 0x7f, v8
	v_mov_b32_e32 v38, 0x7c01
	s_mov_b32 s13, exec_lo
	s_delay_alu instid0(VALU_DEP_2)
	v_cmpx_ne_u32_e32 0x7f, v40
	s_cbranch_execz .LBB272_265
; %bb.262:                              ;   in Loop: Header=BB272_161 Depth=1
	v_and_b32_e32 v38, 7, v8
	v_lshrrev_b32_e32 v39, 3, v40
	s_mov_b32 s14, exec_lo
	v_cmpx_gt_u32_e32 8, v40
; %bb.263:                              ;   in Loop: Header=BB272_161 Depth=1
	s_delay_alu instid0(VALU_DEP_3) | instskip(NEXT) | instid1(VALU_DEP_1)
	v_clz_i32_u32_e32 v38, v38
	v_min_u32_e32 v40, 32, v38
	s_delay_alu instid0(VALU_DEP_1) | instskip(NEXT) | instid1(VALU_DEP_1)
	v_subrev_nc_u32_e32 v38, 28, v40
	v_lshlrev_b64_e32 v[38:39], v38, v[1:2]
	v_sub_nc_u32_e32 v39, 29, v40
	s_delay_alu instid0(VALU_DEP_2)
	v_and_b32_e32 v38, 7, v38
; %bb.264:                              ;   in Loop: Header=BB272_161 Depth=1
	s_wait_alu 0xfffe
	s_or_b32 exec_lo, exec_lo, s14
	v_lshlrev_b32_e32 v40, 8, v8
	v_lshl_add_u32 v39, v39, 10, 0x2000
	v_lshlrev_b32_e32 v38, 7, v38
	s_delay_alu instid0(VALU_DEP_3) | instskip(NEXT) | instid1(VALU_DEP_3)
	v_and_b32_e32 v40, 0x8000, v40
	v_and_b32_e32 v39, 0xfc00, v39
	s_delay_alu instid0(VALU_DEP_1)
	v_or3_b32 v38, v40, v39, v38
.LBB272_265:                            ;   in Loop: Header=BB272_161 Depth=1
	s_wait_alu 0xfffe
	s_or_b32 exec_lo, exec_lo, s13
.LBB272_266:                            ;   in Loop: Header=BB272_161 Depth=1
	s_wait_alu 0xfffe
	s_or_b32 exec_lo, exec_lo, s7
.LBB272_267:                            ;   in Loop: Header=BB272_161 Depth=1
	s_wait_alu 0xfffe
	s_or_b32 exec_lo, exec_lo, s6
	v_lshrrev_b16 v1, 8, v1
	v_mov_b32_e32 v39, 0
	s_mov_b32 s6, exec_lo
	s_delay_alu instid0(VALU_DEP_2)
	v_cmpx_ne_u16_e32 0, v1
	s_cbranch_execz .LBB272_275
; %bb.268:                              ;   in Loop: Header=BB272_161 Depth=1
	v_bfrev_b32_e32 v39, 1
	s_mov_b32 s7, exec_lo
	v_cmpx_ne_u16_e32 0x80, v1
	s_cbranch_execz .LBB272_274
; %bb.269:                              ;   in Loop: Header=BB272_161 Depth=1
	v_and_b32_e32 v40, 0xffff, v1
	v_mov_b32_e32 v39, 0x7c010000
	s_mov_b32 s13, exec_lo
	s_delay_alu instid0(VALU_DEP_2) | instskip(NEXT) | instid1(VALU_DEP_1)
	v_and_b32_e32 v42, 0x7f, v40
	v_cmpx_ne_u32_e32 0x7f, v42
	s_cbranch_execz .LBB272_273
; %bb.270:                              ;   in Loop: Header=BB272_161 Depth=1
	v_and_b32_e32 v39, 7, v40
	v_lshrrev_b32_e32 v41, 3, v42
	s_mov_b32 s14, exec_lo
	v_cmpx_gt_u32_e32 8, v42
; %bb.271:                              ;   in Loop: Header=BB272_161 Depth=1
	s_delay_alu instid0(VALU_DEP_3) | instskip(NEXT) | instid1(VALU_DEP_1)
	v_clz_i32_u32_e32 v39, v39
	v_min_u32_e32 v39, 32, v39
	s_delay_alu instid0(VALU_DEP_1) | instskip(NEXT) | instid1(VALU_DEP_1)
	v_subrev_nc_u32_e32 v41, 28, v39
	v_lshlrev_b64_e32 v[42:43], v41, v[1:2]
	v_sub_nc_u32_e32 v41, 29, v39
	s_delay_alu instid0(VALU_DEP_2)
	v_and_b32_e32 v39, 7, v42
; %bb.272:                              ;   in Loop: Header=BB272_161 Depth=1
	s_wait_alu 0xfffe
	s_or_b32 exec_lo, exec_lo, s14
	v_lshlrev_b32_e32 v1, 8, v40
	v_lshl_add_u32 v40, v41, 10, 0x2000
	v_lshlrev_b32_e32 v39, 23, v39
	s_delay_alu instid0(VALU_DEP_2) | instskip(NEXT) | instid1(VALU_DEP_1)
	v_and_or_b32 v1, 0x8000, v1, v40
	v_lshl_or_b32 v39, v1, 16, v39
.LBB272_273:                            ;   in Loop: Header=BB272_161 Depth=1
	s_wait_alu 0xfffe
	s_or_b32 exec_lo, exec_lo, s13
.LBB272_274:                            ;   in Loop: Header=BB272_161 Depth=1
	s_wait_alu 0xfffe
	s_or_b32 exec_lo, exec_lo, s7
.LBB272_275:                            ;   in Loop: Header=BB272_161 Depth=1
	s_wait_alu 0xfffe
	s_or_b32 exec_lo, exec_lo, s6
	v_lshrrev_b32_e32 v1, 16, v8
	s_mov_b32 s6, exec_lo
	s_delay_alu instid0(VALU_DEP_1) | instskip(NEXT) | instid1(VALU_DEP_1)
	v_and_b32_e32 v40, 0xff, v1
	v_cmpx_ne_u16_e32 0, v40
	s_cbranch_execz .LBB272_283
; %bb.276:                              ;   in Loop: Header=BB272_161 Depth=1
	v_mov_b32_e32 v37, 0x8000
	s_mov_b32 s7, exec_lo
	v_cmpx_ne_u16_e32 0x80, v40
	s_cbranch_execz .LBB272_282
; %bb.277:                              ;   in Loop: Header=BB272_161 Depth=1
	v_bfe_u32 v41, v8, 16, 7
	v_mov_b32_e32 v37, 0x7c01
	s_mov_b32 s13, exec_lo
	s_delay_alu instid0(VALU_DEP_2)
	v_cmpx_ne_u32_e32 0x7f, v41
	s_cbranch_execz .LBB272_281
; %bb.278:                              ;   in Loop: Header=BB272_161 Depth=1
	v_and_b32_e32 v37, 7, v1
	v_lshrrev_b32_e32 v40, 3, v41
	s_mov_b32 s14, exec_lo
	v_cmpx_gt_u32_e32 8, v41
; %bb.279:                              ;   in Loop: Header=BB272_161 Depth=1
	s_delay_alu instid0(VALU_DEP_3) | instskip(NEXT) | instid1(VALU_DEP_1)
	v_clz_i32_u32_e32 v37, v37
	v_min_u32_e32 v37, 32, v37
	s_delay_alu instid0(VALU_DEP_1) | instskip(NEXT) | instid1(VALU_DEP_1)
	v_subrev_nc_u32_e32 v40, 28, v37
	v_lshlrev_b64_e32 v[41:42], v40, v[1:2]
	v_sub_nc_u32_e32 v40, 29, v37
	s_delay_alu instid0(VALU_DEP_2)
	v_and_b32_e32 v37, 7, v41
; %bb.280:                              ;   in Loop: Header=BB272_161 Depth=1
	s_wait_alu 0xfffe
	s_or_b32 exec_lo, exec_lo, s14
	v_lshlrev_b32_e32 v1, 8, v1
	v_lshl_add_u32 v40, v40, 10, 0x2000
	v_lshlrev_b32_e32 v37, 7, v37
	s_delay_alu instid0(VALU_DEP_3) | instskip(NEXT) | instid1(VALU_DEP_3)
	v_and_b32_e32 v1, 0x8000, v1
	v_and_b32_e32 v40, 0xfc00, v40
	s_delay_alu instid0(VALU_DEP_1)
	v_or3_b32 v37, v1, v40, v37
.LBB272_281:                            ;   in Loop: Header=BB272_161 Depth=1
	s_wait_alu 0xfffe
	s_or_b32 exec_lo, exec_lo, s13
.LBB272_282:                            ;   in Loop: Header=BB272_161 Depth=1
	s_wait_alu 0xfffe
	s_or_b32 exec_lo, exec_lo, s7
.LBB272_283:                            ;   in Loop: Header=BB272_161 Depth=1
	s_wait_alu 0xfffe
	s_or_b32 exec_lo, exec_lo, s6
	v_cmp_lt_u64_e64 s0, s[2:3], v[7:8]
	v_mov_b32_e32 v7, 0
	s_and_saveexec_b32 s6, s0
	s_cbranch_execz .LBB272_291
; %bb.284:                              ;   in Loop: Header=BB272_161 Depth=1
	v_lshrrev_b32_e32 v1, 24, v8
	v_bfrev_b32_e32 v7, 1
	s_mov_b32 s7, exec_lo
	s_delay_alu instid0(VALU_DEP_2)
	v_cmpx_ne_u32_e32 0x80, v1
	s_cbranch_execz .LBB272_290
; %bb.285:                              ;   in Loop: Header=BB272_161 Depth=1
	v_and_b32_e32 v40, 0x7f, v1
	v_mov_b32_e32 v7, 0x7c010000
	s_mov_b32 s13, exec_lo
	s_delay_alu instid0(VALU_DEP_2)
	v_cmpx_ne_u32_e32 0x7f, v40
	s_cbranch_execz .LBB272_289
; %bb.286:                              ;   in Loop: Header=BB272_161 Depth=1
	v_and_b32_e32 v7, 7, v1
	v_lshrrev_b32_e32 v8, 3, v40
	s_mov_b32 s14, exec_lo
	v_cmpx_gt_u32_e32 8, v40
; %bb.287:                              ;   in Loop: Header=BB272_161 Depth=1
	s_delay_alu instid0(VALU_DEP_3) | instskip(NEXT) | instid1(VALU_DEP_1)
	v_clz_i32_u32_e32 v7, v7
	v_min_u32_e32 v40, 32, v7
	s_delay_alu instid0(VALU_DEP_1) | instskip(NEXT) | instid1(VALU_DEP_1)
	v_subrev_nc_u32_e32 v7, 28, v40
	v_lshlrev_b64_e32 v[7:8], v7, v[1:2]
	v_sub_nc_u32_e32 v8, 29, v40
	s_delay_alu instid0(VALU_DEP_2)
	v_and_b32_e32 v7, 7, v7
; %bb.288:                              ;   in Loop: Header=BB272_161 Depth=1
	s_wait_alu 0xfffe
	s_or_b32 exec_lo, exec_lo, s14
	v_lshlrev_b32_e32 v1, 8, v1
	v_lshl_add_u32 v8, v8, 10, 0x2000
	v_lshlrev_b32_e32 v7, 23, v7
	s_delay_alu instid0(VALU_DEP_2) | instskip(NEXT) | instid1(VALU_DEP_1)
	v_and_or_b32 v1, 0x8000, v1, v8
	v_lshl_or_b32 v7, v1, 16, v7
.LBB272_289:                            ;   in Loop: Header=BB272_161 Depth=1
	s_wait_alu 0xfffe
	s_or_b32 exec_lo, exec_lo, s13
.LBB272_290:                            ;   in Loop: Header=BB272_161 Depth=1
	s_wait_alu 0xfffe
	s_or_b32 exec_lo, exec_lo, s7
.LBB272_291:                            ;   in Loop: Header=BB272_161 Depth=1
	s_wait_alu 0xfffe
	s_or_b32 exec_lo, exec_lo, s6
	v_or_b32_e32 v1, v35, v36
	v_or_b32_e32 v34, v33, v34
	s_wait_loadcnt 0x0
	v_fma_mixlo_f16 v33, v32, v33, 0 op_sel:[0,1,0] op_sel_hi:[0,1,0]
	v_or_b32_e32 v36, v39, v38
	v_or_b32_e32 v37, v7, v37
	v_fma_mixlo_f16 v8, v32, v35, 0 op_sel:[0,1,0] op_sel_hi:[0,1,0]
	v_fma_mixlo_f16 v38, v32, v1, 0 op_sel_hi:[0,1,0]
	v_lshlrev_b32_e32 v35, 16, v33
	v_fma_mixlo_f16 v33, v32, v34, 0 op_sel_hi:[0,1,0]
	v_fma_mixlo_f16 v34, v32, v39, 0 op_sel:[0,1,0] op_sel_hi:[0,1,0]
	v_fma_mixlo_f16 v36, v32, v36, 0 op_sel_hi:[0,1,0]
	v_fma_mixlo_f16 v7, v32, v7, 0 op_sel:[0,1,0] op_sel_hi:[0,1,0]
	v_fma_mixlo_f16 v37, v32, v37, 0 op_sel_hi:[0,1,0]
	v_lshlrev_b32_e32 v1, 16, v8
	v_and_b32_e32 v8, 0xffff, v38
	v_and_b32_e32 v40, 0xffff, v33
	v_lshlrev_b32_e32 v32, 16, v34
	v_and_b32_e32 v39, 0xffff, v36
	v_lshlrev_b32_e32 v7, 16, v7
	v_and_b32_e32 v33, 0xffff, v37
	v_or_b32_e32 v34, v1, v8
	v_or_b32_e32 v38, v35, v40
	;; [unrolled: 1-line block ×3, first 2 shown]
	s_delay_alu instid0(VALU_DEP_4)
	v_or_b32_e32 v36, v7, v33
	s_and_saveexec_b32 s0, vcc_lo
	s_cbranch_execz .LBB272_160
; %bb.292:                              ;   in Loop: Header=BB272_161 Depth=1
	v_cmp_gt_i32_e32 vcc_lo, s26, v9
	s_wait_alu 0xfffd
	v_cndmask_b32_e32 v9, 0, v40, vcc_lo
	v_cmp_gt_i32_e32 vcc_lo, s26, v25
	s_wait_alu 0xfffd
	v_cndmask_b32_e32 v25, 0, v35, vcc_lo
	;; [unrolled: 3-line block ×4, first 2 shown]
	v_cmp_gt_i32_e32 vcc_lo, s26, v22
	s_delay_alu instid0(VALU_DEP_2)
	v_or_b32_e32 v34, v1, v8
	s_wait_alu 0xfffd
	v_cndmask_b32_e32 v22, 0, v39, vcc_lo
	v_cmp_gt_i32_e32 vcc_lo, s26, v15
	v_or_b32_e32 v38, v25, v9
	s_wait_alu 0xfffd
	v_cndmask_b32_e32 v15, 0, v32, vcc_lo
	v_cmp_gt_i32_e32 vcc_lo, s26, v10
	s_wait_alu 0xfffd
	v_cndmask_b32_e32 v10, 0, v33, vcc_lo
	v_cmp_gt_i32_e32 vcc_lo, s26, v20
	v_or_b32_e32 v37, v15, v22
	s_wait_alu 0xfffd
	v_cndmask_b32_e32 v7, 0, v7, vcc_lo
	s_delay_alu instid0(VALU_DEP_1)
	v_or_b32_e32 v36, v7, v10
	s_branch .LBB272_160
.LBB272_293:
	s_or_b32 exec_lo, exec_lo, s5
.LBB272_294:
	s_wait_alu 0xfffe
	s_or_b32 exec_lo, exec_lo, s1
	ds_bpermute_b32 v1, v18, v19
	ds_bpermute_b32 v5, v18, v16
	v_lshrrev_b32_e32 v3, 1, v17
	v_and_b32_e32 v6, 0x3c1, v0
	s_mov_b32 s0, exec_lo
	s_wait_storecnt 0x0
	s_wait_loadcnt_dscnt 0x0
	s_barrier_signal -1
	v_lshl_add_u32 v4, v3, 2, 0x60
	s_barrier_wait -1
	global_inv scope:SCOPE_SE
	v_add_f32_e32 v2, v19, v1
	v_add_f32_e32 v1, v16, v5
	v_cmpx_eq_u32_e32 64, v6
	s_cbranch_execz .LBB272_296
; %bb.295:
	v_lshl_add_u32 v5, v13, 7, v4
	s_delay_alu instid0(VALU_DEP_1)
	v_add_nc_u32_e32 v6, 0xffffff00, v5
	v_add_nc_u32_e32 v5, 0xffffff40, v5
	ds_store_b32 v6, v2
	ds_store_b32 v5, v1
.LBB272_296:
	s_wait_alu 0xfffe
	s_or_b32 exec_lo, exec_lo, s0
	v_and_b32_e32 v5, 0x3e0, v0
	v_lshlrev_b32_e32 v3, 2, v3
	s_mov_b32 s1, exec_lo
	v_cmp_eq_u32_e32 vcc_lo, 0, v12
	s_wait_loadcnt_dscnt 0x0
	v_lshlrev_b32_e32 v5, 2, v5
	s_barrier_signal -1
	s_barrier_wait -1
	global_inv scope:SCOPE_SE
	v_add3_u32 v3, 0x60, v5, v3
	v_cmpx_gt_u32_e32 64, v0
	s_cbranch_execz .LBB272_302
; %bb.297:
	s_and_saveexec_b32 s0, vcc_lo
	s_cbranch_execz .LBB272_299
; %bb.298:
	ds_load_b32 v5, v3
	s_wait_dscnt 0x0
	v_add_f32_e32 v2, v2, v5
.LBB272_299:
	s_wait_alu 0xfffe
	s_or_b32 exec_lo, exec_lo, s0
	s_and_saveexec_b32 s0, vcc_lo
	s_cbranch_execz .LBB272_301
; %bb.300:
	ds_load_b32 v5, v3 offset:64
	s_wait_dscnt 0x0
	v_add_f32_e32 v1, v1, v5
.LBB272_301:
	s_wait_alu 0xfffe
	s_or_b32 exec_lo, exec_lo, s0
.LBB272_302:
	s_wait_alu 0xfffe
	s_or_b32 exec_lo, exec_lo, s1
	v_and_b32_e32 v5, 0x3e1, v0
	s_mov_b32 s1, exec_lo
	s_wait_loadcnt 0x0
	s_barrier_signal -1
	s_barrier_wait -1
	global_inv scope:SCOPE_SE
	v_cmpx_eq_u32_e32 32, v5
; %bb.303:
	ds_store_2addr_b32 v4, v2, v1 offset1:16
; %bb.304:
	s_wait_alu 0xfffe
	s_or_b32 exec_lo, exec_lo, s1
	s_delay_alu instid0(SALU_CYCLE_1)
	s_mov_b32 s1, exec_lo
	s_wait_loadcnt_dscnt 0x0
	s_barrier_signal -1
	s_barrier_wait -1
	global_inv scope:SCOPE_SE
	v_cmpx_gt_u32_e32 32, v0
	s_cbranch_execz .LBB272_310
; %bb.305:
	s_and_saveexec_b32 s0, vcc_lo
	s_cbranch_execz .LBB272_307
; %bb.306:
	ds_load_b32 v0, v3
	s_wait_dscnt 0x0
	v_add_f32_e32 v2, v2, v0
.LBB272_307:
	s_wait_alu 0xfffe
	s_or_b32 exec_lo, exec_lo, s0
	s_and_saveexec_b32 s0, vcc_lo
	s_cbranch_execz .LBB272_309
; %bb.308:
	ds_load_b32 v0, v3 offset:64
	s_wait_dscnt 0x0
	v_add_f32_e32 v1, v1, v0
.LBB272_309:
	s_wait_alu 0xfffe
	s_or_b32 exec_lo, exec_lo, s0
.LBB272_310:
	s_wait_alu 0xfffe
	s_or_b32 exec_lo, exec_lo, s1
	s_mov_b32 s1, 0
	s_wait_loadcnt 0x0
	s_barrier_signal -1
	s_barrier_wait -1
	global_inv scope:SCOPE_SE
	s_mov_b32 s0, exec_lo
	v_cmpx_eq_u32_e32 0, v5
	s_cbranch_execz .LBB272_312
; %bb.311:
	s_lshl_b32 s2, s22, 5
	s_mul_i32 s4, s17, s16
	s_wait_alu 0xfffe
	s_ashr_i32 s3, s2, 31
	s_ashr_i32 s5, s4, 31
	s_wait_alu 0xfffe
	s_lshl_b64 s[2:3], s[2:3], 1
	s_lshl_b64 s[4:5], s[4:5], 1
	s_wait_kmcnt 0x0
	s_wait_alu 0xfffe
	s_add_nc_u64 s[2:3], s[8:9], s[2:3]
	v_lshlrev_b32_e32 v0, 1, v11
	s_lshl_b32 s0, s12, 1
	s_wait_alu 0xfffe
	s_add_nc_u64 s[2:3], s[2:3], s[4:5]
	;;#ASMSTART
	v_cvt_f16_f32 v2, v2;

	;;#ASMEND
	s_wait_alu 0xfffe
	s_add_nc_u64 s[0:1], s[2:3], s[0:1]
	global_store_b16 v0, v2, s[0:1]
	;;#ASMSTART
	v_cvt_f16_f32 v1, v1;

	;;#ASMEND
	global_store_b16 v0, v1, s[0:1] offset:32
.LBB272_312:
	s_endpgm
	.section	.rodata,"a",@progbits
	.p2align	6, 0x0
	.amdhsa_kernel _ZN4vllm25paged_attention_v2_kernelIthLi32ELi16ELi128ELNS_18Fp8KVCacheDataTypeE1ELb0ELi512EEEvPfS2_PT_PKS3_PKT0_S9_ifPKiSB_iPKfiiiSD_SD_iiiii
		.amdhsa_group_segment_fixed_size 96
		.amdhsa_private_segment_fixed_size 0
		.amdhsa_kernarg_size 400
		.amdhsa_user_sgpr_count 2
		.amdhsa_user_sgpr_dispatch_ptr 0
		.amdhsa_user_sgpr_queue_ptr 0
		.amdhsa_user_sgpr_kernarg_segment_ptr 1
		.amdhsa_user_sgpr_dispatch_id 0
		.amdhsa_user_sgpr_private_segment_size 0
		.amdhsa_wavefront_size32 1
		.amdhsa_uses_dynamic_stack 0
		.amdhsa_enable_private_segment 0
		.amdhsa_system_sgpr_workgroup_id_x 1
		.amdhsa_system_sgpr_workgroup_id_y 1
		.amdhsa_system_sgpr_workgroup_id_z 1
		.amdhsa_system_sgpr_workgroup_info 0
		.amdhsa_system_vgpr_workitem_id 0
		.amdhsa_next_free_vgpr 50
		.amdhsa_next_free_sgpr 38
		.amdhsa_reserve_vcc 1
		.amdhsa_float_round_mode_32 0
		.amdhsa_float_round_mode_16_64 0
		.amdhsa_float_denorm_mode_32 3
		.amdhsa_float_denorm_mode_16_64 3
		.amdhsa_fp16_overflow 0
		.amdhsa_workgroup_processor_mode 1
		.amdhsa_memory_ordered 1
		.amdhsa_forward_progress 1
		.amdhsa_inst_pref_size 93
		.amdhsa_round_robin_scheduling 0
		.amdhsa_exception_fp_ieee_invalid_op 0
		.amdhsa_exception_fp_denorm_src 0
		.amdhsa_exception_fp_ieee_div_zero 0
		.amdhsa_exception_fp_ieee_overflow 0
		.amdhsa_exception_fp_ieee_underflow 0
		.amdhsa_exception_fp_ieee_inexact 0
		.amdhsa_exception_int_div_zero 0
	.end_amdhsa_kernel
	.section	.text._ZN4vllm25paged_attention_v2_kernelIthLi32ELi16ELi128ELNS_18Fp8KVCacheDataTypeE1ELb0ELi512EEEvPfS2_PT_PKS3_PKT0_S9_ifPKiSB_iPKfiiiSD_SD_iiiii,"axG",@progbits,_ZN4vllm25paged_attention_v2_kernelIthLi32ELi16ELi128ELNS_18Fp8KVCacheDataTypeE1ELb0ELi512EEEvPfS2_PT_PKS3_PKT0_S9_ifPKiSB_iPKfiiiSD_SD_iiiii,comdat
.Lfunc_end272:
	.size	_ZN4vllm25paged_attention_v2_kernelIthLi32ELi16ELi128ELNS_18Fp8KVCacheDataTypeE1ELb0ELi512EEEvPfS2_PT_PKS3_PKT0_S9_ifPKiSB_iPKfiiiSD_SD_iiiii, .Lfunc_end272-_ZN4vllm25paged_attention_v2_kernelIthLi32ELi16ELi128ELNS_18Fp8KVCacheDataTypeE1ELb0ELi512EEEvPfS2_PT_PKS3_PKT0_S9_ifPKiSB_iPKfiiiSD_SD_iiiii
                                        ; -- End function
	.set _ZN4vllm25paged_attention_v2_kernelIthLi32ELi16ELi128ELNS_18Fp8KVCacheDataTypeE1ELb0ELi512EEEvPfS2_PT_PKS3_PKT0_S9_ifPKiSB_iPKfiiiSD_SD_iiiii.num_vgpr, 50
	.set _ZN4vllm25paged_attention_v2_kernelIthLi32ELi16ELi128ELNS_18Fp8KVCacheDataTypeE1ELb0ELi512EEEvPfS2_PT_PKS3_PKT0_S9_ifPKiSB_iPKfiiiSD_SD_iiiii.num_agpr, 0
	.set _ZN4vllm25paged_attention_v2_kernelIthLi32ELi16ELi128ELNS_18Fp8KVCacheDataTypeE1ELb0ELi512EEEvPfS2_PT_PKS3_PKT0_S9_ifPKiSB_iPKfiiiSD_SD_iiiii.numbered_sgpr, 38
	.set _ZN4vllm25paged_attention_v2_kernelIthLi32ELi16ELi128ELNS_18Fp8KVCacheDataTypeE1ELb0ELi512EEEvPfS2_PT_PKS3_PKT0_S9_ifPKiSB_iPKfiiiSD_SD_iiiii.num_named_barrier, 0
	.set _ZN4vllm25paged_attention_v2_kernelIthLi32ELi16ELi128ELNS_18Fp8KVCacheDataTypeE1ELb0ELi512EEEvPfS2_PT_PKS3_PKT0_S9_ifPKiSB_iPKfiiiSD_SD_iiiii.private_seg_size, 0
	.set _ZN4vllm25paged_attention_v2_kernelIthLi32ELi16ELi128ELNS_18Fp8KVCacheDataTypeE1ELb0ELi512EEEvPfS2_PT_PKS3_PKT0_S9_ifPKiSB_iPKfiiiSD_SD_iiiii.uses_vcc, 1
	.set _ZN4vllm25paged_attention_v2_kernelIthLi32ELi16ELi128ELNS_18Fp8KVCacheDataTypeE1ELb0ELi512EEEvPfS2_PT_PKS3_PKT0_S9_ifPKiSB_iPKfiiiSD_SD_iiiii.uses_flat_scratch, 0
	.set _ZN4vllm25paged_attention_v2_kernelIthLi32ELi16ELi128ELNS_18Fp8KVCacheDataTypeE1ELb0ELi512EEEvPfS2_PT_PKS3_PKT0_S9_ifPKiSB_iPKfiiiSD_SD_iiiii.has_dyn_sized_stack, 0
	.set _ZN4vllm25paged_attention_v2_kernelIthLi32ELi16ELi128ELNS_18Fp8KVCacheDataTypeE1ELb0ELi512EEEvPfS2_PT_PKS3_PKT0_S9_ifPKiSB_iPKfiiiSD_SD_iiiii.has_recursion, 0
	.set _ZN4vllm25paged_attention_v2_kernelIthLi32ELi16ELi128ELNS_18Fp8KVCacheDataTypeE1ELb0ELi512EEEvPfS2_PT_PKS3_PKT0_S9_ifPKiSB_iPKfiiiSD_SD_iiiii.has_indirect_call, 0
	.section	.AMDGPU.csdata,"",@progbits
; Kernel info:
; codeLenInByte = 11792
; TotalNumSgprs: 40
; NumVgprs: 50
; ScratchSize: 0
; MemoryBound: 0
; FloatMode: 240
; IeeeMode: 1
; LDSByteSize: 96 bytes/workgroup (compile time only)
; SGPRBlocks: 0
; VGPRBlocks: 6
; NumSGPRsForWavesPerEU: 40
; NumVGPRsForWavesPerEU: 50
; Occupancy: 16
; WaveLimiterHint : 1
; COMPUTE_PGM_RSRC2:SCRATCH_EN: 0
; COMPUTE_PGM_RSRC2:USER_SGPR: 2
; COMPUTE_PGM_RSRC2:TRAP_HANDLER: 0
; COMPUTE_PGM_RSRC2:TGID_X_EN: 1
; COMPUTE_PGM_RSRC2:TGID_Y_EN: 1
; COMPUTE_PGM_RSRC2:TGID_Z_EN: 1
; COMPUTE_PGM_RSRC2:TIDIG_COMP_CNT: 0
	.section	.text._ZN4vllm25paged_attention_v2_kernelIthLi64ELi16ELi128ELNS_18Fp8KVCacheDataTypeE1ELb0ELi512EEEvPfS2_PT_PKS3_PKT0_S9_ifPKiSB_iPKfiiiSD_SD_iiiii,"axG",@progbits,_ZN4vllm25paged_attention_v2_kernelIthLi64ELi16ELi128ELNS_18Fp8KVCacheDataTypeE1ELb0ELi512EEEvPfS2_PT_PKS3_PKT0_S9_ifPKiSB_iPKfiiiSD_SD_iiiii,comdat
	.protected	_ZN4vllm25paged_attention_v2_kernelIthLi64ELi16ELi128ELNS_18Fp8KVCacheDataTypeE1ELb0ELi512EEEvPfS2_PT_PKS3_PKT0_S9_ifPKiSB_iPKfiiiSD_SD_iiiii ; -- Begin function _ZN4vllm25paged_attention_v2_kernelIthLi64ELi16ELi128ELNS_18Fp8KVCacheDataTypeE1ELb0ELi512EEEvPfS2_PT_PKS3_PKT0_S9_ifPKiSB_iPKfiiiSD_SD_iiiii
	.globl	_ZN4vllm25paged_attention_v2_kernelIthLi64ELi16ELi128ELNS_18Fp8KVCacheDataTypeE1ELb0ELi512EEEvPfS2_PT_PKS3_PKT0_S9_ifPKiSB_iPKfiiiSD_SD_iiiii
	.p2align	8
	.type	_ZN4vllm25paged_attention_v2_kernelIthLi64ELi16ELi128ELNS_18Fp8KVCacheDataTypeE1ELb0ELi512EEEvPfS2_PT_PKS3_PKT0_S9_ifPKiSB_iPKfiiiSD_SD_iiiii,@function
_ZN4vllm25paged_attention_v2_kernelIthLi64ELi16ELi128ELNS_18Fp8KVCacheDataTypeE1ELb0ELi512EEEvPfS2_PT_PKS3_PKT0_S9_ifPKiSB_iPKfiiiSD_SD_iiiii: ; @_ZN4vllm25paged_attention_v2_kernelIthLi64ELi16ELi128ELNS_18Fp8KVCacheDataTypeE1ELb0ELi512EEEvPfS2_PT_PKS3_PKT0_S9_ifPKiSB_iPKfiiiSD_SD_iiiii
; %bb.0:
	s_load_b64 s[2:3], s[0:1], 0x40
	s_and_b32 s22, ttmp7, 0xffff
	s_lshr_b32 s26, ttmp7, 16
	s_lshl_b32 s4, s22, 2
	s_lshl_b32 s28, s26, 9
	s_wait_kmcnt 0x0
	s_load_b32 s27, s[2:3], s4 offset:0x0
	s_wait_kmcnt 0x0
	s_cmp_ge_i32 s28, s27
	s_cbranch_scc1 .LBB273_574
; %bb.1:
	s_clause 0x1
	s_load_b32 s23, s[0:1], 0x90
	s_load_b64 s[6:7], s[0:1], 0x30
	s_wait_kmcnt 0x0
	s_abs_i32 s5, s23
	s_abs_i32 s2, s6
	s_delay_alu instid0(SALU_CYCLE_1) | instskip(SKIP_1) | instid1(SALU_CYCLE_2)
	s_cvt_f32_u32 s3, s2
	s_sub_co_i32 s4, 0, s2
	v_rcp_iflag_f32_e32 v1, s3
	s_delay_alu instid0(TRANS32_DEP_1) | instskip(SKIP_2) | instid1(SALU_CYCLE_2)
	v_readfirstlane_b32 s3, v1
	s_mul_f32 s3, s3, 0x4f7ffffe
	s_wait_alu 0xfffe
	s_cvt_u32_f32 s3, s3
	s_wait_alu 0xfffe
	s_delay_alu instid0(SALU_CYCLE_2) | instskip(NEXT) | instid1(SALU_CYCLE_1)
	s_mul_i32 s4, s4, s3
	s_mul_hi_u32 s4, s3, s4
	s_delay_alu instid0(SALU_CYCLE_1)
	s_add_co_i32 s3, s3, s4
	s_xor_b32 s4, s23, s6
	s_wait_alu 0xfffe
	s_mul_hi_u32 s3, s5, s3
	s_ashr_i32 s4, s4, 31
	s_wait_alu 0xfffe
	s_mul_i32 s6, s3, s2
	s_delay_alu instid0(SALU_CYCLE_1)
	s_sub_co_i32 s5, s5, s6
	s_add_co_i32 s6, s3, 1
	s_sub_co_i32 s8, s5, s2
	s_cmp_ge_u32 s5, s2
	s_cselect_b32 s3, s6, s3
	s_cselect_b32 s5, s8, s5
	s_wait_alu 0xfffe
	s_add_co_i32 s6, s3, 1
	s_cmp_ge_u32 s5, s2
	s_load_b64 s[8:9], s[0:1], 0x50
	s_cselect_b32 s2, s6, s3
	s_mov_b32 s3, 0
	s_wait_alu 0xfffe
	s_xor_b32 s2, s2, s4
	s_mov_b32 s6, s3
	s_wait_alu 0xfffe
	s_sub_co_i32 s11, s2, s4
	s_delay_alu instid0(SALU_CYCLE_1) | instskip(NEXT) | instid1(SALU_CYCLE_1)
	s_abs_i32 s10, s11
	s_cvt_f32_u32 s2, s10
	s_wait_alu 0xfffe
	s_delay_alu instid0(SALU_CYCLE_2) | instskip(NEXT) | instid1(TRANS32_DEP_1)
	v_rcp_iflag_f32_e32 v1, s2
	v_readfirstlane_b32 s2, v1
	s_mul_f32 s2, s2, 0x4f7ffffe
	s_wait_alu 0xfffe
	s_delay_alu instid0(SALU_CYCLE_2) | instskip(SKIP_2) | instid1(SALU_CYCLE_1)
	s_cvt_u32_f32 s4, s2
	s_sub_co_i32 s2, 0, s10
	s_wait_alu 0xfffe
	s_mul_i32 s2, s2, s4
	s_wait_alu 0xfffe
	s_mul_hi_u32 s5, s4, s2
	s_abs_i32 s2, ttmp9
	s_add_co_i32 s4, s4, s5
	s_mov_b32 s5, s3
	s_wait_kmcnt 0x0
	s_cmp_eq_u64 s[8:9], 0
	s_cbranch_scc1 .LBB273_3
; %bb.2:
	s_mov_b32 s12, ttmp9
	s_ashr_i32 s13, ttmp9, 31
	s_delay_alu instid0(SALU_CYCLE_1) | instskip(NEXT) | instid1(SALU_CYCLE_1)
	s_lshl_b64 s[12:13], s[12:13], 2
	s_add_nc_u64 s[8:9], s[8:9], s[12:13]
	s_load_b32 s6, s[8:9], 0x0
.LBB273_3:
	s_load_b96 s[12:14], s[0:1], 0x58
	v_lshrrev_b32_e32 v11, 1, v0
	v_and_b32_e32 v12, 1, v0
	v_lshlrev_b32_e32 v10, 3, v0
	s_mul_u64 s[4:5], s[2:3], s[4:5]
	s_ashr_i32 s3, ttmp9, 31
	s_ashr_i32 s4, s11, 31
	s_lshl_b32 s16, ttmp9, 6
	s_mov_b32 s8, exec_lo
	v_cmpx_gt_u32_e32 16, v0
	s_cbranch_execz .LBB273_5
; %bb.4:
	s_load_b64 s[18:19], s[0:1], 0x18
	s_wait_kmcnt 0x0
	s_mul_i32 s20, s12, s22
	s_ashr_i32 s17, s16, 31
	s_ashr_i32 s21, s20, 31
	v_lshlrev_b32_e32 v3, 3, v11
	s_lshl_b64 s[20:21], s[20:21], 1
	s_delay_alu instid0(VALU_DEP_1) | instskip(SKIP_2) | instid1(SALU_CYCLE_1)
	v_lshl_add_u32 v3, v12, 6, v3
	s_add_nc_u64 s[18:19], s[18:19], s[20:21]
	s_lshl_b64 s[20:21], s[16:17], 1
	s_add_nc_u64 s[18:19], s[18:19], s[20:21]
	global_load_b64 v[1:2], v10, s[18:19]
	s_wait_loadcnt 0x0
	ds_store_b64 v3, v[1:2]
.LBB273_5:
	s_or_b32 exec_lo, exec_lo, s8
	s_add_co_i32 s8, s27, 15
	s_wait_alu 0xfffe
	s_xor_b32 s3, s3, s4
	s_ashr_i32 s9, s8, 31
	s_lshl_b32 s30, s26, 5
	s_lshr_b32 s4, s9, 28
	s_mul_i32 s9, s5, s10
	s_add_co_i32 s8, s8, s4
	s_add_co_i32 s4, s30, 32
	s_ashr_i32 s29, s8, 4
	s_load_b32 s8, s[0:1], 0x48
	s_sub_co_i32 s2, s2, s9
	s_min_i32 s17, s4, s29
	s_add_co_i32 s4, s5, 1
	s_wait_alu 0xfffe
	s_sub_co_i32 s9, s2, s10
	s_cmp_ge_u32 s2, s10
	v_lshrrev_b32_e32 v13, 5, v0
	s_cselect_b32 s4, s4, s5
	s_cselect_b32 s2, s9, s2
	s_add_co_i32 s5, s4, 1
	s_wait_alu 0xfffe
	s_cmp_ge_u32 s2, s10
	v_or_b32_e32 v14, s30, v13
	s_cselect_b32 s2, s5, s4
	v_mbcnt_lo_u32_b32 v16, -1, 0
	s_wait_alu 0xfffe
	s_xor_b32 s2, s2, s3
	s_mov_b32 s4, exec_lo
	s_wait_alu 0xfffe
	s_sub_co_i32 s3, s2, s3
	v_cmp_gt_i32_e64 s2, s17, v14
	s_wait_dscnt 0x0
	s_barrier_signal -1
	s_wait_kmcnt 0x0
	s_mul_i32 s18, s8, s22
	s_barrier_wait -1
	s_ashr_i32 s19, s18, 31
	global_inv scope:SCOPE_SE
                                        ; implicit-def: $vgpr2
                                        ; implicit-def: $vgpr18
	v_cmpx_le_i32_e64 s17, v14
	s_xor_b32 s4, exec_lo, s4
; %bb.6:
	v_mov_b32_e32 v2, 0
	v_mbcnt_lo_u32_b32 v16, -1, 0
	v_mov_b32_e32 v18, 32
; %bb.7:
	s_or_saveexec_b32 s24, s4
	s_clause 0x2
	s_load_b32 s12, s[0:1], 0x98
	s_load_b64 s[20:21], s[0:1], 0x38
	s_load_b128 s[8:11], s[0:1], 0x68
	v_mov_b32_e32 v17, 0xff7fffff
	v_lshlrev_b32_e32 v15, 2, v14
	s_mul_i32 s14, s3, s14
	s_xor_b32 exec_lo, exec_lo, s24
	s_cbranch_execz .LBB273_269
; %bb.8:
	s_load_b64 s[4:5], s[0:1], 0x20
	v_bfe_u32 v1, v0, 1, 4
	v_dual_mov_b32 v17, 0xff7fffff :: v_dual_lshlrev_b32 v4, 4, v13
	s_ashr_i32 s15, s14, 31
	s_cmp_neq_f32 s6, 0
	s_delay_alu instid0(VALU_DEP_2)
	v_dual_mov_b32 v22, v14 :: v_dual_lshlrev_b32 v5, 4, v1
	v_lshlrev_b32_e32 v6, 2, v1
	v_dual_mov_b32 v2, 0 :: v_dual_lshlrev_b32 v3, 2, v12
	v_add3_u32 v20, s28, v4, v1
	s_cselect_b32 s3, -1, 0
	s_lshl_b64 s[34:35], s[18:19], 2
	v_lshl_or_b32 v1, v13, 6, v6
	s_wait_kmcnt 0x0
	s_add_nc_u64 s[34:35], s[20:21], s[34:35]
	v_dual_mov_b32 v18, 32 :: v_dual_lshlrev_b32 v19, 6, v12
	s_mov_b32 s25, s13
	v_add_nc_u32_e32 v21, 0xa0, v1
	s_add_nc_u64 s[4:5], s[4:5], s[14:15]
	s_mov_b32 s15, 0
	v_add_co_u32 v4, s4, s4, v5
	s_wait_alu 0xf1ff
	v_add_co_ci_u32_e64 v5, null, s5, 0, s4
	s_sub_co_i32 s31, 1, s27
	v_add_co_u32 v3, s4, v4, v3
	s_wait_alu 0xf1ff
	v_add_co_ci_u32_e64 v4, null, 0, v5, s4
	v_add_co_u32 v5, s4, s34, v15
	s_wait_alu 0xf1ff
	v_add_co_ci_u32_e64 v6, null, s35, 0, s4
	v_cmp_eq_u32_e32 vcc_lo, 0, v12
	s_branch .LBB273_10
.LBB273_9:                              ;   in Loop: Header=BB273_10 Depth=1
	s_wait_alu 0xfffe
	s_or_b32 exec_lo, exec_lo, s5
	v_add_nc_u32_e32 v22, 4, v22
	v_add_co_u32 v5, s5, v5, 16
	v_add_nc_u32_e32 v20, 64, v20
	v_add_nc_u32_e32 v21, 0x100, v21
	s_delay_alu instid0(VALU_DEP_4) | instskip(SKIP_3) | instid1(SALU_CYCLE_1)
	v_cmp_le_i32_e64 s4, s17, v22
	s_wait_alu 0xf1ff
	v_add_co_ci_u32_e64 v6, null, 0, v6, s5
	s_or_b32 s15, s4, s15
	s_and_not1_b32 exec_lo, exec_lo, s15
	s_cbranch_execz .LBB273_268
.LBB273_10:                             ; =>This Inner Loop Header: Depth=1
	global_load_b32 v1, v[5:6], off
	v_mov_b32_e32 v25, 0
	s_mov_b32 s5, exec_lo
	s_wait_loadcnt_dscnt 0x0
	v_mad_co_i64_i32 v[7:8], null, v1, s25, v[3:4]
	global_load_b32 v9, v[7:8], off
	s_wait_loadcnt 0x0
	v_dual_mov_b32 v24, 0 :: v_dual_and_b32 v1, 0xff, v9
	global_load_b32 v23, v24, s[8:9]
	v_cmpx_ne_u16_e32 0, v1
	s_cbranch_execz .LBB273_18
; %bb.11:                               ;   in Loop: Header=BB273_10 Depth=1
	v_mov_b32_e32 v25, 0x8000
	s_mov_b32 s33, exec_lo
	v_cmpx_ne_u16_e32 0x80, v1
	s_cbranch_execz .LBB273_17
; %bb.12:                               ;   in Loop: Header=BB273_10 Depth=1
	v_and_b32_e32 v26, 0x7f, v9
	v_mov_b32_e32 v25, 0x7c01
	s_mov_b32 s34, exec_lo
	s_delay_alu instid0(VALU_DEP_2)
	v_cmpx_ne_u32_e32 0x7f, v26
	s_cbranch_execz .LBB273_16
; %bb.13:                               ;   in Loop: Header=BB273_10 Depth=1
	v_and_b32_e32 v1, 7, v9
	v_lshrrev_b32_e32 v25, 3, v26
	s_mov_b32 s35, exec_lo
	v_cmpx_gt_u32_e32 8, v26
; %bb.14:                               ;   in Loop: Header=BB273_10 Depth=1
	s_delay_alu instid0(VALU_DEP_3) | instskip(NEXT) | instid1(VALU_DEP_1)
	v_clz_i32_u32_e32 v1, v1
	v_min_u32_e32 v1, 32, v1
	s_delay_alu instid0(VALU_DEP_1) | instskip(NEXT) | instid1(VALU_DEP_1)
	v_subrev_nc_u32_e32 v25, 28, v1
	v_lshlrev_b64_e32 v[26:27], v25, v[9:10]
	v_sub_nc_u32_e32 v25, 29, v1
	s_delay_alu instid0(VALU_DEP_2)
	v_and_b32_e32 v1, 7, v26
; %bb.15:                               ;   in Loop: Header=BB273_10 Depth=1
	s_wait_alu 0xfffe
	s_or_b32 exec_lo, exec_lo, s35
	v_lshlrev_b32_e32 v26, 8, v9
	v_lshl_add_u32 v25, v25, 10, 0x2000
	v_lshlrev_b32_e32 v1, 7, v1
	s_delay_alu instid0(VALU_DEP_3) | instskip(NEXT) | instid1(VALU_DEP_3)
	v_and_b32_e32 v26, 0x8000, v26
	v_and_b32_e32 v25, 0xfc00, v25
	s_delay_alu instid0(VALU_DEP_1)
	v_or3_b32 v25, v26, v25, v1
.LBB273_16:                             ;   in Loop: Header=BB273_10 Depth=1
	s_wait_alu 0xfffe
	s_or_b32 exec_lo, exec_lo, s34
.LBB273_17:                             ;   in Loop: Header=BB273_10 Depth=1
	s_delay_alu instid0(SALU_CYCLE_1)
	s_or_b32 exec_lo, exec_lo, s33
.LBB273_18:                             ;   in Loop: Header=BB273_10 Depth=1
	s_wait_alu 0xfffe
	s_or_b32 exec_lo, exec_lo, s5
	v_lshrrev_b16 v1, 8, v9
	s_mov_b32 s5, exec_lo
	s_delay_alu instid0(VALU_DEP_1)
	v_cmpx_ne_u16_e32 0, v1
	s_cbranch_execz .LBB273_26
; %bb.19:                               ;   in Loop: Header=BB273_10 Depth=1
	v_bfrev_b32_e32 v24, 1
	s_mov_b32 s33, exec_lo
	v_cmpx_ne_u16_e32 0x80, v1
	s_cbranch_execz .LBB273_25
; %bb.20:                               ;   in Loop: Header=BB273_10 Depth=1
	v_and_b32_e32 v26, 0xffff, v1
	v_mov_b32_e32 v24, 0x7c010000
	s_mov_b32 s34, exec_lo
	s_delay_alu instid0(VALU_DEP_2) | instskip(NEXT) | instid1(VALU_DEP_1)
	v_and_b32_e32 v28, 0x7f, v26
	v_cmpx_ne_u32_e32 0x7f, v28
	s_cbranch_execz .LBB273_24
; %bb.21:                               ;   in Loop: Header=BB273_10 Depth=1
	v_and_b32_e32 v24, 7, v26
	v_lshrrev_b32_e32 v27, 3, v28
	s_mov_b32 s35, exec_lo
	v_cmpx_gt_u32_e32 8, v28
; %bb.22:                               ;   in Loop: Header=BB273_10 Depth=1
	s_delay_alu instid0(VALU_DEP_3) | instskip(NEXT) | instid1(VALU_DEP_1)
	v_clz_i32_u32_e32 v24, v24
	v_min_u32_e32 v24, 32, v24
	s_delay_alu instid0(VALU_DEP_1) | instskip(NEXT) | instid1(VALU_DEP_1)
	v_subrev_nc_u32_e32 v27, 28, v24
	v_lshlrev_b64_e32 v[28:29], v27, v[1:2]
	v_sub_nc_u32_e32 v27, 29, v24
	s_delay_alu instid0(VALU_DEP_2)
	v_and_b32_e32 v24, 7, v28
; %bb.23:                               ;   in Loop: Header=BB273_10 Depth=1
	s_wait_alu 0xfffe
	s_or_b32 exec_lo, exec_lo, s35
	v_lshlrev_b32_e32 v1, 8, v26
	v_lshl_add_u32 v26, v27, 10, 0x2000
	v_lshlrev_b32_e32 v24, 23, v24
	s_delay_alu instid0(VALU_DEP_2) | instskip(NEXT) | instid1(VALU_DEP_1)
	v_and_or_b32 v1, 0x8000, v1, v26
	v_lshl_or_b32 v24, v1, 16, v24
.LBB273_24:                             ;   in Loop: Header=BB273_10 Depth=1
	s_wait_alu 0xfffe
	s_or_b32 exec_lo, exec_lo, s34
.LBB273_25:                             ;   in Loop: Header=BB273_10 Depth=1
	s_delay_alu instid0(SALU_CYCLE_1)
	s_or_b32 exec_lo, exec_lo, s33
.LBB273_26:                             ;   in Loop: Header=BB273_10 Depth=1
	s_wait_alu 0xfffe
	s_or_b32 exec_lo, exec_lo, s5
	v_lshrrev_b32_e32 v1, 16, v9
	v_mov_b32_e32 v26, 0
	s_mov_b32 s5, exec_lo
	s_delay_alu instid0(VALU_DEP_2) | instskip(NEXT) | instid1(VALU_DEP_1)
	v_dual_mov_b32 v27, 0 :: v_dual_and_b32 v28, 0xff, v1
	v_cmpx_ne_u16_e32 0, v28
	s_cbranch_execz .LBB273_34
; %bb.27:                               ;   in Loop: Header=BB273_10 Depth=1
	v_mov_b32_e32 v27, 0x8000
	s_mov_b32 s33, exec_lo
	v_cmpx_ne_u16_e32 0x80, v28
	s_cbranch_execz .LBB273_33
; %bb.28:                               ;   in Loop: Header=BB273_10 Depth=1
	v_bfe_u32 v29, v9, 16, 7
	v_mov_b32_e32 v27, 0x7c01
	s_mov_b32 s34, exec_lo
	s_delay_alu instid0(VALU_DEP_2)
	v_cmpx_ne_u32_e32 0x7f, v29
	s_cbranch_execz .LBB273_32
; %bb.29:                               ;   in Loop: Header=BB273_10 Depth=1
	v_and_b32_e32 v27, 7, v1
	v_lshrrev_b32_e32 v28, 3, v29
	s_mov_b32 s35, exec_lo
	v_cmpx_gt_u32_e32 8, v29
; %bb.30:                               ;   in Loop: Header=BB273_10 Depth=1
	s_delay_alu instid0(VALU_DEP_3) | instskip(NEXT) | instid1(VALU_DEP_1)
	v_clz_i32_u32_e32 v27, v27
	v_min_u32_e32 v29, 32, v27
	s_delay_alu instid0(VALU_DEP_1) | instskip(NEXT) | instid1(VALU_DEP_1)
	v_subrev_nc_u32_e32 v27, 28, v29
	v_lshlrev_b64_e32 v[27:28], v27, v[1:2]
	v_sub_nc_u32_e32 v28, 29, v29
	s_delay_alu instid0(VALU_DEP_2)
	v_and_b32_e32 v27, 7, v27
; %bb.31:                               ;   in Loop: Header=BB273_10 Depth=1
	s_wait_alu 0xfffe
	s_or_b32 exec_lo, exec_lo, s35
	v_lshlrev_b32_e32 v1, 8, v1
	v_lshl_add_u32 v28, v28, 10, 0x2000
	v_lshlrev_b32_e32 v27, 7, v27
	s_delay_alu instid0(VALU_DEP_3) | instskip(NEXT) | instid1(VALU_DEP_3)
	v_and_b32_e32 v1, 0x8000, v1
	v_and_b32_e32 v28, 0xfc00, v28
	s_delay_alu instid0(VALU_DEP_1)
	v_or3_b32 v27, v1, v28, v27
.LBB273_32:                             ;   in Loop: Header=BB273_10 Depth=1
	s_wait_alu 0xfffe
	s_or_b32 exec_lo, exec_lo, s34
.LBB273_33:                             ;   in Loop: Header=BB273_10 Depth=1
	s_delay_alu instid0(SALU_CYCLE_1)
	s_or_b32 exec_lo, exec_lo, s33
.LBB273_34:                             ;   in Loop: Header=BB273_10 Depth=1
	s_wait_alu 0xfffe
	s_or_b32 exec_lo, exec_lo, s5
	s_delay_alu instid0(SALU_CYCLE_1)
	s_mov_b32 s5, exec_lo
	v_cmpx_lt_u32_e32 0xffffff, v9
	s_cbranch_execz .LBB273_42
; %bb.35:                               ;   in Loop: Header=BB273_10 Depth=1
	v_lshrrev_b32_e32 v1, 24, v9
	v_bfrev_b32_e32 v26, 1
	s_mov_b32 s33, exec_lo
	s_delay_alu instid0(VALU_DEP_2)
	v_cmpx_ne_u32_e32 0x80, v1
	s_cbranch_execz .LBB273_41
; %bb.36:                               ;   in Loop: Header=BB273_10 Depth=1
	v_and_b32_e32 v28, 0x7f, v1
	v_mov_b32_e32 v26, 0x7c010000
	s_mov_b32 s34, exec_lo
	s_delay_alu instid0(VALU_DEP_2)
	v_cmpx_ne_u32_e32 0x7f, v28
	s_cbranch_execz .LBB273_40
; %bb.37:                               ;   in Loop: Header=BB273_10 Depth=1
	v_and_b32_e32 v9, 7, v1
	v_lshrrev_b32_e32 v26, 3, v28
	s_mov_b32 s35, exec_lo
	v_cmpx_gt_u32_e32 8, v28
; %bb.38:                               ;   in Loop: Header=BB273_10 Depth=1
	s_delay_alu instid0(VALU_DEP_3) | instskip(NEXT) | instid1(VALU_DEP_1)
	v_clz_i32_u32_e32 v9, v9
	v_min_u32_e32 v9, 32, v9
	s_delay_alu instid0(VALU_DEP_1) | instskip(NEXT) | instid1(VALU_DEP_1)
	v_subrev_nc_u32_e32 v26, 28, v9
	v_lshlrev_b64_e32 v[28:29], v26, v[1:2]
	v_sub_nc_u32_e32 v26, 29, v9
	s_delay_alu instid0(VALU_DEP_2)
	v_and_b32_e32 v9, 7, v28
; %bb.39:                               ;   in Loop: Header=BB273_10 Depth=1
	s_wait_alu 0xfffe
	s_or_b32 exec_lo, exec_lo, s35
	v_lshlrev_b32_e32 v1, 8, v1
	v_lshl_add_u32 v26, v26, 10, 0x2000
	v_lshlrev_b32_e32 v9, 23, v9
	s_delay_alu instid0(VALU_DEP_2) | instskip(NEXT) | instid1(VALU_DEP_1)
	v_and_or_b32 v1, 0x8000, v1, v26
	v_lshl_or_b32 v26, v1, 16, v9
.LBB273_40:                             ;   in Loop: Header=BB273_10 Depth=1
	s_wait_alu 0xfffe
	s_or_b32 exec_lo, exec_lo, s34
.LBB273_41:                             ;   in Loop: Header=BB273_10 Depth=1
	s_delay_alu instid0(SALU_CYCLE_1)
	s_or_b32 exec_lo, exec_lo, s33
.LBB273_42:                             ;   in Loop: Header=BB273_10 Depth=1
	s_wait_alu 0xfffe
	s_or_b32 exec_lo, exec_lo, s5
	global_load_b32 v9, v[7:8], off offset:8
	v_mov_b32_e32 v29, 0
	s_mov_b32 s5, exec_lo
	s_wait_loadcnt 0x0
	v_dual_mov_b32 v28, 0 :: v_dual_and_b32 v1, 0xff, v9
	s_delay_alu instid0(VALU_DEP_1)
	v_cmpx_ne_u16_e32 0, v1
	s_cbranch_execz .LBB273_50
; %bb.43:                               ;   in Loop: Header=BB273_10 Depth=1
	v_mov_b32_e32 v29, 0x8000
	s_mov_b32 s33, exec_lo
	v_cmpx_ne_u16_e32 0x80, v1
	s_cbranch_execz .LBB273_49
; %bb.44:                               ;   in Loop: Header=BB273_10 Depth=1
	v_and_b32_e32 v30, 0x7f, v9
	v_mov_b32_e32 v29, 0x7c01
	s_mov_b32 s34, exec_lo
	s_delay_alu instid0(VALU_DEP_2)
	v_cmpx_ne_u32_e32 0x7f, v30
	s_cbranch_execz .LBB273_48
; %bb.45:                               ;   in Loop: Header=BB273_10 Depth=1
	v_and_b32_e32 v1, 7, v9
	v_lshrrev_b32_e32 v29, 3, v30
	s_mov_b32 s35, exec_lo
	v_cmpx_gt_u32_e32 8, v30
; %bb.46:                               ;   in Loop: Header=BB273_10 Depth=1
	s_delay_alu instid0(VALU_DEP_3) | instskip(NEXT) | instid1(VALU_DEP_1)
	v_clz_i32_u32_e32 v1, v1
	v_min_u32_e32 v1, 32, v1
	s_delay_alu instid0(VALU_DEP_1) | instskip(NEXT) | instid1(VALU_DEP_1)
	v_subrev_nc_u32_e32 v29, 28, v1
	v_lshlrev_b64_e32 v[30:31], v29, v[9:10]
	v_sub_nc_u32_e32 v29, 29, v1
	s_delay_alu instid0(VALU_DEP_2)
	v_and_b32_e32 v1, 7, v30
; %bb.47:                               ;   in Loop: Header=BB273_10 Depth=1
	s_wait_alu 0xfffe
	s_or_b32 exec_lo, exec_lo, s35
	v_lshlrev_b32_e32 v30, 8, v9
	v_lshl_add_u32 v29, v29, 10, 0x2000
	v_lshlrev_b32_e32 v1, 7, v1
	s_delay_alu instid0(VALU_DEP_3) | instskip(NEXT) | instid1(VALU_DEP_3)
	v_and_b32_e32 v30, 0x8000, v30
	v_and_b32_e32 v29, 0xfc00, v29
	s_delay_alu instid0(VALU_DEP_1)
	v_or3_b32 v29, v30, v29, v1
.LBB273_48:                             ;   in Loop: Header=BB273_10 Depth=1
	s_wait_alu 0xfffe
	s_or_b32 exec_lo, exec_lo, s34
.LBB273_49:                             ;   in Loop: Header=BB273_10 Depth=1
	s_delay_alu instid0(SALU_CYCLE_1)
	s_or_b32 exec_lo, exec_lo, s33
.LBB273_50:                             ;   in Loop: Header=BB273_10 Depth=1
	s_wait_alu 0xfffe
	s_or_b32 exec_lo, exec_lo, s5
	v_lshrrev_b16 v1, 8, v9
	s_mov_b32 s5, exec_lo
	s_delay_alu instid0(VALU_DEP_1)
	v_cmpx_ne_u16_e32 0, v1
	s_cbranch_execz .LBB273_58
; %bb.51:                               ;   in Loop: Header=BB273_10 Depth=1
	v_bfrev_b32_e32 v28, 1
	s_mov_b32 s33, exec_lo
	v_cmpx_ne_u16_e32 0x80, v1
	s_cbranch_execz .LBB273_57
; %bb.52:                               ;   in Loop: Header=BB273_10 Depth=1
	v_and_b32_e32 v30, 0xffff, v1
	v_mov_b32_e32 v28, 0x7c010000
	s_mov_b32 s34, exec_lo
	s_delay_alu instid0(VALU_DEP_2) | instskip(NEXT) | instid1(VALU_DEP_1)
	v_and_b32_e32 v32, 0x7f, v30
	v_cmpx_ne_u32_e32 0x7f, v32
	s_cbranch_execz .LBB273_56
; %bb.53:                               ;   in Loop: Header=BB273_10 Depth=1
	v_and_b32_e32 v28, 7, v30
	v_lshrrev_b32_e32 v31, 3, v32
	s_mov_b32 s35, exec_lo
	v_cmpx_gt_u32_e32 8, v32
; %bb.54:                               ;   in Loop: Header=BB273_10 Depth=1
	s_delay_alu instid0(VALU_DEP_3) | instskip(NEXT) | instid1(VALU_DEP_1)
	v_clz_i32_u32_e32 v28, v28
	v_min_u32_e32 v28, 32, v28
	s_delay_alu instid0(VALU_DEP_1) | instskip(NEXT) | instid1(VALU_DEP_1)
	v_subrev_nc_u32_e32 v31, 28, v28
	v_lshlrev_b64_e32 v[32:33], v31, v[1:2]
	v_sub_nc_u32_e32 v31, 29, v28
	s_delay_alu instid0(VALU_DEP_2)
	v_and_b32_e32 v28, 7, v32
; %bb.55:                               ;   in Loop: Header=BB273_10 Depth=1
	s_wait_alu 0xfffe
	s_or_b32 exec_lo, exec_lo, s35
	v_lshlrev_b32_e32 v1, 8, v30
	v_lshl_add_u32 v30, v31, 10, 0x2000
	v_lshlrev_b32_e32 v28, 23, v28
	s_delay_alu instid0(VALU_DEP_2) | instskip(NEXT) | instid1(VALU_DEP_1)
	v_and_or_b32 v1, 0x8000, v1, v30
	v_lshl_or_b32 v28, v1, 16, v28
.LBB273_56:                             ;   in Loop: Header=BB273_10 Depth=1
	s_wait_alu 0xfffe
	s_or_b32 exec_lo, exec_lo, s34
.LBB273_57:                             ;   in Loop: Header=BB273_10 Depth=1
	s_delay_alu instid0(SALU_CYCLE_1)
	s_or_b32 exec_lo, exec_lo, s33
.LBB273_58:                             ;   in Loop: Header=BB273_10 Depth=1
	s_wait_alu 0xfffe
	s_or_b32 exec_lo, exec_lo, s5
	v_lshrrev_b32_e32 v1, 16, v9
	v_mov_b32_e32 v30, 0
	s_mov_b32 s5, exec_lo
	s_delay_alu instid0(VALU_DEP_2) | instskip(NEXT) | instid1(VALU_DEP_1)
	v_dual_mov_b32 v31, 0 :: v_dual_and_b32 v32, 0xff, v1
	v_cmpx_ne_u16_e32 0, v32
	s_cbranch_execz .LBB273_66
; %bb.59:                               ;   in Loop: Header=BB273_10 Depth=1
	v_mov_b32_e32 v31, 0x8000
	s_mov_b32 s33, exec_lo
	v_cmpx_ne_u16_e32 0x80, v32
	s_cbranch_execz .LBB273_65
; %bb.60:                               ;   in Loop: Header=BB273_10 Depth=1
	v_bfe_u32 v33, v9, 16, 7
	v_mov_b32_e32 v31, 0x7c01
	s_mov_b32 s34, exec_lo
	s_delay_alu instid0(VALU_DEP_2)
	v_cmpx_ne_u32_e32 0x7f, v33
	s_cbranch_execz .LBB273_64
; %bb.61:                               ;   in Loop: Header=BB273_10 Depth=1
	v_and_b32_e32 v31, 7, v1
	v_lshrrev_b32_e32 v32, 3, v33
	s_mov_b32 s35, exec_lo
	v_cmpx_gt_u32_e32 8, v33
; %bb.62:                               ;   in Loop: Header=BB273_10 Depth=1
	s_delay_alu instid0(VALU_DEP_3) | instskip(NEXT) | instid1(VALU_DEP_1)
	v_clz_i32_u32_e32 v31, v31
	v_min_u32_e32 v33, 32, v31
	s_delay_alu instid0(VALU_DEP_1) | instskip(NEXT) | instid1(VALU_DEP_1)
	v_subrev_nc_u32_e32 v31, 28, v33
	v_lshlrev_b64_e32 v[31:32], v31, v[1:2]
	v_sub_nc_u32_e32 v32, 29, v33
	s_delay_alu instid0(VALU_DEP_2)
	v_and_b32_e32 v31, 7, v31
; %bb.63:                               ;   in Loop: Header=BB273_10 Depth=1
	s_wait_alu 0xfffe
	s_or_b32 exec_lo, exec_lo, s35
	v_lshlrev_b32_e32 v1, 8, v1
	v_lshl_add_u32 v32, v32, 10, 0x2000
	v_lshlrev_b32_e32 v31, 7, v31
	s_delay_alu instid0(VALU_DEP_3) | instskip(NEXT) | instid1(VALU_DEP_3)
	v_and_b32_e32 v1, 0x8000, v1
	v_and_b32_e32 v32, 0xfc00, v32
	s_delay_alu instid0(VALU_DEP_1)
	v_or3_b32 v31, v1, v32, v31
.LBB273_64:                             ;   in Loop: Header=BB273_10 Depth=1
	s_wait_alu 0xfffe
	s_or_b32 exec_lo, exec_lo, s34
.LBB273_65:                             ;   in Loop: Header=BB273_10 Depth=1
	s_delay_alu instid0(SALU_CYCLE_1)
	s_or_b32 exec_lo, exec_lo, s33
.LBB273_66:                             ;   in Loop: Header=BB273_10 Depth=1
	s_wait_alu 0xfffe
	s_or_b32 exec_lo, exec_lo, s5
	s_delay_alu instid0(SALU_CYCLE_1)
	s_mov_b32 s5, exec_lo
	v_cmpx_lt_u32_e32 0xffffff, v9
	s_cbranch_execz .LBB273_74
; %bb.67:                               ;   in Loop: Header=BB273_10 Depth=1
	v_lshrrev_b32_e32 v1, 24, v9
	v_bfrev_b32_e32 v30, 1
	s_mov_b32 s33, exec_lo
	s_delay_alu instid0(VALU_DEP_2)
	v_cmpx_ne_u32_e32 0x80, v1
	s_cbranch_execz .LBB273_73
; %bb.68:                               ;   in Loop: Header=BB273_10 Depth=1
	v_and_b32_e32 v32, 0x7f, v1
	v_mov_b32_e32 v30, 0x7c010000
	s_mov_b32 s34, exec_lo
	s_delay_alu instid0(VALU_DEP_2)
	v_cmpx_ne_u32_e32 0x7f, v32
	s_cbranch_execz .LBB273_72
; %bb.69:                               ;   in Loop: Header=BB273_10 Depth=1
	v_and_b32_e32 v9, 7, v1
	v_lshrrev_b32_e32 v30, 3, v32
	s_mov_b32 s35, exec_lo
	v_cmpx_gt_u32_e32 8, v32
; %bb.70:                               ;   in Loop: Header=BB273_10 Depth=1
	s_delay_alu instid0(VALU_DEP_3) | instskip(NEXT) | instid1(VALU_DEP_1)
	v_clz_i32_u32_e32 v9, v9
	v_min_u32_e32 v9, 32, v9
	s_delay_alu instid0(VALU_DEP_1) | instskip(NEXT) | instid1(VALU_DEP_1)
	v_subrev_nc_u32_e32 v30, 28, v9
	v_lshlrev_b64_e32 v[32:33], v30, v[1:2]
	v_sub_nc_u32_e32 v30, 29, v9
	s_delay_alu instid0(VALU_DEP_2)
	v_and_b32_e32 v9, 7, v32
; %bb.71:                               ;   in Loop: Header=BB273_10 Depth=1
	s_wait_alu 0xfffe
	s_or_b32 exec_lo, exec_lo, s35
	v_lshlrev_b32_e32 v1, 8, v1
	v_lshl_add_u32 v30, v30, 10, 0x2000
	v_lshlrev_b32_e32 v9, 23, v9
	s_delay_alu instid0(VALU_DEP_2) | instskip(NEXT) | instid1(VALU_DEP_1)
	v_and_or_b32 v1, 0x8000, v1, v30
	v_lshl_or_b32 v30, v1, 16, v9
.LBB273_72:                             ;   in Loop: Header=BB273_10 Depth=1
	s_wait_alu 0xfffe
	s_or_b32 exec_lo, exec_lo, s34
.LBB273_73:                             ;   in Loop: Header=BB273_10 Depth=1
	s_delay_alu instid0(SALU_CYCLE_1)
	s_or_b32 exec_lo, exec_lo, s33
.LBB273_74:                             ;   in Loop: Header=BB273_10 Depth=1
	s_wait_alu 0xfffe
	s_or_b32 exec_lo, exec_lo, s5
	global_load_b32 v9, v[7:8], off offset:256
	v_mov_b32_e32 v33, 0
	s_mov_b32 s5, exec_lo
	s_wait_loadcnt 0x0
	v_dual_mov_b32 v32, 0 :: v_dual_and_b32 v1, 0xff, v9
	s_delay_alu instid0(VALU_DEP_1)
	v_cmpx_ne_u16_e32 0, v1
	s_cbranch_execz .LBB273_82
; %bb.75:                               ;   in Loop: Header=BB273_10 Depth=1
	v_mov_b32_e32 v33, 0x8000
	s_mov_b32 s33, exec_lo
	v_cmpx_ne_u16_e32 0x80, v1
	s_cbranch_execz .LBB273_81
; %bb.76:                               ;   in Loop: Header=BB273_10 Depth=1
	v_and_b32_e32 v34, 0x7f, v9
	v_mov_b32_e32 v33, 0x7c01
	s_mov_b32 s34, exec_lo
	s_delay_alu instid0(VALU_DEP_2)
	v_cmpx_ne_u32_e32 0x7f, v34
	s_cbranch_execz .LBB273_80
; %bb.77:                               ;   in Loop: Header=BB273_10 Depth=1
	v_and_b32_e32 v1, 7, v9
	v_lshrrev_b32_e32 v33, 3, v34
	s_mov_b32 s35, exec_lo
	v_cmpx_gt_u32_e32 8, v34
; %bb.78:                               ;   in Loop: Header=BB273_10 Depth=1
	s_delay_alu instid0(VALU_DEP_3) | instskip(NEXT) | instid1(VALU_DEP_1)
	v_clz_i32_u32_e32 v1, v1
	v_min_u32_e32 v1, 32, v1
	s_delay_alu instid0(VALU_DEP_1) | instskip(NEXT) | instid1(VALU_DEP_1)
	v_subrev_nc_u32_e32 v33, 28, v1
	v_lshlrev_b64_e32 v[34:35], v33, v[9:10]
	v_sub_nc_u32_e32 v33, 29, v1
	s_delay_alu instid0(VALU_DEP_2)
	v_and_b32_e32 v1, 7, v34
; %bb.79:                               ;   in Loop: Header=BB273_10 Depth=1
	s_wait_alu 0xfffe
	s_or_b32 exec_lo, exec_lo, s35
	v_lshlrev_b32_e32 v34, 8, v9
	v_lshl_add_u32 v33, v33, 10, 0x2000
	v_lshlrev_b32_e32 v1, 7, v1
	s_delay_alu instid0(VALU_DEP_3) | instskip(NEXT) | instid1(VALU_DEP_3)
	v_and_b32_e32 v34, 0x8000, v34
	v_and_b32_e32 v33, 0xfc00, v33
	s_delay_alu instid0(VALU_DEP_1)
	v_or3_b32 v33, v34, v33, v1
.LBB273_80:                             ;   in Loop: Header=BB273_10 Depth=1
	s_wait_alu 0xfffe
	s_or_b32 exec_lo, exec_lo, s34
.LBB273_81:                             ;   in Loop: Header=BB273_10 Depth=1
	s_delay_alu instid0(SALU_CYCLE_1)
	s_or_b32 exec_lo, exec_lo, s33
.LBB273_82:                             ;   in Loop: Header=BB273_10 Depth=1
	s_wait_alu 0xfffe
	s_or_b32 exec_lo, exec_lo, s5
	v_lshrrev_b16 v1, 8, v9
	s_mov_b32 s5, exec_lo
	s_delay_alu instid0(VALU_DEP_1)
	v_cmpx_ne_u16_e32 0, v1
	s_cbranch_execz .LBB273_90
; %bb.83:                               ;   in Loop: Header=BB273_10 Depth=1
	v_bfrev_b32_e32 v32, 1
	s_mov_b32 s33, exec_lo
	v_cmpx_ne_u16_e32 0x80, v1
	s_cbranch_execz .LBB273_89
; %bb.84:                               ;   in Loop: Header=BB273_10 Depth=1
	v_and_b32_e32 v34, 0xffff, v1
	v_mov_b32_e32 v32, 0x7c010000
	s_mov_b32 s34, exec_lo
	s_delay_alu instid0(VALU_DEP_2) | instskip(NEXT) | instid1(VALU_DEP_1)
	v_and_b32_e32 v36, 0x7f, v34
	v_cmpx_ne_u32_e32 0x7f, v36
	s_cbranch_execz .LBB273_88
; %bb.85:                               ;   in Loop: Header=BB273_10 Depth=1
	v_and_b32_e32 v32, 7, v34
	v_lshrrev_b32_e32 v35, 3, v36
	s_mov_b32 s35, exec_lo
	v_cmpx_gt_u32_e32 8, v36
; %bb.86:                               ;   in Loop: Header=BB273_10 Depth=1
	s_delay_alu instid0(VALU_DEP_3) | instskip(NEXT) | instid1(VALU_DEP_1)
	v_clz_i32_u32_e32 v32, v32
	v_min_u32_e32 v32, 32, v32
	s_delay_alu instid0(VALU_DEP_1) | instskip(NEXT) | instid1(VALU_DEP_1)
	v_subrev_nc_u32_e32 v35, 28, v32
	v_lshlrev_b64_e32 v[36:37], v35, v[1:2]
	v_sub_nc_u32_e32 v35, 29, v32
	s_delay_alu instid0(VALU_DEP_2)
	v_and_b32_e32 v32, 7, v36
; %bb.87:                               ;   in Loop: Header=BB273_10 Depth=1
	s_wait_alu 0xfffe
	s_or_b32 exec_lo, exec_lo, s35
	v_lshlrev_b32_e32 v1, 8, v34
	v_lshl_add_u32 v34, v35, 10, 0x2000
	v_lshlrev_b32_e32 v32, 23, v32
	s_delay_alu instid0(VALU_DEP_2) | instskip(NEXT) | instid1(VALU_DEP_1)
	v_and_or_b32 v1, 0x8000, v1, v34
	v_lshl_or_b32 v32, v1, 16, v32
.LBB273_88:                             ;   in Loop: Header=BB273_10 Depth=1
	s_wait_alu 0xfffe
	s_or_b32 exec_lo, exec_lo, s34
.LBB273_89:                             ;   in Loop: Header=BB273_10 Depth=1
	s_delay_alu instid0(SALU_CYCLE_1)
	s_or_b32 exec_lo, exec_lo, s33
.LBB273_90:                             ;   in Loop: Header=BB273_10 Depth=1
	s_wait_alu 0xfffe
	s_or_b32 exec_lo, exec_lo, s5
	v_lshrrev_b32_e32 v1, 16, v9
	v_mov_b32_e32 v34, 0
	s_mov_b32 s5, exec_lo
	s_delay_alu instid0(VALU_DEP_2) | instskip(NEXT) | instid1(VALU_DEP_1)
	v_dual_mov_b32 v35, 0 :: v_dual_and_b32 v36, 0xff, v1
	v_cmpx_ne_u16_e32 0, v36
	s_cbranch_execz .LBB273_98
; %bb.91:                               ;   in Loop: Header=BB273_10 Depth=1
	v_mov_b32_e32 v35, 0x8000
	s_mov_b32 s33, exec_lo
	v_cmpx_ne_u16_e32 0x80, v36
	s_cbranch_execz .LBB273_97
; %bb.92:                               ;   in Loop: Header=BB273_10 Depth=1
	v_bfe_u32 v37, v9, 16, 7
	v_mov_b32_e32 v35, 0x7c01
	s_mov_b32 s34, exec_lo
	s_delay_alu instid0(VALU_DEP_2)
	v_cmpx_ne_u32_e32 0x7f, v37
	s_cbranch_execz .LBB273_96
; %bb.93:                               ;   in Loop: Header=BB273_10 Depth=1
	v_and_b32_e32 v35, 7, v1
	v_lshrrev_b32_e32 v36, 3, v37
	s_mov_b32 s35, exec_lo
	v_cmpx_gt_u32_e32 8, v37
; %bb.94:                               ;   in Loop: Header=BB273_10 Depth=1
	s_delay_alu instid0(VALU_DEP_3) | instskip(NEXT) | instid1(VALU_DEP_1)
	v_clz_i32_u32_e32 v35, v35
	v_min_u32_e32 v37, 32, v35
	s_delay_alu instid0(VALU_DEP_1) | instskip(NEXT) | instid1(VALU_DEP_1)
	v_subrev_nc_u32_e32 v35, 28, v37
	v_lshlrev_b64_e32 v[35:36], v35, v[1:2]
	v_sub_nc_u32_e32 v36, 29, v37
	s_delay_alu instid0(VALU_DEP_2)
	v_and_b32_e32 v35, 7, v35
; %bb.95:                               ;   in Loop: Header=BB273_10 Depth=1
	s_wait_alu 0xfffe
	s_or_b32 exec_lo, exec_lo, s35
	v_lshlrev_b32_e32 v1, 8, v1
	v_lshl_add_u32 v36, v36, 10, 0x2000
	v_lshlrev_b32_e32 v35, 7, v35
	s_delay_alu instid0(VALU_DEP_3) | instskip(NEXT) | instid1(VALU_DEP_3)
	v_and_b32_e32 v1, 0x8000, v1
	v_and_b32_e32 v36, 0xfc00, v36
	s_delay_alu instid0(VALU_DEP_1)
	v_or3_b32 v35, v1, v36, v35
.LBB273_96:                             ;   in Loop: Header=BB273_10 Depth=1
	s_wait_alu 0xfffe
	s_or_b32 exec_lo, exec_lo, s34
.LBB273_97:                             ;   in Loop: Header=BB273_10 Depth=1
	s_delay_alu instid0(SALU_CYCLE_1)
	s_or_b32 exec_lo, exec_lo, s33
.LBB273_98:                             ;   in Loop: Header=BB273_10 Depth=1
	s_wait_alu 0xfffe
	s_or_b32 exec_lo, exec_lo, s5
	s_delay_alu instid0(SALU_CYCLE_1)
	s_mov_b32 s5, exec_lo
	v_cmpx_lt_u32_e32 0xffffff, v9
	s_cbranch_execz .LBB273_106
; %bb.99:                               ;   in Loop: Header=BB273_10 Depth=1
	v_lshrrev_b32_e32 v1, 24, v9
	v_bfrev_b32_e32 v34, 1
	s_mov_b32 s33, exec_lo
	s_delay_alu instid0(VALU_DEP_2)
	v_cmpx_ne_u32_e32 0x80, v1
	s_cbranch_execz .LBB273_105
; %bb.100:                              ;   in Loop: Header=BB273_10 Depth=1
	v_and_b32_e32 v36, 0x7f, v1
	v_mov_b32_e32 v34, 0x7c010000
	s_mov_b32 s34, exec_lo
	s_delay_alu instid0(VALU_DEP_2)
	v_cmpx_ne_u32_e32 0x7f, v36
	s_cbranch_execz .LBB273_104
; %bb.101:                              ;   in Loop: Header=BB273_10 Depth=1
	v_and_b32_e32 v9, 7, v1
	v_lshrrev_b32_e32 v34, 3, v36
	s_mov_b32 s35, exec_lo
	v_cmpx_gt_u32_e32 8, v36
; %bb.102:                              ;   in Loop: Header=BB273_10 Depth=1
	s_delay_alu instid0(VALU_DEP_3) | instskip(NEXT) | instid1(VALU_DEP_1)
	v_clz_i32_u32_e32 v9, v9
	v_min_u32_e32 v9, 32, v9
	s_delay_alu instid0(VALU_DEP_1) | instskip(NEXT) | instid1(VALU_DEP_1)
	v_subrev_nc_u32_e32 v34, 28, v9
	v_lshlrev_b64_e32 v[36:37], v34, v[1:2]
	v_sub_nc_u32_e32 v34, 29, v9
	s_delay_alu instid0(VALU_DEP_2)
	v_and_b32_e32 v9, 7, v36
; %bb.103:                              ;   in Loop: Header=BB273_10 Depth=1
	s_wait_alu 0xfffe
	s_or_b32 exec_lo, exec_lo, s35
	v_lshlrev_b32_e32 v1, 8, v1
	v_lshl_add_u32 v34, v34, 10, 0x2000
	v_lshlrev_b32_e32 v9, 23, v9
	s_delay_alu instid0(VALU_DEP_2) | instskip(NEXT) | instid1(VALU_DEP_1)
	v_and_or_b32 v1, 0x8000, v1, v34
	v_lshl_or_b32 v34, v1, 16, v9
.LBB273_104:                            ;   in Loop: Header=BB273_10 Depth=1
	s_wait_alu 0xfffe
	s_or_b32 exec_lo, exec_lo, s34
.LBB273_105:                            ;   in Loop: Header=BB273_10 Depth=1
	s_delay_alu instid0(SALU_CYCLE_1)
	s_or_b32 exec_lo, exec_lo, s33
.LBB273_106:                            ;   in Loop: Header=BB273_10 Depth=1
	s_wait_alu 0xfffe
	s_or_b32 exec_lo, exec_lo, s5
	global_load_b32 v9, v[7:8], off offset:264
	v_mov_b32_e32 v37, 0
	s_mov_b32 s5, exec_lo
	s_wait_loadcnt 0x0
	v_dual_mov_b32 v36, 0 :: v_dual_and_b32 v1, 0xff, v9
	s_delay_alu instid0(VALU_DEP_1)
	v_cmpx_ne_u16_e32 0, v1
	s_cbranch_execz .LBB273_114
; %bb.107:                              ;   in Loop: Header=BB273_10 Depth=1
	v_mov_b32_e32 v37, 0x8000
	s_mov_b32 s33, exec_lo
	v_cmpx_ne_u16_e32 0x80, v1
	s_cbranch_execz .LBB273_113
; %bb.108:                              ;   in Loop: Header=BB273_10 Depth=1
	v_and_b32_e32 v38, 0x7f, v9
	v_mov_b32_e32 v37, 0x7c01
	s_mov_b32 s34, exec_lo
	s_delay_alu instid0(VALU_DEP_2)
	v_cmpx_ne_u32_e32 0x7f, v38
	s_cbranch_execz .LBB273_112
; %bb.109:                              ;   in Loop: Header=BB273_10 Depth=1
	v_and_b32_e32 v1, 7, v9
	v_lshrrev_b32_e32 v37, 3, v38
	s_mov_b32 s35, exec_lo
	v_cmpx_gt_u32_e32 8, v38
; %bb.110:                              ;   in Loop: Header=BB273_10 Depth=1
	s_delay_alu instid0(VALU_DEP_3) | instskip(NEXT) | instid1(VALU_DEP_1)
	v_clz_i32_u32_e32 v1, v1
	v_min_u32_e32 v1, 32, v1
	s_delay_alu instid0(VALU_DEP_1) | instskip(NEXT) | instid1(VALU_DEP_1)
	v_subrev_nc_u32_e32 v37, 28, v1
	v_lshlrev_b64_e32 v[38:39], v37, v[9:10]
	v_sub_nc_u32_e32 v37, 29, v1
	s_delay_alu instid0(VALU_DEP_2)
	v_and_b32_e32 v1, 7, v38
; %bb.111:                              ;   in Loop: Header=BB273_10 Depth=1
	s_wait_alu 0xfffe
	s_or_b32 exec_lo, exec_lo, s35
	v_lshlrev_b32_e32 v38, 8, v9
	v_lshl_add_u32 v37, v37, 10, 0x2000
	v_lshlrev_b32_e32 v1, 7, v1
	s_delay_alu instid0(VALU_DEP_3) | instskip(NEXT) | instid1(VALU_DEP_3)
	v_and_b32_e32 v38, 0x8000, v38
	v_and_b32_e32 v37, 0xfc00, v37
	s_delay_alu instid0(VALU_DEP_1)
	v_or3_b32 v37, v38, v37, v1
.LBB273_112:                            ;   in Loop: Header=BB273_10 Depth=1
	s_wait_alu 0xfffe
	s_or_b32 exec_lo, exec_lo, s34
.LBB273_113:                            ;   in Loop: Header=BB273_10 Depth=1
	s_delay_alu instid0(SALU_CYCLE_1)
	s_or_b32 exec_lo, exec_lo, s33
.LBB273_114:                            ;   in Loop: Header=BB273_10 Depth=1
	s_wait_alu 0xfffe
	s_or_b32 exec_lo, exec_lo, s5
	v_lshrrev_b16 v1, 8, v9
	s_mov_b32 s5, exec_lo
	s_delay_alu instid0(VALU_DEP_1)
	v_cmpx_ne_u16_e32 0, v1
	s_cbranch_execz .LBB273_122
; %bb.115:                              ;   in Loop: Header=BB273_10 Depth=1
	v_bfrev_b32_e32 v36, 1
	s_mov_b32 s33, exec_lo
	v_cmpx_ne_u16_e32 0x80, v1
	s_cbranch_execz .LBB273_121
; %bb.116:                              ;   in Loop: Header=BB273_10 Depth=1
	v_and_b32_e32 v38, 0xffff, v1
	v_mov_b32_e32 v36, 0x7c010000
	s_mov_b32 s34, exec_lo
	s_delay_alu instid0(VALU_DEP_2) | instskip(NEXT) | instid1(VALU_DEP_1)
	v_and_b32_e32 v40, 0x7f, v38
	v_cmpx_ne_u32_e32 0x7f, v40
	s_cbranch_execz .LBB273_120
; %bb.117:                              ;   in Loop: Header=BB273_10 Depth=1
	v_and_b32_e32 v36, 7, v38
	v_lshrrev_b32_e32 v39, 3, v40
	s_mov_b32 s35, exec_lo
	v_cmpx_gt_u32_e32 8, v40
; %bb.118:                              ;   in Loop: Header=BB273_10 Depth=1
	s_delay_alu instid0(VALU_DEP_3) | instskip(NEXT) | instid1(VALU_DEP_1)
	v_clz_i32_u32_e32 v36, v36
	v_min_u32_e32 v36, 32, v36
	s_delay_alu instid0(VALU_DEP_1) | instskip(NEXT) | instid1(VALU_DEP_1)
	v_subrev_nc_u32_e32 v39, 28, v36
	v_lshlrev_b64_e32 v[40:41], v39, v[1:2]
	v_sub_nc_u32_e32 v39, 29, v36
	s_delay_alu instid0(VALU_DEP_2)
	v_and_b32_e32 v36, 7, v40
; %bb.119:                              ;   in Loop: Header=BB273_10 Depth=1
	s_wait_alu 0xfffe
	s_or_b32 exec_lo, exec_lo, s35
	v_lshlrev_b32_e32 v1, 8, v38
	v_lshl_add_u32 v38, v39, 10, 0x2000
	v_lshlrev_b32_e32 v36, 23, v36
	s_delay_alu instid0(VALU_DEP_2) | instskip(NEXT) | instid1(VALU_DEP_1)
	v_and_or_b32 v1, 0x8000, v1, v38
	v_lshl_or_b32 v36, v1, 16, v36
.LBB273_120:                            ;   in Loop: Header=BB273_10 Depth=1
	s_wait_alu 0xfffe
	s_or_b32 exec_lo, exec_lo, s34
.LBB273_121:                            ;   in Loop: Header=BB273_10 Depth=1
	s_delay_alu instid0(SALU_CYCLE_1)
	s_or_b32 exec_lo, exec_lo, s33
.LBB273_122:                            ;   in Loop: Header=BB273_10 Depth=1
	s_wait_alu 0xfffe
	s_or_b32 exec_lo, exec_lo, s5
	v_lshrrev_b32_e32 v1, 16, v9
	v_mov_b32_e32 v38, 0
	s_mov_b32 s5, exec_lo
	s_delay_alu instid0(VALU_DEP_2) | instskip(NEXT) | instid1(VALU_DEP_1)
	v_dual_mov_b32 v39, 0 :: v_dual_and_b32 v40, 0xff, v1
	v_cmpx_ne_u16_e32 0, v40
	s_cbranch_execz .LBB273_130
; %bb.123:                              ;   in Loop: Header=BB273_10 Depth=1
	v_mov_b32_e32 v39, 0x8000
	s_mov_b32 s33, exec_lo
	v_cmpx_ne_u16_e32 0x80, v40
	s_cbranch_execz .LBB273_129
; %bb.124:                              ;   in Loop: Header=BB273_10 Depth=1
	v_bfe_u32 v41, v9, 16, 7
	v_mov_b32_e32 v39, 0x7c01
	s_mov_b32 s34, exec_lo
	s_delay_alu instid0(VALU_DEP_2)
	v_cmpx_ne_u32_e32 0x7f, v41
	s_cbranch_execz .LBB273_128
; %bb.125:                              ;   in Loop: Header=BB273_10 Depth=1
	v_and_b32_e32 v39, 7, v1
	v_lshrrev_b32_e32 v40, 3, v41
	s_mov_b32 s35, exec_lo
	v_cmpx_gt_u32_e32 8, v41
; %bb.126:                              ;   in Loop: Header=BB273_10 Depth=1
	s_delay_alu instid0(VALU_DEP_3) | instskip(NEXT) | instid1(VALU_DEP_1)
	v_clz_i32_u32_e32 v39, v39
	v_min_u32_e32 v41, 32, v39
	s_delay_alu instid0(VALU_DEP_1) | instskip(NEXT) | instid1(VALU_DEP_1)
	v_subrev_nc_u32_e32 v39, 28, v41
	v_lshlrev_b64_e32 v[39:40], v39, v[1:2]
	v_sub_nc_u32_e32 v40, 29, v41
	s_delay_alu instid0(VALU_DEP_2)
	v_and_b32_e32 v39, 7, v39
; %bb.127:                              ;   in Loop: Header=BB273_10 Depth=1
	s_wait_alu 0xfffe
	s_or_b32 exec_lo, exec_lo, s35
	v_lshlrev_b32_e32 v1, 8, v1
	v_lshl_add_u32 v40, v40, 10, 0x2000
	v_lshlrev_b32_e32 v39, 7, v39
	s_delay_alu instid0(VALU_DEP_3) | instskip(NEXT) | instid1(VALU_DEP_3)
	v_and_b32_e32 v1, 0x8000, v1
	v_and_b32_e32 v40, 0xfc00, v40
	s_delay_alu instid0(VALU_DEP_1)
	v_or3_b32 v39, v1, v40, v39
.LBB273_128:                            ;   in Loop: Header=BB273_10 Depth=1
	s_wait_alu 0xfffe
	s_or_b32 exec_lo, exec_lo, s34
.LBB273_129:                            ;   in Loop: Header=BB273_10 Depth=1
	s_delay_alu instid0(SALU_CYCLE_1)
	s_or_b32 exec_lo, exec_lo, s33
.LBB273_130:                            ;   in Loop: Header=BB273_10 Depth=1
	s_wait_alu 0xfffe
	s_or_b32 exec_lo, exec_lo, s5
	s_delay_alu instid0(SALU_CYCLE_1)
	s_mov_b32 s5, exec_lo
	v_cmpx_lt_u32_e32 0xffffff, v9
	s_cbranch_execz .LBB273_138
; %bb.131:                              ;   in Loop: Header=BB273_10 Depth=1
	v_lshrrev_b32_e32 v1, 24, v9
	v_bfrev_b32_e32 v38, 1
	s_mov_b32 s33, exec_lo
	s_delay_alu instid0(VALU_DEP_2)
	v_cmpx_ne_u32_e32 0x80, v1
	s_cbranch_execz .LBB273_137
; %bb.132:                              ;   in Loop: Header=BB273_10 Depth=1
	v_and_b32_e32 v40, 0x7f, v1
	v_mov_b32_e32 v38, 0x7c010000
	s_mov_b32 s34, exec_lo
	s_delay_alu instid0(VALU_DEP_2)
	v_cmpx_ne_u32_e32 0x7f, v40
	s_cbranch_execz .LBB273_136
; %bb.133:                              ;   in Loop: Header=BB273_10 Depth=1
	v_and_b32_e32 v9, 7, v1
	v_lshrrev_b32_e32 v38, 3, v40
	s_mov_b32 s35, exec_lo
	v_cmpx_gt_u32_e32 8, v40
; %bb.134:                              ;   in Loop: Header=BB273_10 Depth=1
	s_delay_alu instid0(VALU_DEP_3) | instskip(NEXT) | instid1(VALU_DEP_1)
	v_clz_i32_u32_e32 v9, v9
	v_min_u32_e32 v9, 32, v9
	s_delay_alu instid0(VALU_DEP_1) | instskip(NEXT) | instid1(VALU_DEP_1)
	v_subrev_nc_u32_e32 v38, 28, v9
	v_lshlrev_b64_e32 v[40:41], v38, v[1:2]
	v_sub_nc_u32_e32 v38, 29, v9
	s_delay_alu instid0(VALU_DEP_2)
	v_and_b32_e32 v9, 7, v40
; %bb.135:                              ;   in Loop: Header=BB273_10 Depth=1
	s_wait_alu 0xfffe
	s_or_b32 exec_lo, exec_lo, s35
	v_lshlrev_b32_e32 v1, 8, v1
	v_lshl_add_u32 v38, v38, 10, 0x2000
	v_lshlrev_b32_e32 v9, 23, v9
	s_delay_alu instid0(VALU_DEP_2) | instskip(NEXT) | instid1(VALU_DEP_1)
	v_and_or_b32 v1, 0x8000, v1, v38
	v_lshl_or_b32 v38, v1, 16, v9
.LBB273_136:                            ;   in Loop: Header=BB273_10 Depth=1
	s_wait_alu 0xfffe
	s_or_b32 exec_lo, exec_lo, s34
.LBB273_137:                            ;   in Loop: Header=BB273_10 Depth=1
	s_delay_alu instid0(SALU_CYCLE_1)
	s_or_b32 exec_lo, exec_lo, s33
.LBB273_138:                            ;   in Loop: Header=BB273_10 Depth=1
	s_wait_alu 0xfffe
	s_or_b32 exec_lo, exec_lo, s5
	global_load_b32 v9, v[7:8], off offset:512
	v_mov_b32_e32 v41, 0
	s_mov_b32 s5, exec_lo
	s_wait_loadcnt 0x0
	v_dual_mov_b32 v40, 0 :: v_dual_and_b32 v1, 0xff, v9
	s_delay_alu instid0(VALU_DEP_1)
	v_cmpx_ne_u16_e32 0, v1
	s_cbranch_execz .LBB273_146
; %bb.139:                              ;   in Loop: Header=BB273_10 Depth=1
	v_mov_b32_e32 v41, 0x8000
	s_mov_b32 s33, exec_lo
	v_cmpx_ne_u16_e32 0x80, v1
	s_cbranch_execz .LBB273_145
; %bb.140:                              ;   in Loop: Header=BB273_10 Depth=1
	v_and_b32_e32 v42, 0x7f, v9
	v_mov_b32_e32 v41, 0x7c01
	s_mov_b32 s34, exec_lo
	s_delay_alu instid0(VALU_DEP_2)
	v_cmpx_ne_u32_e32 0x7f, v42
	s_cbranch_execz .LBB273_144
; %bb.141:                              ;   in Loop: Header=BB273_10 Depth=1
	v_and_b32_e32 v1, 7, v9
	v_lshrrev_b32_e32 v41, 3, v42
	s_mov_b32 s35, exec_lo
	v_cmpx_gt_u32_e32 8, v42
; %bb.142:                              ;   in Loop: Header=BB273_10 Depth=1
	s_delay_alu instid0(VALU_DEP_3) | instskip(NEXT) | instid1(VALU_DEP_1)
	v_clz_i32_u32_e32 v1, v1
	v_min_u32_e32 v1, 32, v1
	s_delay_alu instid0(VALU_DEP_1) | instskip(NEXT) | instid1(VALU_DEP_1)
	v_subrev_nc_u32_e32 v41, 28, v1
	v_lshlrev_b64_e32 v[42:43], v41, v[9:10]
	v_sub_nc_u32_e32 v41, 29, v1
	s_delay_alu instid0(VALU_DEP_2)
	v_and_b32_e32 v1, 7, v42
; %bb.143:                              ;   in Loop: Header=BB273_10 Depth=1
	s_wait_alu 0xfffe
	s_or_b32 exec_lo, exec_lo, s35
	v_lshlrev_b32_e32 v42, 8, v9
	v_lshl_add_u32 v41, v41, 10, 0x2000
	v_lshlrev_b32_e32 v1, 7, v1
	s_delay_alu instid0(VALU_DEP_3) | instskip(NEXT) | instid1(VALU_DEP_3)
	v_and_b32_e32 v42, 0x8000, v42
	v_and_b32_e32 v41, 0xfc00, v41
	s_delay_alu instid0(VALU_DEP_1)
	v_or3_b32 v41, v42, v41, v1
.LBB273_144:                            ;   in Loop: Header=BB273_10 Depth=1
	s_wait_alu 0xfffe
	s_or_b32 exec_lo, exec_lo, s34
.LBB273_145:                            ;   in Loop: Header=BB273_10 Depth=1
	s_delay_alu instid0(SALU_CYCLE_1)
	s_or_b32 exec_lo, exec_lo, s33
.LBB273_146:                            ;   in Loop: Header=BB273_10 Depth=1
	s_wait_alu 0xfffe
	s_or_b32 exec_lo, exec_lo, s5
	v_lshrrev_b16 v1, 8, v9
	s_mov_b32 s5, exec_lo
	s_delay_alu instid0(VALU_DEP_1)
	v_cmpx_ne_u16_e32 0, v1
	s_cbranch_execz .LBB273_154
; %bb.147:                              ;   in Loop: Header=BB273_10 Depth=1
	v_bfrev_b32_e32 v40, 1
	s_mov_b32 s33, exec_lo
	v_cmpx_ne_u16_e32 0x80, v1
	s_cbranch_execz .LBB273_153
; %bb.148:                              ;   in Loop: Header=BB273_10 Depth=1
	v_and_b32_e32 v42, 0xffff, v1
	v_mov_b32_e32 v40, 0x7c010000
	s_mov_b32 s34, exec_lo
	s_delay_alu instid0(VALU_DEP_2) | instskip(NEXT) | instid1(VALU_DEP_1)
	v_and_b32_e32 v44, 0x7f, v42
	v_cmpx_ne_u32_e32 0x7f, v44
	s_cbranch_execz .LBB273_152
; %bb.149:                              ;   in Loop: Header=BB273_10 Depth=1
	v_and_b32_e32 v40, 7, v42
	v_lshrrev_b32_e32 v43, 3, v44
	s_mov_b32 s35, exec_lo
	v_cmpx_gt_u32_e32 8, v44
; %bb.150:                              ;   in Loop: Header=BB273_10 Depth=1
	s_delay_alu instid0(VALU_DEP_3) | instskip(NEXT) | instid1(VALU_DEP_1)
	v_clz_i32_u32_e32 v40, v40
	v_min_u32_e32 v40, 32, v40
	s_delay_alu instid0(VALU_DEP_1) | instskip(NEXT) | instid1(VALU_DEP_1)
	v_subrev_nc_u32_e32 v43, 28, v40
	v_lshlrev_b64_e32 v[44:45], v43, v[1:2]
	v_sub_nc_u32_e32 v43, 29, v40
	s_delay_alu instid0(VALU_DEP_2)
	v_and_b32_e32 v40, 7, v44
; %bb.151:                              ;   in Loop: Header=BB273_10 Depth=1
	s_wait_alu 0xfffe
	s_or_b32 exec_lo, exec_lo, s35
	v_lshlrev_b32_e32 v1, 8, v42
	v_lshl_add_u32 v42, v43, 10, 0x2000
	v_lshlrev_b32_e32 v40, 23, v40
	s_delay_alu instid0(VALU_DEP_2) | instskip(NEXT) | instid1(VALU_DEP_1)
	v_and_or_b32 v1, 0x8000, v1, v42
	v_lshl_or_b32 v40, v1, 16, v40
.LBB273_152:                            ;   in Loop: Header=BB273_10 Depth=1
	s_wait_alu 0xfffe
	s_or_b32 exec_lo, exec_lo, s34
.LBB273_153:                            ;   in Loop: Header=BB273_10 Depth=1
	s_delay_alu instid0(SALU_CYCLE_1)
	s_or_b32 exec_lo, exec_lo, s33
.LBB273_154:                            ;   in Loop: Header=BB273_10 Depth=1
	s_wait_alu 0xfffe
	s_or_b32 exec_lo, exec_lo, s5
	v_lshrrev_b32_e32 v1, 16, v9
	v_mov_b32_e32 v42, 0
	s_mov_b32 s5, exec_lo
	s_delay_alu instid0(VALU_DEP_2) | instskip(NEXT) | instid1(VALU_DEP_1)
	v_dual_mov_b32 v43, 0 :: v_dual_and_b32 v44, 0xff, v1
	v_cmpx_ne_u16_e32 0, v44
	s_cbranch_execz .LBB273_162
; %bb.155:                              ;   in Loop: Header=BB273_10 Depth=1
	v_mov_b32_e32 v43, 0x8000
	s_mov_b32 s33, exec_lo
	v_cmpx_ne_u16_e32 0x80, v44
	s_cbranch_execz .LBB273_161
; %bb.156:                              ;   in Loop: Header=BB273_10 Depth=1
	v_bfe_u32 v45, v9, 16, 7
	v_mov_b32_e32 v43, 0x7c01
	s_mov_b32 s34, exec_lo
	s_delay_alu instid0(VALU_DEP_2)
	v_cmpx_ne_u32_e32 0x7f, v45
	s_cbranch_execz .LBB273_160
; %bb.157:                              ;   in Loop: Header=BB273_10 Depth=1
	v_and_b32_e32 v43, 7, v1
	v_lshrrev_b32_e32 v44, 3, v45
	s_mov_b32 s35, exec_lo
	v_cmpx_gt_u32_e32 8, v45
; %bb.158:                              ;   in Loop: Header=BB273_10 Depth=1
	s_delay_alu instid0(VALU_DEP_3) | instskip(NEXT) | instid1(VALU_DEP_1)
	v_clz_i32_u32_e32 v43, v43
	v_min_u32_e32 v45, 32, v43
	s_delay_alu instid0(VALU_DEP_1) | instskip(NEXT) | instid1(VALU_DEP_1)
	v_subrev_nc_u32_e32 v43, 28, v45
	v_lshlrev_b64_e32 v[43:44], v43, v[1:2]
	v_sub_nc_u32_e32 v44, 29, v45
	s_delay_alu instid0(VALU_DEP_2)
	v_and_b32_e32 v43, 7, v43
; %bb.159:                              ;   in Loop: Header=BB273_10 Depth=1
	s_wait_alu 0xfffe
	s_or_b32 exec_lo, exec_lo, s35
	v_lshlrev_b32_e32 v1, 8, v1
	v_lshl_add_u32 v44, v44, 10, 0x2000
	v_lshlrev_b32_e32 v43, 7, v43
	s_delay_alu instid0(VALU_DEP_3) | instskip(NEXT) | instid1(VALU_DEP_3)
	v_and_b32_e32 v1, 0x8000, v1
	v_and_b32_e32 v44, 0xfc00, v44
	s_delay_alu instid0(VALU_DEP_1)
	v_or3_b32 v43, v1, v44, v43
.LBB273_160:                            ;   in Loop: Header=BB273_10 Depth=1
	s_wait_alu 0xfffe
	s_or_b32 exec_lo, exec_lo, s34
.LBB273_161:                            ;   in Loop: Header=BB273_10 Depth=1
	s_delay_alu instid0(SALU_CYCLE_1)
	s_or_b32 exec_lo, exec_lo, s33
.LBB273_162:                            ;   in Loop: Header=BB273_10 Depth=1
	s_wait_alu 0xfffe
	s_or_b32 exec_lo, exec_lo, s5
	s_delay_alu instid0(SALU_CYCLE_1)
	s_mov_b32 s5, exec_lo
	v_cmpx_lt_u32_e32 0xffffff, v9
	s_cbranch_execz .LBB273_170
; %bb.163:                              ;   in Loop: Header=BB273_10 Depth=1
	v_lshrrev_b32_e32 v1, 24, v9
	v_bfrev_b32_e32 v42, 1
	s_mov_b32 s33, exec_lo
	s_delay_alu instid0(VALU_DEP_2)
	v_cmpx_ne_u32_e32 0x80, v1
	s_cbranch_execz .LBB273_169
; %bb.164:                              ;   in Loop: Header=BB273_10 Depth=1
	v_and_b32_e32 v44, 0x7f, v1
	v_mov_b32_e32 v42, 0x7c010000
	s_mov_b32 s34, exec_lo
	s_delay_alu instid0(VALU_DEP_2)
	v_cmpx_ne_u32_e32 0x7f, v44
	s_cbranch_execz .LBB273_168
; %bb.165:                              ;   in Loop: Header=BB273_10 Depth=1
	v_and_b32_e32 v9, 7, v1
	v_lshrrev_b32_e32 v42, 3, v44
	s_mov_b32 s35, exec_lo
	v_cmpx_gt_u32_e32 8, v44
; %bb.166:                              ;   in Loop: Header=BB273_10 Depth=1
	s_delay_alu instid0(VALU_DEP_3) | instskip(NEXT) | instid1(VALU_DEP_1)
	v_clz_i32_u32_e32 v9, v9
	v_min_u32_e32 v9, 32, v9
	s_delay_alu instid0(VALU_DEP_1) | instskip(NEXT) | instid1(VALU_DEP_1)
	v_subrev_nc_u32_e32 v42, 28, v9
	v_lshlrev_b64_e32 v[44:45], v42, v[1:2]
	v_sub_nc_u32_e32 v42, 29, v9
	s_delay_alu instid0(VALU_DEP_2)
	v_and_b32_e32 v9, 7, v44
; %bb.167:                              ;   in Loop: Header=BB273_10 Depth=1
	s_wait_alu 0xfffe
	s_or_b32 exec_lo, exec_lo, s35
	v_lshlrev_b32_e32 v1, 8, v1
	v_lshl_add_u32 v42, v42, 10, 0x2000
	v_lshlrev_b32_e32 v9, 23, v9
	s_delay_alu instid0(VALU_DEP_2) | instskip(NEXT) | instid1(VALU_DEP_1)
	v_and_or_b32 v1, 0x8000, v1, v42
	v_lshl_or_b32 v42, v1, 16, v9
.LBB273_168:                            ;   in Loop: Header=BB273_10 Depth=1
	s_wait_alu 0xfffe
	s_or_b32 exec_lo, exec_lo, s34
.LBB273_169:                            ;   in Loop: Header=BB273_10 Depth=1
	s_delay_alu instid0(SALU_CYCLE_1)
	s_or_b32 exec_lo, exec_lo, s33
.LBB273_170:                            ;   in Loop: Header=BB273_10 Depth=1
	s_wait_alu 0xfffe
	s_or_b32 exec_lo, exec_lo, s5
	global_load_b32 v9, v[7:8], off offset:520
	v_mov_b32_e32 v45, 0
	s_mov_b32 s5, exec_lo
	s_wait_loadcnt 0x0
	v_dual_mov_b32 v44, 0 :: v_dual_and_b32 v1, 0xff, v9
	s_delay_alu instid0(VALU_DEP_1)
	v_cmpx_ne_u16_e32 0, v1
	s_cbranch_execz .LBB273_178
; %bb.171:                              ;   in Loop: Header=BB273_10 Depth=1
	v_mov_b32_e32 v45, 0x8000
	s_mov_b32 s33, exec_lo
	v_cmpx_ne_u16_e32 0x80, v1
	s_cbranch_execz .LBB273_177
; %bb.172:                              ;   in Loop: Header=BB273_10 Depth=1
	v_and_b32_e32 v46, 0x7f, v9
	v_mov_b32_e32 v45, 0x7c01
	s_mov_b32 s34, exec_lo
	s_delay_alu instid0(VALU_DEP_2)
	v_cmpx_ne_u32_e32 0x7f, v46
	s_cbranch_execz .LBB273_176
; %bb.173:                              ;   in Loop: Header=BB273_10 Depth=1
	v_and_b32_e32 v1, 7, v9
	v_lshrrev_b32_e32 v45, 3, v46
	s_mov_b32 s35, exec_lo
	v_cmpx_gt_u32_e32 8, v46
; %bb.174:                              ;   in Loop: Header=BB273_10 Depth=1
	s_delay_alu instid0(VALU_DEP_3) | instskip(NEXT) | instid1(VALU_DEP_1)
	v_clz_i32_u32_e32 v1, v1
	v_min_u32_e32 v1, 32, v1
	s_delay_alu instid0(VALU_DEP_1) | instskip(NEXT) | instid1(VALU_DEP_1)
	v_subrev_nc_u32_e32 v45, 28, v1
	v_lshlrev_b64_e32 v[46:47], v45, v[9:10]
	v_sub_nc_u32_e32 v45, 29, v1
	s_delay_alu instid0(VALU_DEP_2)
	v_and_b32_e32 v1, 7, v46
; %bb.175:                              ;   in Loop: Header=BB273_10 Depth=1
	s_wait_alu 0xfffe
	s_or_b32 exec_lo, exec_lo, s35
	v_lshlrev_b32_e32 v46, 8, v9
	v_lshl_add_u32 v45, v45, 10, 0x2000
	v_lshlrev_b32_e32 v1, 7, v1
	s_delay_alu instid0(VALU_DEP_3) | instskip(NEXT) | instid1(VALU_DEP_3)
	v_and_b32_e32 v46, 0x8000, v46
	v_and_b32_e32 v45, 0xfc00, v45
	s_delay_alu instid0(VALU_DEP_1)
	v_or3_b32 v45, v46, v45, v1
.LBB273_176:                            ;   in Loop: Header=BB273_10 Depth=1
	s_wait_alu 0xfffe
	s_or_b32 exec_lo, exec_lo, s34
.LBB273_177:                            ;   in Loop: Header=BB273_10 Depth=1
	s_delay_alu instid0(SALU_CYCLE_1)
	s_or_b32 exec_lo, exec_lo, s33
.LBB273_178:                            ;   in Loop: Header=BB273_10 Depth=1
	s_wait_alu 0xfffe
	s_or_b32 exec_lo, exec_lo, s5
	v_lshrrev_b16 v1, 8, v9
	s_mov_b32 s5, exec_lo
	s_delay_alu instid0(VALU_DEP_1)
	v_cmpx_ne_u16_e32 0, v1
	s_cbranch_execz .LBB273_186
; %bb.179:                              ;   in Loop: Header=BB273_10 Depth=1
	v_bfrev_b32_e32 v44, 1
	s_mov_b32 s33, exec_lo
	v_cmpx_ne_u16_e32 0x80, v1
	s_cbranch_execz .LBB273_185
; %bb.180:                              ;   in Loop: Header=BB273_10 Depth=1
	v_and_b32_e32 v46, 0xffff, v1
	v_mov_b32_e32 v44, 0x7c010000
	s_mov_b32 s34, exec_lo
	s_delay_alu instid0(VALU_DEP_2) | instskip(NEXT) | instid1(VALU_DEP_1)
	v_and_b32_e32 v48, 0x7f, v46
	v_cmpx_ne_u32_e32 0x7f, v48
	s_cbranch_execz .LBB273_184
; %bb.181:                              ;   in Loop: Header=BB273_10 Depth=1
	v_and_b32_e32 v44, 7, v46
	v_lshrrev_b32_e32 v47, 3, v48
	s_mov_b32 s35, exec_lo
	v_cmpx_gt_u32_e32 8, v48
; %bb.182:                              ;   in Loop: Header=BB273_10 Depth=1
	s_delay_alu instid0(VALU_DEP_3) | instskip(NEXT) | instid1(VALU_DEP_1)
	v_clz_i32_u32_e32 v44, v44
	v_min_u32_e32 v44, 32, v44
	s_delay_alu instid0(VALU_DEP_1) | instskip(NEXT) | instid1(VALU_DEP_1)
	v_subrev_nc_u32_e32 v47, 28, v44
	v_lshlrev_b64_e32 v[48:49], v47, v[1:2]
	v_sub_nc_u32_e32 v47, 29, v44
	s_delay_alu instid0(VALU_DEP_2)
	v_and_b32_e32 v44, 7, v48
; %bb.183:                              ;   in Loop: Header=BB273_10 Depth=1
	s_wait_alu 0xfffe
	s_or_b32 exec_lo, exec_lo, s35
	v_lshlrev_b32_e32 v1, 8, v46
	v_lshl_add_u32 v46, v47, 10, 0x2000
	v_lshlrev_b32_e32 v44, 23, v44
	s_delay_alu instid0(VALU_DEP_2) | instskip(NEXT) | instid1(VALU_DEP_1)
	v_and_or_b32 v1, 0x8000, v1, v46
	v_lshl_or_b32 v44, v1, 16, v44
.LBB273_184:                            ;   in Loop: Header=BB273_10 Depth=1
	s_wait_alu 0xfffe
	s_or_b32 exec_lo, exec_lo, s34
.LBB273_185:                            ;   in Loop: Header=BB273_10 Depth=1
	s_delay_alu instid0(SALU_CYCLE_1)
	s_or_b32 exec_lo, exec_lo, s33
.LBB273_186:                            ;   in Loop: Header=BB273_10 Depth=1
	s_wait_alu 0xfffe
	s_or_b32 exec_lo, exec_lo, s5
	v_lshrrev_b32_e32 v1, 16, v9
	v_mov_b32_e32 v46, 0
	s_mov_b32 s5, exec_lo
	s_delay_alu instid0(VALU_DEP_2) | instskip(NEXT) | instid1(VALU_DEP_1)
	v_dual_mov_b32 v47, 0 :: v_dual_and_b32 v48, 0xff, v1
	v_cmpx_ne_u16_e32 0, v48
	s_cbranch_execz .LBB273_194
; %bb.187:                              ;   in Loop: Header=BB273_10 Depth=1
	v_mov_b32_e32 v47, 0x8000
	s_mov_b32 s33, exec_lo
	v_cmpx_ne_u16_e32 0x80, v48
	s_cbranch_execz .LBB273_193
; %bb.188:                              ;   in Loop: Header=BB273_10 Depth=1
	v_bfe_u32 v49, v9, 16, 7
	v_mov_b32_e32 v47, 0x7c01
	s_mov_b32 s34, exec_lo
	s_delay_alu instid0(VALU_DEP_2)
	v_cmpx_ne_u32_e32 0x7f, v49
	s_cbranch_execz .LBB273_192
; %bb.189:                              ;   in Loop: Header=BB273_10 Depth=1
	v_and_b32_e32 v47, 7, v1
	v_lshrrev_b32_e32 v48, 3, v49
	s_mov_b32 s35, exec_lo
	v_cmpx_gt_u32_e32 8, v49
; %bb.190:                              ;   in Loop: Header=BB273_10 Depth=1
	s_delay_alu instid0(VALU_DEP_3) | instskip(NEXT) | instid1(VALU_DEP_1)
	v_clz_i32_u32_e32 v47, v47
	v_min_u32_e32 v49, 32, v47
	s_delay_alu instid0(VALU_DEP_1) | instskip(NEXT) | instid1(VALU_DEP_1)
	v_subrev_nc_u32_e32 v47, 28, v49
	v_lshlrev_b64_e32 v[47:48], v47, v[1:2]
	v_sub_nc_u32_e32 v48, 29, v49
	s_delay_alu instid0(VALU_DEP_2)
	v_and_b32_e32 v47, 7, v47
; %bb.191:                              ;   in Loop: Header=BB273_10 Depth=1
	s_wait_alu 0xfffe
	s_or_b32 exec_lo, exec_lo, s35
	v_lshlrev_b32_e32 v1, 8, v1
	v_lshl_add_u32 v48, v48, 10, 0x2000
	v_lshlrev_b32_e32 v47, 7, v47
	s_delay_alu instid0(VALU_DEP_3) | instskip(NEXT) | instid1(VALU_DEP_3)
	v_and_b32_e32 v1, 0x8000, v1
	v_and_b32_e32 v48, 0xfc00, v48
	s_delay_alu instid0(VALU_DEP_1)
	v_or3_b32 v47, v1, v48, v47
.LBB273_192:                            ;   in Loop: Header=BB273_10 Depth=1
	s_wait_alu 0xfffe
	s_or_b32 exec_lo, exec_lo, s34
.LBB273_193:                            ;   in Loop: Header=BB273_10 Depth=1
	s_delay_alu instid0(SALU_CYCLE_1)
	s_or_b32 exec_lo, exec_lo, s33
.LBB273_194:                            ;   in Loop: Header=BB273_10 Depth=1
	s_wait_alu 0xfffe
	s_or_b32 exec_lo, exec_lo, s5
	s_delay_alu instid0(SALU_CYCLE_1)
	s_mov_b32 s5, exec_lo
	v_cmpx_lt_u32_e32 0xffffff, v9
	s_cbranch_execz .LBB273_202
; %bb.195:                              ;   in Loop: Header=BB273_10 Depth=1
	v_lshrrev_b32_e32 v1, 24, v9
	v_bfrev_b32_e32 v46, 1
	s_mov_b32 s33, exec_lo
	s_delay_alu instid0(VALU_DEP_2)
	v_cmpx_ne_u32_e32 0x80, v1
	s_cbranch_execz .LBB273_201
; %bb.196:                              ;   in Loop: Header=BB273_10 Depth=1
	v_and_b32_e32 v48, 0x7f, v1
	v_mov_b32_e32 v46, 0x7c010000
	s_mov_b32 s34, exec_lo
	s_delay_alu instid0(VALU_DEP_2)
	v_cmpx_ne_u32_e32 0x7f, v48
	s_cbranch_execz .LBB273_200
; %bb.197:                              ;   in Loop: Header=BB273_10 Depth=1
	v_and_b32_e32 v9, 7, v1
	v_lshrrev_b32_e32 v46, 3, v48
	s_mov_b32 s35, exec_lo
	v_cmpx_gt_u32_e32 8, v48
; %bb.198:                              ;   in Loop: Header=BB273_10 Depth=1
	s_delay_alu instid0(VALU_DEP_3) | instskip(NEXT) | instid1(VALU_DEP_1)
	v_clz_i32_u32_e32 v9, v9
	v_min_u32_e32 v9, 32, v9
	s_delay_alu instid0(VALU_DEP_1) | instskip(NEXT) | instid1(VALU_DEP_1)
	v_subrev_nc_u32_e32 v46, 28, v9
	v_lshlrev_b64_e32 v[48:49], v46, v[1:2]
	v_sub_nc_u32_e32 v46, 29, v9
	s_delay_alu instid0(VALU_DEP_2)
	v_and_b32_e32 v9, 7, v48
; %bb.199:                              ;   in Loop: Header=BB273_10 Depth=1
	s_wait_alu 0xfffe
	s_or_b32 exec_lo, exec_lo, s35
	v_lshlrev_b32_e32 v1, 8, v1
	v_lshl_add_u32 v46, v46, 10, 0x2000
	v_lshlrev_b32_e32 v9, 23, v9
	s_delay_alu instid0(VALU_DEP_2) | instskip(NEXT) | instid1(VALU_DEP_1)
	v_and_or_b32 v1, 0x8000, v1, v46
	v_lshl_or_b32 v46, v1, 16, v9
.LBB273_200:                            ;   in Loop: Header=BB273_10 Depth=1
	s_wait_alu 0xfffe
	s_or_b32 exec_lo, exec_lo, s34
.LBB273_201:                            ;   in Loop: Header=BB273_10 Depth=1
	s_delay_alu instid0(SALU_CYCLE_1)
	s_or_b32 exec_lo, exec_lo, s33
.LBB273_202:                            ;   in Loop: Header=BB273_10 Depth=1
	s_wait_alu 0xfffe
	s_or_b32 exec_lo, exec_lo, s5
	global_load_b32 v9, v[7:8], off offset:768
	v_mov_b32_e32 v49, 0
	s_mov_b32 s5, exec_lo
	s_wait_loadcnt 0x0
	v_dual_mov_b32 v48, 0 :: v_dual_and_b32 v1, 0xff, v9
	s_delay_alu instid0(VALU_DEP_1)
	v_cmpx_ne_u16_e32 0, v1
	s_cbranch_execz .LBB273_210
; %bb.203:                              ;   in Loop: Header=BB273_10 Depth=1
	v_mov_b32_e32 v49, 0x8000
	s_mov_b32 s33, exec_lo
	v_cmpx_ne_u16_e32 0x80, v1
	s_cbranch_execz .LBB273_209
; %bb.204:                              ;   in Loop: Header=BB273_10 Depth=1
	v_and_b32_e32 v50, 0x7f, v9
	v_mov_b32_e32 v49, 0x7c01
	s_mov_b32 s34, exec_lo
	s_delay_alu instid0(VALU_DEP_2)
	v_cmpx_ne_u32_e32 0x7f, v50
	s_cbranch_execz .LBB273_208
; %bb.205:                              ;   in Loop: Header=BB273_10 Depth=1
	v_and_b32_e32 v1, 7, v9
	v_lshrrev_b32_e32 v49, 3, v50
	s_mov_b32 s35, exec_lo
	v_cmpx_gt_u32_e32 8, v50
; %bb.206:                              ;   in Loop: Header=BB273_10 Depth=1
	s_delay_alu instid0(VALU_DEP_3) | instskip(NEXT) | instid1(VALU_DEP_1)
	v_clz_i32_u32_e32 v1, v1
	v_min_u32_e32 v1, 32, v1
	s_delay_alu instid0(VALU_DEP_1) | instskip(NEXT) | instid1(VALU_DEP_1)
	v_subrev_nc_u32_e32 v49, 28, v1
	v_lshlrev_b64_e32 v[50:51], v49, v[9:10]
	v_sub_nc_u32_e32 v49, 29, v1
	s_delay_alu instid0(VALU_DEP_2)
	v_and_b32_e32 v1, 7, v50
; %bb.207:                              ;   in Loop: Header=BB273_10 Depth=1
	s_wait_alu 0xfffe
	s_or_b32 exec_lo, exec_lo, s35
	v_lshlrev_b32_e32 v50, 8, v9
	v_lshl_add_u32 v49, v49, 10, 0x2000
	v_lshlrev_b32_e32 v1, 7, v1
	s_delay_alu instid0(VALU_DEP_3) | instskip(NEXT) | instid1(VALU_DEP_3)
	v_and_b32_e32 v50, 0x8000, v50
	v_and_b32_e32 v49, 0xfc00, v49
	s_delay_alu instid0(VALU_DEP_1)
	v_or3_b32 v49, v50, v49, v1
.LBB273_208:                            ;   in Loop: Header=BB273_10 Depth=1
	s_wait_alu 0xfffe
	s_or_b32 exec_lo, exec_lo, s34
.LBB273_209:                            ;   in Loop: Header=BB273_10 Depth=1
	s_delay_alu instid0(SALU_CYCLE_1)
	s_or_b32 exec_lo, exec_lo, s33
.LBB273_210:                            ;   in Loop: Header=BB273_10 Depth=1
	s_wait_alu 0xfffe
	s_or_b32 exec_lo, exec_lo, s5
	v_lshrrev_b16 v1, 8, v9
	s_mov_b32 s5, exec_lo
	s_delay_alu instid0(VALU_DEP_1)
	v_cmpx_ne_u16_e32 0, v1
	s_cbranch_execz .LBB273_218
; %bb.211:                              ;   in Loop: Header=BB273_10 Depth=1
	v_bfrev_b32_e32 v48, 1
	s_mov_b32 s33, exec_lo
	v_cmpx_ne_u16_e32 0x80, v1
	s_cbranch_execz .LBB273_217
; %bb.212:                              ;   in Loop: Header=BB273_10 Depth=1
	v_and_b32_e32 v50, 0xffff, v1
	v_mov_b32_e32 v48, 0x7c010000
	s_mov_b32 s34, exec_lo
	s_delay_alu instid0(VALU_DEP_2) | instskip(NEXT) | instid1(VALU_DEP_1)
	v_and_b32_e32 v52, 0x7f, v50
	v_cmpx_ne_u32_e32 0x7f, v52
	s_cbranch_execz .LBB273_216
; %bb.213:                              ;   in Loop: Header=BB273_10 Depth=1
	v_and_b32_e32 v48, 7, v50
	v_lshrrev_b32_e32 v51, 3, v52
	s_mov_b32 s35, exec_lo
	v_cmpx_gt_u32_e32 8, v52
; %bb.214:                              ;   in Loop: Header=BB273_10 Depth=1
	s_delay_alu instid0(VALU_DEP_3) | instskip(NEXT) | instid1(VALU_DEP_1)
	v_clz_i32_u32_e32 v48, v48
	v_min_u32_e32 v48, 32, v48
	s_delay_alu instid0(VALU_DEP_1) | instskip(NEXT) | instid1(VALU_DEP_1)
	v_subrev_nc_u32_e32 v51, 28, v48
	v_lshlrev_b64_e32 v[52:53], v51, v[1:2]
	v_sub_nc_u32_e32 v51, 29, v48
	s_delay_alu instid0(VALU_DEP_2)
	v_and_b32_e32 v48, 7, v52
; %bb.215:                              ;   in Loop: Header=BB273_10 Depth=1
	s_wait_alu 0xfffe
	s_or_b32 exec_lo, exec_lo, s35
	v_lshlrev_b32_e32 v1, 8, v50
	v_lshl_add_u32 v50, v51, 10, 0x2000
	v_lshlrev_b32_e32 v48, 23, v48
	s_delay_alu instid0(VALU_DEP_2) | instskip(NEXT) | instid1(VALU_DEP_1)
	v_and_or_b32 v1, 0x8000, v1, v50
	v_lshl_or_b32 v48, v1, 16, v48
.LBB273_216:                            ;   in Loop: Header=BB273_10 Depth=1
	s_wait_alu 0xfffe
	s_or_b32 exec_lo, exec_lo, s34
.LBB273_217:                            ;   in Loop: Header=BB273_10 Depth=1
	s_delay_alu instid0(SALU_CYCLE_1)
	s_or_b32 exec_lo, exec_lo, s33
.LBB273_218:                            ;   in Loop: Header=BB273_10 Depth=1
	s_wait_alu 0xfffe
	s_or_b32 exec_lo, exec_lo, s5
	v_lshrrev_b32_e32 v1, 16, v9
	v_mov_b32_e32 v50, 0
	s_mov_b32 s5, exec_lo
	s_delay_alu instid0(VALU_DEP_2) | instskip(NEXT) | instid1(VALU_DEP_1)
	v_dual_mov_b32 v51, 0 :: v_dual_and_b32 v52, 0xff, v1
	v_cmpx_ne_u16_e32 0, v52
	s_cbranch_execz .LBB273_226
; %bb.219:                              ;   in Loop: Header=BB273_10 Depth=1
	v_mov_b32_e32 v51, 0x8000
	s_mov_b32 s33, exec_lo
	v_cmpx_ne_u16_e32 0x80, v52
	s_cbranch_execz .LBB273_225
; %bb.220:                              ;   in Loop: Header=BB273_10 Depth=1
	v_bfe_u32 v53, v9, 16, 7
	v_mov_b32_e32 v51, 0x7c01
	s_mov_b32 s34, exec_lo
	s_delay_alu instid0(VALU_DEP_2)
	v_cmpx_ne_u32_e32 0x7f, v53
	s_cbranch_execz .LBB273_224
; %bb.221:                              ;   in Loop: Header=BB273_10 Depth=1
	v_and_b32_e32 v51, 7, v1
	v_lshrrev_b32_e32 v52, 3, v53
	s_mov_b32 s35, exec_lo
	v_cmpx_gt_u32_e32 8, v53
; %bb.222:                              ;   in Loop: Header=BB273_10 Depth=1
	s_delay_alu instid0(VALU_DEP_3) | instskip(NEXT) | instid1(VALU_DEP_1)
	v_clz_i32_u32_e32 v51, v51
	v_min_u32_e32 v53, 32, v51
	s_delay_alu instid0(VALU_DEP_1) | instskip(NEXT) | instid1(VALU_DEP_1)
	v_subrev_nc_u32_e32 v51, 28, v53
	v_lshlrev_b64_e32 v[51:52], v51, v[1:2]
	v_sub_nc_u32_e32 v52, 29, v53
	s_delay_alu instid0(VALU_DEP_2)
	v_and_b32_e32 v51, 7, v51
; %bb.223:                              ;   in Loop: Header=BB273_10 Depth=1
	s_wait_alu 0xfffe
	s_or_b32 exec_lo, exec_lo, s35
	v_lshlrev_b32_e32 v1, 8, v1
	v_lshl_add_u32 v52, v52, 10, 0x2000
	v_lshlrev_b32_e32 v51, 7, v51
	s_delay_alu instid0(VALU_DEP_3) | instskip(NEXT) | instid1(VALU_DEP_3)
	v_and_b32_e32 v1, 0x8000, v1
	v_and_b32_e32 v52, 0xfc00, v52
	s_delay_alu instid0(VALU_DEP_1)
	v_or3_b32 v51, v1, v52, v51
.LBB273_224:                            ;   in Loop: Header=BB273_10 Depth=1
	s_wait_alu 0xfffe
	s_or_b32 exec_lo, exec_lo, s34
.LBB273_225:                            ;   in Loop: Header=BB273_10 Depth=1
	s_delay_alu instid0(SALU_CYCLE_1)
	s_or_b32 exec_lo, exec_lo, s33
.LBB273_226:                            ;   in Loop: Header=BB273_10 Depth=1
	s_wait_alu 0xfffe
	s_or_b32 exec_lo, exec_lo, s5
	s_delay_alu instid0(SALU_CYCLE_1)
	s_mov_b32 s5, exec_lo
	v_cmpx_lt_u32_e32 0xffffff, v9
	s_cbranch_execz .LBB273_234
; %bb.227:                              ;   in Loop: Header=BB273_10 Depth=1
	v_lshrrev_b32_e32 v1, 24, v9
	v_bfrev_b32_e32 v50, 1
	s_mov_b32 s33, exec_lo
	s_delay_alu instid0(VALU_DEP_2)
	v_cmpx_ne_u32_e32 0x80, v1
	s_cbranch_execz .LBB273_233
; %bb.228:                              ;   in Loop: Header=BB273_10 Depth=1
	v_and_b32_e32 v52, 0x7f, v1
	v_mov_b32_e32 v50, 0x7c010000
	s_mov_b32 s34, exec_lo
	s_delay_alu instid0(VALU_DEP_2)
	v_cmpx_ne_u32_e32 0x7f, v52
	s_cbranch_execz .LBB273_232
; %bb.229:                              ;   in Loop: Header=BB273_10 Depth=1
	v_and_b32_e32 v9, 7, v1
	v_lshrrev_b32_e32 v50, 3, v52
	s_mov_b32 s35, exec_lo
	v_cmpx_gt_u32_e32 8, v52
; %bb.230:                              ;   in Loop: Header=BB273_10 Depth=1
	s_delay_alu instid0(VALU_DEP_3) | instskip(NEXT) | instid1(VALU_DEP_1)
	v_clz_i32_u32_e32 v9, v9
	v_min_u32_e32 v9, 32, v9
	s_delay_alu instid0(VALU_DEP_1) | instskip(NEXT) | instid1(VALU_DEP_1)
	v_subrev_nc_u32_e32 v50, 28, v9
	v_lshlrev_b64_e32 v[52:53], v50, v[1:2]
	v_sub_nc_u32_e32 v50, 29, v9
	s_delay_alu instid0(VALU_DEP_2)
	v_and_b32_e32 v9, 7, v52
; %bb.231:                              ;   in Loop: Header=BB273_10 Depth=1
	s_wait_alu 0xfffe
	s_or_b32 exec_lo, exec_lo, s35
	v_lshlrev_b32_e32 v1, 8, v1
	v_lshl_add_u32 v50, v50, 10, 0x2000
	v_lshlrev_b32_e32 v9, 23, v9
	s_delay_alu instid0(VALU_DEP_2) | instskip(NEXT) | instid1(VALU_DEP_1)
	v_and_or_b32 v1, 0x8000, v1, v50
	v_lshl_or_b32 v50, v1, 16, v9
.LBB273_232:                            ;   in Loop: Header=BB273_10 Depth=1
	s_wait_alu 0xfffe
	s_or_b32 exec_lo, exec_lo, s34
.LBB273_233:                            ;   in Loop: Header=BB273_10 Depth=1
	s_delay_alu instid0(SALU_CYCLE_1)
	s_or_b32 exec_lo, exec_lo, s33
.LBB273_234:                            ;   in Loop: Header=BB273_10 Depth=1
	s_wait_alu 0xfffe
	s_or_b32 exec_lo, exec_lo, s5
	global_load_b32 v7, v[7:8], off offset:776
	v_mov_b32_e32 v9, 0
	s_mov_b32 s5, exec_lo
	s_wait_loadcnt 0x0
	v_dual_mov_b32 v8, 0 :: v_dual_and_b32 v1, 0xff, v7
	s_delay_alu instid0(VALU_DEP_1)
	v_cmpx_ne_u16_e32 0, v1
	s_cbranch_execz .LBB273_242
; %bb.235:                              ;   in Loop: Header=BB273_10 Depth=1
	v_mov_b32_e32 v9, 0x8000
	s_mov_b32 s33, exec_lo
	v_cmpx_ne_u16_e32 0x80, v1
	s_cbranch_execz .LBB273_241
; %bb.236:                              ;   in Loop: Header=BB273_10 Depth=1
	v_and_b32_e32 v52, 0x7f, v7
	v_mov_b32_e32 v9, 0x7c01
	s_mov_b32 s34, exec_lo
	s_delay_alu instid0(VALU_DEP_2)
	v_cmpx_ne_u32_e32 0x7f, v52
	s_cbranch_execz .LBB273_240
; %bb.237:                              ;   in Loop: Header=BB273_10 Depth=1
	v_and_b32_e32 v1, 7, v7
	v_lshrrev_b32_e32 v9, 3, v52
	s_mov_b32 s35, exec_lo
	v_cmpx_gt_u32_e32 8, v52
; %bb.238:                              ;   in Loop: Header=BB273_10 Depth=1
	s_delay_alu instid0(VALU_DEP_3) | instskip(NEXT) | instid1(VALU_DEP_1)
	v_clz_i32_u32_e32 v1, v1
	v_min_u32_e32 v1, 32, v1
	s_delay_alu instid0(VALU_DEP_1) | instskip(NEXT) | instid1(VALU_DEP_1)
	v_subrev_nc_u32_e32 v9, 28, v1
	v_lshlrev_b64_e32 v[52:53], v9, v[7:8]
	v_sub_nc_u32_e32 v9, 29, v1
	s_delay_alu instid0(VALU_DEP_2)
	v_and_b32_e32 v1, 7, v52
; %bb.239:                              ;   in Loop: Header=BB273_10 Depth=1
	s_wait_alu 0xfffe
	s_or_b32 exec_lo, exec_lo, s35
	v_lshlrev_b32_e32 v52, 8, v7
	v_lshl_add_u32 v9, v9, 10, 0x2000
	v_lshlrev_b32_e32 v1, 7, v1
	s_delay_alu instid0(VALU_DEP_3) | instskip(NEXT) | instid1(VALU_DEP_3)
	v_and_b32_e32 v52, 0x8000, v52
	v_and_b32_e32 v9, 0xfc00, v9
	s_delay_alu instid0(VALU_DEP_1)
	v_or3_b32 v9, v52, v9, v1
.LBB273_240:                            ;   in Loop: Header=BB273_10 Depth=1
	s_wait_alu 0xfffe
	s_or_b32 exec_lo, exec_lo, s34
.LBB273_241:                            ;   in Loop: Header=BB273_10 Depth=1
	s_delay_alu instid0(SALU_CYCLE_1)
	s_or_b32 exec_lo, exec_lo, s33
.LBB273_242:                            ;   in Loop: Header=BB273_10 Depth=1
	s_wait_alu 0xfffe
	s_or_b32 exec_lo, exec_lo, s5
	v_lshrrev_b16 v1, 8, v7
	s_mov_b32 s5, exec_lo
	s_delay_alu instid0(VALU_DEP_1)
	v_cmpx_ne_u16_e32 0, v1
	s_cbranch_execz .LBB273_250
; %bb.243:                              ;   in Loop: Header=BB273_10 Depth=1
	v_bfrev_b32_e32 v8, 1
	s_mov_b32 s33, exec_lo
	v_cmpx_ne_u16_e32 0x80, v1
	s_cbranch_execz .LBB273_249
; %bb.244:                              ;   in Loop: Header=BB273_10 Depth=1
	v_and_b32_e32 v52, 0xffff, v1
	v_mov_b32_e32 v8, 0x7c010000
	s_mov_b32 s34, exec_lo
	s_delay_alu instid0(VALU_DEP_2) | instskip(NEXT) | instid1(VALU_DEP_1)
	v_and_b32_e32 v54, 0x7f, v52
	v_cmpx_ne_u32_e32 0x7f, v54
	s_cbranch_execz .LBB273_248
; %bb.245:                              ;   in Loop: Header=BB273_10 Depth=1
	v_and_b32_e32 v8, 7, v52
	v_lshrrev_b32_e32 v53, 3, v54
	s_mov_b32 s35, exec_lo
	v_cmpx_gt_u32_e32 8, v54
; %bb.246:                              ;   in Loop: Header=BB273_10 Depth=1
	s_delay_alu instid0(VALU_DEP_3) | instskip(NEXT) | instid1(VALU_DEP_1)
	v_clz_i32_u32_e32 v8, v8
	v_min_u32_e32 v8, 32, v8
	s_delay_alu instid0(VALU_DEP_1) | instskip(NEXT) | instid1(VALU_DEP_1)
	v_subrev_nc_u32_e32 v53, 28, v8
	v_lshlrev_b64_e32 v[54:55], v53, v[1:2]
	v_sub_nc_u32_e32 v53, 29, v8
	s_delay_alu instid0(VALU_DEP_2)
	v_and_b32_e32 v8, 7, v54
; %bb.247:                              ;   in Loop: Header=BB273_10 Depth=1
	s_wait_alu 0xfffe
	s_or_b32 exec_lo, exec_lo, s35
	v_lshlrev_b32_e32 v1, 8, v52
	v_lshl_add_u32 v52, v53, 10, 0x2000
	v_lshlrev_b32_e32 v8, 23, v8
	s_delay_alu instid0(VALU_DEP_2) | instskip(NEXT) | instid1(VALU_DEP_1)
	v_and_or_b32 v1, 0x8000, v1, v52
	v_lshl_or_b32 v8, v1, 16, v8
.LBB273_248:                            ;   in Loop: Header=BB273_10 Depth=1
	s_wait_alu 0xfffe
	s_or_b32 exec_lo, exec_lo, s34
.LBB273_249:                            ;   in Loop: Header=BB273_10 Depth=1
	s_delay_alu instid0(SALU_CYCLE_1)
	s_or_b32 exec_lo, exec_lo, s33
.LBB273_250:                            ;   in Loop: Header=BB273_10 Depth=1
	s_wait_alu 0xfffe
	s_or_b32 exec_lo, exec_lo, s5
	v_lshrrev_b32_e32 v1, 16, v7
	v_mov_b32_e32 v52, 0
	s_mov_b32 s5, exec_lo
	s_delay_alu instid0(VALU_DEP_2) | instskip(NEXT) | instid1(VALU_DEP_1)
	v_dual_mov_b32 v53, 0 :: v_dual_and_b32 v54, 0xff, v1
	v_cmpx_ne_u16_e32 0, v54
	s_cbranch_execz .LBB273_258
; %bb.251:                              ;   in Loop: Header=BB273_10 Depth=1
	v_mov_b32_e32 v53, 0x8000
	s_mov_b32 s33, exec_lo
	v_cmpx_ne_u16_e32 0x80, v54
	s_cbranch_execz .LBB273_257
; %bb.252:                              ;   in Loop: Header=BB273_10 Depth=1
	v_bfe_u32 v55, v7, 16, 7
	v_mov_b32_e32 v53, 0x7c01
	s_mov_b32 s34, exec_lo
	s_delay_alu instid0(VALU_DEP_2)
	v_cmpx_ne_u32_e32 0x7f, v55
	s_cbranch_execz .LBB273_256
; %bb.253:                              ;   in Loop: Header=BB273_10 Depth=1
	v_and_b32_e32 v53, 7, v1
	v_lshrrev_b32_e32 v54, 3, v55
	s_mov_b32 s35, exec_lo
	v_cmpx_gt_u32_e32 8, v55
; %bb.254:                              ;   in Loop: Header=BB273_10 Depth=1
	s_delay_alu instid0(VALU_DEP_3) | instskip(NEXT) | instid1(VALU_DEP_1)
	v_clz_i32_u32_e32 v53, v53
	v_min_u32_e32 v55, 32, v53
	s_delay_alu instid0(VALU_DEP_1) | instskip(NEXT) | instid1(VALU_DEP_1)
	v_subrev_nc_u32_e32 v53, 28, v55
	v_lshlrev_b64_e32 v[53:54], v53, v[1:2]
	v_sub_nc_u32_e32 v54, 29, v55
	s_delay_alu instid0(VALU_DEP_2)
	v_and_b32_e32 v53, 7, v53
; %bb.255:                              ;   in Loop: Header=BB273_10 Depth=1
	s_wait_alu 0xfffe
	s_or_b32 exec_lo, exec_lo, s35
	v_lshlrev_b32_e32 v1, 8, v1
	v_lshl_add_u32 v54, v54, 10, 0x2000
	v_lshlrev_b32_e32 v53, 7, v53
	s_delay_alu instid0(VALU_DEP_3) | instskip(NEXT) | instid1(VALU_DEP_3)
	v_and_b32_e32 v1, 0x8000, v1
	v_and_b32_e32 v54, 0xfc00, v54
	s_delay_alu instid0(VALU_DEP_1)
	v_or3_b32 v53, v1, v54, v53
.LBB273_256:                            ;   in Loop: Header=BB273_10 Depth=1
	s_wait_alu 0xfffe
	s_or_b32 exec_lo, exec_lo, s34
.LBB273_257:                            ;   in Loop: Header=BB273_10 Depth=1
	s_delay_alu instid0(SALU_CYCLE_1)
	s_or_b32 exec_lo, exec_lo, s33
.LBB273_258:                            ;   in Loop: Header=BB273_10 Depth=1
	s_wait_alu 0xfffe
	s_or_b32 exec_lo, exec_lo, s5
	s_delay_alu instid0(SALU_CYCLE_1)
	s_mov_b32 s5, exec_lo
	v_cmpx_lt_u32_e32 0xffffff, v7
	s_cbranch_execz .LBB273_266
; %bb.259:                              ;   in Loop: Header=BB273_10 Depth=1
	v_lshrrev_b32_e32 v1, 24, v7
	v_bfrev_b32_e32 v52, 1
	s_mov_b32 s33, exec_lo
	s_delay_alu instid0(VALU_DEP_2)
	v_cmpx_ne_u32_e32 0x80, v1
	s_cbranch_execz .LBB273_265
; %bb.260:                              ;   in Loop: Header=BB273_10 Depth=1
	v_and_b32_e32 v54, 0x7f, v1
	v_mov_b32_e32 v52, 0x7c010000
	s_mov_b32 s34, exec_lo
	s_delay_alu instid0(VALU_DEP_2)
	v_cmpx_ne_u32_e32 0x7f, v54
	s_cbranch_execz .LBB273_264
; %bb.261:                              ;   in Loop: Header=BB273_10 Depth=1
	v_and_b32_e32 v7, 7, v1
	v_lshrrev_b32_e32 v52, 3, v54
	s_mov_b32 s35, exec_lo
	v_cmpx_gt_u32_e32 8, v54
; %bb.262:                              ;   in Loop: Header=BB273_10 Depth=1
	s_delay_alu instid0(VALU_DEP_3) | instskip(NEXT) | instid1(VALU_DEP_1)
	v_clz_i32_u32_e32 v7, v7
	v_min_u32_e32 v7, 32, v7
	s_delay_alu instid0(VALU_DEP_1) | instskip(NEXT) | instid1(VALU_DEP_1)
	v_subrev_nc_u32_e32 v52, 28, v7
	v_lshlrev_b64_e32 v[54:55], v52, v[1:2]
	v_sub_nc_u32_e32 v52, 29, v7
	s_delay_alu instid0(VALU_DEP_2)
	v_and_b32_e32 v7, 7, v54
; %bb.263:                              ;   in Loop: Header=BB273_10 Depth=1
	s_wait_alu 0xfffe
	s_or_b32 exec_lo, exec_lo, s35
	v_lshlrev_b32_e32 v1, 8, v1
	v_lshl_add_u32 v52, v52, 10, 0x2000
	v_lshlrev_b32_e32 v7, 23, v7
	s_delay_alu instid0(VALU_DEP_2) | instskip(NEXT) | instid1(VALU_DEP_1)
	v_and_or_b32 v1, 0x8000, v1, v52
	v_lshl_or_b32 v52, v1, 16, v7
.LBB273_264:                            ;   in Loop: Header=BB273_10 Depth=1
	s_wait_alu 0xfffe
	s_or_b32 exec_lo, exec_lo, s34
.LBB273_265:                            ;   in Loop: Header=BB273_10 Depth=1
	s_delay_alu instid0(SALU_CYCLE_1)
	s_or_b32 exec_lo, exec_lo, s33
.LBB273_266:                            ;   in Loop: Header=BB273_10 Depth=1
	s_wait_alu 0xfffe
	s_or_b32 exec_lo, exec_lo, s5
	ds_load_b64 v[54:55], v19
	v_or_b32_e32 v1, v24, v25
	v_or_b32_e32 v7, v26, v27
	v_fma_mixlo_f16 v24, v23, v24, 0 op_sel:[0,1,0] op_sel_hi:[0,1,0]
	v_fma_mixlo_f16 v25, v23, v26, 0 op_sel:[0,1,0] op_sel_hi:[0,1,0]
	v_or_b32_e32 v29, v28, v29
	v_fma_mixlo_f16 v1, v23, v1, 0 op_sel_hi:[0,1,0]
	v_fma_mixlo_f16 v7, v23, v7, 0 op_sel_hi:[0,1,0]
	v_and_b32_e32 v24, 0xffff, v24
	v_and_b32_e32 v25, 0xffff, v25
	v_fma_mixlo_f16 v28, v23, v28, 0 op_sel:[0,1,0] op_sel_hi:[0,1,0]
	v_and_b32_e32 v26, 0xffff, v1
	v_and_b32_e32 v56, 0xffff, v7
	v_or_b32_e32 v31, v30, v31
	v_fma_mixlo_f16 v30, v23, v30, 0 op_sel:[0,1,0] op_sel_hi:[0,1,0]
	v_fma_mixlo_f16 v29, v23, v29, 0 op_sel_hi:[0,1,0]
	v_and_b32_e32 v58, 0xffff, v28
	v_or_b32_e32 v33, v32, v33
	v_fma_mixlo_f16 v31, v23, v31, 0 op_sel_hi:[0,1,0]
	v_or_b32_e32 v35, v34, v35
	s_wait_dscnt 0x0
	v_and_b32_e32 v1, 0xffff, v54
	v_lshrrev_b32_e32 v27, 16, v54
	v_lshrrev_b32_e32 v57, 16, v55
	v_and_b32_e32 v54, 0xffff, v55
	;;#ASMSTART
	v_cvt_f32_f16 v1, v1;
	;;#ASMEND
	;;#ASMSTART
	v_cvt_f32_f16 v7, v27;
	;;#ASMEND
	;; [unrolled: 3-line block ×8, first 2 shown]
	ds_load_b64 v[24:25], v19 offset:8
	v_and_b32_e32 v61, 0xffff, v30
	v_and_b32_e32 v30, 0xffff, v29
	;; [unrolled: 1-line block ×3, first 2 shown]
	v_fma_mixlo_f16 v32, v23, v32, 0 op_sel:[0,1,0] op_sel_hi:[0,1,0]
	v_fma_mixlo_f16 v34, v23, v34, 0 op_sel:[0,1,0] op_sel_hi:[0,1,0]
	v_fma_mixlo_f16 v33, v23, v33, 0 op_sel_hi:[0,1,0]
	v_fma_mixlo_f16 v35, v23, v35, 0 op_sel_hi:[0,1,0]
	v_or_b32_e32 v37, v36, v37
	v_and_b32_e32 v62, 0xffff, v32
	v_or_b32_e32 v39, v38, v39
	v_fma_mixlo_f16 v36, v23, v36, 0 op_sel:[0,1,0] op_sel_hi:[0,1,0]
	v_and_b32_e32 v64, 0xffff, v35
	v_fma_mixlo_f16 v38, v23, v38, 0 op_sel:[0,1,0] op_sel_hi:[0,1,0]
	v_fma_mixlo_f16 v37, v23, v37, 0 op_sel_hi:[0,1,0]
	v_fma_mixlo_f16 v39, v23, v39, 0 op_sel_hi:[0,1,0]
	v_and_b32_e32 v66, 0xffff, v36
	v_or_b32_e32 v41, v40, v41
	v_or_b32_e32 v43, v42, v43
	v_fma_mixlo_f16 v40, v23, v40, 0 op_sel:[0,1,0] op_sel_hi:[0,1,0]
	s_wait_dscnt 0x0
	v_and_b32_e32 v28, 0xffff, v24
	;;#ASMSTART
	v_cvt_f32_f16 v28, v28;
	;;#ASMEND
	v_lshrrev_b32_e32 v24, 16, v24
	;;#ASMSTART
	v_cvt_f32_f16 v29, v24;
	;;#ASMEND
	;;#ASMSTART
	v_cvt_f32_f16 v30, v30;
	;;#ASMEND
	v_mul_f32_e32 v28, v28, v30
	v_lshrrev_b32_e32 v59, 16, v25
	v_and_b32_e32 v25, 0xffff, v25
	;;#ASMSTART
	v_cvt_f32_f16 v31, v58;
	;;#ASMEND
	v_and_b32_e32 v68, 0xffff, v39
	v_fmac_f32_e32 v28, v1, v26
	;;#ASMSTART
	v_cvt_f32_f16 v58, v25;
	;;#ASMEND
	;;#ASMSTART
	v_cvt_f32_f16 v59, v59;
	;;#ASMEND
	;; [unrolled: 3-line block ×3, first 2 shown]
	v_mul_f32_e32 v30, v58, v60
	v_fma_mixlo_f16 v42, v23, v42, 0 op_sel:[0,1,0] op_sel_hi:[0,1,0]
	v_fma_mixlo_f16 v41, v23, v41, 0 op_sel_hi:[0,1,0]
	v_fma_mixlo_f16 v43, v23, v43, 0 op_sel_hi:[0,1,0]
	v_and_b32_e32 v70, 0xffff, v40
	v_fmac_f32_e32 v30, v54, v56
	;;#ASMSTART
	v_cvt_f32_f16 v61, v61;
	;;#ASMEND
	ds_load_b64 v[24:25], v19 offset:16
	v_and_b32_e32 v65, 0xffff, v34
	v_and_b32_e32 v34, 0xffff, v33
	;; [unrolled: 1-line block ×3, first 2 shown]
	v_or_b32_e32 v45, v44, v45
	v_or_b32_e32 v47, v46, v47
	v_fma_mixlo_f16 v44, v23, v44, 0 op_sel:[0,1,0] op_sel_hi:[0,1,0]
	v_fma_mixlo_f16 v46, v23, v46, 0 op_sel:[0,1,0] op_sel_hi:[0,1,0]
	v_mul_f32_e32 v29, v29, v31
	v_fma_mixlo_f16 v45, v23, v45, 0 op_sel_hi:[0,1,0]
	v_fma_mixlo_f16 v47, v23, v47, 0 op_sel_hi:[0,1,0]
	v_and_b32_e32 v74, 0xffff, v44
	v_or_b32_e32 v49, v48, v49
	v_or_b32_e32 v51, v50, v51
	v_fmac_f32_e32 v29, v7, v27
	v_and_b32_e32 v76, 0xffff, v47
	v_fma_mixlo_f16 v48, v23, v48, 0 op_sel:[0,1,0] op_sel_hi:[0,1,0]
	v_or_b32_e32 v9, v8, v9
	v_fma_mixlo_f16 v78, v23, v8, 0 op_sel:[0,1,0] op_sel_hi:[0,1,0]
	v_fma_mixlo_f16 v8, v23, v49, 0 op_sel_hi:[0,1,0]
	s_wait_dscnt 0x0
	v_and_b32_e32 v32, 0xffff, v24
	v_lshrrev_b32_e32 v24, 16, v24
	v_lshrrev_b32_e32 v63, 16, v25
	;;#ASMSTART
	v_cvt_f32_f16 v32, v32;
	;;#ASMEND
	;;#ASMSTART
	v_cvt_f32_f16 v33, v24;
	;;#ASMEND
	;; [unrolled: 3-line block ×3, first 2 shown]
	v_dual_fmac_f32 v28, v32, v34 :: v_dual_and_b32 v25, 0xffff, v25
	;;#ASMSTART
	v_cvt_f32_f16 v35, v62;
	;;#ASMEND
	;;#ASMSTART
	v_cvt_f32_f16 v62, v25;
	;;#ASMEND
	;; [unrolled: 3-line block ×4, first 2 shown]
	v_fmac_f32_e32 v30, v62, v64
	;;#ASMSTART
	v_cvt_f32_f16 v65, v65;
	;;#ASMEND
	ds_load_b64 v[24:25], v19 offset:24
	v_and_b32_e32 v69, 0xffff, v38
	v_and_b32_e32 v38, 0xffff, v37
	v_fma_mixlo_f16 v50, v23, v50, 0 op_sel:[0,1,0] op_sel_hi:[0,1,0]
	v_fma_mixlo_f16 v49, v23, v51, 0 op_sel_hi:[0,1,0]
	v_fmac_f32_e32 v29, v33, v35
	v_dual_mul_f32 v31, v59, v61 :: v_dual_and_b32 v48, 0xffff, v48
	v_and_b32_e32 v8, 0xffff, v8
	v_and_b32_e32 v50, 0xffff, v50
	v_or_b32_e32 v53, v52, v53
	s_delay_alu instid0(VALU_DEP_4) | instskip(SKIP_2) | instid1(VALU_DEP_4)
	v_fmac_f32_e32 v31, v55, v57
	v_fma_mixlo_f16 v9, v23, v9, 0 op_sel_hi:[0,1,0]
	v_fma_mixlo_f16 v52, v23, v52, 0 op_sel:[0,1,0] op_sel_hi:[0,1,0]
	v_fma_mixlo_f16 v23, v23, v53, 0 op_sel_hi:[0,1,0]
	s_delay_alu instid0(VALU_DEP_4) | instskip(NEXT) | instid1(VALU_DEP_4)
	v_fmac_f32_e32 v31, v63, v65
	v_and_b32_e32 v9, 0xffff, v9
	s_wait_dscnt 0x0
	v_and_b32_e32 v36, 0xffff, v24
	v_lshrrev_b32_e32 v24, 16, v24
	v_lshrrev_b32_e32 v67, 16, v25
	;;#ASMSTART
	v_cvt_f32_f16 v36, v36;
	;;#ASMEND
	;;#ASMSTART
	v_cvt_f32_f16 v37, v24;
	;;#ASMEND
	;; [unrolled: 3-line block ×3, first 2 shown]
	v_dual_fmac_f32 v28, v36, v38 :: v_dual_and_b32 v25, 0xffff, v25
	;;#ASMSTART
	v_cvt_f32_f16 v39, v66;
	;;#ASMEND
	;;#ASMSTART
	v_cvt_f32_f16 v66, v25;
	;;#ASMEND
	;; [unrolled: 3-line block ×4, first 2 shown]
	v_fmac_f32_e32 v30, v66, v68
	;;#ASMSTART
	v_cvt_f32_f16 v69, v69;
	;;#ASMEND
	ds_load_b64 v[24:25], v19 offset:32
	v_and_b32_e32 v73, 0xffff, v42
	v_dual_fmac_f32 v29, v37, v39 :: v_dual_and_b32 v42, 0xffff, v41
	v_fmac_f32_e32 v31, v67, v69
	v_and_b32_e32 v23, 0xffff, v23
	s_wait_dscnt 0x0
	v_and_b32_e32 v40, 0xffff, v24
	v_lshrrev_b32_e32 v24, 16, v24
	v_lshrrev_b32_e32 v71, 16, v25
	;;#ASMSTART
	v_cvt_f32_f16 v40, v40;
	;;#ASMEND
	;;#ASMSTART
	v_cvt_f32_f16 v41, v24;
	;;#ASMEND
	;; [unrolled: 3-line block ×3, first 2 shown]
	v_dual_fmac_f32 v28, v40, v42 :: v_dual_and_b32 v25, 0xffff, v25
	;;#ASMSTART
	v_cvt_f32_f16 v43, v70;
	;;#ASMEND
	;;#ASMSTART
	v_cvt_f32_f16 v70, v25;
	;;#ASMEND
	;; [unrolled: 3-line block ×4, first 2 shown]
	v_fmac_f32_e32 v30, v70, v72
	;;#ASMSTART
	v_cvt_f32_f16 v73, v73;
	;;#ASMEND
	ds_load_b64 v[24:25], v19 offset:40
	v_and_b32_e32 v77, 0xffff, v46
	v_dual_fmac_f32 v29, v41, v43 :: v_dual_and_b32 v46, 0xffff, v45
	s_wait_dscnt 0x0
	v_dual_fmac_f32 v31, v71, v73 :: v_dual_and_b32 v44, 0xffff, v24
	v_lshrrev_b32_e32 v24, 16, v24
	v_lshrrev_b32_e32 v75, 16, v25
	;;#ASMSTART
	v_cvt_f32_f16 v44, v44;
	;;#ASMEND
	;;#ASMSTART
	v_cvt_f32_f16 v45, v24;
	;;#ASMEND
	;; [unrolled: 3-line block ×3, first 2 shown]
	v_dual_fmac_f32 v28, v44, v46 :: v_dual_and_b32 v25, 0xffff, v25
	;;#ASMSTART
	v_cvt_f32_f16 v47, v74;
	;;#ASMEND
	;;#ASMSTART
	v_cvt_f32_f16 v74, v25;
	;;#ASMEND
	;; [unrolled: 3-line block ×4, first 2 shown]
	v_fmac_f32_e32 v30, v74, v76
	;;#ASMSTART
	v_cvt_f32_f16 v77, v77;
	;;#ASMEND
	ds_load_b64 v[24:25], v19 offset:48
	v_fmac_f32_e32 v29, v45, v47
	v_fmac_f32_e32 v31, v75, v77
	s_wait_dscnt 0x0
	v_and_b32_e32 v1, 0xffff, v24
	v_lshrrev_b32_e32 v7, 16, v24
	v_lshrrev_b32_e32 v32, 16, v25
	v_and_b32_e32 v27, 0xffff, v25
	;;#ASMSTART
	v_cvt_f32_f16 v1, v1;
	;;#ASMEND
	;;#ASMSTART
	v_cvt_f32_f16 v24, v7;
	;;#ASMEND
	;; [unrolled: 3-line block ×5, first 2 shown]
	v_and_b32_e32 v49, 0xffff, v49
	;;#ASMSTART
	v_cvt_f32_f16 v32, v32;
	;;#ASMEND
	;;#ASMSTART
	v_cvt_f32_f16 v34, v49;
	;;#ASMEND
	;; [unrolled: 3-line block ×3, first 2 shown]
	ds_load_b64 v[7:8], v19 offset:56
	v_dual_fmac_f32 v28, v1, v25 :: v_dual_and_b32 v33, 0xffff, v78
	v_fmac_f32_e32 v29, v24, v26
	v_dual_fmac_f32 v30, v27, v34 :: v_dual_fmac_f32 v31, v32, v48
	s_wait_dscnt 0x0
	v_and_b32_e32 v1, 0xffff, v7
	v_lshrrev_b32_e32 v7, 16, v7
	;;#ASMSTART
	v_cvt_f32_f16 v1, v1;
	;;#ASMEND
	;;#ASMSTART
	v_cvt_f32_f16 v7, v7;
	;;#ASMEND
	;; [unrolled: 3-line block ×3, first 2 shown]
	v_dual_fmac_f32 v28, v1, v9 :: v_dual_and_b32 v25, 0xffff, v8
	v_lshrrev_b32_e32 v8, 16, v8
	;;#ASMSTART
	v_cvt_f32_f16 v24, v33;
	;;#ASMEND
	v_fmac_f32_e32 v29, v7, v24
	;;#ASMSTART
	v_cvt_f32_f16 v1, v25;
	;;#ASMEND
	;;#ASMSTART
	v_cvt_f32_f16 v7, v8;
	;;#ASMEND
	;; [unrolled: 3-line block ×3, first 2 shown]
	v_fmac_f32_e32 v30, v1, v8
	v_xor_b32_e32 v8, 1, v16
	v_add_f32_e32 v1, v28, v29
	v_and_b32_e32 v9, 0xffff, v52
	;;#ASMSTART
	v_cvt_f32_f16 v9, v9;
	;;#ASMEND
	s_delay_alu instid0(VALU_DEP_1) | instskip(SKIP_3) | instid1(VALU_DEP_2)
	v_fmac_f32_e32 v31, v7, v9
	v_cmp_gt_i32_e64 s4, 32, v8
	v_add_f32_e32 v1, v1, v30
	s_wait_alu 0xf1ff
	v_cndmask_b32_e64 v7, v16, v8, s4
	s_delay_alu instid0(VALU_DEP_2) | instskip(NEXT) | instid1(VALU_DEP_2)
	v_add_f32_e32 v1, v31, v1
	v_lshlrev_b32_e32 v7, 2, v7
	ds_bpermute_b32 v7, v7, v1
	s_and_saveexec_b32 s5, vcc_lo
	s_cbranch_execz .LBB273_9
; %bb.267:                              ;   in Loop: Header=BB273_10 Depth=1
	s_wait_dscnt 0x0
	v_dual_add_f32 v1, v1, v7 :: v_dual_add_nc_u32 v8, s31, v20
	v_cmp_gt_i32_e64 s4, s27, v20
	s_delay_alu instid0(VALU_DEP_2) | instskip(NEXT) | instid1(VALU_DEP_1)
	v_cvt_f32_i32_e32 v8, v8
	v_mul_f32_e32 v8, s6, v8
	s_delay_alu instid0(VALU_DEP_1) | instskip(SKIP_1) | instid1(VALU_DEP_2)
	v_cndmask_b32_e64 v7, 0, v8, s3
	v_max_num_f32_e32 v8, v17, v17
	v_fmac_f32_e32 v7, s7, v1
	s_delay_alu instid0(VALU_DEP_1) | instskip(SKIP_2) | instid1(VALU_DEP_2)
	v_max_num_f32_e32 v1, v8, v7
	s_wait_alu 0xf1ff
	v_cndmask_b32_e64 v7, 0, v7, s4
	v_cndmask_b32_e64 v17, v17, v1, s4
	ds_store_b32 v21, v7
	s_branch .LBB273_9
.LBB273_268:
	s_or_b32 exec_lo, exec_lo, s15
.LBB273_269:
	s_delay_alu instid0(SALU_CYCLE_1)
	s_or_b32 exec_lo, exec_lo, s24
	v_xor_b32_e32 v1, 16, v16
	v_xor_b32_e32 v3, 8, v16
	s_wait_dscnt 0x0
	v_xor_b32_e32 v7, 2, v16
	s_load_b128 s[4:7], s[0:1], 0x0
	s_wait_kmcnt 0x0
	s_clause 0x1
	s_load_b64 s[8:9], s[0:1], 0x10
	s_load_b64 s[24:25], s[0:1], 0x28
	v_cmp_lt_i32_e32 vcc_lo, v1, v18
	v_cndmask_b32_e32 v1, v16, v1, vcc_lo
	v_cmp_lt_i32_e32 vcc_lo, v3, v18
	s_wait_alu 0xfffd
	s_delay_alu instid0(VALU_DEP_2)
	v_dual_cndmask_b32 v3, v16, v3 :: v_dual_lshlrev_b32 v4, 2, v1
	v_max_num_f32_e32 v6, v17, v17
	ds_bpermute_b32 v1, v4, v17
	v_lshlrev_b32_e32 v5, 2, v3
	v_and_b32_e32 v17, 31, v0
	s_wait_dscnt 0x0
	v_max_num_f32_e32 v1, v1, v1
	s_delay_alu instid0(VALU_DEP_1)
	v_max_num_f32_e32 v1, v6, v1
	v_xor_b32_e32 v6, 4, v16
	ds_bpermute_b32 v3, v5, v1
	v_cmp_lt_i32_e32 vcc_lo, v6, v18
	s_wait_alu 0xfffd
	v_cndmask_b32_e32 v6, v16, v6, vcc_lo
	v_cmp_lt_i32_e32 vcc_lo, v7, v18
	s_wait_alu 0xfffd
	s_delay_alu instid0(VALU_DEP_2) | instskip(SKIP_3) | instid1(VALU_DEP_1)
	v_dual_cndmask_b32 v7, v16, v7 :: v_dual_lshlrev_b32 v6, 2, v6
	v_cmp_eq_u32_e32 vcc_lo, 0, v17
	s_wait_dscnt 0x0
	v_max_num_f32_e32 v3, v3, v3
	v_max_num_f32_e32 v1, v1, v3
	ds_bpermute_b32 v3, v6, v1
	s_wait_dscnt 0x0
	v_max_num_f32_e32 v3, v3, v3
	s_delay_alu instid0(VALU_DEP_1)
	v_max_num_f32_e32 v1, v1, v3
	v_lshlrev_b32_e32 v3, 2, v7
	v_lshlrev_b32_e32 v7, 2, v13
	ds_bpermute_b32 v8, v3, v1
	s_and_saveexec_b32 s0, vcc_lo
	s_cbranch_execz .LBB273_271
; %bb.270:
	s_wait_dscnt 0x0
	v_dual_max_num_f32 v8, v8, v8 :: v_dual_max_num_f32 v1, v1, v1
	s_delay_alu instid0(VALU_DEP_1)
	v_max_num_f32_e32 v1, v1, v8
	ds_store_b32 v7, v1 offset:128
.LBB273_271:
	s_or_b32 exec_lo, exec_lo, s0
	v_cmp_gt_u32_e64 s0, 4, v17
	s_wait_dscnt 0x0
	v_dual_mov_b32 v1, 0xff7fffff :: v_dual_lshlrev_b32 v8, 2, v17
	s_wait_loadcnt 0x0
	s_barrier_signal -1
	s_barrier_wait -1
	global_inv scope:SCOPE_SE
	s_and_saveexec_b32 s1, s0
; %bb.272:
	ds_load_b32 v1, v8 offset:128
; %bb.273:
	s_or_b32 exec_lo, exec_lo, s1
	s_wait_dscnt 0x0
	ds_bpermute_b32 v9, v3, v1
	v_xor_b32_e32 v19, 1, v16
	v_lshlrev_b32_e32 v2, 2, v2
	s_delay_alu instid0(VALU_DEP_2) | instskip(NEXT) | instid1(VALU_DEP_1)
	v_cmp_lt_i32_e64 s1, v19, v18
	v_cndmask_b32_e64 v18, v16, v19, s1
	v_max_num_f32_e32 v1, v1, v1
	s_sub_co_i32 s1, s17, s30
	s_wait_alu 0xfffe
	s_lshl_b32 s1, s1, 4
	v_lshlrev_b32_e32 v18, 2, v18
	s_wait_alu 0xfffe
	s_add_co_i32 s1, s1, s28
	s_wait_alu 0xfffe
	s_min_i32 s1, s1, s27
	s_wait_dscnt 0x0
	v_max_num_f32_e32 v9, v9, v9
	s_wait_alu 0xfffe
	s_sub_co_i32 s15, s1, s28
	s_delay_alu instid0(SALU_CYCLE_1) | instskip(NEXT) | instid1(VALU_DEP_2)
	v_cmp_gt_i32_e64 s1, s15, v0
	v_max_num_f32_e32 v1, v1, v9
	ds_bpermute_b32 v9, v18, v1
	s_wait_dscnt 0x0
	v_max_num_f32_e32 v9, v9, v9
	s_delay_alu instid0(VALU_DEP_1)
	v_max_num_f32_e32 v1, v1, v9
	v_mov_b32_e32 v9, 0
	ds_bpermute_b32 v1, v2, v1
	v_lshl_add_u32 v2, v0, 2, 0xa0
	s_and_saveexec_b32 s30, s1
	s_cbranch_execz .LBB273_277
; %bb.274:
	v_lshl_add_u32 v19, v0, 2, 0xa0
	v_dual_mov_b32 v9, 0 :: v_dual_mov_b32 v20, v0
	s_mov_b32 s31, 0
.LBB273_275:                            ; =>This Inner Loop Header: Depth=1
	ds_load_b32 v21, v19
	v_add_nc_u32_e32 v20, 0x80, v20
	s_delay_alu instid0(VALU_DEP_1) | instskip(SKIP_4) | instid1(VALU_DEP_1)
	v_cmp_le_i32_e64 s3, s15, v20
	s_wait_alu 0xfffe
	s_or_b32 s31, s3, s31
	s_wait_dscnt 0x0
	v_sub_f32_e32 v21, v21, v1
	v_mul_f32_e32 v21, 0x3fb8aa3b, v21
	s_delay_alu instid0(VALU_DEP_1)
	v_exp_f32_e32 v21, v21
	ds_store_b32 v19, v21
	v_add_f32_e32 v9, v9, v21
	v_add_nc_u32_e32 v19, 0x200, v19
	s_wait_alu 0xfffe
	s_and_not1_b32 exec_lo, exec_lo, s31
	s_cbranch_execnz .LBB273_275
; %bb.276:
	s_or_b32 exec_lo, exec_lo, s31
.LBB273_277:
	s_wait_alu 0xfffe
	s_or_b32 exec_lo, exec_lo, s30
	ds_bpermute_b32 v4, v4, v9
	s_wait_dscnt 0x0
	v_add_f32_e32 v4, v9, v4
	ds_bpermute_b32 v5, v5, v4
	s_wait_dscnt 0x0
	v_add_f32_e32 v4, v4, v5
	;; [unrolled: 3-line block ×5, first 2 shown]
	s_and_saveexec_b32 s3, vcc_lo
; %bb.278:
	ds_store_b32 v7, v4 offset:144
; %bb.279:
	s_wait_alu 0xfffe
	s_or_b32 exec_lo, exec_lo, s3
	s_wait_loadcnt_dscnt 0x0
	s_barrier_signal -1
	s_barrier_wait -1
	global_inv scope:SCOPE_SE
	s_and_saveexec_b32 s3, s0
; %bb.280:
	ds_load_b32 v4, v8 offset:144
; %bb.281:
	s_wait_alu 0xfffe
	s_or_b32 exec_lo, exec_lo, s3
	s_wait_dscnt 0x0
	ds_bpermute_b32 v3, v3, v4
	v_lshlrev_b32_e32 v5, 2, v16
	s_wait_dscnt 0x0
	v_add_f32_e32 v3, v4, v3
	ds_bpermute_b32 v4, v18, v3
	s_wait_dscnt 0x0
	v_dual_add_f32 v3, v3, v4 :: v_dual_and_b32 v4, 0xffffff80, v5
	ds_bpermute_b32 v3, v4, v3
	s_and_saveexec_b32 s0, s1
	s_cbranch_execz .LBB273_284
; %bb.282:
	s_wait_dscnt 0x0
	v_add_f32_e32 v4, 0x358637bd, v3
	s_mov_b32 s1, 0
	s_delay_alu instid0(VALU_DEP_1) | instskip(SKIP_1) | instid1(VALU_DEP_2)
	v_div_scale_f32 v5, null, v4, v4, 1.0
	v_div_scale_f32 v8, vcc_lo, 1.0, v4, 1.0
	v_rcp_f32_e32 v6, v5
	s_delay_alu instid0(TRANS32_DEP_1) | instskip(NEXT) | instid1(VALU_DEP_1)
	v_fma_f32 v7, -v5, v6, 1.0
	v_fmac_f32_e32 v6, v7, v6
	s_delay_alu instid0(VALU_DEP_1) | instskip(NEXT) | instid1(VALU_DEP_1)
	v_mul_f32_e32 v7, v8, v6
	v_fma_f32 v9, -v5, v7, v8
	s_delay_alu instid0(VALU_DEP_1) | instskip(NEXT) | instid1(VALU_DEP_1)
	v_fmac_f32_e32 v7, v9, v6
	v_fma_f32 v5, -v5, v7, v8
	s_wait_alu 0xfffd
	s_delay_alu instid0(VALU_DEP_1) | instskip(NEXT) | instid1(VALU_DEP_1)
	v_div_fmas_f32 v5, v5, v6, v7
	v_div_fixup_f32 v4, v5, v4, 1.0
	v_mov_b32_e32 v5, v0
.LBB273_283:                            ; =>This Inner Loop Header: Depth=1
	ds_load_b32 v6, v2
	s_wait_dscnt 0x0
	v_dual_mul_f32 v6, v4, v6 :: v_dual_add_nc_u32 v5, 0x80, v5
	s_delay_alu instid0(VALU_DEP_1)
	v_cmp_le_i32_e32 vcc_lo, s15, v5
	ds_store_b32 v2, v6
	v_add_nc_u32_e32 v2, 0x200, v2
	s_wait_alu 0xfffe
	s_or_b32 s1, vcc_lo, s1
	s_wait_alu 0xfffe
	s_and_not1_b32 exec_lo, exec_lo, s1
	s_cbranch_execnz .LBB273_283
.LBB273_284:
	s_wait_alu 0xfffe
	s_or_b32 exec_lo, exec_lo, s0
	s_mul_i32 s0, s12, s22
	s_wait_loadcnt_dscnt 0x0
	s_wait_alu 0xfffe
	s_mul_i32 s22, s0, s23
	s_mov_b32 s0, exec_lo
	s_barrier_signal -1
	s_barrier_wait -1
	global_inv scope:SCOPE_SE
	v_cmpx_eq_u32_e32 0, v0
	s_cbranch_execz .LBB273_286
; %bb.285:
	s_ashr_i32 s23, s22, 31
	s_wait_alu 0xfffe
	s_mul_i32 s30, s12, ttmp9
	s_lshl_b32 s1, s26, 2
	s_lshl_b64 s[34:35], s[22:23], 2
	s_wait_alu 0xfffe
	s_ashr_i32 s31, s30, 31
	v_mov_b32_e32 v2, s1
	s_add_nc_u64 s[6:7], s[6:7], s[34:35]
	s_wait_alu 0xfffe
	s_lshl_b64 s[30:31], s[30:31], 2
	s_add_nc_u64 s[4:5], s[4:5], s[34:35]
	s_wait_alu 0xfffe
	s_add_nc_u64 s[6:7], s[6:7], s[30:31]
	s_add_nc_u64 s[4:5], s[4:5], s[30:31]
	s_clause 0x1
	global_store_b32 v2, v1, s[6:7]
	global_store_b32 v2, v3, s[4:5]
.LBB273_286:
	s_wait_alu 0xfffe
	s_or_b32 exec_lo, exec_lo, s0
	v_dual_mov_b32 v20, 0 :: v_dual_mov_b32 v21, 0
	v_dual_mov_b32 v19, 0 :: v_dual_mov_b32 v16, 0
	s_and_saveexec_b32 s1, s2
	s_cbranch_execz .LBB273_554
; %bb.287:
	v_dual_mov_b32 v16, 0 :: v_dual_lshlrev_b32 v3, 5, v12
	v_dual_mov_b32 v19, 0 :: v_dual_and_b32 v4, 0xf8, v10
	s_ashr_i32 s15, s14, 31
	s_delay_alu instid0(VALU_DEP_2)
	v_lshl_or_b32 v6, v13, 6, v3
	s_wait_kmcnt 0x0
	s_wait_alu 0xfffe
	s_add_nc_u64 s[6:7], s[24:25], s[14:15]
	v_dual_mov_b32 v2, 0 :: v_dual_and_b32 v1, 8, v10
	s_wait_alu 0xfffe
	v_add_co_u32 v3, s0, s6, v4
	v_lshl_add_u32 v5, v13, 4, s28
	s_wait_alu 0xf1ff
	v_add_co_ci_u32_e64 v4, null, s7, 0, s0
	s_lshl_b64 s[6:7], s[18:19], 2
	v_dual_mov_b32 v20, 0 :: v_dual_add_nc_u32 v23, 0xa0, v6
	s_wait_alu 0xfffe
	s_add_nc_u64 s[6:7], s[20:21], s[6:7]
	v_add3_u32 v22, v5, v1, 7
	s_wait_alu 0xfffe
	v_add_co_u32 v5, s0, s6, v15
	s_wait_alu 0xf1ff
	v_add_co_ci_u32_e64 v6, null, s7, 0, s0
	v_mov_b32_e32 v21, 0
	s_mov_b32 s2, -1
	s_mov_b32 s4, s13
	s_mov_b32 s3, 0xffffff
	s_add_co_i32 s29, s29, -1
	s_mov_b32 s5, 0
	s_branch .LBB273_289
.LBB273_288:                            ;   in Loop: Header=BB273_289 Depth=1
	s_wait_alu 0xfffe
	s_or_b32 exec_lo, exec_lo, s0
	;;#ASMSTART
	v_pk_mul_f16 v1, v34, v40;

	;;#ASMEND
	;;#ASMSTART
	v_pk_mul_f16 v7, v32, v7;

	;;#ASMEND
	;; [unrolled: 4-line block ×4, first 2 shown]
	;;#ASMSTART
	v_pk_add_f16 v1, v1, v7;

	;;#ASMEND
	;;#ASMSTART
	v_pk_add_f16 v1, v1, v8;

	;;#ASMEND
	;; [unrolled: 4-line block ×3, first 2 shown]
	v_dual_add_f32 v7, v36, v37 :: v_dual_add_nc_u32 v14, 4, v14
	v_dual_add_f32 v8, v33, v35 :: v_dual_and_b32 v15, 0xffff, v1
	v_lshrrev_b32_e32 v24, 16, v1
	v_add_f32_e32 v1, v9, v10
	;;#ASMSTART
	v_cvt_f32_f16 v9, v15;
	;;#ASMEND
	;;#ASMSTART
	v_cvt_f32_f16 v10, v24;
	;;#ASMEND
	v_add_f32_e32 v9, v9, v10
	v_cmp_le_i32_e32 vcc_lo, s17, v14
	v_add_co_u32 v5, s0, v5, 16
	s_delay_alu instid0(VALU_DEP_3)
	v_dual_add_f32 v21, v21, v7 :: v_dual_add_f32 v16, v16, v9
	v_dual_add_f32 v20, v20, v8 :: v_dual_add_f32 v19, v19, v1
	v_add_nc_u32_e32 v22, 64, v22
	v_add_nc_u32_e32 v23, 0x100, v23
	s_wait_alu 0xf1ff
	v_add_co_ci_u32_e64 v6, null, 0, v6, s0
	s_or_b32 s5, vcc_lo, s5
	s_wait_alu 0xfffe
	s_and_not1_b32 exec_lo, exec_lo, s5
	s_cbranch_execz .LBB273_553
.LBB273_289:                            ; =>This Inner Loop Header: Depth=1
	global_load_b32 v1, v[5:6], off
	ds_load_2addr_b64 v[24:27], v23 offset1:1
	ds_load_2addr_b64 v[36:39], v23 offset0:2 offset1:3
	s_mov_b32 s0, exec_lo
	s_wait_dscnt 0x1
	;;#ASMSTART
	v_cvt_f16_f32 v30, v24;

	;;#ASMEND
	;;#ASMSTART
	v_cvt_f16_f32 v31, v25;

	;;#ASMEND
	;; [unrolled: 4-line block ×4, first 2 shown]
	s_wait_dscnt 0x0
	;;#ASMSTART
	v_cvt_f16_f32 v36, v36;

	;;#ASMEND
	;;#ASMSTART
	v_cvt_f16_f32 v33, v37;

	;;#ASMEND
	;; [unrolled: 4-line block ×4, first 2 shown]
	v_mov_b32_e32 v25, 0
	s_wait_loadcnt 0x0
	s_wait_alu 0xfffe
	v_mad_co_i64_i32 v[7:8], null, v1, s4, v[3:4]
	global_load_b64 v[9:10], v[7:8], off
	global_load_b32 v24, v2, s[10:11]
	s_wait_loadcnt 0x1
	v_and_b32_e32 v1, 0xff, v9
	s_delay_alu instid0(VALU_DEP_1)
	v_cmpx_ne_u16_e32 0, v1
	s_cbranch_execz .LBB273_297
; %bb.290:                              ;   in Loop: Header=BB273_289 Depth=1
	v_mov_b32_e32 v25, 0x8000
	s_mov_b32 s6, exec_lo
	v_cmpx_ne_u16_e32 0x80, v1
	s_cbranch_execz .LBB273_296
; %bb.291:                              ;   in Loop: Header=BB273_289 Depth=1
	v_and_b32_e32 v26, 0x7f, v9
	v_mov_b32_e32 v25, 0x7c01
	s_mov_b32 s7, exec_lo
	s_delay_alu instid0(VALU_DEP_2)
	v_cmpx_ne_u32_e32 0x7f, v26
	s_cbranch_execz .LBB273_295
; %bb.292:                              ;   in Loop: Header=BB273_289 Depth=1
	v_and_b32_e32 v1, 7, v9
	v_lshrrev_b32_e32 v15, 3, v26
	s_mov_b32 s13, exec_lo
	v_cmpx_gt_u32_e32 8, v26
; %bb.293:                              ;   in Loop: Header=BB273_289 Depth=1
	s_delay_alu instid0(VALU_DEP_3) | instskip(NEXT) | instid1(VALU_DEP_1)
	v_clz_i32_u32_e32 v1, v1
	v_min_u32_e32 v1, 32, v1
	s_delay_alu instid0(VALU_DEP_1) | instskip(NEXT) | instid1(VALU_DEP_1)
	v_subrev_nc_u32_e32 v15, 28, v1
	v_lshlrev_b64_e32 v[25:26], v15, v[9:10]
	v_sub_nc_u32_e32 v15, 29, v1
	s_delay_alu instid0(VALU_DEP_2)
	v_and_b32_e32 v1, 7, v25
; %bb.294:                              ;   in Loop: Header=BB273_289 Depth=1
	s_or_b32 exec_lo, exec_lo, s13
	v_lshlrev_b32_e32 v25, 8, v9
	s_delay_alu instid0(VALU_DEP_3) | instskip(NEXT) | instid1(VALU_DEP_3)
	v_lshl_add_u32 v15, v15, 10, 0x2000
	v_lshlrev_b32_e32 v1, 7, v1
	s_delay_alu instid0(VALU_DEP_3) | instskip(NEXT) | instid1(VALU_DEP_3)
	v_and_b32_e32 v25, 0x8000, v25
	v_and_b32_e32 v15, 0xfc00, v15
	s_delay_alu instid0(VALU_DEP_1)
	v_or3_b32 v25, v25, v15, v1
.LBB273_295:                            ;   in Loop: Header=BB273_289 Depth=1
	s_wait_alu 0xfffe
	s_or_b32 exec_lo, exec_lo, s7
.LBB273_296:                            ;   in Loop: Header=BB273_289 Depth=1
	s_wait_alu 0xfffe
	s_or_b32 exec_lo, exec_lo, s6
.LBB273_297:                            ;   in Loop: Header=BB273_289 Depth=1
	s_delay_alu instid0(SALU_CYCLE_1) | instskip(SKIP_3) | instid1(VALU_DEP_2)
	s_or_b32 exec_lo, exec_lo, s0
	v_lshrrev_b16 v1, 8, v9
	v_dual_mov_b32 v15, 0 :: v_dual_mov_b32 v26, 0
	s_mov_b32 s0, exec_lo
	v_cmpx_ne_u16_e32 0, v1
	s_cbranch_execz .LBB273_305
; %bb.298:                              ;   in Loop: Header=BB273_289 Depth=1
	v_bfrev_b32_e32 v26, 1
	s_mov_b32 s6, exec_lo
	v_cmpx_ne_u16_e32 0x80, v1
	s_cbranch_execz .LBB273_304
; %bb.299:                              ;   in Loop: Header=BB273_289 Depth=1
	v_and_b32_e32 v27, 0xffff, v1
	v_mov_b32_e32 v26, 0x7c010000
	s_mov_b32 s7, exec_lo
	s_delay_alu instid0(VALU_DEP_2) | instskip(NEXT) | instid1(VALU_DEP_1)
	v_and_b32_e32 v29, 0x7f, v27
	v_cmpx_ne_u32_e32 0x7f, v29
	s_cbranch_execz .LBB273_303
; %bb.300:                              ;   in Loop: Header=BB273_289 Depth=1
	v_and_b32_e32 v26, 7, v27
	v_lshrrev_b32_e32 v28, 3, v29
	s_mov_b32 s13, exec_lo
	v_cmpx_gt_u32_e32 8, v29
; %bb.301:                              ;   in Loop: Header=BB273_289 Depth=1
	s_delay_alu instid0(VALU_DEP_3) | instskip(NEXT) | instid1(VALU_DEP_1)
	v_clz_i32_u32_e32 v26, v26
	v_min_u32_e32 v26, 32, v26
	s_delay_alu instid0(VALU_DEP_1) | instskip(NEXT) | instid1(VALU_DEP_1)
	v_subrev_nc_u32_e32 v28, 28, v26
	v_lshlrev_b64_e32 v[38:39], v28, v[1:2]
	v_sub_nc_u32_e32 v28, 29, v26
	s_delay_alu instid0(VALU_DEP_2)
	v_and_b32_e32 v26, 7, v38
; %bb.302:                              ;   in Loop: Header=BB273_289 Depth=1
	s_or_b32 exec_lo, exec_lo, s13
	v_lshlrev_b32_e32 v1, 8, v27
	s_delay_alu instid0(VALU_DEP_3) | instskip(NEXT) | instid1(VALU_DEP_3)
	v_lshl_add_u32 v27, v28, 10, 0x2000
	v_lshlrev_b32_e32 v26, 23, v26
	s_delay_alu instid0(VALU_DEP_2) | instskip(NEXT) | instid1(VALU_DEP_1)
	v_and_or_b32 v1, 0x8000, v1, v27
	v_lshl_or_b32 v26, v1, 16, v26
.LBB273_303:                            ;   in Loop: Header=BB273_289 Depth=1
	s_wait_alu 0xfffe
	s_or_b32 exec_lo, exec_lo, s7
.LBB273_304:                            ;   in Loop: Header=BB273_289 Depth=1
	s_wait_alu 0xfffe
	s_or_b32 exec_lo, exec_lo, s6
.LBB273_305:                            ;   in Loop: Header=BB273_289 Depth=1
	s_wait_alu 0xfffe
	s_or_b32 exec_lo, exec_lo, s0
	v_lshrrev_b32_e32 v1, 16, v9
	s_mov_b32 s0, exec_lo
	s_delay_alu instid0(VALU_DEP_1) | instskip(NEXT) | instid1(VALU_DEP_1)
	v_and_b32_e32 v27, 0xff, v1
	v_cmpx_ne_u16_e32 0, v27
	s_cbranch_execz .LBB273_313
; %bb.306:                              ;   in Loop: Header=BB273_289 Depth=1
	v_mov_b32_e32 v15, 0x8000
	s_mov_b32 s6, exec_lo
	v_cmpx_ne_u16_e32 0x80, v27
	s_cbranch_execz .LBB273_312
; %bb.307:                              ;   in Loop: Header=BB273_289 Depth=1
	v_bfe_u32 v28, v9, 16, 7
	v_mov_b32_e32 v15, 0x7c01
	s_mov_b32 s7, exec_lo
	s_delay_alu instid0(VALU_DEP_2)
	v_cmpx_ne_u32_e32 0x7f, v28
	s_cbranch_execz .LBB273_311
; %bb.308:                              ;   in Loop: Header=BB273_289 Depth=1
	v_and_b32_e32 v15, 7, v1
	v_lshrrev_b32_e32 v27, 3, v28
	s_mov_b32 s13, exec_lo
	v_cmpx_gt_u32_e32 8, v28
; %bb.309:                              ;   in Loop: Header=BB273_289 Depth=1
	s_delay_alu instid0(VALU_DEP_3) | instskip(NEXT) | instid1(VALU_DEP_1)
	v_clz_i32_u32_e32 v15, v15
	v_min_u32_e32 v15, 32, v15
	s_delay_alu instid0(VALU_DEP_1) | instskip(NEXT) | instid1(VALU_DEP_1)
	v_subrev_nc_u32_e32 v27, 28, v15
	v_lshlrev_b64_e32 v[28:29], v27, v[1:2]
	v_sub_nc_u32_e32 v27, 29, v15
	s_delay_alu instid0(VALU_DEP_2)
	v_and_b32_e32 v15, 7, v28
; %bb.310:                              ;   in Loop: Header=BB273_289 Depth=1
	s_or_b32 exec_lo, exec_lo, s13
	v_lshlrev_b32_e32 v1, 8, v1
	s_delay_alu instid0(VALU_DEP_3) | instskip(NEXT) | instid1(VALU_DEP_3)
	v_lshl_add_u32 v27, v27, 10, 0x2000
	v_lshlrev_b32_e32 v15, 7, v15
	s_delay_alu instid0(VALU_DEP_3) | instskip(NEXT) | instid1(VALU_DEP_3)
	v_and_b32_e32 v1, 0x8000, v1
	v_and_b32_e32 v27, 0xfc00, v27
	s_delay_alu instid0(VALU_DEP_1)
	v_or3_b32 v15, v1, v27, v15
.LBB273_311:                            ;   in Loop: Header=BB273_289 Depth=1
	s_wait_alu 0xfffe
	s_or_b32 exec_lo, exec_lo, s7
.LBB273_312:                            ;   in Loop: Header=BB273_289 Depth=1
	s_wait_alu 0xfffe
	s_or_b32 exec_lo, exec_lo, s6
.LBB273_313:                            ;   in Loop: Header=BB273_289 Depth=1
	s_wait_alu 0xfffe
	s_or_b32 exec_lo, exec_lo, s0
	v_dual_mov_b32 v27, 0 :: v_dual_mov_b32 v28, 0
	s_mov_b32 s0, exec_lo
	v_cmpx_lt_u32_e32 0xffffff, v9
	s_cbranch_execz .LBB273_321
; %bb.314:                              ;   in Loop: Header=BB273_289 Depth=1
	v_lshrrev_b32_e32 v1, 24, v9
	v_bfrev_b32_e32 v28, 1
	s_mov_b32 s6, exec_lo
	s_delay_alu instid0(VALU_DEP_2)
	v_cmpx_ne_u32_e32 0x80, v1
	s_cbranch_execz .LBB273_320
; %bb.315:                              ;   in Loop: Header=BB273_289 Depth=1
	v_and_b32_e32 v38, 0x7f, v1
	v_mov_b32_e32 v28, 0x7c010000
	s_mov_b32 s7, exec_lo
	s_delay_alu instid0(VALU_DEP_2)
	v_cmpx_ne_u32_e32 0x7f, v38
	s_cbranch_execz .LBB273_319
; %bb.316:                              ;   in Loop: Header=BB273_289 Depth=1
	v_and_b32_e32 v28, 7, v1
	v_lshrrev_b32_e32 v29, 3, v38
	s_mov_b32 s13, exec_lo
	v_cmpx_gt_u32_e32 8, v38
; %bb.317:                              ;   in Loop: Header=BB273_289 Depth=1
	s_delay_alu instid0(VALU_DEP_3) | instskip(NEXT) | instid1(VALU_DEP_1)
	v_clz_i32_u32_e32 v28, v28
	v_min_u32_e32 v38, 32, v28
	s_delay_alu instid0(VALU_DEP_1) | instskip(NEXT) | instid1(VALU_DEP_1)
	v_subrev_nc_u32_e32 v28, 28, v38
	v_lshlrev_b64_e32 v[28:29], v28, v[1:2]
	v_sub_nc_u32_e32 v29, 29, v38
	s_delay_alu instid0(VALU_DEP_2)
	v_and_b32_e32 v28, 7, v28
; %bb.318:                              ;   in Loop: Header=BB273_289 Depth=1
	s_or_b32 exec_lo, exec_lo, s13
	v_lshlrev_b32_e32 v1, 8, v1
	s_delay_alu instid0(VALU_DEP_3) | instskip(NEXT) | instid1(VALU_DEP_3)
	v_lshl_add_u32 v29, v29, 10, 0x2000
	v_lshlrev_b32_e32 v28, 23, v28
	s_delay_alu instid0(VALU_DEP_2) | instskip(NEXT) | instid1(VALU_DEP_1)
	v_and_or_b32 v1, 0x8000, v1, v29
	v_lshl_or_b32 v28, v1, 16, v28
.LBB273_319:                            ;   in Loop: Header=BB273_289 Depth=1
	s_wait_alu 0xfffe
	s_or_b32 exec_lo, exec_lo, s7
.LBB273_320:                            ;   in Loop: Header=BB273_289 Depth=1
	s_wait_alu 0xfffe
	s_or_b32 exec_lo, exec_lo, s6
.LBB273_321:                            ;   in Loop: Header=BB273_289 Depth=1
	s_wait_alu 0xfffe
	s_or_b32 exec_lo, exec_lo, s0
	v_and_b32_e32 v29, 0xff, v10
	v_mov_b32_e32 v1, v10
	s_mov_b32 s0, exec_lo
	s_delay_alu instid0(VALU_DEP_2)
	v_cmpx_ne_u16_e32 0, v29
	s_cbranch_execz .LBB273_329
; %bb.322:                              ;   in Loop: Header=BB273_289 Depth=1
	v_mov_b32_e32 v27, 0x8000
	s_mov_b32 s6, exec_lo
	v_cmpx_ne_u16_e32 0x80, v29
	s_cbranch_execz .LBB273_328
; %bb.323:                              ;   in Loop: Header=BB273_289 Depth=1
	v_and_b32_e32 v38, 0x7f, v10
	v_mov_b32_e32 v27, 0x7c01
	s_mov_b32 s7, exec_lo
	s_delay_alu instid0(VALU_DEP_2)
	v_cmpx_ne_u32_e32 0x7f, v38
	s_cbranch_execz .LBB273_327
; %bb.324:                              ;   in Loop: Header=BB273_289 Depth=1
	v_and_b32_e32 v27, 7, v10
	v_lshrrev_b32_e32 v29, 3, v38
	s_mov_b32 s13, exec_lo
	v_cmpx_gt_u32_e32 8, v38
; %bb.325:                              ;   in Loop: Header=BB273_289 Depth=1
	s_delay_alu instid0(VALU_DEP_3) | instskip(NEXT) | instid1(VALU_DEP_1)
	v_clz_i32_u32_e32 v27, v27
	v_min_u32_e32 v27, 32, v27
	s_delay_alu instid0(VALU_DEP_1) | instskip(NEXT) | instid1(VALU_DEP_1)
	v_subrev_nc_u32_e32 v29, 28, v27
	v_lshlrev_b64_e32 v[38:39], v29, v[1:2]
	v_sub_nc_u32_e32 v29, 29, v27
	s_delay_alu instid0(VALU_DEP_2)
	v_and_b32_e32 v27, 7, v38
; %bb.326:                              ;   in Loop: Header=BB273_289 Depth=1
	s_or_b32 exec_lo, exec_lo, s13
	v_lshlrev_b32_e32 v38, 8, v10
	s_delay_alu instid0(VALU_DEP_3) | instskip(NEXT) | instid1(VALU_DEP_3)
	v_lshl_add_u32 v29, v29, 10, 0x2000
	v_lshlrev_b32_e32 v27, 7, v27
	s_delay_alu instid0(VALU_DEP_3) | instskip(NEXT) | instid1(VALU_DEP_3)
	v_and_b32_e32 v38, 0x8000, v38
	v_and_b32_e32 v29, 0xfc00, v29
	s_delay_alu instid0(VALU_DEP_1)
	v_or3_b32 v27, v38, v29, v27
.LBB273_327:                            ;   in Loop: Header=BB273_289 Depth=1
	s_wait_alu 0xfffe
	s_or_b32 exec_lo, exec_lo, s7
.LBB273_328:                            ;   in Loop: Header=BB273_289 Depth=1
	s_wait_alu 0xfffe
	s_or_b32 exec_lo, exec_lo, s6
.LBB273_329:                            ;   in Loop: Header=BB273_289 Depth=1
	s_wait_alu 0xfffe
	s_or_b32 exec_lo, exec_lo, s0
	v_lshrrev_b16 v1, 8, v1
	v_dual_mov_b32 v38, 0 :: v_dual_mov_b32 v29, 0
	s_mov_b32 s0, exec_lo
	s_delay_alu instid0(VALU_DEP_2)
	v_cmpx_ne_u16_e32 0, v1
	s_cbranch_execz .LBB273_337
; %bb.330:                              ;   in Loop: Header=BB273_289 Depth=1
	v_bfrev_b32_e32 v29, 1
	s_mov_b32 s6, exec_lo
	v_cmpx_ne_u16_e32 0x80, v1
	s_cbranch_execz .LBB273_336
; %bb.331:                              ;   in Loop: Header=BB273_289 Depth=1
	v_and_b32_e32 v39, 0xffff, v1
	v_mov_b32_e32 v29, 0x7c010000
	s_mov_b32 s7, exec_lo
	s_delay_alu instid0(VALU_DEP_2) | instskip(NEXT) | instid1(VALU_DEP_1)
	v_and_b32_e32 v41, 0x7f, v39
	v_cmpx_ne_u32_e32 0x7f, v41
	s_cbranch_execz .LBB273_335
; %bb.332:                              ;   in Loop: Header=BB273_289 Depth=1
	v_and_b32_e32 v29, 7, v39
	v_lshrrev_b32_e32 v40, 3, v41
	s_mov_b32 s13, exec_lo
	v_cmpx_gt_u32_e32 8, v41
; %bb.333:                              ;   in Loop: Header=BB273_289 Depth=1
	s_delay_alu instid0(VALU_DEP_3) | instskip(NEXT) | instid1(VALU_DEP_1)
	v_clz_i32_u32_e32 v29, v29
	v_min_u32_e32 v29, 32, v29
	s_delay_alu instid0(VALU_DEP_1) | instskip(NEXT) | instid1(VALU_DEP_1)
	v_subrev_nc_u32_e32 v40, 28, v29
	v_lshlrev_b64_e32 v[41:42], v40, v[1:2]
	v_sub_nc_u32_e32 v40, 29, v29
	s_delay_alu instid0(VALU_DEP_2)
	v_and_b32_e32 v29, 7, v41
; %bb.334:                              ;   in Loop: Header=BB273_289 Depth=1
	s_or_b32 exec_lo, exec_lo, s13
	v_lshlrev_b32_e32 v1, 8, v39
	s_delay_alu instid0(VALU_DEP_3) | instskip(NEXT) | instid1(VALU_DEP_3)
	v_lshl_add_u32 v39, v40, 10, 0x2000
	v_lshlrev_b32_e32 v29, 23, v29
	s_delay_alu instid0(VALU_DEP_2) | instskip(NEXT) | instid1(VALU_DEP_1)
	v_and_or_b32 v1, 0x8000, v1, v39
	v_lshl_or_b32 v29, v1, 16, v29
.LBB273_335:                            ;   in Loop: Header=BB273_289 Depth=1
	s_wait_alu 0xfffe
	s_or_b32 exec_lo, exec_lo, s7
.LBB273_336:                            ;   in Loop: Header=BB273_289 Depth=1
	s_wait_alu 0xfffe
	s_or_b32 exec_lo, exec_lo, s6
.LBB273_337:                            ;   in Loop: Header=BB273_289 Depth=1
	s_wait_alu 0xfffe
	s_or_b32 exec_lo, exec_lo, s0
	v_lshrrev_b32_e32 v1, 16, v10
	s_mov_b32 s0, exec_lo
	s_delay_alu instid0(VALU_DEP_1) | instskip(NEXT) | instid1(VALU_DEP_1)
	v_and_b32_e32 v39, 0xff, v1
	v_cmpx_ne_u16_e32 0, v39
	s_cbranch_execz .LBB273_345
; %bb.338:                              ;   in Loop: Header=BB273_289 Depth=1
	v_mov_b32_e32 v38, 0x8000
	s_mov_b32 s6, exec_lo
	v_cmpx_ne_u16_e32 0x80, v39
	s_cbranch_execz .LBB273_344
; %bb.339:                              ;   in Loop: Header=BB273_289 Depth=1
	v_bfe_u32 v40, v10, 16, 7
	v_mov_b32_e32 v38, 0x7c01
	s_mov_b32 s7, exec_lo
	s_delay_alu instid0(VALU_DEP_2)
	v_cmpx_ne_u32_e32 0x7f, v40
	s_cbranch_execz .LBB273_343
; %bb.340:                              ;   in Loop: Header=BB273_289 Depth=1
	v_and_b32_e32 v38, 7, v1
	v_lshrrev_b32_e32 v39, 3, v40
	s_mov_b32 s13, exec_lo
	v_cmpx_gt_u32_e32 8, v40
; %bb.341:                              ;   in Loop: Header=BB273_289 Depth=1
	s_delay_alu instid0(VALU_DEP_3) | instskip(NEXT) | instid1(VALU_DEP_1)
	v_clz_i32_u32_e32 v38, v38
	v_min_u32_e32 v40, 32, v38
	s_delay_alu instid0(VALU_DEP_1) | instskip(NEXT) | instid1(VALU_DEP_1)
	v_subrev_nc_u32_e32 v38, 28, v40
	v_lshlrev_b64_e32 v[38:39], v38, v[1:2]
	v_sub_nc_u32_e32 v39, 29, v40
	s_delay_alu instid0(VALU_DEP_2)
	v_and_b32_e32 v38, 7, v38
; %bb.342:                              ;   in Loop: Header=BB273_289 Depth=1
	s_or_b32 exec_lo, exec_lo, s13
	v_lshlrev_b32_e32 v1, 8, v1
	s_delay_alu instid0(VALU_DEP_3) | instskip(NEXT) | instid1(VALU_DEP_3)
	v_lshl_add_u32 v39, v39, 10, 0x2000
	v_lshlrev_b32_e32 v38, 7, v38
	s_delay_alu instid0(VALU_DEP_3) | instskip(NEXT) | instid1(VALU_DEP_3)
	v_and_b32_e32 v1, 0x8000, v1
	v_and_b32_e32 v39, 0xfc00, v39
	s_delay_alu instid0(VALU_DEP_1)
	v_or3_b32 v38, v1, v39, v38
.LBB273_343:                            ;   in Loop: Header=BB273_289 Depth=1
	s_wait_alu 0xfffe
	s_or_b32 exec_lo, exec_lo, s7
.LBB273_344:                            ;   in Loop: Header=BB273_289 Depth=1
	s_wait_alu 0xfffe
	s_or_b32 exec_lo, exec_lo, s6
.LBB273_345:                            ;   in Loop: Header=BB273_289 Depth=1
	s_wait_alu 0xfffe
	s_or_b32 exec_lo, exec_lo, s0
	v_cmp_lt_u64_e32 vcc_lo, s[2:3], v[9:10]
	v_mov_b32_e32 v9, 0
	s_and_saveexec_b32 s0, vcc_lo
	s_cbranch_execz .LBB273_353
; %bb.346:                              ;   in Loop: Header=BB273_289 Depth=1
	v_lshrrev_b32_e32 v1, 24, v10
	v_bfrev_b32_e32 v9, 1
	s_mov_b32 s6, exec_lo
	s_delay_alu instid0(VALU_DEP_2)
	v_cmpx_ne_u32_e32 0x80, v1
	s_cbranch_execz .LBB273_352
; %bb.347:                              ;   in Loop: Header=BB273_289 Depth=1
	v_and_b32_e32 v39, 0x7f, v1
	v_mov_b32_e32 v9, 0x7c010000
	s_mov_b32 s7, exec_lo
	s_delay_alu instid0(VALU_DEP_2)
	v_cmpx_ne_u32_e32 0x7f, v39
	s_cbranch_execz .LBB273_351
; %bb.348:                              ;   in Loop: Header=BB273_289 Depth=1
	v_and_b32_e32 v9, 7, v1
	v_lshrrev_b32_e32 v10, 3, v39
	s_mov_b32 s13, exec_lo
	v_cmpx_gt_u32_e32 8, v39
; %bb.349:                              ;   in Loop: Header=BB273_289 Depth=1
	s_delay_alu instid0(VALU_DEP_3) | instskip(NEXT) | instid1(VALU_DEP_1)
	v_clz_i32_u32_e32 v9, v9
	v_min_u32_e32 v39, 32, v9
	s_delay_alu instid0(VALU_DEP_1) | instskip(NEXT) | instid1(VALU_DEP_1)
	v_subrev_nc_u32_e32 v9, 28, v39
	v_lshlrev_b64_e32 v[9:10], v9, v[1:2]
	v_sub_nc_u32_e32 v10, 29, v39
	s_delay_alu instid0(VALU_DEP_2)
	v_and_b32_e32 v9, 7, v9
; %bb.350:                              ;   in Loop: Header=BB273_289 Depth=1
	s_or_b32 exec_lo, exec_lo, s13
	v_lshlrev_b32_e32 v1, 8, v1
	s_delay_alu instid0(VALU_DEP_3) | instskip(NEXT) | instid1(VALU_DEP_3)
	v_lshl_add_u32 v10, v10, 10, 0x2000
	v_lshlrev_b32_e32 v9, 23, v9
	s_delay_alu instid0(VALU_DEP_2) | instskip(NEXT) | instid1(VALU_DEP_1)
	v_and_or_b32 v1, 0x8000, v1, v10
	v_lshl_or_b32 v9, v1, 16, v9
.LBB273_351:                            ;   in Loop: Header=BB273_289 Depth=1
	s_wait_alu 0xfffe
	s_or_b32 exec_lo, exec_lo, s7
.LBB273_352:                            ;   in Loop: Header=BB273_289 Depth=1
	s_wait_alu 0xfffe
	s_or_b32 exec_lo, exec_lo, s6
.LBB273_353:                            ;   in Loop: Header=BB273_289 Depth=1
	s_wait_alu 0xfffe
	s_or_b32 exec_lo, exec_lo, s0
	v_or_b32_e32 v1, v28, v15
	s_wait_loadcnt 0x0
	v_fma_mixlo_f16 v10, v24, v28, 0 op_sel:[0,1,0] op_sel_hi:[0,1,0]
	v_or_b32_e32 v25, v26, v25
	v_fma_mixlo_f16 v26, v24, v26, 0 op_sel:[0,1,0] op_sel_hi:[0,1,0]
	v_or_b32_e32 v27, v29, v27
	v_fma_mixlo_f16 v1, v24, v1, 0 op_sel_hi:[0,1,0]
	v_or_b32_e32 v28, v9, v38
	v_fma_mixlo_f16 v9, v24, v9, 0 op_sel:[0,1,0] op_sel_hi:[0,1,0]
	v_lshlrev_b32_e32 v44, 16, v26
	v_fma_mixlo_f16 v26, v24, v27, 0 op_sel_hi:[0,1,0]
	v_and_b32_e32 v41, 0xffff, v1
	v_fma_mixlo_f16 v1, v24, v25, 0 op_sel_hi:[0,1,0]
	v_fma_mixlo_f16 v25, v24, v29, 0 op_sel:[0,1,0] op_sel_hi:[0,1,0]
	v_fma_mixlo_f16 v24, v24, v28, 0 op_sel_hi:[0,1,0]
	v_lshlrev_b32_e32 v10, 16, v10
	v_and_b32_e32 v45, 0xffff, v26
	v_and_b32_e32 v46, 0xffff, v1
	v_lshlrev_b32_e32 v42, 16, v25
	v_lshlrev_b32_e32 v39, 16, v9
	v_and_b32_e32 v43, 0xffff, v24
	v_add_nc_u32_e32 v15, -7, v22
	v_cmp_eq_u32_e32 vcc_lo, s29, v14
	v_or_b32_e32 v1, v10, v41
	v_or_b32_e32 v9, v44, v46
	;; [unrolled: 1-line block ×4, first 2 shown]
	v_add_nc_u32_e32 v29, -6, v22
	v_add_nc_u32_e32 v28, -5, v22
	;; [unrolled: 1-line block ×6, first 2 shown]
	s_and_saveexec_b32 s6, vcc_lo
	s_cbranch_execz .LBB273_355
; %bb.354:                              ;   in Loop: Header=BB273_289 Depth=1
	v_cmp_gt_i32_e64 s0, s27, v15
	s_wait_alu 0xf1ff
	s_delay_alu instid0(VALU_DEP_1) | instskip(SKIP_2) | instid1(VALU_DEP_1)
	v_cndmask_b32_e64 v1, 0, v46, s0
	v_cmp_gt_i32_e64 s0, s27, v29
	s_wait_alu 0xf1ff
	v_cndmask_b32_e64 v9, 0, v44, s0
	v_cmp_gt_i32_e64 s0, s27, v28
	s_delay_alu instid0(VALU_DEP_2) | instskip(SKIP_1) | instid1(VALU_DEP_2)
	v_or_b32_e32 v9, v9, v1
	s_wait_alu 0xf1ff
	v_cndmask_b32_e64 v38, 0, v41, s0
	v_cmp_gt_i32_e64 s0, s27, v27
	s_wait_alu 0xf1ff
	s_delay_alu instid0(VALU_DEP_1) | instskip(SKIP_1) | instid1(VALU_DEP_2)
	v_cndmask_b32_e64 v10, 0, v10, s0
	v_cmp_gt_i32_e64 s0, s27, v26
	v_or_b32_e32 v1, v10, v38
	s_wait_alu 0xf1ff
	s_delay_alu instid0(VALU_DEP_2) | instskip(SKIP_2) | instid1(VALU_DEP_1)
	v_cndmask_b32_e64 v40, 0, v45, s0
	v_cmp_gt_i32_e64 s0, s27, v25
	s_wait_alu 0xf1ff
	v_cndmask_b32_e64 v41, 0, v42, s0
	v_cmp_gt_i32_e64 s0, s27, v24
	s_delay_alu instid0(VALU_DEP_2) | instskip(SKIP_1) | instid1(VALU_DEP_2)
	v_or_b32_e32 v38, v41, v40
	s_wait_alu 0xf1ff
	v_cndmask_b32_e64 v42, 0, v43, s0
	v_cmp_gt_i32_e64 s0, s27, v22
	s_wait_alu 0xf1ff
	s_delay_alu instid0(VALU_DEP_1) | instskip(NEXT) | instid1(VALU_DEP_1)
	v_cndmask_b32_e64 v39, 0, v39, s0
	v_or_b32_e32 v40, v39, v42
.LBB273_355:                            ;   in Loop: Header=BB273_289 Depth=1
	s_wait_alu 0xfffe
	s_or_b32 exec_lo, exec_lo, s6
	v_and_b32_e32 v10, 0xffff, v30
	v_and_b32_e32 v30, 0xffff, v34
	;; [unrolled: 1-line block ×4, first 2 shown]
	s_mov_b32 s6, exec_lo
	s_delay_alu instid0(VALU_DEP_3) | instskip(NEXT) | instid1(VALU_DEP_3)
	v_lshl_or_b32 v32, v32, 16, v30
	v_lshl_or_b32 v30, v35, 16, v37
	v_mov_b32_e32 v37, 0
	v_lshl_or_b32 v34, v31, 16, v10
	;;#ASMSTART
	v_pk_mul_f16 v9, v34, v9;

	;;#ASMEND
	;;#ASMSTART
	v_pk_mul_f16 v1, v32, v1;

	;;#ASMEND
	v_lshl_or_b32 v31, v33, 16, v36
	;;#ASMSTART
	v_pk_mul_f16 v10, v31, v38;

	;;#ASMEND
	;;#ASMSTART
	v_pk_mul_f16 v33, v30, v40;

	;;#ASMEND
	;;#ASMSTART
	v_pk_add_f16 v1, v9, v1;

	;;#ASMEND
	;;#ASMSTART
	v_pk_add_f16 v1, v1, v10;
	;; [unrolled: 4-line block ×3, first 2 shown]

	;;#ASMEND
	v_and_b32_e32 v9, 0xffff, v1
	v_lshrrev_b32_e32 v1, 16, v1
	;;#ASMSTART
	v_cvt_f32_f16 v33, v9;
	;;#ASMEND
	;;#ASMSTART
	v_cvt_f32_f16 v35, v1;
	;;#ASMEND
	global_load_b64 v[9:10], v[7:8], off offset:256
	global_load_b32 v36, v37, s[10:11]
	s_wait_loadcnt 0x1
	v_dual_mov_b32 v38, 0 :: v_dual_and_b32 v1, 0xff, v9
	s_delay_alu instid0(VALU_DEP_1)
	v_cmpx_ne_u16_e32 0, v1
	s_cbranch_execz .LBB273_363
; %bb.356:                              ;   in Loop: Header=BB273_289 Depth=1
	v_mov_b32_e32 v38, 0x8000
	s_mov_b32 s7, exec_lo
	v_cmpx_ne_u16_e32 0x80, v1
	s_cbranch_execz .LBB273_362
; %bb.357:                              ;   in Loop: Header=BB273_289 Depth=1
	v_and_b32_e32 v39, 0x7f, v9
	v_mov_b32_e32 v38, 0x7c01
	s_mov_b32 s13, exec_lo
	s_delay_alu instid0(VALU_DEP_2)
	v_cmpx_ne_u32_e32 0x7f, v39
	s_cbranch_execz .LBB273_361
; %bb.358:                              ;   in Loop: Header=BB273_289 Depth=1
	v_and_b32_e32 v1, 7, v9
	v_lshrrev_b32_e32 v38, 3, v39
	s_mov_b32 s14, exec_lo
	v_cmpx_gt_u32_e32 8, v39
; %bb.359:                              ;   in Loop: Header=BB273_289 Depth=1
	s_delay_alu instid0(VALU_DEP_3) | instskip(NEXT) | instid1(VALU_DEP_1)
	v_clz_i32_u32_e32 v1, v1
	v_min_u32_e32 v1, 32, v1
	s_delay_alu instid0(VALU_DEP_1) | instskip(NEXT) | instid1(VALU_DEP_1)
	v_subrev_nc_u32_e32 v38, 28, v1
	v_lshlrev_b64_e32 v[39:40], v38, v[9:10]
	v_sub_nc_u32_e32 v38, 29, v1
	s_delay_alu instid0(VALU_DEP_2)
	v_and_b32_e32 v1, 7, v39
; %bb.360:                              ;   in Loop: Header=BB273_289 Depth=1
	s_wait_alu 0xfffe
	s_or_b32 exec_lo, exec_lo, s14
	v_lshlrev_b32_e32 v39, 8, v9
	v_lshl_add_u32 v38, v38, 10, 0x2000
	v_lshlrev_b32_e32 v1, 7, v1
	s_delay_alu instid0(VALU_DEP_3) | instskip(NEXT) | instid1(VALU_DEP_3)
	v_and_b32_e32 v39, 0x8000, v39
	v_and_b32_e32 v38, 0xfc00, v38
	s_delay_alu instid0(VALU_DEP_1)
	v_or3_b32 v38, v39, v38, v1
.LBB273_361:                            ;   in Loop: Header=BB273_289 Depth=1
	s_or_b32 exec_lo, exec_lo, s13
.LBB273_362:                            ;   in Loop: Header=BB273_289 Depth=1
	s_wait_alu 0xfffe
	s_or_b32 exec_lo, exec_lo, s7
.LBB273_363:                            ;   in Loop: Header=BB273_289 Depth=1
	s_wait_alu 0xfffe
	s_or_b32 exec_lo, exec_lo, s6
	v_lshrrev_b16 v1, 8, v9
	s_mov_b32 s6, exec_lo
	s_delay_alu instid0(VALU_DEP_1)
	v_cmpx_ne_u16_e32 0, v1
	s_cbranch_execz .LBB273_371
; %bb.364:                              ;   in Loop: Header=BB273_289 Depth=1
	v_bfrev_b32_e32 v37, 1
	s_mov_b32 s7, exec_lo
	v_cmpx_ne_u16_e32 0x80, v1
	s_cbranch_execz .LBB273_370
; %bb.365:                              ;   in Loop: Header=BB273_289 Depth=1
	v_and_b32_e32 v39, 0xffff, v1
	v_mov_b32_e32 v37, 0x7c010000
	s_mov_b32 s13, exec_lo
	s_delay_alu instid0(VALU_DEP_2) | instskip(NEXT) | instid1(VALU_DEP_1)
	v_and_b32_e32 v41, 0x7f, v39
	v_cmpx_ne_u32_e32 0x7f, v41
	s_cbranch_execz .LBB273_369
; %bb.366:                              ;   in Loop: Header=BB273_289 Depth=1
	v_and_b32_e32 v37, 7, v39
	v_lshrrev_b32_e32 v40, 3, v41
	s_mov_b32 s14, exec_lo
	v_cmpx_gt_u32_e32 8, v41
; %bb.367:                              ;   in Loop: Header=BB273_289 Depth=1
	s_delay_alu instid0(VALU_DEP_3) | instskip(NEXT) | instid1(VALU_DEP_1)
	v_clz_i32_u32_e32 v37, v37
	v_min_u32_e32 v37, 32, v37
	s_delay_alu instid0(VALU_DEP_1) | instskip(NEXT) | instid1(VALU_DEP_1)
	v_subrev_nc_u32_e32 v40, 28, v37
	v_lshlrev_b64_e32 v[41:42], v40, v[1:2]
	v_sub_nc_u32_e32 v40, 29, v37
	s_delay_alu instid0(VALU_DEP_2)
	v_and_b32_e32 v37, 7, v41
; %bb.368:                              ;   in Loop: Header=BB273_289 Depth=1
	s_wait_alu 0xfffe
	s_or_b32 exec_lo, exec_lo, s14
	v_lshlrev_b32_e32 v1, 8, v39
	v_lshl_add_u32 v39, v40, 10, 0x2000
	v_lshlrev_b32_e32 v37, 23, v37
	s_delay_alu instid0(VALU_DEP_2) | instskip(NEXT) | instid1(VALU_DEP_1)
	v_and_or_b32 v1, 0x8000, v1, v39
	v_lshl_or_b32 v37, v1, 16, v37
.LBB273_369:                            ;   in Loop: Header=BB273_289 Depth=1
	s_or_b32 exec_lo, exec_lo, s13
.LBB273_370:                            ;   in Loop: Header=BB273_289 Depth=1
	s_wait_alu 0xfffe
	s_or_b32 exec_lo, exec_lo, s7
.LBB273_371:                            ;   in Loop: Header=BB273_289 Depth=1
	s_wait_alu 0xfffe
	s_or_b32 exec_lo, exec_lo, s6
	v_lshrrev_b32_e32 v1, 16, v9
	v_mov_b32_e32 v39, 0
	s_mov_b32 s6, exec_lo
	s_delay_alu instid0(VALU_DEP_2) | instskip(NEXT) | instid1(VALU_DEP_1)
	v_dual_mov_b32 v40, 0 :: v_dual_and_b32 v41, 0xff, v1
	v_cmpx_ne_u16_e32 0, v41
	s_cbranch_execz .LBB273_379
; %bb.372:                              ;   in Loop: Header=BB273_289 Depth=1
	v_mov_b32_e32 v40, 0x8000
	s_mov_b32 s7, exec_lo
	v_cmpx_ne_u16_e32 0x80, v41
	s_cbranch_execz .LBB273_378
; %bb.373:                              ;   in Loop: Header=BB273_289 Depth=1
	v_bfe_u32 v42, v9, 16, 7
	v_mov_b32_e32 v40, 0x7c01
	s_mov_b32 s13, exec_lo
	s_delay_alu instid0(VALU_DEP_2)
	v_cmpx_ne_u32_e32 0x7f, v42
	s_cbranch_execz .LBB273_377
; %bb.374:                              ;   in Loop: Header=BB273_289 Depth=1
	v_and_b32_e32 v40, 7, v1
	v_lshrrev_b32_e32 v41, 3, v42
	s_mov_b32 s14, exec_lo
	v_cmpx_gt_u32_e32 8, v42
; %bb.375:                              ;   in Loop: Header=BB273_289 Depth=1
	s_delay_alu instid0(VALU_DEP_3) | instskip(NEXT) | instid1(VALU_DEP_1)
	v_clz_i32_u32_e32 v40, v40
	v_min_u32_e32 v42, 32, v40
	s_delay_alu instid0(VALU_DEP_1) | instskip(NEXT) | instid1(VALU_DEP_1)
	v_subrev_nc_u32_e32 v40, 28, v42
	v_lshlrev_b64_e32 v[40:41], v40, v[1:2]
	v_sub_nc_u32_e32 v41, 29, v42
	s_delay_alu instid0(VALU_DEP_2)
	v_and_b32_e32 v40, 7, v40
; %bb.376:                              ;   in Loop: Header=BB273_289 Depth=1
	s_wait_alu 0xfffe
	s_or_b32 exec_lo, exec_lo, s14
	v_lshlrev_b32_e32 v1, 8, v1
	v_lshl_add_u32 v41, v41, 10, 0x2000
	v_lshlrev_b32_e32 v40, 7, v40
	s_delay_alu instid0(VALU_DEP_3) | instskip(NEXT) | instid1(VALU_DEP_3)
	v_and_b32_e32 v1, 0x8000, v1
	v_and_b32_e32 v41, 0xfc00, v41
	s_delay_alu instid0(VALU_DEP_1)
	v_or3_b32 v40, v1, v41, v40
.LBB273_377:                            ;   in Loop: Header=BB273_289 Depth=1
	s_or_b32 exec_lo, exec_lo, s13
.LBB273_378:                            ;   in Loop: Header=BB273_289 Depth=1
	s_wait_alu 0xfffe
	s_or_b32 exec_lo, exec_lo, s7
.LBB273_379:                            ;   in Loop: Header=BB273_289 Depth=1
	s_wait_alu 0xfffe
	s_or_b32 exec_lo, exec_lo, s6
	s_delay_alu instid0(SALU_CYCLE_1)
	s_mov_b32 s6, exec_lo
	v_cmpx_lt_u32_e32 0xffffff, v9
	s_cbranch_execz .LBB273_387
; %bb.380:                              ;   in Loop: Header=BB273_289 Depth=1
	v_lshrrev_b32_e32 v1, 24, v9
	v_bfrev_b32_e32 v39, 1
	s_mov_b32 s7, exec_lo
	s_delay_alu instid0(VALU_DEP_2)
	v_cmpx_ne_u32_e32 0x80, v1
	s_cbranch_execz .LBB273_386
; %bb.381:                              ;   in Loop: Header=BB273_289 Depth=1
	v_and_b32_e32 v42, 0x7f, v1
	v_mov_b32_e32 v39, 0x7c010000
	s_mov_b32 s13, exec_lo
	s_delay_alu instid0(VALU_DEP_2)
	v_cmpx_ne_u32_e32 0x7f, v42
	s_cbranch_execz .LBB273_385
; %bb.382:                              ;   in Loop: Header=BB273_289 Depth=1
	v_and_b32_e32 v39, 7, v1
	v_lshrrev_b32_e32 v41, 3, v42
	s_mov_b32 s14, exec_lo
	v_cmpx_gt_u32_e32 8, v42
; %bb.383:                              ;   in Loop: Header=BB273_289 Depth=1
	s_delay_alu instid0(VALU_DEP_3) | instskip(NEXT) | instid1(VALU_DEP_1)
	v_clz_i32_u32_e32 v39, v39
	v_min_u32_e32 v39, 32, v39
	s_delay_alu instid0(VALU_DEP_1) | instskip(NEXT) | instid1(VALU_DEP_1)
	v_subrev_nc_u32_e32 v41, 28, v39
	v_lshlrev_b64_e32 v[42:43], v41, v[1:2]
	v_sub_nc_u32_e32 v41, 29, v39
	s_delay_alu instid0(VALU_DEP_2)
	v_and_b32_e32 v39, 7, v42
; %bb.384:                              ;   in Loop: Header=BB273_289 Depth=1
	s_wait_alu 0xfffe
	s_or_b32 exec_lo, exec_lo, s14
	v_lshlrev_b32_e32 v1, 8, v1
	v_lshl_add_u32 v41, v41, 10, 0x2000
	v_lshlrev_b32_e32 v39, 23, v39
	s_delay_alu instid0(VALU_DEP_2) | instskip(NEXT) | instid1(VALU_DEP_1)
	v_and_or_b32 v1, 0x8000, v1, v41
	v_lshl_or_b32 v39, v1, 16, v39
.LBB273_385:                            ;   in Loop: Header=BB273_289 Depth=1
	s_or_b32 exec_lo, exec_lo, s13
.LBB273_386:                            ;   in Loop: Header=BB273_289 Depth=1
	s_wait_alu 0xfffe
	s_or_b32 exec_lo, exec_lo, s7
.LBB273_387:                            ;   in Loop: Header=BB273_289 Depth=1
	s_wait_alu 0xfffe
	s_or_b32 exec_lo, exec_lo, s6
	v_dual_mov_b32 v42, 0 :: v_dual_and_b32 v43, 0xff, v10
	v_mov_b32_e32 v1, v10
	v_mov_b32_e32 v41, 0
	s_mov_b32 s6, exec_lo
	s_delay_alu instid0(VALU_DEP_3)
	v_cmpx_ne_u16_e32 0, v43
	s_cbranch_execz .LBB273_395
; %bb.388:                              ;   in Loop: Header=BB273_289 Depth=1
	v_mov_b32_e32 v42, 0x8000
	s_mov_b32 s7, exec_lo
	v_cmpx_ne_u16_e32 0x80, v43
	s_cbranch_execz .LBB273_394
; %bb.389:                              ;   in Loop: Header=BB273_289 Depth=1
	v_and_b32_e32 v44, 0x7f, v10
	v_mov_b32_e32 v42, 0x7c01
	s_mov_b32 s13, exec_lo
	s_delay_alu instid0(VALU_DEP_2)
	v_cmpx_ne_u32_e32 0x7f, v44
	s_cbranch_execz .LBB273_393
; %bb.390:                              ;   in Loop: Header=BB273_289 Depth=1
	v_and_b32_e32 v42, 7, v10
	v_lshrrev_b32_e32 v43, 3, v44
	s_mov_b32 s14, exec_lo
	v_cmpx_gt_u32_e32 8, v44
; %bb.391:                              ;   in Loop: Header=BB273_289 Depth=1
	s_delay_alu instid0(VALU_DEP_3) | instskip(NEXT) | instid1(VALU_DEP_1)
	v_clz_i32_u32_e32 v42, v42
	v_min_u32_e32 v44, 32, v42
	s_delay_alu instid0(VALU_DEP_1) | instskip(NEXT) | instid1(VALU_DEP_1)
	v_subrev_nc_u32_e32 v42, 28, v44
	v_lshlrev_b64_e32 v[42:43], v42, v[1:2]
	v_sub_nc_u32_e32 v43, 29, v44
	s_delay_alu instid0(VALU_DEP_2)
	v_and_b32_e32 v42, 7, v42
; %bb.392:                              ;   in Loop: Header=BB273_289 Depth=1
	s_wait_alu 0xfffe
	s_or_b32 exec_lo, exec_lo, s14
	v_lshlrev_b32_e32 v44, 8, v10
	v_lshl_add_u32 v43, v43, 10, 0x2000
	v_lshlrev_b32_e32 v42, 7, v42
	s_delay_alu instid0(VALU_DEP_3) | instskip(NEXT) | instid1(VALU_DEP_3)
	v_and_b32_e32 v44, 0x8000, v44
	v_and_b32_e32 v43, 0xfc00, v43
	s_delay_alu instid0(VALU_DEP_1)
	v_or3_b32 v42, v44, v43, v42
.LBB273_393:                            ;   in Loop: Header=BB273_289 Depth=1
	s_or_b32 exec_lo, exec_lo, s13
.LBB273_394:                            ;   in Loop: Header=BB273_289 Depth=1
	s_wait_alu 0xfffe
	s_or_b32 exec_lo, exec_lo, s7
.LBB273_395:                            ;   in Loop: Header=BB273_289 Depth=1
	s_wait_alu 0xfffe
	s_or_b32 exec_lo, exec_lo, s6
	v_lshrrev_b16 v1, 8, v1
	v_mov_b32_e32 v43, 0
	s_mov_b32 s6, exec_lo
	s_delay_alu instid0(VALU_DEP_2)
	v_cmpx_ne_u16_e32 0, v1
	s_cbranch_execz .LBB273_403
; %bb.396:                              ;   in Loop: Header=BB273_289 Depth=1
	v_bfrev_b32_e32 v43, 1
	s_mov_b32 s7, exec_lo
	v_cmpx_ne_u16_e32 0x80, v1
	s_cbranch_execz .LBB273_402
; %bb.397:                              ;   in Loop: Header=BB273_289 Depth=1
	v_and_b32_e32 v44, 0xffff, v1
	v_mov_b32_e32 v43, 0x7c010000
	s_mov_b32 s13, exec_lo
	s_delay_alu instid0(VALU_DEP_2) | instskip(NEXT) | instid1(VALU_DEP_1)
	v_and_b32_e32 v46, 0x7f, v44
	v_cmpx_ne_u32_e32 0x7f, v46
	s_cbranch_execz .LBB273_401
; %bb.398:                              ;   in Loop: Header=BB273_289 Depth=1
	v_and_b32_e32 v43, 7, v44
	v_lshrrev_b32_e32 v45, 3, v46
	s_mov_b32 s14, exec_lo
	v_cmpx_gt_u32_e32 8, v46
; %bb.399:                              ;   in Loop: Header=BB273_289 Depth=1
	s_delay_alu instid0(VALU_DEP_3) | instskip(NEXT) | instid1(VALU_DEP_1)
	v_clz_i32_u32_e32 v43, v43
	v_min_u32_e32 v43, 32, v43
	s_delay_alu instid0(VALU_DEP_1) | instskip(NEXT) | instid1(VALU_DEP_1)
	v_subrev_nc_u32_e32 v45, 28, v43
	v_lshlrev_b64_e32 v[46:47], v45, v[1:2]
	v_sub_nc_u32_e32 v45, 29, v43
	s_delay_alu instid0(VALU_DEP_2)
	v_and_b32_e32 v43, 7, v46
; %bb.400:                              ;   in Loop: Header=BB273_289 Depth=1
	s_wait_alu 0xfffe
	s_or_b32 exec_lo, exec_lo, s14
	v_lshlrev_b32_e32 v1, 8, v44
	v_lshl_add_u32 v44, v45, 10, 0x2000
	v_lshlrev_b32_e32 v43, 23, v43
	s_delay_alu instid0(VALU_DEP_2) | instskip(NEXT) | instid1(VALU_DEP_1)
	v_and_or_b32 v1, 0x8000, v1, v44
	v_lshl_or_b32 v43, v1, 16, v43
.LBB273_401:                            ;   in Loop: Header=BB273_289 Depth=1
	s_or_b32 exec_lo, exec_lo, s13
.LBB273_402:                            ;   in Loop: Header=BB273_289 Depth=1
	s_wait_alu 0xfffe
	s_or_b32 exec_lo, exec_lo, s7
.LBB273_403:                            ;   in Loop: Header=BB273_289 Depth=1
	s_wait_alu 0xfffe
	s_or_b32 exec_lo, exec_lo, s6
	v_lshrrev_b32_e32 v1, 16, v10
	s_mov_b32 s6, exec_lo
	s_delay_alu instid0(VALU_DEP_1) | instskip(NEXT) | instid1(VALU_DEP_1)
	v_and_b32_e32 v44, 0xff, v1
	v_cmpx_ne_u16_e32 0, v44
	s_cbranch_execz .LBB273_411
; %bb.404:                              ;   in Loop: Header=BB273_289 Depth=1
	v_mov_b32_e32 v41, 0x8000
	s_mov_b32 s7, exec_lo
	v_cmpx_ne_u16_e32 0x80, v44
	s_cbranch_execz .LBB273_410
; %bb.405:                              ;   in Loop: Header=BB273_289 Depth=1
	v_bfe_u32 v45, v10, 16, 7
	v_mov_b32_e32 v41, 0x7c01
	s_mov_b32 s13, exec_lo
	s_delay_alu instid0(VALU_DEP_2)
	v_cmpx_ne_u32_e32 0x7f, v45
	s_cbranch_execz .LBB273_409
; %bb.406:                              ;   in Loop: Header=BB273_289 Depth=1
	v_and_b32_e32 v41, 7, v1
	v_lshrrev_b32_e32 v44, 3, v45
	s_mov_b32 s14, exec_lo
	v_cmpx_gt_u32_e32 8, v45
; %bb.407:                              ;   in Loop: Header=BB273_289 Depth=1
	s_delay_alu instid0(VALU_DEP_3) | instskip(NEXT) | instid1(VALU_DEP_1)
	v_clz_i32_u32_e32 v41, v41
	v_min_u32_e32 v41, 32, v41
	s_delay_alu instid0(VALU_DEP_1) | instskip(NEXT) | instid1(VALU_DEP_1)
	v_subrev_nc_u32_e32 v44, 28, v41
	v_lshlrev_b64_e32 v[45:46], v44, v[1:2]
	v_sub_nc_u32_e32 v44, 29, v41
	s_delay_alu instid0(VALU_DEP_2)
	v_and_b32_e32 v41, 7, v45
; %bb.408:                              ;   in Loop: Header=BB273_289 Depth=1
	s_wait_alu 0xfffe
	s_or_b32 exec_lo, exec_lo, s14
	v_lshlrev_b32_e32 v1, 8, v1
	v_lshl_add_u32 v44, v44, 10, 0x2000
	v_lshlrev_b32_e32 v41, 7, v41
	s_delay_alu instid0(VALU_DEP_3) | instskip(NEXT) | instid1(VALU_DEP_3)
	v_and_b32_e32 v1, 0x8000, v1
	v_and_b32_e32 v44, 0xfc00, v44
	s_delay_alu instid0(VALU_DEP_1)
	v_or3_b32 v41, v1, v44, v41
.LBB273_409:                            ;   in Loop: Header=BB273_289 Depth=1
	s_or_b32 exec_lo, exec_lo, s13
.LBB273_410:                            ;   in Loop: Header=BB273_289 Depth=1
	s_wait_alu 0xfffe
	s_or_b32 exec_lo, exec_lo, s7
.LBB273_411:                            ;   in Loop: Header=BB273_289 Depth=1
	s_wait_alu 0xfffe
	s_or_b32 exec_lo, exec_lo, s6
	v_cmp_lt_u64_e64 s0, s[2:3], v[9:10]
	v_mov_b32_e32 v9, 0
	s_and_saveexec_b32 s6, s0
	s_cbranch_execz .LBB273_419
; %bb.412:                              ;   in Loop: Header=BB273_289 Depth=1
	v_lshrrev_b32_e32 v1, 24, v10
	v_bfrev_b32_e32 v9, 1
	s_mov_b32 s7, exec_lo
	s_delay_alu instid0(VALU_DEP_2)
	v_cmpx_ne_u32_e32 0x80, v1
	s_cbranch_execz .LBB273_418
; %bb.413:                              ;   in Loop: Header=BB273_289 Depth=1
	v_and_b32_e32 v44, 0x7f, v1
	v_mov_b32_e32 v9, 0x7c010000
	s_mov_b32 s13, exec_lo
	s_delay_alu instid0(VALU_DEP_2)
	v_cmpx_ne_u32_e32 0x7f, v44
	s_cbranch_execz .LBB273_417
; %bb.414:                              ;   in Loop: Header=BB273_289 Depth=1
	v_and_b32_e32 v9, 7, v1
	v_lshrrev_b32_e32 v10, 3, v44
	s_mov_b32 s14, exec_lo
	v_cmpx_gt_u32_e32 8, v44
; %bb.415:                              ;   in Loop: Header=BB273_289 Depth=1
	s_delay_alu instid0(VALU_DEP_3) | instskip(NEXT) | instid1(VALU_DEP_1)
	v_clz_i32_u32_e32 v9, v9
	v_min_u32_e32 v44, 32, v9
	s_delay_alu instid0(VALU_DEP_1) | instskip(NEXT) | instid1(VALU_DEP_1)
	v_subrev_nc_u32_e32 v9, 28, v44
	v_lshlrev_b64_e32 v[9:10], v9, v[1:2]
	v_sub_nc_u32_e32 v10, 29, v44
	s_delay_alu instid0(VALU_DEP_2)
	v_and_b32_e32 v9, 7, v9
; %bb.416:                              ;   in Loop: Header=BB273_289 Depth=1
	s_wait_alu 0xfffe
	s_or_b32 exec_lo, exec_lo, s14
	v_lshlrev_b32_e32 v1, 8, v1
	v_lshl_add_u32 v10, v10, 10, 0x2000
	v_lshlrev_b32_e32 v9, 23, v9
	s_delay_alu instid0(VALU_DEP_2) | instskip(NEXT) | instid1(VALU_DEP_1)
	v_and_or_b32 v1, 0x8000, v1, v10
	v_lshl_or_b32 v9, v1, 16, v9
.LBB273_417:                            ;   in Loop: Header=BB273_289 Depth=1
	s_or_b32 exec_lo, exec_lo, s13
.LBB273_418:                            ;   in Loop: Header=BB273_289 Depth=1
	s_wait_alu 0xfffe
	s_or_b32 exec_lo, exec_lo, s7
.LBB273_419:                            ;   in Loop: Header=BB273_289 Depth=1
	s_wait_alu 0xfffe
	s_or_b32 exec_lo, exec_lo, s6
	v_or_b32_e32 v1, v39, v40
	s_wait_loadcnt 0x0
	v_fma_mixlo_f16 v10, v36, v39, 0 op_sel:[0,1,0] op_sel_hi:[0,1,0]
	v_or_b32_e32 v39, v37, v38
	v_fma_mixlo_f16 v37, v36, v37, 0 op_sel:[0,1,0] op_sel_hi:[0,1,0]
	v_or_b32_e32 v40, v43, v42
	v_or_b32_e32 v41, v9, v41
	v_fma_mixlo_f16 v42, v36, v1, 0 op_sel_hi:[0,1,0]
	v_fma_mixlo_f16 v9, v36, v9, 0 op_sel:[0,1,0] op_sel_hi:[0,1,0]
	v_lshlrev_b32_e32 v38, 16, v37
	v_fma_mixlo_f16 v37, v36, v39, 0 op_sel_hi:[0,1,0]
	v_fma_mixlo_f16 v39, v36, v43, 0 op_sel:[0,1,0] op_sel_hi:[0,1,0]
	v_fma_mixlo_f16 v40, v36, v40, 0 op_sel_hi:[0,1,0]
	v_fma_mixlo_f16 v41, v36, v41, 0 op_sel_hi:[0,1,0]
	v_lshlrev_b32_e32 v1, 16, v10
	v_and_b32_e32 v10, 0xffff, v42
	v_and_b32_e32 v44, 0xffff, v37
	v_lshlrev_b32_e32 v36, 16, v39
	v_and_b32_e32 v40, 0xffff, v40
	v_lshlrev_b32_e32 v9, 16, v9
	v_and_b32_e32 v37, 0xffff, v41
	v_or_b32_e32 v39, v1, v10
	v_or_b32_e32 v43, v38, v44
	;; [unrolled: 1-line block ×3, first 2 shown]
	s_delay_alu instid0(VALU_DEP_4)
	v_or_b32_e32 v41, v9, v37
	s_and_saveexec_b32 s6, vcc_lo
	s_cbranch_execz .LBB273_421
; %bb.420:                              ;   in Loop: Header=BB273_289 Depth=1
	v_cmp_gt_i32_e64 s0, s27, v15
	s_wait_alu 0xf1ff
	s_delay_alu instid0(VALU_DEP_1) | instskip(SKIP_2) | instid1(VALU_DEP_1)
	v_cndmask_b32_e64 v39, 0, v44, s0
	v_cmp_gt_i32_e64 s0, s27, v29
	s_wait_alu 0xf1ff
	v_cndmask_b32_e64 v38, 0, v38, s0
	v_cmp_gt_i32_e64 s0, s27, v28
	s_delay_alu instid0(VALU_DEP_2) | instskip(SKIP_1) | instid1(VALU_DEP_2)
	v_or_b32_e32 v43, v38, v39
	s_wait_alu 0xf1ff
	v_cndmask_b32_e64 v10, 0, v10, s0
	v_cmp_gt_i32_e64 s0, s27, v27
	s_wait_alu 0xf1ff
	s_delay_alu instid0(VALU_DEP_1) | instskip(SKIP_1) | instid1(VALU_DEP_2)
	v_cndmask_b32_e64 v1, 0, v1, s0
	v_cmp_gt_i32_e64 s0, s27, v26
	v_or_b32_e32 v39, v1, v10
	s_wait_alu 0xf1ff
	s_delay_alu instid0(VALU_DEP_2) | instskip(SKIP_2) | instid1(VALU_DEP_1)
	v_cndmask_b32_e64 v40, 0, v40, s0
	v_cmp_gt_i32_e64 s0, s27, v25
	s_wait_alu 0xf1ff
	v_cndmask_b32_e64 v36, 0, v36, s0
	v_cmp_gt_i32_e64 s0, s27, v24
	s_delay_alu instid0(VALU_DEP_2) | instskip(SKIP_1) | instid1(VALU_DEP_2)
	v_or_b32_e32 v42, v36, v40
	s_wait_alu 0xf1ff
	v_cndmask_b32_e64 v37, 0, v37, s0
	v_cmp_gt_i32_e64 s0, s27, v22
	s_wait_alu 0xf1ff
	s_delay_alu instid0(VALU_DEP_1) | instskip(NEXT) | instid1(VALU_DEP_1)
	v_cndmask_b32_e64 v9, 0, v9, s0
	v_or_b32_e32 v41, v9, v37
.LBB273_421:                            ;   in Loop: Header=BB273_289 Depth=1
	s_wait_alu 0xfffe
	s_or_b32 exec_lo, exec_lo, s6
	;;#ASMSTART
	v_pk_mul_f16 v1, v34, v43;

	;;#ASMEND
	;;#ASMSTART
	v_pk_mul_f16 v9, v32, v39;

	;;#ASMEND
	;; [unrolled: 4-line block ×4, first 2 shown]
	;;#ASMSTART
	v_pk_add_f16 v1, v1, v9;

	;;#ASMEND
	;;#ASMSTART
	v_pk_add_f16 v1, v1, v10;

	;;#ASMEND
	;; [unrolled: 4-line block ×3, first 2 shown]
	v_dual_mov_b32 v40, 0 :: v_dual_and_b32 v9, 0xffff, v1
	v_lshrrev_b32_e32 v1, 16, v1
	;;#ASMSTART
	v_cvt_f32_f16 v36, v9;
	;;#ASMEND
	;;#ASMSTART
	v_cvt_f32_f16 v37, v1;
	;;#ASMEND
	global_load_b64 v[9:10], v[7:8], off offset:512
	v_mov_b32_e32 v39, 0
	s_mov_b32 s6, exec_lo
	global_load_b32 v38, v39, s[10:11]
	s_wait_loadcnt 0x1
	v_and_b32_e32 v1, 0xff, v9
	s_delay_alu instid0(VALU_DEP_1)
	v_cmpx_ne_u16_e32 0, v1
	s_cbranch_execz .LBB273_429
; %bb.422:                              ;   in Loop: Header=BB273_289 Depth=1
	v_mov_b32_e32 v40, 0x8000
	s_mov_b32 s7, exec_lo
	v_cmpx_ne_u16_e32 0x80, v1
	s_cbranch_execz .LBB273_428
; %bb.423:                              ;   in Loop: Header=BB273_289 Depth=1
	v_and_b32_e32 v41, 0x7f, v9
	v_mov_b32_e32 v40, 0x7c01
	s_mov_b32 s13, exec_lo
	s_delay_alu instid0(VALU_DEP_2)
	v_cmpx_ne_u32_e32 0x7f, v41
	s_cbranch_execz .LBB273_427
; %bb.424:                              ;   in Loop: Header=BB273_289 Depth=1
	v_and_b32_e32 v1, 7, v9
	v_lshrrev_b32_e32 v40, 3, v41
	s_mov_b32 s14, exec_lo
	v_cmpx_gt_u32_e32 8, v41
; %bb.425:                              ;   in Loop: Header=BB273_289 Depth=1
	s_delay_alu instid0(VALU_DEP_3) | instskip(NEXT) | instid1(VALU_DEP_1)
	v_clz_i32_u32_e32 v1, v1
	v_min_u32_e32 v1, 32, v1
	s_delay_alu instid0(VALU_DEP_1) | instskip(NEXT) | instid1(VALU_DEP_1)
	v_subrev_nc_u32_e32 v40, 28, v1
	v_lshlrev_b64_e32 v[41:42], v40, v[9:10]
	v_sub_nc_u32_e32 v40, 29, v1
	s_delay_alu instid0(VALU_DEP_2)
	v_and_b32_e32 v1, 7, v41
; %bb.426:                              ;   in Loop: Header=BB273_289 Depth=1
	s_wait_alu 0xfffe
	s_or_b32 exec_lo, exec_lo, s14
	v_lshlrev_b32_e32 v41, 8, v9
	v_lshl_add_u32 v40, v40, 10, 0x2000
	v_lshlrev_b32_e32 v1, 7, v1
	s_delay_alu instid0(VALU_DEP_3) | instskip(NEXT) | instid1(VALU_DEP_3)
	v_and_b32_e32 v41, 0x8000, v41
	v_and_b32_e32 v40, 0xfc00, v40
	s_delay_alu instid0(VALU_DEP_1)
	v_or3_b32 v40, v41, v40, v1
.LBB273_427:                            ;   in Loop: Header=BB273_289 Depth=1
	s_or_b32 exec_lo, exec_lo, s13
.LBB273_428:                            ;   in Loop: Header=BB273_289 Depth=1
	s_wait_alu 0xfffe
	s_or_b32 exec_lo, exec_lo, s7
.LBB273_429:                            ;   in Loop: Header=BB273_289 Depth=1
	s_wait_alu 0xfffe
	s_or_b32 exec_lo, exec_lo, s6
	v_lshrrev_b16 v1, 8, v9
	s_mov_b32 s6, exec_lo
	s_delay_alu instid0(VALU_DEP_1)
	v_cmpx_ne_u16_e32 0, v1
	s_cbranch_execz .LBB273_437
; %bb.430:                              ;   in Loop: Header=BB273_289 Depth=1
	v_bfrev_b32_e32 v39, 1
	s_mov_b32 s7, exec_lo
	v_cmpx_ne_u16_e32 0x80, v1
	s_cbranch_execz .LBB273_436
; %bb.431:                              ;   in Loop: Header=BB273_289 Depth=1
	v_and_b32_e32 v41, 0xffff, v1
	v_mov_b32_e32 v39, 0x7c010000
	s_mov_b32 s13, exec_lo
	s_delay_alu instid0(VALU_DEP_2) | instskip(NEXT) | instid1(VALU_DEP_1)
	v_and_b32_e32 v43, 0x7f, v41
	v_cmpx_ne_u32_e32 0x7f, v43
	s_cbranch_execz .LBB273_435
; %bb.432:                              ;   in Loop: Header=BB273_289 Depth=1
	v_and_b32_e32 v39, 7, v41
	v_lshrrev_b32_e32 v42, 3, v43
	s_mov_b32 s14, exec_lo
	v_cmpx_gt_u32_e32 8, v43
; %bb.433:                              ;   in Loop: Header=BB273_289 Depth=1
	s_delay_alu instid0(VALU_DEP_3) | instskip(NEXT) | instid1(VALU_DEP_1)
	v_clz_i32_u32_e32 v39, v39
	v_min_u32_e32 v39, 32, v39
	s_delay_alu instid0(VALU_DEP_1) | instskip(NEXT) | instid1(VALU_DEP_1)
	v_subrev_nc_u32_e32 v42, 28, v39
	v_lshlrev_b64_e32 v[43:44], v42, v[1:2]
	v_sub_nc_u32_e32 v42, 29, v39
	s_delay_alu instid0(VALU_DEP_2)
	v_and_b32_e32 v39, 7, v43
; %bb.434:                              ;   in Loop: Header=BB273_289 Depth=1
	s_wait_alu 0xfffe
	s_or_b32 exec_lo, exec_lo, s14
	v_lshlrev_b32_e32 v1, 8, v41
	v_lshl_add_u32 v41, v42, 10, 0x2000
	v_lshlrev_b32_e32 v39, 23, v39
	s_delay_alu instid0(VALU_DEP_2) | instskip(NEXT) | instid1(VALU_DEP_1)
	v_and_or_b32 v1, 0x8000, v1, v41
	v_lshl_or_b32 v39, v1, 16, v39
.LBB273_435:                            ;   in Loop: Header=BB273_289 Depth=1
	s_or_b32 exec_lo, exec_lo, s13
.LBB273_436:                            ;   in Loop: Header=BB273_289 Depth=1
	s_wait_alu 0xfffe
	s_or_b32 exec_lo, exec_lo, s7
.LBB273_437:                            ;   in Loop: Header=BB273_289 Depth=1
	s_wait_alu 0xfffe
	s_or_b32 exec_lo, exec_lo, s6
	v_lshrrev_b32_e32 v1, 16, v9
	v_mov_b32_e32 v41, 0
	s_mov_b32 s6, exec_lo
	s_delay_alu instid0(VALU_DEP_2) | instskip(NEXT) | instid1(VALU_DEP_1)
	v_dual_mov_b32 v42, 0 :: v_dual_and_b32 v43, 0xff, v1
	v_cmpx_ne_u16_e32 0, v43
	s_cbranch_execz .LBB273_445
; %bb.438:                              ;   in Loop: Header=BB273_289 Depth=1
	v_mov_b32_e32 v42, 0x8000
	s_mov_b32 s7, exec_lo
	v_cmpx_ne_u16_e32 0x80, v43
	s_cbranch_execz .LBB273_444
; %bb.439:                              ;   in Loop: Header=BB273_289 Depth=1
	v_bfe_u32 v44, v9, 16, 7
	v_mov_b32_e32 v42, 0x7c01
	s_mov_b32 s13, exec_lo
	s_delay_alu instid0(VALU_DEP_2)
	v_cmpx_ne_u32_e32 0x7f, v44
	s_cbranch_execz .LBB273_443
; %bb.440:                              ;   in Loop: Header=BB273_289 Depth=1
	v_and_b32_e32 v42, 7, v1
	v_lshrrev_b32_e32 v43, 3, v44
	s_mov_b32 s14, exec_lo
	v_cmpx_gt_u32_e32 8, v44
; %bb.441:                              ;   in Loop: Header=BB273_289 Depth=1
	s_delay_alu instid0(VALU_DEP_3) | instskip(NEXT) | instid1(VALU_DEP_1)
	v_clz_i32_u32_e32 v42, v42
	v_min_u32_e32 v44, 32, v42
	s_delay_alu instid0(VALU_DEP_1) | instskip(NEXT) | instid1(VALU_DEP_1)
	v_subrev_nc_u32_e32 v42, 28, v44
	v_lshlrev_b64_e32 v[42:43], v42, v[1:2]
	v_sub_nc_u32_e32 v43, 29, v44
	s_delay_alu instid0(VALU_DEP_2)
	v_and_b32_e32 v42, 7, v42
; %bb.442:                              ;   in Loop: Header=BB273_289 Depth=1
	s_wait_alu 0xfffe
	s_or_b32 exec_lo, exec_lo, s14
	v_lshlrev_b32_e32 v1, 8, v1
	v_lshl_add_u32 v43, v43, 10, 0x2000
	v_lshlrev_b32_e32 v42, 7, v42
	s_delay_alu instid0(VALU_DEP_3) | instskip(NEXT) | instid1(VALU_DEP_3)
	v_and_b32_e32 v1, 0x8000, v1
	v_and_b32_e32 v43, 0xfc00, v43
	s_delay_alu instid0(VALU_DEP_1)
	v_or3_b32 v42, v1, v43, v42
.LBB273_443:                            ;   in Loop: Header=BB273_289 Depth=1
	s_or_b32 exec_lo, exec_lo, s13
.LBB273_444:                            ;   in Loop: Header=BB273_289 Depth=1
	s_wait_alu 0xfffe
	s_or_b32 exec_lo, exec_lo, s7
.LBB273_445:                            ;   in Loop: Header=BB273_289 Depth=1
	s_wait_alu 0xfffe
	s_or_b32 exec_lo, exec_lo, s6
	s_delay_alu instid0(SALU_CYCLE_1)
	s_mov_b32 s6, exec_lo
	v_cmpx_lt_u32_e32 0xffffff, v9
	s_cbranch_execz .LBB273_453
; %bb.446:                              ;   in Loop: Header=BB273_289 Depth=1
	v_lshrrev_b32_e32 v1, 24, v9
	v_bfrev_b32_e32 v41, 1
	s_mov_b32 s7, exec_lo
	s_delay_alu instid0(VALU_DEP_2)
	v_cmpx_ne_u32_e32 0x80, v1
	s_cbranch_execz .LBB273_452
; %bb.447:                              ;   in Loop: Header=BB273_289 Depth=1
	v_and_b32_e32 v44, 0x7f, v1
	v_mov_b32_e32 v41, 0x7c010000
	s_mov_b32 s13, exec_lo
	s_delay_alu instid0(VALU_DEP_2)
	v_cmpx_ne_u32_e32 0x7f, v44
	s_cbranch_execz .LBB273_451
; %bb.448:                              ;   in Loop: Header=BB273_289 Depth=1
	v_and_b32_e32 v41, 7, v1
	v_lshrrev_b32_e32 v43, 3, v44
	s_mov_b32 s14, exec_lo
	v_cmpx_gt_u32_e32 8, v44
; %bb.449:                              ;   in Loop: Header=BB273_289 Depth=1
	s_delay_alu instid0(VALU_DEP_3) | instskip(NEXT) | instid1(VALU_DEP_1)
	v_clz_i32_u32_e32 v41, v41
	v_min_u32_e32 v41, 32, v41
	s_delay_alu instid0(VALU_DEP_1) | instskip(NEXT) | instid1(VALU_DEP_1)
	v_subrev_nc_u32_e32 v43, 28, v41
	v_lshlrev_b64_e32 v[44:45], v43, v[1:2]
	v_sub_nc_u32_e32 v43, 29, v41
	s_delay_alu instid0(VALU_DEP_2)
	v_and_b32_e32 v41, 7, v44
; %bb.450:                              ;   in Loop: Header=BB273_289 Depth=1
	s_wait_alu 0xfffe
	s_or_b32 exec_lo, exec_lo, s14
	v_lshlrev_b32_e32 v1, 8, v1
	v_lshl_add_u32 v43, v43, 10, 0x2000
	v_lshlrev_b32_e32 v41, 23, v41
	s_delay_alu instid0(VALU_DEP_2) | instskip(NEXT) | instid1(VALU_DEP_1)
	v_and_or_b32 v1, 0x8000, v1, v43
	v_lshl_or_b32 v41, v1, 16, v41
.LBB273_451:                            ;   in Loop: Header=BB273_289 Depth=1
	s_or_b32 exec_lo, exec_lo, s13
.LBB273_452:                            ;   in Loop: Header=BB273_289 Depth=1
	s_wait_alu 0xfffe
	s_or_b32 exec_lo, exec_lo, s7
.LBB273_453:                            ;   in Loop: Header=BB273_289 Depth=1
	s_wait_alu 0xfffe
	s_or_b32 exec_lo, exec_lo, s6
	v_dual_mov_b32 v44, 0 :: v_dual_and_b32 v45, 0xff, v10
	v_mov_b32_e32 v1, v10
	v_mov_b32_e32 v43, 0
	s_mov_b32 s6, exec_lo
	s_delay_alu instid0(VALU_DEP_3)
	v_cmpx_ne_u16_e32 0, v45
	s_cbranch_execz .LBB273_461
; %bb.454:                              ;   in Loop: Header=BB273_289 Depth=1
	v_mov_b32_e32 v44, 0x8000
	s_mov_b32 s7, exec_lo
	v_cmpx_ne_u16_e32 0x80, v45
	s_cbranch_execz .LBB273_460
; %bb.455:                              ;   in Loop: Header=BB273_289 Depth=1
	v_and_b32_e32 v46, 0x7f, v10
	v_mov_b32_e32 v44, 0x7c01
	s_mov_b32 s13, exec_lo
	s_delay_alu instid0(VALU_DEP_2)
	v_cmpx_ne_u32_e32 0x7f, v46
	s_cbranch_execz .LBB273_459
; %bb.456:                              ;   in Loop: Header=BB273_289 Depth=1
	v_and_b32_e32 v44, 7, v10
	v_lshrrev_b32_e32 v45, 3, v46
	s_mov_b32 s14, exec_lo
	v_cmpx_gt_u32_e32 8, v46
; %bb.457:                              ;   in Loop: Header=BB273_289 Depth=1
	s_delay_alu instid0(VALU_DEP_3) | instskip(NEXT) | instid1(VALU_DEP_1)
	v_clz_i32_u32_e32 v44, v44
	v_min_u32_e32 v46, 32, v44
	s_delay_alu instid0(VALU_DEP_1) | instskip(NEXT) | instid1(VALU_DEP_1)
	v_subrev_nc_u32_e32 v44, 28, v46
	v_lshlrev_b64_e32 v[44:45], v44, v[1:2]
	v_sub_nc_u32_e32 v45, 29, v46
	s_delay_alu instid0(VALU_DEP_2)
	v_and_b32_e32 v44, 7, v44
; %bb.458:                              ;   in Loop: Header=BB273_289 Depth=1
	s_wait_alu 0xfffe
	s_or_b32 exec_lo, exec_lo, s14
	v_lshlrev_b32_e32 v46, 8, v10
	v_lshl_add_u32 v45, v45, 10, 0x2000
	v_lshlrev_b32_e32 v44, 7, v44
	s_delay_alu instid0(VALU_DEP_3) | instskip(NEXT) | instid1(VALU_DEP_3)
	v_and_b32_e32 v46, 0x8000, v46
	v_and_b32_e32 v45, 0xfc00, v45
	s_delay_alu instid0(VALU_DEP_1)
	v_or3_b32 v44, v46, v45, v44
.LBB273_459:                            ;   in Loop: Header=BB273_289 Depth=1
	s_or_b32 exec_lo, exec_lo, s13
.LBB273_460:                            ;   in Loop: Header=BB273_289 Depth=1
	s_wait_alu 0xfffe
	s_or_b32 exec_lo, exec_lo, s7
.LBB273_461:                            ;   in Loop: Header=BB273_289 Depth=1
	s_wait_alu 0xfffe
	s_or_b32 exec_lo, exec_lo, s6
	v_lshrrev_b16 v1, 8, v1
	v_mov_b32_e32 v45, 0
	s_mov_b32 s6, exec_lo
	s_delay_alu instid0(VALU_DEP_2)
	v_cmpx_ne_u16_e32 0, v1
	s_cbranch_execz .LBB273_469
; %bb.462:                              ;   in Loop: Header=BB273_289 Depth=1
	v_bfrev_b32_e32 v45, 1
	s_mov_b32 s7, exec_lo
	v_cmpx_ne_u16_e32 0x80, v1
	s_cbranch_execz .LBB273_468
; %bb.463:                              ;   in Loop: Header=BB273_289 Depth=1
	v_and_b32_e32 v46, 0xffff, v1
	v_mov_b32_e32 v45, 0x7c010000
	s_mov_b32 s13, exec_lo
	s_delay_alu instid0(VALU_DEP_2) | instskip(NEXT) | instid1(VALU_DEP_1)
	v_and_b32_e32 v48, 0x7f, v46
	v_cmpx_ne_u32_e32 0x7f, v48
	s_cbranch_execz .LBB273_467
; %bb.464:                              ;   in Loop: Header=BB273_289 Depth=1
	v_and_b32_e32 v45, 7, v46
	v_lshrrev_b32_e32 v47, 3, v48
	s_mov_b32 s14, exec_lo
	v_cmpx_gt_u32_e32 8, v48
; %bb.465:                              ;   in Loop: Header=BB273_289 Depth=1
	s_delay_alu instid0(VALU_DEP_3) | instskip(NEXT) | instid1(VALU_DEP_1)
	v_clz_i32_u32_e32 v45, v45
	v_min_u32_e32 v45, 32, v45
	s_delay_alu instid0(VALU_DEP_1) | instskip(NEXT) | instid1(VALU_DEP_1)
	v_subrev_nc_u32_e32 v47, 28, v45
	v_lshlrev_b64_e32 v[48:49], v47, v[1:2]
	v_sub_nc_u32_e32 v47, 29, v45
	s_delay_alu instid0(VALU_DEP_2)
	v_and_b32_e32 v45, 7, v48
; %bb.466:                              ;   in Loop: Header=BB273_289 Depth=1
	s_wait_alu 0xfffe
	s_or_b32 exec_lo, exec_lo, s14
	v_lshlrev_b32_e32 v1, 8, v46
	v_lshl_add_u32 v46, v47, 10, 0x2000
	v_lshlrev_b32_e32 v45, 23, v45
	s_delay_alu instid0(VALU_DEP_2) | instskip(NEXT) | instid1(VALU_DEP_1)
	v_and_or_b32 v1, 0x8000, v1, v46
	v_lshl_or_b32 v45, v1, 16, v45
.LBB273_467:                            ;   in Loop: Header=BB273_289 Depth=1
	s_or_b32 exec_lo, exec_lo, s13
.LBB273_468:                            ;   in Loop: Header=BB273_289 Depth=1
	s_wait_alu 0xfffe
	s_or_b32 exec_lo, exec_lo, s7
.LBB273_469:                            ;   in Loop: Header=BB273_289 Depth=1
	s_wait_alu 0xfffe
	s_or_b32 exec_lo, exec_lo, s6
	v_lshrrev_b32_e32 v1, 16, v10
	s_mov_b32 s6, exec_lo
	s_delay_alu instid0(VALU_DEP_1) | instskip(NEXT) | instid1(VALU_DEP_1)
	v_and_b32_e32 v46, 0xff, v1
	v_cmpx_ne_u16_e32 0, v46
	s_cbranch_execz .LBB273_477
; %bb.470:                              ;   in Loop: Header=BB273_289 Depth=1
	v_mov_b32_e32 v43, 0x8000
	s_mov_b32 s7, exec_lo
	v_cmpx_ne_u16_e32 0x80, v46
	s_cbranch_execz .LBB273_476
; %bb.471:                              ;   in Loop: Header=BB273_289 Depth=1
	v_bfe_u32 v47, v10, 16, 7
	v_mov_b32_e32 v43, 0x7c01
	s_mov_b32 s13, exec_lo
	s_delay_alu instid0(VALU_DEP_2)
	v_cmpx_ne_u32_e32 0x7f, v47
	s_cbranch_execz .LBB273_475
; %bb.472:                              ;   in Loop: Header=BB273_289 Depth=1
	v_and_b32_e32 v43, 7, v1
	v_lshrrev_b32_e32 v46, 3, v47
	s_mov_b32 s14, exec_lo
	v_cmpx_gt_u32_e32 8, v47
; %bb.473:                              ;   in Loop: Header=BB273_289 Depth=1
	s_delay_alu instid0(VALU_DEP_3) | instskip(NEXT) | instid1(VALU_DEP_1)
	v_clz_i32_u32_e32 v43, v43
	v_min_u32_e32 v43, 32, v43
	s_delay_alu instid0(VALU_DEP_1) | instskip(NEXT) | instid1(VALU_DEP_1)
	v_subrev_nc_u32_e32 v46, 28, v43
	v_lshlrev_b64_e32 v[47:48], v46, v[1:2]
	v_sub_nc_u32_e32 v46, 29, v43
	s_delay_alu instid0(VALU_DEP_2)
	v_and_b32_e32 v43, 7, v47
; %bb.474:                              ;   in Loop: Header=BB273_289 Depth=1
	s_wait_alu 0xfffe
	s_or_b32 exec_lo, exec_lo, s14
	v_lshlrev_b32_e32 v1, 8, v1
	v_lshl_add_u32 v46, v46, 10, 0x2000
	v_lshlrev_b32_e32 v43, 7, v43
	s_delay_alu instid0(VALU_DEP_3) | instskip(NEXT) | instid1(VALU_DEP_3)
	v_and_b32_e32 v1, 0x8000, v1
	v_and_b32_e32 v46, 0xfc00, v46
	s_delay_alu instid0(VALU_DEP_1)
	v_or3_b32 v43, v1, v46, v43
.LBB273_475:                            ;   in Loop: Header=BB273_289 Depth=1
	s_or_b32 exec_lo, exec_lo, s13
.LBB273_476:                            ;   in Loop: Header=BB273_289 Depth=1
	s_wait_alu 0xfffe
	s_or_b32 exec_lo, exec_lo, s7
.LBB273_477:                            ;   in Loop: Header=BB273_289 Depth=1
	s_wait_alu 0xfffe
	s_or_b32 exec_lo, exec_lo, s6
	v_cmp_lt_u64_e64 s0, s[2:3], v[9:10]
	v_mov_b32_e32 v9, 0
	s_and_saveexec_b32 s6, s0
	s_cbranch_execz .LBB273_485
; %bb.478:                              ;   in Loop: Header=BB273_289 Depth=1
	v_lshrrev_b32_e32 v1, 24, v10
	v_bfrev_b32_e32 v9, 1
	s_mov_b32 s7, exec_lo
	s_delay_alu instid0(VALU_DEP_2)
	v_cmpx_ne_u32_e32 0x80, v1
	s_cbranch_execz .LBB273_484
; %bb.479:                              ;   in Loop: Header=BB273_289 Depth=1
	v_and_b32_e32 v46, 0x7f, v1
	v_mov_b32_e32 v9, 0x7c010000
	s_mov_b32 s13, exec_lo
	s_delay_alu instid0(VALU_DEP_2)
	v_cmpx_ne_u32_e32 0x7f, v46
	s_cbranch_execz .LBB273_483
; %bb.480:                              ;   in Loop: Header=BB273_289 Depth=1
	v_and_b32_e32 v9, 7, v1
	v_lshrrev_b32_e32 v10, 3, v46
	s_mov_b32 s14, exec_lo
	v_cmpx_gt_u32_e32 8, v46
; %bb.481:                              ;   in Loop: Header=BB273_289 Depth=1
	s_delay_alu instid0(VALU_DEP_3) | instskip(NEXT) | instid1(VALU_DEP_1)
	v_clz_i32_u32_e32 v9, v9
	v_min_u32_e32 v46, 32, v9
	s_delay_alu instid0(VALU_DEP_1) | instskip(NEXT) | instid1(VALU_DEP_1)
	v_subrev_nc_u32_e32 v9, 28, v46
	v_lshlrev_b64_e32 v[9:10], v9, v[1:2]
	v_sub_nc_u32_e32 v10, 29, v46
	s_delay_alu instid0(VALU_DEP_2)
	v_and_b32_e32 v9, 7, v9
; %bb.482:                              ;   in Loop: Header=BB273_289 Depth=1
	s_wait_alu 0xfffe
	s_or_b32 exec_lo, exec_lo, s14
	v_lshlrev_b32_e32 v1, 8, v1
	v_lshl_add_u32 v10, v10, 10, 0x2000
	v_lshlrev_b32_e32 v9, 23, v9
	s_delay_alu instid0(VALU_DEP_2) | instskip(NEXT) | instid1(VALU_DEP_1)
	v_and_or_b32 v1, 0x8000, v1, v10
	v_lshl_or_b32 v9, v1, 16, v9
.LBB273_483:                            ;   in Loop: Header=BB273_289 Depth=1
	s_or_b32 exec_lo, exec_lo, s13
.LBB273_484:                            ;   in Loop: Header=BB273_289 Depth=1
	s_wait_alu 0xfffe
	s_or_b32 exec_lo, exec_lo, s7
.LBB273_485:                            ;   in Loop: Header=BB273_289 Depth=1
	s_wait_alu 0xfffe
	s_or_b32 exec_lo, exec_lo, s6
	v_or_b32_e32 v1, v41, v42
	s_wait_loadcnt 0x0
	v_fma_mixlo_f16 v10, v38, v41, 0 op_sel:[0,1,0] op_sel_hi:[0,1,0]
	v_or_b32_e32 v41, v39, v40
	v_fma_mixlo_f16 v39, v38, v39, 0 op_sel:[0,1,0] op_sel_hi:[0,1,0]
	v_or_b32_e32 v42, v45, v44
	v_or_b32_e32 v43, v9, v43
	v_fma_mixlo_f16 v44, v38, v1, 0 op_sel_hi:[0,1,0]
	v_fma_mixlo_f16 v9, v38, v9, 0 op_sel:[0,1,0] op_sel_hi:[0,1,0]
	v_lshlrev_b32_e32 v40, 16, v39
	v_fma_mixlo_f16 v39, v38, v41, 0 op_sel_hi:[0,1,0]
	v_fma_mixlo_f16 v41, v38, v45, 0 op_sel:[0,1,0] op_sel_hi:[0,1,0]
	v_fma_mixlo_f16 v42, v38, v42, 0 op_sel_hi:[0,1,0]
	v_fma_mixlo_f16 v43, v38, v43, 0 op_sel_hi:[0,1,0]
	v_lshlrev_b32_e32 v1, 16, v10
	v_and_b32_e32 v10, 0xffff, v44
	v_and_b32_e32 v46, 0xffff, v39
	v_lshlrev_b32_e32 v38, 16, v41
	v_and_b32_e32 v42, 0xffff, v42
	v_lshlrev_b32_e32 v9, 16, v9
	v_and_b32_e32 v39, 0xffff, v43
	v_or_b32_e32 v41, v1, v10
	v_or_b32_e32 v45, v40, v46
	;; [unrolled: 1-line block ×3, first 2 shown]
	s_delay_alu instid0(VALU_DEP_4)
	v_or_b32_e32 v43, v9, v39
	s_and_saveexec_b32 s6, vcc_lo
	s_cbranch_execz .LBB273_487
; %bb.486:                              ;   in Loop: Header=BB273_289 Depth=1
	v_cmp_gt_i32_e64 s0, s27, v15
	s_wait_alu 0xf1ff
	s_delay_alu instid0(VALU_DEP_1) | instskip(SKIP_2) | instid1(VALU_DEP_1)
	v_cndmask_b32_e64 v41, 0, v46, s0
	v_cmp_gt_i32_e64 s0, s27, v29
	s_wait_alu 0xf1ff
	v_cndmask_b32_e64 v40, 0, v40, s0
	v_cmp_gt_i32_e64 s0, s27, v28
	s_delay_alu instid0(VALU_DEP_2) | instskip(SKIP_1) | instid1(VALU_DEP_2)
	v_or_b32_e32 v45, v40, v41
	s_wait_alu 0xf1ff
	v_cndmask_b32_e64 v10, 0, v10, s0
	v_cmp_gt_i32_e64 s0, s27, v27
	s_wait_alu 0xf1ff
	s_delay_alu instid0(VALU_DEP_1) | instskip(SKIP_1) | instid1(VALU_DEP_2)
	v_cndmask_b32_e64 v1, 0, v1, s0
	v_cmp_gt_i32_e64 s0, s27, v26
	v_or_b32_e32 v41, v1, v10
	s_wait_alu 0xf1ff
	s_delay_alu instid0(VALU_DEP_2) | instskip(SKIP_2) | instid1(VALU_DEP_1)
	v_cndmask_b32_e64 v42, 0, v42, s0
	v_cmp_gt_i32_e64 s0, s27, v25
	s_wait_alu 0xf1ff
	v_cndmask_b32_e64 v38, 0, v38, s0
	v_cmp_gt_i32_e64 s0, s27, v24
	s_delay_alu instid0(VALU_DEP_2) | instskip(SKIP_1) | instid1(VALU_DEP_2)
	v_or_b32_e32 v44, v38, v42
	s_wait_alu 0xf1ff
	v_cndmask_b32_e64 v39, 0, v39, s0
	v_cmp_gt_i32_e64 s0, s27, v22
	s_wait_alu 0xf1ff
	s_delay_alu instid0(VALU_DEP_1) | instskip(NEXT) | instid1(VALU_DEP_1)
	v_cndmask_b32_e64 v9, 0, v9, s0
	v_or_b32_e32 v43, v9, v39
.LBB273_487:                            ;   in Loop: Header=BB273_289 Depth=1
	s_wait_alu 0xfffe
	s_or_b32 exec_lo, exec_lo, s6
	;;#ASMSTART
	v_pk_mul_f16 v1, v34, v45;

	;;#ASMEND
	;;#ASMSTART
	v_pk_mul_f16 v9, v32, v41;

	;;#ASMEND
	;; [unrolled: 4-line block ×4, first 2 shown]
	;;#ASMSTART
	v_pk_add_f16 v1, v1, v9;

	;;#ASMEND
	;;#ASMSTART
	v_pk_add_f16 v1, v1, v10;

	;;#ASMEND
	;; [unrolled: 4-line block ×3, first 2 shown]
	v_dual_mov_b32 v40, 0 :: v_dual_and_b32 v9, 0xffff, v1
	v_lshrrev_b32_e32 v1, 16, v1
	;;#ASMSTART
	v_cvt_f32_f16 v9, v9;
	;;#ASMEND
	;;#ASMSTART
	v_cvt_f32_f16 v10, v1;
	;;#ASMEND
	global_load_b64 v[7:8], v[7:8], off offset:768
	v_mov_b32_e32 v39, 0
	s_mov_b32 s6, exec_lo
	global_load_b32 v38, v39, s[10:11]
	s_wait_loadcnt 0x1
	v_and_b32_e32 v1, 0xff, v7
	s_delay_alu instid0(VALU_DEP_1)
	v_cmpx_ne_u16_e32 0, v1
	s_cbranch_execz .LBB273_495
; %bb.488:                              ;   in Loop: Header=BB273_289 Depth=1
	v_mov_b32_e32 v40, 0x8000
	s_mov_b32 s7, exec_lo
	v_cmpx_ne_u16_e32 0x80, v1
	s_cbranch_execz .LBB273_494
; %bb.489:                              ;   in Loop: Header=BB273_289 Depth=1
	v_and_b32_e32 v41, 0x7f, v7
	v_mov_b32_e32 v40, 0x7c01
	s_mov_b32 s13, exec_lo
	s_delay_alu instid0(VALU_DEP_2)
	v_cmpx_ne_u32_e32 0x7f, v41
	s_cbranch_execz .LBB273_493
; %bb.490:                              ;   in Loop: Header=BB273_289 Depth=1
	v_and_b32_e32 v1, 7, v7
	v_lshrrev_b32_e32 v40, 3, v41
	s_mov_b32 s14, exec_lo
	v_cmpx_gt_u32_e32 8, v41
; %bb.491:                              ;   in Loop: Header=BB273_289 Depth=1
	s_delay_alu instid0(VALU_DEP_3) | instskip(NEXT) | instid1(VALU_DEP_1)
	v_clz_i32_u32_e32 v1, v1
	v_min_u32_e32 v1, 32, v1
	s_delay_alu instid0(VALU_DEP_1) | instskip(NEXT) | instid1(VALU_DEP_1)
	v_subrev_nc_u32_e32 v40, 28, v1
	v_lshlrev_b64_e32 v[41:42], v40, v[7:8]
	v_sub_nc_u32_e32 v40, 29, v1
	s_delay_alu instid0(VALU_DEP_2)
	v_and_b32_e32 v1, 7, v41
; %bb.492:                              ;   in Loop: Header=BB273_289 Depth=1
	s_wait_alu 0xfffe
	s_or_b32 exec_lo, exec_lo, s14
	v_lshlrev_b32_e32 v41, 8, v7
	v_lshl_add_u32 v40, v40, 10, 0x2000
	v_lshlrev_b32_e32 v1, 7, v1
	s_delay_alu instid0(VALU_DEP_3) | instskip(NEXT) | instid1(VALU_DEP_3)
	v_and_b32_e32 v41, 0x8000, v41
	v_and_b32_e32 v40, 0xfc00, v40
	s_delay_alu instid0(VALU_DEP_1)
	v_or3_b32 v40, v41, v40, v1
.LBB273_493:                            ;   in Loop: Header=BB273_289 Depth=1
	s_or_b32 exec_lo, exec_lo, s13
.LBB273_494:                            ;   in Loop: Header=BB273_289 Depth=1
	s_wait_alu 0xfffe
	s_or_b32 exec_lo, exec_lo, s7
.LBB273_495:                            ;   in Loop: Header=BB273_289 Depth=1
	s_wait_alu 0xfffe
	s_or_b32 exec_lo, exec_lo, s6
	v_lshrrev_b16 v1, 8, v7
	s_mov_b32 s6, exec_lo
	s_delay_alu instid0(VALU_DEP_1)
	v_cmpx_ne_u16_e32 0, v1
	s_cbranch_execz .LBB273_503
; %bb.496:                              ;   in Loop: Header=BB273_289 Depth=1
	v_bfrev_b32_e32 v39, 1
	s_mov_b32 s7, exec_lo
	v_cmpx_ne_u16_e32 0x80, v1
	s_cbranch_execz .LBB273_502
; %bb.497:                              ;   in Loop: Header=BB273_289 Depth=1
	v_and_b32_e32 v41, 0xffff, v1
	v_mov_b32_e32 v39, 0x7c010000
	s_mov_b32 s13, exec_lo
	s_delay_alu instid0(VALU_DEP_2) | instskip(NEXT) | instid1(VALU_DEP_1)
	v_and_b32_e32 v43, 0x7f, v41
	v_cmpx_ne_u32_e32 0x7f, v43
	s_cbranch_execz .LBB273_501
; %bb.498:                              ;   in Loop: Header=BB273_289 Depth=1
	v_and_b32_e32 v39, 7, v41
	v_lshrrev_b32_e32 v42, 3, v43
	s_mov_b32 s14, exec_lo
	v_cmpx_gt_u32_e32 8, v43
; %bb.499:                              ;   in Loop: Header=BB273_289 Depth=1
	s_delay_alu instid0(VALU_DEP_3) | instskip(NEXT) | instid1(VALU_DEP_1)
	v_clz_i32_u32_e32 v39, v39
	v_min_u32_e32 v39, 32, v39
	s_delay_alu instid0(VALU_DEP_1) | instskip(NEXT) | instid1(VALU_DEP_1)
	v_subrev_nc_u32_e32 v42, 28, v39
	v_lshlrev_b64_e32 v[43:44], v42, v[1:2]
	v_sub_nc_u32_e32 v42, 29, v39
	s_delay_alu instid0(VALU_DEP_2)
	v_and_b32_e32 v39, 7, v43
; %bb.500:                              ;   in Loop: Header=BB273_289 Depth=1
	s_wait_alu 0xfffe
	s_or_b32 exec_lo, exec_lo, s14
	v_lshlrev_b32_e32 v1, 8, v41
	v_lshl_add_u32 v41, v42, 10, 0x2000
	v_lshlrev_b32_e32 v39, 23, v39
	s_delay_alu instid0(VALU_DEP_2) | instskip(NEXT) | instid1(VALU_DEP_1)
	v_and_or_b32 v1, 0x8000, v1, v41
	v_lshl_or_b32 v39, v1, 16, v39
.LBB273_501:                            ;   in Loop: Header=BB273_289 Depth=1
	s_or_b32 exec_lo, exec_lo, s13
.LBB273_502:                            ;   in Loop: Header=BB273_289 Depth=1
	s_wait_alu 0xfffe
	s_or_b32 exec_lo, exec_lo, s7
.LBB273_503:                            ;   in Loop: Header=BB273_289 Depth=1
	s_wait_alu 0xfffe
	s_or_b32 exec_lo, exec_lo, s6
	v_lshrrev_b32_e32 v1, 16, v7
	v_mov_b32_e32 v41, 0
	s_mov_b32 s6, exec_lo
	s_delay_alu instid0(VALU_DEP_2) | instskip(NEXT) | instid1(VALU_DEP_1)
	v_dual_mov_b32 v42, 0 :: v_dual_and_b32 v43, 0xff, v1
	v_cmpx_ne_u16_e32 0, v43
	s_cbranch_execz .LBB273_511
; %bb.504:                              ;   in Loop: Header=BB273_289 Depth=1
	v_mov_b32_e32 v42, 0x8000
	s_mov_b32 s7, exec_lo
	v_cmpx_ne_u16_e32 0x80, v43
	s_cbranch_execz .LBB273_510
; %bb.505:                              ;   in Loop: Header=BB273_289 Depth=1
	v_bfe_u32 v44, v7, 16, 7
	v_mov_b32_e32 v42, 0x7c01
	s_mov_b32 s13, exec_lo
	s_delay_alu instid0(VALU_DEP_2)
	v_cmpx_ne_u32_e32 0x7f, v44
	s_cbranch_execz .LBB273_509
; %bb.506:                              ;   in Loop: Header=BB273_289 Depth=1
	v_and_b32_e32 v42, 7, v1
	v_lshrrev_b32_e32 v43, 3, v44
	s_mov_b32 s14, exec_lo
	v_cmpx_gt_u32_e32 8, v44
; %bb.507:                              ;   in Loop: Header=BB273_289 Depth=1
	s_delay_alu instid0(VALU_DEP_3) | instskip(NEXT) | instid1(VALU_DEP_1)
	v_clz_i32_u32_e32 v42, v42
	v_min_u32_e32 v44, 32, v42
	s_delay_alu instid0(VALU_DEP_1) | instskip(NEXT) | instid1(VALU_DEP_1)
	v_subrev_nc_u32_e32 v42, 28, v44
	v_lshlrev_b64_e32 v[42:43], v42, v[1:2]
	v_sub_nc_u32_e32 v43, 29, v44
	s_delay_alu instid0(VALU_DEP_2)
	v_and_b32_e32 v42, 7, v42
; %bb.508:                              ;   in Loop: Header=BB273_289 Depth=1
	s_wait_alu 0xfffe
	s_or_b32 exec_lo, exec_lo, s14
	v_lshlrev_b32_e32 v1, 8, v1
	v_lshl_add_u32 v43, v43, 10, 0x2000
	v_lshlrev_b32_e32 v42, 7, v42
	s_delay_alu instid0(VALU_DEP_3) | instskip(NEXT) | instid1(VALU_DEP_3)
	v_and_b32_e32 v1, 0x8000, v1
	v_and_b32_e32 v43, 0xfc00, v43
	s_delay_alu instid0(VALU_DEP_1)
	v_or3_b32 v42, v1, v43, v42
.LBB273_509:                            ;   in Loop: Header=BB273_289 Depth=1
	s_or_b32 exec_lo, exec_lo, s13
.LBB273_510:                            ;   in Loop: Header=BB273_289 Depth=1
	s_wait_alu 0xfffe
	s_or_b32 exec_lo, exec_lo, s7
.LBB273_511:                            ;   in Loop: Header=BB273_289 Depth=1
	s_wait_alu 0xfffe
	s_or_b32 exec_lo, exec_lo, s6
	s_delay_alu instid0(SALU_CYCLE_1)
	s_mov_b32 s6, exec_lo
	v_cmpx_lt_u32_e32 0xffffff, v7
	s_cbranch_execz .LBB273_519
; %bb.512:                              ;   in Loop: Header=BB273_289 Depth=1
	v_lshrrev_b32_e32 v1, 24, v7
	v_bfrev_b32_e32 v41, 1
	s_mov_b32 s7, exec_lo
	s_delay_alu instid0(VALU_DEP_2)
	v_cmpx_ne_u32_e32 0x80, v1
	s_cbranch_execz .LBB273_518
; %bb.513:                              ;   in Loop: Header=BB273_289 Depth=1
	v_and_b32_e32 v44, 0x7f, v1
	v_mov_b32_e32 v41, 0x7c010000
	s_mov_b32 s13, exec_lo
	s_delay_alu instid0(VALU_DEP_2)
	v_cmpx_ne_u32_e32 0x7f, v44
	s_cbranch_execz .LBB273_517
; %bb.514:                              ;   in Loop: Header=BB273_289 Depth=1
	v_and_b32_e32 v41, 7, v1
	v_lshrrev_b32_e32 v43, 3, v44
	s_mov_b32 s14, exec_lo
	v_cmpx_gt_u32_e32 8, v44
; %bb.515:                              ;   in Loop: Header=BB273_289 Depth=1
	s_delay_alu instid0(VALU_DEP_3) | instskip(NEXT) | instid1(VALU_DEP_1)
	v_clz_i32_u32_e32 v41, v41
	v_min_u32_e32 v41, 32, v41
	s_delay_alu instid0(VALU_DEP_1) | instskip(NEXT) | instid1(VALU_DEP_1)
	v_subrev_nc_u32_e32 v43, 28, v41
	v_lshlrev_b64_e32 v[44:45], v43, v[1:2]
	v_sub_nc_u32_e32 v43, 29, v41
	s_delay_alu instid0(VALU_DEP_2)
	v_and_b32_e32 v41, 7, v44
; %bb.516:                              ;   in Loop: Header=BB273_289 Depth=1
	s_wait_alu 0xfffe
	s_or_b32 exec_lo, exec_lo, s14
	v_lshlrev_b32_e32 v1, 8, v1
	v_lshl_add_u32 v43, v43, 10, 0x2000
	v_lshlrev_b32_e32 v41, 23, v41
	s_delay_alu instid0(VALU_DEP_2) | instskip(NEXT) | instid1(VALU_DEP_1)
	v_and_or_b32 v1, 0x8000, v1, v43
	v_lshl_or_b32 v41, v1, 16, v41
.LBB273_517:                            ;   in Loop: Header=BB273_289 Depth=1
	s_or_b32 exec_lo, exec_lo, s13
.LBB273_518:                            ;   in Loop: Header=BB273_289 Depth=1
	s_wait_alu 0xfffe
	s_or_b32 exec_lo, exec_lo, s7
.LBB273_519:                            ;   in Loop: Header=BB273_289 Depth=1
	s_wait_alu 0xfffe
	s_or_b32 exec_lo, exec_lo, s6
	v_dual_mov_b32 v44, 0 :: v_dual_and_b32 v45, 0xff, v8
	v_mov_b32_e32 v1, v8
	v_mov_b32_e32 v43, 0
	s_mov_b32 s6, exec_lo
	s_delay_alu instid0(VALU_DEP_3)
	v_cmpx_ne_u16_e32 0, v45
	s_cbranch_execz .LBB273_527
; %bb.520:                              ;   in Loop: Header=BB273_289 Depth=1
	v_mov_b32_e32 v44, 0x8000
	s_mov_b32 s7, exec_lo
	v_cmpx_ne_u16_e32 0x80, v45
	s_cbranch_execz .LBB273_526
; %bb.521:                              ;   in Loop: Header=BB273_289 Depth=1
	v_and_b32_e32 v46, 0x7f, v8
	v_mov_b32_e32 v44, 0x7c01
	s_mov_b32 s13, exec_lo
	s_delay_alu instid0(VALU_DEP_2)
	v_cmpx_ne_u32_e32 0x7f, v46
	s_cbranch_execz .LBB273_525
; %bb.522:                              ;   in Loop: Header=BB273_289 Depth=1
	v_and_b32_e32 v44, 7, v8
	v_lshrrev_b32_e32 v45, 3, v46
	s_mov_b32 s14, exec_lo
	v_cmpx_gt_u32_e32 8, v46
; %bb.523:                              ;   in Loop: Header=BB273_289 Depth=1
	s_delay_alu instid0(VALU_DEP_3) | instskip(NEXT) | instid1(VALU_DEP_1)
	v_clz_i32_u32_e32 v44, v44
	v_min_u32_e32 v46, 32, v44
	s_delay_alu instid0(VALU_DEP_1) | instskip(NEXT) | instid1(VALU_DEP_1)
	v_subrev_nc_u32_e32 v44, 28, v46
	v_lshlrev_b64_e32 v[44:45], v44, v[1:2]
	v_sub_nc_u32_e32 v45, 29, v46
	s_delay_alu instid0(VALU_DEP_2)
	v_and_b32_e32 v44, 7, v44
; %bb.524:                              ;   in Loop: Header=BB273_289 Depth=1
	s_wait_alu 0xfffe
	s_or_b32 exec_lo, exec_lo, s14
	v_lshlrev_b32_e32 v46, 8, v8
	v_lshl_add_u32 v45, v45, 10, 0x2000
	v_lshlrev_b32_e32 v44, 7, v44
	s_delay_alu instid0(VALU_DEP_3) | instskip(NEXT) | instid1(VALU_DEP_3)
	v_and_b32_e32 v46, 0x8000, v46
	v_and_b32_e32 v45, 0xfc00, v45
	s_delay_alu instid0(VALU_DEP_1)
	v_or3_b32 v44, v46, v45, v44
.LBB273_525:                            ;   in Loop: Header=BB273_289 Depth=1
	s_or_b32 exec_lo, exec_lo, s13
.LBB273_526:                            ;   in Loop: Header=BB273_289 Depth=1
	s_wait_alu 0xfffe
	s_or_b32 exec_lo, exec_lo, s7
.LBB273_527:                            ;   in Loop: Header=BB273_289 Depth=1
	s_wait_alu 0xfffe
	s_or_b32 exec_lo, exec_lo, s6
	v_lshrrev_b16 v1, 8, v1
	v_mov_b32_e32 v45, 0
	s_mov_b32 s6, exec_lo
	s_delay_alu instid0(VALU_DEP_2)
	v_cmpx_ne_u16_e32 0, v1
	s_cbranch_execz .LBB273_535
; %bb.528:                              ;   in Loop: Header=BB273_289 Depth=1
	v_bfrev_b32_e32 v45, 1
	s_mov_b32 s7, exec_lo
	v_cmpx_ne_u16_e32 0x80, v1
	s_cbranch_execz .LBB273_534
; %bb.529:                              ;   in Loop: Header=BB273_289 Depth=1
	v_and_b32_e32 v46, 0xffff, v1
	v_mov_b32_e32 v45, 0x7c010000
	s_mov_b32 s13, exec_lo
	s_delay_alu instid0(VALU_DEP_2) | instskip(NEXT) | instid1(VALU_DEP_1)
	v_and_b32_e32 v48, 0x7f, v46
	v_cmpx_ne_u32_e32 0x7f, v48
	s_cbranch_execz .LBB273_533
; %bb.530:                              ;   in Loop: Header=BB273_289 Depth=1
	v_and_b32_e32 v45, 7, v46
	v_lshrrev_b32_e32 v47, 3, v48
	s_mov_b32 s14, exec_lo
	v_cmpx_gt_u32_e32 8, v48
; %bb.531:                              ;   in Loop: Header=BB273_289 Depth=1
	s_delay_alu instid0(VALU_DEP_3) | instskip(NEXT) | instid1(VALU_DEP_1)
	v_clz_i32_u32_e32 v45, v45
	v_min_u32_e32 v45, 32, v45
	s_delay_alu instid0(VALU_DEP_1) | instskip(NEXT) | instid1(VALU_DEP_1)
	v_subrev_nc_u32_e32 v47, 28, v45
	v_lshlrev_b64_e32 v[48:49], v47, v[1:2]
	v_sub_nc_u32_e32 v47, 29, v45
	s_delay_alu instid0(VALU_DEP_2)
	v_and_b32_e32 v45, 7, v48
; %bb.532:                              ;   in Loop: Header=BB273_289 Depth=1
	s_wait_alu 0xfffe
	s_or_b32 exec_lo, exec_lo, s14
	v_lshlrev_b32_e32 v1, 8, v46
	v_lshl_add_u32 v46, v47, 10, 0x2000
	v_lshlrev_b32_e32 v45, 23, v45
	s_delay_alu instid0(VALU_DEP_2) | instskip(NEXT) | instid1(VALU_DEP_1)
	v_and_or_b32 v1, 0x8000, v1, v46
	v_lshl_or_b32 v45, v1, 16, v45
.LBB273_533:                            ;   in Loop: Header=BB273_289 Depth=1
	s_or_b32 exec_lo, exec_lo, s13
.LBB273_534:                            ;   in Loop: Header=BB273_289 Depth=1
	s_wait_alu 0xfffe
	s_or_b32 exec_lo, exec_lo, s7
.LBB273_535:                            ;   in Loop: Header=BB273_289 Depth=1
	s_wait_alu 0xfffe
	s_or_b32 exec_lo, exec_lo, s6
	v_lshrrev_b32_e32 v1, 16, v8
	s_mov_b32 s6, exec_lo
	s_delay_alu instid0(VALU_DEP_1) | instskip(NEXT) | instid1(VALU_DEP_1)
	v_and_b32_e32 v46, 0xff, v1
	v_cmpx_ne_u16_e32 0, v46
	s_cbranch_execz .LBB273_543
; %bb.536:                              ;   in Loop: Header=BB273_289 Depth=1
	v_mov_b32_e32 v43, 0x8000
	s_mov_b32 s7, exec_lo
	v_cmpx_ne_u16_e32 0x80, v46
	s_cbranch_execz .LBB273_542
; %bb.537:                              ;   in Loop: Header=BB273_289 Depth=1
	v_bfe_u32 v47, v8, 16, 7
	v_mov_b32_e32 v43, 0x7c01
	s_mov_b32 s13, exec_lo
	s_delay_alu instid0(VALU_DEP_2)
	v_cmpx_ne_u32_e32 0x7f, v47
	s_cbranch_execz .LBB273_541
; %bb.538:                              ;   in Loop: Header=BB273_289 Depth=1
	v_and_b32_e32 v43, 7, v1
	v_lshrrev_b32_e32 v46, 3, v47
	s_mov_b32 s14, exec_lo
	v_cmpx_gt_u32_e32 8, v47
; %bb.539:                              ;   in Loop: Header=BB273_289 Depth=1
	s_delay_alu instid0(VALU_DEP_3) | instskip(NEXT) | instid1(VALU_DEP_1)
	v_clz_i32_u32_e32 v43, v43
	v_min_u32_e32 v43, 32, v43
	s_delay_alu instid0(VALU_DEP_1) | instskip(NEXT) | instid1(VALU_DEP_1)
	v_subrev_nc_u32_e32 v46, 28, v43
	v_lshlrev_b64_e32 v[47:48], v46, v[1:2]
	v_sub_nc_u32_e32 v46, 29, v43
	s_delay_alu instid0(VALU_DEP_2)
	v_and_b32_e32 v43, 7, v47
; %bb.540:                              ;   in Loop: Header=BB273_289 Depth=1
	s_wait_alu 0xfffe
	s_or_b32 exec_lo, exec_lo, s14
	v_lshlrev_b32_e32 v1, 8, v1
	v_lshl_add_u32 v46, v46, 10, 0x2000
	v_lshlrev_b32_e32 v43, 7, v43
	s_delay_alu instid0(VALU_DEP_3) | instskip(NEXT) | instid1(VALU_DEP_3)
	v_and_b32_e32 v1, 0x8000, v1
	v_and_b32_e32 v46, 0xfc00, v46
	s_delay_alu instid0(VALU_DEP_1)
	v_or3_b32 v43, v1, v46, v43
.LBB273_541:                            ;   in Loop: Header=BB273_289 Depth=1
	s_or_b32 exec_lo, exec_lo, s13
.LBB273_542:                            ;   in Loop: Header=BB273_289 Depth=1
	s_wait_alu 0xfffe
	s_or_b32 exec_lo, exec_lo, s7
.LBB273_543:                            ;   in Loop: Header=BB273_289 Depth=1
	s_wait_alu 0xfffe
	s_or_b32 exec_lo, exec_lo, s6
	v_cmp_lt_u64_e64 s0, s[2:3], v[7:8]
	v_mov_b32_e32 v7, 0
	s_and_saveexec_b32 s6, s0
	s_cbranch_execz .LBB273_551
; %bb.544:                              ;   in Loop: Header=BB273_289 Depth=1
	v_lshrrev_b32_e32 v1, 24, v8
	v_bfrev_b32_e32 v7, 1
	s_mov_b32 s7, exec_lo
	s_delay_alu instid0(VALU_DEP_2)
	v_cmpx_ne_u32_e32 0x80, v1
	s_cbranch_execz .LBB273_550
; %bb.545:                              ;   in Loop: Header=BB273_289 Depth=1
	v_and_b32_e32 v46, 0x7f, v1
	v_mov_b32_e32 v7, 0x7c010000
	s_mov_b32 s13, exec_lo
	s_delay_alu instid0(VALU_DEP_2)
	v_cmpx_ne_u32_e32 0x7f, v46
	s_cbranch_execz .LBB273_549
; %bb.546:                              ;   in Loop: Header=BB273_289 Depth=1
	v_and_b32_e32 v7, 7, v1
	v_lshrrev_b32_e32 v8, 3, v46
	s_mov_b32 s14, exec_lo
	v_cmpx_gt_u32_e32 8, v46
; %bb.547:                              ;   in Loop: Header=BB273_289 Depth=1
	s_delay_alu instid0(VALU_DEP_3) | instskip(NEXT) | instid1(VALU_DEP_1)
	v_clz_i32_u32_e32 v7, v7
	v_min_u32_e32 v46, 32, v7
	s_delay_alu instid0(VALU_DEP_1) | instskip(NEXT) | instid1(VALU_DEP_1)
	v_subrev_nc_u32_e32 v7, 28, v46
	v_lshlrev_b64_e32 v[7:8], v7, v[1:2]
	v_sub_nc_u32_e32 v8, 29, v46
	s_delay_alu instid0(VALU_DEP_2)
	v_and_b32_e32 v7, 7, v7
; %bb.548:                              ;   in Loop: Header=BB273_289 Depth=1
	s_wait_alu 0xfffe
	s_or_b32 exec_lo, exec_lo, s14
	v_lshlrev_b32_e32 v1, 8, v1
	v_lshl_add_u32 v8, v8, 10, 0x2000
	v_lshlrev_b32_e32 v7, 23, v7
	s_delay_alu instid0(VALU_DEP_2) | instskip(NEXT) | instid1(VALU_DEP_1)
	v_and_or_b32 v1, 0x8000, v1, v8
	v_lshl_or_b32 v7, v1, 16, v7
.LBB273_549:                            ;   in Loop: Header=BB273_289 Depth=1
	s_or_b32 exec_lo, exec_lo, s13
.LBB273_550:                            ;   in Loop: Header=BB273_289 Depth=1
	s_wait_alu 0xfffe
	s_or_b32 exec_lo, exec_lo, s7
.LBB273_551:                            ;   in Loop: Header=BB273_289 Depth=1
	s_wait_alu 0xfffe
	s_or_b32 exec_lo, exec_lo, s6
	v_or_b32_e32 v1, v41, v42
	s_wait_loadcnt 0x0
	v_fma_mixlo_f16 v8, v38, v41, 0 op_sel:[0,1,0] op_sel_hi:[0,1,0]
	v_or_b32_e32 v40, v39, v40
	v_fma_mixlo_f16 v39, v38, v39, 0 op_sel:[0,1,0] op_sel_hi:[0,1,0]
	v_or_b32_e32 v42, v45, v44
	v_or_b32_e32 v43, v7, v43
	v_fma_mixlo_f16 v41, v38, v1, 0 op_sel_hi:[0,1,0]
	v_lshlrev_b32_e32 v1, 16, v8
	v_lshlrev_b32_e32 v44, 16, v39
	v_fma_mixlo_f16 v8, v38, v40, 0 op_sel_hi:[0,1,0]
	v_fma_mixlo_f16 v39, v38, v45, 0 op_sel:[0,1,0] op_sel_hi:[0,1,0]
	v_fma_mixlo_f16 v40, v38, v42, 0 op_sel_hi:[0,1,0]
	v_fma_mixlo_f16 v7, v38, v7, 0 op_sel:[0,1,0] op_sel_hi:[0,1,0]
	v_fma_mixlo_f16 v38, v38, v43, 0 op_sel_hi:[0,1,0]
	v_and_b32_e32 v41, 0xffff, v41
	v_and_b32_e32 v46, 0xffff, v8
	v_lshlrev_b32_e32 v42, 16, v39
	v_and_b32_e32 v45, 0xffff, v40
	v_lshlrev_b32_e32 v8, 16, v7
	v_and_b32_e32 v43, 0xffff, v38
	v_or_b32_e32 v7, v1, v41
	v_or_b32_e32 v40, v44, v46
	;; [unrolled: 1-line block ×3, first 2 shown]
	s_delay_alu instid0(VALU_DEP_4)
	v_or_b32_e32 v38, v8, v43
	s_and_saveexec_b32 s0, vcc_lo
	s_cbranch_execz .LBB273_288
; %bb.552:                              ;   in Loop: Header=BB273_289 Depth=1
	v_cmp_gt_i32_e32 vcc_lo, s27, v15
	s_wait_alu 0xfffd
	v_cndmask_b32_e32 v7, 0, v46, vcc_lo
	v_cmp_gt_i32_e32 vcc_lo, s27, v29
	s_wait_alu 0xfffd
	v_cndmask_b32_e32 v15, 0, v44, vcc_lo
	;; [unrolled: 3-line block ×5, first 2 shown]
	v_cmp_gt_i32_e32 vcc_lo, s27, v25
	v_or_b32_e32 v40, v15, v7
	s_wait_alu 0xfffd
	v_cndmask_b32_e32 v25, 0, v42, vcc_lo
	v_cmp_gt_i32_e32 vcc_lo, s27, v24
	s_wait_alu 0xfffd
	v_cndmask_b32_e32 v24, 0, v43, vcc_lo
	v_cmp_gt_i32_e32 vcc_lo, s27, v22
	v_or_b32_e32 v7, v1, v28
	s_wait_alu 0xfffd
	v_cndmask_b32_e32 v8, 0, v8, vcc_lo
	v_or_b32_e32 v39, v25, v26
	s_delay_alu instid0(VALU_DEP_2)
	v_or_b32_e32 v38, v8, v24
	s_branch .LBB273_288
.LBB273_553:
	s_or_b32 exec_lo, exec_lo, s5
.LBB273_554:
	s_wait_alu 0xfffe
	s_or_b32 exec_lo, exec_lo, s1
	ds_bpermute_b32 v1, v18, v20
	ds_bpermute_b32 v2, v18, v21
	;; [unrolled: 1-line block ×4, first 2 shown]
	v_lshrrev_b32_e32 v5, 1, v17
	v_lshlrev_b32_e32 v7, 8, v13
	v_and_b32_e32 v10, 0x3c1, v0
	s_mov_b32 s0, exec_lo
	s_wait_storecnt 0x0
	s_wait_loadcnt_dscnt 0x0
	v_lshl_add_u32 v6, v5, 2, 0xa0
	s_barrier_signal -1
	s_barrier_wait -1
	global_inv scope:SCOPE_SE
	v_dual_add_f32 v4, v20, v1 :: v_dual_add_f32 v3, v21, v2
	v_dual_add_f32 v2, v19, v8 :: v_dual_add_f32 v1, v16, v9
	v_cmpx_eq_u32_e32 64, v10
	s_cbranch_execz .LBB273_556
; %bb.555:
	v_add_nc_u32_e32 v8, v6, v7
	s_delay_alu instid0(VALU_DEP_1)
	v_add_nc_u32_e32 v9, 0xfffffe00, v8
	v_add_nc_u32_e32 v10, 0xfffffe40, v8
	;; [unrolled: 1-line block ×4, first 2 shown]
	ds_store_b32 v9, v4
	ds_store_b32 v10, v3
	;; [unrolled: 1-line block ×4, first 2 shown]
.LBB273_556:
	s_wait_alu 0xfffe
	s_or_b32 exec_lo, exec_lo, s0
	v_lshlrev_b32_e32 v5, 2, v5
	s_mov_b32 s1, exec_lo
	v_cmp_eq_u32_e32 vcc_lo, 0, v12
	s_wait_loadcnt_dscnt 0x0
	s_barrier_signal -1
	v_add3_u32 v5, 0xa0, v7, v5
	s_barrier_wait -1
	global_inv scope:SCOPE_SE
	v_cmpx_gt_u32_e32 64, v0
	s_cbranch_execz .LBB273_563
; %bb.557:
	s_and_saveexec_b32 s0, vcc_lo
	s_cbranch_execnz .LBB273_575
; %bb.558:
	s_wait_alu 0xfffe
	s_or_b32 exec_lo, exec_lo, s0
	s_and_saveexec_b32 s0, vcc_lo
	s_cbranch_execnz .LBB273_576
.LBB273_559:
	s_wait_alu 0xfffe
	s_or_b32 exec_lo, exec_lo, s0
	s_and_saveexec_b32 s0, vcc_lo
	s_cbranch_execnz .LBB273_577
.LBB273_560:
	s_wait_alu 0xfffe
	s_or_b32 exec_lo, exec_lo, s0
	s_and_saveexec_b32 s0, vcc_lo
	s_cbranch_execz .LBB273_562
.LBB273_561:
	ds_load_b32 v7, v5 offset:192
	s_wait_dscnt 0x0
	v_add_f32_e32 v1, v1, v7
.LBB273_562:
	s_wait_alu 0xfffe
	s_or_b32 exec_lo, exec_lo, s0
.LBB273_563:
	s_wait_alu 0xfffe
	s_or_b32 exec_lo, exec_lo, s1
	v_and_b32_e32 v7, 0x3e1, v0
	s_mov_b32 s1, exec_lo
	s_wait_loadcnt 0x0
	s_barrier_signal -1
	s_barrier_wait -1
	global_inv scope:SCOPE_SE
	v_cmpx_eq_u32_e32 32, v7
	s_cbranch_execz .LBB273_565
; %bb.564:
	ds_store_2addr_b32 v6, v4, v3 offset1:16
	ds_store_2addr_b32 v6, v2, v1 offset0:32 offset1:48
.LBB273_565:
	s_wait_alu 0xfffe
	s_or_b32 exec_lo, exec_lo, s1
	s_delay_alu instid0(SALU_CYCLE_1)
	s_mov_b32 s1, exec_lo
	s_wait_loadcnt_dscnt 0x0
	s_barrier_signal -1
	s_barrier_wait -1
	global_inv scope:SCOPE_SE
	v_cmpx_gt_u32_e32 32, v0
	s_cbranch_execz .LBB273_572
; %bb.566:
	s_and_saveexec_b32 s0, vcc_lo
	s_cbranch_execnz .LBB273_578
; %bb.567:
	s_wait_alu 0xfffe
	s_or_b32 exec_lo, exec_lo, s0
	s_and_saveexec_b32 s0, vcc_lo
	s_cbranch_execnz .LBB273_579
.LBB273_568:
	s_wait_alu 0xfffe
	s_or_b32 exec_lo, exec_lo, s0
	s_and_saveexec_b32 s0, vcc_lo
	s_cbranch_execnz .LBB273_580
.LBB273_569:
	s_wait_alu 0xfffe
	s_or_b32 exec_lo, exec_lo, s0
	s_and_saveexec_b32 s0, vcc_lo
	s_cbranch_execz .LBB273_571
.LBB273_570:
	ds_load_b32 v0, v5 offset:192
	s_wait_dscnt 0x0
	v_add_f32_e32 v1, v1, v0
.LBB273_571:
	s_wait_alu 0xfffe
	s_or_b32 exec_lo, exec_lo, s0
.LBB273_572:
	s_wait_alu 0xfffe
	s_or_b32 exec_lo, exec_lo, s1
	s_mov_b32 s1, 0
	s_wait_loadcnt 0x0
	s_barrier_signal -1
	s_barrier_wait -1
	global_inv scope:SCOPE_SE
	s_mov_b32 s0, exec_lo
	v_cmpx_eq_u32_e32 0, v7
	s_cbranch_execz .LBB273_574
; %bb.573:
	s_lshl_b32 s2, s22, 6
	s_mul_i32 s4, s12, s16
	s_wait_alu 0xfffe
	s_ashr_i32 s3, s2, 31
	s_ashr_i32 s5, s4, 31
	s_wait_alu 0xfffe
	s_lshl_b64 s[2:3], s[2:3], 1
	s_lshl_b64 s[4:5], s[4:5], 1
	s_wait_kmcnt 0x0
	s_wait_alu 0xfffe
	s_add_nc_u64 s[2:3], s[8:9], s[2:3]
	v_lshlrev_b32_e32 v0, 1, v11
	s_lshl_b32 s0, s26, 7
	s_wait_alu 0xfffe
	s_add_nc_u64 s[2:3], s[2:3], s[4:5]
	;;#ASMSTART
	v_cvt_f16_f32 v4, v4;

	;;#ASMEND
	s_wait_alu 0xfffe
	s_add_nc_u64 s[0:1], s[2:3], s[0:1]
	global_store_b16 v0, v4, s[0:1]
	;;#ASMSTART
	v_cvt_f16_f32 v3, v3;

	;;#ASMEND
	global_store_b16 v0, v3, s[0:1] offset:32
	;;#ASMSTART
	v_cvt_f16_f32 v2, v2;

	;;#ASMEND
	global_store_b16 v0, v2, s[0:1] offset:64
	;;#ASMSTART
	v_cvt_f16_f32 v1, v1;

	;;#ASMEND
	global_store_b16 v0, v1, s[0:1] offset:96
.LBB273_574:
	s_endpgm
.LBB273_575:
	ds_load_b32 v7, v5
	s_wait_dscnt 0x0
	v_add_f32_e32 v4, v4, v7
	s_wait_alu 0xfffe
	s_or_b32 exec_lo, exec_lo, s0
	s_and_saveexec_b32 s0, vcc_lo
	s_cbranch_execz .LBB273_559
.LBB273_576:
	ds_load_b32 v7, v5 offset:64
	s_wait_dscnt 0x0
	v_add_f32_e32 v3, v3, v7
	s_wait_alu 0xfffe
	s_or_b32 exec_lo, exec_lo, s0
	s_and_saveexec_b32 s0, vcc_lo
	s_cbranch_execz .LBB273_560
.LBB273_577:
	ds_load_b32 v7, v5 offset:128
	s_wait_dscnt 0x0
	v_add_f32_e32 v2, v2, v7
	s_wait_alu 0xfffe
	s_or_b32 exec_lo, exec_lo, s0
	s_and_saveexec_b32 s0, vcc_lo
	s_cbranch_execnz .LBB273_561
	s_branch .LBB273_562
.LBB273_578:
	ds_load_b32 v0, v5
	s_wait_dscnt 0x0
	v_add_f32_e32 v4, v4, v0
	s_wait_alu 0xfffe
	s_or_b32 exec_lo, exec_lo, s0
	s_and_saveexec_b32 s0, vcc_lo
	s_cbranch_execz .LBB273_568
.LBB273_579:
	ds_load_b32 v0, v5 offset:64
	s_wait_dscnt 0x0
	v_add_f32_e32 v3, v3, v0
	s_wait_alu 0xfffe
	s_or_b32 exec_lo, exec_lo, s0
	s_and_saveexec_b32 s0, vcc_lo
	s_cbranch_execz .LBB273_569
.LBB273_580:
	ds_load_b32 v0, v5 offset:128
	s_wait_dscnt 0x0
	v_add_f32_e32 v2, v2, v0
	s_wait_alu 0xfffe
	s_or_b32 exec_lo, exec_lo, s0
	s_and_saveexec_b32 s0, vcc_lo
	s_cbranch_execnz .LBB273_570
	s_branch .LBB273_571
	.section	.rodata,"a",@progbits
	.p2align	6, 0x0
	.amdhsa_kernel _ZN4vllm25paged_attention_v2_kernelIthLi64ELi16ELi128ELNS_18Fp8KVCacheDataTypeE1ELb0ELi512EEEvPfS2_PT_PKS3_PKT0_S9_ifPKiSB_iPKfiiiSD_SD_iiiii
		.amdhsa_group_segment_fixed_size 160
		.amdhsa_private_segment_fixed_size 0
		.amdhsa_kernarg_size 400
		.amdhsa_user_sgpr_count 2
		.amdhsa_user_sgpr_dispatch_ptr 0
		.amdhsa_user_sgpr_queue_ptr 0
		.amdhsa_user_sgpr_kernarg_segment_ptr 1
		.amdhsa_user_sgpr_dispatch_id 0
		.amdhsa_user_sgpr_private_segment_size 0
		.amdhsa_wavefront_size32 1
		.amdhsa_uses_dynamic_stack 0
		.amdhsa_enable_private_segment 0
		.amdhsa_system_sgpr_workgroup_id_x 1
		.amdhsa_system_sgpr_workgroup_id_y 1
		.amdhsa_system_sgpr_workgroup_id_z 1
		.amdhsa_system_sgpr_workgroup_info 0
		.amdhsa_system_vgpr_workitem_id 0
		.amdhsa_next_free_vgpr 79
		.amdhsa_next_free_sgpr 36
		.amdhsa_reserve_vcc 1
		.amdhsa_float_round_mode_32 0
		.amdhsa_float_round_mode_16_64 0
		.amdhsa_float_denorm_mode_32 3
		.amdhsa_float_denorm_mode_16_64 3
		.amdhsa_fp16_overflow 0
		.amdhsa_workgroup_processor_mode 1
		.amdhsa_memory_ordered 1
		.amdhsa_forward_progress 1
		.amdhsa_inst_pref_size 161
		.amdhsa_round_robin_scheduling 0
		.amdhsa_exception_fp_ieee_invalid_op 0
		.amdhsa_exception_fp_denorm_src 0
		.amdhsa_exception_fp_ieee_div_zero 0
		.amdhsa_exception_fp_ieee_overflow 0
		.amdhsa_exception_fp_ieee_underflow 0
		.amdhsa_exception_fp_ieee_inexact 0
		.amdhsa_exception_int_div_zero 0
	.end_amdhsa_kernel
	.section	.text._ZN4vllm25paged_attention_v2_kernelIthLi64ELi16ELi128ELNS_18Fp8KVCacheDataTypeE1ELb0ELi512EEEvPfS2_PT_PKS3_PKT0_S9_ifPKiSB_iPKfiiiSD_SD_iiiii,"axG",@progbits,_ZN4vllm25paged_attention_v2_kernelIthLi64ELi16ELi128ELNS_18Fp8KVCacheDataTypeE1ELb0ELi512EEEvPfS2_PT_PKS3_PKT0_S9_ifPKiSB_iPKfiiiSD_SD_iiiii,comdat
.Lfunc_end273:
	.size	_ZN4vllm25paged_attention_v2_kernelIthLi64ELi16ELi128ELNS_18Fp8KVCacheDataTypeE1ELb0ELi512EEEvPfS2_PT_PKS3_PKT0_S9_ifPKiSB_iPKfiiiSD_SD_iiiii, .Lfunc_end273-_ZN4vllm25paged_attention_v2_kernelIthLi64ELi16ELi128ELNS_18Fp8KVCacheDataTypeE1ELb0ELi512EEEvPfS2_PT_PKS3_PKT0_S9_ifPKiSB_iPKfiiiSD_SD_iiiii
                                        ; -- End function
	.set _ZN4vllm25paged_attention_v2_kernelIthLi64ELi16ELi128ELNS_18Fp8KVCacheDataTypeE1ELb0ELi512EEEvPfS2_PT_PKS3_PKT0_S9_ifPKiSB_iPKfiiiSD_SD_iiiii.num_vgpr, 79
	.set _ZN4vllm25paged_attention_v2_kernelIthLi64ELi16ELi128ELNS_18Fp8KVCacheDataTypeE1ELb0ELi512EEEvPfS2_PT_PKS3_PKT0_S9_ifPKiSB_iPKfiiiSD_SD_iiiii.num_agpr, 0
	.set _ZN4vllm25paged_attention_v2_kernelIthLi64ELi16ELi128ELNS_18Fp8KVCacheDataTypeE1ELb0ELi512EEEvPfS2_PT_PKS3_PKT0_S9_ifPKiSB_iPKfiiiSD_SD_iiiii.numbered_sgpr, 36
	.set _ZN4vllm25paged_attention_v2_kernelIthLi64ELi16ELi128ELNS_18Fp8KVCacheDataTypeE1ELb0ELi512EEEvPfS2_PT_PKS3_PKT0_S9_ifPKiSB_iPKfiiiSD_SD_iiiii.num_named_barrier, 0
	.set _ZN4vllm25paged_attention_v2_kernelIthLi64ELi16ELi128ELNS_18Fp8KVCacheDataTypeE1ELb0ELi512EEEvPfS2_PT_PKS3_PKT0_S9_ifPKiSB_iPKfiiiSD_SD_iiiii.private_seg_size, 0
	.set _ZN4vllm25paged_attention_v2_kernelIthLi64ELi16ELi128ELNS_18Fp8KVCacheDataTypeE1ELb0ELi512EEEvPfS2_PT_PKS3_PKT0_S9_ifPKiSB_iPKfiiiSD_SD_iiiii.uses_vcc, 1
	.set _ZN4vllm25paged_attention_v2_kernelIthLi64ELi16ELi128ELNS_18Fp8KVCacheDataTypeE1ELb0ELi512EEEvPfS2_PT_PKS3_PKT0_S9_ifPKiSB_iPKfiiiSD_SD_iiiii.uses_flat_scratch, 0
	.set _ZN4vllm25paged_attention_v2_kernelIthLi64ELi16ELi128ELNS_18Fp8KVCacheDataTypeE1ELb0ELi512EEEvPfS2_PT_PKS3_PKT0_S9_ifPKiSB_iPKfiiiSD_SD_iiiii.has_dyn_sized_stack, 0
	.set _ZN4vllm25paged_attention_v2_kernelIthLi64ELi16ELi128ELNS_18Fp8KVCacheDataTypeE1ELb0ELi512EEEvPfS2_PT_PKS3_PKT0_S9_ifPKiSB_iPKfiiiSD_SD_iiiii.has_recursion, 0
	.set _ZN4vllm25paged_attention_v2_kernelIthLi64ELi16ELi128ELNS_18Fp8KVCacheDataTypeE1ELb0ELi512EEEvPfS2_PT_PKS3_PKT0_S9_ifPKiSB_iPKfiiiSD_SD_iiiii.has_indirect_call, 0
	.section	.AMDGPU.csdata,"",@progbits
; Kernel info:
; codeLenInByte = 20500
; TotalNumSgprs: 38
; NumVgprs: 79
; ScratchSize: 0
; MemoryBound: 0
; FloatMode: 240
; IeeeMode: 1
; LDSByteSize: 160 bytes/workgroup (compile time only)
; SGPRBlocks: 0
; VGPRBlocks: 9
; NumSGPRsForWavesPerEU: 38
; NumVGPRsForWavesPerEU: 79
; Occupancy: 16
; WaveLimiterHint : 1
; COMPUTE_PGM_RSRC2:SCRATCH_EN: 0
; COMPUTE_PGM_RSRC2:USER_SGPR: 2
; COMPUTE_PGM_RSRC2:TRAP_HANDLER: 0
; COMPUTE_PGM_RSRC2:TGID_X_EN: 1
; COMPUTE_PGM_RSRC2:TGID_Y_EN: 1
; COMPUTE_PGM_RSRC2:TGID_Z_EN: 1
; COMPUTE_PGM_RSRC2:TIDIG_COMP_CNT: 0
	.section	.text._ZN4vllm25paged_attention_v2_kernelIthLi80ELi16ELi128ELNS_18Fp8KVCacheDataTypeE1ELb0ELi512EEEvPfS2_PT_PKS3_PKT0_S9_ifPKiSB_iPKfiiiSD_SD_iiiii,"axG",@progbits,_ZN4vllm25paged_attention_v2_kernelIthLi80ELi16ELi128ELNS_18Fp8KVCacheDataTypeE1ELb0ELi512EEEvPfS2_PT_PKS3_PKT0_S9_ifPKiSB_iPKfiiiSD_SD_iiiii,comdat
	.protected	_ZN4vllm25paged_attention_v2_kernelIthLi80ELi16ELi128ELNS_18Fp8KVCacheDataTypeE1ELb0ELi512EEEvPfS2_PT_PKS3_PKT0_S9_ifPKiSB_iPKfiiiSD_SD_iiiii ; -- Begin function _ZN4vllm25paged_attention_v2_kernelIthLi80ELi16ELi128ELNS_18Fp8KVCacheDataTypeE1ELb0ELi512EEEvPfS2_PT_PKS3_PKT0_S9_ifPKiSB_iPKfiiiSD_SD_iiiii
	.globl	_ZN4vllm25paged_attention_v2_kernelIthLi80ELi16ELi128ELNS_18Fp8KVCacheDataTypeE1ELb0ELi512EEEvPfS2_PT_PKS3_PKT0_S9_ifPKiSB_iPKfiiiSD_SD_iiiii
	.p2align	8
	.type	_ZN4vllm25paged_attention_v2_kernelIthLi80ELi16ELi128ELNS_18Fp8KVCacheDataTypeE1ELb0ELi512EEEvPfS2_PT_PKS3_PKT0_S9_ifPKiSB_iPKfiiiSD_SD_iiiii,@function
_ZN4vllm25paged_attention_v2_kernelIthLi80ELi16ELi128ELNS_18Fp8KVCacheDataTypeE1ELb0ELi512EEEvPfS2_PT_PKS3_PKT0_S9_ifPKiSB_iPKfiiiSD_SD_iiiii: ; @_ZN4vllm25paged_attention_v2_kernelIthLi80ELi16ELi128ELNS_18Fp8KVCacheDataTypeE1ELb0ELi512EEEvPfS2_PT_PKS3_PKT0_S9_ifPKiSB_iPKfiiiSD_SD_iiiii
; %bb.0:
	s_load_b64 s[2:3], s[0:1], 0x40
	s_and_b32 s22, ttmp7, 0xffff
	s_lshr_b32 s26, ttmp7, 16
	s_lshl_b32 s4, s22, 2
	s_lshl_b32 s28, s26, 9
	s_wait_kmcnt 0x0
	s_load_b32 s27, s[2:3], s4 offset:0x0
	s_wait_kmcnt 0x0
	s_cmp_ge_i32 s28, s27
	s_cbranch_scc1 .LBB274_706
; %bb.1:
	s_clause 0x1
	s_load_b32 s23, s[0:1], 0x90
	s_load_b64 s[6:7], s[0:1], 0x30
	s_wait_kmcnt 0x0
	s_abs_i32 s5, s23
	s_abs_i32 s2, s6
	s_delay_alu instid0(SALU_CYCLE_1) | instskip(SKIP_1) | instid1(SALU_CYCLE_2)
	s_cvt_f32_u32 s3, s2
	s_sub_co_i32 s4, 0, s2
	v_rcp_iflag_f32_e32 v1, s3
	s_delay_alu instid0(TRANS32_DEP_1) | instskip(SKIP_2) | instid1(SALU_CYCLE_2)
	v_readfirstlane_b32 s3, v1
	s_mul_f32 s3, s3, 0x4f7ffffe
	s_wait_alu 0xfffe
	s_cvt_u32_f32 s3, s3
	s_wait_alu 0xfffe
	s_delay_alu instid0(SALU_CYCLE_2) | instskip(NEXT) | instid1(SALU_CYCLE_1)
	s_mul_i32 s4, s4, s3
	s_mul_hi_u32 s4, s3, s4
	s_delay_alu instid0(SALU_CYCLE_1)
	s_add_co_i32 s3, s3, s4
	s_xor_b32 s4, s23, s6
	s_wait_alu 0xfffe
	s_mul_hi_u32 s3, s5, s3
	s_ashr_i32 s4, s4, 31
	s_wait_alu 0xfffe
	s_mul_i32 s6, s3, s2
	s_delay_alu instid0(SALU_CYCLE_1)
	s_sub_co_i32 s5, s5, s6
	s_add_co_i32 s6, s3, 1
	s_sub_co_i32 s8, s5, s2
	s_cmp_ge_u32 s5, s2
	s_cselect_b32 s3, s6, s3
	s_cselect_b32 s5, s8, s5
	s_wait_alu 0xfffe
	s_add_co_i32 s6, s3, 1
	s_cmp_ge_u32 s5, s2
	s_load_b64 s[8:9], s[0:1], 0x50
	s_cselect_b32 s2, s6, s3
	s_mov_b32 s3, 0
	s_wait_alu 0xfffe
	s_xor_b32 s2, s2, s4
	s_mov_b32 s6, s3
	s_wait_alu 0xfffe
	s_sub_co_i32 s11, s2, s4
	s_delay_alu instid0(SALU_CYCLE_1) | instskip(NEXT) | instid1(SALU_CYCLE_1)
	s_abs_i32 s10, s11
	s_cvt_f32_u32 s2, s10
	s_wait_alu 0xfffe
	s_delay_alu instid0(SALU_CYCLE_2) | instskip(NEXT) | instid1(TRANS32_DEP_1)
	v_rcp_iflag_f32_e32 v1, s2
	v_readfirstlane_b32 s2, v1
	s_mul_f32 s2, s2, 0x4f7ffffe
	s_wait_alu 0xfffe
	s_delay_alu instid0(SALU_CYCLE_2) | instskip(SKIP_2) | instid1(SALU_CYCLE_1)
	s_cvt_u32_f32 s4, s2
	s_sub_co_i32 s2, 0, s10
	s_wait_alu 0xfffe
	s_mul_i32 s2, s2, s4
	s_wait_alu 0xfffe
	s_mul_hi_u32 s5, s4, s2
	s_abs_i32 s2, ttmp9
	s_add_co_i32 s4, s4, s5
	s_mov_b32 s5, s3
	s_wait_kmcnt 0x0
	s_cmp_eq_u64 s[8:9], 0
	s_cbranch_scc1 .LBB274_3
; %bb.2:
	s_mov_b32 s12, ttmp9
	s_ashr_i32 s13, ttmp9, 31
	s_delay_alu instid0(SALU_CYCLE_1) | instskip(NEXT) | instid1(SALU_CYCLE_1)
	s_lshl_b64 s[12:13], s[12:13], 2
	s_add_nc_u64 s[8:9], s[8:9], s[12:13]
	s_load_b32 s6, s[8:9], 0x0
.LBB274_3:
	s_load_b96 s[12:14], s[0:1], 0x58
	v_lshrrev_b32_e32 v11, 1, v0
	v_and_b32_e32 v12, 1, v0
	v_lshlrev_b32_e32 v10, 3, v0
	s_mul_u64 s[4:5], s[2:3], s[4:5]
	s_ashr_i32 s3, ttmp9, 31
	s_ashr_i32 s4, s11, 31
	s_mul_i32 s16, ttmp9, 0x50
	s_mov_b32 s8, exec_lo
	v_cmpx_gt_u32_e32 20, v0
	s_cbranch_execz .LBB274_5
; %bb.4:
	s_load_b64 s[18:19], s[0:1], 0x18
	s_wait_kmcnt 0x0
	s_mul_i32 s20, s12, s22
	s_ashr_i32 s17, s16, 31
	s_ashr_i32 s21, s20, 31
	v_lshlrev_b32_e32 v3, 3, v11
	s_lshl_b64 s[20:21], s[20:21], 1
	s_delay_alu instid0(VALU_DEP_1) | instskip(SKIP_2) | instid1(SALU_CYCLE_1)
	v_mad_u32_u24 v3, 0x50, v12, v3
	s_add_nc_u64 s[18:19], s[18:19], s[20:21]
	s_lshl_b64 s[20:21], s[16:17], 1
	s_add_nc_u64 s[18:19], s[18:19], s[20:21]
	global_load_b64 v[1:2], v10, s[18:19]
	s_wait_loadcnt 0x0
	ds_store_b64 v3, v[1:2]
.LBB274_5:
	s_or_b32 exec_lo, exec_lo, s8
	s_add_co_i32 s8, s27, 15
	s_wait_alu 0xfffe
	s_xor_b32 s3, s3, s4
	s_ashr_i32 s9, s8, 31
	s_lshl_b32 s30, s26, 5
	s_lshr_b32 s4, s9, 28
	s_mul_i32 s9, s5, s10
	s_add_co_i32 s8, s8, s4
	s_add_co_i32 s4, s30, 32
	s_ashr_i32 s29, s8, 4
	s_load_b32 s8, s[0:1], 0x48
	s_sub_co_i32 s2, s2, s9
	s_min_i32 s17, s4, s29
	s_add_co_i32 s4, s5, 1
	s_wait_alu 0xfffe
	s_sub_co_i32 s9, s2, s10
	s_cmp_ge_u32 s2, s10
	v_lshrrev_b32_e32 v13, 5, v0
	s_cselect_b32 s4, s4, s5
	s_cselect_b32 s2, s9, s2
	s_add_co_i32 s5, s4, 1
	s_wait_alu 0xfffe
	s_cmp_ge_u32 s2, s10
	v_or_b32_e32 v14, s30, v13
	s_cselect_b32 s2, s5, s4
	v_mbcnt_lo_u32_b32 v16, -1, 0
	s_wait_alu 0xfffe
	s_xor_b32 s2, s2, s3
	s_mov_b32 s4, exec_lo
	s_wait_alu 0xfffe
	s_sub_co_i32 s3, s2, s3
	v_cmp_gt_i32_e64 s2, s17, v14
	s_wait_dscnt 0x0
	s_barrier_signal -1
	s_wait_kmcnt 0x0
	s_mul_i32 s18, s8, s22
	s_barrier_wait -1
	s_ashr_i32 s19, s18, 31
	global_inv scope:SCOPE_SE
                                        ; implicit-def: $vgpr2
                                        ; implicit-def: $vgpr18
	v_cmpx_le_i32_e64 s17, v14
	s_xor_b32 s4, exec_lo, s4
; %bb.6:
	v_mov_b32_e32 v2, 0
	v_mbcnt_lo_u32_b32 v16, -1, 0
	v_mov_b32_e32 v18, 32
; %bb.7:
	s_or_saveexec_b32 s24, s4
	s_clause 0x2
	s_load_b32 s12, s[0:1], 0x98
	s_load_b64 s[20:21], s[0:1], 0x38
	s_load_b128 s[8:11], s[0:1], 0x68
	v_mov_b32_e32 v17, 0xff7fffff
	v_lshlrev_b32_e32 v15, 2, v14
	s_mul_i32 s14, s3, s14
	s_xor_b32 exec_lo, exec_lo, s24
	s_cbranch_execz .LBB274_333
; %bb.8:
	s_load_b64 s[4:5], s[0:1], 0x20
	v_bfe_u32 v1, v0, 1, 4
	v_dual_mov_b32 v17, 0xff7fffff :: v_dual_lshlrev_b32 v4, 4, v13
	s_ashr_i32 s15, s14, 31
	s_cmp_neq_f32 s6, 0
	s_delay_alu instid0(VALU_DEP_2)
	v_dual_mov_b32 v18, 32 :: v_dual_lshlrev_b32 v5, 4, v1
	v_lshlrev_b32_e32 v6, 2, v1
	v_dual_mov_b32 v2, 0 :: v_dual_lshlrev_b32 v3, 2, v12
	v_add3_u32 v20, s28, v4, v1
	s_cselect_b32 s3, -1, 0
	s_lshl_b64 s[34:35], s[18:19], 2
	v_lshl_or_b32 v1, v13, 6, v6
	s_wait_kmcnt 0x0
	s_add_nc_u64 s[34:35], s[20:21], s[34:35]
	v_mul_u32_u24_e32 v19, 0x50, v12
	v_mov_b32_e32 v22, v14
	s_mov_b32 s25, s13
	v_add_nc_u32_e32 v21, 0xc0, v1
	s_add_nc_u64 s[4:5], s[4:5], s[14:15]
	s_mov_b32 s15, 0
	v_add_co_u32 v4, s4, s4, v5
	s_wait_alu 0xf1ff
	v_add_co_ci_u32_e64 v5, null, s5, 0, s4
	s_sub_co_i32 s31, 1, s27
	v_add_co_u32 v3, s4, v4, v3
	s_wait_alu 0xf1ff
	v_add_co_ci_u32_e64 v4, null, 0, v5, s4
	v_add_co_u32 v5, s4, s34, v15
	s_wait_alu 0xf1ff
	v_add_co_ci_u32_e64 v6, null, s35, 0, s4
	v_cmp_eq_u32_e32 vcc_lo, 0, v12
	s_branch .LBB274_10
.LBB274_9:                              ;   in Loop: Header=BB274_10 Depth=1
	s_wait_alu 0xfffe
	s_or_b32 exec_lo, exec_lo, s5
	v_add_nc_u32_e32 v22, 4, v22
	v_add_co_u32 v5, s5, v5, 16
	v_add_nc_u32_e32 v20, 64, v20
	v_add_nc_u32_e32 v21, 0x100, v21
	s_delay_alu instid0(VALU_DEP_4) | instskip(SKIP_3) | instid1(SALU_CYCLE_1)
	v_cmp_le_i32_e64 s4, s17, v22
	s_wait_alu 0xf1ff
	v_add_co_ci_u32_e64 v6, null, 0, v6, s5
	s_or_b32 s15, s4, s15
	s_and_not1_b32 exec_lo, exec_lo, s15
	s_cbranch_execz .LBB274_332
.LBB274_10:                             ; =>This Inner Loop Header: Depth=1
	global_load_b32 v1, v[5:6], off
	v_mov_b32_e32 v25, 0
	s_mov_b32 s5, exec_lo
	s_wait_loadcnt_dscnt 0x0
	v_mad_co_i64_i32 v[7:8], null, v1, s25, v[3:4]
	global_load_b32 v9, v[7:8], off
	s_wait_loadcnt 0x0
	v_dual_mov_b32 v24, 0 :: v_dual_and_b32 v1, 0xff, v9
	global_load_b32 v23, v24, s[8:9]
	v_cmpx_ne_u16_e32 0, v1
	s_cbranch_execz .LBB274_18
; %bb.11:                               ;   in Loop: Header=BB274_10 Depth=1
	v_mov_b32_e32 v25, 0x8000
	s_mov_b32 s33, exec_lo
	v_cmpx_ne_u16_e32 0x80, v1
	s_cbranch_execz .LBB274_17
; %bb.12:                               ;   in Loop: Header=BB274_10 Depth=1
	v_and_b32_e32 v26, 0x7f, v9
	v_mov_b32_e32 v25, 0x7c01
	s_mov_b32 s34, exec_lo
	s_delay_alu instid0(VALU_DEP_2)
	v_cmpx_ne_u32_e32 0x7f, v26
	s_cbranch_execz .LBB274_16
; %bb.13:                               ;   in Loop: Header=BB274_10 Depth=1
	v_and_b32_e32 v1, 7, v9
	v_lshrrev_b32_e32 v25, 3, v26
	s_mov_b32 s35, exec_lo
	v_cmpx_gt_u32_e32 8, v26
; %bb.14:                               ;   in Loop: Header=BB274_10 Depth=1
	s_delay_alu instid0(VALU_DEP_3) | instskip(NEXT) | instid1(VALU_DEP_1)
	v_clz_i32_u32_e32 v1, v1
	v_min_u32_e32 v1, 32, v1
	s_delay_alu instid0(VALU_DEP_1) | instskip(NEXT) | instid1(VALU_DEP_1)
	v_subrev_nc_u32_e32 v25, 28, v1
	v_lshlrev_b64_e32 v[26:27], v25, v[9:10]
	v_sub_nc_u32_e32 v25, 29, v1
	s_delay_alu instid0(VALU_DEP_2)
	v_and_b32_e32 v1, 7, v26
; %bb.15:                               ;   in Loop: Header=BB274_10 Depth=1
	s_wait_alu 0xfffe
	s_or_b32 exec_lo, exec_lo, s35
	v_lshlrev_b32_e32 v26, 8, v9
	v_lshl_add_u32 v25, v25, 10, 0x2000
	v_lshlrev_b32_e32 v1, 7, v1
	s_delay_alu instid0(VALU_DEP_3) | instskip(NEXT) | instid1(VALU_DEP_3)
	v_and_b32_e32 v26, 0x8000, v26
	v_and_b32_e32 v25, 0xfc00, v25
	s_delay_alu instid0(VALU_DEP_1)
	v_or3_b32 v25, v26, v25, v1
.LBB274_16:                             ;   in Loop: Header=BB274_10 Depth=1
	s_wait_alu 0xfffe
	s_or_b32 exec_lo, exec_lo, s34
.LBB274_17:                             ;   in Loop: Header=BB274_10 Depth=1
	s_delay_alu instid0(SALU_CYCLE_1)
	s_or_b32 exec_lo, exec_lo, s33
.LBB274_18:                             ;   in Loop: Header=BB274_10 Depth=1
	s_wait_alu 0xfffe
	s_or_b32 exec_lo, exec_lo, s5
	v_lshrrev_b16 v1, 8, v9
	s_mov_b32 s5, exec_lo
	s_delay_alu instid0(VALU_DEP_1)
	v_cmpx_ne_u16_e32 0, v1
	s_cbranch_execz .LBB274_26
; %bb.19:                               ;   in Loop: Header=BB274_10 Depth=1
	v_bfrev_b32_e32 v24, 1
	s_mov_b32 s33, exec_lo
	v_cmpx_ne_u16_e32 0x80, v1
	s_cbranch_execz .LBB274_25
; %bb.20:                               ;   in Loop: Header=BB274_10 Depth=1
	v_and_b32_e32 v26, 0xffff, v1
	v_mov_b32_e32 v24, 0x7c010000
	s_mov_b32 s34, exec_lo
	s_delay_alu instid0(VALU_DEP_2) | instskip(NEXT) | instid1(VALU_DEP_1)
	v_and_b32_e32 v28, 0x7f, v26
	v_cmpx_ne_u32_e32 0x7f, v28
	s_cbranch_execz .LBB274_24
; %bb.21:                               ;   in Loop: Header=BB274_10 Depth=1
	v_and_b32_e32 v24, 7, v26
	v_lshrrev_b32_e32 v27, 3, v28
	s_mov_b32 s35, exec_lo
	v_cmpx_gt_u32_e32 8, v28
; %bb.22:                               ;   in Loop: Header=BB274_10 Depth=1
	s_delay_alu instid0(VALU_DEP_3) | instskip(NEXT) | instid1(VALU_DEP_1)
	v_clz_i32_u32_e32 v24, v24
	v_min_u32_e32 v24, 32, v24
	s_delay_alu instid0(VALU_DEP_1) | instskip(NEXT) | instid1(VALU_DEP_1)
	v_subrev_nc_u32_e32 v27, 28, v24
	v_lshlrev_b64_e32 v[28:29], v27, v[1:2]
	v_sub_nc_u32_e32 v27, 29, v24
	s_delay_alu instid0(VALU_DEP_2)
	v_and_b32_e32 v24, 7, v28
; %bb.23:                               ;   in Loop: Header=BB274_10 Depth=1
	s_wait_alu 0xfffe
	s_or_b32 exec_lo, exec_lo, s35
	v_lshlrev_b32_e32 v1, 8, v26
	v_lshl_add_u32 v26, v27, 10, 0x2000
	v_lshlrev_b32_e32 v24, 23, v24
	s_delay_alu instid0(VALU_DEP_2) | instskip(NEXT) | instid1(VALU_DEP_1)
	v_and_or_b32 v1, 0x8000, v1, v26
	v_lshl_or_b32 v24, v1, 16, v24
.LBB274_24:                             ;   in Loop: Header=BB274_10 Depth=1
	s_wait_alu 0xfffe
	s_or_b32 exec_lo, exec_lo, s34
.LBB274_25:                             ;   in Loop: Header=BB274_10 Depth=1
	s_delay_alu instid0(SALU_CYCLE_1)
	s_or_b32 exec_lo, exec_lo, s33
.LBB274_26:                             ;   in Loop: Header=BB274_10 Depth=1
	s_wait_alu 0xfffe
	s_or_b32 exec_lo, exec_lo, s5
	v_lshrrev_b32_e32 v1, 16, v9
	v_mov_b32_e32 v26, 0
	s_mov_b32 s5, exec_lo
	s_delay_alu instid0(VALU_DEP_2) | instskip(NEXT) | instid1(VALU_DEP_1)
	v_dual_mov_b32 v27, 0 :: v_dual_and_b32 v28, 0xff, v1
	v_cmpx_ne_u16_e32 0, v28
	s_cbranch_execz .LBB274_34
; %bb.27:                               ;   in Loop: Header=BB274_10 Depth=1
	v_mov_b32_e32 v27, 0x8000
	s_mov_b32 s33, exec_lo
	v_cmpx_ne_u16_e32 0x80, v28
	s_cbranch_execz .LBB274_33
; %bb.28:                               ;   in Loop: Header=BB274_10 Depth=1
	v_bfe_u32 v29, v9, 16, 7
	v_mov_b32_e32 v27, 0x7c01
	s_mov_b32 s34, exec_lo
	s_delay_alu instid0(VALU_DEP_2)
	v_cmpx_ne_u32_e32 0x7f, v29
	s_cbranch_execz .LBB274_32
; %bb.29:                               ;   in Loop: Header=BB274_10 Depth=1
	v_and_b32_e32 v27, 7, v1
	v_lshrrev_b32_e32 v28, 3, v29
	s_mov_b32 s35, exec_lo
	v_cmpx_gt_u32_e32 8, v29
; %bb.30:                               ;   in Loop: Header=BB274_10 Depth=1
	s_delay_alu instid0(VALU_DEP_3) | instskip(NEXT) | instid1(VALU_DEP_1)
	v_clz_i32_u32_e32 v27, v27
	v_min_u32_e32 v29, 32, v27
	s_delay_alu instid0(VALU_DEP_1) | instskip(NEXT) | instid1(VALU_DEP_1)
	v_subrev_nc_u32_e32 v27, 28, v29
	v_lshlrev_b64_e32 v[27:28], v27, v[1:2]
	v_sub_nc_u32_e32 v28, 29, v29
	s_delay_alu instid0(VALU_DEP_2)
	v_and_b32_e32 v27, 7, v27
; %bb.31:                               ;   in Loop: Header=BB274_10 Depth=1
	s_wait_alu 0xfffe
	s_or_b32 exec_lo, exec_lo, s35
	v_lshlrev_b32_e32 v1, 8, v1
	v_lshl_add_u32 v28, v28, 10, 0x2000
	v_lshlrev_b32_e32 v27, 7, v27
	s_delay_alu instid0(VALU_DEP_3) | instskip(NEXT) | instid1(VALU_DEP_3)
	v_and_b32_e32 v1, 0x8000, v1
	v_and_b32_e32 v28, 0xfc00, v28
	s_delay_alu instid0(VALU_DEP_1)
	v_or3_b32 v27, v1, v28, v27
.LBB274_32:                             ;   in Loop: Header=BB274_10 Depth=1
	s_wait_alu 0xfffe
	s_or_b32 exec_lo, exec_lo, s34
.LBB274_33:                             ;   in Loop: Header=BB274_10 Depth=1
	s_delay_alu instid0(SALU_CYCLE_1)
	s_or_b32 exec_lo, exec_lo, s33
.LBB274_34:                             ;   in Loop: Header=BB274_10 Depth=1
	s_wait_alu 0xfffe
	s_or_b32 exec_lo, exec_lo, s5
	s_delay_alu instid0(SALU_CYCLE_1)
	s_mov_b32 s5, exec_lo
	v_cmpx_lt_u32_e32 0xffffff, v9
	s_cbranch_execz .LBB274_42
; %bb.35:                               ;   in Loop: Header=BB274_10 Depth=1
	v_lshrrev_b32_e32 v1, 24, v9
	v_bfrev_b32_e32 v26, 1
	s_mov_b32 s33, exec_lo
	s_delay_alu instid0(VALU_DEP_2)
	v_cmpx_ne_u32_e32 0x80, v1
	s_cbranch_execz .LBB274_41
; %bb.36:                               ;   in Loop: Header=BB274_10 Depth=1
	v_and_b32_e32 v28, 0x7f, v1
	v_mov_b32_e32 v26, 0x7c010000
	s_mov_b32 s34, exec_lo
	s_delay_alu instid0(VALU_DEP_2)
	v_cmpx_ne_u32_e32 0x7f, v28
	s_cbranch_execz .LBB274_40
; %bb.37:                               ;   in Loop: Header=BB274_10 Depth=1
	v_and_b32_e32 v9, 7, v1
	v_lshrrev_b32_e32 v26, 3, v28
	s_mov_b32 s35, exec_lo
	v_cmpx_gt_u32_e32 8, v28
; %bb.38:                               ;   in Loop: Header=BB274_10 Depth=1
	s_delay_alu instid0(VALU_DEP_3) | instskip(NEXT) | instid1(VALU_DEP_1)
	v_clz_i32_u32_e32 v9, v9
	v_min_u32_e32 v9, 32, v9
	s_delay_alu instid0(VALU_DEP_1) | instskip(NEXT) | instid1(VALU_DEP_1)
	v_subrev_nc_u32_e32 v26, 28, v9
	v_lshlrev_b64_e32 v[28:29], v26, v[1:2]
	v_sub_nc_u32_e32 v26, 29, v9
	s_delay_alu instid0(VALU_DEP_2)
	v_and_b32_e32 v9, 7, v28
; %bb.39:                               ;   in Loop: Header=BB274_10 Depth=1
	s_wait_alu 0xfffe
	s_or_b32 exec_lo, exec_lo, s35
	v_lshlrev_b32_e32 v1, 8, v1
	v_lshl_add_u32 v26, v26, 10, 0x2000
	v_lshlrev_b32_e32 v9, 23, v9
	s_delay_alu instid0(VALU_DEP_2) | instskip(NEXT) | instid1(VALU_DEP_1)
	v_and_or_b32 v1, 0x8000, v1, v26
	v_lshl_or_b32 v26, v1, 16, v9
.LBB274_40:                             ;   in Loop: Header=BB274_10 Depth=1
	s_wait_alu 0xfffe
	s_or_b32 exec_lo, exec_lo, s34
.LBB274_41:                             ;   in Loop: Header=BB274_10 Depth=1
	s_delay_alu instid0(SALU_CYCLE_1)
	s_or_b32 exec_lo, exec_lo, s33
.LBB274_42:                             ;   in Loop: Header=BB274_10 Depth=1
	s_wait_alu 0xfffe
	s_or_b32 exec_lo, exec_lo, s5
	global_load_b32 v9, v[7:8], off offset:8
	v_mov_b32_e32 v29, 0
	s_mov_b32 s5, exec_lo
	s_wait_loadcnt 0x0
	v_dual_mov_b32 v28, 0 :: v_dual_and_b32 v1, 0xff, v9
	s_delay_alu instid0(VALU_DEP_1)
	v_cmpx_ne_u16_e32 0, v1
	s_cbranch_execz .LBB274_50
; %bb.43:                               ;   in Loop: Header=BB274_10 Depth=1
	v_mov_b32_e32 v29, 0x8000
	s_mov_b32 s33, exec_lo
	v_cmpx_ne_u16_e32 0x80, v1
	s_cbranch_execz .LBB274_49
; %bb.44:                               ;   in Loop: Header=BB274_10 Depth=1
	v_and_b32_e32 v30, 0x7f, v9
	v_mov_b32_e32 v29, 0x7c01
	s_mov_b32 s34, exec_lo
	s_delay_alu instid0(VALU_DEP_2)
	v_cmpx_ne_u32_e32 0x7f, v30
	s_cbranch_execz .LBB274_48
; %bb.45:                               ;   in Loop: Header=BB274_10 Depth=1
	v_and_b32_e32 v1, 7, v9
	v_lshrrev_b32_e32 v29, 3, v30
	s_mov_b32 s35, exec_lo
	v_cmpx_gt_u32_e32 8, v30
; %bb.46:                               ;   in Loop: Header=BB274_10 Depth=1
	s_delay_alu instid0(VALU_DEP_3) | instskip(NEXT) | instid1(VALU_DEP_1)
	v_clz_i32_u32_e32 v1, v1
	v_min_u32_e32 v1, 32, v1
	s_delay_alu instid0(VALU_DEP_1) | instskip(NEXT) | instid1(VALU_DEP_1)
	v_subrev_nc_u32_e32 v29, 28, v1
	v_lshlrev_b64_e32 v[30:31], v29, v[9:10]
	v_sub_nc_u32_e32 v29, 29, v1
	s_delay_alu instid0(VALU_DEP_2)
	v_and_b32_e32 v1, 7, v30
; %bb.47:                               ;   in Loop: Header=BB274_10 Depth=1
	s_wait_alu 0xfffe
	s_or_b32 exec_lo, exec_lo, s35
	v_lshlrev_b32_e32 v30, 8, v9
	v_lshl_add_u32 v29, v29, 10, 0x2000
	v_lshlrev_b32_e32 v1, 7, v1
	s_delay_alu instid0(VALU_DEP_3) | instskip(NEXT) | instid1(VALU_DEP_3)
	v_and_b32_e32 v30, 0x8000, v30
	v_and_b32_e32 v29, 0xfc00, v29
	s_delay_alu instid0(VALU_DEP_1)
	v_or3_b32 v29, v30, v29, v1
.LBB274_48:                             ;   in Loop: Header=BB274_10 Depth=1
	s_wait_alu 0xfffe
	s_or_b32 exec_lo, exec_lo, s34
.LBB274_49:                             ;   in Loop: Header=BB274_10 Depth=1
	s_delay_alu instid0(SALU_CYCLE_1)
	s_or_b32 exec_lo, exec_lo, s33
.LBB274_50:                             ;   in Loop: Header=BB274_10 Depth=1
	s_wait_alu 0xfffe
	s_or_b32 exec_lo, exec_lo, s5
	v_lshrrev_b16 v1, 8, v9
	s_mov_b32 s5, exec_lo
	s_delay_alu instid0(VALU_DEP_1)
	v_cmpx_ne_u16_e32 0, v1
	s_cbranch_execz .LBB274_58
; %bb.51:                               ;   in Loop: Header=BB274_10 Depth=1
	v_bfrev_b32_e32 v28, 1
	s_mov_b32 s33, exec_lo
	v_cmpx_ne_u16_e32 0x80, v1
	s_cbranch_execz .LBB274_57
; %bb.52:                               ;   in Loop: Header=BB274_10 Depth=1
	v_and_b32_e32 v30, 0xffff, v1
	v_mov_b32_e32 v28, 0x7c010000
	s_mov_b32 s34, exec_lo
	s_delay_alu instid0(VALU_DEP_2) | instskip(NEXT) | instid1(VALU_DEP_1)
	v_and_b32_e32 v32, 0x7f, v30
	v_cmpx_ne_u32_e32 0x7f, v32
	s_cbranch_execz .LBB274_56
; %bb.53:                               ;   in Loop: Header=BB274_10 Depth=1
	v_and_b32_e32 v28, 7, v30
	v_lshrrev_b32_e32 v31, 3, v32
	s_mov_b32 s35, exec_lo
	v_cmpx_gt_u32_e32 8, v32
; %bb.54:                               ;   in Loop: Header=BB274_10 Depth=1
	s_delay_alu instid0(VALU_DEP_3) | instskip(NEXT) | instid1(VALU_DEP_1)
	v_clz_i32_u32_e32 v28, v28
	v_min_u32_e32 v28, 32, v28
	s_delay_alu instid0(VALU_DEP_1) | instskip(NEXT) | instid1(VALU_DEP_1)
	v_subrev_nc_u32_e32 v31, 28, v28
	v_lshlrev_b64_e32 v[32:33], v31, v[1:2]
	v_sub_nc_u32_e32 v31, 29, v28
	s_delay_alu instid0(VALU_DEP_2)
	v_and_b32_e32 v28, 7, v32
; %bb.55:                               ;   in Loop: Header=BB274_10 Depth=1
	s_wait_alu 0xfffe
	s_or_b32 exec_lo, exec_lo, s35
	v_lshlrev_b32_e32 v1, 8, v30
	v_lshl_add_u32 v30, v31, 10, 0x2000
	v_lshlrev_b32_e32 v28, 23, v28
	s_delay_alu instid0(VALU_DEP_2) | instskip(NEXT) | instid1(VALU_DEP_1)
	v_and_or_b32 v1, 0x8000, v1, v30
	v_lshl_or_b32 v28, v1, 16, v28
.LBB274_56:                             ;   in Loop: Header=BB274_10 Depth=1
	s_wait_alu 0xfffe
	s_or_b32 exec_lo, exec_lo, s34
.LBB274_57:                             ;   in Loop: Header=BB274_10 Depth=1
	s_delay_alu instid0(SALU_CYCLE_1)
	s_or_b32 exec_lo, exec_lo, s33
.LBB274_58:                             ;   in Loop: Header=BB274_10 Depth=1
	s_wait_alu 0xfffe
	s_or_b32 exec_lo, exec_lo, s5
	v_lshrrev_b32_e32 v1, 16, v9
	v_mov_b32_e32 v30, 0
	s_mov_b32 s5, exec_lo
	s_delay_alu instid0(VALU_DEP_2) | instskip(NEXT) | instid1(VALU_DEP_1)
	v_dual_mov_b32 v31, 0 :: v_dual_and_b32 v32, 0xff, v1
	v_cmpx_ne_u16_e32 0, v32
	s_cbranch_execz .LBB274_66
; %bb.59:                               ;   in Loop: Header=BB274_10 Depth=1
	v_mov_b32_e32 v31, 0x8000
	s_mov_b32 s33, exec_lo
	v_cmpx_ne_u16_e32 0x80, v32
	s_cbranch_execz .LBB274_65
; %bb.60:                               ;   in Loop: Header=BB274_10 Depth=1
	v_bfe_u32 v33, v9, 16, 7
	v_mov_b32_e32 v31, 0x7c01
	s_mov_b32 s34, exec_lo
	s_delay_alu instid0(VALU_DEP_2)
	v_cmpx_ne_u32_e32 0x7f, v33
	s_cbranch_execz .LBB274_64
; %bb.61:                               ;   in Loop: Header=BB274_10 Depth=1
	v_and_b32_e32 v31, 7, v1
	v_lshrrev_b32_e32 v32, 3, v33
	s_mov_b32 s35, exec_lo
	v_cmpx_gt_u32_e32 8, v33
; %bb.62:                               ;   in Loop: Header=BB274_10 Depth=1
	s_delay_alu instid0(VALU_DEP_3) | instskip(NEXT) | instid1(VALU_DEP_1)
	v_clz_i32_u32_e32 v31, v31
	v_min_u32_e32 v33, 32, v31
	s_delay_alu instid0(VALU_DEP_1) | instskip(NEXT) | instid1(VALU_DEP_1)
	v_subrev_nc_u32_e32 v31, 28, v33
	v_lshlrev_b64_e32 v[31:32], v31, v[1:2]
	v_sub_nc_u32_e32 v32, 29, v33
	s_delay_alu instid0(VALU_DEP_2)
	v_and_b32_e32 v31, 7, v31
; %bb.63:                               ;   in Loop: Header=BB274_10 Depth=1
	s_wait_alu 0xfffe
	s_or_b32 exec_lo, exec_lo, s35
	v_lshlrev_b32_e32 v1, 8, v1
	v_lshl_add_u32 v32, v32, 10, 0x2000
	v_lshlrev_b32_e32 v31, 7, v31
	s_delay_alu instid0(VALU_DEP_3) | instskip(NEXT) | instid1(VALU_DEP_3)
	v_and_b32_e32 v1, 0x8000, v1
	v_and_b32_e32 v32, 0xfc00, v32
	s_delay_alu instid0(VALU_DEP_1)
	v_or3_b32 v31, v1, v32, v31
.LBB274_64:                             ;   in Loop: Header=BB274_10 Depth=1
	s_wait_alu 0xfffe
	s_or_b32 exec_lo, exec_lo, s34
.LBB274_65:                             ;   in Loop: Header=BB274_10 Depth=1
	s_delay_alu instid0(SALU_CYCLE_1)
	s_or_b32 exec_lo, exec_lo, s33
.LBB274_66:                             ;   in Loop: Header=BB274_10 Depth=1
	s_wait_alu 0xfffe
	s_or_b32 exec_lo, exec_lo, s5
	s_delay_alu instid0(SALU_CYCLE_1)
	s_mov_b32 s5, exec_lo
	v_cmpx_lt_u32_e32 0xffffff, v9
	s_cbranch_execz .LBB274_74
; %bb.67:                               ;   in Loop: Header=BB274_10 Depth=1
	v_lshrrev_b32_e32 v1, 24, v9
	v_bfrev_b32_e32 v30, 1
	s_mov_b32 s33, exec_lo
	s_delay_alu instid0(VALU_DEP_2)
	v_cmpx_ne_u32_e32 0x80, v1
	s_cbranch_execz .LBB274_73
; %bb.68:                               ;   in Loop: Header=BB274_10 Depth=1
	v_and_b32_e32 v32, 0x7f, v1
	v_mov_b32_e32 v30, 0x7c010000
	s_mov_b32 s34, exec_lo
	s_delay_alu instid0(VALU_DEP_2)
	v_cmpx_ne_u32_e32 0x7f, v32
	s_cbranch_execz .LBB274_72
; %bb.69:                               ;   in Loop: Header=BB274_10 Depth=1
	v_and_b32_e32 v9, 7, v1
	v_lshrrev_b32_e32 v30, 3, v32
	s_mov_b32 s35, exec_lo
	v_cmpx_gt_u32_e32 8, v32
; %bb.70:                               ;   in Loop: Header=BB274_10 Depth=1
	s_delay_alu instid0(VALU_DEP_3) | instskip(NEXT) | instid1(VALU_DEP_1)
	v_clz_i32_u32_e32 v9, v9
	v_min_u32_e32 v9, 32, v9
	s_delay_alu instid0(VALU_DEP_1) | instskip(NEXT) | instid1(VALU_DEP_1)
	v_subrev_nc_u32_e32 v30, 28, v9
	v_lshlrev_b64_e32 v[32:33], v30, v[1:2]
	v_sub_nc_u32_e32 v30, 29, v9
	s_delay_alu instid0(VALU_DEP_2)
	v_and_b32_e32 v9, 7, v32
; %bb.71:                               ;   in Loop: Header=BB274_10 Depth=1
	s_wait_alu 0xfffe
	s_or_b32 exec_lo, exec_lo, s35
	v_lshlrev_b32_e32 v1, 8, v1
	v_lshl_add_u32 v30, v30, 10, 0x2000
	v_lshlrev_b32_e32 v9, 23, v9
	s_delay_alu instid0(VALU_DEP_2) | instskip(NEXT) | instid1(VALU_DEP_1)
	v_and_or_b32 v1, 0x8000, v1, v30
	v_lshl_or_b32 v30, v1, 16, v9
.LBB274_72:                             ;   in Loop: Header=BB274_10 Depth=1
	s_wait_alu 0xfffe
	s_or_b32 exec_lo, exec_lo, s34
.LBB274_73:                             ;   in Loop: Header=BB274_10 Depth=1
	s_delay_alu instid0(SALU_CYCLE_1)
	s_or_b32 exec_lo, exec_lo, s33
.LBB274_74:                             ;   in Loop: Header=BB274_10 Depth=1
	s_wait_alu 0xfffe
	s_or_b32 exec_lo, exec_lo, s5
	global_load_b32 v9, v[7:8], off offset:256
	v_mov_b32_e32 v33, 0
	s_mov_b32 s5, exec_lo
	s_wait_loadcnt 0x0
	v_dual_mov_b32 v32, 0 :: v_dual_and_b32 v1, 0xff, v9
	s_delay_alu instid0(VALU_DEP_1)
	v_cmpx_ne_u16_e32 0, v1
	s_cbranch_execz .LBB274_82
; %bb.75:                               ;   in Loop: Header=BB274_10 Depth=1
	v_mov_b32_e32 v33, 0x8000
	s_mov_b32 s33, exec_lo
	v_cmpx_ne_u16_e32 0x80, v1
	s_cbranch_execz .LBB274_81
; %bb.76:                               ;   in Loop: Header=BB274_10 Depth=1
	v_and_b32_e32 v34, 0x7f, v9
	v_mov_b32_e32 v33, 0x7c01
	s_mov_b32 s34, exec_lo
	s_delay_alu instid0(VALU_DEP_2)
	v_cmpx_ne_u32_e32 0x7f, v34
	s_cbranch_execz .LBB274_80
; %bb.77:                               ;   in Loop: Header=BB274_10 Depth=1
	v_and_b32_e32 v1, 7, v9
	v_lshrrev_b32_e32 v33, 3, v34
	s_mov_b32 s35, exec_lo
	v_cmpx_gt_u32_e32 8, v34
; %bb.78:                               ;   in Loop: Header=BB274_10 Depth=1
	s_delay_alu instid0(VALU_DEP_3) | instskip(NEXT) | instid1(VALU_DEP_1)
	v_clz_i32_u32_e32 v1, v1
	v_min_u32_e32 v1, 32, v1
	s_delay_alu instid0(VALU_DEP_1) | instskip(NEXT) | instid1(VALU_DEP_1)
	v_subrev_nc_u32_e32 v33, 28, v1
	v_lshlrev_b64_e32 v[34:35], v33, v[9:10]
	v_sub_nc_u32_e32 v33, 29, v1
	s_delay_alu instid0(VALU_DEP_2)
	v_and_b32_e32 v1, 7, v34
; %bb.79:                               ;   in Loop: Header=BB274_10 Depth=1
	s_wait_alu 0xfffe
	s_or_b32 exec_lo, exec_lo, s35
	v_lshlrev_b32_e32 v34, 8, v9
	v_lshl_add_u32 v33, v33, 10, 0x2000
	v_lshlrev_b32_e32 v1, 7, v1
	s_delay_alu instid0(VALU_DEP_3) | instskip(NEXT) | instid1(VALU_DEP_3)
	v_and_b32_e32 v34, 0x8000, v34
	v_and_b32_e32 v33, 0xfc00, v33
	s_delay_alu instid0(VALU_DEP_1)
	v_or3_b32 v33, v34, v33, v1
.LBB274_80:                             ;   in Loop: Header=BB274_10 Depth=1
	s_wait_alu 0xfffe
	s_or_b32 exec_lo, exec_lo, s34
.LBB274_81:                             ;   in Loop: Header=BB274_10 Depth=1
	s_delay_alu instid0(SALU_CYCLE_1)
	s_or_b32 exec_lo, exec_lo, s33
.LBB274_82:                             ;   in Loop: Header=BB274_10 Depth=1
	s_wait_alu 0xfffe
	s_or_b32 exec_lo, exec_lo, s5
	v_lshrrev_b16 v1, 8, v9
	s_mov_b32 s5, exec_lo
	s_delay_alu instid0(VALU_DEP_1)
	v_cmpx_ne_u16_e32 0, v1
	s_cbranch_execz .LBB274_90
; %bb.83:                               ;   in Loop: Header=BB274_10 Depth=1
	v_bfrev_b32_e32 v32, 1
	s_mov_b32 s33, exec_lo
	v_cmpx_ne_u16_e32 0x80, v1
	s_cbranch_execz .LBB274_89
; %bb.84:                               ;   in Loop: Header=BB274_10 Depth=1
	v_and_b32_e32 v34, 0xffff, v1
	v_mov_b32_e32 v32, 0x7c010000
	s_mov_b32 s34, exec_lo
	s_delay_alu instid0(VALU_DEP_2) | instskip(NEXT) | instid1(VALU_DEP_1)
	v_and_b32_e32 v36, 0x7f, v34
	v_cmpx_ne_u32_e32 0x7f, v36
	s_cbranch_execz .LBB274_88
; %bb.85:                               ;   in Loop: Header=BB274_10 Depth=1
	v_and_b32_e32 v32, 7, v34
	v_lshrrev_b32_e32 v35, 3, v36
	s_mov_b32 s35, exec_lo
	v_cmpx_gt_u32_e32 8, v36
; %bb.86:                               ;   in Loop: Header=BB274_10 Depth=1
	s_delay_alu instid0(VALU_DEP_3) | instskip(NEXT) | instid1(VALU_DEP_1)
	v_clz_i32_u32_e32 v32, v32
	v_min_u32_e32 v32, 32, v32
	s_delay_alu instid0(VALU_DEP_1) | instskip(NEXT) | instid1(VALU_DEP_1)
	v_subrev_nc_u32_e32 v35, 28, v32
	v_lshlrev_b64_e32 v[36:37], v35, v[1:2]
	v_sub_nc_u32_e32 v35, 29, v32
	s_delay_alu instid0(VALU_DEP_2)
	v_and_b32_e32 v32, 7, v36
; %bb.87:                               ;   in Loop: Header=BB274_10 Depth=1
	s_wait_alu 0xfffe
	s_or_b32 exec_lo, exec_lo, s35
	v_lshlrev_b32_e32 v1, 8, v34
	v_lshl_add_u32 v34, v35, 10, 0x2000
	v_lshlrev_b32_e32 v32, 23, v32
	s_delay_alu instid0(VALU_DEP_2) | instskip(NEXT) | instid1(VALU_DEP_1)
	v_and_or_b32 v1, 0x8000, v1, v34
	v_lshl_or_b32 v32, v1, 16, v32
.LBB274_88:                             ;   in Loop: Header=BB274_10 Depth=1
	s_wait_alu 0xfffe
	s_or_b32 exec_lo, exec_lo, s34
.LBB274_89:                             ;   in Loop: Header=BB274_10 Depth=1
	s_delay_alu instid0(SALU_CYCLE_1)
	s_or_b32 exec_lo, exec_lo, s33
.LBB274_90:                             ;   in Loop: Header=BB274_10 Depth=1
	s_wait_alu 0xfffe
	s_or_b32 exec_lo, exec_lo, s5
	v_lshrrev_b32_e32 v1, 16, v9
	v_mov_b32_e32 v34, 0
	s_mov_b32 s5, exec_lo
	s_delay_alu instid0(VALU_DEP_2) | instskip(NEXT) | instid1(VALU_DEP_1)
	v_dual_mov_b32 v35, 0 :: v_dual_and_b32 v36, 0xff, v1
	v_cmpx_ne_u16_e32 0, v36
	s_cbranch_execz .LBB274_98
; %bb.91:                               ;   in Loop: Header=BB274_10 Depth=1
	v_mov_b32_e32 v35, 0x8000
	s_mov_b32 s33, exec_lo
	v_cmpx_ne_u16_e32 0x80, v36
	s_cbranch_execz .LBB274_97
; %bb.92:                               ;   in Loop: Header=BB274_10 Depth=1
	v_bfe_u32 v37, v9, 16, 7
	v_mov_b32_e32 v35, 0x7c01
	s_mov_b32 s34, exec_lo
	s_delay_alu instid0(VALU_DEP_2)
	v_cmpx_ne_u32_e32 0x7f, v37
	s_cbranch_execz .LBB274_96
; %bb.93:                               ;   in Loop: Header=BB274_10 Depth=1
	v_and_b32_e32 v35, 7, v1
	v_lshrrev_b32_e32 v36, 3, v37
	s_mov_b32 s35, exec_lo
	v_cmpx_gt_u32_e32 8, v37
; %bb.94:                               ;   in Loop: Header=BB274_10 Depth=1
	s_delay_alu instid0(VALU_DEP_3) | instskip(NEXT) | instid1(VALU_DEP_1)
	v_clz_i32_u32_e32 v35, v35
	v_min_u32_e32 v37, 32, v35
	s_delay_alu instid0(VALU_DEP_1) | instskip(NEXT) | instid1(VALU_DEP_1)
	v_subrev_nc_u32_e32 v35, 28, v37
	v_lshlrev_b64_e32 v[35:36], v35, v[1:2]
	v_sub_nc_u32_e32 v36, 29, v37
	s_delay_alu instid0(VALU_DEP_2)
	v_and_b32_e32 v35, 7, v35
; %bb.95:                               ;   in Loop: Header=BB274_10 Depth=1
	s_wait_alu 0xfffe
	s_or_b32 exec_lo, exec_lo, s35
	v_lshlrev_b32_e32 v1, 8, v1
	v_lshl_add_u32 v36, v36, 10, 0x2000
	v_lshlrev_b32_e32 v35, 7, v35
	s_delay_alu instid0(VALU_DEP_3) | instskip(NEXT) | instid1(VALU_DEP_3)
	v_and_b32_e32 v1, 0x8000, v1
	v_and_b32_e32 v36, 0xfc00, v36
	s_delay_alu instid0(VALU_DEP_1)
	v_or3_b32 v35, v1, v36, v35
.LBB274_96:                             ;   in Loop: Header=BB274_10 Depth=1
	s_wait_alu 0xfffe
	s_or_b32 exec_lo, exec_lo, s34
.LBB274_97:                             ;   in Loop: Header=BB274_10 Depth=1
	s_delay_alu instid0(SALU_CYCLE_1)
	s_or_b32 exec_lo, exec_lo, s33
.LBB274_98:                             ;   in Loop: Header=BB274_10 Depth=1
	s_wait_alu 0xfffe
	s_or_b32 exec_lo, exec_lo, s5
	s_delay_alu instid0(SALU_CYCLE_1)
	s_mov_b32 s5, exec_lo
	v_cmpx_lt_u32_e32 0xffffff, v9
	s_cbranch_execz .LBB274_106
; %bb.99:                               ;   in Loop: Header=BB274_10 Depth=1
	v_lshrrev_b32_e32 v1, 24, v9
	v_bfrev_b32_e32 v34, 1
	s_mov_b32 s33, exec_lo
	s_delay_alu instid0(VALU_DEP_2)
	v_cmpx_ne_u32_e32 0x80, v1
	s_cbranch_execz .LBB274_105
; %bb.100:                              ;   in Loop: Header=BB274_10 Depth=1
	v_and_b32_e32 v36, 0x7f, v1
	v_mov_b32_e32 v34, 0x7c010000
	s_mov_b32 s34, exec_lo
	s_delay_alu instid0(VALU_DEP_2)
	v_cmpx_ne_u32_e32 0x7f, v36
	s_cbranch_execz .LBB274_104
; %bb.101:                              ;   in Loop: Header=BB274_10 Depth=1
	v_and_b32_e32 v9, 7, v1
	v_lshrrev_b32_e32 v34, 3, v36
	s_mov_b32 s35, exec_lo
	v_cmpx_gt_u32_e32 8, v36
; %bb.102:                              ;   in Loop: Header=BB274_10 Depth=1
	s_delay_alu instid0(VALU_DEP_3) | instskip(NEXT) | instid1(VALU_DEP_1)
	v_clz_i32_u32_e32 v9, v9
	v_min_u32_e32 v9, 32, v9
	s_delay_alu instid0(VALU_DEP_1) | instskip(NEXT) | instid1(VALU_DEP_1)
	v_subrev_nc_u32_e32 v34, 28, v9
	v_lshlrev_b64_e32 v[36:37], v34, v[1:2]
	v_sub_nc_u32_e32 v34, 29, v9
	s_delay_alu instid0(VALU_DEP_2)
	v_and_b32_e32 v9, 7, v36
; %bb.103:                              ;   in Loop: Header=BB274_10 Depth=1
	s_wait_alu 0xfffe
	s_or_b32 exec_lo, exec_lo, s35
	v_lshlrev_b32_e32 v1, 8, v1
	v_lshl_add_u32 v34, v34, 10, 0x2000
	v_lshlrev_b32_e32 v9, 23, v9
	s_delay_alu instid0(VALU_DEP_2) | instskip(NEXT) | instid1(VALU_DEP_1)
	v_and_or_b32 v1, 0x8000, v1, v34
	v_lshl_or_b32 v34, v1, 16, v9
.LBB274_104:                            ;   in Loop: Header=BB274_10 Depth=1
	s_wait_alu 0xfffe
	s_or_b32 exec_lo, exec_lo, s34
.LBB274_105:                            ;   in Loop: Header=BB274_10 Depth=1
	s_delay_alu instid0(SALU_CYCLE_1)
	s_or_b32 exec_lo, exec_lo, s33
.LBB274_106:                            ;   in Loop: Header=BB274_10 Depth=1
	s_wait_alu 0xfffe
	s_or_b32 exec_lo, exec_lo, s5
	global_load_b32 v9, v[7:8], off offset:264
	v_mov_b32_e32 v37, 0
	s_mov_b32 s5, exec_lo
	s_wait_loadcnt 0x0
	v_dual_mov_b32 v36, 0 :: v_dual_and_b32 v1, 0xff, v9
	s_delay_alu instid0(VALU_DEP_1)
	v_cmpx_ne_u16_e32 0, v1
	s_cbranch_execz .LBB274_114
; %bb.107:                              ;   in Loop: Header=BB274_10 Depth=1
	v_mov_b32_e32 v37, 0x8000
	s_mov_b32 s33, exec_lo
	v_cmpx_ne_u16_e32 0x80, v1
	s_cbranch_execz .LBB274_113
; %bb.108:                              ;   in Loop: Header=BB274_10 Depth=1
	v_and_b32_e32 v38, 0x7f, v9
	v_mov_b32_e32 v37, 0x7c01
	s_mov_b32 s34, exec_lo
	s_delay_alu instid0(VALU_DEP_2)
	v_cmpx_ne_u32_e32 0x7f, v38
	s_cbranch_execz .LBB274_112
; %bb.109:                              ;   in Loop: Header=BB274_10 Depth=1
	v_and_b32_e32 v1, 7, v9
	v_lshrrev_b32_e32 v37, 3, v38
	s_mov_b32 s35, exec_lo
	v_cmpx_gt_u32_e32 8, v38
; %bb.110:                              ;   in Loop: Header=BB274_10 Depth=1
	s_delay_alu instid0(VALU_DEP_3) | instskip(NEXT) | instid1(VALU_DEP_1)
	v_clz_i32_u32_e32 v1, v1
	v_min_u32_e32 v1, 32, v1
	s_delay_alu instid0(VALU_DEP_1) | instskip(NEXT) | instid1(VALU_DEP_1)
	v_subrev_nc_u32_e32 v37, 28, v1
	v_lshlrev_b64_e32 v[38:39], v37, v[9:10]
	v_sub_nc_u32_e32 v37, 29, v1
	s_delay_alu instid0(VALU_DEP_2)
	v_and_b32_e32 v1, 7, v38
; %bb.111:                              ;   in Loop: Header=BB274_10 Depth=1
	s_wait_alu 0xfffe
	s_or_b32 exec_lo, exec_lo, s35
	v_lshlrev_b32_e32 v38, 8, v9
	v_lshl_add_u32 v37, v37, 10, 0x2000
	v_lshlrev_b32_e32 v1, 7, v1
	s_delay_alu instid0(VALU_DEP_3) | instskip(NEXT) | instid1(VALU_DEP_3)
	v_and_b32_e32 v38, 0x8000, v38
	v_and_b32_e32 v37, 0xfc00, v37
	s_delay_alu instid0(VALU_DEP_1)
	v_or3_b32 v37, v38, v37, v1
.LBB274_112:                            ;   in Loop: Header=BB274_10 Depth=1
	s_wait_alu 0xfffe
	s_or_b32 exec_lo, exec_lo, s34
.LBB274_113:                            ;   in Loop: Header=BB274_10 Depth=1
	s_delay_alu instid0(SALU_CYCLE_1)
	s_or_b32 exec_lo, exec_lo, s33
.LBB274_114:                            ;   in Loop: Header=BB274_10 Depth=1
	s_wait_alu 0xfffe
	s_or_b32 exec_lo, exec_lo, s5
	v_lshrrev_b16 v1, 8, v9
	s_mov_b32 s5, exec_lo
	s_delay_alu instid0(VALU_DEP_1)
	v_cmpx_ne_u16_e32 0, v1
	s_cbranch_execz .LBB274_122
; %bb.115:                              ;   in Loop: Header=BB274_10 Depth=1
	v_bfrev_b32_e32 v36, 1
	s_mov_b32 s33, exec_lo
	v_cmpx_ne_u16_e32 0x80, v1
	s_cbranch_execz .LBB274_121
; %bb.116:                              ;   in Loop: Header=BB274_10 Depth=1
	v_and_b32_e32 v38, 0xffff, v1
	v_mov_b32_e32 v36, 0x7c010000
	s_mov_b32 s34, exec_lo
	s_delay_alu instid0(VALU_DEP_2) | instskip(NEXT) | instid1(VALU_DEP_1)
	v_and_b32_e32 v40, 0x7f, v38
	v_cmpx_ne_u32_e32 0x7f, v40
	s_cbranch_execz .LBB274_120
; %bb.117:                              ;   in Loop: Header=BB274_10 Depth=1
	v_and_b32_e32 v36, 7, v38
	v_lshrrev_b32_e32 v39, 3, v40
	s_mov_b32 s35, exec_lo
	v_cmpx_gt_u32_e32 8, v40
; %bb.118:                              ;   in Loop: Header=BB274_10 Depth=1
	s_delay_alu instid0(VALU_DEP_3) | instskip(NEXT) | instid1(VALU_DEP_1)
	v_clz_i32_u32_e32 v36, v36
	v_min_u32_e32 v36, 32, v36
	s_delay_alu instid0(VALU_DEP_1) | instskip(NEXT) | instid1(VALU_DEP_1)
	v_subrev_nc_u32_e32 v39, 28, v36
	v_lshlrev_b64_e32 v[40:41], v39, v[1:2]
	v_sub_nc_u32_e32 v39, 29, v36
	s_delay_alu instid0(VALU_DEP_2)
	v_and_b32_e32 v36, 7, v40
; %bb.119:                              ;   in Loop: Header=BB274_10 Depth=1
	s_wait_alu 0xfffe
	s_or_b32 exec_lo, exec_lo, s35
	v_lshlrev_b32_e32 v1, 8, v38
	v_lshl_add_u32 v38, v39, 10, 0x2000
	v_lshlrev_b32_e32 v36, 23, v36
	s_delay_alu instid0(VALU_DEP_2) | instskip(NEXT) | instid1(VALU_DEP_1)
	v_and_or_b32 v1, 0x8000, v1, v38
	v_lshl_or_b32 v36, v1, 16, v36
.LBB274_120:                            ;   in Loop: Header=BB274_10 Depth=1
	s_wait_alu 0xfffe
	s_or_b32 exec_lo, exec_lo, s34
.LBB274_121:                            ;   in Loop: Header=BB274_10 Depth=1
	s_delay_alu instid0(SALU_CYCLE_1)
	s_or_b32 exec_lo, exec_lo, s33
.LBB274_122:                            ;   in Loop: Header=BB274_10 Depth=1
	s_wait_alu 0xfffe
	s_or_b32 exec_lo, exec_lo, s5
	v_lshrrev_b32_e32 v1, 16, v9
	v_mov_b32_e32 v38, 0
	s_mov_b32 s5, exec_lo
	s_delay_alu instid0(VALU_DEP_2) | instskip(NEXT) | instid1(VALU_DEP_1)
	v_dual_mov_b32 v39, 0 :: v_dual_and_b32 v40, 0xff, v1
	v_cmpx_ne_u16_e32 0, v40
	s_cbranch_execz .LBB274_130
; %bb.123:                              ;   in Loop: Header=BB274_10 Depth=1
	v_mov_b32_e32 v39, 0x8000
	s_mov_b32 s33, exec_lo
	v_cmpx_ne_u16_e32 0x80, v40
	s_cbranch_execz .LBB274_129
; %bb.124:                              ;   in Loop: Header=BB274_10 Depth=1
	v_bfe_u32 v41, v9, 16, 7
	v_mov_b32_e32 v39, 0x7c01
	s_mov_b32 s34, exec_lo
	s_delay_alu instid0(VALU_DEP_2)
	v_cmpx_ne_u32_e32 0x7f, v41
	s_cbranch_execz .LBB274_128
; %bb.125:                              ;   in Loop: Header=BB274_10 Depth=1
	v_and_b32_e32 v39, 7, v1
	v_lshrrev_b32_e32 v40, 3, v41
	s_mov_b32 s35, exec_lo
	v_cmpx_gt_u32_e32 8, v41
; %bb.126:                              ;   in Loop: Header=BB274_10 Depth=1
	s_delay_alu instid0(VALU_DEP_3) | instskip(NEXT) | instid1(VALU_DEP_1)
	v_clz_i32_u32_e32 v39, v39
	v_min_u32_e32 v41, 32, v39
	s_delay_alu instid0(VALU_DEP_1) | instskip(NEXT) | instid1(VALU_DEP_1)
	v_subrev_nc_u32_e32 v39, 28, v41
	v_lshlrev_b64_e32 v[39:40], v39, v[1:2]
	v_sub_nc_u32_e32 v40, 29, v41
	s_delay_alu instid0(VALU_DEP_2)
	v_and_b32_e32 v39, 7, v39
; %bb.127:                              ;   in Loop: Header=BB274_10 Depth=1
	s_wait_alu 0xfffe
	s_or_b32 exec_lo, exec_lo, s35
	v_lshlrev_b32_e32 v1, 8, v1
	v_lshl_add_u32 v40, v40, 10, 0x2000
	v_lshlrev_b32_e32 v39, 7, v39
	s_delay_alu instid0(VALU_DEP_3) | instskip(NEXT) | instid1(VALU_DEP_3)
	v_and_b32_e32 v1, 0x8000, v1
	v_and_b32_e32 v40, 0xfc00, v40
	s_delay_alu instid0(VALU_DEP_1)
	v_or3_b32 v39, v1, v40, v39
.LBB274_128:                            ;   in Loop: Header=BB274_10 Depth=1
	s_wait_alu 0xfffe
	s_or_b32 exec_lo, exec_lo, s34
.LBB274_129:                            ;   in Loop: Header=BB274_10 Depth=1
	s_delay_alu instid0(SALU_CYCLE_1)
	s_or_b32 exec_lo, exec_lo, s33
.LBB274_130:                            ;   in Loop: Header=BB274_10 Depth=1
	s_wait_alu 0xfffe
	s_or_b32 exec_lo, exec_lo, s5
	s_delay_alu instid0(SALU_CYCLE_1)
	s_mov_b32 s5, exec_lo
	v_cmpx_lt_u32_e32 0xffffff, v9
	s_cbranch_execz .LBB274_138
; %bb.131:                              ;   in Loop: Header=BB274_10 Depth=1
	v_lshrrev_b32_e32 v1, 24, v9
	v_bfrev_b32_e32 v38, 1
	s_mov_b32 s33, exec_lo
	s_delay_alu instid0(VALU_DEP_2)
	v_cmpx_ne_u32_e32 0x80, v1
	s_cbranch_execz .LBB274_137
; %bb.132:                              ;   in Loop: Header=BB274_10 Depth=1
	v_and_b32_e32 v40, 0x7f, v1
	v_mov_b32_e32 v38, 0x7c010000
	s_mov_b32 s34, exec_lo
	s_delay_alu instid0(VALU_DEP_2)
	v_cmpx_ne_u32_e32 0x7f, v40
	s_cbranch_execz .LBB274_136
; %bb.133:                              ;   in Loop: Header=BB274_10 Depth=1
	v_and_b32_e32 v9, 7, v1
	v_lshrrev_b32_e32 v38, 3, v40
	s_mov_b32 s35, exec_lo
	v_cmpx_gt_u32_e32 8, v40
; %bb.134:                              ;   in Loop: Header=BB274_10 Depth=1
	s_delay_alu instid0(VALU_DEP_3) | instskip(NEXT) | instid1(VALU_DEP_1)
	v_clz_i32_u32_e32 v9, v9
	v_min_u32_e32 v9, 32, v9
	s_delay_alu instid0(VALU_DEP_1) | instskip(NEXT) | instid1(VALU_DEP_1)
	v_subrev_nc_u32_e32 v38, 28, v9
	v_lshlrev_b64_e32 v[40:41], v38, v[1:2]
	v_sub_nc_u32_e32 v38, 29, v9
	s_delay_alu instid0(VALU_DEP_2)
	v_and_b32_e32 v9, 7, v40
; %bb.135:                              ;   in Loop: Header=BB274_10 Depth=1
	s_wait_alu 0xfffe
	s_or_b32 exec_lo, exec_lo, s35
	v_lshlrev_b32_e32 v1, 8, v1
	v_lshl_add_u32 v38, v38, 10, 0x2000
	v_lshlrev_b32_e32 v9, 23, v9
	s_delay_alu instid0(VALU_DEP_2) | instskip(NEXT) | instid1(VALU_DEP_1)
	v_and_or_b32 v1, 0x8000, v1, v38
	v_lshl_or_b32 v38, v1, 16, v9
.LBB274_136:                            ;   in Loop: Header=BB274_10 Depth=1
	s_wait_alu 0xfffe
	s_or_b32 exec_lo, exec_lo, s34
.LBB274_137:                            ;   in Loop: Header=BB274_10 Depth=1
	s_delay_alu instid0(SALU_CYCLE_1)
	s_or_b32 exec_lo, exec_lo, s33
.LBB274_138:                            ;   in Loop: Header=BB274_10 Depth=1
	s_wait_alu 0xfffe
	s_or_b32 exec_lo, exec_lo, s5
	global_load_b32 v9, v[7:8], off offset:512
	v_mov_b32_e32 v41, 0
	s_mov_b32 s5, exec_lo
	s_wait_loadcnt 0x0
	v_dual_mov_b32 v40, 0 :: v_dual_and_b32 v1, 0xff, v9
	s_delay_alu instid0(VALU_DEP_1)
	v_cmpx_ne_u16_e32 0, v1
	s_cbranch_execz .LBB274_146
; %bb.139:                              ;   in Loop: Header=BB274_10 Depth=1
	v_mov_b32_e32 v41, 0x8000
	s_mov_b32 s33, exec_lo
	v_cmpx_ne_u16_e32 0x80, v1
	s_cbranch_execz .LBB274_145
; %bb.140:                              ;   in Loop: Header=BB274_10 Depth=1
	v_and_b32_e32 v42, 0x7f, v9
	v_mov_b32_e32 v41, 0x7c01
	s_mov_b32 s34, exec_lo
	s_delay_alu instid0(VALU_DEP_2)
	v_cmpx_ne_u32_e32 0x7f, v42
	s_cbranch_execz .LBB274_144
; %bb.141:                              ;   in Loop: Header=BB274_10 Depth=1
	v_and_b32_e32 v1, 7, v9
	v_lshrrev_b32_e32 v41, 3, v42
	s_mov_b32 s35, exec_lo
	v_cmpx_gt_u32_e32 8, v42
; %bb.142:                              ;   in Loop: Header=BB274_10 Depth=1
	s_delay_alu instid0(VALU_DEP_3) | instskip(NEXT) | instid1(VALU_DEP_1)
	v_clz_i32_u32_e32 v1, v1
	v_min_u32_e32 v1, 32, v1
	s_delay_alu instid0(VALU_DEP_1) | instskip(NEXT) | instid1(VALU_DEP_1)
	v_subrev_nc_u32_e32 v41, 28, v1
	v_lshlrev_b64_e32 v[42:43], v41, v[9:10]
	v_sub_nc_u32_e32 v41, 29, v1
	s_delay_alu instid0(VALU_DEP_2)
	v_and_b32_e32 v1, 7, v42
; %bb.143:                              ;   in Loop: Header=BB274_10 Depth=1
	s_wait_alu 0xfffe
	s_or_b32 exec_lo, exec_lo, s35
	v_lshlrev_b32_e32 v42, 8, v9
	v_lshl_add_u32 v41, v41, 10, 0x2000
	v_lshlrev_b32_e32 v1, 7, v1
	s_delay_alu instid0(VALU_DEP_3) | instskip(NEXT) | instid1(VALU_DEP_3)
	v_and_b32_e32 v42, 0x8000, v42
	v_and_b32_e32 v41, 0xfc00, v41
	s_delay_alu instid0(VALU_DEP_1)
	v_or3_b32 v41, v42, v41, v1
.LBB274_144:                            ;   in Loop: Header=BB274_10 Depth=1
	s_wait_alu 0xfffe
	s_or_b32 exec_lo, exec_lo, s34
.LBB274_145:                            ;   in Loop: Header=BB274_10 Depth=1
	s_delay_alu instid0(SALU_CYCLE_1)
	s_or_b32 exec_lo, exec_lo, s33
.LBB274_146:                            ;   in Loop: Header=BB274_10 Depth=1
	s_wait_alu 0xfffe
	s_or_b32 exec_lo, exec_lo, s5
	v_lshrrev_b16 v1, 8, v9
	s_mov_b32 s5, exec_lo
	s_delay_alu instid0(VALU_DEP_1)
	v_cmpx_ne_u16_e32 0, v1
	s_cbranch_execz .LBB274_154
; %bb.147:                              ;   in Loop: Header=BB274_10 Depth=1
	v_bfrev_b32_e32 v40, 1
	s_mov_b32 s33, exec_lo
	v_cmpx_ne_u16_e32 0x80, v1
	s_cbranch_execz .LBB274_153
; %bb.148:                              ;   in Loop: Header=BB274_10 Depth=1
	v_and_b32_e32 v42, 0xffff, v1
	v_mov_b32_e32 v40, 0x7c010000
	s_mov_b32 s34, exec_lo
	s_delay_alu instid0(VALU_DEP_2) | instskip(NEXT) | instid1(VALU_DEP_1)
	v_and_b32_e32 v44, 0x7f, v42
	v_cmpx_ne_u32_e32 0x7f, v44
	s_cbranch_execz .LBB274_152
; %bb.149:                              ;   in Loop: Header=BB274_10 Depth=1
	v_and_b32_e32 v40, 7, v42
	v_lshrrev_b32_e32 v43, 3, v44
	s_mov_b32 s35, exec_lo
	v_cmpx_gt_u32_e32 8, v44
; %bb.150:                              ;   in Loop: Header=BB274_10 Depth=1
	s_delay_alu instid0(VALU_DEP_3) | instskip(NEXT) | instid1(VALU_DEP_1)
	v_clz_i32_u32_e32 v40, v40
	v_min_u32_e32 v40, 32, v40
	s_delay_alu instid0(VALU_DEP_1) | instskip(NEXT) | instid1(VALU_DEP_1)
	v_subrev_nc_u32_e32 v43, 28, v40
	v_lshlrev_b64_e32 v[44:45], v43, v[1:2]
	v_sub_nc_u32_e32 v43, 29, v40
	s_delay_alu instid0(VALU_DEP_2)
	v_and_b32_e32 v40, 7, v44
; %bb.151:                              ;   in Loop: Header=BB274_10 Depth=1
	s_wait_alu 0xfffe
	s_or_b32 exec_lo, exec_lo, s35
	v_lshlrev_b32_e32 v1, 8, v42
	v_lshl_add_u32 v42, v43, 10, 0x2000
	v_lshlrev_b32_e32 v40, 23, v40
	s_delay_alu instid0(VALU_DEP_2) | instskip(NEXT) | instid1(VALU_DEP_1)
	v_and_or_b32 v1, 0x8000, v1, v42
	v_lshl_or_b32 v40, v1, 16, v40
.LBB274_152:                            ;   in Loop: Header=BB274_10 Depth=1
	s_wait_alu 0xfffe
	s_or_b32 exec_lo, exec_lo, s34
.LBB274_153:                            ;   in Loop: Header=BB274_10 Depth=1
	s_delay_alu instid0(SALU_CYCLE_1)
	s_or_b32 exec_lo, exec_lo, s33
.LBB274_154:                            ;   in Loop: Header=BB274_10 Depth=1
	s_wait_alu 0xfffe
	s_or_b32 exec_lo, exec_lo, s5
	v_lshrrev_b32_e32 v1, 16, v9
	v_mov_b32_e32 v42, 0
	s_mov_b32 s5, exec_lo
	s_delay_alu instid0(VALU_DEP_2) | instskip(NEXT) | instid1(VALU_DEP_1)
	v_dual_mov_b32 v43, 0 :: v_dual_and_b32 v44, 0xff, v1
	v_cmpx_ne_u16_e32 0, v44
	s_cbranch_execz .LBB274_162
; %bb.155:                              ;   in Loop: Header=BB274_10 Depth=1
	v_mov_b32_e32 v43, 0x8000
	s_mov_b32 s33, exec_lo
	v_cmpx_ne_u16_e32 0x80, v44
	s_cbranch_execz .LBB274_161
; %bb.156:                              ;   in Loop: Header=BB274_10 Depth=1
	v_bfe_u32 v45, v9, 16, 7
	v_mov_b32_e32 v43, 0x7c01
	s_mov_b32 s34, exec_lo
	s_delay_alu instid0(VALU_DEP_2)
	v_cmpx_ne_u32_e32 0x7f, v45
	s_cbranch_execz .LBB274_160
; %bb.157:                              ;   in Loop: Header=BB274_10 Depth=1
	v_and_b32_e32 v43, 7, v1
	v_lshrrev_b32_e32 v44, 3, v45
	s_mov_b32 s35, exec_lo
	v_cmpx_gt_u32_e32 8, v45
; %bb.158:                              ;   in Loop: Header=BB274_10 Depth=1
	s_delay_alu instid0(VALU_DEP_3) | instskip(NEXT) | instid1(VALU_DEP_1)
	v_clz_i32_u32_e32 v43, v43
	v_min_u32_e32 v45, 32, v43
	s_delay_alu instid0(VALU_DEP_1) | instskip(NEXT) | instid1(VALU_DEP_1)
	v_subrev_nc_u32_e32 v43, 28, v45
	v_lshlrev_b64_e32 v[43:44], v43, v[1:2]
	v_sub_nc_u32_e32 v44, 29, v45
	s_delay_alu instid0(VALU_DEP_2)
	v_and_b32_e32 v43, 7, v43
; %bb.159:                              ;   in Loop: Header=BB274_10 Depth=1
	s_wait_alu 0xfffe
	s_or_b32 exec_lo, exec_lo, s35
	v_lshlrev_b32_e32 v1, 8, v1
	v_lshl_add_u32 v44, v44, 10, 0x2000
	v_lshlrev_b32_e32 v43, 7, v43
	s_delay_alu instid0(VALU_DEP_3) | instskip(NEXT) | instid1(VALU_DEP_3)
	v_and_b32_e32 v1, 0x8000, v1
	v_and_b32_e32 v44, 0xfc00, v44
	s_delay_alu instid0(VALU_DEP_1)
	v_or3_b32 v43, v1, v44, v43
.LBB274_160:                            ;   in Loop: Header=BB274_10 Depth=1
	s_wait_alu 0xfffe
	s_or_b32 exec_lo, exec_lo, s34
.LBB274_161:                            ;   in Loop: Header=BB274_10 Depth=1
	s_delay_alu instid0(SALU_CYCLE_1)
	s_or_b32 exec_lo, exec_lo, s33
.LBB274_162:                            ;   in Loop: Header=BB274_10 Depth=1
	s_wait_alu 0xfffe
	s_or_b32 exec_lo, exec_lo, s5
	s_delay_alu instid0(SALU_CYCLE_1)
	s_mov_b32 s5, exec_lo
	v_cmpx_lt_u32_e32 0xffffff, v9
	s_cbranch_execz .LBB274_170
; %bb.163:                              ;   in Loop: Header=BB274_10 Depth=1
	v_lshrrev_b32_e32 v1, 24, v9
	v_bfrev_b32_e32 v42, 1
	s_mov_b32 s33, exec_lo
	s_delay_alu instid0(VALU_DEP_2)
	v_cmpx_ne_u32_e32 0x80, v1
	s_cbranch_execz .LBB274_169
; %bb.164:                              ;   in Loop: Header=BB274_10 Depth=1
	v_and_b32_e32 v44, 0x7f, v1
	v_mov_b32_e32 v42, 0x7c010000
	s_mov_b32 s34, exec_lo
	s_delay_alu instid0(VALU_DEP_2)
	v_cmpx_ne_u32_e32 0x7f, v44
	s_cbranch_execz .LBB274_168
; %bb.165:                              ;   in Loop: Header=BB274_10 Depth=1
	v_and_b32_e32 v9, 7, v1
	v_lshrrev_b32_e32 v42, 3, v44
	s_mov_b32 s35, exec_lo
	v_cmpx_gt_u32_e32 8, v44
; %bb.166:                              ;   in Loop: Header=BB274_10 Depth=1
	s_delay_alu instid0(VALU_DEP_3) | instskip(NEXT) | instid1(VALU_DEP_1)
	v_clz_i32_u32_e32 v9, v9
	v_min_u32_e32 v9, 32, v9
	s_delay_alu instid0(VALU_DEP_1) | instskip(NEXT) | instid1(VALU_DEP_1)
	v_subrev_nc_u32_e32 v42, 28, v9
	v_lshlrev_b64_e32 v[44:45], v42, v[1:2]
	v_sub_nc_u32_e32 v42, 29, v9
	s_delay_alu instid0(VALU_DEP_2)
	v_and_b32_e32 v9, 7, v44
; %bb.167:                              ;   in Loop: Header=BB274_10 Depth=1
	s_wait_alu 0xfffe
	s_or_b32 exec_lo, exec_lo, s35
	v_lshlrev_b32_e32 v1, 8, v1
	v_lshl_add_u32 v42, v42, 10, 0x2000
	v_lshlrev_b32_e32 v9, 23, v9
	s_delay_alu instid0(VALU_DEP_2) | instskip(NEXT) | instid1(VALU_DEP_1)
	v_and_or_b32 v1, 0x8000, v1, v42
	v_lshl_or_b32 v42, v1, 16, v9
.LBB274_168:                            ;   in Loop: Header=BB274_10 Depth=1
	s_wait_alu 0xfffe
	s_or_b32 exec_lo, exec_lo, s34
.LBB274_169:                            ;   in Loop: Header=BB274_10 Depth=1
	s_delay_alu instid0(SALU_CYCLE_1)
	s_or_b32 exec_lo, exec_lo, s33
.LBB274_170:                            ;   in Loop: Header=BB274_10 Depth=1
	s_wait_alu 0xfffe
	s_or_b32 exec_lo, exec_lo, s5
	global_load_b32 v9, v[7:8], off offset:520
	v_mov_b32_e32 v45, 0
	s_mov_b32 s5, exec_lo
	s_wait_loadcnt 0x0
	v_dual_mov_b32 v44, 0 :: v_dual_and_b32 v1, 0xff, v9
	s_delay_alu instid0(VALU_DEP_1)
	v_cmpx_ne_u16_e32 0, v1
	s_cbranch_execz .LBB274_178
; %bb.171:                              ;   in Loop: Header=BB274_10 Depth=1
	v_mov_b32_e32 v45, 0x8000
	s_mov_b32 s33, exec_lo
	v_cmpx_ne_u16_e32 0x80, v1
	s_cbranch_execz .LBB274_177
; %bb.172:                              ;   in Loop: Header=BB274_10 Depth=1
	v_and_b32_e32 v46, 0x7f, v9
	v_mov_b32_e32 v45, 0x7c01
	s_mov_b32 s34, exec_lo
	s_delay_alu instid0(VALU_DEP_2)
	v_cmpx_ne_u32_e32 0x7f, v46
	s_cbranch_execz .LBB274_176
; %bb.173:                              ;   in Loop: Header=BB274_10 Depth=1
	v_and_b32_e32 v1, 7, v9
	v_lshrrev_b32_e32 v45, 3, v46
	s_mov_b32 s35, exec_lo
	v_cmpx_gt_u32_e32 8, v46
; %bb.174:                              ;   in Loop: Header=BB274_10 Depth=1
	s_delay_alu instid0(VALU_DEP_3) | instskip(NEXT) | instid1(VALU_DEP_1)
	v_clz_i32_u32_e32 v1, v1
	v_min_u32_e32 v1, 32, v1
	s_delay_alu instid0(VALU_DEP_1) | instskip(NEXT) | instid1(VALU_DEP_1)
	v_subrev_nc_u32_e32 v45, 28, v1
	v_lshlrev_b64_e32 v[46:47], v45, v[9:10]
	v_sub_nc_u32_e32 v45, 29, v1
	s_delay_alu instid0(VALU_DEP_2)
	v_and_b32_e32 v1, 7, v46
; %bb.175:                              ;   in Loop: Header=BB274_10 Depth=1
	s_wait_alu 0xfffe
	s_or_b32 exec_lo, exec_lo, s35
	v_lshlrev_b32_e32 v46, 8, v9
	v_lshl_add_u32 v45, v45, 10, 0x2000
	v_lshlrev_b32_e32 v1, 7, v1
	s_delay_alu instid0(VALU_DEP_3) | instskip(NEXT) | instid1(VALU_DEP_3)
	v_and_b32_e32 v46, 0x8000, v46
	v_and_b32_e32 v45, 0xfc00, v45
	s_delay_alu instid0(VALU_DEP_1)
	v_or3_b32 v45, v46, v45, v1
.LBB274_176:                            ;   in Loop: Header=BB274_10 Depth=1
	s_wait_alu 0xfffe
	s_or_b32 exec_lo, exec_lo, s34
.LBB274_177:                            ;   in Loop: Header=BB274_10 Depth=1
	s_delay_alu instid0(SALU_CYCLE_1)
	s_or_b32 exec_lo, exec_lo, s33
.LBB274_178:                            ;   in Loop: Header=BB274_10 Depth=1
	s_wait_alu 0xfffe
	s_or_b32 exec_lo, exec_lo, s5
	v_lshrrev_b16 v1, 8, v9
	s_mov_b32 s5, exec_lo
	s_delay_alu instid0(VALU_DEP_1)
	v_cmpx_ne_u16_e32 0, v1
	s_cbranch_execz .LBB274_186
; %bb.179:                              ;   in Loop: Header=BB274_10 Depth=1
	v_bfrev_b32_e32 v44, 1
	s_mov_b32 s33, exec_lo
	v_cmpx_ne_u16_e32 0x80, v1
	s_cbranch_execz .LBB274_185
; %bb.180:                              ;   in Loop: Header=BB274_10 Depth=1
	v_and_b32_e32 v46, 0xffff, v1
	v_mov_b32_e32 v44, 0x7c010000
	s_mov_b32 s34, exec_lo
	s_delay_alu instid0(VALU_DEP_2) | instskip(NEXT) | instid1(VALU_DEP_1)
	v_and_b32_e32 v48, 0x7f, v46
	v_cmpx_ne_u32_e32 0x7f, v48
	s_cbranch_execz .LBB274_184
; %bb.181:                              ;   in Loop: Header=BB274_10 Depth=1
	v_and_b32_e32 v44, 7, v46
	v_lshrrev_b32_e32 v47, 3, v48
	s_mov_b32 s35, exec_lo
	v_cmpx_gt_u32_e32 8, v48
; %bb.182:                              ;   in Loop: Header=BB274_10 Depth=1
	s_delay_alu instid0(VALU_DEP_3) | instskip(NEXT) | instid1(VALU_DEP_1)
	v_clz_i32_u32_e32 v44, v44
	v_min_u32_e32 v44, 32, v44
	s_delay_alu instid0(VALU_DEP_1) | instskip(NEXT) | instid1(VALU_DEP_1)
	v_subrev_nc_u32_e32 v47, 28, v44
	v_lshlrev_b64_e32 v[48:49], v47, v[1:2]
	v_sub_nc_u32_e32 v47, 29, v44
	s_delay_alu instid0(VALU_DEP_2)
	v_and_b32_e32 v44, 7, v48
; %bb.183:                              ;   in Loop: Header=BB274_10 Depth=1
	s_wait_alu 0xfffe
	s_or_b32 exec_lo, exec_lo, s35
	v_lshlrev_b32_e32 v1, 8, v46
	v_lshl_add_u32 v46, v47, 10, 0x2000
	v_lshlrev_b32_e32 v44, 23, v44
	s_delay_alu instid0(VALU_DEP_2) | instskip(NEXT) | instid1(VALU_DEP_1)
	v_and_or_b32 v1, 0x8000, v1, v46
	v_lshl_or_b32 v44, v1, 16, v44
.LBB274_184:                            ;   in Loop: Header=BB274_10 Depth=1
	s_wait_alu 0xfffe
	s_or_b32 exec_lo, exec_lo, s34
.LBB274_185:                            ;   in Loop: Header=BB274_10 Depth=1
	s_delay_alu instid0(SALU_CYCLE_1)
	s_or_b32 exec_lo, exec_lo, s33
.LBB274_186:                            ;   in Loop: Header=BB274_10 Depth=1
	s_wait_alu 0xfffe
	s_or_b32 exec_lo, exec_lo, s5
	v_lshrrev_b32_e32 v1, 16, v9
	v_mov_b32_e32 v46, 0
	s_mov_b32 s5, exec_lo
	s_delay_alu instid0(VALU_DEP_2) | instskip(NEXT) | instid1(VALU_DEP_1)
	v_dual_mov_b32 v47, 0 :: v_dual_and_b32 v48, 0xff, v1
	v_cmpx_ne_u16_e32 0, v48
	s_cbranch_execz .LBB274_194
; %bb.187:                              ;   in Loop: Header=BB274_10 Depth=1
	v_mov_b32_e32 v47, 0x8000
	s_mov_b32 s33, exec_lo
	v_cmpx_ne_u16_e32 0x80, v48
	s_cbranch_execz .LBB274_193
; %bb.188:                              ;   in Loop: Header=BB274_10 Depth=1
	v_bfe_u32 v49, v9, 16, 7
	v_mov_b32_e32 v47, 0x7c01
	s_mov_b32 s34, exec_lo
	s_delay_alu instid0(VALU_DEP_2)
	v_cmpx_ne_u32_e32 0x7f, v49
	s_cbranch_execz .LBB274_192
; %bb.189:                              ;   in Loop: Header=BB274_10 Depth=1
	v_and_b32_e32 v47, 7, v1
	v_lshrrev_b32_e32 v48, 3, v49
	s_mov_b32 s35, exec_lo
	v_cmpx_gt_u32_e32 8, v49
; %bb.190:                              ;   in Loop: Header=BB274_10 Depth=1
	s_delay_alu instid0(VALU_DEP_3) | instskip(NEXT) | instid1(VALU_DEP_1)
	v_clz_i32_u32_e32 v47, v47
	v_min_u32_e32 v49, 32, v47
	s_delay_alu instid0(VALU_DEP_1) | instskip(NEXT) | instid1(VALU_DEP_1)
	v_subrev_nc_u32_e32 v47, 28, v49
	v_lshlrev_b64_e32 v[47:48], v47, v[1:2]
	v_sub_nc_u32_e32 v48, 29, v49
	s_delay_alu instid0(VALU_DEP_2)
	v_and_b32_e32 v47, 7, v47
; %bb.191:                              ;   in Loop: Header=BB274_10 Depth=1
	s_wait_alu 0xfffe
	s_or_b32 exec_lo, exec_lo, s35
	v_lshlrev_b32_e32 v1, 8, v1
	v_lshl_add_u32 v48, v48, 10, 0x2000
	v_lshlrev_b32_e32 v47, 7, v47
	s_delay_alu instid0(VALU_DEP_3) | instskip(NEXT) | instid1(VALU_DEP_3)
	v_and_b32_e32 v1, 0x8000, v1
	v_and_b32_e32 v48, 0xfc00, v48
	s_delay_alu instid0(VALU_DEP_1)
	v_or3_b32 v47, v1, v48, v47
.LBB274_192:                            ;   in Loop: Header=BB274_10 Depth=1
	s_wait_alu 0xfffe
	s_or_b32 exec_lo, exec_lo, s34
.LBB274_193:                            ;   in Loop: Header=BB274_10 Depth=1
	s_delay_alu instid0(SALU_CYCLE_1)
	s_or_b32 exec_lo, exec_lo, s33
.LBB274_194:                            ;   in Loop: Header=BB274_10 Depth=1
	s_wait_alu 0xfffe
	s_or_b32 exec_lo, exec_lo, s5
	s_delay_alu instid0(SALU_CYCLE_1)
	s_mov_b32 s5, exec_lo
	v_cmpx_lt_u32_e32 0xffffff, v9
	s_cbranch_execz .LBB274_202
; %bb.195:                              ;   in Loop: Header=BB274_10 Depth=1
	v_lshrrev_b32_e32 v1, 24, v9
	v_bfrev_b32_e32 v46, 1
	s_mov_b32 s33, exec_lo
	s_delay_alu instid0(VALU_DEP_2)
	v_cmpx_ne_u32_e32 0x80, v1
	s_cbranch_execz .LBB274_201
; %bb.196:                              ;   in Loop: Header=BB274_10 Depth=1
	v_and_b32_e32 v48, 0x7f, v1
	v_mov_b32_e32 v46, 0x7c010000
	s_mov_b32 s34, exec_lo
	s_delay_alu instid0(VALU_DEP_2)
	v_cmpx_ne_u32_e32 0x7f, v48
	s_cbranch_execz .LBB274_200
; %bb.197:                              ;   in Loop: Header=BB274_10 Depth=1
	v_and_b32_e32 v9, 7, v1
	v_lshrrev_b32_e32 v46, 3, v48
	s_mov_b32 s35, exec_lo
	v_cmpx_gt_u32_e32 8, v48
; %bb.198:                              ;   in Loop: Header=BB274_10 Depth=1
	s_delay_alu instid0(VALU_DEP_3) | instskip(NEXT) | instid1(VALU_DEP_1)
	v_clz_i32_u32_e32 v9, v9
	v_min_u32_e32 v9, 32, v9
	s_delay_alu instid0(VALU_DEP_1) | instskip(NEXT) | instid1(VALU_DEP_1)
	v_subrev_nc_u32_e32 v46, 28, v9
	v_lshlrev_b64_e32 v[48:49], v46, v[1:2]
	v_sub_nc_u32_e32 v46, 29, v9
	s_delay_alu instid0(VALU_DEP_2)
	v_and_b32_e32 v9, 7, v48
; %bb.199:                              ;   in Loop: Header=BB274_10 Depth=1
	s_wait_alu 0xfffe
	s_or_b32 exec_lo, exec_lo, s35
	v_lshlrev_b32_e32 v1, 8, v1
	v_lshl_add_u32 v46, v46, 10, 0x2000
	v_lshlrev_b32_e32 v9, 23, v9
	s_delay_alu instid0(VALU_DEP_2) | instskip(NEXT) | instid1(VALU_DEP_1)
	v_and_or_b32 v1, 0x8000, v1, v46
	v_lshl_or_b32 v46, v1, 16, v9
.LBB274_200:                            ;   in Loop: Header=BB274_10 Depth=1
	s_wait_alu 0xfffe
	s_or_b32 exec_lo, exec_lo, s34
.LBB274_201:                            ;   in Loop: Header=BB274_10 Depth=1
	s_delay_alu instid0(SALU_CYCLE_1)
	s_or_b32 exec_lo, exec_lo, s33
.LBB274_202:                            ;   in Loop: Header=BB274_10 Depth=1
	s_wait_alu 0xfffe
	s_or_b32 exec_lo, exec_lo, s5
	global_load_b32 v9, v[7:8], off offset:768
	v_mov_b32_e32 v49, 0
	s_mov_b32 s5, exec_lo
	s_wait_loadcnt 0x0
	v_dual_mov_b32 v48, 0 :: v_dual_and_b32 v1, 0xff, v9
	s_delay_alu instid0(VALU_DEP_1)
	v_cmpx_ne_u16_e32 0, v1
	s_cbranch_execz .LBB274_210
; %bb.203:                              ;   in Loop: Header=BB274_10 Depth=1
	v_mov_b32_e32 v49, 0x8000
	s_mov_b32 s33, exec_lo
	v_cmpx_ne_u16_e32 0x80, v1
	s_cbranch_execz .LBB274_209
; %bb.204:                              ;   in Loop: Header=BB274_10 Depth=1
	v_and_b32_e32 v50, 0x7f, v9
	v_mov_b32_e32 v49, 0x7c01
	s_mov_b32 s34, exec_lo
	s_delay_alu instid0(VALU_DEP_2)
	v_cmpx_ne_u32_e32 0x7f, v50
	s_cbranch_execz .LBB274_208
; %bb.205:                              ;   in Loop: Header=BB274_10 Depth=1
	v_and_b32_e32 v1, 7, v9
	v_lshrrev_b32_e32 v49, 3, v50
	s_mov_b32 s35, exec_lo
	v_cmpx_gt_u32_e32 8, v50
; %bb.206:                              ;   in Loop: Header=BB274_10 Depth=1
	s_delay_alu instid0(VALU_DEP_3) | instskip(NEXT) | instid1(VALU_DEP_1)
	v_clz_i32_u32_e32 v1, v1
	v_min_u32_e32 v1, 32, v1
	s_delay_alu instid0(VALU_DEP_1) | instskip(NEXT) | instid1(VALU_DEP_1)
	v_subrev_nc_u32_e32 v49, 28, v1
	v_lshlrev_b64_e32 v[50:51], v49, v[9:10]
	v_sub_nc_u32_e32 v49, 29, v1
	s_delay_alu instid0(VALU_DEP_2)
	v_and_b32_e32 v1, 7, v50
; %bb.207:                              ;   in Loop: Header=BB274_10 Depth=1
	s_wait_alu 0xfffe
	s_or_b32 exec_lo, exec_lo, s35
	v_lshlrev_b32_e32 v50, 8, v9
	v_lshl_add_u32 v49, v49, 10, 0x2000
	v_lshlrev_b32_e32 v1, 7, v1
	s_delay_alu instid0(VALU_DEP_3) | instskip(NEXT) | instid1(VALU_DEP_3)
	v_and_b32_e32 v50, 0x8000, v50
	v_and_b32_e32 v49, 0xfc00, v49
	s_delay_alu instid0(VALU_DEP_1)
	v_or3_b32 v49, v50, v49, v1
.LBB274_208:                            ;   in Loop: Header=BB274_10 Depth=1
	s_wait_alu 0xfffe
	s_or_b32 exec_lo, exec_lo, s34
.LBB274_209:                            ;   in Loop: Header=BB274_10 Depth=1
	s_delay_alu instid0(SALU_CYCLE_1)
	s_or_b32 exec_lo, exec_lo, s33
.LBB274_210:                            ;   in Loop: Header=BB274_10 Depth=1
	s_wait_alu 0xfffe
	s_or_b32 exec_lo, exec_lo, s5
	v_lshrrev_b16 v1, 8, v9
	s_mov_b32 s5, exec_lo
	s_delay_alu instid0(VALU_DEP_1)
	v_cmpx_ne_u16_e32 0, v1
	s_cbranch_execz .LBB274_218
; %bb.211:                              ;   in Loop: Header=BB274_10 Depth=1
	v_bfrev_b32_e32 v48, 1
	s_mov_b32 s33, exec_lo
	v_cmpx_ne_u16_e32 0x80, v1
	s_cbranch_execz .LBB274_217
; %bb.212:                              ;   in Loop: Header=BB274_10 Depth=1
	v_and_b32_e32 v50, 0xffff, v1
	v_mov_b32_e32 v48, 0x7c010000
	s_mov_b32 s34, exec_lo
	s_delay_alu instid0(VALU_DEP_2) | instskip(NEXT) | instid1(VALU_DEP_1)
	v_and_b32_e32 v52, 0x7f, v50
	v_cmpx_ne_u32_e32 0x7f, v52
	s_cbranch_execz .LBB274_216
; %bb.213:                              ;   in Loop: Header=BB274_10 Depth=1
	v_and_b32_e32 v48, 7, v50
	v_lshrrev_b32_e32 v51, 3, v52
	s_mov_b32 s35, exec_lo
	v_cmpx_gt_u32_e32 8, v52
; %bb.214:                              ;   in Loop: Header=BB274_10 Depth=1
	s_delay_alu instid0(VALU_DEP_3) | instskip(NEXT) | instid1(VALU_DEP_1)
	v_clz_i32_u32_e32 v48, v48
	v_min_u32_e32 v48, 32, v48
	s_delay_alu instid0(VALU_DEP_1) | instskip(NEXT) | instid1(VALU_DEP_1)
	v_subrev_nc_u32_e32 v51, 28, v48
	v_lshlrev_b64_e32 v[52:53], v51, v[1:2]
	v_sub_nc_u32_e32 v51, 29, v48
	s_delay_alu instid0(VALU_DEP_2)
	v_and_b32_e32 v48, 7, v52
; %bb.215:                              ;   in Loop: Header=BB274_10 Depth=1
	s_wait_alu 0xfffe
	s_or_b32 exec_lo, exec_lo, s35
	v_lshlrev_b32_e32 v1, 8, v50
	v_lshl_add_u32 v50, v51, 10, 0x2000
	v_lshlrev_b32_e32 v48, 23, v48
	s_delay_alu instid0(VALU_DEP_2) | instskip(NEXT) | instid1(VALU_DEP_1)
	v_and_or_b32 v1, 0x8000, v1, v50
	v_lshl_or_b32 v48, v1, 16, v48
.LBB274_216:                            ;   in Loop: Header=BB274_10 Depth=1
	s_wait_alu 0xfffe
	s_or_b32 exec_lo, exec_lo, s34
.LBB274_217:                            ;   in Loop: Header=BB274_10 Depth=1
	s_delay_alu instid0(SALU_CYCLE_1)
	s_or_b32 exec_lo, exec_lo, s33
.LBB274_218:                            ;   in Loop: Header=BB274_10 Depth=1
	s_wait_alu 0xfffe
	s_or_b32 exec_lo, exec_lo, s5
	v_lshrrev_b32_e32 v1, 16, v9
	v_mov_b32_e32 v50, 0
	s_mov_b32 s5, exec_lo
	s_delay_alu instid0(VALU_DEP_2) | instskip(NEXT) | instid1(VALU_DEP_1)
	v_dual_mov_b32 v51, 0 :: v_dual_and_b32 v52, 0xff, v1
	v_cmpx_ne_u16_e32 0, v52
	s_cbranch_execz .LBB274_226
; %bb.219:                              ;   in Loop: Header=BB274_10 Depth=1
	v_mov_b32_e32 v51, 0x8000
	s_mov_b32 s33, exec_lo
	v_cmpx_ne_u16_e32 0x80, v52
	s_cbranch_execz .LBB274_225
; %bb.220:                              ;   in Loop: Header=BB274_10 Depth=1
	v_bfe_u32 v53, v9, 16, 7
	v_mov_b32_e32 v51, 0x7c01
	s_mov_b32 s34, exec_lo
	s_delay_alu instid0(VALU_DEP_2)
	v_cmpx_ne_u32_e32 0x7f, v53
	s_cbranch_execz .LBB274_224
; %bb.221:                              ;   in Loop: Header=BB274_10 Depth=1
	v_and_b32_e32 v51, 7, v1
	v_lshrrev_b32_e32 v52, 3, v53
	s_mov_b32 s35, exec_lo
	v_cmpx_gt_u32_e32 8, v53
; %bb.222:                              ;   in Loop: Header=BB274_10 Depth=1
	s_delay_alu instid0(VALU_DEP_3) | instskip(NEXT) | instid1(VALU_DEP_1)
	v_clz_i32_u32_e32 v51, v51
	v_min_u32_e32 v53, 32, v51
	s_delay_alu instid0(VALU_DEP_1) | instskip(NEXT) | instid1(VALU_DEP_1)
	v_subrev_nc_u32_e32 v51, 28, v53
	v_lshlrev_b64_e32 v[51:52], v51, v[1:2]
	v_sub_nc_u32_e32 v52, 29, v53
	s_delay_alu instid0(VALU_DEP_2)
	v_and_b32_e32 v51, 7, v51
; %bb.223:                              ;   in Loop: Header=BB274_10 Depth=1
	s_wait_alu 0xfffe
	s_or_b32 exec_lo, exec_lo, s35
	v_lshlrev_b32_e32 v1, 8, v1
	v_lshl_add_u32 v52, v52, 10, 0x2000
	v_lshlrev_b32_e32 v51, 7, v51
	s_delay_alu instid0(VALU_DEP_3) | instskip(NEXT) | instid1(VALU_DEP_3)
	v_and_b32_e32 v1, 0x8000, v1
	v_and_b32_e32 v52, 0xfc00, v52
	s_delay_alu instid0(VALU_DEP_1)
	v_or3_b32 v51, v1, v52, v51
.LBB274_224:                            ;   in Loop: Header=BB274_10 Depth=1
	s_wait_alu 0xfffe
	s_or_b32 exec_lo, exec_lo, s34
.LBB274_225:                            ;   in Loop: Header=BB274_10 Depth=1
	s_delay_alu instid0(SALU_CYCLE_1)
	s_or_b32 exec_lo, exec_lo, s33
.LBB274_226:                            ;   in Loop: Header=BB274_10 Depth=1
	s_wait_alu 0xfffe
	s_or_b32 exec_lo, exec_lo, s5
	s_delay_alu instid0(SALU_CYCLE_1)
	s_mov_b32 s5, exec_lo
	v_cmpx_lt_u32_e32 0xffffff, v9
	s_cbranch_execz .LBB274_234
; %bb.227:                              ;   in Loop: Header=BB274_10 Depth=1
	v_lshrrev_b32_e32 v1, 24, v9
	v_bfrev_b32_e32 v50, 1
	s_mov_b32 s33, exec_lo
	s_delay_alu instid0(VALU_DEP_2)
	v_cmpx_ne_u32_e32 0x80, v1
	s_cbranch_execz .LBB274_233
; %bb.228:                              ;   in Loop: Header=BB274_10 Depth=1
	v_and_b32_e32 v52, 0x7f, v1
	v_mov_b32_e32 v50, 0x7c010000
	s_mov_b32 s34, exec_lo
	s_delay_alu instid0(VALU_DEP_2)
	v_cmpx_ne_u32_e32 0x7f, v52
	s_cbranch_execz .LBB274_232
; %bb.229:                              ;   in Loop: Header=BB274_10 Depth=1
	v_and_b32_e32 v9, 7, v1
	v_lshrrev_b32_e32 v50, 3, v52
	s_mov_b32 s35, exec_lo
	v_cmpx_gt_u32_e32 8, v52
; %bb.230:                              ;   in Loop: Header=BB274_10 Depth=1
	s_delay_alu instid0(VALU_DEP_3) | instskip(NEXT) | instid1(VALU_DEP_1)
	v_clz_i32_u32_e32 v9, v9
	v_min_u32_e32 v9, 32, v9
	s_delay_alu instid0(VALU_DEP_1) | instskip(NEXT) | instid1(VALU_DEP_1)
	v_subrev_nc_u32_e32 v50, 28, v9
	v_lshlrev_b64_e32 v[52:53], v50, v[1:2]
	v_sub_nc_u32_e32 v50, 29, v9
	s_delay_alu instid0(VALU_DEP_2)
	v_and_b32_e32 v9, 7, v52
; %bb.231:                              ;   in Loop: Header=BB274_10 Depth=1
	s_wait_alu 0xfffe
	s_or_b32 exec_lo, exec_lo, s35
	v_lshlrev_b32_e32 v1, 8, v1
	v_lshl_add_u32 v50, v50, 10, 0x2000
	v_lshlrev_b32_e32 v9, 23, v9
	s_delay_alu instid0(VALU_DEP_2) | instskip(NEXT) | instid1(VALU_DEP_1)
	v_and_or_b32 v1, 0x8000, v1, v50
	v_lshl_or_b32 v50, v1, 16, v9
.LBB274_232:                            ;   in Loop: Header=BB274_10 Depth=1
	s_wait_alu 0xfffe
	s_or_b32 exec_lo, exec_lo, s34
.LBB274_233:                            ;   in Loop: Header=BB274_10 Depth=1
	s_delay_alu instid0(SALU_CYCLE_1)
	s_or_b32 exec_lo, exec_lo, s33
.LBB274_234:                            ;   in Loop: Header=BB274_10 Depth=1
	s_wait_alu 0xfffe
	s_or_b32 exec_lo, exec_lo, s5
	global_load_b32 v9, v[7:8], off offset:776
	v_mov_b32_e32 v53, 0
	s_mov_b32 s5, exec_lo
	s_wait_loadcnt 0x0
	v_dual_mov_b32 v52, 0 :: v_dual_and_b32 v1, 0xff, v9
	s_delay_alu instid0(VALU_DEP_1)
	v_cmpx_ne_u16_e32 0, v1
	s_cbranch_execz .LBB274_242
; %bb.235:                              ;   in Loop: Header=BB274_10 Depth=1
	v_mov_b32_e32 v53, 0x8000
	s_mov_b32 s33, exec_lo
	v_cmpx_ne_u16_e32 0x80, v1
	s_cbranch_execz .LBB274_241
; %bb.236:                              ;   in Loop: Header=BB274_10 Depth=1
	v_and_b32_e32 v54, 0x7f, v9
	v_mov_b32_e32 v53, 0x7c01
	s_mov_b32 s34, exec_lo
	s_delay_alu instid0(VALU_DEP_2)
	v_cmpx_ne_u32_e32 0x7f, v54
	s_cbranch_execz .LBB274_240
; %bb.237:                              ;   in Loop: Header=BB274_10 Depth=1
	v_and_b32_e32 v1, 7, v9
	v_lshrrev_b32_e32 v53, 3, v54
	s_mov_b32 s35, exec_lo
	v_cmpx_gt_u32_e32 8, v54
; %bb.238:                              ;   in Loop: Header=BB274_10 Depth=1
	s_delay_alu instid0(VALU_DEP_3) | instskip(NEXT) | instid1(VALU_DEP_1)
	v_clz_i32_u32_e32 v1, v1
	v_min_u32_e32 v1, 32, v1
	s_delay_alu instid0(VALU_DEP_1) | instskip(NEXT) | instid1(VALU_DEP_1)
	v_subrev_nc_u32_e32 v53, 28, v1
	v_lshlrev_b64_e32 v[54:55], v53, v[9:10]
	v_sub_nc_u32_e32 v53, 29, v1
	s_delay_alu instid0(VALU_DEP_2)
	v_and_b32_e32 v1, 7, v54
; %bb.239:                              ;   in Loop: Header=BB274_10 Depth=1
	s_wait_alu 0xfffe
	s_or_b32 exec_lo, exec_lo, s35
	v_lshlrev_b32_e32 v54, 8, v9
	v_lshl_add_u32 v53, v53, 10, 0x2000
	v_lshlrev_b32_e32 v1, 7, v1
	s_delay_alu instid0(VALU_DEP_3) | instskip(NEXT) | instid1(VALU_DEP_3)
	v_and_b32_e32 v54, 0x8000, v54
	v_and_b32_e32 v53, 0xfc00, v53
	s_delay_alu instid0(VALU_DEP_1)
	v_or3_b32 v53, v54, v53, v1
.LBB274_240:                            ;   in Loop: Header=BB274_10 Depth=1
	s_wait_alu 0xfffe
	s_or_b32 exec_lo, exec_lo, s34
.LBB274_241:                            ;   in Loop: Header=BB274_10 Depth=1
	s_delay_alu instid0(SALU_CYCLE_1)
	s_or_b32 exec_lo, exec_lo, s33
.LBB274_242:                            ;   in Loop: Header=BB274_10 Depth=1
	s_wait_alu 0xfffe
	s_or_b32 exec_lo, exec_lo, s5
	v_lshrrev_b16 v1, 8, v9
	s_mov_b32 s5, exec_lo
	s_delay_alu instid0(VALU_DEP_1)
	v_cmpx_ne_u16_e32 0, v1
	s_cbranch_execz .LBB274_250
; %bb.243:                              ;   in Loop: Header=BB274_10 Depth=1
	v_bfrev_b32_e32 v52, 1
	s_mov_b32 s33, exec_lo
	v_cmpx_ne_u16_e32 0x80, v1
	s_cbranch_execz .LBB274_249
; %bb.244:                              ;   in Loop: Header=BB274_10 Depth=1
	v_and_b32_e32 v54, 0xffff, v1
	v_mov_b32_e32 v52, 0x7c010000
	s_mov_b32 s34, exec_lo
	s_delay_alu instid0(VALU_DEP_2) | instskip(NEXT) | instid1(VALU_DEP_1)
	v_and_b32_e32 v56, 0x7f, v54
	v_cmpx_ne_u32_e32 0x7f, v56
	s_cbranch_execz .LBB274_248
; %bb.245:                              ;   in Loop: Header=BB274_10 Depth=1
	v_and_b32_e32 v52, 7, v54
	v_lshrrev_b32_e32 v55, 3, v56
	s_mov_b32 s35, exec_lo
	v_cmpx_gt_u32_e32 8, v56
; %bb.246:                              ;   in Loop: Header=BB274_10 Depth=1
	s_delay_alu instid0(VALU_DEP_3) | instskip(NEXT) | instid1(VALU_DEP_1)
	v_clz_i32_u32_e32 v52, v52
	v_min_u32_e32 v52, 32, v52
	s_delay_alu instid0(VALU_DEP_1) | instskip(NEXT) | instid1(VALU_DEP_1)
	v_subrev_nc_u32_e32 v55, 28, v52
	v_lshlrev_b64_e32 v[56:57], v55, v[1:2]
	v_sub_nc_u32_e32 v55, 29, v52
	s_delay_alu instid0(VALU_DEP_2)
	v_and_b32_e32 v52, 7, v56
; %bb.247:                              ;   in Loop: Header=BB274_10 Depth=1
	s_wait_alu 0xfffe
	s_or_b32 exec_lo, exec_lo, s35
	v_lshlrev_b32_e32 v1, 8, v54
	v_lshl_add_u32 v54, v55, 10, 0x2000
	v_lshlrev_b32_e32 v52, 23, v52
	s_delay_alu instid0(VALU_DEP_2) | instskip(NEXT) | instid1(VALU_DEP_1)
	v_and_or_b32 v1, 0x8000, v1, v54
	v_lshl_or_b32 v52, v1, 16, v52
.LBB274_248:                            ;   in Loop: Header=BB274_10 Depth=1
	s_wait_alu 0xfffe
	s_or_b32 exec_lo, exec_lo, s34
.LBB274_249:                            ;   in Loop: Header=BB274_10 Depth=1
	s_delay_alu instid0(SALU_CYCLE_1)
	s_or_b32 exec_lo, exec_lo, s33
.LBB274_250:                            ;   in Loop: Header=BB274_10 Depth=1
	s_wait_alu 0xfffe
	s_or_b32 exec_lo, exec_lo, s5
	v_lshrrev_b32_e32 v1, 16, v9
	v_mov_b32_e32 v54, 0
	s_mov_b32 s5, exec_lo
	s_delay_alu instid0(VALU_DEP_2) | instskip(NEXT) | instid1(VALU_DEP_1)
	v_dual_mov_b32 v55, 0 :: v_dual_and_b32 v56, 0xff, v1
	v_cmpx_ne_u16_e32 0, v56
	s_cbranch_execz .LBB274_258
; %bb.251:                              ;   in Loop: Header=BB274_10 Depth=1
	v_mov_b32_e32 v55, 0x8000
	s_mov_b32 s33, exec_lo
	v_cmpx_ne_u16_e32 0x80, v56
	s_cbranch_execz .LBB274_257
; %bb.252:                              ;   in Loop: Header=BB274_10 Depth=1
	v_bfe_u32 v57, v9, 16, 7
	v_mov_b32_e32 v55, 0x7c01
	s_mov_b32 s34, exec_lo
	s_delay_alu instid0(VALU_DEP_2)
	v_cmpx_ne_u32_e32 0x7f, v57
	s_cbranch_execz .LBB274_256
; %bb.253:                              ;   in Loop: Header=BB274_10 Depth=1
	v_and_b32_e32 v55, 7, v1
	v_lshrrev_b32_e32 v56, 3, v57
	s_mov_b32 s35, exec_lo
	v_cmpx_gt_u32_e32 8, v57
; %bb.254:                              ;   in Loop: Header=BB274_10 Depth=1
	s_delay_alu instid0(VALU_DEP_3) | instskip(NEXT) | instid1(VALU_DEP_1)
	v_clz_i32_u32_e32 v55, v55
	v_min_u32_e32 v57, 32, v55
	s_delay_alu instid0(VALU_DEP_1) | instskip(NEXT) | instid1(VALU_DEP_1)
	v_subrev_nc_u32_e32 v55, 28, v57
	v_lshlrev_b64_e32 v[55:56], v55, v[1:2]
	v_sub_nc_u32_e32 v56, 29, v57
	s_delay_alu instid0(VALU_DEP_2)
	v_and_b32_e32 v55, 7, v55
; %bb.255:                              ;   in Loop: Header=BB274_10 Depth=1
	s_wait_alu 0xfffe
	s_or_b32 exec_lo, exec_lo, s35
	v_lshlrev_b32_e32 v1, 8, v1
	v_lshl_add_u32 v56, v56, 10, 0x2000
	v_lshlrev_b32_e32 v55, 7, v55
	s_delay_alu instid0(VALU_DEP_3) | instskip(NEXT) | instid1(VALU_DEP_3)
	v_and_b32_e32 v1, 0x8000, v1
	v_and_b32_e32 v56, 0xfc00, v56
	s_delay_alu instid0(VALU_DEP_1)
	v_or3_b32 v55, v1, v56, v55
.LBB274_256:                            ;   in Loop: Header=BB274_10 Depth=1
	s_wait_alu 0xfffe
	s_or_b32 exec_lo, exec_lo, s34
.LBB274_257:                            ;   in Loop: Header=BB274_10 Depth=1
	s_delay_alu instid0(SALU_CYCLE_1)
	s_or_b32 exec_lo, exec_lo, s33
.LBB274_258:                            ;   in Loop: Header=BB274_10 Depth=1
	s_wait_alu 0xfffe
	s_or_b32 exec_lo, exec_lo, s5
	s_delay_alu instid0(SALU_CYCLE_1)
	s_mov_b32 s5, exec_lo
	v_cmpx_lt_u32_e32 0xffffff, v9
	s_cbranch_execz .LBB274_266
; %bb.259:                              ;   in Loop: Header=BB274_10 Depth=1
	v_lshrrev_b32_e32 v1, 24, v9
	v_bfrev_b32_e32 v54, 1
	s_mov_b32 s33, exec_lo
	s_delay_alu instid0(VALU_DEP_2)
	v_cmpx_ne_u32_e32 0x80, v1
	s_cbranch_execz .LBB274_265
; %bb.260:                              ;   in Loop: Header=BB274_10 Depth=1
	v_and_b32_e32 v56, 0x7f, v1
	v_mov_b32_e32 v54, 0x7c010000
	s_mov_b32 s34, exec_lo
	s_delay_alu instid0(VALU_DEP_2)
	v_cmpx_ne_u32_e32 0x7f, v56
	s_cbranch_execz .LBB274_264
; %bb.261:                              ;   in Loop: Header=BB274_10 Depth=1
	v_and_b32_e32 v9, 7, v1
	v_lshrrev_b32_e32 v54, 3, v56
	s_mov_b32 s35, exec_lo
	v_cmpx_gt_u32_e32 8, v56
; %bb.262:                              ;   in Loop: Header=BB274_10 Depth=1
	s_delay_alu instid0(VALU_DEP_3) | instskip(NEXT) | instid1(VALU_DEP_1)
	v_clz_i32_u32_e32 v9, v9
	v_min_u32_e32 v9, 32, v9
	s_delay_alu instid0(VALU_DEP_1) | instskip(NEXT) | instid1(VALU_DEP_1)
	v_subrev_nc_u32_e32 v54, 28, v9
	v_lshlrev_b64_e32 v[56:57], v54, v[1:2]
	v_sub_nc_u32_e32 v54, 29, v9
	s_delay_alu instid0(VALU_DEP_2)
	v_and_b32_e32 v9, 7, v56
; %bb.263:                              ;   in Loop: Header=BB274_10 Depth=1
	s_wait_alu 0xfffe
	s_or_b32 exec_lo, exec_lo, s35
	v_lshlrev_b32_e32 v1, 8, v1
	v_lshl_add_u32 v54, v54, 10, 0x2000
	v_lshlrev_b32_e32 v9, 23, v9
	s_delay_alu instid0(VALU_DEP_2) | instskip(NEXT) | instid1(VALU_DEP_1)
	v_and_or_b32 v1, 0x8000, v1, v54
	v_lshl_or_b32 v54, v1, 16, v9
.LBB274_264:                            ;   in Loop: Header=BB274_10 Depth=1
	s_wait_alu 0xfffe
	s_or_b32 exec_lo, exec_lo, s34
.LBB274_265:                            ;   in Loop: Header=BB274_10 Depth=1
	s_delay_alu instid0(SALU_CYCLE_1)
	s_or_b32 exec_lo, exec_lo, s33
.LBB274_266:                            ;   in Loop: Header=BB274_10 Depth=1
	s_wait_alu 0xfffe
	s_or_b32 exec_lo, exec_lo, s5
	global_load_b32 v9, v[7:8], off offset:1024
	v_mov_b32_e32 v57, 0
	s_mov_b32 s5, exec_lo
	s_wait_loadcnt 0x0
	v_dual_mov_b32 v56, 0 :: v_dual_and_b32 v1, 0xff, v9
	s_delay_alu instid0(VALU_DEP_1)
	v_cmpx_ne_u16_e32 0, v1
	s_cbranch_execz .LBB274_274
; %bb.267:                              ;   in Loop: Header=BB274_10 Depth=1
	v_mov_b32_e32 v57, 0x8000
	s_mov_b32 s33, exec_lo
	v_cmpx_ne_u16_e32 0x80, v1
	s_cbranch_execz .LBB274_273
; %bb.268:                              ;   in Loop: Header=BB274_10 Depth=1
	v_and_b32_e32 v58, 0x7f, v9
	v_mov_b32_e32 v57, 0x7c01
	s_mov_b32 s34, exec_lo
	s_delay_alu instid0(VALU_DEP_2)
	v_cmpx_ne_u32_e32 0x7f, v58
	s_cbranch_execz .LBB274_272
; %bb.269:                              ;   in Loop: Header=BB274_10 Depth=1
	v_and_b32_e32 v1, 7, v9
	v_lshrrev_b32_e32 v57, 3, v58
	s_mov_b32 s35, exec_lo
	v_cmpx_gt_u32_e32 8, v58
; %bb.270:                              ;   in Loop: Header=BB274_10 Depth=1
	s_delay_alu instid0(VALU_DEP_3) | instskip(NEXT) | instid1(VALU_DEP_1)
	v_clz_i32_u32_e32 v1, v1
	v_min_u32_e32 v1, 32, v1
	s_delay_alu instid0(VALU_DEP_1) | instskip(NEXT) | instid1(VALU_DEP_1)
	v_subrev_nc_u32_e32 v57, 28, v1
	v_lshlrev_b64_e32 v[58:59], v57, v[9:10]
	v_sub_nc_u32_e32 v57, 29, v1
	s_delay_alu instid0(VALU_DEP_2)
	v_and_b32_e32 v1, 7, v58
; %bb.271:                              ;   in Loop: Header=BB274_10 Depth=1
	s_wait_alu 0xfffe
	s_or_b32 exec_lo, exec_lo, s35
	v_lshlrev_b32_e32 v58, 8, v9
	v_lshl_add_u32 v57, v57, 10, 0x2000
	v_lshlrev_b32_e32 v1, 7, v1
	s_delay_alu instid0(VALU_DEP_3) | instskip(NEXT) | instid1(VALU_DEP_3)
	v_and_b32_e32 v58, 0x8000, v58
	v_and_b32_e32 v57, 0xfc00, v57
	s_delay_alu instid0(VALU_DEP_1)
	v_or3_b32 v57, v58, v57, v1
.LBB274_272:                            ;   in Loop: Header=BB274_10 Depth=1
	s_wait_alu 0xfffe
	s_or_b32 exec_lo, exec_lo, s34
.LBB274_273:                            ;   in Loop: Header=BB274_10 Depth=1
	s_delay_alu instid0(SALU_CYCLE_1)
	s_or_b32 exec_lo, exec_lo, s33
.LBB274_274:                            ;   in Loop: Header=BB274_10 Depth=1
	s_wait_alu 0xfffe
	s_or_b32 exec_lo, exec_lo, s5
	v_lshrrev_b16 v1, 8, v9
	s_mov_b32 s5, exec_lo
	s_delay_alu instid0(VALU_DEP_1)
	v_cmpx_ne_u16_e32 0, v1
	s_cbranch_execz .LBB274_282
; %bb.275:                              ;   in Loop: Header=BB274_10 Depth=1
	v_bfrev_b32_e32 v56, 1
	s_mov_b32 s33, exec_lo
	v_cmpx_ne_u16_e32 0x80, v1
	s_cbranch_execz .LBB274_281
; %bb.276:                              ;   in Loop: Header=BB274_10 Depth=1
	v_and_b32_e32 v58, 0xffff, v1
	v_mov_b32_e32 v56, 0x7c010000
	s_mov_b32 s34, exec_lo
	s_delay_alu instid0(VALU_DEP_2) | instskip(NEXT) | instid1(VALU_DEP_1)
	v_and_b32_e32 v60, 0x7f, v58
	v_cmpx_ne_u32_e32 0x7f, v60
	s_cbranch_execz .LBB274_280
; %bb.277:                              ;   in Loop: Header=BB274_10 Depth=1
	v_and_b32_e32 v56, 7, v58
	v_lshrrev_b32_e32 v59, 3, v60
	s_mov_b32 s35, exec_lo
	v_cmpx_gt_u32_e32 8, v60
; %bb.278:                              ;   in Loop: Header=BB274_10 Depth=1
	s_delay_alu instid0(VALU_DEP_3) | instskip(NEXT) | instid1(VALU_DEP_1)
	v_clz_i32_u32_e32 v56, v56
	v_min_u32_e32 v56, 32, v56
	s_delay_alu instid0(VALU_DEP_1) | instskip(NEXT) | instid1(VALU_DEP_1)
	v_subrev_nc_u32_e32 v59, 28, v56
	v_lshlrev_b64_e32 v[60:61], v59, v[1:2]
	v_sub_nc_u32_e32 v59, 29, v56
	s_delay_alu instid0(VALU_DEP_2)
	v_and_b32_e32 v56, 7, v60
; %bb.279:                              ;   in Loop: Header=BB274_10 Depth=1
	s_wait_alu 0xfffe
	s_or_b32 exec_lo, exec_lo, s35
	v_lshlrev_b32_e32 v1, 8, v58
	v_lshl_add_u32 v58, v59, 10, 0x2000
	v_lshlrev_b32_e32 v56, 23, v56
	s_delay_alu instid0(VALU_DEP_2) | instskip(NEXT) | instid1(VALU_DEP_1)
	v_and_or_b32 v1, 0x8000, v1, v58
	v_lshl_or_b32 v56, v1, 16, v56
.LBB274_280:                            ;   in Loop: Header=BB274_10 Depth=1
	s_wait_alu 0xfffe
	s_or_b32 exec_lo, exec_lo, s34
.LBB274_281:                            ;   in Loop: Header=BB274_10 Depth=1
	s_delay_alu instid0(SALU_CYCLE_1)
	s_or_b32 exec_lo, exec_lo, s33
.LBB274_282:                            ;   in Loop: Header=BB274_10 Depth=1
	s_wait_alu 0xfffe
	s_or_b32 exec_lo, exec_lo, s5
	v_lshrrev_b32_e32 v1, 16, v9
	v_mov_b32_e32 v58, 0
	s_mov_b32 s5, exec_lo
	s_delay_alu instid0(VALU_DEP_2) | instskip(NEXT) | instid1(VALU_DEP_1)
	v_dual_mov_b32 v59, 0 :: v_dual_and_b32 v60, 0xff, v1
	v_cmpx_ne_u16_e32 0, v60
	s_cbranch_execz .LBB274_290
; %bb.283:                              ;   in Loop: Header=BB274_10 Depth=1
	v_mov_b32_e32 v59, 0x8000
	s_mov_b32 s33, exec_lo
	v_cmpx_ne_u16_e32 0x80, v60
	s_cbranch_execz .LBB274_289
; %bb.284:                              ;   in Loop: Header=BB274_10 Depth=1
	v_bfe_u32 v61, v9, 16, 7
	v_mov_b32_e32 v59, 0x7c01
	s_mov_b32 s34, exec_lo
	s_delay_alu instid0(VALU_DEP_2)
	v_cmpx_ne_u32_e32 0x7f, v61
	s_cbranch_execz .LBB274_288
; %bb.285:                              ;   in Loop: Header=BB274_10 Depth=1
	v_and_b32_e32 v59, 7, v1
	v_lshrrev_b32_e32 v60, 3, v61
	s_mov_b32 s35, exec_lo
	v_cmpx_gt_u32_e32 8, v61
; %bb.286:                              ;   in Loop: Header=BB274_10 Depth=1
	s_delay_alu instid0(VALU_DEP_3) | instskip(NEXT) | instid1(VALU_DEP_1)
	v_clz_i32_u32_e32 v59, v59
	v_min_u32_e32 v61, 32, v59
	s_delay_alu instid0(VALU_DEP_1) | instskip(NEXT) | instid1(VALU_DEP_1)
	v_subrev_nc_u32_e32 v59, 28, v61
	v_lshlrev_b64_e32 v[59:60], v59, v[1:2]
	v_sub_nc_u32_e32 v60, 29, v61
	s_delay_alu instid0(VALU_DEP_2)
	v_and_b32_e32 v59, 7, v59
; %bb.287:                              ;   in Loop: Header=BB274_10 Depth=1
	s_wait_alu 0xfffe
	s_or_b32 exec_lo, exec_lo, s35
	v_lshlrev_b32_e32 v1, 8, v1
	v_lshl_add_u32 v60, v60, 10, 0x2000
	v_lshlrev_b32_e32 v59, 7, v59
	s_delay_alu instid0(VALU_DEP_3) | instskip(NEXT) | instid1(VALU_DEP_3)
	v_and_b32_e32 v1, 0x8000, v1
	v_and_b32_e32 v60, 0xfc00, v60
	s_delay_alu instid0(VALU_DEP_1)
	v_or3_b32 v59, v1, v60, v59
.LBB274_288:                            ;   in Loop: Header=BB274_10 Depth=1
	s_wait_alu 0xfffe
	s_or_b32 exec_lo, exec_lo, s34
.LBB274_289:                            ;   in Loop: Header=BB274_10 Depth=1
	s_delay_alu instid0(SALU_CYCLE_1)
	s_or_b32 exec_lo, exec_lo, s33
.LBB274_290:                            ;   in Loop: Header=BB274_10 Depth=1
	s_wait_alu 0xfffe
	s_or_b32 exec_lo, exec_lo, s5
	s_delay_alu instid0(SALU_CYCLE_1)
	s_mov_b32 s5, exec_lo
	v_cmpx_lt_u32_e32 0xffffff, v9
	s_cbranch_execz .LBB274_298
; %bb.291:                              ;   in Loop: Header=BB274_10 Depth=1
	v_lshrrev_b32_e32 v1, 24, v9
	v_bfrev_b32_e32 v58, 1
	s_mov_b32 s33, exec_lo
	s_delay_alu instid0(VALU_DEP_2)
	v_cmpx_ne_u32_e32 0x80, v1
	s_cbranch_execz .LBB274_297
; %bb.292:                              ;   in Loop: Header=BB274_10 Depth=1
	v_and_b32_e32 v60, 0x7f, v1
	v_mov_b32_e32 v58, 0x7c010000
	s_mov_b32 s34, exec_lo
	s_delay_alu instid0(VALU_DEP_2)
	v_cmpx_ne_u32_e32 0x7f, v60
	s_cbranch_execz .LBB274_296
; %bb.293:                              ;   in Loop: Header=BB274_10 Depth=1
	v_and_b32_e32 v9, 7, v1
	v_lshrrev_b32_e32 v58, 3, v60
	s_mov_b32 s35, exec_lo
	v_cmpx_gt_u32_e32 8, v60
; %bb.294:                              ;   in Loop: Header=BB274_10 Depth=1
	s_delay_alu instid0(VALU_DEP_3) | instskip(NEXT) | instid1(VALU_DEP_1)
	v_clz_i32_u32_e32 v9, v9
	v_min_u32_e32 v9, 32, v9
	s_delay_alu instid0(VALU_DEP_1) | instskip(NEXT) | instid1(VALU_DEP_1)
	v_subrev_nc_u32_e32 v58, 28, v9
	v_lshlrev_b64_e32 v[60:61], v58, v[1:2]
	v_sub_nc_u32_e32 v58, 29, v9
	s_delay_alu instid0(VALU_DEP_2)
	v_and_b32_e32 v9, 7, v60
; %bb.295:                              ;   in Loop: Header=BB274_10 Depth=1
	s_wait_alu 0xfffe
	s_or_b32 exec_lo, exec_lo, s35
	v_lshlrev_b32_e32 v1, 8, v1
	v_lshl_add_u32 v58, v58, 10, 0x2000
	v_lshlrev_b32_e32 v9, 23, v9
	s_delay_alu instid0(VALU_DEP_2) | instskip(NEXT) | instid1(VALU_DEP_1)
	v_and_or_b32 v1, 0x8000, v1, v58
	v_lshl_or_b32 v58, v1, 16, v9
.LBB274_296:                            ;   in Loop: Header=BB274_10 Depth=1
	s_wait_alu 0xfffe
	s_or_b32 exec_lo, exec_lo, s34
.LBB274_297:                            ;   in Loop: Header=BB274_10 Depth=1
	s_delay_alu instid0(SALU_CYCLE_1)
	s_or_b32 exec_lo, exec_lo, s33
.LBB274_298:                            ;   in Loop: Header=BB274_10 Depth=1
	s_wait_alu 0xfffe
	s_or_b32 exec_lo, exec_lo, s5
	global_load_b32 v7, v[7:8], off offset:1032
	v_mov_b32_e32 v9, 0
	s_mov_b32 s5, exec_lo
	s_wait_loadcnt 0x0
	v_dual_mov_b32 v8, 0 :: v_dual_and_b32 v1, 0xff, v7
	s_delay_alu instid0(VALU_DEP_1)
	v_cmpx_ne_u16_e32 0, v1
	s_cbranch_execz .LBB274_306
; %bb.299:                              ;   in Loop: Header=BB274_10 Depth=1
	v_mov_b32_e32 v9, 0x8000
	s_mov_b32 s33, exec_lo
	v_cmpx_ne_u16_e32 0x80, v1
	s_cbranch_execz .LBB274_305
; %bb.300:                              ;   in Loop: Header=BB274_10 Depth=1
	v_and_b32_e32 v60, 0x7f, v7
	v_mov_b32_e32 v9, 0x7c01
	s_mov_b32 s34, exec_lo
	s_delay_alu instid0(VALU_DEP_2)
	v_cmpx_ne_u32_e32 0x7f, v60
	s_cbranch_execz .LBB274_304
; %bb.301:                              ;   in Loop: Header=BB274_10 Depth=1
	v_and_b32_e32 v1, 7, v7
	v_lshrrev_b32_e32 v9, 3, v60
	s_mov_b32 s35, exec_lo
	v_cmpx_gt_u32_e32 8, v60
; %bb.302:                              ;   in Loop: Header=BB274_10 Depth=1
	s_delay_alu instid0(VALU_DEP_3) | instskip(NEXT) | instid1(VALU_DEP_1)
	v_clz_i32_u32_e32 v1, v1
	v_min_u32_e32 v1, 32, v1
	s_delay_alu instid0(VALU_DEP_1) | instskip(NEXT) | instid1(VALU_DEP_1)
	v_subrev_nc_u32_e32 v9, 28, v1
	v_lshlrev_b64_e32 v[60:61], v9, v[7:8]
	v_sub_nc_u32_e32 v9, 29, v1
	s_delay_alu instid0(VALU_DEP_2)
	v_and_b32_e32 v1, 7, v60
; %bb.303:                              ;   in Loop: Header=BB274_10 Depth=1
	s_wait_alu 0xfffe
	s_or_b32 exec_lo, exec_lo, s35
	v_lshlrev_b32_e32 v60, 8, v7
	v_lshl_add_u32 v9, v9, 10, 0x2000
	v_lshlrev_b32_e32 v1, 7, v1
	s_delay_alu instid0(VALU_DEP_3) | instskip(NEXT) | instid1(VALU_DEP_3)
	v_and_b32_e32 v60, 0x8000, v60
	v_and_b32_e32 v9, 0xfc00, v9
	s_delay_alu instid0(VALU_DEP_1)
	v_or3_b32 v9, v60, v9, v1
.LBB274_304:                            ;   in Loop: Header=BB274_10 Depth=1
	s_wait_alu 0xfffe
	s_or_b32 exec_lo, exec_lo, s34
.LBB274_305:                            ;   in Loop: Header=BB274_10 Depth=1
	s_delay_alu instid0(SALU_CYCLE_1)
	s_or_b32 exec_lo, exec_lo, s33
.LBB274_306:                            ;   in Loop: Header=BB274_10 Depth=1
	s_wait_alu 0xfffe
	s_or_b32 exec_lo, exec_lo, s5
	v_lshrrev_b16 v1, 8, v7
	s_mov_b32 s5, exec_lo
	s_delay_alu instid0(VALU_DEP_1)
	v_cmpx_ne_u16_e32 0, v1
	s_cbranch_execz .LBB274_314
; %bb.307:                              ;   in Loop: Header=BB274_10 Depth=1
	v_bfrev_b32_e32 v8, 1
	s_mov_b32 s33, exec_lo
	v_cmpx_ne_u16_e32 0x80, v1
	s_cbranch_execz .LBB274_313
; %bb.308:                              ;   in Loop: Header=BB274_10 Depth=1
	v_and_b32_e32 v60, 0xffff, v1
	v_mov_b32_e32 v8, 0x7c010000
	s_mov_b32 s34, exec_lo
	s_delay_alu instid0(VALU_DEP_2) | instskip(NEXT) | instid1(VALU_DEP_1)
	v_and_b32_e32 v62, 0x7f, v60
	v_cmpx_ne_u32_e32 0x7f, v62
	s_cbranch_execz .LBB274_312
; %bb.309:                              ;   in Loop: Header=BB274_10 Depth=1
	v_and_b32_e32 v8, 7, v60
	v_lshrrev_b32_e32 v61, 3, v62
	s_mov_b32 s35, exec_lo
	v_cmpx_gt_u32_e32 8, v62
; %bb.310:                              ;   in Loop: Header=BB274_10 Depth=1
	s_delay_alu instid0(VALU_DEP_3) | instskip(NEXT) | instid1(VALU_DEP_1)
	v_clz_i32_u32_e32 v8, v8
	v_min_u32_e32 v8, 32, v8
	s_delay_alu instid0(VALU_DEP_1) | instskip(NEXT) | instid1(VALU_DEP_1)
	v_subrev_nc_u32_e32 v61, 28, v8
	v_lshlrev_b64_e32 v[62:63], v61, v[1:2]
	v_sub_nc_u32_e32 v61, 29, v8
	s_delay_alu instid0(VALU_DEP_2)
	v_and_b32_e32 v8, 7, v62
; %bb.311:                              ;   in Loop: Header=BB274_10 Depth=1
	s_wait_alu 0xfffe
	s_or_b32 exec_lo, exec_lo, s35
	v_lshlrev_b32_e32 v1, 8, v60
	v_lshl_add_u32 v60, v61, 10, 0x2000
	v_lshlrev_b32_e32 v8, 23, v8
	s_delay_alu instid0(VALU_DEP_2) | instskip(NEXT) | instid1(VALU_DEP_1)
	v_and_or_b32 v1, 0x8000, v1, v60
	v_lshl_or_b32 v8, v1, 16, v8
.LBB274_312:                            ;   in Loop: Header=BB274_10 Depth=1
	s_wait_alu 0xfffe
	s_or_b32 exec_lo, exec_lo, s34
.LBB274_313:                            ;   in Loop: Header=BB274_10 Depth=1
	s_delay_alu instid0(SALU_CYCLE_1)
	s_or_b32 exec_lo, exec_lo, s33
.LBB274_314:                            ;   in Loop: Header=BB274_10 Depth=1
	s_wait_alu 0xfffe
	s_or_b32 exec_lo, exec_lo, s5
	v_lshrrev_b32_e32 v1, 16, v7
	v_mov_b32_e32 v60, 0
	s_mov_b32 s5, exec_lo
	s_delay_alu instid0(VALU_DEP_2) | instskip(NEXT) | instid1(VALU_DEP_1)
	v_dual_mov_b32 v61, 0 :: v_dual_and_b32 v62, 0xff, v1
	v_cmpx_ne_u16_e32 0, v62
	s_cbranch_execz .LBB274_322
; %bb.315:                              ;   in Loop: Header=BB274_10 Depth=1
	v_mov_b32_e32 v61, 0x8000
	s_mov_b32 s33, exec_lo
	v_cmpx_ne_u16_e32 0x80, v62
	s_cbranch_execz .LBB274_321
; %bb.316:                              ;   in Loop: Header=BB274_10 Depth=1
	v_bfe_u32 v63, v7, 16, 7
	v_mov_b32_e32 v61, 0x7c01
	s_mov_b32 s34, exec_lo
	s_delay_alu instid0(VALU_DEP_2)
	v_cmpx_ne_u32_e32 0x7f, v63
	s_cbranch_execz .LBB274_320
; %bb.317:                              ;   in Loop: Header=BB274_10 Depth=1
	v_and_b32_e32 v61, 7, v1
	v_lshrrev_b32_e32 v62, 3, v63
	s_mov_b32 s35, exec_lo
	v_cmpx_gt_u32_e32 8, v63
; %bb.318:                              ;   in Loop: Header=BB274_10 Depth=1
	s_delay_alu instid0(VALU_DEP_3) | instskip(NEXT) | instid1(VALU_DEP_1)
	v_clz_i32_u32_e32 v61, v61
	v_min_u32_e32 v63, 32, v61
	s_delay_alu instid0(VALU_DEP_1) | instskip(NEXT) | instid1(VALU_DEP_1)
	v_subrev_nc_u32_e32 v61, 28, v63
	v_lshlrev_b64_e32 v[61:62], v61, v[1:2]
	v_sub_nc_u32_e32 v62, 29, v63
	s_delay_alu instid0(VALU_DEP_2)
	v_and_b32_e32 v61, 7, v61
; %bb.319:                              ;   in Loop: Header=BB274_10 Depth=1
	s_wait_alu 0xfffe
	s_or_b32 exec_lo, exec_lo, s35
	v_lshlrev_b32_e32 v1, 8, v1
	v_lshl_add_u32 v62, v62, 10, 0x2000
	v_lshlrev_b32_e32 v61, 7, v61
	s_delay_alu instid0(VALU_DEP_3) | instskip(NEXT) | instid1(VALU_DEP_3)
	v_and_b32_e32 v1, 0x8000, v1
	v_and_b32_e32 v62, 0xfc00, v62
	s_delay_alu instid0(VALU_DEP_1)
	v_or3_b32 v61, v1, v62, v61
.LBB274_320:                            ;   in Loop: Header=BB274_10 Depth=1
	s_wait_alu 0xfffe
	s_or_b32 exec_lo, exec_lo, s34
.LBB274_321:                            ;   in Loop: Header=BB274_10 Depth=1
	s_delay_alu instid0(SALU_CYCLE_1)
	s_or_b32 exec_lo, exec_lo, s33
.LBB274_322:                            ;   in Loop: Header=BB274_10 Depth=1
	s_wait_alu 0xfffe
	s_or_b32 exec_lo, exec_lo, s5
	s_delay_alu instid0(SALU_CYCLE_1)
	s_mov_b32 s5, exec_lo
	v_cmpx_lt_u32_e32 0xffffff, v7
	s_cbranch_execz .LBB274_330
; %bb.323:                              ;   in Loop: Header=BB274_10 Depth=1
	v_lshrrev_b32_e32 v1, 24, v7
	v_bfrev_b32_e32 v60, 1
	s_mov_b32 s33, exec_lo
	s_delay_alu instid0(VALU_DEP_2)
	v_cmpx_ne_u32_e32 0x80, v1
	s_cbranch_execz .LBB274_329
; %bb.324:                              ;   in Loop: Header=BB274_10 Depth=1
	v_and_b32_e32 v62, 0x7f, v1
	v_mov_b32_e32 v60, 0x7c010000
	s_mov_b32 s34, exec_lo
	s_delay_alu instid0(VALU_DEP_2)
	v_cmpx_ne_u32_e32 0x7f, v62
	s_cbranch_execz .LBB274_328
; %bb.325:                              ;   in Loop: Header=BB274_10 Depth=1
	v_and_b32_e32 v7, 7, v1
	v_lshrrev_b32_e32 v60, 3, v62
	s_mov_b32 s35, exec_lo
	v_cmpx_gt_u32_e32 8, v62
; %bb.326:                              ;   in Loop: Header=BB274_10 Depth=1
	s_delay_alu instid0(VALU_DEP_3) | instskip(NEXT) | instid1(VALU_DEP_1)
	v_clz_i32_u32_e32 v7, v7
	v_min_u32_e32 v7, 32, v7
	s_delay_alu instid0(VALU_DEP_1) | instskip(NEXT) | instid1(VALU_DEP_1)
	v_subrev_nc_u32_e32 v60, 28, v7
	v_lshlrev_b64_e32 v[62:63], v60, v[1:2]
	v_sub_nc_u32_e32 v60, 29, v7
	s_delay_alu instid0(VALU_DEP_2)
	v_and_b32_e32 v7, 7, v62
; %bb.327:                              ;   in Loop: Header=BB274_10 Depth=1
	s_wait_alu 0xfffe
	s_or_b32 exec_lo, exec_lo, s35
	v_lshlrev_b32_e32 v1, 8, v1
	v_lshl_add_u32 v60, v60, 10, 0x2000
	v_lshlrev_b32_e32 v7, 23, v7
	s_delay_alu instid0(VALU_DEP_2) | instskip(NEXT) | instid1(VALU_DEP_1)
	v_and_or_b32 v1, 0x8000, v1, v60
	v_lshl_or_b32 v60, v1, 16, v7
.LBB274_328:                            ;   in Loop: Header=BB274_10 Depth=1
	s_wait_alu 0xfffe
	s_or_b32 exec_lo, exec_lo, s34
.LBB274_329:                            ;   in Loop: Header=BB274_10 Depth=1
	s_delay_alu instid0(SALU_CYCLE_1)
	s_or_b32 exec_lo, exec_lo, s33
.LBB274_330:                            ;   in Loop: Header=BB274_10 Depth=1
	s_wait_alu 0xfffe
	s_or_b32 exec_lo, exec_lo, s5
	ds_load_b64 v[62:63], v19
	v_or_b32_e32 v1, v24, v25
	v_or_b32_e32 v7, v26, v27
	v_fma_mixlo_f16 v24, v23, v24, 0 op_sel:[0,1,0] op_sel_hi:[0,1,0]
	v_fma_mixlo_f16 v25, v23, v26, 0 op_sel:[0,1,0] op_sel_hi:[0,1,0]
	v_or_b32_e32 v29, v28, v29
	v_fma_mixlo_f16 v1, v23, v1, 0 op_sel_hi:[0,1,0]
	v_fma_mixlo_f16 v7, v23, v7, 0 op_sel_hi:[0,1,0]
	v_and_b32_e32 v24, 0xffff, v24
	v_and_b32_e32 v25, 0xffff, v25
	v_or_b32_e32 v31, v30, v31
	v_and_b32_e32 v1, 0xffff, v1
	v_and_b32_e32 v64, 0xffff, v7
	v_fma_mixlo_f16 v28, v23, v28, 0 op_sel:[0,1,0] op_sel_hi:[0,1,0]
	v_fma_mixlo_f16 v30, v23, v30, 0 op_sel:[0,1,0] op_sel_hi:[0,1,0]
	v_fma_mixlo_f16 v29, v23, v29, 0 op_sel_hi:[0,1,0]
	v_fma_mixlo_f16 v31, v23, v31, 0 op_sel_hi:[0,1,0]
	v_or_b32_e32 v33, v32, v33
	v_and_b32_e32 v28, 0xffff, v28
	v_and_b32_e32 v69, 0xffff, v30
	s_wait_dscnt 0x0
	v_and_b32_e32 v26, 0xffff, v62
	v_lshrrev_b32_e32 v27, 16, v62
	v_lshrrev_b32_e32 v7, 16, v63
	;;#ASMSTART
	v_cvt_f32_f16 v26, v26;
	;;#ASMEND
	;;#ASMSTART
	v_cvt_f32_f16 v27, v27;
	;;#ASMEND
	;; [unrolled: 3-line block ×3, first 2 shown]
	v_and_b32_e32 v65, 0xffff, v63
	;;#ASMSTART
	v_cvt_f32_f16 v63, v24;
	;;#ASMEND
	;;#ASMSTART
	v_cvt_f32_f16 v1, v65;
	;;#ASMEND
	;; [unrolled: 3-line block ×5, first 2 shown]
	ds_load_b64 v[64:65], v19 offset:8
	v_and_b32_e32 v29, 0xffff, v29
	v_and_b32_e32 v68, 0xffff, v31
	v_or_b32_e32 v35, v34, v35
	v_fma_mixlo_f16 v32, v23, v32, 0 op_sel:[0,1,0] op_sel_hi:[0,1,0]
	v_fma_mixlo_f16 v34, v23, v34, 0 op_sel:[0,1,0] op_sel_hi:[0,1,0]
	v_fma_mixlo_f16 v33, v23, v33, 0 op_sel_hi:[0,1,0]
	v_or_b32_e32 v37, v36, v37
	v_fma_mixlo_f16 v35, v23, v35, 0 op_sel_hi:[0,1,0]
	v_and_b32_e32 v70, 0xffff, v32
	v_or_b32_e32 v39, v38, v39
	v_fma_mixlo_f16 v36, v23, v36, 0 op_sel:[0,1,0] op_sel_hi:[0,1,0]
	v_fma_mixlo_f16 v38, v23, v38, 0 op_sel:[0,1,0] op_sel_hi:[0,1,0]
	v_and_b32_e32 v72, 0xffff, v35
	v_fma_mixlo_f16 v37, v23, v37, 0 op_sel_hi:[0,1,0]
	v_fma_mixlo_f16 v39, v23, v39, 0 op_sel_hi:[0,1,0]
	v_and_b32_e32 v74, 0xffff, v36
	v_or_b32_e32 v41, v40, v41
	v_or_b32_e32 v43, v42, v43
	v_fma_mixlo_f16 v40, v23, v40, 0 op_sel:[0,1,0] op_sel_hi:[0,1,0]
	s_wait_dscnt 0x0
	v_and_b32_e32 v30, 0xffff, v64
	v_lshrrev_b32_e32 v64, 16, v64
	v_lshrrev_b32_e32 v67, 16, v65
	v_and_b32_e32 v66, 0xffff, v65
	;;#ASMSTART
	v_cvt_f32_f16 v30, v30;
	;;#ASMEND
	;;#ASMSTART
	v_cvt_f32_f16 v31, v64;
	;;#ASMEND
	;; [unrolled: 3-line block ×8, first 2 shown]
	ds_load_b64 v[28:29], v19 offset:16
	v_mul_f32_e32 v30, v30, v64
	v_dual_mul_f32 v66, v66, v68 :: v_dual_and_b32 v73, 0xffff, v34
	v_and_b32_e32 v34, 0xffff, v33
	v_and_b32_e32 v76, 0xffff, v39
	s_delay_alu instid0(VALU_DEP_4) | instskip(NEXT) | instid1(VALU_DEP_4)
	v_fmac_f32_e32 v30, v26, v62
	v_fmac_f32_e32 v66, v1, v24
	v_fma_mixlo_f16 v42, v23, v42, 0 op_sel:[0,1,0] op_sel_hi:[0,1,0]
	v_fma_mixlo_f16 v41, v23, v41, 0 op_sel_hi:[0,1,0]
	v_fma_mixlo_f16 v43, v23, v43, 0 op_sel_hi:[0,1,0]
	v_and_b32_e32 v78, 0xffff, v40
	v_or_b32_e32 v45, v44, v45
	v_or_b32_e32 v47, v46, v47
	v_fma_mixlo_f16 v44, v23, v44, 0 op_sel:[0,1,0] op_sel_hi:[0,1,0]
	v_and_b32_e32 v80, 0xffff, v43
	v_fma_mixlo_f16 v46, v23, v46, 0 op_sel:[0,1,0] op_sel_hi:[0,1,0]
	v_fma_mixlo_f16 v45, v23, v45, 0 op_sel_hi:[0,1,0]
	v_fma_mixlo_f16 v47, v23, v47, 0 op_sel_hi:[0,1,0]
	v_and_b32_e32 v82, 0xffff, v44
	s_wait_dscnt 0x0
	v_and_b32_e32 v32, 0xffff, v28
	v_lshrrev_b32_e32 v28, 16, v28
	v_lshrrev_b32_e32 v71, 16, v29
	;;#ASMSTART
	v_cvt_f32_f16 v32, v32;
	;;#ASMEND
	;;#ASMSTART
	v_cvt_f32_f16 v33, v28;
	;;#ASMEND
	;; [unrolled: 3-line block ×3, first 2 shown]
	v_dual_fmac_f32 v30, v32, v34 :: v_dual_and_b32 v29, 0xffff, v29
	;;#ASMSTART
	v_cvt_f32_f16 v35, v70;
	;;#ASMEND
	;;#ASMSTART
	v_cvt_f32_f16 v70, v29;
	;;#ASMEND
	;; [unrolled: 3-line block ×5, first 2 shown]
	ds_load_b64 v[28:29], v19 offset:24
	v_and_b32_e32 v77, 0xffff, v38
	v_and_b32_e32 v38, 0xffff, v37
	v_fmac_f32_e32 v66, v70, v72
	v_and_b32_e32 v84, 0xffff, v47
	v_or_b32_e32 v49, v48, v49
	v_or_b32_e32 v51, v50, v51
	v_fma_mixlo_f16 v48, v23, v48, 0 op_sel:[0,1,0] op_sel_hi:[0,1,0]
	v_fma_mixlo_f16 v50, v23, v50, 0 op_sel:[0,1,0] op_sel_hi:[0,1,0]
	v_or_b32_e32 v53, v52, v53
	v_fma_mixlo_f16 v49, v23, v49, 0 op_sel_hi:[0,1,0]
	v_fma_mixlo_f16 v51, v23, v51, 0 op_sel_hi:[0,1,0]
	v_and_b32_e32 v86, 0xffff, v48
	v_or_b32_e32 v55, v54, v55
	v_fma_mixlo_f16 v52, v23, v52, 0 op_sel:[0,1,0] op_sel_hi:[0,1,0]
	v_or_b32_e32 v9, v8, v9
	v_and_b32_e32 v88, 0xffff, v51
	v_fma_mixlo_f16 v90, v23, v8, 0 op_sel:[0,1,0] op_sel_hi:[0,1,0]
	v_fma_mixlo_f16 v8, v23, v53, 0 op_sel_hi:[0,1,0]
	v_fma_mixlo_f16 v53, v23, v55, 0 op_sel_hi:[0,1,0]
	s_wait_dscnt 0x0
	v_and_b32_e32 v36, 0xffff, v28
	v_lshrrev_b32_e32 v28, 16, v28
	v_lshrrev_b32_e32 v75, 16, v29
	v_and_b32_e32 v29, 0xffff, v29
	;;#ASMSTART
	v_cvt_f32_f16 v36, v36;
	;;#ASMEND
	;;#ASMSTART
	v_cvt_f32_f16 v37, v28;
	;;#ASMEND
	;; [unrolled: 3-line block ×8, first 2 shown]
	ds_load_b64 v[28:29], v19 offset:32
	v_and_b32_e32 v81, 0xffff, v42
	v_and_b32_e32 v42, 0xffff, v41
	v_fmac_f32_e32 v30, v36, v38
	v_dual_fmac_f32 v66, v74, v76 :: v_dual_and_b32 v85, 0xffff, v46
	v_and_b32_e32 v46, 0xffff, v45
	v_fma_mixlo_f16 v55, v23, v9, 0 op_sel_hi:[0,1,0]
	v_or_b32_e32 v57, v56, v57
	v_fma_mixlo_f16 v56, v23, v56, 0 op_sel:[0,1,0] op_sel_hi:[0,1,0]
	v_fma_mixlo_f16 v54, v23, v54, 0 op_sel:[0,1,0] op_sel_hi:[0,1,0]
	v_and_b32_e32 v8, 0xffff, v8
	v_or_b32_e32 v59, v58, v59
	v_fma_mixlo_f16 v57, v23, v57, 0 op_sel_hi:[0,1,0]
	v_dual_mul_f32 v67, v67, v69 :: v_dual_and_b32 v92, 0xffff, v56
	v_fma_mixlo_f16 v58, v23, v58, 0 op_sel:[0,1,0] op_sel_hi:[0,1,0]
	s_delay_alu instid0(VALU_DEP_4)
	v_fma_mixlo_f16 v59, v23, v59, 0 op_sel_hi:[0,1,0]
	v_or_b32_e32 v34, v60, v61
	s_wait_dscnt 0x0
	v_and_b32_e32 v40, 0xffff, v28
	v_lshrrev_b32_e32 v28, 16, v28
	v_lshrrev_b32_e32 v79, 16, v29
	v_and_b32_e32 v29, 0xffff, v29
	;;#ASMSTART
	v_cvt_f32_f16 v40, v40;
	;;#ASMEND
	;;#ASMSTART
	v_cvt_f32_f16 v41, v28;
	;;#ASMEND
	;; [unrolled: 3-line block ×8, first 2 shown]
	ds_load_b64 v[28:29], v19 offset:40
	v_fmac_f32_e32 v30, v40, v42
	v_and_b32_e32 v89, 0xffff, v50
	v_and_b32_e32 v50, 0xffff, v49
	v_dual_fmac_f32 v66, v78, v80 :: v_dual_fmac_f32 v67, v7, v25
	v_and_b32_e32 v32, 0xffff, v59
	v_and_b32_e32 v58, 0xffff, v58
	v_fma_mixlo_f16 v34, v23, v34, 0 op_sel_hi:[0,1,0]
	v_fma_mixlo_f16 v23, v23, v60, 0 op_sel:[0,1,0] op_sel_hi:[0,1,0]
	v_fmac_f32_e32 v67, v71, v73
	s_wait_dscnt 0x0
	s_delay_alu instid0(VALU_DEP_1)
	v_dual_fmac_f32 v67, v75, v77 :: v_dual_and_b32 v44, 0xffff, v28
	v_lshrrev_b32_e32 v28, 16, v28
	v_lshrrev_b32_e32 v83, 16, v29
	v_and_b32_e32 v29, 0xffff, v29
	;;#ASMSTART
	v_cvt_f32_f16 v44, v44;
	;;#ASMEND
	;;#ASMSTART
	v_cvt_f32_f16 v45, v28;
	;;#ASMEND
	;; [unrolled: 3-line block ×8, first 2 shown]
	ds_load_b64 v[28:29], v19 offset:48
	v_dual_fmac_f32 v30, v44, v46 :: v_dual_and_b32 v9, 0xffff, v52
	v_dual_fmac_f32 v66, v82, v84 :: v_dual_and_b32 v93, 0xffff, v53
	v_fmac_f32_e32 v67, v79, v81
	s_wait_dscnt 0x0
	s_delay_alu instid0(VALU_DEP_1)
	v_dual_fmac_f32 v67, v83, v85 :: v_dual_and_b32 v48, 0xffff, v28
	v_lshrrev_b32_e32 v28, 16, v28
	v_lshrrev_b32_e32 v87, 16, v29
	v_and_b32_e32 v29, 0xffff, v29
	;;#ASMSTART
	v_cvt_f32_f16 v48, v48;
	;;#ASMEND
	;;#ASMSTART
	v_cvt_f32_f16 v49, v28;
	;;#ASMEND
	;; [unrolled: 3-line block ×8, first 2 shown]
	ds_load_b64 v[28:29], v19 offset:56
	v_dual_fmac_f32 v30, v48, v50 :: v_dual_and_b32 v7, 0xffff, v57
	s_wait_dscnt 0x0
	v_dual_fmac_f32 v67, v87, v89 :: v_dual_and_b32 v52, 0xffff, v28
	v_lshrrev_b32_e32 v53, 16, v28
	v_mul_f32_e32 v28, v31, v65
	v_lshrrev_b32_e32 v56, 16, v29
	s_delay_alu instid0(VALU_DEP_2) | instskip(NEXT) | instid1(VALU_DEP_1)
	v_fmac_f32_e32 v28, v27, v63
	v_fmac_f32_e32 v28, v33, v35
	s_delay_alu instid0(VALU_DEP_1) | instskip(NEXT) | instid1(VALU_DEP_1)
	v_fmac_f32_e32 v28, v37, v39
	v_dual_fmac_f32 v28, v41, v43 :: v_dual_and_b32 v91, 0xffff, v54
	v_and_b32_e32 v54, 0xffff, v29
	;;#ASMSTART
	v_cvt_f32_f16 v29, v52;
	;;#ASMEND
	;;#ASMSTART
	v_cvt_f32_f16 v31, v53;
	;;#ASMEND
	;; [unrolled: 3-line block ×7, first 2 shown]
	v_fmac_f32_e32 v28, v45, v47
	;;#ASMSTART
	v_cvt_f32_f16 v65, v91;
	;;#ASMEND
	ds_load_b64 v[8:9], v19 offset:64
	v_dual_fmac_f32 v30, v29, v52 :: v_dual_fmac_f32 v67, v56, v65
	s_wait_dscnt 0x0
	v_dual_fmac_f32 v28, v49, v51 :: v_dual_and_b32 v1, 0xffff, v8
	v_lshrrev_b32_e32 v8, 16, v8
	v_lshrrev_b32_e32 v27, 16, v9
	v_and_b32_e32 v26, 0xffff, v9
	;;#ASMSTART
	v_cvt_f32_f16 v1, v1;
	;;#ASMEND
	;;#ASMSTART
	v_cvt_f32_f16 v9, v8;
	;;#ASMEND
	;; [unrolled: 3-line block ×8, first 2 shown]
	ds_load_b64 v[7:8], v19 offset:72
	v_fmac_f32_e32 v66, v86, v88
	v_fmac_f32_e32 v28, v31, v53
	;; [unrolled: 1-line block ×3, first 2 shown]
	s_delay_alu instid0(VALU_DEP_2)
	v_dual_fmac_f32 v28, v9, v25 :: v_dual_and_b32 v9, 0xffff, v55
	v_fmac_f32_e32 v30, v1, v24
	v_and_b32_e32 v24, 0xffff, v90
	s_wait_dscnt 0x0
	v_dual_fmac_f32 v66, v54, v64 :: v_dual_and_b32 v1, 0xffff, v7
	v_lshrrev_b32_e32 v7, 16, v7
	;;#ASMSTART
	v_cvt_f32_f16 v1, v1;
	;;#ASMEND
	;;#ASMSTART
	v_cvt_f32_f16 v7, v7;
	;;#ASMEND
	;; [unrolled: 3-line block ×3, first 2 shown]
	v_dual_fmac_f32 v30, v1, v9 :: v_dual_and_b32 v9, 0xffff, v23
	v_fmac_f32_e32 v66, v26, v32
	v_and_b32_e32 v25, 0xffff, v8
	v_lshrrev_b32_e32 v8, 16, v8
	;;#ASMSTART
	v_cvt_f32_f16 v24, v24;
	;;#ASMEND
	v_and_b32_e32 v26, 0xffff, v34
	v_fmac_f32_e32 v28, v7, v24
	;;#ASMSTART
	v_cvt_f32_f16 v1, v25;
	;;#ASMEND
	;;#ASMSTART
	v_cvt_f32_f16 v7, v8;
	;;#ASMEND
	;; [unrolled: 3-line block ×3, first 2 shown]
	v_fmac_f32_e32 v66, v1, v8
	v_xor_b32_e32 v8, 1, v16
	v_add_f32_e32 v1, v30, v28
	;;#ASMSTART
	v_cvt_f32_f16 v9, v9;
	;;#ASMEND
	v_fmac_f32_e32 v67, v7, v9
	s_delay_alu instid0(VALU_DEP_3) | instskip(NEXT) | instid1(VALU_DEP_3)
	v_cmp_gt_i32_e64 s4, 32, v8
	v_add_f32_e32 v1, v1, v66
	s_wait_alu 0xf1ff
	s_delay_alu instid0(VALU_DEP_2) | instskip(NEXT) | instid1(VALU_DEP_2)
	v_cndmask_b32_e64 v7, v16, v8, s4
	v_add_f32_e32 v1, v67, v1
	s_delay_alu instid0(VALU_DEP_2)
	v_lshlrev_b32_e32 v7, 2, v7
	ds_bpermute_b32 v7, v7, v1
	s_and_saveexec_b32 s5, vcc_lo
	s_cbranch_execz .LBB274_9
; %bb.331:                              ;   in Loop: Header=BB274_10 Depth=1
	s_wait_dscnt 0x0
	v_dual_add_f32 v1, v1, v7 :: v_dual_add_nc_u32 v8, s31, v20
	v_cmp_gt_i32_e64 s4, s27, v20
	s_delay_alu instid0(VALU_DEP_2) | instskip(NEXT) | instid1(VALU_DEP_1)
	v_cvt_f32_i32_e32 v8, v8
	v_mul_f32_e32 v8, s6, v8
	s_delay_alu instid0(VALU_DEP_1) | instskip(SKIP_1) | instid1(VALU_DEP_2)
	v_cndmask_b32_e64 v7, 0, v8, s3
	v_max_num_f32_e32 v8, v17, v17
	v_fmac_f32_e32 v7, s7, v1
	s_delay_alu instid0(VALU_DEP_1) | instskip(SKIP_2) | instid1(VALU_DEP_2)
	v_max_num_f32_e32 v1, v8, v7
	s_wait_alu 0xf1ff
	v_cndmask_b32_e64 v7, 0, v7, s4
	v_cndmask_b32_e64 v17, v17, v1, s4
	ds_store_b32 v21, v7
	s_branch .LBB274_9
.LBB274_332:
	s_or_b32 exec_lo, exec_lo, s15
.LBB274_333:
	s_delay_alu instid0(SALU_CYCLE_1)
	s_or_b32 exec_lo, exec_lo, s24
	v_xor_b32_e32 v1, 16, v16
	v_xor_b32_e32 v3, 8, v16
	s_wait_dscnt 0x0
	v_xor_b32_e32 v7, 2, v16
	s_load_b128 s[4:7], s[0:1], 0x0
	s_wait_kmcnt 0x0
	s_clause 0x1
	s_load_b64 s[8:9], s[0:1], 0x10
	s_load_b64 s[24:25], s[0:1], 0x28
	v_cmp_lt_i32_e32 vcc_lo, v1, v18
	v_cndmask_b32_e32 v1, v16, v1, vcc_lo
	v_cmp_lt_i32_e32 vcc_lo, v3, v18
	s_wait_alu 0xfffd
	s_delay_alu instid0(VALU_DEP_2)
	v_dual_cndmask_b32 v3, v16, v3 :: v_dual_lshlrev_b32 v4, 2, v1
	v_max_num_f32_e32 v6, v17, v17
	ds_bpermute_b32 v1, v4, v17
	v_lshlrev_b32_e32 v5, 2, v3
	v_and_b32_e32 v17, 31, v0
	s_wait_dscnt 0x0
	v_max_num_f32_e32 v1, v1, v1
	s_delay_alu instid0(VALU_DEP_1)
	v_max_num_f32_e32 v1, v6, v1
	v_xor_b32_e32 v6, 4, v16
	ds_bpermute_b32 v3, v5, v1
	v_cmp_lt_i32_e32 vcc_lo, v6, v18
	s_wait_alu 0xfffd
	v_cndmask_b32_e32 v6, v16, v6, vcc_lo
	v_cmp_lt_i32_e32 vcc_lo, v7, v18
	s_wait_alu 0xfffd
	s_delay_alu instid0(VALU_DEP_2) | instskip(SKIP_3) | instid1(VALU_DEP_1)
	v_dual_cndmask_b32 v7, v16, v7 :: v_dual_lshlrev_b32 v6, 2, v6
	v_cmp_eq_u32_e32 vcc_lo, 0, v17
	s_wait_dscnt 0x0
	v_max_num_f32_e32 v3, v3, v3
	v_max_num_f32_e32 v1, v1, v3
	ds_bpermute_b32 v3, v6, v1
	s_wait_dscnt 0x0
	v_max_num_f32_e32 v3, v3, v3
	s_delay_alu instid0(VALU_DEP_1)
	v_max_num_f32_e32 v1, v1, v3
	v_lshlrev_b32_e32 v3, 2, v7
	v_lshlrev_b32_e32 v7, 2, v13
	ds_bpermute_b32 v8, v3, v1
	s_and_saveexec_b32 s0, vcc_lo
	s_cbranch_execz .LBB274_335
; %bb.334:
	s_wait_dscnt 0x0
	v_dual_max_num_f32 v8, v8, v8 :: v_dual_max_num_f32 v1, v1, v1
	s_delay_alu instid0(VALU_DEP_1)
	v_max_num_f32_e32 v1, v1, v8
	ds_store_b32 v7, v1 offset:160
.LBB274_335:
	s_or_b32 exec_lo, exec_lo, s0
	v_cmp_gt_u32_e64 s0, 4, v17
	s_wait_dscnt 0x0
	v_dual_mov_b32 v1, 0xff7fffff :: v_dual_lshlrev_b32 v8, 2, v17
	s_wait_loadcnt 0x0
	s_barrier_signal -1
	s_barrier_wait -1
	global_inv scope:SCOPE_SE
	s_and_saveexec_b32 s1, s0
; %bb.336:
	ds_load_b32 v1, v8 offset:160
; %bb.337:
	s_or_b32 exec_lo, exec_lo, s1
	s_wait_dscnt 0x0
	ds_bpermute_b32 v9, v3, v1
	v_xor_b32_e32 v19, 1, v16
	v_lshlrev_b32_e32 v2, 2, v2
	s_delay_alu instid0(VALU_DEP_2) | instskip(NEXT) | instid1(VALU_DEP_1)
	v_cmp_lt_i32_e64 s1, v19, v18
	v_cndmask_b32_e64 v18, v16, v19, s1
	v_max_num_f32_e32 v1, v1, v1
	s_sub_co_i32 s1, s17, s30
	s_wait_alu 0xfffe
	s_lshl_b32 s1, s1, 4
	v_lshlrev_b32_e32 v18, 2, v18
	s_wait_alu 0xfffe
	s_add_co_i32 s1, s1, s28
	s_wait_alu 0xfffe
	s_min_i32 s1, s1, s27
	s_wait_dscnt 0x0
	v_max_num_f32_e32 v9, v9, v9
	s_wait_alu 0xfffe
	s_sub_co_i32 s15, s1, s28
	s_delay_alu instid0(SALU_CYCLE_1) | instskip(NEXT) | instid1(VALU_DEP_2)
	v_cmp_gt_i32_e64 s1, s15, v0
	v_max_num_f32_e32 v1, v1, v9
	ds_bpermute_b32 v9, v18, v1
	s_wait_dscnt 0x0
	v_max_num_f32_e32 v9, v9, v9
	s_delay_alu instid0(VALU_DEP_1)
	v_max_num_f32_e32 v1, v1, v9
	v_mov_b32_e32 v9, 0
	ds_bpermute_b32 v1, v2, v1
	v_lshl_add_u32 v2, v0, 2, 0xc0
	s_and_saveexec_b32 s30, s1
	s_cbranch_execz .LBB274_341
; %bb.338:
	v_lshl_add_u32 v19, v0, 2, 0xc0
	v_dual_mov_b32 v9, 0 :: v_dual_mov_b32 v20, v0
	s_mov_b32 s31, 0
.LBB274_339:                            ; =>This Inner Loop Header: Depth=1
	ds_load_b32 v21, v19
	v_add_nc_u32_e32 v20, 0x80, v20
	s_delay_alu instid0(VALU_DEP_1) | instskip(SKIP_4) | instid1(VALU_DEP_1)
	v_cmp_le_i32_e64 s3, s15, v20
	s_wait_alu 0xfffe
	s_or_b32 s31, s3, s31
	s_wait_dscnt 0x0
	v_sub_f32_e32 v21, v21, v1
	v_mul_f32_e32 v21, 0x3fb8aa3b, v21
	s_delay_alu instid0(VALU_DEP_1)
	v_exp_f32_e32 v21, v21
	ds_store_b32 v19, v21
	v_add_f32_e32 v9, v9, v21
	v_add_nc_u32_e32 v19, 0x200, v19
	s_wait_alu 0xfffe
	s_and_not1_b32 exec_lo, exec_lo, s31
	s_cbranch_execnz .LBB274_339
; %bb.340:
	s_or_b32 exec_lo, exec_lo, s31
.LBB274_341:
	s_wait_alu 0xfffe
	s_or_b32 exec_lo, exec_lo, s30
	ds_bpermute_b32 v4, v4, v9
	s_wait_dscnt 0x0
	v_add_f32_e32 v4, v9, v4
	ds_bpermute_b32 v5, v5, v4
	s_wait_dscnt 0x0
	v_add_f32_e32 v4, v4, v5
	;; [unrolled: 3-line block ×5, first 2 shown]
	s_and_saveexec_b32 s3, vcc_lo
; %bb.342:
	ds_store_b32 v7, v4 offset:176
; %bb.343:
	s_wait_alu 0xfffe
	s_or_b32 exec_lo, exec_lo, s3
	s_wait_loadcnt_dscnt 0x0
	s_barrier_signal -1
	s_barrier_wait -1
	global_inv scope:SCOPE_SE
	s_and_saveexec_b32 s3, s0
; %bb.344:
	ds_load_b32 v4, v8 offset:176
; %bb.345:
	s_wait_alu 0xfffe
	s_or_b32 exec_lo, exec_lo, s3
	s_wait_dscnt 0x0
	ds_bpermute_b32 v3, v3, v4
	v_lshlrev_b32_e32 v5, 2, v16
	s_wait_dscnt 0x0
	v_add_f32_e32 v3, v4, v3
	ds_bpermute_b32 v4, v18, v3
	s_wait_dscnt 0x0
	v_dual_add_f32 v3, v3, v4 :: v_dual_and_b32 v4, 0xffffff80, v5
	ds_bpermute_b32 v3, v4, v3
	s_and_saveexec_b32 s0, s1
	s_cbranch_execz .LBB274_348
; %bb.346:
	s_wait_dscnt 0x0
	v_add_f32_e32 v4, 0x358637bd, v3
	s_mov_b32 s1, 0
	s_delay_alu instid0(VALU_DEP_1) | instskip(SKIP_1) | instid1(VALU_DEP_2)
	v_div_scale_f32 v5, null, v4, v4, 1.0
	v_div_scale_f32 v8, vcc_lo, 1.0, v4, 1.0
	v_rcp_f32_e32 v6, v5
	s_delay_alu instid0(TRANS32_DEP_1) | instskip(NEXT) | instid1(VALU_DEP_1)
	v_fma_f32 v7, -v5, v6, 1.0
	v_fmac_f32_e32 v6, v7, v6
	s_delay_alu instid0(VALU_DEP_1) | instskip(NEXT) | instid1(VALU_DEP_1)
	v_mul_f32_e32 v7, v8, v6
	v_fma_f32 v9, -v5, v7, v8
	s_delay_alu instid0(VALU_DEP_1) | instskip(NEXT) | instid1(VALU_DEP_1)
	v_fmac_f32_e32 v7, v9, v6
	v_fma_f32 v5, -v5, v7, v8
	s_wait_alu 0xfffd
	s_delay_alu instid0(VALU_DEP_1) | instskip(NEXT) | instid1(VALU_DEP_1)
	v_div_fmas_f32 v5, v5, v6, v7
	v_div_fixup_f32 v4, v5, v4, 1.0
	v_mov_b32_e32 v5, v0
.LBB274_347:                            ; =>This Inner Loop Header: Depth=1
	ds_load_b32 v6, v2
	s_wait_dscnt 0x0
	v_dual_mul_f32 v6, v4, v6 :: v_dual_add_nc_u32 v5, 0x80, v5
	s_delay_alu instid0(VALU_DEP_1)
	v_cmp_le_i32_e32 vcc_lo, s15, v5
	ds_store_b32 v2, v6
	v_add_nc_u32_e32 v2, 0x200, v2
	s_wait_alu 0xfffe
	s_or_b32 s1, vcc_lo, s1
	s_wait_alu 0xfffe
	s_and_not1_b32 exec_lo, exec_lo, s1
	s_cbranch_execnz .LBB274_347
.LBB274_348:
	s_wait_alu 0xfffe
	s_or_b32 exec_lo, exec_lo, s0
	s_mul_i32 s0, s12, s22
	s_wait_loadcnt_dscnt 0x0
	s_wait_alu 0xfffe
	s_mul_i32 s22, s0, s23
	s_mov_b32 s0, exec_lo
	s_barrier_signal -1
	s_barrier_wait -1
	global_inv scope:SCOPE_SE
	v_cmpx_eq_u32_e32 0, v0
	s_cbranch_execz .LBB274_350
; %bb.349:
	s_ashr_i32 s23, s22, 31
	s_wait_alu 0xfffe
	s_mul_i32 s30, s12, ttmp9
	s_lshl_b32 s1, s26, 2
	s_lshl_b64 s[34:35], s[22:23], 2
	s_wait_alu 0xfffe
	s_ashr_i32 s31, s30, 31
	v_mov_b32_e32 v2, s1
	s_add_nc_u64 s[6:7], s[6:7], s[34:35]
	s_wait_alu 0xfffe
	s_lshl_b64 s[30:31], s[30:31], 2
	s_add_nc_u64 s[4:5], s[4:5], s[34:35]
	s_wait_alu 0xfffe
	s_add_nc_u64 s[6:7], s[6:7], s[30:31]
	s_add_nc_u64 s[4:5], s[4:5], s[30:31]
	s_clause 0x1
	global_store_b32 v2, v1, s[6:7]
	global_store_b32 v2, v3, s[4:5]
.LBB274_350:
	s_wait_alu 0xfffe
	s_or_b32 exec_lo, exec_lo, s0
	v_dual_mov_b32 v21, 0 :: v_dual_mov_b32 v22, 0
	v_dual_mov_b32 v20, 0 :: v_dual_mov_b32 v19, 0
	v_mov_b32_e32 v16, 0
	s_and_saveexec_b32 s1, s2
	s_cbranch_execz .LBB274_684
; %bb.351:
	v_dual_mov_b32 v16, 0 :: v_dual_lshlrev_b32 v3, 5, v12
	v_dual_mov_b32 v19, 0 :: v_dual_and_b32 v4, 0xf8, v10
	s_ashr_i32 s15, s14, 31
	s_delay_alu instid0(VALU_DEP_2)
	v_lshl_or_b32 v6, v13, 6, v3
	s_wait_kmcnt 0x0
	s_wait_alu 0xfffe
	s_add_nc_u64 s[6:7], s[24:25], s[14:15]
	v_dual_mov_b32 v2, 0 :: v_dual_and_b32 v1, 8, v10
	s_wait_alu 0xfffe
	v_add_co_u32 v3, s0, s6, v4
	v_lshl_add_u32 v5, v13, 4, s28
	s_wait_alu 0xf1ff
	v_add_co_ci_u32_e64 v4, null, s7, 0, s0
	s_lshl_b64 s[6:7], s[18:19], 2
	v_dual_mov_b32 v21, 0 :: v_dual_add_nc_u32 v24, 0xc0, v6
	s_wait_alu 0xfffe
	s_add_nc_u64 s[6:7], s[20:21], s[6:7]
	v_add3_u32 v23, v5, v1, 7
	s_wait_alu 0xfffe
	v_add_co_u32 v5, s0, s6, v15
	s_wait_alu 0xf1ff
	v_add_co_ci_u32_e64 v6, null, s7, 0, s0
	v_mov_b32_e32 v20, 0
	v_mov_b32_e32 v22, 0
	s_mov_b32 s2, -1
	s_mov_b32 s4, s13
	s_mov_b32 s3, 0xffffff
	s_add_co_i32 s29, s29, -1
	s_mov_b32 s5, 0
	s_branch .LBB274_353
.LBB274_352:                            ;   in Loop: Header=BB274_353 Depth=1
	s_wait_alu 0xfffe
	s_or_b32 exec_lo, exec_lo, s0
	v_add_f32_e32 v8, v9, v10
	;;#ASMSTART
	v_pk_mul_f16 v9, v35, v42;

	;;#ASMEND
	;;#ASMSTART
	v_pk_mul_f16 v1, v34, v1;

	;;#ASMEND
	;; [unrolled: 4-line block ×4, first 2 shown]
	;;#ASMSTART
	v_pk_add_f16 v1, v9, v1;

	;;#ASMEND
	;;#ASMSTART
	v_pk_add_f16 v1, v1, v10;

	;;#ASMEND
	;;#ASMSTART
	v_pk_add_f16 v1, v1, v7;

	;;#ASMEND
	v_and_b32_e32 v9, 0xffff, v1
	v_lshrrev_b32_e32 v10, 16, v1
	;;#ASMSTART
	v_cvt_f32_f16 v9, v9;
	;;#ASMEND
	;;#ASMSTART
	v_cvt_f32_f16 v10, v10;
	;;#ASMEND
	s_delay_alu instid0(VALU_DEP_1) | instskip(SKIP_3) | instid1(VALU_DEP_4)
	v_dual_add_f32 v9, v9, v10 :: v_dual_add_nc_u32 v24, 0x100, v24
	v_add_f32_e32 v7, v37, v38
	v_add_nc_u32_e32 v23, 64, v23
	v_add_co_u32 v5, s0, v5, 16
	v_dual_add_f32 v16, v16, v9 :: v_dual_add_f32 v1, v39, v40
	s_delay_alu instid0(VALU_DEP_4) | instskip(SKIP_2) | instid1(VALU_DEP_4)
	v_dual_add_f32 v22, v22, v7 :: v_dual_add_f32 v19, v19, v8
	v_add_f32_e32 v8, v33, v36
	v_add_nc_u32_e32 v14, 4, v14
	v_add_f32_e32 v20, v20, v1
	s_wait_alu 0xf1ff
	v_add_co_ci_u32_e64 v6, null, 0, v6, s0
	v_add_f32_e32 v21, v21, v8
	v_cmp_le_i32_e32 vcc_lo, s17, v14
	s_or_b32 s5, vcc_lo, s5
	s_wait_alu 0xfffe
	s_and_not1_b32 exec_lo, exec_lo, s5
	s_cbranch_execz .LBB274_683
.LBB274_353:                            ; =>This Inner Loop Header: Depth=1
	global_load_b32 v1, v[5:6], off
	ds_load_2addr_b64 v[25:28], v24 offset1:1
	ds_load_2addr_b64 v[36:39], v24 offset0:2 offset1:3
	s_mov_b32 s0, exec_lo
	s_wait_dscnt 0x1
	;;#ASMSTART
	v_cvt_f16_f32 v31, v25;

	;;#ASMEND
	;;#ASMSTART
	v_cvt_f16_f32 v32, v26;

	;;#ASMEND
	;; [unrolled: 4-line block ×4, first 2 shown]
	s_wait_dscnt 0x0
	;;#ASMSTART
	v_cvt_f16_f32 v35, v36;

	;;#ASMEND
	;;#ASMSTART
	v_cvt_f16_f32 v36, v37;

	;;#ASMEND
	;; [unrolled: 4-line block ×4, first 2 shown]
	v_mov_b32_e32 v26, 0
	s_wait_loadcnt 0x0
	s_wait_alu 0xfffe
	v_mad_co_i64_i32 v[7:8], null, v1, s4, v[3:4]
	global_load_b64 v[9:10], v[7:8], off
	global_load_b32 v25, v2, s[10:11]
	s_wait_loadcnt 0x1
	v_and_b32_e32 v1, 0xff, v9
	s_delay_alu instid0(VALU_DEP_1)
	v_cmpx_ne_u16_e32 0, v1
	s_cbranch_execz .LBB274_361
; %bb.354:                              ;   in Loop: Header=BB274_353 Depth=1
	v_mov_b32_e32 v26, 0x8000
	s_mov_b32 s6, exec_lo
	v_cmpx_ne_u16_e32 0x80, v1
	s_cbranch_execz .LBB274_360
; %bb.355:                              ;   in Loop: Header=BB274_353 Depth=1
	v_and_b32_e32 v27, 0x7f, v9
	v_mov_b32_e32 v26, 0x7c01
	s_mov_b32 s7, exec_lo
	s_delay_alu instid0(VALU_DEP_2)
	v_cmpx_ne_u32_e32 0x7f, v27
	s_cbranch_execz .LBB274_359
; %bb.356:                              ;   in Loop: Header=BB274_353 Depth=1
	v_and_b32_e32 v1, 7, v9
	v_lshrrev_b32_e32 v15, 3, v27
	s_mov_b32 s13, exec_lo
	v_cmpx_gt_u32_e32 8, v27
; %bb.357:                              ;   in Loop: Header=BB274_353 Depth=1
	s_delay_alu instid0(VALU_DEP_3) | instskip(NEXT) | instid1(VALU_DEP_1)
	v_clz_i32_u32_e32 v1, v1
	v_min_u32_e32 v1, 32, v1
	s_delay_alu instid0(VALU_DEP_1) | instskip(NEXT) | instid1(VALU_DEP_1)
	v_subrev_nc_u32_e32 v15, 28, v1
	v_lshlrev_b64_e32 v[26:27], v15, v[9:10]
	v_sub_nc_u32_e32 v15, 29, v1
	s_delay_alu instid0(VALU_DEP_2)
	v_and_b32_e32 v1, 7, v26
; %bb.358:                              ;   in Loop: Header=BB274_353 Depth=1
	s_or_b32 exec_lo, exec_lo, s13
	v_lshlrev_b32_e32 v26, 8, v9
	s_delay_alu instid0(VALU_DEP_3) | instskip(NEXT) | instid1(VALU_DEP_3)
	v_lshl_add_u32 v15, v15, 10, 0x2000
	v_lshlrev_b32_e32 v1, 7, v1
	s_delay_alu instid0(VALU_DEP_3) | instskip(NEXT) | instid1(VALU_DEP_3)
	v_and_b32_e32 v26, 0x8000, v26
	v_and_b32_e32 v15, 0xfc00, v15
	s_delay_alu instid0(VALU_DEP_1)
	v_or3_b32 v26, v26, v15, v1
.LBB274_359:                            ;   in Loop: Header=BB274_353 Depth=1
	s_wait_alu 0xfffe
	s_or_b32 exec_lo, exec_lo, s7
.LBB274_360:                            ;   in Loop: Header=BB274_353 Depth=1
	s_wait_alu 0xfffe
	s_or_b32 exec_lo, exec_lo, s6
.LBB274_361:                            ;   in Loop: Header=BB274_353 Depth=1
	s_delay_alu instid0(SALU_CYCLE_1) | instskip(SKIP_4) | instid1(VALU_DEP_3)
	s_or_b32 exec_lo, exec_lo, s0
	v_lshrrev_b16 v1, 8, v9
	v_mov_b32_e32 v15, 0
	v_mov_b32_e32 v27, 0
	s_mov_b32 s0, exec_lo
	v_cmpx_ne_u16_e32 0, v1
	s_cbranch_execz .LBB274_369
; %bb.362:                              ;   in Loop: Header=BB274_353 Depth=1
	v_bfrev_b32_e32 v27, 1
	s_mov_b32 s6, exec_lo
	v_cmpx_ne_u16_e32 0x80, v1
	s_cbranch_execz .LBB274_368
; %bb.363:                              ;   in Loop: Header=BB274_353 Depth=1
	v_and_b32_e32 v28, 0xffff, v1
	v_mov_b32_e32 v27, 0x7c010000
	s_mov_b32 s7, exec_lo
	s_delay_alu instid0(VALU_DEP_2) | instskip(NEXT) | instid1(VALU_DEP_1)
	v_and_b32_e32 v30, 0x7f, v28
	v_cmpx_ne_u32_e32 0x7f, v30
	s_cbranch_execz .LBB274_367
; %bb.364:                              ;   in Loop: Header=BB274_353 Depth=1
	v_and_b32_e32 v27, 7, v28
	v_lshrrev_b32_e32 v29, 3, v30
	s_mov_b32 s13, exec_lo
	v_cmpx_gt_u32_e32 8, v30
; %bb.365:                              ;   in Loop: Header=BB274_353 Depth=1
	s_delay_alu instid0(VALU_DEP_3) | instskip(NEXT) | instid1(VALU_DEP_1)
	v_clz_i32_u32_e32 v27, v27
	v_min_u32_e32 v27, 32, v27
	s_delay_alu instid0(VALU_DEP_1) | instskip(NEXT) | instid1(VALU_DEP_1)
	v_subrev_nc_u32_e32 v29, 28, v27
	v_lshlrev_b64_e32 v[39:40], v29, v[1:2]
	v_sub_nc_u32_e32 v29, 29, v27
	s_delay_alu instid0(VALU_DEP_2)
	v_and_b32_e32 v27, 7, v39
; %bb.366:                              ;   in Loop: Header=BB274_353 Depth=1
	s_or_b32 exec_lo, exec_lo, s13
	v_lshlrev_b32_e32 v1, 8, v28
	s_delay_alu instid0(VALU_DEP_3) | instskip(NEXT) | instid1(VALU_DEP_3)
	v_lshl_add_u32 v28, v29, 10, 0x2000
	v_lshlrev_b32_e32 v27, 23, v27
	s_delay_alu instid0(VALU_DEP_2) | instskip(NEXT) | instid1(VALU_DEP_1)
	v_and_or_b32 v1, 0x8000, v1, v28
	v_lshl_or_b32 v27, v1, 16, v27
.LBB274_367:                            ;   in Loop: Header=BB274_353 Depth=1
	s_wait_alu 0xfffe
	s_or_b32 exec_lo, exec_lo, s7
.LBB274_368:                            ;   in Loop: Header=BB274_353 Depth=1
	s_wait_alu 0xfffe
	s_or_b32 exec_lo, exec_lo, s6
.LBB274_369:                            ;   in Loop: Header=BB274_353 Depth=1
	s_wait_alu 0xfffe
	s_or_b32 exec_lo, exec_lo, s0
	v_lshrrev_b32_e32 v1, 16, v9
	s_mov_b32 s0, exec_lo
	s_delay_alu instid0(VALU_DEP_1) | instskip(NEXT) | instid1(VALU_DEP_1)
	v_and_b32_e32 v28, 0xff, v1
	v_cmpx_ne_u16_e32 0, v28
	s_cbranch_execz .LBB274_377
; %bb.370:                              ;   in Loop: Header=BB274_353 Depth=1
	v_mov_b32_e32 v15, 0x8000
	s_mov_b32 s6, exec_lo
	v_cmpx_ne_u16_e32 0x80, v28
	s_cbranch_execz .LBB274_376
; %bb.371:                              ;   in Loop: Header=BB274_353 Depth=1
	v_bfe_u32 v29, v9, 16, 7
	v_mov_b32_e32 v15, 0x7c01
	s_mov_b32 s7, exec_lo
	s_delay_alu instid0(VALU_DEP_2)
	v_cmpx_ne_u32_e32 0x7f, v29
	s_cbranch_execz .LBB274_375
; %bb.372:                              ;   in Loop: Header=BB274_353 Depth=1
	v_and_b32_e32 v15, 7, v1
	v_lshrrev_b32_e32 v28, 3, v29
	s_mov_b32 s13, exec_lo
	v_cmpx_gt_u32_e32 8, v29
; %bb.373:                              ;   in Loop: Header=BB274_353 Depth=1
	s_delay_alu instid0(VALU_DEP_3) | instskip(NEXT) | instid1(VALU_DEP_1)
	v_clz_i32_u32_e32 v15, v15
	v_min_u32_e32 v15, 32, v15
	s_delay_alu instid0(VALU_DEP_1) | instskip(NEXT) | instid1(VALU_DEP_1)
	v_subrev_nc_u32_e32 v28, 28, v15
	v_lshlrev_b64_e32 v[29:30], v28, v[1:2]
	v_sub_nc_u32_e32 v28, 29, v15
	s_delay_alu instid0(VALU_DEP_2)
	v_and_b32_e32 v15, 7, v29
; %bb.374:                              ;   in Loop: Header=BB274_353 Depth=1
	s_or_b32 exec_lo, exec_lo, s13
	v_lshlrev_b32_e32 v1, 8, v1
	s_delay_alu instid0(VALU_DEP_3) | instskip(NEXT) | instid1(VALU_DEP_3)
	v_lshl_add_u32 v28, v28, 10, 0x2000
	v_lshlrev_b32_e32 v15, 7, v15
	s_delay_alu instid0(VALU_DEP_3) | instskip(NEXT) | instid1(VALU_DEP_3)
	v_and_b32_e32 v1, 0x8000, v1
	v_and_b32_e32 v28, 0xfc00, v28
	s_delay_alu instid0(VALU_DEP_1)
	v_or3_b32 v15, v1, v28, v15
.LBB274_375:                            ;   in Loop: Header=BB274_353 Depth=1
	s_wait_alu 0xfffe
	s_or_b32 exec_lo, exec_lo, s7
.LBB274_376:                            ;   in Loop: Header=BB274_353 Depth=1
	s_wait_alu 0xfffe
	s_or_b32 exec_lo, exec_lo, s6
.LBB274_377:                            ;   in Loop: Header=BB274_353 Depth=1
	s_wait_alu 0xfffe
	s_or_b32 exec_lo, exec_lo, s0
	v_dual_mov_b32 v28, 0 :: v_dual_mov_b32 v29, 0
	s_mov_b32 s0, exec_lo
	v_cmpx_lt_u32_e32 0xffffff, v9
	s_cbranch_execz .LBB274_385
; %bb.378:                              ;   in Loop: Header=BB274_353 Depth=1
	v_lshrrev_b32_e32 v1, 24, v9
	v_bfrev_b32_e32 v29, 1
	s_mov_b32 s6, exec_lo
	s_delay_alu instid0(VALU_DEP_2)
	v_cmpx_ne_u32_e32 0x80, v1
	s_cbranch_execz .LBB274_384
; %bb.379:                              ;   in Loop: Header=BB274_353 Depth=1
	v_and_b32_e32 v39, 0x7f, v1
	v_mov_b32_e32 v29, 0x7c010000
	s_mov_b32 s7, exec_lo
	s_delay_alu instid0(VALU_DEP_2)
	v_cmpx_ne_u32_e32 0x7f, v39
	s_cbranch_execz .LBB274_383
; %bb.380:                              ;   in Loop: Header=BB274_353 Depth=1
	v_and_b32_e32 v29, 7, v1
	v_lshrrev_b32_e32 v30, 3, v39
	s_mov_b32 s13, exec_lo
	v_cmpx_gt_u32_e32 8, v39
; %bb.381:                              ;   in Loop: Header=BB274_353 Depth=1
	s_delay_alu instid0(VALU_DEP_3) | instskip(NEXT) | instid1(VALU_DEP_1)
	v_clz_i32_u32_e32 v29, v29
	v_min_u32_e32 v39, 32, v29
	s_delay_alu instid0(VALU_DEP_1) | instskip(NEXT) | instid1(VALU_DEP_1)
	v_subrev_nc_u32_e32 v29, 28, v39
	v_lshlrev_b64_e32 v[29:30], v29, v[1:2]
	v_sub_nc_u32_e32 v30, 29, v39
	s_delay_alu instid0(VALU_DEP_2)
	v_and_b32_e32 v29, 7, v29
; %bb.382:                              ;   in Loop: Header=BB274_353 Depth=1
	s_or_b32 exec_lo, exec_lo, s13
	v_lshlrev_b32_e32 v1, 8, v1
	s_delay_alu instid0(VALU_DEP_3) | instskip(NEXT) | instid1(VALU_DEP_3)
	v_lshl_add_u32 v30, v30, 10, 0x2000
	v_lshlrev_b32_e32 v29, 23, v29
	s_delay_alu instid0(VALU_DEP_2) | instskip(NEXT) | instid1(VALU_DEP_1)
	v_and_or_b32 v1, 0x8000, v1, v30
	v_lshl_or_b32 v29, v1, 16, v29
.LBB274_383:                            ;   in Loop: Header=BB274_353 Depth=1
	s_wait_alu 0xfffe
	s_or_b32 exec_lo, exec_lo, s7
.LBB274_384:                            ;   in Loop: Header=BB274_353 Depth=1
	s_wait_alu 0xfffe
	s_or_b32 exec_lo, exec_lo, s6
.LBB274_385:                            ;   in Loop: Header=BB274_353 Depth=1
	s_wait_alu 0xfffe
	s_or_b32 exec_lo, exec_lo, s0
	v_dual_mov_b32 v1, v10 :: v_dual_and_b32 v30, 0xff, v10
	s_mov_b32 s0, exec_lo
	s_delay_alu instid0(VALU_DEP_1)
	v_cmpx_ne_u16_e32 0, v30
	s_cbranch_execz .LBB274_393
; %bb.386:                              ;   in Loop: Header=BB274_353 Depth=1
	v_mov_b32_e32 v28, 0x8000
	s_mov_b32 s6, exec_lo
	v_cmpx_ne_u16_e32 0x80, v30
	s_cbranch_execz .LBB274_392
; %bb.387:                              ;   in Loop: Header=BB274_353 Depth=1
	v_and_b32_e32 v39, 0x7f, v10
	v_mov_b32_e32 v28, 0x7c01
	s_mov_b32 s7, exec_lo
	s_delay_alu instid0(VALU_DEP_2)
	v_cmpx_ne_u32_e32 0x7f, v39
	s_cbranch_execz .LBB274_391
; %bb.388:                              ;   in Loop: Header=BB274_353 Depth=1
	v_and_b32_e32 v28, 7, v10
	v_lshrrev_b32_e32 v30, 3, v39
	s_mov_b32 s13, exec_lo
	v_cmpx_gt_u32_e32 8, v39
; %bb.389:                              ;   in Loop: Header=BB274_353 Depth=1
	s_delay_alu instid0(VALU_DEP_3) | instskip(NEXT) | instid1(VALU_DEP_1)
	v_clz_i32_u32_e32 v28, v28
	v_min_u32_e32 v28, 32, v28
	s_delay_alu instid0(VALU_DEP_1) | instskip(NEXT) | instid1(VALU_DEP_1)
	v_subrev_nc_u32_e32 v30, 28, v28
	v_lshlrev_b64_e32 v[39:40], v30, v[1:2]
	v_sub_nc_u32_e32 v30, 29, v28
	s_delay_alu instid0(VALU_DEP_2)
	v_and_b32_e32 v28, 7, v39
; %bb.390:                              ;   in Loop: Header=BB274_353 Depth=1
	s_or_b32 exec_lo, exec_lo, s13
	v_lshlrev_b32_e32 v39, 8, v10
	s_delay_alu instid0(VALU_DEP_3) | instskip(NEXT) | instid1(VALU_DEP_3)
	v_lshl_add_u32 v30, v30, 10, 0x2000
	v_lshlrev_b32_e32 v28, 7, v28
	s_delay_alu instid0(VALU_DEP_3) | instskip(NEXT) | instid1(VALU_DEP_3)
	v_and_b32_e32 v39, 0x8000, v39
	v_and_b32_e32 v30, 0xfc00, v30
	s_delay_alu instid0(VALU_DEP_1)
	v_or3_b32 v28, v39, v30, v28
.LBB274_391:                            ;   in Loop: Header=BB274_353 Depth=1
	s_wait_alu 0xfffe
	s_or_b32 exec_lo, exec_lo, s7
.LBB274_392:                            ;   in Loop: Header=BB274_353 Depth=1
	s_wait_alu 0xfffe
	s_or_b32 exec_lo, exec_lo, s6
.LBB274_393:                            ;   in Loop: Header=BB274_353 Depth=1
	s_wait_alu 0xfffe
	s_or_b32 exec_lo, exec_lo, s0
	v_lshrrev_b16 v1, 8, v1
	v_dual_mov_b32 v39, 0 :: v_dual_mov_b32 v30, 0
	s_mov_b32 s0, exec_lo
	s_delay_alu instid0(VALU_DEP_2)
	v_cmpx_ne_u16_e32 0, v1
	s_cbranch_execz .LBB274_401
; %bb.394:                              ;   in Loop: Header=BB274_353 Depth=1
	v_bfrev_b32_e32 v30, 1
	s_mov_b32 s6, exec_lo
	v_cmpx_ne_u16_e32 0x80, v1
	s_cbranch_execz .LBB274_400
; %bb.395:                              ;   in Loop: Header=BB274_353 Depth=1
	v_and_b32_e32 v40, 0xffff, v1
	v_mov_b32_e32 v30, 0x7c010000
	s_mov_b32 s7, exec_lo
	s_delay_alu instid0(VALU_DEP_2) | instskip(NEXT) | instid1(VALU_DEP_1)
	v_and_b32_e32 v42, 0x7f, v40
	v_cmpx_ne_u32_e32 0x7f, v42
	s_cbranch_execz .LBB274_399
; %bb.396:                              ;   in Loop: Header=BB274_353 Depth=1
	v_and_b32_e32 v30, 7, v40
	v_lshrrev_b32_e32 v41, 3, v42
	s_mov_b32 s13, exec_lo
	v_cmpx_gt_u32_e32 8, v42
; %bb.397:                              ;   in Loop: Header=BB274_353 Depth=1
	s_delay_alu instid0(VALU_DEP_3) | instskip(NEXT) | instid1(VALU_DEP_1)
	v_clz_i32_u32_e32 v30, v30
	v_min_u32_e32 v30, 32, v30
	s_delay_alu instid0(VALU_DEP_1) | instskip(NEXT) | instid1(VALU_DEP_1)
	v_subrev_nc_u32_e32 v41, 28, v30
	v_lshlrev_b64_e32 v[42:43], v41, v[1:2]
	v_sub_nc_u32_e32 v41, 29, v30
	s_delay_alu instid0(VALU_DEP_2)
	v_and_b32_e32 v30, 7, v42
; %bb.398:                              ;   in Loop: Header=BB274_353 Depth=1
	s_or_b32 exec_lo, exec_lo, s13
	v_lshlrev_b32_e32 v1, 8, v40
	s_delay_alu instid0(VALU_DEP_3) | instskip(NEXT) | instid1(VALU_DEP_3)
	v_lshl_add_u32 v40, v41, 10, 0x2000
	v_lshlrev_b32_e32 v30, 23, v30
	s_delay_alu instid0(VALU_DEP_2) | instskip(NEXT) | instid1(VALU_DEP_1)
	v_and_or_b32 v1, 0x8000, v1, v40
	v_lshl_or_b32 v30, v1, 16, v30
.LBB274_399:                            ;   in Loop: Header=BB274_353 Depth=1
	s_wait_alu 0xfffe
	s_or_b32 exec_lo, exec_lo, s7
.LBB274_400:                            ;   in Loop: Header=BB274_353 Depth=1
	s_wait_alu 0xfffe
	s_or_b32 exec_lo, exec_lo, s6
.LBB274_401:                            ;   in Loop: Header=BB274_353 Depth=1
	s_wait_alu 0xfffe
	s_or_b32 exec_lo, exec_lo, s0
	v_lshrrev_b32_e32 v1, 16, v10
	s_mov_b32 s0, exec_lo
	s_delay_alu instid0(VALU_DEP_1) | instskip(NEXT) | instid1(VALU_DEP_1)
	v_and_b32_e32 v40, 0xff, v1
	v_cmpx_ne_u16_e32 0, v40
	s_cbranch_execz .LBB274_409
; %bb.402:                              ;   in Loop: Header=BB274_353 Depth=1
	v_mov_b32_e32 v39, 0x8000
	s_mov_b32 s6, exec_lo
	v_cmpx_ne_u16_e32 0x80, v40
	s_cbranch_execz .LBB274_408
; %bb.403:                              ;   in Loop: Header=BB274_353 Depth=1
	v_bfe_u32 v41, v10, 16, 7
	v_mov_b32_e32 v39, 0x7c01
	s_mov_b32 s7, exec_lo
	s_delay_alu instid0(VALU_DEP_2)
	v_cmpx_ne_u32_e32 0x7f, v41
	s_cbranch_execz .LBB274_407
; %bb.404:                              ;   in Loop: Header=BB274_353 Depth=1
	v_and_b32_e32 v39, 7, v1
	v_lshrrev_b32_e32 v40, 3, v41
	s_mov_b32 s13, exec_lo
	v_cmpx_gt_u32_e32 8, v41
; %bb.405:                              ;   in Loop: Header=BB274_353 Depth=1
	s_delay_alu instid0(VALU_DEP_3) | instskip(NEXT) | instid1(VALU_DEP_1)
	v_clz_i32_u32_e32 v39, v39
	v_min_u32_e32 v41, 32, v39
	s_delay_alu instid0(VALU_DEP_1) | instskip(NEXT) | instid1(VALU_DEP_1)
	v_subrev_nc_u32_e32 v39, 28, v41
	v_lshlrev_b64_e32 v[39:40], v39, v[1:2]
	v_sub_nc_u32_e32 v40, 29, v41
	s_delay_alu instid0(VALU_DEP_2)
	v_and_b32_e32 v39, 7, v39
; %bb.406:                              ;   in Loop: Header=BB274_353 Depth=1
	s_or_b32 exec_lo, exec_lo, s13
	v_lshlrev_b32_e32 v1, 8, v1
	s_delay_alu instid0(VALU_DEP_3) | instskip(NEXT) | instid1(VALU_DEP_3)
	v_lshl_add_u32 v40, v40, 10, 0x2000
	v_lshlrev_b32_e32 v39, 7, v39
	s_delay_alu instid0(VALU_DEP_3) | instskip(NEXT) | instid1(VALU_DEP_3)
	v_and_b32_e32 v1, 0x8000, v1
	v_and_b32_e32 v40, 0xfc00, v40
	s_delay_alu instid0(VALU_DEP_1)
	v_or3_b32 v39, v1, v40, v39
.LBB274_407:                            ;   in Loop: Header=BB274_353 Depth=1
	s_wait_alu 0xfffe
	s_or_b32 exec_lo, exec_lo, s7
.LBB274_408:                            ;   in Loop: Header=BB274_353 Depth=1
	s_wait_alu 0xfffe
	s_or_b32 exec_lo, exec_lo, s6
.LBB274_409:                            ;   in Loop: Header=BB274_353 Depth=1
	s_wait_alu 0xfffe
	s_or_b32 exec_lo, exec_lo, s0
	v_cmp_lt_u64_e32 vcc_lo, s[2:3], v[9:10]
	v_mov_b32_e32 v9, 0
	s_and_saveexec_b32 s0, vcc_lo
	s_cbranch_execz .LBB274_417
; %bb.410:                              ;   in Loop: Header=BB274_353 Depth=1
	v_lshrrev_b32_e32 v1, 24, v10
	v_bfrev_b32_e32 v9, 1
	s_mov_b32 s6, exec_lo
	s_delay_alu instid0(VALU_DEP_2)
	v_cmpx_ne_u32_e32 0x80, v1
	s_cbranch_execz .LBB274_416
; %bb.411:                              ;   in Loop: Header=BB274_353 Depth=1
	v_and_b32_e32 v40, 0x7f, v1
	v_mov_b32_e32 v9, 0x7c010000
	s_mov_b32 s7, exec_lo
	s_delay_alu instid0(VALU_DEP_2)
	v_cmpx_ne_u32_e32 0x7f, v40
	s_cbranch_execz .LBB274_415
; %bb.412:                              ;   in Loop: Header=BB274_353 Depth=1
	v_and_b32_e32 v9, 7, v1
	v_lshrrev_b32_e32 v10, 3, v40
	s_mov_b32 s13, exec_lo
	v_cmpx_gt_u32_e32 8, v40
; %bb.413:                              ;   in Loop: Header=BB274_353 Depth=1
	s_delay_alu instid0(VALU_DEP_3) | instskip(NEXT) | instid1(VALU_DEP_1)
	v_clz_i32_u32_e32 v9, v9
	v_min_u32_e32 v40, 32, v9
	s_delay_alu instid0(VALU_DEP_1) | instskip(NEXT) | instid1(VALU_DEP_1)
	v_subrev_nc_u32_e32 v9, 28, v40
	v_lshlrev_b64_e32 v[9:10], v9, v[1:2]
	v_sub_nc_u32_e32 v10, 29, v40
	s_delay_alu instid0(VALU_DEP_2)
	v_and_b32_e32 v9, 7, v9
; %bb.414:                              ;   in Loop: Header=BB274_353 Depth=1
	s_or_b32 exec_lo, exec_lo, s13
	v_lshlrev_b32_e32 v1, 8, v1
	s_delay_alu instid0(VALU_DEP_3) | instskip(NEXT) | instid1(VALU_DEP_3)
	v_lshl_add_u32 v10, v10, 10, 0x2000
	v_lshlrev_b32_e32 v9, 23, v9
	s_delay_alu instid0(VALU_DEP_2) | instskip(NEXT) | instid1(VALU_DEP_1)
	v_and_or_b32 v1, 0x8000, v1, v10
	v_lshl_or_b32 v9, v1, 16, v9
.LBB274_415:                            ;   in Loop: Header=BB274_353 Depth=1
	s_wait_alu 0xfffe
	s_or_b32 exec_lo, exec_lo, s7
.LBB274_416:                            ;   in Loop: Header=BB274_353 Depth=1
	s_wait_alu 0xfffe
	s_or_b32 exec_lo, exec_lo, s6
.LBB274_417:                            ;   in Loop: Header=BB274_353 Depth=1
	s_wait_alu 0xfffe
	s_or_b32 exec_lo, exec_lo, s0
	v_or_b32_e32 v1, v29, v15
	s_wait_loadcnt 0x0
	v_fma_mixlo_f16 v10, v25, v29, 0 op_sel:[0,1,0] op_sel_hi:[0,1,0]
	v_or_b32_e32 v26, v27, v26
	v_fma_mixlo_f16 v27, v25, v27, 0 op_sel:[0,1,0] op_sel_hi:[0,1,0]
	v_or_b32_e32 v28, v30, v28
	v_fma_mixlo_f16 v1, v25, v1, 0 op_sel_hi:[0,1,0]
	v_or_b32_e32 v29, v9, v39
	v_fma_mixlo_f16 v9, v25, v9, 0 op_sel:[0,1,0] op_sel_hi:[0,1,0]
	v_lshlrev_b32_e32 v45, 16, v27
	v_fma_mixlo_f16 v27, v25, v28, 0 op_sel_hi:[0,1,0]
	v_and_b32_e32 v42, 0xffff, v1
	v_fma_mixlo_f16 v1, v25, v26, 0 op_sel_hi:[0,1,0]
	v_fma_mixlo_f16 v26, v25, v30, 0 op_sel:[0,1,0] op_sel_hi:[0,1,0]
	v_fma_mixlo_f16 v25, v25, v29, 0 op_sel_hi:[0,1,0]
	v_lshlrev_b32_e32 v10, 16, v10
	v_and_b32_e32 v46, 0xffff, v27
	v_and_b32_e32 v47, 0xffff, v1
	v_lshlrev_b32_e32 v43, 16, v26
	v_lshlrev_b32_e32 v40, 16, v9
	v_and_b32_e32 v44, 0xffff, v25
	v_add_nc_u32_e32 v15, -7, v23
	v_cmp_eq_u32_e32 vcc_lo, s29, v14
	v_or_b32_e32 v1, v10, v42
	v_or_b32_e32 v9, v45, v47
	;; [unrolled: 1-line block ×4, first 2 shown]
	v_add_nc_u32_e32 v30, -6, v23
	v_add_nc_u32_e32 v29, -5, v23
	v_add_nc_u32_e32 v28, -4, v23
	v_add_nc_u32_e32 v27, -3, v23
	v_add_nc_u32_e32 v26, -2, v23
	v_add_nc_u32_e32 v25, -1, v23
	s_and_saveexec_b32 s6, vcc_lo
	s_cbranch_execz .LBB274_419
; %bb.418:                              ;   in Loop: Header=BB274_353 Depth=1
	v_cmp_gt_i32_e64 s0, s27, v15
	s_wait_alu 0xf1ff
	s_delay_alu instid0(VALU_DEP_1) | instskip(SKIP_2) | instid1(VALU_DEP_1)
	v_cndmask_b32_e64 v1, 0, v47, s0
	v_cmp_gt_i32_e64 s0, s27, v30
	s_wait_alu 0xf1ff
	v_cndmask_b32_e64 v9, 0, v45, s0
	v_cmp_gt_i32_e64 s0, s27, v29
	s_delay_alu instid0(VALU_DEP_2) | instskip(SKIP_1) | instid1(VALU_DEP_2)
	v_or_b32_e32 v9, v9, v1
	s_wait_alu 0xf1ff
	v_cndmask_b32_e64 v39, 0, v42, s0
	v_cmp_gt_i32_e64 s0, s27, v28
	s_wait_alu 0xf1ff
	s_delay_alu instid0(VALU_DEP_1) | instskip(SKIP_1) | instid1(VALU_DEP_2)
	v_cndmask_b32_e64 v10, 0, v10, s0
	v_cmp_gt_i32_e64 s0, s27, v27
	v_or_b32_e32 v1, v10, v39
	s_wait_alu 0xf1ff
	s_delay_alu instid0(VALU_DEP_2) | instskip(SKIP_2) | instid1(VALU_DEP_1)
	v_cndmask_b32_e64 v41, 0, v46, s0
	v_cmp_gt_i32_e64 s0, s27, v26
	s_wait_alu 0xf1ff
	v_cndmask_b32_e64 v42, 0, v43, s0
	v_cmp_gt_i32_e64 s0, s27, v25
	s_delay_alu instid0(VALU_DEP_2) | instskip(SKIP_1) | instid1(VALU_DEP_2)
	v_or_b32_e32 v39, v42, v41
	s_wait_alu 0xf1ff
	v_cndmask_b32_e64 v43, 0, v44, s0
	v_cmp_gt_i32_e64 s0, s27, v23
	s_wait_alu 0xf1ff
	s_delay_alu instid0(VALU_DEP_1) | instskip(NEXT) | instid1(VALU_DEP_1)
	v_cndmask_b32_e64 v40, 0, v40, s0
	v_or_b32_e32 v41, v40, v43
.LBB274_419:                            ;   in Loop: Header=BB274_353 Depth=1
	s_wait_alu 0xfffe
	s_or_b32 exec_lo, exec_lo, s6
	v_and_b32_e32 v10, 0xffff, v31
	v_and_b32_e32 v31, 0xffff, v34
	;; [unrolled: 1-line block ×4, first 2 shown]
	s_mov_b32 s6, exec_lo
	v_lshl_or_b32 v35, v32, 16, v10
	v_lshl_or_b32 v34, v33, 16, v31
	;;#ASMSTART
	v_pk_mul_f16 v9, v35, v9;

	;;#ASMEND
	;;#ASMSTART
	v_pk_mul_f16 v1, v34, v1;

	;;#ASMEND
	v_lshl_or_b32 v32, v36, 16, v40
	v_lshl_or_b32 v31, v37, 16, v38
	;;#ASMSTART
	v_pk_mul_f16 v10, v32, v39;

	;;#ASMEND
	;;#ASMSTART
	v_pk_mul_f16 v33, v31, v41;

	;;#ASMEND
	;;#ASMSTART
	v_pk_add_f16 v1, v9, v1;

	;;#ASMEND
	;;#ASMSTART
	v_pk_add_f16 v1, v1, v10;
	;; [unrolled: 4-line block ×3, first 2 shown]

	;;#ASMEND
	v_and_b32_e32 v9, 0xffff, v1
	v_lshrrev_b32_e32 v1, 16, v1
	;;#ASMSTART
	v_cvt_f32_f16 v33, v9;
	;;#ASMEND
	;;#ASMSTART
	v_cvt_f32_f16 v36, v1;
	;;#ASMEND
	global_load_b64 v[9:10], v[7:8], off offset:256
	v_dual_mov_b32 v38, 0 :: v_dual_mov_b32 v39, 0
	global_load_b32 v37, v38, s[10:11]
	s_wait_loadcnt 0x1
	v_and_b32_e32 v1, 0xff, v9
	s_delay_alu instid0(VALU_DEP_1)
	v_cmpx_ne_u16_e32 0, v1
	s_cbranch_execz .LBB274_427
; %bb.420:                              ;   in Loop: Header=BB274_353 Depth=1
	v_mov_b32_e32 v39, 0x8000
	s_mov_b32 s7, exec_lo
	v_cmpx_ne_u16_e32 0x80, v1
	s_cbranch_execz .LBB274_426
; %bb.421:                              ;   in Loop: Header=BB274_353 Depth=1
	v_and_b32_e32 v40, 0x7f, v9
	v_mov_b32_e32 v39, 0x7c01
	s_mov_b32 s13, exec_lo
	s_delay_alu instid0(VALU_DEP_2)
	v_cmpx_ne_u32_e32 0x7f, v40
	s_cbranch_execz .LBB274_425
; %bb.422:                              ;   in Loop: Header=BB274_353 Depth=1
	v_and_b32_e32 v1, 7, v9
	v_lshrrev_b32_e32 v39, 3, v40
	s_mov_b32 s14, exec_lo
	v_cmpx_gt_u32_e32 8, v40
; %bb.423:                              ;   in Loop: Header=BB274_353 Depth=1
	s_delay_alu instid0(VALU_DEP_3) | instskip(NEXT) | instid1(VALU_DEP_1)
	v_clz_i32_u32_e32 v1, v1
	v_min_u32_e32 v1, 32, v1
	s_delay_alu instid0(VALU_DEP_1) | instskip(NEXT) | instid1(VALU_DEP_1)
	v_subrev_nc_u32_e32 v39, 28, v1
	v_lshlrev_b64_e32 v[40:41], v39, v[9:10]
	v_sub_nc_u32_e32 v39, 29, v1
	s_delay_alu instid0(VALU_DEP_2)
	v_and_b32_e32 v1, 7, v40
; %bb.424:                              ;   in Loop: Header=BB274_353 Depth=1
	s_wait_alu 0xfffe
	s_or_b32 exec_lo, exec_lo, s14
	v_lshlrev_b32_e32 v40, 8, v9
	v_lshl_add_u32 v39, v39, 10, 0x2000
	v_lshlrev_b32_e32 v1, 7, v1
	s_delay_alu instid0(VALU_DEP_3) | instskip(NEXT) | instid1(VALU_DEP_3)
	v_and_b32_e32 v40, 0x8000, v40
	v_and_b32_e32 v39, 0xfc00, v39
	s_delay_alu instid0(VALU_DEP_1)
	v_or3_b32 v39, v40, v39, v1
.LBB274_425:                            ;   in Loop: Header=BB274_353 Depth=1
	s_or_b32 exec_lo, exec_lo, s13
.LBB274_426:                            ;   in Loop: Header=BB274_353 Depth=1
	s_wait_alu 0xfffe
	s_or_b32 exec_lo, exec_lo, s7
.LBB274_427:                            ;   in Loop: Header=BB274_353 Depth=1
	s_wait_alu 0xfffe
	s_or_b32 exec_lo, exec_lo, s6
	v_lshrrev_b16 v1, 8, v9
	s_mov_b32 s6, exec_lo
	s_delay_alu instid0(VALU_DEP_1)
	v_cmpx_ne_u16_e32 0, v1
	s_cbranch_execz .LBB274_435
; %bb.428:                              ;   in Loop: Header=BB274_353 Depth=1
	v_bfrev_b32_e32 v38, 1
	s_mov_b32 s7, exec_lo
	v_cmpx_ne_u16_e32 0x80, v1
	s_cbranch_execz .LBB274_434
; %bb.429:                              ;   in Loop: Header=BB274_353 Depth=1
	v_and_b32_e32 v40, 0xffff, v1
	v_mov_b32_e32 v38, 0x7c010000
	s_mov_b32 s13, exec_lo
	s_delay_alu instid0(VALU_DEP_2) | instskip(NEXT) | instid1(VALU_DEP_1)
	v_and_b32_e32 v42, 0x7f, v40
	v_cmpx_ne_u32_e32 0x7f, v42
	s_cbranch_execz .LBB274_433
; %bb.430:                              ;   in Loop: Header=BB274_353 Depth=1
	v_and_b32_e32 v38, 7, v40
	v_lshrrev_b32_e32 v41, 3, v42
	s_mov_b32 s14, exec_lo
	v_cmpx_gt_u32_e32 8, v42
; %bb.431:                              ;   in Loop: Header=BB274_353 Depth=1
	s_delay_alu instid0(VALU_DEP_3) | instskip(NEXT) | instid1(VALU_DEP_1)
	v_clz_i32_u32_e32 v38, v38
	v_min_u32_e32 v38, 32, v38
	s_delay_alu instid0(VALU_DEP_1) | instskip(NEXT) | instid1(VALU_DEP_1)
	v_subrev_nc_u32_e32 v41, 28, v38
	v_lshlrev_b64_e32 v[42:43], v41, v[1:2]
	v_sub_nc_u32_e32 v41, 29, v38
	s_delay_alu instid0(VALU_DEP_2)
	v_and_b32_e32 v38, 7, v42
; %bb.432:                              ;   in Loop: Header=BB274_353 Depth=1
	s_wait_alu 0xfffe
	s_or_b32 exec_lo, exec_lo, s14
	v_lshlrev_b32_e32 v1, 8, v40
	v_lshl_add_u32 v40, v41, 10, 0x2000
	v_lshlrev_b32_e32 v38, 23, v38
	s_delay_alu instid0(VALU_DEP_2) | instskip(NEXT) | instid1(VALU_DEP_1)
	v_and_or_b32 v1, 0x8000, v1, v40
	v_lshl_or_b32 v38, v1, 16, v38
.LBB274_433:                            ;   in Loop: Header=BB274_353 Depth=1
	s_or_b32 exec_lo, exec_lo, s13
.LBB274_434:                            ;   in Loop: Header=BB274_353 Depth=1
	s_wait_alu 0xfffe
	s_or_b32 exec_lo, exec_lo, s7
.LBB274_435:                            ;   in Loop: Header=BB274_353 Depth=1
	s_wait_alu 0xfffe
	s_or_b32 exec_lo, exec_lo, s6
	v_lshrrev_b32_e32 v1, 16, v9
	v_mov_b32_e32 v40, 0
	s_mov_b32 s6, exec_lo
	s_delay_alu instid0(VALU_DEP_2) | instskip(NEXT) | instid1(VALU_DEP_1)
	v_dual_mov_b32 v41, 0 :: v_dual_and_b32 v42, 0xff, v1
	v_cmpx_ne_u16_e32 0, v42
	s_cbranch_execz .LBB274_443
; %bb.436:                              ;   in Loop: Header=BB274_353 Depth=1
	v_mov_b32_e32 v41, 0x8000
	s_mov_b32 s7, exec_lo
	v_cmpx_ne_u16_e32 0x80, v42
	s_cbranch_execz .LBB274_442
; %bb.437:                              ;   in Loop: Header=BB274_353 Depth=1
	v_bfe_u32 v43, v9, 16, 7
	v_mov_b32_e32 v41, 0x7c01
	s_mov_b32 s13, exec_lo
	s_delay_alu instid0(VALU_DEP_2)
	v_cmpx_ne_u32_e32 0x7f, v43
	s_cbranch_execz .LBB274_441
; %bb.438:                              ;   in Loop: Header=BB274_353 Depth=1
	v_and_b32_e32 v41, 7, v1
	v_lshrrev_b32_e32 v42, 3, v43
	s_mov_b32 s14, exec_lo
	v_cmpx_gt_u32_e32 8, v43
; %bb.439:                              ;   in Loop: Header=BB274_353 Depth=1
	s_delay_alu instid0(VALU_DEP_3) | instskip(NEXT) | instid1(VALU_DEP_1)
	v_clz_i32_u32_e32 v41, v41
	v_min_u32_e32 v43, 32, v41
	s_delay_alu instid0(VALU_DEP_1) | instskip(NEXT) | instid1(VALU_DEP_1)
	v_subrev_nc_u32_e32 v41, 28, v43
	v_lshlrev_b64_e32 v[41:42], v41, v[1:2]
	v_sub_nc_u32_e32 v42, 29, v43
	s_delay_alu instid0(VALU_DEP_2)
	v_and_b32_e32 v41, 7, v41
; %bb.440:                              ;   in Loop: Header=BB274_353 Depth=1
	s_wait_alu 0xfffe
	s_or_b32 exec_lo, exec_lo, s14
	v_lshlrev_b32_e32 v1, 8, v1
	v_lshl_add_u32 v42, v42, 10, 0x2000
	v_lshlrev_b32_e32 v41, 7, v41
	s_delay_alu instid0(VALU_DEP_3) | instskip(NEXT) | instid1(VALU_DEP_3)
	v_and_b32_e32 v1, 0x8000, v1
	v_and_b32_e32 v42, 0xfc00, v42
	s_delay_alu instid0(VALU_DEP_1)
	v_or3_b32 v41, v1, v42, v41
.LBB274_441:                            ;   in Loop: Header=BB274_353 Depth=1
	s_or_b32 exec_lo, exec_lo, s13
.LBB274_442:                            ;   in Loop: Header=BB274_353 Depth=1
	s_wait_alu 0xfffe
	s_or_b32 exec_lo, exec_lo, s7
.LBB274_443:                            ;   in Loop: Header=BB274_353 Depth=1
	s_wait_alu 0xfffe
	s_or_b32 exec_lo, exec_lo, s6
	s_delay_alu instid0(SALU_CYCLE_1)
	s_mov_b32 s6, exec_lo
	v_cmpx_lt_u32_e32 0xffffff, v9
	s_cbranch_execz .LBB274_451
; %bb.444:                              ;   in Loop: Header=BB274_353 Depth=1
	v_lshrrev_b32_e32 v1, 24, v9
	v_bfrev_b32_e32 v40, 1
	s_mov_b32 s7, exec_lo
	s_delay_alu instid0(VALU_DEP_2)
	v_cmpx_ne_u32_e32 0x80, v1
	s_cbranch_execz .LBB274_450
; %bb.445:                              ;   in Loop: Header=BB274_353 Depth=1
	v_and_b32_e32 v43, 0x7f, v1
	v_mov_b32_e32 v40, 0x7c010000
	s_mov_b32 s13, exec_lo
	s_delay_alu instid0(VALU_DEP_2)
	v_cmpx_ne_u32_e32 0x7f, v43
	s_cbranch_execz .LBB274_449
; %bb.446:                              ;   in Loop: Header=BB274_353 Depth=1
	v_and_b32_e32 v40, 7, v1
	v_lshrrev_b32_e32 v42, 3, v43
	s_mov_b32 s14, exec_lo
	v_cmpx_gt_u32_e32 8, v43
; %bb.447:                              ;   in Loop: Header=BB274_353 Depth=1
	s_delay_alu instid0(VALU_DEP_3) | instskip(NEXT) | instid1(VALU_DEP_1)
	v_clz_i32_u32_e32 v40, v40
	v_min_u32_e32 v40, 32, v40
	s_delay_alu instid0(VALU_DEP_1) | instskip(NEXT) | instid1(VALU_DEP_1)
	v_subrev_nc_u32_e32 v42, 28, v40
	v_lshlrev_b64_e32 v[43:44], v42, v[1:2]
	v_sub_nc_u32_e32 v42, 29, v40
	s_delay_alu instid0(VALU_DEP_2)
	v_and_b32_e32 v40, 7, v43
; %bb.448:                              ;   in Loop: Header=BB274_353 Depth=1
	s_wait_alu 0xfffe
	s_or_b32 exec_lo, exec_lo, s14
	v_lshlrev_b32_e32 v1, 8, v1
	v_lshl_add_u32 v42, v42, 10, 0x2000
	v_lshlrev_b32_e32 v40, 23, v40
	s_delay_alu instid0(VALU_DEP_2) | instskip(NEXT) | instid1(VALU_DEP_1)
	v_and_or_b32 v1, 0x8000, v1, v42
	v_lshl_or_b32 v40, v1, 16, v40
.LBB274_449:                            ;   in Loop: Header=BB274_353 Depth=1
	s_or_b32 exec_lo, exec_lo, s13
.LBB274_450:                            ;   in Loop: Header=BB274_353 Depth=1
	s_wait_alu 0xfffe
	s_or_b32 exec_lo, exec_lo, s7
.LBB274_451:                            ;   in Loop: Header=BB274_353 Depth=1
	s_wait_alu 0xfffe
	s_or_b32 exec_lo, exec_lo, s6
	v_dual_mov_b32 v1, v10 :: v_dual_and_b32 v44, 0xff, v10
	v_dual_mov_b32 v42, 0 :: v_dual_mov_b32 v43, 0
	s_mov_b32 s6, exec_lo
	s_delay_alu instid0(VALU_DEP_2)
	v_cmpx_ne_u16_e32 0, v44
	s_cbranch_execz .LBB274_459
; %bb.452:                              ;   in Loop: Header=BB274_353 Depth=1
	v_mov_b32_e32 v43, 0x8000
	s_mov_b32 s7, exec_lo
	v_cmpx_ne_u16_e32 0x80, v44
	s_cbranch_execz .LBB274_458
; %bb.453:                              ;   in Loop: Header=BB274_353 Depth=1
	v_and_b32_e32 v45, 0x7f, v10
	v_mov_b32_e32 v43, 0x7c01
	s_mov_b32 s13, exec_lo
	s_delay_alu instid0(VALU_DEP_2)
	v_cmpx_ne_u32_e32 0x7f, v45
	s_cbranch_execz .LBB274_457
; %bb.454:                              ;   in Loop: Header=BB274_353 Depth=1
	v_and_b32_e32 v43, 7, v10
	v_lshrrev_b32_e32 v44, 3, v45
	s_mov_b32 s14, exec_lo
	v_cmpx_gt_u32_e32 8, v45
; %bb.455:                              ;   in Loop: Header=BB274_353 Depth=1
	s_delay_alu instid0(VALU_DEP_3) | instskip(NEXT) | instid1(VALU_DEP_1)
	v_clz_i32_u32_e32 v43, v43
	v_min_u32_e32 v45, 32, v43
	s_delay_alu instid0(VALU_DEP_1) | instskip(NEXT) | instid1(VALU_DEP_1)
	v_subrev_nc_u32_e32 v43, 28, v45
	v_lshlrev_b64_e32 v[43:44], v43, v[1:2]
	v_sub_nc_u32_e32 v44, 29, v45
	s_delay_alu instid0(VALU_DEP_2)
	v_and_b32_e32 v43, 7, v43
; %bb.456:                              ;   in Loop: Header=BB274_353 Depth=1
	s_wait_alu 0xfffe
	s_or_b32 exec_lo, exec_lo, s14
	v_lshlrev_b32_e32 v45, 8, v10
	v_lshl_add_u32 v44, v44, 10, 0x2000
	v_lshlrev_b32_e32 v43, 7, v43
	s_delay_alu instid0(VALU_DEP_3) | instskip(NEXT) | instid1(VALU_DEP_3)
	v_and_b32_e32 v45, 0x8000, v45
	v_and_b32_e32 v44, 0xfc00, v44
	s_delay_alu instid0(VALU_DEP_1)
	v_or3_b32 v43, v45, v44, v43
.LBB274_457:                            ;   in Loop: Header=BB274_353 Depth=1
	s_or_b32 exec_lo, exec_lo, s13
.LBB274_458:                            ;   in Loop: Header=BB274_353 Depth=1
	s_wait_alu 0xfffe
	s_or_b32 exec_lo, exec_lo, s7
.LBB274_459:                            ;   in Loop: Header=BB274_353 Depth=1
	s_wait_alu 0xfffe
	s_or_b32 exec_lo, exec_lo, s6
	v_lshrrev_b16 v1, 8, v1
	v_mov_b32_e32 v44, 0
	s_mov_b32 s6, exec_lo
	s_delay_alu instid0(VALU_DEP_2)
	v_cmpx_ne_u16_e32 0, v1
	s_cbranch_execz .LBB274_467
; %bb.460:                              ;   in Loop: Header=BB274_353 Depth=1
	v_bfrev_b32_e32 v44, 1
	s_mov_b32 s7, exec_lo
	v_cmpx_ne_u16_e32 0x80, v1
	s_cbranch_execz .LBB274_466
; %bb.461:                              ;   in Loop: Header=BB274_353 Depth=1
	v_and_b32_e32 v45, 0xffff, v1
	v_mov_b32_e32 v44, 0x7c010000
	s_mov_b32 s13, exec_lo
	s_delay_alu instid0(VALU_DEP_2) | instskip(NEXT) | instid1(VALU_DEP_1)
	v_and_b32_e32 v47, 0x7f, v45
	v_cmpx_ne_u32_e32 0x7f, v47
	s_cbranch_execz .LBB274_465
; %bb.462:                              ;   in Loop: Header=BB274_353 Depth=1
	v_and_b32_e32 v44, 7, v45
	v_lshrrev_b32_e32 v46, 3, v47
	s_mov_b32 s14, exec_lo
	v_cmpx_gt_u32_e32 8, v47
; %bb.463:                              ;   in Loop: Header=BB274_353 Depth=1
	s_delay_alu instid0(VALU_DEP_3) | instskip(NEXT) | instid1(VALU_DEP_1)
	v_clz_i32_u32_e32 v44, v44
	v_min_u32_e32 v44, 32, v44
	s_delay_alu instid0(VALU_DEP_1) | instskip(NEXT) | instid1(VALU_DEP_1)
	v_subrev_nc_u32_e32 v46, 28, v44
	v_lshlrev_b64_e32 v[47:48], v46, v[1:2]
	v_sub_nc_u32_e32 v46, 29, v44
	s_delay_alu instid0(VALU_DEP_2)
	v_and_b32_e32 v44, 7, v47
; %bb.464:                              ;   in Loop: Header=BB274_353 Depth=1
	s_wait_alu 0xfffe
	s_or_b32 exec_lo, exec_lo, s14
	v_lshlrev_b32_e32 v1, 8, v45
	v_lshl_add_u32 v45, v46, 10, 0x2000
	v_lshlrev_b32_e32 v44, 23, v44
	s_delay_alu instid0(VALU_DEP_2) | instskip(NEXT) | instid1(VALU_DEP_1)
	v_and_or_b32 v1, 0x8000, v1, v45
	v_lshl_or_b32 v44, v1, 16, v44
.LBB274_465:                            ;   in Loop: Header=BB274_353 Depth=1
	s_or_b32 exec_lo, exec_lo, s13
.LBB274_466:                            ;   in Loop: Header=BB274_353 Depth=1
	s_wait_alu 0xfffe
	s_or_b32 exec_lo, exec_lo, s7
.LBB274_467:                            ;   in Loop: Header=BB274_353 Depth=1
	s_wait_alu 0xfffe
	s_or_b32 exec_lo, exec_lo, s6
	v_lshrrev_b32_e32 v1, 16, v10
	s_mov_b32 s6, exec_lo
	s_delay_alu instid0(VALU_DEP_1) | instskip(NEXT) | instid1(VALU_DEP_1)
	v_and_b32_e32 v45, 0xff, v1
	v_cmpx_ne_u16_e32 0, v45
	s_cbranch_execz .LBB274_475
; %bb.468:                              ;   in Loop: Header=BB274_353 Depth=1
	v_mov_b32_e32 v42, 0x8000
	s_mov_b32 s7, exec_lo
	v_cmpx_ne_u16_e32 0x80, v45
	s_cbranch_execz .LBB274_474
; %bb.469:                              ;   in Loop: Header=BB274_353 Depth=1
	v_bfe_u32 v46, v10, 16, 7
	v_mov_b32_e32 v42, 0x7c01
	s_mov_b32 s13, exec_lo
	s_delay_alu instid0(VALU_DEP_2)
	v_cmpx_ne_u32_e32 0x7f, v46
	s_cbranch_execz .LBB274_473
; %bb.470:                              ;   in Loop: Header=BB274_353 Depth=1
	v_and_b32_e32 v42, 7, v1
	v_lshrrev_b32_e32 v45, 3, v46
	s_mov_b32 s14, exec_lo
	v_cmpx_gt_u32_e32 8, v46
; %bb.471:                              ;   in Loop: Header=BB274_353 Depth=1
	s_delay_alu instid0(VALU_DEP_3) | instskip(NEXT) | instid1(VALU_DEP_1)
	v_clz_i32_u32_e32 v42, v42
	v_min_u32_e32 v42, 32, v42
	s_delay_alu instid0(VALU_DEP_1) | instskip(NEXT) | instid1(VALU_DEP_1)
	v_subrev_nc_u32_e32 v45, 28, v42
	v_lshlrev_b64_e32 v[46:47], v45, v[1:2]
	v_sub_nc_u32_e32 v45, 29, v42
	s_delay_alu instid0(VALU_DEP_2)
	v_and_b32_e32 v42, 7, v46
; %bb.472:                              ;   in Loop: Header=BB274_353 Depth=1
	s_wait_alu 0xfffe
	s_or_b32 exec_lo, exec_lo, s14
	v_lshlrev_b32_e32 v1, 8, v1
	v_lshl_add_u32 v45, v45, 10, 0x2000
	v_lshlrev_b32_e32 v42, 7, v42
	s_delay_alu instid0(VALU_DEP_3) | instskip(NEXT) | instid1(VALU_DEP_3)
	v_and_b32_e32 v1, 0x8000, v1
	v_and_b32_e32 v45, 0xfc00, v45
	s_delay_alu instid0(VALU_DEP_1)
	v_or3_b32 v42, v1, v45, v42
.LBB274_473:                            ;   in Loop: Header=BB274_353 Depth=1
	s_or_b32 exec_lo, exec_lo, s13
.LBB274_474:                            ;   in Loop: Header=BB274_353 Depth=1
	s_wait_alu 0xfffe
	s_or_b32 exec_lo, exec_lo, s7
.LBB274_475:                            ;   in Loop: Header=BB274_353 Depth=1
	s_wait_alu 0xfffe
	s_or_b32 exec_lo, exec_lo, s6
	v_cmp_lt_u64_e64 s0, s[2:3], v[9:10]
	v_mov_b32_e32 v9, 0
	s_and_saveexec_b32 s6, s0
	s_cbranch_execz .LBB274_483
; %bb.476:                              ;   in Loop: Header=BB274_353 Depth=1
	v_lshrrev_b32_e32 v1, 24, v10
	v_bfrev_b32_e32 v9, 1
	s_mov_b32 s7, exec_lo
	s_delay_alu instid0(VALU_DEP_2)
	v_cmpx_ne_u32_e32 0x80, v1
	s_cbranch_execz .LBB274_482
; %bb.477:                              ;   in Loop: Header=BB274_353 Depth=1
	v_and_b32_e32 v45, 0x7f, v1
	v_mov_b32_e32 v9, 0x7c010000
	s_mov_b32 s13, exec_lo
	s_delay_alu instid0(VALU_DEP_2)
	v_cmpx_ne_u32_e32 0x7f, v45
	s_cbranch_execz .LBB274_481
; %bb.478:                              ;   in Loop: Header=BB274_353 Depth=1
	v_and_b32_e32 v9, 7, v1
	v_lshrrev_b32_e32 v10, 3, v45
	s_mov_b32 s14, exec_lo
	v_cmpx_gt_u32_e32 8, v45
; %bb.479:                              ;   in Loop: Header=BB274_353 Depth=1
	s_delay_alu instid0(VALU_DEP_3) | instskip(NEXT) | instid1(VALU_DEP_1)
	v_clz_i32_u32_e32 v9, v9
	v_min_u32_e32 v45, 32, v9
	s_delay_alu instid0(VALU_DEP_1) | instskip(NEXT) | instid1(VALU_DEP_1)
	v_subrev_nc_u32_e32 v9, 28, v45
	v_lshlrev_b64_e32 v[9:10], v9, v[1:2]
	v_sub_nc_u32_e32 v10, 29, v45
	s_delay_alu instid0(VALU_DEP_2)
	v_and_b32_e32 v9, 7, v9
; %bb.480:                              ;   in Loop: Header=BB274_353 Depth=1
	s_wait_alu 0xfffe
	s_or_b32 exec_lo, exec_lo, s14
	v_lshlrev_b32_e32 v1, 8, v1
	v_lshl_add_u32 v10, v10, 10, 0x2000
	v_lshlrev_b32_e32 v9, 23, v9
	s_delay_alu instid0(VALU_DEP_2) | instskip(NEXT) | instid1(VALU_DEP_1)
	v_and_or_b32 v1, 0x8000, v1, v10
	v_lshl_or_b32 v9, v1, 16, v9
.LBB274_481:                            ;   in Loop: Header=BB274_353 Depth=1
	s_or_b32 exec_lo, exec_lo, s13
.LBB274_482:                            ;   in Loop: Header=BB274_353 Depth=1
	s_wait_alu 0xfffe
	s_or_b32 exec_lo, exec_lo, s7
.LBB274_483:                            ;   in Loop: Header=BB274_353 Depth=1
	s_wait_alu 0xfffe
	s_or_b32 exec_lo, exec_lo, s6
	v_or_b32_e32 v1, v40, v41
	s_wait_loadcnt 0x0
	v_fma_mixlo_f16 v10, v37, v40, 0 op_sel:[0,1,0] op_sel_hi:[0,1,0]
	v_or_b32_e32 v40, v38, v39
	v_fma_mixlo_f16 v38, v37, v38, 0 op_sel:[0,1,0] op_sel_hi:[0,1,0]
	v_or_b32_e32 v41, v44, v43
	v_or_b32_e32 v42, v9, v42
	v_fma_mixlo_f16 v43, v37, v1, 0 op_sel_hi:[0,1,0]
	v_fma_mixlo_f16 v9, v37, v9, 0 op_sel:[0,1,0] op_sel_hi:[0,1,0]
	v_lshlrev_b32_e32 v39, 16, v38
	v_fma_mixlo_f16 v38, v37, v40, 0 op_sel_hi:[0,1,0]
	v_fma_mixlo_f16 v40, v37, v44, 0 op_sel:[0,1,0] op_sel_hi:[0,1,0]
	v_fma_mixlo_f16 v41, v37, v41, 0 op_sel_hi:[0,1,0]
	v_fma_mixlo_f16 v42, v37, v42, 0 op_sel_hi:[0,1,0]
	v_lshlrev_b32_e32 v1, 16, v10
	v_and_b32_e32 v10, 0xffff, v43
	v_and_b32_e32 v45, 0xffff, v38
	v_lshlrev_b32_e32 v37, 16, v40
	v_and_b32_e32 v41, 0xffff, v41
	v_lshlrev_b32_e32 v9, 16, v9
	v_and_b32_e32 v38, 0xffff, v42
	v_or_b32_e32 v40, v1, v10
	v_or_b32_e32 v44, v39, v45
	v_or_b32_e32 v43, v37, v41
	s_delay_alu instid0(VALU_DEP_4)
	v_or_b32_e32 v42, v9, v38
	s_and_saveexec_b32 s6, vcc_lo
	s_cbranch_execz .LBB274_485
; %bb.484:                              ;   in Loop: Header=BB274_353 Depth=1
	v_cmp_gt_i32_e64 s0, s27, v15
	s_wait_alu 0xf1ff
	s_delay_alu instid0(VALU_DEP_1) | instskip(SKIP_2) | instid1(VALU_DEP_1)
	v_cndmask_b32_e64 v40, 0, v45, s0
	v_cmp_gt_i32_e64 s0, s27, v30
	s_wait_alu 0xf1ff
	v_cndmask_b32_e64 v39, 0, v39, s0
	v_cmp_gt_i32_e64 s0, s27, v29
	s_delay_alu instid0(VALU_DEP_2) | instskip(SKIP_1) | instid1(VALU_DEP_2)
	v_or_b32_e32 v44, v39, v40
	s_wait_alu 0xf1ff
	v_cndmask_b32_e64 v10, 0, v10, s0
	v_cmp_gt_i32_e64 s0, s27, v28
	s_wait_alu 0xf1ff
	s_delay_alu instid0(VALU_DEP_1) | instskip(SKIP_1) | instid1(VALU_DEP_2)
	v_cndmask_b32_e64 v1, 0, v1, s0
	v_cmp_gt_i32_e64 s0, s27, v27
	v_or_b32_e32 v40, v1, v10
	s_wait_alu 0xf1ff
	s_delay_alu instid0(VALU_DEP_2) | instskip(SKIP_2) | instid1(VALU_DEP_1)
	v_cndmask_b32_e64 v41, 0, v41, s0
	v_cmp_gt_i32_e64 s0, s27, v26
	s_wait_alu 0xf1ff
	v_cndmask_b32_e64 v37, 0, v37, s0
	v_cmp_gt_i32_e64 s0, s27, v25
	s_delay_alu instid0(VALU_DEP_2) | instskip(SKIP_1) | instid1(VALU_DEP_2)
	v_or_b32_e32 v43, v37, v41
	s_wait_alu 0xf1ff
	v_cndmask_b32_e64 v38, 0, v38, s0
	v_cmp_gt_i32_e64 s0, s27, v23
	s_wait_alu 0xf1ff
	s_delay_alu instid0(VALU_DEP_1) | instskip(NEXT) | instid1(VALU_DEP_1)
	v_cndmask_b32_e64 v9, 0, v9, s0
	v_or_b32_e32 v42, v9, v38
.LBB274_485:                            ;   in Loop: Header=BB274_353 Depth=1
	s_wait_alu 0xfffe
	s_or_b32 exec_lo, exec_lo, s6
	;;#ASMSTART
	v_pk_mul_f16 v1, v35, v44;

	;;#ASMEND
	;;#ASMSTART
	v_pk_mul_f16 v9, v34, v40;

	;;#ASMEND
	;; [unrolled: 4-line block ×4, first 2 shown]
	;;#ASMSTART
	v_pk_add_f16 v1, v1, v9;

	;;#ASMEND
	;;#ASMSTART
	v_pk_add_f16 v1, v1, v10;

	;;#ASMEND
	;; [unrolled: 4-line block ×3, first 2 shown]
	v_dual_mov_b32 v40, 0 :: v_dual_and_b32 v9, 0xffff, v1
	v_lshrrev_b32_e32 v1, 16, v1
	;;#ASMSTART
	v_cvt_f32_f16 v37, v9;
	;;#ASMEND
	;;#ASMSTART
	v_cvt_f32_f16 v38, v1;
	;;#ASMEND
	global_load_b64 v[9:10], v[7:8], off offset:512
	global_load_b32 v39, v40, s[10:11]
	v_mov_b32_e32 v41, 0
	s_mov_b32 s6, exec_lo
	s_wait_loadcnt 0x1
	v_and_b32_e32 v1, 0xff, v9
	s_delay_alu instid0(VALU_DEP_1)
	v_cmpx_ne_u16_e32 0, v1
	s_cbranch_execz .LBB274_493
; %bb.486:                              ;   in Loop: Header=BB274_353 Depth=1
	v_mov_b32_e32 v41, 0x8000
	s_mov_b32 s7, exec_lo
	v_cmpx_ne_u16_e32 0x80, v1
	s_cbranch_execz .LBB274_492
; %bb.487:                              ;   in Loop: Header=BB274_353 Depth=1
	v_and_b32_e32 v42, 0x7f, v9
	v_mov_b32_e32 v41, 0x7c01
	s_mov_b32 s13, exec_lo
	s_delay_alu instid0(VALU_DEP_2)
	v_cmpx_ne_u32_e32 0x7f, v42
	s_cbranch_execz .LBB274_491
; %bb.488:                              ;   in Loop: Header=BB274_353 Depth=1
	v_and_b32_e32 v1, 7, v9
	v_lshrrev_b32_e32 v41, 3, v42
	s_mov_b32 s14, exec_lo
	v_cmpx_gt_u32_e32 8, v42
; %bb.489:                              ;   in Loop: Header=BB274_353 Depth=1
	s_delay_alu instid0(VALU_DEP_3) | instskip(NEXT) | instid1(VALU_DEP_1)
	v_clz_i32_u32_e32 v1, v1
	v_min_u32_e32 v1, 32, v1
	s_delay_alu instid0(VALU_DEP_1) | instskip(NEXT) | instid1(VALU_DEP_1)
	v_subrev_nc_u32_e32 v41, 28, v1
	v_lshlrev_b64_e32 v[42:43], v41, v[9:10]
	v_sub_nc_u32_e32 v41, 29, v1
	s_delay_alu instid0(VALU_DEP_2)
	v_and_b32_e32 v1, 7, v42
; %bb.490:                              ;   in Loop: Header=BB274_353 Depth=1
	s_wait_alu 0xfffe
	s_or_b32 exec_lo, exec_lo, s14
	v_lshlrev_b32_e32 v42, 8, v9
	v_lshl_add_u32 v41, v41, 10, 0x2000
	v_lshlrev_b32_e32 v1, 7, v1
	s_delay_alu instid0(VALU_DEP_3) | instskip(NEXT) | instid1(VALU_DEP_3)
	v_and_b32_e32 v42, 0x8000, v42
	v_and_b32_e32 v41, 0xfc00, v41
	s_delay_alu instid0(VALU_DEP_1)
	v_or3_b32 v41, v42, v41, v1
.LBB274_491:                            ;   in Loop: Header=BB274_353 Depth=1
	s_or_b32 exec_lo, exec_lo, s13
.LBB274_492:                            ;   in Loop: Header=BB274_353 Depth=1
	s_wait_alu 0xfffe
	s_or_b32 exec_lo, exec_lo, s7
.LBB274_493:                            ;   in Loop: Header=BB274_353 Depth=1
	s_wait_alu 0xfffe
	s_or_b32 exec_lo, exec_lo, s6
	v_lshrrev_b16 v1, 8, v9
	s_mov_b32 s6, exec_lo
	s_delay_alu instid0(VALU_DEP_1)
	v_cmpx_ne_u16_e32 0, v1
	s_cbranch_execz .LBB274_501
; %bb.494:                              ;   in Loop: Header=BB274_353 Depth=1
	v_bfrev_b32_e32 v40, 1
	s_mov_b32 s7, exec_lo
	v_cmpx_ne_u16_e32 0x80, v1
	s_cbranch_execz .LBB274_500
; %bb.495:                              ;   in Loop: Header=BB274_353 Depth=1
	v_and_b32_e32 v42, 0xffff, v1
	v_mov_b32_e32 v40, 0x7c010000
	s_mov_b32 s13, exec_lo
	s_delay_alu instid0(VALU_DEP_2) | instskip(NEXT) | instid1(VALU_DEP_1)
	v_and_b32_e32 v44, 0x7f, v42
	v_cmpx_ne_u32_e32 0x7f, v44
	s_cbranch_execz .LBB274_499
; %bb.496:                              ;   in Loop: Header=BB274_353 Depth=1
	v_and_b32_e32 v40, 7, v42
	v_lshrrev_b32_e32 v43, 3, v44
	s_mov_b32 s14, exec_lo
	v_cmpx_gt_u32_e32 8, v44
; %bb.497:                              ;   in Loop: Header=BB274_353 Depth=1
	s_delay_alu instid0(VALU_DEP_3) | instskip(NEXT) | instid1(VALU_DEP_1)
	v_clz_i32_u32_e32 v40, v40
	v_min_u32_e32 v40, 32, v40
	s_delay_alu instid0(VALU_DEP_1) | instskip(NEXT) | instid1(VALU_DEP_1)
	v_subrev_nc_u32_e32 v43, 28, v40
	v_lshlrev_b64_e32 v[44:45], v43, v[1:2]
	v_sub_nc_u32_e32 v43, 29, v40
	s_delay_alu instid0(VALU_DEP_2)
	v_and_b32_e32 v40, 7, v44
; %bb.498:                              ;   in Loop: Header=BB274_353 Depth=1
	s_wait_alu 0xfffe
	s_or_b32 exec_lo, exec_lo, s14
	v_lshlrev_b32_e32 v1, 8, v42
	v_lshl_add_u32 v42, v43, 10, 0x2000
	v_lshlrev_b32_e32 v40, 23, v40
	s_delay_alu instid0(VALU_DEP_2) | instskip(NEXT) | instid1(VALU_DEP_1)
	v_and_or_b32 v1, 0x8000, v1, v42
	v_lshl_or_b32 v40, v1, 16, v40
.LBB274_499:                            ;   in Loop: Header=BB274_353 Depth=1
	s_or_b32 exec_lo, exec_lo, s13
.LBB274_500:                            ;   in Loop: Header=BB274_353 Depth=1
	s_wait_alu 0xfffe
	s_or_b32 exec_lo, exec_lo, s7
.LBB274_501:                            ;   in Loop: Header=BB274_353 Depth=1
	s_wait_alu 0xfffe
	s_or_b32 exec_lo, exec_lo, s6
	v_lshrrev_b32_e32 v1, 16, v9
	v_mov_b32_e32 v42, 0
	s_mov_b32 s6, exec_lo
	s_delay_alu instid0(VALU_DEP_2) | instskip(NEXT) | instid1(VALU_DEP_1)
	v_dual_mov_b32 v43, 0 :: v_dual_and_b32 v44, 0xff, v1
	v_cmpx_ne_u16_e32 0, v44
	s_cbranch_execz .LBB274_509
; %bb.502:                              ;   in Loop: Header=BB274_353 Depth=1
	v_mov_b32_e32 v43, 0x8000
	s_mov_b32 s7, exec_lo
	v_cmpx_ne_u16_e32 0x80, v44
	s_cbranch_execz .LBB274_508
; %bb.503:                              ;   in Loop: Header=BB274_353 Depth=1
	v_bfe_u32 v45, v9, 16, 7
	v_mov_b32_e32 v43, 0x7c01
	s_mov_b32 s13, exec_lo
	s_delay_alu instid0(VALU_DEP_2)
	v_cmpx_ne_u32_e32 0x7f, v45
	s_cbranch_execz .LBB274_507
; %bb.504:                              ;   in Loop: Header=BB274_353 Depth=1
	v_and_b32_e32 v43, 7, v1
	v_lshrrev_b32_e32 v44, 3, v45
	s_mov_b32 s14, exec_lo
	v_cmpx_gt_u32_e32 8, v45
; %bb.505:                              ;   in Loop: Header=BB274_353 Depth=1
	s_delay_alu instid0(VALU_DEP_3) | instskip(NEXT) | instid1(VALU_DEP_1)
	v_clz_i32_u32_e32 v43, v43
	v_min_u32_e32 v45, 32, v43
	s_delay_alu instid0(VALU_DEP_1) | instskip(NEXT) | instid1(VALU_DEP_1)
	v_subrev_nc_u32_e32 v43, 28, v45
	v_lshlrev_b64_e32 v[43:44], v43, v[1:2]
	v_sub_nc_u32_e32 v44, 29, v45
	s_delay_alu instid0(VALU_DEP_2)
	v_and_b32_e32 v43, 7, v43
; %bb.506:                              ;   in Loop: Header=BB274_353 Depth=1
	s_wait_alu 0xfffe
	s_or_b32 exec_lo, exec_lo, s14
	v_lshlrev_b32_e32 v1, 8, v1
	v_lshl_add_u32 v44, v44, 10, 0x2000
	v_lshlrev_b32_e32 v43, 7, v43
	s_delay_alu instid0(VALU_DEP_3) | instskip(NEXT) | instid1(VALU_DEP_3)
	v_and_b32_e32 v1, 0x8000, v1
	v_and_b32_e32 v44, 0xfc00, v44
	s_delay_alu instid0(VALU_DEP_1)
	v_or3_b32 v43, v1, v44, v43
.LBB274_507:                            ;   in Loop: Header=BB274_353 Depth=1
	s_or_b32 exec_lo, exec_lo, s13
.LBB274_508:                            ;   in Loop: Header=BB274_353 Depth=1
	s_wait_alu 0xfffe
	s_or_b32 exec_lo, exec_lo, s7
.LBB274_509:                            ;   in Loop: Header=BB274_353 Depth=1
	s_wait_alu 0xfffe
	s_or_b32 exec_lo, exec_lo, s6
	s_delay_alu instid0(SALU_CYCLE_1)
	s_mov_b32 s6, exec_lo
	v_cmpx_lt_u32_e32 0xffffff, v9
	s_cbranch_execz .LBB274_517
; %bb.510:                              ;   in Loop: Header=BB274_353 Depth=1
	v_lshrrev_b32_e32 v1, 24, v9
	v_bfrev_b32_e32 v42, 1
	s_mov_b32 s7, exec_lo
	s_delay_alu instid0(VALU_DEP_2)
	v_cmpx_ne_u32_e32 0x80, v1
	s_cbranch_execz .LBB274_516
; %bb.511:                              ;   in Loop: Header=BB274_353 Depth=1
	v_and_b32_e32 v45, 0x7f, v1
	v_mov_b32_e32 v42, 0x7c010000
	s_mov_b32 s13, exec_lo
	s_delay_alu instid0(VALU_DEP_2)
	v_cmpx_ne_u32_e32 0x7f, v45
	s_cbranch_execz .LBB274_515
; %bb.512:                              ;   in Loop: Header=BB274_353 Depth=1
	v_and_b32_e32 v42, 7, v1
	v_lshrrev_b32_e32 v44, 3, v45
	s_mov_b32 s14, exec_lo
	v_cmpx_gt_u32_e32 8, v45
; %bb.513:                              ;   in Loop: Header=BB274_353 Depth=1
	s_delay_alu instid0(VALU_DEP_3) | instskip(NEXT) | instid1(VALU_DEP_1)
	v_clz_i32_u32_e32 v42, v42
	v_min_u32_e32 v42, 32, v42
	s_delay_alu instid0(VALU_DEP_1) | instskip(NEXT) | instid1(VALU_DEP_1)
	v_subrev_nc_u32_e32 v44, 28, v42
	v_lshlrev_b64_e32 v[45:46], v44, v[1:2]
	v_sub_nc_u32_e32 v44, 29, v42
	s_delay_alu instid0(VALU_DEP_2)
	v_and_b32_e32 v42, 7, v45
; %bb.514:                              ;   in Loop: Header=BB274_353 Depth=1
	s_wait_alu 0xfffe
	s_or_b32 exec_lo, exec_lo, s14
	v_lshlrev_b32_e32 v1, 8, v1
	v_lshl_add_u32 v44, v44, 10, 0x2000
	v_lshlrev_b32_e32 v42, 23, v42
	s_delay_alu instid0(VALU_DEP_2) | instskip(NEXT) | instid1(VALU_DEP_1)
	v_and_or_b32 v1, 0x8000, v1, v44
	v_lshl_or_b32 v42, v1, 16, v42
.LBB274_515:                            ;   in Loop: Header=BB274_353 Depth=1
	s_or_b32 exec_lo, exec_lo, s13
.LBB274_516:                            ;   in Loop: Header=BB274_353 Depth=1
	s_wait_alu 0xfffe
	s_or_b32 exec_lo, exec_lo, s7
.LBB274_517:                            ;   in Loop: Header=BB274_353 Depth=1
	s_wait_alu 0xfffe
	s_or_b32 exec_lo, exec_lo, s6
	v_dual_mov_b32 v1, v10 :: v_dual_and_b32 v46, 0xff, v10
	v_dual_mov_b32 v44, 0 :: v_dual_mov_b32 v45, 0
	s_mov_b32 s6, exec_lo
	s_delay_alu instid0(VALU_DEP_2)
	v_cmpx_ne_u16_e32 0, v46
	s_cbranch_execz .LBB274_525
; %bb.518:                              ;   in Loop: Header=BB274_353 Depth=1
	v_mov_b32_e32 v45, 0x8000
	s_mov_b32 s7, exec_lo
	v_cmpx_ne_u16_e32 0x80, v46
	s_cbranch_execz .LBB274_524
; %bb.519:                              ;   in Loop: Header=BB274_353 Depth=1
	v_and_b32_e32 v47, 0x7f, v10
	v_mov_b32_e32 v45, 0x7c01
	s_mov_b32 s13, exec_lo
	s_delay_alu instid0(VALU_DEP_2)
	v_cmpx_ne_u32_e32 0x7f, v47
	s_cbranch_execz .LBB274_523
; %bb.520:                              ;   in Loop: Header=BB274_353 Depth=1
	v_and_b32_e32 v45, 7, v10
	v_lshrrev_b32_e32 v46, 3, v47
	s_mov_b32 s14, exec_lo
	v_cmpx_gt_u32_e32 8, v47
; %bb.521:                              ;   in Loop: Header=BB274_353 Depth=1
	s_delay_alu instid0(VALU_DEP_3) | instskip(NEXT) | instid1(VALU_DEP_1)
	v_clz_i32_u32_e32 v45, v45
	v_min_u32_e32 v47, 32, v45
	s_delay_alu instid0(VALU_DEP_1) | instskip(NEXT) | instid1(VALU_DEP_1)
	v_subrev_nc_u32_e32 v45, 28, v47
	v_lshlrev_b64_e32 v[45:46], v45, v[1:2]
	v_sub_nc_u32_e32 v46, 29, v47
	s_delay_alu instid0(VALU_DEP_2)
	v_and_b32_e32 v45, 7, v45
; %bb.522:                              ;   in Loop: Header=BB274_353 Depth=1
	s_wait_alu 0xfffe
	s_or_b32 exec_lo, exec_lo, s14
	v_lshlrev_b32_e32 v47, 8, v10
	v_lshl_add_u32 v46, v46, 10, 0x2000
	v_lshlrev_b32_e32 v45, 7, v45
	s_delay_alu instid0(VALU_DEP_3) | instskip(NEXT) | instid1(VALU_DEP_3)
	v_and_b32_e32 v47, 0x8000, v47
	v_and_b32_e32 v46, 0xfc00, v46
	s_delay_alu instid0(VALU_DEP_1)
	v_or3_b32 v45, v47, v46, v45
.LBB274_523:                            ;   in Loop: Header=BB274_353 Depth=1
	s_or_b32 exec_lo, exec_lo, s13
.LBB274_524:                            ;   in Loop: Header=BB274_353 Depth=1
	s_wait_alu 0xfffe
	s_or_b32 exec_lo, exec_lo, s7
.LBB274_525:                            ;   in Loop: Header=BB274_353 Depth=1
	s_wait_alu 0xfffe
	s_or_b32 exec_lo, exec_lo, s6
	v_lshrrev_b16 v1, 8, v1
	v_mov_b32_e32 v46, 0
	s_mov_b32 s6, exec_lo
	s_delay_alu instid0(VALU_DEP_2)
	v_cmpx_ne_u16_e32 0, v1
	s_cbranch_execz .LBB274_533
; %bb.526:                              ;   in Loop: Header=BB274_353 Depth=1
	v_bfrev_b32_e32 v46, 1
	s_mov_b32 s7, exec_lo
	v_cmpx_ne_u16_e32 0x80, v1
	s_cbranch_execz .LBB274_532
; %bb.527:                              ;   in Loop: Header=BB274_353 Depth=1
	v_and_b32_e32 v47, 0xffff, v1
	v_mov_b32_e32 v46, 0x7c010000
	s_mov_b32 s13, exec_lo
	s_delay_alu instid0(VALU_DEP_2) | instskip(NEXT) | instid1(VALU_DEP_1)
	v_and_b32_e32 v49, 0x7f, v47
	v_cmpx_ne_u32_e32 0x7f, v49
	s_cbranch_execz .LBB274_531
; %bb.528:                              ;   in Loop: Header=BB274_353 Depth=1
	v_and_b32_e32 v46, 7, v47
	v_lshrrev_b32_e32 v48, 3, v49
	s_mov_b32 s14, exec_lo
	v_cmpx_gt_u32_e32 8, v49
; %bb.529:                              ;   in Loop: Header=BB274_353 Depth=1
	s_delay_alu instid0(VALU_DEP_3) | instskip(NEXT) | instid1(VALU_DEP_1)
	v_clz_i32_u32_e32 v46, v46
	v_min_u32_e32 v46, 32, v46
	s_delay_alu instid0(VALU_DEP_1) | instskip(NEXT) | instid1(VALU_DEP_1)
	v_subrev_nc_u32_e32 v48, 28, v46
	v_lshlrev_b64_e32 v[49:50], v48, v[1:2]
	v_sub_nc_u32_e32 v48, 29, v46
	s_delay_alu instid0(VALU_DEP_2)
	v_and_b32_e32 v46, 7, v49
; %bb.530:                              ;   in Loop: Header=BB274_353 Depth=1
	s_wait_alu 0xfffe
	s_or_b32 exec_lo, exec_lo, s14
	v_lshlrev_b32_e32 v1, 8, v47
	v_lshl_add_u32 v47, v48, 10, 0x2000
	v_lshlrev_b32_e32 v46, 23, v46
	s_delay_alu instid0(VALU_DEP_2) | instskip(NEXT) | instid1(VALU_DEP_1)
	v_and_or_b32 v1, 0x8000, v1, v47
	v_lshl_or_b32 v46, v1, 16, v46
.LBB274_531:                            ;   in Loop: Header=BB274_353 Depth=1
	s_or_b32 exec_lo, exec_lo, s13
.LBB274_532:                            ;   in Loop: Header=BB274_353 Depth=1
	s_wait_alu 0xfffe
	s_or_b32 exec_lo, exec_lo, s7
.LBB274_533:                            ;   in Loop: Header=BB274_353 Depth=1
	s_wait_alu 0xfffe
	s_or_b32 exec_lo, exec_lo, s6
	v_lshrrev_b32_e32 v1, 16, v10
	s_mov_b32 s6, exec_lo
	s_delay_alu instid0(VALU_DEP_1) | instskip(NEXT) | instid1(VALU_DEP_1)
	v_and_b32_e32 v47, 0xff, v1
	v_cmpx_ne_u16_e32 0, v47
	s_cbranch_execz .LBB274_541
; %bb.534:                              ;   in Loop: Header=BB274_353 Depth=1
	v_mov_b32_e32 v44, 0x8000
	s_mov_b32 s7, exec_lo
	v_cmpx_ne_u16_e32 0x80, v47
	s_cbranch_execz .LBB274_540
; %bb.535:                              ;   in Loop: Header=BB274_353 Depth=1
	v_bfe_u32 v48, v10, 16, 7
	v_mov_b32_e32 v44, 0x7c01
	s_mov_b32 s13, exec_lo
	s_delay_alu instid0(VALU_DEP_2)
	v_cmpx_ne_u32_e32 0x7f, v48
	s_cbranch_execz .LBB274_539
; %bb.536:                              ;   in Loop: Header=BB274_353 Depth=1
	v_and_b32_e32 v44, 7, v1
	v_lshrrev_b32_e32 v47, 3, v48
	s_mov_b32 s14, exec_lo
	v_cmpx_gt_u32_e32 8, v48
; %bb.537:                              ;   in Loop: Header=BB274_353 Depth=1
	s_delay_alu instid0(VALU_DEP_3) | instskip(NEXT) | instid1(VALU_DEP_1)
	v_clz_i32_u32_e32 v44, v44
	v_min_u32_e32 v44, 32, v44
	s_delay_alu instid0(VALU_DEP_1) | instskip(NEXT) | instid1(VALU_DEP_1)
	v_subrev_nc_u32_e32 v47, 28, v44
	v_lshlrev_b64_e32 v[48:49], v47, v[1:2]
	v_sub_nc_u32_e32 v47, 29, v44
	s_delay_alu instid0(VALU_DEP_2)
	v_and_b32_e32 v44, 7, v48
; %bb.538:                              ;   in Loop: Header=BB274_353 Depth=1
	s_wait_alu 0xfffe
	s_or_b32 exec_lo, exec_lo, s14
	v_lshlrev_b32_e32 v1, 8, v1
	v_lshl_add_u32 v47, v47, 10, 0x2000
	v_lshlrev_b32_e32 v44, 7, v44
	s_delay_alu instid0(VALU_DEP_3) | instskip(NEXT) | instid1(VALU_DEP_3)
	v_and_b32_e32 v1, 0x8000, v1
	v_and_b32_e32 v47, 0xfc00, v47
	s_delay_alu instid0(VALU_DEP_1)
	v_or3_b32 v44, v1, v47, v44
.LBB274_539:                            ;   in Loop: Header=BB274_353 Depth=1
	s_or_b32 exec_lo, exec_lo, s13
.LBB274_540:                            ;   in Loop: Header=BB274_353 Depth=1
	s_wait_alu 0xfffe
	s_or_b32 exec_lo, exec_lo, s7
.LBB274_541:                            ;   in Loop: Header=BB274_353 Depth=1
	s_wait_alu 0xfffe
	s_or_b32 exec_lo, exec_lo, s6
	v_cmp_lt_u64_e64 s0, s[2:3], v[9:10]
	v_mov_b32_e32 v9, 0
	s_and_saveexec_b32 s6, s0
	s_cbranch_execz .LBB274_549
; %bb.542:                              ;   in Loop: Header=BB274_353 Depth=1
	v_lshrrev_b32_e32 v1, 24, v10
	v_bfrev_b32_e32 v9, 1
	s_mov_b32 s7, exec_lo
	s_delay_alu instid0(VALU_DEP_2)
	v_cmpx_ne_u32_e32 0x80, v1
	s_cbranch_execz .LBB274_548
; %bb.543:                              ;   in Loop: Header=BB274_353 Depth=1
	v_and_b32_e32 v47, 0x7f, v1
	v_mov_b32_e32 v9, 0x7c010000
	s_mov_b32 s13, exec_lo
	s_delay_alu instid0(VALU_DEP_2)
	v_cmpx_ne_u32_e32 0x7f, v47
	s_cbranch_execz .LBB274_547
; %bb.544:                              ;   in Loop: Header=BB274_353 Depth=1
	v_and_b32_e32 v9, 7, v1
	v_lshrrev_b32_e32 v10, 3, v47
	s_mov_b32 s14, exec_lo
	v_cmpx_gt_u32_e32 8, v47
; %bb.545:                              ;   in Loop: Header=BB274_353 Depth=1
	s_delay_alu instid0(VALU_DEP_3) | instskip(NEXT) | instid1(VALU_DEP_1)
	v_clz_i32_u32_e32 v9, v9
	v_min_u32_e32 v47, 32, v9
	s_delay_alu instid0(VALU_DEP_1) | instskip(NEXT) | instid1(VALU_DEP_1)
	v_subrev_nc_u32_e32 v9, 28, v47
	v_lshlrev_b64_e32 v[9:10], v9, v[1:2]
	v_sub_nc_u32_e32 v10, 29, v47
	s_delay_alu instid0(VALU_DEP_2)
	v_and_b32_e32 v9, 7, v9
; %bb.546:                              ;   in Loop: Header=BB274_353 Depth=1
	s_wait_alu 0xfffe
	s_or_b32 exec_lo, exec_lo, s14
	v_lshlrev_b32_e32 v1, 8, v1
	v_lshl_add_u32 v10, v10, 10, 0x2000
	v_lshlrev_b32_e32 v9, 23, v9
	s_delay_alu instid0(VALU_DEP_2) | instskip(NEXT) | instid1(VALU_DEP_1)
	v_and_or_b32 v1, 0x8000, v1, v10
	v_lshl_or_b32 v9, v1, 16, v9
.LBB274_547:                            ;   in Loop: Header=BB274_353 Depth=1
	s_or_b32 exec_lo, exec_lo, s13
.LBB274_548:                            ;   in Loop: Header=BB274_353 Depth=1
	s_wait_alu 0xfffe
	s_or_b32 exec_lo, exec_lo, s7
.LBB274_549:                            ;   in Loop: Header=BB274_353 Depth=1
	s_wait_alu 0xfffe
	s_or_b32 exec_lo, exec_lo, s6
	v_or_b32_e32 v1, v42, v43
	s_wait_loadcnt 0x0
	v_fma_mixlo_f16 v10, v39, v42, 0 op_sel:[0,1,0] op_sel_hi:[0,1,0]
	v_or_b32_e32 v42, v40, v41
	v_fma_mixlo_f16 v40, v39, v40, 0 op_sel:[0,1,0] op_sel_hi:[0,1,0]
	v_or_b32_e32 v43, v46, v45
	v_or_b32_e32 v44, v9, v44
	v_fma_mixlo_f16 v45, v39, v1, 0 op_sel_hi:[0,1,0]
	v_fma_mixlo_f16 v9, v39, v9, 0 op_sel:[0,1,0] op_sel_hi:[0,1,0]
	v_lshlrev_b32_e32 v41, 16, v40
	v_fma_mixlo_f16 v40, v39, v42, 0 op_sel_hi:[0,1,0]
	v_fma_mixlo_f16 v42, v39, v46, 0 op_sel:[0,1,0] op_sel_hi:[0,1,0]
	v_fma_mixlo_f16 v43, v39, v43, 0 op_sel_hi:[0,1,0]
	v_fma_mixlo_f16 v44, v39, v44, 0 op_sel_hi:[0,1,0]
	v_lshlrev_b32_e32 v1, 16, v10
	v_and_b32_e32 v10, 0xffff, v45
	v_and_b32_e32 v47, 0xffff, v40
	v_lshlrev_b32_e32 v39, 16, v42
	v_and_b32_e32 v43, 0xffff, v43
	v_lshlrev_b32_e32 v9, 16, v9
	v_and_b32_e32 v40, 0xffff, v44
	v_or_b32_e32 v42, v1, v10
	v_or_b32_e32 v46, v41, v47
	;; [unrolled: 1-line block ×3, first 2 shown]
	s_delay_alu instid0(VALU_DEP_4)
	v_or_b32_e32 v44, v9, v40
	s_and_saveexec_b32 s6, vcc_lo
	s_cbranch_execz .LBB274_551
; %bb.550:                              ;   in Loop: Header=BB274_353 Depth=1
	v_cmp_gt_i32_e64 s0, s27, v15
	s_wait_alu 0xf1ff
	s_delay_alu instid0(VALU_DEP_1) | instskip(SKIP_2) | instid1(VALU_DEP_1)
	v_cndmask_b32_e64 v42, 0, v47, s0
	v_cmp_gt_i32_e64 s0, s27, v30
	s_wait_alu 0xf1ff
	v_cndmask_b32_e64 v41, 0, v41, s0
	v_cmp_gt_i32_e64 s0, s27, v29
	s_delay_alu instid0(VALU_DEP_2) | instskip(SKIP_1) | instid1(VALU_DEP_2)
	v_or_b32_e32 v46, v41, v42
	s_wait_alu 0xf1ff
	v_cndmask_b32_e64 v10, 0, v10, s0
	v_cmp_gt_i32_e64 s0, s27, v28
	s_wait_alu 0xf1ff
	s_delay_alu instid0(VALU_DEP_1) | instskip(SKIP_1) | instid1(VALU_DEP_2)
	v_cndmask_b32_e64 v1, 0, v1, s0
	v_cmp_gt_i32_e64 s0, s27, v27
	v_or_b32_e32 v42, v1, v10
	s_wait_alu 0xf1ff
	s_delay_alu instid0(VALU_DEP_2) | instskip(SKIP_2) | instid1(VALU_DEP_1)
	v_cndmask_b32_e64 v43, 0, v43, s0
	v_cmp_gt_i32_e64 s0, s27, v26
	s_wait_alu 0xf1ff
	v_cndmask_b32_e64 v39, 0, v39, s0
	v_cmp_gt_i32_e64 s0, s27, v25
	s_delay_alu instid0(VALU_DEP_2) | instskip(SKIP_1) | instid1(VALU_DEP_2)
	v_or_b32_e32 v45, v39, v43
	s_wait_alu 0xf1ff
	v_cndmask_b32_e64 v40, 0, v40, s0
	v_cmp_gt_i32_e64 s0, s27, v23
	s_wait_alu 0xf1ff
	s_delay_alu instid0(VALU_DEP_1) | instskip(NEXT) | instid1(VALU_DEP_1)
	v_cndmask_b32_e64 v9, 0, v9, s0
	v_or_b32_e32 v44, v9, v40
.LBB274_551:                            ;   in Loop: Header=BB274_353 Depth=1
	s_wait_alu 0xfffe
	s_or_b32 exec_lo, exec_lo, s6
	;;#ASMSTART
	v_pk_mul_f16 v1, v35, v46;

	;;#ASMEND
	;;#ASMSTART
	v_pk_mul_f16 v9, v34, v42;

	;;#ASMEND
	;; [unrolled: 4-line block ×4, first 2 shown]
	;;#ASMSTART
	v_pk_add_f16 v1, v1, v9;

	;;#ASMEND
	;;#ASMSTART
	v_pk_add_f16 v1, v1, v10;

	;;#ASMEND
	;; [unrolled: 4-line block ×3, first 2 shown]
	v_dual_mov_b32 v42, 0 :: v_dual_and_b32 v9, 0xffff, v1
	v_lshrrev_b32_e32 v1, 16, v1
	;;#ASMSTART
	v_cvt_f32_f16 v39, v9;
	;;#ASMEND
	;;#ASMSTART
	v_cvt_f32_f16 v40, v1;
	;;#ASMEND
	global_load_b64 v[9:10], v[7:8], off offset:768
	global_load_b32 v41, v42, s[10:11]
	v_mov_b32_e32 v43, 0
	s_mov_b32 s6, exec_lo
	s_wait_loadcnt 0x1
	v_and_b32_e32 v1, 0xff, v9
	s_delay_alu instid0(VALU_DEP_1)
	v_cmpx_ne_u16_e32 0, v1
	s_cbranch_execz .LBB274_559
; %bb.552:                              ;   in Loop: Header=BB274_353 Depth=1
	v_mov_b32_e32 v43, 0x8000
	s_mov_b32 s7, exec_lo
	v_cmpx_ne_u16_e32 0x80, v1
	s_cbranch_execz .LBB274_558
; %bb.553:                              ;   in Loop: Header=BB274_353 Depth=1
	v_and_b32_e32 v44, 0x7f, v9
	v_mov_b32_e32 v43, 0x7c01
	s_mov_b32 s13, exec_lo
	s_delay_alu instid0(VALU_DEP_2)
	v_cmpx_ne_u32_e32 0x7f, v44
	s_cbranch_execz .LBB274_557
; %bb.554:                              ;   in Loop: Header=BB274_353 Depth=1
	v_and_b32_e32 v1, 7, v9
	v_lshrrev_b32_e32 v43, 3, v44
	s_mov_b32 s14, exec_lo
	v_cmpx_gt_u32_e32 8, v44
; %bb.555:                              ;   in Loop: Header=BB274_353 Depth=1
	s_delay_alu instid0(VALU_DEP_3) | instskip(NEXT) | instid1(VALU_DEP_1)
	v_clz_i32_u32_e32 v1, v1
	v_min_u32_e32 v1, 32, v1
	s_delay_alu instid0(VALU_DEP_1) | instskip(NEXT) | instid1(VALU_DEP_1)
	v_subrev_nc_u32_e32 v43, 28, v1
	v_lshlrev_b64_e32 v[44:45], v43, v[9:10]
	v_sub_nc_u32_e32 v43, 29, v1
	s_delay_alu instid0(VALU_DEP_2)
	v_and_b32_e32 v1, 7, v44
; %bb.556:                              ;   in Loop: Header=BB274_353 Depth=1
	s_wait_alu 0xfffe
	s_or_b32 exec_lo, exec_lo, s14
	v_lshlrev_b32_e32 v44, 8, v9
	v_lshl_add_u32 v43, v43, 10, 0x2000
	v_lshlrev_b32_e32 v1, 7, v1
	s_delay_alu instid0(VALU_DEP_3) | instskip(NEXT) | instid1(VALU_DEP_3)
	v_and_b32_e32 v44, 0x8000, v44
	v_and_b32_e32 v43, 0xfc00, v43
	s_delay_alu instid0(VALU_DEP_1)
	v_or3_b32 v43, v44, v43, v1
.LBB274_557:                            ;   in Loop: Header=BB274_353 Depth=1
	s_or_b32 exec_lo, exec_lo, s13
.LBB274_558:                            ;   in Loop: Header=BB274_353 Depth=1
	s_wait_alu 0xfffe
	s_or_b32 exec_lo, exec_lo, s7
.LBB274_559:                            ;   in Loop: Header=BB274_353 Depth=1
	s_wait_alu 0xfffe
	s_or_b32 exec_lo, exec_lo, s6
	v_lshrrev_b16 v1, 8, v9
	s_mov_b32 s6, exec_lo
	s_delay_alu instid0(VALU_DEP_1)
	v_cmpx_ne_u16_e32 0, v1
	s_cbranch_execz .LBB274_567
; %bb.560:                              ;   in Loop: Header=BB274_353 Depth=1
	v_bfrev_b32_e32 v42, 1
	s_mov_b32 s7, exec_lo
	v_cmpx_ne_u16_e32 0x80, v1
	s_cbranch_execz .LBB274_566
; %bb.561:                              ;   in Loop: Header=BB274_353 Depth=1
	v_and_b32_e32 v44, 0xffff, v1
	v_mov_b32_e32 v42, 0x7c010000
	s_mov_b32 s13, exec_lo
	s_delay_alu instid0(VALU_DEP_2) | instskip(NEXT) | instid1(VALU_DEP_1)
	v_and_b32_e32 v46, 0x7f, v44
	v_cmpx_ne_u32_e32 0x7f, v46
	s_cbranch_execz .LBB274_565
; %bb.562:                              ;   in Loop: Header=BB274_353 Depth=1
	v_and_b32_e32 v42, 7, v44
	v_lshrrev_b32_e32 v45, 3, v46
	s_mov_b32 s14, exec_lo
	v_cmpx_gt_u32_e32 8, v46
; %bb.563:                              ;   in Loop: Header=BB274_353 Depth=1
	s_delay_alu instid0(VALU_DEP_3) | instskip(NEXT) | instid1(VALU_DEP_1)
	v_clz_i32_u32_e32 v42, v42
	v_min_u32_e32 v42, 32, v42
	s_delay_alu instid0(VALU_DEP_1) | instskip(NEXT) | instid1(VALU_DEP_1)
	v_subrev_nc_u32_e32 v45, 28, v42
	v_lshlrev_b64_e32 v[46:47], v45, v[1:2]
	v_sub_nc_u32_e32 v45, 29, v42
	s_delay_alu instid0(VALU_DEP_2)
	v_and_b32_e32 v42, 7, v46
; %bb.564:                              ;   in Loop: Header=BB274_353 Depth=1
	s_wait_alu 0xfffe
	s_or_b32 exec_lo, exec_lo, s14
	v_lshlrev_b32_e32 v1, 8, v44
	v_lshl_add_u32 v44, v45, 10, 0x2000
	v_lshlrev_b32_e32 v42, 23, v42
	s_delay_alu instid0(VALU_DEP_2) | instskip(NEXT) | instid1(VALU_DEP_1)
	v_and_or_b32 v1, 0x8000, v1, v44
	v_lshl_or_b32 v42, v1, 16, v42
.LBB274_565:                            ;   in Loop: Header=BB274_353 Depth=1
	s_or_b32 exec_lo, exec_lo, s13
.LBB274_566:                            ;   in Loop: Header=BB274_353 Depth=1
	s_wait_alu 0xfffe
	s_or_b32 exec_lo, exec_lo, s7
.LBB274_567:                            ;   in Loop: Header=BB274_353 Depth=1
	s_wait_alu 0xfffe
	s_or_b32 exec_lo, exec_lo, s6
	v_lshrrev_b32_e32 v1, 16, v9
	v_mov_b32_e32 v44, 0
	s_mov_b32 s6, exec_lo
	s_delay_alu instid0(VALU_DEP_2) | instskip(NEXT) | instid1(VALU_DEP_1)
	v_dual_mov_b32 v45, 0 :: v_dual_and_b32 v46, 0xff, v1
	v_cmpx_ne_u16_e32 0, v46
	s_cbranch_execz .LBB274_575
; %bb.568:                              ;   in Loop: Header=BB274_353 Depth=1
	v_mov_b32_e32 v45, 0x8000
	s_mov_b32 s7, exec_lo
	v_cmpx_ne_u16_e32 0x80, v46
	s_cbranch_execz .LBB274_574
; %bb.569:                              ;   in Loop: Header=BB274_353 Depth=1
	v_bfe_u32 v47, v9, 16, 7
	v_mov_b32_e32 v45, 0x7c01
	s_mov_b32 s13, exec_lo
	s_delay_alu instid0(VALU_DEP_2)
	v_cmpx_ne_u32_e32 0x7f, v47
	s_cbranch_execz .LBB274_573
; %bb.570:                              ;   in Loop: Header=BB274_353 Depth=1
	v_and_b32_e32 v45, 7, v1
	v_lshrrev_b32_e32 v46, 3, v47
	s_mov_b32 s14, exec_lo
	v_cmpx_gt_u32_e32 8, v47
; %bb.571:                              ;   in Loop: Header=BB274_353 Depth=1
	s_delay_alu instid0(VALU_DEP_3) | instskip(NEXT) | instid1(VALU_DEP_1)
	v_clz_i32_u32_e32 v45, v45
	v_min_u32_e32 v47, 32, v45
	s_delay_alu instid0(VALU_DEP_1) | instskip(NEXT) | instid1(VALU_DEP_1)
	v_subrev_nc_u32_e32 v45, 28, v47
	v_lshlrev_b64_e32 v[45:46], v45, v[1:2]
	v_sub_nc_u32_e32 v46, 29, v47
	s_delay_alu instid0(VALU_DEP_2)
	v_and_b32_e32 v45, 7, v45
; %bb.572:                              ;   in Loop: Header=BB274_353 Depth=1
	s_wait_alu 0xfffe
	s_or_b32 exec_lo, exec_lo, s14
	v_lshlrev_b32_e32 v1, 8, v1
	v_lshl_add_u32 v46, v46, 10, 0x2000
	v_lshlrev_b32_e32 v45, 7, v45
	s_delay_alu instid0(VALU_DEP_3) | instskip(NEXT) | instid1(VALU_DEP_3)
	v_and_b32_e32 v1, 0x8000, v1
	v_and_b32_e32 v46, 0xfc00, v46
	s_delay_alu instid0(VALU_DEP_1)
	v_or3_b32 v45, v1, v46, v45
.LBB274_573:                            ;   in Loop: Header=BB274_353 Depth=1
	s_or_b32 exec_lo, exec_lo, s13
.LBB274_574:                            ;   in Loop: Header=BB274_353 Depth=1
	s_wait_alu 0xfffe
	s_or_b32 exec_lo, exec_lo, s7
.LBB274_575:                            ;   in Loop: Header=BB274_353 Depth=1
	s_wait_alu 0xfffe
	s_or_b32 exec_lo, exec_lo, s6
	s_delay_alu instid0(SALU_CYCLE_1)
	s_mov_b32 s6, exec_lo
	v_cmpx_lt_u32_e32 0xffffff, v9
	s_cbranch_execz .LBB274_583
; %bb.576:                              ;   in Loop: Header=BB274_353 Depth=1
	v_lshrrev_b32_e32 v1, 24, v9
	v_bfrev_b32_e32 v44, 1
	s_mov_b32 s7, exec_lo
	s_delay_alu instid0(VALU_DEP_2)
	v_cmpx_ne_u32_e32 0x80, v1
	s_cbranch_execz .LBB274_582
; %bb.577:                              ;   in Loop: Header=BB274_353 Depth=1
	v_and_b32_e32 v47, 0x7f, v1
	v_mov_b32_e32 v44, 0x7c010000
	s_mov_b32 s13, exec_lo
	s_delay_alu instid0(VALU_DEP_2)
	v_cmpx_ne_u32_e32 0x7f, v47
	s_cbranch_execz .LBB274_581
; %bb.578:                              ;   in Loop: Header=BB274_353 Depth=1
	v_and_b32_e32 v44, 7, v1
	v_lshrrev_b32_e32 v46, 3, v47
	s_mov_b32 s14, exec_lo
	v_cmpx_gt_u32_e32 8, v47
; %bb.579:                              ;   in Loop: Header=BB274_353 Depth=1
	s_delay_alu instid0(VALU_DEP_3) | instskip(NEXT) | instid1(VALU_DEP_1)
	v_clz_i32_u32_e32 v44, v44
	v_min_u32_e32 v44, 32, v44
	s_delay_alu instid0(VALU_DEP_1) | instskip(NEXT) | instid1(VALU_DEP_1)
	v_subrev_nc_u32_e32 v46, 28, v44
	v_lshlrev_b64_e32 v[47:48], v46, v[1:2]
	v_sub_nc_u32_e32 v46, 29, v44
	s_delay_alu instid0(VALU_DEP_2)
	v_and_b32_e32 v44, 7, v47
; %bb.580:                              ;   in Loop: Header=BB274_353 Depth=1
	s_wait_alu 0xfffe
	s_or_b32 exec_lo, exec_lo, s14
	v_lshlrev_b32_e32 v1, 8, v1
	v_lshl_add_u32 v46, v46, 10, 0x2000
	v_lshlrev_b32_e32 v44, 23, v44
	s_delay_alu instid0(VALU_DEP_2) | instskip(NEXT) | instid1(VALU_DEP_1)
	v_and_or_b32 v1, 0x8000, v1, v46
	v_lshl_or_b32 v44, v1, 16, v44
.LBB274_581:                            ;   in Loop: Header=BB274_353 Depth=1
	s_or_b32 exec_lo, exec_lo, s13
.LBB274_582:                            ;   in Loop: Header=BB274_353 Depth=1
	s_wait_alu 0xfffe
	s_or_b32 exec_lo, exec_lo, s7
.LBB274_583:                            ;   in Loop: Header=BB274_353 Depth=1
	s_wait_alu 0xfffe
	s_or_b32 exec_lo, exec_lo, s6
	v_dual_mov_b32 v1, v10 :: v_dual_and_b32 v48, 0xff, v10
	v_dual_mov_b32 v46, 0 :: v_dual_mov_b32 v47, 0
	s_mov_b32 s6, exec_lo
	s_delay_alu instid0(VALU_DEP_2)
	v_cmpx_ne_u16_e32 0, v48
	s_cbranch_execz .LBB274_591
; %bb.584:                              ;   in Loop: Header=BB274_353 Depth=1
	v_mov_b32_e32 v47, 0x8000
	s_mov_b32 s7, exec_lo
	v_cmpx_ne_u16_e32 0x80, v48
	s_cbranch_execz .LBB274_590
; %bb.585:                              ;   in Loop: Header=BB274_353 Depth=1
	v_and_b32_e32 v49, 0x7f, v10
	v_mov_b32_e32 v47, 0x7c01
	s_mov_b32 s13, exec_lo
	s_delay_alu instid0(VALU_DEP_2)
	v_cmpx_ne_u32_e32 0x7f, v49
	s_cbranch_execz .LBB274_589
; %bb.586:                              ;   in Loop: Header=BB274_353 Depth=1
	v_and_b32_e32 v47, 7, v10
	v_lshrrev_b32_e32 v48, 3, v49
	s_mov_b32 s14, exec_lo
	v_cmpx_gt_u32_e32 8, v49
; %bb.587:                              ;   in Loop: Header=BB274_353 Depth=1
	s_delay_alu instid0(VALU_DEP_3) | instskip(NEXT) | instid1(VALU_DEP_1)
	v_clz_i32_u32_e32 v47, v47
	v_min_u32_e32 v49, 32, v47
	s_delay_alu instid0(VALU_DEP_1) | instskip(NEXT) | instid1(VALU_DEP_1)
	v_subrev_nc_u32_e32 v47, 28, v49
	v_lshlrev_b64_e32 v[47:48], v47, v[1:2]
	v_sub_nc_u32_e32 v48, 29, v49
	s_delay_alu instid0(VALU_DEP_2)
	v_and_b32_e32 v47, 7, v47
; %bb.588:                              ;   in Loop: Header=BB274_353 Depth=1
	s_wait_alu 0xfffe
	s_or_b32 exec_lo, exec_lo, s14
	v_lshlrev_b32_e32 v49, 8, v10
	v_lshl_add_u32 v48, v48, 10, 0x2000
	v_lshlrev_b32_e32 v47, 7, v47
	s_delay_alu instid0(VALU_DEP_3) | instskip(NEXT) | instid1(VALU_DEP_3)
	v_and_b32_e32 v49, 0x8000, v49
	v_and_b32_e32 v48, 0xfc00, v48
	s_delay_alu instid0(VALU_DEP_1)
	v_or3_b32 v47, v49, v48, v47
.LBB274_589:                            ;   in Loop: Header=BB274_353 Depth=1
	s_or_b32 exec_lo, exec_lo, s13
.LBB274_590:                            ;   in Loop: Header=BB274_353 Depth=1
	s_wait_alu 0xfffe
	s_or_b32 exec_lo, exec_lo, s7
.LBB274_591:                            ;   in Loop: Header=BB274_353 Depth=1
	s_wait_alu 0xfffe
	s_or_b32 exec_lo, exec_lo, s6
	v_lshrrev_b16 v1, 8, v1
	v_mov_b32_e32 v48, 0
	s_mov_b32 s6, exec_lo
	s_delay_alu instid0(VALU_DEP_2)
	v_cmpx_ne_u16_e32 0, v1
	s_cbranch_execz .LBB274_599
; %bb.592:                              ;   in Loop: Header=BB274_353 Depth=1
	v_bfrev_b32_e32 v48, 1
	s_mov_b32 s7, exec_lo
	v_cmpx_ne_u16_e32 0x80, v1
	s_cbranch_execz .LBB274_598
; %bb.593:                              ;   in Loop: Header=BB274_353 Depth=1
	v_and_b32_e32 v49, 0xffff, v1
	v_mov_b32_e32 v48, 0x7c010000
	s_mov_b32 s13, exec_lo
	s_delay_alu instid0(VALU_DEP_2) | instskip(NEXT) | instid1(VALU_DEP_1)
	v_and_b32_e32 v51, 0x7f, v49
	v_cmpx_ne_u32_e32 0x7f, v51
	s_cbranch_execz .LBB274_597
; %bb.594:                              ;   in Loop: Header=BB274_353 Depth=1
	v_and_b32_e32 v48, 7, v49
	v_lshrrev_b32_e32 v50, 3, v51
	s_mov_b32 s14, exec_lo
	v_cmpx_gt_u32_e32 8, v51
; %bb.595:                              ;   in Loop: Header=BB274_353 Depth=1
	s_delay_alu instid0(VALU_DEP_3) | instskip(NEXT) | instid1(VALU_DEP_1)
	v_clz_i32_u32_e32 v48, v48
	v_min_u32_e32 v48, 32, v48
	s_delay_alu instid0(VALU_DEP_1) | instskip(NEXT) | instid1(VALU_DEP_1)
	v_subrev_nc_u32_e32 v50, 28, v48
	v_lshlrev_b64_e32 v[51:52], v50, v[1:2]
	v_sub_nc_u32_e32 v50, 29, v48
	s_delay_alu instid0(VALU_DEP_2)
	v_and_b32_e32 v48, 7, v51
; %bb.596:                              ;   in Loop: Header=BB274_353 Depth=1
	s_wait_alu 0xfffe
	s_or_b32 exec_lo, exec_lo, s14
	v_lshlrev_b32_e32 v1, 8, v49
	v_lshl_add_u32 v49, v50, 10, 0x2000
	v_lshlrev_b32_e32 v48, 23, v48
	s_delay_alu instid0(VALU_DEP_2) | instskip(NEXT) | instid1(VALU_DEP_1)
	v_and_or_b32 v1, 0x8000, v1, v49
	v_lshl_or_b32 v48, v1, 16, v48
.LBB274_597:                            ;   in Loop: Header=BB274_353 Depth=1
	s_or_b32 exec_lo, exec_lo, s13
.LBB274_598:                            ;   in Loop: Header=BB274_353 Depth=1
	s_wait_alu 0xfffe
	s_or_b32 exec_lo, exec_lo, s7
.LBB274_599:                            ;   in Loop: Header=BB274_353 Depth=1
	s_wait_alu 0xfffe
	s_or_b32 exec_lo, exec_lo, s6
	v_lshrrev_b32_e32 v1, 16, v10
	s_mov_b32 s6, exec_lo
	s_delay_alu instid0(VALU_DEP_1) | instskip(NEXT) | instid1(VALU_DEP_1)
	v_and_b32_e32 v49, 0xff, v1
	v_cmpx_ne_u16_e32 0, v49
	s_cbranch_execz .LBB274_607
; %bb.600:                              ;   in Loop: Header=BB274_353 Depth=1
	v_mov_b32_e32 v46, 0x8000
	s_mov_b32 s7, exec_lo
	v_cmpx_ne_u16_e32 0x80, v49
	s_cbranch_execz .LBB274_606
; %bb.601:                              ;   in Loop: Header=BB274_353 Depth=1
	v_bfe_u32 v50, v10, 16, 7
	v_mov_b32_e32 v46, 0x7c01
	s_mov_b32 s13, exec_lo
	s_delay_alu instid0(VALU_DEP_2)
	v_cmpx_ne_u32_e32 0x7f, v50
	s_cbranch_execz .LBB274_605
; %bb.602:                              ;   in Loop: Header=BB274_353 Depth=1
	v_and_b32_e32 v46, 7, v1
	v_lshrrev_b32_e32 v49, 3, v50
	s_mov_b32 s14, exec_lo
	v_cmpx_gt_u32_e32 8, v50
; %bb.603:                              ;   in Loop: Header=BB274_353 Depth=1
	s_delay_alu instid0(VALU_DEP_3) | instskip(NEXT) | instid1(VALU_DEP_1)
	v_clz_i32_u32_e32 v46, v46
	v_min_u32_e32 v46, 32, v46
	s_delay_alu instid0(VALU_DEP_1) | instskip(NEXT) | instid1(VALU_DEP_1)
	v_subrev_nc_u32_e32 v49, 28, v46
	v_lshlrev_b64_e32 v[50:51], v49, v[1:2]
	v_sub_nc_u32_e32 v49, 29, v46
	s_delay_alu instid0(VALU_DEP_2)
	v_and_b32_e32 v46, 7, v50
; %bb.604:                              ;   in Loop: Header=BB274_353 Depth=1
	s_wait_alu 0xfffe
	s_or_b32 exec_lo, exec_lo, s14
	v_lshlrev_b32_e32 v1, 8, v1
	v_lshl_add_u32 v49, v49, 10, 0x2000
	v_lshlrev_b32_e32 v46, 7, v46
	s_delay_alu instid0(VALU_DEP_3) | instskip(NEXT) | instid1(VALU_DEP_3)
	v_and_b32_e32 v1, 0x8000, v1
	v_and_b32_e32 v49, 0xfc00, v49
	s_delay_alu instid0(VALU_DEP_1)
	v_or3_b32 v46, v1, v49, v46
.LBB274_605:                            ;   in Loop: Header=BB274_353 Depth=1
	s_or_b32 exec_lo, exec_lo, s13
.LBB274_606:                            ;   in Loop: Header=BB274_353 Depth=1
	s_wait_alu 0xfffe
	s_or_b32 exec_lo, exec_lo, s7
.LBB274_607:                            ;   in Loop: Header=BB274_353 Depth=1
	s_wait_alu 0xfffe
	s_or_b32 exec_lo, exec_lo, s6
	v_cmp_lt_u64_e64 s0, s[2:3], v[9:10]
	v_mov_b32_e32 v9, 0
	s_and_saveexec_b32 s6, s0
	s_cbranch_execz .LBB274_615
; %bb.608:                              ;   in Loop: Header=BB274_353 Depth=1
	v_lshrrev_b32_e32 v1, 24, v10
	v_bfrev_b32_e32 v9, 1
	s_mov_b32 s7, exec_lo
	s_delay_alu instid0(VALU_DEP_2)
	v_cmpx_ne_u32_e32 0x80, v1
	s_cbranch_execz .LBB274_614
; %bb.609:                              ;   in Loop: Header=BB274_353 Depth=1
	v_and_b32_e32 v49, 0x7f, v1
	v_mov_b32_e32 v9, 0x7c010000
	s_mov_b32 s13, exec_lo
	s_delay_alu instid0(VALU_DEP_2)
	v_cmpx_ne_u32_e32 0x7f, v49
	s_cbranch_execz .LBB274_613
; %bb.610:                              ;   in Loop: Header=BB274_353 Depth=1
	v_and_b32_e32 v9, 7, v1
	v_lshrrev_b32_e32 v10, 3, v49
	s_mov_b32 s14, exec_lo
	v_cmpx_gt_u32_e32 8, v49
; %bb.611:                              ;   in Loop: Header=BB274_353 Depth=1
	s_delay_alu instid0(VALU_DEP_3) | instskip(NEXT) | instid1(VALU_DEP_1)
	v_clz_i32_u32_e32 v9, v9
	v_min_u32_e32 v49, 32, v9
	s_delay_alu instid0(VALU_DEP_1) | instskip(NEXT) | instid1(VALU_DEP_1)
	v_subrev_nc_u32_e32 v9, 28, v49
	v_lshlrev_b64_e32 v[9:10], v9, v[1:2]
	v_sub_nc_u32_e32 v10, 29, v49
	s_delay_alu instid0(VALU_DEP_2)
	v_and_b32_e32 v9, 7, v9
; %bb.612:                              ;   in Loop: Header=BB274_353 Depth=1
	s_wait_alu 0xfffe
	s_or_b32 exec_lo, exec_lo, s14
	v_lshlrev_b32_e32 v1, 8, v1
	v_lshl_add_u32 v10, v10, 10, 0x2000
	v_lshlrev_b32_e32 v9, 23, v9
	s_delay_alu instid0(VALU_DEP_2) | instskip(NEXT) | instid1(VALU_DEP_1)
	v_and_or_b32 v1, 0x8000, v1, v10
	v_lshl_or_b32 v9, v1, 16, v9
.LBB274_613:                            ;   in Loop: Header=BB274_353 Depth=1
	s_or_b32 exec_lo, exec_lo, s13
.LBB274_614:                            ;   in Loop: Header=BB274_353 Depth=1
	s_wait_alu 0xfffe
	s_or_b32 exec_lo, exec_lo, s7
.LBB274_615:                            ;   in Loop: Header=BB274_353 Depth=1
	s_wait_alu 0xfffe
	s_or_b32 exec_lo, exec_lo, s6
	v_or_b32_e32 v1, v44, v45
	s_wait_loadcnt 0x0
	v_fma_mixlo_f16 v10, v41, v44, 0 op_sel:[0,1,0] op_sel_hi:[0,1,0]
	v_or_b32_e32 v44, v42, v43
	v_fma_mixlo_f16 v42, v41, v42, 0 op_sel:[0,1,0] op_sel_hi:[0,1,0]
	v_or_b32_e32 v45, v48, v47
	v_or_b32_e32 v46, v9, v46
	v_fma_mixlo_f16 v47, v41, v1, 0 op_sel_hi:[0,1,0]
	v_fma_mixlo_f16 v9, v41, v9, 0 op_sel:[0,1,0] op_sel_hi:[0,1,0]
	v_lshlrev_b32_e32 v43, 16, v42
	v_fma_mixlo_f16 v42, v41, v44, 0 op_sel_hi:[0,1,0]
	v_fma_mixlo_f16 v44, v41, v48, 0 op_sel:[0,1,0] op_sel_hi:[0,1,0]
	v_fma_mixlo_f16 v45, v41, v45, 0 op_sel_hi:[0,1,0]
	v_fma_mixlo_f16 v46, v41, v46, 0 op_sel_hi:[0,1,0]
	v_lshlrev_b32_e32 v1, 16, v10
	v_and_b32_e32 v10, 0xffff, v47
	v_and_b32_e32 v49, 0xffff, v42
	v_lshlrev_b32_e32 v41, 16, v44
	v_and_b32_e32 v45, 0xffff, v45
	v_lshlrev_b32_e32 v9, 16, v9
	v_and_b32_e32 v42, 0xffff, v46
	v_or_b32_e32 v44, v1, v10
	v_or_b32_e32 v48, v43, v49
	;; [unrolled: 1-line block ×3, first 2 shown]
	s_delay_alu instid0(VALU_DEP_4)
	v_or_b32_e32 v46, v9, v42
	s_and_saveexec_b32 s6, vcc_lo
	s_cbranch_execz .LBB274_617
; %bb.616:                              ;   in Loop: Header=BB274_353 Depth=1
	v_cmp_gt_i32_e64 s0, s27, v15
	s_wait_alu 0xf1ff
	s_delay_alu instid0(VALU_DEP_1) | instskip(SKIP_2) | instid1(VALU_DEP_1)
	v_cndmask_b32_e64 v44, 0, v49, s0
	v_cmp_gt_i32_e64 s0, s27, v30
	s_wait_alu 0xf1ff
	v_cndmask_b32_e64 v43, 0, v43, s0
	v_cmp_gt_i32_e64 s0, s27, v29
	s_delay_alu instid0(VALU_DEP_2) | instskip(SKIP_1) | instid1(VALU_DEP_2)
	v_or_b32_e32 v48, v43, v44
	s_wait_alu 0xf1ff
	v_cndmask_b32_e64 v10, 0, v10, s0
	v_cmp_gt_i32_e64 s0, s27, v28
	s_wait_alu 0xf1ff
	s_delay_alu instid0(VALU_DEP_1) | instskip(SKIP_1) | instid1(VALU_DEP_2)
	v_cndmask_b32_e64 v1, 0, v1, s0
	v_cmp_gt_i32_e64 s0, s27, v27
	v_or_b32_e32 v44, v1, v10
	s_wait_alu 0xf1ff
	s_delay_alu instid0(VALU_DEP_2) | instskip(SKIP_2) | instid1(VALU_DEP_1)
	v_cndmask_b32_e64 v45, 0, v45, s0
	v_cmp_gt_i32_e64 s0, s27, v26
	s_wait_alu 0xf1ff
	v_cndmask_b32_e64 v41, 0, v41, s0
	v_cmp_gt_i32_e64 s0, s27, v25
	s_delay_alu instid0(VALU_DEP_2) | instskip(SKIP_1) | instid1(VALU_DEP_2)
	v_or_b32_e32 v47, v41, v45
	s_wait_alu 0xf1ff
	v_cndmask_b32_e64 v42, 0, v42, s0
	v_cmp_gt_i32_e64 s0, s27, v23
	s_wait_alu 0xf1ff
	s_delay_alu instid0(VALU_DEP_1) | instskip(NEXT) | instid1(VALU_DEP_1)
	v_cndmask_b32_e64 v9, 0, v9, s0
	v_or_b32_e32 v46, v9, v42
.LBB274_617:                            ;   in Loop: Header=BB274_353 Depth=1
	s_wait_alu 0xfffe
	s_or_b32 exec_lo, exec_lo, s6
	;;#ASMSTART
	v_pk_mul_f16 v1, v35, v48;

	;;#ASMEND
	;;#ASMSTART
	v_pk_mul_f16 v9, v34, v44;

	;;#ASMEND
	;; [unrolled: 4-line block ×4, first 2 shown]
	;;#ASMSTART
	v_pk_add_f16 v1, v1, v9;

	;;#ASMEND
	;;#ASMSTART
	v_pk_add_f16 v1, v1, v10;

	;;#ASMEND
	;; [unrolled: 4-line block ×3, first 2 shown]
	v_dual_mov_b32 v42, 0 :: v_dual_and_b32 v9, 0xffff, v1
	v_lshrrev_b32_e32 v1, 16, v1
	;;#ASMSTART
	v_cvt_f32_f16 v9, v9;
	;;#ASMEND
	;;#ASMSTART
	v_cvt_f32_f16 v10, v1;
	;;#ASMEND
	global_load_b64 v[7:8], v[7:8], off offset:1024
	global_load_b32 v41, v42, s[10:11]
	v_mov_b32_e32 v43, 0
	s_mov_b32 s6, exec_lo
	s_wait_loadcnt 0x1
	v_and_b32_e32 v1, 0xff, v7
	s_delay_alu instid0(VALU_DEP_1)
	v_cmpx_ne_u16_e32 0, v1
	s_cbranch_execz .LBB274_625
; %bb.618:                              ;   in Loop: Header=BB274_353 Depth=1
	v_mov_b32_e32 v43, 0x8000
	s_mov_b32 s7, exec_lo
	v_cmpx_ne_u16_e32 0x80, v1
	s_cbranch_execz .LBB274_624
; %bb.619:                              ;   in Loop: Header=BB274_353 Depth=1
	v_and_b32_e32 v44, 0x7f, v7
	v_mov_b32_e32 v43, 0x7c01
	s_mov_b32 s13, exec_lo
	s_delay_alu instid0(VALU_DEP_2)
	v_cmpx_ne_u32_e32 0x7f, v44
	s_cbranch_execz .LBB274_623
; %bb.620:                              ;   in Loop: Header=BB274_353 Depth=1
	v_and_b32_e32 v1, 7, v7
	v_lshrrev_b32_e32 v43, 3, v44
	s_mov_b32 s14, exec_lo
	v_cmpx_gt_u32_e32 8, v44
; %bb.621:                              ;   in Loop: Header=BB274_353 Depth=1
	s_delay_alu instid0(VALU_DEP_3) | instskip(NEXT) | instid1(VALU_DEP_1)
	v_clz_i32_u32_e32 v1, v1
	v_min_u32_e32 v1, 32, v1
	s_delay_alu instid0(VALU_DEP_1) | instskip(NEXT) | instid1(VALU_DEP_1)
	v_subrev_nc_u32_e32 v43, 28, v1
	v_lshlrev_b64_e32 v[44:45], v43, v[7:8]
	v_sub_nc_u32_e32 v43, 29, v1
	s_delay_alu instid0(VALU_DEP_2)
	v_and_b32_e32 v1, 7, v44
; %bb.622:                              ;   in Loop: Header=BB274_353 Depth=1
	s_wait_alu 0xfffe
	s_or_b32 exec_lo, exec_lo, s14
	v_lshlrev_b32_e32 v44, 8, v7
	v_lshl_add_u32 v43, v43, 10, 0x2000
	v_lshlrev_b32_e32 v1, 7, v1
	s_delay_alu instid0(VALU_DEP_3) | instskip(NEXT) | instid1(VALU_DEP_3)
	v_and_b32_e32 v44, 0x8000, v44
	v_and_b32_e32 v43, 0xfc00, v43
	s_delay_alu instid0(VALU_DEP_1)
	v_or3_b32 v43, v44, v43, v1
.LBB274_623:                            ;   in Loop: Header=BB274_353 Depth=1
	s_or_b32 exec_lo, exec_lo, s13
.LBB274_624:                            ;   in Loop: Header=BB274_353 Depth=1
	s_wait_alu 0xfffe
	s_or_b32 exec_lo, exec_lo, s7
.LBB274_625:                            ;   in Loop: Header=BB274_353 Depth=1
	s_wait_alu 0xfffe
	s_or_b32 exec_lo, exec_lo, s6
	v_lshrrev_b16 v1, 8, v7
	s_mov_b32 s6, exec_lo
	s_delay_alu instid0(VALU_DEP_1)
	v_cmpx_ne_u16_e32 0, v1
	s_cbranch_execz .LBB274_633
; %bb.626:                              ;   in Loop: Header=BB274_353 Depth=1
	v_bfrev_b32_e32 v42, 1
	s_mov_b32 s7, exec_lo
	v_cmpx_ne_u16_e32 0x80, v1
	s_cbranch_execz .LBB274_632
; %bb.627:                              ;   in Loop: Header=BB274_353 Depth=1
	v_and_b32_e32 v44, 0xffff, v1
	v_mov_b32_e32 v42, 0x7c010000
	s_mov_b32 s13, exec_lo
	s_delay_alu instid0(VALU_DEP_2) | instskip(NEXT) | instid1(VALU_DEP_1)
	v_and_b32_e32 v46, 0x7f, v44
	v_cmpx_ne_u32_e32 0x7f, v46
	s_cbranch_execz .LBB274_631
; %bb.628:                              ;   in Loop: Header=BB274_353 Depth=1
	v_and_b32_e32 v42, 7, v44
	v_lshrrev_b32_e32 v45, 3, v46
	s_mov_b32 s14, exec_lo
	v_cmpx_gt_u32_e32 8, v46
; %bb.629:                              ;   in Loop: Header=BB274_353 Depth=1
	s_delay_alu instid0(VALU_DEP_3) | instskip(NEXT) | instid1(VALU_DEP_1)
	v_clz_i32_u32_e32 v42, v42
	v_min_u32_e32 v42, 32, v42
	s_delay_alu instid0(VALU_DEP_1) | instskip(NEXT) | instid1(VALU_DEP_1)
	v_subrev_nc_u32_e32 v45, 28, v42
	v_lshlrev_b64_e32 v[46:47], v45, v[1:2]
	v_sub_nc_u32_e32 v45, 29, v42
	s_delay_alu instid0(VALU_DEP_2)
	v_and_b32_e32 v42, 7, v46
; %bb.630:                              ;   in Loop: Header=BB274_353 Depth=1
	s_wait_alu 0xfffe
	s_or_b32 exec_lo, exec_lo, s14
	v_lshlrev_b32_e32 v1, 8, v44
	v_lshl_add_u32 v44, v45, 10, 0x2000
	v_lshlrev_b32_e32 v42, 23, v42
	s_delay_alu instid0(VALU_DEP_2) | instskip(NEXT) | instid1(VALU_DEP_1)
	v_and_or_b32 v1, 0x8000, v1, v44
	v_lshl_or_b32 v42, v1, 16, v42
.LBB274_631:                            ;   in Loop: Header=BB274_353 Depth=1
	s_or_b32 exec_lo, exec_lo, s13
.LBB274_632:                            ;   in Loop: Header=BB274_353 Depth=1
	s_wait_alu 0xfffe
	s_or_b32 exec_lo, exec_lo, s7
.LBB274_633:                            ;   in Loop: Header=BB274_353 Depth=1
	s_wait_alu 0xfffe
	s_or_b32 exec_lo, exec_lo, s6
	v_lshrrev_b32_e32 v1, 16, v7
	v_mov_b32_e32 v44, 0
	s_mov_b32 s6, exec_lo
	s_delay_alu instid0(VALU_DEP_2) | instskip(NEXT) | instid1(VALU_DEP_1)
	v_dual_mov_b32 v45, 0 :: v_dual_and_b32 v46, 0xff, v1
	v_cmpx_ne_u16_e32 0, v46
	s_cbranch_execz .LBB274_641
; %bb.634:                              ;   in Loop: Header=BB274_353 Depth=1
	v_mov_b32_e32 v45, 0x8000
	s_mov_b32 s7, exec_lo
	v_cmpx_ne_u16_e32 0x80, v46
	s_cbranch_execz .LBB274_640
; %bb.635:                              ;   in Loop: Header=BB274_353 Depth=1
	v_bfe_u32 v47, v7, 16, 7
	v_mov_b32_e32 v45, 0x7c01
	s_mov_b32 s13, exec_lo
	s_delay_alu instid0(VALU_DEP_2)
	v_cmpx_ne_u32_e32 0x7f, v47
	s_cbranch_execz .LBB274_639
; %bb.636:                              ;   in Loop: Header=BB274_353 Depth=1
	v_and_b32_e32 v45, 7, v1
	v_lshrrev_b32_e32 v46, 3, v47
	s_mov_b32 s14, exec_lo
	v_cmpx_gt_u32_e32 8, v47
; %bb.637:                              ;   in Loop: Header=BB274_353 Depth=1
	s_delay_alu instid0(VALU_DEP_3) | instskip(NEXT) | instid1(VALU_DEP_1)
	v_clz_i32_u32_e32 v45, v45
	v_min_u32_e32 v47, 32, v45
	s_delay_alu instid0(VALU_DEP_1) | instskip(NEXT) | instid1(VALU_DEP_1)
	v_subrev_nc_u32_e32 v45, 28, v47
	v_lshlrev_b64_e32 v[45:46], v45, v[1:2]
	v_sub_nc_u32_e32 v46, 29, v47
	s_delay_alu instid0(VALU_DEP_2)
	v_and_b32_e32 v45, 7, v45
; %bb.638:                              ;   in Loop: Header=BB274_353 Depth=1
	s_wait_alu 0xfffe
	s_or_b32 exec_lo, exec_lo, s14
	v_lshlrev_b32_e32 v1, 8, v1
	v_lshl_add_u32 v46, v46, 10, 0x2000
	v_lshlrev_b32_e32 v45, 7, v45
	s_delay_alu instid0(VALU_DEP_3) | instskip(NEXT) | instid1(VALU_DEP_3)
	v_and_b32_e32 v1, 0x8000, v1
	v_and_b32_e32 v46, 0xfc00, v46
	s_delay_alu instid0(VALU_DEP_1)
	v_or3_b32 v45, v1, v46, v45
.LBB274_639:                            ;   in Loop: Header=BB274_353 Depth=1
	s_or_b32 exec_lo, exec_lo, s13
.LBB274_640:                            ;   in Loop: Header=BB274_353 Depth=1
	s_wait_alu 0xfffe
	s_or_b32 exec_lo, exec_lo, s7
.LBB274_641:                            ;   in Loop: Header=BB274_353 Depth=1
	s_wait_alu 0xfffe
	s_or_b32 exec_lo, exec_lo, s6
	s_delay_alu instid0(SALU_CYCLE_1)
	s_mov_b32 s6, exec_lo
	v_cmpx_lt_u32_e32 0xffffff, v7
	s_cbranch_execz .LBB274_649
; %bb.642:                              ;   in Loop: Header=BB274_353 Depth=1
	v_lshrrev_b32_e32 v1, 24, v7
	v_bfrev_b32_e32 v44, 1
	s_mov_b32 s7, exec_lo
	s_delay_alu instid0(VALU_DEP_2)
	v_cmpx_ne_u32_e32 0x80, v1
	s_cbranch_execz .LBB274_648
; %bb.643:                              ;   in Loop: Header=BB274_353 Depth=1
	v_and_b32_e32 v47, 0x7f, v1
	v_mov_b32_e32 v44, 0x7c010000
	s_mov_b32 s13, exec_lo
	s_delay_alu instid0(VALU_DEP_2)
	v_cmpx_ne_u32_e32 0x7f, v47
	s_cbranch_execz .LBB274_647
; %bb.644:                              ;   in Loop: Header=BB274_353 Depth=1
	v_and_b32_e32 v44, 7, v1
	v_lshrrev_b32_e32 v46, 3, v47
	s_mov_b32 s14, exec_lo
	v_cmpx_gt_u32_e32 8, v47
; %bb.645:                              ;   in Loop: Header=BB274_353 Depth=1
	s_delay_alu instid0(VALU_DEP_3) | instskip(NEXT) | instid1(VALU_DEP_1)
	v_clz_i32_u32_e32 v44, v44
	v_min_u32_e32 v44, 32, v44
	s_delay_alu instid0(VALU_DEP_1) | instskip(NEXT) | instid1(VALU_DEP_1)
	v_subrev_nc_u32_e32 v46, 28, v44
	v_lshlrev_b64_e32 v[47:48], v46, v[1:2]
	v_sub_nc_u32_e32 v46, 29, v44
	s_delay_alu instid0(VALU_DEP_2)
	v_and_b32_e32 v44, 7, v47
; %bb.646:                              ;   in Loop: Header=BB274_353 Depth=1
	s_wait_alu 0xfffe
	s_or_b32 exec_lo, exec_lo, s14
	v_lshlrev_b32_e32 v1, 8, v1
	v_lshl_add_u32 v46, v46, 10, 0x2000
	v_lshlrev_b32_e32 v44, 23, v44
	s_delay_alu instid0(VALU_DEP_2) | instskip(NEXT) | instid1(VALU_DEP_1)
	v_and_or_b32 v1, 0x8000, v1, v46
	v_lshl_or_b32 v44, v1, 16, v44
.LBB274_647:                            ;   in Loop: Header=BB274_353 Depth=1
	s_or_b32 exec_lo, exec_lo, s13
.LBB274_648:                            ;   in Loop: Header=BB274_353 Depth=1
	s_wait_alu 0xfffe
	s_or_b32 exec_lo, exec_lo, s7
.LBB274_649:                            ;   in Loop: Header=BB274_353 Depth=1
	s_wait_alu 0xfffe
	s_or_b32 exec_lo, exec_lo, s6
	v_dual_mov_b32 v1, v8 :: v_dual_and_b32 v48, 0xff, v8
	v_dual_mov_b32 v46, 0 :: v_dual_mov_b32 v47, 0
	s_mov_b32 s6, exec_lo
	s_delay_alu instid0(VALU_DEP_2)
	v_cmpx_ne_u16_e32 0, v48
	s_cbranch_execz .LBB274_657
; %bb.650:                              ;   in Loop: Header=BB274_353 Depth=1
	v_mov_b32_e32 v47, 0x8000
	s_mov_b32 s7, exec_lo
	v_cmpx_ne_u16_e32 0x80, v48
	s_cbranch_execz .LBB274_656
; %bb.651:                              ;   in Loop: Header=BB274_353 Depth=1
	v_and_b32_e32 v49, 0x7f, v8
	v_mov_b32_e32 v47, 0x7c01
	s_mov_b32 s13, exec_lo
	s_delay_alu instid0(VALU_DEP_2)
	v_cmpx_ne_u32_e32 0x7f, v49
	s_cbranch_execz .LBB274_655
; %bb.652:                              ;   in Loop: Header=BB274_353 Depth=1
	v_and_b32_e32 v47, 7, v8
	v_lshrrev_b32_e32 v48, 3, v49
	s_mov_b32 s14, exec_lo
	v_cmpx_gt_u32_e32 8, v49
; %bb.653:                              ;   in Loop: Header=BB274_353 Depth=1
	s_delay_alu instid0(VALU_DEP_3) | instskip(NEXT) | instid1(VALU_DEP_1)
	v_clz_i32_u32_e32 v47, v47
	v_min_u32_e32 v49, 32, v47
	s_delay_alu instid0(VALU_DEP_1) | instskip(NEXT) | instid1(VALU_DEP_1)
	v_subrev_nc_u32_e32 v47, 28, v49
	v_lshlrev_b64_e32 v[47:48], v47, v[1:2]
	v_sub_nc_u32_e32 v48, 29, v49
	s_delay_alu instid0(VALU_DEP_2)
	v_and_b32_e32 v47, 7, v47
; %bb.654:                              ;   in Loop: Header=BB274_353 Depth=1
	s_wait_alu 0xfffe
	s_or_b32 exec_lo, exec_lo, s14
	v_lshlrev_b32_e32 v49, 8, v8
	v_lshl_add_u32 v48, v48, 10, 0x2000
	v_lshlrev_b32_e32 v47, 7, v47
	s_delay_alu instid0(VALU_DEP_3) | instskip(NEXT) | instid1(VALU_DEP_3)
	v_and_b32_e32 v49, 0x8000, v49
	v_and_b32_e32 v48, 0xfc00, v48
	s_delay_alu instid0(VALU_DEP_1)
	v_or3_b32 v47, v49, v48, v47
.LBB274_655:                            ;   in Loop: Header=BB274_353 Depth=1
	s_or_b32 exec_lo, exec_lo, s13
.LBB274_656:                            ;   in Loop: Header=BB274_353 Depth=1
	s_wait_alu 0xfffe
	s_or_b32 exec_lo, exec_lo, s7
.LBB274_657:                            ;   in Loop: Header=BB274_353 Depth=1
	s_wait_alu 0xfffe
	s_or_b32 exec_lo, exec_lo, s6
	v_lshrrev_b16 v1, 8, v1
	v_mov_b32_e32 v48, 0
	s_mov_b32 s6, exec_lo
	s_delay_alu instid0(VALU_DEP_2)
	v_cmpx_ne_u16_e32 0, v1
	s_cbranch_execz .LBB274_665
; %bb.658:                              ;   in Loop: Header=BB274_353 Depth=1
	v_bfrev_b32_e32 v48, 1
	s_mov_b32 s7, exec_lo
	v_cmpx_ne_u16_e32 0x80, v1
	s_cbranch_execz .LBB274_664
; %bb.659:                              ;   in Loop: Header=BB274_353 Depth=1
	v_and_b32_e32 v49, 0xffff, v1
	v_mov_b32_e32 v48, 0x7c010000
	s_mov_b32 s13, exec_lo
	s_delay_alu instid0(VALU_DEP_2) | instskip(NEXT) | instid1(VALU_DEP_1)
	v_and_b32_e32 v51, 0x7f, v49
	v_cmpx_ne_u32_e32 0x7f, v51
	s_cbranch_execz .LBB274_663
; %bb.660:                              ;   in Loop: Header=BB274_353 Depth=1
	v_and_b32_e32 v48, 7, v49
	v_lshrrev_b32_e32 v50, 3, v51
	s_mov_b32 s14, exec_lo
	v_cmpx_gt_u32_e32 8, v51
; %bb.661:                              ;   in Loop: Header=BB274_353 Depth=1
	s_delay_alu instid0(VALU_DEP_3) | instskip(NEXT) | instid1(VALU_DEP_1)
	v_clz_i32_u32_e32 v48, v48
	v_min_u32_e32 v48, 32, v48
	s_delay_alu instid0(VALU_DEP_1) | instskip(NEXT) | instid1(VALU_DEP_1)
	v_subrev_nc_u32_e32 v50, 28, v48
	v_lshlrev_b64_e32 v[51:52], v50, v[1:2]
	v_sub_nc_u32_e32 v50, 29, v48
	s_delay_alu instid0(VALU_DEP_2)
	v_and_b32_e32 v48, 7, v51
; %bb.662:                              ;   in Loop: Header=BB274_353 Depth=1
	s_wait_alu 0xfffe
	s_or_b32 exec_lo, exec_lo, s14
	v_lshlrev_b32_e32 v1, 8, v49
	v_lshl_add_u32 v49, v50, 10, 0x2000
	v_lshlrev_b32_e32 v48, 23, v48
	s_delay_alu instid0(VALU_DEP_2) | instskip(NEXT) | instid1(VALU_DEP_1)
	v_and_or_b32 v1, 0x8000, v1, v49
	v_lshl_or_b32 v48, v1, 16, v48
.LBB274_663:                            ;   in Loop: Header=BB274_353 Depth=1
	s_or_b32 exec_lo, exec_lo, s13
.LBB274_664:                            ;   in Loop: Header=BB274_353 Depth=1
	s_wait_alu 0xfffe
	s_or_b32 exec_lo, exec_lo, s7
.LBB274_665:                            ;   in Loop: Header=BB274_353 Depth=1
	s_wait_alu 0xfffe
	s_or_b32 exec_lo, exec_lo, s6
	v_lshrrev_b32_e32 v1, 16, v8
	s_mov_b32 s6, exec_lo
	s_delay_alu instid0(VALU_DEP_1) | instskip(NEXT) | instid1(VALU_DEP_1)
	v_and_b32_e32 v49, 0xff, v1
	v_cmpx_ne_u16_e32 0, v49
	s_cbranch_execz .LBB274_673
; %bb.666:                              ;   in Loop: Header=BB274_353 Depth=1
	v_mov_b32_e32 v46, 0x8000
	s_mov_b32 s7, exec_lo
	v_cmpx_ne_u16_e32 0x80, v49
	s_cbranch_execz .LBB274_672
; %bb.667:                              ;   in Loop: Header=BB274_353 Depth=1
	v_bfe_u32 v50, v8, 16, 7
	v_mov_b32_e32 v46, 0x7c01
	s_mov_b32 s13, exec_lo
	s_delay_alu instid0(VALU_DEP_2)
	v_cmpx_ne_u32_e32 0x7f, v50
	s_cbranch_execz .LBB274_671
; %bb.668:                              ;   in Loop: Header=BB274_353 Depth=1
	v_and_b32_e32 v46, 7, v1
	v_lshrrev_b32_e32 v49, 3, v50
	s_mov_b32 s14, exec_lo
	v_cmpx_gt_u32_e32 8, v50
; %bb.669:                              ;   in Loop: Header=BB274_353 Depth=1
	s_delay_alu instid0(VALU_DEP_3) | instskip(NEXT) | instid1(VALU_DEP_1)
	v_clz_i32_u32_e32 v46, v46
	v_min_u32_e32 v46, 32, v46
	s_delay_alu instid0(VALU_DEP_1) | instskip(NEXT) | instid1(VALU_DEP_1)
	v_subrev_nc_u32_e32 v49, 28, v46
	v_lshlrev_b64_e32 v[50:51], v49, v[1:2]
	v_sub_nc_u32_e32 v49, 29, v46
	s_delay_alu instid0(VALU_DEP_2)
	v_and_b32_e32 v46, 7, v50
; %bb.670:                              ;   in Loop: Header=BB274_353 Depth=1
	s_wait_alu 0xfffe
	s_or_b32 exec_lo, exec_lo, s14
	v_lshlrev_b32_e32 v1, 8, v1
	v_lshl_add_u32 v49, v49, 10, 0x2000
	v_lshlrev_b32_e32 v46, 7, v46
	s_delay_alu instid0(VALU_DEP_3) | instskip(NEXT) | instid1(VALU_DEP_3)
	v_and_b32_e32 v1, 0x8000, v1
	v_and_b32_e32 v49, 0xfc00, v49
	s_delay_alu instid0(VALU_DEP_1)
	v_or3_b32 v46, v1, v49, v46
.LBB274_671:                            ;   in Loop: Header=BB274_353 Depth=1
	s_or_b32 exec_lo, exec_lo, s13
.LBB274_672:                            ;   in Loop: Header=BB274_353 Depth=1
	s_wait_alu 0xfffe
	s_or_b32 exec_lo, exec_lo, s7
.LBB274_673:                            ;   in Loop: Header=BB274_353 Depth=1
	s_wait_alu 0xfffe
	s_or_b32 exec_lo, exec_lo, s6
	v_cmp_lt_u64_e64 s0, s[2:3], v[7:8]
	v_mov_b32_e32 v7, 0
	s_and_saveexec_b32 s6, s0
	s_cbranch_execz .LBB274_681
; %bb.674:                              ;   in Loop: Header=BB274_353 Depth=1
	v_lshrrev_b32_e32 v1, 24, v8
	v_bfrev_b32_e32 v7, 1
	s_mov_b32 s7, exec_lo
	s_delay_alu instid0(VALU_DEP_2)
	v_cmpx_ne_u32_e32 0x80, v1
	s_cbranch_execz .LBB274_680
; %bb.675:                              ;   in Loop: Header=BB274_353 Depth=1
	v_and_b32_e32 v49, 0x7f, v1
	v_mov_b32_e32 v7, 0x7c010000
	s_mov_b32 s13, exec_lo
	s_delay_alu instid0(VALU_DEP_2)
	v_cmpx_ne_u32_e32 0x7f, v49
	s_cbranch_execz .LBB274_679
; %bb.676:                              ;   in Loop: Header=BB274_353 Depth=1
	v_and_b32_e32 v7, 7, v1
	v_lshrrev_b32_e32 v8, 3, v49
	s_mov_b32 s14, exec_lo
	v_cmpx_gt_u32_e32 8, v49
; %bb.677:                              ;   in Loop: Header=BB274_353 Depth=1
	s_delay_alu instid0(VALU_DEP_3) | instskip(NEXT) | instid1(VALU_DEP_1)
	v_clz_i32_u32_e32 v7, v7
	v_min_u32_e32 v49, 32, v7
	s_delay_alu instid0(VALU_DEP_1) | instskip(NEXT) | instid1(VALU_DEP_1)
	v_subrev_nc_u32_e32 v7, 28, v49
	v_lshlrev_b64_e32 v[7:8], v7, v[1:2]
	v_sub_nc_u32_e32 v8, 29, v49
	s_delay_alu instid0(VALU_DEP_2)
	v_and_b32_e32 v7, 7, v7
; %bb.678:                              ;   in Loop: Header=BB274_353 Depth=1
	s_wait_alu 0xfffe
	s_or_b32 exec_lo, exec_lo, s14
	v_lshlrev_b32_e32 v1, 8, v1
	v_lshl_add_u32 v8, v8, 10, 0x2000
	v_lshlrev_b32_e32 v7, 23, v7
	s_delay_alu instid0(VALU_DEP_2) | instskip(NEXT) | instid1(VALU_DEP_1)
	v_and_or_b32 v1, 0x8000, v1, v8
	v_lshl_or_b32 v7, v1, 16, v7
.LBB274_679:                            ;   in Loop: Header=BB274_353 Depth=1
	s_or_b32 exec_lo, exec_lo, s13
.LBB274_680:                            ;   in Loop: Header=BB274_353 Depth=1
	s_wait_alu 0xfffe
	s_or_b32 exec_lo, exec_lo, s7
.LBB274_681:                            ;   in Loop: Header=BB274_353 Depth=1
	s_wait_alu 0xfffe
	s_or_b32 exec_lo, exec_lo, s6
	v_or_b32_e32 v1, v44, v45
	v_or_b32_e32 v43, v42, v43
	s_wait_loadcnt 0x0
	v_fma_mixlo_f16 v42, v41, v42, 0 op_sel:[0,1,0] op_sel_hi:[0,1,0]
	v_or_b32_e32 v45, v48, v47
	v_or_b32_e32 v46, v7, v46
	v_fma_mixlo_f16 v1, v41, v1, 0 op_sel_hi:[0,1,0]
	v_fma_mixlo_f16 v8, v41, v44, 0 op_sel:[0,1,0] op_sel_hi:[0,1,0]
	v_lshlrev_b32_e32 v47, 16, v42
	v_fma_mixlo_f16 v42, v41, v43, 0 op_sel_hi:[0,1,0]
	v_fma_mixlo_f16 v43, v41, v45, 0 op_sel_hi:[0,1,0]
	v_and_b32_e32 v44, 0xffff, v1
	v_fma_mixlo_f16 v1, v41, v48, 0 op_sel:[0,1,0] op_sel_hi:[0,1,0]
	v_fma_mixlo_f16 v7, v41, v7, 0 op_sel:[0,1,0] op_sel_hi:[0,1,0]
	v_fma_mixlo_f16 v41, v41, v46, 0 op_sel_hi:[0,1,0]
	v_lshlrev_b32_e32 v8, 16, v8
	v_and_b32_e32 v49, 0xffff, v42
	v_lshlrev_b32_e32 v45, 16, v1
	v_and_b32_e32 v48, 0xffff, v43
	v_lshlrev_b32_e32 v43, 16, v7
	v_and_b32_e32 v46, 0xffff, v41
	v_or_b32_e32 v1, v8, v44
	v_or_b32_e32 v42, v47, v49
	;; [unrolled: 1-line block ×3, first 2 shown]
	s_delay_alu instid0(VALU_DEP_4)
	v_or_b32_e32 v7, v43, v46
	s_and_saveexec_b32 s0, vcc_lo
	s_cbranch_execz .LBB274_352
; %bb.682:                              ;   in Loop: Header=BB274_353 Depth=1
	v_cmp_gt_i32_e32 vcc_lo, s27, v15
	s_wait_alu 0xfffd
	v_cndmask_b32_e32 v1, 0, v49, vcc_lo
	v_cmp_gt_i32_e32 vcc_lo, s27, v30
	s_wait_alu 0xfffd
	v_cndmask_b32_e32 v7, 0, v47, vcc_lo
	;; [unrolled: 3-line block ×6, first 2 shown]
	v_cmp_gt_i32_e32 vcc_lo, s27, v25
	v_or_b32_e32 v42, v7, v1
	s_delay_alu instid0(VALU_DEP_3)
	v_or_b32_e32 v41, v26, v27
	s_wait_alu 0xfffd
	v_cndmask_b32_e32 v25, 0, v46, vcc_lo
	v_cmp_gt_i32_e32 vcc_lo, s27, v23
	s_wait_alu 0xfffd
	v_cndmask_b32_e32 v28, 0, v43, vcc_lo
	v_or_b32_e32 v1, v8, v15
	s_delay_alu instid0(VALU_DEP_2)
	v_or_b32_e32 v7, v28, v25
	s_branch .LBB274_352
.LBB274_683:
	s_or_b32 exec_lo, exec_lo, s5
.LBB274_684:
	s_wait_alu 0xfffe
	s_or_b32 exec_lo, exec_lo, s1
	ds_bpermute_b32 v1, v18, v21
	ds_bpermute_b32 v2, v18, v22
	;; [unrolled: 1-line block ×5, first 2 shown]
	v_lshrrev_b32_e32 v6, 1, v17
	v_mul_u32_u24_e32 v8, 0x140, v13
	v_and_b32_e32 v13, 0x3c1, v0
	s_mov_b32 s0, exec_lo
	s_wait_storecnt 0x0
	s_wait_loadcnt_dscnt 0x0
	v_lshl_add_u32 v7, v6, 2, 0xc0
	s_barrier_signal -1
	s_barrier_wait -1
	global_inv scope:SCOPE_SE
	v_dual_add_f32 v5, v21, v1 :: v_dual_add_f32 v4, v22, v2
	v_dual_add_f32 v3, v20, v3 :: v_dual_add_f32 v2, v19, v9
	v_add_f32_e32 v1, v16, v10
	v_cmpx_eq_u32_e32 64, v13
	s_cbranch_execz .LBB274_686
; %bb.685:
	v_add_nc_u32_e32 v9, v7, v8
	s_delay_alu instid0(VALU_DEP_1)
	v_add_nc_u32_e32 v10, 0xfffffd80, v9
	v_add_nc_u32_e32 v13, 0xfffffdc0, v9
	;; [unrolled: 1-line block ×5, first 2 shown]
	ds_store_b32 v10, v5
	ds_store_b32 v13, v4
	;; [unrolled: 1-line block ×5, first 2 shown]
.LBB274_686:
	s_wait_alu 0xfffe
	s_or_b32 exec_lo, exec_lo, s0
	v_lshlrev_b32_e32 v6, 2, v6
	s_mov_b32 s1, exec_lo
	v_cmp_eq_u32_e32 vcc_lo, 0, v12
	s_wait_loadcnt_dscnt 0x0
	s_barrier_signal -1
	v_add3_u32 v6, 0xc0, v8, v6
	s_barrier_wait -1
	global_inv scope:SCOPE_SE
	v_cmpx_gt_u32_e32 64, v0
	s_cbranch_execz .LBB274_694
; %bb.687:
	s_and_saveexec_b32 s0, vcc_lo
	s_cbranch_execnz .LBB274_707
; %bb.688:
	s_wait_alu 0xfffe
	s_or_b32 exec_lo, exec_lo, s0
	s_and_saveexec_b32 s0, vcc_lo
	s_cbranch_execnz .LBB274_708
.LBB274_689:
	s_wait_alu 0xfffe
	s_or_b32 exec_lo, exec_lo, s0
	s_and_saveexec_b32 s0, vcc_lo
	s_cbranch_execnz .LBB274_709
.LBB274_690:
	s_wait_alu 0xfffe
	s_or_b32 exec_lo, exec_lo, s0
	s_and_saveexec_b32 s0, vcc_lo
	s_cbranch_execnz .LBB274_710
.LBB274_691:
	s_wait_alu 0xfffe
	s_or_b32 exec_lo, exec_lo, s0
	s_and_saveexec_b32 s0, vcc_lo
	s_cbranch_execz .LBB274_693
.LBB274_692:
	ds_load_b32 v8, v6 offset:256
	s_wait_dscnt 0x0
	v_add_f32_e32 v1, v1, v8
.LBB274_693:
	s_wait_alu 0xfffe
	s_or_b32 exec_lo, exec_lo, s0
.LBB274_694:
	s_wait_alu 0xfffe
	s_or_b32 exec_lo, exec_lo, s1
	v_and_b32_e32 v8, 0x3e1, v0
	s_mov_b32 s1, exec_lo
	s_wait_loadcnt 0x0
	s_barrier_signal -1
	s_barrier_wait -1
	global_inv scope:SCOPE_SE
	v_cmpx_eq_u32_e32 32, v8
	s_cbranch_execz .LBB274_696
; %bb.695:
	ds_store_2addr_b32 v7, v5, v4 offset1:16
	ds_store_2addr_b32 v7, v3, v2 offset0:32 offset1:48
	ds_store_b32 v7, v1 offset:256
.LBB274_696:
	s_wait_alu 0xfffe
	s_or_b32 exec_lo, exec_lo, s1
	s_delay_alu instid0(SALU_CYCLE_1)
	s_mov_b32 s1, exec_lo
	s_wait_loadcnt_dscnt 0x0
	s_barrier_signal -1
	s_barrier_wait -1
	global_inv scope:SCOPE_SE
	v_cmpx_gt_u32_e32 32, v0
	s_cbranch_execz .LBB274_704
; %bb.697:
	s_and_saveexec_b32 s0, vcc_lo
	s_cbranch_execnz .LBB274_711
; %bb.698:
	s_wait_alu 0xfffe
	s_or_b32 exec_lo, exec_lo, s0
	s_and_saveexec_b32 s0, vcc_lo
	s_cbranch_execnz .LBB274_712
.LBB274_699:
	s_wait_alu 0xfffe
	s_or_b32 exec_lo, exec_lo, s0
	s_and_saveexec_b32 s0, vcc_lo
	s_cbranch_execnz .LBB274_713
.LBB274_700:
	s_wait_alu 0xfffe
	s_or_b32 exec_lo, exec_lo, s0
	s_and_saveexec_b32 s0, vcc_lo
	s_cbranch_execnz .LBB274_714
.LBB274_701:
	s_wait_alu 0xfffe
	s_or_b32 exec_lo, exec_lo, s0
	s_and_saveexec_b32 s0, vcc_lo
	s_cbranch_execz .LBB274_703
.LBB274_702:
	ds_load_b32 v0, v6 offset:256
	s_wait_dscnt 0x0
	v_add_f32_e32 v1, v1, v0
.LBB274_703:
	s_wait_alu 0xfffe
	s_or_b32 exec_lo, exec_lo, s0
.LBB274_704:
	s_wait_alu 0xfffe
	s_or_b32 exec_lo, exec_lo, s1
	s_mov_b32 s1, 0
	s_wait_loadcnt 0x0
	s_barrier_signal -1
	s_barrier_wait -1
	global_inv scope:SCOPE_SE
	s_mov_b32 s0, exec_lo
	v_cmpx_eq_u32_e32 0, v8
	s_cbranch_execz .LBB274_706
; %bb.705:
	s_mul_i32 s2, s22, 0x50
	s_mul_i32 s4, s12, s16
	s_wait_alu 0xfffe
	s_ashr_i32 s3, s2, 31
	s_ashr_i32 s5, s4, 31
	s_wait_alu 0xfffe
	s_lshl_b64 s[2:3], s[2:3], 1
	s_lshl_b64 s[4:5], s[4:5], 1
	s_wait_kmcnt 0x0
	s_wait_alu 0xfffe
	s_add_nc_u64 s[2:3], s[8:9], s[2:3]
	v_lshlrev_b32_e32 v0, 1, v11
	s_mul_i32 s0, s26, 0xa0
	s_wait_alu 0xfffe
	s_add_nc_u64 s[2:3], s[2:3], s[4:5]
	;;#ASMSTART
	v_cvt_f16_f32 v5, v5;

	;;#ASMEND
	s_wait_alu 0xfffe
	s_add_nc_u64 s[0:1], s[2:3], s[0:1]
	global_store_b16 v0, v5, s[0:1]
	;;#ASMSTART
	v_cvt_f16_f32 v4, v4;

	;;#ASMEND
	global_store_b16 v0, v4, s[0:1] offset:32
	;;#ASMSTART
	v_cvt_f16_f32 v3, v3;

	;;#ASMEND
	global_store_b16 v0, v3, s[0:1] offset:64
	;; [unrolled: 5-line block ×4, first 2 shown]
.LBB274_706:
	s_endpgm
.LBB274_707:
	ds_load_b32 v8, v6
	s_wait_dscnt 0x0
	v_add_f32_e32 v5, v5, v8
	s_wait_alu 0xfffe
	s_or_b32 exec_lo, exec_lo, s0
	s_and_saveexec_b32 s0, vcc_lo
	s_cbranch_execz .LBB274_689
.LBB274_708:
	ds_load_b32 v8, v6 offset:64
	s_wait_dscnt 0x0
	v_add_f32_e32 v4, v4, v8
	s_wait_alu 0xfffe
	s_or_b32 exec_lo, exec_lo, s0
	s_and_saveexec_b32 s0, vcc_lo
	s_cbranch_execz .LBB274_690
.LBB274_709:
	ds_load_b32 v8, v6 offset:128
	s_wait_dscnt 0x0
	v_add_f32_e32 v3, v3, v8
	s_wait_alu 0xfffe
	s_or_b32 exec_lo, exec_lo, s0
	s_and_saveexec_b32 s0, vcc_lo
	s_cbranch_execz .LBB274_691
.LBB274_710:
	ds_load_b32 v8, v6 offset:192
	s_wait_dscnt 0x0
	v_add_f32_e32 v2, v2, v8
	s_wait_alu 0xfffe
	s_or_b32 exec_lo, exec_lo, s0
	s_and_saveexec_b32 s0, vcc_lo
	s_cbranch_execnz .LBB274_692
	s_branch .LBB274_693
.LBB274_711:
	ds_load_b32 v0, v6
	s_wait_dscnt 0x0
	v_add_f32_e32 v5, v5, v0
	s_wait_alu 0xfffe
	s_or_b32 exec_lo, exec_lo, s0
	s_and_saveexec_b32 s0, vcc_lo
	s_cbranch_execz .LBB274_699
.LBB274_712:
	ds_load_b32 v0, v6 offset:64
	s_wait_dscnt 0x0
	v_add_f32_e32 v4, v4, v0
	s_wait_alu 0xfffe
	s_or_b32 exec_lo, exec_lo, s0
	s_and_saveexec_b32 s0, vcc_lo
	s_cbranch_execz .LBB274_700
.LBB274_713:
	ds_load_b32 v0, v6 offset:128
	s_wait_dscnt 0x0
	v_add_f32_e32 v3, v3, v0
	s_wait_alu 0xfffe
	s_or_b32 exec_lo, exec_lo, s0
	s_and_saveexec_b32 s0, vcc_lo
	s_cbranch_execz .LBB274_701
.LBB274_714:
	ds_load_b32 v0, v6 offset:192
	s_wait_dscnt 0x0
	v_add_f32_e32 v2, v2, v0
	s_wait_alu 0xfffe
	s_or_b32 exec_lo, exec_lo, s0
	s_and_saveexec_b32 s0, vcc_lo
	s_cbranch_execnz .LBB274_702
	s_branch .LBB274_703
	.section	.rodata,"a",@progbits
	.p2align	6, 0x0
	.amdhsa_kernel _ZN4vllm25paged_attention_v2_kernelIthLi80ELi16ELi128ELNS_18Fp8KVCacheDataTypeE1ELb0ELi512EEEvPfS2_PT_PKS3_PKT0_S9_ifPKiSB_iPKfiiiSD_SD_iiiii
		.amdhsa_group_segment_fixed_size 192
		.amdhsa_private_segment_fixed_size 0
		.amdhsa_kernarg_size 400
		.amdhsa_user_sgpr_count 2
		.amdhsa_user_sgpr_dispatch_ptr 0
		.amdhsa_user_sgpr_queue_ptr 0
		.amdhsa_user_sgpr_kernarg_segment_ptr 1
		.amdhsa_user_sgpr_dispatch_id 0
		.amdhsa_user_sgpr_private_segment_size 0
		.amdhsa_wavefront_size32 1
		.amdhsa_uses_dynamic_stack 0
		.amdhsa_enable_private_segment 0
		.amdhsa_system_sgpr_workgroup_id_x 1
		.amdhsa_system_sgpr_workgroup_id_y 1
		.amdhsa_system_sgpr_workgroup_id_z 1
		.amdhsa_system_sgpr_workgroup_info 0
		.amdhsa_system_vgpr_workitem_id 0
		.amdhsa_next_free_vgpr 94
		.amdhsa_next_free_sgpr 36
		.amdhsa_reserve_vcc 1
		.amdhsa_float_round_mode_32 0
		.amdhsa_float_round_mode_16_64 0
		.amdhsa_float_denorm_mode_32 3
		.amdhsa_float_denorm_mode_16_64 3
		.amdhsa_fp16_overflow 0
		.amdhsa_workgroup_processor_mode 1
		.amdhsa_memory_ordered 1
		.amdhsa_forward_progress 1
		.amdhsa_inst_pref_size 195
		.amdhsa_round_robin_scheduling 0
		.amdhsa_exception_fp_ieee_invalid_op 0
		.amdhsa_exception_fp_denorm_src 0
		.amdhsa_exception_fp_ieee_div_zero 0
		.amdhsa_exception_fp_ieee_overflow 0
		.amdhsa_exception_fp_ieee_underflow 0
		.amdhsa_exception_fp_ieee_inexact 0
		.amdhsa_exception_int_div_zero 0
	.end_amdhsa_kernel
	.section	.text._ZN4vllm25paged_attention_v2_kernelIthLi80ELi16ELi128ELNS_18Fp8KVCacheDataTypeE1ELb0ELi512EEEvPfS2_PT_PKS3_PKT0_S9_ifPKiSB_iPKfiiiSD_SD_iiiii,"axG",@progbits,_ZN4vllm25paged_attention_v2_kernelIthLi80ELi16ELi128ELNS_18Fp8KVCacheDataTypeE1ELb0ELi512EEEvPfS2_PT_PKS3_PKT0_S9_ifPKiSB_iPKfiiiSD_SD_iiiii,comdat
.Lfunc_end274:
	.size	_ZN4vllm25paged_attention_v2_kernelIthLi80ELi16ELi128ELNS_18Fp8KVCacheDataTypeE1ELb0ELi512EEEvPfS2_PT_PKS3_PKT0_S9_ifPKiSB_iPKfiiiSD_SD_iiiii, .Lfunc_end274-_ZN4vllm25paged_attention_v2_kernelIthLi80ELi16ELi128ELNS_18Fp8KVCacheDataTypeE1ELb0ELi512EEEvPfS2_PT_PKS3_PKT0_S9_ifPKiSB_iPKfiiiSD_SD_iiiii
                                        ; -- End function
	.set _ZN4vllm25paged_attention_v2_kernelIthLi80ELi16ELi128ELNS_18Fp8KVCacheDataTypeE1ELb0ELi512EEEvPfS2_PT_PKS3_PKT0_S9_ifPKiSB_iPKfiiiSD_SD_iiiii.num_vgpr, 94
	.set _ZN4vllm25paged_attention_v2_kernelIthLi80ELi16ELi128ELNS_18Fp8KVCacheDataTypeE1ELb0ELi512EEEvPfS2_PT_PKS3_PKT0_S9_ifPKiSB_iPKfiiiSD_SD_iiiii.num_agpr, 0
	.set _ZN4vllm25paged_attention_v2_kernelIthLi80ELi16ELi128ELNS_18Fp8KVCacheDataTypeE1ELb0ELi512EEEvPfS2_PT_PKS3_PKT0_S9_ifPKiSB_iPKfiiiSD_SD_iiiii.numbered_sgpr, 36
	.set _ZN4vllm25paged_attention_v2_kernelIthLi80ELi16ELi128ELNS_18Fp8KVCacheDataTypeE1ELb0ELi512EEEvPfS2_PT_PKS3_PKT0_S9_ifPKiSB_iPKfiiiSD_SD_iiiii.num_named_barrier, 0
	.set _ZN4vllm25paged_attention_v2_kernelIthLi80ELi16ELi128ELNS_18Fp8KVCacheDataTypeE1ELb0ELi512EEEvPfS2_PT_PKS3_PKT0_S9_ifPKiSB_iPKfiiiSD_SD_iiiii.private_seg_size, 0
	.set _ZN4vllm25paged_attention_v2_kernelIthLi80ELi16ELi128ELNS_18Fp8KVCacheDataTypeE1ELb0ELi512EEEvPfS2_PT_PKS3_PKT0_S9_ifPKiSB_iPKfiiiSD_SD_iiiii.uses_vcc, 1
	.set _ZN4vllm25paged_attention_v2_kernelIthLi80ELi16ELi128ELNS_18Fp8KVCacheDataTypeE1ELb0ELi512EEEvPfS2_PT_PKS3_PKT0_S9_ifPKiSB_iPKfiiiSD_SD_iiiii.uses_flat_scratch, 0
	.set _ZN4vllm25paged_attention_v2_kernelIthLi80ELi16ELi128ELNS_18Fp8KVCacheDataTypeE1ELb0ELi512EEEvPfS2_PT_PKS3_PKT0_S9_ifPKiSB_iPKfiiiSD_SD_iiiii.has_dyn_sized_stack, 0
	.set _ZN4vllm25paged_attention_v2_kernelIthLi80ELi16ELi128ELNS_18Fp8KVCacheDataTypeE1ELb0ELi512EEEvPfS2_PT_PKS3_PKT0_S9_ifPKiSB_iPKfiiiSD_SD_iiiii.has_recursion, 0
	.set _ZN4vllm25paged_attention_v2_kernelIthLi80ELi16ELi128ELNS_18Fp8KVCacheDataTypeE1ELb0ELi512EEEvPfS2_PT_PKS3_PKT0_S9_ifPKiSB_iPKfiiiSD_SD_iiiii.has_indirect_call, 0
	.section	.AMDGPU.csdata,"",@progbits
; Kernel info:
; codeLenInByte = 24920
; TotalNumSgprs: 38
; NumVgprs: 94
; ScratchSize: 0
; MemoryBound: 0
; FloatMode: 240
; IeeeMode: 1
; LDSByteSize: 192 bytes/workgroup (compile time only)
; SGPRBlocks: 0
; VGPRBlocks: 11
; NumSGPRsForWavesPerEU: 38
; NumVGPRsForWavesPerEU: 94
; Occupancy: 16
; WaveLimiterHint : 1
; COMPUTE_PGM_RSRC2:SCRATCH_EN: 0
; COMPUTE_PGM_RSRC2:USER_SGPR: 2
; COMPUTE_PGM_RSRC2:TRAP_HANDLER: 0
; COMPUTE_PGM_RSRC2:TGID_X_EN: 1
; COMPUTE_PGM_RSRC2:TGID_Y_EN: 1
; COMPUTE_PGM_RSRC2:TGID_Z_EN: 1
; COMPUTE_PGM_RSRC2:TIDIG_COMP_CNT: 0
	.section	.text._ZN4vllm25paged_attention_v2_kernelIthLi96ELi16ELi128ELNS_18Fp8KVCacheDataTypeE1ELb0ELi512EEEvPfS2_PT_PKS3_PKT0_S9_ifPKiSB_iPKfiiiSD_SD_iiiii,"axG",@progbits,_ZN4vllm25paged_attention_v2_kernelIthLi96ELi16ELi128ELNS_18Fp8KVCacheDataTypeE1ELb0ELi512EEEvPfS2_PT_PKS3_PKT0_S9_ifPKiSB_iPKfiiiSD_SD_iiiii,comdat
	.protected	_ZN4vllm25paged_attention_v2_kernelIthLi96ELi16ELi128ELNS_18Fp8KVCacheDataTypeE1ELb0ELi512EEEvPfS2_PT_PKS3_PKT0_S9_ifPKiSB_iPKfiiiSD_SD_iiiii ; -- Begin function _ZN4vllm25paged_attention_v2_kernelIthLi96ELi16ELi128ELNS_18Fp8KVCacheDataTypeE1ELb0ELi512EEEvPfS2_PT_PKS3_PKT0_S9_ifPKiSB_iPKfiiiSD_SD_iiiii
	.globl	_ZN4vllm25paged_attention_v2_kernelIthLi96ELi16ELi128ELNS_18Fp8KVCacheDataTypeE1ELb0ELi512EEEvPfS2_PT_PKS3_PKT0_S9_ifPKiSB_iPKfiiiSD_SD_iiiii
	.p2align	8
	.type	_ZN4vllm25paged_attention_v2_kernelIthLi96ELi16ELi128ELNS_18Fp8KVCacheDataTypeE1ELb0ELi512EEEvPfS2_PT_PKS3_PKT0_S9_ifPKiSB_iPKfiiiSD_SD_iiiii,@function
_ZN4vllm25paged_attention_v2_kernelIthLi96ELi16ELi128ELNS_18Fp8KVCacheDataTypeE1ELb0ELi512EEEvPfS2_PT_PKS3_PKT0_S9_ifPKiSB_iPKfiiiSD_SD_iiiii: ; @_ZN4vllm25paged_attention_v2_kernelIthLi96ELi16ELi128ELNS_18Fp8KVCacheDataTypeE1ELb0ELi512EEEvPfS2_PT_PKS3_PKT0_S9_ifPKiSB_iPKfiiiSD_SD_iiiii
; %bb.0:
	s_load_b64 s[2:3], s[0:1], 0x40
	s_and_b32 s22, ttmp7, 0xffff
	s_lshr_b32 s26, ttmp7, 16
	s_lshl_b32 s4, s22, 2
	s_lshl_b32 s28, s26, 9
	s_wait_kmcnt 0x0
	s_load_b32 s27, s[2:3], s4 offset:0x0
	s_wait_kmcnt 0x0
	s_cmp_ge_i32 s28, s27
	s_cbranch_scc1 .LBB275_838
; %bb.1:
	s_clause 0x1
	s_load_b32 s23, s[0:1], 0x90
	s_load_b64 s[6:7], s[0:1], 0x30
	s_wait_kmcnt 0x0
	s_abs_i32 s5, s23
	s_abs_i32 s2, s6
	s_delay_alu instid0(SALU_CYCLE_1) | instskip(SKIP_1) | instid1(SALU_CYCLE_2)
	s_cvt_f32_u32 s3, s2
	s_sub_co_i32 s4, 0, s2
	v_rcp_iflag_f32_e32 v1, s3
	s_delay_alu instid0(TRANS32_DEP_1) | instskip(SKIP_2) | instid1(SALU_CYCLE_2)
	v_readfirstlane_b32 s3, v1
	s_mul_f32 s3, s3, 0x4f7ffffe
	s_wait_alu 0xfffe
	s_cvt_u32_f32 s3, s3
	s_wait_alu 0xfffe
	s_delay_alu instid0(SALU_CYCLE_2) | instskip(NEXT) | instid1(SALU_CYCLE_1)
	s_mul_i32 s4, s4, s3
	s_mul_hi_u32 s4, s3, s4
	s_delay_alu instid0(SALU_CYCLE_1)
	s_add_co_i32 s3, s3, s4
	s_xor_b32 s4, s23, s6
	s_wait_alu 0xfffe
	s_mul_hi_u32 s3, s5, s3
	s_ashr_i32 s4, s4, 31
	s_wait_alu 0xfffe
	s_mul_i32 s6, s3, s2
	s_delay_alu instid0(SALU_CYCLE_1)
	s_sub_co_i32 s5, s5, s6
	s_add_co_i32 s6, s3, 1
	s_sub_co_i32 s8, s5, s2
	s_cmp_ge_u32 s5, s2
	s_cselect_b32 s3, s6, s3
	s_cselect_b32 s5, s8, s5
	s_wait_alu 0xfffe
	s_add_co_i32 s6, s3, 1
	s_cmp_ge_u32 s5, s2
	s_load_b64 s[8:9], s[0:1], 0x50
	s_cselect_b32 s2, s6, s3
	s_mov_b32 s3, 0
	s_wait_alu 0xfffe
	s_xor_b32 s2, s2, s4
	s_mov_b32 s6, s3
	s_wait_alu 0xfffe
	s_sub_co_i32 s11, s2, s4
	s_delay_alu instid0(SALU_CYCLE_1) | instskip(NEXT) | instid1(SALU_CYCLE_1)
	s_abs_i32 s10, s11
	s_cvt_f32_u32 s2, s10
	s_wait_alu 0xfffe
	s_delay_alu instid0(SALU_CYCLE_2) | instskip(NEXT) | instid1(TRANS32_DEP_1)
	v_rcp_iflag_f32_e32 v1, s2
	v_readfirstlane_b32 s2, v1
	s_mul_f32 s2, s2, 0x4f7ffffe
	s_wait_alu 0xfffe
	s_delay_alu instid0(SALU_CYCLE_2) | instskip(SKIP_2) | instid1(SALU_CYCLE_1)
	s_cvt_u32_f32 s4, s2
	s_sub_co_i32 s2, 0, s10
	s_wait_alu 0xfffe
	s_mul_i32 s2, s2, s4
	s_wait_alu 0xfffe
	s_mul_hi_u32 s5, s4, s2
	s_abs_i32 s2, ttmp9
	s_add_co_i32 s4, s4, s5
	s_mov_b32 s5, s3
	s_wait_kmcnt 0x0
	s_cmp_eq_u64 s[8:9], 0
	s_cbranch_scc1 .LBB275_3
; %bb.2:
	s_mov_b32 s12, ttmp9
	s_ashr_i32 s13, ttmp9, 31
	s_delay_alu instid0(SALU_CYCLE_1) | instskip(NEXT) | instid1(SALU_CYCLE_1)
	s_lshl_b64 s[12:13], s[12:13], 2
	s_add_nc_u64 s[8:9], s[8:9], s[12:13]
	s_load_b32 s6, s[8:9], 0x0
.LBB275_3:
	s_load_b96 s[12:14], s[0:1], 0x58
	v_lshrrev_b32_e32 v11, 1, v0
	v_and_b32_e32 v12, 1, v0
	v_lshlrev_b32_e32 v10, 3, v0
	s_mul_u64 s[4:5], s[2:3], s[4:5]
	s_ashr_i32 s3, ttmp9, 31
	s_ashr_i32 s4, s11, 31
	s_mul_i32 s16, ttmp9, 0x60
	s_mov_b32 s8, exec_lo
	v_cmpx_gt_u32_e32 24, v0
	s_cbranch_execz .LBB275_5
; %bb.4:
	s_load_b64 s[18:19], s[0:1], 0x18
	s_wait_kmcnt 0x0
	s_mul_i32 s20, s12, s22
	s_ashr_i32 s17, s16, 31
	s_ashr_i32 s21, s20, 31
	v_lshlrev_b32_e32 v3, 3, v11
	s_lshl_b64 s[20:21], s[20:21], 1
	s_delay_alu instid0(VALU_DEP_1) | instskip(SKIP_2) | instid1(SALU_CYCLE_1)
	v_mad_u32_u24 v3, 0x60, v12, v3
	s_add_nc_u64 s[18:19], s[18:19], s[20:21]
	s_lshl_b64 s[20:21], s[16:17], 1
	s_add_nc_u64 s[18:19], s[18:19], s[20:21]
	global_load_b64 v[1:2], v10, s[18:19]
	s_wait_loadcnt 0x0
	ds_store_b64 v3, v[1:2]
.LBB275_5:
	s_or_b32 exec_lo, exec_lo, s8
	s_add_co_i32 s8, s27, 15
	s_wait_alu 0xfffe
	s_xor_b32 s3, s3, s4
	s_ashr_i32 s9, s8, 31
	s_lshl_b32 s30, s26, 5
	s_lshr_b32 s4, s9, 28
	s_mul_i32 s9, s5, s10
	s_add_co_i32 s8, s8, s4
	s_add_co_i32 s4, s30, 32
	s_ashr_i32 s29, s8, 4
	s_load_b32 s8, s[0:1], 0x48
	s_sub_co_i32 s2, s2, s9
	s_min_i32 s17, s4, s29
	s_add_co_i32 s4, s5, 1
	s_wait_alu 0xfffe
	s_sub_co_i32 s9, s2, s10
	s_cmp_ge_u32 s2, s10
	v_lshrrev_b32_e32 v13, 5, v0
	s_cselect_b32 s4, s4, s5
	s_cselect_b32 s2, s9, s2
	s_add_co_i32 s5, s4, 1
	s_wait_alu 0xfffe
	s_cmp_ge_u32 s2, s10
	v_or_b32_e32 v14, s30, v13
	s_cselect_b32 s2, s5, s4
	v_mbcnt_lo_u32_b32 v16, -1, 0
	s_wait_alu 0xfffe
	s_xor_b32 s2, s2, s3
	s_mov_b32 s4, exec_lo
	s_wait_alu 0xfffe
	s_sub_co_i32 s3, s2, s3
	v_cmp_gt_i32_e64 s2, s17, v14
	s_wait_dscnt 0x0
	s_barrier_signal -1
	s_wait_kmcnt 0x0
	s_mul_i32 s18, s8, s22
	s_barrier_wait -1
	s_ashr_i32 s19, s18, 31
	global_inv scope:SCOPE_SE
                                        ; implicit-def: $vgpr2
                                        ; implicit-def: $vgpr18
	v_cmpx_le_i32_e64 s17, v14
	s_xor_b32 s4, exec_lo, s4
; %bb.6:
	v_mov_b32_e32 v2, 0
	v_mbcnt_lo_u32_b32 v16, -1, 0
	v_mov_b32_e32 v18, 32
; %bb.7:
	s_or_saveexec_b32 s24, s4
	s_clause 0x2
	s_load_b32 s12, s[0:1], 0x98
	s_load_b64 s[20:21], s[0:1], 0x38
	s_load_b128 s[8:11], s[0:1], 0x68
	v_mov_b32_e32 v17, 0xff7fffff
	v_lshlrev_b32_e32 v15, 2, v14
	s_mul_i32 s14, s3, s14
	s_xor_b32 exec_lo, exec_lo, s24
	s_cbranch_execz .LBB275_397
; %bb.8:
	s_load_b64 s[4:5], s[0:1], 0x20
	v_bfe_u32 v1, v0, 1, 4
	v_dual_mov_b32 v17, 0xff7fffff :: v_dual_lshlrev_b32 v4, 4, v13
	s_ashr_i32 s15, s14, 31
	s_cmp_neq_f32 s6, 0
	s_delay_alu instid0(VALU_DEP_2)
	v_dual_mov_b32 v18, 32 :: v_dual_lshlrev_b32 v5, 4, v1
	v_lshlrev_b32_e32 v6, 2, v1
	v_dual_mov_b32 v2, 0 :: v_dual_lshlrev_b32 v3, 2, v12
	v_add3_u32 v20, s28, v4, v1
	s_cselect_b32 s3, -1, 0
	s_lshl_b64 s[34:35], s[18:19], 2
	v_lshl_or_b32 v1, v13, 6, v6
	s_wait_kmcnt 0x0
	s_add_nc_u64 s[34:35], s[20:21], s[34:35]
	v_mul_u32_u24_e32 v19, 0x60, v12
	v_mov_b32_e32 v22, v14
	s_mov_b32 s25, s13
	v_add_nc_u32_e32 v21, 0xe0, v1
	s_add_nc_u64 s[4:5], s[4:5], s[14:15]
	s_mov_b32 s15, 0
	v_add_co_u32 v4, s4, s4, v5
	s_wait_alu 0xf1ff
	v_add_co_ci_u32_e64 v5, null, s5, 0, s4
	s_sub_co_i32 s31, 1, s27
	v_add_co_u32 v3, s4, v4, v3
	s_wait_alu 0xf1ff
	v_add_co_ci_u32_e64 v4, null, 0, v5, s4
	v_add_co_u32 v5, s4, s34, v15
	s_wait_alu 0xf1ff
	v_add_co_ci_u32_e64 v6, null, s35, 0, s4
	v_cmp_eq_u32_e32 vcc_lo, 0, v12
	s_branch .LBB275_10
.LBB275_9:                              ;   in Loop: Header=BB275_10 Depth=1
	s_wait_alu 0xfffe
	s_or_b32 exec_lo, exec_lo, s5
	v_add_nc_u32_e32 v22, 4, v22
	v_add_co_u32 v5, s5, v5, 16
	v_add_nc_u32_e32 v20, 64, v20
	v_add_nc_u32_e32 v21, 0x100, v21
	s_delay_alu instid0(VALU_DEP_4) | instskip(SKIP_3) | instid1(SALU_CYCLE_1)
	v_cmp_le_i32_e64 s4, s17, v22
	s_wait_alu 0xf1ff
	v_add_co_ci_u32_e64 v6, null, 0, v6, s5
	s_or_b32 s15, s4, s15
	s_and_not1_b32 exec_lo, exec_lo, s15
	s_cbranch_execz .LBB275_396
.LBB275_10:                             ; =>This Inner Loop Header: Depth=1
	global_load_b32 v1, v[5:6], off
	v_mov_b32_e32 v25, 0
	s_mov_b32 s5, exec_lo
	s_wait_loadcnt_dscnt 0x0
	v_mad_co_i64_i32 v[7:8], null, v1, s25, v[3:4]
	global_load_b32 v9, v[7:8], off
	s_wait_loadcnt 0x0
	v_dual_mov_b32 v24, 0 :: v_dual_and_b32 v1, 0xff, v9
	global_load_b32 v23, v24, s[8:9]
	v_cmpx_ne_u16_e32 0, v1
	s_cbranch_execz .LBB275_18
; %bb.11:                               ;   in Loop: Header=BB275_10 Depth=1
	v_mov_b32_e32 v25, 0x8000
	s_mov_b32 s33, exec_lo
	v_cmpx_ne_u16_e32 0x80, v1
	s_cbranch_execz .LBB275_17
; %bb.12:                               ;   in Loop: Header=BB275_10 Depth=1
	v_and_b32_e32 v26, 0x7f, v9
	v_mov_b32_e32 v25, 0x7c01
	s_mov_b32 s34, exec_lo
	s_delay_alu instid0(VALU_DEP_2)
	v_cmpx_ne_u32_e32 0x7f, v26
	s_cbranch_execz .LBB275_16
; %bb.13:                               ;   in Loop: Header=BB275_10 Depth=1
	v_and_b32_e32 v1, 7, v9
	v_lshrrev_b32_e32 v25, 3, v26
	s_mov_b32 s35, exec_lo
	v_cmpx_gt_u32_e32 8, v26
; %bb.14:                               ;   in Loop: Header=BB275_10 Depth=1
	s_delay_alu instid0(VALU_DEP_3) | instskip(NEXT) | instid1(VALU_DEP_1)
	v_clz_i32_u32_e32 v1, v1
	v_min_u32_e32 v1, 32, v1
	s_delay_alu instid0(VALU_DEP_1) | instskip(NEXT) | instid1(VALU_DEP_1)
	v_subrev_nc_u32_e32 v25, 28, v1
	v_lshlrev_b64_e32 v[26:27], v25, v[9:10]
	v_sub_nc_u32_e32 v25, 29, v1
	s_delay_alu instid0(VALU_DEP_2)
	v_and_b32_e32 v1, 7, v26
; %bb.15:                               ;   in Loop: Header=BB275_10 Depth=1
	s_wait_alu 0xfffe
	s_or_b32 exec_lo, exec_lo, s35
	v_lshlrev_b32_e32 v26, 8, v9
	v_lshl_add_u32 v25, v25, 10, 0x2000
	v_lshlrev_b32_e32 v1, 7, v1
	s_delay_alu instid0(VALU_DEP_3) | instskip(NEXT) | instid1(VALU_DEP_3)
	v_and_b32_e32 v26, 0x8000, v26
	v_and_b32_e32 v25, 0xfc00, v25
	s_delay_alu instid0(VALU_DEP_1)
	v_or3_b32 v25, v26, v25, v1
.LBB275_16:                             ;   in Loop: Header=BB275_10 Depth=1
	s_wait_alu 0xfffe
	s_or_b32 exec_lo, exec_lo, s34
.LBB275_17:                             ;   in Loop: Header=BB275_10 Depth=1
	s_delay_alu instid0(SALU_CYCLE_1)
	s_or_b32 exec_lo, exec_lo, s33
.LBB275_18:                             ;   in Loop: Header=BB275_10 Depth=1
	s_wait_alu 0xfffe
	s_or_b32 exec_lo, exec_lo, s5
	v_lshrrev_b16 v1, 8, v9
	s_mov_b32 s5, exec_lo
	s_delay_alu instid0(VALU_DEP_1)
	v_cmpx_ne_u16_e32 0, v1
	s_cbranch_execz .LBB275_26
; %bb.19:                               ;   in Loop: Header=BB275_10 Depth=1
	v_bfrev_b32_e32 v24, 1
	s_mov_b32 s33, exec_lo
	v_cmpx_ne_u16_e32 0x80, v1
	s_cbranch_execz .LBB275_25
; %bb.20:                               ;   in Loop: Header=BB275_10 Depth=1
	v_and_b32_e32 v26, 0xffff, v1
	v_mov_b32_e32 v24, 0x7c010000
	s_mov_b32 s34, exec_lo
	s_delay_alu instid0(VALU_DEP_2) | instskip(NEXT) | instid1(VALU_DEP_1)
	v_and_b32_e32 v28, 0x7f, v26
	v_cmpx_ne_u32_e32 0x7f, v28
	s_cbranch_execz .LBB275_24
; %bb.21:                               ;   in Loop: Header=BB275_10 Depth=1
	v_and_b32_e32 v24, 7, v26
	v_lshrrev_b32_e32 v27, 3, v28
	s_mov_b32 s35, exec_lo
	v_cmpx_gt_u32_e32 8, v28
; %bb.22:                               ;   in Loop: Header=BB275_10 Depth=1
	s_delay_alu instid0(VALU_DEP_3) | instskip(NEXT) | instid1(VALU_DEP_1)
	v_clz_i32_u32_e32 v24, v24
	v_min_u32_e32 v24, 32, v24
	s_delay_alu instid0(VALU_DEP_1) | instskip(NEXT) | instid1(VALU_DEP_1)
	v_subrev_nc_u32_e32 v27, 28, v24
	v_lshlrev_b64_e32 v[28:29], v27, v[1:2]
	v_sub_nc_u32_e32 v27, 29, v24
	s_delay_alu instid0(VALU_DEP_2)
	v_and_b32_e32 v24, 7, v28
; %bb.23:                               ;   in Loop: Header=BB275_10 Depth=1
	s_wait_alu 0xfffe
	s_or_b32 exec_lo, exec_lo, s35
	v_lshlrev_b32_e32 v1, 8, v26
	v_lshl_add_u32 v26, v27, 10, 0x2000
	v_lshlrev_b32_e32 v24, 23, v24
	s_delay_alu instid0(VALU_DEP_2) | instskip(NEXT) | instid1(VALU_DEP_1)
	v_and_or_b32 v1, 0x8000, v1, v26
	v_lshl_or_b32 v24, v1, 16, v24
.LBB275_24:                             ;   in Loop: Header=BB275_10 Depth=1
	s_wait_alu 0xfffe
	s_or_b32 exec_lo, exec_lo, s34
.LBB275_25:                             ;   in Loop: Header=BB275_10 Depth=1
	s_delay_alu instid0(SALU_CYCLE_1)
	s_or_b32 exec_lo, exec_lo, s33
.LBB275_26:                             ;   in Loop: Header=BB275_10 Depth=1
	s_wait_alu 0xfffe
	s_or_b32 exec_lo, exec_lo, s5
	v_lshrrev_b32_e32 v1, 16, v9
	v_mov_b32_e32 v26, 0
	s_mov_b32 s5, exec_lo
	s_delay_alu instid0(VALU_DEP_2) | instskip(NEXT) | instid1(VALU_DEP_1)
	v_dual_mov_b32 v27, 0 :: v_dual_and_b32 v28, 0xff, v1
	v_cmpx_ne_u16_e32 0, v28
	s_cbranch_execz .LBB275_34
; %bb.27:                               ;   in Loop: Header=BB275_10 Depth=1
	v_mov_b32_e32 v27, 0x8000
	s_mov_b32 s33, exec_lo
	v_cmpx_ne_u16_e32 0x80, v28
	s_cbranch_execz .LBB275_33
; %bb.28:                               ;   in Loop: Header=BB275_10 Depth=1
	v_bfe_u32 v29, v9, 16, 7
	v_mov_b32_e32 v27, 0x7c01
	s_mov_b32 s34, exec_lo
	s_delay_alu instid0(VALU_DEP_2)
	v_cmpx_ne_u32_e32 0x7f, v29
	s_cbranch_execz .LBB275_32
; %bb.29:                               ;   in Loop: Header=BB275_10 Depth=1
	v_and_b32_e32 v27, 7, v1
	v_lshrrev_b32_e32 v28, 3, v29
	s_mov_b32 s35, exec_lo
	v_cmpx_gt_u32_e32 8, v29
; %bb.30:                               ;   in Loop: Header=BB275_10 Depth=1
	s_delay_alu instid0(VALU_DEP_3) | instskip(NEXT) | instid1(VALU_DEP_1)
	v_clz_i32_u32_e32 v27, v27
	v_min_u32_e32 v29, 32, v27
	s_delay_alu instid0(VALU_DEP_1) | instskip(NEXT) | instid1(VALU_DEP_1)
	v_subrev_nc_u32_e32 v27, 28, v29
	v_lshlrev_b64_e32 v[27:28], v27, v[1:2]
	v_sub_nc_u32_e32 v28, 29, v29
	s_delay_alu instid0(VALU_DEP_2)
	v_and_b32_e32 v27, 7, v27
; %bb.31:                               ;   in Loop: Header=BB275_10 Depth=1
	s_wait_alu 0xfffe
	s_or_b32 exec_lo, exec_lo, s35
	v_lshlrev_b32_e32 v1, 8, v1
	v_lshl_add_u32 v28, v28, 10, 0x2000
	v_lshlrev_b32_e32 v27, 7, v27
	s_delay_alu instid0(VALU_DEP_3) | instskip(NEXT) | instid1(VALU_DEP_3)
	v_and_b32_e32 v1, 0x8000, v1
	v_and_b32_e32 v28, 0xfc00, v28
	s_delay_alu instid0(VALU_DEP_1)
	v_or3_b32 v27, v1, v28, v27
.LBB275_32:                             ;   in Loop: Header=BB275_10 Depth=1
	s_wait_alu 0xfffe
	s_or_b32 exec_lo, exec_lo, s34
.LBB275_33:                             ;   in Loop: Header=BB275_10 Depth=1
	s_delay_alu instid0(SALU_CYCLE_1)
	s_or_b32 exec_lo, exec_lo, s33
.LBB275_34:                             ;   in Loop: Header=BB275_10 Depth=1
	s_wait_alu 0xfffe
	s_or_b32 exec_lo, exec_lo, s5
	s_delay_alu instid0(SALU_CYCLE_1)
	s_mov_b32 s5, exec_lo
	v_cmpx_lt_u32_e32 0xffffff, v9
	s_cbranch_execz .LBB275_42
; %bb.35:                               ;   in Loop: Header=BB275_10 Depth=1
	v_lshrrev_b32_e32 v1, 24, v9
	v_bfrev_b32_e32 v26, 1
	s_mov_b32 s33, exec_lo
	s_delay_alu instid0(VALU_DEP_2)
	v_cmpx_ne_u32_e32 0x80, v1
	s_cbranch_execz .LBB275_41
; %bb.36:                               ;   in Loop: Header=BB275_10 Depth=1
	v_and_b32_e32 v28, 0x7f, v1
	v_mov_b32_e32 v26, 0x7c010000
	s_mov_b32 s34, exec_lo
	s_delay_alu instid0(VALU_DEP_2)
	v_cmpx_ne_u32_e32 0x7f, v28
	s_cbranch_execz .LBB275_40
; %bb.37:                               ;   in Loop: Header=BB275_10 Depth=1
	v_and_b32_e32 v9, 7, v1
	v_lshrrev_b32_e32 v26, 3, v28
	s_mov_b32 s35, exec_lo
	v_cmpx_gt_u32_e32 8, v28
; %bb.38:                               ;   in Loop: Header=BB275_10 Depth=1
	s_delay_alu instid0(VALU_DEP_3) | instskip(NEXT) | instid1(VALU_DEP_1)
	v_clz_i32_u32_e32 v9, v9
	v_min_u32_e32 v9, 32, v9
	s_delay_alu instid0(VALU_DEP_1) | instskip(NEXT) | instid1(VALU_DEP_1)
	v_subrev_nc_u32_e32 v26, 28, v9
	v_lshlrev_b64_e32 v[28:29], v26, v[1:2]
	v_sub_nc_u32_e32 v26, 29, v9
	s_delay_alu instid0(VALU_DEP_2)
	v_and_b32_e32 v9, 7, v28
; %bb.39:                               ;   in Loop: Header=BB275_10 Depth=1
	s_wait_alu 0xfffe
	s_or_b32 exec_lo, exec_lo, s35
	v_lshlrev_b32_e32 v1, 8, v1
	v_lshl_add_u32 v26, v26, 10, 0x2000
	v_lshlrev_b32_e32 v9, 23, v9
	s_delay_alu instid0(VALU_DEP_2) | instskip(NEXT) | instid1(VALU_DEP_1)
	v_and_or_b32 v1, 0x8000, v1, v26
	v_lshl_or_b32 v26, v1, 16, v9
.LBB275_40:                             ;   in Loop: Header=BB275_10 Depth=1
	s_wait_alu 0xfffe
	s_or_b32 exec_lo, exec_lo, s34
.LBB275_41:                             ;   in Loop: Header=BB275_10 Depth=1
	s_delay_alu instid0(SALU_CYCLE_1)
	s_or_b32 exec_lo, exec_lo, s33
.LBB275_42:                             ;   in Loop: Header=BB275_10 Depth=1
	s_wait_alu 0xfffe
	s_or_b32 exec_lo, exec_lo, s5
	global_load_b32 v9, v[7:8], off offset:8
	v_mov_b32_e32 v29, 0
	s_mov_b32 s5, exec_lo
	s_wait_loadcnt 0x0
	v_dual_mov_b32 v28, 0 :: v_dual_and_b32 v1, 0xff, v9
	s_delay_alu instid0(VALU_DEP_1)
	v_cmpx_ne_u16_e32 0, v1
	s_cbranch_execz .LBB275_50
; %bb.43:                               ;   in Loop: Header=BB275_10 Depth=1
	v_mov_b32_e32 v29, 0x8000
	s_mov_b32 s33, exec_lo
	v_cmpx_ne_u16_e32 0x80, v1
	s_cbranch_execz .LBB275_49
; %bb.44:                               ;   in Loop: Header=BB275_10 Depth=1
	v_and_b32_e32 v30, 0x7f, v9
	v_mov_b32_e32 v29, 0x7c01
	s_mov_b32 s34, exec_lo
	s_delay_alu instid0(VALU_DEP_2)
	v_cmpx_ne_u32_e32 0x7f, v30
	s_cbranch_execz .LBB275_48
; %bb.45:                               ;   in Loop: Header=BB275_10 Depth=1
	v_and_b32_e32 v1, 7, v9
	v_lshrrev_b32_e32 v29, 3, v30
	s_mov_b32 s35, exec_lo
	v_cmpx_gt_u32_e32 8, v30
; %bb.46:                               ;   in Loop: Header=BB275_10 Depth=1
	s_delay_alu instid0(VALU_DEP_3) | instskip(NEXT) | instid1(VALU_DEP_1)
	v_clz_i32_u32_e32 v1, v1
	v_min_u32_e32 v1, 32, v1
	s_delay_alu instid0(VALU_DEP_1) | instskip(NEXT) | instid1(VALU_DEP_1)
	v_subrev_nc_u32_e32 v29, 28, v1
	v_lshlrev_b64_e32 v[30:31], v29, v[9:10]
	v_sub_nc_u32_e32 v29, 29, v1
	s_delay_alu instid0(VALU_DEP_2)
	v_and_b32_e32 v1, 7, v30
; %bb.47:                               ;   in Loop: Header=BB275_10 Depth=1
	s_wait_alu 0xfffe
	s_or_b32 exec_lo, exec_lo, s35
	v_lshlrev_b32_e32 v30, 8, v9
	v_lshl_add_u32 v29, v29, 10, 0x2000
	v_lshlrev_b32_e32 v1, 7, v1
	s_delay_alu instid0(VALU_DEP_3) | instskip(NEXT) | instid1(VALU_DEP_3)
	v_and_b32_e32 v30, 0x8000, v30
	v_and_b32_e32 v29, 0xfc00, v29
	s_delay_alu instid0(VALU_DEP_1)
	v_or3_b32 v29, v30, v29, v1
.LBB275_48:                             ;   in Loop: Header=BB275_10 Depth=1
	s_wait_alu 0xfffe
	s_or_b32 exec_lo, exec_lo, s34
.LBB275_49:                             ;   in Loop: Header=BB275_10 Depth=1
	s_delay_alu instid0(SALU_CYCLE_1)
	s_or_b32 exec_lo, exec_lo, s33
.LBB275_50:                             ;   in Loop: Header=BB275_10 Depth=1
	s_wait_alu 0xfffe
	s_or_b32 exec_lo, exec_lo, s5
	v_lshrrev_b16 v1, 8, v9
	s_mov_b32 s5, exec_lo
	s_delay_alu instid0(VALU_DEP_1)
	v_cmpx_ne_u16_e32 0, v1
	s_cbranch_execz .LBB275_58
; %bb.51:                               ;   in Loop: Header=BB275_10 Depth=1
	v_bfrev_b32_e32 v28, 1
	s_mov_b32 s33, exec_lo
	v_cmpx_ne_u16_e32 0x80, v1
	s_cbranch_execz .LBB275_57
; %bb.52:                               ;   in Loop: Header=BB275_10 Depth=1
	v_and_b32_e32 v30, 0xffff, v1
	v_mov_b32_e32 v28, 0x7c010000
	s_mov_b32 s34, exec_lo
	s_delay_alu instid0(VALU_DEP_2) | instskip(NEXT) | instid1(VALU_DEP_1)
	v_and_b32_e32 v32, 0x7f, v30
	v_cmpx_ne_u32_e32 0x7f, v32
	s_cbranch_execz .LBB275_56
; %bb.53:                               ;   in Loop: Header=BB275_10 Depth=1
	v_and_b32_e32 v28, 7, v30
	v_lshrrev_b32_e32 v31, 3, v32
	s_mov_b32 s35, exec_lo
	v_cmpx_gt_u32_e32 8, v32
; %bb.54:                               ;   in Loop: Header=BB275_10 Depth=1
	s_delay_alu instid0(VALU_DEP_3) | instskip(NEXT) | instid1(VALU_DEP_1)
	v_clz_i32_u32_e32 v28, v28
	v_min_u32_e32 v28, 32, v28
	s_delay_alu instid0(VALU_DEP_1) | instskip(NEXT) | instid1(VALU_DEP_1)
	v_subrev_nc_u32_e32 v31, 28, v28
	v_lshlrev_b64_e32 v[32:33], v31, v[1:2]
	v_sub_nc_u32_e32 v31, 29, v28
	s_delay_alu instid0(VALU_DEP_2)
	v_and_b32_e32 v28, 7, v32
; %bb.55:                               ;   in Loop: Header=BB275_10 Depth=1
	s_wait_alu 0xfffe
	s_or_b32 exec_lo, exec_lo, s35
	v_lshlrev_b32_e32 v1, 8, v30
	v_lshl_add_u32 v30, v31, 10, 0x2000
	v_lshlrev_b32_e32 v28, 23, v28
	s_delay_alu instid0(VALU_DEP_2) | instskip(NEXT) | instid1(VALU_DEP_1)
	v_and_or_b32 v1, 0x8000, v1, v30
	v_lshl_or_b32 v28, v1, 16, v28
.LBB275_56:                             ;   in Loop: Header=BB275_10 Depth=1
	s_wait_alu 0xfffe
	s_or_b32 exec_lo, exec_lo, s34
.LBB275_57:                             ;   in Loop: Header=BB275_10 Depth=1
	s_delay_alu instid0(SALU_CYCLE_1)
	s_or_b32 exec_lo, exec_lo, s33
.LBB275_58:                             ;   in Loop: Header=BB275_10 Depth=1
	s_wait_alu 0xfffe
	s_or_b32 exec_lo, exec_lo, s5
	v_lshrrev_b32_e32 v1, 16, v9
	v_mov_b32_e32 v30, 0
	s_mov_b32 s5, exec_lo
	s_delay_alu instid0(VALU_DEP_2) | instskip(NEXT) | instid1(VALU_DEP_1)
	v_dual_mov_b32 v31, 0 :: v_dual_and_b32 v32, 0xff, v1
	v_cmpx_ne_u16_e32 0, v32
	s_cbranch_execz .LBB275_66
; %bb.59:                               ;   in Loop: Header=BB275_10 Depth=1
	v_mov_b32_e32 v31, 0x8000
	s_mov_b32 s33, exec_lo
	v_cmpx_ne_u16_e32 0x80, v32
	s_cbranch_execz .LBB275_65
; %bb.60:                               ;   in Loop: Header=BB275_10 Depth=1
	v_bfe_u32 v33, v9, 16, 7
	v_mov_b32_e32 v31, 0x7c01
	s_mov_b32 s34, exec_lo
	s_delay_alu instid0(VALU_DEP_2)
	v_cmpx_ne_u32_e32 0x7f, v33
	s_cbranch_execz .LBB275_64
; %bb.61:                               ;   in Loop: Header=BB275_10 Depth=1
	v_and_b32_e32 v31, 7, v1
	v_lshrrev_b32_e32 v32, 3, v33
	s_mov_b32 s35, exec_lo
	v_cmpx_gt_u32_e32 8, v33
; %bb.62:                               ;   in Loop: Header=BB275_10 Depth=1
	s_delay_alu instid0(VALU_DEP_3) | instskip(NEXT) | instid1(VALU_DEP_1)
	v_clz_i32_u32_e32 v31, v31
	v_min_u32_e32 v33, 32, v31
	s_delay_alu instid0(VALU_DEP_1) | instskip(NEXT) | instid1(VALU_DEP_1)
	v_subrev_nc_u32_e32 v31, 28, v33
	v_lshlrev_b64_e32 v[31:32], v31, v[1:2]
	v_sub_nc_u32_e32 v32, 29, v33
	s_delay_alu instid0(VALU_DEP_2)
	v_and_b32_e32 v31, 7, v31
; %bb.63:                               ;   in Loop: Header=BB275_10 Depth=1
	s_wait_alu 0xfffe
	s_or_b32 exec_lo, exec_lo, s35
	v_lshlrev_b32_e32 v1, 8, v1
	v_lshl_add_u32 v32, v32, 10, 0x2000
	v_lshlrev_b32_e32 v31, 7, v31
	s_delay_alu instid0(VALU_DEP_3) | instskip(NEXT) | instid1(VALU_DEP_3)
	v_and_b32_e32 v1, 0x8000, v1
	v_and_b32_e32 v32, 0xfc00, v32
	s_delay_alu instid0(VALU_DEP_1)
	v_or3_b32 v31, v1, v32, v31
.LBB275_64:                             ;   in Loop: Header=BB275_10 Depth=1
	s_wait_alu 0xfffe
	s_or_b32 exec_lo, exec_lo, s34
.LBB275_65:                             ;   in Loop: Header=BB275_10 Depth=1
	s_delay_alu instid0(SALU_CYCLE_1)
	s_or_b32 exec_lo, exec_lo, s33
.LBB275_66:                             ;   in Loop: Header=BB275_10 Depth=1
	s_wait_alu 0xfffe
	s_or_b32 exec_lo, exec_lo, s5
	s_delay_alu instid0(SALU_CYCLE_1)
	s_mov_b32 s5, exec_lo
	v_cmpx_lt_u32_e32 0xffffff, v9
	s_cbranch_execz .LBB275_74
; %bb.67:                               ;   in Loop: Header=BB275_10 Depth=1
	v_lshrrev_b32_e32 v1, 24, v9
	v_bfrev_b32_e32 v30, 1
	s_mov_b32 s33, exec_lo
	s_delay_alu instid0(VALU_DEP_2)
	v_cmpx_ne_u32_e32 0x80, v1
	s_cbranch_execz .LBB275_73
; %bb.68:                               ;   in Loop: Header=BB275_10 Depth=1
	v_and_b32_e32 v32, 0x7f, v1
	v_mov_b32_e32 v30, 0x7c010000
	s_mov_b32 s34, exec_lo
	s_delay_alu instid0(VALU_DEP_2)
	v_cmpx_ne_u32_e32 0x7f, v32
	s_cbranch_execz .LBB275_72
; %bb.69:                               ;   in Loop: Header=BB275_10 Depth=1
	v_and_b32_e32 v9, 7, v1
	v_lshrrev_b32_e32 v30, 3, v32
	s_mov_b32 s35, exec_lo
	v_cmpx_gt_u32_e32 8, v32
; %bb.70:                               ;   in Loop: Header=BB275_10 Depth=1
	s_delay_alu instid0(VALU_DEP_3) | instskip(NEXT) | instid1(VALU_DEP_1)
	v_clz_i32_u32_e32 v9, v9
	v_min_u32_e32 v9, 32, v9
	s_delay_alu instid0(VALU_DEP_1) | instskip(NEXT) | instid1(VALU_DEP_1)
	v_subrev_nc_u32_e32 v30, 28, v9
	v_lshlrev_b64_e32 v[32:33], v30, v[1:2]
	v_sub_nc_u32_e32 v30, 29, v9
	s_delay_alu instid0(VALU_DEP_2)
	v_and_b32_e32 v9, 7, v32
; %bb.71:                               ;   in Loop: Header=BB275_10 Depth=1
	s_wait_alu 0xfffe
	s_or_b32 exec_lo, exec_lo, s35
	v_lshlrev_b32_e32 v1, 8, v1
	v_lshl_add_u32 v30, v30, 10, 0x2000
	v_lshlrev_b32_e32 v9, 23, v9
	s_delay_alu instid0(VALU_DEP_2) | instskip(NEXT) | instid1(VALU_DEP_1)
	v_and_or_b32 v1, 0x8000, v1, v30
	v_lshl_or_b32 v30, v1, 16, v9
.LBB275_72:                             ;   in Loop: Header=BB275_10 Depth=1
	s_wait_alu 0xfffe
	s_or_b32 exec_lo, exec_lo, s34
.LBB275_73:                             ;   in Loop: Header=BB275_10 Depth=1
	s_delay_alu instid0(SALU_CYCLE_1)
	s_or_b32 exec_lo, exec_lo, s33
.LBB275_74:                             ;   in Loop: Header=BB275_10 Depth=1
	s_wait_alu 0xfffe
	s_or_b32 exec_lo, exec_lo, s5
	global_load_b32 v9, v[7:8], off offset:256
	v_mov_b32_e32 v33, 0
	s_mov_b32 s5, exec_lo
	s_wait_loadcnt 0x0
	v_dual_mov_b32 v32, 0 :: v_dual_and_b32 v1, 0xff, v9
	s_delay_alu instid0(VALU_DEP_1)
	v_cmpx_ne_u16_e32 0, v1
	s_cbranch_execz .LBB275_82
; %bb.75:                               ;   in Loop: Header=BB275_10 Depth=1
	v_mov_b32_e32 v33, 0x8000
	s_mov_b32 s33, exec_lo
	v_cmpx_ne_u16_e32 0x80, v1
	s_cbranch_execz .LBB275_81
; %bb.76:                               ;   in Loop: Header=BB275_10 Depth=1
	v_and_b32_e32 v34, 0x7f, v9
	v_mov_b32_e32 v33, 0x7c01
	s_mov_b32 s34, exec_lo
	s_delay_alu instid0(VALU_DEP_2)
	v_cmpx_ne_u32_e32 0x7f, v34
	s_cbranch_execz .LBB275_80
; %bb.77:                               ;   in Loop: Header=BB275_10 Depth=1
	v_and_b32_e32 v1, 7, v9
	v_lshrrev_b32_e32 v33, 3, v34
	s_mov_b32 s35, exec_lo
	v_cmpx_gt_u32_e32 8, v34
; %bb.78:                               ;   in Loop: Header=BB275_10 Depth=1
	s_delay_alu instid0(VALU_DEP_3) | instskip(NEXT) | instid1(VALU_DEP_1)
	v_clz_i32_u32_e32 v1, v1
	v_min_u32_e32 v1, 32, v1
	s_delay_alu instid0(VALU_DEP_1) | instskip(NEXT) | instid1(VALU_DEP_1)
	v_subrev_nc_u32_e32 v33, 28, v1
	v_lshlrev_b64_e32 v[34:35], v33, v[9:10]
	v_sub_nc_u32_e32 v33, 29, v1
	s_delay_alu instid0(VALU_DEP_2)
	v_and_b32_e32 v1, 7, v34
; %bb.79:                               ;   in Loop: Header=BB275_10 Depth=1
	s_wait_alu 0xfffe
	s_or_b32 exec_lo, exec_lo, s35
	v_lshlrev_b32_e32 v34, 8, v9
	v_lshl_add_u32 v33, v33, 10, 0x2000
	v_lshlrev_b32_e32 v1, 7, v1
	s_delay_alu instid0(VALU_DEP_3) | instskip(NEXT) | instid1(VALU_DEP_3)
	v_and_b32_e32 v34, 0x8000, v34
	v_and_b32_e32 v33, 0xfc00, v33
	s_delay_alu instid0(VALU_DEP_1)
	v_or3_b32 v33, v34, v33, v1
.LBB275_80:                             ;   in Loop: Header=BB275_10 Depth=1
	s_wait_alu 0xfffe
	s_or_b32 exec_lo, exec_lo, s34
.LBB275_81:                             ;   in Loop: Header=BB275_10 Depth=1
	s_delay_alu instid0(SALU_CYCLE_1)
	s_or_b32 exec_lo, exec_lo, s33
.LBB275_82:                             ;   in Loop: Header=BB275_10 Depth=1
	s_wait_alu 0xfffe
	s_or_b32 exec_lo, exec_lo, s5
	v_lshrrev_b16 v1, 8, v9
	s_mov_b32 s5, exec_lo
	s_delay_alu instid0(VALU_DEP_1)
	v_cmpx_ne_u16_e32 0, v1
	s_cbranch_execz .LBB275_90
; %bb.83:                               ;   in Loop: Header=BB275_10 Depth=1
	v_bfrev_b32_e32 v32, 1
	s_mov_b32 s33, exec_lo
	v_cmpx_ne_u16_e32 0x80, v1
	s_cbranch_execz .LBB275_89
; %bb.84:                               ;   in Loop: Header=BB275_10 Depth=1
	v_and_b32_e32 v34, 0xffff, v1
	v_mov_b32_e32 v32, 0x7c010000
	s_mov_b32 s34, exec_lo
	s_delay_alu instid0(VALU_DEP_2) | instskip(NEXT) | instid1(VALU_DEP_1)
	v_and_b32_e32 v36, 0x7f, v34
	v_cmpx_ne_u32_e32 0x7f, v36
	s_cbranch_execz .LBB275_88
; %bb.85:                               ;   in Loop: Header=BB275_10 Depth=1
	v_and_b32_e32 v32, 7, v34
	v_lshrrev_b32_e32 v35, 3, v36
	s_mov_b32 s35, exec_lo
	v_cmpx_gt_u32_e32 8, v36
; %bb.86:                               ;   in Loop: Header=BB275_10 Depth=1
	s_delay_alu instid0(VALU_DEP_3) | instskip(NEXT) | instid1(VALU_DEP_1)
	v_clz_i32_u32_e32 v32, v32
	v_min_u32_e32 v32, 32, v32
	s_delay_alu instid0(VALU_DEP_1) | instskip(NEXT) | instid1(VALU_DEP_1)
	v_subrev_nc_u32_e32 v35, 28, v32
	v_lshlrev_b64_e32 v[36:37], v35, v[1:2]
	v_sub_nc_u32_e32 v35, 29, v32
	s_delay_alu instid0(VALU_DEP_2)
	v_and_b32_e32 v32, 7, v36
; %bb.87:                               ;   in Loop: Header=BB275_10 Depth=1
	s_wait_alu 0xfffe
	s_or_b32 exec_lo, exec_lo, s35
	v_lshlrev_b32_e32 v1, 8, v34
	v_lshl_add_u32 v34, v35, 10, 0x2000
	v_lshlrev_b32_e32 v32, 23, v32
	s_delay_alu instid0(VALU_DEP_2) | instskip(NEXT) | instid1(VALU_DEP_1)
	v_and_or_b32 v1, 0x8000, v1, v34
	v_lshl_or_b32 v32, v1, 16, v32
.LBB275_88:                             ;   in Loop: Header=BB275_10 Depth=1
	s_wait_alu 0xfffe
	s_or_b32 exec_lo, exec_lo, s34
.LBB275_89:                             ;   in Loop: Header=BB275_10 Depth=1
	s_delay_alu instid0(SALU_CYCLE_1)
	s_or_b32 exec_lo, exec_lo, s33
.LBB275_90:                             ;   in Loop: Header=BB275_10 Depth=1
	s_wait_alu 0xfffe
	s_or_b32 exec_lo, exec_lo, s5
	v_lshrrev_b32_e32 v1, 16, v9
	v_mov_b32_e32 v34, 0
	s_mov_b32 s5, exec_lo
	s_delay_alu instid0(VALU_DEP_2) | instskip(NEXT) | instid1(VALU_DEP_1)
	v_dual_mov_b32 v35, 0 :: v_dual_and_b32 v36, 0xff, v1
	v_cmpx_ne_u16_e32 0, v36
	s_cbranch_execz .LBB275_98
; %bb.91:                               ;   in Loop: Header=BB275_10 Depth=1
	v_mov_b32_e32 v35, 0x8000
	s_mov_b32 s33, exec_lo
	v_cmpx_ne_u16_e32 0x80, v36
	s_cbranch_execz .LBB275_97
; %bb.92:                               ;   in Loop: Header=BB275_10 Depth=1
	v_bfe_u32 v37, v9, 16, 7
	v_mov_b32_e32 v35, 0x7c01
	s_mov_b32 s34, exec_lo
	s_delay_alu instid0(VALU_DEP_2)
	v_cmpx_ne_u32_e32 0x7f, v37
	s_cbranch_execz .LBB275_96
; %bb.93:                               ;   in Loop: Header=BB275_10 Depth=1
	v_and_b32_e32 v35, 7, v1
	v_lshrrev_b32_e32 v36, 3, v37
	s_mov_b32 s35, exec_lo
	v_cmpx_gt_u32_e32 8, v37
; %bb.94:                               ;   in Loop: Header=BB275_10 Depth=1
	s_delay_alu instid0(VALU_DEP_3) | instskip(NEXT) | instid1(VALU_DEP_1)
	v_clz_i32_u32_e32 v35, v35
	v_min_u32_e32 v37, 32, v35
	s_delay_alu instid0(VALU_DEP_1) | instskip(NEXT) | instid1(VALU_DEP_1)
	v_subrev_nc_u32_e32 v35, 28, v37
	v_lshlrev_b64_e32 v[35:36], v35, v[1:2]
	v_sub_nc_u32_e32 v36, 29, v37
	s_delay_alu instid0(VALU_DEP_2)
	v_and_b32_e32 v35, 7, v35
; %bb.95:                               ;   in Loop: Header=BB275_10 Depth=1
	s_wait_alu 0xfffe
	s_or_b32 exec_lo, exec_lo, s35
	v_lshlrev_b32_e32 v1, 8, v1
	v_lshl_add_u32 v36, v36, 10, 0x2000
	v_lshlrev_b32_e32 v35, 7, v35
	s_delay_alu instid0(VALU_DEP_3) | instskip(NEXT) | instid1(VALU_DEP_3)
	v_and_b32_e32 v1, 0x8000, v1
	v_and_b32_e32 v36, 0xfc00, v36
	s_delay_alu instid0(VALU_DEP_1)
	v_or3_b32 v35, v1, v36, v35
.LBB275_96:                             ;   in Loop: Header=BB275_10 Depth=1
	s_wait_alu 0xfffe
	s_or_b32 exec_lo, exec_lo, s34
.LBB275_97:                             ;   in Loop: Header=BB275_10 Depth=1
	s_delay_alu instid0(SALU_CYCLE_1)
	s_or_b32 exec_lo, exec_lo, s33
.LBB275_98:                             ;   in Loop: Header=BB275_10 Depth=1
	s_wait_alu 0xfffe
	s_or_b32 exec_lo, exec_lo, s5
	s_delay_alu instid0(SALU_CYCLE_1)
	s_mov_b32 s5, exec_lo
	v_cmpx_lt_u32_e32 0xffffff, v9
	s_cbranch_execz .LBB275_106
; %bb.99:                               ;   in Loop: Header=BB275_10 Depth=1
	v_lshrrev_b32_e32 v1, 24, v9
	v_bfrev_b32_e32 v34, 1
	s_mov_b32 s33, exec_lo
	s_delay_alu instid0(VALU_DEP_2)
	v_cmpx_ne_u32_e32 0x80, v1
	s_cbranch_execz .LBB275_105
; %bb.100:                              ;   in Loop: Header=BB275_10 Depth=1
	v_and_b32_e32 v36, 0x7f, v1
	v_mov_b32_e32 v34, 0x7c010000
	s_mov_b32 s34, exec_lo
	s_delay_alu instid0(VALU_DEP_2)
	v_cmpx_ne_u32_e32 0x7f, v36
	s_cbranch_execz .LBB275_104
; %bb.101:                              ;   in Loop: Header=BB275_10 Depth=1
	v_and_b32_e32 v9, 7, v1
	v_lshrrev_b32_e32 v34, 3, v36
	s_mov_b32 s35, exec_lo
	v_cmpx_gt_u32_e32 8, v36
; %bb.102:                              ;   in Loop: Header=BB275_10 Depth=1
	s_delay_alu instid0(VALU_DEP_3) | instskip(NEXT) | instid1(VALU_DEP_1)
	v_clz_i32_u32_e32 v9, v9
	v_min_u32_e32 v9, 32, v9
	s_delay_alu instid0(VALU_DEP_1) | instskip(NEXT) | instid1(VALU_DEP_1)
	v_subrev_nc_u32_e32 v34, 28, v9
	v_lshlrev_b64_e32 v[36:37], v34, v[1:2]
	v_sub_nc_u32_e32 v34, 29, v9
	s_delay_alu instid0(VALU_DEP_2)
	v_and_b32_e32 v9, 7, v36
; %bb.103:                              ;   in Loop: Header=BB275_10 Depth=1
	s_wait_alu 0xfffe
	s_or_b32 exec_lo, exec_lo, s35
	v_lshlrev_b32_e32 v1, 8, v1
	v_lshl_add_u32 v34, v34, 10, 0x2000
	v_lshlrev_b32_e32 v9, 23, v9
	s_delay_alu instid0(VALU_DEP_2) | instskip(NEXT) | instid1(VALU_DEP_1)
	v_and_or_b32 v1, 0x8000, v1, v34
	v_lshl_or_b32 v34, v1, 16, v9
.LBB275_104:                            ;   in Loop: Header=BB275_10 Depth=1
	s_wait_alu 0xfffe
	s_or_b32 exec_lo, exec_lo, s34
.LBB275_105:                            ;   in Loop: Header=BB275_10 Depth=1
	s_delay_alu instid0(SALU_CYCLE_1)
	s_or_b32 exec_lo, exec_lo, s33
.LBB275_106:                            ;   in Loop: Header=BB275_10 Depth=1
	s_wait_alu 0xfffe
	s_or_b32 exec_lo, exec_lo, s5
	global_load_b32 v9, v[7:8], off offset:264
	v_mov_b32_e32 v37, 0
	s_mov_b32 s5, exec_lo
	s_wait_loadcnt 0x0
	v_dual_mov_b32 v36, 0 :: v_dual_and_b32 v1, 0xff, v9
	s_delay_alu instid0(VALU_DEP_1)
	v_cmpx_ne_u16_e32 0, v1
	s_cbranch_execz .LBB275_114
; %bb.107:                              ;   in Loop: Header=BB275_10 Depth=1
	v_mov_b32_e32 v37, 0x8000
	s_mov_b32 s33, exec_lo
	v_cmpx_ne_u16_e32 0x80, v1
	s_cbranch_execz .LBB275_113
; %bb.108:                              ;   in Loop: Header=BB275_10 Depth=1
	v_and_b32_e32 v38, 0x7f, v9
	v_mov_b32_e32 v37, 0x7c01
	s_mov_b32 s34, exec_lo
	s_delay_alu instid0(VALU_DEP_2)
	v_cmpx_ne_u32_e32 0x7f, v38
	s_cbranch_execz .LBB275_112
; %bb.109:                              ;   in Loop: Header=BB275_10 Depth=1
	v_and_b32_e32 v1, 7, v9
	v_lshrrev_b32_e32 v37, 3, v38
	s_mov_b32 s35, exec_lo
	v_cmpx_gt_u32_e32 8, v38
; %bb.110:                              ;   in Loop: Header=BB275_10 Depth=1
	s_delay_alu instid0(VALU_DEP_3) | instskip(NEXT) | instid1(VALU_DEP_1)
	v_clz_i32_u32_e32 v1, v1
	v_min_u32_e32 v1, 32, v1
	s_delay_alu instid0(VALU_DEP_1) | instskip(NEXT) | instid1(VALU_DEP_1)
	v_subrev_nc_u32_e32 v37, 28, v1
	v_lshlrev_b64_e32 v[38:39], v37, v[9:10]
	v_sub_nc_u32_e32 v37, 29, v1
	s_delay_alu instid0(VALU_DEP_2)
	v_and_b32_e32 v1, 7, v38
; %bb.111:                              ;   in Loop: Header=BB275_10 Depth=1
	s_wait_alu 0xfffe
	s_or_b32 exec_lo, exec_lo, s35
	v_lshlrev_b32_e32 v38, 8, v9
	v_lshl_add_u32 v37, v37, 10, 0x2000
	v_lshlrev_b32_e32 v1, 7, v1
	s_delay_alu instid0(VALU_DEP_3) | instskip(NEXT) | instid1(VALU_DEP_3)
	v_and_b32_e32 v38, 0x8000, v38
	v_and_b32_e32 v37, 0xfc00, v37
	s_delay_alu instid0(VALU_DEP_1)
	v_or3_b32 v37, v38, v37, v1
.LBB275_112:                            ;   in Loop: Header=BB275_10 Depth=1
	s_wait_alu 0xfffe
	s_or_b32 exec_lo, exec_lo, s34
.LBB275_113:                            ;   in Loop: Header=BB275_10 Depth=1
	s_delay_alu instid0(SALU_CYCLE_1)
	s_or_b32 exec_lo, exec_lo, s33
.LBB275_114:                            ;   in Loop: Header=BB275_10 Depth=1
	s_wait_alu 0xfffe
	s_or_b32 exec_lo, exec_lo, s5
	v_lshrrev_b16 v1, 8, v9
	s_mov_b32 s5, exec_lo
	s_delay_alu instid0(VALU_DEP_1)
	v_cmpx_ne_u16_e32 0, v1
	s_cbranch_execz .LBB275_122
; %bb.115:                              ;   in Loop: Header=BB275_10 Depth=1
	v_bfrev_b32_e32 v36, 1
	s_mov_b32 s33, exec_lo
	v_cmpx_ne_u16_e32 0x80, v1
	s_cbranch_execz .LBB275_121
; %bb.116:                              ;   in Loop: Header=BB275_10 Depth=1
	v_and_b32_e32 v38, 0xffff, v1
	v_mov_b32_e32 v36, 0x7c010000
	s_mov_b32 s34, exec_lo
	s_delay_alu instid0(VALU_DEP_2) | instskip(NEXT) | instid1(VALU_DEP_1)
	v_and_b32_e32 v40, 0x7f, v38
	v_cmpx_ne_u32_e32 0x7f, v40
	s_cbranch_execz .LBB275_120
; %bb.117:                              ;   in Loop: Header=BB275_10 Depth=1
	v_and_b32_e32 v36, 7, v38
	v_lshrrev_b32_e32 v39, 3, v40
	s_mov_b32 s35, exec_lo
	v_cmpx_gt_u32_e32 8, v40
; %bb.118:                              ;   in Loop: Header=BB275_10 Depth=1
	s_delay_alu instid0(VALU_DEP_3) | instskip(NEXT) | instid1(VALU_DEP_1)
	v_clz_i32_u32_e32 v36, v36
	v_min_u32_e32 v36, 32, v36
	s_delay_alu instid0(VALU_DEP_1) | instskip(NEXT) | instid1(VALU_DEP_1)
	v_subrev_nc_u32_e32 v39, 28, v36
	v_lshlrev_b64_e32 v[40:41], v39, v[1:2]
	v_sub_nc_u32_e32 v39, 29, v36
	s_delay_alu instid0(VALU_DEP_2)
	v_and_b32_e32 v36, 7, v40
; %bb.119:                              ;   in Loop: Header=BB275_10 Depth=1
	s_wait_alu 0xfffe
	s_or_b32 exec_lo, exec_lo, s35
	v_lshlrev_b32_e32 v1, 8, v38
	v_lshl_add_u32 v38, v39, 10, 0x2000
	v_lshlrev_b32_e32 v36, 23, v36
	s_delay_alu instid0(VALU_DEP_2) | instskip(NEXT) | instid1(VALU_DEP_1)
	v_and_or_b32 v1, 0x8000, v1, v38
	v_lshl_or_b32 v36, v1, 16, v36
.LBB275_120:                            ;   in Loop: Header=BB275_10 Depth=1
	s_wait_alu 0xfffe
	s_or_b32 exec_lo, exec_lo, s34
.LBB275_121:                            ;   in Loop: Header=BB275_10 Depth=1
	s_delay_alu instid0(SALU_CYCLE_1)
	s_or_b32 exec_lo, exec_lo, s33
.LBB275_122:                            ;   in Loop: Header=BB275_10 Depth=1
	s_wait_alu 0xfffe
	s_or_b32 exec_lo, exec_lo, s5
	v_lshrrev_b32_e32 v1, 16, v9
	v_mov_b32_e32 v38, 0
	s_mov_b32 s5, exec_lo
	s_delay_alu instid0(VALU_DEP_2) | instskip(NEXT) | instid1(VALU_DEP_1)
	v_dual_mov_b32 v39, 0 :: v_dual_and_b32 v40, 0xff, v1
	v_cmpx_ne_u16_e32 0, v40
	s_cbranch_execz .LBB275_130
; %bb.123:                              ;   in Loop: Header=BB275_10 Depth=1
	v_mov_b32_e32 v39, 0x8000
	s_mov_b32 s33, exec_lo
	v_cmpx_ne_u16_e32 0x80, v40
	s_cbranch_execz .LBB275_129
; %bb.124:                              ;   in Loop: Header=BB275_10 Depth=1
	v_bfe_u32 v41, v9, 16, 7
	v_mov_b32_e32 v39, 0x7c01
	s_mov_b32 s34, exec_lo
	s_delay_alu instid0(VALU_DEP_2)
	v_cmpx_ne_u32_e32 0x7f, v41
	s_cbranch_execz .LBB275_128
; %bb.125:                              ;   in Loop: Header=BB275_10 Depth=1
	v_and_b32_e32 v39, 7, v1
	v_lshrrev_b32_e32 v40, 3, v41
	s_mov_b32 s35, exec_lo
	v_cmpx_gt_u32_e32 8, v41
; %bb.126:                              ;   in Loop: Header=BB275_10 Depth=1
	s_delay_alu instid0(VALU_DEP_3) | instskip(NEXT) | instid1(VALU_DEP_1)
	v_clz_i32_u32_e32 v39, v39
	v_min_u32_e32 v41, 32, v39
	s_delay_alu instid0(VALU_DEP_1) | instskip(NEXT) | instid1(VALU_DEP_1)
	v_subrev_nc_u32_e32 v39, 28, v41
	v_lshlrev_b64_e32 v[39:40], v39, v[1:2]
	v_sub_nc_u32_e32 v40, 29, v41
	s_delay_alu instid0(VALU_DEP_2)
	v_and_b32_e32 v39, 7, v39
; %bb.127:                              ;   in Loop: Header=BB275_10 Depth=1
	s_wait_alu 0xfffe
	s_or_b32 exec_lo, exec_lo, s35
	v_lshlrev_b32_e32 v1, 8, v1
	v_lshl_add_u32 v40, v40, 10, 0x2000
	v_lshlrev_b32_e32 v39, 7, v39
	s_delay_alu instid0(VALU_DEP_3) | instskip(NEXT) | instid1(VALU_DEP_3)
	v_and_b32_e32 v1, 0x8000, v1
	v_and_b32_e32 v40, 0xfc00, v40
	s_delay_alu instid0(VALU_DEP_1)
	v_or3_b32 v39, v1, v40, v39
.LBB275_128:                            ;   in Loop: Header=BB275_10 Depth=1
	s_wait_alu 0xfffe
	s_or_b32 exec_lo, exec_lo, s34
.LBB275_129:                            ;   in Loop: Header=BB275_10 Depth=1
	s_delay_alu instid0(SALU_CYCLE_1)
	s_or_b32 exec_lo, exec_lo, s33
.LBB275_130:                            ;   in Loop: Header=BB275_10 Depth=1
	s_wait_alu 0xfffe
	s_or_b32 exec_lo, exec_lo, s5
	s_delay_alu instid0(SALU_CYCLE_1)
	s_mov_b32 s5, exec_lo
	v_cmpx_lt_u32_e32 0xffffff, v9
	s_cbranch_execz .LBB275_138
; %bb.131:                              ;   in Loop: Header=BB275_10 Depth=1
	v_lshrrev_b32_e32 v1, 24, v9
	v_bfrev_b32_e32 v38, 1
	s_mov_b32 s33, exec_lo
	s_delay_alu instid0(VALU_DEP_2)
	v_cmpx_ne_u32_e32 0x80, v1
	s_cbranch_execz .LBB275_137
; %bb.132:                              ;   in Loop: Header=BB275_10 Depth=1
	v_and_b32_e32 v40, 0x7f, v1
	v_mov_b32_e32 v38, 0x7c010000
	s_mov_b32 s34, exec_lo
	s_delay_alu instid0(VALU_DEP_2)
	v_cmpx_ne_u32_e32 0x7f, v40
	s_cbranch_execz .LBB275_136
; %bb.133:                              ;   in Loop: Header=BB275_10 Depth=1
	v_and_b32_e32 v9, 7, v1
	v_lshrrev_b32_e32 v38, 3, v40
	s_mov_b32 s35, exec_lo
	v_cmpx_gt_u32_e32 8, v40
; %bb.134:                              ;   in Loop: Header=BB275_10 Depth=1
	s_delay_alu instid0(VALU_DEP_3) | instskip(NEXT) | instid1(VALU_DEP_1)
	v_clz_i32_u32_e32 v9, v9
	v_min_u32_e32 v9, 32, v9
	s_delay_alu instid0(VALU_DEP_1) | instskip(NEXT) | instid1(VALU_DEP_1)
	v_subrev_nc_u32_e32 v38, 28, v9
	v_lshlrev_b64_e32 v[40:41], v38, v[1:2]
	v_sub_nc_u32_e32 v38, 29, v9
	s_delay_alu instid0(VALU_DEP_2)
	v_and_b32_e32 v9, 7, v40
; %bb.135:                              ;   in Loop: Header=BB275_10 Depth=1
	s_wait_alu 0xfffe
	s_or_b32 exec_lo, exec_lo, s35
	v_lshlrev_b32_e32 v1, 8, v1
	v_lshl_add_u32 v38, v38, 10, 0x2000
	v_lshlrev_b32_e32 v9, 23, v9
	s_delay_alu instid0(VALU_DEP_2) | instskip(NEXT) | instid1(VALU_DEP_1)
	v_and_or_b32 v1, 0x8000, v1, v38
	v_lshl_or_b32 v38, v1, 16, v9
.LBB275_136:                            ;   in Loop: Header=BB275_10 Depth=1
	s_wait_alu 0xfffe
	s_or_b32 exec_lo, exec_lo, s34
.LBB275_137:                            ;   in Loop: Header=BB275_10 Depth=1
	s_delay_alu instid0(SALU_CYCLE_1)
	s_or_b32 exec_lo, exec_lo, s33
.LBB275_138:                            ;   in Loop: Header=BB275_10 Depth=1
	s_wait_alu 0xfffe
	s_or_b32 exec_lo, exec_lo, s5
	global_load_b32 v9, v[7:8], off offset:512
	v_mov_b32_e32 v41, 0
	s_mov_b32 s5, exec_lo
	s_wait_loadcnt 0x0
	v_dual_mov_b32 v40, 0 :: v_dual_and_b32 v1, 0xff, v9
	s_delay_alu instid0(VALU_DEP_1)
	v_cmpx_ne_u16_e32 0, v1
	s_cbranch_execz .LBB275_146
; %bb.139:                              ;   in Loop: Header=BB275_10 Depth=1
	v_mov_b32_e32 v41, 0x8000
	s_mov_b32 s33, exec_lo
	v_cmpx_ne_u16_e32 0x80, v1
	s_cbranch_execz .LBB275_145
; %bb.140:                              ;   in Loop: Header=BB275_10 Depth=1
	v_and_b32_e32 v42, 0x7f, v9
	v_mov_b32_e32 v41, 0x7c01
	s_mov_b32 s34, exec_lo
	s_delay_alu instid0(VALU_DEP_2)
	v_cmpx_ne_u32_e32 0x7f, v42
	s_cbranch_execz .LBB275_144
; %bb.141:                              ;   in Loop: Header=BB275_10 Depth=1
	v_and_b32_e32 v1, 7, v9
	v_lshrrev_b32_e32 v41, 3, v42
	s_mov_b32 s35, exec_lo
	v_cmpx_gt_u32_e32 8, v42
; %bb.142:                              ;   in Loop: Header=BB275_10 Depth=1
	s_delay_alu instid0(VALU_DEP_3) | instskip(NEXT) | instid1(VALU_DEP_1)
	v_clz_i32_u32_e32 v1, v1
	v_min_u32_e32 v1, 32, v1
	s_delay_alu instid0(VALU_DEP_1) | instskip(NEXT) | instid1(VALU_DEP_1)
	v_subrev_nc_u32_e32 v41, 28, v1
	v_lshlrev_b64_e32 v[42:43], v41, v[9:10]
	v_sub_nc_u32_e32 v41, 29, v1
	s_delay_alu instid0(VALU_DEP_2)
	v_and_b32_e32 v1, 7, v42
; %bb.143:                              ;   in Loop: Header=BB275_10 Depth=1
	s_wait_alu 0xfffe
	s_or_b32 exec_lo, exec_lo, s35
	v_lshlrev_b32_e32 v42, 8, v9
	v_lshl_add_u32 v41, v41, 10, 0x2000
	v_lshlrev_b32_e32 v1, 7, v1
	s_delay_alu instid0(VALU_DEP_3) | instskip(NEXT) | instid1(VALU_DEP_3)
	v_and_b32_e32 v42, 0x8000, v42
	v_and_b32_e32 v41, 0xfc00, v41
	s_delay_alu instid0(VALU_DEP_1)
	v_or3_b32 v41, v42, v41, v1
.LBB275_144:                            ;   in Loop: Header=BB275_10 Depth=1
	s_wait_alu 0xfffe
	s_or_b32 exec_lo, exec_lo, s34
.LBB275_145:                            ;   in Loop: Header=BB275_10 Depth=1
	s_delay_alu instid0(SALU_CYCLE_1)
	s_or_b32 exec_lo, exec_lo, s33
.LBB275_146:                            ;   in Loop: Header=BB275_10 Depth=1
	s_wait_alu 0xfffe
	s_or_b32 exec_lo, exec_lo, s5
	v_lshrrev_b16 v1, 8, v9
	s_mov_b32 s5, exec_lo
	s_delay_alu instid0(VALU_DEP_1)
	v_cmpx_ne_u16_e32 0, v1
	s_cbranch_execz .LBB275_154
; %bb.147:                              ;   in Loop: Header=BB275_10 Depth=1
	v_bfrev_b32_e32 v40, 1
	s_mov_b32 s33, exec_lo
	v_cmpx_ne_u16_e32 0x80, v1
	s_cbranch_execz .LBB275_153
; %bb.148:                              ;   in Loop: Header=BB275_10 Depth=1
	v_and_b32_e32 v42, 0xffff, v1
	v_mov_b32_e32 v40, 0x7c010000
	s_mov_b32 s34, exec_lo
	s_delay_alu instid0(VALU_DEP_2) | instskip(NEXT) | instid1(VALU_DEP_1)
	v_and_b32_e32 v44, 0x7f, v42
	v_cmpx_ne_u32_e32 0x7f, v44
	s_cbranch_execz .LBB275_152
; %bb.149:                              ;   in Loop: Header=BB275_10 Depth=1
	v_and_b32_e32 v40, 7, v42
	v_lshrrev_b32_e32 v43, 3, v44
	s_mov_b32 s35, exec_lo
	v_cmpx_gt_u32_e32 8, v44
; %bb.150:                              ;   in Loop: Header=BB275_10 Depth=1
	s_delay_alu instid0(VALU_DEP_3) | instskip(NEXT) | instid1(VALU_DEP_1)
	v_clz_i32_u32_e32 v40, v40
	v_min_u32_e32 v40, 32, v40
	s_delay_alu instid0(VALU_DEP_1) | instskip(NEXT) | instid1(VALU_DEP_1)
	v_subrev_nc_u32_e32 v43, 28, v40
	v_lshlrev_b64_e32 v[44:45], v43, v[1:2]
	v_sub_nc_u32_e32 v43, 29, v40
	s_delay_alu instid0(VALU_DEP_2)
	v_and_b32_e32 v40, 7, v44
; %bb.151:                              ;   in Loop: Header=BB275_10 Depth=1
	s_wait_alu 0xfffe
	s_or_b32 exec_lo, exec_lo, s35
	v_lshlrev_b32_e32 v1, 8, v42
	v_lshl_add_u32 v42, v43, 10, 0x2000
	v_lshlrev_b32_e32 v40, 23, v40
	s_delay_alu instid0(VALU_DEP_2) | instskip(NEXT) | instid1(VALU_DEP_1)
	v_and_or_b32 v1, 0x8000, v1, v42
	v_lshl_or_b32 v40, v1, 16, v40
.LBB275_152:                            ;   in Loop: Header=BB275_10 Depth=1
	s_wait_alu 0xfffe
	s_or_b32 exec_lo, exec_lo, s34
.LBB275_153:                            ;   in Loop: Header=BB275_10 Depth=1
	s_delay_alu instid0(SALU_CYCLE_1)
	s_or_b32 exec_lo, exec_lo, s33
.LBB275_154:                            ;   in Loop: Header=BB275_10 Depth=1
	s_wait_alu 0xfffe
	s_or_b32 exec_lo, exec_lo, s5
	v_lshrrev_b32_e32 v1, 16, v9
	v_mov_b32_e32 v42, 0
	s_mov_b32 s5, exec_lo
	s_delay_alu instid0(VALU_DEP_2) | instskip(NEXT) | instid1(VALU_DEP_1)
	v_dual_mov_b32 v43, 0 :: v_dual_and_b32 v44, 0xff, v1
	v_cmpx_ne_u16_e32 0, v44
	s_cbranch_execz .LBB275_162
; %bb.155:                              ;   in Loop: Header=BB275_10 Depth=1
	v_mov_b32_e32 v43, 0x8000
	s_mov_b32 s33, exec_lo
	v_cmpx_ne_u16_e32 0x80, v44
	s_cbranch_execz .LBB275_161
; %bb.156:                              ;   in Loop: Header=BB275_10 Depth=1
	v_bfe_u32 v45, v9, 16, 7
	v_mov_b32_e32 v43, 0x7c01
	s_mov_b32 s34, exec_lo
	s_delay_alu instid0(VALU_DEP_2)
	v_cmpx_ne_u32_e32 0x7f, v45
	s_cbranch_execz .LBB275_160
; %bb.157:                              ;   in Loop: Header=BB275_10 Depth=1
	v_and_b32_e32 v43, 7, v1
	v_lshrrev_b32_e32 v44, 3, v45
	s_mov_b32 s35, exec_lo
	v_cmpx_gt_u32_e32 8, v45
; %bb.158:                              ;   in Loop: Header=BB275_10 Depth=1
	s_delay_alu instid0(VALU_DEP_3) | instskip(NEXT) | instid1(VALU_DEP_1)
	v_clz_i32_u32_e32 v43, v43
	v_min_u32_e32 v45, 32, v43
	s_delay_alu instid0(VALU_DEP_1) | instskip(NEXT) | instid1(VALU_DEP_1)
	v_subrev_nc_u32_e32 v43, 28, v45
	v_lshlrev_b64_e32 v[43:44], v43, v[1:2]
	v_sub_nc_u32_e32 v44, 29, v45
	s_delay_alu instid0(VALU_DEP_2)
	v_and_b32_e32 v43, 7, v43
; %bb.159:                              ;   in Loop: Header=BB275_10 Depth=1
	s_wait_alu 0xfffe
	s_or_b32 exec_lo, exec_lo, s35
	v_lshlrev_b32_e32 v1, 8, v1
	v_lshl_add_u32 v44, v44, 10, 0x2000
	v_lshlrev_b32_e32 v43, 7, v43
	s_delay_alu instid0(VALU_DEP_3) | instskip(NEXT) | instid1(VALU_DEP_3)
	v_and_b32_e32 v1, 0x8000, v1
	v_and_b32_e32 v44, 0xfc00, v44
	s_delay_alu instid0(VALU_DEP_1)
	v_or3_b32 v43, v1, v44, v43
.LBB275_160:                            ;   in Loop: Header=BB275_10 Depth=1
	s_wait_alu 0xfffe
	s_or_b32 exec_lo, exec_lo, s34
.LBB275_161:                            ;   in Loop: Header=BB275_10 Depth=1
	s_delay_alu instid0(SALU_CYCLE_1)
	s_or_b32 exec_lo, exec_lo, s33
.LBB275_162:                            ;   in Loop: Header=BB275_10 Depth=1
	s_wait_alu 0xfffe
	s_or_b32 exec_lo, exec_lo, s5
	s_delay_alu instid0(SALU_CYCLE_1)
	s_mov_b32 s5, exec_lo
	v_cmpx_lt_u32_e32 0xffffff, v9
	s_cbranch_execz .LBB275_170
; %bb.163:                              ;   in Loop: Header=BB275_10 Depth=1
	v_lshrrev_b32_e32 v1, 24, v9
	v_bfrev_b32_e32 v42, 1
	s_mov_b32 s33, exec_lo
	s_delay_alu instid0(VALU_DEP_2)
	v_cmpx_ne_u32_e32 0x80, v1
	s_cbranch_execz .LBB275_169
; %bb.164:                              ;   in Loop: Header=BB275_10 Depth=1
	v_and_b32_e32 v44, 0x7f, v1
	v_mov_b32_e32 v42, 0x7c010000
	s_mov_b32 s34, exec_lo
	s_delay_alu instid0(VALU_DEP_2)
	v_cmpx_ne_u32_e32 0x7f, v44
	s_cbranch_execz .LBB275_168
; %bb.165:                              ;   in Loop: Header=BB275_10 Depth=1
	v_and_b32_e32 v9, 7, v1
	v_lshrrev_b32_e32 v42, 3, v44
	s_mov_b32 s35, exec_lo
	v_cmpx_gt_u32_e32 8, v44
; %bb.166:                              ;   in Loop: Header=BB275_10 Depth=1
	s_delay_alu instid0(VALU_DEP_3) | instskip(NEXT) | instid1(VALU_DEP_1)
	v_clz_i32_u32_e32 v9, v9
	v_min_u32_e32 v9, 32, v9
	s_delay_alu instid0(VALU_DEP_1) | instskip(NEXT) | instid1(VALU_DEP_1)
	v_subrev_nc_u32_e32 v42, 28, v9
	v_lshlrev_b64_e32 v[44:45], v42, v[1:2]
	v_sub_nc_u32_e32 v42, 29, v9
	s_delay_alu instid0(VALU_DEP_2)
	v_and_b32_e32 v9, 7, v44
; %bb.167:                              ;   in Loop: Header=BB275_10 Depth=1
	s_wait_alu 0xfffe
	s_or_b32 exec_lo, exec_lo, s35
	v_lshlrev_b32_e32 v1, 8, v1
	v_lshl_add_u32 v42, v42, 10, 0x2000
	v_lshlrev_b32_e32 v9, 23, v9
	s_delay_alu instid0(VALU_DEP_2) | instskip(NEXT) | instid1(VALU_DEP_1)
	v_and_or_b32 v1, 0x8000, v1, v42
	v_lshl_or_b32 v42, v1, 16, v9
.LBB275_168:                            ;   in Loop: Header=BB275_10 Depth=1
	s_wait_alu 0xfffe
	s_or_b32 exec_lo, exec_lo, s34
.LBB275_169:                            ;   in Loop: Header=BB275_10 Depth=1
	s_delay_alu instid0(SALU_CYCLE_1)
	s_or_b32 exec_lo, exec_lo, s33
.LBB275_170:                            ;   in Loop: Header=BB275_10 Depth=1
	s_wait_alu 0xfffe
	s_or_b32 exec_lo, exec_lo, s5
	global_load_b32 v9, v[7:8], off offset:520
	v_mov_b32_e32 v45, 0
	s_mov_b32 s5, exec_lo
	s_wait_loadcnt 0x0
	v_dual_mov_b32 v44, 0 :: v_dual_and_b32 v1, 0xff, v9
	s_delay_alu instid0(VALU_DEP_1)
	v_cmpx_ne_u16_e32 0, v1
	s_cbranch_execz .LBB275_178
; %bb.171:                              ;   in Loop: Header=BB275_10 Depth=1
	v_mov_b32_e32 v45, 0x8000
	s_mov_b32 s33, exec_lo
	v_cmpx_ne_u16_e32 0x80, v1
	s_cbranch_execz .LBB275_177
; %bb.172:                              ;   in Loop: Header=BB275_10 Depth=1
	v_and_b32_e32 v46, 0x7f, v9
	v_mov_b32_e32 v45, 0x7c01
	s_mov_b32 s34, exec_lo
	s_delay_alu instid0(VALU_DEP_2)
	v_cmpx_ne_u32_e32 0x7f, v46
	s_cbranch_execz .LBB275_176
; %bb.173:                              ;   in Loop: Header=BB275_10 Depth=1
	v_and_b32_e32 v1, 7, v9
	v_lshrrev_b32_e32 v45, 3, v46
	s_mov_b32 s35, exec_lo
	v_cmpx_gt_u32_e32 8, v46
; %bb.174:                              ;   in Loop: Header=BB275_10 Depth=1
	s_delay_alu instid0(VALU_DEP_3) | instskip(NEXT) | instid1(VALU_DEP_1)
	v_clz_i32_u32_e32 v1, v1
	v_min_u32_e32 v1, 32, v1
	s_delay_alu instid0(VALU_DEP_1) | instskip(NEXT) | instid1(VALU_DEP_1)
	v_subrev_nc_u32_e32 v45, 28, v1
	v_lshlrev_b64_e32 v[46:47], v45, v[9:10]
	v_sub_nc_u32_e32 v45, 29, v1
	s_delay_alu instid0(VALU_DEP_2)
	v_and_b32_e32 v1, 7, v46
; %bb.175:                              ;   in Loop: Header=BB275_10 Depth=1
	s_wait_alu 0xfffe
	s_or_b32 exec_lo, exec_lo, s35
	v_lshlrev_b32_e32 v46, 8, v9
	v_lshl_add_u32 v45, v45, 10, 0x2000
	v_lshlrev_b32_e32 v1, 7, v1
	s_delay_alu instid0(VALU_DEP_3) | instskip(NEXT) | instid1(VALU_DEP_3)
	v_and_b32_e32 v46, 0x8000, v46
	v_and_b32_e32 v45, 0xfc00, v45
	s_delay_alu instid0(VALU_DEP_1)
	v_or3_b32 v45, v46, v45, v1
.LBB275_176:                            ;   in Loop: Header=BB275_10 Depth=1
	s_wait_alu 0xfffe
	s_or_b32 exec_lo, exec_lo, s34
.LBB275_177:                            ;   in Loop: Header=BB275_10 Depth=1
	s_delay_alu instid0(SALU_CYCLE_1)
	s_or_b32 exec_lo, exec_lo, s33
.LBB275_178:                            ;   in Loop: Header=BB275_10 Depth=1
	s_wait_alu 0xfffe
	s_or_b32 exec_lo, exec_lo, s5
	v_lshrrev_b16 v1, 8, v9
	s_mov_b32 s5, exec_lo
	s_delay_alu instid0(VALU_DEP_1)
	v_cmpx_ne_u16_e32 0, v1
	s_cbranch_execz .LBB275_186
; %bb.179:                              ;   in Loop: Header=BB275_10 Depth=1
	v_bfrev_b32_e32 v44, 1
	s_mov_b32 s33, exec_lo
	v_cmpx_ne_u16_e32 0x80, v1
	s_cbranch_execz .LBB275_185
; %bb.180:                              ;   in Loop: Header=BB275_10 Depth=1
	v_and_b32_e32 v46, 0xffff, v1
	v_mov_b32_e32 v44, 0x7c010000
	s_mov_b32 s34, exec_lo
	s_delay_alu instid0(VALU_DEP_2) | instskip(NEXT) | instid1(VALU_DEP_1)
	v_and_b32_e32 v48, 0x7f, v46
	v_cmpx_ne_u32_e32 0x7f, v48
	s_cbranch_execz .LBB275_184
; %bb.181:                              ;   in Loop: Header=BB275_10 Depth=1
	v_and_b32_e32 v44, 7, v46
	v_lshrrev_b32_e32 v47, 3, v48
	s_mov_b32 s35, exec_lo
	v_cmpx_gt_u32_e32 8, v48
; %bb.182:                              ;   in Loop: Header=BB275_10 Depth=1
	s_delay_alu instid0(VALU_DEP_3) | instskip(NEXT) | instid1(VALU_DEP_1)
	v_clz_i32_u32_e32 v44, v44
	v_min_u32_e32 v44, 32, v44
	s_delay_alu instid0(VALU_DEP_1) | instskip(NEXT) | instid1(VALU_DEP_1)
	v_subrev_nc_u32_e32 v47, 28, v44
	v_lshlrev_b64_e32 v[48:49], v47, v[1:2]
	v_sub_nc_u32_e32 v47, 29, v44
	s_delay_alu instid0(VALU_DEP_2)
	v_and_b32_e32 v44, 7, v48
; %bb.183:                              ;   in Loop: Header=BB275_10 Depth=1
	s_wait_alu 0xfffe
	s_or_b32 exec_lo, exec_lo, s35
	v_lshlrev_b32_e32 v1, 8, v46
	v_lshl_add_u32 v46, v47, 10, 0x2000
	v_lshlrev_b32_e32 v44, 23, v44
	s_delay_alu instid0(VALU_DEP_2) | instskip(NEXT) | instid1(VALU_DEP_1)
	v_and_or_b32 v1, 0x8000, v1, v46
	v_lshl_or_b32 v44, v1, 16, v44
.LBB275_184:                            ;   in Loop: Header=BB275_10 Depth=1
	s_wait_alu 0xfffe
	s_or_b32 exec_lo, exec_lo, s34
.LBB275_185:                            ;   in Loop: Header=BB275_10 Depth=1
	s_delay_alu instid0(SALU_CYCLE_1)
	s_or_b32 exec_lo, exec_lo, s33
.LBB275_186:                            ;   in Loop: Header=BB275_10 Depth=1
	s_wait_alu 0xfffe
	s_or_b32 exec_lo, exec_lo, s5
	v_lshrrev_b32_e32 v1, 16, v9
	v_mov_b32_e32 v46, 0
	s_mov_b32 s5, exec_lo
	s_delay_alu instid0(VALU_DEP_2) | instskip(NEXT) | instid1(VALU_DEP_1)
	v_dual_mov_b32 v47, 0 :: v_dual_and_b32 v48, 0xff, v1
	v_cmpx_ne_u16_e32 0, v48
	s_cbranch_execz .LBB275_194
; %bb.187:                              ;   in Loop: Header=BB275_10 Depth=1
	v_mov_b32_e32 v47, 0x8000
	s_mov_b32 s33, exec_lo
	v_cmpx_ne_u16_e32 0x80, v48
	s_cbranch_execz .LBB275_193
; %bb.188:                              ;   in Loop: Header=BB275_10 Depth=1
	v_bfe_u32 v49, v9, 16, 7
	v_mov_b32_e32 v47, 0x7c01
	s_mov_b32 s34, exec_lo
	s_delay_alu instid0(VALU_DEP_2)
	v_cmpx_ne_u32_e32 0x7f, v49
	s_cbranch_execz .LBB275_192
; %bb.189:                              ;   in Loop: Header=BB275_10 Depth=1
	v_and_b32_e32 v47, 7, v1
	v_lshrrev_b32_e32 v48, 3, v49
	s_mov_b32 s35, exec_lo
	v_cmpx_gt_u32_e32 8, v49
; %bb.190:                              ;   in Loop: Header=BB275_10 Depth=1
	s_delay_alu instid0(VALU_DEP_3) | instskip(NEXT) | instid1(VALU_DEP_1)
	v_clz_i32_u32_e32 v47, v47
	v_min_u32_e32 v49, 32, v47
	s_delay_alu instid0(VALU_DEP_1) | instskip(NEXT) | instid1(VALU_DEP_1)
	v_subrev_nc_u32_e32 v47, 28, v49
	v_lshlrev_b64_e32 v[47:48], v47, v[1:2]
	v_sub_nc_u32_e32 v48, 29, v49
	s_delay_alu instid0(VALU_DEP_2)
	v_and_b32_e32 v47, 7, v47
; %bb.191:                              ;   in Loop: Header=BB275_10 Depth=1
	s_wait_alu 0xfffe
	s_or_b32 exec_lo, exec_lo, s35
	v_lshlrev_b32_e32 v1, 8, v1
	v_lshl_add_u32 v48, v48, 10, 0x2000
	v_lshlrev_b32_e32 v47, 7, v47
	s_delay_alu instid0(VALU_DEP_3) | instskip(NEXT) | instid1(VALU_DEP_3)
	v_and_b32_e32 v1, 0x8000, v1
	v_and_b32_e32 v48, 0xfc00, v48
	s_delay_alu instid0(VALU_DEP_1)
	v_or3_b32 v47, v1, v48, v47
.LBB275_192:                            ;   in Loop: Header=BB275_10 Depth=1
	s_wait_alu 0xfffe
	s_or_b32 exec_lo, exec_lo, s34
.LBB275_193:                            ;   in Loop: Header=BB275_10 Depth=1
	s_delay_alu instid0(SALU_CYCLE_1)
	s_or_b32 exec_lo, exec_lo, s33
.LBB275_194:                            ;   in Loop: Header=BB275_10 Depth=1
	s_wait_alu 0xfffe
	s_or_b32 exec_lo, exec_lo, s5
	s_delay_alu instid0(SALU_CYCLE_1)
	s_mov_b32 s5, exec_lo
	v_cmpx_lt_u32_e32 0xffffff, v9
	s_cbranch_execz .LBB275_202
; %bb.195:                              ;   in Loop: Header=BB275_10 Depth=1
	v_lshrrev_b32_e32 v1, 24, v9
	v_bfrev_b32_e32 v46, 1
	s_mov_b32 s33, exec_lo
	s_delay_alu instid0(VALU_DEP_2)
	v_cmpx_ne_u32_e32 0x80, v1
	s_cbranch_execz .LBB275_201
; %bb.196:                              ;   in Loop: Header=BB275_10 Depth=1
	v_and_b32_e32 v48, 0x7f, v1
	v_mov_b32_e32 v46, 0x7c010000
	s_mov_b32 s34, exec_lo
	s_delay_alu instid0(VALU_DEP_2)
	v_cmpx_ne_u32_e32 0x7f, v48
	s_cbranch_execz .LBB275_200
; %bb.197:                              ;   in Loop: Header=BB275_10 Depth=1
	v_and_b32_e32 v9, 7, v1
	v_lshrrev_b32_e32 v46, 3, v48
	s_mov_b32 s35, exec_lo
	v_cmpx_gt_u32_e32 8, v48
; %bb.198:                              ;   in Loop: Header=BB275_10 Depth=1
	s_delay_alu instid0(VALU_DEP_3) | instskip(NEXT) | instid1(VALU_DEP_1)
	v_clz_i32_u32_e32 v9, v9
	v_min_u32_e32 v9, 32, v9
	s_delay_alu instid0(VALU_DEP_1) | instskip(NEXT) | instid1(VALU_DEP_1)
	v_subrev_nc_u32_e32 v46, 28, v9
	v_lshlrev_b64_e32 v[48:49], v46, v[1:2]
	v_sub_nc_u32_e32 v46, 29, v9
	s_delay_alu instid0(VALU_DEP_2)
	v_and_b32_e32 v9, 7, v48
; %bb.199:                              ;   in Loop: Header=BB275_10 Depth=1
	s_wait_alu 0xfffe
	s_or_b32 exec_lo, exec_lo, s35
	v_lshlrev_b32_e32 v1, 8, v1
	v_lshl_add_u32 v46, v46, 10, 0x2000
	v_lshlrev_b32_e32 v9, 23, v9
	s_delay_alu instid0(VALU_DEP_2) | instskip(NEXT) | instid1(VALU_DEP_1)
	v_and_or_b32 v1, 0x8000, v1, v46
	v_lshl_or_b32 v46, v1, 16, v9
.LBB275_200:                            ;   in Loop: Header=BB275_10 Depth=1
	s_wait_alu 0xfffe
	s_or_b32 exec_lo, exec_lo, s34
.LBB275_201:                            ;   in Loop: Header=BB275_10 Depth=1
	s_delay_alu instid0(SALU_CYCLE_1)
	s_or_b32 exec_lo, exec_lo, s33
.LBB275_202:                            ;   in Loop: Header=BB275_10 Depth=1
	s_wait_alu 0xfffe
	s_or_b32 exec_lo, exec_lo, s5
	global_load_b32 v9, v[7:8], off offset:768
	v_mov_b32_e32 v49, 0
	s_mov_b32 s5, exec_lo
	s_wait_loadcnt 0x0
	v_dual_mov_b32 v48, 0 :: v_dual_and_b32 v1, 0xff, v9
	s_delay_alu instid0(VALU_DEP_1)
	v_cmpx_ne_u16_e32 0, v1
	s_cbranch_execz .LBB275_210
; %bb.203:                              ;   in Loop: Header=BB275_10 Depth=1
	v_mov_b32_e32 v49, 0x8000
	s_mov_b32 s33, exec_lo
	v_cmpx_ne_u16_e32 0x80, v1
	s_cbranch_execz .LBB275_209
; %bb.204:                              ;   in Loop: Header=BB275_10 Depth=1
	v_and_b32_e32 v50, 0x7f, v9
	v_mov_b32_e32 v49, 0x7c01
	s_mov_b32 s34, exec_lo
	s_delay_alu instid0(VALU_DEP_2)
	v_cmpx_ne_u32_e32 0x7f, v50
	s_cbranch_execz .LBB275_208
; %bb.205:                              ;   in Loop: Header=BB275_10 Depth=1
	v_and_b32_e32 v1, 7, v9
	v_lshrrev_b32_e32 v49, 3, v50
	s_mov_b32 s35, exec_lo
	v_cmpx_gt_u32_e32 8, v50
; %bb.206:                              ;   in Loop: Header=BB275_10 Depth=1
	s_delay_alu instid0(VALU_DEP_3) | instskip(NEXT) | instid1(VALU_DEP_1)
	v_clz_i32_u32_e32 v1, v1
	v_min_u32_e32 v1, 32, v1
	s_delay_alu instid0(VALU_DEP_1) | instskip(NEXT) | instid1(VALU_DEP_1)
	v_subrev_nc_u32_e32 v49, 28, v1
	v_lshlrev_b64_e32 v[50:51], v49, v[9:10]
	v_sub_nc_u32_e32 v49, 29, v1
	s_delay_alu instid0(VALU_DEP_2)
	v_and_b32_e32 v1, 7, v50
; %bb.207:                              ;   in Loop: Header=BB275_10 Depth=1
	s_wait_alu 0xfffe
	s_or_b32 exec_lo, exec_lo, s35
	v_lshlrev_b32_e32 v50, 8, v9
	v_lshl_add_u32 v49, v49, 10, 0x2000
	v_lshlrev_b32_e32 v1, 7, v1
	s_delay_alu instid0(VALU_DEP_3) | instskip(NEXT) | instid1(VALU_DEP_3)
	v_and_b32_e32 v50, 0x8000, v50
	v_and_b32_e32 v49, 0xfc00, v49
	s_delay_alu instid0(VALU_DEP_1)
	v_or3_b32 v49, v50, v49, v1
.LBB275_208:                            ;   in Loop: Header=BB275_10 Depth=1
	s_wait_alu 0xfffe
	s_or_b32 exec_lo, exec_lo, s34
.LBB275_209:                            ;   in Loop: Header=BB275_10 Depth=1
	s_delay_alu instid0(SALU_CYCLE_1)
	s_or_b32 exec_lo, exec_lo, s33
.LBB275_210:                            ;   in Loop: Header=BB275_10 Depth=1
	s_wait_alu 0xfffe
	s_or_b32 exec_lo, exec_lo, s5
	v_lshrrev_b16 v1, 8, v9
	s_mov_b32 s5, exec_lo
	s_delay_alu instid0(VALU_DEP_1)
	v_cmpx_ne_u16_e32 0, v1
	s_cbranch_execz .LBB275_218
; %bb.211:                              ;   in Loop: Header=BB275_10 Depth=1
	v_bfrev_b32_e32 v48, 1
	s_mov_b32 s33, exec_lo
	v_cmpx_ne_u16_e32 0x80, v1
	s_cbranch_execz .LBB275_217
; %bb.212:                              ;   in Loop: Header=BB275_10 Depth=1
	v_and_b32_e32 v50, 0xffff, v1
	v_mov_b32_e32 v48, 0x7c010000
	s_mov_b32 s34, exec_lo
	s_delay_alu instid0(VALU_DEP_2) | instskip(NEXT) | instid1(VALU_DEP_1)
	v_and_b32_e32 v52, 0x7f, v50
	v_cmpx_ne_u32_e32 0x7f, v52
	s_cbranch_execz .LBB275_216
; %bb.213:                              ;   in Loop: Header=BB275_10 Depth=1
	v_and_b32_e32 v48, 7, v50
	v_lshrrev_b32_e32 v51, 3, v52
	s_mov_b32 s35, exec_lo
	v_cmpx_gt_u32_e32 8, v52
; %bb.214:                              ;   in Loop: Header=BB275_10 Depth=1
	s_delay_alu instid0(VALU_DEP_3) | instskip(NEXT) | instid1(VALU_DEP_1)
	v_clz_i32_u32_e32 v48, v48
	v_min_u32_e32 v48, 32, v48
	s_delay_alu instid0(VALU_DEP_1) | instskip(NEXT) | instid1(VALU_DEP_1)
	v_subrev_nc_u32_e32 v51, 28, v48
	v_lshlrev_b64_e32 v[52:53], v51, v[1:2]
	v_sub_nc_u32_e32 v51, 29, v48
	s_delay_alu instid0(VALU_DEP_2)
	v_and_b32_e32 v48, 7, v52
; %bb.215:                              ;   in Loop: Header=BB275_10 Depth=1
	s_wait_alu 0xfffe
	s_or_b32 exec_lo, exec_lo, s35
	v_lshlrev_b32_e32 v1, 8, v50
	v_lshl_add_u32 v50, v51, 10, 0x2000
	v_lshlrev_b32_e32 v48, 23, v48
	s_delay_alu instid0(VALU_DEP_2) | instskip(NEXT) | instid1(VALU_DEP_1)
	v_and_or_b32 v1, 0x8000, v1, v50
	v_lshl_or_b32 v48, v1, 16, v48
.LBB275_216:                            ;   in Loop: Header=BB275_10 Depth=1
	s_wait_alu 0xfffe
	s_or_b32 exec_lo, exec_lo, s34
.LBB275_217:                            ;   in Loop: Header=BB275_10 Depth=1
	s_delay_alu instid0(SALU_CYCLE_1)
	s_or_b32 exec_lo, exec_lo, s33
.LBB275_218:                            ;   in Loop: Header=BB275_10 Depth=1
	s_wait_alu 0xfffe
	s_or_b32 exec_lo, exec_lo, s5
	v_lshrrev_b32_e32 v1, 16, v9
	v_mov_b32_e32 v50, 0
	s_mov_b32 s5, exec_lo
	s_delay_alu instid0(VALU_DEP_2) | instskip(NEXT) | instid1(VALU_DEP_1)
	v_dual_mov_b32 v51, 0 :: v_dual_and_b32 v52, 0xff, v1
	v_cmpx_ne_u16_e32 0, v52
	s_cbranch_execz .LBB275_226
; %bb.219:                              ;   in Loop: Header=BB275_10 Depth=1
	v_mov_b32_e32 v51, 0x8000
	s_mov_b32 s33, exec_lo
	v_cmpx_ne_u16_e32 0x80, v52
	s_cbranch_execz .LBB275_225
; %bb.220:                              ;   in Loop: Header=BB275_10 Depth=1
	v_bfe_u32 v53, v9, 16, 7
	v_mov_b32_e32 v51, 0x7c01
	s_mov_b32 s34, exec_lo
	s_delay_alu instid0(VALU_DEP_2)
	v_cmpx_ne_u32_e32 0x7f, v53
	s_cbranch_execz .LBB275_224
; %bb.221:                              ;   in Loop: Header=BB275_10 Depth=1
	v_and_b32_e32 v51, 7, v1
	v_lshrrev_b32_e32 v52, 3, v53
	s_mov_b32 s35, exec_lo
	v_cmpx_gt_u32_e32 8, v53
; %bb.222:                              ;   in Loop: Header=BB275_10 Depth=1
	s_delay_alu instid0(VALU_DEP_3) | instskip(NEXT) | instid1(VALU_DEP_1)
	v_clz_i32_u32_e32 v51, v51
	v_min_u32_e32 v53, 32, v51
	s_delay_alu instid0(VALU_DEP_1) | instskip(NEXT) | instid1(VALU_DEP_1)
	v_subrev_nc_u32_e32 v51, 28, v53
	v_lshlrev_b64_e32 v[51:52], v51, v[1:2]
	v_sub_nc_u32_e32 v52, 29, v53
	s_delay_alu instid0(VALU_DEP_2)
	v_and_b32_e32 v51, 7, v51
; %bb.223:                              ;   in Loop: Header=BB275_10 Depth=1
	s_wait_alu 0xfffe
	s_or_b32 exec_lo, exec_lo, s35
	v_lshlrev_b32_e32 v1, 8, v1
	v_lshl_add_u32 v52, v52, 10, 0x2000
	v_lshlrev_b32_e32 v51, 7, v51
	s_delay_alu instid0(VALU_DEP_3) | instskip(NEXT) | instid1(VALU_DEP_3)
	v_and_b32_e32 v1, 0x8000, v1
	v_and_b32_e32 v52, 0xfc00, v52
	s_delay_alu instid0(VALU_DEP_1)
	v_or3_b32 v51, v1, v52, v51
.LBB275_224:                            ;   in Loop: Header=BB275_10 Depth=1
	s_wait_alu 0xfffe
	s_or_b32 exec_lo, exec_lo, s34
.LBB275_225:                            ;   in Loop: Header=BB275_10 Depth=1
	s_delay_alu instid0(SALU_CYCLE_1)
	s_or_b32 exec_lo, exec_lo, s33
.LBB275_226:                            ;   in Loop: Header=BB275_10 Depth=1
	s_wait_alu 0xfffe
	s_or_b32 exec_lo, exec_lo, s5
	s_delay_alu instid0(SALU_CYCLE_1)
	s_mov_b32 s5, exec_lo
	v_cmpx_lt_u32_e32 0xffffff, v9
	s_cbranch_execz .LBB275_234
; %bb.227:                              ;   in Loop: Header=BB275_10 Depth=1
	v_lshrrev_b32_e32 v1, 24, v9
	v_bfrev_b32_e32 v50, 1
	s_mov_b32 s33, exec_lo
	s_delay_alu instid0(VALU_DEP_2)
	v_cmpx_ne_u32_e32 0x80, v1
	s_cbranch_execz .LBB275_233
; %bb.228:                              ;   in Loop: Header=BB275_10 Depth=1
	v_and_b32_e32 v52, 0x7f, v1
	v_mov_b32_e32 v50, 0x7c010000
	s_mov_b32 s34, exec_lo
	s_delay_alu instid0(VALU_DEP_2)
	v_cmpx_ne_u32_e32 0x7f, v52
	s_cbranch_execz .LBB275_232
; %bb.229:                              ;   in Loop: Header=BB275_10 Depth=1
	v_and_b32_e32 v9, 7, v1
	v_lshrrev_b32_e32 v50, 3, v52
	s_mov_b32 s35, exec_lo
	v_cmpx_gt_u32_e32 8, v52
; %bb.230:                              ;   in Loop: Header=BB275_10 Depth=1
	s_delay_alu instid0(VALU_DEP_3) | instskip(NEXT) | instid1(VALU_DEP_1)
	v_clz_i32_u32_e32 v9, v9
	v_min_u32_e32 v9, 32, v9
	s_delay_alu instid0(VALU_DEP_1) | instskip(NEXT) | instid1(VALU_DEP_1)
	v_subrev_nc_u32_e32 v50, 28, v9
	v_lshlrev_b64_e32 v[52:53], v50, v[1:2]
	v_sub_nc_u32_e32 v50, 29, v9
	s_delay_alu instid0(VALU_DEP_2)
	v_and_b32_e32 v9, 7, v52
; %bb.231:                              ;   in Loop: Header=BB275_10 Depth=1
	s_wait_alu 0xfffe
	s_or_b32 exec_lo, exec_lo, s35
	v_lshlrev_b32_e32 v1, 8, v1
	v_lshl_add_u32 v50, v50, 10, 0x2000
	v_lshlrev_b32_e32 v9, 23, v9
	s_delay_alu instid0(VALU_DEP_2) | instskip(NEXT) | instid1(VALU_DEP_1)
	v_and_or_b32 v1, 0x8000, v1, v50
	v_lshl_or_b32 v50, v1, 16, v9
.LBB275_232:                            ;   in Loop: Header=BB275_10 Depth=1
	s_wait_alu 0xfffe
	s_or_b32 exec_lo, exec_lo, s34
.LBB275_233:                            ;   in Loop: Header=BB275_10 Depth=1
	s_delay_alu instid0(SALU_CYCLE_1)
	s_or_b32 exec_lo, exec_lo, s33
.LBB275_234:                            ;   in Loop: Header=BB275_10 Depth=1
	s_wait_alu 0xfffe
	s_or_b32 exec_lo, exec_lo, s5
	global_load_b32 v9, v[7:8], off offset:776
	v_mov_b32_e32 v53, 0
	s_mov_b32 s5, exec_lo
	s_wait_loadcnt 0x0
	v_dual_mov_b32 v52, 0 :: v_dual_and_b32 v1, 0xff, v9
	s_delay_alu instid0(VALU_DEP_1)
	v_cmpx_ne_u16_e32 0, v1
	s_cbranch_execz .LBB275_242
; %bb.235:                              ;   in Loop: Header=BB275_10 Depth=1
	v_mov_b32_e32 v53, 0x8000
	s_mov_b32 s33, exec_lo
	v_cmpx_ne_u16_e32 0x80, v1
	s_cbranch_execz .LBB275_241
; %bb.236:                              ;   in Loop: Header=BB275_10 Depth=1
	v_and_b32_e32 v54, 0x7f, v9
	v_mov_b32_e32 v53, 0x7c01
	s_mov_b32 s34, exec_lo
	s_delay_alu instid0(VALU_DEP_2)
	v_cmpx_ne_u32_e32 0x7f, v54
	s_cbranch_execz .LBB275_240
; %bb.237:                              ;   in Loop: Header=BB275_10 Depth=1
	v_and_b32_e32 v1, 7, v9
	v_lshrrev_b32_e32 v53, 3, v54
	s_mov_b32 s35, exec_lo
	v_cmpx_gt_u32_e32 8, v54
; %bb.238:                              ;   in Loop: Header=BB275_10 Depth=1
	s_delay_alu instid0(VALU_DEP_3) | instskip(NEXT) | instid1(VALU_DEP_1)
	v_clz_i32_u32_e32 v1, v1
	v_min_u32_e32 v1, 32, v1
	s_delay_alu instid0(VALU_DEP_1) | instskip(NEXT) | instid1(VALU_DEP_1)
	v_subrev_nc_u32_e32 v53, 28, v1
	v_lshlrev_b64_e32 v[54:55], v53, v[9:10]
	v_sub_nc_u32_e32 v53, 29, v1
	s_delay_alu instid0(VALU_DEP_2)
	v_and_b32_e32 v1, 7, v54
; %bb.239:                              ;   in Loop: Header=BB275_10 Depth=1
	s_wait_alu 0xfffe
	s_or_b32 exec_lo, exec_lo, s35
	v_lshlrev_b32_e32 v54, 8, v9
	v_lshl_add_u32 v53, v53, 10, 0x2000
	v_lshlrev_b32_e32 v1, 7, v1
	s_delay_alu instid0(VALU_DEP_3) | instskip(NEXT) | instid1(VALU_DEP_3)
	v_and_b32_e32 v54, 0x8000, v54
	v_and_b32_e32 v53, 0xfc00, v53
	s_delay_alu instid0(VALU_DEP_1)
	v_or3_b32 v53, v54, v53, v1
.LBB275_240:                            ;   in Loop: Header=BB275_10 Depth=1
	s_wait_alu 0xfffe
	s_or_b32 exec_lo, exec_lo, s34
.LBB275_241:                            ;   in Loop: Header=BB275_10 Depth=1
	s_delay_alu instid0(SALU_CYCLE_1)
	s_or_b32 exec_lo, exec_lo, s33
.LBB275_242:                            ;   in Loop: Header=BB275_10 Depth=1
	s_wait_alu 0xfffe
	s_or_b32 exec_lo, exec_lo, s5
	v_lshrrev_b16 v1, 8, v9
	s_mov_b32 s5, exec_lo
	s_delay_alu instid0(VALU_DEP_1)
	v_cmpx_ne_u16_e32 0, v1
	s_cbranch_execz .LBB275_250
; %bb.243:                              ;   in Loop: Header=BB275_10 Depth=1
	v_bfrev_b32_e32 v52, 1
	s_mov_b32 s33, exec_lo
	v_cmpx_ne_u16_e32 0x80, v1
	s_cbranch_execz .LBB275_249
; %bb.244:                              ;   in Loop: Header=BB275_10 Depth=1
	v_and_b32_e32 v54, 0xffff, v1
	v_mov_b32_e32 v52, 0x7c010000
	s_mov_b32 s34, exec_lo
	s_delay_alu instid0(VALU_DEP_2) | instskip(NEXT) | instid1(VALU_DEP_1)
	v_and_b32_e32 v56, 0x7f, v54
	v_cmpx_ne_u32_e32 0x7f, v56
	s_cbranch_execz .LBB275_248
; %bb.245:                              ;   in Loop: Header=BB275_10 Depth=1
	v_and_b32_e32 v52, 7, v54
	v_lshrrev_b32_e32 v55, 3, v56
	s_mov_b32 s35, exec_lo
	v_cmpx_gt_u32_e32 8, v56
; %bb.246:                              ;   in Loop: Header=BB275_10 Depth=1
	s_delay_alu instid0(VALU_DEP_3) | instskip(NEXT) | instid1(VALU_DEP_1)
	v_clz_i32_u32_e32 v52, v52
	v_min_u32_e32 v52, 32, v52
	s_delay_alu instid0(VALU_DEP_1) | instskip(NEXT) | instid1(VALU_DEP_1)
	v_subrev_nc_u32_e32 v55, 28, v52
	v_lshlrev_b64_e32 v[56:57], v55, v[1:2]
	v_sub_nc_u32_e32 v55, 29, v52
	s_delay_alu instid0(VALU_DEP_2)
	v_and_b32_e32 v52, 7, v56
; %bb.247:                              ;   in Loop: Header=BB275_10 Depth=1
	s_wait_alu 0xfffe
	s_or_b32 exec_lo, exec_lo, s35
	v_lshlrev_b32_e32 v1, 8, v54
	v_lshl_add_u32 v54, v55, 10, 0x2000
	v_lshlrev_b32_e32 v52, 23, v52
	s_delay_alu instid0(VALU_DEP_2) | instskip(NEXT) | instid1(VALU_DEP_1)
	v_and_or_b32 v1, 0x8000, v1, v54
	v_lshl_or_b32 v52, v1, 16, v52
.LBB275_248:                            ;   in Loop: Header=BB275_10 Depth=1
	s_wait_alu 0xfffe
	s_or_b32 exec_lo, exec_lo, s34
.LBB275_249:                            ;   in Loop: Header=BB275_10 Depth=1
	s_delay_alu instid0(SALU_CYCLE_1)
	s_or_b32 exec_lo, exec_lo, s33
.LBB275_250:                            ;   in Loop: Header=BB275_10 Depth=1
	s_wait_alu 0xfffe
	s_or_b32 exec_lo, exec_lo, s5
	v_lshrrev_b32_e32 v1, 16, v9
	v_mov_b32_e32 v54, 0
	s_mov_b32 s5, exec_lo
	s_delay_alu instid0(VALU_DEP_2) | instskip(NEXT) | instid1(VALU_DEP_1)
	v_dual_mov_b32 v55, 0 :: v_dual_and_b32 v56, 0xff, v1
	v_cmpx_ne_u16_e32 0, v56
	s_cbranch_execz .LBB275_258
; %bb.251:                              ;   in Loop: Header=BB275_10 Depth=1
	v_mov_b32_e32 v55, 0x8000
	s_mov_b32 s33, exec_lo
	v_cmpx_ne_u16_e32 0x80, v56
	s_cbranch_execz .LBB275_257
; %bb.252:                              ;   in Loop: Header=BB275_10 Depth=1
	v_bfe_u32 v57, v9, 16, 7
	v_mov_b32_e32 v55, 0x7c01
	s_mov_b32 s34, exec_lo
	s_delay_alu instid0(VALU_DEP_2)
	v_cmpx_ne_u32_e32 0x7f, v57
	s_cbranch_execz .LBB275_256
; %bb.253:                              ;   in Loop: Header=BB275_10 Depth=1
	v_and_b32_e32 v55, 7, v1
	v_lshrrev_b32_e32 v56, 3, v57
	s_mov_b32 s35, exec_lo
	v_cmpx_gt_u32_e32 8, v57
; %bb.254:                              ;   in Loop: Header=BB275_10 Depth=1
	s_delay_alu instid0(VALU_DEP_3) | instskip(NEXT) | instid1(VALU_DEP_1)
	v_clz_i32_u32_e32 v55, v55
	v_min_u32_e32 v57, 32, v55
	s_delay_alu instid0(VALU_DEP_1) | instskip(NEXT) | instid1(VALU_DEP_1)
	v_subrev_nc_u32_e32 v55, 28, v57
	v_lshlrev_b64_e32 v[55:56], v55, v[1:2]
	v_sub_nc_u32_e32 v56, 29, v57
	s_delay_alu instid0(VALU_DEP_2)
	v_and_b32_e32 v55, 7, v55
; %bb.255:                              ;   in Loop: Header=BB275_10 Depth=1
	s_wait_alu 0xfffe
	s_or_b32 exec_lo, exec_lo, s35
	v_lshlrev_b32_e32 v1, 8, v1
	v_lshl_add_u32 v56, v56, 10, 0x2000
	v_lshlrev_b32_e32 v55, 7, v55
	s_delay_alu instid0(VALU_DEP_3) | instskip(NEXT) | instid1(VALU_DEP_3)
	v_and_b32_e32 v1, 0x8000, v1
	v_and_b32_e32 v56, 0xfc00, v56
	s_delay_alu instid0(VALU_DEP_1)
	v_or3_b32 v55, v1, v56, v55
.LBB275_256:                            ;   in Loop: Header=BB275_10 Depth=1
	s_wait_alu 0xfffe
	s_or_b32 exec_lo, exec_lo, s34
.LBB275_257:                            ;   in Loop: Header=BB275_10 Depth=1
	s_delay_alu instid0(SALU_CYCLE_1)
	s_or_b32 exec_lo, exec_lo, s33
.LBB275_258:                            ;   in Loop: Header=BB275_10 Depth=1
	s_wait_alu 0xfffe
	s_or_b32 exec_lo, exec_lo, s5
	s_delay_alu instid0(SALU_CYCLE_1)
	s_mov_b32 s5, exec_lo
	v_cmpx_lt_u32_e32 0xffffff, v9
	s_cbranch_execz .LBB275_266
; %bb.259:                              ;   in Loop: Header=BB275_10 Depth=1
	v_lshrrev_b32_e32 v1, 24, v9
	v_bfrev_b32_e32 v54, 1
	s_mov_b32 s33, exec_lo
	s_delay_alu instid0(VALU_DEP_2)
	v_cmpx_ne_u32_e32 0x80, v1
	s_cbranch_execz .LBB275_265
; %bb.260:                              ;   in Loop: Header=BB275_10 Depth=1
	v_and_b32_e32 v56, 0x7f, v1
	v_mov_b32_e32 v54, 0x7c010000
	s_mov_b32 s34, exec_lo
	s_delay_alu instid0(VALU_DEP_2)
	v_cmpx_ne_u32_e32 0x7f, v56
	s_cbranch_execz .LBB275_264
; %bb.261:                              ;   in Loop: Header=BB275_10 Depth=1
	v_and_b32_e32 v9, 7, v1
	v_lshrrev_b32_e32 v54, 3, v56
	s_mov_b32 s35, exec_lo
	v_cmpx_gt_u32_e32 8, v56
; %bb.262:                              ;   in Loop: Header=BB275_10 Depth=1
	s_delay_alu instid0(VALU_DEP_3) | instskip(NEXT) | instid1(VALU_DEP_1)
	v_clz_i32_u32_e32 v9, v9
	v_min_u32_e32 v9, 32, v9
	s_delay_alu instid0(VALU_DEP_1) | instskip(NEXT) | instid1(VALU_DEP_1)
	v_subrev_nc_u32_e32 v54, 28, v9
	v_lshlrev_b64_e32 v[56:57], v54, v[1:2]
	v_sub_nc_u32_e32 v54, 29, v9
	s_delay_alu instid0(VALU_DEP_2)
	v_and_b32_e32 v9, 7, v56
; %bb.263:                              ;   in Loop: Header=BB275_10 Depth=1
	s_wait_alu 0xfffe
	s_or_b32 exec_lo, exec_lo, s35
	v_lshlrev_b32_e32 v1, 8, v1
	v_lshl_add_u32 v54, v54, 10, 0x2000
	v_lshlrev_b32_e32 v9, 23, v9
	s_delay_alu instid0(VALU_DEP_2) | instskip(NEXT) | instid1(VALU_DEP_1)
	v_and_or_b32 v1, 0x8000, v1, v54
	v_lshl_or_b32 v54, v1, 16, v9
.LBB275_264:                            ;   in Loop: Header=BB275_10 Depth=1
	s_wait_alu 0xfffe
	s_or_b32 exec_lo, exec_lo, s34
.LBB275_265:                            ;   in Loop: Header=BB275_10 Depth=1
	s_delay_alu instid0(SALU_CYCLE_1)
	s_or_b32 exec_lo, exec_lo, s33
.LBB275_266:                            ;   in Loop: Header=BB275_10 Depth=1
	s_wait_alu 0xfffe
	s_or_b32 exec_lo, exec_lo, s5
	global_load_b32 v9, v[7:8], off offset:1024
	v_mov_b32_e32 v57, 0
	s_mov_b32 s5, exec_lo
	s_wait_loadcnt 0x0
	v_dual_mov_b32 v56, 0 :: v_dual_and_b32 v1, 0xff, v9
	s_delay_alu instid0(VALU_DEP_1)
	v_cmpx_ne_u16_e32 0, v1
	s_cbranch_execz .LBB275_274
; %bb.267:                              ;   in Loop: Header=BB275_10 Depth=1
	v_mov_b32_e32 v57, 0x8000
	s_mov_b32 s33, exec_lo
	v_cmpx_ne_u16_e32 0x80, v1
	s_cbranch_execz .LBB275_273
; %bb.268:                              ;   in Loop: Header=BB275_10 Depth=1
	v_and_b32_e32 v58, 0x7f, v9
	v_mov_b32_e32 v57, 0x7c01
	s_mov_b32 s34, exec_lo
	s_delay_alu instid0(VALU_DEP_2)
	v_cmpx_ne_u32_e32 0x7f, v58
	s_cbranch_execz .LBB275_272
; %bb.269:                              ;   in Loop: Header=BB275_10 Depth=1
	v_and_b32_e32 v1, 7, v9
	v_lshrrev_b32_e32 v57, 3, v58
	s_mov_b32 s35, exec_lo
	v_cmpx_gt_u32_e32 8, v58
; %bb.270:                              ;   in Loop: Header=BB275_10 Depth=1
	s_delay_alu instid0(VALU_DEP_3) | instskip(NEXT) | instid1(VALU_DEP_1)
	v_clz_i32_u32_e32 v1, v1
	v_min_u32_e32 v1, 32, v1
	s_delay_alu instid0(VALU_DEP_1) | instskip(NEXT) | instid1(VALU_DEP_1)
	v_subrev_nc_u32_e32 v57, 28, v1
	v_lshlrev_b64_e32 v[58:59], v57, v[9:10]
	v_sub_nc_u32_e32 v57, 29, v1
	s_delay_alu instid0(VALU_DEP_2)
	v_and_b32_e32 v1, 7, v58
; %bb.271:                              ;   in Loop: Header=BB275_10 Depth=1
	s_wait_alu 0xfffe
	s_or_b32 exec_lo, exec_lo, s35
	v_lshlrev_b32_e32 v58, 8, v9
	v_lshl_add_u32 v57, v57, 10, 0x2000
	v_lshlrev_b32_e32 v1, 7, v1
	s_delay_alu instid0(VALU_DEP_3) | instskip(NEXT) | instid1(VALU_DEP_3)
	v_and_b32_e32 v58, 0x8000, v58
	v_and_b32_e32 v57, 0xfc00, v57
	s_delay_alu instid0(VALU_DEP_1)
	v_or3_b32 v57, v58, v57, v1
.LBB275_272:                            ;   in Loop: Header=BB275_10 Depth=1
	s_wait_alu 0xfffe
	s_or_b32 exec_lo, exec_lo, s34
.LBB275_273:                            ;   in Loop: Header=BB275_10 Depth=1
	s_delay_alu instid0(SALU_CYCLE_1)
	s_or_b32 exec_lo, exec_lo, s33
.LBB275_274:                            ;   in Loop: Header=BB275_10 Depth=1
	s_wait_alu 0xfffe
	s_or_b32 exec_lo, exec_lo, s5
	v_lshrrev_b16 v1, 8, v9
	s_mov_b32 s5, exec_lo
	s_delay_alu instid0(VALU_DEP_1)
	v_cmpx_ne_u16_e32 0, v1
	s_cbranch_execz .LBB275_282
; %bb.275:                              ;   in Loop: Header=BB275_10 Depth=1
	v_bfrev_b32_e32 v56, 1
	s_mov_b32 s33, exec_lo
	v_cmpx_ne_u16_e32 0x80, v1
	s_cbranch_execz .LBB275_281
; %bb.276:                              ;   in Loop: Header=BB275_10 Depth=1
	v_and_b32_e32 v58, 0xffff, v1
	v_mov_b32_e32 v56, 0x7c010000
	s_mov_b32 s34, exec_lo
	s_delay_alu instid0(VALU_DEP_2) | instskip(NEXT) | instid1(VALU_DEP_1)
	v_and_b32_e32 v60, 0x7f, v58
	v_cmpx_ne_u32_e32 0x7f, v60
	s_cbranch_execz .LBB275_280
; %bb.277:                              ;   in Loop: Header=BB275_10 Depth=1
	v_and_b32_e32 v56, 7, v58
	v_lshrrev_b32_e32 v59, 3, v60
	s_mov_b32 s35, exec_lo
	v_cmpx_gt_u32_e32 8, v60
; %bb.278:                              ;   in Loop: Header=BB275_10 Depth=1
	s_delay_alu instid0(VALU_DEP_3) | instskip(NEXT) | instid1(VALU_DEP_1)
	v_clz_i32_u32_e32 v56, v56
	v_min_u32_e32 v56, 32, v56
	s_delay_alu instid0(VALU_DEP_1) | instskip(NEXT) | instid1(VALU_DEP_1)
	v_subrev_nc_u32_e32 v59, 28, v56
	v_lshlrev_b64_e32 v[60:61], v59, v[1:2]
	v_sub_nc_u32_e32 v59, 29, v56
	s_delay_alu instid0(VALU_DEP_2)
	v_and_b32_e32 v56, 7, v60
; %bb.279:                              ;   in Loop: Header=BB275_10 Depth=1
	s_wait_alu 0xfffe
	s_or_b32 exec_lo, exec_lo, s35
	v_lshlrev_b32_e32 v1, 8, v58
	v_lshl_add_u32 v58, v59, 10, 0x2000
	v_lshlrev_b32_e32 v56, 23, v56
	s_delay_alu instid0(VALU_DEP_2) | instskip(NEXT) | instid1(VALU_DEP_1)
	v_and_or_b32 v1, 0x8000, v1, v58
	v_lshl_or_b32 v56, v1, 16, v56
.LBB275_280:                            ;   in Loop: Header=BB275_10 Depth=1
	s_wait_alu 0xfffe
	s_or_b32 exec_lo, exec_lo, s34
.LBB275_281:                            ;   in Loop: Header=BB275_10 Depth=1
	s_delay_alu instid0(SALU_CYCLE_1)
	s_or_b32 exec_lo, exec_lo, s33
.LBB275_282:                            ;   in Loop: Header=BB275_10 Depth=1
	s_wait_alu 0xfffe
	s_or_b32 exec_lo, exec_lo, s5
	v_lshrrev_b32_e32 v1, 16, v9
	v_mov_b32_e32 v58, 0
	s_mov_b32 s5, exec_lo
	s_delay_alu instid0(VALU_DEP_2) | instskip(NEXT) | instid1(VALU_DEP_1)
	v_dual_mov_b32 v59, 0 :: v_dual_and_b32 v60, 0xff, v1
	v_cmpx_ne_u16_e32 0, v60
	s_cbranch_execz .LBB275_290
; %bb.283:                              ;   in Loop: Header=BB275_10 Depth=1
	v_mov_b32_e32 v59, 0x8000
	s_mov_b32 s33, exec_lo
	v_cmpx_ne_u16_e32 0x80, v60
	s_cbranch_execz .LBB275_289
; %bb.284:                              ;   in Loop: Header=BB275_10 Depth=1
	v_bfe_u32 v61, v9, 16, 7
	v_mov_b32_e32 v59, 0x7c01
	s_mov_b32 s34, exec_lo
	s_delay_alu instid0(VALU_DEP_2)
	v_cmpx_ne_u32_e32 0x7f, v61
	s_cbranch_execz .LBB275_288
; %bb.285:                              ;   in Loop: Header=BB275_10 Depth=1
	v_and_b32_e32 v59, 7, v1
	v_lshrrev_b32_e32 v60, 3, v61
	s_mov_b32 s35, exec_lo
	v_cmpx_gt_u32_e32 8, v61
; %bb.286:                              ;   in Loop: Header=BB275_10 Depth=1
	s_delay_alu instid0(VALU_DEP_3) | instskip(NEXT) | instid1(VALU_DEP_1)
	v_clz_i32_u32_e32 v59, v59
	v_min_u32_e32 v61, 32, v59
	s_delay_alu instid0(VALU_DEP_1) | instskip(NEXT) | instid1(VALU_DEP_1)
	v_subrev_nc_u32_e32 v59, 28, v61
	v_lshlrev_b64_e32 v[59:60], v59, v[1:2]
	v_sub_nc_u32_e32 v60, 29, v61
	s_delay_alu instid0(VALU_DEP_2)
	v_and_b32_e32 v59, 7, v59
; %bb.287:                              ;   in Loop: Header=BB275_10 Depth=1
	s_wait_alu 0xfffe
	s_or_b32 exec_lo, exec_lo, s35
	v_lshlrev_b32_e32 v1, 8, v1
	v_lshl_add_u32 v60, v60, 10, 0x2000
	v_lshlrev_b32_e32 v59, 7, v59
	s_delay_alu instid0(VALU_DEP_3) | instskip(NEXT) | instid1(VALU_DEP_3)
	v_and_b32_e32 v1, 0x8000, v1
	v_and_b32_e32 v60, 0xfc00, v60
	s_delay_alu instid0(VALU_DEP_1)
	v_or3_b32 v59, v1, v60, v59
.LBB275_288:                            ;   in Loop: Header=BB275_10 Depth=1
	s_wait_alu 0xfffe
	s_or_b32 exec_lo, exec_lo, s34
.LBB275_289:                            ;   in Loop: Header=BB275_10 Depth=1
	s_delay_alu instid0(SALU_CYCLE_1)
	s_or_b32 exec_lo, exec_lo, s33
.LBB275_290:                            ;   in Loop: Header=BB275_10 Depth=1
	s_wait_alu 0xfffe
	s_or_b32 exec_lo, exec_lo, s5
	s_delay_alu instid0(SALU_CYCLE_1)
	s_mov_b32 s5, exec_lo
	v_cmpx_lt_u32_e32 0xffffff, v9
	s_cbranch_execz .LBB275_298
; %bb.291:                              ;   in Loop: Header=BB275_10 Depth=1
	v_lshrrev_b32_e32 v1, 24, v9
	v_bfrev_b32_e32 v58, 1
	s_mov_b32 s33, exec_lo
	s_delay_alu instid0(VALU_DEP_2)
	v_cmpx_ne_u32_e32 0x80, v1
	s_cbranch_execz .LBB275_297
; %bb.292:                              ;   in Loop: Header=BB275_10 Depth=1
	v_and_b32_e32 v60, 0x7f, v1
	v_mov_b32_e32 v58, 0x7c010000
	s_mov_b32 s34, exec_lo
	s_delay_alu instid0(VALU_DEP_2)
	v_cmpx_ne_u32_e32 0x7f, v60
	s_cbranch_execz .LBB275_296
; %bb.293:                              ;   in Loop: Header=BB275_10 Depth=1
	v_and_b32_e32 v9, 7, v1
	v_lshrrev_b32_e32 v58, 3, v60
	s_mov_b32 s35, exec_lo
	v_cmpx_gt_u32_e32 8, v60
; %bb.294:                              ;   in Loop: Header=BB275_10 Depth=1
	s_delay_alu instid0(VALU_DEP_3) | instskip(NEXT) | instid1(VALU_DEP_1)
	v_clz_i32_u32_e32 v9, v9
	v_min_u32_e32 v9, 32, v9
	s_delay_alu instid0(VALU_DEP_1) | instskip(NEXT) | instid1(VALU_DEP_1)
	v_subrev_nc_u32_e32 v58, 28, v9
	v_lshlrev_b64_e32 v[60:61], v58, v[1:2]
	v_sub_nc_u32_e32 v58, 29, v9
	s_delay_alu instid0(VALU_DEP_2)
	v_and_b32_e32 v9, 7, v60
; %bb.295:                              ;   in Loop: Header=BB275_10 Depth=1
	s_wait_alu 0xfffe
	s_or_b32 exec_lo, exec_lo, s35
	v_lshlrev_b32_e32 v1, 8, v1
	v_lshl_add_u32 v58, v58, 10, 0x2000
	v_lshlrev_b32_e32 v9, 23, v9
	s_delay_alu instid0(VALU_DEP_2) | instskip(NEXT) | instid1(VALU_DEP_1)
	v_and_or_b32 v1, 0x8000, v1, v58
	v_lshl_or_b32 v58, v1, 16, v9
.LBB275_296:                            ;   in Loop: Header=BB275_10 Depth=1
	s_wait_alu 0xfffe
	s_or_b32 exec_lo, exec_lo, s34
.LBB275_297:                            ;   in Loop: Header=BB275_10 Depth=1
	s_delay_alu instid0(SALU_CYCLE_1)
	s_or_b32 exec_lo, exec_lo, s33
.LBB275_298:                            ;   in Loop: Header=BB275_10 Depth=1
	s_wait_alu 0xfffe
	s_or_b32 exec_lo, exec_lo, s5
	global_load_b32 v9, v[7:8], off offset:1032
	v_mov_b32_e32 v61, 0
	s_mov_b32 s5, exec_lo
	s_wait_loadcnt 0x0
	v_dual_mov_b32 v60, 0 :: v_dual_and_b32 v1, 0xff, v9
	s_delay_alu instid0(VALU_DEP_1)
	v_cmpx_ne_u16_e32 0, v1
	s_cbranch_execz .LBB275_306
; %bb.299:                              ;   in Loop: Header=BB275_10 Depth=1
	v_mov_b32_e32 v61, 0x8000
	s_mov_b32 s33, exec_lo
	v_cmpx_ne_u16_e32 0x80, v1
	s_cbranch_execz .LBB275_305
; %bb.300:                              ;   in Loop: Header=BB275_10 Depth=1
	v_and_b32_e32 v62, 0x7f, v9
	v_mov_b32_e32 v61, 0x7c01
	s_mov_b32 s34, exec_lo
	s_delay_alu instid0(VALU_DEP_2)
	v_cmpx_ne_u32_e32 0x7f, v62
	s_cbranch_execz .LBB275_304
; %bb.301:                              ;   in Loop: Header=BB275_10 Depth=1
	v_and_b32_e32 v1, 7, v9
	v_lshrrev_b32_e32 v61, 3, v62
	s_mov_b32 s35, exec_lo
	v_cmpx_gt_u32_e32 8, v62
; %bb.302:                              ;   in Loop: Header=BB275_10 Depth=1
	s_delay_alu instid0(VALU_DEP_3) | instskip(NEXT) | instid1(VALU_DEP_1)
	v_clz_i32_u32_e32 v1, v1
	v_min_u32_e32 v1, 32, v1
	s_delay_alu instid0(VALU_DEP_1) | instskip(NEXT) | instid1(VALU_DEP_1)
	v_subrev_nc_u32_e32 v61, 28, v1
	v_lshlrev_b64_e32 v[62:63], v61, v[9:10]
	v_sub_nc_u32_e32 v61, 29, v1
	s_delay_alu instid0(VALU_DEP_2)
	v_and_b32_e32 v1, 7, v62
; %bb.303:                              ;   in Loop: Header=BB275_10 Depth=1
	s_wait_alu 0xfffe
	s_or_b32 exec_lo, exec_lo, s35
	v_lshlrev_b32_e32 v62, 8, v9
	v_lshl_add_u32 v61, v61, 10, 0x2000
	v_lshlrev_b32_e32 v1, 7, v1
	s_delay_alu instid0(VALU_DEP_3) | instskip(NEXT) | instid1(VALU_DEP_3)
	v_and_b32_e32 v62, 0x8000, v62
	v_and_b32_e32 v61, 0xfc00, v61
	s_delay_alu instid0(VALU_DEP_1)
	v_or3_b32 v61, v62, v61, v1
.LBB275_304:                            ;   in Loop: Header=BB275_10 Depth=1
	s_wait_alu 0xfffe
	s_or_b32 exec_lo, exec_lo, s34
.LBB275_305:                            ;   in Loop: Header=BB275_10 Depth=1
	s_delay_alu instid0(SALU_CYCLE_1)
	s_or_b32 exec_lo, exec_lo, s33
.LBB275_306:                            ;   in Loop: Header=BB275_10 Depth=1
	s_wait_alu 0xfffe
	s_or_b32 exec_lo, exec_lo, s5
	v_lshrrev_b16 v1, 8, v9
	s_mov_b32 s5, exec_lo
	s_delay_alu instid0(VALU_DEP_1)
	v_cmpx_ne_u16_e32 0, v1
	s_cbranch_execz .LBB275_314
; %bb.307:                              ;   in Loop: Header=BB275_10 Depth=1
	v_bfrev_b32_e32 v60, 1
	s_mov_b32 s33, exec_lo
	v_cmpx_ne_u16_e32 0x80, v1
	s_cbranch_execz .LBB275_313
; %bb.308:                              ;   in Loop: Header=BB275_10 Depth=1
	v_and_b32_e32 v62, 0xffff, v1
	v_mov_b32_e32 v60, 0x7c010000
	s_mov_b32 s34, exec_lo
	s_delay_alu instid0(VALU_DEP_2) | instskip(NEXT) | instid1(VALU_DEP_1)
	v_and_b32_e32 v64, 0x7f, v62
	v_cmpx_ne_u32_e32 0x7f, v64
	s_cbranch_execz .LBB275_312
; %bb.309:                              ;   in Loop: Header=BB275_10 Depth=1
	v_and_b32_e32 v60, 7, v62
	v_lshrrev_b32_e32 v63, 3, v64
	s_mov_b32 s35, exec_lo
	v_cmpx_gt_u32_e32 8, v64
; %bb.310:                              ;   in Loop: Header=BB275_10 Depth=1
	s_delay_alu instid0(VALU_DEP_3) | instskip(NEXT) | instid1(VALU_DEP_1)
	v_clz_i32_u32_e32 v60, v60
	v_min_u32_e32 v60, 32, v60
	s_delay_alu instid0(VALU_DEP_1) | instskip(NEXT) | instid1(VALU_DEP_1)
	v_subrev_nc_u32_e32 v63, 28, v60
	v_lshlrev_b64_e32 v[64:65], v63, v[1:2]
	v_sub_nc_u32_e32 v63, 29, v60
	s_delay_alu instid0(VALU_DEP_2)
	v_and_b32_e32 v60, 7, v64
; %bb.311:                              ;   in Loop: Header=BB275_10 Depth=1
	s_wait_alu 0xfffe
	s_or_b32 exec_lo, exec_lo, s35
	v_lshlrev_b32_e32 v1, 8, v62
	v_lshl_add_u32 v62, v63, 10, 0x2000
	v_lshlrev_b32_e32 v60, 23, v60
	s_delay_alu instid0(VALU_DEP_2) | instskip(NEXT) | instid1(VALU_DEP_1)
	v_and_or_b32 v1, 0x8000, v1, v62
	v_lshl_or_b32 v60, v1, 16, v60
.LBB275_312:                            ;   in Loop: Header=BB275_10 Depth=1
	s_wait_alu 0xfffe
	s_or_b32 exec_lo, exec_lo, s34
.LBB275_313:                            ;   in Loop: Header=BB275_10 Depth=1
	s_delay_alu instid0(SALU_CYCLE_1)
	s_or_b32 exec_lo, exec_lo, s33
.LBB275_314:                            ;   in Loop: Header=BB275_10 Depth=1
	s_wait_alu 0xfffe
	s_or_b32 exec_lo, exec_lo, s5
	v_lshrrev_b32_e32 v1, 16, v9
	v_mov_b32_e32 v62, 0
	s_mov_b32 s5, exec_lo
	s_delay_alu instid0(VALU_DEP_2) | instskip(NEXT) | instid1(VALU_DEP_1)
	v_dual_mov_b32 v63, 0 :: v_dual_and_b32 v64, 0xff, v1
	v_cmpx_ne_u16_e32 0, v64
	s_cbranch_execz .LBB275_322
; %bb.315:                              ;   in Loop: Header=BB275_10 Depth=1
	v_mov_b32_e32 v63, 0x8000
	s_mov_b32 s33, exec_lo
	v_cmpx_ne_u16_e32 0x80, v64
	s_cbranch_execz .LBB275_321
; %bb.316:                              ;   in Loop: Header=BB275_10 Depth=1
	v_bfe_u32 v65, v9, 16, 7
	v_mov_b32_e32 v63, 0x7c01
	s_mov_b32 s34, exec_lo
	s_delay_alu instid0(VALU_DEP_2)
	v_cmpx_ne_u32_e32 0x7f, v65
	s_cbranch_execz .LBB275_320
; %bb.317:                              ;   in Loop: Header=BB275_10 Depth=1
	v_and_b32_e32 v63, 7, v1
	v_lshrrev_b32_e32 v64, 3, v65
	s_mov_b32 s35, exec_lo
	v_cmpx_gt_u32_e32 8, v65
; %bb.318:                              ;   in Loop: Header=BB275_10 Depth=1
	s_delay_alu instid0(VALU_DEP_3) | instskip(NEXT) | instid1(VALU_DEP_1)
	v_clz_i32_u32_e32 v63, v63
	v_min_u32_e32 v65, 32, v63
	s_delay_alu instid0(VALU_DEP_1) | instskip(NEXT) | instid1(VALU_DEP_1)
	v_subrev_nc_u32_e32 v63, 28, v65
	v_lshlrev_b64_e32 v[63:64], v63, v[1:2]
	v_sub_nc_u32_e32 v64, 29, v65
	s_delay_alu instid0(VALU_DEP_2)
	v_and_b32_e32 v63, 7, v63
; %bb.319:                              ;   in Loop: Header=BB275_10 Depth=1
	s_wait_alu 0xfffe
	s_or_b32 exec_lo, exec_lo, s35
	v_lshlrev_b32_e32 v1, 8, v1
	v_lshl_add_u32 v64, v64, 10, 0x2000
	v_lshlrev_b32_e32 v63, 7, v63
	s_delay_alu instid0(VALU_DEP_3) | instskip(NEXT) | instid1(VALU_DEP_3)
	v_and_b32_e32 v1, 0x8000, v1
	v_and_b32_e32 v64, 0xfc00, v64
	s_delay_alu instid0(VALU_DEP_1)
	v_or3_b32 v63, v1, v64, v63
.LBB275_320:                            ;   in Loop: Header=BB275_10 Depth=1
	s_wait_alu 0xfffe
	s_or_b32 exec_lo, exec_lo, s34
.LBB275_321:                            ;   in Loop: Header=BB275_10 Depth=1
	s_delay_alu instid0(SALU_CYCLE_1)
	s_or_b32 exec_lo, exec_lo, s33
.LBB275_322:                            ;   in Loop: Header=BB275_10 Depth=1
	s_wait_alu 0xfffe
	s_or_b32 exec_lo, exec_lo, s5
	s_delay_alu instid0(SALU_CYCLE_1)
	s_mov_b32 s5, exec_lo
	v_cmpx_lt_u32_e32 0xffffff, v9
	s_cbranch_execz .LBB275_330
; %bb.323:                              ;   in Loop: Header=BB275_10 Depth=1
	v_lshrrev_b32_e32 v1, 24, v9
	v_bfrev_b32_e32 v62, 1
	s_mov_b32 s33, exec_lo
	s_delay_alu instid0(VALU_DEP_2)
	v_cmpx_ne_u32_e32 0x80, v1
	s_cbranch_execz .LBB275_329
; %bb.324:                              ;   in Loop: Header=BB275_10 Depth=1
	v_and_b32_e32 v64, 0x7f, v1
	v_mov_b32_e32 v62, 0x7c010000
	s_mov_b32 s34, exec_lo
	s_delay_alu instid0(VALU_DEP_2)
	v_cmpx_ne_u32_e32 0x7f, v64
	s_cbranch_execz .LBB275_328
; %bb.325:                              ;   in Loop: Header=BB275_10 Depth=1
	v_and_b32_e32 v9, 7, v1
	v_lshrrev_b32_e32 v62, 3, v64
	s_mov_b32 s35, exec_lo
	v_cmpx_gt_u32_e32 8, v64
; %bb.326:                              ;   in Loop: Header=BB275_10 Depth=1
	s_delay_alu instid0(VALU_DEP_3) | instskip(NEXT) | instid1(VALU_DEP_1)
	v_clz_i32_u32_e32 v9, v9
	v_min_u32_e32 v9, 32, v9
	s_delay_alu instid0(VALU_DEP_1) | instskip(NEXT) | instid1(VALU_DEP_1)
	v_subrev_nc_u32_e32 v62, 28, v9
	v_lshlrev_b64_e32 v[64:65], v62, v[1:2]
	v_sub_nc_u32_e32 v62, 29, v9
	s_delay_alu instid0(VALU_DEP_2)
	v_and_b32_e32 v9, 7, v64
; %bb.327:                              ;   in Loop: Header=BB275_10 Depth=1
	s_wait_alu 0xfffe
	s_or_b32 exec_lo, exec_lo, s35
	v_lshlrev_b32_e32 v1, 8, v1
	v_lshl_add_u32 v62, v62, 10, 0x2000
	v_lshlrev_b32_e32 v9, 23, v9
	s_delay_alu instid0(VALU_DEP_2) | instskip(NEXT) | instid1(VALU_DEP_1)
	v_and_or_b32 v1, 0x8000, v1, v62
	v_lshl_or_b32 v62, v1, 16, v9
.LBB275_328:                            ;   in Loop: Header=BB275_10 Depth=1
	s_wait_alu 0xfffe
	s_or_b32 exec_lo, exec_lo, s34
.LBB275_329:                            ;   in Loop: Header=BB275_10 Depth=1
	s_delay_alu instid0(SALU_CYCLE_1)
	s_or_b32 exec_lo, exec_lo, s33
.LBB275_330:                            ;   in Loop: Header=BB275_10 Depth=1
	s_wait_alu 0xfffe
	s_or_b32 exec_lo, exec_lo, s5
	global_load_b32 v9, v[7:8], off offset:1280
	v_mov_b32_e32 v65, 0
	s_mov_b32 s5, exec_lo
	s_wait_loadcnt 0x0
	v_dual_mov_b32 v64, 0 :: v_dual_and_b32 v1, 0xff, v9
	s_delay_alu instid0(VALU_DEP_1)
	v_cmpx_ne_u16_e32 0, v1
	s_cbranch_execz .LBB275_338
; %bb.331:                              ;   in Loop: Header=BB275_10 Depth=1
	v_mov_b32_e32 v65, 0x8000
	s_mov_b32 s33, exec_lo
	v_cmpx_ne_u16_e32 0x80, v1
	s_cbranch_execz .LBB275_337
; %bb.332:                              ;   in Loop: Header=BB275_10 Depth=1
	v_and_b32_e32 v66, 0x7f, v9
	v_mov_b32_e32 v65, 0x7c01
	s_mov_b32 s34, exec_lo
	s_delay_alu instid0(VALU_DEP_2)
	v_cmpx_ne_u32_e32 0x7f, v66
	s_cbranch_execz .LBB275_336
; %bb.333:                              ;   in Loop: Header=BB275_10 Depth=1
	v_and_b32_e32 v1, 7, v9
	v_lshrrev_b32_e32 v65, 3, v66
	s_mov_b32 s35, exec_lo
	v_cmpx_gt_u32_e32 8, v66
; %bb.334:                              ;   in Loop: Header=BB275_10 Depth=1
	s_delay_alu instid0(VALU_DEP_3) | instskip(NEXT) | instid1(VALU_DEP_1)
	v_clz_i32_u32_e32 v1, v1
	v_min_u32_e32 v1, 32, v1
	s_delay_alu instid0(VALU_DEP_1) | instskip(NEXT) | instid1(VALU_DEP_1)
	v_subrev_nc_u32_e32 v65, 28, v1
	v_lshlrev_b64_e32 v[66:67], v65, v[9:10]
	v_sub_nc_u32_e32 v65, 29, v1
	s_delay_alu instid0(VALU_DEP_2)
	v_and_b32_e32 v1, 7, v66
; %bb.335:                              ;   in Loop: Header=BB275_10 Depth=1
	s_wait_alu 0xfffe
	s_or_b32 exec_lo, exec_lo, s35
	v_lshlrev_b32_e32 v66, 8, v9
	v_lshl_add_u32 v65, v65, 10, 0x2000
	v_lshlrev_b32_e32 v1, 7, v1
	s_delay_alu instid0(VALU_DEP_3) | instskip(NEXT) | instid1(VALU_DEP_3)
	v_and_b32_e32 v66, 0x8000, v66
	v_and_b32_e32 v65, 0xfc00, v65
	s_delay_alu instid0(VALU_DEP_1)
	v_or3_b32 v65, v66, v65, v1
.LBB275_336:                            ;   in Loop: Header=BB275_10 Depth=1
	s_wait_alu 0xfffe
	s_or_b32 exec_lo, exec_lo, s34
.LBB275_337:                            ;   in Loop: Header=BB275_10 Depth=1
	s_delay_alu instid0(SALU_CYCLE_1)
	s_or_b32 exec_lo, exec_lo, s33
.LBB275_338:                            ;   in Loop: Header=BB275_10 Depth=1
	s_wait_alu 0xfffe
	s_or_b32 exec_lo, exec_lo, s5
	v_lshrrev_b16 v1, 8, v9
	s_mov_b32 s5, exec_lo
	s_delay_alu instid0(VALU_DEP_1)
	v_cmpx_ne_u16_e32 0, v1
	s_cbranch_execz .LBB275_346
; %bb.339:                              ;   in Loop: Header=BB275_10 Depth=1
	v_bfrev_b32_e32 v64, 1
	s_mov_b32 s33, exec_lo
	v_cmpx_ne_u16_e32 0x80, v1
	s_cbranch_execz .LBB275_345
; %bb.340:                              ;   in Loop: Header=BB275_10 Depth=1
	v_and_b32_e32 v66, 0xffff, v1
	v_mov_b32_e32 v64, 0x7c010000
	s_mov_b32 s34, exec_lo
	s_delay_alu instid0(VALU_DEP_2) | instskip(NEXT) | instid1(VALU_DEP_1)
	v_and_b32_e32 v68, 0x7f, v66
	v_cmpx_ne_u32_e32 0x7f, v68
	s_cbranch_execz .LBB275_344
; %bb.341:                              ;   in Loop: Header=BB275_10 Depth=1
	v_and_b32_e32 v64, 7, v66
	v_lshrrev_b32_e32 v67, 3, v68
	s_mov_b32 s35, exec_lo
	v_cmpx_gt_u32_e32 8, v68
; %bb.342:                              ;   in Loop: Header=BB275_10 Depth=1
	s_delay_alu instid0(VALU_DEP_3) | instskip(NEXT) | instid1(VALU_DEP_1)
	v_clz_i32_u32_e32 v64, v64
	v_min_u32_e32 v64, 32, v64
	s_delay_alu instid0(VALU_DEP_1) | instskip(NEXT) | instid1(VALU_DEP_1)
	v_subrev_nc_u32_e32 v67, 28, v64
	v_lshlrev_b64_e32 v[68:69], v67, v[1:2]
	v_sub_nc_u32_e32 v67, 29, v64
	s_delay_alu instid0(VALU_DEP_2)
	v_and_b32_e32 v64, 7, v68
; %bb.343:                              ;   in Loop: Header=BB275_10 Depth=1
	s_wait_alu 0xfffe
	s_or_b32 exec_lo, exec_lo, s35
	v_lshlrev_b32_e32 v1, 8, v66
	v_lshl_add_u32 v66, v67, 10, 0x2000
	v_lshlrev_b32_e32 v64, 23, v64
	s_delay_alu instid0(VALU_DEP_2) | instskip(NEXT) | instid1(VALU_DEP_1)
	v_and_or_b32 v1, 0x8000, v1, v66
	v_lshl_or_b32 v64, v1, 16, v64
.LBB275_344:                            ;   in Loop: Header=BB275_10 Depth=1
	s_wait_alu 0xfffe
	s_or_b32 exec_lo, exec_lo, s34
.LBB275_345:                            ;   in Loop: Header=BB275_10 Depth=1
	s_delay_alu instid0(SALU_CYCLE_1)
	s_or_b32 exec_lo, exec_lo, s33
.LBB275_346:                            ;   in Loop: Header=BB275_10 Depth=1
	s_wait_alu 0xfffe
	s_or_b32 exec_lo, exec_lo, s5
	v_lshrrev_b32_e32 v1, 16, v9
	v_mov_b32_e32 v66, 0
	s_mov_b32 s5, exec_lo
	s_delay_alu instid0(VALU_DEP_2) | instskip(NEXT) | instid1(VALU_DEP_1)
	v_dual_mov_b32 v67, 0 :: v_dual_and_b32 v68, 0xff, v1
	v_cmpx_ne_u16_e32 0, v68
	s_cbranch_execz .LBB275_354
; %bb.347:                              ;   in Loop: Header=BB275_10 Depth=1
	v_mov_b32_e32 v67, 0x8000
	s_mov_b32 s33, exec_lo
	v_cmpx_ne_u16_e32 0x80, v68
	s_cbranch_execz .LBB275_353
; %bb.348:                              ;   in Loop: Header=BB275_10 Depth=1
	v_bfe_u32 v69, v9, 16, 7
	v_mov_b32_e32 v67, 0x7c01
	s_mov_b32 s34, exec_lo
	s_delay_alu instid0(VALU_DEP_2)
	v_cmpx_ne_u32_e32 0x7f, v69
	s_cbranch_execz .LBB275_352
; %bb.349:                              ;   in Loop: Header=BB275_10 Depth=1
	v_and_b32_e32 v67, 7, v1
	v_lshrrev_b32_e32 v68, 3, v69
	s_mov_b32 s35, exec_lo
	v_cmpx_gt_u32_e32 8, v69
; %bb.350:                              ;   in Loop: Header=BB275_10 Depth=1
	s_delay_alu instid0(VALU_DEP_3) | instskip(NEXT) | instid1(VALU_DEP_1)
	v_clz_i32_u32_e32 v67, v67
	v_min_u32_e32 v69, 32, v67
	s_delay_alu instid0(VALU_DEP_1) | instskip(NEXT) | instid1(VALU_DEP_1)
	v_subrev_nc_u32_e32 v67, 28, v69
	v_lshlrev_b64_e32 v[67:68], v67, v[1:2]
	v_sub_nc_u32_e32 v68, 29, v69
	s_delay_alu instid0(VALU_DEP_2)
	v_and_b32_e32 v67, 7, v67
; %bb.351:                              ;   in Loop: Header=BB275_10 Depth=1
	s_wait_alu 0xfffe
	s_or_b32 exec_lo, exec_lo, s35
	v_lshlrev_b32_e32 v1, 8, v1
	v_lshl_add_u32 v68, v68, 10, 0x2000
	v_lshlrev_b32_e32 v67, 7, v67
	s_delay_alu instid0(VALU_DEP_3) | instskip(NEXT) | instid1(VALU_DEP_3)
	v_and_b32_e32 v1, 0x8000, v1
	v_and_b32_e32 v68, 0xfc00, v68
	s_delay_alu instid0(VALU_DEP_1)
	v_or3_b32 v67, v1, v68, v67
.LBB275_352:                            ;   in Loop: Header=BB275_10 Depth=1
	s_wait_alu 0xfffe
	s_or_b32 exec_lo, exec_lo, s34
.LBB275_353:                            ;   in Loop: Header=BB275_10 Depth=1
	s_delay_alu instid0(SALU_CYCLE_1)
	s_or_b32 exec_lo, exec_lo, s33
.LBB275_354:                            ;   in Loop: Header=BB275_10 Depth=1
	s_wait_alu 0xfffe
	s_or_b32 exec_lo, exec_lo, s5
	s_delay_alu instid0(SALU_CYCLE_1)
	s_mov_b32 s5, exec_lo
	v_cmpx_lt_u32_e32 0xffffff, v9
	s_cbranch_execz .LBB275_362
; %bb.355:                              ;   in Loop: Header=BB275_10 Depth=1
	v_lshrrev_b32_e32 v1, 24, v9
	v_bfrev_b32_e32 v66, 1
	s_mov_b32 s33, exec_lo
	s_delay_alu instid0(VALU_DEP_2)
	v_cmpx_ne_u32_e32 0x80, v1
	s_cbranch_execz .LBB275_361
; %bb.356:                              ;   in Loop: Header=BB275_10 Depth=1
	v_and_b32_e32 v68, 0x7f, v1
	v_mov_b32_e32 v66, 0x7c010000
	s_mov_b32 s34, exec_lo
	s_delay_alu instid0(VALU_DEP_2)
	v_cmpx_ne_u32_e32 0x7f, v68
	s_cbranch_execz .LBB275_360
; %bb.357:                              ;   in Loop: Header=BB275_10 Depth=1
	v_and_b32_e32 v9, 7, v1
	v_lshrrev_b32_e32 v66, 3, v68
	s_mov_b32 s35, exec_lo
	v_cmpx_gt_u32_e32 8, v68
; %bb.358:                              ;   in Loop: Header=BB275_10 Depth=1
	s_delay_alu instid0(VALU_DEP_3) | instskip(NEXT) | instid1(VALU_DEP_1)
	v_clz_i32_u32_e32 v9, v9
	v_min_u32_e32 v9, 32, v9
	s_delay_alu instid0(VALU_DEP_1) | instskip(NEXT) | instid1(VALU_DEP_1)
	v_subrev_nc_u32_e32 v66, 28, v9
	v_lshlrev_b64_e32 v[68:69], v66, v[1:2]
	v_sub_nc_u32_e32 v66, 29, v9
	s_delay_alu instid0(VALU_DEP_2)
	v_and_b32_e32 v9, 7, v68
; %bb.359:                              ;   in Loop: Header=BB275_10 Depth=1
	s_wait_alu 0xfffe
	s_or_b32 exec_lo, exec_lo, s35
	v_lshlrev_b32_e32 v1, 8, v1
	v_lshl_add_u32 v66, v66, 10, 0x2000
	v_lshlrev_b32_e32 v9, 23, v9
	s_delay_alu instid0(VALU_DEP_2) | instskip(NEXT) | instid1(VALU_DEP_1)
	v_and_or_b32 v1, 0x8000, v1, v66
	v_lshl_or_b32 v66, v1, 16, v9
.LBB275_360:                            ;   in Loop: Header=BB275_10 Depth=1
	s_wait_alu 0xfffe
	s_or_b32 exec_lo, exec_lo, s34
.LBB275_361:                            ;   in Loop: Header=BB275_10 Depth=1
	s_delay_alu instid0(SALU_CYCLE_1)
	s_or_b32 exec_lo, exec_lo, s33
.LBB275_362:                            ;   in Loop: Header=BB275_10 Depth=1
	s_wait_alu 0xfffe
	s_or_b32 exec_lo, exec_lo, s5
	global_load_b32 v7, v[7:8], off offset:1288
	v_mov_b32_e32 v9, 0
	s_mov_b32 s5, exec_lo
	s_wait_loadcnt 0x0
	v_dual_mov_b32 v8, 0 :: v_dual_and_b32 v1, 0xff, v7
	s_delay_alu instid0(VALU_DEP_1)
	v_cmpx_ne_u16_e32 0, v1
	s_cbranch_execz .LBB275_370
; %bb.363:                              ;   in Loop: Header=BB275_10 Depth=1
	v_mov_b32_e32 v9, 0x8000
	s_mov_b32 s33, exec_lo
	v_cmpx_ne_u16_e32 0x80, v1
	s_cbranch_execz .LBB275_369
; %bb.364:                              ;   in Loop: Header=BB275_10 Depth=1
	v_and_b32_e32 v68, 0x7f, v7
	v_mov_b32_e32 v9, 0x7c01
	s_mov_b32 s34, exec_lo
	s_delay_alu instid0(VALU_DEP_2)
	v_cmpx_ne_u32_e32 0x7f, v68
	s_cbranch_execz .LBB275_368
; %bb.365:                              ;   in Loop: Header=BB275_10 Depth=1
	v_and_b32_e32 v1, 7, v7
	v_lshrrev_b32_e32 v9, 3, v68
	s_mov_b32 s35, exec_lo
	v_cmpx_gt_u32_e32 8, v68
; %bb.366:                              ;   in Loop: Header=BB275_10 Depth=1
	s_delay_alu instid0(VALU_DEP_3) | instskip(NEXT) | instid1(VALU_DEP_1)
	v_clz_i32_u32_e32 v1, v1
	v_min_u32_e32 v1, 32, v1
	s_delay_alu instid0(VALU_DEP_1) | instskip(NEXT) | instid1(VALU_DEP_1)
	v_subrev_nc_u32_e32 v9, 28, v1
	v_lshlrev_b64_e32 v[68:69], v9, v[7:8]
	v_sub_nc_u32_e32 v9, 29, v1
	s_delay_alu instid0(VALU_DEP_2)
	v_and_b32_e32 v1, 7, v68
; %bb.367:                              ;   in Loop: Header=BB275_10 Depth=1
	s_wait_alu 0xfffe
	s_or_b32 exec_lo, exec_lo, s35
	v_lshlrev_b32_e32 v68, 8, v7
	v_lshl_add_u32 v9, v9, 10, 0x2000
	v_lshlrev_b32_e32 v1, 7, v1
	s_delay_alu instid0(VALU_DEP_3) | instskip(NEXT) | instid1(VALU_DEP_3)
	v_and_b32_e32 v68, 0x8000, v68
	v_and_b32_e32 v9, 0xfc00, v9
	s_delay_alu instid0(VALU_DEP_1)
	v_or3_b32 v9, v68, v9, v1
.LBB275_368:                            ;   in Loop: Header=BB275_10 Depth=1
	s_wait_alu 0xfffe
	s_or_b32 exec_lo, exec_lo, s34
.LBB275_369:                            ;   in Loop: Header=BB275_10 Depth=1
	s_delay_alu instid0(SALU_CYCLE_1)
	s_or_b32 exec_lo, exec_lo, s33
.LBB275_370:                            ;   in Loop: Header=BB275_10 Depth=1
	s_wait_alu 0xfffe
	s_or_b32 exec_lo, exec_lo, s5
	v_lshrrev_b16 v1, 8, v7
	s_mov_b32 s5, exec_lo
	s_delay_alu instid0(VALU_DEP_1)
	v_cmpx_ne_u16_e32 0, v1
	s_cbranch_execz .LBB275_378
; %bb.371:                              ;   in Loop: Header=BB275_10 Depth=1
	v_bfrev_b32_e32 v8, 1
	s_mov_b32 s33, exec_lo
	v_cmpx_ne_u16_e32 0x80, v1
	s_cbranch_execz .LBB275_377
; %bb.372:                              ;   in Loop: Header=BB275_10 Depth=1
	v_and_b32_e32 v68, 0xffff, v1
	v_mov_b32_e32 v8, 0x7c010000
	s_mov_b32 s34, exec_lo
	s_delay_alu instid0(VALU_DEP_2) | instskip(NEXT) | instid1(VALU_DEP_1)
	v_and_b32_e32 v70, 0x7f, v68
	v_cmpx_ne_u32_e32 0x7f, v70
	s_cbranch_execz .LBB275_376
; %bb.373:                              ;   in Loop: Header=BB275_10 Depth=1
	v_and_b32_e32 v8, 7, v68
	v_lshrrev_b32_e32 v69, 3, v70
	s_mov_b32 s35, exec_lo
	v_cmpx_gt_u32_e32 8, v70
; %bb.374:                              ;   in Loop: Header=BB275_10 Depth=1
	s_delay_alu instid0(VALU_DEP_3) | instskip(NEXT) | instid1(VALU_DEP_1)
	v_clz_i32_u32_e32 v8, v8
	v_min_u32_e32 v8, 32, v8
	s_delay_alu instid0(VALU_DEP_1) | instskip(NEXT) | instid1(VALU_DEP_1)
	v_subrev_nc_u32_e32 v69, 28, v8
	v_lshlrev_b64_e32 v[70:71], v69, v[1:2]
	v_sub_nc_u32_e32 v69, 29, v8
	s_delay_alu instid0(VALU_DEP_2)
	v_and_b32_e32 v8, 7, v70
; %bb.375:                              ;   in Loop: Header=BB275_10 Depth=1
	s_wait_alu 0xfffe
	s_or_b32 exec_lo, exec_lo, s35
	v_lshlrev_b32_e32 v1, 8, v68
	v_lshl_add_u32 v68, v69, 10, 0x2000
	v_lshlrev_b32_e32 v8, 23, v8
	s_delay_alu instid0(VALU_DEP_2) | instskip(NEXT) | instid1(VALU_DEP_1)
	v_and_or_b32 v1, 0x8000, v1, v68
	v_lshl_or_b32 v8, v1, 16, v8
.LBB275_376:                            ;   in Loop: Header=BB275_10 Depth=1
	s_wait_alu 0xfffe
	s_or_b32 exec_lo, exec_lo, s34
.LBB275_377:                            ;   in Loop: Header=BB275_10 Depth=1
	s_delay_alu instid0(SALU_CYCLE_1)
	s_or_b32 exec_lo, exec_lo, s33
.LBB275_378:                            ;   in Loop: Header=BB275_10 Depth=1
	s_wait_alu 0xfffe
	s_or_b32 exec_lo, exec_lo, s5
	v_lshrrev_b32_e32 v1, 16, v7
	v_mov_b32_e32 v68, 0
	s_mov_b32 s5, exec_lo
	s_delay_alu instid0(VALU_DEP_2) | instskip(NEXT) | instid1(VALU_DEP_1)
	v_dual_mov_b32 v69, 0 :: v_dual_and_b32 v70, 0xff, v1
	v_cmpx_ne_u16_e32 0, v70
	s_cbranch_execz .LBB275_386
; %bb.379:                              ;   in Loop: Header=BB275_10 Depth=1
	v_mov_b32_e32 v69, 0x8000
	s_mov_b32 s33, exec_lo
	v_cmpx_ne_u16_e32 0x80, v70
	s_cbranch_execz .LBB275_385
; %bb.380:                              ;   in Loop: Header=BB275_10 Depth=1
	v_bfe_u32 v71, v7, 16, 7
	v_mov_b32_e32 v69, 0x7c01
	s_mov_b32 s34, exec_lo
	s_delay_alu instid0(VALU_DEP_2)
	v_cmpx_ne_u32_e32 0x7f, v71
	s_cbranch_execz .LBB275_384
; %bb.381:                              ;   in Loop: Header=BB275_10 Depth=1
	v_and_b32_e32 v69, 7, v1
	v_lshrrev_b32_e32 v70, 3, v71
	s_mov_b32 s35, exec_lo
	v_cmpx_gt_u32_e32 8, v71
; %bb.382:                              ;   in Loop: Header=BB275_10 Depth=1
	s_delay_alu instid0(VALU_DEP_3) | instskip(NEXT) | instid1(VALU_DEP_1)
	v_clz_i32_u32_e32 v69, v69
	v_min_u32_e32 v71, 32, v69
	s_delay_alu instid0(VALU_DEP_1) | instskip(NEXT) | instid1(VALU_DEP_1)
	v_subrev_nc_u32_e32 v69, 28, v71
	v_lshlrev_b64_e32 v[69:70], v69, v[1:2]
	v_sub_nc_u32_e32 v70, 29, v71
	s_delay_alu instid0(VALU_DEP_2)
	v_and_b32_e32 v69, 7, v69
; %bb.383:                              ;   in Loop: Header=BB275_10 Depth=1
	s_wait_alu 0xfffe
	s_or_b32 exec_lo, exec_lo, s35
	v_lshlrev_b32_e32 v1, 8, v1
	v_lshl_add_u32 v70, v70, 10, 0x2000
	v_lshlrev_b32_e32 v69, 7, v69
	s_delay_alu instid0(VALU_DEP_3) | instskip(NEXT) | instid1(VALU_DEP_3)
	v_and_b32_e32 v1, 0x8000, v1
	v_and_b32_e32 v70, 0xfc00, v70
	s_delay_alu instid0(VALU_DEP_1)
	v_or3_b32 v69, v1, v70, v69
.LBB275_384:                            ;   in Loop: Header=BB275_10 Depth=1
	s_wait_alu 0xfffe
	s_or_b32 exec_lo, exec_lo, s34
.LBB275_385:                            ;   in Loop: Header=BB275_10 Depth=1
	s_delay_alu instid0(SALU_CYCLE_1)
	s_or_b32 exec_lo, exec_lo, s33
.LBB275_386:                            ;   in Loop: Header=BB275_10 Depth=1
	s_wait_alu 0xfffe
	s_or_b32 exec_lo, exec_lo, s5
	s_delay_alu instid0(SALU_CYCLE_1)
	s_mov_b32 s5, exec_lo
	v_cmpx_lt_u32_e32 0xffffff, v7
	s_cbranch_execz .LBB275_394
; %bb.387:                              ;   in Loop: Header=BB275_10 Depth=1
	v_lshrrev_b32_e32 v1, 24, v7
	v_bfrev_b32_e32 v68, 1
	s_mov_b32 s33, exec_lo
	s_delay_alu instid0(VALU_DEP_2)
	v_cmpx_ne_u32_e32 0x80, v1
	s_cbranch_execz .LBB275_393
; %bb.388:                              ;   in Loop: Header=BB275_10 Depth=1
	v_and_b32_e32 v70, 0x7f, v1
	v_mov_b32_e32 v68, 0x7c010000
	s_mov_b32 s34, exec_lo
	s_delay_alu instid0(VALU_DEP_2)
	v_cmpx_ne_u32_e32 0x7f, v70
	s_cbranch_execz .LBB275_392
; %bb.389:                              ;   in Loop: Header=BB275_10 Depth=1
	v_and_b32_e32 v7, 7, v1
	v_lshrrev_b32_e32 v68, 3, v70
	s_mov_b32 s35, exec_lo
	v_cmpx_gt_u32_e32 8, v70
; %bb.390:                              ;   in Loop: Header=BB275_10 Depth=1
	s_delay_alu instid0(VALU_DEP_3) | instskip(NEXT) | instid1(VALU_DEP_1)
	v_clz_i32_u32_e32 v7, v7
	v_min_u32_e32 v7, 32, v7
	s_delay_alu instid0(VALU_DEP_1) | instskip(NEXT) | instid1(VALU_DEP_1)
	v_subrev_nc_u32_e32 v68, 28, v7
	v_lshlrev_b64_e32 v[70:71], v68, v[1:2]
	v_sub_nc_u32_e32 v68, 29, v7
	s_delay_alu instid0(VALU_DEP_2)
	v_and_b32_e32 v7, 7, v70
; %bb.391:                              ;   in Loop: Header=BB275_10 Depth=1
	s_wait_alu 0xfffe
	s_or_b32 exec_lo, exec_lo, s35
	v_lshlrev_b32_e32 v1, 8, v1
	v_lshl_add_u32 v68, v68, 10, 0x2000
	v_lshlrev_b32_e32 v7, 23, v7
	s_delay_alu instid0(VALU_DEP_2) | instskip(NEXT) | instid1(VALU_DEP_1)
	v_and_or_b32 v1, 0x8000, v1, v68
	v_lshl_or_b32 v68, v1, 16, v7
.LBB275_392:                            ;   in Loop: Header=BB275_10 Depth=1
	s_wait_alu 0xfffe
	s_or_b32 exec_lo, exec_lo, s34
.LBB275_393:                            ;   in Loop: Header=BB275_10 Depth=1
	s_delay_alu instid0(SALU_CYCLE_1)
	s_or_b32 exec_lo, exec_lo, s33
.LBB275_394:                            ;   in Loop: Header=BB275_10 Depth=1
	s_wait_alu 0xfffe
	s_or_b32 exec_lo, exec_lo, s5
	ds_load_b64 v[70:71], v19
	v_or_b32_e32 v1, v24, v25
	v_or_b32_e32 v7, v26, v27
	v_fma_mixlo_f16 v24, v23, v24, 0 op_sel:[0,1,0] op_sel_hi:[0,1,0]
	v_fma_mixlo_f16 v25, v23, v26, 0 op_sel:[0,1,0] op_sel_hi:[0,1,0]
	v_or_b32_e32 v29, v28, v29
	v_fma_mixlo_f16 v1, v23, v1, 0 op_sel_hi:[0,1,0]
	v_fma_mixlo_f16 v7, v23, v7, 0 op_sel_hi:[0,1,0]
	v_and_b32_e32 v24, 0xffff, v24
	v_and_b32_e32 v72, 0xffff, v25
	v_or_b32_e32 v31, v30, v31
	v_and_b32_e32 v25, 0xffff, v1
	v_fma_mixlo_f16 v28, v23, v28, 0 op_sel:[0,1,0] op_sel_hi:[0,1,0]
	v_fma_mixlo_f16 v30, v23, v30, 0 op_sel:[0,1,0] op_sel_hi:[0,1,0]
	v_fma_mixlo_f16 v29, v23, v29, 0 op_sel_hi:[0,1,0]
	v_fma_mixlo_f16 v31, v23, v31, 0 op_sel_hi:[0,1,0]
	v_or_b32_e32 v33, v32, v33
	v_and_b32_e32 v74, 0xffff, v28
	v_or_b32_e32 v35, v34, v35
	v_fma_mixlo_f16 v32, v23, v32, 0 op_sel:[0,1,0] op_sel_hi:[0,1,0]
	s_wait_dscnt 0x0
	v_and_b32_e32 v1, 0xffff, v70
	v_lshrrev_b32_e32 v26, 16, v70
	v_and_b32_e32 v70, 0xffff, v7
	v_lshrrev_b32_e32 v73, 16, v71
	v_and_b32_e32 v71, 0xffff, v71
	;;#ASMSTART
	v_cvt_f32_f16 v7, v1;
	;;#ASMEND
	;;#ASMSTART
	v_cvt_f32_f16 v1, v26;
	;;#ASMEND
	;; [unrolled: 3-line block ×8, first 2 shown]
	ds_load_b64 v[72:73], v19 offset:8
	v_and_b32_e32 v75, 0xffff, v30
	v_and_b32_e32 v30, 0xffff, v29
	;; [unrolled: 1-line block ×3, first 2 shown]
	v_fma_mixlo_f16 v34, v23, v34, 0 op_sel:[0,1,0] op_sel_hi:[0,1,0]
	v_fma_mixlo_f16 v33, v23, v33, 0 op_sel_hi:[0,1,0]
	v_fma_mixlo_f16 v35, v23, v35, 0 op_sel_hi:[0,1,0]
	v_and_b32_e32 v32, 0xffff, v32
	v_or_b32_e32 v37, v36, v37
	v_and_b32_e32 v82, 0xffff, v34
	v_or_b32_e32 v39, v38, v39
	v_fma_mixlo_f16 v36, v23, v36, 0 op_sel:[0,1,0] op_sel_hi:[0,1,0]
	v_fma_mixlo_f16 v38, v23, v38, 0 op_sel:[0,1,0] op_sel_hi:[0,1,0]
	v_fma_mixlo_f16 v37, v23, v37, 0 op_sel_hi:[0,1,0]
	v_or_b32_e32 v41, v40, v41
	v_fma_mixlo_f16 v39, v23, v39, 0 op_sel_hi:[0,1,0]
	v_and_b32_e32 v36, 0xffff, v36
	v_and_b32_e32 v85, 0xffff, v38
	;; [unrolled: 1-line block ×3, first 2 shown]
	v_or_b32_e32 v43, v42, v43
	s_wait_dscnt 0x0
	v_and_b32_e32 v28, 0xffff, v72
	v_lshrrev_b32_e32 v72, 16, v72
	;;#ASMSTART
	v_cvt_f32_f16 v29, v28;
	;;#ASMEND
	;;#ASMSTART
	v_cvt_f32_f16 v28, v72;
	;;#ASMEND
	v_lshrrev_b32_e32 v77, 16, v73
	v_and_b32_e32 v31, 0xffff, v73
	;;#ASMSTART
	v_cvt_f32_f16 v73, v30;
	;;#ASMEND
	;;#ASMSTART
	v_cvt_f32_f16 v30, v74;
	;;#ASMEND
	v_mul_f32_e32 v28, v28, v30
	;;#ASMSTART
	v_cvt_f32_f16 v31, v31;
	;;#ASMEND
	;;#ASMSTART
	v_cvt_f32_f16 v72, v77;
	;;#ASMEND
	;; [unrolled: 3-line block ×3, first 2 shown]
	v_mul_f32_e32 v30, v31, v74
	v_fmac_f32_e32 v28, v1, v24
	;;#ASMSTART
	v_cvt_f32_f16 v75, v75;
	;;#ASMEND
	ds_load_b64 v[76:77], v19 offset:16
	v_and_b32_e32 v84, 0xffff, v39
	v_dual_fmac_f32 v30, v25, v70 :: v_dual_and_b32 v33, 0xffff, v33
	v_fma_mixlo_f16 v40, v23, v40, 0 op_sel:[0,1,0] op_sel_hi:[0,1,0]
	v_fma_mixlo_f16 v42, v23, v42, 0 op_sel:[0,1,0] op_sel_hi:[0,1,0]
	v_fma_mixlo_f16 v41, v23, v41, 0 op_sel_hi:[0,1,0]
	v_fma_mixlo_f16 v43, v23, v43, 0 op_sel_hi:[0,1,0]
	v_or_b32_e32 v45, v44, v45
	v_and_b32_e32 v86, 0xffff, v40
	v_and_b32_e32 v89, 0xffff, v42
	;; [unrolled: 1-line block ×4, first 2 shown]
	v_or_b32_e32 v47, v46, v47
	v_fma_mixlo_f16 v44, v23, v44, 0 op_sel:[0,1,0] op_sel_hi:[0,1,0]
	v_fma_mixlo_f16 v46, v23, v46, 0 op_sel:[0,1,0] op_sel_hi:[0,1,0]
	v_fma_mixlo_f16 v45, v23, v45, 0 op_sel_hi:[0,1,0]
	v_or_b32_e32 v49, v48, v49
	v_fma_mixlo_f16 v47, v23, v47, 0 op_sel_hi:[0,1,0]
	v_and_b32_e32 v90, 0xffff, v44
	s_wait_dscnt 0x0
	v_and_b32_e32 v34, 0xffff, v76
	v_lshrrev_b32_e32 v76, 16, v76
	v_lshrrev_b32_e32 v83, 16, v77
	v_and_b32_e32 v77, 0xffff, v77
	;;#ASMSTART
	v_cvt_f32_f16 v78, v34;
	;;#ASMEND
	;;#ASMSTART
	v_cvt_f32_f16 v79, v76;
	;;#ASMEND
	;; [unrolled: 3-line block ×4, first 2 shown]
	v_dual_fmac_f32 v28, v79, v81 :: v_dual_and_b32 v35, 0xffff, v35
	;;#ASMSTART
	v_cvt_f32_f16 v32, v77;
	;;#ASMEND
	;;#ASMSTART
	v_cvt_f32_f16 v33, v83;
	;;#ASMEND
	;; [unrolled: 3-line block ×4, first 2 shown]
	ds_load_b64 v[76:77], v19 offset:24
	v_and_b32_e32 v93, 0xffff, v46
	v_and_b32_e32 v46, 0xffff, v45
	;; [unrolled: 1-line block ×3, first 2 shown]
	v_or_b32_e32 v51, v50, v51
	v_fma_mixlo_f16 v48, v23, v48, 0 op_sel:[0,1,0] op_sel_hi:[0,1,0]
	v_fma_mixlo_f16 v50, v23, v50, 0 op_sel:[0,1,0] op_sel_hi:[0,1,0]
	v_fma_mixlo_f16 v49, v23, v49, 0 op_sel_hi:[0,1,0]
	v_or_b32_e32 v53, v52, v53
	v_fma_mixlo_f16 v51, v23, v51, 0 op_sel_hi:[0,1,0]
	v_and_b32_e32 v94, 0xffff, v48
	v_and_b32_e32 v97, 0xffff, v50
	;; [unrolled: 1-line block ×3, first 2 shown]
	v_or_b32_e32 v55, v54, v55
	v_and_b32_e32 v96, 0xffff, v51
	v_fma_mixlo_f16 v52, v23, v52, 0 op_sel:[0,1,0] op_sel_hi:[0,1,0]
	v_fma_mixlo_f16 v54, v23, v54, 0 op_sel:[0,1,0] op_sel_hi:[0,1,0]
	v_fma_mixlo_f16 v53, v23, v53, 0 op_sel_hi:[0,1,0]
	v_fma_mixlo_f16 v55, v23, v55, 0 op_sel_hi:[0,1,0]
	v_or_b32_e32 v57, v56, v57
	s_wait_dscnt 0x0
	v_and_b32_e32 v38, 0xffff, v76
	v_lshrrev_b32_e32 v76, 16, v76
	v_lshrrev_b32_e32 v83, 16, v77
	v_and_b32_e32 v82, 0xffff, v77
	;;#ASMSTART
	v_cvt_f32_f16 v38, v38;
	;;#ASMEND
	;;#ASMSTART
	v_cvt_f32_f16 v39, v76;
	;;#ASMEND
	;; [unrolled: 3-line block ×8, first 2 shown]
	ds_load_b64 v[36:37], v19 offset:32
	v_fmac_f32_e32 v28, v39, v77
	v_and_b32_e32 v98, 0xffff, v52
	v_and_b32_e32 v101, 0xffff, v54
	;; [unrolled: 1-line block ×4, first 2 shown]
	v_or_b32_e32 v59, v58, v59
	v_fma_mixlo_f16 v56, v23, v56, 0 op_sel:[0,1,0] op_sel_hi:[0,1,0]
	v_fma_mixlo_f16 v58, v23, v58, 0 op_sel:[0,1,0] op_sel_hi:[0,1,0]
	v_fma_mixlo_f16 v57, v23, v57, 0 op_sel_hi:[0,1,0]
	v_mul_f32_e32 v29, v29, v73
	v_fma_mixlo_f16 v59, v23, v59, 0 op_sel_hi:[0,1,0]
	v_and_b32_e32 v102, 0xffff, v56
	v_and_b32_e32 v105, 0xffff, v58
	;; [unrolled: 1-line block ×3, first 2 shown]
	v_or_b32_e32 v61, v60, v61
	v_and_b32_e32 v104, 0xffff, v59
	v_or_b32_e32 v63, v62, v63
	v_fmac_f32_e32 v29, v7, v27
	v_fma_mixlo_f16 v60, v23, v60, 0 op_sel:[0,1,0] op_sel_hi:[0,1,0]
	s_wait_dscnt 0x0
	v_and_b32_e32 v40, 0xffff, v36
	v_lshrrev_b32_e32 v36, 16, v36
	v_lshrrev_b32_e32 v87, 16, v37
	v_and_b32_e32 v37, 0xffff, v37
	;;#ASMSTART
	v_cvt_f32_f16 v40, v40;
	;;#ASMEND
	;;#ASMSTART
	v_cvt_f32_f16 v41, v36;
	;;#ASMEND
	;; [unrolled: 3-line block ×8, first 2 shown]
	ds_load_b64 v[36:37], v19 offset:40
	v_fmac_f32_e32 v28, v41, v43
	v_or_b32_e32 v9, v8, v9
	v_fma_mixlo_f16 v106, v23, v8, 0 op_sel:[0,1,0] op_sel_hi:[0,1,0]
	v_fma_mixlo_f16 v8, v23, v61, 0 op_sel_hi:[0,1,0]
	v_fma_mixlo_f16 v61, v23, v63, 0 op_sel_hi:[0,1,0]
	v_mul_f32_e32 v31, v72, v75
	v_fma_mixlo_f16 v62, v23, v62, 0 op_sel:[0,1,0] op_sel_hi:[0,1,0]
	v_fmac_f32_e32 v29, v78, v80
	v_and_b32_e32 v60, 0xffff, v60
	s_delay_alu instid0(VALU_DEP_4) | instskip(SKIP_1) | instid1(VALU_DEP_4)
	v_dual_fmac_f32 v31, v26, v71 :: v_dual_and_b32 v8, 0xffff, v8
	v_fmac_f32_e32 v30, v32, v34
	v_dual_fmac_f32 v29, v38, v76 :: v_dual_and_b32 v62, 0xffff, v62
	v_or_b32_e32 v65, v64, v65
	s_delay_alu instid0(VALU_DEP_3)
	v_dual_fmac_f32 v31, v33, v35 :: v_dual_fmac_f32 v30, v82, v84
	v_or_b32_e32 v67, v66, v67
	s_wait_dscnt 0x0
	v_dual_fmac_f32 v29, v40, v42 :: v_dual_and_b32 v44, 0xffff, v36
	v_lshrrev_b32_e32 v36, 16, v36
	v_lshrrev_b32_e32 v91, 16, v37
	v_and_b32_e32 v37, 0xffff, v37
	;;#ASMSTART
	v_cvt_f32_f16 v44, v44;
	;;#ASMEND
	;;#ASMSTART
	v_cvt_f32_f16 v45, v36;
	;;#ASMEND
	;;#ASMSTART
	v_cvt_f32_f16 v46, v46;
	;;#ASMEND
	;;#ASMSTART
	v_cvt_f32_f16 v47, v90;
	;;#ASMEND
	;;#ASMSTART
	v_cvt_f32_f16 v90, v37;
	;;#ASMEND
	;;#ASMSTART
	v_cvt_f32_f16 v91, v91;
	;;#ASMEND
	;;#ASMSTART
	v_cvt_f32_f16 v92, v92;
	;;#ASMEND
	;;#ASMSTART
	v_cvt_f32_f16 v93, v93;
	;;#ASMEND
	ds_load_b64 v[36:37], v19 offset:48
	v_fmac_f32_e32 v28, v45, v47
	v_dual_fmac_f32 v30, v86, v88 :: v_dual_fmac_f32 v29, v44, v46
	v_fmac_f32_e32 v31, v83, v85
	v_fma_mixlo_f16 v64, v23, v64, 0 op_sel:[0,1,0] op_sel_hi:[0,1,0]
	v_fma_mixlo_f16 v65, v23, v65, 0 op_sel_hi:[0,1,0]
	s_delay_alu instid0(VALU_DEP_4)
	v_fmac_f32_e32 v30, v90, v92
	v_fma_mixlo_f16 v66, v23, v66, 0 op_sel:[0,1,0] op_sel_hi:[0,1,0]
	v_fma_mixlo_f16 v67, v23, v67, 0 op_sel_hi:[0,1,0]
	v_fmac_f32_e32 v31, v87, v89
	v_and_b32_e32 v35, 0xffff, v64
	v_and_b32_e32 v34, 0xffff, v65
	;; [unrolled: 1-line block ×3, first 2 shown]
	v_or_b32_e32 v42, v68, v69
	v_fmac_f32_e32 v31, v91, v93
	v_fma_mixlo_f16 v9, v23, v9, 0 op_sel_hi:[0,1,0]
	s_delay_alu instid0(VALU_DEP_3)
	v_fma_mixlo_f16 v42, v23, v42, 0 op_sel_hi:[0,1,0]
	s_wait_dscnt 0x0
	v_and_b32_e32 v48, 0xffff, v36
	v_lshrrev_b32_e32 v36, 16, v36
	v_lshrrev_b32_e32 v95, 16, v37
	v_and_b32_e32 v37, 0xffff, v37
	;;#ASMSTART
	v_cvt_f32_f16 v48, v48;
	;;#ASMEND
	;;#ASMSTART
	v_cvt_f32_f16 v49, v36;
	;;#ASMEND
	;; [unrolled: 3-line block ×8, first 2 shown]
	ds_load_b64 v[36:37], v19 offset:56
	v_dual_fmac_f32 v28, v49, v51 :: v_dual_fmac_f32 v29, v48, v50
	v_dual_fmac_f32 v30, v94, v96 :: v_dual_fmac_f32 v31, v95, v97
	s_wait_dscnt 0x0
	v_and_b32_e32 v52, 0xffff, v36
	v_lshrrev_b32_e32 v36, 16, v36
	v_lshrrev_b32_e32 v99, 16, v37
	v_and_b32_e32 v37, 0xffff, v37
	;;#ASMSTART
	v_cvt_f32_f16 v52, v52;
	;;#ASMEND
	;;#ASMSTART
	v_cvt_f32_f16 v53, v36;
	;;#ASMEND
	;; [unrolled: 3-line block ×8, first 2 shown]
	ds_load_b64 v[36:37], v19 offset:64
	v_dual_fmac_f32 v28, v53, v55 :: v_dual_fmac_f32 v29, v52, v54
	v_dual_fmac_f32 v30, v98, v100 :: v_dual_fmac_f32 v31, v99, v101
	s_wait_dscnt 0x0
	v_and_b32_e32 v56, 0xffff, v36
	v_lshrrev_b32_e32 v36, 16, v36
	v_lshrrev_b32_e32 v103, 16, v37
	;;#ASMSTART
	v_cvt_f32_f16 v56, v56;
	;;#ASMEND
	;;#ASMSTART
	v_cvt_f32_f16 v57, v36;
	;;#ASMEND
	;; [unrolled: 3-line block ×4, first 2 shown]
	v_dual_fmac_f32 v28, v57, v59 :: v_dual_and_b32 v37, 0xffff, v37
	;;#ASMSTART
	v_cvt_f32_f16 v102, v37;
	;;#ASMEND
	;;#ASMSTART
	v_cvt_f32_f16 v103, v103;
	;;#ASMEND
	;;#ASMSTART
	v_cvt_f32_f16 v104, v104;
	;;#ASMEND
	;;#ASMSTART
	v_cvt_f32_f16 v105, v105;
	;;#ASMEND
	ds_load_b64 v[36:37], v19 offset:72
	v_dual_fmac_f32 v29, v56, v58 :: v_dual_fmac_f32 v30, v102, v104
	v_fmac_f32_e32 v31, v103, v105
	s_wait_dscnt 0x0
	v_and_b32_e32 v1, 0xffff, v36
	v_lshrrev_b32_e32 v24, 16, v36
	v_lshrrev_b32_e32 v36, 16, v37
	v_and_b32_e32 v27, 0xffff, v37
	;;#ASMSTART
	v_cvt_f32_f16 v1, v1;
	;;#ASMEND
	;;#ASMSTART
	v_cvt_f32_f16 v24, v24;
	;;#ASMEND
	;; [unrolled: 3-line block ×4, first 2 shown]
	v_dual_fmac_f32 v28, v24, v26 :: v_dual_and_b32 v7, 0xffff, v61
	;;#ASMSTART
	v_cvt_f32_f16 v27, v27;
	;;#ASMEND
	;;#ASMSTART
	v_cvt_f32_f16 v36, v36;
	;;#ASMEND
	;; [unrolled: 3-line block ×4, first 2 shown]
	ds_load_b64 v[7:8], v19 offset:80
	v_fmac_f32_e32 v29, v1, v25
	v_fmac_f32_e32 v30, v27, v37
	v_fma_mixlo_f16 v1, v23, v68, 0 op_sel:[0,1,0] op_sel_hi:[0,1,0]
	v_and_b32_e32 v25, 0xffff, v9
	v_dual_fmac_f32 v31, v36, v60 :: v_dual_and_b32 v26, 0xffff, v106
	s_wait_dscnt 0x0
	v_and_b32_e32 v32, 0xffff, v7
	v_lshrrev_b32_e32 v7, 16, v7
	v_lshrrev_b32_e32 v39, 16, v8
	v_and_b32_e32 v8, 0xffff, v8
	;;#ASMSTART
	v_cvt_f32_f16 v32, v32;
	;;#ASMEND
	;;#ASMSTART
	v_cvt_f32_f16 v33, v7;
	;;#ASMEND
	;; [unrolled: 3-line block ×4, first 2 shown]
	v_fmac_f32_e32 v28, v33, v35
	v_and_b32_e32 v7, 0xffff, v67
	;;#ASMSTART
	v_cvt_f32_f16 v38, v8;
	;;#ASMEND
	;;#ASMSTART
	v_cvt_f32_f16 v39, v39;
	;;#ASMEND
	;; [unrolled: 3-line block ×4, first 2 shown]
	ds_load_b64 v[7:8], v19 offset:88
	v_dual_fmac_f32 v29, v32, v34 :: v_dual_fmac_f32 v30, v38, v40
	v_fmac_f32_e32 v31, v39, v41
	s_wait_dscnt 0x0
	v_and_b32_e32 v23, 0xffff, v7
	v_lshrrev_b32_e32 v24, 16, v7
	;;#ASMSTART
	v_cvt_f32_f16 v7, v23;
	;;#ASMEND
	;;#ASMSTART
	v_cvt_f32_f16 v9, v24;
	;;#ASMEND
	;;#ASMSTART
	v_cvt_f32_f16 v23, v25;
	;;#ASMEND
	;;#ASMSTART
	v_cvt_f32_f16 v24, v26;
	;;#ASMEND
	v_and_b32_e32 v25, 0xffff, v8
	v_lshrrev_b32_e32 v8, 16, v8
	v_fmac_f32_e32 v29, v7, v23
	;;#ASMSTART
	v_cvt_f32_f16 v7, v25;
	;;#ASMEND
	v_and_b32_e32 v26, 0xffff, v42
	v_fmac_f32_e32 v28, v9, v24
	;;#ASMSTART
	v_cvt_f32_f16 v8, v8;
	;;#ASMEND
	;;#ASMSTART
	v_cvt_f32_f16 v9, v26;
	;;#ASMEND
	v_fmac_f32_e32 v30, v7, v9
	v_xor_b32_e32 v7, 1, v16
	v_and_b32_e32 v23, 0xffff, v1
	v_add_f32_e32 v1, v29, v28
	;;#ASMSTART
	v_cvt_f32_f16 v9, v23;
	;;#ASMEND
	v_fmac_f32_e32 v31, v8, v9
	v_cmp_gt_i32_e64 s4, 32, v7
	s_delay_alu instid0(VALU_DEP_3) | instskip(SKIP_1) | instid1(VALU_DEP_2)
	v_add_f32_e32 v1, v1, v30
	s_wait_alu 0xf1ff
	v_cndmask_b32_e64 v7, v16, v7, s4
	s_delay_alu instid0(VALU_DEP_2) | instskip(NEXT) | instid1(VALU_DEP_2)
	v_add_f32_e32 v1, v31, v1
	v_lshlrev_b32_e32 v7, 2, v7
	ds_bpermute_b32 v7, v7, v1
	s_and_saveexec_b32 s5, vcc_lo
	s_cbranch_execz .LBB275_9
; %bb.395:                              ;   in Loop: Header=BB275_10 Depth=1
	s_wait_dscnt 0x0
	v_dual_add_f32 v1, v1, v7 :: v_dual_add_nc_u32 v8, s31, v20
	v_cmp_gt_i32_e64 s4, s27, v20
	s_delay_alu instid0(VALU_DEP_2) | instskip(NEXT) | instid1(VALU_DEP_1)
	v_cvt_f32_i32_e32 v8, v8
	v_mul_f32_e32 v8, s6, v8
	s_delay_alu instid0(VALU_DEP_1) | instskip(SKIP_1) | instid1(VALU_DEP_2)
	v_cndmask_b32_e64 v7, 0, v8, s3
	v_max_num_f32_e32 v8, v17, v17
	v_fmac_f32_e32 v7, s7, v1
	s_delay_alu instid0(VALU_DEP_1) | instskip(SKIP_2) | instid1(VALU_DEP_2)
	v_max_num_f32_e32 v1, v8, v7
	s_wait_alu 0xf1ff
	v_cndmask_b32_e64 v7, 0, v7, s4
	v_cndmask_b32_e64 v17, v17, v1, s4
	ds_store_b32 v21, v7
	s_branch .LBB275_9
.LBB275_396:
	s_or_b32 exec_lo, exec_lo, s15
.LBB275_397:
	s_delay_alu instid0(SALU_CYCLE_1)
	s_or_b32 exec_lo, exec_lo, s24
	v_xor_b32_e32 v1, 16, v16
	v_xor_b32_e32 v3, 8, v16
	s_wait_dscnt 0x0
	v_xor_b32_e32 v7, 2, v16
	s_load_b128 s[4:7], s[0:1], 0x0
	s_wait_kmcnt 0x0
	s_clause 0x1
	s_load_b64 s[8:9], s[0:1], 0x10
	s_load_b64 s[24:25], s[0:1], 0x28
	v_cmp_lt_i32_e32 vcc_lo, v1, v18
	v_cndmask_b32_e32 v1, v16, v1, vcc_lo
	v_cmp_lt_i32_e32 vcc_lo, v3, v18
	s_wait_alu 0xfffd
	s_delay_alu instid0(VALU_DEP_2)
	v_dual_cndmask_b32 v3, v16, v3 :: v_dual_lshlrev_b32 v4, 2, v1
	v_max_num_f32_e32 v6, v17, v17
	ds_bpermute_b32 v1, v4, v17
	v_lshlrev_b32_e32 v5, 2, v3
	v_and_b32_e32 v17, 31, v0
	s_wait_dscnt 0x0
	v_max_num_f32_e32 v1, v1, v1
	s_delay_alu instid0(VALU_DEP_1)
	v_max_num_f32_e32 v1, v6, v1
	v_xor_b32_e32 v6, 4, v16
	ds_bpermute_b32 v3, v5, v1
	v_cmp_lt_i32_e32 vcc_lo, v6, v18
	s_wait_alu 0xfffd
	v_cndmask_b32_e32 v6, v16, v6, vcc_lo
	v_cmp_lt_i32_e32 vcc_lo, v7, v18
	s_wait_alu 0xfffd
	s_delay_alu instid0(VALU_DEP_2) | instskip(SKIP_3) | instid1(VALU_DEP_1)
	v_dual_cndmask_b32 v7, v16, v7 :: v_dual_lshlrev_b32 v6, 2, v6
	v_cmp_eq_u32_e32 vcc_lo, 0, v17
	s_wait_dscnt 0x0
	v_max_num_f32_e32 v3, v3, v3
	v_max_num_f32_e32 v1, v1, v3
	ds_bpermute_b32 v3, v6, v1
	s_wait_dscnt 0x0
	v_max_num_f32_e32 v3, v3, v3
	s_delay_alu instid0(VALU_DEP_1)
	v_max_num_f32_e32 v1, v1, v3
	v_lshlrev_b32_e32 v3, 2, v7
	v_lshlrev_b32_e32 v7, 2, v13
	ds_bpermute_b32 v8, v3, v1
	s_and_saveexec_b32 s0, vcc_lo
	s_cbranch_execz .LBB275_399
; %bb.398:
	s_wait_dscnt 0x0
	v_dual_max_num_f32 v8, v8, v8 :: v_dual_max_num_f32 v1, v1, v1
	s_delay_alu instid0(VALU_DEP_1)
	v_max_num_f32_e32 v1, v1, v8
	ds_store_b32 v7, v1 offset:192
.LBB275_399:
	s_or_b32 exec_lo, exec_lo, s0
	v_cmp_gt_u32_e64 s0, 4, v17
	s_wait_dscnt 0x0
	v_dual_mov_b32 v1, 0xff7fffff :: v_dual_lshlrev_b32 v8, 2, v17
	s_wait_loadcnt 0x0
	s_barrier_signal -1
	s_barrier_wait -1
	global_inv scope:SCOPE_SE
	s_and_saveexec_b32 s1, s0
; %bb.400:
	ds_load_b32 v1, v8 offset:192
; %bb.401:
	s_or_b32 exec_lo, exec_lo, s1
	s_wait_dscnt 0x0
	ds_bpermute_b32 v9, v3, v1
	v_xor_b32_e32 v19, 1, v16
	v_lshlrev_b32_e32 v2, 2, v2
	s_delay_alu instid0(VALU_DEP_2) | instskip(NEXT) | instid1(VALU_DEP_1)
	v_cmp_lt_i32_e64 s1, v19, v18
	v_cndmask_b32_e64 v18, v16, v19, s1
	v_max_num_f32_e32 v1, v1, v1
	s_sub_co_i32 s1, s17, s30
	s_wait_alu 0xfffe
	s_lshl_b32 s1, s1, 4
	v_lshlrev_b32_e32 v18, 2, v18
	s_wait_alu 0xfffe
	s_add_co_i32 s1, s1, s28
	s_wait_alu 0xfffe
	s_min_i32 s1, s1, s27
	s_wait_dscnt 0x0
	v_max_num_f32_e32 v9, v9, v9
	s_wait_alu 0xfffe
	s_sub_co_i32 s15, s1, s28
	s_delay_alu instid0(SALU_CYCLE_1) | instskip(NEXT) | instid1(VALU_DEP_2)
	v_cmp_gt_i32_e64 s1, s15, v0
	v_max_num_f32_e32 v1, v1, v9
	ds_bpermute_b32 v9, v18, v1
	s_wait_dscnt 0x0
	v_max_num_f32_e32 v9, v9, v9
	s_delay_alu instid0(VALU_DEP_1)
	v_max_num_f32_e32 v1, v1, v9
	v_mov_b32_e32 v9, 0
	ds_bpermute_b32 v1, v2, v1
	v_lshl_add_u32 v2, v0, 2, 0xe0
	s_and_saveexec_b32 s30, s1
	s_cbranch_execz .LBB275_405
; %bb.402:
	v_lshl_add_u32 v19, v0, 2, 0xe0
	v_dual_mov_b32 v9, 0 :: v_dual_mov_b32 v20, v0
	s_mov_b32 s31, 0
.LBB275_403:                            ; =>This Inner Loop Header: Depth=1
	ds_load_b32 v21, v19
	v_add_nc_u32_e32 v20, 0x80, v20
	s_delay_alu instid0(VALU_DEP_1) | instskip(SKIP_4) | instid1(VALU_DEP_1)
	v_cmp_le_i32_e64 s3, s15, v20
	s_wait_alu 0xfffe
	s_or_b32 s31, s3, s31
	s_wait_dscnt 0x0
	v_sub_f32_e32 v21, v21, v1
	v_mul_f32_e32 v21, 0x3fb8aa3b, v21
	s_delay_alu instid0(VALU_DEP_1)
	v_exp_f32_e32 v21, v21
	ds_store_b32 v19, v21
	v_add_f32_e32 v9, v9, v21
	v_add_nc_u32_e32 v19, 0x200, v19
	s_wait_alu 0xfffe
	s_and_not1_b32 exec_lo, exec_lo, s31
	s_cbranch_execnz .LBB275_403
; %bb.404:
	s_or_b32 exec_lo, exec_lo, s31
.LBB275_405:
	s_wait_alu 0xfffe
	s_or_b32 exec_lo, exec_lo, s30
	ds_bpermute_b32 v4, v4, v9
	s_wait_dscnt 0x0
	v_add_f32_e32 v4, v9, v4
	ds_bpermute_b32 v5, v5, v4
	s_wait_dscnt 0x0
	v_add_f32_e32 v4, v4, v5
	;; [unrolled: 3-line block ×5, first 2 shown]
	s_and_saveexec_b32 s3, vcc_lo
; %bb.406:
	ds_store_b32 v7, v4 offset:208
; %bb.407:
	s_wait_alu 0xfffe
	s_or_b32 exec_lo, exec_lo, s3
	s_wait_loadcnt_dscnt 0x0
	s_barrier_signal -1
	s_barrier_wait -1
	global_inv scope:SCOPE_SE
	s_and_saveexec_b32 s3, s0
; %bb.408:
	ds_load_b32 v4, v8 offset:208
; %bb.409:
	s_wait_alu 0xfffe
	s_or_b32 exec_lo, exec_lo, s3
	s_wait_dscnt 0x0
	ds_bpermute_b32 v3, v3, v4
	v_lshlrev_b32_e32 v5, 2, v16
	s_wait_dscnt 0x0
	v_add_f32_e32 v3, v4, v3
	ds_bpermute_b32 v4, v18, v3
	s_wait_dscnt 0x0
	v_dual_add_f32 v3, v3, v4 :: v_dual_and_b32 v4, 0xffffff80, v5
	ds_bpermute_b32 v3, v4, v3
	s_and_saveexec_b32 s0, s1
	s_cbranch_execz .LBB275_412
; %bb.410:
	s_wait_dscnt 0x0
	v_add_f32_e32 v4, 0x358637bd, v3
	s_mov_b32 s1, 0
	s_delay_alu instid0(VALU_DEP_1) | instskip(SKIP_1) | instid1(VALU_DEP_2)
	v_div_scale_f32 v5, null, v4, v4, 1.0
	v_div_scale_f32 v8, vcc_lo, 1.0, v4, 1.0
	v_rcp_f32_e32 v6, v5
	s_delay_alu instid0(TRANS32_DEP_1) | instskip(NEXT) | instid1(VALU_DEP_1)
	v_fma_f32 v7, -v5, v6, 1.0
	v_fmac_f32_e32 v6, v7, v6
	s_delay_alu instid0(VALU_DEP_1) | instskip(NEXT) | instid1(VALU_DEP_1)
	v_mul_f32_e32 v7, v8, v6
	v_fma_f32 v9, -v5, v7, v8
	s_delay_alu instid0(VALU_DEP_1) | instskip(NEXT) | instid1(VALU_DEP_1)
	v_fmac_f32_e32 v7, v9, v6
	v_fma_f32 v5, -v5, v7, v8
	s_wait_alu 0xfffd
	s_delay_alu instid0(VALU_DEP_1) | instskip(NEXT) | instid1(VALU_DEP_1)
	v_div_fmas_f32 v5, v5, v6, v7
	v_div_fixup_f32 v4, v5, v4, 1.0
	v_mov_b32_e32 v5, v0
.LBB275_411:                            ; =>This Inner Loop Header: Depth=1
	ds_load_b32 v6, v2
	s_wait_dscnt 0x0
	v_dual_mul_f32 v6, v4, v6 :: v_dual_add_nc_u32 v5, 0x80, v5
	s_delay_alu instid0(VALU_DEP_1)
	v_cmp_le_i32_e32 vcc_lo, s15, v5
	ds_store_b32 v2, v6
	v_add_nc_u32_e32 v2, 0x200, v2
	s_wait_alu 0xfffe
	s_or_b32 s1, vcc_lo, s1
	s_wait_alu 0xfffe
	s_and_not1_b32 exec_lo, exec_lo, s1
	s_cbranch_execnz .LBB275_411
.LBB275_412:
	s_wait_alu 0xfffe
	s_or_b32 exec_lo, exec_lo, s0
	s_mul_i32 s0, s12, s22
	s_wait_loadcnt_dscnt 0x0
	s_wait_alu 0xfffe
	s_mul_i32 s22, s0, s23
	s_mov_b32 s0, exec_lo
	s_barrier_signal -1
	s_barrier_wait -1
	global_inv scope:SCOPE_SE
	v_cmpx_eq_u32_e32 0, v0
	s_cbranch_execz .LBB275_414
; %bb.413:
	s_ashr_i32 s23, s22, 31
	s_wait_alu 0xfffe
	s_mul_i32 s30, s12, ttmp9
	s_lshl_b32 s1, s26, 2
	s_lshl_b64 s[34:35], s[22:23], 2
	s_wait_alu 0xfffe
	s_ashr_i32 s31, s30, 31
	v_mov_b32_e32 v2, s1
	s_add_nc_u64 s[6:7], s[6:7], s[34:35]
	s_wait_alu 0xfffe
	s_lshl_b64 s[30:31], s[30:31], 2
	s_add_nc_u64 s[4:5], s[4:5], s[34:35]
	s_wait_alu 0xfffe
	s_add_nc_u64 s[6:7], s[6:7], s[30:31]
	s_add_nc_u64 s[4:5], s[4:5], s[30:31]
	s_clause 0x1
	global_store_b32 v2, v1, s[6:7]
	global_store_b32 v2, v3, s[4:5]
.LBB275_414:
	s_wait_alu 0xfffe
	s_or_b32 exec_lo, exec_lo, s0
	v_dual_mov_b32 v22, 0 :: v_dual_mov_b32 v23, 0
	v_dual_mov_b32 v21, 0 :: v_dual_mov_b32 v20, 0
	;; [unrolled: 1-line block ×3, first 2 shown]
	s_and_saveexec_b32 s1, s2
	s_cbranch_execz .LBB275_814
; %bb.415:
	v_dual_mov_b32 v16, 0 :: v_dual_lshlrev_b32 v3, 5, v12
	v_dual_mov_b32 v19, 0 :: v_dual_and_b32 v4, 0xf8, v10
	s_ashr_i32 s15, s14, 31
	s_delay_alu instid0(VALU_DEP_2)
	v_lshl_or_b32 v6, v13, 6, v3
	s_wait_kmcnt 0x0
	s_wait_alu 0xfffe
	s_add_nc_u64 s[6:7], s[24:25], s[14:15]
	v_dual_mov_b32 v2, 0 :: v_dual_and_b32 v1, 8, v10
	s_wait_alu 0xfffe
	v_add_co_u32 v3, s0, s6, v4
	v_lshl_add_u32 v5, v13, 4, s28
	s_wait_alu 0xf1ff
	v_add_co_ci_u32_e64 v4, null, s7, 0, s0
	s_lshl_b64 s[6:7], s[18:19], 2
	v_dual_mov_b32 v20, 0 :: v_dual_add_nc_u32 v25, 0xe0, v6
	s_wait_alu 0xfffe
	s_add_nc_u64 s[6:7], s[20:21], s[6:7]
	v_add3_u32 v24, v5, v1, 7
	s_wait_alu 0xfffe
	v_add_co_u32 v5, s0, s6, v15
	s_wait_alu 0xf1ff
	v_add_co_ci_u32_e64 v6, null, s7, 0, s0
	v_dual_mov_b32 v21, 0 :: v_dual_mov_b32 v22, 0
	v_mov_b32_e32 v23, 0
	s_mov_b32 s2, -1
	s_mov_b32 s4, s13
	s_mov_b32 s3, 0xffffff
	s_add_co_i32 s29, s29, -1
	s_mov_b32 s5, 0
	s_branch .LBB275_417
.LBB275_416:                            ;   in Loop: Header=BB275_417 Depth=1
	s_wait_alu 0xfffe
	s_or_b32 exec_lo, exec_lo, s0
	v_dual_add_f32 v9, v9, v10 :: v_dual_add_f32 v10, v42, v43
	;;#ASMSTART
	v_pk_mul_f16 v15, v37, v44;

	;;#ASMEND
	;;#ASMSTART
	v_pk_mul_f16 v8, v35, v8;

	;;#ASMEND
	;; [unrolled: 4-line block ×4, first 2 shown]
	;;#ASMSTART
	v_pk_add_f16 v8, v15, v8;

	;;#ASMEND
	v_dual_add_f32 v19, v19, v9 :: v_dual_add_f32 v20, v20, v10
	;;#ASMSTART
	v_pk_add_f16 v7, v8, v7;

	;;#ASMEND
	;;#ASMSTART
	v_pk_add_f16 v1, v7, v1;

	;;#ASMEND
	v_dual_add_f32 v8, v34, v36 :: v_dual_and_b32 v9, 0xffff, v1
	v_lshrrev_b32_e32 v10, 16, v1
	v_dual_add_f32 v1, v40, v41 :: v_dual_add_nc_u32 v14, 4, v14
	;;#ASMSTART
	v_cvt_f32_f16 v9, v9;
	;;#ASMEND
	;;#ASMSTART
	v_cvt_f32_f16 v10, v10;
	;;#ASMEND
	s_delay_alu instid0(VALU_DEP_2) | instskip(SKIP_4) | instid1(VALU_DEP_4)
	v_dual_add_f32 v9, v9, v10 :: v_dual_add_f32 v22, v22, v8
	v_add_f32_e32 v7, v38, v39
	v_cmp_le_i32_e32 vcc_lo, s17, v14
	v_add_co_u32 v5, s0, v5, 16
	v_dual_add_f32 v21, v21, v1 :: v_dual_add_nc_u32 v24, 64, v24
	v_dual_add_f32 v16, v16, v9 :: v_dual_add_f32 v23, v23, v7
	v_add_nc_u32_e32 v25, 0x100, v25
	s_wait_alu 0xf1ff
	v_add_co_ci_u32_e64 v6, null, 0, v6, s0
	s_or_b32 s5, vcc_lo, s5
	s_wait_alu 0xfffe
	s_and_not1_b32 exec_lo, exec_lo, s5
	s_cbranch_execz .LBB275_813
.LBB275_417:                            ; =>This Inner Loop Header: Depth=1
	global_load_b32 v1, v[5:6], off
	ds_load_2addr_b64 v[26:29], v25 offset1:1
	ds_load_2addr_b64 v[37:40], v25 offset0:2 offset1:3
	s_mov_b32 s0, exec_lo
	s_wait_dscnt 0x1
	;;#ASMSTART
	v_cvt_f16_f32 v32, v26;

	;;#ASMEND
	;;#ASMSTART
	v_cvt_f16_f32 v33, v27;

	;;#ASMEND
	;; [unrolled: 4-line block ×4, first 2 shown]
	s_wait_dscnt 0x0
	;;#ASMSTART
	v_cvt_f16_f32 v37, v37;

	;;#ASMEND
	;;#ASMSTART
	v_cvt_f16_f32 v36, v38;

	;;#ASMEND
	;; [unrolled: 4-line block ×4, first 2 shown]
	v_mov_b32_e32 v27, 0
	s_wait_loadcnt 0x0
	s_wait_alu 0xfffe
	v_mad_co_i64_i32 v[7:8], null, v1, s4, v[3:4]
	global_load_b64 v[9:10], v[7:8], off
	global_load_b32 v26, v2, s[10:11]
	s_wait_loadcnt 0x1
	v_and_b32_e32 v1, 0xff, v9
	s_delay_alu instid0(VALU_DEP_1)
	v_cmpx_ne_u16_e32 0, v1
	s_cbranch_execz .LBB275_425
; %bb.418:                              ;   in Loop: Header=BB275_417 Depth=1
	v_mov_b32_e32 v27, 0x8000
	s_mov_b32 s6, exec_lo
	v_cmpx_ne_u16_e32 0x80, v1
	s_cbranch_execz .LBB275_424
; %bb.419:                              ;   in Loop: Header=BB275_417 Depth=1
	v_and_b32_e32 v28, 0x7f, v9
	v_mov_b32_e32 v27, 0x7c01
	s_mov_b32 s7, exec_lo
	s_delay_alu instid0(VALU_DEP_2)
	v_cmpx_ne_u32_e32 0x7f, v28
	s_cbranch_execz .LBB275_423
; %bb.420:                              ;   in Loop: Header=BB275_417 Depth=1
	v_and_b32_e32 v1, 7, v9
	v_lshrrev_b32_e32 v15, 3, v28
	s_mov_b32 s13, exec_lo
	v_cmpx_gt_u32_e32 8, v28
; %bb.421:                              ;   in Loop: Header=BB275_417 Depth=1
	s_delay_alu instid0(VALU_DEP_3) | instskip(NEXT) | instid1(VALU_DEP_1)
	v_clz_i32_u32_e32 v1, v1
	v_min_u32_e32 v1, 32, v1
	s_delay_alu instid0(VALU_DEP_1) | instskip(NEXT) | instid1(VALU_DEP_1)
	v_subrev_nc_u32_e32 v15, 28, v1
	v_lshlrev_b64_e32 v[27:28], v15, v[9:10]
	v_sub_nc_u32_e32 v15, 29, v1
	s_delay_alu instid0(VALU_DEP_2)
	v_and_b32_e32 v1, 7, v27
; %bb.422:                              ;   in Loop: Header=BB275_417 Depth=1
	s_or_b32 exec_lo, exec_lo, s13
	v_lshlrev_b32_e32 v27, 8, v9
	s_delay_alu instid0(VALU_DEP_3) | instskip(NEXT) | instid1(VALU_DEP_3)
	v_lshl_add_u32 v15, v15, 10, 0x2000
	v_lshlrev_b32_e32 v1, 7, v1
	s_delay_alu instid0(VALU_DEP_3) | instskip(NEXT) | instid1(VALU_DEP_3)
	v_and_b32_e32 v27, 0x8000, v27
	v_and_b32_e32 v15, 0xfc00, v15
	s_delay_alu instid0(VALU_DEP_1)
	v_or3_b32 v27, v27, v15, v1
.LBB275_423:                            ;   in Loop: Header=BB275_417 Depth=1
	s_wait_alu 0xfffe
	s_or_b32 exec_lo, exec_lo, s7
.LBB275_424:                            ;   in Loop: Header=BB275_417 Depth=1
	s_wait_alu 0xfffe
	s_or_b32 exec_lo, exec_lo, s6
.LBB275_425:                            ;   in Loop: Header=BB275_417 Depth=1
	s_delay_alu instid0(SALU_CYCLE_1) | instskip(SKIP_3) | instid1(VALU_DEP_2)
	s_or_b32 exec_lo, exec_lo, s0
	v_lshrrev_b16 v1, 8, v9
	v_dual_mov_b32 v15, 0 :: v_dual_mov_b32 v28, 0
	s_mov_b32 s0, exec_lo
	v_cmpx_ne_u16_e32 0, v1
	s_cbranch_execz .LBB275_433
; %bb.426:                              ;   in Loop: Header=BB275_417 Depth=1
	v_bfrev_b32_e32 v28, 1
	s_mov_b32 s6, exec_lo
	v_cmpx_ne_u16_e32 0x80, v1
	s_cbranch_execz .LBB275_432
; %bb.427:                              ;   in Loop: Header=BB275_417 Depth=1
	v_and_b32_e32 v29, 0xffff, v1
	v_mov_b32_e32 v28, 0x7c010000
	s_mov_b32 s7, exec_lo
	s_delay_alu instid0(VALU_DEP_2) | instskip(NEXT) | instid1(VALU_DEP_1)
	v_and_b32_e32 v31, 0x7f, v29
	v_cmpx_ne_u32_e32 0x7f, v31
	s_cbranch_execz .LBB275_431
; %bb.428:                              ;   in Loop: Header=BB275_417 Depth=1
	v_and_b32_e32 v28, 7, v29
	v_lshrrev_b32_e32 v30, 3, v31
	s_mov_b32 s13, exec_lo
	v_cmpx_gt_u32_e32 8, v31
; %bb.429:                              ;   in Loop: Header=BB275_417 Depth=1
	s_delay_alu instid0(VALU_DEP_3) | instskip(NEXT) | instid1(VALU_DEP_1)
	v_clz_i32_u32_e32 v28, v28
	v_min_u32_e32 v28, 32, v28
	s_delay_alu instid0(VALU_DEP_1) | instskip(NEXT) | instid1(VALU_DEP_1)
	v_subrev_nc_u32_e32 v30, 28, v28
	v_lshlrev_b64_e32 v[40:41], v30, v[1:2]
	v_sub_nc_u32_e32 v30, 29, v28
	s_delay_alu instid0(VALU_DEP_2)
	v_and_b32_e32 v28, 7, v40
; %bb.430:                              ;   in Loop: Header=BB275_417 Depth=1
	s_or_b32 exec_lo, exec_lo, s13
	v_lshlrev_b32_e32 v1, 8, v29
	s_delay_alu instid0(VALU_DEP_3) | instskip(NEXT) | instid1(VALU_DEP_3)
	v_lshl_add_u32 v29, v30, 10, 0x2000
	v_lshlrev_b32_e32 v28, 23, v28
	s_delay_alu instid0(VALU_DEP_2) | instskip(NEXT) | instid1(VALU_DEP_1)
	v_and_or_b32 v1, 0x8000, v1, v29
	v_lshl_or_b32 v28, v1, 16, v28
.LBB275_431:                            ;   in Loop: Header=BB275_417 Depth=1
	s_wait_alu 0xfffe
	s_or_b32 exec_lo, exec_lo, s7
.LBB275_432:                            ;   in Loop: Header=BB275_417 Depth=1
	s_wait_alu 0xfffe
	s_or_b32 exec_lo, exec_lo, s6
.LBB275_433:                            ;   in Loop: Header=BB275_417 Depth=1
	s_wait_alu 0xfffe
	s_or_b32 exec_lo, exec_lo, s0
	v_lshrrev_b32_e32 v1, 16, v9
	s_mov_b32 s0, exec_lo
	s_delay_alu instid0(VALU_DEP_1) | instskip(NEXT) | instid1(VALU_DEP_1)
	v_and_b32_e32 v29, 0xff, v1
	v_cmpx_ne_u16_e32 0, v29
	s_cbranch_execz .LBB275_441
; %bb.434:                              ;   in Loop: Header=BB275_417 Depth=1
	v_mov_b32_e32 v15, 0x8000
	s_mov_b32 s6, exec_lo
	v_cmpx_ne_u16_e32 0x80, v29
	s_cbranch_execz .LBB275_440
; %bb.435:                              ;   in Loop: Header=BB275_417 Depth=1
	v_bfe_u32 v30, v9, 16, 7
	v_mov_b32_e32 v15, 0x7c01
	s_mov_b32 s7, exec_lo
	s_delay_alu instid0(VALU_DEP_2)
	v_cmpx_ne_u32_e32 0x7f, v30
	s_cbranch_execz .LBB275_439
; %bb.436:                              ;   in Loop: Header=BB275_417 Depth=1
	v_and_b32_e32 v15, 7, v1
	v_lshrrev_b32_e32 v29, 3, v30
	s_mov_b32 s13, exec_lo
	v_cmpx_gt_u32_e32 8, v30
; %bb.437:                              ;   in Loop: Header=BB275_417 Depth=1
	s_delay_alu instid0(VALU_DEP_3) | instskip(NEXT) | instid1(VALU_DEP_1)
	v_clz_i32_u32_e32 v15, v15
	v_min_u32_e32 v15, 32, v15
	s_delay_alu instid0(VALU_DEP_1) | instskip(NEXT) | instid1(VALU_DEP_1)
	v_subrev_nc_u32_e32 v29, 28, v15
	v_lshlrev_b64_e32 v[30:31], v29, v[1:2]
	v_sub_nc_u32_e32 v29, 29, v15
	s_delay_alu instid0(VALU_DEP_2)
	v_and_b32_e32 v15, 7, v30
; %bb.438:                              ;   in Loop: Header=BB275_417 Depth=1
	s_or_b32 exec_lo, exec_lo, s13
	v_lshlrev_b32_e32 v1, 8, v1
	s_delay_alu instid0(VALU_DEP_3) | instskip(NEXT) | instid1(VALU_DEP_3)
	v_lshl_add_u32 v29, v29, 10, 0x2000
	v_lshlrev_b32_e32 v15, 7, v15
	s_delay_alu instid0(VALU_DEP_3) | instskip(NEXT) | instid1(VALU_DEP_3)
	v_and_b32_e32 v1, 0x8000, v1
	v_and_b32_e32 v29, 0xfc00, v29
	s_delay_alu instid0(VALU_DEP_1)
	v_or3_b32 v15, v1, v29, v15
.LBB275_439:                            ;   in Loop: Header=BB275_417 Depth=1
	s_wait_alu 0xfffe
	s_or_b32 exec_lo, exec_lo, s7
.LBB275_440:                            ;   in Loop: Header=BB275_417 Depth=1
	s_wait_alu 0xfffe
	s_or_b32 exec_lo, exec_lo, s6
.LBB275_441:                            ;   in Loop: Header=BB275_417 Depth=1
	s_wait_alu 0xfffe
	s_or_b32 exec_lo, exec_lo, s0
	v_dual_mov_b32 v29, 0 :: v_dual_mov_b32 v30, 0
	s_mov_b32 s0, exec_lo
	v_cmpx_lt_u32_e32 0xffffff, v9
	s_cbranch_execz .LBB275_449
; %bb.442:                              ;   in Loop: Header=BB275_417 Depth=1
	v_lshrrev_b32_e32 v1, 24, v9
	v_bfrev_b32_e32 v30, 1
	s_mov_b32 s6, exec_lo
	s_delay_alu instid0(VALU_DEP_2)
	v_cmpx_ne_u32_e32 0x80, v1
	s_cbranch_execz .LBB275_448
; %bb.443:                              ;   in Loop: Header=BB275_417 Depth=1
	v_and_b32_e32 v40, 0x7f, v1
	v_mov_b32_e32 v30, 0x7c010000
	s_mov_b32 s7, exec_lo
	s_delay_alu instid0(VALU_DEP_2)
	v_cmpx_ne_u32_e32 0x7f, v40
	s_cbranch_execz .LBB275_447
; %bb.444:                              ;   in Loop: Header=BB275_417 Depth=1
	v_and_b32_e32 v30, 7, v1
	v_lshrrev_b32_e32 v31, 3, v40
	s_mov_b32 s13, exec_lo
	v_cmpx_gt_u32_e32 8, v40
; %bb.445:                              ;   in Loop: Header=BB275_417 Depth=1
	s_delay_alu instid0(VALU_DEP_3) | instskip(NEXT) | instid1(VALU_DEP_1)
	v_clz_i32_u32_e32 v30, v30
	v_min_u32_e32 v40, 32, v30
	s_delay_alu instid0(VALU_DEP_1) | instskip(NEXT) | instid1(VALU_DEP_1)
	v_subrev_nc_u32_e32 v30, 28, v40
	v_lshlrev_b64_e32 v[30:31], v30, v[1:2]
	v_sub_nc_u32_e32 v31, 29, v40
	s_delay_alu instid0(VALU_DEP_2)
	v_and_b32_e32 v30, 7, v30
; %bb.446:                              ;   in Loop: Header=BB275_417 Depth=1
	s_or_b32 exec_lo, exec_lo, s13
	v_lshlrev_b32_e32 v1, 8, v1
	s_delay_alu instid0(VALU_DEP_3) | instskip(NEXT) | instid1(VALU_DEP_3)
	v_lshl_add_u32 v31, v31, 10, 0x2000
	v_lshlrev_b32_e32 v30, 23, v30
	s_delay_alu instid0(VALU_DEP_2) | instskip(NEXT) | instid1(VALU_DEP_1)
	v_and_or_b32 v1, 0x8000, v1, v31
	v_lshl_or_b32 v30, v1, 16, v30
.LBB275_447:                            ;   in Loop: Header=BB275_417 Depth=1
	s_wait_alu 0xfffe
	s_or_b32 exec_lo, exec_lo, s7
.LBB275_448:                            ;   in Loop: Header=BB275_417 Depth=1
	s_wait_alu 0xfffe
	s_or_b32 exec_lo, exec_lo, s6
.LBB275_449:                            ;   in Loop: Header=BB275_417 Depth=1
	s_wait_alu 0xfffe
	s_or_b32 exec_lo, exec_lo, s0
	v_and_b32_e32 v31, 0xff, v10
	v_mov_b32_e32 v1, v10
	s_mov_b32 s0, exec_lo
	s_delay_alu instid0(VALU_DEP_2)
	v_cmpx_ne_u16_e32 0, v31
	s_cbranch_execz .LBB275_457
; %bb.450:                              ;   in Loop: Header=BB275_417 Depth=1
	v_mov_b32_e32 v29, 0x8000
	s_mov_b32 s6, exec_lo
	v_cmpx_ne_u16_e32 0x80, v31
	s_cbranch_execz .LBB275_456
; %bb.451:                              ;   in Loop: Header=BB275_417 Depth=1
	v_and_b32_e32 v40, 0x7f, v10
	v_mov_b32_e32 v29, 0x7c01
	s_mov_b32 s7, exec_lo
	s_delay_alu instid0(VALU_DEP_2)
	v_cmpx_ne_u32_e32 0x7f, v40
	s_cbranch_execz .LBB275_455
; %bb.452:                              ;   in Loop: Header=BB275_417 Depth=1
	v_and_b32_e32 v29, 7, v10
	v_lshrrev_b32_e32 v31, 3, v40
	s_mov_b32 s13, exec_lo
	v_cmpx_gt_u32_e32 8, v40
; %bb.453:                              ;   in Loop: Header=BB275_417 Depth=1
	s_delay_alu instid0(VALU_DEP_3) | instskip(NEXT) | instid1(VALU_DEP_1)
	v_clz_i32_u32_e32 v29, v29
	v_min_u32_e32 v29, 32, v29
	s_delay_alu instid0(VALU_DEP_1) | instskip(NEXT) | instid1(VALU_DEP_1)
	v_subrev_nc_u32_e32 v31, 28, v29
	v_lshlrev_b64_e32 v[40:41], v31, v[1:2]
	v_sub_nc_u32_e32 v31, 29, v29
	s_delay_alu instid0(VALU_DEP_2)
	v_and_b32_e32 v29, 7, v40
; %bb.454:                              ;   in Loop: Header=BB275_417 Depth=1
	s_or_b32 exec_lo, exec_lo, s13
	v_lshlrev_b32_e32 v40, 8, v10
	s_delay_alu instid0(VALU_DEP_3) | instskip(NEXT) | instid1(VALU_DEP_3)
	v_lshl_add_u32 v31, v31, 10, 0x2000
	v_lshlrev_b32_e32 v29, 7, v29
	s_delay_alu instid0(VALU_DEP_3) | instskip(NEXT) | instid1(VALU_DEP_3)
	v_and_b32_e32 v40, 0x8000, v40
	v_and_b32_e32 v31, 0xfc00, v31
	s_delay_alu instid0(VALU_DEP_1)
	v_or3_b32 v29, v40, v31, v29
.LBB275_455:                            ;   in Loop: Header=BB275_417 Depth=1
	s_wait_alu 0xfffe
	s_or_b32 exec_lo, exec_lo, s7
.LBB275_456:                            ;   in Loop: Header=BB275_417 Depth=1
	s_wait_alu 0xfffe
	s_or_b32 exec_lo, exec_lo, s6
.LBB275_457:                            ;   in Loop: Header=BB275_417 Depth=1
	s_wait_alu 0xfffe
	s_or_b32 exec_lo, exec_lo, s0
	v_lshrrev_b16 v1, 8, v1
	v_dual_mov_b32 v40, 0 :: v_dual_mov_b32 v31, 0
	s_mov_b32 s0, exec_lo
	s_delay_alu instid0(VALU_DEP_2)
	v_cmpx_ne_u16_e32 0, v1
	s_cbranch_execz .LBB275_465
; %bb.458:                              ;   in Loop: Header=BB275_417 Depth=1
	v_bfrev_b32_e32 v31, 1
	s_mov_b32 s6, exec_lo
	v_cmpx_ne_u16_e32 0x80, v1
	s_cbranch_execz .LBB275_464
; %bb.459:                              ;   in Loop: Header=BB275_417 Depth=1
	v_and_b32_e32 v41, 0xffff, v1
	v_mov_b32_e32 v31, 0x7c010000
	s_mov_b32 s7, exec_lo
	s_delay_alu instid0(VALU_DEP_2) | instskip(NEXT) | instid1(VALU_DEP_1)
	v_and_b32_e32 v43, 0x7f, v41
	v_cmpx_ne_u32_e32 0x7f, v43
	s_cbranch_execz .LBB275_463
; %bb.460:                              ;   in Loop: Header=BB275_417 Depth=1
	v_and_b32_e32 v31, 7, v41
	v_lshrrev_b32_e32 v42, 3, v43
	s_mov_b32 s13, exec_lo
	v_cmpx_gt_u32_e32 8, v43
; %bb.461:                              ;   in Loop: Header=BB275_417 Depth=1
	s_delay_alu instid0(VALU_DEP_3) | instskip(NEXT) | instid1(VALU_DEP_1)
	v_clz_i32_u32_e32 v31, v31
	v_min_u32_e32 v31, 32, v31
	s_delay_alu instid0(VALU_DEP_1) | instskip(NEXT) | instid1(VALU_DEP_1)
	v_subrev_nc_u32_e32 v42, 28, v31
	v_lshlrev_b64_e32 v[43:44], v42, v[1:2]
	v_sub_nc_u32_e32 v42, 29, v31
	s_delay_alu instid0(VALU_DEP_2)
	v_and_b32_e32 v31, 7, v43
; %bb.462:                              ;   in Loop: Header=BB275_417 Depth=1
	s_or_b32 exec_lo, exec_lo, s13
	v_lshlrev_b32_e32 v1, 8, v41
	s_delay_alu instid0(VALU_DEP_3) | instskip(NEXT) | instid1(VALU_DEP_3)
	v_lshl_add_u32 v41, v42, 10, 0x2000
	v_lshlrev_b32_e32 v31, 23, v31
	s_delay_alu instid0(VALU_DEP_2) | instskip(NEXT) | instid1(VALU_DEP_1)
	v_and_or_b32 v1, 0x8000, v1, v41
	v_lshl_or_b32 v31, v1, 16, v31
.LBB275_463:                            ;   in Loop: Header=BB275_417 Depth=1
	s_wait_alu 0xfffe
	s_or_b32 exec_lo, exec_lo, s7
.LBB275_464:                            ;   in Loop: Header=BB275_417 Depth=1
	s_wait_alu 0xfffe
	s_or_b32 exec_lo, exec_lo, s6
.LBB275_465:                            ;   in Loop: Header=BB275_417 Depth=1
	s_wait_alu 0xfffe
	s_or_b32 exec_lo, exec_lo, s0
	v_lshrrev_b32_e32 v1, 16, v10
	s_mov_b32 s0, exec_lo
	s_delay_alu instid0(VALU_DEP_1) | instskip(NEXT) | instid1(VALU_DEP_1)
	v_and_b32_e32 v41, 0xff, v1
	v_cmpx_ne_u16_e32 0, v41
	s_cbranch_execz .LBB275_473
; %bb.466:                              ;   in Loop: Header=BB275_417 Depth=1
	v_mov_b32_e32 v40, 0x8000
	s_mov_b32 s6, exec_lo
	v_cmpx_ne_u16_e32 0x80, v41
	s_cbranch_execz .LBB275_472
; %bb.467:                              ;   in Loop: Header=BB275_417 Depth=1
	v_bfe_u32 v42, v10, 16, 7
	v_mov_b32_e32 v40, 0x7c01
	s_mov_b32 s7, exec_lo
	s_delay_alu instid0(VALU_DEP_2)
	v_cmpx_ne_u32_e32 0x7f, v42
	s_cbranch_execz .LBB275_471
; %bb.468:                              ;   in Loop: Header=BB275_417 Depth=1
	v_and_b32_e32 v40, 7, v1
	v_lshrrev_b32_e32 v41, 3, v42
	s_mov_b32 s13, exec_lo
	v_cmpx_gt_u32_e32 8, v42
; %bb.469:                              ;   in Loop: Header=BB275_417 Depth=1
	s_delay_alu instid0(VALU_DEP_3) | instskip(NEXT) | instid1(VALU_DEP_1)
	v_clz_i32_u32_e32 v40, v40
	v_min_u32_e32 v42, 32, v40
	s_delay_alu instid0(VALU_DEP_1) | instskip(NEXT) | instid1(VALU_DEP_1)
	v_subrev_nc_u32_e32 v40, 28, v42
	v_lshlrev_b64_e32 v[40:41], v40, v[1:2]
	v_sub_nc_u32_e32 v41, 29, v42
	s_delay_alu instid0(VALU_DEP_2)
	v_and_b32_e32 v40, 7, v40
; %bb.470:                              ;   in Loop: Header=BB275_417 Depth=1
	s_or_b32 exec_lo, exec_lo, s13
	v_lshlrev_b32_e32 v1, 8, v1
	s_delay_alu instid0(VALU_DEP_3) | instskip(NEXT) | instid1(VALU_DEP_3)
	v_lshl_add_u32 v41, v41, 10, 0x2000
	v_lshlrev_b32_e32 v40, 7, v40
	s_delay_alu instid0(VALU_DEP_3) | instskip(NEXT) | instid1(VALU_DEP_3)
	v_and_b32_e32 v1, 0x8000, v1
	v_and_b32_e32 v41, 0xfc00, v41
	s_delay_alu instid0(VALU_DEP_1)
	v_or3_b32 v40, v1, v41, v40
.LBB275_471:                            ;   in Loop: Header=BB275_417 Depth=1
	s_wait_alu 0xfffe
	s_or_b32 exec_lo, exec_lo, s7
.LBB275_472:                            ;   in Loop: Header=BB275_417 Depth=1
	s_wait_alu 0xfffe
	s_or_b32 exec_lo, exec_lo, s6
.LBB275_473:                            ;   in Loop: Header=BB275_417 Depth=1
	s_wait_alu 0xfffe
	s_or_b32 exec_lo, exec_lo, s0
	v_cmp_lt_u64_e32 vcc_lo, s[2:3], v[9:10]
	v_mov_b32_e32 v9, 0
	s_and_saveexec_b32 s0, vcc_lo
	s_cbranch_execz .LBB275_481
; %bb.474:                              ;   in Loop: Header=BB275_417 Depth=1
	v_lshrrev_b32_e32 v1, 24, v10
	v_bfrev_b32_e32 v9, 1
	s_mov_b32 s6, exec_lo
	s_delay_alu instid0(VALU_DEP_2)
	v_cmpx_ne_u32_e32 0x80, v1
	s_cbranch_execz .LBB275_480
; %bb.475:                              ;   in Loop: Header=BB275_417 Depth=1
	v_and_b32_e32 v41, 0x7f, v1
	v_mov_b32_e32 v9, 0x7c010000
	s_mov_b32 s7, exec_lo
	s_delay_alu instid0(VALU_DEP_2)
	v_cmpx_ne_u32_e32 0x7f, v41
	s_cbranch_execz .LBB275_479
; %bb.476:                              ;   in Loop: Header=BB275_417 Depth=1
	v_and_b32_e32 v9, 7, v1
	v_lshrrev_b32_e32 v10, 3, v41
	s_mov_b32 s13, exec_lo
	v_cmpx_gt_u32_e32 8, v41
; %bb.477:                              ;   in Loop: Header=BB275_417 Depth=1
	s_delay_alu instid0(VALU_DEP_3) | instskip(NEXT) | instid1(VALU_DEP_1)
	v_clz_i32_u32_e32 v9, v9
	v_min_u32_e32 v41, 32, v9
	s_delay_alu instid0(VALU_DEP_1) | instskip(NEXT) | instid1(VALU_DEP_1)
	v_subrev_nc_u32_e32 v9, 28, v41
	v_lshlrev_b64_e32 v[9:10], v9, v[1:2]
	v_sub_nc_u32_e32 v10, 29, v41
	s_delay_alu instid0(VALU_DEP_2)
	v_and_b32_e32 v9, 7, v9
; %bb.478:                              ;   in Loop: Header=BB275_417 Depth=1
	s_or_b32 exec_lo, exec_lo, s13
	v_lshlrev_b32_e32 v1, 8, v1
	s_delay_alu instid0(VALU_DEP_3) | instskip(NEXT) | instid1(VALU_DEP_3)
	v_lshl_add_u32 v10, v10, 10, 0x2000
	v_lshlrev_b32_e32 v9, 23, v9
	s_delay_alu instid0(VALU_DEP_2) | instskip(NEXT) | instid1(VALU_DEP_1)
	v_and_or_b32 v1, 0x8000, v1, v10
	v_lshl_or_b32 v9, v1, 16, v9
.LBB275_479:                            ;   in Loop: Header=BB275_417 Depth=1
	s_wait_alu 0xfffe
	s_or_b32 exec_lo, exec_lo, s7
.LBB275_480:                            ;   in Loop: Header=BB275_417 Depth=1
	s_wait_alu 0xfffe
	s_or_b32 exec_lo, exec_lo, s6
.LBB275_481:                            ;   in Loop: Header=BB275_417 Depth=1
	s_wait_alu 0xfffe
	s_or_b32 exec_lo, exec_lo, s0
	v_or_b32_e32 v1, v30, v15
	s_wait_loadcnt 0x0
	v_fma_mixlo_f16 v10, v26, v30, 0 op_sel:[0,1,0] op_sel_hi:[0,1,0]
	v_or_b32_e32 v27, v28, v27
	v_fma_mixlo_f16 v28, v26, v28, 0 op_sel:[0,1,0] op_sel_hi:[0,1,0]
	v_or_b32_e32 v29, v31, v29
	v_fma_mixlo_f16 v1, v26, v1, 0 op_sel_hi:[0,1,0]
	v_or_b32_e32 v30, v9, v40
	v_fma_mixlo_f16 v9, v26, v9, 0 op_sel:[0,1,0] op_sel_hi:[0,1,0]
	v_lshlrev_b32_e32 v46, 16, v28
	v_fma_mixlo_f16 v28, v26, v29, 0 op_sel_hi:[0,1,0]
	v_and_b32_e32 v43, 0xffff, v1
	v_fma_mixlo_f16 v1, v26, v27, 0 op_sel_hi:[0,1,0]
	v_fma_mixlo_f16 v27, v26, v31, 0 op_sel:[0,1,0] op_sel_hi:[0,1,0]
	v_fma_mixlo_f16 v26, v26, v30, 0 op_sel_hi:[0,1,0]
	v_lshlrev_b32_e32 v10, 16, v10
	v_and_b32_e32 v47, 0xffff, v28
	v_and_b32_e32 v48, 0xffff, v1
	v_lshlrev_b32_e32 v44, 16, v27
	v_lshlrev_b32_e32 v41, 16, v9
	v_and_b32_e32 v45, 0xffff, v26
	v_add_nc_u32_e32 v15, -7, v24
	v_cmp_eq_u32_e32 vcc_lo, s29, v14
	v_or_b32_e32 v1, v10, v43
	v_or_b32_e32 v9, v46, v48
	;; [unrolled: 1-line block ×4, first 2 shown]
	v_add_nc_u32_e32 v31, -6, v24
	v_add_nc_u32_e32 v30, -5, v24
	;; [unrolled: 1-line block ×6, first 2 shown]
	s_and_saveexec_b32 s6, vcc_lo
	s_cbranch_execz .LBB275_483
; %bb.482:                              ;   in Loop: Header=BB275_417 Depth=1
	v_cmp_gt_i32_e64 s0, s27, v15
	s_wait_alu 0xf1ff
	s_delay_alu instid0(VALU_DEP_1) | instskip(SKIP_2) | instid1(VALU_DEP_1)
	v_cndmask_b32_e64 v1, 0, v48, s0
	v_cmp_gt_i32_e64 s0, s27, v31
	s_wait_alu 0xf1ff
	v_cndmask_b32_e64 v9, 0, v46, s0
	v_cmp_gt_i32_e64 s0, s27, v30
	s_delay_alu instid0(VALU_DEP_2) | instskip(SKIP_1) | instid1(VALU_DEP_2)
	v_or_b32_e32 v9, v9, v1
	s_wait_alu 0xf1ff
	v_cndmask_b32_e64 v40, 0, v43, s0
	v_cmp_gt_i32_e64 s0, s27, v29
	s_wait_alu 0xf1ff
	s_delay_alu instid0(VALU_DEP_1) | instskip(SKIP_1) | instid1(VALU_DEP_2)
	v_cndmask_b32_e64 v10, 0, v10, s0
	v_cmp_gt_i32_e64 s0, s27, v28
	v_or_b32_e32 v1, v10, v40
	s_wait_alu 0xf1ff
	s_delay_alu instid0(VALU_DEP_2) | instskip(SKIP_2) | instid1(VALU_DEP_1)
	v_cndmask_b32_e64 v42, 0, v47, s0
	v_cmp_gt_i32_e64 s0, s27, v27
	s_wait_alu 0xf1ff
	v_cndmask_b32_e64 v43, 0, v44, s0
	v_cmp_gt_i32_e64 s0, s27, v26
	s_delay_alu instid0(VALU_DEP_2) | instskip(SKIP_1) | instid1(VALU_DEP_2)
	v_or_b32_e32 v40, v43, v42
	s_wait_alu 0xf1ff
	v_cndmask_b32_e64 v44, 0, v45, s0
	v_cmp_gt_i32_e64 s0, s27, v24
	s_wait_alu 0xf1ff
	s_delay_alu instid0(VALU_DEP_1) | instskip(NEXT) | instid1(VALU_DEP_1)
	v_cndmask_b32_e64 v41, 0, v41, s0
	v_or_b32_e32 v42, v41, v44
.LBB275_483:                            ;   in Loop: Header=BB275_417 Depth=1
	s_wait_alu 0xfffe
	s_or_b32 exec_lo, exec_lo, s6
	v_and_b32_e32 v10, 0xffff, v32
	v_and_b32_e32 v32, 0xffff, v35
	;; [unrolled: 1-line block ×4, first 2 shown]
	s_mov_b32 s6, exec_lo
	s_delay_alu instid0(VALU_DEP_3) | instskip(NEXT) | instid1(VALU_DEP_3)
	v_lshl_or_b32 v35, v34, 16, v32
	v_lshl_or_b32 v32, v38, 16, v39
	v_mov_b32_e32 v39, 0
	v_lshl_or_b32 v37, v33, 16, v10
	;;#ASMSTART
	v_pk_mul_f16 v9, v37, v9;

	;;#ASMEND
	;;#ASMSTART
	v_pk_mul_f16 v1, v35, v1;

	;;#ASMEND
	v_lshl_or_b32 v33, v36, 16, v41
	;;#ASMSTART
	v_pk_mul_f16 v10, v33, v40;

	;;#ASMEND
	;;#ASMSTART
	v_pk_mul_f16 v34, v32, v42;

	;;#ASMEND
	;;#ASMSTART
	v_pk_add_f16 v1, v9, v1;

	;;#ASMEND
	;;#ASMSTART
	v_pk_add_f16 v1, v1, v10;
	;; [unrolled: 4-line block ×3, first 2 shown]

	;;#ASMEND
	v_and_b32_e32 v9, 0xffff, v1
	v_lshrrev_b32_e32 v1, 16, v1
	;;#ASMSTART
	v_cvt_f32_f16 v34, v9;
	;;#ASMEND
	;;#ASMSTART
	v_cvt_f32_f16 v36, v1;
	;;#ASMEND
	global_load_b64 v[9:10], v[7:8], off offset:256
	global_load_b32 v38, v39, s[10:11]
	s_wait_loadcnt 0x1
	v_dual_mov_b32 v40, 0 :: v_dual_and_b32 v1, 0xff, v9
	s_delay_alu instid0(VALU_DEP_1)
	v_cmpx_ne_u16_e32 0, v1
	s_cbranch_execz .LBB275_491
; %bb.484:                              ;   in Loop: Header=BB275_417 Depth=1
	v_mov_b32_e32 v40, 0x8000
	s_mov_b32 s7, exec_lo
	v_cmpx_ne_u16_e32 0x80, v1
	s_cbranch_execz .LBB275_490
; %bb.485:                              ;   in Loop: Header=BB275_417 Depth=1
	v_and_b32_e32 v41, 0x7f, v9
	v_mov_b32_e32 v40, 0x7c01
	s_mov_b32 s13, exec_lo
	s_delay_alu instid0(VALU_DEP_2)
	v_cmpx_ne_u32_e32 0x7f, v41
	s_cbranch_execz .LBB275_489
; %bb.486:                              ;   in Loop: Header=BB275_417 Depth=1
	v_and_b32_e32 v1, 7, v9
	v_lshrrev_b32_e32 v40, 3, v41
	s_mov_b32 s14, exec_lo
	v_cmpx_gt_u32_e32 8, v41
; %bb.487:                              ;   in Loop: Header=BB275_417 Depth=1
	s_delay_alu instid0(VALU_DEP_3) | instskip(NEXT) | instid1(VALU_DEP_1)
	v_clz_i32_u32_e32 v1, v1
	v_min_u32_e32 v1, 32, v1
	s_delay_alu instid0(VALU_DEP_1) | instskip(NEXT) | instid1(VALU_DEP_1)
	v_subrev_nc_u32_e32 v40, 28, v1
	v_lshlrev_b64_e32 v[41:42], v40, v[9:10]
	v_sub_nc_u32_e32 v40, 29, v1
	s_delay_alu instid0(VALU_DEP_2)
	v_and_b32_e32 v1, 7, v41
; %bb.488:                              ;   in Loop: Header=BB275_417 Depth=1
	s_wait_alu 0xfffe
	s_or_b32 exec_lo, exec_lo, s14
	v_lshlrev_b32_e32 v41, 8, v9
	v_lshl_add_u32 v40, v40, 10, 0x2000
	v_lshlrev_b32_e32 v1, 7, v1
	s_delay_alu instid0(VALU_DEP_3) | instskip(NEXT) | instid1(VALU_DEP_3)
	v_and_b32_e32 v41, 0x8000, v41
	v_and_b32_e32 v40, 0xfc00, v40
	s_delay_alu instid0(VALU_DEP_1)
	v_or3_b32 v40, v41, v40, v1
.LBB275_489:                            ;   in Loop: Header=BB275_417 Depth=1
	s_or_b32 exec_lo, exec_lo, s13
.LBB275_490:                            ;   in Loop: Header=BB275_417 Depth=1
	s_wait_alu 0xfffe
	s_or_b32 exec_lo, exec_lo, s7
.LBB275_491:                            ;   in Loop: Header=BB275_417 Depth=1
	s_wait_alu 0xfffe
	s_or_b32 exec_lo, exec_lo, s6
	v_lshrrev_b16 v1, 8, v9
	s_mov_b32 s6, exec_lo
	s_delay_alu instid0(VALU_DEP_1)
	v_cmpx_ne_u16_e32 0, v1
	s_cbranch_execz .LBB275_499
; %bb.492:                              ;   in Loop: Header=BB275_417 Depth=1
	v_bfrev_b32_e32 v39, 1
	s_mov_b32 s7, exec_lo
	v_cmpx_ne_u16_e32 0x80, v1
	s_cbranch_execz .LBB275_498
; %bb.493:                              ;   in Loop: Header=BB275_417 Depth=1
	v_and_b32_e32 v41, 0xffff, v1
	v_mov_b32_e32 v39, 0x7c010000
	s_mov_b32 s13, exec_lo
	s_delay_alu instid0(VALU_DEP_2) | instskip(NEXT) | instid1(VALU_DEP_1)
	v_and_b32_e32 v43, 0x7f, v41
	v_cmpx_ne_u32_e32 0x7f, v43
	s_cbranch_execz .LBB275_497
; %bb.494:                              ;   in Loop: Header=BB275_417 Depth=1
	v_and_b32_e32 v39, 7, v41
	v_lshrrev_b32_e32 v42, 3, v43
	s_mov_b32 s14, exec_lo
	v_cmpx_gt_u32_e32 8, v43
; %bb.495:                              ;   in Loop: Header=BB275_417 Depth=1
	s_delay_alu instid0(VALU_DEP_3) | instskip(NEXT) | instid1(VALU_DEP_1)
	v_clz_i32_u32_e32 v39, v39
	v_min_u32_e32 v39, 32, v39
	s_delay_alu instid0(VALU_DEP_1) | instskip(NEXT) | instid1(VALU_DEP_1)
	v_subrev_nc_u32_e32 v42, 28, v39
	v_lshlrev_b64_e32 v[43:44], v42, v[1:2]
	v_sub_nc_u32_e32 v42, 29, v39
	s_delay_alu instid0(VALU_DEP_2)
	v_and_b32_e32 v39, 7, v43
; %bb.496:                              ;   in Loop: Header=BB275_417 Depth=1
	s_wait_alu 0xfffe
	s_or_b32 exec_lo, exec_lo, s14
	v_lshlrev_b32_e32 v1, 8, v41
	v_lshl_add_u32 v41, v42, 10, 0x2000
	v_lshlrev_b32_e32 v39, 23, v39
	s_delay_alu instid0(VALU_DEP_2) | instskip(NEXT) | instid1(VALU_DEP_1)
	v_and_or_b32 v1, 0x8000, v1, v41
	v_lshl_or_b32 v39, v1, 16, v39
.LBB275_497:                            ;   in Loop: Header=BB275_417 Depth=1
	s_or_b32 exec_lo, exec_lo, s13
.LBB275_498:                            ;   in Loop: Header=BB275_417 Depth=1
	s_wait_alu 0xfffe
	s_or_b32 exec_lo, exec_lo, s7
.LBB275_499:                            ;   in Loop: Header=BB275_417 Depth=1
	s_wait_alu 0xfffe
	s_or_b32 exec_lo, exec_lo, s6
	v_lshrrev_b32_e32 v1, 16, v9
	v_mov_b32_e32 v41, 0
	s_mov_b32 s6, exec_lo
	s_delay_alu instid0(VALU_DEP_2) | instskip(NEXT) | instid1(VALU_DEP_1)
	v_dual_mov_b32 v42, 0 :: v_dual_and_b32 v43, 0xff, v1
	v_cmpx_ne_u16_e32 0, v43
	s_cbranch_execz .LBB275_507
; %bb.500:                              ;   in Loop: Header=BB275_417 Depth=1
	v_mov_b32_e32 v42, 0x8000
	s_mov_b32 s7, exec_lo
	v_cmpx_ne_u16_e32 0x80, v43
	s_cbranch_execz .LBB275_506
; %bb.501:                              ;   in Loop: Header=BB275_417 Depth=1
	v_bfe_u32 v44, v9, 16, 7
	v_mov_b32_e32 v42, 0x7c01
	s_mov_b32 s13, exec_lo
	s_delay_alu instid0(VALU_DEP_2)
	v_cmpx_ne_u32_e32 0x7f, v44
	s_cbranch_execz .LBB275_505
; %bb.502:                              ;   in Loop: Header=BB275_417 Depth=1
	v_and_b32_e32 v42, 7, v1
	v_lshrrev_b32_e32 v43, 3, v44
	s_mov_b32 s14, exec_lo
	v_cmpx_gt_u32_e32 8, v44
; %bb.503:                              ;   in Loop: Header=BB275_417 Depth=1
	s_delay_alu instid0(VALU_DEP_3) | instskip(NEXT) | instid1(VALU_DEP_1)
	v_clz_i32_u32_e32 v42, v42
	v_min_u32_e32 v44, 32, v42
	s_delay_alu instid0(VALU_DEP_1) | instskip(NEXT) | instid1(VALU_DEP_1)
	v_subrev_nc_u32_e32 v42, 28, v44
	v_lshlrev_b64_e32 v[42:43], v42, v[1:2]
	v_sub_nc_u32_e32 v43, 29, v44
	s_delay_alu instid0(VALU_DEP_2)
	v_and_b32_e32 v42, 7, v42
; %bb.504:                              ;   in Loop: Header=BB275_417 Depth=1
	s_wait_alu 0xfffe
	s_or_b32 exec_lo, exec_lo, s14
	v_lshlrev_b32_e32 v1, 8, v1
	v_lshl_add_u32 v43, v43, 10, 0x2000
	v_lshlrev_b32_e32 v42, 7, v42
	s_delay_alu instid0(VALU_DEP_3) | instskip(NEXT) | instid1(VALU_DEP_3)
	v_and_b32_e32 v1, 0x8000, v1
	v_and_b32_e32 v43, 0xfc00, v43
	s_delay_alu instid0(VALU_DEP_1)
	v_or3_b32 v42, v1, v43, v42
.LBB275_505:                            ;   in Loop: Header=BB275_417 Depth=1
	s_or_b32 exec_lo, exec_lo, s13
.LBB275_506:                            ;   in Loop: Header=BB275_417 Depth=1
	s_wait_alu 0xfffe
	s_or_b32 exec_lo, exec_lo, s7
.LBB275_507:                            ;   in Loop: Header=BB275_417 Depth=1
	s_wait_alu 0xfffe
	s_or_b32 exec_lo, exec_lo, s6
	s_delay_alu instid0(SALU_CYCLE_1)
	s_mov_b32 s6, exec_lo
	v_cmpx_lt_u32_e32 0xffffff, v9
	s_cbranch_execz .LBB275_515
; %bb.508:                              ;   in Loop: Header=BB275_417 Depth=1
	v_lshrrev_b32_e32 v1, 24, v9
	v_bfrev_b32_e32 v41, 1
	s_mov_b32 s7, exec_lo
	s_delay_alu instid0(VALU_DEP_2)
	v_cmpx_ne_u32_e32 0x80, v1
	s_cbranch_execz .LBB275_514
; %bb.509:                              ;   in Loop: Header=BB275_417 Depth=1
	v_and_b32_e32 v44, 0x7f, v1
	v_mov_b32_e32 v41, 0x7c010000
	s_mov_b32 s13, exec_lo
	s_delay_alu instid0(VALU_DEP_2)
	v_cmpx_ne_u32_e32 0x7f, v44
	s_cbranch_execz .LBB275_513
; %bb.510:                              ;   in Loop: Header=BB275_417 Depth=1
	v_and_b32_e32 v41, 7, v1
	v_lshrrev_b32_e32 v43, 3, v44
	s_mov_b32 s14, exec_lo
	v_cmpx_gt_u32_e32 8, v44
; %bb.511:                              ;   in Loop: Header=BB275_417 Depth=1
	s_delay_alu instid0(VALU_DEP_3) | instskip(NEXT) | instid1(VALU_DEP_1)
	v_clz_i32_u32_e32 v41, v41
	v_min_u32_e32 v41, 32, v41
	s_delay_alu instid0(VALU_DEP_1) | instskip(NEXT) | instid1(VALU_DEP_1)
	v_subrev_nc_u32_e32 v43, 28, v41
	v_lshlrev_b64_e32 v[44:45], v43, v[1:2]
	v_sub_nc_u32_e32 v43, 29, v41
	s_delay_alu instid0(VALU_DEP_2)
	v_and_b32_e32 v41, 7, v44
; %bb.512:                              ;   in Loop: Header=BB275_417 Depth=1
	s_wait_alu 0xfffe
	s_or_b32 exec_lo, exec_lo, s14
	v_lshlrev_b32_e32 v1, 8, v1
	v_lshl_add_u32 v43, v43, 10, 0x2000
	v_lshlrev_b32_e32 v41, 23, v41
	s_delay_alu instid0(VALU_DEP_2) | instskip(NEXT) | instid1(VALU_DEP_1)
	v_and_or_b32 v1, 0x8000, v1, v43
	v_lshl_or_b32 v41, v1, 16, v41
.LBB275_513:                            ;   in Loop: Header=BB275_417 Depth=1
	s_or_b32 exec_lo, exec_lo, s13
.LBB275_514:                            ;   in Loop: Header=BB275_417 Depth=1
	s_wait_alu 0xfffe
	s_or_b32 exec_lo, exec_lo, s7
.LBB275_515:                            ;   in Loop: Header=BB275_417 Depth=1
	s_wait_alu 0xfffe
	s_or_b32 exec_lo, exec_lo, s6
	v_dual_mov_b32 v44, 0 :: v_dual_and_b32 v45, 0xff, v10
	v_mov_b32_e32 v1, v10
	v_mov_b32_e32 v43, 0
	s_mov_b32 s6, exec_lo
	s_delay_alu instid0(VALU_DEP_3)
	v_cmpx_ne_u16_e32 0, v45
	s_cbranch_execz .LBB275_523
; %bb.516:                              ;   in Loop: Header=BB275_417 Depth=1
	v_mov_b32_e32 v44, 0x8000
	s_mov_b32 s7, exec_lo
	v_cmpx_ne_u16_e32 0x80, v45
	s_cbranch_execz .LBB275_522
; %bb.517:                              ;   in Loop: Header=BB275_417 Depth=1
	v_and_b32_e32 v46, 0x7f, v10
	v_mov_b32_e32 v44, 0x7c01
	s_mov_b32 s13, exec_lo
	s_delay_alu instid0(VALU_DEP_2)
	v_cmpx_ne_u32_e32 0x7f, v46
	s_cbranch_execz .LBB275_521
; %bb.518:                              ;   in Loop: Header=BB275_417 Depth=1
	v_and_b32_e32 v44, 7, v10
	v_lshrrev_b32_e32 v45, 3, v46
	s_mov_b32 s14, exec_lo
	v_cmpx_gt_u32_e32 8, v46
; %bb.519:                              ;   in Loop: Header=BB275_417 Depth=1
	s_delay_alu instid0(VALU_DEP_3) | instskip(NEXT) | instid1(VALU_DEP_1)
	v_clz_i32_u32_e32 v44, v44
	v_min_u32_e32 v46, 32, v44
	s_delay_alu instid0(VALU_DEP_1) | instskip(NEXT) | instid1(VALU_DEP_1)
	v_subrev_nc_u32_e32 v44, 28, v46
	v_lshlrev_b64_e32 v[44:45], v44, v[1:2]
	v_sub_nc_u32_e32 v45, 29, v46
	s_delay_alu instid0(VALU_DEP_2)
	v_and_b32_e32 v44, 7, v44
; %bb.520:                              ;   in Loop: Header=BB275_417 Depth=1
	s_wait_alu 0xfffe
	s_or_b32 exec_lo, exec_lo, s14
	v_lshlrev_b32_e32 v46, 8, v10
	v_lshl_add_u32 v45, v45, 10, 0x2000
	v_lshlrev_b32_e32 v44, 7, v44
	s_delay_alu instid0(VALU_DEP_3) | instskip(NEXT) | instid1(VALU_DEP_3)
	v_and_b32_e32 v46, 0x8000, v46
	v_and_b32_e32 v45, 0xfc00, v45
	s_delay_alu instid0(VALU_DEP_1)
	v_or3_b32 v44, v46, v45, v44
.LBB275_521:                            ;   in Loop: Header=BB275_417 Depth=1
	s_or_b32 exec_lo, exec_lo, s13
.LBB275_522:                            ;   in Loop: Header=BB275_417 Depth=1
	s_wait_alu 0xfffe
	s_or_b32 exec_lo, exec_lo, s7
.LBB275_523:                            ;   in Loop: Header=BB275_417 Depth=1
	s_wait_alu 0xfffe
	s_or_b32 exec_lo, exec_lo, s6
	v_lshrrev_b16 v1, 8, v1
	v_mov_b32_e32 v45, 0
	s_mov_b32 s6, exec_lo
	s_delay_alu instid0(VALU_DEP_2)
	v_cmpx_ne_u16_e32 0, v1
	s_cbranch_execz .LBB275_531
; %bb.524:                              ;   in Loop: Header=BB275_417 Depth=1
	v_bfrev_b32_e32 v45, 1
	s_mov_b32 s7, exec_lo
	v_cmpx_ne_u16_e32 0x80, v1
	s_cbranch_execz .LBB275_530
; %bb.525:                              ;   in Loop: Header=BB275_417 Depth=1
	v_and_b32_e32 v46, 0xffff, v1
	v_mov_b32_e32 v45, 0x7c010000
	s_mov_b32 s13, exec_lo
	s_delay_alu instid0(VALU_DEP_2) | instskip(NEXT) | instid1(VALU_DEP_1)
	v_and_b32_e32 v48, 0x7f, v46
	v_cmpx_ne_u32_e32 0x7f, v48
	s_cbranch_execz .LBB275_529
; %bb.526:                              ;   in Loop: Header=BB275_417 Depth=1
	v_and_b32_e32 v45, 7, v46
	v_lshrrev_b32_e32 v47, 3, v48
	s_mov_b32 s14, exec_lo
	v_cmpx_gt_u32_e32 8, v48
; %bb.527:                              ;   in Loop: Header=BB275_417 Depth=1
	s_delay_alu instid0(VALU_DEP_3) | instskip(NEXT) | instid1(VALU_DEP_1)
	v_clz_i32_u32_e32 v45, v45
	v_min_u32_e32 v45, 32, v45
	s_delay_alu instid0(VALU_DEP_1) | instskip(NEXT) | instid1(VALU_DEP_1)
	v_subrev_nc_u32_e32 v47, 28, v45
	v_lshlrev_b64_e32 v[48:49], v47, v[1:2]
	v_sub_nc_u32_e32 v47, 29, v45
	s_delay_alu instid0(VALU_DEP_2)
	v_and_b32_e32 v45, 7, v48
; %bb.528:                              ;   in Loop: Header=BB275_417 Depth=1
	s_wait_alu 0xfffe
	s_or_b32 exec_lo, exec_lo, s14
	v_lshlrev_b32_e32 v1, 8, v46
	v_lshl_add_u32 v46, v47, 10, 0x2000
	v_lshlrev_b32_e32 v45, 23, v45
	s_delay_alu instid0(VALU_DEP_2) | instskip(NEXT) | instid1(VALU_DEP_1)
	v_and_or_b32 v1, 0x8000, v1, v46
	v_lshl_or_b32 v45, v1, 16, v45
.LBB275_529:                            ;   in Loop: Header=BB275_417 Depth=1
	s_or_b32 exec_lo, exec_lo, s13
.LBB275_530:                            ;   in Loop: Header=BB275_417 Depth=1
	s_wait_alu 0xfffe
	s_or_b32 exec_lo, exec_lo, s7
.LBB275_531:                            ;   in Loop: Header=BB275_417 Depth=1
	s_wait_alu 0xfffe
	s_or_b32 exec_lo, exec_lo, s6
	v_lshrrev_b32_e32 v1, 16, v10
	s_mov_b32 s6, exec_lo
	s_delay_alu instid0(VALU_DEP_1) | instskip(NEXT) | instid1(VALU_DEP_1)
	v_and_b32_e32 v46, 0xff, v1
	v_cmpx_ne_u16_e32 0, v46
	s_cbranch_execz .LBB275_539
; %bb.532:                              ;   in Loop: Header=BB275_417 Depth=1
	v_mov_b32_e32 v43, 0x8000
	s_mov_b32 s7, exec_lo
	v_cmpx_ne_u16_e32 0x80, v46
	s_cbranch_execz .LBB275_538
; %bb.533:                              ;   in Loop: Header=BB275_417 Depth=1
	v_bfe_u32 v47, v10, 16, 7
	v_mov_b32_e32 v43, 0x7c01
	s_mov_b32 s13, exec_lo
	s_delay_alu instid0(VALU_DEP_2)
	v_cmpx_ne_u32_e32 0x7f, v47
	s_cbranch_execz .LBB275_537
; %bb.534:                              ;   in Loop: Header=BB275_417 Depth=1
	v_and_b32_e32 v43, 7, v1
	v_lshrrev_b32_e32 v46, 3, v47
	s_mov_b32 s14, exec_lo
	v_cmpx_gt_u32_e32 8, v47
; %bb.535:                              ;   in Loop: Header=BB275_417 Depth=1
	s_delay_alu instid0(VALU_DEP_3) | instskip(NEXT) | instid1(VALU_DEP_1)
	v_clz_i32_u32_e32 v43, v43
	v_min_u32_e32 v43, 32, v43
	s_delay_alu instid0(VALU_DEP_1) | instskip(NEXT) | instid1(VALU_DEP_1)
	v_subrev_nc_u32_e32 v46, 28, v43
	v_lshlrev_b64_e32 v[47:48], v46, v[1:2]
	v_sub_nc_u32_e32 v46, 29, v43
	s_delay_alu instid0(VALU_DEP_2)
	v_and_b32_e32 v43, 7, v47
; %bb.536:                              ;   in Loop: Header=BB275_417 Depth=1
	s_wait_alu 0xfffe
	s_or_b32 exec_lo, exec_lo, s14
	v_lshlrev_b32_e32 v1, 8, v1
	v_lshl_add_u32 v46, v46, 10, 0x2000
	v_lshlrev_b32_e32 v43, 7, v43
	s_delay_alu instid0(VALU_DEP_3) | instskip(NEXT) | instid1(VALU_DEP_3)
	v_and_b32_e32 v1, 0x8000, v1
	v_and_b32_e32 v46, 0xfc00, v46
	s_delay_alu instid0(VALU_DEP_1)
	v_or3_b32 v43, v1, v46, v43
.LBB275_537:                            ;   in Loop: Header=BB275_417 Depth=1
	s_or_b32 exec_lo, exec_lo, s13
.LBB275_538:                            ;   in Loop: Header=BB275_417 Depth=1
	s_wait_alu 0xfffe
	s_or_b32 exec_lo, exec_lo, s7
.LBB275_539:                            ;   in Loop: Header=BB275_417 Depth=1
	s_wait_alu 0xfffe
	s_or_b32 exec_lo, exec_lo, s6
	v_cmp_lt_u64_e64 s0, s[2:3], v[9:10]
	v_mov_b32_e32 v9, 0
	s_and_saveexec_b32 s6, s0
	s_cbranch_execz .LBB275_547
; %bb.540:                              ;   in Loop: Header=BB275_417 Depth=1
	v_lshrrev_b32_e32 v1, 24, v10
	v_bfrev_b32_e32 v9, 1
	s_mov_b32 s7, exec_lo
	s_delay_alu instid0(VALU_DEP_2)
	v_cmpx_ne_u32_e32 0x80, v1
	s_cbranch_execz .LBB275_546
; %bb.541:                              ;   in Loop: Header=BB275_417 Depth=1
	v_and_b32_e32 v46, 0x7f, v1
	v_mov_b32_e32 v9, 0x7c010000
	s_mov_b32 s13, exec_lo
	s_delay_alu instid0(VALU_DEP_2)
	v_cmpx_ne_u32_e32 0x7f, v46
	s_cbranch_execz .LBB275_545
; %bb.542:                              ;   in Loop: Header=BB275_417 Depth=1
	v_and_b32_e32 v9, 7, v1
	v_lshrrev_b32_e32 v10, 3, v46
	s_mov_b32 s14, exec_lo
	v_cmpx_gt_u32_e32 8, v46
; %bb.543:                              ;   in Loop: Header=BB275_417 Depth=1
	s_delay_alu instid0(VALU_DEP_3) | instskip(NEXT) | instid1(VALU_DEP_1)
	v_clz_i32_u32_e32 v9, v9
	v_min_u32_e32 v46, 32, v9
	s_delay_alu instid0(VALU_DEP_1) | instskip(NEXT) | instid1(VALU_DEP_1)
	v_subrev_nc_u32_e32 v9, 28, v46
	v_lshlrev_b64_e32 v[9:10], v9, v[1:2]
	v_sub_nc_u32_e32 v10, 29, v46
	s_delay_alu instid0(VALU_DEP_2)
	v_and_b32_e32 v9, 7, v9
; %bb.544:                              ;   in Loop: Header=BB275_417 Depth=1
	s_wait_alu 0xfffe
	s_or_b32 exec_lo, exec_lo, s14
	v_lshlrev_b32_e32 v1, 8, v1
	v_lshl_add_u32 v10, v10, 10, 0x2000
	v_lshlrev_b32_e32 v9, 23, v9
	s_delay_alu instid0(VALU_DEP_2) | instskip(NEXT) | instid1(VALU_DEP_1)
	v_and_or_b32 v1, 0x8000, v1, v10
	v_lshl_or_b32 v9, v1, 16, v9
.LBB275_545:                            ;   in Loop: Header=BB275_417 Depth=1
	s_or_b32 exec_lo, exec_lo, s13
.LBB275_546:                            ;   in Loop: Header=BB275_417 Depth=1
	s_wait_alu 0xfffe
	s_or_b32 exec_lo, exec_lo, s7
.LBB275_547:                            ;   in Loop: Header=BB275_417 Depth=1
	s_wait_alu 0xfffe
	s_or_b32 exec_lo, exec_lo, s6
	v_or_b32_e32 v1, v41, v42
	s_wait_loadcnt 0x0
	v_fma_mixlo_f16 v10, v38, v41, 0 op_sel:[0,1,0] op_sel_hi:[0,1,0]
	v_or_b32_e32 v41, v39, v40
	v_fma_mixlo_f16 v39, v38, v39, 0 op_sel:[0,1,0] op_sel_hi:[0,1,0]
	v_or_b32_e32 v42, v45, v44
	v_or_b32_e32 v43, v9, v43
	v_fma_mixlo_f16 v44, v38, v1, 0 op_sel_hi:[0,1,0]
	v_fma_mixlo_f16 v9, v38, v9, 0 op_sel:[0,1,0] op_sel_hi:[0,1,0]
	v_lshlrev_b32_e32 v40, 16, v39
	v_fma_mixlo_f16 v39, v38, v41, 0 op_sel_hi:[0,1,0]
	v_fma_mixlo_f16 v41, v38, v45, 0 op_sel:[0,1,0] op_sel_hi:[0,1,0]
	v_fma_mixlo_f16 v42, v38, v42, 0 op_sel_hi:[0,1,0]
	v_fma_mixlo_f16 v43, v38, v43, 0 op_sel_hi:[0,1,0]
	v_lshlrev_b32_e32 v1, 16, v10
	v_and_b32_e32 v10, 0xffff, v44
	v_and_b32_e32 v46, 0xffff, v39
	v_lshlrev_b32_e32 v38, 16, v41
	v_and_b32_e32 v42, 0xffff, v42
	v_lshlrev_b32_e32 v9, 16, v9
	v_and_b32_e32 v39, 0xffff, v43
	v_or_b32_e32 v41, v1, v10
	v_or_b32_e32 v45, v40, v46
	;; [unrolled: 1-line block ×3, first 2 shown]
	s_delay_alu instid0(VALU_DEP_4)
	v_or_b32_e32 v43, v9, v39
	s_and_saveexec_b32 s6, vcc_lo
	s_cbranch_execz .LBB275_549
; %bb.548:                              ;   in Loop: Header=BB275_417 Depth=1
	v_cmp_gt_i32_e64 s0, s27, v15
	s_wait_alu 0xf1ff
	s_delay_alu instid0(VALU_DEP_1) | instskip(SKIP_2) | instid1(VALU_DEP_1)
	v_cndmask_b32_e64 v41, 0, v46, s0
	v_cmp_gt_i32_e64 s0, s27, v31
	s_wait_alu 0xf1ff
	v_cndmask_b32_e64 v40, 0, v40, s0
	v_cmp_gt_i32_e64 s0, s27, v30
	s_delay_alu instid0(VALU_DEP_2) | instskip(SKIP_1) | instid1(VALU_DEP_2)
	v_or_b32_e32 v45, v40, v41
	s_wait_alu 0xf1ff
	v_cndmask_b32_e64 v10, 0, v10, s0
	v_cmp_gt_i32_e64 s0, s27, v29
	s_wait_alu 0xf1ff
	s_delay_alu instid0(VALU_DEP_1) | instskip(SKIP_1) | instid1(VALU_DEP_2)
	v_cndmask_b32_e64 v1, 0, v1, s0
	v_cmp_gt_i32_e64 s0, s27, v28
	v_or_b32_e32 v41, v1, v10
	s_wait_alu 0xf1ff
	s_delay_alu instid0(VALU_DEP_2) | instskip(SKIP_2) | instid1(VALU_DEP_1)
	v_cndmask_b32_e64 v42, 0, v42, s0
	v_cmp_gt_i32_e64 s0, s27, v27
	s_wait_alu 0xf1ff
	v_cndmask_b32_e64 v38, 0, v38, s0
	v_cmp_gt_i32_e64 s0, s27, v26
	s_delay_alu instid0(VALU_DEP_2) | instskip(SKIP_1) | instid1(VALU_DEP_2)
	v_or_b32_e32 v44, v38, v42
	s_wait_alu 0xf1ff
	v_cndmask_b32_e64 v39, 0, v39, s0
	v_cmp_gt_i32_e64 s0, s27, v24
	s_wait_alu 0xf1ff
	s_delay_alu instid0(VALU_DEP_1) | instskip(NEXT) | instid1(VALU_DEP_1)
	v_cndmask_b32_e64 v9, 0, v9, s0
	v_or_b32_e32 v43, v9, v39
.LBB275_549:                            ;   in Loop: Header=BB275_417 Depth=1
	s_wait_alu 0xfffe
	s_or_b32 exec_lo, exec_lo, s6
	;;#ASMSTART
	v_pk_mul_f16 v1, v37, v45;

	;;#ASMEND
	;;#ASMSTART
	v_pk_mul_f16 v9, v35, v41;

	;;#ASMEND
	;;#ASMSTART
	v_pk_mul_f16 v10, v33, v44;

	;;#ASMEND
	;;#ASMSTART
	v_pk_mul_f16 v38, v32, v43;

	;;#ASMEND
	;;#ASMSTART
	v_pk_add_f16 v1, v1, v9;

	;;#ASMEND
	;;#ASMSTART
	v_pk_add_f16 v1, v1, v10;

	;;#ASMEND
	;; [unrolled: 4-line block ×3, first 2 shown]
	v_dual_mov_b32 v42, 0 :: v_dual_and_b32 v9, 0xffff, v1
	v_lshrrev_b32_e32 v1, 16, v1
	;;#ASMSTART
	v_cvt_f32_f16 v38, v9;
	;;#ASMEND
	;;#ASMSTART
	v_cvt_f32_f16 v39, v1;
	;;#ASMEND
	global_load_b64 v[9:10], v[7:8], off offset:512
	v_mov_b32_e32 v41, 0
	s_mov_b32 s6, exec_lo
	global_load_b32 v40, v41, s[10:11]
	s_wait_loadcnt 0x1
	v_and_b32_e32 v1, 0xff, v9
	s_delay_alu instid0(VALU_DEP_1)
	v_cmpx_ne_u16_e32 0, v1
	s_cbranch_execz .LBB275_557
; %bb.550:                              ;   in Loop: Header=BB275_417 Depth=1
	v_mov_b32_e32 v42, 0x8000
	s_mov_b32 s7, exec_lo
	v_cmpx_ne_u16_e32 0x80, v1
	s_cbranch_execz .LBB275_556
; %bb.551:                              ;   in Loop: Header=BB275_417 Depth=1
	v_and_b32_e32 v43, 0x7f, v9
	v_mov_b32_e32 v42, 0x7c01
	s_mov_b32 s13, exec_lo
	s_delay_alu instid0(VALU_DEP_2)
	v_cmpx_ne_u32_e32 0x7f, v43
	s_cbranch_execz .LBB275_555
; %bb.552:                              ;   in Loop: Header=BB275_417 Depth=1
	v_and_b32_e32 v1, 7, v9
	v_lshrrev_b32_e32 v42, 3, v43
	s_mov_b32 s14, exec_lo
	v_cmpx_gt_u32_e32 8, v43
; %bb.553:                              ;   in Loop: Header=BB275_417 Depth=1
	s_delay_alu instid0(VALU_DEP_3) | instskip(NEXT) | instid1(VALU_DEP_1)
	v_clz_i32_u32_e32 v1, v1
	v_min_u32_e32 v1, 32, v1
	s_delay_alu instid0(VALU_DEP_1) | instskip(NEXT) | instid1(VALU_DEP_1)
	v_subrev_nc_u32_e32 v42, 28, v1
	v_lshlrev_b64_e32 v[43:44], v42, v[9:10]
	v_sub_nc_u32_e32 v42, 29, v1
	s_delay_alu instid0(VALU_DEP_2)
	v_and_b32_e32 v1, 7, v43
; %bb.554:                              ;   in Loop: Header=BB275_417 Depth=1
	s_wait_alu 0xfffe
	s_or_b32 exec_lo, exec_lo, s14
	v_lshlrev_b32_e32 v43, 8, v9
	v_lshl_add_u32 v42, v42, 10, 0x2000
	v_lshlrev_b32_e32 v1, 7, v1
	s_delay_alu instid0(VALU_DEP_3) | instskip(NEXT) | instid1(VALU_DEP_3)
	v_and_b32_e32 v43, 0x8000, v43
	v_and_b32_e32 v42, 0xfc00, v42
	s_delay_alu instid0(VALU_DEP_1)
	v_or3_b32 v42, v43, v42, v1
.LBB275_555:                            ;   in Loop: Header=BB275_417 Depth=1
	s_or_b32 exec_lo, exec_lo, s13
.LBB275_556:                            ;   in Loop: Header=BB275_417 Depth=1
	s_wait_alu 0xfffe
	s_or_b32 exec_lo, exec_lo, s7
.LBB275_557:                            ;   in Loop: Header=BB275_417 Depth=1
	s_wait_alu 0xfffe
	s_or_b32 exec_lo, exec_lo, s6
	v_lshrrev_b16 v1, 8, v9
	s_mov_b32 s6, exec_lo
	s_delay_alu instid0(VALU_DEP_1)
	v_cmpx_ne_u16_e32 0, v1
	s_cbranch_execz .LBB275_565
; %bb.558:                              ;   in Loop: Header=BB275_417 Depth=1
	v_bfrev_b32_e32 v41, 1
	s_mov_b32 s7, exec_lo
	v_cmpx_ne_u16_e32 0x80, v1
	s_cbranch_execz .LBB275_564
; %bb.559:                              ;   in Loop: Header=BB275_417 Depth=1
	v_and_b32_e32 v43, 0xffff, v1
	v_mov_b32_e32 v41, 0x7c010000
	s_mov_b32 s13, exec_lo
	s_delay_alu instid0(VALU_DEP_2) | instskip(NEXT) | instid1(VALU_DEP_1)
	v_and_b32_e32 v45, 0x7f, v43
	v_cmpx_ne_u32_e32 0x7f, v45
	s_cbranch_execz .LBB275_563
; %bb.560:                              ;   in Loop: Header=BB275_417 Depth=1
	v_and_b32_e32 v41, 7, v43
	v_lshrrev_b32_e32 v44, 3, v45
	s_mov_b32 s14, exec_lo
	v_cmpx_gt_u32_e32 8, v45
; %bb.561:                              ;   in Loop: Header=BB275_417 Depth=1
	s_delay_alu instid0(VALU_DEP_3) | instskip(NEXT) | instid1(VALU_DEP_1)
	v_clz_i32_u32_e32 v41, v41
	v_min_u32_e32 v41, 32, v41
	s_delay_alu instid0(VALU_DEP_1) | instskip(NEXT) | instid1(VALU_DEP_1)
	v_subrev_nc_u32_e32 v44, 28, v41
	v_lshlrev_b64_e32 v[45:46], v44, v[1:2]
	v_sub_nc_u32_e32 v44, 29, v41
	s_delay_alu instid0(VALU_DEP_2)
	v_and_b32_e32 v41, 7, v45
; %bb.562:                              ;   in Loop: Header=BB275_417 Depth=1
	s_wait_alu 0xfffe
	s_or_b32 exec_lo, exec_lo, s14
	v_lshlrev_b32_e32 v1, 8, v43
	v_lshl_add_u32 v43, v44, 10, 0x2000
	v_lshlrev_b32_e32 v41, 23, v41
	s_delay_alu instid0(VALU_DEP_2) | instskip(NEXT) | instid1(VALU_DEP_1)
	v_and_or_b32 v1, 0x8000, v1, v43
	v_lshl_or_b32 v41, v1, 16, v41
.LBB275_563:                            ;   in Loop: Header=BB275_417 Depth=1
	s_or_b32 exec_lo, exec_lo, s13
.LBB275_564:                            ;   in Loop: Header=BB275_417 Depth=1
	s_wait_alu 0xfffe
	s_or_b32 exec_lo, exec_lo, s7
.LBB275_565:                            ;   in Loop: Header=BB275_417 Depth=1
	s_wait_alu 0xfffe
	s_or_b32 exec_lo, exec_lo, s6
	v_lshrrev_b32_e32 v1, 16, v9
	v_mov_b32_e32 v43, 0
	s_mov_b32 s6, exec_lo
	s_delay_alu instid0(VALU_DEP_2) | instskip(NEXT) | instid1(VALU_DEP_1)
	v_dual_mov_b32 v44, 0 :: v_dual_and_b32 v45, 0xff, v1
	v_cmpx_ne_u16_e32 0, v45
	s_cbranch_execz .LBB275_573
; %bb.566:                              ;   in Loop: Header=BB275_417 Depth=1
	v_mov_b32_e32 v44, 0x8000
	s_mov_b32 s7, exec_lo
	v_cmpx_ne_u16_e32 0x80, v45
	s_cbranch_execz .LBB275_572
; %bb.567:                              ;   in Loop: Header=BB275_417 Depth=1
	v_bfe_u32 v46, v9, 16, 7
	v_mov_b32_e32 v44, 0x7c01
	s_mov_b32 s13, exec_lo
	s_delay_alu instid0(VALU_DEP_2)
	v_cmpx_ne_u32_e32 0x7f, v46
	s_cbranch_execz .LBB275_571
; %bb.568:                              ;   in Loop: Header=BB275_417 Depth=1
	v_and_b32_e32 v44, 7, v1
	v_lshrrev_b32_e32 v45, 3, v46
	s_mov_b32 s14, exec_lo
	v_cmpx_gt_u32_e32 8, v46
; %bb.569:                              ;   in Loop: Header=BB275_417 Depth=1
	s_delay_alu instid0(VALU_DEP_3) | instskip(NEXT) | instid1(VALU_DEP_1)
	v_clz_i32_u32_e32 v44, v44
	v_min_u32_e32 v46, 32, v44
	s_delay_alu instid0(VALU_DEP_1) | instskip(NEXT) | instid1(VALU_DEP_1)
	v_subrev_nc_u32_e32 v44, 28, v46
	v_lshlrev_b64_e32 v[44:45], v44, v[1:2]
	v_sub_nc_u32_e32 v45, 29, v46
	s_delay_alu instid0(VALU_DEP_2)
	v_and_b32_e32 v44, 7, v44
; %bb.570:                              ;   in Loop: Header=BB275_417 Depth=1
	s_wait_alu 0xfffe
	s_or_b32 exec_lo, exec_lo, s14
	v_lshlrev_b32_e32 v1, 8, v1
	v_lshl_add_u32 v45, v45, 10, 0x2000
	v_lshlrev_b32_e32 v44, 7, v44
	s_delay_alu instid0(VALU_DEP_3) | instskip(NEXT) | instid1(VALU_DEP_3)
	v_and_b32_e32 v1, 0x8000, v1
	v_and_b32_e32 v45, 0xfc00, v45
	s_delay_alu instid0(VALU_DEP_1)
	v_or3_b32 v44, v1, v45, v44
.LBB275_571:                            ;   in Loop: Header=BB275_417 Depth=1
	s_or_b32 exec_lo, exec_lo, s13
.LBB275_572:                            ;   in Loop: Header=BB275_417 Depth=1
	s_wait_alu 0xfffe
	s_or_b32 exec_lo, exec_lo, s7
.LBB275_573:                            ;   in Loop: Header=BB275_417 Depth=1
	s_wait_alu 0xfffe
	s_or_b32 exec_lo, exec_lo, s6
	s_delay_alu instid0(SALU_CYCLE_1)
	s_mov_b32 s6, exec_lo
	v_cmpx_lt_u32_e32 0xffffff, v9
	s_cbranch_execz .LBB275_581
; %bb.574:                              ;   in Loop: Header=BB275_417 Depth=1
	v_lshrrev_b32_e32 v1, 24, v9
	v_bfrev_b32_e32 v43, 1
	s_mov_b32 s7, exec_lo
	s_delay_alu instid0(VALU_DEP_2)
	v_cmpx_ne_u32_e32 0x80, v1
	s_cbranch_execz .LBB275_580
; %bb.575:                              ;   in Loop: Header=BB275_417 Depth=1
	v_and_b32_e32 v46, 0x7f, v1
	v_mov_b32_e32 v43, 0x7c010000
	s_mov_b32 s13, exec_lo
	s_delay_alu instid0(VALU_DEP_2)
	v_cmpx_ne_u32_e32 0x7f, v46
	s_cbranch_execz .LBB275_579
; %bb.576:                              ;   in Loop: Header=BB275_417 Depth=1
	v_and_b32_e32 v43, 7, v1
	v_lshrrev_b32_e32 v45, 3, v46
	s_mov_b32 s14, exec_lo
	v_cmpx_gt_u32_e32 8, v46
; %bb.577:                              ;   in Loop: Header=BB275_417 Depth=1
	s_delay_alu instid0(VALU_DEP_3) | instskip(NEXT) | instid1(VALU_DEP_1)
	v_clz_i32_u32_e32 v43, v43
	v_min_u32_e32 v43, 32, v43
	s_delay_alu instid0(VALU_DEP_1) | instskip(NEXT) | instid1(VALU_DEP_1)
	v_subrev_nc_u32_e32 v45, 28, v43
	v_lshlrev_b64_e32 v[46:47], v45, v[1:2]
	v_sub_nc_u32_e32 v45, 29, v43
	s_delay_alu instid0(VALU_DEP_2)
	v_and_b32_e32 v43, 7, v46
; %bb.578:                              ;   in Loop: Header=BB275_417 Depth=1
	s_wait_alu 0xfffe
	s_or_b32 exec_lo, exec_lo, s14
	v_lshlrev_b32_e32 v1, 8, v1
	v_lshl_add_u32 v45, v45, 10, 0x2000
	v_lshlrev_b32_e32 v43, 23, v43
	s_delay_alu instid0(VALU_DEP_2) | instskip(NEXT) | instid1(VALU_DEP_1)
	v_and_or_b32 v1, 0x8000, v1, v45
	v_lshl_or_b32 v43, v1, 16, v43
.LBB275_579:                            ;   in Loop: Header=BB275_417 Depth=1
	s_or_b32 exec_lo, exec_lo, s13
.LBB275_580:                            ;   in Loop: Header=BB275_417 Depth=1
	s_wait_alu 0xfffe
	s_or_b32 exec_lo, exec_lo, s7
.LBB275_581:                            ;   in Loop: Header=BB275_417 Depth=1
	s_wait_alu 0xfffe
	s_or_b32 exec_lo, exec_lo, s6
	v_dual_mov_b32 v46, 0 :: v_dual_and_b32 v47, 0xff, v10
	v_mov_b32_e32 v1, v10
	v_mov_b32_e32 v45, 0
	s_mov_b32 s6, exec_lo
	s_delay_alu instid0(VALU_DEP_3)
	v_cmpx_ne_u16_e32 0, v47
	s_cbranch_execz .LBB275_589
; %bb.582:                              ;   in Loop: Header=BB275_417 Depth=1
	v_mov_b32_e32 v46, 0x8000
	s_mov_b32 s7, exec_lo
	v_cmpx_ne_u16_e32 0x80, v47
	s_cbranch_execz .LBB275_588
; %bb.583:                              ;   in Loop: Header=BB275_417 Depth=1
	v_and_b32_e32 v48, 0x7f, v10
	v_mov_b32_e32 v46, 0x7c01
	s_mov_b32 s13, exec_lo
	s_delay_alu instid0(VALU_DEP_2)
	v_cmpx_ne_u32_e32 0x7f, v48
	s_cbranch_execz .LBB275_587
; %bb.584:                              ;   in Loop: Header=BB275_417 Depth=1
	v_and_b32_e32 v46, 7, v10
	v_lshrrev_b32_e32 v47, 3, v48
	s_mov_b32 s14, exec_lo
	v_cmpx_gt_u32_e32 8, v48
; %bb.585:                              ;   in Loop: Header=BB275_417 Depth=1
	s_delay_alu instid0(VALU_DEP_3) | instskip(NEXT) | instid1(VALU_DEP_1)
	v_clz_i32_u32_e32 v46, v46
	v_min_u32_e32 v48, 32, v46
	s_delay_alu instid0(VALU_DEP_1) | instskip(NEXT) | instid1(VALU_DEP_1)
	v_subrev_nc_u32_e32 v46, 28, v48
	v_lshlrev_b64_e32 v[46:47], v46, v[1:2]
	v_sub_nc_u32_e32 v47, 29, v48
	s_delay_alu instid0(VALU_DEP_2)
	v_and_b32_e32 v46, 7, v46
; %bb.586:                              ;   in Loop: Header=BB275_417 Depth=1
	s_wait_alu 0xfffe
	s_or_b32 exec_lo, exec_lo, s14
	v_lshlrev_b32_e32 v48, 8, v10
	v_lshl_add_u32 v47, v47, 10, 0x2000
	v_lshlrev_b32_e32 v46, 7, v46
	s_delay_alu instid0(VALU_DEP_3) | instskip(NEXT) | instid1(VALU_DEP_3)
	v_and_b32_e32 v48, 0x8000, v48
	v_and_b32_e32 v47, 0xfc00, v47
	s_delay_alu instid0(VALU_DEP_1)
	v_or3_b32 v46, v48, v47, v46
.LBB275_587:                            ;   in Loop: Header=BB275_417 Depth=1
	s_or_b32 exec_lo, exec_lo, s13
.LBB275_588:                            ;   in Loop: Header=BB275_417 Depth=1
	s_wait_alu 0xfffe
	s_or_b32 exec_lo, exec_lo, s7
.LBB275_589:                            ;   in Loop: Header=BB275_417 Depth=1
	s_wait_alu 0xfffe
	s_or_b32 exec_lo, exec_lo, s6
	v_lshrrev_b16 v1, 8, v1
	v_mov_b32_e32 v47, 0
	s_mov_b32 s6, exec_lo
	s_delay_alu instid0(VALU_DEP_2)
	v_cmpx_ne_u16_e32 0, v1
	s_cbranch_execz .LBB275_597
; %bb.590:                              ;   in Loop: Header=BB275_417 Depth=1
	v_bfrev_b32_e32 v47, 1
	s_mov_b32 s7, exec_lo
	v_cmpx_ne_u16_e32 0x80, v1
	s_cbranch_execz .LBB275_596
; %bb.591:                              ;   in Loop: Header=BB275_417 Depth=1
	v_and_b32_e32 v48, 0xffff, v1
	v_mov_b32_e32 v47, 0x7c010000
	s_mov_b32 s13, exec_lo
	s_delay_alu instid0(VALU_DEP_2) | instskip(NEXT) | instid1(VALU_DEP_1)
	v_and_b32_e32 v50, 0x7f, v48
	v_cmpx_ne_u32_e32 0x7f, v50
	s_cbranch_execz .LBB275_595
; %bb.592:                              ;   in Loop: Header=BB275_417 Depth=1
	v_and_b32_e32 v47, 7, v48
	v_lshrrev_b32_e32 v49, 3, v50
	s_mov_b32 s14, exec_lo
	v_cmpx_gt_u32_e32 8, v50
; %bb.593:                              ;   in Loop: Header=BB275_417 Depth=1
	s_delay_alu instid0(VALU_DEP_3) | instskip(NEXT) | instid1(VALU_DEP_1)
	v_clz_i32_u32_e32 v47, v47
	v_min_u32_e32 v47, 32, v47
	s_delay_alu instid0(VALU_DEP_1) | instskip(NEXT) | instid1(VALU_DEP_1)
	v_subrev_nc_u32_e32 v49, 28, v47
	v_lshlrev_b64_e32 v[50:51], v49, v[1:2]
	v_sub_nc_u32_e32 v49, 29, v47
	s_delay_alu instid0(VALU_DEP_2)
	v_and_b32_e32 v47, 7, v50
; %bb.594:                              ;   in Loop: Header=BB275_417 Depth=1
	s_wait_alu 0xfffe
	s_or_b32 exec_lo, exec_lo, s14
	v_lshlrev_b32_e32 v1, 8, v48
	v_lshl_add_u32 v48, v49, 10, 0x2000
	v_lshlrev_b32_e32 v47, 23, v47
	s_delay_alu instid0(VALU_DEP_2) | instskip(NEXT) | instid1(VALU_DEP_1)
	v_and_or_b32 v1, 0x8000, v1, v48
	v_lshl_or_b32 v47, v1, 16, v47
.LBB275_595:                            ;   in Loop: Header=BB275_417 Depth=1
	s_or_b32 exec_lo, exec_lo, s13
.LBB275_596:                            ;   in Loop: Header=BB275_417 Depth=1
	s_wait_alu 0xfffe
	s_or_b32 exec_lo, exec_lo, s7
.LBB275_597:                            ;   in Loop: Header=BB275_417 Depth=1
	s_wait_alu 0xfffe
	s_or_b32 exec_lo, exec_lo, s6
	v_lshrrev_b32_e32 v1, 16, v10
	s_mov_b32 s6, exec_lo
	s_delay_alu instid0(VALU_DEP_1) | instskip(NEXT) | instid1(VALU_DEP_1)
	v_and_b32_e32 v48, 0xff, v1
	v_cmpx_ne_u16_e32 0, v48
	s_cbranch_execz .LBB275_605
; %bb.598:                              ;   in Loop: Header=BB275_417 Depth=1
	v_mov_b32_e32 v45, 0x8000
	s_mov_b32 s7, exec_lo
	v_cmpx_ne_u16_e32 0x80, v48
	s_cbranch_execz .LBB275_604
; %bb.599:                              ;   in Loop: Header=BB275_417 Depth=1
	v_bfe_u32 v49, v10, 16, 7
	v_mov_b32_e32 v45, 0x7c01
	s_mov_b32 s13, exec_lo
	s_delay_alu instid0(VALU_DEP_2)
	v_cmpx_ne_u32_e32 0x7f, v49
	s_cbranch_execz .LBB275_603
; %bb.600:                              ;   in Loop: Header=BB275_417 Depth=1
	v_and_b32_e32 v45, 7, v1
	v_lshrrev_b32_e32 v48, 3, v49
	s_mov_b32 s14, exec_lo
	v_cmpx_gt_u32_e32 8, v49
; %bb.601:                              ;   in Loop: Header=BB275_417 Depth=1
	s_delay_alu instid0(VALU_DEP_3) | instskip(NEXT) | instid1(VALU_DEP_1)
	v_clz_i32_u32_e32 v45, v45
	v_min_u32_e32 v45, 32, v45
	s_delay_alu instid0(VALU_DEP_1) | instskip(NEXT) | instid1(VALU_DEP_1)
	v_subrev_nc_u32_e32 v48, 28, v45
	v_lshlrev_b64_e32 v[49:50], v48, v[1:2]
	v_sub_nc_u32_e32 v48, 29, v45
	s_delay_alu instid0(VALU_DEP_2)
	v_and_b32_e32 v45, 7, v49
; %bb.602:                              ;   in Loop: Header=BB275_417 Depth=1
	s_wait_alu 0xfffe
	s_or_b32 exec_lo, exec_lo, s14
	v_lshlrev_b32_e32 v1, 8, v1
	v_lshl_add_u32 v48, v48, 10, 0x2000
	v_lshlrev_b32_e32 v45, 7, v45
	s_delay_alu instid0(VALU_DEP_3) | instskip(NEXT) | instid1(VALU_DEP_3)
	v_and_b32_e32 v1, 0x8000, v1
	v_and_b32_e32 v48, 0xfc00, v48
	s_delay_alu instid0(VALU_DEP_1)
	v_or3_b32 v45, v1, v48, v45
.LBB275_603:                            ;   in Loop: Header=BB275_417 Depth=1
	s_or_b32 exec_lo, exec_lo, s13
.LBB275_604:                            ;   in Loop: Header=BB275_417 Depth=1
	s_wait_alu 0xfffe
	s_or_b32 exec_lo, exec_lo, s7
.LBB275_605:                            ;   in Loop: Header=BB275_417 Depth=1
	s_wait_alu 0xfffe
	s_or_b32 exec_lo, exec_lo, s6
	v_cmp_lt_u64_e64 s0, s[2:3], v[9:10]
	v_mov_b32_e32 v9, 0
	s_and_saveexec_b32 s6, s0
	s_cbranch_execz .LBB275_613
; %bb.606:                              ;   in Loop: Header=BB275_417 Depth=1
	v_lshrrev_b32_e32 v1, 24, v10
	v_bfrev_b32_e32 v9, 1
	s_mov_b32 s7, exec_lo
	s_delay_alu instid0(VALU_DEP_2)
	v_cmpx_ne_u32_e32 0x80, v1
	s_cbranch_execz .LBB275_612
; %bb.607:                              ;   in Loop: Header=BB275_417 Depth=1
	v_and_b32_e32 v48, 0x7f, v1
	v_mov_b32_e32 v9, 0x7c010000
	s_mov_b32 s13, exec_lo
	s_delay_alu instid0(VALU_DEP_2)
	v_cmpx_ne_u32_e32 0x7f, v48
	s_cbranch_execz .LBB275_611
; %bb.608:                              ;   in Loop: Header=BB275_417 Depth=1
	v_and_b32_e32 v9, 7, v1
	v_lshrrev_b32_e32 v10, 3, v48
	s_mov_b32 s14, exec_lo
	v_cmpx_gt_u32_e32 8, v48
; %bb.609:                              ;   in Loop: Header=BB275_417 Depth=1
	s_delay_alu instid0(VALU_DEP_3) | instskip(NEXT) | instid1(VALU_DEP_1)
	v_clz_i32_u32_e32 v9, v9
	v_min_u32_e32 v48, 32, v9
	s_delay_alu instid0(VALU_DEP_1) | instskip(NEXT) | instid1(VALU_DEP_1)
	v_subrev_nc_u32_e32 v9, 28, v48
	v_lshlrev_b64_e32 v[9:10], v9, v[1:2]
	v_sub_nc_u32_e32 v10, 29, v48
	s_delay_alu instid0(VALU_DEP_2)
	v_and_b32_e32 v9, 7, v9
; %bb.610:                              ;   in Loop: Header=BB275_417 Depth=1
	s_wait_alu 0xfffe
	s_or_b32 exec_lo, exec_lo, s14
	v_lshlrev_b32_e32 v1, 8, v1
	v_lshl_add_u32 v10, v10, 10, 0x2000
	v_lshlrev_b32_e32 v9, 23, v9
	s_delay_alu instid0(VALU_DEP_2) | instskip(NEXT) | instid1(VALU_DEP_1)
	v_and_or_b32 v1, 0x8000, v1, v10
	v_lshl_or_b32 v9, v1, 16, v9
.LBB275_611:                            ;   in Loop: Header=BB275_417 Depth=1
	s_or_b32 exec_lo, exec_lo, s13
.LBB275_612:                            ;   in Loop: Header=BB275_417 Depth=1
	s_wait_alu 0xfffe
	s_or_b32 exec_lo, exec_lo, s7
.LBB275_613:                            ;   in Loop: Header=BB275_417 Depth=1
	s_wait_alu 0xfffe
	s_or_b32 exec_lo, exec_lo, s6
	v_or_b32_e32 v1, v43, v44
	s_wait_loadcnt 0x0
	v_fma_mixlo_f16 v10, v40, v43, 0 op_sel:[0,1,0] op_sel_hi:[0,1,0]
	v_or_b32_e32 v43, v41, v42
	v_fma_mixlo_f16 v41, v40, v41, 0 op_sel:[0,1,0] op_sel_hi:[0,1,0]
	v_or_b32_e32 v44, v47, v46
	v_or_b32_e32 v45, v9, v45
	v_fma_mixlo_f16 v46, v40, v1, 0 op_sel_hi:[0,1,0]
	v_fma_mixlo_f16 v9, v40, v9, 0 op_sel:[0,1,0] op_sel_hi:[0,1,0]
	v_lshlrev_b32_e32 v42, 16, v41
	v_fma_mixlo_f16 v41, v40, v43, 0 op_sel_hi:[0,1,0]
	v_fma_mixlo_f16 v43, v40, v47, 0 op_sel:[0,1,0] op_sel_hi:[0,1,0]
	v_fma_mixlo_f16 v44, v40, v44, 0 op_sel_hi:[0,1,0]
	v_fma_mixlo_f16 v45, v40, v45, 0 op_sel_hi:[0,1,0]
	v_lshlrev_b32_e32 v1, 16, v10
	v_and_b32_e32 v10, 0xffff, v46
	v_and_b32_e32 v48, 0xffff, v41
	v_lshlrev_b32_e32 v40, 16, v43
	v_and_b32_e32 v44, 0xffff, v44
	v_lshlrev_b32_e32 v9, 16, v9
	v_and_b32_e32 v41, 0xffff, v45
	v_or_b32_e32 v43, v1, v10
	v_or_b32_e32 v47, v42, v48
	;; [unrolled: 1-line block ×3, first 2 shown]
	s_delay_alu instid0(VALU_DEP_4)
	v_or_b32_e32 v45, v9, v41
	s_and_saveexec_b32 s6, vcc_lo
	s_cbranch_execz .LBB275_615
; %bb.614:                              ;   in Loop: Header=BB275_417 Depth=1
	v_cmp_gt_i32_e64 s0, s27, v15
	s_wait_alu 0xf1ff
	s_delay_alu instid0(VALU_DEP_1) | instskip(SKIP_2) | instid1(VALU_DEP_1)
	v_cndmask_b32_e64 v43, 0, v48, s0
	v_cmp_gt_i32_e64 s0, s27, v31
	s_wait_alu 0xf1ff
	v_cndmask_b32_e64 v42, 0, v42, s0
	v_cmp_gt_i32_e64 s0, s27, v30
	s_delay_alu instid0(VALU_DEP_2) | instskip(SKIP_1) | instid1(VALU_DEP_2)
	v_or_b32_e32 v47, v42, v43
	s_wait_alu 0xf1ff
	v_cndmask_b32_e64 v10, 0, v10, s0
	v_cmp_gt_i32_e64 s0, s27, v29
	s_wait_alu 0xf1ff
	s_delay_alu instid0(VALU_DEP_1) | instskip(SKIP_1) | instid1(VALU_DEP_2)
	v_cndmask_b32_e64 v1, 0, v1, s0
	v_cmp_gt_i32_e64 s0, s27, v28
	v_or_b32_e32 v43, v1, v10
	s_wait_alu 0xf1ff
	s_delay_alu instid0(VALU_DEP_2) | instskip(SKIP_2) | instid1(VALU_DEP_1)
	v_cndmask_b32_e64 v44, 0, v44, s0
	v_cmp_gt_i32_e64 s0, s27, v27
	s_wait_alu 0xf1ff
	v_cndmask_b32_e64 v40, 0, v40, s0
	v_cmp_gt_i32_e64 s0, s27, v26
	s_delay_alu instid0(VALU_DEP_2) | instskip(SKIP_1) | instid1(VALU_DEP_2)
	v_or_b32_e32 v46, v40, v44
	s_wait_alu 0xf1ff
	v_cndmask_b32_e64 v41, 0, v41, s0
	v_cmp_gt_i32_e64 s0, s27, v24
	s_wait_alu 0xf1ff
	s_delay_alu instid0(VALU_DEP_1) | instskip(NEXT) | instid1(VALU_DEP_1)
	v_cndmask_b32_e64 v9, 0, v9, s0
	v_or_b32_e32 v45, v9, v41
.LBB275_615:                            ;   in Loop: Header=BB275_417 Depth=1
	s_wait_alu 0xfffe
	s_or_b32 exec_lo, exec_lo, s6
	;;#ASMSTART
	v_pk_mul_f16 v1, v37, v47;

	;;#ASMEND
	;;#ASMSTART
	v_pk_mul_f16 v9, v35, v43;

	;;#ASMEND
	;; [unrolled: 4-line block ×4, first 2 shown]
	;;#ASMSTART
	v_pk_add_f16 v1, v1, v9;

	;;#ASMEND
	;;#ASMSTART
	v_pk_add_f16 v1, v1, v10;

	;;#ASMEND
	;; [unrolled: 4-line block ×3, first 2 shown]
	v_dual_mov_b32 v44, 0 :: v_dual_and_b32 v9, 0xffff, v1
	v_lshrrev_b32_e32 v1, 16, v1
	;;#ASMSTART
	v_cvt_f32_f16 v40, v9;
	;;#ASMEND
	;;#ASMSTART
	v_cvt_f32_f16 v41, v1;
	;;#ASMEND
	global_load_b64 v[9:10], v[7:8], off offset:768
	v_mov_b32_e32 v43, 0
	s_mov_b32 s6, exec_lo
	global_load_b32 v42, v43, s[10:11]
	s_wait_loadcnt 0x1
	v_and_b32_e32 v1, 0xff, v9
	s_delay_alu instid0(VALU_DEP_1)
	v_cmpx_ne_u16_e32 0, v1
	s_cbranch_execz .LBB275_623
; %bb.616:                              ;   in Loop: Header=BB275_417 Depth=1
	v_mov_b32_e32 v44, 0x8000
	s_mov_b32 s7, exec_lo
	v_cmpx_ne_u16_e32 0x80, v1
	s_cbranch_execz .LBB275_622
; %bb.617:                              ;   in Loop: Header=BB275_417 Depth=1
	v_and_b32_e32 v45, 0x7f, v9
	v_mov_b32_e32 v44, 0x7c01
	s_mov_b32 s13, exec_lo
	s_delay_alu instid0(VALU_DEP_2)
	v_cmpx_ne_u32_e32 0x7f, v45
	s_cbranch_execz .LBB275_621
; %bb.618:                              ;   in Loop: Header=BB275_417 Depth=1
	v_and_b32_e32 v1, 7, v9
	v_lshrrev_b32_e32 v44, 3, v45
	s_mov_b32 s14, exec_lo
	v_cmpx_gt_u32_e32 8, v45
; %bb.619:                              ;   in Loop: Header=BB275_417 Depth=1
	s_delay_alu instid0(VALU_DEP_3) | instskip(NEXT) | instid1(VALU_DEP_1)
	v_clz_i32_u32_e32 v1, v1
	v_min_u32_e32 v1, 32, v1
	s_delay_alu instid0(VALU_DEP_1) | instskip(NEXT) | instid1(VALU_DEP_1)
	v_subrev_nc_u32_e32 v44, 28, v1
	v_lshlrev_b64_e32 v[45:46], v44, v[9:10]
	v_sub_nc_u32_e32 v44, 29, v1
	s_delay_alu instid0(VALU_DEP_2)
	v_and_b32_e32 v1, 7, v45
; %bb.620:                              ;   in Loop: Header=BB275_417 Depth=1
	s_wait_alu 0xfffe
	s_or_b32 exec_lo, exec_lo, s14
	v_lshlrev_b32_e32 v45, 8, v9
	v_lshl_add_u32 v44, v44, 10, 0x2000
	v_lshlrev_b32_e32 v1, 7, v1
	s_delay_alu instid0(VALU_DEP_3) | instskip(NEXT) | instid1(VALU_DEP_3)
	v_and_b32_e32 v45, 0x8000, v45
	v_and_b32_e32 v44, 0xfc00, v44
	s_delay_alu instid0(VALU_DEP_1)
	v_or3_b32 v44, v45, v44, v1
.LBB275_621:                            ;   in Loop: Header=BB275_417 Depth=1
	s_or_b32 exec_lo, exec_lo, s13
.LBB275_622:                            ;   in Loop: Header=BB275_417 Depth=1
	s_wait_alu 0xfffe
	s_or_b32 exec_lo, exec_lo, s7
.LBB275_623:                            ;   in Loop: Header=BB275_417 Depth=1
	s_wait_alu 0xfffe
	s_or_b32 exec_lo, exec_lo, s6
	v_lshrrev_b16 v1, 8, v9
	s_mov_b32 s6, exec_lo
	s_delay_alu instid0(VALU_DEP_1)
	v_cmpx_ne_u16_e32 0, v1
	s_cbranch_execz .LBB275_631
; %bb.624:                              ;   in Loop: Header=BB275_417 Depth=1
	v_bfrev_b32_e32 v43, 1
	s_mov_b32 s7, exec_lo
	v_cmpx_ne_u16_e32 0x80, v1
	s_cbranch_execz .LBB275_630
; %bb.625:                              ;   in Loop: Header=BB275_417 Depth=1
	v_and_b32_e32 v45, 0xffff, v1
	v_mov_b32_e32 v43, 0x7c010000
	s_mov_b32 s13, exec_lo
	s_delay_alu instid0(VALU_DEP_2) | instskip(NEXT) | instid1(VALU_DEP_1)
	v_and_b32_e32 v47, 0x7f, v45
	v_cmpx_ne_u32_e32 0x7f, v47
	s_cbranch_execz .LBB275_629
; %bb.626:                              ;   in Loop: Header=BB275_417 Depth=1
	v_and_b32_e32 v43, 7, v45
	v_lshrrev_b32_e32 v46, 3, v47
	s_mov_b32 s14, exec_lo
	v_cmpx_gt_u32_e32 8, v47
; %bb.627:                              ;   in Loop: Header=BB275_417 Depth=1
	s_delay_alu instid0(VALU_DEP_3) | instskip(NEXT) | instid1(VALU_DEP_1)
	v_clz_i32_u32_e32 v43, v43
	v_min_u32_e32 v43, 32, v43
	s_delay_alu instid0(VALU_DEP_1) | instskip(NEXT) | instid1(VALU_DEP_1)
	v_subrev_nc_u32_e32 v46, 28, v43
	v_lshlrev_b64_e32 v[47:48], v46, v[1:2]
	v_sub_nc_u32_e32 v46, 29, v43
	s_delay_alu instid0(VALU_DEP_2)
	v_and_b32_e32 v43, 7, v47
; %bb.628:                              ;   in Loop: Header=BB275_417 Depth=1
	s_wait_alu 0xfffe
	s_or_b32 exec_lo, exec_lo, s14
	v_lshlrev_b32_e32 v1, 8, v45
	v_lshl_add_u32 v45, v46, 10, 0x2000
	v_lshlrev_b32_e32 v43, 23, v43
	s_delay_alu instid0(VALU_DEP_2) | instskip(NEXT) | instid1(VALU_DEP_1)
	v_and_or_b32 v1, 0x8000, v1, v45
	v_lshl_or_b32 v43, v1, 16, v43
.LBB275_629:                            ;   in Loop: Header=BB275_417 Depth=1
	s_or_b32 exec_lo, exec_lo, s13
.LBB275_630:                            ;   in Loop: Header=BB275_417 Depth=1
	s_wait_alu 0xfffe
	s_or_b32 exec_lo, exec_lo, s7
.LBB275_631:                            ;   in Loop: Header=BB275_417 Depth=1
	s_wait_alu 0xfffe
	s_or_b32 exec_lo, exec_lo, s6
	v_lshrrev_b32_e32 v1, 16, v9
	v_mov_b32_e32 v45, 0
	s_mov_b32 s6, exec_lo
	s_delay_alu instid0(VALU_DEP_2) | instskip(NEXT) | instid1(VALU_DEP_1)
	v_dual_mov_b32 v46, 0 :: v_dual_and_b32 v47, 0xff, v1
	v_cmpx_ne_u16_e32 0, v47
	s_cbranch_execz .LBB275_639
; %bb.632:                              ;   in Loop: Header=BB275_417 Depth=1
	v_mov_b32_e32 v46, 0x8000
	s_mov_b32 s7, exec_lo
	v_cmpx_ne_u16_e32 0x80, v47
	s_cbranch_execz .LBB275_638
; %bb.633:                              ;   in Loop: Header=BB275_417 Depth=1
	v_bfe_u32 v48, v9, 16, 7
	v_mov_b32_e32 v46, 0x7c01
	s_mov_b32 s13, exec_lo
	s_delay_alu instid0(VALU_DEP_2)
	v_cmpx_ne_u32_e32 0x7f, v48
	s_cbranch_execz .LBB275_637
; %bb.634:                              ;   in Loop: Header=BB275_417 Depth=1
	v_and_b32_e32 v46, 7, v1
	v_lshrrev_b32_e32 v47, 3, v48
	s_mov_b32 s14, exec_lo
	v_cmpx_gt_u32_e32 8, v48
; %bb.635:                              ;   in Loop: Header=BB275_417 Depth=1
	s_delay_alu instid0(VALU_DEP_3) | instskip(NEXT) | instid1(VALU_DEP_1)
	v_clz_i32_u32_e32 v46, v46
	v_min_u32_e32 v48, 32, v46
	s_delay_alu instid0(VALU_DEP_1) | instskip(NEXT) | instid1(VALU_DEP_1)
	v_subrev_nc_u32_e32 v46, 28, v48
	v_lshlrev_b64_e32 v[46:47], v46, v[1:2]
	v_sub_nc_u32_e32 v47, 29, v48
	s_delay_alu instid0(VALU_DEP_2)
	v_and_b32_e32 v46, 7, v46
; %bb.636:                              ;   in Loop: Header=BB275_417 Depth=1
	s_wait_alu 0xfffe
	s_or_b32 exec_lo, exec_lo, s14
	v_lshlrev_b32_e32 v1, 8, v1
	v_lshl_add_u32 v47, v47, 10, 0x2000
	v_lshlrev_b32_e32 v46, 7, v46
	s_delay_alu instid0(VALU_DEP_3) | instskip(NEXT) | instid1(VALU_DEP_3)
	v_and_b32_e32 v1, 0x8000, v1
	v_and_b32_e32 v47, 0xfc00, v47
	s_delay_alu instid0(VALU_DEP_1)
	v_or3_b32 v46, v1, v47, v46
.LBB275_637:                            ;   in Loop: Header=BB275_417 Depth=1
	s_or_b32 exec_lo, exec_lo, s13
.LBB275_638:                            ;   in Loop: Header=BB275_417 Depth=1
	s_wait_alu 0xfffe
	s_or_b32 exec_lo, exec_lo, s7
.LBB275_639:                            ;   in Loop: Header=BB275_417 Depth=1
	s_wait_alu 0xfffe
	s_or_b32 exec_lo, exec_lo, s6
	s_delay_alu instid0(SALU_CYCLE_1)
	s_mov_b32 s6, exec_lo
	v_cmpx_lt_u32_e32 0xffffff, v9
	s_cbranch_execz .LBB275_647
; %bb.640:                              ;   in Loop: Header=BB275_417 Depth=1
	v_lshrrev_b32_e32 v1, 24, v9
	v_bfrev_b32_e32 v45, 1
	s_mov_b32 s7, exec_lo
	s_delay_alu instid0(VALU_DEP_2)
	v_cmpx_ne_u32_e32 0x80, v1
	s_cbranch_execz .LBB275_646
; %bb.641:                              ;   in Loop: Header=BB275_417 Depth=1
	v_and_b32_e32 v48, 0x7f, v1
	v_mov_b32_e32 v45, 0x7c010000
	s_mov_b32 s13, exec_lo
	s_delay_alu instid0(VALU_DEP_2)
	v_cmpx_ne_u32_e32 0x7f, v48
	s_cbranch_execz .LBB275_645
; %bb.642:                              ;   in Loop: Header=BB275_417 Depth=1
	v_and_b32_e32 v45, 7, v1
	v_lshrrev_b32_e32 v47, 3, v48
	s_mov_b32 s14, exec_lo
	v_cmpx_gt_u32_e32 8, v48
; %bb.643:                              ;   in Loop: Header=BB275_417 Depth=1
	s_delay_alu instid0(VALU_DEP_3) | instskip(NEXT) | instid1(VALU_DEP_1)
	v_clz_i32_u32_e32 v45, v45
	v_min_u32_e32 v45, 32, v45
	s_delay_alu instid0(VALU_DEP_1) | instskip(NEXT) | instid1(VALU_DEP_1)
	v_subrev_nc_u32_e32 v47, 28, v45
	v_lshlrev_b64_e32 v[48:49], v47, v[1:2]
	v_sub_nc_u32_e32 v47, 29, v45
	s_delay_alu instid0(VALU_DEP_2)
	v_and_b32_e32 v45, 7, v48
; %bb.644:                              ;   in Loop: Header=BB275_417 Depth=1
	s_wait_alu 0xfffe
	s_or_b32 exec_lo, exec_lo, s14
	v_lshlrev_b32_e32 v1, 8, v1
	v_lshl_add_u32 v47, v47, 10, 0x2000
	v_lshlrev_b32_e32 v45, 23, v45
	s_delay_alu instid0(VALU_DEP_2) | instskip(NEXT) | instid1(VALU_DEP_1)
	v_and_or_b32 v1, 0x8000, v1, v47
	v_lshl_or_b32 v45, v1, 16, v45
.LBB275_645:                            ;   in Loop: Header=BB275_417 Depth=1
	s_or_b32 exec_lo, exec_lo, s13
.LBB275_646:                            ;   in Loop: Header=BB275_417 Depth=1
	s_wait_alu 0xfffe
	s_or_b32 exec_lo, exec_lo, s7
.LBB275_647:                            ;   in Loop: Header=BB275_417 Depth=1
	s_wait_alu 0xfffe
	s_or_b32 exec_lo, exec_lo, s6
	v_dual_mov_b32 v48, 0 :: v_dual_and_b32 v49, 0xff, v10
	v_mov_b32_e32 v1, v10
	v_mov_b32_e32 v47, 0
	s_mov_b32 s6, exec_lo
	s_delay_alu instid0(VALU_DEP_3)
	v_cmpx_ne_u16_e32 0, v49
	s_cbranch_execz .LBB275_655
; %bb.648:                              ;   in Loop: Header=BB275_417 Depth=1
	v_mov_b32_e32 v48, 0x8000
	s_mov_b32 s7, exec_lo
	v_cmpx_ne_u16_e32 0x80, v49
	s_cbranch_execz .LBB275_654
; %bb.649:                              ;   in Loop: Header=BB275_417 Depth=1
	v_and_b32_e32 v50, 0x7f, v10
	v_mov_b32_e32 v48, 0x7c01
	s_mov_b32 s13, exec_lo
	s_delay_alu instid0(VALU_DEP_2)
	v_cmpx_ne_u32_e32 0x7f, v50
	s_cbranch_execz .LBB275_653
; %bb.650:                              ;   in Loop: Header=BB275_417 Depth=1
	v_and_b32_e32 v48, 7, v10
	v_lshrrev_b32_e32 v49, 3, v50
	s_mov_b32 s14, exec_lo
	v_cmpx_gt_u32_e32 8, v50
; %bb.651:                              ;   in Loop: Header=BB275_417 Depth=1
	s_delay_alu instid0(VALU_DEP_3) | instskip(NEXT) | instid1(VALU_DEP_1)
	v_clz_i32_u32_e32 v48, v48
	v_min_u32_e32 v50, 32, v48
	s_delay_alu instid0(VALU_DEP_1) | instskip(NEXT) | instid1(VALU_DEP_1)
	v_subrev_nc_u32_e32 v48, 28, v50
	v_lshlrev_b64_e32 v[48:49], v48, v[1:2]
	v_sub_nc_u32_e32 v49, 29, v50
	s_delay_alu instid0(VALU_DEP_2)
	v_and_b32_e32 v48, 7, v48
; %bb.652:                              ;   in Loop: Header=BB275_417 Depth=1
	s_wait_alu 0xfffe
	s_or_b32 exec_lo, exec_lo, s14
	v_lshlrev_b32_e32 v50, 8, v10
	v_lshl_add_u32 v49, v49, 10, 0x2000
	v_lshlrev_b32_e32 v48, 7, v48
	s_delay_alu instid0(VALU_DEP_3) | instskip(NEXT) | instid1(VALU_DEP_3)
	v_and_b32_e32 v50, 0x8000, v50
	v_and_b32_e32 v49, 0xfc00, v49
	s_delay_alu instid0(VALU_DEP_1)
	v_or3_b32 v48, v50, v49, v48
.LBB275_653:                            ;   in Loop: Header=BB275_417 Depth=1
	s_or_b32 exec_lo, exec_lo, s13
.LBB275_654:                            ;   in Loop: Header=BB275_417 Depth=1
	s_wait_alu 0xfffe
	s_or_b32 exec_lo, exec_lo, s7
.LBB275_655:                            ;   in Loop: Header=BB275_417 Depth=1
	s_wait_alu 0xfffe
	s_or_b32 exec_lo, exec_lo, s6
	v_lshrrev_b16 v1, 8, v1
	v_mov_b32_e32 v49, 0
	s_mov_b32 s6, exec_lo
	s_delay_alu instid0(VALU_DEP_2)
	v_cmpx_ne_u16_e32 0, v1
	s_cbranch_execz .LBB275_663
; %bb.656:                              ;   in Loop: Header=BB275_417 Depth=1
	v_bfrev_b32_e32 v49, 1
	s_mov_b32 s7, exec_lo
	v_cmpx_ne_u16_e32 0x80, v1
	s_cbranch_execz .LBB275_662
; %bb.657:                              ;   in Loop: Header=BB275_417 Depth=1
	v_and_b32_e32 v50, 0xffff, v1
	v_mov_b32_e32 v49, 0x7c010000
	s_mov_b32 s13, exec_lo
	s_delay_alu instid0(VALU_DEP_2) | instskip(NEXT) | instid1(VALU_DEP_1)
	v_and_b32_e32 v52, 0x7f, v50
	v_cmpx_ne_u32_e32 0x7f, v52
	s_cbranch_execz .LBB275_661
; %bb.658:                              ;   in Loop: Header=BB275_417 Depth=1
	v_and_b32_e32 v49, 7, v50
	v_lshrrev_b32_e32 v51, 3, v52
	s_mov_b32 s14, exec_lo
	v_cmpx_gt_u32_e32 8, v52
; %bb.659:                              ;   in Loop: Header=BB275_417 Depth=1
	s_delay_alu instid0(VALU_DEP_3) | instskip(NEXT) | instid1(VALU_DEP_1)
	v_clz_i32_u32_e32 v49, v49
	v_min_u32_e32 v49, 32, v49
	s_delay_alu instid0(VALU_DEP_1) | instskip(NEXT) | instid1(VALU_DEP_1)
	v_subrev_nc_u32_e32 v51, 28, v49
	v_lshlrev_b64_e32 v[52:53], v51, v[1:2]
	v_sub_nc_u32_e32 v51, 29, v49
	s_delay_alu instid0(VALU_DEP_2)
	v_and_b32_e32 v49, 7, v52
; %bb.660:                              ;   in Loop: Header=BB275_417 Depth=1
	s_wait_alu 0xfffe
	s_or_b32 exec_lo, exec_lo, s14
	v_lshlrev_b32_e32 v1, 8, v50
	v_lshl_add_u32 v50, v51, 10, 0x2000
	v_lshlrev_b32_e32 v49, 23, v49
	s_delay_alu instid0(VALU_DEP_2) | instskip(NEXT) | instid1(VALU_DEP_1)
	v_and_or_b32 v1, 0x8000, v1, v50
	v_lshl_or_b32 v49, v1, 16, v49
.LBB275_661:                            ;   in Loop: Header=BB275_417 Depth=1
	s_or_b32 exec_lo, exec_lo, s13
.LBB275_662:                            ;   in Loop: Header=BB275_417 Depth=1
	s_wait_alu 0xfffe
	s_or_b32 exec_lo, exec_lo, s7
.LBB275_663:                            ;   in Loop: Header=BB275_417 Depth=1
	s_wait_alu 0xfffe
	s_or_b32 exec_lo, exec_lo, s6
	v_lshrrev_b32_e32 v1, 16, v10
	s_mov_b32 s6, exec_lo
	s_delay_alu instid0(VALU_DEP_1) | instskip(NEXT) | instid1(VALU_DEP_1)
	v_and_b32_e32 v50, 0xff, v1
	v_cmpx_ne_u16_e32 0, v50
	s_cbranch_execz .LBB275_671
; %bb.664:                              ;   in Loop: Header=BB275_417 Depth=1
	v_mov_b32_e32 v47, 0x8000
	s_mov_b32 s7, exec_lo
	v_cmpx_ne_u16_e32 0x80, v50
	s_cbranch_execz .LBB275_670
; %bb.665:                              ;   in Loop: Header=BB275_417 Depth=1
	v_bfe_u32 v51, v10, 16, 7
	v_mov_b32_e32 v47, 0x7c01
	s_mov_b32 s13, exec_lo
	s_delay_alu instid0(VALU_DEP_2)
	v_cmpx_ne_u32_e32 0x7f, v51
	s_cbranch_execz .LBB275_669
; %bb.666:                              ;   in Loop: Header=BB275_417 Depth=1
	v_and_b32_e32 v47, 7, v1
	v_lshrrev_b32_e32 v50, 3, v51
	s_mov_b32 s14, exec_lo
	v_cmpx_gt_u32_e32 8, v51
; %bb.667:                              ;   in Loop: Header=BB275_417 Depth=1
	s_delay_alu instid0(VALU_DEP_3) | instskip(NEXT) | instid1(VALU_DEP_1)
	v_clz_i32_u32_e32 v47, v47
	v_min_u32_e32 v47, 32, v47
	s_delay_alu instid0(VALU_DEP_1) | instskip(NEXT) | instid1(VALU_DEP_1)
	v_subrev_nc_u32_e32 v50, 28, v47
	v_lshlrev_b64_e32 v[51:52], v50, v[1:2]
	v_sub_nc_u32_e32 v50, 29, v47
	s_delay_alu instid0(VALU_DEP_2)
	v_and_b32_e32 v47, 7, v51
; %bb.668:                              ;   in Loop: Header=BB275_417 Depth=1
	s_wait_alu 0xfffe
	s_or_b32 exec_lo, exec_lo, s14
	v_lshlrev_b32_e32 v1, 8, v1
	v_lshl_add_u32 v50, v50, 10, 0x2000
	v_lshlrev_b32_e32 v47, 7, v47
	s_delay_alu instid0(VALU_DEP_3) | instskip(NEXT) | instid1(VALU_DEP_3)
	v_and_b32_e32 v1, 0x8000, v1
	v_and_b32_e32 v50, 0xfc00, v50
	s_delay_alu instid0(VALU_DEP_1)
	v_or3_b32 v47, v1, v50, v47
.LBB275_669:                            ;   in Loop: Header=BB275_417 Depth=1
	s_or_b32 exec_lo, exec_lo, s13
.LBB275_670:                            ;   in Loop: Header=BB275_417 Depth=1
	s_wait_alu 0xfffe
	s_or_b32 exec_lo, exec_lo, s7
.LBB275_671:                            ;   in Loop: Header=BB275_417 Depth=1
	s_wait_alu 0xfffe
	s_or_b32 exec_lo, exec_lo, s6
	v_cmp_lt_u64_e64 s0, s[2:3], v[9:10]
	v_mov_b32_e32 v9, 0
	s_and_saveexec_b32 s6, s0
	s_cbranch_execz .LBB275_679
; %bb.672:                              ;   in Loop: Header=BB275_417 Depth=1
	v_lshrrev_b32_e32 v1, 24, v10
	v_bfrev_b32_e32 v9, 1
	s_mov_b32 s7, exec_lo
	s_delay_alu instid0(VALU_DEP_2)
	v_cmpx_ne_u32_e32 0x80, v1
	s_cbranch_execz .LBB275_678
; %bb.673:                              ;   in Loop: Header=BB275_417 Depth=1
	v_and_b32_e32 v50, 0x7f, v1
	v_mov_b32_e32 v9, 0x7c010000
	s_mov_b32 s13, exec_lo
	s_delay_alu instid0(VALU_DEP_2)
	v_cmpx_ne_u32_e32 0x7f, v50
	s_cbranch_execz .LBB275_677
; %bb.674:                              ;   in Loop: Header=BB275_417 Depth=1
	v_and_b32_e32 v9, 7, v1
	v_lshrrev_b32_e32 v10, 3, v50
	s_mov_b32 s14, exec_lo
	v_cmpx_gt_u32_e32 8, v50
; %bb.675:                              ;   in Loop: Header=BB275_417 Depth=1
	s_delay_alu instid0(VALU_DEP_3) | instskip(NEXT) | instid1(VALU_DEP_1)
	v_clz_i32_u32_e32 v9, v9
	v_min_u32_e32 v50, 32, v9
	s_delay_alu instid0(VALU_DEP_1) | instskip(NEXT) | instid1(VALU_DEP_1)
	v_subrev_nc_u32_e32 v9, 28, v50
	v_lshlrev_b64_e32 v[9:10], v9, v[1:2]
	v_sub_nc_u32_e32 v10, 29, v50
	s_delay_alu instid0(VALU_DEP_2)
	v_and_b32_e32 v9, 7, v9
; %bb.676:                              ;   in Loop: Header=BB275_417 Depth=1
	s_wait_alu 0xfffe
	s_or_b32 exec_lo, exec_lo, s14
	v_lshlrev_b32_e32 v1, 8, v1
	v_lshl_add_u32 v10, v10, 10, 0x2000
	v_lshlrev_b32_e32 v9, 23, v9
	s_delay_alu instid0(VALU_DEP_2) | instskip(NEXT) | instid1(VALU_DEP_1)
	v_and_or_b32 v1, 0x8000, v1, v10
	v_lshl_or_b32 v9, v1, 16, v9
.LBB275_677:                            ;   in Loop: Header=BB275_417 Depth=1
	s_or_b32 exec_lo, exec_lo, s13
.LBB275_678:                            ;   in Loop: Header=BB275_417 Depth=1
	s_wait_alu 0xfffe
	s_or_b32 exec_lo, exec_lo, s7
.LBB275_679:                            ;   in Loop: Header=BB275_417 Depth=1
	s_wait_alu 0xfffe
	s_or_b32 exec_lo, exec_lo, s6
	v_or_b32_e32 v1, v45, v46
	s_wait_loadcnt 0x0
	v_fma_mixlo_f16 v10, v42, v45, 0 op_sel:[0,1,0] op_sel_hi:[0,1,0]
	v_or_b32_e32 v45, v43, v44
	v_fma_mixlo_f16 v43, v42, v43, 0 op_sel:[0,1,0] op_sel_hi:[0,1,0]
	v_or_b32_e32 v46, v49, v48
	v_or_b32_e32 v47, v9, v47
	v_fma_mixlo_f16 v48, v42, v1, 0 op_sel_hi:[0,1,0]
	v_fma_mixlo_f16 v9, v42, v9, 0 op_sel:[0,1,0] op_sel_hi:[0,1,0]
	v_lshlrev_b32_e32 v44, 16, v43
	v_fma_mixlo_f16 v43, v42, v45, 0 op_sel_hi:[0,1,0]
	v_fma_mixlo_f16 v45, v42, v49, 0 op_sel:[0,1,0] op_sel_hi:[0,1,0]
	v_fma_mixlo_f16 v46, v42, v46, 0 op_sel_hi:[0,1,0]
	v_fma_mixlo_f16 v47, v42, v47, 0 op_sel_hi:[0,1,0]
	v_lshlrev_b32_e32 v1, 16, v10
	v_and_b32_e32 v10, 0xffff, v48
	v_and_b32_e32 v50, 0xffff, v43
	v_lshlrev_b32_e32 v42, 16, v45
	v_and_b32_e32 v46, 0xffff, v46
	v_lshlrev_b32_e32 v9, 16, v9
	v_and_b32_e32 v43, 0xffff, v47
	v_or_b32_e32 v45, v1, v10
	v_or_b32_e32 v49, v44, v50
	;; [unrolled: 1-line block ×3, first 2 shown]
	s_delay_alu instid0(VALU_DEP_4)
	v_or_b32_e32 v47, v9, v43
	s_and_saveexec_b32 s6, vcc_lo
	s_cbranch_execz .LBB275_681
; %bb.680:                              ;   in Loop: Header=BB275_417 Depth=1
	v_cmp_gt_i32_e64 s0, s27, v15
	s_wait_alu 0xf1ff
	s_delay_alu instid0(VALU_DEP_1) | instskip(SKIP_2) | instid1(VALU_DEP_1)
	v_cndmask_b32_e64 v45, 0, v50, s0
	v_cmp_gt_i32_e64 s0, s27, v31
	s_wait_alu 0xf1ff
	v_cndmask_b32_e64 v44, 0, v44, s0
	v_cmp_gt_i32_e64 s0, s27, v30
	s_delay_alu instid0(VALU_DEP_2) | instskip(SKIP_1) | instid1(VALU_DEP_2)
	v_or_b32_e32 v49, v44, v45
	s_wait_alu 0xf1ff
	v_cndmask_b32_e64 v10, 0, v10, s0
	v_cmp_gt_i32_e64 s0, s27, v29
	s_wait_alu 0xf1ff
	s_delay_alu instid0(VALU_DEP_1) | instskip(SKIP_1) | instid1(VALU_DEP_2)
	v_cndmask_b32_e64 v1, 0, v1, s0
	v_cmp_gt_i32_e64 s0, s27, v28
	v_or_b32_e32 v45, v1, v10
	s_wait_alu 0xf1ff
	s_delay_alu instid0(VALU_DEP_2) | instskip(SKIP_2) | instid1(VALU_DEP_1)
	v_cndmask_b32_e64 v46, 0, v46, s0
	v_cmp_gt_i32_e64 s0, s27, v27
	s_wait_alu 0xf1ff
	v_cndmask_b32_e64 v42, 0, v42, s0
	v_cmp_gt_i32_e64 s0, s27, v26
	s_delay_alu instid0(VALU_DEP_2) | instskip(SKIP_1) | instid1(VALU_DEP_2)
	v_or_b32_e32 v48, v42, v46
	s_wait_alu 0xf1ff
	v_cndmask_b32_e64 v43, 0, v43, s0
	v_cmp_gt_i32_e64 s0, s27, v24
	s_wait_alu 0xf1ff
	s_delay_alu instid0(VALU_DEP_1) | instskip(NEXT) | instid1(VALU_DEP_1)
	v_cndmask_b32_e64 v9, 0, v9, s0
	v_or_b32_e32 v47, v9, v43
.LBB275_681:                            ;   in Loop: Header=BB275_417 Depth=1
	s_wait_alu 0xfffe
	s_or_b32 exec_lo, exec_lo, s6
	;;#ASMSTART
	v_pk_mul_f16 v1, v37, v49;

	;;#ASMEND
	;;#ASMSTART
	v_pk_mul_f16 v9, v35, v45;

	;;#ASMEND
	;; [unrolled: 4-line block ×4, first 2 shown]
	;;#ASMSTART
	v_pk_add_f16 v1, v1, v9;

	;;#ASMEND
	;;#ASMSTART
	v_pk_add_f16 v1, v1, v10;

	;;#ASMEND
	;; [unrolled: 4-line block ×3, first 2 shown]
	v_dual_mov_b32 v46, 0 :: v_dual_and_b32 v9, 0xffff, v1
	v_lshrrev_b32_e32 v1, 16, v1
	;;#ASMSTART
	v_cvt_f32_f16 v42, v9;
	;;#ASMEND
	;;#ASMSTART
	v_cvt_f32_f16 v43, v1;
	;;#ASMEND
	global_load_b64 v[9:10], v[7:8], off offset:1024
	v_mov_b32_e32 v45, 0
	s_mov_b32 s6, exec_lo
	global_load_b32 v44, v45, s[10:11]
	s_wait_loadcnt 0x1
	v_and_b32_e32 v1, 0xff, v9
	s_delay_alu instid0(VALU_DEP_1)
	v_cmpx_ne_u16_e32 0, v1
	s_cbranch_execz .LBB275_689
; %bb.682:                              ;   in Loop: Header=BB275_417 Depth=1
	v_mov_b32_e32 v46, 0x8000
	s_mov_b32 s7, exec_lo
	v_cmpx_ne_u16_e32 0x80, v1
	s_cbranch_execz .LBB275_688
; %bb.683:                              ;   in Loop: Header=BB275_417 Depth=1
	v_and_b32_e32 v47, 0x7f, v9
	v_mov_b32_e32 v46, 0x7c01
	s_mov_b32 s13, exec_lo
	s_delay_alu instid0(VALU_DEP_2)
	v_cmpx_ne_u32_e32 0x7f, v47
	s_cbranch_execz .LBB275_687
; %bb.684:                              ;   in Loop: Header=BB275_417 Depth=1
	v_and_b32_e32 v1, 7, v9
	v_lshrrev_b32_e32 v46, 3, v47
	s_mov_b32 s14, exec_lo
	v_cmpx_gt_u32_e32 8, v47
; %bb.685:                              ;   in Loop: Header=BB275_417 Depth=1
	s_delay_alu instid0(VALU_DEP_3) | instskip(NEXT) | instid1(VALU_DEP_1)
	v_clz_i32_u32_e32 v1, v1
	v_min_u32_e32 v1, 32, v1
	s_delay_alu instid0(VALU_DEP_1) | instskip(NEXT) | instid1(VALU_DEP_1)
	v_subrev_nc_u32_e32 v46, 28, v1
	v_lshlrev_b64_e32 v[47:48], v46, v[9:10]
	v_sub_nc_u32_e32 v46, 29, v1
	s_delay_alu instid0(VALU_DEP_2)
	v_and_b32_e32 v1, 7, v47
; %bb.686:                              ;   in Loop: Header=BB275_417 Depth=1
	s_wait_alu 0xfffe
	s_or_b32 exec_lo, exec_lo, s14
	v_lshlrev_b32_e32 v47, 8, v9
	v_lshl_add_u32 v46, v46, 10, 0x2000
	v_lshlrev_b32_e32 v1, 7, v1
	s_delay_alu instid0(VALU_DEP_3) | instskip(NEXT) | instid1(VALU_DEP_3)
	v_and_b32_e32 v47, 0x8000, v47
	v_and_b32_e32 v46, 0xfc00, v46
	s_delay_alu instid0(VALU_DEP_1)
	v_or3_b32 v46, v47, v46, v1
.LBB275_687:                            ;   in Loop: Header=BB275_417 Depth=1
	s_or_b32 exec_lo, exec_lo, s13
.LBB275_688:                            ;   in Loop: Header=BB275_417 Depth=1
	s_wait_alu 0xfffe
	s_or_b32 exec_lo, exec_lo, s7
.LBB275_689:                            ;   in Loop: Header=BB275_417 Depth=1
	s_wait_alu 0xfffe
	s_or_b32 exec_lo, exec_lo, s6
	v_lshrrev_b16 v1, 8, v9
	s_mov_b32 s6, exec_lo
	s_delay_alu instid0(VALU_DEP_1)
	v_cmpx_ne_u16_e32 0, v1
	s_cbranch_execz .LBB275_697
; %bb.690:                              ;   in Loop: Header=BB275_417 Depth=1
	v_bfrev_b32_e32 v45, 1
	s_mov_b32 s7, exec_lo
	v_cmpx_ne_u16_e32 0x80, v1
	s_cbranch_execz .LBB275_696
; %bb.691:                              ;   in Loop: Header=BB275_417 Depth=1
	v_and_b32_e32 v47, 0xffff, v1
	v_mov_b32_e32 v45, 0x7c010000
	s_mov_b32 s13, exec_lo
	s_delay_alu instid0(VALU_DEP_2) | instskip(NEXT) | instid1(VALU_DEP_1)
	v_and_b32_e32 v49, 0x7f, v47
	v_cmpx_ne_u32_e32 0x7f, v49
	s_cbranch_execz .LBB275_695
; %bb.692:                              ;   in Loop: Header=BB275_417 Depth=1
	v_and_b32_e32 v45, 7, v47
	v_lshrrev_b32_e32 v48, 3, v49
	s_mov_b32 s14, exec_lo
	v_cmpx_gt_u32_e32 8, v49
; %bb.693:                              ;   in Loop: Header=BB275_417 Depth=1
	s_delay_alu instid0(VALU_DEP_3) | instskip(NEXT) | instid1(VALU_DEP_1)
	v_clz_i32_u32_e32 v45, v45
	v_min_u32_e32 v45, 32, v45
	s_delay_alu instid0(VALU_DEP_1) | instskip(NEXT) | instid1(VALU_DEP_1)
	v_subrev_nc_u32_e32 v48, 28, v45
	v_lshlrev_b64_e32 v[49:50], v48, v[1:2]
	v_sub_nc_u32_e32 v48, 29, v45
	s_delay_alu instid0(VALU_DEP_2)
	v_and_b32_e32 v45, 7, v49
; %bb.694:                              ;   in Loop: Header=BB275_417 Depth=1
	s_wait_alu 0xfffe
	s_or_b32 exec_lo, exec_lo, s14
	v_lshlrev_b32_e32 v1, 8, v47
	v_lshl_add_u32 v47, v48, 10, 0x2000
	v_lshlrev_b32_e32 v45, 23, v45
	s_delay_alu instid0(VALU_DEP_2) | instskip(NEXT) | instid1(VALU_DEP_1)
	v_and_or_b32 v1, 0x8000, v1, v47
	v_lshl_or_b32 v45, v1, 16, v45
.LBB275_695:                            ;   in Loop: Header=BB275_417 Depth=1
	s_or_b32 exec_lo, exec_lo, s13
.LBB275_696:                            ;   in Loop: Header=BB275_417 Depth=1
	s_wait_alu 0xfffe
	s_or_b32 exec_lo, exec_lo, s7
.LBB275_697:                            ;   in Loop: Header=BB275_417 Depth=1
	s_wait_alu 0xfffe
	s_or_b32 exec_lo, exec_lo, s6
	v_lshrrev_b32_e32 v1, 16, v9
	v_mov_b32_e32 v47, 0
	s_mov_b32 s6, exec_lo
	s_delay_alu instid0(VALU_DEP_2) | instskip(NEXT) | instid1(VALU_DEP_1)
	v_dual_mov_b32 v48, 0 :: v_dual_and_b32 v49, 0xff, v1
	v_cmpx_ne_u16_e32 0, v49
	s_cbranch_execz .LBB275_705
; %bb.698:                              ;   in Loop: Header=BB275_417 Depth=1
	v_mov_b32_e32 v48, 0x8000
	s_mov_b32 s7, exec_lo
	v_cmpx_ne_u16_e32 0x80, v49
	s_cbranch_execz .LBB275_704
; %bb.699:                              ;   in Loop: Header=BB275_417 Depth=1
	v_bfe_u32 v50, v9, 16, 7
	v_mov_b32_e32 v48, 0x7c01
	s_mov_b32 s13, exec_lo
	s_delay_alu instid0(VALU_DEP_2)
	v_cmpx_ne_u32_e32 0x7f, v50
	s_cbranch_execz .LBB275_703
; %bb.700:                              ;   in Loop: Header=BB275_417 Depth=1
	v_and_b32_e32 v48, 7, v1
	v_lshrrev_b32_e32 v49, 3, v50
	s_mov_b32 s14, exec_lo
	v_cmpx_gt_u32_e32 8, v50
; %bb.701:                              ;   in Loop: Header=BB275_417 Depth=1
	s_delay_alu instid0(VALU_DEP_3) | instskip(NEXT) | instid1(VALU_DEP_1)
	v_clz_i32_u32_e32 v48, v48
	v_min_u32_e32 v50, 32, v48
	s_delay_alu instid0(VALU_DEP_1) | instskip(NEXT) | instid1(VALU_DEP_1)
	v_subrev_nc_u32_e32 v48, 28, v50
	v_lshlrev_b64_e32 v[48:49], v48, v[1:2]
	v_sub_nc_u32_e32 v49, 29, v50
	s_delay_alu instid0(VALU_DEP_2)
	v_and_b32_e32 v48, 7, v48
; %bb.702:                              ;   in Loop: Header=BB275_417 Depth=1
	s_wait_alu 0xfffe
	s_or_b32 exec_lo, exec_lo, s14
	v_lshlrev_b32_e32 v1, 8, v1
	v_lshl_add_u32 v49, v49, 10, 0x2000
	v_lshlrev_b32_e32 v48, 7, v48
	s_delay_alu instid0(VALU_DEP_3) | instskip(NEXT) | instid1(VALU_DEP_3)
	v_and_b32_e32 v1, 0x8000, v1
	v_and_b32_e32 v49, 0xfc00, v49
	s_delay_alu instid0(VALU_DEP_1)
	v_or3_b32 v48, v1, v49, v48
.LBB275_703:                            ;   in Loop: Header=BB275_417 Depth=1
	s_or_b32 exec_lo, exec_lo, s13
.LBB275_704:                            ;   in Loop: Header=BB275_417 Depth=1
	s_wait_alu 0xfffe
	s_or_b32 exec_lo, exec_lo, s7
.LBB275_705:                            ;   in Loop: Header=BB275_417 Depth=1
	s_wait_alu 0xfffe
	s_or_b32 exec_lo, exec_lo, s6
	s_delay_alu instid0(SALU_CYCLE_1)
	s_mov_b32 s6, exec_lo
	v_cmpx_lt_u32_e32 0xffffff, v9
	s_cbranch_execz .LBB275_713
; %bb.706:                              ;   in Loop: Header=BB275_417 Depth=1
	v_lshrrev_b32_e32 v1, 24, v9
	v_bfrev_b32_e32 v47, 1
	s_mov_b32 s7, exec_lo
	s_delay_alu instid0(VALU_DEP_2)
	v_cmpx_ne_u32_e32 0x80, v1
	s_cbranch_execz .LBB275_712
; %bb.707:                              ;   in Loop: Header=BB275_417 Depth=1
	v_and_b32_e32 v50, 0x7f, v1
	v_mov_b32_e32 v47, 0x7c010000
	s_mov_b32 s13, exec_lo
	s_delay_alu instid0(VALU_DEP_2)
	v_cmpx_ne_u32_e32 0x7f, v50
	s_cbranch_execz .LBB275_711
; %bb.708:                              ;   in Loop: Header=BB275_417 Depth=1
	v_and_b32_e32 v47, 7, v1
	v_lshrrev_b32_e32 v49, 3, v50
	s_mov_b32 s14, exec_lo
	v_cmpx_gt_u32_e32 8, v50
; %bb.709:                              ;   in Loop: Header=BB275_417 Depth=1
	s_delay_alu instid0(VALU_DEP_3) | instskip(NEXT) | instid1(VALU_DEP_1)
	v_clz_i32_u32_e32 v47, v47
	v_min_u32_e32 v47, 32, v47
	s_delay_alu instid0(VALU_DEP_1) | instskip(NEXT) | instid1(VALU_DEP_1)
	v_subrev_nc_u32_e32 v49, 28, v47
	v_lshlrev_b64_e32 v[50:51], v49, v[1:2]
	v_sub_nc_u32_e32 v49, 29, v47
	s_delay_alu instid0(VALU_DEP_2)
	v_and_b32_e32 v47, 7, v50
; %bb.710:                              ;   in Loop: Header=BB275_417 Depth=1
	s_wait_alu 0xfffe
	s_or_b32 exec_lo, exec_lo, s14
	v_lshlrev_b32_e32 v1, 8, v1
	v_lshl_add_u32 v49, v49, 10, 0x2000
	v_lshlrev_b32_e32 v47, 23, v47
	s_delay_alu instid0(VALU_DEP_2) | instskip(NEXT) | instid1(VALU_DEP_1)
	v_and_or_b32 v1, 0x8000, v1, v49
	v_lshl_or_b32 v47, v1, 16, v47
.LBB275_711:                            ;   in Loop: Header=BB275_417 Depth=1
	s_or_b32 exec_lo, exec_lo, s13
.LBB275_712:                            ;   in Loop: Header=BB275_417 Depth=1
	s_wait_alu 0xfffe
	s_or_b32 exec_lo, exec_lo, s7
.LBB275_713:                            ;   in Loop: Header=BB275_417 Depth=1
	s_wait_alu 0xfffe
	s_or_b32 exec_lo, exec_lo, s6
	v_dual_mov_b32 v50, 0 :: v_dual_and_b32 v51, 0xff, v10
	v_mov_b32_e32 v1, v10
	v_mov_b32_e32 v49, 0
	s_mov_b32 s6, exec_lo
	s_delay_alu instid0(VALU_DEP_3)
	v_cmpx_ne_u16_e32 0, v51
	s_cbranch_execz .LBB275_721
; %bb.714:                              ;   in Loop: Header=BB275_417 Depth=1
	v_mov_b32_e32 v50, 0x8000
	s_mov_b32 s7, exec_lo
	v_cmpx_ne_u16_e32 0x80, v51
	s_cbranch_execz .LBB275_720
; %bb.715:                              ;   in Loop: Header=BB275_417 Depth=1
	v_and_b32_e32 v52, 0x7f, v10
	v_mov_b32_e32 v50, 0x7c01
	s_mov_b32 s13, exec_lo
	s_delay_alu instid0(VALU_DEP_2)
	v_cmpx_ne_u32_e32 0x7f, v52
	s_cbranch_execz .LBB275_719
; %bb.716:                              ;   in Loop: Header=BB275_417 Depth=1
	v_and_b32_e32 v50, 7, v10
	v_lshrrev_b32_e32 v51, 3, v52
	s_mov_b32 s14, exec_lo
	v_cmpx_gt_u32_e32 8, v52
; %bb.717:                              ;   in Loop: Header=BB275_417 Depth=1
	s_delay_alu instid0(VALU_DEP_3) | instskip(NEXT) | instid1(VALU_DEP_1)
	v_clz_i32_u32_e32 v50, v50
	v_min_u32_e32 v52, 32, v50
	s_delay_alu instid0(VALU_DEP_1) | instskip(NEXT) | instid1(VALU_DEP_1)
	v_subrev_nc_u32_e32 v50, 28, v52
	v_lshlrev_b64_e32 v[50:51], v50, v[1:2]
	v_sub_nc_u32_e32 v51, 29, v52
	s_delay_alu instid0(VALU_DEP_2)
	v_and_b32_e32 v50, 7, v50
; %bb.718:                              ;   in Loop: Header=BB275_417 Depth=1
	s_wait_alu 0xfffe
	s_or_b32 exec_lo, exec_lo, s14
	v_lshlrev_b32_e32 v52, 8, v10
	v_lshl_add_u32 v51, v51, 10, 0x2000
	v_lshlrev_b32_e32 v50, 7, v50
	s_delay_alu instid0(VALU_DEP_3) | instskip(NEXT) | instid1(VALU_DEP_3)
	v_and_b32_e32 v52, 0x8000, v52
	v_and_b32_e32 v51, 0xfc00, v51
	s_delay_alu instid0(VALU_DEP_1)
	v_or3_b32 v50, v52, v51, v50
.LBB275_719:                            ;   in Loop: Header=BB275_417 Depth=1
	s_or_b32 exec_lo, exec_lo, s13
.LBB275_720:                            ;   in Loop: Header=BB275_417 Depth=1
	s_wait_alu 0xfffe
	s_or_b32 exec_lo, exec_lo, s7
.LBB275_721:                            ;   in Loop: Header=BB275_417 Depth=1
	s_wait_alu 0xfffe
	s_or_b32 exec_lo, exec_lo, s6
	v_lshrrev_b16 v1, 8, v1
	v_mov_b32_e32 v51, 0
	s_mov_b32 s6, exec_lo
	s_delay_alu instid0(VALU_DEP_2)
	v_cmpx_ne_u16_e32 0, v1
	s_cbranch_execz .LBB275_729
; %bb.722:                              ;   in Loop: Header=BB275_417 Depth=1
	v_bfrev_b32_e32 v51, 1
	s_mov_b32 s7, exec_lo
	v_cmpx_ne_u16_e32 0x80, v1
	s_cbranch_execz .LBB275_728
; %bb.723:                              ;   in Loop: Header=BB275_417 Depth=1
	v_and_b32_e32 v52, 0xffff, v1
	v_mov_b32_e32 v51, 0x7c010000
	s_mov_b32 s13, exec_lo
	s_delay_alu instid0(VALU_DEP_2) | instskip(NEXT) | instid1(VALU_DEP_1)
	v_and_b32_e32 v54, 0x7f, v52
	v_cmpx_ne_u32_e32 0x7f, v54
	s_cbranch_execz .LBB275_727
; %bb.724:                              ;   in Loop: Header=BB275_417 Depth=1
	v_and_b32_e32 v51, 7, v52
	v_lshrrev_b32_e32 v53, 3, v54
	s_mov_b32 s14, exec_lo
	v_cmpx_gt_u32_e32 8, v54
; %bb.725:                              ;   in Loop: Header=BB275_417 Depth=1
	s_delay_alu instid0(VALU_DEP_3) | instskip(NEXT) | instid1(VALU_DEP_1)
	v_clz_i32_u32_e32 v51, v51
	v_min_u32_e32 v51, 32, v51
	s_delay_alu instid0(VALU_DEP_1) | instskip(NEXT) | instid1(VALU_DEP_1)
	v_subrev_nc_u32_e32 v53, 28, v51
	v_lshlrev_b64_e32 v[54:55], v53, v[1:2]
	v_sub_nc_u32_e32 v53, 29, v51
	s_delay_alu instid0(VALU_DEP_2)
	v_and_b32_e32 v51, 7, v54
; %bb.726:                              ;   in Loop: Header=BB275_417 Depth=1
	s_wait_alu 0xfffe
	s_or_b32 exec_lo, exec_lo, s14
	v_lshlrev_b32_e32 v1, 8, v52
	v_lshl_add_u32 v52, v53, 10, 0x2000
	v_lshlrev_b32_e32 v51, 23, v51
	s_delay_alu instid0(VALU_DEP_2) | instskip(NEXT) | instid1(VALU_DEP_1)
	v_and_or_b32 v1, 0x8000, v1, v52
	v_lshl_or_b32 v51, v1, 16, v51
.LBB275_727:                            ;   in Loop: Header=BB275_417 Depth=1
	s_or_b32 exec_lo, exec_lo, s13
.LBB275_728:                            ;   in Loop: Header=BB275_417 Depth=1
	s_wait_alu 0xfffe
	s_or_b32 exec_lo, exec_lo, s7
.LBB275_729:                            ;   in Loop: Header=BB275_417 Depth=1
	s_wait_alu 0xfffe
	s_or_b32 exec_lo, exec_lo, s6
	v_lshrrev_b32_e32 v1, 16, v10
	s_mov_b32 s6, exec_lo
	s_delay_alu instid0(VALU_DEP_1) | instskip(NEXT) | instid1(VALU_DEP_1)
	v_and_b32_e32 v52, 0xff, v1
	v_cmpx_ne_u16_e32 0, v52
	s_cbranch_execz .LBB275_737
; %bb.730:                              ;   in Loop: Header=BB275_417 Depth=1
	v_mov_b32_e32 v49, 0x8000
	s_mov_b32 s7, exec_lo
	v_cmpx_ne_u16_e32 0x80, v52
	s_cbranch_execz .LBB275_736
; %bb.731:                              ;   in Loop: Header=BB275_417 Depth=1
	v_bfe_u32 v53, v10, 16, 7
	v_mov_b32_e32 v49, 0x7c01
	s_mov_b32 s13, exec_lo
	s_delay_alu instid0(VALU_DEP_2)
	v_cmpx_ne_u32_e32 0x7f, v53
	s_cbranch_execz .LBB275_735
; %bb.732:                              ;   in Loop: Header=BB275_417 Depth=1
	v_and_b32_e32 v49, 7, v1
	v_lshrrev_b32_e32 v52, 3, v53
	s_mov_b32 s14, exec_lo
	v_cmpx_gt_u32_e32 8, v53
; %bb.733:                              ;   in Loop: Header=BB275_417 Depth=1
	s_delay_alu instid0(VALU_DEP_3) | instskip(NEXT) | instid1(VALU_DEP_1)
	v_clz_i32_u32_e32 v49, v49
	v_min_u32_e32 v49, 32, v49
	s_delay_alu instid0(VALU_DEP_1) | instskip(NEXT) | instid1(VALU_DEP_1)
	v_subrev_nc_u32_e32 v52, 28, v49
	v_lshlrev_b64_e32 v[53:54], v52, v[1:2]
	v_sub_nc_u32_e32 v52, 29, v49
	s_delay_alu instid0(VALU_DEP_2)
	v_and_b32_e32 v49, 7, v53
; %bb.734:                              ;   in Loop: Header=BB275_417 Depth=1
	s_wait_alu 0xfffe
	s_or_b32 exec_lo, exec_lo, s14
	v_lshlrev_b32_e32 v1, 8, v1
	v_lshl_add_u32 v52, v52, 10, 0x2000
	v_lshlrev_b32_e32 v49, 7, v49
	s_delay_alu instid0(VALU_DEP_3) | instskip(NEXT) | instid1(VALU_DEP_3)
	v_and_b32_e32 v1, 0x8000, v1
	v_and_b32_e32 v52, 0xfc00, v52
	s_delay_alu instid0(VALU_DEP_1)
	v_or3_b32 v49, v1, v52, v49
.LBB275_735:                            ;   in Loop: Header=BB275_417 Depth=1
	s_or_b32 exec_lo, exec_lo, s13
.LBB275_736:                            ;   in Loop: Header=BB275_417 Depth=1
	s_wait_alu 0xfffe
	s_or_b32 exec_lo, exec_lo, s7
.LBB275_737:                            ;   in Loop: Header=BB275_417 Depth=1
	s_wait_alu 0xfffe
	s_or_b32 exec_lo, exec_lo, s6
	v_cmp_lt_u64_e64 s0, s[2:3], v[9:10]
	v_mov_b32_e32 v9, 0
	s_and_saveexec_b32 s6, s0
	s_cbranch_execz .LBB275_745
; %bb.738:                              ;   in Loop: Header=BB275_417 Depth=1
	v_lshrrev_b32_e32 v1, 24, v10
	v_bfrev_b32_e32 v9, 1
	s_mov_b32 s7, exec_lo
	s_delay_alu instid0(VALU_DEP_2)
	v_cmpx_ne_u32_e32 0x80, v1
	s_cbranch_execz .LBB275_744
; %bb.739:                              ;   in Loop: Header=BB275_417 Depth=1
	v_and_b32_e32 v52, 0x7f, v1
	v_mov_b32_e32 v9, 0x7c010000
	s_mov_b32 s13, exec_lo
	s_delay_alu instid0(VALU_DEP_2)
	v_cmpx_ne_u32_e32 0x7f, v52
	s_cbranch_execz .LBB275_743
; %bb.740:                              ;   in Loop: Header=BB275_417 Depth=1
	v_and_b32_e32 v9, 7, v1
	v_lshrrev_b32_e32 v10, 3, v52
	s_mov_b32 s14, exec_lo
	v_cmpx_gt_u32_e32 8, v52
; %bb.741:                              ;   in Loop: Header=BB275_417 Depth=1
	s_delay_alu instid0(VALU_DEP_3) | instskip(NEXT) | instid1(VALU_DEP_1)
	v_clz_i32_u32_e32 v9, v9
	v_min_u32_e32 v52, 32, v9
	s_delay_alu instid0(VALU_DEP_1) | instskip(NEXT) | instid1(VALU_DEP_1)
	v_subrev_nc_u32_e32 v9, 28, v52
	v_lshlrev_b64_e32 v[9:10], v9, v[1:2]
	v_sub_nc_u32_e32 v10, 29, v52
	s_delay_alu instid0(VALU_DEP_2)
	v_and_b32_e32 v9, 7, v9
; %bb.742:                              ;   in Loop: Header=BB275_417 Depth=1
	s_wait_alu 0xfffe
	s_or_b32 exec_lo, exec_lo, s14
	v_lshlrev_b32_e32 v1, 8, v1
	v_lshl_add_u32 v10, v10, 10, 0x2000
	v_lshlrev_b32_e32 v9, 23, v9
	s_delay_alu instid0(VALU_DEP_2) | instskip(NEXT) | instid1(VALU_DEP_1)
	v_and_or_b32 v1, 0x8000, v1, v10
	v_lshl_or_b32 v9, v1, 16, v9
.LBB275_743:                            ;   in Loop: Header=BB275_417 Depth=1
	s_or_b32 exec_lo, exec_lo, s13
.LBB275_744:                            ;   in Loop: Header=BB275_417 Depth=1
	s_wait_alu 0xfffe
	s_or_b32 exec_lo, exec_lo, s7
.LBB275_745:                            ;   in Loop: Header=BB275_417 Depth=1
	s_wait_alu 0xfffe
	s_or_b32 exec_lo, exec_lo, s6
	v_or_b32_e32 v1, v47, v48
	s_wait_loadcnt 0x0
	v_fma_mixlo_f16 v10, v44, v47, 0 op_sel:[0,1,0] op_sel_hi:[0,1,0]
	v_or_b32_e32 v47, v45, v46
	v_fma_mixlo_f16 v45, v44, v45, 0 op_sel:[0,1,0] op_sel_hi:[0,1,0]
	v_or_b32_e32 v48, v51, v50
	v_or_b32_e32 v49, v9, v49
	v_fma_mixlo_f16 v50, v44, v1, 0 op_sel_hi:[0,1,0]
	v_fma_mixlo_f16 v9, v44, v9, 0 op_sel:[0,1,0] op_sel_hi:[0,1,0]
	v_lshlrev_b32_e32 v46, 16, v45
	v_fma_mixlo_f16 v45, v44, v47, 0 op_sel_hi:[0,1,0]
	v_fma_mixlo_f16 v47, v44, v51, 0 op_sel:[0,1,0] op_sel_hi:[0,1,0]
	v_fma_mixlo_f16 v48, v44, v48, 0 op_sel_hi:[0,1,0]
	v_fma_mixlo_f16 v49, v44, v49, 0 op_sel_hi:[0,1,0]
	v_lshlrev_b32_e32 v1, 16, v10
	v_and_b32_e32 v10, 0xffff, v50
	v_and_b32_e32 v52, 0xffff, v45
	v_lshlrev_b32_e32 v44, 16, v47
	v_and_b32_e32 v48, 0xffff, v48
	v_lshlrev_b32_e32 v9, 16, v9
	v_and_b32_e32 v45, 0xffff, v49
	v_or_b32_e32 v47, v1, v10
	v_or_b32_e32 v51, v46, v52
	v_or_b32_e32 v50, v44, v48
	s_delay_alu instid0(VALU_DEP_4)
	v_or_b32_e32 v49, v9, v45
	s_and_saveexec_b32 s6, vcc_lo
	s_cbranch_execz .LBB275_747
; %bb.746:                              ;   in Loop: Header=BB275_417 Depth=1
	v_cmp_gt_i32_e64 s0, s27, v15
	s_wait_alu 0xf1ff
	s_delay_alu instid0(VALU_DEP_1) | instskip(SKIP_2) | instid1(VALU_DEP_1)
	v_cndmask_b32_e64 v47, 0, v52, s0
	v_cmp_gt_i32_e64 s0, s27, v31
	s_wait_alu 0xf1ff
	v_cndmask_b32_e64 v46, 0, v46, s0
	v_cmp_gt_i32_e64 s0, s27, v30
	s_delay_alu instid0(VALU_DEP_2) | instskip(SKIP_1) | instid1(VALU_DEP_2)
	v_or_b32_e32 v51, v46, v47
	s_wait_alu 0xf1ff
	v_cndmask_b32_e64 v10, 0, v10, s0
	v_cmp_gt_i32_e64 s0, s27, v29
	s_wait_alu 0xf1ff
	s_delay_alu instid0(VALU_DEP_1) | instskip(SKIP_1) | instid1(VALU_DEP_2)
	v_cndmask_b32_e64 v1, 0, v1, s0
	v_cmp_gt_i32_e64 s0, s27, v28
	v_or_b32_e32 v47, v1, v10
	s_wait_alu 0xf1ff
	s_delay_alu instid0(VALU_DEP_2) | instskip(SKIP_2) | instid1(VALU_DEP_1)
	v_cndmask_b32_e64 v48, 0, v48, s0
	v_cmp_gt_i32_e64 s0, s27, v27
	s_wait_alu 0xf1ff
	v_cndmask_b32_e64 v44, 0, v44, s0
	v_cmp_gt_i32_e64 s0, s27, v26
	s_delay_alu instid0(VALU_DEP_2) | instskip(SKIP_1) | instid1(VALU_DEP_2)
	v_or_b32_e32 v50, v44, v48
	s_wait_alu 0xf1ff
	v_cndmask_b32_e64 v45, 0, v45, s0
	v_cmp_gt_i32_e64 s0, s27, v24
	s_wait_alu 0xf1ff
	s_delay_alu instid0(VALU_DEP_1) | instskip(NEXT) | instid1(VALU_DEP_1)
	v_cndmask_b32_e64 v9, 0, v9, s0
	v_or_b32_e32 v49, v9, v45
.LBB275_747:                            ;   in Loop: Header=BB275_417 Depth=1
	s_wait_alu 0xfffe
	s_or_b32 exec_lo, exec_lo, s6
	;;#ASMSTART
	v_pk_mul_f16 v1, v37, v51;

	;;#ASMEND
	;;#ASMSTART
	v_pk_mul_f16 v9, v35, v47;

	;;#ASMEND
	;; [unrolled: 4-line block ×4, first 2 shown]
	;;#ASMSTART
	v_pk_add_f16 v1, v1, v9;

	;;#ASMEND
	;;#ASMSTART
	v_pk_add_f16 v1, v1, v10;

	;;#ASMEND
	;; [unrolled: 4-line block ×3, first 2 shown]
	v_dual_mov_b32 v46, 0 :: v_dual_and_b32 v9, 0xffff, v1
	v_lshrrev_b32_e32 v1, 16, v1
	;;#ASMSTART
	v_cvt_f32_f16 v9, v9;
	;;#ASMEND
	;;#ASMSTART
	v_cvt_f32_f16 v10, v1;
	;;#ASMEND
	global_load_b64 v[7:8], v[7:8], off offset:1280
	v_mov_b32_e32 v45, 0
	s_mov_b32 s6, exec_lo
	global_load_b32 v44, v45, s[10:11]
	s_wait_loadcnt 0x1
	v_and_b32_e32 v1, 0xff, v7
	s_delay_alu instid0(VALU_DEP_1)
	v_cmpx_ne_u16_e32 0, v1
	s_cbranch_execz .LBB275_755
; %bb.748:                              ;   in Loop: Header=BB275_417 Depth=1
	v_mov_b32_e32 v46, 0x8000
	s_mov_b32 s7, exec_lo
	v_cmpx_ne_u16_e32 0x80, v1
	s_cbranch_execz .LBB275_754
; %bb.749:                              ;   in Loop: Header=BB275_417 Depth=1
	v_and_b32_e32 v47, 0x7f, v7
	v_mov_b32_e32 v46, 0x7c01
	s_mov_b32 s13, exec_lo
	s_delay_alu instid0(VALU_DEP_2)
	v_cmpx_ne_u32_e32 0x7f, v47
	s_cbranch_execz .LBB275_753
; %bb.750:                              ;   in Loop: Header=BB275_417 Depth=1
	v_and_b32_e32 v1, 7, v7
	v_lshrrev_b32_e32 v46, 3, v47
	s_mov_b32 s14, exec_lo
	v_cmpx_gt_u32_e32 8, v47
; %bb.751:                              ;   in Loop: Header=BB275_417 Depth=1
	s_delay_alu instid0(VALU_DEP_3) | instskip(NEXT) | instid1(VALU_DEP_1)
	v_clz_i32_u32_e32 v1, v1
	v_min_u32_e32 v1, 32, v1
	s_delay_alu instid0(VALU_DEP_1) | instskip(NEXT) | instid1(VALU_DEP_1)
	v_subrev_nc_u32_e32 v46, 28, v1
	v_lshlrev_b64_e32 v[47:48], v46, v[7:8]
	v_sub_nc_u32_e32 v46, 29, v1
	s_delay_alu instid0(VALU_DEP_2)
	v_and_b32_e32 v1, 7, v47
; %bb.752:                              ;   in Loop: Header=BB275_417 Depth=1
	s_wait_alu 0xfffe
	s_or_b32 exec_lo, exec_lo, s14
	v_lshlrev_b32_e32 v47, 8, v7
	v_lshl_add_u32 v46, v46, 10, 0x2000
	v_lshlrev_b32_e32 v1, 7, v1
	s_delay_alu instid0(VALU_DEP_3) | instskip(NEXT) | instid1(VALU_DEP_3)
	v_and_b32_e32 v47, 0x8000, v47
	v_and_b32_e32 v46, 0xfc00, v46
	s_delay_alu instid0(VALU_DEP_1)
	v_or3_b32 v46, v47, v46, v1
.LBB275_753:                            ;   in Loop: Header=BB275_417 Depth=1
	s_or_b32 exec_lo, exec_lo, s13
.LBB275_754:                            ;   in Loop: Header=BB275_417 Depth=1
	s_wait_alu 0xfffe
	s_or_b32 exec_lo, exec_lo, s7
.LBB275_755:                            ;   in Loop: Header=BB275_417 Depth=1
	s_wait_alu 0xfffe
	s_or_b32 exec_lo, exec_lo, s6
	v_lshrrev_b16 v1, 8, v7
	s_mov_b32 s6, exec_lo
	s_delay_alu instid0(VALU_DEP_1)
	v_cmpx_ne_u16_e32 0, v1
	s_cbranch_execz .LBB275_763
; %bb.756:                              ;   in Loop: Header=BB275_417 Depth=1
	v_bfrev_b32_e32 v45, 1
	s_mov_b32 s7, exec_lo
	v_cmpx_ne_u16_e32 0x80, v1
	s_cbranch_execz .LBB275_762
; %bb.757:                              ;   in Loop: Header=BB275_417 Depth=1
	v_and_b32_e32 v47, 0xffff, v1
	v_mov_b32_e32 v45, 0x7c010000
	s_mov_b32 s13, exec_lo
	s_delay_alu instid0(VALU_DEP_2) | instskip(NEXT) | instid1(VALU_DEP_1)
	v_and_b32_e32 v49, 0x7f, v47
	v_cmpx_ne_u32_e32 0x7f, v49
	s_cbranch_execz .LBB275_761
; %bb.758:                              ;   in Loop: Header=BB275_417 Depth=1
	v_and_b32_e32 v45, 7, v47
	v_lshrrev_b32_e32 v48, 3, v49
	s_mov_b32 s14, exec_lo
	v_cmpx_gt_u32_e32 8, v49
; %bb.759:                              ;   in Loop: Header=BB275_417 Depth=1
	s_delay_alu instid0(VALU_DEP_3) | instskip(NEXT) | instid1(VALU_DEP_1)
	v_clz_i32_u32_e32 v45, v45
	v_min_u32_e32 v45, 32, v45
	s_delay_alu instid0(VALU_DEP_1) | instskip(NEXT) | instid1(VALU_DEP_1)
	v_subrev_nc_u32_e32 v48, 28, v45
	v_lshlrev_b64_e32 v[49:50], v48, v[1:2]
	v_sub_nc_u32_e32 v48, 29, v45
	s_delay_alu instid0(VALU_DEP_2)
	v_and_b32_e32 v45, 7, v49
; %bb.760:                              ;   in Loop: Header=BB275_417 Depth=1
	s_wait_alu 0xfffe
	s_or_b32 exec_lo, exec_lo, s14
	v_lshlrev_b32_e32 v1, 8, v47
	v_lshl_add_u32 v47, v48, 10, 0x2000
	v_lshlrev_b32_e32 v45, 23, v45
	s_delay_alu instid0(VALU_DEP_2) | instskip(NEXT) | instid1(VALU_DEP_1)
	v_and_or_b32 v1, 0x8000, v1, v47
	v_lshl_or_b32 v45, v1, 16, v45
.LBB275_761:                            ;   in Loop: Header=BB275_417 Depth=1
	s_or_b32 exec_lo, exec_lo, s13
.LBB275_762:                            ;   in Loop: Header=BB275_417 Depth=1
	s_wait_alu 0xfffe
	s_or_b32 exec_lo, exec_lo, s7
.LBB275_763:                            ;   in Loop: Header=BB275_417 Depth=1
	s_wait_alu 0xfffe
	s_or_b32 exec_lo, exec_lo, s6
	v_lshrrev_b32_e32 v1, 16, v7
	v_mov_b32_e32 v47, 0
	s_mov_b32 s6, exec_lo
	s_delay_alu instid0(VALU_DEP_2) | instskip(NEXT) | instid1(VALU_DEP_1)
	v_dual_mov_b32 v48, 0 :: v_dual_and_b32 v49, 0xff, v1
	v_cmpx_ne_u16_e32 0, v49
	s_cbranch_execz .LBB275_771
; %bb.764:                              ;   in Loop: Header=BB275_417 Depth=1
	v_mov_b32_e32 v48, 0x8000
	s_mov_b32 s7, exec_lo
	v_cmpx_ne_u16_e32 0x80, v49
	s_cbranch_execz .LBB275_770
; %bb.765:                              ;   in Loop: Header=BB275_417 Depth=1
	v_bfe_u32 v50, v7, 16, 7
	v_mov_b32_e32 v48, 0x7c01
	s_mov_b32 s13, exec_lo
	s_delay_alu instid0(VALU_DEP_2)
	v_cmpx_ne_u32_e32 0x7f, v50
	s_cbranch_execz .LBB275_769
; %bb.766:                              ;   in Loop: Header=BB275_417 Depth=1
	v_and_b32_e32 v48, 7, v1
	v_lshrrev_b32_e32 v49, 3, v50
	s_mov_b32 s14, exec_lo
	v_cmpx_gt_u32_e32 8, v50
; %bb.767:                              ;   in Loop: Header=BB275_417 Depth=1
	s_delay_alu instid0(VALU_DEP_3) | instskip(NEXT) | instid1(VALU_DEP_1)
	v_clz_i32_u32_e32 v48, v48
	v_min_u32_e32 v50, 32, v48
	s_delay_alu instid0(VALU_DEP_1) | instskip(NEXT) | instid1(VALU_DEP_1)
	v_subrev_nc_u32_e32 v48, 28, v50
	v_lshlrev_b64_e32 v[48:49], v48, v[1:2]
	v_sub_nc_u32_e32 v49, 29, v50
	s_delay_alu instid0(VALU_DEP_2)
	v_and_b32_e32 v48, 7, v48
; %bb.768:                              ;   in Loop: Header=BB275_417 Depth=1
	s_wait_alu 0xfffe
	s_or_b32 exec_lo, exec_lo, s14
	v_lshlrev_b32_e32 v1, 8, v1
	v_lshl_add_u32 v49, v49, 10, 0x2000
	v_lshlrev_b32_e32 v48, 7, v48
	s_delay_alu instid0(VALU_DEP_3) | instskip(NEXT) | instid1(VALU_DEP_3)
	v_and_b32_e32 v1, 0x8000, v1
	v_and_b32_e32 v49, 0xfc00, v49
	s_delay_alu instid0(VALU_DEP_1)
	v_or3_b32 v48, v1, v49, v48
.LBB275_769:                            ;   in Loop: Header=BB275_417 Depth=1
	s_or_b32 exec_lo, exec_lo, s13
.LBB275_770:                            ;   in Loop: Header=BB275_417 Depth=1
	s_wait_alu 0xfffe
	s_or_b32 exec_lo, exec_lo, s7
.LBB275_771:                            ;   in Loop: Header=BB275_417 Depth=1
	s_wait_alu 0xfffe
	s_or_b32 exec_lo, exec_lo, s6
	s_delay_alu instid0(SALU_CYCLE_1)
	s_mov_b32 s6, exec_lo
	v_cmpx_lt_u32_e32 0xffffff, v7
	s_cbranch_execz .LBB275_779
; %bb.772:                              ;   in Loop: Header=BB275_417 Depth=1
	v_lshrrev_b32_e32 v1, 24, v7
	v_bfrev_b32_e32 v47, 1
	s_mov_b32 s7, exec_lo
	s_delay_alu instid0(VALU_DEP_2)
	v_cmpx_ne_u32_e32 0x80, v1
	s_cbranch_execz .LBB275_778
; %bb.773:                              ;   in Loop: Header=BB275_417 Depth=1
	v_and_b32_e32 v50, 0x7f, v1
	v_mov_b32_e32 v47, 0x7c010000
	s_mov_b32 s13, exec_lo
	s_delay_alu instid0(VALU_DEP_2)
	v_cmpx_ne_u32_e32 0x7f, v50
	s_cbranch_execz .LBB275_777
; %bb.774:                              ;   in Loop: Header=BB275_417 Depth=1
	v_and_b32_e32 v47, 7, v1
	v_lshrrev_b32_e32 v49, 3, v50
	s_mov_b32 s14, exec_lo
	v_cmpx_gt_u32_e32 8, v50
; %bb.775:                              ;   in Loop: Header=BB275_417 Depth=1
	s_delay_alu instid0(VALU_DEP_3) | instskip(NEXT) | instid1(VALU_DEP_1)
	v_clz_i32_u32_e32 v47, v47
	v_min_u32_e32 v47, 32, v47
	s_delay_alu instid0(VALU_DEP_1) | instskip(NEXT) | instid1(VALU_DEP_1)
	v_subrev_nc_u32_e32 v49, 28, v47
	v_lshlrev_b64_e32 v[50:51], v49, v[1:2]
	v_sub_nc_u32_e32 v49, 29, v47
	s_delay_alu instid0(VALU_DEP_2)
	v_and_b32_e32 v47, 7, v50
; %bb.776:                              ;   in Loop: Header=BB275_417 Depth=1
	s_wait_alu 0xfffe
	s_or_b32 exec_lo, exec_lo, s14
	v_lshlrev_b32_e32 v1, 8, v1
	v_lshl_add_u32 v49, v49, 10, 0x2000
	v_lshlrev_b32_e32 v47, 23, v47
	s_delay_alu instid0(VALU_DEP_2) | instskip(NEXT) | instid1(VALU_DEP_1)
	v_and_or_b32 v1, 0x8000, v1, v49
	v_lshl_or_b32 v47, v1, 16, v47
.LBB275_777:                            ;   in Loop: Header=BB275_417 Depth=1
	s_or_b32 exec_lo, exec_lo, s13
.LBB275_778:                            ;   in Loop: Header=BB275_417 Depth=1
	s_wait_alu 0xfffe
	s_or_b32 exec_lo, exec_lo, s7
.LBB275_779:                            ;   in Loop: Header=BB275_417 Depth=1
	s_wait_alu 0xfffe
	s_or_b32 exec_lo, exec_lo, s6
	v_dual_mov_b32 v50, 0 :: v_dual_and_b32 v51, 0xff, v8
	v_mov_b32_e32 v1, v8
	v_mov_b32_e32 v49, 0
	s_mov_b32 s6, exec_lo
	s_delay_alu instid0(VALU_DEP_3)
	v_cmpx_ne_u16_e32 0, v51
	s_cbranch_execz .LBB275_787
; %bb.780:                              ;   in Loop: Header=BB275_417 Depth=1
	v_mov_b32_e32 v50, 0x8000
	s_mov_b32 s7, exec_lo
	v_cmpx_ne_u16_e32 0x80, v51
	s_cbranch_execz .LBB275_786
; %bb.781:                              ;   in Loop: Header=BB275_417 Depth=1
	v_and_b32_e32 v52, 0x7f, v8
	v_mov_b32_e32 v50, 0x7c01
	s_mov_b32 s13, exec_lo
	s_delay_alu instid0(VALU_DEP_2)
	v_cmpx_ne_u32_e32 0x7f, v52
	s_cbranch_execz .LBB275_785
; %bb.782:                              ;   in Loop: Header=BB275_417 Depth=1
	v_and_b32_e32 v50, 7, v8
	v_lshrrev_b32_e32 v51, 3, v52
	s_mov_b32 s14, exec_lo
	v_cmpx_gt_u32_e32 8, v52
; %bb.783:                              ;   in Loop: Header=BB275_417 Depth=1
	s_delay_alu instid0(VALU_DEP_3) | instskip(NEXT) | instid1(VALU_DEP_1)
	v_clz_i32_u32_e32 v50, v50
	v_min_u32_e32 v52, 32, v50
	s_delay_alu instid0(VALU_DEP_1) | instskip(NEXT) | instid1(VALU_DEP_1)
	v_subrev_nc_u32_e32 v50, 28, v52
	v_lshlrev_b64_e32 v[50:51], v50, v[1:2]
	v_sub_nc_u32_e32 v51, 29, v52
	s_delay_alu instid0(VALU_DEP_2)
	v_and_b32_e32 v50, 7, v50
; %bb.784:                              ;   in Loop: Header=BB275_417 Depth=1
	s_wait_alu 0xfffe
	s_or_b32 exec_lo, exec_lo, s14
	v_lshlrev_b32_e32 v52, 8, v8
	v_lshl_add_u32 v51, v51, 10, 0x2000
	v_lshlrev_b32_e32 v50, 7, v50
	s_delay_alu instid0(VALU_DEP_3) | instskip(NEXT) | instid1(VALU_DEP_3)
	v_and_b32_e32 v52, 0x8000, v52
	v_and_b32_e32 v51, 0xfc00, v51
	s_delay_alu instid0(VALU_DEP_1)
	v_or3_b32 v50, v52, v51, v50
.LBB275_785:                            ;   in Loop: Header=BB275_417 Depth=1
	s_or_b32 exec_lo, exec_lo, s13
.LBB275_786:                            ;   in Loop: Header=BB275_417 Depth=1
	s_wait_alu 0xfffe
	s_or_b32 exec_lo, exec_lo, s7
.LBB275_787:                            ;   in Loop: Header=BB275_417 Depth=1
	s_wait_alu 0xfffe
	s_or_b32 exec_lo, exec_lo, s6
	v_lshrrev_b16 v1, 8, v1
	v_mov_b32_e32 v51, 0
	s_mov_b32 s6, exec_lo
	s_delay_alu instid0(VALU_DEP_2)
	v_cmpx_ne_u16_e32 0, v1
	s_cbranch_execz .LBB275_795
; %bb.788:                              ;   in Loop: Header=BB275_417 Depth=1
	v_bfrev_b32_e32 v51, 1
	s_mov_b32 s7, exec_lo
	v_cmpx_ne_u16_e32 0x80, v1
	s_cbranch_execz .LBB275_794
; %bb.789:                              ;   in Loop: Header=BB275_417 Depth=1
	v_and_b32_e32 v52, 0xffff, v1
	v_mov_b32_e32 v51, 0x7c010000
	s_mov_b32 s13, exec_lo
	s_delay_alu instid0(VALU_DEP_2) | instskip(NEXT) | instid1(VALU_DEP_1)
	v_and_b32_e32 v54, 0x7f, v52
	v_cmpx_ne_u32_e32 0x7f, v54
	s_cbranch_execz .LBB275_793
; %bb.790:                              ;   in Loop: Header=BB275_417 Depth=1
	v_and_b32_e32 v51, 7, v52
	v_lshrrev_b32_e32 v53, 3, v54
	s_mov_b32 s14, exec_lo
	v_cmpx_gt_u32_e32 8, v54
; %bb.791:                              ;   in Loop: Header=BB275_417 Depth=1
	s_delay_alu instid0(VALU_DEP_3) | instskip(NEXT) | instid1(VALU_DEP_1)
	v_clz_i32_u32_e32 v51, v51
	v_min_u32_e32 v51, 32, v51
	s_delay_alu instid0(VALU_DEP_1) | instskip(NEXT) | instid1(VALU_DEP_1)
	v_subrev_nc_u32_e32 v53, 28, v51
	v_lshlrev_b64_e32 v[54:55], v53, v[1:2]
	v_sub_nc_u32_e32 v53, 29, v51
	s_delay_alu instid0(VALU_DEP_2)
	v_and_b32_e32 v51, 7, v54
; %bb.792:                              ;   in Loop: Header=BB275_417 Depth=1
	s_wait_alu 0xfffe
	s_or_b32 exec_lo, exec_lo, s14
	v_lshlrev_b32_e32 v1, 8, v52
	v_lshl_add_u32 v52, v53, 10, 0x2000
	v_lshlrev_b32_e32 v51, 23, v51
	s_delay_alu instid0(VALU_DEP_2) | instskip(NEXT) | instid1(VALU_DEP_1)
	v_and_or_b32 v1, 0x8000, v1, v52
	v_lshl_or_b32 v51, v1, 16, v51
.LBB275_793:                            ;   in Loop: Header=BB275_417 Depth=1
	s_or_b32 exec_lo, exec_lo, s13
.LBB275_794:                            ;   in Loop: Header=BB275_417 Depth=1
	s_wait_alu 0xfffe
	s_or_b32 exec_lo, exec_lo, s7
.LBB275_795:                            ;   in Loop: Header=BB275_417 Depth=1
	s_wait_alu 0xfffe
	s_or_b32 exec_lo, exec_lo, s6
	v_lshrrev_b32_e32 v1, 16, v8
	s_mov_b32 s6, exec_lo
	s_delay_alu instid0(VALU_DEP_1) | instskip(NEXT) | instid1(VALU_DEP_1)
	v_and_b32_e32 v52, 0xff, v1
	v_cmpx_ne_u16_e32 0, v52
	s_cbranch_execz .LBB275_803
; %bb.796:                              ;   in Loop: Header=BB275_417 Depth=1
	v_mov_b32_e32 v49, 0x8000
	s_mov_b32 s7, exec_lo
	v_cmpx_ne_u16_e32 0x80, v52
	s_cbranch_execz .LBB275_802
; %bb.797:                              ;   in Loop: Header=BB275_417 Depth=1
	v_bfe_u32 v53, v8, 16, 7
	v_mov_b32_e32 v49, 0x7c01
	s_mov_b32 s13, exec_lo
	s_delay_alu instid0(VALU_DEP_2)
	v_cmpx_ne_u32_e32 0x7f, v53
	s_cbranch_execz .LBB275_801
; %bb.798:                              ;   in Loop: Header=BB275_417 Depth=1
	v_and_b32_e32 v49, 7, v1
	v_lshrrev_b32_e32 v52, 3, v53
	s_mov_b32 s14, exec_lo
	v_cmpx_gt_u32_e32 8, v53
; %bb.799:                              ;   in Loop: Header=BB275_417 Depth=1
	s_delay_alu instid0(VALU_DEP_3) | instskip(NEXT) | instid1(VALU_DEP_1)
	v_clz_i32_u32_e32 v49, v49
	v_min_u32_e32 v49, 32, v49
	s_delay_alu instid0(VALU_DEP_1) | instskip(NEXT) | instid1(VALU_DEP_1)
	v_subrev_nc_u32_e32 v52, 28, v49
	v_lshlrev_b64_e32 v[53:54], v52, v[1:2]
	v_sub_nc_u32_e32 v52, 29, v49
	s_delay_alu instid0(VALU_DEP_2)
	v_and_b32_e32 v49, 7, v53
; %bb.800:                              ;   in Loop: Header=BB275_417 Depth=1
	s_wait_alu 0xfffe
	s_or_b32 exec_lo, exec_lo, s14
	v_lshlrev_b32_e32 v1, 8, v1
	v_lshl_add_u32 v52, v52, 10, 0x2000
	v_lshlrev_b32_e32 v49, 7, v49
	s_delay_alu instid0(VALU_DEP_3) | instskip(NEXT) | instid1(VALU_DEP_3)
	v_and_b32_e32 v1, 0x8000, v1
	v_and_b32_e32 v52, 0xfc00, v52
	s_delay_alu instid0(VALU_DEP_1)
	v_or3_b32 v49, v1, v52, v49
.LBB275_801:                            ;   in Loop: Header=BB275_417 Depth=1
	s_or_b32 exec_lo, exec_lo, s13
.LBB275_802:                            ;   in Loop: Header=BB275_417 Depth=1
	s_wait_alu 0xfffe
	s_or_b32 exec_lo, exec_lo, s7
.LBB275_803:                            ;   in Loop: Header=BB275_417 Depth=1
	s_wait_alu 0xfffe
	s_or_b32 exec_lo, exec_lo, s6
	v_cmp_lt_u64_e64 s0, s[2:3], v[7:8]
	v_mov_b32_e32 v7, 0
	s_and_saveexec_b32 s6, s0
	s_cbranch_execz .LBB275_811
; %bb.804:                              ;   in Loop: Header=BB275_417 Depth=1
	v_lshrrev_b32_e32 v1, 24, v8
	v_bfrev_b32_e32 v7, 1
	s_mov_b32 s7, exec_lo
	s_delay_alu instid0(VALU_DEP_2)
	v_cmpx_ne_u32_e32 0x80, v1
	s_cbranch_execz .LBB275_810
; %bb.805:                              ;   in Loop: Header=BB275_417 Depth=1
	v_and_b32_e32 v52, 0x7f, v1
	v_mov_b32_e32 v7, 0x7c010000
	s_mov_b32 s13, exec_lo
	s_delay_alu instid0(VALU_DEP_2)
	v_cmpx_ne_u32_e32 0x7f, v52
	s_cbranch_execz .LBB275_809
; %bb.806:                              ;   in Loop: Header=BB275_417 Depth=1
	v_and_b32_e32 v7, 7, v1
	v_lshrrev_b32_e32 v8, 3, v52
	s_mov_b32 s14, exec_lo
	v_cmpx_gt_u32_e32 8, v52
; %bb.807:                              ;   in Loop: Header=BB275_417 Depth=1
	s_delay_alu instid0(VALU_DEP_3) | instskip(NEXT) | instid1(VALU_DEP_1)
	v_clz_i32_u32_e32 v7, v7
	v_min_u32_e32 v52, 32, v7
	s_delay_alu instid0(VALU_DEP_1) | instskip(NEXT) | instid1(VALU_DEP_1)
	v_subrev_nc_u32_e32 v7, 28, v52
	v_lshlrev_b64_e32 v[7:8], v7, v[1:2]
	v_sub_nc_u32_e32 v8, 29, v52
	s_delay_alu instid0(VALU_DEP_2)
	v_and_b32_e32 v7, 7, v7
; %bb.808:                              ;   in Loop: Header=BB275_417 Depth=1
	s_wait_alu 0xfffe
	s_or_b32 exec_lo, exec_lo, s14
	v_lshlrev_b32_e32 v1, 8, v1
	v_lshl_add_u32 v8, v8, 10, 0x2000
	v_lshlrev_b32_e32 v7, 23, v7
	s_delay_alu instid0(VALU_DEP_2) | instskip(NEXT) | instid1(VALU_DEP_1)
	v_and_or_b32 v1, 0x8000, v1, v8
	v_lshl_or_b32 v7, v1, 16, v7
.LBB275_809:                            ;   in Loop: Header=BB275_417 Depth=1
	s_or_b32 exec_lo, exec_lo, s13
.LBB275_810:                            ;   in Loop: Header=BB275_417 Depth=1
	s_wait_alu 0xfffe
	s_or_b32 exec_lo, exec_lo, s7
.LBB275_811:                            ;   in Loop: Header=BB275_417 Depth=1
	s_wait_alu 0xfffe
	s_or_b32 exec_lo, exec_lo, s6
	v_or_b32_e32 v1, v47, v48
	s_wait_loadcnt 0x0
	v_fma_mixlo_f16 v8, v44, v47, 0 op_sel:[0,1,0] op_sel_hi:[0,1,0]
	v_or_b32_e32 v46, v45, v46
	v_fma_mixlo_f16 v47, v44, v45, 0 op_sel:[0,1,0] op_sel_hi:[0,1,0]
	v_or_b32_e32 v48, v51, v50
	v_fma_mixlo_f16 v1, v44, v1, 0 op_sel_hi:[0,1,0]
	v_or_b32_e32 v49, v7, v49
	v_lshlrev_b32_e32 v45, 16, v8
	v_lshlrev_b32_e32 v50, 16, v47
	v_fma_mixlo_f16 v8, v44, v46, 0 op_sel_hi:[0,1,0]
	v_and_b32_e32 v47, 0xffff, v1
	v_fma_mixlo_f16 v1, v44, v51, 0 op_sel:[0,1,0] op_sel_hi:[0,1,0]
	v_fma_mixlo_f16 v46, v44, v48, 0 op_sel_hi:[0,1,0]
	v_fma_mixlo_f16 v7, v44, v7, 0 op_sel:[0,1,0] op_sel_hi:[0,1,0]
	v_fma_mixlo_f16 v44, v44, v49, 0 op_sel_hi:[0,1,0]
	v_and_b32_e32 v52, 0xffff, v8
	v_lshlrev_b32_e32 v48, 16, v1
	v_and_b32_e32 v51, 0xffff, v46
	v_lshlrev_b32_e32 v46, 16, v7
	v_and_b32_e32 v49, 0xffff, v44
	v_or_b32_e32 v8, v45, v47
	v_or_b32_e32 v44, v50, v52
	;; [unrolled: 1-line block ×3, first 2 shown]
	s_delay_alu instid0(VALU_DEP_4)
	v_or_b32_e32 v1, v46, v49
	s_and_saveexec_b32 s0, vcc_lo
	s_cbranch_execz .LBB275_416
; %bb.812:                              ;   in Loop: Header=BB275_417 Depth=1
	v_cmp_gt_i32_e32 vcc_lo, s27, v15
	s_wait_alu 0xfffd
	v_cndmask_b32_e32 v1, 0, v52, vcc_lo
	v_cmp_gt_i32_e32 vcc_lo, s27, v31
	s_wait_alu 0xfffd
	v_cndmask_b32_e32 v7, 0, v50, vcc_lo
	;; [unrolled: 3-line block ×4, first 2 shown]
	v_cmp_gt_i32_e32 vcc_lo, s27, v28
	s_delay_alu instid0(VALU_DEP_2)
	v_or_b32_e32 v8, v15, v8
	s_wait_alu 0xfffd
	v_cndmask_b32_e32 v28, 0, v51, vcc_lo
	v_cmp_gt_i32_e32 vcc_lo, s27, v27
	v_or_b32_e32 v44, v7, v1
	s_wait_alu 0xfffd
	v_cndmask_b32_e32 v27, 0, v48, vcc_lo
	v_cmp_gt_i32_e32 vcc_lo, s27, v26
	s_wait_alu 0xfffd
	v_cndmask_b32_e32 v26, 0, v49, vcc_lo
	v_cmp_gt_i32_e32 vcc_lo, s27, v24
	v_or_b32_e32 v7, v27, v28
	s_wait_alu 0xfffd
	v_cndmask_b32_e32 v29, 0, v46, vcc_lo
	s_delay_alu instid0(VALU_DEP_1)
	v_or_b32_e32 v1, v29, v26
	s_branch .LBB275_416
.LBB275_813:
	s_or_b32 exec_lo, exec_lo, s5
.LBB275_814:
	s_wait_alu 0xfffe
	s_or_b32 exec_lo, exec_lo, s1
	ds_bpermute_b32 v1, v18, v22
	ds_bpermute_b32 v2, v18, v23
	;; [unrolled: 1-line block ×6, first 2 shown]
	v_lshrrev_b32_e32 v7, 1, v17
	v_mul_u32_u24_e32 v9, 0x180, v13
	v_and_b32_e32 v13, 0x3c1, v0
	s_mov_b32 s0, exec_lo
	s_wait_storecnt 0x0
	s_wait_loadcnt_dscnt 0x0
	v_lshl_add_u32 v8, v7, 2, 0xe0
	s_barrier_signal -1
	s_barrier_wait -1
	global_inv scope:SCOPE_SE
	v_dual_add_f32 v6, v22, v1 :: v_dual_add_f32 v5, v23, v2
	v_dual_add_f32 v4, v21, v3 :: v_dual_add_f32 v3, v20, v10
	;; [unrolled: 1-line block ×3, first 2 shown]
	v_cmpx_eq_u32_e32 64, v13
	s_cbranch_execz .LBB275_816
; %bb.815:
	v_add_nc_u32_e32 v10, v8, v9
	s_delay_alu instid0(VALU_DEP_1)
	v_add_nc_u32_e32 v13, 0xfffffd00, v10
	v_add_nc_u32_e32 v14, 0xfffffd40, v10
	;; [unrolled: 1-line block ×6, first 2 shown]
	ds_store_b32 v13, v6
	ds_store_b32 v14, v5
	;; [unrolled: 1-line block ×6, first 2 shown]
.LBB275_816:
	s_wait_alu 0xfffe
	s_or_b32 exec_lo, exec_lo, s0
	v_lshlrev_b32_e32 v7, 2, v7
	s_mov_b32 s1, exec_lo
	v_cmp_eq_u32_e32 vcc_lo, 0, v12
	s_wait_loadcnt_dscnt 0x0
	s_barrier_signal -1
	v_add3_u32 v7, 0xe0, v9, v7
	s_barrier_wait -1
	global_inv scope:SCOPE_SE
	v_cmpx_gt_u32_e32 64, v0
	s_cbranch_execz .LBB275_825
; %bb.817:
	s_and_saveexec_b32 s0, vcc_lo
	s_cbranch_execnz .LBB275_839
; %bb.818:
	s_wait_alu 0xfffe
	s_or_b32 exec_lo, exec_lo, s0
	s_and_saveexec_b32 s0, vcc_lo
	s_cbranch_execnz .LBB275_840
.LBB275_819:
	s_wait_alu 0xfffe
	s_or_b32 exec_lo, exec_lo, s0
	s_and_saveexec_b32 s0, vcc_lo
	s_cbranch_execnz .LBB275_841
.LBB275_820:
	s_wait_alu 0xfffe
	s_or_b32 exec_lo, exec_lo, s0
	s_and_saveexec_b32 s0, vcc_lo
	s_cbranch_execnz .LBB275_842
.LBB275_821:
	s_wait_alu 0xfffe
	s_or_b32 exec_lo, exec_lo, s0
	s_and_saveexec_b32 s0, vcc_lo
	s_cbranch_execnz .LBB275_843
.LBB275_822:
	s_wait_alu 0xfffe
	s_or_b32 exec_lo, exec_lo, s0
	s_and_saveexec_b32 s0, vcc_lo
	s_cbranch_execz .LBB275_824
.LBB275_823:
	ds_load_b32 v9, v7 offset:320
	s_wait_dscnt 0x0
	v_add_f32_e32 v1, v1, v9
.LBB275_824:
	s_wait_alu 0xfffe
	s_or_b32 exec_lo, exec_lo, s0
.LBB275_825:
	s_wait_alu 0xfffe
	s_or_b32 exec_lo, exec_lo, s1
	v_and_b32_e32 v9, 0x3e1, v0
	s_mov_b32 s1, exec_lo
	s_wait_loadcnt 0x0
	s_barrier_signal -1
	s_barrier_wait -1
	global_inv scope:SCOPE_SE
	v_cmpx_eq_u32_e32 32, v9
	s_cbranch_execz .LBB275_827
; %bb.826:
	ds_store_2addr_b32 v8, v6, v5 offset1:16
	ds_store_2addr_b32 v8, v4, v3 offset0:32 offset1:48
	ds_store_2addr_b32 v8, v2, v1 offset0:64 offset1:80
.LBB275_827:
	s_wait_alu 0xfffe
	s_or_b32 exec_lo, exec_lo, s1
	s_delay_alu instid0(SALU_CYCLE_1)
	s_mov_b32 s1, exec_lo
	s_wait_loadcnt_dscnt 0x0
	s_barrier_signal -1
	s_barrier_wait -1
	global_inv scope:SCOPE_SE
	v_cmpx_gt_u32_e32 32, v0
	s_cbranch_execz .LBB275_836
; %bb.828:
	s_and_saveexec_b32 s0, vcc_lo
	s_cbranch_execnz .LBB275_844
; %bb.829:
	s_wait_alu 0xfffe
	s_or_b32 exec_lo, exec_lo, s0
	s_and_saveexec_b32 s0, vcc_lo
	s_cbranch_execnz .LBB275_845
.LBB275_830:
	s_wait_alu 0xfffe
	s_or_b32 exec_lo, exec_lo, s0
	s_and_saveexec_b32 s0, vcc_lo
	s_cbranch_execnz .LBB275_846
.LBB275_831:
	s_wait_alu 0xfffe
	s_or_b32 exec_lo, exec_lo, s0
	s_and_saveexec_b32 s0, vcc_lo
	s_cbranch_execnz .LBB275_847
.LBB275_832:
	s_wait_alu 0xfffe
	s_or_b32 exec_lo, exec_lo, s0
	s_and_saveexec_b32 s0, vcc_lo
	s_cbranch_execnz .LBB275_848
.LBB275_833:
	s_wait_alu 0xfffe
	s_or_b32 exec_lo, exec_lo, s0
	s_and_saveexec_b32 s0, vcc_lo
	s_cbranch_execz .LBB275_835
.LBB275_834:
	ds_load_b32 v0, v7 offset:320
	s_wait_dscnt 0x0
	v_add_f32_e32 v1, v1, v0
.LBB275_835:
	s_wait_alu 0xfffe
	s_or_b32 exec_lo, exec_lo, s0
.LBB275_836:
	s_wait_alu 0xfffe
	s_or_b32 exec_lo, exec_lo, s1
	s_mov_b32 s1, 0
	s_wait_loadcnt 0x0
	s_barrier_signal -1
	s_barrier_wait -1
	global_inv scope:SCOPE_SE
	s_mov_b32 s0, exec_lo
	v_cmpx_eq_u32_e32 0, v9
	s_cbranch_execz .LBB275_838
; %bb.837:
	s_mul_i32 s2, s22, 0x60
	s_mul_i32 s4, s12, s16
	s_wait_alu 0xfffe
	s_ashr_i32 s3, s2, 31
	s_ashr_i32 s5, s4, 31
	s_wait_alu 0xfffe
	s_lshl_b64 s[2:3], s[2:3], 1
	s_lshl_b64 s[4:5], s[4:5], 1
	s_wait_kmcnt 0x0
	s_wait_alu 0xfffe
	s_add_nc_u64 s[2:3], s[8:9], s[2:3]
	v_lshlrev_b32_e32 v0, 1, v11
	s_mul_i32 s0, s26, 0xc0
	s_wait_alu 0xfffe
	s_add_nc_u64 s[2:3], s[2:3], s[4:5]
	;;#ASMSTART
	v_cvt_f16_f32 v6, v6;

	;;#ASMEND
	s_wait_alu 0xfffe
	s_add_nc_u64 s[0:1], s[2:3], s[0:1]
	global_store_b16 v0, v6, s[0:1]
	;;#ASMSTART
	v_cvt_f16_f32 v5, v5;

	;;#ASMEND
	global_store_b16 v0, v5, s[0:1] offset:32
	;;#ASMSTART
	v_cvt_f16_f32 v4, v4;

	;;#ASMEND
	global_store_b16 v0, v4, s[0:1] offset:64
	;; [unrolled: 5-line block ×5, first 2 shown]
.LBB275_838:
	s_nop 0
	s_sendmsg sendmsg(MSG_DEALLOC_VGPRS)
	s_endpgm
.LBB275_839:
	ds_load_b32 v9, v7
	s_wait_dscnt 0x0
	v_add_f32_e32 v6, v6, v9
	s_wait_alu 0xfffe
	s_or_b32 exec_lo, exec_lo, s0
	s_and_saveexec_b32 s0, vcc_lo
	s_cbranch_execz .LBB275_819
.LBB275_840:
	ds_load_b32 v9, v7 offset:64
	s_wait_dscnt 0x0
	v_add_f32_e32 v5, v5, v9
	s_wait_alu 0xfffe
	s_or_b32 exec_lo, exec_lo, s0
	s_and_saveexec_b32 s0, vcc_lo
	s_cbranch_execz .LBB275_820
.LBB275_841:
	ds_load_b32 v9, v7 offset:128
	s_wait_dscnt 0x0
	v_add_f32_e32 v4, v4, v9
	s_wait_alu 0xfffe
	s_or_b32 exec_lo, exec_lo, s0
	s_and_saveexec_b32 s0, vcc_lo
	s_cbranch_execz .LBB275_821
.LBB275_842:
	ds_load_b32 v9, v7 offset:192
	s_wait_dscnt 0x0
	v_add_f32_e32 v3, v3, v9
	s_wait_alu 0xfffe
	s_or_b32 exec_lo, exec_lo, s0
	s_and_saveexec_b32 s0, vcc_lo
	s_cbranch_execz .LBB275_822
.LBB275_843:
	ds_load_b32 v9, v7 offset:256
	s_wait_dscnt 0x0
	v_add_f32_e32 v2, v2, v9
	s_wait_alu 0xfffe
	s_or_b32 exec_lo, exec_lo, s0
	s_and_saveexec_b32 s0, vcc_lo
	s_cbranch_execnz .LBB275_823
	s_branch .LBB275_824
.LBB275_844:
	ds_load_b32 v0, v7
	s_wait_dscnt 0x0
	v_add_f32_e32 v6, v6, v0
	s_wait_alu 0xfffe
	s_or_b32 exec_lo, exec_lo, s0
	s_and_saveexec_b32 s0, vcc_lo
	s_cbranch_execz .LBB275_830
.LBB275_845:
	ds_load_b32 v0, v7 offset:64
	s_wait_dscnt 0x0
	v_add_f32_e32 v5, v5, v0
	s_wait_alu 0xfffe
	s_or_b32 exec_lo, exec_lo, s0
	s_and_saveexec_b32 s0, vcc_lo
	s_cbranch_execz .LBB275_831
.LBB275_846:
	ds_load_b32 v0, v7 offset:128
	s_wait_dscnt 0x0
	v_add_f32_e32 v4, v4, v0
	s_wait_alu 0xfffe
	s_or_b32 exec_lo, exec_lo, s0
	s_and_saveexec_b32 s0, vcc_lo
	s_cbranch_execz .LBB275_832
.LBB275_847:
	ds_load_b32 v0, v7 offset:192
	s_wait_dscnt 0x0
	v_add_f32_e32 v3, v3, v0
	s_wait_alu 0xfffe
	s_or_b32 exec_lo, exec_lo, s0
	s_and_saveexec_b32 s0, vcc_lo
	s_cbranch_execz .LBB275_833
.LBB275_848:
	ds_load_b32 v0, v7 offset:256
	s_wait_dscnt 0x0
	v_add_f32_e32 v2, v2, v0
	s_wait_alu 0xfffe
	s_or_b32 exec_lo, exec_lo, s0
	s_and_saveexec_b32 s0, vcc_lo
	s_cbranch_execnz .LBB275_834
	s_branch .LBB275_835
	.section	.rodata,"a",@progbits
	.p2align	6, 0x0
	.amdhsa_kernel _ZN4vllm25paged_attention_v2_kernelIthLi96ELi16ELi128ELNS_18Fp8KVCacheDataTypeE1ELb0ELi512EEEvPfS2_PT_PKS3_PKT0_S9_ifPKiSB_iPKfiiiSD_SD_iiiii
		.amdhsa_group_segment_fixed_size 224
		.amdhsa_private_segment_fixed_size 0
		.amdhsa_kernarg_size 400
		.amdhsa_user_sgpr_count 2
		.amdhsa_user_sgpr_dispatch_ptr 0
		.amdhsa_user_sgpr_queue_ptr 0
		.amdhsa_user_sgpr_kernarg_segment_ptr 1
		.amdhsa_user_sgpr_dispatch_id 0
		.amdhsa_user_sgpr_private_segment_size 0
		.amdhsa_wavefront_size32 1
		.amdhsa_uses_dynamic_stack 0
		.amdhsa_enable_private_segment 0
		.amdhsa_system_sgpr_workgroup_id_x 1
		.amdhsa_system_sgpr_workgroup_id_y 1
		.amdhsa_system_sgpr_workgroup_id_z 1
		.amdhsa_system_sgpr_workgroup_info 0
		.amdhsa_system_vgpr_workitem_id 0
		.amdhsa_next_free_vgpr 107
		.amdhsa_next_free_sgpr 36
		.amdhsa_reserve_vcc 1
		.amdhsa_float_round_mode_32 0
		.amdhsa_float_round_mode_16_64 0
		.amdhsa_float_denorm_mode_32 3
		.amdhsa_float_denorm_mode_16_64 3
		.amdhsa_fp16_overflow 0
		.amdhsa_workgroup_processor_mode 1
		.amdhsa_memory_ordered 1
		.amdhsa_forward_progress 1
		.amdhsa_inst_pref_size 229
		.amdhsa_round_robin_scheduling 0
		.amdhsa_exception_fp_ieee_invalid_op 0
		.amdhsa_exception_fp_denorm_src 0
		.amdhsa_exception_fp_ieee_div_zero 0
		.amdhsa_exception_fp_ieee_overflow 0
		.amdhsa_exception_fp_ieee_underflow 0
		.amdhsa_exception_fp_ieee_inexact 0
		.amdhsa_exception_int_div_zero 0
	.end_amdhsa_kernel
	.section	.text._ZN4vllm25paged_attention_v2_kernelIthLi96ELi16ELi128ELNS_18Fp8KVCacheDataTypeE1ELb0ELi512EEEvPfS2_PT_PKS3_PKT0_S9_ifPKiSB_iPKfiiiSD_SD_iiiii,"axG",@progbits,_ZN4vllm25paged_attention_v2_kernelIthLi96ELi16ELi128ELNS_18Fp8KVCacheDataTypeE1ELb0ELi512EEEvPfS2_PT_PKS3_PKT0_S9_ifPKiSB_iPKfiiiSD_SD_iiiii,comdat
.Lfunc_end275:
	.size	_ZN4vllm25paged_attention_v2_kernelIthLi96ELi16ELi128ELNS_18Fp8KVCacheDataTypeE1ELb0ELi512EEEvPfS2_PT_PKS3_PKT0_S9_ifPKiSB_iPKfiiiSD_SD_iiiii, .Lfunc_end275-_ZN4vllm25paged_attention_v2_kernelIthLi96ELi16ELi128ELNS_18Fp8KVCacheDataTypeE1ELb0ELi512EEEvPfS2_PT_PKS3_PKT0_S9_ifPKiSB_iPKfiiiSD_SD_iiiii
                                        ; -- End function
	.set _ZN4vllm25paged_attention_v2_kernelIthLi96ELi16ELi128ELNS_18Fp8KVCacheDataTypeE1ELb0ELi512EEEvPfS2_PT_PKS3_PKT0_S9_ifPKiSB_iPKfiiiSD_SD_iiiii.num_vgpr, 107
	.set _ZN4vllm25paged_attention_v2_kernelIthLi96ELi16ELi128ELNS_18Fp8KVCacheDataTypeE1ELb0ELi512EEEvPfS2_PT_PKS3_PKT0_S9_ifPKiSB_iPKfiiiSD_SD_iiiii.num_agpr, 0
	.set _ZN4vllm25paged_attention_v2_kernelIthLi96ELi16ELi128ELNS_18Fp8KVCacheDataTypeE1ELb0ELi512EEEvPfS2_PT_PKS3_PKT0_S9_ifPKiSB_iPKfiiiSD_SD_iiiii.numbered_sgpr, 36
	.set _ZN4vllm25paged_attention_v2_kernelIthLi96ELi16ELi128ELNS_18Fp8KVCacheDataTypeE1ELb0ELi512EEEvPfS2_PT_PKS3_PKT0_S9_ifPKiSB_iPKfiiiSD_SD_iiiii.num_named_barrier, 0
	.set _ZN4vllm25paged_attention_v2_kernelIthLi96ELi16ELi128ELNS_18Fp8KVCacheDataTypeE1ELb0ELi512EEEvPfS2_PT_PKS3_PKT0_S9_ifPKiSB_iPKfiiiSD_SD_iiiii.private_seg_size, 0
	.set _ZN4vllm25paged_attention_v2_kernelIthLi96ELi16ELi128ELNS_18Fp8KVCacheDataTypeE1ELb0ELi512EEEvPfS2_PT_PKS3_PKT0_S9_ifPKiSB_iPKfiiiSD_SD_iiiii.uses_vcc, 1
	.set _ZN4vllm25paged_attention_v2_kernelIthLi96ELi16ELi128ELNS_18Fp8KVCacheDataTypeE1ELb0ELi512EEEvPfS2_PT_PKS3_PKT0_S9_ifPKiSB_iPKfiiiSD_SD_iiiii.uses_flat_scratch, 0
	.set _ZN4vllm25paged_attention_v2_kernelIthLi96ELi16ELi128ELNS_18Fp8KVCacheDataTypeE1ELb0ELi512EEEvPfS2_PT_PKS3_PKT0_S9_ifPKiSB_iPKfiiiSD_SD_iiiii.has_dyn_sized_stack, 0
	.set _ZN4vllm25paged_attention_v2_kernelIthLi96ELi16ELi128ELNS_18Fp8KVCacheDataTypeE1ELb0ELi512EEEvPfS2_PT_PKS3_PKT0_S9_ifPKiSB_iPKfiiiSD_SD_iiiii.has_recursion, 0
	.set _ZN4vllm25paged_attention_v2_kernelIthLi96ELi16ELi128ELNS_18Fp8KVCacheDataTypeE1ELb0ELi512EEEvPfS2_PT_PKS3_PKT0_S9_ifPKiSB_iPKfiiiSD_SD_iiiii.has_indirect_call, 0
	.section	.AMDGPU.csdata,"",@progbits
; Kernel info:
; codeLenInByte = 29272
; TotalNumSgprs: 38
; NumVgprs: 107
; ScratchSize: 0
; MemoryBound: 0
; FloatMode: 240
; IeeeMode: 1
; LDSByteSize: 224 bytes/workgroup (compile time only)
; SGPRBlocks: 0
; VGPRBlocks: 13
; NumSGPRsForWavesPerEU: 38
; NumVGPRsForWavesPerEU: 107
; Occupancy: 12
; WaveLimiterHint : 1
; COMPUTE_PGM_RSRC2:SCRATCH_EN: 0
; COMPUTE_PGM_RSRC2:USER_SGPR: 2
; COMPUTE_PGM_RSRC2:TRAP_HANDLER: 0
; COMPUTE_PGM_RSRC2:TGID_X_EN: 1
; COMPUTE_PGM_RSRC2:TGID_Y_EN: 1
; COMPUTE_PGM_RSRC2:TGID_Z_EN: 1
; COMPUTE_PGM_RSRC2:TIDIG_COMP_CNT: 0
	.section	.text._ZN4vllm25paged_attention_v2_kernelIthLi112ELi16ELi128ELNS_18Fp8KVCacheDataTypeE1ELb0ELi512EEEvPfS2_PT_PKS3_PKT0_S9_ifPKiSB_iPKfiiiSD_SD_iiiii,"axG",@progbits,_ZN4vllm25paged_attention_v2_kernelIthLi112ELi16ELi128ELNS_18Fp8KVCacheDataTypeE1ELb0ELi512EEEvPfS2_PT_PKS3_PKT0_S9_ifPKiSB_iPKfiiiSD_SD_iiiii,comdat
	.protected	_ZN4vllm25paged_attention_v2_kernelIthLi112ELi16ELi128ELNS_18Fp8KVCacheDataTypeE1ELb0ELi512EEEvPfS2_PT_PKS3_PKT0_S9_ifPKiSB_iPKfiiiSD_SD_iiiii ; -- Begin function _ZN4vllm25paged_attention_v2_kernelIthLi112ELi16ELi128ELNS_18Fp8KVCacheDataTypeE1ELb0ELi512EEEvPfS2_PT_PKS3_PKT0_S9_ifPKiSB_iPKfiiiSD_SD_iiiii
	.globl	_ZN4vllm25paged_attention_v2_kernelIthLi112ELi16ELi128ELNS_18Fp8KVCacheDataTypeE1ELb0ELi512EEEvPfS2_PT_PKS3_PKT0_S9_ifPKiSB_iPKfiiiSD_SD_iiiii
	.p2align	8
	.type	_ZN4vllm25paged_attention_v2_kernelIthLi112ELi16ELi128ELNS_18Fp8KVCacheDataTypeE1ELb0ELi512EEEvPfS2_PT_PKS3_PKT0_S9_ifPKiSB_iPKfiiiSD_SD_iiiii,@function
_ZN4vllm25paged_attention_v2_kernelIthLi112ELi16ELi128ELNS_18Fp8KVCacheDataTypeE1ELb0ELi512EEEvPfS2_PT_PKS3_PKT0_S9_ifPKiSB_iPKfiiiSD_SD_iiiii: ; @_ZN4vllm25paged_attention_v2_kernelIthLi112ELi16ELi128ELNS_18Fp8KVCacheDataTypeE1ELb0ELi512EEEvPfS2_PT_PKS3_PKT0_S9_ifPKiSB_iPKfiiiSD_SD_iiiii
; %bb.0:
	s_load_b64 s[2:3], s[0:1], 0x40
	s_and_b32 s22, ttmp7, 0xffff
	s_lshr_b32 s26, ttmp7, 16
	s_lshl_b32 s4, s22, 2
	s_lshl_b32 s28, s26, 9
	s_wait_kmcnt 0x0
	s_load_b32 s27, s[2:3], s4 offset:0x0
	s_wait_kmcnt 0x0
	s_cmp_ge_i32 s28, s27
	s_cbranch_scc1 .LBB276_970
; %bb.1:
	s_clause 0x1
	s_load_b32 s23, s[0:1], 0x90
	s_load_b64 s[6:7], s[0:1], 0x30
	s_wait_kmcnt 0x0
	s_abs_i32 s5, s23
	s_abs_i32 s2, s6
	s_delay_alu instid0(SALU_CYCLE_1) | instskip(SKIP_1) | instid1(SALU_CYCLE_2)
	s_cvt_f32_u32 s3, s2
	s_sub_co_i32 s4, 0, s2
	v_rcp_iflag_f32_e32 v1, s3
	s_delay_alu instid0(TRANS32_DEP_1) | instskip(SKIP_2) | instid1(SALU_CYCLE_2)
	v_readfirstlane_b32 s3, v1
	s_mul_f32 s3, s3, 0x4f7ffffe
	s_wait_alu 0xfffe
	s_cvt_u32_f32 s3, s3
	s_wait_alu 0xfffe
	s_delay_alu instid0(SALU_CYCLE_2) | instskip(NEXT) | instid1(SALU_CYCLE_1)
	s_mul_i32 s4, s4, s3
	s_mul_hi_u32 s4, s3, s4
	s_delay_alu instid0(SALU_CYCLE_1)
	s_add_co_i32 s3, s3, s4
	s_xor_b32 s4, s23, s6
	s_wait_alu 0xfffe
	s_mul_hi_u32 s3, s5, s3
	s_ashr_i32 s4, s4, 31
	s_wait_alu 0xfffe
	s_mul_i32 s6, s3, s2
	s_delay_alu instid0(SALU_CYCLE_1)
	s_sub_co_i32 s5, s5, s6
	s_add_co_i32 s6, s3, 1
	s_sub_co_i32 s8, s5, s2
	s_cmp_ge_u32 s5, s2
	s_cselect_b32 s3, s6, s3
	s_cselect_b32 s5, s8, s5
	s_wait_alu 0xfffe
	s_add_co_i32 s6, s3, 1
	s_cmp_ge_u32 s5, s2
	s_load_b64 s[8:9], s[0:1], 0x50
	s_cselect_b32 s2, s6, s3
	s_mov_b32 s3, 0
	s_wait_alu 0xfffe
	s_xor_b32 s2, s2, s4
	s_mov_b32 s6, s3
	s_wait_alu 0xfffe
	s_sub_co_i32 s11, s2, s4
	s_delay_alu instid0(SALU_CYCLE_1) | instskip(NEXT) | instid1(SALU_CYCLE_1)
	s_abs_i32 s10, s11
	s_cvt_f32_u32 s2, s10
	s_wait_alu 0xfffe
	s_delay_alu instid0(SALU_CYCLE_2) | instskip(NEXT) | instid1(TRANS32_DEP_1)
	v_rcp_iflag_f32_e32 v1, s2
	v_readfirstlane_b32 s2, v1
	s_mul_f32 s2, s2, 0x4f7ffffe
	s_wait_alu 0xfffe
	s_delay_alu instid0(SALU_CYCLE_2) | instskip(SKIP_2) | instid1(SALU_CYCLE_1)
	s_cvt_u32_f32 s4, s2
	s_sub_co_i32 s2, 0, s10
	s_wait_alu 0xfffe
	s_mul_i32 s2, s2, s4
	s_wait_alu 0xfffe
	s_mul_hi_u32 s5, s4, s2
	s_abs_i32 s2, ttmp9
	s_add_co_i32 s4, s4, s5
	s_mov_b32 s5, s3
	s_wait_kmcnt 0x0
	s_cmp_eq_u64 s[8:9], 0
	s_cbranch_scc1 .LBB276_3
; %bb.2:
	s_mov_b32 s12, ttmp9
	s_ashr_i32 s13, ttmp9, 31
	s_delay_alu instid0(SALU_CYCLE_1) | instskip(NEXT) | instid1(SALU_CYCLE_1)
	s_lshl_b64 s[12:13], s[12:13], 2
	s_add_nc_u64 s[8:9], s[8:9], s[12:13]
	s_load_b32 s6, s[8:9], 0x0
.LBB276_3:
	s_load_b96 s[12:14], s[0:1], 0x58
	v_lshrrev_b32_e32 v11, 1, v0
	v_and_b32_e32 v12, 1, v0
	v_lshlrev_b32_e32 v10, 3, v0
	s_mul_u64 s[4:5], s[2:3], s[4:5]
	s_ashr_i32 s3, ttmp9, 31
	s_ashr_i32 s4, s11, 31
	s_mul_i32 s16, ttmp9, 0x70
	s_mov_b32 s8, exec_lo
	v_cmpx_gt_u32_e32 28, v0
	s_cbranch_execz .LBB276_5
; %bb.4:
	s_load_b64 s[18:19], s[0:1], 0x18
	s_wait_kmcnt 0x0
	s_mul_i32 s20, s12, s22
	s_ashr_i32 s17, s16, 31
	s_ashr_i32 s21, s20, 31
	v_lshlrev_b32_e32 v3, 3, v11
	s_lshl_b64 s[20:21], s[20:21], 1
	s_delay_alu instid0(VALU_DEP_1) | instskip(SKIP_2) | instid1(SALU_CYCLE_1)
	v_mad_u32_u24 v3, 0x70, v12, v3
	s_add_nc_u64 s[18:19], s[18:19], s[20:21]
	s_lshl_b64 s[20:21], s[16:17], 1
	s_add_nc_u64 s[18:19], s[18:19], s[20:21]
	global_load_b64 v[1:2], v10, s[18:19]
	s_wait_loadcnt 0x0
	ds_store_b64 v3, v[1:2]
.LBB276_5:
	s_or_b32 exec_lo, exec_lo, s8
	s_add_co_i32 s8, s27, 15
	s_wait_alu 0xfffe
	s_xor_b32 s3, s3, s4
	s_ashr_i32 s9, s8, 31
	s_lshl_b32 s30, s26, 5
	s_lshr_b32 s4, s9, 28
	s_mul_i32 s9, s5, s10
	s_add_co_i32 s8, s8, s4
	s_add_co_i32 s4, s30, 32
	s_ashr_i32 s29, s8, 4
	s_load_b32 s8, s[0:1], 0x48
	s_sub_co_i32 s2, s2, s9
	s_min_i32 s17, s4, s29
	s_add_co_i32 s4, s5, 1
	s_wait_alu 0xfffe
	s_sub_co_i32 s9, s2, s10
	s_cmp_ge_u32 s2, s10
	v_lshrrev_b32_e32 v13, 5, v0
	s_cselect_b32 s4, s4, s5
	s_cselect_b32 s2, s9, s2
	s_add_co_i32 s5, s4, 1
	s_wait_alu 0xfffe
	s_cmp_ge_u32 s2, s10
	v_or_b32_e32 v14, s30, v13
	s_cselect_b32 s2, s5, s4
	v_mbcnt_lo_u32_b32 v16, -1, 0
	s_wait_alu 0xfffe
	s_xor_b32 s2, s2, s3
	s_mov_b32 s4, exec_lo
	s_wait_alu 0xfffe
	s_sub_co_i32 s3, s2, s3
	v_cmp_gt_i32_e64 s2, s17, v14
	s_wait_dscnt 0x0
	s_barrier_signal -1
	s_wait_kmcnt 0x0
	s_mul_i32 s18, s8, s22
	s_barrier_wait -1
	s_ashr_i32 s19, s18, 31
	global_inv scope:SCOPE_SE
                                        ; implicit-def: $vgpr2
                                        ; implicit-def: $vgpr17
	v_cmpx_le_i32_e64 s17, v14
	s_xor_b32 s4, exec_lo, s4
; %bb.6:
	v_dual_mov_b32 v2, 0 :: v_dual_mov_b32 v17, 32
	v_mbcnt_lo_u32_b32 v16, -1, 0
; %bb.7:
	s_or_saveexec_b32 s24, s4
	s_clause 0x2
	s_load_b32 s12, s[0:1], 0x98
	s_load_b64 s[20:21], s[0:1], 0x38
	s_load_b128 s[8:11], s[0:1], 0x68
	v_dual_mov_b32 v18, 0xff7fffff :: v_dual_lshlrev_b32 v15, 2, v14
	s_mul_i32 s14, s3, s14
	s_xor_b32 exec_lo, exec_lo, s24
	s_cbranch_execz .LBB276_461
; %bb.8:
	s_load_b64 s[4:5], s[0:1], 0x20
	v_bfe_u32 v1, v0, 1, 4
	v_dual_mov_b32 v17, 32 :: v_dual_lshlrev_b32 v4, 4, v13
	s_ashr_i32 s15, s14, 31
	s_cmp_neq_f32 s6, 0
	s_delay_alu instid0(VALU_DEP_2)
	v_dual_mov_b32 v18, 0xff7fffff :: v_dual_lshlrev_b32 v5, 4, v1
	v_lshlrev_b32_e32 v6, 2, v1
	v_dual_mov_b32 v2, 0 :: v_dual_lshlrev_b32 v3, 2, v12
	v_add3_u32 v20, s28, v4, v1
	s_cselect_b32 s3, -1, 0
	s_lshl_b64 s[34:35], s[18:19], 2
	v_lshl_or_b32 v1, v13, 6, v6
	s_wait_kmcnt 0x0
	s_add_nc_u64 s[34:35], s[20:21], s[34:35]
	v_mul_u32_u24_e32 v19, 0x70, v12
	v_mov_b32_e32 v22, v14
	s_mov_b32 s25, s13
	v_add_nc_u32_e32 v21, 0x100, v1
	s_add_nc_u64 s[4:5], s[4:5], s[14:15]
	s_mov_b32 s15, 0
	v_add_co_u32 v4, s4, s4, v5
	s_wait_alu 0xf1ff
	v_add_co_ci_u32_e64 v5, null, s5, 0, s4
	s_sub_co_i32 s31, 1, s27
	v_add_co_u32 v3, s4, v4, v3
	s_wait_alu 0xf1ff
	v_add_co_ci_u32_e64 v4, null, 0, v5, s4
	v_add_co_u32 v5, s4, s34, v15
	s_wait_alu 0xf1ff
	v_add_co_ci_u32_e64 v6, null, s35, 0, s4
	v_cmp_eq_u32_e32 vcc_lo, 0, v12
	s_branch .LBB276_10
.LBB276_9:                              ;   in Loop: Header=BB276_10 Depth=1
	s_wait_alu 0xfffe
	s_or_b32 exec_lo, exec_lo, s5
	v_add_nc_u32_e32 v22, 4, v22
	v_add_co_u32 v5, s5, v5, 16
	v_add_nc_u32_e32 v20, 64, v20
	v_add_nc_u32_e32 v21, 0x100, v21
	s_delay_alu instid0(VALU_DEP_4) | instskip(SKIP_3) | instid1(SALU_CYCLE_1)
	v_cmp_le_i32_e64 s4, s17, v22
	s_wait_alu 0xf1ff
	v_add_co_ci_u32_e64 v6, null, 0, v6, s5
	s_or_b32 s15, s4, s15
	s_and_not1_b32 exec_lo, exec_lo, s15
	s_cbranch_execz .LBB276_460
.LBB276_10:                             ; =>This Inner Loop Header: Depth=1
	global_load_b32 v1, v[5:6], off
	v_mov_b32_e32 v25, 0
	s_mov_b32 s5, exec_lo
	s_wait_loadcnt_dscnt 0x0
	v_mad_co_i64_i32 v[7:8], null, v1, s25, v[3:4]
	global_load_b32 v9, v[7:8], off
	s_wait_loadcnt 0x0
	v_dual_mov_b32 v24, 0 :: v_dual_and_b32 v1, 0xff, v9
	global_load_b32 v23, v24, s[8:9]
	v_cmpx_ne_u16_e32 0, v1
	s_cbranch_execz .LBB276_18
; %bb.11:                               ;   in Loop: Header=BB276_10 Depth=1
	v_mov_b32_e32 v25, 0x8000
	s_mov_b32 s33, exec_lo
	v_cmpx_ne_u16_e32 0x80, v1
	s_cbranch_execz .LBB276_17
; %bb.12:                               ;   in Loop: Header=BB276_10 Depth=1
	v_and_b32_e32 v26, 0x7f, v9
	v_mov_b32_e32 v25, 0x7c01
	s_mov_b32 s34, exec_lo
	s_delay_alu instid0(VALU_DEP_2)
	v_cmpx_ne_u32_e32 0x7f, v26
	s_cbranch_execz .LBB276_16
; %bb.13:                               ;   in Loop: Header=BB276_10 Depth=1
	v_and_b32_e32 v1, 7, v9
	v_lshrrev_b32_e32 v25, 3, v26
	s_mov_b32 s35, exec_lo
	v_cmpx_gt_u32_e32 8, v26
; %bb.14:                               ;   in Loop: Header=BB276_10 Depth=1
	s_delay_alu instid0(VALU_DEP_3) | instskip(NEXT) | instid1(VALU_DEP_1)
	v_clz_i32_u32_e32 v1, v1
	v_min_u32_e32 v1, 32, v1
	s_delay_alu instid0(VALU_DEP_1) | instskip(NEXT) | instid1(VALU_DEP_1)
	v_subrev_nc_u32_e32 v25, 28, v1
	v_lshlrev_b64_e32 v[26:27], v25, v[9:10]
	v_sub_nc_u32_e32 v25, 29, v1
	s_delay_alu instid0(VALU_DEP_2)
	v_and_b32_e32 v1, 7, v26
; %bb.15:                               ;   in Loop: Header=BB276_10 Depth=1
	s_wait_alu 0xfffe
	s_or_b32 exec_lo, exec_lo, s35
	v_lshlrev_b32_e32 v26, 8, v9
	v_lshl_add_u32 v25, v25, 10, 0x2000
	v_lshlrev_b32_e32 v1, 7, v1
	s_delay_alu instid0(VALU_DEP_3) | instskip(NEXT) | instid1(VALU_DEP_3)
	v_and_b32_e32 v26, 0x8000, v26
	v_and_b32_e32 v25, 0xfc00, v25
	s_delay_alu instid0(VALU_DEP_1)
	v_or3_b32 v25, v26, v25, v1
.LBB276_16:                             ;   in Loop: Header=BB276_10 Depth=1
	s_wait_alu 0xfffe
	s_or_b32 exec_lo, exec_lo, s34
.LBB276_17:                             ;   in Loop: Header=BB276_10 Depth=1
	s_delay_alu instid0(SALU_CYCLE_1)
	s_or_b32 exec_lo, exec_lo, s33
.LBB276_18:                             ;   in Loop: Header=BB276_10 Depth=1
	s_wait_alu 0xfffe
	s_or_b32 exec_lo, exec_lo, s5
	v_lshrrev_b16 v1, 8, v9
	s_mov_b32 s5, exec_lo
	s_delay_alu instid0(VALU_DEP_1)
	v_cmpx_ne_u16_e32 0, v1
	s_cbranch_execz .LBB276_26
; %bb.19:                               ;   in Loop: Header=BB276_10 Depth=1
	v_bfrev_b32_e32 v24, 1
	s_mov_b32 s33, exec_lo
	v_cmpx_ne_u16_e32 0x80, v1
	s_cbranch_execz .LBB276_25
; %bb.20:                               ;   in Loop: Header=BB276_10 Depth=1
	v_and_b32_e32 v26, 0xffff, v1
	v_mov_b32_e32 v24, 0x7c010000
	s_mov_b32 s34, exec_lo
	s_delay_alu instid0(VALU_DEP_2) | instskip(NEXT) | instid1(VALU_DEP_1)
	v_and_b32_e32 v28, 0x7f, v26
	v_cmpx_ne_u32_e32 0x7f, v28
	s_cbranch_execz .LBB276_24
; %bb.21:                               ;   in Loop: Header=BB276_10 Depth=1
	v_and_b32_e32 v24, 7, v26
	v_lshrrev_b32_e32 v27, 3, v28
	s_mov_b32 s35, exec_lo
	v_cmpx_gt_u32_e32 8, v28
; %bb.22:                               ;   in Loop: Header=BB276_10 Depth=1
	s_delay_alu instid0(VALU_DEP_3) | instskip(NEXT) | instid1(VALU_DEP_1)
	v_clz_i32_u32_e32 v24, v24
	v_min_u32_e32 v24, 32, v24
	s_delay_alu instid0(VALU_DEP_1) | instskip(NEXT) | instid1(VALU_DEP_1)
	v_subrev_nc_u32_e32 v27, 28, v24
	v_lshlrev_b64_e32 v[28:29], v27, v[1:2]
	v_sub_nc_u32_e32 v27, 29, v24
	s_delay_alu instid0(VALU_DEP_2)
	v_and_b32_e32 v24, 7, v28
; %bb.23:                               ;   in Loop: Header=BB276_10 Depth=1
	s_wait_alu 0xfffe
	s_or_b32 exec_lo, exec_lo, s35
	v_lshlrev_b32_e32 v1, 8, v26
	v_lshl_add_u32 v26, v27, 10, 0x2000
	v_lshlrev_b32_e32 v24, 23, v24
	s_delay_alu instid0(VALU_DEP_2) | instskip(NEXT) | instid1(VALU_DEP_1)
	v_and_or_b32 v1, 0x8000, v1, v26
	v_lshl_or_b32 v24, v1, 16, v24
.LBB276_24:                             ;   in Loop: Header=BB276_10 Depth=1
	s_wait_alu 0xfffe
	s_or_b32 exec_lo, exec_lo, s34
.LBB276_25:                             ;   in Loop: Header=BB276_10 Depth=1
	s_delay_alu instid0(SALU_CYCLE_1)
	s_or_b32 exec_lo, exec_lo, s33
.LBB276_26:                             ;   in Loop: Header=BB276_10 Depth=1
	s_wait_alu 0xfffe
	s_or_b32 exec_lo, exec_lo, s5
	v_lshrrev_b32_e32 v1, 16, v9
	v_mov_b32_e32 v26, 0
	s_mov_b32 s5, exec_lo
	s_delay_alu instid0(VALU_DEP_2) | instskip(NEXT) | instid1(VALU_DEP_1)
	v_dual_mov_b32 v27, 0 :: v_dual_and_b32 v28, 0xff, v1
	v_cmpx_ne_u16_e32 0, v28
	s_cbranch_execz .LBB276_34
; %bb.27:                               ;   in Loop: Header=BB276_10 Depth=1
	v_mov_b32_e32 v27, 0x8000
	s_mov_b32 s33, exec_lo
	v_cmpx_ne_u16_e32 0x80, v28
	s_cbranch_execz .LBB276_33
; %bb.28:                               ;   in Loop: Header=BB276_10 Depth=1
	v_bfe_u32 v29, v9, 16, 7
	v_mov_b32_e32 v27, 0x7c01
	s_mov_b32 s34, exec_lo
	s_delay_alu instid0(VALU_DEP_2)
	v_cmpx_ne_u32_e32 0x7f, v29
	s_cbranch_execz .LBB276_32
; %bb.29:                               ;   in Loop: Header=BB276_10 Depth=1
	v_and_b32_e32 v27, 7, v1
	v_lshrrev_b32_e32 v28, 3, v29
	s_mov_b32 s35, exec_lo
	v_cmpx_gt_u32_e32 8, v29
; %bb.30:                               ;   in Loop: Header=BB276_10 Depth=1
	s_delay_alu instid0(VALU_DEP_3) | instskip(NEXT) | instid1(VALU_DEP_1)
	v_clz_i32_u32_e32 v27, v27
	v_min_u32_e32 v29, 32, v27
	s_delay_alu instid0(VALU_DEP_1) | instskip(NEXT) | instid1(VALU_DEP_1)
	v_subrev_nc_u32_e32 v27, 28, v29
	v_lshlrev_b64_e32 v[27:28], v27, v[1:2]
	v_sub_nc_u32_e32 v28, 29, v29
	s_delay_alu instid0(VALU_DEP_2)
	v_and_b32_e32 v27, 7, v27
; %bb.31:                               ;   in Loop: Header=BB276_10 Depth=1
	s_wait_alu 0xfffe
	s_or_b32 exec_lo, exec_lo, s35
	v_lshlrev_b32_e32 v1, 8, v1
	v_lshl_add_u32 v28, v28, 10, 0x2000
	v_lshlrev_b32_e32 v27, 7, v27
	s_delay_alu instid0(VALU_DEP_3) | instskip(NEXT) | instid1(VALU_DEP_3)
	v_and_b32_e32 v1, 0x8000, v1
	v_and_b32_e32 v28, 0xfc00, v28
	s_delay_alu instid0(VALU_DEP_1)
	v_or3_b32 v27, v1, v28, v27
.LBB276_32:                             ;   in Loop: Header=BB276_10 Depth=1
	s_wait_alu 0xfffe
	s_or_b32 exec_lo, exec_lo, s34
.LBB276_33:                             ;   in Loop: Header=BB276_10 Depth=1
	s_delay_alu instid0(SALU_CYCLE_1)
	s_or_b32 exec_lo, exec_lo, s33
.LBB276_34:                             ;   in Loop: Header=BB276_10 Depth=1
	s_wait_alu 0xfffe
	s_or_b32 exec_lo, exec_lo, s5
	s_delay_alu instid0(SALU_CYCLE_1)
	s_mov_b32 s5, exec_lo
	v_cmpx_lt_u32_e32 0xffffff, v9
	s_cbranch_execz .LBB276_42
; %bb.35:                               ;   in Loop: Header=BB276_10 Depth=1
	v_lshrrev_b32_e32 v1, 24, v9
	v_bfrev_b32_e32 v26, 1
	s_mov_b32 s33, exec_lo
	s_delay_alu instid0(VALU_DEP_2)
	v_cmpx_ne_u32_e32 0x80, v1
	s_cbranch_execz .LBB276_41
; %bb.36:                               ;   in Loop: Header=BB276_10 Depth=1
	v_and_b32_e32 v28, 0x7f, v1
	v_mov_b32_e32 v26, 0x7c010000
	s_mov_b32 s34, exec_lo
	s_delay_alu instid0(VALU_DEP_2)
	v_cmpx_ne_u32_e32 0x7f, v28
	s_cbranch_execz .LBB276_40
; %bb.37:                               ;   in Loop: Header=BB276_10 Depth=1
	v_and_b32_e32 v9, 7, v1
	v_lshrrev_b32_e32 v26, 3, v28
	s_mov_b32 s35, exec_lo
	v_cmpx_gt_u32_e32 8, v28
; %bb.38:                               ;   in Loop: Header=BB276_10 Depth=1
	s_delay_alu instid0(VALU_DEP_3) | instskip(NEXT) | instid1(VALU_DEP_1)
	v_clz_i32_u32_e32 v9, v9
	v_min_u32_e32 v9, 32, v9
	s_delay_alu instid0(VALU_DEP_1) | instskip(NEXT) | instid1(VALU_DEP_1)
	v_subrev_nc_u32_e32 v26, 28, v9
	v_lshlrev_b64_e32 v[28:29], v26, v[1:2]
	v_sub_nc_u32_e32 v26, 29, v9
	s_delay_alu instid0(VALU_DEP_2)
	v_and_b32_e32 v9, 7, v28
; %bb.39:                               ;   in Loop: Header=BB276_10 Depth=1
	s_wait_alu 0xfffe
	s_or_b32 exec_lo, exec_lo, s35
	v_lshlrev_b32_e32 v1, 8, v1
	v_lshl_add_u32 v26, v26, 10, 0x2000
	v_lshlrev_b32_e32 v9, 23, v9
	s_delay_alu instid0(VALU_DEP_2) | instskip(NEXT) | instid1(VALU_DEP_1)
	v_and_or_b32 v1, 0x8000, v1, v26
	v_lshl_or_b32 v26, v1, 16, v9
.LBB276_40:                             ;   in Loop: Header=BB276_10 Depth=1
	s_wait_alu 0xfffe
	s_or_b32 exec_lo, exec_lo, s34
.LBB276_41:                             ;   in Loop: Header=BB276_10 Depth=1
	s_delay_alu instid0(SALU_CYCLE_1)
	s_or_b32 exec_lo, exec_lo, s33
.LBB276_42:                             ;   in Loop: Header=BB276_10 Depth=1
	s_wait_alu 0xfffe
	s_or_b32 exec_lo, exec_lo, s5
	global_load_b32 v9, v[7:8], off offset:8
	v_mov_b32_e32 v29, 0
	s_mov_b32 s5, exec_lo
	s_wait_loadcnt 0x0
	v_dual_mov_b32 v28, 0 :: v_dual_and_b32 v1, 0xff, v9
	s_delay_alu instid0(VALU_DEP_1)
	v_cmpx_ne_u16_e32 0, v1
	s_cbranch_execz .LBB276_50
; %bb.43:                               ;   in Loop: Header=BB276_10 Depth=1
	v_mov_b32_e32 v29, 0x8000
	s_mov_b32 s33, exec_lo
	v_cmpx_ne_u16_e32 0x80, v1
	s_cbranch_execz .LBB276_49
; %bb.44:                               ;   in Loop: Header=BB276_10 Depth=1
	v_and_b32_e32 v30, 0x7f, v9
	v_mov_b32_e32 v29, 0x7c01
	s_mov_b32 s34, exec_lo
	s_delay_alu instid0(VALU_DEP_2)
	v_cmpx_ne_u32_e32 0x7f, v30
	s_cbranch_execz .LBB276_48
; %bb.45:                               ;   in Loop: Header=BB276_10 Depth=1
	v_and_b32_e32 v1, 7, v9
	v_lshrrev_b32_e32 v29, 3, v30
	s_mov_b32 s35, exec_lo
	v_cmpx_gt_u32_e32 8, v30
; %bb.46:                               ;   in Loop: Header=BB276_10 Depth=1
	s_delay_alu instid0(VALU_DEP_3) | instskip(NEXT) | instid1(VALU_DEP_1)
	v_clz_i32_u32_e32 v1, v1
	v_min_u32_e32 v1, 32, v1
	s_delay_alu instid0(VALU_DEP_1) | instskip(NEXT) | instid1(VALU_DEP_1)
	v_subrev_nc_u32_e32 v29, 28, v1
	v_lshlrev_b64_e32 v[30:31], v29, v[9:10]
	v_sub_nc_u32_e32 v29, 29, v1
	s_delay_alu instid0(VALU_DEP_2)
	v_and_b32_e32 v1, 7, v30
; %bb.47:                               ;   in Loop: Header=BB276_10 Depth=1
	s_wait_alu 0xfffe
	s_or_b32 exec_lo, exec_lo, s35
	v_lshlrev_b32_e32 v30, 8, v9
	v_lshl_add_u32 v29, v29, 10, 0x2000
	v_lshlrev_b32_e32 v1, 7, v1
	s_delay_alu instid0(VALU_DEP_3) | instskip(NEXT) | instid1(VALU_DEP_3)
	v_and_b32_e32 v30, 0x8000, v30
	v_and_b32_e32 v29, 0xfc00, v29
	s_delay_alu instid0(VALU_DEP_1)
	v_or3_b32 v29, v30, v29, v1
.LBB276_48:                             ;   in Loop: Header=BB276_10 Depth=1
	s_wait_alu 0xfffe
	s_or_b32 exec_lo, exec_lo, s34
.LBB276_49:                             ;   in Loop: Header=BB276_10 Depth=1
	s_delay_alu instid0(SALU_CYCLE_1)
	s_or_b32 exec_lo, exec_lo, s33
.LBB276_50:                             ;   in Loop: Header=BB276_10 Depth=1
	s_wait_alu 0xfffe
	s_or_b32 exec_lo, exec_lo, s5
	v_lshrrev_b16 v1, 8, v9
	s_mov_b32 s5, exec_lo
	s_delay_alu instid0(VALU_DEP_1)
	v_cmpx_ne_u16_e32 0, v1
	s_cbranch_execz .LBB276_58
; %bb.51:                               ;   in Loop: Header=BB276_10 Depth=1
	v_bfrev_b32_e32 v28, 1
	s_mov_b32 s33, exec_lo
	v_cmpx_ne_u16_e32 0x80, v1
	s_cbranch_execz .LBB276_57
; %bb.52:                               ;   in Loop: Header=BB276_10 Depth=1
	v_and_b32_e32 v30, 0xffff, v1
	v_mov_b32_e32 v28, 0x7c010000
	s_mov_b32 s34, exec_lo
	s_delay_alu instid0(VALU_DEP_2) | instskip(NEXT) | instid1(VALU_DEP_1)
	v_and_b32_e32 v32, 0x7f, v30
	v_cmpx_ne_u32_e32 0x7f, v32
	s_cbranch_execz .LBB276_56
; %bb.53:                               ;   in Loop: Header=BB276_10 Depth=1
	v_and_b32_e32 v28, 7, v30
	v_lshrrev_b32_e32 v31, 3, v32
	s_mov_b32 s35, exec_lo
	v_cmpx_gt_u32_e32 8, v32
; %bb.54:                               ;   in Loop: Header=BB276_10 Depth=1
	s_delay_alu instid0(VALU_DEP_3) | instskip(NEXT) | instid1(VALU_DEP_1)
	v_clz_i32_u32_e32 v28, v28
	v_min_u32_e32 v28, 32, v28
	s_delay_alu instid0(VALU_DEP_1) | instskip(NEXT) | instid1(VALU_DEP_1)
	v_subrev_nc_u32_e32 v31, 28, v28
	v_lshlrev_b64_e32 v[32:33], v31, v[1:2]
	v_sub_nc_u32_e32 v31, 29, v28
	s_delay_alu instid0(VALU_DEP_2)
	v_and_b32_e32 v28, 7, v32
; %bb.55:                               ;   in Loop: Header=BB276_10 Depth=1
	s_wait_alu 0xfffe
	s_or_b32 exec_lo, exec_lo, s35
	v_lshlrev_b32_e32 v1, 8, v30
	v_lshl_add_u32 v30, v31, 10, 0x2000
	v_lshlrev_b32_e32 v28, 23, v28
	s_delay_alu instid0(VALU_DEP_2) | instskip(NEXT) | instid1(VALU_DEP_1)
	v_and_or_b32 v1, 0x8000, v1, v30
	v_lshl_or_b32 v28, v1, 16, v28
.LBB276_56:                             ;   in Loop: Header=BB276_10 Depth=1
	s_wait_alu 0xfffe
	s_or_b32 exec_lo, exec_lo, s34
.LBB276_57:                             ;   in Loop: Header=BB276_10 Depth=1
	s_delay_alu instid0(SALU_CYCLE_1)
	s_or_b32 exec_lo, exec_lo, s33
.LBB276_58:                             ;   in Loop: Header=BB276_10 Depth=1
	s_wait_alu 0xfffe
	s_or_b32 exec_lo, exec_lo, s5
	v_lshrrev_b32_e32 v1, 16, v9
	v_mov_b32_e32 v30, 0
	s_mov_b32 s5, exec_lo
	s_delay_alu instid0(VALU_DEP_2) | instskip(NEXT) | instid1(VALU_DEP_1)
	v_dual_mov_b32 v31, 0 :: v_dual_and_b32 v32, 0xff, v1
	v_cmpx_ne_u16_e32 0, v32
	s_cbranch_execz .LBB276_66
; %bb.59:                               ;   in Loop: Header=BB276_10 Depth=1
	v_mov_b32_e32 v31, 0x8000
	s_mov_b32 s33, exec_lo
	v_cmpx_ne_u16_e32 0x80, v32
	s_cbranch_execz .LBB276_65
; %bb.60:                               ;   in Loop: Header=BB276_10 Depth=1
	v_bfe_u32 v33, v9, 16, 7
	v_mov_b32_e32 v31, 0x7c01
	s_mov_b32 s34, exec_lo
	s_delay_alu instid0(VALU_DEP_2)
	v_cmpx_ne_u32_e32 0x7f, v33
	s_cbranch_execz .LBB276_64
; %bb.61:                               ;   in Loop: Header=BB276_10 Depth=1
	v_and_b32_e32 v31, 7, v1
	v_lshrrev_b32_e32 v32, 3, v33
	s_mov_b32 s35, exec_lo
	v_cmpx_gt_u32_e32 8, v33
; %bb.62:                               ;   in Loop: Header=BB276_10 Depth=1
	s_delay_alu instid0(VALU_DEP_3) | instskip(NEXT) | instid1(VALU_DEP_1)
	v_clz_i32_u32_e32 v31, v31
	v_min_u32_e32 v33, 32, v31
	s_delay_alu instid0(VALU_DEP_1) | instskip(NEXT) | instid1(VALU_DEP_1)
	v_subrev_nc_u32_e32 v31, 28, v33
	v_lshlrev_b64_e32 v[31:32], v31, v[1:2]
	v_sub_nc_u32_e32 v32, 29, v33
	s_delay_alu instid0(VALU_DEP_2)
	v_and_b32_e32 v31, 7, v31
; %bb.63:                               ;   in Loop: Header=BB276_10 Depth=1
	s_wait_alu 0xfffe
	s_or_b32 exec_lo, exec_lo, s35
	v_lshlrev_b32_e32 v1, 8, v1
	v_lshl_add_u32 v32, v32, 10, 0x2000
	v_lshlrev_b32_e32 v31, 7, v31
	s_delay_alu instid0(VALU_DEP_3) | instskip(NEXT) | instid1(VALU_DEP_3)
	v_and_b32_e32 v1, 0x8000, v1
	v_and_b32_e32 v32, 0xfc00, v32
	s_delay_alu instid0(VALU_DEP_1)
	v_or3_b32 v31, v1, v32, v31
.LBB276_64:                             ;   in Loop: Header=BB276_10 Depth=1
	s_wait_alu 0xfffe
	s_or_b32 exec_lo, exec_lo, s34
.LBB276_65:                             ;   in Loop: Header=BB276_10 Depth=1
	s_delay_alu instid0(SALU_CYCLE_1)
	s_or_b32 exec_lo, exec_lo, s33
.LBB276_66:                             ;   in Loop: Header=BB276_10 Depth=1
	s_wait_alu 0xfffe
	s_or_b32 exec_lo, exec_lo, s5
	s_delay_alu instid0(SALU_CYCLE_1)
	s_mov_b32 s5, exec_lo
	v_cmpx_lt_u32_e32 0xffffff, v9
	s_cbranch_execz .LBB276_74
; %bb.67:                               ;   in Loop: Header=BB276_10 Depth=1
	v_lshrrev_b32_e32 v1, 24, v9
	v_bfrev_b32_e32 v30, 1
	s_mov_b32 s33, exec_lo
	s_delay_alu instid0(VALU_DEP_2)
	v_cmpx_ne_u32_e32 0x80, v1
	s_cbranch_execz .LBB276_73
; %bb.68:                               ;   in Loop: Header=BB276_10 Depth=1
	v_and_b32_e32 v32, 0x7f, v1
	v_mov_b32_e32 v30, 0x7c010000
	s_mov_b32 s34, exec_lo
	s_delay_alu instid0(VALU_DEP_2)
	v_cmpx_ne_u32_e32 0x7f, v32
	s_cbranch_execz .LBB276_72
; %bb.69:                               ;   in Loop: Header=BB276_10 Depth=1
	v_and_b32_e32 v9, 7, v1
	v_lshrrev_b32_e32 v30, 3, v32
	s_mov_b32 s35, exec_lo
	v_cmpx_gt_u32_e32 8, v32
; %bb.70:                               ;   in Loop: Header=BB276_10 Depth=1
	s_delay_alu instid0(VALU_DEP_3) | instskip(NEXT) | instid1(VALU_DEP_1)
	v_clz_i32_u32_e32 v9, v9
	v_min_u32_e32 v9, 32, v9
	s_delay_alu instid0(VALU_DEP_1) | instskip(NEXT) | instid1(VALU_DEP_1)
	v_subrev_nc_u32_e32 v30, 28, v9
	v_lshlrev_b64_e32 v[32:33], v30, v[1:2]
	v_sub_nc_u32_e32 v30, 29, v9
	s_delay_alu instid0(VALU_DEP_2)
	v_and_b32_e32 v9, 7, v32
; %bb.71:                               ;   in Loop: Header=BB276_10 Depth=1
	s_wait_alu 0xfffe
	s_or_b32 exec_lo, exec_lo, s35
	v_lshlrev_b32_e32 v1, 8, v1
	v_lshl_add_u32 v30, v30, 10, 0x2000
	v_lshlrev_b32_e32 v9, 23, v9
	s_delay_alu instid0(VALU_DEP_2) | instskip(NEXT) | instid1(VALU_DEP_1)
	v_and_or_b32 v1, 0x8000, v1, v30
	v_lshl_or_b32 v30, v1, 16, v9
.LBB276_72:                             ;   in Loop: Header=BB276_10 Depth=1
	s_wait_alu 0xfffe
	s_or_b32 exec_lo, exec_lo, s34
.LBB276_73:                             ;   in Loop: Header=BB276_10 Depth=1
	s_delay_alu instid0(SALU_CYCLE_1)
	s_or_b32 exec_lo, exec_lo, s33
.LBB276_74:                             ;   in Loop: Header=BB276_10 Depth=1
	s_wait_alu 0xfffe
	s_or_b32 exec_lo, exec_lo, s5
	global_load_b32 v9, v[7:8], off offset:256
	v_mov_b32_e32 v33, 0
	s_mov_b32 s5, exec_lo
	s_wait_loadcnt 0x0
	v_dual_mov_b32 v32, 0 :: v_dual_and_b32 v1, 0xff, v9
	s_delay_alu instid0(VALU_DEP_1)
	v_cmpx_ne_u16_e32 0, v1
	s_cbranch_execz .LBB276_82
; %bb.75:                               ;   in Loop: Header=BB276_10 Depth=1
	v_mov_b32_e32 v33, 0x8000
	s_mov_b32 s33, exec_lo
	v_cmpx_ne_u16_e32 0x80, v1
	s_cbranch_execz .LBB276_81
; %bb.76:                               ;   in Loop: Header=BB276_10 Depth=1
	v_and_b32_e32 v34, 0x7f, v9
	v_mov_b32_e32 v33, 0x7c01
	s_mov_b32 s34, exec_lo
	s_delay_alu instid0(VALU_DEP_2)
	v_cmpx_ne_u32_e32 0x7f, v34
	s_cbranch_execz .LBB276_80
; %bb.77:                               ;   in Loop: Header=BB276_10 Depth=1
	v_and_b32_e32 v1, 7, v9
	v_lshrrev_b32_e32 v33, 3, v34
	s_mov_b32 s35, exec_lo
	v_cmpx_gt_u32_e32 8, v34
; %bb.78:                               ;   in Loop: Header=BB276_10 Depth=1
	s_delay_alu instid0(VALU_DEP_3) | instskip(NEXT) | instid1(VALU_DEP_1)
	v_clz_i32_u32_e32 v1, v1
	v_min_u32_e32 v1, 32, v1
	s_delay_alu instid0(VALU_DEP_1) | instskip(NEXT) | instid1(VALU_DEP_1)
	v_subrev_nc_u32_e32 v33, 28, v1
	v_lshlrev_b64_e32 v[34:35], v33, v[9:10]
	v_sub_nc_u32_e32 v33, 29, v1
	s_delay_alu instid0(VALU_DEP_2)
	v_and_b32_e32 v1, 7, v34
; %bb.79:                               ;   in Loop: Header=BB276_10 Depth=1
	s_wait_alu 0xfffe
	s_or_b32 exec_lo, exec_lo, s35
	v_lshlrev_b32_e32 v34, 8, v9
	v_lshl_add_u32 v33, v33, 10, 0x2000
	v_lshlrev_b32_e32 v1, 7, v1
	s_delay_alu instid0(VALU_DEP_3) | instskip(NEXT) | instid1(VALU_DEP_3)
	v_and_b32_e32 v34, 0x8000, v34
	v_and_b32_e32 v33, 0xfc00, v33
	s_delay_alu instid0(VALU_DEP_1)
	v_or3_b32 v33, v34, v33, v1
.LBB276_80:                             ;   in Loop: Header=BB276_10 Depth=1
	s_wait_alu 0xfffe
	s_or_b32 exec_lo, exec_lo, s34
.LBB276_81:                             ;   in Loop: Header=BB276_10 Depth=1
	s_delay_alu instid0(SALU_CYCLE_1)
	s_or_b32 exec_lo, exec_lo, s33
.LBB276_82:                             ;   in Loop: Header=BB276_10 Depth=1
	s_wait_alu 0xfffe
	s_or_b32 exec_lo, exec_lo, s5
	v_lshrrev_b16 v1, 8, v9
	s_mov_b32 s5, exec_lo
	s_delay_alu instid0(VALU_DEP_1)
	v_cmpx_ne_u16_e32 0, v1
	s_cbranch_execz .LBB276_90
; %bb.83:                               ;   in Loop: Header=BB276_10 Depth=1
	v_bfrev_b32_e32 v32, 1
	s_mov_b32 s33, exec_lo
	v_cmpx_ne_u16_e32 0x80, v1
	s_cbranch_execz .LBB276_89
; %bb.84:                               ;   in Loop: Header=BB276_10 Depth=1
	v_and_b32_e32 v34, 0xffff, v1
	v_mov_b32_e32 v32, 0x7c010000
	s_mov_b32 s34, exec_lo
	s_delay_alu instid0(VALU_DEP_2) | instskip(NEXT) | instid1(VALU_DEP_1)
	v_and_b32_e32 v36, 0x7f, v34
	v_cmpx_ne_u32_e32 0x7f, v36
	s_cbranch_execz .LBB276_88
; %bb.85:                               ;   in Loop: Header=BB276_10 Depth=1
	v_and_b32_e32 v32, 7, v34
	v_lshrrev_b32_e32 v35, 3, v36
	s_mov_b32 s35, exec_lo
	v_cmpx_gt_u32_e32 8, v36
; %bb.86:                               ;   in Loop: Header=BB276_10 Depth=1
	s_delay_alu instid0(VALU_DEP_3) | instskip(NEXT) | instid1(VALU_DEP_1)
	v_clz_i32_u32_e32 v32, v32
	v_min_u32_e32 v32, 32, v32
	s_delay_alu instid0(VALU_DEP_1) | instskip(NEXT) | instid1(VALU_DEP_1)
	v_subrev_nc_u32_e32 v35, 28, v32
	v_lshlrev_b64_e32 v[36:37], v35, v[1:2]
	v_sub_nc_u32_e32 v35, 29, v32
	s_delay_alu instid0(VALU_DEP_2)
	v_and_b32_e32 v32, 7, v36
; %bb.87:                               ;   in Loop: Header=BB276_10 Depth=1
	s_wait_alu 0xfffe
	s_or_b32 exec_lo, exec_lo, s35
	v_lshlrev_b32_e32 v1, 8, v34
	v_lshl_add_u32 v34, v35, 10, 0x2000
	v_lshlrev_b32_e32 v32, 23, v32
	s_delay_alu instid0(VALU_DEP_2) | instskip(NEXT) | instid1(VALU_DEP_1)
	v_and_or_b32 v1, 0x8000, v1, v34
	v_lshl_or_b32 v32, v1, 16, v32
.LBB276_88:                             ;   in Loop: Header=BB276_10 Depth=1
	s_wait_alu 0xfffe
	s_or_b32 exec_lo, exec_lo, s34
.LBB276_89:                             ;   in Loop: Header=BB276_10 Depth=1
	s_delay_alu instid0(SALU_CYCLE_1)
	s_or_b32 exec_lo, exec_lo, s33
.LBB276_90:                             ;   in Loop: Header=BB276_10 Depth=1
	s_wait_alu 0xfffe
	s_or_b32 exec_lo, exec_lo, s5
	v_lshrrev_b32_e32 v1, 16, v9
	v_mov_b32_e32 v34, 0
	s_mov_b32 s5, exec_lo
	s_delay_alu instid0(VALU_DEP_2) | instskip(NEXT) | instid1(VALU_DEP_1)
	v_dual_mov_b32 v35, 0 :: v_dual_and_b32 v36, 0xff, v1
	v_cmpx_ne_u16_e32 0, v36
	s_cbranch_execz .LBB276_98
; %bb.91:                               ;   in Loop: Header=BB276_10 Depth=1
	v_mov_b32_e32 v35, 0x8000
	s_mov_b32 s33, exec_lo
	v_cmpx_ne_u16_e32 0x80, v36
	s_cbranch_execz .LBB276_97
; %bb.92:                               ;   in Loop: Header=BB276_10 Depth=1
	v_bfe_u32 v37, v9, 16, 7
	v_mov_b32_e32 v35, 0x7c01
	s_mov_b32 s34, exec_lo
	s_delay_alu instid0(VALU_DEP_2)
	v_cmpx_ne_u32_e32 0x7f, v37
	s_cbranch_execz .LBB276_96
; %bb.93:                               ;   in Loop: Header=BB276_10 Depth=1
	v_and_b32_e32 v35, 7, v1
	v_lshrrev_b32_e32 v36, 3, v37
	s_mov_b32 s35, exec_lo
	v_cmpx_gt_u32_e32 8, v37
; %bb.94:                               ;   in Loop: Header=BB276_10 Depth=1
	s_delay_alu instid0(VALU_DEP_3) | instskip(NEXT) | instid1(VALU_DEP_1)
	v_clz_i32_u32_e32 v35, v35
	v_min_u32_e32 v37, 32, v35
	s_delay_alu instid0(VALU_DEP_1) | instskip(NEXT) | instid1(VALU_DEP_1)
	v_subrev_nc_u32_e32 v35, 28, v37
	v_lshlrev_b64_e32 v[35:36], v35, v[1:2]
	v_sub_nc_u32_e32 v36, 29, v37
	s_delay_alu instid0(VALU_DEP_2)
	v_and_b32_e32 v35, 7, v35
; %bb.95:                               ;   in Loop: Header=BB276_10 Depth=1
	s_wait_alu 0xfffe
	s_or_b32 exec_lo, exec_lo, s35
	v_lshlrev_b32_e32 v1, 8, v1
	v_lshl_add_u32 v36, v36, 10, 0x2000
	v_lshlrev_b32_e32 v35, 7, v35
	s_delay_alu instid0(VALU_DEP_3) | instskip(NEXT) | instid1(VALU_DEP_3)
	v_and_b32_e32 v1, 0x8000, v1
	v_and_b32_e32 v36, 0xfc00, v36
	s_delay_alu instid0(VALU_DEP_1)
	v_or3_b32 v35, v1, v36, v35
.LBB276_96:                             ;   in Loop: Header=BB276_10 Depth=1
	s_wait_alu 0xfffe
	s_or_b32 exec_lo, exec_lo, s34
.LBB276_97:                             ;   in Loop: Header=BB276_10 Depth=1
	s_delay_alu instid0(SALU_CYCLE_1)
	s_or_b32 exec_lo, exec_lo, s33
.LBB276_98:                             ;   in Loop: Header=BB276_10 Depth=1
	s_wait_alu 0xfffe
	s_or_b32 exec_lo, exec_lo, s5
	s_delay_alu instid0(SALU_CYCLE_1)
	s_mov_b32 s5, exec_lo
	v_cmpx_lt_u32_e32 0xffffff, v9
	s_cbranch_execz .LBB276_106
; %bb.99:                               ;   in Loop: Header=BB276_10 Depth=1
	v_lshrrev_b32_e32 v1, 24, v9
	v_bfrev_b32_e32 v34, 1
	s_mov_b32 s33, exec_lo
	s_delay_alu instid0(VALU_DEP_2)
	v_cmpx_ne_u32_e32 0x80, v1
	s_cbranch_execz .LBB276_105
; %bb.100:                              ;   in Loop: Header=BB276_10 Depth=1
	v_and_b32_e32 v36, 0x7f, v1
	v_mov_b32_e32 v34, 0x7c010000
	s_mov_b32 s34, exec_lo
	s_delay_alu instid0(VALU_DEP_2)
	v_cmpx_ne_u32_e32 0x7f, v36
	s_cbranch_execz .LBB276_104
; %bb.101:                              ;   in Loop: Header=BB276_10 Depth=1
	v_and_b32_e32 v9, 7, v1
	v_lshrrev_b32_e32 v34, 3, v36
	s_mov_b32 s35, exec_lo
	v_cmpx_gt_u32_e32 8, v36
; %bb.102:                              ;   in Loop: Header=BB276_10 Depth=1
	s_delay_alu instid0(VALU_DEP_3) | instskip(NEXT) | instid1(VALU_DEP_1)
	v_clz_i32_u32_e32 v9, v9
	v_min_u32_e32 v9, 32, v9
	s_delay_alu instid0(VALU_DEP_1) | instskip(NEXT) | instid1(VALU_DEP_1)
	v_subrev_nc_u32_e32 v34, 28, v9
	v_lshlrev_b64_e32 v[36:37], v34, v[1:2]
	v_sub_nc_u32_e32 v34, 29, v9
	s_delay_alu instid0(VALU_DEP_2)
	v_and_b32_e32 v9, 7, v36
; %bb.103:                              ;   in Loop: Header=BB276_10 Depth=1
	s_wait_alu 0xfffe
	s_or_b32 exec_lo, exec_lo, s35
	v_lshlrev_b32_e32 v1, 8, v1
	v_lshl_add_u32 v34, v34, 10, 0x2000
	v_lshlrev_b32_e32 v9, 23, v9
	s_delay_alu instid0(VALU_DEP_2) | instskip(NEXT) | instid1(VALU_DEP_1)
	v_and_or_b32 v1, 0x8000, v1, v34
	v_lshl_or_b32 v34, v1, 16, v9
.LBB276_104:                            ;   in Loop: Header=BB276_10 Depth=1
	s_wait_alu 0xfffe
	s_or_b32 exec_lo, exec_lo, s34
.LBB276_105:                            ;   in Loop: Header=BB276_10 Depth=1
	s_delay_alu instid0(SALU_CYCLE_1)
	s_or_b32 exec_lo, exec_lo, s33
.LBB276_106:                            ;   in Loop: Header=BB276_10 Depth=1
	s_wait_alu 0xfffe
	s_or_b32 exec_lo, exec_lo, s5
	global_load_b32 v9, v[7:8], off offset:264
	v_mov_b32_e32 v37, 0
	s_mov_b32 s5, exec_lo
	s_wait_loadcnt 0x0
	v_dual_mov_b32 v36, 0 :: v_dual_and_b32 v1, 0xff, v9
	s_delay_alu instid0(VALU_DEP_1)
	v_cmpx_ne_u16_e32 0, v1
	s_cbranch_execz .LBB276_114
; %bb.107:                              ;   in Loop: Header=BB276_10 Depth=1
	v_mov_b32_e32 v37, 0x8000
	s_mov_b32 s33, exec_lo
	v_cmpx_ne_u16_e32 0x80, v1
	s_cbranch_execz .LBB276_113
; %bb.108:                              ;   in Loop: Header=BB276_10 Depth=1
	v_and_b32_e32 v38, 0x7f, v9
	v_mov_b32_e32 v37, 0x7c01
	s_mov_b32 s34, exec_lo
	s_delay_alu instid0(VALU_DEP_2)
	v_cmpx_ne_u32_e32 0x7f, v38
	s_cbranch_execz .LBB276_112
; %bb.109:                              ;   in Loop: Header=BB276_10 Depth=1
	v_and_b32_e32 v1, 7, v9
	v_lshrrev_b32_e32 v37, 3, v38
	s_mov_b32 s35, exec_lo
	v_cmpx_gt_u32_e32 8, v38
; %bb.110:                              ;   in Loop: Header=BB276_10 Depth=1
	s_delay_alu instid0(VALU_DEP_3) | instskip(NEXT) | instid1(VALU_DEP_1)
	v_clz_i32_u32_e32 v1, v1
	v_min_u32_e32 v1, 32, v1
	s_delay_alu instid0(VALU_DEP_1) | instskip(NEXT) | instid1(VALU_DEP_1)
	v_subrev_nc_u32_e32 v37, 28, v1
	v_lshlrev_b64_e32 v[38:39], v37, v[9:10]
	v_sub_nc_u32_e32 v37, 29, v1
	s_delay_alu instid0(VALU_DEP_2)
	v_and_b32_e32 v1, 7, v38
; %bb.111:                              ;   in Loop: Header=BB276_10 Depth=1
	s_wait_alu 0xfffe
	s_or_b32 exec_lo, exec_lo, s35
	v_lshlrev_b32_e32 v38, 8, v9
	v_lshl_add_u32 v37, v37, 10, 0x2000
	v_lshlrev_b32_e32 v1, 7, v1
	s_delay_alu instid0(VALU_DEP_3) | instskip(NEXT) | instid1(VALU_DEP_3)
	v_and_b32_e32 v38, 0x8000, v38
	v_and_b32_e32 v37, 0xfc00, v37
	s_delay_alu instid0(VALU_DEP_1)
	v_or3_b32 v37, v38, v37, v1
.LBB276_112:                            ;   in Loop: Header=BB276_10 Depth=1
	s_wait_alu 0xfffe
	s_or_b32 exec_lo, exec_lo, s34
.LBB276_113:                            ;   in Loop: Header=BB276_10 Depth=1
	s_delay_alu instid0(SALU_CYCLE_1)
	s_or_b32 exec_lo, exec_lo, s33
.LBB276_114:                            ;   in Loop: Header=BB276_10 Depth=1
	s_wait_alu 0xfffe
	s_or_b32 exec_lo, exec_lo, s5
	v_lshrrev_b16 v1, 8, v9
	s_mov_b32 s5, exec_lo
	s_delay_alu instid0(VALU_DEP_1)
	v_cmpx_ne_u16_e32 0, v1
	s_cbranch_execz .LBB276_122
; %bb.115:                              ;   in Loop: Header=BB276_10 Depth=1
	v_bfrev_b32_e32 v36, 1
	s_mov_b32 s33, exec_lo
	v_cmpx_ne_u16_e32 0x80, v1
	s_cbranch_execz .LBB276_121
; %bb.116:                              ;   in Loop: Header=BB276_10 Depth=1
	v_and_b32_e32 v38, 0xffff, v1
	v_mov_b32_e32 v36, 0x7c010000
	s_mov_b32 s34, exec_lo
	s_delay_alu instid0(VALU_DEP_2) | instskip(NEXT) | instid1(VALU_DEP_1)
	v_and_b32_e32 v40, 0x7f, v38
	v_cmpx_ne_u32_e32 0x7f, v40
	s_cbranch_execz .LBB276_120
; %bb.117:                              ;   in Loop: Header=BB276_10 Depth=1
	v_and_b32_e32 v36, 7, v38
	v_lshrrev_b32_e32 v39, 3, v40
	s_mov_b32 s35, exec_lo
	v_cmpx_gt_u32_e32 8, v40
; %bb.118:                              ;   in Loop: Header=BB276_10 Depth=1
	s_delay_alu instid0(VALU_DEP_3) | instskip(NEXT) | instid1(VALU_DEP_1)
	v_clz_i32_u32_e32 v36, v36
	v_min_u32_e32 v36, 32, v36
	s_delay_alu instid0(VALU_DEP_1) | instskip(NEXT) | instid1(VALU_DEP_1)
	v_subrev_nc_u32_e32 v39, 28, v36
	v_lshlrev_b64_e32 v[40:41], v39, v[1:2]
	v_sub_nc_u32_e32 v39, 29, v36
	s_delay_alu instid0(VALU_DEP_2)
	v_and_b32_e32 v36, 7, v40
; %bb.119:                              ;   in Loop: Header=BB276_10 Depth=1
	s_wait_alu 0xfffe
	s_or_b32 exec_lo, exec_lo, s35
	v_lshlrev_b32_e32 v1, 8, v38
	v_lshl_add_u32 v38, v39, 10, 0x2000
	v_lshlrev_b32_e32 v36, 23, v36
	s_delay_alu instid0(VALU_DEP_2) | instskip(NEXT) | instid1(VALU_DEP_1)
	v_and_or_b32 v1, 0x8000, v1, v38
	v_lshl_or_b32 v36, v1, 16, v36
.LBB276_120:                            ;   in Loop: Header=BB276_10 Depth=1
	s_wait_alu 0xfffe
	s_or_b32 exec_lo, exec_lo, s34
.LBB276_121:                            ;   in Loop: Header=BB276_10 Depth=1
	s_delay_alu instid0(SALU_CYCLE_1)
	s_or_b32 exec_lo, exec_lo, s33
.LBB276_122:                            ;   in Loop: Header=BB276_10 Depth=1
	s_wait_alu 0xfffe
	s_or_b32 exec_lo, exec_lo, s5
	v_lshrrev_b32_e32 v1, 16, v9
	v_mov_b32_e32 v38, 0
	s_mov_b32 s5, exec_lo
	s_delay_alu instid0(VALU_DEP_2) | instskip(NEXT) | instid1(VALU_DEP_1)
	v_dual_mov_b32 v39, 0 :: v_dual_and_b32 v40, 0xff, v1
	v_cmpx_ne_u16_e32 0, v40
	s_cbranch_execz .LBB276_130
; %bb.123:                              ;   in Loop: Header=BB276_10 Depth=1
	v_mov_b32_e32 v39, 0x8000
	s_mov_b32 s33, exec_lo
	v_cmpx_ne_u16_e32 0x80, v40
	s_cbranch_execz .LBB276_129
; %bb.124:                              ;   in Loop: Header=BB276_10 Depth=1
	v_bfe_u32 v41, v9, 16, 7
	v_mov_b32_e32 v39, 0x7c01
	s_mov_b32 s34, exec_lo
	s_delay_alu instid0(VALU_DEP_2)
	v_cmpx_ne_u32_e32 0x7f, v41
	s_cbranch_execz .LBB276_128
; %bb.125:                              ;   in Loop: Header=BB276_10 Depth=1
	v_and_b32_e32 v39, 7, v1
	v_lshrrev_b32_e32 v40, 3, v41
	s_mov_b32 s35, exec_lo
	v_cmpx_gt_u32_e32 8, v41
; %bb.126:                              ;   in Loop: Header=BB276_10 Depth=1
	s_delay_alu instid0(VALU_DEP_3) | instskip(NEXT) | instid1(VALU_DEP_1)
	v_clz_i32_u32_e32 v39, v39
	v_min_u32_e32 v41, 32, v39
	s_delay_alu instid0(VALU_DEP_1) | instskip(NEXT) | instid1(VALU_DEP_1)
	v_subrev_nc_u32_e32 v39, 28, v41
	v_lshlrev_b64_e32 v[39:40], v39, v[1:2]
	v_sub_nc_u32_e32 v40, 29, v41
	s_delay_alu instid0(VALU_DEP_2)
	v_and_b32_e32 v39, 7, v39
; %bb.127:                              ;   in Loop: Header=BB276_10 Depth=1
	s_wait_alu 0xfffe
	s_or_b32 exec_lo, exec_lo, s35
	v_lshlrev_b32_e32 v1, 8, v1
	v_lshl_add_u32 v40, v40, 10, 0x2000
	v_lshlrev_b32_e32 v39, 7, v39
	s_delay_alu instid0(VALU_DEP_3) | instskip(NEXT) | instid1(VALU_DEP_3)
	v_and_b32_e32 v1, 0x8000, v1
	v_and_b32_e32 v40, 0xfc00, v40
	s_delay_alu instid0(VALU_DEP_1)
	v_or3_b32 v39, v1, v40, v39
.LBB276_128:                            ;   in Loop: Header=BB276_10 Depth=1
	s_wait_alu 0xfffe
	s_or_b32 exec_lo, exec_lo, s34
.LBB276_129:                            ;   in Loop: Header=BB276_10 Depth=1
	s_delay_alu instid0(SALU_CYCLE_1)
	s_or_b32 exec_lo, exec_lo, s33
.LBB276_130:                            ;   in Loop: Header=BB276_10 Depth=1
	s_wait_alu 0xfffe
	s_or_b32 exec_lo, exec_lo, s5
	s_delay_alu instid0(SALU_CYCLE_1)
	s_mov_b32 s5, exec_lo
	v_cmpx_lt_u32_e32 0xffffff, v9
	s_cbranch_execz .LBB276_138
; %bb.131:                              ;   in Loop: Header=BB276_10 Depth=1
	v_lshrrev_b32_e32 v1, 24, v9
	v_bfrev_b32_e32 v38, 1
	s_mov_b32 s33, exec_lo
	s_delay_alu instid0(VALU_DEP_2)
	v_cmpx_ne_u32_e32 0x80, v1
	s_cbranch_execz .LBB276_137
; %bb.132:                              ;   in Loop: Header=BB276_10 Depth=1
	v_and_b32_e32 v40, 0x7f, v1
	v_mov_b32_e32 v38, 0x7c010000
	s_mov_b32 s34, exec_lo
	s_delay_alu instid0(VALU_DEP_2)
	v_cmpx_ne_u32_e32 0x7f, v40
	s_cbranch_execz .LBB276_136
; %bb.133:                              ;   in Loop: Header=BB276_10 Depth=1
	v_and_b32_e32 v9, 7, v1
	v_lshrrev_b32_e32 v38, 3, v40
	s_mov_b32 s35, exec_lo
	v_cmpx_gt_u32_e32 8, v40
; %bb.134:                              ;   in Loop: Header=BB276_10 Depth=1
	s_delay_alu instid0(VALU_DEP_3) | instskip(NEXT) | instid1(VALU_DEP_1)
	v_clz_i32_u32_e32 v9, v9
	v_min_u32_e32 v9, 32, v9
	s_delay_alu instid0(VALU_DEP_1) | instskip(NEXT) | instid1(VALU_DEP_1)
	v_subrev_nc_u32_e32 v38, 28, v9
	v_lshlrev_b64_e32 v[40:41], v38, v[1:2]
	v_sub_nc_u32_e32 v38, 29, v9
	s_delay_alu instid0(VALU_DEP_2)
	v_and_b32_e32 v9, 7, v40
; %bb.135:                              ;   in Loop: Header=BB276_10 Depth=1
	s_wait_alu 0xfffe
	s_or_b32 exec_lo, exec_lo, s35
	v_lshlrev_b32_e32 v1, 8, v1
	v_lshl_add_u32 v38, v38, 10, 0x2000
	v_lshlrev_b32_e32 v9, 23, v9
	s_delay_alu instid0(VALU_DEP_2) | instskip(NEXT) | instid1(VALU_DEP_1)
	v_and_or_b32 v1, 0x8000, v1, v38
	v_lshl_or_b32 v38, v1, 16, v9
.LBB276_136:                            ;   in Loop: Header=BB276_10 Depth=1
	s_wait_alu 0xfffe
	s_or_b32 exec_lo, exec_lo, s34
.LBB276_137:                            ;   in Loop: Header=BB276_10 Depth=1
	s_delay_alu instid0(SALU_CYCLE_1)
	s_or_b32 exec_lo, exec_lo, s33
.LBB276_138:                            ;   in Loop: Header=BB276_10 Depth=1
	s_wait_alu 0xfffe
	s_or_b32 exec_lo, exec_lo, s5
	global_load_b32 v9, v[7:8], off offset:512
	v_mov_b32_e32 v41, 0
	s_mov_b32 s5, exec_lo
	s_wait_loadcnt 0x0
	v_dual_mov_b32 v40, 0 :: v_dual_and_b32 v1, 0xff, v9
	s_delay_alu instid0(VALU_DEP_1)
	v_cmpx_ne_u16_e32 0, v1
	s_cbranch_execz .LBB276_146
; %bb.139:                              ;   in Loop: Header=BB276_10 Depth=1
	v_mov_b32_e32 v41, 0x8000
	s_mov_b32 s33, exec_lo
	v_cmpx_ne_u16_e32 0x80, v1
	s_cbranch_execz .LBB276_145
; %bb.140:                              ;   in Loop: Header=BB276_10 Depth=1
	v_and_b32_e32 v42, 0x7f, v9
	v_mov_b32_e32 v41, 0x7c01
	s_mov_b32 s34, exec_lo
	s_delay_alu instid0(VALU_DEP_2)
	v_cmpx_ne_u32_e32 0x7f, v42
	s_cbranch_execz .LBB276_144
; %bb.141:                              ;   in Loop: Header=BB276_10 Depth=1
	v_and_b32_e32 v1, 7, v9
	v_lshrrev_b32_e32 v41, 3, v42
	s_mov_b32 s35, exec_lo
	v_cmpx_gt_u32_e32 8, v42
; %bb.142:                              ;   in Loop: Header=BB276_10 Depth=1
	s_delay_alu instid0(VALU_DEP_3) | instskip(NEXT) | instid1(VALU_DEP_1)
	v_clz_i32_u32_e32 v1, v1
	v_min_u32_e32 v1, 32, v1
	s_delay_alu instid0(VALU_DEP_1) | instskip(NEXT) | instid1(VALU_DEP_1)
	v_subrev_nc_u32_e32 v41, 28, v1
	v_lshlrev_b64_e32 v[42:43], v41, v[9:10]
	v_sub_nc_u32_e32 v41, 29, v1
	s_delay_alu instid0(VALU_DEP_2)
	v_and_b32_e32 v1, 7, v42
; %bb.143:                              ;   in Loop: Header=BB276_10 Depth=1
	s_wait_alu 0xfffe
	s_or_b32 exec_lo, exec_lo, s35
	v_lshlrev_b32_e32 v42, 8, v9
	v_lshl_add_u32 v41, v41, 10, 0x2000
	v_lshlrev_b32_e32 v1, 7, v1
	s_delay_alu instid0(VALU_DEP_3) | instskip(NEXT) | instid1(VALU_DEP_3)
	v_and_b32_e32 v42, 0x8000, v42
	v_and_b32_e32 v41, 0xfc00, v41
	s_delay_alu instid0(VALU_DEP_1)
	v_or3_b32 v41, v42, v41, v1
.LBB276_144:                            ;   in Loop: Header=BB276_10 Depth=1
	s_wait_alu 0xfffe
	s_or_b32 exec_lo, exec_lo, s34
.LBB276_145:                            ;   in Loop: Header=BB276_10 Depth=1
	s_delay_alu instid0(SALU_CYCLE_1)
	s_or_b32 exec_lo, exec_lo, s33
.LBB276_146:                            ;   in Loop: Header=BB276_10 Depth=1
	s_wait_alu 0xfffe
	s_or_b32 exec_lo, exec_lo, s5
	v_lshrrev_b16 v1, 8, v9
	s_mov_b32 s5, exec_lo
	s_delay_alu instid0(VALU_DEP_1)
	v_cmpx_ne_u16_e32 0, v1
	s_cbranch_execz .LBB276_154
; %bb.147:                              ;   in Loop: Header=BB276_10 Depth=1
	v_bfrev_b32_e32 v40, 1
	s_mov_b32 s33, exec_lo
	v_cmpx_ne_u16_e32 0x80, v1
	s_cbranch_execz .LBB276_153
; %bb.148:                              ;   in Loop: Header=BB276_10 Depth=1
	v_and_b32_e32 v42, 0xffff, v1
	v_mov_b32_e32 v40, 0x7c010000
	s_mov_b32 s34, exec_lo
	s_delay_alu instid0(VALU_DEP_2) | instskip(NEXT) | instid1(VALU_DEP_1)
	v_and_b32_e32 v44, 0x7f, v42
	v_cmpx_ne_u32_e32 0x7f, v44
	s_cbranch_execz .LBB276_152
; %bb.149:                              ;   in Loop: Header=BB276_10 Depth=1
	v_and_b32_e32 v40, 7, v42
	v_lshrrev_b32_e32 v43, 3, v44
	s_mov_b32 s35, exec_lo
	v_cmpx_gt_u32_e32 8, v44
; %bb.150:                              ;   in Loop: Header=BB276_10 Depth=1
	s_delay_alu instid0(VALU_DEP_3) | instskip(NEXT) | instid1(VALU_DEP_1)
	v_clz_i32_u32_e32 v40, v40
	v_min_u32_e32 v40, 32, v40
	s_delay_alu instid0(VALU_DEP_1) | instskip(NEXT) | instid1(VALU_DEP_1)
	v_subrev_nc_u32_e32 v43, 28, v40
	v_lshlrev_b64_e32 v[44:45], v43, v[1:2]
	v_sub_nc_u32_e32 v43, 29, v40
	s_delay_alu instid0(VALU_DEP_2)
	v_and_b32_e32 v40, 7, v44
; %bb.151:                              ;   in Loop: Header=BB276_10 Depth=1
	s_wait_alu 0xfffe
	s_or_b32 exec_lo, exec_lo, s35
	v_lshlrev_b32_e32 v1, 8, v42
	v_lshl_add_u32 v42, v43, 10, 0x2000
	v_lshlrev_b32_e32 v40, 23, v40
	s_delay_alu instid0(VALU_DEP_2) | instskip(NEXT) | instid1(VALU_DEP_1)
	v_and_or_b32 v1, 0x8000, v1, v42
	v_lshl_or_b32 v40, v1, 16, v40
.LBB276_152:                            ;   in Loop: Header=BB276_10 Depth=1
	s_wait_alu 0xfffe
	s_or_b32 exec_lo, exec_lo, s34
.LBB276_153:                            ;   in Loop: Header=BB276_10 Depth=1
	s_delay_alu instid0(SALU_CYCLE_1)
	s_or_b32 exec_lo, exec_lo, s33
.LBB276_154:                            ;   in Loop: Header=BB276_10 Depth=1
	s_wait_alu 0xfffe
	s_or_b32 exec_lo, exec_lo, s5
	v_lshrrev_b32_e32 v1, 16, v9
	v_mov_b32_e32 v42, 0
	s_mov_b32 s5, exec_lo
	s_delay_alu instid0(VALU_DEP_2) | instskip(NEXT) | instid1(VALU_DEP_1)
	v_dual_mov_b32 v43, 0 :: v_dual_and_b32 v44, 0xff, v1
	v_cmpx_ne_u16_e32 0, v44
	s_cbranch_execz .LBB276_162
; %bb.155:                              ;   in Loop: Header=BB276_10 Depth=1
	v_mov_b32_e32 v43, 0x8000
	s_mov_b32 s33, exec_lo
	v_cmpx_ne_u16_e32 0x80, v44
	s_cbranch_execz .LBB276_161
; %bb.156:                              ;   in Loop: Header=BB276_10 Depth=1
	v_bfe_u32 v45, v9, 16, 7
	v_mov_b32_e32 v43, 0x7c01
	s_mov_b32 s34, exec_lo
	s_delay_alu instid0(VALU_DEP_2)
	v_cmpx_ne_u32_e32 0x7f, v45
	s_cbranch_execz .LBB276_160
; %bb.157:                              ;   in Loop: Header=BB276_10 Depth=1
	v_and_b32_e32 v43, 7, v1
	v_lshrrev_b32_e32 v44, 3, v45
	s_mov_b32 s35, exec_lo
	v_cmpx_gt_u32_e32 8, v45
; %bb.158:                              ;   in Loop: Header=BB276_10 Depth=1
	s_delay_alu instid0(VALU_DEP_3) | instskip(NEXT) | instid1(VALU_DEP_1)
	v_clz_i32_u32_e32 v43, v43
	v_min_u32_e32 v45, 32, v43
	s_delay_alu instid0(VALU_DEP_1) | instskip(NEXT) | instid1(VALU_DEP_1)
	v_subrev_nc_u32_e32 v43, 28, v45
	v_lshlrev_b64_e32 v[43:44], v43, v[1:2]
	v_sub_nc_u32_e32 v44, 29, v45
	s_delay_alu instid0(VALU_DEP_2)
	v_and_b32_e32 v43, 7, v43
; %bb.159:                              ;   in Loop: Header=BB276_10 Depth=1
	s_wait_alu 0xfffe
	s_or_b32 exec_lo, exec_lo, s35
	v_lshlrev_b32_e32 v1, 8, v1
	v_lshl_add_u32 v44, v44, 10, 0x2000
	v_lshlrev_b32_e32 v43, 7, v43
	s_delay_alu instid0(VALU_DEP_3) | instskip(NEXT) | instid1(VALU_DEP_3)
	v_and_b32_e32 v1, 0x8000, v1
	v_and_b32_e32 v44, 0xfc00, v44
	s_delay_alu instid0(VALU_DEP_1)
	v_or3_b32 v43, v1, v44, v43
.LBB276_160:                            ;   in Loop: Header=BB276_10 Depth=1
	s_wait_alu 0xfffe
	s_or_b32 exec_lo, exec_lo, s34
.LBB276_161:                            ;   in Loop: Header=BB276_10 Depth=1
	s_delay_alu instid0(SALU_CYCLE_1)
	s_or_b32 exec_lo, exec_lo, s33
.LBB276_162:                            ;   in Loop: Header=BB276_10 Depth=1
	s_wait_alu 0xfffe
	s_or_b32 exec_lo, exec_lo, s5
	s_delay_alu instid0(SALU_CYCLE_1)
	s_mov_b32 s5, exec_lo
	v_cmpx_lt_u32_e32 0xffffff, v9
	s_cbranch_execz .LBB276_170
; %bb.163:                              ;   in Loop: Header=BB276_10 Depth=1
	v_lshrrev_b32_e32 v1, 24, v9
	v_bfrev_b32_e32 v42, 1
	s_mov_b32 s33, exec_lo
	s_delay_alu instid0(VALU_DEP_2)
	v_cmpx_ne_u32_e32 0x80, v1
	s_cbranch_execz .LBB276_169
; %bb.164:                              ;   in Loop: Header=BB276_10 Depth=1
	v_and_b32_e32 v44, 0x7f, v1
	v_mov_b32_e32 v42, 0x7c010000
	s_mov_b32 s34, exec_lo
	s_delay_alu instid0(VALU_DEP_2)
	v_cmpx_ne_u32_e32 0x7f, v44
	s_cbranch_execz .LBB276_168
; %bb.165:                              ;   in Loop: Header=BB276_10 Depth=1
	v_and_b32_e32 v9, 7, v1
	v_lshrrev_b32_e32 v42, 3, v44
	s_mov_b32 s35, exec_lo
	v_cmpx_gt_u32_e32 8, v44
; %bb.166:                              ;   in Loop: Header=BB276_10 Depth=1
	s_delay_alu instid0(VALU_DEP_3) | instskip(NEXT) | instid1(VALU_DEP_1)
	v_clz_i32_u32_e32 v9, v9
	v_min_u32_e32 v9, 32, v9
	s_delay_alu instid0(VALU_DEP_1) | instskip(NEXT) | instid1(VALU_DEP_1)
	v_subrev_nc_u32_e32 v42, 28, v9
	v_lshlrev_b64_e32 v[44:45], v42, v[1:2]
	v_sub_nc_u32_e32 v42, 29, v9
	s_delay_alu instid0(VALU_DEP_2)
	v_and_b32_e32 v9, 7, v44
; %bb.167:                              ;   in Loop: Header=BB276_10 Depth=1
	s_wait_alu 0xfffe
	s_or_b32 exec_lo, exec_lo, s35
	v_lshlrev_b32_e32 v1, 8, v1
	v_lshl_add_u32 v42, v42, 10, 0x2000
	v_lshlrev_b32_e32 v9, 23, v9
	s_delay_alu instid0(VALU_DEP_2) | instskip(NEXT) | instid1(VALU_DEP_1)
	v_and_or_b32 v1, 0x8000, v1, v42
	v_lshl_or_b32 v42, v1, 16, v9
.LBB276_168:                            ;   in Loop: Header=BB276_10 Depth=1
	s_wait_alu 0xfffe
	s_or_b32 exec_lo, exec_lo, s34
.LBB276_169:                            ;   in Loop: Header=BB276_10 Depth=1
	s_delay_alu instid0(SALU_CYCLE_1)
	s_or_b32 exec_lo, exec_lo, s33
.LBB276_170:                            ;   in Loop: Header=BB276_10 Depth=1
	s_wait_alu 0xfffe
	s_or_b32 exec_lo, exec_lo, s5
	global_load_b32 v9, v[7:8], off offset:520
	v_mov_b32_e32 v45, 0
	s_mov_b32 s5, exec_lo
	s_wait_loadcnt 0x0
	v_dual_mov_b32 v44, 0 :: v_dual_and_b32 v1, 0xff, v9
	s_delay_alu instid0(VALU_DEP_1)
	v_cmpx_ne_u16_e32 0, v1
	s_cbranch_execz .LBB276_178
; %bb.171:                              ;   in Loop: Header=BB276_10 Depth=1
	v_mov_b32_e32 v45, 0x8000
	s_mov_b32 s33, exec_lo
	v_cmpx_ne_u16_e32 0x80, v1
	s_cbranch_execz .LBB276_177
; %bb.172:                              ;   in Loop: Header=BB276_10 Depth=1
	v_and_b32_e32 v46, 0x7f, v9
	v_mov_b32_e32 v45, 0x7c01
	s_mov_b32 s34, exec_lo
	s_delay_alu instid0(VALU_DEP_2)
	v_cmpx_ne_u32_e32 0x7f, v46
	s_cbranch_execz .LBB276_176
; %bb.173:                              ;   in Loop: Header=BB276_10 Depth=1
	v_and_b32_e32 v1, 7, v9
	v_lshrrev_b32_e32 v45, 3, v46
	s_mov_b32 s35, exec_lo
	v_cmpx_gt_u32_e32 8, v46
; %bb.174:                              ;   in Loop: Header=BB276_10 Depth=1
	s_delay_alu instid0(VALU_DEP_3) | instskip(NEXT) | instid1(VALU_DEP_1)
	v_clz_i32_u32_e32 v1, v1
	v_min_u32_e32 v1, 32, v1
	s_delay_alu instid0(VALU_DEP_1) | instskip(NEXT) | instid1(VALU_DEP_1)
	v_subrev_nc_u32_e32 v45, 28, v1
	v_lshlrev_b64_e32 v[46:47], v45, v[9:10]
	v_sub_nc_u32_e32 v45, 29, v1
	s_delay_alu instid0(VALU_DEP_2)
	v_and_b32_e32 v1, 7, v46
; %bb.175:                              ;   in Loop: Header=BB276_10 Depth=1
	s_wait_alu 0xfffe
	s_or_b32 exec_lo, exec_lo, s35
	v_lshlrev_b32_e32 v46, 8, v9
	v_lshl_add_u32 v45, v45, 10, 0x2000
	v_lshlrev_b32_e32 v1, 7, v1
	s_delay_alu instid0(VALU_DEP_3) | instskip(NEXT) | instid1(VALU_DEP_3)
	v_and_b32_e32 v46, 0x8000, v46
	v_and_b32_e32 v45, 0xfc00, v45
	s_delay_alu instid0(VALU_DEP_1)
	v_or3_b32 v45, v46, v45, v1
.LBB276_176:                            ;   in Loop: Header=BB276_10 Depth=1
	s_wait_alu 0xfffe
	s_or_b32 exec_lo, exec_lo, s34
.LBB276_177:                            ;   in Loop: Header=BB276_10 Depth=1
	s_delay_alu instid0(SALU_CYCLE_1)
	s_or_b32 exec_lo, exec_lo, s33
.LBB276_178:                            ;   in Loop: Header=BB276_10 Depth=1
	s_wait_alu 0xfffe
	s_or_b32 exec_lo, exec_lo, s5
	v_lshrrev_b16 v1, 8, v9
	s_mov_b32 s5, exec_lo
	s_delay_alu instid0(VALU_DEP_1)
	v_cmpx_ne_u16_e32 0, v1
	s_cbranch_execz .LBB276_186
; %bb.179:                              ;   in Loop: Header=BB276_10 Depth=1
	v_bfrev_b32_e32 v44, 1
	s_mov_b32 s33, exec_lo
	v_cmpx_ne_u16_e32 0x80, v1
	s_cbranch_execz .LBB276_185
; %bb.180:                              ;   in Loop: Header=BB276_10 Depth=1
	v_and_b32_e32 v46, 0xffff, v1
	v_mov_b32_e32 v44, 0x7c010000
	s_mov_b32 s34, exec_lo
	s_delay_alu instid0(VALU_DEP_2) | instskip(NEXT) | instid1(VALU_DEP_1)
	v_and_b32_e32 v48, 0x7f, v46
	v_cmpx_ne_u32_e32 0x7f, v48
	s_cbranch_execz .LBB276_184
; %bb.181:                              ;   in Loop: Header=BB276_10 Depth=1
	v_and_b32_e32 v44, 7, v46
	v_lshrrev_b32_e32 v47, 3, v48
	s_mov_b32 s35, exec_lo
	v_cmpx_gt_u32_e32 8, v48
; %bb.182:                              ;   in Loop: Header=BB276_10 Depth=1
	s_delay_alu instid0(VALU_DEP_3) | instskip(NEXT) | instid1(VALU_DEP_1)
	v_clz_i32_u32_e32 v44, v44
	v_min_u32_e32 v44, 32, v44
	s_delay_alu instid0(VALU_DEP_1) | instskip(NEXT) | instid1(VALU_DEP_1)
	v_subrev_nc_u32_e32 v47, 28, v44
	v_lshlrev_b64_e32 v[48:49], v47, v[1:2]
	v_sub_nc_u32_e32 v47, 29, v44
	s_delay_alu instid0(VALU_DEP_2)
	v_and_b32_e32 v44, 7, v48
; %bb.183:                              ;   in Loop: Header=BB276_10 Depth=1
	s_wait_alu 0xfffe
	s_or_b32 exec_lo, exec_lo, s35
	v_lshlrev_b32_e32 v1, 8, v46
	v_lshl_add_u32 v46, v47, 10, 0x2000
	v_lshlrev_b32_e32 v44, 23, v44
	s_delay_alu instid0(VALU_DEP_2) | instskip(NEXT) | instid1(VALU_DEP_1)
	v_and_or_b32 v1, 0x8000, v1, v46
	v_lshl_or_b32 v44, v1, 16, v44
.LBB276_184:                            ;   in Loop: Header=BB276_10 Depth=1
	s_wait_alu 0xfffe
	s_or_b32 exec_lo, exec_lo, s34
.LBB276_185:                            ;   in Loop: Header=BB276_10 Depth=1
	s_delay_alu instid0(SALU_CYCLE_1)
	s_or_b32 exec_lo, exec_lo, s33
.LBB276_186:                            ;   in Loop: Header=BB276_10 Depth=1
	s_wait_alu 0xfffe
	s_or_b32 exec_lo, exec_lo, s5
	v_lshrrev_b32_e32 v1, 16, v9
	v_mov_b32_e32 v46, 0
	s_mov_b32 s5, exec_lo
	s_delay_alu instid0(VALU_DEP_2) | instskip(NEXT) | instid1(VALU_DEP_1)
	v_dual_mov_b32 v47, 0 :: v_dual_and_b32 v48, 0xff, v1
	v_cmpx_ne_u16_e32 0, v48
	s_cbranch_execz .LBB276_194
; %bb.187:                              ;   in Loop: Header=BB276_10 Depth=1
	v_mov_b32_e32 v47, 0x8000
	s_mov_b32 s33, exec_lo
	v_cmpx_ne_u16_e32 0x80, v48
	s_cbranch_execz .LBB276_193
; %bb.188:                              ;   in Loop: Header=BB276_10 Depth=1
	v_bfe_u32 v49, v9, 16, 7
	v_mov_b32_e32 v47, 0x7c01
	s_mov_b32 s34, exec_lo
	s_delay_alu instid0(VALU_DEP_2)
	v_cmpx_ne_u32_e32 0x7f, v49
	s_cbranch_execz .LBB276_192
; %bb.189:                              ;   in Loop: Header=BB276_10 Depth=1
	v_and_b32_e32 v47, 7, v1
	v_lshrrev_b32_e32 v48, 3, v49
	s_mov_b32 s35, exec_lo
	v_cmpx_gt_u32_e32 8, v49
; %bb.190:                              ;   in Loop: Header=BB276_10 Depth=1
	s_delay_alu instid0(VALU_DEP_3) | instskip(NEXT) | instid1(VALU_DEP_1)
	v_clz_i32_u32_e32 v47, v47
	v_min_u32_e32 v49, 32, v47
	s_delay_alu instid0(VALU_DEP_1) | instskip(NEXT) | instid1(VALU_DEP_1)
	v_subrev_nc_u32_e32 v47, 28, v49
	v_lshlrev_b64_e32 v[47:48], v47, v[1:2]
	v_sub_nc_u32_e32 v48, 29, v49
	s_delay_alu instid0(VALU_DEP_2)
	v_and_b32_e32 v47, 7, v47
; %bb.191:                              ;   in Loop: Header=BB276_10 Depth=1
	s_wait_alu 0xfffe
	s_or_b32 exec_lo, exec_lo, s35
	v_lshlrev_b32_e32 v1, 8, v1
	v_lshl_add_u32 v48, v48, 10, 0x2000
	v_lshlrev_b32_e32 v47, 7, v47
	s_delay_alu instid0(VALU_DEP_3) | instskip(NEXT) | instid1(VALU_DEP_3)
	v_and_b32_e32 v1, 0x8000, v1
	v_and_b32_e32 v48, 0xfc00, v48
	s_delay_alu instid0(VALU_DEP_1)
	v_or3_b32 v47, v1, v48, v47
.LBB276_192:                            ;   in Loop: Header=BB276_10 Depth=1
	s_wait_alu 0xfffe
	s_or_b32 exec_lo, exec_lo, s34
.LBB276_193:                            ;   in Loop: Header=BB276_10 Depth=1
	s_delay_alu instid0(SALU_CYCLE_1)
	s_or_b32 exec_lo, exec_lo, s33
.LBB276_194:                            ;   in Loop: Header=BB276_10 Depth=1
	s_wait_alu 0xfffe
	s_or_b32 exec_lo, exec_lo, s5
	s_delay_alu instid0(SALU_CYCLE_1)
	s_mov_b32 s5, exec_lo
	v_cmpx_lt_u32_e32 0xffffff, v9
	s_cbranch_execz .LBB276_202
; %bb.195:                              ;   in Loop: Header=BB276_10 Depth=1
	v_lshrrev_b32_e32 v1, 24, v9
	v_bfrev_b32_e32 v46, 1
	s_mov_b32 s33, exec_lo
	s_delay_alu instid0(VALU_DEP_2)
	v_cmpx_ne_u32_e32 0x80, v1
	s_cbranch_execz .LBB276_201
; %bb.196:                              ;   in Loop: Header=BB276_10 Depth=1
	v_and_b32_e32 v48, 0x7f, v1
	v_mov_b32_e32 v46, 0x7c010000
	s_mov_b32 s34, exec_lo
	s_delay_alu instid0(VALU_DEP_2)
	v_cmpx_ne_u32_e32 0x7f, v48
	s_cbranch_execz .LBB276_200
; %bb.197:                              ;   in Loop: Header=BB276_10 Depth=1
	v_and_b32_e32 v9, 7, v1
	v_lshrrev_b32_e32 v46, 3, v48
	s_mov_b32 s35, exec_lo
	v_cmpx_gt_u32_e32 8, v48
; %bb.198:                              ;   in Loop: Header=BB276_10 Depth=1
	s_delay_alu instid0(VALU_DEP_3) | instskip(NEXT) | instid1(VALU_DEP_1)
	v_clz_i32_u32_e32 v9, v9
	v_min_u32_e32 v9, 32, v9
	s_delay_alu instid0(VALU_DEP_1) | instskip(NEXT) | instid1(VALU_DEP_1)
	v_subrev_nc_u32_e32 v46, 28, v9
	v_lshlrev_b64_e32 v[48:49], v46, v[1:2]
	v_sub_nc_u32_e32 v46, 29, v9
	s_delay_alu instid0(VALU_DEP_2)
	v_and_b32_e32 v9, 7, v48
; %bb.199:                              ;   in Loop: Header=BB276_10 Depth=1
	s_wait_alu 0xfffe
	s_or_b32 exec_lo, exec_lo, s35
	v_lshlrev_b32_e32 v1, 8, v1
	v_lshl_add_u32 v46, v46, 10, 0x2000
	v_lshlrev_b32_e32 v9, 23, v9
	s_delay_alu instid0(VALU_DEP_2) | instskip(NEXT) | instid1(VALU_DEP_1)
	v_and_or_b32 v1, 0x8000, v1, v46
	v_lshl_or_b32 v46, v1, 16, v9
.LBB276_200:                            ;   in Loop: Header=BB276_10 Depth=1
	s_wait_alu 0xfffe
	s_or_b32 exec_lo, exec_lo, s34
.LBB276_201:                            ;   in Loop: Header=BB276_10 Depth=1
	s_delay_alu instid0(SALU_CYCLE_1)
	s_or_b32 exec_lo, exec_lo, s33
.LBB276_202:                            ;   in Loop: Header=BB276_10 Depth=1
	s_wait_alu 0xfffe
	s_or_b32 exec_lo, exec_lo, s5
	global_load_b32 v9, v[7:8], off offset:768
	v_mov_b32_e32 v49, 0
	s_mov_b32 s5, exec_lo
	s_wait_loadcnt 0x0
	v_dual_mov_b32 v48, 0 :: v_dual_and_b32 v1, 0xff, v9
	s_delay_alu instid0(VALU_DEP_1)
	v_cmpx_ne_u16_e32 0, v1
	s_cbranch_execz .LBB276_210
; %bb.203:                              ;   in Loop: Header=BB276_10 Depth=1
	v_mov_b32_e32 v49, 0x8000
	s_mov_b32 s33, exec_lo
	v_cmpx_ne_u16_e32 0x80, v1
	s_cbranch_execz .LBB276_209
; %bb.204:                              ;   in Loop: Header=BB276_10 Depth=1
	v_and_b32_e32 v50, 0x7f, v9
	v_mov_b32_e32 v49, 0x7c01
	s_mov_b32 s34, exec_lo
	s_delay_alu instid0(VALU_DEP_2)
	v_cmpx_ne_u32_e32 0x7f, v50
	s_cbranch_execz .LBB276_208
; %bb.205:                              ;   in Loop: Header=BB276_10 Depth=1
	v_and_b32_e32 v1, 7, v9
	v_lshrrev_b32_e32 v49, 3, v50
	s_mov_b32 s35, exec_lo
	v_cmpx_gt_u32_e32 8, v50
; %bb.206:                              ;   in Loop: Header=BB276_10 Depth=1
	s_delay_alu instid0(VALU_DEP_3) | instskip(NEXT) | instid1(VALU_DEP_1)
	v_clz_i32_u32_e32 v1, v1
	v_min_u32_e32 v1, 32, v1
	s_delay_alu instid0(VALU_DEP_1) | instskip(NEXT) | instid1(VALU_DEP_1)
	v_subrev_nc_u32_e32 v49, 28, v1
	v_lshlrev_b64_e32 v[50:51], v49, v[9:10]
	v_sub_nc_u32_e32 v49, 29, v1
	s_delay_alu instid0(VALU_DEP_2)
	v_and_b32_e32 v1, 7, v50
; %bb.207:                              ;   in Loop: Header=BB276_10 Depth=1
	s_wait_alu 0xfffe
	s_or_b32 exec_lo, exec_lo, s35
	v_lshlrev_b32_e32 v50, 8, v9
	v_lshl_add_u32 v49, v49, 10, 0x2000
	v_lshlrev_b32_e32 v1, 7, v1
	s_delay_alu instid0(VALU_DEP_3) | instskip(NEXT) | instid1(VALU_DEP_3)
	v_and_b32_e32 v50, 0x8000, v50
	v_and_b32_e32 v49, 0xfc00, v49
	s_delay_alu instid0(VALU_DEP_1)
	v_or3_b32 v49, v50, v49, v1
.LBB276_208:                            ;   in Loop: Header=BB276_10 Depth=1
	s_wait_alu 0xfffe
	s_or_b32 exec_lo, exec_lo, s34
.LBB276_209:                            ;   in Loop: Header=BB276_10 Depth=1
	s_delay_alu instid0(SALU_CYCLE_1)
	s_or_b32 exec_lo, exec_lo, s33
.LBB276_210:                            ;   in Loop: Header=BB276_10 Depth=1
	s_wait_alu 0xfffe
	s_or_b32 exec_lo, exec_lo, s5
	v_lshrrev_b16 v1, 8, v9
	s_mov_b32 s5, exec_lo
	s_delay_alu instid0(VALU_DEP_1)
	v_cmpx_ne_u16_e32 0, v1
	s_cbranch_execz .LBB276_218
; %bb.211:                              ;   in Loop: Header=BB276_10 Depth=1
	v_bfrev_b32_e32 v48, 1
	s_mov_b32 s33, exec_lo
	v_cmpx_ne_u16_e32 0x80, v1
	s_cbranch_execz .LBB276_217
; %bb.212:                              ;   in Loop: Header=BB276_10 Depth=1
	v_and_b32_e32 v50, 0xffff, v1
	v_mov_b32_e32 v48, 0x7c010000
	s_mov_b32 s34, exec_lo
	s_delay_alu instid0(VALU_DEP_2) | instskip(NEXT) | instid1(VALU_DEP_1)
	v_and_b32_e32 v52, 0x7f, v50
	v_cmpx_ne_u32_e32 0x7f, v52
	s_cbranch_execz .LBB276_216
; %bb.213:                              ;   in Loop: Header=BB276_10 Depth=1
	v_and_b32_e32 v48, 7, v50
	v_lshrrev_b32_e32 v51, 3, v52
	s_mov_b32 s35, exec_lo
	v_cmpx_gt_u32_e32 8, v52
; %bb.214:                              ;   in Loop: Header=BB276_10 Depth=1
	s_delay_alu instid0(VALU_DEP_3) | instskip(NEXT) | instid1(VALU_DEP_1)
	v_clz_i32_u32_e32 v48, v48
	v_min_u32_e32 v48, 32, v48
	s_delay_alu instid0(VALU_DEP_1) | instskip(NEXT) | instid1(VALU_DEP_1)
	v_subrev_nc_u32_e32 v51, 28, v48
	v_lshlrev_b64_e32 v[52:53], v51, v[1:2]
	v_sub_nc_u32_e32 v51, 29, v48
	s_delay_alu instid0(VALU_DEP_2)
	v_and_b32_e32 v48, 7, v52
; %bb.215:                              ;   in Loop: Header=BB276_10 Depth=1
	s_wait_alu 0xfffe
	s_or_b32 exec_lo, exec_lo, s35
	v_lshlrev_b32_e32 v1, 8, v50
	v_lshl_add_u32 v50, v51, 10, 0x2000
	v_lshlrev_b32_e32 v48, 23, v48
	s_delay_alu instid0(VALU_DEP_2) | instskip(NEXT) | instid1(VALU_DEP_1)
	v_and_or_b32 v1, 0x8000, v1, v50
	v_lshl_or_b32 v48, v1, 16, v48
.LBB276_216:                            ;   in Loop: Header=BB276_10 Depth=1
	s_wait_alu 0xfffe
	s_or_b32 exec_lo, exec_lo, s34
.LBB276_217:                            ;   in Loop: Header=BB276_10 Depth=1
	s_delay_alu instid0(SALU_CYCLE_1)
	s_or_b32 exec_lo, exec_lo, s33
.LBB276_218:                            ;   in Loop: Header=BB276_10 Depth=1
	s_wait_alu 0xfffe
	s_or_b32 exec_lo, exec_lo, s5
	v_lshrrev_b32_e32 v1, 16, v9
	v_mov_b32_e32 v52, 0
	s_mov_b32 s5, exec_lo
	s_delay_alu instid0(VALU_DEP_2) | instskip(NEXT) | instid1(VALU_DEP_1)
	v_dual_mov_b32 v53, 0 :: v_dual_and_b32 v50, 0xff, v1
	v_cmpx_ne_u16_e32 0, v50
	s_cbranch_execz .LBB276_226
; %bb.219:                              ;   in Loop: Header=BB276_10 Depth=1
	v_mov_b32_e32 v53, 0x8000
	s_mov_b32 s33, exec_lo
	v_cmpx_ne_u16_e32 0x80, v50
	s_cbranch_execz .LBB276_225
; %bb.220:                              ;   in Loop: Header=BB276_10 Depth=1
	v_bfe_u32 v54, v9, 16, 7
	v_mov_b32_e32 v53, 0x7c01
	s_mov_b32 s34, exec_lo
	s_delay_alu instid0(VALU_DEP_2)
	v_cmpx_ne_u32_e32 0x7f, v54
	s_cbranch_execz .LBB276_224
; %bb.221:                              ;   in Loop: Header=BB276_10 Depth=1
	v_and_b32_e32 v50, 7, v1
	v_lshrrev_b32_e32 v51, 3, v54
	s_mov_b32 s35, exec_lo
	v_cmpx_gt_u32_e32 8, v54
; %bb.222:                              ;   in Loop: Header=BB276_10 Depth=1
	s_delay_alu instid0(VALU_DEP_3) | instskip(NEXT) | instid1(VALU_DEP_1)
	v_clz_i32_u32_e32 v50, v50
	v_min_u32_e32 v53, 32, v50
	s_delay_alu instid0(VALU_DEP_1) | instskip(NEXT) | instid1(VALU_DEP_1)
	v_subrev_nc_u32_e32 v50, 28, v53
	v_lshlrev_b64_e32 v[50:51], v50, v[1:2]
	v_sub_nc_u32_e32 v51, 29, v53
	s_delay_alu instid0(VALU_DEP_2)
	v_and_b32_e32 v50, 7, v50
; %bb.223:                              ;   in Loop: Header=BB276_10 Depth=1
	s_wait_alu 0xfffe
	s_or_b32 exec_lo, exec_lo, s35
	v_lshlrev_b32_e32 v1, 8, v1
	v_lshl_add_u32 v51, v51, 10, 0x2000
	v_lshlrev_b32_e32 v50, 7, v50
	s_delay_alu instid0(VALU_DEP_3) | instskip(NEXT) | instid1(VALU_DEP_3)
	v_and_b32_e32 v1, 0x8000, v1
	v_and_b32_e32 v51, 0xfc00, v51
	s_delay_alu instid0(VALU_DEP_1)
	v_or3_b32 v53, v1, v51, v50
.LBB276_224:                            ;   in Loop: Header=BB276_10 Depth=1
	s_wait_alu 0xfffe
	s_or_b32 exec_lo, exec_lo, s34
.LBB276_225:                            ;   in Loop: Header=BB276_10 Depth=1
	s_delay_alu instid0(SALU_CYCLE_1)
	s_or_b32 exec_lo, exec_lo, s33
.LBB276_226:                            ;   in Loop: Header=BB276_10 Depth=1
	s_wait_alu 0xfffe
	s_or_b32 exec_lo, exec_lo, s5
	s_delay_alu instid0(SALU_CYCLE_1)
	s_mov_b32 s5, exec_lo
	v_cmpx_lt_u32_e32 0xffffff, v9
	s_cbranch_execz .LBB276_234
; %bb.227:                              ;   in Loop: Header=BB276_10 Depth=1
	v_lshrrev_b32_e32 v1, 24, v9
	v_bfrev_b32_e32 v52, 1
	s_mov_b32 s33, exec_lo
	s_delay_alu instid0(VALU_DEP_2)
	v_cmpx_ne_u32_e32 0x80, v1
	s_cbranch_execz .LBB276_233
; %bb.228:                              ;   in Loop: Header=BB276_10 Depth=1
	v_and_b32_e32 v51, 0x7f, v1
	v_mov_b32_e32 v52, 0x7c010000
	s_mov_b32 s34, exec_lo
	s_delay_alu instid0(VALU_DEP_2)
	v_cmpx_ne_u32_e32 0x7f, v51
	s_cbranch_execz .LBB276_232
; %bb.229:                              ;   in Loop: Header=BB276_10 Depth=1
	v_and_b32_e32 v9, 7, v1
	v_lshrrev_b32_e32 v50, 3, v51
	s_mov_b32 s35, exec_lo
	v_cmpx_gt_u32_e32 8, v51
; %bb.230:                              ;   in Loop: Header=BB276_10 Depth=1
	s_delay_alu instid0(VALU_DEP_3) | instskip(NEXT) | instid1(VALU_DEP_1)
	v_clz_i32_u32_e32 v9, v9
	v_min_u32_e32 v9, 32, v9
	s_delay_alu instid0(VALU_DEP_1) | instskip(NEXT) | instid1(VALU_DEP_1)
	v_subrev_nc_u32_e32 v50, 28, v9
	v_lshlrev_b64_e32 v[51:52], v50, v[1:2]
	v_sub_nc_u32_e32 v50, 29, v9
	s_delay_alu instid0(VALU_DEP_2)
	v_and_b32_e32 v9, 7, v51
; %bb.231:                              ;   in Loop: Header=BB276_10 Depth=1
	s_wait_alu 0xfffe
	s_or_b32 exec_lo, exec_lo, s35
	v_lshlrev_b32_e32 v1, 8, v1
	v_lshl_add_u32 v50, v50, 10, 0x2000
	v_lshlrev_b32_e32 v9, 23, v9
	s_delay_alu instid0(VALU_DEP_2) | instskip(NEXT) | instid1(VALU_DEP_1)
	v_and_or_b32 v1, 0x8000, v1, v50
	v_lshl_or_b32 v52, v1, 16, v9
.LBB276_232:                            ;   in Loop: Header=BB276_10 Depth=1
	s_wait_alu 0xfffe
	s_or_b32 exec_lo, exec_lo, s34
.LBB276_233:                            ;   in Loop: Header=BB276_10 Depth=1
	s_delay_alu instid0(SALU_CYCLE_1)
	s_or_b32 exec_lo, exec_lo, s33
.LBB276_234:                            ;   in Loop: Header=BB276_10 Depth=1
	s_wait_alu 0xfffe
	s_or_b32 exec_lo, exec_lo, s5
	global_load_b32 v9, v[7:8], off offset:776
	v_mov_b32_e32 v51, 0
	s_mov_b32 s5, exec_lo
	s_wait_loadcnt 0x0
	v_dual_mov_b32 v50, 0 :: v_dual_and_b32 v1, 0xff, v9
	s_delay_alu instid0(VALU_DEP_1)
	v_cmpx_ne_u16_e32 0, v1
	s_cbranch_execz .LBB276_242
; %bb.235:                              ;   in Loop: Header=BB276_10 Depth=1
	v_mov_b32_e32 v51, 0x8000
	s_mov_b32 s33, exec_lo
	v_cmpx_ne_u16_e32 0x80, v1
	s_cbranch_execz .LBB276_241
; %bb.236:                              ;   in Loop: Header=BB276_10 Depth=1
	v_and_b32_e32 v54, 0x7f, v9
	v_mov_b32_e32 v51, 0x7c01
	s_mov_b32 s34, exec_lo
	s_delay_alu instid0(VALU_DEP_2)
	v_cmpx_ne_u32_e32 0x7f, v54
	s_cbranch_execz .LBB276_240
; %bb.237:                              ;   in Loop: Header=BB276_10 Depth=1
	v_and_b32_e32 v1, 7, v9
	v_lshrrev_b32_e32 v51, 3, v54
	s_mov_b32 s35, exec_lo
	v_cmpx_gt_u32_e32 8, v54
; %bb.238:                              ;   in Loop: Header=BB276_10 Depth=1
	s_delay_alu instid0(VALU_DEP_3) | instskip(NEXT) | instid1(VALU_DEP_1)
	v_clz_i32_u32_e32 v1, v1
	v_min_u32_e32 v1, 32, v1
	s_delay_alu instid0(VALU_DEP_1) | instskip(NEXT) | instid1(VALU_DEP_1)
	v_subrev_nc_u32_e32 v51, 28, v1
	v_lshlrev_b64_e32 v[54:55], v51, v[9:10]
	v_sub_nc_u32_e32 v51, 29, v1
	s_delay_alu instid0(VALU_DEP_2)
	v_and_b32_e32 v1, 7, v54
; %bb.239:                              ;   in Loop: Header=BB276_10 Depth=1
	s_wait_alu 0xfffe
	s_or_b32 exec_lo, exec_lo, s35
	v_lshlrev_b32_e32 v54, 8, v9
	v_lshl_add_u32 v51, v51, 10, 0x2000
	v_lshlrev_b32_e32 v1, 7, v1
	s_delay_alu instid0(VALU_DEP_3) | instskip(NEXT) | instid1(VALU_DEP_3)
	v_and_b32_e32 v54, 0x8000, v54
	v_and_b32_e32 v51, 0xfc00, v51
	s_delay_alu instid0(VALU_DEP_1)
	v_or3_b32 v51, v54, v51, v1
.LBB276_240:                            ;   in Loop: Header=BB276_10 Depth=1
	s_wait_alu 0xfffe
	s_or_b32 exec_lo, exec_lo, s34
.LBB276_241:                            ;   in Loop: Header=BB276_10 Depth=1
	s_delay_alu instid0(SALU_CYCLE_1)
	s_or_b32 exec_lo, exec_lo, s33
.LBB276_242:                            ;   in Loop: Header=BB276_10 Depth=1
	s_wait_alu 0xfffe
	s_or_b32 exec_lo, exec_lo, s5
	v_lshrrev_b16 v1, 8, v9
	s_mov_b32 s5, exec_lo
	s_delay_alu instid0(VALU_DEP_1)
	v_cmpx_ne_u16_e32 0, v1
	s_cbranch_execz .LBB276_250
; %bb.243:                              ;   in Loop: Header=BB276_10 Depth=1
	v_bfrev_b32_e32 v50, 1
	s_mov_b32 s33, exec_lo
	v_cmpx_ne_u16_e32 0x80, v1
	s_cbranch_execz .LBB276_249
; %bb.244:                              ;   in Loop: Header=BB276_10 Depth=1
	v_and_b32_e32 v54, 0xffff, v1
	v_mov_b32_e32 v50, 0x7c010000
	s_mov_b32 s34, exec_lo
	s_delay_alu instid0(VALU_DEP_2) | instskip(NEXT) | instid1(VALU_DEP_1)
	v_and_b32_e32 v56, 0x7f, v54
	v_cmpx_ne_u32_e32 0x7f, v56
	s_cbranch_execz .LBB276_248
; %bb.245:                              ;   in Loop: Header=BB276_10 Depth=1
	v_and_b32_e32 v50, 7, v54
	v_lshrrev_b32_e32 v55, 3, v56
	s_mov_b32 s35, exec_lo
	v_cmpx_gt_u32_e32 8, v56
; %bb.246:                              ;   in Loop: Header=BB276_10 Depth=1
	s_delay_alu instid0(VALU_DEP_3) | instskip(NEXT) | instid1(VALU_DEP_1)
	v_clz_i32_u32_e32 v50, v50
	v_min_u32_e32 v50, 32, v50
	s_delay_alu instid0(VALU_DEP_1) | instskip(NEXT) | instid1(VALU_DEP_1)
	v_subrev_nc_u32_e32 v55, 28, v50
	v_lshlrev_b64_e32 v[56:57], v55, v[1:2]
	v_sub_nc_u32_e32 v55, 29, v50
	s_delay_alu instid0(VALU_DEP_2)
	v_and_b32_e32 v50, 7, v56
; %bb.247:                              ;   in Loop: Header=BB276_10 Depth=1
	s_wait_alu 0xfffe
	s_or_b32 exec_lo, exec_lo, s35
	v_lshlrev_b32_e32 v1, 8, v54
	v_lshl_add_u32 v54, v55, 10, 0x2000
	v_lshlrev_b32_e32 v50, 23, v50
	s_delay_alu instid0(VALU_DEP_2) | instskip(NEXT) | instid1(VALU_DEP_1)
	v_and_or_b32 v1, 0x8000, v1, v54
	v_lshl_or_b32 v50, v1, 16, v50
.LBB276_248:                            ;   in Loop: Header=BB276_10 Depth=1
	s_wait_alu 0xfffe
	s_or_b32 exec_lo, exec_lo, s34
.LBB276_249:                            ;   in Loop: Header=BB276_10 Depth=1
	s_delay_alu instid0(SALU_CYCLE_1)
	s_or_b32 exec_lo, exec_lo, s33
.LBB276_250:                            ;   in Loop: Header=BB276_10 Depth=1
	s_wait_alu 0xfffe
	s_or_b32 exec_lo, exec_lo, s5
	v_lshrrev_b32_e32 v1, 16, v9
	v_mov_b32_e32 v54, 0
	s_mov_b32 s5, exec_lo
	s_delay_alu instid0(VALU_DEP_2) | instskip(NEXT) | instid1(VALU_DEP_1)
	v_dual_mov_b32 v55, 0 :: v_dual_and_b32 v56, 0xff, v1
	v_cmpx_ne_u16_e32 0, v56
	s_cbranch_execz .LBB276_258
; %bb.251:                              ;   in Loop: Header=BB276_10 Depth=1
	v_mov_b32_e32 v55, 0x8000
	s_mov_b32 s33, exec_lo
	v_cmpx_ne_u16_e32 0x80, v56
	s_cbranch_execz .LBB276_257
; %bb.252:                              ;   in Loop: Header=BB276_10 Depth=1
	v_bfe_u32 v57, v9, 16, 7
	v_mov_b32_e32 v55, 0x7c01
	s_mov_b32 s34, exec_lo
	s_delay_alu instid0(VALU_DEP_2)
	v_cmpx_ne_u32_e32 0x7f, v57
	s_cbranch_execz .LBB276_256
; %bb.253:                              ;   in Loop: Header=BB276_10 Depth=1
	v_and_b32_e32 v55, 7, v1
	v_lshrrev_b32_e32 v56, 3, v57
	s_mov_b32 s35, exec_lo
	v_cmpx_gt_u32_e32 8, v57
; %bb.254:                              ;   in Loop: Header=BB276_10 Depth=1
	s_delay_alu instid0(VALU_DEP_3) | instskip(NEXT) | instid1(VALU_DEP_1)
	v_clz_i32_u32_e32 v55, v55
	v_min_u32_e32 v57, 32, v55
	s_delay_alu instid0(VALU_DEP_1) | instskip(NEXT) | instid1(VALU_DEP_1)
	v_subrev_nc_u32_e32 v55, 28, v57
	v_lshlrev_b64_e32 v[55:56], v55, v[1:2]
	v_sub_nc_u32_e32 v56, 29, v57
	s_delay_alu instid0(VALU_DEP_2)
	v_and_b32_e32 v55, 7, v55
; %bb.255:                              ;   in Loop: Header=BB276_10 Depth=1
	s_wait_alu 0xfffe
	s_or_b32 exec_lo, exec_lo, s35
	v_lshlrev_b32_e32 v1, 8, v1
	v_lshl_add_u32 v56, v56, 10, 0x2000
	v_lshlrev_b32_e32 v55, 7, v55
	s_delay_alu instid0(VALU_DEP_3) | instskip(NEXT) | instid1(VALU_DEP_3)
	v_and_b32_e32 v1, 0x8000, v1
	v_and_b32_e32 v56, 0xfc00, v56
	s_delay_alu instid0(VALU_DEP_1)
	v_or3_b32 v55, v1, v56, v55
.LBB276_256:                            ;   in Loop: Header=BB276_10 Depth=1
	s_wait_alu 0xfffe
	s_or_b32 exec_lo, exec_lo, s34
.LBB276_257:                            ;   in Loop: Header=BB276_10 Depth=1
	s_delay_alu instid0(SALU_CYCLE_1)
	s_or_b32 exec_lo, exec_lo, s33
.LBB276_258:                            ;   in Loop: Header=BB276_10 Depth=1
	s_wait_alu 0xfffe
	s_or_b32 exec_lo, exec_lo, s5
	s_delay_alu instid0(SALU_CYCLE_1)
	s_mov_b32 s5, exec_lo
	v_cmpx_lt_u32_e32 0xffffff, v9
	s_cbranch_execz .LBB276_266
; %bb.259:                              ;   in Loop: Header=BB276_10 Depth=1
	v_lshrrev_b32_e32 v1, 24, v9
	v_bfrev_b32_e32 v54, 1
	s_mov_b32 s33, exec_lo
	s_delay_alu instid0(VALU_DEP_2)
	v_cmpx_ne_u32_e32 0x80, v1
	s_cbranch_execz .LBB276_265
; %bb.260:                              ;   in Loop: Header=BB276_10 Depth=1
	v_and_b32_e32 v56, 0x7f, v1
	v_mov_b32_e32 v54, 0x7c010000
	s_mov_b32 s34, exec_lo
	s_delay_alu instid0(VALU_DEP_2)
	v_cmpx_ne_u32_e32 0x7f, v56
	s_cbranch_execz .LBB276_264
; %bb.261:                              ;   in Loop: Header=BB276_10 Depth=1
	v_and_b32_e32 v9, 7, v1
	v_lshrrev_b32_e32 v54, 3, v56
	s_mov_b32 s35, exec_lo
	v_cmpx_gt_u32_e32 8, v56
; %bb.262:                              ;   in Loop: Header=BB276_10 Depth=1
	s_delay_alu instid0(VALU_DEP_3) | instskip(NEXT) | instid1(VALU_DEP_1)
	v_clz_i32_u32_e32 v9, v9
	v_min_u32_e32 v9, 32, v9
	s_delay_alu instid0(VALU_DEP_1) | instskip(NEXT) | instid1(VALU_DEP_1)
	v_subrev_nc_u32_e32 v54, 28, v9
	v_lshlrev_b64_e32 v[56:57], v54, v[1:2]
	v_sub_nc_u32_e32 v54, 29, v9
	s_delay_alu instid0(VALU_DEP_2)
	v_and_b32_e32 v9, 7, v56
; %bb.263:                              ;   in Loop: Header=BB276_10 Depth=1
	s_wait_alu 0xfffe
	s_or_b32 exec_lo, exec_lo, s35
	v_lshlrev_b32_e32 v1, 8, v1
	v_lshl_add_u32 v54, v54, 10, 0x2000
	v_lshlrev_b32_e32 v9, 23, v9
	s_delay_alu instid0(VALU_DEP_2) | instskip(NEXT) | instid1(VALU_DEP_1)
	v_and_or_b32 v1, 0x8000, v1, v54
	v_lshl_or_b32 v54, v1, 16, v9
.LBB276_264:                            ;   in Loop: Header=BB276_10 Depth=1
	s_wait_alu 0xfffe
	s_or_b32 exec_lo, exec_lo, s34
.LBB276_265:                            ;   in Loop: Header=BB276_10 Depth=1
	s_delay_alu instid0(SALU_CYCLE_1)
	s_or_b32 exec_lo, exec_lo, s33
.LBB276_266:                            ;   in Loop: Header=BB276_10 Depth=1
	s_wait_alu 0xfffe
	s_or_b32 exec_lo, exec_lo, s5
	global_load_b32 v9, v[7:8], off offset:1024
	v_mov_b32_e32 v57, 0
	s_mov_b32 s5, exec_lo
	s_wait_loadcnt 0x0
	v_dual_mov_b32 v56, 0 :: v_dual_and_b32 v1, 0xff, v9
	s_delay_alu instid0(VALU_DEP_1)
	v_cmpx_ne_u16_e32 0, v1
	s_cbranch_execz .LBB276_274
; %bb.267:                              ;   in Loop: Header=BB276_10 Depth=1
	v_mov_b32_e32 v57, 0x8000
	s_mov_b32 s33, exec_lo
	v_cmpx_ne_u16_e32 0x80, v1
	s_cbranch_execz .LBB276_273
; %bb.268:                              ;   in Loop: Header=BB276_10 Depth=1
	v_and_b32_e32 v58, 0x7f, v9
	v_mov_b32_e32 v57, 0x7c01
	s_mov_b32 s34, exec_lo
	s_delay_alu instid0(VALU_DEP_2)
	v_cmpx_ne_u32_e32 0x7f, v58
	s_cbranch_execz .LBB276_272
; %bb.269:                              ;   in Loop: Header=BB276_10 Depth=1
	v_and_b32_e32 v1, 7, v9
	v_lshrrev_b32_e32 v57, 3, v58
	s_mov_b32 s35, exec_lo
	v_cmpx_gt_u32_e32 8, v58
; %bb.270:                              ;   in Loop: Header=BB276_10 Depth=1
	s_delay_alu instid0(VALU_DEP_3) | instskip(NEXT) | instid1(VALU_DEP_1)
	v_clz_i32_u32_e32 v1, v1
	v_min_u32_e32 v1, 32, v1
	s_delay_alu instid0(VALU_DEP_1) | instskip(NEXT) | instid1(VALU_DEP_1)
	v_subrev_nc_u32_e32 v57, 28, v1
	v_lshlrev_b64_e32 v[58:59], v57, v[9:10]
	v_sub_nc_u32_e32 v57, 29, v1
	s_delay_alu instid0(VALU_DEP_2)
	v_and_b32_e32 v1, 7, v58
; %bb.271:                              ;   in Loop: Header=BB276_10 Depth=1
	s_wait_alu 0xfffe
	s_or_b32 exec_lo, exec_lo, s35
	v_lshlrev_b32_e32 v58, 8, v9
	v_lshl_add_u32 v57, v57, 10, 0x2000
	v_lshlrev_b32_e32 v1, 7, v1
	s_delay_alu instid0(VALU_DEP_3) | instskip(NEXT) | instid1(VALU_DEP_3)
	v_and_b32_e32 v58, 0x8000, v58
	v_and_b32_e32 v57, 0xfc00, v57
	s_delay_alu instid0(VALU_DEP_1)
	v_or3_b32 v57, v58, v57, v1
.LBB276_272:                            ;   in Loop: Header=BB276_10 Depth=1
	s_wait_alu 0xfffe
	s_or_b32 exec_lo, exec_lo, s34
.LBB276_273:                            ;   in Loop: Header=BB276_10 Depth=1
	s_delay_alu instid0(SALU_CYCLE_1)
	s_or_b32 exec_lo, exec_lo, s33
.LBB276_274:                            ;   in Loop: Header=BB276_10 Depth=1
	s_wait_alu 0xfffe
	s_or_b32 exec_lo, exec_lo, s5
	v_lshrrev_b16 v1, 8, v9
	s_mov_b32 s5, exec_lo
	s_delay_alu instid0(VALU_DEP_1)
	v_cmpx_ne_u16_e32 0, v1
	s_cbranch_execz .LBB276_282
; %bb.275:                              ;   in Loop: Header=BB276_10 Depth=1
	v_bfrev_b32_e32 v56, 1
	s_mov_b32 s33, exec_lo
	v_cmpx_ne_u16_e32 0x80, v1
	s_cbranch_execz .LBB276_281
; %bb.276:                              ;   in Loop: Header=BB276_10 Depth=1
	v_and_b32_e32 v58, 0xffff, v1
	v_mov_b32_e32 v56, 0x7c010000
	s_mov_b32 s34, exec_lo
	s_delay_alu instid0(VALU_DEP_2) | instskip(NEXT) | instid1(VALU_DEP_1)
	v_and_b32_e32 v60, 0x7f, v58
	v_cmpx_ne_u32_e32 0x7f, v60
	s_cbranch_execz .LBB276_280
; %bb.277:                              ;   in Loop: Header=BB276_10 Depth=1
	v_and_b32_e32 v56, 7, v58
	v_lshrrev_b32_e32 v59, 3, v60
	s_mov_b32 s35, exec_lo
	v_cmpx_gt_u32_e32 8, v60
; %bb.278:                              ;   in Loop: Header=BB276_10 Depth=1
	s_delay_alu instid0(VALU_DEP_3) | instskip(NEXT) | instid1(VALU_DEP_1)
	v_clz_i32_u32_e32 v56, v56
	v_min_u32_e32 v56, 32, v56
	s_delay_alu instid0(VALU_DEP_1) | instskip(NEXT) | instid1(VALU_DEP_1)
	v_subrev_nc_u32_e32 v59, 28, v56
	v_lshlrev_b64_e32 v[60:61], v59, v[1:2]
	v_sub_nc_u32_e32 v59, 29, v56
	s_delay_alu instid0(VALU_DEP_2)
	v_and_b32_e32 v56, 7, v60
; %bb.279:                              ;   in Loop: Header=BB276_10 Depth=1
	s_wait_alu 0xfffe
	s_or_b32 exec_lo, exec_lo, s35
	v_lshlrev_b32_e32 v1, 8, v58
	v_lshl_add_u32 v58, v59, 10, 0x2000
	v_lshlrev_b32_e32 v56, 23, v56
	s_delay_alu instid0(VALU_DEP_2) | instskip(NEXT) | instid1(VALU_DEP_1)
	v_and_or_b32 v1, 0x8000, v1, v58
	v_lshl_or_b32 v56, v1, 16, v56
.LBB276_280:                            ;   in Loop: Header=BB276_10 Depth=1
	s_wait_alu 0xfffe
	s_or_b32 exec_lo, exec_lo, s34
.LBB276_281:                            ;   in Loop: Header=BB276_10 Depth=1
	s_delay_alu instid0(SALU_CYCLE_1)
	s_or_b32 exec_lo, exec_lo, s33
.LBB276_282:                            ;   in Loop: Header=BB276_10 Depth=1
	s_wait_alu 0xfffe
	s_or_b32 exec_lo, exec_lo, s5
	v_lshrrev_b32_e32 v1, 16, v9
	v_mov_b32_e32 v58, 0
	s_mov_b32 s5, exec_lo
	s_delay_alu instid0(VALU_DEP_2) | instskip(NEXT) | instid1(VALU_DEP_1)
	v_dual_mov_b32 v59, 0 :: v_dual_and_b32 v60, 0xff, v1
	v_cmpx_ne_u16_e32 0, v60
	s_cbranch_execz .LBB276_290
; %bb.283:                              ;   in Loop: Header=BB276_10 Depth=1
	v_mov_b32_e32 v59, 0x8000
	s_mov_b32 s33, exec_lo
	v_cmpx_ne_u16_e32 0x80, v60
	s_cbranch_execz .LBB276_289
; %bb.284:                              ;   in Loop: Header=BB276_10 Depth=1
	v_bfe_u32 v61, v9, 16, 7
	v_mov_b32_e32 v59, 0x7c01
	s_mov_b32 s34, exec_lo
	s_delay_alu instid0(VALU_DEP_2)
	v_cmpx_ne_u32_e32 0x7f, v61
	s_cbranch_execz .LBB276_288
; %bb.285:                              ;   in Loop: Header=BB276_10 Depth=1
	v_and_b32_e32 v59, 7, v1
	v_lshrrev_b32_e32 v60, 3, v61
	s_mov_b32 s35, exec_lo
	v_cmpx_gt_u32_e32 8, v61
; %bb.286:                              ;   in Loop: Header=BB276_10 Depth=1
	s_delay_alu instid0(VALU_DEP_3) | instskip(NEXT) | instid1(VALU_DEP_1)
	v_clz_i32_u32_e32 v59, v59
	v_min_u32_e32 v61, 32, v59
	s_delay_alu instid0(VALU_DEP_1) | instskip(NEXT) | instid1(VALU_DEP_1)
	v_subrev_nc_u32_e32 v59, 28, v61
	v_lshlrev_b64_e32 v[59:60], v59, v[1:2]
	v_sub_nc_u32_e32 v60, 29, v61
	s_delay_alu instid0(VALU_DEP_2)
	v_and_b32_e32 v59, 7, v59
; %bb.287:                              ;   in Loop: Header=BB276_10 Depth=1
	s_wait_alu 0xfffe
	s_or_b32 exec_lo, exec_lo, s35
	v_lshlrev_b32_e32 v1, 8, v1
	v_lshl_add_u32 v60, v60, 10, 0x2000
	v_lshlrev_b32_e32 v59, 7, v59
	s_delay_alu instid0(VALU_DEP_3) | instskip(NEXT) | instid1(VALU_DEP_3)
	v_and_b32_e32 v1, 0x8000, v1
	v_and_b32_e32 v60, 0xfc00, v60
	s_delay_alu instid0(VALU_DEP_1)
	v_or3_b32 v59, v1, v60, v59
.LBB276_288:                            ;   in Loop: Header=BB276_10 Depth=1
	s_wait_alu 0xfffe
	s_or_b32 exec_lo, exec_lo, s34
.LBB276_289:                            ;   in Loop: Header=BB276_10 Depth=1
	s_delay_alu instid0(SALU_CYCLE_1)
	s_or_b32 exec_lo, exec_lo, s33
.LBB276_290:                            ;   in Loop: Header=BB276_10 Depth=1
	s_wait_alu 0xfffe
	s_or_b32 exec_lo, exec_lo, s5
	s_delay_alu instid0(SALU_CYCLE_1)
	s_mov_b32 s5, exec_lo
	v_cmpx_lt_u32_e32 0xffffff, v9
	s_cbranch_execz .LBB276_298
; %bb.291:                              ;   in Loop: Header=BB276_10 Depth=1
	v_lshrrev_b32_e32 v1, 24, v9
	v_bfrev_b32_e32 v58, 1
	s_mov_b32 s33, exec_lo
	s_delay_alu instid0(VALU_DEP_2)
	v_cmpx_ne_u32_e32 0x80, v1
	s_cbranch_execz .LBB276_297
; %bb.292:                              ;   in Loop: Header=BB276_10 Depth=1
	v_and_b32_e32 v60, 0x7f, v1
	v_mov_b32_e32 v58, 0x7c010000
	s_mov_b32 s34, exec_lo
	s_delay_alu instid0(VALU_DEP_2)
	v_cmpx_ne_u32_e32 0x7f, v60
	s_cbranch_execz .LBB276_296
; %bb.293:                              ;   in Loop: Header=BB276_10 Depth=1
	v_and_b32_e32 v9, 7, v1
	v_lshrrev_b32_e32 v58, 3, v60
	s_mov_b32 s35, exec_lo
	v_cmpx_gt_u32_e32 8, v60
; %bb.294:                              ;   in Loop: Header=BB276_10 Depth=1
	s_delay_alu instid0(VALU_DEP_3) | instskip(NEXT) | instid1(VALU_DEP_1)
	v_clz_i32_u32_e32 v9, v9
	v_min_u32_e32 v9, 32, v9
	s_delay_alu instid0(VALU_DEP_1) | instskip(NEXT) | instid1(VALU_DEP_1)
	v_subrev_nc_u32_e32 v58, 28, v9
	v_lshlrev_b64_e32 v[60:61], v58, v[1:2]
	v_sub_nc_u32_e32 v58, 29, v9
	s_delay_alu instid0(VALU_DEP_2)
	v_and_b32_e32 v9, 7, v60
; %bb.295:                              ;   in Loop: Header=BB276_10 Depth=1
	s_wait_alu 0xfffe
	s_or_b32 exec_lo, exec_lo, s35
	v_lshlrev_b32_e32 v1, 8, v1
	v_lshl_add_u32 v58, v58, 10, 0x2000
	v_lshlrev_b32_e32 v9, 23, v9
	s_delay_alu instid0(VALU_DEP_2) | instskip(NEXT) | instid1(VALU_DEP_1)
	v_and_or_b32 v1, 0x8000, v1, v58
	v_lshl_or_b32 v58, v1, 16, v9
.LBB276_296:                            ;   in Loop: Header=BB276_10 Depth=1
	s_wait_alu 0xfffe
	s_or_b32 exec_lo, exec_lo, s34
.LBB276_297:                            ;   in Loop: Header=BB276_10 Depth=1
	s_delay_alu instid0(SALU_CYCLE_1)
	s_or_b32 exec_lo, exec_lo, s33
.LBB276_298:                            ;   in Loop: Header=BB276_10 Depth=1
	s_wait_alu 0xfffe
	s_or_b32 exec_lo, exec_lo, s5
	global_load_b32 v9, v[7:8], off offset:1032
	v_mov_b32_e32 v61, 0
	s_mov_b32 s5, exec_lo
	s_wait_loadcnt 0x0
	v_dual_mov_b32 v60, 0 :: v_dual_and_b32 v1, 0xff, v9
	s_delay_alu instid0(VALU_DEP_1)
	v_cmpx_ne_u16_e32 0, v1
	s_cbranch_execz .LBB276_306
; %bb.299:                              ;   in Loop: Header=BB276_10 Depth=1
	v_mov_b32_e32 v61, 0x8000
	s_mov_b32 s33, exec_lo
	v_cmpx_ne_u16_e32 0x80, v1
	s_cbranch_execz .LBB276_305
; %bb.300:                              ;   in Loop: Header=BB276_10 Depth=1
	v_and_b32_e32 v62, 0x7f, v9
	v_mov_b32_e32 v61, 0x7c01
	s_mov_b32 s34, exec_lo
	s_delay_alu instid0(VALU_DEP_2)
	v_cmpx_ne_u32_e32 0x7f, v62
	s_cbranch_execz .LBB276_304
; %bb.301:                              ;   in Loop: Header=BB276_10 Depth=1
	v_and_b32_e32 v1, 7, v9
	v_lshrrev_b32_e32 v61, 3, v62
	s_mov_b32 s35, exec_lo
	v_cmpx_gt_u32_e32 8, v62
; %bb.302:                              ;   in Loop: Header=BB276_10 Depth=1
	s_delay_alu instid0(VALU_DEP_3) | instskip(NEXT) | instid1(VALU_DEP_1)
	v_clz_i32_u32_e32 v1, v1
	v_min_u32_e32 v1, 32, v1
	s_delay_alu instid0(VALU_DEP_1) | instskip(NEXT) | instid1(VALU_DEP_1)
	v_subrev_nc_u32_e32 v61, 28, v1
	v_lshlrev_b64_e32 v[62:63], v61, v[9:10]
	v_sub_nc_u32_e32 v61, 29, v1
	s_delay_alu instid0(VALU_DEP_2)
	v_and_b32_e32 v1, 7, v62
; %bb.303:                              ;   in Loop: Header=BB276_10 Depth=1
	s_wait_alu 0xfffe
	s_or_b32 exec_lo, exec_lo, s35
	v_lshlrev_b32_e32 v62, 8, v9
	v_lshl_add_u32 v61, v61, 10, 0x2000
	v_lshlrev_b32_e32 v1, 7, v1
	s_delay_alu instid0(VALU_DEP_3) | instskip(NEXT) | instid1(VALU_DEP_3)
	v_and_b32_e32 v62, 0x8000, v62
	v_and_b32_e32 v61, 0xfc00, v61
	s_delay_alu instid0(VALU_DEP_1)
	v_or3_b32 v61, v62, v61, v1
.LBB276_304:                            ;   in Loop: Header=BB276_10 Depth=1
	s_wait_alu 0xfffe
	s_or_b32 exec_lo, exec_lo, s34
.LBB276_305:                            ;   in Loop: Header=BB276_10 Depth=1
	s_delay_alu instid0(SALU_CYCLE_1)
	s_or_b32 exec_lo, exec_lo, s33
.LBB276_306:                            ;   in Loop: Header=BB276_10 Depth=1
	s_wait_alu 0xfffe
	s_or_b32 exec_lo, exec_lo, s5
	v_lshrrev_b16 v1, 8, v9
	s_mov_b32 s5, exec_lo
	s_delay_alu instid0(VALU_DEP_1)
	v_cmpx_ne_u16_e32 0, v1
	s_cbranch_execz .LBB276_314
; %bb.307:                              ;   in Loop: Header=BB276_10 Depth=1
	v_bfrev_b32_e32 v60, 1
	s_mov_b32 s33, exec_lo
	v_cmpx_ne_u16_e32 0x80, v1
	s_cbranch_execz .LBB276_313
; %bb.308:                              ;   in Loop: Header=BB276_10 Depth=1
	v_and_b32_e32 v62, 0xffff, v1
	v_mov_b32_e32 v60, 0x7c010000
	s_mov_b32 s34, exec_lo
	s_delay_alu instid0(VALU_DEP_2) | instskip(NEXT) | instid1(VALU_DEP_1)
	v_and_b32_e32 v64, 0x7f, v62
	v_cmpx_ne_u32_e32 0x7f, v64
	s_cbranch_execz .LBB276_312
; %bb.309:                              ;   in Loop: Header=BB276_10 Depth=1
	v_and_b32_e32 v60, 7, v62
	v_lshrrev_b32_e32 v63, 3, v64
	s_mov_b32 s35, exec_lo
	v_cmpx_gt_u32_e32 8, v64
; %bb.310:                              ;   in Loop: Header=BB276_10 Depth=1
	s_delay_alu instid0(VALU_DEP_3) | instskip(NEXT) | instid1(VALU_DEP_1)
	v_clz_i32_u32_e32 v60, v60
	v_min_u32_e32 v60, 32, v60
	s_delay_alu instid0(VALU_DEP_1) | instskip(NEXT) | instid1(VALU_DEP_1)
	v_subrev_nc_u32_e32 v63, 28, v60
	v_lshlrev_b64_e32 v[64:65], v63, v[1:2]
	v_sub_nc_u32_e32 v63, 29, v60
	s_delay_alu instid0(VALU_DEP_2)
	v_and_b32_e32 v60, 7, v64
; %bb.311:                              ;   in Loop: Header=BB276_10 Depth=1
	s_wait_alu 0xfffe
	s_or_b32 exec_lo, exec_lo, s35
	v_lshlrev_b32_e32 v1, 8, v62
	v_lshl_add_u32 v62, v63, 10, 0x2000
	v_lshlrev_b32_e32 v60, 23, v60
	s_delay_alu instid0(VALU_DEP_2) | instskip(NEXT) | instid1(VALU_DEP_1)
	v_and_or_b32 v1, 0x8000, v1, v62
	v_lshl_or_b32 v60, v1, 16, v60
.LBB276_312:                            ;   in Loop: Header=BB276_10 Depth=1
	s_wait_alu 0xfffe
	s_or_b32 exec_lo, exec_lo, s34
.LBB276_313:                            ;   in Loop: Header=BB276_10 Depth=1
	s_delay_alu instid0(SALU_CYCLE_1)
	s_or_b32 exec_lo, exec_lo, s33
.LBB276_314:                            ;   in Loop: Header=BB276_10 Depth=1
	s_wait_alu 0xfffe
	s_or_b32 exec_lo, exec_lo, s5
	v_lshrrev_b32_e32 v1, 16, v9
	v_mov_b32_e32 v62, 0
	s_mov_b32 s5, exec_lo
	s_delay_alu instid0(VALU_DEP_2) | instskip(NEXT) | instid1(VALU_DEP_1)
	v_dual_mov_b32 v63, 0 :: v_dual_and_b32 v64, 0xff, v1
	v_cmpx_ne_u16_e32 0, v64
	s_cbranch_execz .LBB276_322
; %bb.315:                              ;   in Loop: Header=BB276_10 Depth=1
	v_mov_b32_e32 v63, 0x8000
	s_mov_b32 s33, exec_lo
	v_cmpx_ne_u16_e32 0x80, v64
	s_cbranch_execz .LBB276_321
; %bb.316:                              ;   in Loop: Header=BB276_10 Depth=1
	v_bfe_u32 v65, v9, 16, 7
	v_mov_b32_e32 v63, 0x7c01
	s_mov_b32 s34, exec_lo
	s_delay_alu instid0(VALU_DEP_2)
	v_cmpx_ne_u32_e32 0x7f, v65
	s_cbranch_execz .LBB276_320
; %bb.317:                              ;   in Loop: Header=BB276_10 Depth=1
	v_and_b32_e32 v63, 7, v1
	v_lshrrev_b32_e32 v64, 3, v65
	s_mov_b32 s35, exec_lo
	v_cmpx_gt_u32_e32 8, v65
; %bb.318:                              ;   in Loop: Header=BB276_10 Depth=1
	s_delay_alu instid0(VALU_DEP_3) | instskip(NEXT) | instid1(VALU_DEP_1)
	v_clz_i32_u32_e32 v63, v63
	v_min_u32_e32 v65, 32, v63
	s_delay_alu instid0(VALU_DEP_1) | instskip(NEXT) | instid1(VALU_DEP_1)
	v_subrev_nc_u32_e32 v63, 28, v65
	v_lshlrev_b64_e32 v[63:64], v63, v[1:2]
	v_sub_nc_u32_e32 v64, 29, v65
	s_delay_alu instid0(VALU_DEP_2)
	v_and_b32_e32 v63, 7, v63
; %bb.319:                              ;   in Loop: Header=BB276_10 Depth=1
	s_wait_alu 0xfffe
	s_or_b32 exec_lo, exec_lo, s35
	v_lshlrev_b32_e32 v1, 8, v1
	v_lshl_add_u32 v64, v64, 10, 0x2000
	v_lshlrev_b32_e32 v63, 7, v63
	s_delay_alu instid0(VALU_DEP_3) | instskip(NEXT) | instid1(VALU_DEP_3)
	v_and_b32_e32 v1, 0x8000, v1
	v_and_b32_e32 v64, 0xfc00, v64
	s_delay_alu instid0(VALU_DEP_1)
	v_or3_b32 v63, v1, v64, v63
.LBB276_320:                            ;   in Loop: Header=BB276_10 Depth=1
	s_wait_alu 0xfffe
	s_or_b32 exec_lo, exec_lo, s34
.LBB276_321:                            ;   in Loop: Header=BB276_10 Depth=1
	s_delay_alu instid0(SALU_CYCLE_1)
	s_or_b32 exec_lo, exec_lo, s33
.LBB276_322:                            ;   in Loop: Header=BB276_10 Depth=1
	s_wait_alu 0xfffe
	s_or_b32 exec_lo, exec_lo, s5
	s_delay_alu instid0(SALU_CYCLE_1)
	s_mov_b32 s5, exec_lo
	v_cmpx_lt_u32_e32 0xffffff, v9
	s_cbranch_execz .LBB276_330
; %bb.323:                              ;   in Loop: Header=BB276_10 Depth=1
	v_lshrrev_b32_e32 v1, 24, v9
	v_bfrev_b32_e32 v62, 1
	s_mov_b32 s33, exec_lo
	s_delay_alu instid0(VALU_DEP_2)
	v_cmpx_ne_u32_e32 0x80, v1
	s_cbranch_execz .LBB276_329
; %bb.324:                              ;   in Loop: Header=BB276_10 Depth=1
	v_and_b32_e32 v64, 0x7f, v1
	v_mov_b32_e32 v62, 0x7c010000
	s_mov_b32 s34, exec_lo
	s_delay_alu instid0(VALU_DEP_2)
	v_cmpx_ne_u32_e32 0x7f, v64
	s_cbranch_execz .LBB276_328
; %bb.325:                              ;   in Loop: Header=BB276_10 Depth=1
	v_and_b32_e32 v9, 7, v1
	v_lshrrev_b32_e32 v62, 3, v64
	s_mov_b32 s35, exec_lo
	v_cmpx_gt_u32_e32 8, v64
; %bb.326:                              ;   in Loop: Header=BB276_10 Depth=1
	s_delay_alu instid0(VALU_DEP_3) | instskip(NEXT) | instid1(VALU_DEP_1)
	v_clz_i32_u32_e32 v9, v9
	v_min_u32_e32 v9, 32, v9
	s_delay_alu instid0(VALU_DEP_1) | instskip(NEXT) | instid1(VALU_DEP_1)
	v_subrev_nc_u32_e32 v62, 28, v9
	v_lshlrev_b64_e32 v[64:65], v62, v[1:2]
	v_sub_nc_u32_e32 v62, 29, v9
	s_delay_alu instid0(VALU_DEP_2)
	v_and_b32_e32 v9, 7, v64
; %bb.327:                              ;   in Loop: Header=BB276_10 Depth=1
	s_wait_alu 0xfffe
	s_or_b32 exec_lo, exec_lo, s35
	v_lshlrev_b32_e32 v1, 8, v1
	v_lshl_add_u32 v62, v62, 10, 0x2000
	v_lshlrev_b32_e32 v9, 23, v9
	s_delay_alu instid0(VALU_DEP_2) | instskip(NEXT) | instid1(VALU_DEP_1)
	v_and_or_b32 v1, 0x8000, v1, v62
	v_lshl_or_b32 v62, v1, 16, v9
.LBB276_328:                            ;   in Loop: Header=BB276_10 Depth=1
	s_wait_alu 0xfffe
	s_or_b32 exec_lo, exec_lo, s34
.LBB276_329:                            ;   in Loop: Header=BB276_10 Depth=1
	s_delay_alu instid0(SALU_CYCLE_1)
	s_or_b32 exec_lo, exec_lo, s33
.LBB276_330:                            ;   in Loop: Header=BB276_10 Depth=1
	s_wait_alu 0xfffe
	s_or_b32 exec_lo, exec_lo, s5
	global_load_b32 v9, v[7:8], off offset:1280
	v_mov_b32_e32 v65, 0
	s_mov_b32 s5, exec_lo
	s_wait_loadcnt 0x0
	v_dual_mov_b32 v64, 0 :: v_dual_and_b32 v1, 0xff, v9
	s_delay_alu instid0(VALU_DEP_1)
	v_cmpx_ne_u16_e32 0, v1
	s_cbranch_execz .LBB276_338
; %bb.331:                              ;   in Loop: Header=BB276_10 Depth=1
	v_mov_b32_e32 v65, 0x8000
	s_mov_b32 s33, exec_lo
	v_cmpx_ne_u16_e32 0x80, v1
	s_cbranch_execz .LBB276_337
; %bb.332:                              ;   in Loop: Header=BB276_10 Depth=1
	v_and_b32_e32 v66, 0x7f, v9
	v_mov_b32_e32 v65, 0x7c01
	s_mov_b32 s34, exec_lo
	s_delay_alu instid0(VALU_DEP_2)
	v_cmpx_ne_u32_e32 0x7f, v66
	s_cbranch_execz .LBB276_336
; %bb.333:                              ;   in Loop: Header=BB276_10 Depth=1
	v_and_b32_e32 v1, 7, v9
	v_lshrrev_b32_e32 v65, 3, v66
	s_mov_b32 s35, exec_lo
	v_cmpx_gt_u32_e32 8, v66
; %bb.334:                              ;   in Loop: Header=BB276_10 Depth=1
	s_delay_alu instid0(VALU_DEP_3) | instskip(NEXT) | instid1(VALU_DEP_1)
	v_clz_i32_u32_e32 v1, v1
	v_min_u32_e32 v1, 32, v1
	s_delay_alu instid0(VALU_DEP_1) | instskip(NEXT) | instid1(VALU_DEP_1)
	v_subrev_nc_u32_e32 v65, 28, v1
	v_lshlrev_b64_e32 v[66:67], v65, v[9:10]
	v_sub_nc_u32_e32 v65, 29, v1
	s_delay_alu instid0(VALU_DEP_2)
	v_and_b32_e32 v1, 7, v66
; %bb.335:                              ;   in Loop: Header=BB276_10 Depth=1
	s_wait_alu 0xfffe
	s_or_b32 exec_lo, exec_lo, s35
	v_lshlrev_b32_e32 v66, 8, v9
	v_lshl_add_u32 v65, v65, 10, 0x2000
	v_lshlrev_b32_e32 v1, 7, v1
	s_delay_alu instid0(VALU_DEP_3) | instskip(NEXT) | instid1(VALU_DEP_3)
	v_and_b32_e32 v66, 0x8000, v66
	v_and_b32_e32 v65, 0xfc00, v65
	s_delay_alu instid0(VALU_DEP_1)
	v_or3_b32 v65, v66, v65, v1
.LBB276_336:                            ;   in Loop: Header=BB276_10 Depth=1
	s_wait_alu 0xfffe
	s_or_b32 exec_lo, exec_lo, s34
.LBB276_337:                            ;   in Loop: Header=BB276_10 Depth=1
	s_delay_alu instid0(SALU_CYCLE_1)
	s_or_b32 exec_lo, exec_lo, s33
.LBB276_338:                            ;   in Loop: Header=BB276_10 Depth=1
	s_wait_alu 0xfffe
	s_or_b32 exec_lo, exec_lo, s5
	v_lshrrev_b16 v1, 8, v9
	s_mov_b32 s5, exec_lo
	s_delay_alu instid0(VALU_DEP_1)
	v_cmpx_ne_u16_e32 0, v1
	s_cbranch_execz .LBB276_346
; %bb.339:                              ;   in Loop: Header=BB276_10 Depth=1
	v_bfrev_b32_e32 v64, 1
	s_mov_b32 s33, exec_lo
	v_cmpx_ne_u16_e32 0x80, v1
	s_cbranch_execz .LBB276_345
; %bb.340:                              ;   in Loop: Header=BB276_10 Depth=1
	v_and_b32_e32 v66, 0xffff, v1
	v_mov_b32_e32 v64, 0x7c010000
	s_mov_b32 s34, exec_lo
	s_delay_alu instid0(VALU_DEP_2) | instskip(NEXT) | instid1(VALU_DEP_1)
	v_and_b32_e32 v68, 0x7f, v66
	v_cmpx_ne_u32_e32 0x7f, v68
	s_cbranch_execz .LBB276_344
; %bb.341:                              ;   in Loop: Header=BB276_10 Depth=1
	v_and_b32_e32 v64, 7, v66
	v_lshrrev_b32_e32 v67, 3, v68
	s_mov_b32 s35, exec_lo
	v_cmpx_gt_u32_e32 8, v68
; %bb.342:                              ;   in Loop: Header=BB276_10 Depth=1
	s_delay_alu instid0(VALU_DEP_3) | instskip(NEXT) | instid1(VALU_DEP_1)
	v_clz_i32_u32_e32 v64, v64
	v_min_u32_e32 v64, 32, v64
	s_delay_alu instid0(VALU_DEP_1) | instskip(NEXT) | instid1(VALU_DEP_1)
	v_subrev_nc_u32_e32 v67, 28, v64
	v_lshlrev_b64_e32 v[68:69], v67, v[1:2]
	v_sub_nc_u32_e32 v67, 29, v64
	s_delay_alu instid0(VALU_DEP_2)
	v_and_b32_e32 v64, 7, v68
; %bb.343:                              ;   in Loop: Header=BB276_10 Depth=1
	s_wait_alu 0xfffe
	s_or_b32 exec_lo, exec_lo, s35
	v_lshlrev_b32_e32 v1, 8, v66
	v_lshl_add_u32 v66, v67, 10, 0x2000
	v_lshlrev_b32_e32 v64, 23, v64
	s_delay_alu instid0(VALU_DEP_2) | instskip(NEXT) | instid1(VALU_DEP_1)
	v_and_or_b32 v1, 0x8000, v1, v66
	v_lshl_or_b32 v64, v1, 16, v64
.LBB276_344:                            ;   in Loop: Header=BB276_10 Depth=1
	s_wait_alu 0xfffe
	s_or_b32 exec_lo, exec_lo, s34
.LBB276_345:                            ;   in Loop: Header=BB276_10 Depth=1
	s_delay_alu instid0(SALU_CYCLE_1)
	s_or_b32 exec_lo, exec_lo, s33
.LBB276_346:                            ;   in Loop: Header=BB276_10 Depth=1
	s_wait_alu 0xfffe
	s_or_b32 exec_lo, exec_lo, s5
	v_lshrrev_b32_e32 v1, 16, v9
	v_mov_b32_e32 v66, 0
	s_mov_b32 s5, exec_lo
	s_delay_alu instid0(VALU_DEP_2) | instskip(NEXT) | instid1(VALU_DEP_1)
	v_dual_mov_b32 v67, 0 :: v_dual_and_b32 v68, 0xff, v1
	v_cmpx_ne_u16_e32 0, v68
	s_cbranch_execz .LBB276_354
; %bb.347:                              ;   in Loop: Header=BB276_10 Depth=1
	v_mov_b32_e32 v67, 0x8000
	s_mov_b32 s33, exec_lo
	v_cmpx_ne_u16_e32 0x80, v68
	s_cbranch_execz .LBB276_353
; %bb.348:                              ;   in Loop: Header=BB276_10 Depth=1
	v_bfe_u32 v69, v9, 16, 7
	v_mov_b32_e32 v67, 0x7c01
	s_mov_b32 s34, exec_lo
	s_delay_alu instid0(VALU_DEP_2)
	v_cmpx_ne_u32_e32 0x7f, v69
	s_cbranch_execz .LBB276_352
; %bb.349:                              ;   in Loop: Header=BB276_10 Depth=1
	v_and_b32_e32 v67, 7, v1
	v_lshrrev_b32_e32 v68, 3, v69
	s_mov_b32 s35, exec_lo
	v_cmpx_gt_u32_e32 8, v69
; %bb.350:                              ;   in Loop: Header=BB276_10 Depth=1
	s_delay_alu instid0(VALU_DEP_3) | instskip(NEXT) | instid1(VALU_DEP_1)
	v_clz_i32_u32_e32 v67, v67
	v_min_u32_e32 v69, 32, v67
	s_delay_alu instid0(VALU_DEP_1) | instskip(NEXT) | instid1(VALU_DEP_1)
	v_subrev_nc_u32_e32 v67, 28, v69
	v_lshlrev_b64_e32 v[67:68], v67, v[1:2]
	v_sub_nc_u32_e32 v68, 29, v69
	s_delay_alu instid0(VALU_DEP_2)
	v_and_b32_e32 v67, 7, v67
; %bb.351:                              ;   in Loop: Header=BB276_10 Depth=1
	s_wait_alu 0xfffe
	s_or_b32 exec_lo, exec_lo, s35
	v_lshlrev_b32_e32 v1, 8, v1
	v_lshl_add_u32 v68, v68, 10, 0x2000
	v_lshlrev_b32_e32 v67, 7, v67
	s_delay_alu instid0(VALU_DEP_3) | instskip(NEXT) | instid1(VALU_DEP_3)
	v_and_b32_e32 v1, 0x8000, v1
	v_and_b32_e32 v68, 0xfc00, v68
	s_delay_alu instid0(VALU_DEP_1)
	v_or3_b32 v67, v1, v68, v67
.LBB276_352:                            ;   in Loop: Header=BB276_10 Depth=1
	s_wait_alu 0xfffe
	s_or_b32 exec_lo, exec_lo, s34
.LBB276_353:                            ;   in Loop: Header=BB276_10 Depth=1
	s_delay_alu instid0(SALU_CYCLE_1)
	s_or_b32 exec_lo, exec_lo, s33
.LBB276_354:                            ;   in Loop: Header=BB276_10 Depth=1
	s_wait_alu 0xfffe
	s_or_b32 exec_lo, exec_lo, s5
	s_delay_alu instid0(SALU_CYCLE_1)
	s_mov_b32 s5, exec_lo
	v_cmpx_lt_u32_e32 0xffffff, v9
	s_cbranch_execz .LBB276_362
; %bb.355:                              ;   in Loop: Header=BB276_10 Depth=1
	v_lshrrev_b32_e32 v1, 24, v9
	v_bfrev_b32_e32 v66, 1
	s_mov_b32 s33, exec_lo
	s_delay_alu instid0(VALU_DEP_2)
	v_cmpx_ne_u32_e32 0x80, v1
	s_cbranch_execz .LBB276_361
; %bb.356:                              ;   in Loop: Header=BB276_10 Depth=1
	v_and_b32_e32 v68, 0x7f, v1
	v_mov_b32_e32 v66, 0x7c010000
	s_mov_b32 s34, exec_lo
	s_delay_alu instid0(VALU_DEP_2)
	v_cmpx_ne_u32_e32 0x7f, v68
	s_cbranch_execz .LBB276_360
; %bb.357:                              ;   in Loop: Header=BB276_10 Depth=1
	v_and_b32_e32 v9, 7, v1
	v_lshrrev_b32_e32 v66, 3, v68
	s_mov_b32 s35, exec_lo
	v_cmpx_gt_u32_e32 8, v68
; %bb.358:                              ;   in Loop: Header=BB276_10 Depth=1
	s_delay_alu instid0(VALU_DEP_3) | instskip(NEXT) | instid1(VALU_DEP_1)
	v_clz_i32_u32_e32 v9, v9
	v_min_u32_e32 v9, 32, v9
	s_delay_alu instid0(VALU_DEP_1) | instskip(NEXT) | instid1(VALU_DEP_1)
	v_subrev_nc_u32_e32 v66, 28, v9
	v_lshlrev_b64_e32 v[68:69], v66, v[1:2]
	v_sub_nc_u32_e32 v66, 29, v9
	s_delay_alu instid0(VALU_DEP_2)
	v_and_b32_e32 v9, 7, v68
; %bb.359:                              ;   in Loop: Header=BB276_10 Depth=1
	s_wait_alu 0xfffe
	s_or_b32 exec_lo, exec_lo, s35
	v_lshlrev_b32_e32 v1, 8, v1
	v_lshl_add_u32 v66, v66, 10, 0x2000
	v_lshlrev_b32_e32 v9, 23, v9
	s_delay_alu instid0(VALU_DEP_2) | instskip(NEXT) | instid1(VALU_DEP_1)
	v_and_or_b32 v1, 0x8000, v1, v66
	v_lshl_or_b32 v66, v1, 16, v9
.LBB276_360:                            ;   in Loop: Header=BB276_10 Depth=1
	s_wait_alu 0xfffe
	s_or_b32 exec_lo, exec_lo, s34
.LBB276_361:                            ;   in Loop: Header=BB276_10 Depth=1
	s_delay_alu instid0(SALU_CYCLE_1)
	s_or_b32 exec_lo, exec_lo, s33
.LBB276_362:                            ;   in Loop: Header=BB276_10 Depth=1
	s_wait_alu 0xfffe
	s_or_b32 exec_lo, exec_lo, s5
	global_load_b32 v9, v[7:8], off offset:1288
	v_mov_b32_e32 v69, 0
	s_mov_b32 s5, exec_lo
	s_wait_loadcnt 0x0
	v_dual_mov_b32 v68, 0 :: v_dual_and_b32 v1, 0xff, v9
	s_delay_alu instid0(VALU_DEP_1)
	v_cmpx_ne_u16_e32 0, v1
	s_cbranch_execz .LBB276_370
; %bb.363:                              ;   in Loop: Header=BB276_10 Depth=1
	v_mov_b32_e32 v69, 0x8000
	s_mov_b32 s33, exec_lo
	v_cmpx_ne_u16_e32 0x80, v1
	s_cbranch_execz .LBB276_369
; %bb.364:                              ;   in Loop: Header=BB276_10 Depth=1
	v_and_b32_e32 v70, 0x7f, v9
	v_mov_b32_e32 v69, 0x7c01
	s_mov_b32 s34, exec_lo
	s_delay_alu instid0(VALU_DEP_2)
	v_cmpx_ne_u32_e32 0x7f, v70
	s_cbranch_execz .LBB276_368
; %bb.365:                              ;   in Loop: Header=BB276_10 Depth=1
	v_and_b32_e32 v1, 7, v9
	v_lshrrev_b32_e32 v69, 3, v70
	s_mov_b32 s35, exec_lo
	v_cmpx_gt_u32_e32 8, v70
; %bb.366:                              ;   in Loop: Header=BB276_10 Depth=1
	s_delay_alu instid0(VALU_DEP_3) | instskip(NEXT) | instid1(VALU_DEP_1)
	v_clz_i32_u32_e32 v1, v1
	v_min_u32_e32 v1, 32, v1
	s_delay_alu instid0(VALU_DEP_1) | instskip(NEXT) | instid1(VALU_DEP_1)
	v_subrev_nc_u32_e32 v69, 28, v1
	v_lshlrev_b64_e32 v[70:71], v69, v[9:10]
	v_sub_nc_u32_e32 v69, 29, v1
	s_delay_alu instid0(VALU_DEP_2)
	v_and_b32_e32 v1, 7, v70
; %bb.367:                              ;   in Loop: Header=BB276_10 Depth=1
	s_wait_alu 0xfffe
	s_or_b32 exec_lo, exec_lo, s35
	v_lshlrev_b32_e32 v70, 8, v9
	v_lshl_add_u32 v69, v69, 10, 0x2000
	v_lshlrev_b32_e32 v1, 7, v1
	s_delay_alu instid0(VALU_DEP_3) | instskip(NEXT) | instid1(VALU_DEP_3)
	v_and_b32_e32 v70, 0x8000, v70
	v_and_b32_e32 v69, 0xfc00, v69
	s_delay_alu instid0(VALU_DEP_1)
	v_or3_b32 v69, v70, v69, v1
.LBB276_368:                            ;   in Loop: Header=BB276_10 Depth=1
	s_wait_alu 0xfffe
	s_or_b32 exec_lo, exec_lo, s34
.LBB276_369:                            ;   in Loop: Header=BB276_10 Depth=1
	s_delay_alu instid0(SALU_CYCLE_1)
	s_or_b32 exec_lo, exec_lo, s33
.LBB276_370:                            ;   in Loop: Header=BB276_10 Depth=1
	s_wait_alu 0xfffe
	s_or_b32 exec_lo, exec_lo, s5
	v_lshrrev_b16 v1, 8, v9
	s_mov_b32 s5, exec_lo
	s_delay_alu instid0(VALU_DEP_1)
	v_cmpx_ne_u16_e32 0, v1
	s_cbranch_execz .LBB276_378
; %bb.371:                              ;   in Loop: Header=BB276_10 Depth=1
	v_bfrev_b32_e32 v68, 1
	s_mov_b32 s33, exec_lo
	v_cmpx_ne_u16_e32 0x80, v1
	s_cbranch_execz .LBB276_377
; %bb.372:                              ;   in Loop: Header=BB276_10 Depth=1
	v_and_b32_e32 v70, 0xffff, v1
	v_mov_b32_e32 v68, 0x7c010000
	s_mov_b32 s34, exec_lo
	s_delay_alu instid0(VALU_DEP_2) | instskip(NEXT) | instid1(VALU_DEP_1)
	v_and_b32_e32 v72, 0x7f, v70
	v_cmpx_ne_u32_e32 0x7f, v72
	s_cbranch_execz .LBB276_376
; %bb.373:                              ;   in Loop: Header=BB276_10 Depth=1
	v_and_b32_e32 v68, 7, v70
	v_lshrrev_b32_e32 v71, 3, v72
	s_mov_b32 s35, exec_lo
	v_cmpx_gt_u32_e32 8, v72
; %bb.374:                              ;   in Loop: Header=BB276_10 Depth=1
	s_delay_alu instid0(VALU_DEP_3) | instskip(NEXT) | instid1(VALU_DEP_1)
	v_clz_i32_u32_e32 v68, v68
	v_min_u32_e32 v68, 32, v68
	s_delay_alu instid0(VALU_DEP_1) | instskip(NEXT) | instid1(VALU_DEP_1)
	v_subrev_nc_u32_e32 v71, 28, v68
	v_lshlrev_b64_e32 v[72:73], v71, v[1:2]
	v_sub_nc_u32_e32 v71, 29, v68
	s_delay_alu instid0(VALU_DEP_2)
	v_and_b32_e32 v68, 7, v72
; %bb.375:                              ;   in Loop: Header=BB276_10 Depth=1
	s_wait_alu 0xfffe
	s_or_b32 exec_lo, exec_lo, s35
	v_lshlrev_b32_e32 v1, 8, v70
	v_lshl_add_u32 v70, v71, 10, 0x2000
	v_lshlrev_b32_e32 v68, 23, v68
	s_delay_alu instid0(VALU_DEP_2) | instskip(NEXT) | instid1(VALU_DEP_1)
	v_and_or_b32 v1, 0x8000, v1, v70
	v_lshl_or_b32 v68, v1, 16, v68
.LBB276_376:                            ;   in Loop: Header=BB276_10 Depth=1
	s_wait_alu 0xfffe
	s_or_b32 exec_lo, exec_lo, s34
.LBB276_377:                            ;   in Loop: Header=BB276_10 Depth=1
	s_delay_alu instid0(SALU_CYCLE_1)
	s_or_b32 exec_lo, exec_lo, s33
.LBB276_378:                            ;   in Loop: Header=BB276_10 Depth=1
	s_wait_alu 0xfffe
	s_or_b32 exec_lo, exec_lo, s5
	v_lshrrev_b32_e32 v1, 16, v9
	v_mov_b32_e32 v70, 0
	s_mov_b32 s5, exec_lo
	s_delay_alu instid0(VALU_DEP_2) | instskip(NEXT) | instid1(VALU_DEP_1)
	v_dual_mov_b32 v71, 0 :: v_dual_and_b32 v72, 0xff, v1
	v_cmpx_ne_u16_e32 0, v72
	s_cbranch_execz .LBB276_386
; %bb.379:                              ;   in Loop: Header=BB276_10 Depth=1
	v_mov_b32_e32 v71, 0x8000
	s_mov_b32 s33, exec_lo
	v_cmpx_ne_u16_e32 0x80, v72
	s_cbranch_execz .LBB276_385
; %bb.380:                              ;   in Loop: Header=BB276_10 Depth=1
	v_bfe_u32 v73, v9, 16, 7
	v_mov_b32_e32 v71, 0x7c01
	s_mov_b32 s34, exec_lo
	s_delay_alu instid0(VALU_DEP_2)
	v_cmpx_ne_u32_e32 0x7f, v73
	s_cbranch_execz .LBB276_384
; %bb.381:                              ;   in Loop: Header=BB276_10 Depth=1
	v_and_b32_e32 v71, 7, v1
	v_lshrrev_b32_e32 v72, 3, v73
	s_mov_b32 s35, exec_lo
	v_cmpx_gt_u32_e32 8, v73
; %bb.382:                              ;   in Loop: Header=BB276_10 Depth=1
	s_delay_alu instid0(VALU_DEP_3) | instskip(NEXT) | instid1(VALU_DEP_1)
	v_clz_i32_u32_e32 v71, v71
	v_min_u32_e32 v73, 32, v71
	s_delay_alu instid0(VALU_DEP_1) | instskip(NEXT) | instid1(VALU_DEP_1)
	v_subrev_nc_u32_e32 v71, 28, v73
	v_lshlrev_b64_e32 v[71:72], v71, v[1:2]
	v_sub_nc_u32_e32 v72, 29, v73
	s_delay_alu instid0(VALU_DEP_2)
	v_and_b32_e32 v71, 7, v71
; %bb.383:                              ;   in Loop: Header=BB276_10 Depth=1
	s_wait_alu 0xfffe
	s_or_b32 exec_lo, exec_lo, s35
	v_lshlrev_b32_e32 v1, 8, v1
	v_lshl_add_u32 v72, v72, 10, 0x2000
	v_lshlrev_b32_e32 v71, 7, v71
	s_delay_alu instid0(VALU_DEP_3) | instskip(NEXT) | instid1(VALU_DEP_3)
	v_and_b32_e32 v1, 0x8000, v1
	v_and_b32_e32 v72, 0xfc00, v72
	s_delay_alu instid0(VALU_DEP_1)
	v_or3_b32 v71, v1, v72, v71
.LBB276_384:                            ;   in Loop: Header=BB276_10 Depth=1
	s_wait_alu 0xfffe
	s_or_b32 exec_lo, exec_lo, s34
.LBB276_385:                            ;   in Loop: Header=BB276_10 Depth=1
	s_delay_alu instid0(SALU_CYCLE_1)
	s_or_b32 exec_lo, exec_lo, s33
.LBB276_386:                            ;   in Loop: Header=BB276_10 Depth=1
	s_wait_alu 0xfffe
	s_or_b32 exec_lo, exec_lo, s5
	s_delay_alu instid0(SALU_CYCLE_1)
	s_mov_b32 s5, exec_lo
	v_cmpx_lt_u32_e32 0xffffff, v9
	s_cbranch_execz .LBB276_394
; %bb.387:                              ;   in Loop: Header=BB276_10 Depth=1
	v_lshrrev_b32_e32 v1, 24, v9
	v_bfrev_b32_e32 v70, 1
	s_mov_b32 s33, exec_lo
	s_delay_alu instid0(VALU_DEP_2)
	v_cmpx_ne_u32_e32 0x80, v1
	s_cbranch_execz .LBB276_393
; %bb.388:                              ;   in Loop: Header=BB276_10 Depth=1
	v_and_b32_e32 v72, 0x7f, v1
	v_mov_b32_e32 v70, 0x7c010000
	s_mov_b32 s34, exec_lo
	s_delay_alu instid0(VALU_DEP_2)
	v_cmpx_ne_u32_e32 0x7f, v72
	s_cbranch_execz .LBB276_392
; %bb.389:                              ;   in Loop: Header=BB276_10 Depth=1
	v_and_b32_e32 v9, 7, v1
	v_lshrrev_b32_e32 v70, 3, v72
	s_mov_b32 s35, exec_lo
	v_cmpx_gt_u32_e32 8, v72
; %bb.390:                              ;   in Loop: Header=BB276_10 Depth=1
	s_delay_alu instid0(VALU_DEP_3) | instskip(NEXT) | instid1(VALU_DEP_1)
	v_clz_i32_u32_e32 v9, v9
	v_min_u32_e32 v9, 32, v9
	s_delay_alu instid0(VALU_DEP_1) | instskip(NEXT) | instid1(VALU_DEP_1)
	v_subrev_nc_u32_e32 v70, 28, v9
	v_lshlrev_b64_e32 v[72:73], v70, v[1:2]
	v_sub_nc_u32_e32 v70, 29, v9
	s_delay_alu instid0(VALU_DEP_2)
	v_and_b32_e32 v9, 7, v72
; %bb.391:                              ;   in Loop: Header=BB276_10 Depth=1
	s_wait_alu 0xfffe
	s_or_b32 exec_lo, exec_lo, s35
	v_lshlrev_b32_e32 v1, 8, v1
	v_lshl_add_u32 v70, v70, 10, 0x2000
	v_lshlrev_b32_e32 v9, 23, v9
	s_delay_alu instid0(VALU_DEP_2) | instskip(NEXT) | instid1(VALU_DEP_1)
	v_and_or_b32 v1, 0x8000, v1, v70
	v_lshl_or_b32 v70, v1, 16, v9
.LBB276_392:                            ;   in Loop: Header=BB276_10 Depth=1
	s_wait_alu 0xfffe
	s_or_b32 exec_lo, exec_lo, s34
.LBB276_393:                            ;   in Loop: Header=BB276_10 Depth=1
	s_delay_alu instid0(SALU_CYCLE_1)
	s_or_b32 exec_lo, exec_lo, s33
.LBB276_394:                            ;   in Loop: Header=BB276_10 Depth=1
	s_wait_alu 0xfffe
	s_or_b32 exec_lo, exec_lo, s5
	global_load_b32 v9, v[7:8], off offset:1536
	v_mov_b32_e32 v73, 0
	s_mov_b32 s5, exec_lo
	s_wait_loadcnt 0x0
	v_dual_mov_b32 v72, 0 :: v_dual_and_b32 v1, 0xff, v9
	s_delay_alu instid0(VALU_DEP_1)
	v_cmpx_ne_u16_e32 0, v1
	s_cbranch_execz .LBB276_402
; %bb.395:                              ;   in Loop: Header=BB276_10 Depth=1
	v_mov_b32_e32 v73, 0x8000
	s_mov_b32 s33, exec_lo
	v_cmpx_ne_u16_e32 0x80, v1
	s_cbranch_execz .LBB276_401
; %bb.396:                              ;   in Loop: Header=BB276_10 Depth=1
	v_and_b32_e32 v74, 0x7f, v9
	v_mov_b32_e32 v73, 0x7c01
	s_mov_b32 s34, exec_lo
	s_delay_alu instid0(VALU_DEP_2)
	v_cmpx_ne_u32_e32 0x7f, v74
	s_cbranch_execz .LBB276_400
; %bb.397:                              ;   in Loop: Header=BB276_10 Depth=1
	v_and_b32_e32 v1, 7, v9
	v_lshrrev_b32_e32 v73, 3, v74
	s_mov_b32 s35, exec_lo
	v_cmpx_gt_u32_e32 8, v74
; %bb.398:                              ;   in Loop: Header=BB276_10 Depth=1
	s_delay_alu instid0(VALU_DEP_3) | instskip(NEXT) | instid1(VALU_DEP_1)
	v_clz_i32_u32_e32 v1, v1
	v_min_u32_e32 v1, 32, v1
	s_delay_alu instid0(VALU_DEP_1) | instskip(NEXT) | instid1(VALU_DEP_1)
	v_subrev_nc_u32_e32 v73, 28, v1
	v_lshlrev_b64_e32 v[74:75], v73, v[9:10]
	v_sub_nc_u32_e32 v73, 29, v1
	s_delay_alu instid0(VALU_DEP_2)
	v_and_b32_e32 v1, 7, v74
; %bb.399:                              ;   in Loop: Header=BB276_10 Depth=1
	s_wait_alu 0xfffe
	s_or_b32 exec_lo, exec_lo, s35
	v_lshlrev_b32_e32 v74, 8, v9
	v_lshl_add_u32 v73, v73, 10, 0x2000
	v_lshlrev_b32_e32 v1, 7, v1
	s_delay_alu instid0(VALU_DEP_3) | instskip(NEXT) | instid1(VALU_DEP_3)
	v_and_b32_e32 v74, 0x8000, v74
	v_and_b32_e32 v73, 0xfc00, v73
	s_delay_alu instid0(VALU_DEP_1)
	v_or3_b32 v73, v74, v73, v1
.LBB276_400:                            ;   in Loop: Header=BB276_10 Depth=1
	s_wait_alu 0xfffe
	s_or_b32 exec_lo, exec_lo, s34
.LBB276_401:                            ;   in Loop: Header=BB276_10 Depth=1
	s_delay_alu instid0(SALU_CYCLE_1)
	s_or_b32 exec_lo, exec_lo, s33
.LBB276_402:                            ;   in Loop: Header=BB276_10 Depth=1
	s_wait_alu 0xfffe
	s_or_b32 exec_lo, exec_lo, s5
	v_lshrrev_b16 v1, 8, v9
	s_mov_b32 s5, exec_lo
	s_delay_alu instid0(VALU_DEP_1)
	v_cmpx_ne_u16_e32 0, v1
	s_cbranch_execz .LBB276_410
; %bb.403:                              ;   in Loop: Header=BB276_10 Depth=1
	v_bfrev_b32_e32 v72, 1
	s_mov_b32 s33, exec_lo
	v_cmpx_ne_u16_e32 0x80, v1
	s_cbranch_execz .LBB276_409
; %bb.404:                              ;   in Loop: Header=BB276_10 Depth=1
	v_and_b32_e32 v74, 0xffff, v1
	v_mov_b32_e32 v72, 0x7c010000
	s_mov_b32 s34, exec_lo
	s_delay_alu instid0(VALU_DEP_2) | instskip(NEXT) | instid1(VALU_DEP_1)
	v_and_b32_e32 v76, 0x7f, v74
	v_cmpx_ne_u32_e32 0x7f, v76
	s_cbranch_execz .LBB276_408
; %bb.405:                              ;   in Loop: Header=BB276_10 Depth=1
	v_and_b32_e32 v72, 7, v74
	v_lshrrev_b32_e32 v75, 3, v76
	s_mov_b32 s35, exec_lo
	v_cmpx_gt_u32_e32 8, v76
; %bb.406:                              ;   in Loop: Header=BB276_10 Depth=1
	s_delay_alu instid0(VALU_DEP_3) | instskip(NEXT) | instid1(VALU_DEP_1)
	v_clz_i32_u32_e32 v72, v72
	v_min_u32_e32 v72, 32, v72
	s_delay_alu instid0(VALU_DEP_1) | instskip(NEXT) | instid1(VALU_DEP_1)
	v_subrev_nc_u32_e32 v75, 28, v72
	v_lshlrev_b64_e32 v[76:77], v75, v[1:2]
	v_sub_nc_u32_e32 v75, 29, v72
	s_delay_alu instid0(VALU_DEP_2)
	v_and_b32_e32 v72, 7, v76
; %bb.407:                              ;   in Loop: Header=BB276_10 Depth=1
	s_wait_alu 0xfffe
	s_or_b32 exec_lo, exec_lo, s35
	v_lshlrev_b32_e32 v1, 8, v74
	v_lshl_add_u32 v74, v75, 10, 0x2000
	v_lshlrev_b32_e32 v72, 23, v72
	s_delay_alu instid0(VALU_DEP_2) | instskip(NEXT) | instid1(VALU_DEP_1)
	v_and_or_b32 v1, 0x8000, v1, v74
	v_lshl_or_b32 v72, v1, 16, v72
.LBB276_408:                            ;   in Loop: Header=BB276_10 Depth=1
	s_wait_alu 0xfffe
	s_or_b32 exec_lo, exec_lo, s34
.LBB276_409:                            ;   in Loop: Header=BB276_10 Depth=1
	s_delay_alu instid0(SALU_CYCLE_1)
	s_or_b32 exec_lo, exec_lo, s33
.LBB276_410:                            ;   in Loop: Header=BB276_10 Depth=1
	s_wait_alu 0xfffe
	s_or_b32 exec_lo, exec_lo, s5
	v_lshrrev_b32_e32 v1, 16, v9
	v_mov_b32_e32 v74, 0
	s_mov_b32 s5, exec_lo
	s_delay_alu instid0(VALU_DEP_2) | instskip(NEXT) | instid1(VALU_DEP_1)
	v_dual_mov_b32 v75, 0 :: v_dual_and_b32 v76, 0xff, v1
	v_cmpx_ne_u16_e32 0, v76
	s_cbranch_execz .LBB276_418
; %bb.411:                              ;   in Loop: Header=BB276_10 Depth=1
	v_mov_b32_e32 v75, 0x8000
	s_mov_b32 s33, exec_lo
	v_cmpx_ne_u16_e32 0x80, v76
	s_cbranch_execz .LBB276_417
; %bb.412:                              ;   in Loop: Header=BB276_10 Depth=1
	v_bfe_u32 v77, v9, 16, 7
	v_mov_b32_e32 v75, 0x7c01
	s_mov_b32 s34, exec_lo
	s_delay_alu instid0(VALU_DEP_2)
	v_cmpx_ne_u32_e32 0x7f, v77
	s_cbranch_execz .LBB276_416
; %bb.413:                              ;   in Loop: Header=BB276_10 Depth=1
	v_and_b32_e32 v75, 7, v1
	v_lshrrev_b32_e32 v76, 3, v77
	s_mov_b32 s35, exec_lo
	v_cmpx_gt_u32_e32 8, v77
; %bb.414:                              ;   in Loop: Header=BB276_10 Depth=1
	s_delay_alu instid0(VALU_DEP_3) | instskip(NEXT) | instid1(VALU_DEP_1)
	v_clz_i32_u32_e32 v75, v75
	v_min_u32_e32 v77, 32, v75
	s_delay_alu instid0(VALU_DEP_1) | instskip(NEXT) | instid1(VALU_DEP_1)
	v_subrev_nc_u32_e32 v75, 28, v77
	v_lshlrev_b64_e32 v[75:76], v75, v[1:2]
	v_sub_nc_u32_e32 v76, 29, v77
	s_delay_alu instid0(VALU_DEP_2)
	v_and_b32_e32 v75, 7, v75
; %bb.415:                              ;   in Loop: Header=BB276_10 Depth=1
	s_wait_alu 0xfffe
	s_or_b32 exec_lo, exec_lo, s35
	v_lshlrev_b32_e32 v1, 8, v1
	v_lshl_add_u32 v76, v76, 10, 0x2000
	v_lshlrev_b32_e32 v75, 7, v75
	s_delay_alu instid0(VALU_DEP_3) | instskip(NEXT) | instid1(VALU_DEP_3)
	v_and_b32_e32 v1, 0x8000, v1
	v_and_b32_e32 v76, 0xfc00, v76
	s_delay_alu instid0(VALU_DEP_1)
	v_or3_b32 v75, v1, v76, v75
.LBB276_416:                            ;   in Loop: Header=BB276_10 Depth=1
	s_wait_alu 0xfffe
	s_or_b32 exec_lo, exec_lo, s34
.LBB276_417:                            ;   in Loop: Header=BB276_10 Depth=1
	s_delay_alu instid0(SALU_CYCLE_1)
	s_or_b32 exec_lo, exec_lo, s33
.LBB276_418:                            ;   in Loop: Header=BB276_10 Depth=1
	s_wait_alu 0xfffe
	s_or_b32 exec_lo, exec_lo, s5
	s_delay_alu instid0(SALU_CYCLE_1)
	s_mov_b32 s5, exec_lo
	v_cmpx_lt_u32_e32 0xffffff, v9
	s_cbranch_execz .LBB276_426
; %bb.419:                              ;   in Loop: Header=BB276_10 Depth=1
	v_lshrrev_b32_e32 v1, 24, v9
	v_bfrev_b32_e32 v74, 1
	s_mov_b32 s33, exec_lo
	s_delay_alu instid0(VALU_DEP_2)
	v_cmpx_ne_u32_e32 0x80, v1
	s_cbranch_execz .LBB276_425
; %bb.420:                              ;   in Loop: Header=BB276_10 Depth=1
	v_and_b32_e32 v76, 0x7f, v1
	v_mov_b32_e32 v74, 0x7c010000
	s_mov_b32 s34, exec_lo
	s_delay_alu instid0(VALU_DEP_2)
	v_cmpx_ne_u32_e32 0x7f, v76
	s_cbranch_execz .LBB276_424
; %bb.421:                              ;   in Loop: Header=BB276_10 Depth=1
	v_and_b32_e32 v9, 7, v1
	v_lshrrev_b32_e32 v74, 3, v76
	s_mov_b32 s35, exec_lo
	v_cmpx_gt_u32_e32 8, v76
; %bb.422:                              ;   in Loop: Header=BB276_10 Depth=1
	s_delay_alu instid0(VALU_DEP_3) | instskip(NEXT) | instid1(VALU_DEP_1)
	v_clz_i32_u32_e32 v9, v9
	v_min_u32_e32 v9, 32, v9
	s_delay_alu instid0(VALU_DEP_1) | instskip(NEXT) | instid1(VALU_DEP_1)
	v_subrev_nc_u32_e32 v74, 28, v9
	v_lshlrev_b64_e32 v[76:77], v74, v[1:2]
	v_sub_nc_u32_e32 v74, 29, v9
	s_delay_alu instid0(VALU_DEP_2)
	v_and_b32_e32 v9, 7, v76
; %bb.423:                              ;   in Loop: Header=BB276_10 Depth=1
	s_wait_alu 0xfffe
	s_or_b32 exec_lo, exec_lo, s35
	v_lshlrev_b32_e32 v1, 8, v1
	v_lshl_add_u32 v74, v74, 10, 0x2000
	v_lshlrev_b32_e32 v9, 23, v9
	s_delay_alu instid0(VALU_DEP_2) | instskip(NEXT) | instid1(VALU_DEP_1)
	v_and_or_b32 v1, 0x8000, v1, v74
	v_lshl_or_b32 v74, v1, 16, v9
.LBB276_424:                            ;   in Loop: Header=BB276_10 Depth=1
	s_wait_alu 0xfffe
	s_or_b32 exec_lo, exec_lo, s34
.LBB276_425:                            ;   in Loop: Header=BB276_10 Depth=1
	s_delay_alu instid0(SALU_CYCLE_1)
	s_or_b32 exec_lo, exec_lo, s33
.LBB276_426:                            ;   in Loop: Header=BB276_10 Depth=1
	s_wait_alu 0xfffe
	s_or_b32 exec_lo, exec_lo, s5
	global_load_b32 v7, v[7:8], off offset:1544
	v_mov_b32_e32 v9, 0
	s_mov_b32 s5, exec_lo
	s_wait_loadcnt 0x0
	v_dual_mov_b32 v8, 0 :: v_dual_and_b32 v1, 0xff, v7
	s_delay_alu instid0(VALU_DEP_1)
	v_cmpx_ne_u16_e32 0, v1
	s_cbranch_execz .LBB276_434
; %bb.427:                              ;   in Loop: Header=BB276_10 Depth=1
	v_mov_b32_e32 v9, 0x8000
	s_mov_b32 s33, exec_lo
	v_cmpx_ne_u16_e32 0x80, v1
	s_cbranch_execz .LBB276_433
; %bb.428:                              ;   in Loop: Header=BB276_10 Depth=1
	v_and_b32_e32 v76, 0x7f, v7
	v_mov_b32_e32 v9, 0x7c01
	s_mov_b32 s34, exec_lo
	s_delay_alu instid0(VALU_DEP_2)
	v_cmpx_ne_u32_e32 0x7f, v76
	s_cbranch_execz .LBB276_432
; %bb.429:                              ;   in Loop: Header=BB276_10 Depth=1
	v_and_b32_e32 v1, 7, v7
	v_lshrrev_b32_e32 v9, 3, v76
	s_mov_b32 s35, exec_lo
	v_cmpx_gt_u32_e32 8, v76
; %bb.430:                              ;   in Loop: Header=BB276_10 Depth=1
	s_delay_alu instid0(VALU_DEP_3) | instskip(NEXT) | instid1(VALU_DEP_1)
	v_clz_i32_u32_e32 v1, v1
	v_min_u32_e32 v1, 32, v1
	s_delay_alu instid0(VALU_DEP_1) | instskip(NEXT) | instid1(VALU_DEP_1)
	v_subrev_nc_u32_e32 v9, 28, v1
	v_lshlrev_b64_e32 v[76:77], v9, v[7:8]
	v_sub_nc_u32_e32 v9, 29, v1
	s_delay_alu instid0(VALU_DEP_2)
	v_and_b32_e32 v1, 7, v76
; %bb.431:                              ;   in Loop: Header=BB276_10 Depth=1
	s_wait_alu 0xfffe
	s_or_b32 exec_lo, exec_lo, s35
	v_lshlrev_b32_e32 v76, 8, v7
	v_lshl_add_u32 v9, v9, 10, 0x2000
	v_lshlrev_b32_e32 v1, 7, v1
	s_delay_alu instid0(VALU_DEP_3) | instskip(NEXT) | instid1(VALU_DEP_3)
	v_and_b32_e32 v76, 0x8000, v76
	v_and_b32_e32 v9, 0xfc00, v9
	s_delay_alu instid0(VALU_DEP_1)
	v_or3_b32 v9, v76, v9, v1
.LBB276_432:                            ;   in Loop: Header=BB276_10 Depth=1
	s_wait_alu 0xfffe
	s_or_b32 exec_lo, exec_lo, s34
.LBB276_433:                            ;   in Loop: Header=BB276_10 Depth=1
	s_delay_alu instid0(SALU_CYCLE_1)
	s_or_b32 exec_lo, exec_lo, s33
.LBB276_434:                            ;   in Loop: Header=BB276_10 Depth=1
	s_wait_alu 0xfffe
	s_or_b32 exec_lo, exec_lo, s5
	v_lshrrev_b16 v1, 8, v7
	s_mov_b32 s5, exec_lo
	s_delay_alu instid0(VALU_DEP_1)
	v_cmpx_ne_u16_e32 0, v1
	s_cbranch_execz .LBB276_442
; %bb.435:                              ;   in Loop: Header=BB276_10 Depth=1
	v_bfrev_b32_e32 v8, 1
	s_mov_b32 s33, exec_lo
	v_cmpx_ne_u16_e32 0x80, v1
	s_cbranch_execz .LBB276_441
; %bb.436:                              ;   in Loop: Header=BB276_10 Depth=1
	v_and_b32_e32 v76, 0xffff, v1
	v_mov_b32_e32 v8, 0x7c010000
	s_mov_b32 s34, exec_lo
	s_delay_alu instid0(VALU_DEP_2) | instskip(NEXT) | instid1(VALU_DEP_1)
	v_and_b32_e32 v78, 0x7f, v76
	v_cmpx_ne_u32_e32 0x7f, v78
	s_cbranch_execz .LBB276_440
; %bb.437:                              ;   in Loop: Header=BB276_10 Depth=1
	v_and_b32_e32 v8, 7, v76
	v_lshrrev_b32_e32 v77, 3, v78
	s_mov_b32 s35, exec_lo
	v_cmpx_gt_u32_e32 8, v78
; %bb.438:                              ;   in Loop: Header=BB276_10 Depth=1
	s_delay_alu instid0(VALU_DEP_3) | instskip(NEXT) | instid1(VALU_DEP_1)
	v_clz_i32_u32_e32 v8, v8
	v_min_u32_e32 v8, 32, v8
	s_delay_alu instid0(VALU_DEP_1) | instskip(NEXT) | instid1(VALU_DEP_1)
	v_subrev_nc_u32_e32 v77, 28, v8
	v_lshlrev_b64_e32 v[78:79], v77, v[1:2]
	v_sub_nc_u32_e32 v77, 29, v8
	s_delay_alu instid0(VALU_DEP_2)
	v_and_b32_e32 v8, 7, v78
; %bb.439:                              ;   in Loop: Header=BB276_10 Depth=1
	s_wait_alu 0xfffe
	s_or_b32 exec_lo, exec_lo, s35
	v_lshlrev_b32_e32 v1, 8, v76
	v_lshl_add_u32 v76, v77, 10, 0x2000
	v_lshlrev_b32_e32 v8, 23, v8
	s_delay_alu instid0(VALU_DEP_2) | instskip(NEXT) | instid1(VALU_DEP_1)
	v_and_or_b32 v1, 0x8000, v1, v76
	v_lshl_or_b32 v8, v1, 16, v8
.LBB276_440:                            ;   in Loop: Header=BB276_10 Depth=1
	s_wait_alu 0xfffe
	s_or_b32 exec_lo, exec_lo, s34
.LBB276_441:                            ;   in Loop: Header=BB276_10 Depth=1
	s_delay_alu instid0(SALU_CYCLE_1)
	s_or_b32 exec_lo, exec_lo, s33
.LBB276_442:                            ;   in Loop: Header=BB276_10 Depth=1
	s_wait_alu 0xfffe
	s_or_b32 exec_lo, exec_lo, s5
	v_lshrrev_b32_e32 v1, 16, v7
	v_mov_b32_e32 v76, 0
	s_mov_b32 s5, exec_lo
	s_delay_alu instid0(VALU_DEP_2) | instskip(NEXT) | instid1(VALU_DEP_1)
	v_dual_mov_b32 v77, 0 :: v_dual_and_b32 v78, 0xff, v1
	v_cmpx_ne_u16_e32 0, v78
	s_cbranch_execz .LBB276_450
; %bb.443:                              ;   in Loop: Header=BB276_10 Depth=1
	v_mov_b32_e32 v77, 0x8000
	s_mov_b32 s33, exec_lo
	v_cmpx_ne_u16_e32 0x80, v78
	s_cbranch_execz .LBB276_449
; %bb.444:                              ;   in Loop: Header=BB276_10 Depth=1
	v_bfe_u32 v79, v7, 16, 7
	v_mov_b32_e32 v77, 0x7c01
	s_mov_b32 s34, exec_lo
	s_delay_alu instid0(VALU_DEP_2)
	v_cmpx_ne_u32_e32 0x7f, v79
	s_cbranch_execz .LBB276_448
; %bb.445:                              ;   in Loop: Header=BB276_10 Depth=1
	v_and_b32_e32 v77, 7, v1
	v_lshrrev_b32_e32 v78, 3, v79
	s_mov_b32 s35, exec_lo
	v_cmpx_gt_u32_e32 8, v79
; %bb.446:                              ;   in Loop: Header=BB276_10 Depth=1
	s_delay_alu instid0(VALU_DEP_3) | instskip(NEXT) | instid1(VALU_DEP_1)
	v_clz_i32_u32_e32 v77, v77
	v_min_u32_e32 v79, 32, v77
	s_delay_alu instid0(VALU_DEP_1) | instskip(NEXT) | instid1(VALU_DEP_1)
	v_subrev_nc_u32_e32 v77, 28, v79
	v_lshlrev_b64_e32 v[77:78], v77, v[1:2]
	v_sub_nc_u32_e32 v78, 29, v79
	s_delay_alu instid0(VALU_DEP_2)
	v_and_b32_e32 v77, 7, v77
; %bb.447:                              ;   in Loop: Header=BB276_10 Depth=1
	s_wait_alu 0xfffe
	s_or_b32 exec_lo, exec_lo, s35
	v_lshlrev_b32_e32 v1, 8, v1
	v_lshl_add_u32 v78, v78, 10, 0x2000
	v_lshlrev_b32_e32 v77, 7, v77
	s_delay_alu instid0(VALU_DEP_3) | instskip(NEXT) | instid1(VALU_DEP_3)
	v_and_b32_e32 v1, 0x8000, v1
	v_and_b32_e32 v78, 0xfc00, v78
	s_delay_alu instid0(VALU_DEP_1)
	v_or3_b32 v77, v1, v78, v77
.LBB276_448:                            ;   in Loop: Header=BB276_10 Depth=1
	s_wait_alu 0xfffe
	s_or_b32 exec_lo, exec_lo, s34
.LBB276_449:                            ;   in Loop: Header=BB276_10 Depth=1
	s_delay_alu instid0(SALU_CYCLE_1)
	s_or_b32 exec_lo, exec_lo, s33
.LBB276_450:                            ;   in Loop: Header=BB276_10 Depth=1
	s_wait_alu 0xfffe
	s_or_b32 exec_lo, exec_lo, s5
	s_delay_alu instid0(SALU_CYCLE_1)
	s_mov_b32 s5, exec_lo
	v_cmpx_lt_u32_e32 0xffffff, v7
	s_cbranch_execz .LBB276_458
; %bb.451:                              ;   in Loop: Header=BB276_10 Depth=1
	v_lshrrev_b32_e32 v1, 24, v7
	v_bfrev_b32_e32 v76, 1
	s_mov_b32 s33, exec_lo
	s_delay_alu instid0(VALU_DEP_2)
	v_cmpx_ne_u32_e32 0x80, v1
	s_cbranch_execz .LBB276_457
; %bb.452:                              ;   in Loop: Header=BB276_10 Depth=1
	v_and_b32_e32 v78, 0x7f, v1
	v_mov_b32_e32 v76, 0x7c010000
	s_mov_b32 s34, exec_lo
	s_delay_alu instid0(VALU_DEP_2)
	v_cmpx_ne_u32_e32 0x7f, v78
	s_cbranch_execz .LBB276_456
; %bb.453:                              ;   in Loop: Header=BB276_10 Depth=1
	v_and_b32_e32 v7, 7, v1
	v_lshrrev_b32_e32 v76, 3, v78
	s_mov_b32 s35, exec_lo
	v_cmpx_gt_u32_e32 8, v78
; %bb.454:                              ;   in Loop: Header=BB276_10 Depth=1
	s_delay_alu instid0(VALU_DEP_3) | instskip(NEXT) | instid1(VALU_DEP_1)
	v_clz_i32_u32_e32 v7, v7
	v_min_u32_e32 v7, 32, v7
	s_delay_alu instid0(VALU_DEP_1) | instskip(NEXT) | instid1(VALU_DEP_1)
	v_subrev_nc_u32_e32 v76, 28, v7
	v_lshlrev_b64_e32 v[78:79], v76, v[1:2]
	v_sub_nc_u32_e32 v76, 29, v7
	s_delay_alu instid0(VALU_DEP_2)
	v_and_b32_e32 v7, 7, v78
; %bb.455:                              ;   in Loop: Header=BB276_10 Depth=1
	s_wait_alu 0xfffe
	s_or_b32 exec_lo, exec_lo, s35
	v_lshlrev_b32_e32 v1, 8, v1
	v_lshl_add_u32 v76, v76, 10, 0x2000
	v_lshlrev_b32_e32 v7, 23, v7
	s_delay_alu instid0(VALU_DEP_2) | instskip(NEXT) | instid1(VALU_DEP_1)
	v_and_or_b32 v1, 0x8000, v1, v76
	v_lshl_or_b32 v76, v1, 16, v7
.LBB276_456:                            ;   in Loop: Header=BB276_10 Depth=1
	s_wait_alu 0xfffe
	s_or_b32 exec_lo, exec_lo, s34
.LBB276_457:                            ;   in Loop: Header=BB276_10 Depth=1
	s_delay_alu instid0(SALU_CYCLE_1)
	s_or_b32 exec_lo, exec_lo, s33
.LBB276_458:                            ;   in Loop: Header=BB276_10 Depth=1
	s_wait_alu 0xfffe
	s_or_b32 exec_lo, exec_lo, s5
	ds_load_b64 v[78:79], v19
	v_or_b32_e32 v1, v24, v25
	v_or_b32_e32 v7, v26, v27
	v_fma_mixlo_f16 v25, v23, v26, 0 op_sel:[0,1,0] op_sel_hi:[0,1,0]
	v_fma_mixlo_f16 v24, v23, v24, 0 op_sel:[0,1,0] op_sel_hi:[0,1,0]
	v_or_b32_e32 v29, v28, v29
	v_fma_mixlo_f16 v1, v23, v1, 0 op_sel_hi:[0,1,0]
	v_fma_mixlo_f16 v7, v23, v7, 0 op_sel_hi:[0,1,0]
	v_and_b32_e32 v80, 0xffff, v25
	v_and_b32_e32 v24, 0xffff, v24
	v_or_b32_e32 v31, v30, v31
	v_and_b32_e32 v25, 0xffff, v1
	v_fma_mixlo_f16 v28, v23, v28, 0 op_sel:[0,1,0] op_sel_hi:[0,1,0]
	v_fma_mixlo_f16 v30, v23, v30, 0 op_sel:[0,1,0] op_sel_hi:[0,1,0]
	v_fma_mixlo_f16 v29, v23, v29, 0 op_sel_hi:[0,1,0]
	v_fma_mixlo_f16 v31, v23, v31, 0 op_sel_hi:[0,1,0]
	v_or_b32_e32 v33, v32, v33
	v_or_b32_e32 v35, v34, v35
	v_fma_mixlo_f16 v32, v23, v32, 0 op_sel:[0,1,0] op_sel_hi:[0,1,0]
	v_fma_mixlo_f16 v34, v23, v34, 0 op_sel:[0,1,0] op_sel_hi:[0,1,0]
	s_wait_dscnt 0x0
	v_and_b32_e32 v1, 0xffff, v78
	v_lshrrev_b32_e32 v26, 16, v78
	v_and_b32_e32 v78, 0xffff, v7
	v_lshrrev_b32_e32 v81, 16, v79
	;;#ASMSTART
	v_cvt_f32_f16 v1, v1;
	;;#ASMEND
	;;#ASMSTART
	v_cvt_f32_f16 v7, v26;
	;;#ASMEND
	;;#ASMSTART
	v_cvt_f32_f16 v25, v25;
	;;#ASMEND
	v_and_b32_e32 v27, 0xffff, v79
	;;#ASMSTART
	v_cvt_f32_f16 v26, v24;
	;;#ASMEND
	;;#ASMSTART
	v_cvt_f32_f16 v27, v27;
	;;#ASMEND
	;; [unrolled: 3-line block ×5, first 2 shown]
	ds_load_b64 v[80:81], v19 offset:8
	v_and_b32_e32 v82, 0xffff, v28
	v_and_b32_e32 v83, 0xffff, v30
	;; [unrolled: 1-line block ×4, first 2 shown]
	v_fma_mixlo_f16 v33, v23, v33, 0 op_sel_hi:[0,1,0]
	v_fma_mixlo_f16 v35, v23, v35, 0 op_sel_hi:[0,1,0]
	v_and_b32_e32 v86, 0xffff, v32
	v_and_b32_e32 v87, 0xffff, v34
	v_or_b32_e32 v37, v36, v37
	v_and_b32_e32 v34, 0xffff, v33
	v_and_b32_e32 v88, 0xffff, v35
	v_or_b32_e32 v39, v38, v39
	v_fma_mixlo_f16 v36, v23, v36, 0 op_sel:[0,1,0] op_sel_hi:[0,1,0]
	v_fma_mixlo_f16 v38, v23, v38, 0 op_sel:[0,1,0] op_sel_hi:[0,1,0]
	v_fma_mixlo_f16 v37, v23, v37, 0 op_sel_hi:[0,1,0]
	v_or_b32_e32 v41, v40, v41
	v_fma_mixlo_f16 v39, v23, v39, 0 op_sel_hi:[0,1,0]
	v_and_b32_e32 v90, 0xffff, v36
	v_and_b32_e32 v92, 0xffff, v38
	s_wait_dscnt 0x0
	v_and_b32_e32 v28, 0xffff, v80
	v_lshrrev_b32_e32 v29, 16, v80
	;;#ASMSTART
	v_cvt_f32_f16 v28, v28;
	;;#ASMEND
	;;#ASMSTART
	v_cvt_f32_f16 v29, v29;
	;;#ASMEND
	;; [unrolled: 3-line block ×3, first 2 shown]
	v_mul_f32_e32 v28, v28, v31
	v_lshrrev_b32_e32 v85, 16, v81
	;;#ASMSTART
	v_cvt_f32_f16 v80, v82;
	;;#ASMEND
	v_and_b32_e32 v38, 0xffff, v37
	v_or_b32_e32 v43, v42, v43
	v_fmac_f32_e32 v28, v1, v25
	v_and_b32_e32 v81, 0xffff, v81
	;;#ASMSTART
	v_cvt_f32_f16 v81, v81;
	;;#ASMEND
	;;#ASMSTART
	v_cvt_f32_f16 v30, v85;
	;;#ASMEND
	;; [unrolled: 3-line block ×4, first 2 shown]
	ds_load_b64 v[84:85], v19 offset:16
	v_mul_f32_e32 v30, v30, v83
	v_fma_mixlo_f16 v40, v23, v40, 0 op_sel:[0,1,0] op_sel_hi:[0,1,0]
	v_fma_mixlo_f16 v42, v23, v42, 0 op_sel:[0,1,0] op_sel_hi:[0,1,0]
	v_fma_mixlo_f16 v41, v23, v41, 0 op_sel_hi:[0,1,0]
	v_fma_mixlo_f16 v43, v23, v43, 0 op_sel_hi:[0,1,0]
	v_fmac_f32_e32 v30, v24, v79
	v_and_b32_e32 v94, 0xffff, v40
	v_and_b32_e32 v95, 0xffff, v42
	;; [unrolled: 1-line block ×4, first 2 shown]
	v_or_b32_e32 v45, v44, v45
	v_or_b32_e32 v47, v46, v47
	v_fma_mixlo_f16 v44, v23, v44, 0 op_sel:[0,1,0] op_sel_hi:[0,1,0]
	v_fma_mixlo_f16 v46, v23, v46, 0 op_sel:[0,1,0] op_sel_hi:[0,1,0]
	v_or_b32_e32 v49, v48, v49
	v_fma_mixlo_f16 v45, v23, v45, 0 op_sel_hi:[0,1,0]
	v_fma_mixlo_f16 v47, v23, v47, 0 op_sel_hi:[0,1,0]
	v_and_b32_e32 v98, 0xffff, v44
	v_or_b32_e32 v53, v52, v53
	s_wait_dscnt 0x0
	v_and_b32_e32 v32, 0xffff, v84
	v_lshrrev_b32_e32 v33, 16, v84
	v_lshrrev_b32_e32 v89, 16, v85
	v_and_b32_e32 v85, 0xffff, v85
	;;#ASMSTART
	v_cvt_f32_f16 v32, v32;
	;;#ASMEND
	;;#ASMSTART
	v_cvt_f32_f16 v33, v33;
	;;#ASMEND
	;; [unrolled: 3-line block ×8, first 2 shown]
	ds_load_b64 v[88:89], v19 offset:24
	v_fmac_f32_e32 v28, v32, v35
	v_fmac_f32_e32 v30, v34, v87
	v_and_b32_e32 v91, 0xffff, v39
	v_and_b32_e32 v100, 0xffff, v47
	v_fma_mixlo_f16 v52, v23, v52, 0 op_sel:[0,1,0] op_sel_hi:[0,1,0]
	v_fma_mixlo_f16 v48, v23, v48, 0 op_sel:[0,1,0] op_sel_hi:[0,1,0]
	v_fma_mixlo_f16 v49, v23, v49, 0 op_sel_hi:[0,1,0]
	v_fma_mixlo_f16 v53, v23, v53, 0 op_sel_hi:[0,1,0]
	v_or_b32_e32 v51, v50, v51
	v_or_b32_e32 v55, v54, v55
	v_and_b32_e32 v48, 0xffff, v48
	v_fma_mixlo_f16 v50, v23, v50, 0 op_sel:[0,1,0] op_sel_hi:[0,1,0]
	v_and_b32_e32 v104, 0xffff, v53
	v_fma_mixlo_f16 v54, v23, v54, 0 op_sel:[0,1,0] op_sel_hi:[0,1,0]
	v_fma_mixlo_f16 v51, v23, v51, 0 op_sel_hi:[0,1,0]
	v_fma_mixlo_f16 v55, v23, v55, 0 op_sel_hi:[0,1,0]
	v_and_b32_e32 v106, 0xffff, v50
	v_or_b32_e32 v57, v56, v57
	v_or_b32_e32 v59, v58, v59
	s_wait_dscnt 0x0
	v_and_b32_e32 v36, 0xffff, v88
	v_lshrrev_b32_e32 v37, 16, v88
	v_lshrrev_b32_e32 v93, 16, v89
	;;#ASMSTART
	v_cvt_f32_f16 v36, v36;
	;;#ASMEND
	;;#ASMSTART
	v_cvt_f32_f16 v37, v37;
	;;#ASMEND
	;; [unrolled: 3-line block ×3, first 2 shown]
	v_dual_fmac_f32 v28, v36, v39 :: v_dual_and_b32 v89, 0xffff, v89
	;;#ASMSTART
	v_cvt_f32_f16 v88, v90;
	;;#ASMEND
	;;#ASMSTART
	v_cvt_f32_f16 v89, v89;
	;;#ASMEND
	;;#ASMSTART
	v_cvt_f32_f16 v38, v93;
	;;#ASMEND
	;;#ASMSTART
	v_cvt_f32_f16 v91, v91;
	;;#ASMEND
	;;#ASMSTART
	v_cvt_f32_f16 v90, v92;
	;;#ASMEND
	ds_load_b64 v[92:93], v19 offset:32
	v_fmac_f32_e32 v30, v38, v90
	v_and_b32_e32 v108, 0xffff, v55
	v_fma_mixlo_f16 v56, v23, v56, 0 op_sel:[0,1,0] op_sel_hi:[0,1,0]
	v_fma_mixlo_f16 v58, v23, v58, 0 op_sel:[0,1,0] op_sel_hi:[0,1,0]
	v_fma_mixlo_f16 v57, v23, v57, 0 op_sel_hi:[0,1,0]
	v_fma_mixlo_f16 v59, v23, v59, 0 op_sel_hi:[0,1,0]
	v_or_b32_e32 v61, v60, v61
	v_and_b32_e32 v110, 0xffff, v56
	v_or_b32_e32 v63, v62, v63
	v_fma_mixlo_f16 v60, v23, v60, 0 op_sel:[0,1,0] op_sel_hi:[0,1,0]
	v_and_b32_e32 v112, 0xffff, v59
	v_fma_mixlo_f16 v62, v23, v62, 0 op_sel:[0,1,0] op_sel_hi:[0,1,0]
	v_fma_mixlo_f16 v61, v23, v61, 0 op_sel_hi:[0,1,0]
	v_fma_mixlo_f16 v63, v23, v63, 0 op_sel_hi:[0,1,0]
	v_and_b32_e32 v114, 0xffff, v60
	v_or_b32_e32 v65, v64, v65
	v_or_b32_e32 v67, v66, v67
	v_fma_mixlo_f16 v66, v23, v66, 0 op_sel:[0,1,0] op_sel_hi:[0,1,0]
	v_and_b32_e32 v116, 0xffff, v63
	s_wait_dscnt 0x0
	v_and_b32_e32 v40, 0xffff, v92
	v_lshrrev_b32_e32 v41, 16, v92
	v_lshrrev_b32_e32 v97, 16, v93
	v_and_b32_e32 v92, 0xffff, v93
	;;#ASMSTART
	v_cvt_f32_f16 v40, v40;
	;;#ASMEND
	;;#ASMSTART
	v_cvt_f32_f16 v41, v41;
	;;#ASMEND
	;; [unrolled: 3-line block ×8, first 2 shown]
	ds_load_b64 v[96:97], v19 offset:40
	v_dual_fmac_f32 v30, v93, v95 :: v_dual_and_b32 v99, 0xffff, v46
	v_and_b32_e32 v46, 0xffff, v45
	v_fmac_f32_e32 v28, v40, v42
	v_fma_mixlo_f16 v64, v23, v64, 0 op_sel:[0,1,0] op_sel_hi:[0,1,0]
	v_or_b32_e32 v73, v72, v73
	v_or_b32_e32 v69, v68, v69
	;; [unrolled: 1-line block ×4, first 2 shown]
	v_fma_mixlo_f16 v119, v23, v8, 0 op_sel:[0,1,0] op_sel_hi:[0,1,0]
	v_fma_mixlo_f16 v8, v23, v65, 0 op_sel_hi:[0,1,0]
	v_fma_mixlo_f16 v9, v23, v67, 0 op_sel_hi:[0,1,0]
	v_and_b32_e32 v120, 0xffff, v64
	v_fma_mixlo_f16 v64, v23, v69, 0 op_sel_hi:[0,1,0]
	v_fma_mixlo_f16 v65, v23, v71, 0 op_sel_hi:[0,1,0]
	v_and_b32_e32 v8, 0xffff, v8
	v_mul_f32_e32 v29, v29, v80
	v_mul_f32_e32 v31, v81, v82
	v_fma_mixlo_f16 v68, v23, v68, 0 op_sel:[0,1,0] op_sel_hi:[0,1,0]
	s_wait_dscnt 0x0
	v_and_b32_e32 v44, 0xffff, v96
	v_lshrrev_b32_e32 v45, 16, v96
	v_lshrrev_b32_e32 v101, 16, v97
	v_and_b32_e32 v96, 0xffff, v97
	;;#ASMSTART
	v_cvt_f32_f16 v44, v44;
	;;#ASMEND
	;;#ASMSTART
	v_cvt_f32_f16 v45, v45;
	;;#ASMEND
	;;#ASMSTART
	v_cvt_f32_f16 v46, v46;
	;;#ASMEND
	;;#ASMSTART
	v_cvt_f32_f16 v47, v98;
	;;#ASMEND
	;;#ASMSTART
	v_cvt_f32_f16 v96, v96;
	;;#ASMEND
	;;#ASMSTART
	v_cvt_f32_f16 v97, v101;
	;;#ASMEND
	;;#ASMSTART
	v_cvt_f32_f16 v98, v100;
	;;#ASMEND
	;;#ASMSTART
	v_cvt_f32_f16 v99, v99;
	;;#ASMEND
	ds_load_b64 v[100:101], v19 offset:48
	v_dual_fmac_f32 v28, v44, v46 :: v_dual_and_b32 v105, 0xffff, v52
	v_dual_fmac_f32 v30, v97, v99 :: v_dual_fmac_f32 v29, v7, v26
	v_fmac_f32_e32 v31, v27, v78
	v_fma_mixlo_f16 v70, v23, v70, 0 op_sel:[0,1,0] op_sel_hi:[0,1,0]
	v_and_b32_e32 v32, 0xffff, v65
	v_and_b32_e32 v68, 0xffff, v68
	v_fmac_f32_e32 v29, v33, v84
	v_fmac_f32_e32 v31, v85, v86
	v_and_b32_e32 v70, 0xffff, v70
	v_or_b32_e32 v75, v74, v75
	v_fma_mixlo_f16 v72, v23, v72, 0 op_sel:[0,1,0] op_sel_hi:[0,1,0]
	v_fmac_f32_e32 v29, v37, v88
	v_fmac_f32_e32 v31, v89, v91
	v_fma_mixlo_f16 v74, v23, v74, 0 op_sel:[0,1,0] op_sel_hi:[0,1,0]
	v_fma_mixlo_f16 v34, v23, v75, 0 op_sel_hi:[0,1,0]
	v_fma_mixlo_f16 v35, v23, v118, 0 op_sel_hi:[0,1,0]
	s_wait_dscnt 0x0
	v_dual_fmac_f32 v29, v41, v43 :: v_dual_and_b32 v52, 0xffff, v100
	v_lshrrev_b32_e32 v100, 16, v100
	v_lshrrev_b32_e32 v103, 16, v101
	v_and_b32_e32 v102, 0xffff, v101
	;;#ASMSTART
	v_cvt_f32_f16 v52, v52;
	;;#ASMEND
	v_and_b32_e32 v49, 0xffff, v49
	;;#ASMSTART
	v_cvt_f32_f16 v53, v100;
	;;#ASMEND
	;;#ASMSTART
	v_cvt_f32_f16 v100, v49;
	;;#ASMEND
	;; [unrolled: 3-line block ×7, first 2 shown]
	ds_load_b64 v[48:49], v19 offset:56
	v_dual_fmac_f32 v28, v52, v100 :: v_dual_and_b32 v109, 0xffff, v54
	v_fmac_f32_e32 v30, v103, v105
	v_dual_fmac_f32 v31, v92, v94 :: v_dual_and_b32 v54, 0xffff, v51
	v_fmac_f32_e32 v29, v45, v47
	v_and_b32_e32 v41, 0xffff, v34
	v_and_b32_e32 v42, 0xffff, v74
	v_or_b32_e32 v43, v76, v77
	v_fmac_f32_e32 v31, v96, v98
	v_fmac_f32_e32 v29, v53, v101
	s_delay_alu instid0(VALU_DEP_3) | instskip(NEXT) | instid1(VALU_DEP_3)
	v_fma_mixlo_f16 v43, v23, v43, 0 op_sel_hi:[0,1,0]
	v_fmac_f32_e32 v31, v102, v104
	s_wait_dscnt 0x0
	v_and_b32_e32 v50, 0xffff, v48
	v_lshrrev_b32_e32 v48, 16, v48
	v_lshrrev_b32_e32 v107, 16, v49
	;;#ASMSTART
	v_cvt_f32_f16 v50, v50;
	;;#ASMEND
	;;#ASMSTART
	v_cvt_f32_f16 v51, v48;
	;;#ASMEND
	;; [unrolled: 3-line block ×3, first 2 shown]
	v_dual_fmac_f32 v28, v50, v54 :: v_dual_and_b32 v49, 0xffff, v49
	;;#ASMSTART
	v_cvt_f32_f16 v55, v106;
	;;#ASMEND
	;;#ASMSTART
	v_cvt_f32_f16 v106, v49;
	;;#ASMEND
	;; [unrolled: 3-line block ×5, first 2 shown]
	ds_load_b64 v[48:49], v19 offset:64
	v_dual_fmac_f32 v30, v107, v109 :: v_dual_and_b32 v113, 0xffff, v58
	v_dual_fmac_f32 v29, v51, v55 :: v_dual_and_b32 v58, 0xffff, v57
	v_fmac_f32_e32 v31, v106, v108
	s_wait_dscnt 0x0
	v_and_b32_e32 v56, 0xffff, v48
	v_lshrrev_b32_e32 v48, 16, v48
	v_lshrrev_b32_e32 v111, 16, v49
	;;#ASMSTART
	v_cvt_f32_f16 v56, v56;
	;;#ASMEND
	;;#ASMSTART
	v_cvt_f32_f16 v57, v48;
	;;#ASMEND
	;;#ASMSTART
	v_cvt_f32_f16 v58, v58;
	;;#ASMEND
	v_dual_fmac_f32 v28, v56, v58 :: v_dual_and_b32 v49, 0xffff, v49
	;;#ASMSTART
	v_cvt_f32_f16 v59, v110;
	;;#ASMEND
	;;#ASMSTART
	v_cvt_f32_f16 v110, v49;
	;;#ASMEND
	;;#ASMSTART
	v_cvt_f32_f16 v111, v111;
	;;#ASMEND
	;;#ASMSTART
	v_cvt_f32_f16 v112, v112;
	;;#ASMEND
	;;#ASMSTART
	v_cvt_f32_f16 v113, v113;
	;;#ASMEND
	ds_load_b64 v[48:49], v19 offset:72
	v_dual_fmac_f32 v30, v111, v113 :: v_dual_and_b32 v117, 0xffff, v62
	v_dual_fmac_f32 v29, v57, v59 :: v_dual_and_b32 v62, 0xffff, v61
	v_fmac_f32_e32 v31, v110, v112
	s_wait_dscnt 0x0
	v_and_b32_e32 v60, 0xffff, v48
	v_lshrrev_b32_e32 v48, 16, v48
	v_lshrrev_b32_e32 v115, 16, v49
	;;#ASMSTART
	v_cvt_f32_f16 v60, v60;
	;;#ASMEND
	;;#ASMSTART
	v_cvt_f32_f16 v61, v48;
	;;#ASMEND
	;; [unrolled: 3-line block ×3, first 2 shown]
	v_dual_fmac_f32 v28, v60, v62 :: v_dual_and_b32 v49, 0xffff, v49
	;;#ASMSTART
	v_cvt_f32_f16 v63, v114;
	;;#ASMEND
	;;#ASMSTART
	v_cvt_f32_f16 v114, v49;
	;;#ASMEND
	;; [unrolled: 3-line block ×5, first 2 shown]
	ds_load_b64 v[48:49], v19 offset:80
	v_dual_fmac_f32 v30, v115, v117 :: v_dual_and_b32 v121, 0xffff, v66
	v_fma_mixlo_f16 v66, v23, v73, 0 op_sel_hi:[0,1,0]
	v_fmac_f32_e32 v29, v61, v63
	s_delay_alu instid0(VALU_DEP_2)
	v_dual_fmac_f32 v31, v114, v116 :: v_dual_and_b32 v38, 0xffff, v66
	s_wait_dscnt 0x0
	v_and_b32_e32 v67, 0xffff, v48
	v_lshrrev_b32_e32 v69, 16, v48
	v_lshrrev_b32_e32 v73, 16, v49
	v_and_b32_e32 v71, 0xffff, v49
	;;#ASMSTART
	v_cvt_f32_f16 v48, v67;
	;;#ASMEND
	;;#ASMSTART
	v_cvt_f32_f16 v49, v69;
	;;#ASMEND
	;; [unrolled: 3-line block ×3, first 2 shown]
	v_dual_fmac_f32 v28, v48, v67 :: v_dual_and_b32 v9, 0xffff, v9
	;;#ASMSTART
	v_cvt_f32_f16 v69, v120;
	;;#ASMEND
	;;#ASMSTART
	v_cvt_f32_f16 v71, v71;
	;;#ASMEND
	;; [unrolled: 3-line block ×5, first 2 shown]
	ds_load_b64 v[8:9], v19 offset:88
	v_dual_fmac_f32 v30, v73, v121 :: v_dual_and_b32 v7, 0xffff, v64
	v_fmac_f32_e32 v29, v49, v69
	v_fmac_f32_e32 v31, v71, v120
	s_wait_dscnt 0x0
	v_and_b32_e32 v1, 0xffff, v8
	v_lshrrev_b32_e32 v8, 16, v8
	v_lshrrev_b32_e32 v27, 16, v9
	v_and_b32_e32 v26, 0xffff, v9
	;;#ASMSTART
	v_cvt_f32_f16 v1, v1;
	;;#ASMEND
	;;#ASMSTART
	v_cvt_f32_f16 v9, v8;
	;;#ASMEND
	;; [unrolled: 3-line block ×8, first 2 shown]
	ds_load_b64 v[7:8], v19 offset:96
	v_fmac_f32_e32 v28, v1, v24
	v_fmac_f32_e32 v30, v27, v33
	;; [unrolled: 1-line block ×4, first 2 shown]
	v_fma_mixlo_f16 v1, v23, v76, 0 op_sel:[0,1,0] op_sel_hi:[0,1,0]
	v_and_b32_e32 v24, 0xffff, v35
	v_and_b32_e32 v25, 0xffff, v119
	;; [unrolled: 1-line block ×3, first 2 shown]
	s_wait_dscnt 0x0
	v_and_b32_e32 v36, 0xffff, v7
	v_lshrrev_b32_e32 v7, 16, v7
	;;#ASMSTART
	v_cvt_f32_f16 v36, v36;
	;;#ASMEND
	;;#ASMSTART
	v_cvt_f32_f16 v37, v7;
	;;#ASMEND
	;; [unrolled: 3-line block ×3, first 2 shown]
	v_dual_fmac_f32 v28, v36, v38 :: v_dual_and_b32 v7, 0xffff, v72
	v_and_b32_e32 v39, 0xffff, v8
	v_lshrrev_b32_e32 v8, 16, v8
	;;#ASMSTART
	v_cvt_f32_f16 v34, v7;
	;;#ASMEND
	;;#ASMSTART
	v_cvt_f32_f16 v39, v39;
	;;#ASMEND
	;; [unrolled: 3-line block ×5, first 2 shown]
	ds_load_b64 v[7:8], v19 offset:104
	v_fmac_f32_e32 v29, v37, v34
	v_dual_fmac_f32 v31, v39, v41 :: v_dual_fmac_f32 v30, v40, v42
	s_wait_dscnt 0x0
	v_and_b32_e32 v9, 0xffff, v7
	v_lshrrev_b32_e32 v23, 16, v7
	;;#ASMSTART
	v_cvt_f32_f16 v7, v9;
	;;#ASMEND
	;;#ASMSTART
	v_cvt_f32_f16 v9, v23;
	;;#ASMEND
	;;#ASMSTART
	v_cvt_f32_f16 v23, v24;
	;;#ASMEND
	;;#ASMSTART
	v_cvt_f32_f16 v24, v25;
	;;#ASMEND
	v_and_b32_e32 v25, 0xffff, v8
	v_lshrrev_b32_e32 v8, 16, v8
	v_fmac_f32_e32 v28, v7, v23
	;;#ASMSTART
	v_cvt_f32_f16 v7, v25;
	;;#ASMEND
	v_fmac_f32_e32 v29, v9, v24
	;;#ASMSTART
	v_cvt_f32_f16 v8, v8;
	;;#ASMEND
	;;#ASMSTART
	v_cvt_f32_f16 v9, v26;
	;;#ASMEND
	v_fmac_f32_e32 v31, v7, v9
	v_xor_b32_e32 v7, 1, v16
	v_and_b32_e32 v23, 0xffff, v1
	v_add_f32_e32 v1, v28, v29
	;;#ASMSTART
	v_cvt_f32_f16 v9, v23;
	;;#ASMEND
	v_fmac_f32_e32 v30, v8, v9
	v_cmp_gt_i32_e64 s4, 32, v7
	s_delay_alu instid0(VALU_DEP_3) | instskip(SKIP_1) | instid1(VALU_DEP_2)
	v_add_f32_e32 v1, v1, v31
	s_wait_alu 0xf1ff
	v_cndmask_b32_e64 v7, v16, v7, s4
	s_delay_alu instid0(VALU_DEP_2) | instskip(NEXT) | instid1(VALU_DEP_2)
	v_add_f32_e32 v1, v30, v1
	v_lshlrev_b32_e32 v7, 2, v7
	ds_bpermute_b32 v7, v7, v1
	s_and_saveexec_b32 s5, vcc_lo
	s_cbranch_execz .LBB276_9
; %bb.459:                              ;   in Loop: Header=BB276_10 Depth=1
	s_wait_dscnt 0x0
	v_dual_add_f32 v1, v1, v7 :: v_dual_add_nc_u32 v8, s31, v20
	v_cmp_gt_i32_e64 s4, s27, v20
	s_delay_alu instid0(VALU_DEP_2) | instskip(NEXT) | instid1(VALU_DEP_1)
	v_cvt_f32_i32_e32 v8, v8
	v_mul_f32_e32 v8, s6, v8
	s_delay_alu instid0(VALU_DEP_1) | instskip(NEXT) | instid1(VALU_DEP_1)
	v_cndmask_b32_e64 v7, 0, v8, s3
	v_dual_max_num_f32 v8, v18, v18 :: v_dual_fmac_f32 v7, s7, v1
	s_delay_alu instid0(VALU_DEP_1) | instskip(SKIP_2) | instid1(VALU_DEP_2)
	v_max_num_f32_e32 v1, v8, v7
	s_wait_alu 0xf1ff
	v_cndmask_b32_e64 v7, 0, v7, s4
	v_cndmask_b32_e64 v18, v18, v1, s4
	ds_store_b32 v21, v7
	s_branch .LBB276_9
.LBB276_460:
	s_or_b32 exec_lo, exec_lo, s15
.LBB276_461:
	s_delay_alu instid0(SALU_CYCLE_1)
	s_or_b32 exec_lo, exec_lo, s24
	v_xor_b32_e32 v1, 16, v16
	v_xor_b32_e32 v3, 8, v16
	s_wait_dscnt 0x0
	v_xor_b32_e32 v7, 2, v16
	s_load_b128 s[4:7], s[0:1], 0x0
	s_wait_kmcnt 0x0
	s_clause 0x1
	s_load_b64 s[8:9], s[0:1], 0x10
	s_load_b64 s[24:25], s[0:1], 0x28
	v_max_num_f32_e32 v6, v18, v18
	v_cmp_lt_i32_e32 vcc_lo, v1, v17
	v_cndmask_b32_e32 v1, v16, v1, vcc_lo
	v_cmp_lt_i32_e32 vcc_lo, v3, v17
	s_wait_alu 0xfffd
	s_delay_alu instid0(VALU_DEP_2) | instskip(SKIP_4) | instid1(VALU_DEP_1)
	v_dual_cndmask_b32 v3, v16, v3 :: v_dual_lshlrev_b32 v4, 2, v1
	ds_bpermute_b32 v1, v4, v18
	v_lshlrev_b32_e32 v5, 2, v3
	s_wait_dscnt 0x0
	v_dual_max_num_f32 v1, v1, v1 :: v_dual_and_b32 v18, 31, v0
	v_max_num_f32_e32 v1, v6, v1
	v_xor_b32_e32 v6, 4, v16
	s_delay_alu instid0(VALU_DEP_1) | instskip(SKIP_3) | instid1(VALU_DEP_2)
	v_cmp_lt_i32_e32 vcc_lo, v6, v17
	s_wait_alu 0xfffd
	v_cndmask_b32_e32 v6, v16, v6, vcc_lo
	v_cmp_lt_i32_e32 vcc_lo, v7, v17
	v_lshlrev_b32_e32 v6, 2, v6
	ds_bpermute_b32 v3, v5, v1
	s_wait_alu 0xfffd
	v_cndmask_b32_e32 v7, v16, v7, vcc_lo
	v_cmp_eq_u32_e32 vcc_lo, 0, v18
	s_wait_dscnt 0x0
	v_max_num_f32_e32 v3, v3, v3
	s_delay_alu instid0(VALU_DEP_1) | instskip(SKIP_3) | instid1(VALU_DEP_1)
	v_max_num_f32_e32 v1, v1, v3
	ds_bpermute_b32 v3, v6, v1
	s_wait_dscnt 0x0
	v_max_num_f32_e32 v3, v3, v3
	v_max_num_f32_e32 v1, v1, v3
	v_lshlrev_b32_e32 v3, 2, v7
	v_lshlrev_b32_e32 v7, 2, v13
	ds_bpermute_b32 v8, v3, v1
	s_and_saveexec_b32 s0, vcc_lo
	s_cbranch_execz .LBB276_463
; %bb.462:
	s_wait_dscnt 0x0
	v_dual_max_num_f32 v8, v8, v8 :: v_dual_max_num_f32 v1, v1, v1
	s_delay_alu instid0(VALU_DEP_1)
	v_max_num_f32_e32 v1, v1, v8
	ds_store_b32 v7, v1 offset:224
.LBB276_463:
	s_or_b32 exec_lo, exec_lo, s0
	v_cmp_gt_u32_e64 s0, 4, v18
	s_wait_dscnt 0x0
	v_dual_mov_b32 v1, 0xff7fffff :: v_dual_lshlrev_b32 v8, 2, v18
	s_wait_loadcnt 0x0
	s_barrier_signal -1
	s_barrier_wait -1
	global_inv scope:SCOPE_SE
	s_and_saveexec_b32 s1, s0
; %bb.464:
	ds_load_b32 v1, v8 offset:224
; %bb.465:
	s_or_b32 exec_lo, exec_lo, s1
	s_wait_dscnt 0x0
	ds_bpermute_b32 v9, v3, v1
	v_xor_b32_e32 v19, 1, v16
	v_dual_max_num_f32 v1, v1, v1 :: v_dual_lshlrev_b32 v2, 2, v2
	s_delay_alu instid0(VALU_DEP_2) | instskip(NEXT) | instid1(VALU_DEP_1)
	v_cmp_lt_i32_e64 s1, v19, v17
	v_cndmask_b32_e64 v17, v16, v19, s1
	s_sub_co_i32 s1, s17, s30
	s_wait_alu 0xfffe
	s_lshl_b32 s1, s1, 4
	s_delay_alu instid0(VALU_DEP_1)
	v_lshlrev_b32_e32 v17, 2, v17
	s_wait_alu 0xfffe
	s_add_co_i32 s1, s1, s28
	s_wait_alu 0xfffe
	s_min_i32 s1, s1, s27
	s_wait_dscnt 0x0
	v_max_num_f32_e32 v9, v9, v9
	s_wait_alu 0xfffe
	s_sub_co_i32 s15, s1, s28
	s_delay_alu instid0(SALU_CYCLE_1) | instskip(NEXT) | instid1(VALU_DEP_2)
	v_cmp_gt_i32_e64 s1, s15, v0
	v_max_num_f32_e32 v1, v1, v9
	ds_bpermute_b32 v9, v17, v1
	s_wait_dscnt 0x0
	v_max_num_f32_e32 v9, v9, v9
	s_delay_alu instid0(VALU_DEP_1)
	v_max_num_f32_e32 v1, v1, v9
	v_mov_b32_e32 v9, 0
	ds_bpermute_b32 v1, v2, v1
	v_lshl_add_u32 v2, v0, 2, 0x100
	s_and_saveexec_b32 s30, s1
	s_cbranch_execz .LBB276_469
; %bb.466:
	v_lshl_add_u32 v19, v0, 2, 0x100
	v_dual_mov_b32 v9, 0 :: v_dual_mov_b32 v20, v0
	s_mov_b32 s31, 0
.LBB276_467:                            ; =>This Inner Loop Header: Depth=1
	ds_load_b32 v21, v19
	v_add_nc_u32_e32 v20, 0x80, v20
	s_delay_alu instid0(VALU_DEP_1) | instskip(SKIP_4) | instid1(VALU_DEP_1)
	v_cmp_le_i32_e64 s3, s15, v20
	s_wait_alu 0xfffe
	s_or_b32 s31, s3, s31
	s_wait_dscnt 0x0
	v_sub_f32_e32 v21, v21, v1
	v_mul_f32_e32 v21, 0x3fb8aa3b, v21
	s_delay_alu instid0(VALU_DEP_1)
	v_exp_f32_e32 v21, v21
	ds_store_b32 v19, v21
	v_add_f32_e32 v9, v9, v21
	v_add_nc_u32_e32 v19, 0x200, v19
	s_wait_alu 0xfffe
	s_and_not1_b32 exec_lo, exec_lo, s31
	s_cbranch_execnz .LBB276_467
; %bb.468:
	s_or_b32 exec_lo, exec_lo, s31
.LBB276_469:
	s_wait_alu 0xfffe
	s_or_b32 exec_lo, exec_lo, s30
	ds_bpermute_b32 v4, v4, v9
	s_wait_dscnt 0x0
	v_add_f32_e32 v4, v9, v4
	ds_bpermute_b32 v5, v5, v4
	s_wait_dscnt 0x0
	v_add_f32_e32 v4, v4, v5
	;; [unrolled: 3-line block ×5, first 2 shown]
	s_and_saveexec_b32 s3, vcc_lo
; %bb.470:
	ds_store_b32 v7, v4 offset:240
; %bb.471:
	s_wait_alu 0xfffe
	s_or_b32 exec_lo, exec_lo, s3
	s_wait_loadcnt_dscnt 0x0
	s_barrier_signal -1
	s_barrier_wait -1
	global_inv scope:SCOPE_SE
	s_and_saveexec_b32 s3, s0
; %bb.472:
	ds_load_b32 v4, v8 offset:240
; %bb.473:
	s_wait_alu 0xfffe
	s_or_b32 exec_lo, exec_lo, s3
	s_wait_dscnt 0x0
	ds_bpermute_b32 v3, v3, v4
	v_lshlrev_b32_e32 v5, 2, v16
	s_wait_dscnt 0x0
	v_add_f32_e32 v3, v4, v3
	ds_bpermute_b32 v4, v17, v3
	s_wait_dscnt 0x0
	v_dual_add_f32 v3, v3, v4 :: v_dual_and_b32 v4, 0xffffff80, v5
	ds_bpermute_b32 v3, v4, v3
	s_and_saveexec_b32 s0, s1
	s_cbranch_execz .LBB276_476
; %bb.474:
	s_wait_dscnt 0x0
	v_add_f32_e32 v4, 0x358637bd, v3
	s_mov_b32 s1, 0
	s_delay_alu instid0(VALU_DEP_1) | instskip(SKIP_1) | instid1(VALU_DEP_2)
	v_div_scale_f32 v5, null, v4, v4, 1.0
	v_div_scale_f32 v8, vcc_lo, 1.0, v4, 1.0
	v_rcp_f32_e32 v6, v5
	s_delay_alu instid0(TRANS32_DEP_1) | instskip(NEXT) | instid1(VALU_DEP_1)
	v_fma_f32 v7, -v5, v6, 1.0
	v_fmac_f32_e32 v6, v7, v6
	s_delay_alu instid0(VALU_DEP_1) | instskip(NEXT) | instid1(VALU_DEP_1)
	v_mul_f32_e32 v7, v8, v6
	v_fma_f32 v9, -v5, v7, v8
	s_delay_alu instid0(VALU_DEP_1) | instskip(NEXT) | instid1(VALU_DEP_1)
	v_fmac_f32_e32 v7, v9, v6
	v_fma_f32 v5, -v5, v7, v8
	s_wait_alu 0xfffd
	s_delay_alu instid0(VALU_DEP_1) | instskip(NEXT) | instid1(VALU_DEP_1)
	v_div_fmas_f32 v5, v5, v6, v7
	v_div_fixup_f32 v4, v5, v4, 1.0
	v_mov_b32_e32 v5, v0
.LBB276_475:                            ; =>This Inner Loop Header: Depth=1
	ds_load_b32 v6, v2
	s_wait_dscnt 0x0
	v_dual_mul_f32 v6, v4, v6 :: v_dual_add_nc_u32 v5, 0x80, v5
	s_delay_alu instid0(VALU_DEP_1)
	v_cmp_le_i32_e32 vcc_lo, s15, v5
	ds_store_b32 v2, v6
	v_add_nc_u32_e32 v2, 0x200, v2
	s_wait_alu 0xfffe
	s_or_b32 s1, vcc_lo, s1
	s_wait_alu 0xfffe
	s_and_not1_b32 exec_lo, exec_lo, s1
	s_cbranch_execnz .LBB276_475
.LBB276_476:
	s_wait_alu 0xfffe
	s_or_b32 exec_lo, exec_lo, s0
	s_mul_i32 s0, s12, s22
	s_wait_loadcnt_dscnt 0x0
	s_wait_alu 0xfffe
	s_mul_i32 s22, s0, s23
	s_mov_b32 s0, exec_lo
	s_barrier_signal -1
	s_barrier_wait -1
	global_inv scope:SCOPE_SE
	v_cmpx_eq_u32_e32 0, v0
	s_cbranch_execz .LBB276_478
; %bb.477:
	s_ashr_i32 s23, s22, 31
	s_wait_alu 0xfffe
	s_mul_i32 s30, s12, ttmp9
	s_lshl_b32 s1, s26, 2
	s_lshl_b64 s[34:35], s[22:23], 2
	s_wait_alu 0xfffe
	s_ashr_i32 s31, s30, 31
	v_mov_b32_e32 v2, s1
	s_add_nc_u64 s[6:7], s[6:7], s[34:35]
	s_wait_alu 0xfffe
	s_lshl_b64 s[30:31], s[30:31], 2
	s_add_nc_u64 s[4:5], s[4:5], s[34:35]
	s_wait_alu 0xfffe
	s_add_nc_u64 s[6:7], s[6:7], s[30:31]
	s_add_nc_u64 s[4:5], s[4:5], s[30:31]
	s_clause 0x1
	global_store_b32 v2, v1, s[6:7]
	global_store_b32 v2, v3, s[4:5]
.LBB276_478:
	s_wait_alu 0xfffe
	s_or_b32 exec_lo, exec_lo, s0
	v_dual_mov_b32 v23, 0 :: v_dual_mov_b32 v24, 0
	v_dual_mov_b32 v22, 0 :: v_dual_mov_b32 v21, 0
	;; [unrolled: 1-line block ×3, first 2 shown]
	v_mov_b32_e32 v16, 0
	s_and_saveexec_b32 s1, s2
	s_cbranch_execz .LBB276_944
; %bb.479:
	v_dual_mov_b32 v16, 0 :: v_dual_lshlrev_b32 v3, 5, v12
	v_dual_mov_b32 v19, 0 :: v_dual_and_b32 v4, 0xf8, v10
	s_ashr_i32 s15, s14, 31
	s_delay_alu instid0(VALU_DEP_2)
	v_lshl_or_b32 v6, v13, 6, v3
	s_wait_kmcnt 0x0
	s_wait_alu 0xfffe
	s_add_nc_u64 s[6:7], s[24:25], s[14:15]
	v_dual_mov_b32 v2, 0 :: v_dual_and_b32 v1, 8, v10
	s_wait_alu 0xfffe
	v_add_co_u32 v3, s0, s6, v4
	v_lshl_add_u32 v5, v13, 4, s28
	s_wait_alu 0xf1ff
	v_add_co_ci_u32_e64 v4, null, s7, 0, s0
	s_lshl_b64 s[6:7], s[18:19], 2
	v_dual_mov_b32 v21, 0 :: v_dual_add_nc_u32 v26, 0x100, v6
	s_wait_alu 0xfffe
	s_add_nc_u64 s[6:7], s[20:21], s[6:7]
	v_add3_u32 v25, v5, v1, 7
	s_wait_alu 0xfffe
	v_add_co_u32 v5, s0, s6, v15
	s_wait_alu 0xf1ff
	v_add_co_ci_u32_e64 v6, null, s7, 0, s0
	v_dual_mov_b32 v20, 0 :: v_dual_mov_b32 v23, 0
	v_mov_b32_e32 v22, 0
	v_mov_b32_e32 v24, 0
	s_mov_b32 s2, -1
	s_mov_b32 s4, s13
	s_mov_b32 s3, 0xffffff
	s_add_co_i32 s29, s29, -1
	s_mov_b32 s5, 0
	s_branch .LBB276_481
.LBB276_480:                            ;   in Loop: Header=BB276_481 Depth=1
	s_wait_alu 0xfffe
	s_or_b32 exec_lo, exec_lo, s0
	v_add_f32_e32 v9, v9, v10
	v_dual_add_f32 v10, v45, v46 :: v_dual_add_f32 v15, v43, v44
	v_add_co_u32 v5, s0, v5, 16
	s_delay_alu instid0(VALU_DEP_2)
	v_dual_add_f32 v19, v19, v9 :: v_dual_add_f32 v20, v20, v10
	;;#ASMSTART
	v_pk_mul_f16 v9, v37, v47;

	;;#ASMEND
	;;#ASMSTART
	v_pk_mul_f16 v1, v35, v1;

	;;#ASMEND
	;; [unrolled: 4-line block ×4, first 2 shown]
	;;#ASMSTART
	v_pk_add_f16 v1, v9, v1;

	;;#ASMEND
	;;#ASMSTART
	v_pk_add_f16 v1, v1, v8;

	;;#ASMEND
	;; [unrolled: 4-line block ×3, first 2 shown]
	v_dual_add_f32 v7, v39, v40 :: v_dual_add_nc_u32 v14, 4, v14
	v_and_b32_e32 v9, 0xffff, v1
	v_lshrrev_b32_e32 v10, 16, v1
	v_dual_add_f32 v21, v21, v15 :: v_dual_add_f32 v8, v36, v38
	s_delay_alu instid0(VALU_DEP_4)
	v_add_f32_e32 v24, v24, v7
	;;#ASMSTART
	v_cvt_f32_f16 v9, v9;
	;;#ASMEND
	;;#ASMSTART
	v_cvt_f32_f16 v10, v10;
	;;#ASMEND
	v_add_f32_e32 v9, v9, v10
	v_add_f32_e32 v1, v41, v42
	v_cmp_le_i32_e32 vcc_lo, s17, v14
	v_dual_add_f32 v23, v23, v8 :: v_dual_add_nc_u32 v26, 0x100, v26
	s_delay_alu instid0(VALU_DEP_4) | instskip(NEXT) | instid1(VALU_DEP_4)
	v_add_f32_e32 v16, v16, v9
	v_add_f32_e32 v22, v22, v1
	v_add_nc_u32_e32 v25, 64, v25
	s_wait_alu 0xf1ff
	v_add_co_ci_u32_e64 v6, null, 0, v6, s0
	s_or_b32 s5, vcc_lo, s5
	s_wait_alu 0xfffe
	s_and_not1_b32 exec_lo, exec_lo, s5
	s_cbranch_execz .LBB276_943
.LBB276_481:                            ; =>This Inner Loop Header: Depth=1
	global_load_b32 v1, v[5:6], off
	ds_load_2addr_b64 v[27:30], v26 offset1:1
	ds_load_2addr_b64 v[39:42], v26 offset0:2 offset1:3
	s_mov_b32 s0, exec_lo
	s_wait_dscnt 0x1
	;;#ASMSTART
	v_cvt_f16_f32 v33, v27;

	;;#ASMEND
	;;#ASMSTART
	v_cvt_f16_f32 v34, v28;

	;;#ASMEND
	;; [unrolled: 4-line block ×4, first 2 shown]
	s_wait_dscnt 0x0
	;;#ASMSTART
	v_cvt_f16_f32 v39, v39;

	;;#ASMEND
	;;#ASMSTART
	v_cvt_f16_f32 v36, v40;

	;;#ASMEND
	;; [unrolled: 4-line block ×4, first 2 shown]
	v_mov_b32_e32 v28, 0
	s_wait_loadcnt 0x0
	s_wait_alu 0xfffe
	v_mad_co_i64_i32 v[7:8], null, v1, s4, v[3:4]
	global_load_b64 v[9:10], v[7:8], off
	global_load_b32 v27, v2, s[10:11]
	s_wait_loadcnt 0x1
	v_and_b32_e32 v1, 0xff, v9
	s_delay_alu instid0(VALU_DEP_1)
	v_cmpx_ne_u16_e32 0, v1
	s_cbranch_execz .LBB276_489
; %bb.482:                              ;   in Loop: Header=BB276_481 Depth=1
	v_mov_b32_e32 v28, 0x8000
	s_mov_b32 s6, exec_lo
	v_cmpx_ne_u16_e32 0x80, v1
	s_cbranch_execz .LBB276_488
; %bb.483:                              ;   in Loop: Header=BB276_481 Depth=1
	v_and_b32_e32 v29, 0x7f, v9
	v_mov_b32_e32 v28, 0x7c01
	s_mov_b32 s7, exec_lo
	s_delay_alu instid0(VALU_DEP_2)
	v_cmpx_ne_u32_e32 0x7f, v29
	s_cbranch_execz .LBB276_487
; %bb.484:                              ;   in Loop: Header=BB276_481 Depth=1
	v_and_b32_e32 v1, 7, v9
	v_lshrrev_b32_e32 v15, 3, v29
	s_mov_b32 s13, exec_lo
	v_cmpx_gt_u32_e32 8, v29
; %bb.485:                              ;   in Loop: Header=BB276_481 Depth=1
	s_delay_alu instid0(VALU_DEP_3) | instskip(NEXT) | instid1(VALU_DEP_1)
	v_clz_i32_u32_e32 v1, v1
	v_min_u32_e32 v1, 32, v1
	s_delay_alu instid0(VALU_DEP_1) | instskip(NEXT) | instid1(VALU_DEP_1)
	v_subrev_nc_u32_e32 v15, 28, v1
	v_lshlrev_b64_e32 v[28:29], v15, v[9:10]
	v_sub_nc_u32_e32 v15, 29, v1
	s_delay_alu instid0(VALU_DEP_2)
	v_and_b32_e32 v1, 7, v28
; %bb.486:                              ;   in Loop: Header=BB276_481 Depth=1
	s_or_b32 exec_lo, exec_lo, s13
	v_lshlrev_b32_e32 v28, 8, v9
	s_delay_alu instid0(VALU_DEP_3) | instskip(NEXT) | instid1(VALU_DEP_3)
	v_lshl_add_u32 v15, v15, 10, 0x2000
	v_lshlrev_b32_e32 v1, 7, v1
	s_delay_alu instid0(VALU_DEP_3) | instskip(NEXT) | instid1(VALU_DEP_3)
	v_and_b32_e32 v28, 0x8000, v28
	v_and_b32_e32 v15, 0xfc00, v15
	s_delay_alu instid0(VALU_DEP_1)
	v_or3_b32 v28, v28, v15, v1
.LBB276_487:                            ;   in Loop: Header=BB276_481 Depth=1
	s_wait_alu 0xfffe
	s_or_b32 exec_lo, exec_lo, s7
.LBB276_488:                            ;   in Loop: Header=BB276_481 Depth=1
	s_wait_alu 0xfffe
	s_or_b32 exec_lo, exec_lo, s6
.LBB276_489:                            ;   in Loop: Header=BB276_481 Depth=1
	s_delay_alu instid0(SALU_CYCLE_1) | instskip(SKIP_4) | instid1(VALU_DEP_3)
	s_or_b32 exec_lo, exec_lo, s0
	v_lshrrev_b16 v1, 8, v9
	v_mov_b32_e32 v15, 0
	v_mov_b32_e32 v29, 0
	s_mov_b32 s0, exec_lo
	v_cmpx_ne_u16_e32 0, v1
	s_cbranch_execz .LBB276_497
; %bb.490:                              ;   in Loop: Header=BB276_481 Depth=1
	v_bfrev_b32_e32 v29, 1
	s_mov_b32 s6, exec_lo
	v_cmpx_ne_u16_e32 0x80, v1
	s_cbranch_execz .LBB276_496
; %bb.491:                              ;   in Loop: Header=BB276_481 Depth=1
	v_and_b32_e32 v30, 0xffff, v1
	v_mov_b32_e32 v29, 0x7c010000
	s_mov_b32 s7, exec_lo
	s_delay_alu instid0(VALU_DEP_2) | instskip(NEXT) | instid1(VALU_DEP_1)
	v_and_b32_e32 v32, 0x7f, v30
	v_cmpx_ne_u32_e32 0x7f, v32
	s_cbranch_execz .LBB276_495
; %bb.492:                              ;   in Loop: Header=BB276_481 Depth=1
	v_and_b32_e32 v29, 7, v30
	v_lshrrev_b32_e32 v31, 3, v32
	s_mov_b32 s13, exec_lo
	v_cmpx_gt_u32_e32 8, v32
; %bb.493:                              ;   in Loop: Header=BB276_481 Depth=1
	s_delay_alu instid0(VALU_DEP_3) | instskip(NEXT) | instid1(VALU_DEP_1)
	v_clz_i32_u32_e32 v29, v29
	v_min_u32_e32 v29, 32, v29
	s_delay_alu instid0(VALU_DEP_1) | instskip(NEXT) | instid1(VALU_DEP_1)
	v_subrev_nc_u32_e32 v31, 28, v29
	v_lshlrev_b64_e32 v[41:42], v31, v[1:2]
	v_sub_nc_u32_e32 v31, 29, v29
	s_delay_alu instid0(VALU_DEP_2)
	v_and_b32_e32 v29, 7, v41
; %bb.494:                              ;   in Loop: Header=BB276_481 Depth=1
	s_or_b32 exec_lo, exec_lo, s13
	v_lshlrev_b32_e32 v1, 8, v30
	s_delay_alu instid0(VALU_DEP_3) | instskip(NEXT) | instid1(VALU_DEP_3)
	v_lshl_add_u32 v30, v31, 10, 0x2000
	v_lshlrev_b32_e32 v29, 23, v29
	s_delay_alu instid0(VALU_DEP_2) | instskip(NEXT) | instid1(VALU_DEP_1)
	v_and_or_b32 v1, 0x8000, v1, v30
	v_lshl_or_b32 v29, v1, 16, v29
.LBB276_495:                            ;   in Loop: Header=BB276_481 Depth=1
	s_wait_alu 0xfffe
	s_or_b32 exec_lo, exec_lo, s7
.LBB276_496:                            ;   in Loop: Header=BB276_481 Depth=1
	s_wait_alu 0xfffe
	s_or_b32 exec_lo, exec_lo, s6
.LBB276_497:                            ;   in Loop: Header=BB276_481 Depth=1
	s_wait_alu 0xfffe
	s_or_b32 exec_lo, exec_lo, s0
	v_lshrrev_b32_e32 v1, 16, v9
	s_mov_b32 s0, exec_lo
	s_delay_alu instid0(VALU_DEP_1) | instskip(NEXT) | instid1(VALU_DEP_1)
	v_and_b32_e32 v30, 0xff, v1
	v_cmpx_ne_u16_e32 0, v30
	s_cbranch_execz .LBB276_505
; %bb.498:                              ;   in Loop: Header=BB276_481 Depth=1
	v_mov_b32_e32 v15, 0x8000
	s_mov_b32 s6, exec_lo
	v_cmpx_ne_u16_e32 0x80, v30
	s_cbranch_execz .LBB276_504
; %bb.499:                              ;   in Loop: Header=BB276_481 Depth=1
	v_bfe_u32 v31, v9, 16, 7
	v_mov_b32_e32 v15, 0x7c01
	s_mov_b32 s7, exec_lo
	s_delay_alu instid0(VALU_DEP_2)
	v_cmpx_ne_u32_e32 0x7f, v31
	s_cbranch_execz .LBB276_503
; %bb.500:                              ;   in Loop: Header=BB276_481 Depth=1
	v_and_b32_e32 v15, 7, v1
	v_lshrrev_b32_e32 v30, 3, v31
	s_mov_b32 s13, exec_lo
	v_cmpx_gt_u32_e32 8, v31
; %bb.501:                              ;   in Loop: Header=BB276_481 Depth=1
	s_delay_alu instid0(VALU_DEP_3) | instskip(NEXT) | instid1(VALU_DEP_1)
	v_clz_i32_u32_e32 v15, v15
	v_min_u32_e32 v15, 32, v15
	s_delay_alu instid0(VALU_DEP_1) | instskip(NEXT) | instid1(VALU_DEP_1)
	v_subrev_nc_u32_e32 v30, 28, v15
	v_lshlrev_b64_e32 v[31:32], v30, v[1:2]
	v_sub_nc_u32_e32 v30, 29, v15
	s_delay_alu instid0(VALU_DEP_2)
	v_and_b32_e32 v15, 7, v31
; %bb.502:                              ;   in Loop: Header=BB276_481 Depth=1
	s_or_b32 exec_lo, exec_lo, s13
	v_lshlrev_b32_e32 v1, 8, v1
	s_delay_alu instid0(VALU_DEP_3) | instskip(NEXT) | instid1(VALU_DEP_3)
	v_lshl_add_u32 v30, v30, 10, 0x2000
	v_lshlrev_b32_e32 v15, 7, v15
	s_delay_alu instid0(VALU_DEP_3) | instskip(NEXT) | instid1(VALU_DEP_3)
	v_and_b32_e32 v1, 0x8000, v1
	v_and_b32_e32 v30, 0xfc00, v30
	s_delay_alu instid0(VALU_DEP_1)
	v_or3_b32 v15, v1, v30, v15
.LBB276_503:                            ;   in Loop: Header=BB276_481 Depth=1
	s_wait_alu 0xfffe
	s_or_b32 exec_lo, exec_lo, s7
.LBB276_504:                            ;   in Loop: Header=BB276_481 Depth=1
	s_wait_alu 0xfffe
	s_or_b32 exec_lo, exec_lo, s6
.LBB276_505:                            ;   in Loop: Header=BB276_481 Depth=1
	s_wait_alu 0xfffe
	s_or_b32 exec_lo, exec_lo, s0
	v_dual_mov_b32 v30, 0 :: v_dual_mov_b32 v31, 0
	s_mov_b32 s0, exec_lo
	v_cmpx_lt_u32_e32 0xffffff, v9
	s_cbranch_execz .LBB276_513
; %bb.506:                              ;   in Loop: Header=BB276_481 Depth=1
	v_lshrrev_b32_e32 v1, 24, v9
	v_bfrev_b32_e32 v31, 1
	s_mov_b32 s6, exec_lo
	s_delay_alu instid0(VALU_DEP_2)
	v_cmpx_ne_u32_e32 0x80, v1
	s_cbranch_execz .LBB276_512
; %bb.507:                              ;   in Loop: Header=BB276_481 Depth=1
	v_and_b32_e32 v41, 0x7f, v1
	v_mov_b32_e32 v31, 0x7c010000
	s_mov_b32 s7, exec_lo
	s_delay_alu instid0(VALU_DEP_2)
	v_cmpx_ne_u32_e32 0x7f, v41
	s_cbranch_execz .LBB276_511
; %bb.508:                              ;   in Loop: Header=BB276_481 Depth=1
	v_and_b32_e32 v31, 7, v1
	v_lshrrev_b32_e32 v32, 3, v41
	s_mov_b32 s13, exec_lo
	v_cmpx_gt_u32_e32 8, v41
; %bb.509:                              ;   in Loop: Header=BB276_481 Depth=1
	s_delay_alu instid0(VALU_DEP_3) | instskip(NEXT) | instid1(VALU_DEP_1)
	v_clz_i32_u32_e32 v31, v31
	v_min_u32_e32 v41, 32, v31
	s_delay_alu instid0(VALU_DEP_1) | instskip(NEXT) | instid1(VALU_DEP_1)
	v_subrev_nc_u32_e32 v31, 28, v41
	v_lshlrev_b64_e32 v[31:32], v31, v[1:2]
	v_sub_nc_u32_e32 v32, 29, v41
	s_delay_alu instid0(VALU_DEP_2)
	v_and_b32_e32 v31, 7, v31
; %bb.510:                              ;   in Loop: Header=BB276_481 Depth=1
	s_or_b32 exec_lo, exec_lo, s13
	v_lshlrev_b32_e32 v1, 8, v1
	s_delay_alu instid0(VALU_DEP_3) | instskip(NEXT) | instid1(VALU_DEP_3)
	v_lshl_add_u32 v32, v32, 10, 0x2000
	v_lshlrev_b32_e32 v31, 23, v31
	s_delay_alu instid0(VALU_DEP_2) | instskip(NEXT) | instid1(VALU_DEP_1)
	v_and_or_b32 v1, 0x8000, v1, v32
	v_lshl_or_b32 v31, v1, 16, v31
.LBB276_511:                            ;   in Loop: Header=BB276_481 Depth=1
	s_wait_alu 0xfffe
	s_or_b32 exec_lo, exec_lo, s7
.LBB276_512:                            ;   in Loop: Header=BB276_481 Depth=1
	s_wait_alu 0xfffe
	s_or_b32 exec_lo, exec_lo, s6
.LBB276_513:                            ;   in Loop: Header=BB276_481 Depth=1
	s_wait_alu 0xfffe
	s_or_b32 exec_lo, exec_lo, s0
	v_dual_mov_b32 v1, v10 :: v_dual_and_b32 v32, 0xff, v10
	s_mov_b32 s0, exec_lo
	s_delay_alu instid0(VALU_DEP_1)
	v_cmpx_ne_u16_e32 0, v32
	s_cbranch_execz .LBB276_521
; %bb.514:                              ;   in Loop: Header=BB276_481 Depth=1
	v_mov_b32_e32 v30, 0x8000
	s_mov_b32 s6, exec_lo
	v_cmpx_ne_u16_e32 0x80, v32
	s_cbranch_execz .LBB276_520
; %bb.515:                              ;   in Loop: Header=BB276_481 Depth=1
	v_and_b32_e32 v41, 0x7f, v10
	v_mov_b32_e32 v30, 0x7c01
	s_mov_b32 s7, exec_lo
	s_delay_alu instid0(VALU_DEP_2)
	v_cmpx_ne_u32_e32 0x7f, v41
	s_cbranch_execz .LBB276_519
; %bb.516:                              ;   in Loop: Header=BB276_481 Depth=1
	v_and_b32_e32 v30, 7, v10
	v_lshrrev_b32_e32 v32, 3, v41
	s_mov_b32 s13, exec_lo
	v_cmpx_gt_u32_e32 8, v41
; %bb.517:                              ;   in Loop: Header=BB276_481 Depth=1
	s_delay_alu instid0(VALU_DEP_3) | instskip(NEXT) | instid1(VALU_DEP_1)
	v_clz_i32_u32_e32 v30, v30
	v_min_u32_e32 v30, 32, v30
	s_delay_alu instid0(VALU_DEP_1) | instskip(NEXT) | instid1(VALU_DEP_1)
	v_subrev_nc_u32_e32 v32, 28, v30
	v_lshlrev_b64_e32 v[41:42], v32, v[1:2]
	v_sub_nc_u32_e32 v32, 29, v30
	s_delay_alu instid0(VALU_DEP_2)
	v_and_b32_e32 v30, 7, v41
; %bb.518:                              ;   in Loop: Header=BB276_481 Depth=1
	s_or_b32 exec_lo, exec_lo, s13
	v_lshlrev_b32_e32 v41, 8, v10
	s_delay_alu instid0(VALU_DEP_3) | instskip(NEXT) | instid1(VALU_DEP_3)
	v_lshl_add_u32 v32, v32, 10, 0x2000
	v_lshlrev_b32_e32 v30, 7, v30
	s_delay_alu instid0(VALU_DEP_3) | instskip(NEXT) | instid1(VALU_DEP_3)
	v_and_b32_e32 v41, 0x8000, v41
	v_and_b32_e32 v32, 0xfc00, v32
	s_delay_alu instid0(VALU_DEP_1)
	v_or3_b32 v30, v41, v32, v30
.LBB276_519:                            ;   in Loop: Header=BB276_481 Depth=1
	s_wait_alu 0xfffe
	s_or_b32 exec_lo, exec_lo, s7
.LBB276_520:                            ;   in Loop: Header=BB276_481 Depth=1
	s_wait_alu 0xfffe
	s_or_b32 exec_lo, exec_lo, s6
.LBB276_521:                            ;   in Loop: Header=BB276_481 Depth=1
	s_wait_alu 0xfffe
	s_or_b32 exec_lo, exec_lo, s0
	v_lshrrev_b16 v1, 8, v1
	v_dual_mov_b32 v41, 0 :: v_dual_mov_b32 v32, 0
	s_mov_b32 s0, exec_lo
	s_delay_alu instid0(VALU_DEP_2)
	v_cmpx_ne_u16_e32 0, v1
	s_cbranch_execz .LBB276_529
; %bb.522:                              ;   in Loop: Header=BB276_481 Depth=1
	v_bfrev_b32_e32 v32, 1
	s_mov_b32 s6, exec_lo
	v_cmpx_ne_u16_e32 0x80, v1
	s_cbranch_execz .LBB276_528
; %bb.523:                              ;   in Loop: Header=BB276_481 Depth=1
	v_and_b32_e32 v42, 0xffff, v1
	v_mov_b32_e32 v32, 0x7c010000
	s_mov_b32 s7, exec_lo
	s_delay_alu instid0(VALU_DEP_2) | instskip(NEXT) | instid1(VALU_DEP_1)
	v_and_b32_e32 v44, 0x7f, v42
	v_cmpx_ne_u32_e32 0x7f, v44
	s_cbranch_execz .LBB276_527
; %bb.524:                              ;   in Loop: Header=BB276_481 Depth=1
	v_and_b32_e32 v32, 7, v42
	v_lshrrev_b32_e32 v43, 3, v44
	s_mov_b32 s13, exec_lo
	v_cmpx_gt_u32_e32 8, v44
; %bb.525:                              ;   in Loop: Header=BB276_481 Depth=1
	s_delay_alu instid0(VALU_DEP_3) | instskip(NEXT) | instid1(VALU_DEP_1)
	v_clz_i32_u32_e32 v32, v32
	v_min_u32_e32 v32, 32, v32
	s_delay_alu instid0(VALU_DEP_1) | instskip(NEXT) | instid1(VALU_DEP_1)
	v_subrev_nc_u32_e32 v43, 28, v32
	v_lshlrev_b64_e32 v[44:45], v43, v[1:2]
	v_sub_nc_u32_e32 v43, 29, v32
	s_delay_alu instid0(VALU_DEP_2)
	v_and_b32_e32 v32, 7, v44
; %bb.526:                              ;   in Loop: Header=BB276_481 Depth=1
	s_or_b32 exec_lo, exec_lo, s13
	v_lshlrev_b32_e32 v1, 8, v42
	s_delay_alu instid0(VALU_DEP_3) | instskip(NEXT) | instid1(VALU_DEP_3)
	v_lshl_add_u32 v42, v43, 10, 0x2000
	v_lshlrev_b32_e32 v32, 23, v32
	s_delay_alu instid0(VALU_DEP_2) | instskip(NEXT) | instid1(VALU_DEP_1)
	v_and_or_b32 v1, 0x8000, v1, v42
	v_lshl_or_b32 v32, v1, 16, v32
.LBB276_527:                            ;   in Loop: Header=BB276_481 Depth=1
	s_wait_alu 0xfffe
	s_or_b32 exec_lo, exec_lo, s7
.LBB276_528:                            ;   in Loop: Header=BB276_481 Depth=1
	s_wait_alu 0xfffe
	s_or_b32 exec_lo, exec_lo, s6
.LBB276_529:                            ;   in Loop: Header=BB276_481 Depth=1
	s_wait_alu 0xfffe
	s_or_b32 exec_lo, exec_lo, s0
	v_lshrrev_b32_e32 v1, 16, v10
	s_mov_b32 s0, exec_lo
	s_delay_alu instid0(VALU_DEP_1) | instskip(NEXT) | instid1(VALU_DEP_1)
	v_and_b32_e32 v42, 0xff, v1
	v_cmpx_ne_u16_e32 0, v42
	s_cbranch_execz .LBB276_537
; %bb.530:                              ;   in Loop: Header=BB276_481 Depth=1
	v_mov_b32_e32 v41, 0x8000
	s_mov_b32 s6, exec_lo
	v_cmpx_ne_u16_e32 0x80, v42
	s_cbranch_execz .LBB276_536
; %bb.531:                              ;   in Loop: Header=BB276_481 Depth=1
	v_bfe_u32 v43, v10, 16, 7
	v_mov_b32_e32 v41, 0x7c01
	s_mov_b32 s7, exec_lo
	s_delay_alu instid0(VALU_DEP_2)
	v_cmpx_ne_u32_e32 0x7f, v43
	s_cbranch_execz .LBB276_535
; %bb.532:                              ;   in Loop: Header=BB276_481 Depth=1
	v_and_b32_e32 v41, 7, v1
	v_lshrrev_b32_e32 v42, 3, v43
	s_mov_b32 s13, exec_lo
	v_cmpx_gt_u32_e32 8, v43
; %bb.533:                              ;   in Loop: Header=BB276_481 Depth=1
	s_delay_alu instid0(VALU_DEP_3) | instskip(NEXT) | instid1(VALU_DEP_1)
	v_clz_i32_u32_e32 v41, v41
	v_min_u32_e32 v43, 32, v41
	s_delay_alu instid0(VALU_DEP_1) | instskip(NEXT) | instid1(VALU_DEP_1)
	v_subrev_nc_u32_e32 v41, 28, v43
	v_lshlrev_b64_e32 v[41:42], v41, v[1:2]
	v_sub_nc_u32_e32 v42, 29, v43
	s_delay_alu instid0(VALU_DEP_2)
	v_and_b32_e32 v41, 7, v41
; %bb.534:                              ;   in Loop: Header=BB276_481 Depth=1
	s_or_b32 exec_lo, exec_lo, s13
	v_lshlrev_b32_e32 v1, 8, v1
	s_delay_alu instid0(VALU_DEP_3) | instskip(NEXT) | instid1(VALU_DEP_3)
	v_lshl_add_u32 v42, v42, 10, 0x2000
	v_lshlrev_b32_e32 v41, 7, v41
	s_delay_alu instid0(VALU_DEP_3) | instskip(NEXT) | instid1(VALU_DEP_3)
	v_and_b32_e32 v1, 0x8000, v1
	v_and_b32_e32 v42, 0xfc00, v42
	s_delay_alu instid0(VALU_DEP_1)
	v_or3_b32 v41, v1, v42, v41
.LBB276_535:                            ;   in Loop: Header=BB276_481 Depth=1
	s_wait_alu 0xfffe
	s_or_b32 exec_lo, exec_lo, s7
.LBB276_536:                            ;   in Loop: Header=BB276_481 Depth=1
	s_wait_alu 0xfffe
	s_or_b32 exec_lo, exec_lo, s6
.LBB276_537:                            ;   in Loop: Header=BB276_481 Depth=1
	s_wait_alu 0xfffe
	s_or_b32 exec_lo, exec_lo, s0
	v_cmp_lt_u64_e32 vcc_lo, s[2:3], v[9:10]
	v_mov_b32_e32 v9, 0
	s_and_saveexec_b32 s0, vcc_lo
	s_cbranch_execz .LBB276_545
; %bb.538:                              ;   in Loop: Header=BB276_481 Depth=1
	v_lshrrev_b32_e32 v1, 24, v10
	v_bfrev_b32_e32 v9, 1
	s_mov_b32 s6, exec_lo
	s_delay_alu instid0(VALU_DEP_2)
	v_cmpx_ne_u32_e32 0x80, v1
	s_cbranch_execz .LBB276_544
; %bb.539:                              ;   in Loop: Header=BB276_481 Depth=1
	v_and_b32_e32 v42, 0x7f, v1
	v_mov_b32_e32 v9, 0x7c010000
	s_mov_b32 s7, exec_lo
	s_delay_alu instid0(VALU_DEP_2)
	v_cmpx_ne_u32_e32 0x7f, v42
	s_cbranch_execz .LBB276_543
; %bb.540:                              ;   in Loop: Header=BB276_481 Depth=1
	v_and_b32_e32 v9, 7, v1
	v_lshrrev_b32_e32 v10, 3, v42
	s_mov_b32 s13, exec_lo
	v_cmpx_gt_u32_e32 8, v42
; %bb.541:                              ;   in Loop: Header=BB276_481 Depth=1
	s_delay_alu instid0(VALU_DEP_3) | instskip(NEXT) | instid1(VALU_DEP_1)
	v_clz_i32_u32_e32 v9, v9
	v_min_u32_e32 v42, 32, v9
	s_delay_alu instid0(VALU_DEP_1) | instskip(NEXT) | instid1(VALU_DEP_1)
	v_subrev_nc_u32_e32 v9, 28, v42
	v_lshlrev_b64_e32 v[9:10], v9, v[1:2]
	v_sub_nc_u32_e32 v10, 29, v42
	s_delay_alu instid0(VALU_DEP_2)
	v_and_b32_e32 v9, 7, v9
; %bb.542:                              ;   in Loop: Header=BB276_481 Depth=1
	s_or_b32 exec_lo, exec_lo, s13
	v_lshlrev_b32_e32 v1, 8, v1
	s_delay_alu instid0(VALU_DEP_3) | instskip(NEXT) | instid1(VALU_DEP_3)
	v_lshl_add_u32 v10, v10, 10, 0x2000
	v_lshlrev_b32_e32 v9, 23, v9
	s_delay_alu instid0(VALU_DEP_2) | instskip(NEXT) | instid1(VALU_DEP_1)
	v_and_or_b32 v1, 0x8000, v1, v10
	v_lshl_or_b32 v9, v1, 16, v9
.LBB276_543:                            ;   in Loop: Header=BB276_481 Depth=1
	s_wait_alu 0xfffe
	s_or_b32 exec_lo, exec_lo, s7
.LBB276_544:                            ;   in Loop: Header=BB276_481 Depth=1
	s_wait_alu 0xfffe
	s_or_b32 exec_lo, exec_lo, s6
.LBB276_545:                            ;   in Loop: Header=BB276_481 Depth=1
	s_wait_alu 0xfffe
	s_or_b32 exec_lo, exec_lo, s0
	v_or_b32_e32 v1, v31, v15
	s_wait_loadcnt 0x0
	v_fma_mixlo_f16 v10, v27, v31, 0 op_sel:[0,1,0] op_sel_hi:[0,1,0]
	v_or_b32_e32 v28, v29, v28
	v_fma_mixlo_f16 v29, v27, v29, 0 op_sel:[0,1,0] op_sel_hi:[0,1,0]
	v_or_b32_e32 v30, v32, v30
	v_fma_mixlo_f16 v1, v27, v1, 0 op_sel_hi:[0,1,0]
	v_or_b32_e32 v31, v9, v41
	v_fma_mixlo_f16 v9, v27, v9, 0 op_sel:[0,1,0] op_sel_hi:[0,1,0]
	v_lshlrev_b32_e32 v47, 16, v29
	v_fma_mixlo_f16 v29, v27, v30, 0 op_sel_hi:[0,1,0]
	v_and_b32_e32 v44, 0xffff, v1
	v_fma_mixlo_f16 v1, v27, v28, 0 op_sel_hi:[0,1,0]
	v_fma_mixlo_f16 v28, v27, v32, 0 op_sel:[0,1,0] op_sel_hi:[0,1,0]
	v_fma_mixlo_f16 v27, v27, v31, 0 op_sel_hi:[0,1,0]
	v_lshlrev_b32_e32 v10, 16, v10
	v_and_b32_e32 v48, 0xffff, v29
	v_and_b32_e32 v49, 0xffff, v1
	v_lshlrev_b32_e32 v45, 16, v28
	v_lshlrev_b32_e32 v42, 16, v9
	v_and_b32_e32 v46, 0xffff, v27
	v_add_nc_u32_e32 v15, -7, v25
	v_cmp_eq_u32_e32 vcc_lo, s29, v14
	v_or_b32_e32 v1, v10, v44
	v_or_b32_e32 v9, v47, v49
	;; [unrolled: 1-line block ×4, first 2 shown]
	v_add_nc_u32_e32 v32, -6, v25
	v_add_nc_u32_e32 v31, -5, v25
	;; [unrolled: 1-line block ×6, first 2 shown]
	s_and_saveexec_b32 s6, vcc_lo
	s_cbranch_execz .LBB276_547
; %bb.546:                              ;   in Loop: Header=BB276_481 Depth=1
	v_cmp_gt_i32_e64 s0, s27, v15
	s_wait_alu 0xf1ff
	s_delay_alu instid0(VALU_DEP_1) | instskip(SKIP_2) | instid1(VALU_DEP_1)
	v_cndmask_b32_e64 v1, 0, v49, s0
	v_cmp_gt_i32_e64 s0, s27, v32
	s_wait_alu 0xf1ff
	v_cndmask_b32_e64 v9, 0, v47, s0
	v_cmp_gt_i32_e64 s0, s27, v31
	s_delay_alu instid0(VALU_DEP_2) | instskip(SKIP_1) | instid1(VALU_DEP_2)
	v_or_b32_e32 v9, v9, v1
	s_wait_alu 0xf1ff
	v_cndmask_b32_e64 v41, 0, v44, s0
	v_cmp_gt_i32_e64 s0, s27, v30
	s_wait_alu 0xf1ff
	s_delay_alu instid0(VALU_DEP_1) | instskip(SKIP_1) | instid1(VALU_DEP_2)
	v_cndmask_b32_e64 v10, 0, v10, s0
	v_cmp_gt_i32_e64 s0, s27, v29
	v_or_b32_e32 v1, v10, v41
	s_wait_alu 0xf1ff
	s_delay_alu instid0(VALU_DEP_2) | instskip(SKIP_2) | instid1(VALU_DEP_1)
	v_cndmask_b32_e64 v43, 0, v48, s0
	v_cmp_gt_i32_e64 s0, s27, v28
	s_wait_alu 0xf1ff
	v_cndmask_b32_e64 v44, 0, v45, s0
	v_cmp_gt_i32_e64 s0, s27, v27
	s_delay_alu instid0(VALU_DEP_2) | instskip(SKIP_1) | instid1(VALU_DEP_2)
	v_or_b32_e32 v41, v44, v43
	s_wait_alu 0xf1ff
	v_cndmask_b32_e64 v45, 0, v46, s0
	v_cmp_gt_i32_e64 s0, s27, v25
	s_wait_alu 0xf1ff
	s_delay_alu instid0(VALU_DEP_1) | instskip(NEXT) | instid1(VALU_DEP_1)
	v_cndmask_b32_e64 v42, 0, v42, s0
	v_or_b32_e32 v43, v42, v45
.LBB276_547:                            ;   in Loop: Header=BB276_481 Depth=1
	s_wait_alu 0xfffe
	s_or_b32 exec_lo, exec_lo, s6
	v_and_b32_e32 v10, 0xffff, v33
	v_and_b32_e32 v33, 0xffff, v37
	v_and_b32_e32 v39, 0xffff, v39
	v_and_b32_e32 v40, 0xffff, v40
	s_mov_b32 s6, exec_lo
	v_lshl_or_b32 v37, v34, 16, v10
	v_lshl_or_b32 v35, v35, 16, v33
	;;#ASMSTART
	v_pk_mul_f16 v9, v37, v9;

	;;#ASMEND
	;;#ASMSTART
	v_pk_mul_f16 v1, v35, v1;

	;;#ASMEND
	v_lshl_or_b32 v34, v36, 16, v39
	v_lshl_or_b32 v33, v38, 16, v40
	;;#ASMSTART
	v_pk_mul_f16 v10, v34, v41;

	;;#ASMEND
	;;#ASMSTART
	v_pk_mul_f16 v36, v33, v43;

	;;#ASMEND
	;;#ASMSTART
	v_pk_add_f16 v1, v9, v1;

	;;#ASMEND
	;;#ASMSTART
	v_pk_add_f16 v1, v1, v10;
	;; [unrolled: 4-line block ×3, first 2 shown]

	;;#ASMEND
	v_and_b32_e32 v9, 0xffff, v1
	v_lshrrev_b32_e32 v1, 16, v1
	;;#ASMSTART
	v_cvt_f32_f16 v36, v9;
	;;#ASMEND
	;;#ASMSTART
	v_cvt_f32_f16 v38, v1;
	;;#ASMEND
	global_load_b64 v[9:10], v[7:8], off offset:256
	v_dual_mov_b32 v40, 0 :: v_dual_mov_b32 v41, 0
	global_load_b32 v39, v40, s[10:11]
	s_wait_loadcnt 0x1
	v_and_b32_e32 v1, 0xff, v9
	s_delay_alu instid0(VALU_DEP_1)
	v_cmpx_ne_u16_e32 0, v1
	s_cbranch_execz .LBB276_555
; %bb.548:                              ;   in Loop: Header=BB276_481 Depth=1
	v_mov_b32_e32 v41, 0x8000
	s_mov_b32 s7, exec_lo
	v_cmpx_ne_u16_e32 0x80, v1
	s_cbranch_execz .LBB276_554
; %bb.549:                              ;   in Loop: Header=BB276_481 Depth=1
	v_and_b32_e32 v42, 0x7f, v9
	v_mov_b32_e32 v41, 0x7c01
	s_mov_b32 s13, exec_lo
	s_delay_alu instid0(VALU_DEP_2)
	v_cmpx_ne_u32_e32 0x7f, v42
	s_cbranch_execz .LBB276_553
; %bb.550:                              ;   in Loop: Header=BB276_481 Depth=1
	v_and_b32_e32 v1, 7, v9
	v_lshrrev_b32_e32 v41, 3, v42
	s_mov_b32 s14, exec_lo
	v_cmpx_gt_u32_e32 8, v42
; %bb.551:                              ;   in Loop: Header=BB276_481 Depth=1
	s_delay_alu instid0(VALU_DEP_3) | instskip(NEXT) | instid1(VALU_DEP_1)
	v_clz_i32_u32_e32 v1, v1
	v_min_u32_e32 v1, 32, v1
	s_delay_alu instid0(VALU_DEP_1) | instskip(NEXT) | instid1(VALU_DEP_1)
	v_subrev_nc_u32_e32 v41, 28, v1
	v_lshlrev_b64_e32 v[42:43], v41, v[9:10]
	v_sub_nc_u32_e32 v41, 29, v1
	s_delay_alu instid0(VALU_DEP_2)
	v_and_b32_e32 v1, 7, v42
; %bb.552:                              ;   in Loop: Header=BB276_481 Depth=1
	s_wait_alu 0xfffe
	s_or_b32 exec_lo, exec_lo, s14
	v_lshlrev_b32_e32 v42, 8, v9
	v_lshl_add_u32 v41, v41, 10, 0x2000
	v_lshlrev_b32_e32 v1, 7, v1
	s_delay_alu instid0(VALU_DEP_3) | instskip(NEXT) | instid1(VALU_DEP_3)
	v_and_b32_e32 v42, 0x8000, v42
	v_and_b32_e32 v41, 0xfc00, v41
	s_delay_alu instid0(VALU_DEP_1)
	v_or3_b32 v41, v42, v41, v1
.LBB276_553:                            ;   in Loop: Header=BB276_481 Depth=1
	s_or_b32 exec_lo, exec_lo, s13
.LBB276_554:                            ;   in Loop: Header=BB276_481 Depth=1
	s_wait_alu 0xfffe
	s_or_b32 exec_lo, exec_lo, s7
.LBB276_555:                            ;   in Loop: Header=BB276_481 Depth=1
	s_wait_alu 0xfffe
	s_or_b32 exec_lo, exec_lo, s6
	v_lshrrev_b16 v1, 8, v9
	s_mov_b32 s6, exec_lo
	s_delay_alu instid0(VALU_DEP_1)
	v_cmpx_ne_u16_e32 0, v1
	s_cbranch_execz .LBB276_563
; %bb.556:                              ;   in Loop: Header=BB276_481 Depth=1
	v_bfrev_b32_e32 v40, 1
	s_mov_b32 s7, exec_lo
	v_cmpx_ne_u16_e32 0x80, v1
	s_cbranch_execz .LBB276_562
; %bb.557:                              ;   in Loop: Header=BB276_481 Depth=1
	v_and_b32_e32 v42, 0xffff, v1
	v_mov_b32_e32 v40, 0x7c010000
	s_mov_b32 s13, exec_lo
	s_delay_alu instid0(VALU_DEP_2) | instskip(NEXT) | instid1(VALU_DEP_1)
	v_and_b32_e32 v44, 0x7f, v42
	v_cmpx_ne_u32_e32 0x7f, v44
	s_cbranch_execz .LBB276_561
; %bb.558:                              ;   in Loop: Header=BB276_481 Depth=1
	v_and_b32_e32 v40, 7, v42
	v_lshrrev_b32_e32 v43, 3, v44
	s_mov_b32 s14, exec_lo
	v_cmpx_gt_u32_e32 8, v44
; %bb.559:                              ;   in Loop: Header=BB276_481 Depth=1
	s_delay_alu instid0(VALU_DEP_3) | instskip(NEXT) | instid1(VALU_DEP_1)
	v_clz_i32_u32_e32 v40, v40
	v_min_u32_e32 v40, 32, v40
	s_delay_alu instid0(VALU_DEP_1) | instskip(NEXT) | instid1(VALU_DEP_1)
	v_subrev_nc_u32_e32 v43, 28, v40
	v_lshlrev_b64_e32 v[44:45], v43, v[1:2]
	v_sub_nc_u32_e32 v43, 29, v40
	s_delay_alu instid0(VALU_DEP_2)
	v_and_b32_e32 v40, 7, v44
; %bb.560:                              ;   in Loop: Header=BB276_481 Depth=1
	s_wait_alu 0xfffe
	s_or_b32 exec_lo, exec_lo, s14
	v_lshlrev_b32_e32 v1, 8, v42
	v_lshl_add_u32 v42, v43, 10, 0x2000
	v_lshlrev_b32_e32 v40, 23, v40
	s_delay_alu instid0(VALU_DEP_2) | instskip(NEXT) | instid1(VALU_DEP_1)
	v_and_or_b32 v1, 0x8000, v1, v42
	v_lshl_or_b32 v40, v1, 16, v40
.LBB276_561:                            ;   in Loop: Header=BB276_481 Depth=1
	s_or_b32 exec_lo, exec_lo, s13
.LBB276_562:                            ;   in Loop: Header=BB276_481 Depth=1
	s_wait_alu 0xfffe
	s_or_b32 exec_lo, exec_lo, s7
.LBB276_563:                            ;   in Loop: Header=BB276_481 Depth=1
	s_wait_alu 0xfffe
	s_or_b32 exec_lo, exec_lo, s6
	v_lshrrev_b32_e32 v1, 16, v9
	v_mov_b32_e32 v42, 0
	s_mov_b32 s6, exec_lo
	s_delay_alu instid0(VALU_DEP_2) | instskip(NEXT) | instid1(VALU_DEP_1)
	v_dual_mov_b32 v43, 0 :: v_dual_and_b32 v44, 0xff, v1
	v_cmpx_ne_u16_e32 0, v44
	s_cbranch_execz .LBB276_571
; %bb.564:                              ;   in Loop: Header=BB276_481 Depth=1
	v_mov_b32_e32 v43, 0x8000
	s_mov_b32 s7, exec_lo
	v_cmpx_ne_u16_e32 0x80, v44
	s_cbranch_execz .LBB276_570
; %bb.565:                              ;   in Loop: Header=BB276_481 Depth=1
	v_bfe_u32 v45, v9, 16, 7
	v_mov_b32_e32 v43, 0x7c01
	s_mov_b32 s13, exec_lo
	s_delay_alu instid0(VALU_DEP_2)
	v_cmpx_ne_u32_e32 0x7f, v45
	s_cbranch_execz .LBB276_569
; %bb.566:                              ;   in Loop: Header=BB276_481 Depth=1
	v_and_b32_e32 v43, 7, v1
	v_lshrrev_b32_e32 v44, 3, v45
	s_mov_b32 s14, exec_lo
	v_cmpx_gt_u32_e32 8, v45
; %bb.567:                              ;   in Loop: Header=BB276_481 Depth=1
	s_delay_alu instid0(VALU_DEP_3) | instskip(NEXT) | instid1(VALU_DEP_1)
	v_clz_i32_u32_e32 v43, v43
	v_min_u32_e32 v45, 32, v43
	s_delay_alu instid0(VALU_DEP_1) | instskip(NEXT) | instid1(VALU_DEP_1)
	v_subrev_nc_u32_e32 v43, 28, v45
	v_lshlrev_b64_e32 v[43:44], v43, v[1:2]
	v_sub_nc_u32_e32 v44, 29, v45
	s_delay_alu instid0(VALU_DEP_2)
	v_and_b32_e32 v43, 7, v43
; %bb.568:                              ;   in Loop: Header=BB276_481 Depth=1
	s_wait_alu 0xfffe
	s_or_b32 exec_lo, exec_lo, s14
	v_lshlrev_b32_e32 v1, 8, v1
	v_lshl_add_u32 v44, v44, 10, 0x2000
	v_lshlrev_b32_e32 v43, 7, v43
	s_delay_alu instid0(VALU_DEP_3) | instskip(NEXT) | instid1(VALU_DEP_3)
	v_and_b32_e32 v1, 0x8000, v1
	v_and_b32_e32 v44, 0xfc00, v44
	s_delay_alu instid0(VALU_DEP_1)
	v_or3_b32 v43, v1, v44, v43
.LBB276_569:                            ;   in Loop: Header=BB276_481 Depth=1
	s_or_b32 exec_lo, exec_lo, s13
.LBB276_570:                            ;   in Loop: Header=BB276_481 Depth=1
	s_wait_alu 0xfffe
	s_or_b32 exec_lo, exec_lo, s7
.LBB276_571:                            ;   in Loop: Header=BB276_481 Depth=1
	s_wait_alu 0xfffe
	s_or_b32 exec_lo, exec_lo, s6
	s_delay_alu instid0(SALU_CYCLE_1)
	s_mov_b32 s6, exec_lo
	v_cmpx_lt_u32_e32 0xffffff, v9
	s_cbranch_execz .LBB276_579
; %bb.572:                              ;   in Loop: Header=BB276_481 Depth=1
	v_lshrrev_b32_e32 v1, 24, v9
	v_bfrev_b32_e32 v42, 1
	s_mov_b32 s7, exec_lo
	s_delay_alu instid0(VALU_DEP_2)
	v_cmpx_ne_u32_e32 0x80, v1
	s_cbranch_execz .LBB276_578
; %bb.573:                              ;   in Loop: Header=BB276_481 Depth=1
	v_and_b32_e32 v45, 0x7f, v1
	v_mov_b32_e32 v42, 0x7c010000
	s_mov_b32 s13, exec_lo
	s_delay_alu instid0(VALU_DEP_2)
	v_cmpx_ne_u32_e32 0x7f, v45
	s_cbranch_execz .LBB276_577
; %bb.574:                              ;   in Loop: Header=BB276_481 Depth=1
	v_and_b32_e32 v42, 7, v1
	v_lshrrev_b32_e32 v44, 3, v45
	s_mov_b32 s14, exec_lo
	v_cmpx_gt_u32_e32 8, v45
; %bb.575:                              ;   in Loop: Header=BB276_481 Depth=1
	s_delay_alu instid0(VALU_DEP_3) | instskip(NEXT) | instid1(VALU_DEP_1)
	v_clz_i32_u32_e32 v42, v42
	v_min_u32_e32 v42, 32, v42
	s_delay_alu instid0(VALU_DEP_1) | instskip(NEXT) | instid1(VALU_DEP_1)
	v_subrev_nc_u32_e32 v44, 28, v42
	v_lshlrev_b64_e32 v[45:46], v44, v[1:2]
	v_sub_nc_u32_e32 v44, 29, v42
	s_delay_alu instid0(VALU_DEP_2)
	v_and_b32_e32 v42, 7, v45
; %bb.576:                              ;   in Loop: Header=BB276_481 Depth=1
	s_wait_alu 0xfffe
	s_or_b32 exec_lo, exec_lo, s14
	v_lshlrev_b32_e32 v1, 8, v1
	v_lshl_add_u32 v44, v44, 10, 0x2000
	v_lshlrev_b32_e32 v42, 23, v42
	s_delay_alu instid0(VALU_DEP_2) | instskip(NEXT) | instid1(VALU_DEP_1)
	v_and_or_b32 v1, 0x8000, v1, v44
	v_lshl_or_b32 v42, v1, 16, v42
.LBB276_577:                            ;   in Loop: Header=BB276_481 Depth=1
	s_or_b32 exec_lo, exec_lo, s13
.LBB276_578:                            ;   in Loop: Header=BB276_481 Depth=1
	s_wait_alu 0xfffe
	s_or_b32 exec_lo, exec_lo, s7
.LBB276_579:                            ;   in Loop: Header=BB276_481 Depth=1
	s_wait_alu 0xfffe
	s_or_b32 exec_lo, exec_lo, s6
	v_dual_mov_b32 v1, v10 :: v_dual_and_b32 v46, 0xff, v10
	v_dual_mov_b32 v44, 0 :: v_dual_mov_b32 v45, 0
	s_mov_b32 s6, exec_lo
	s_delay_alu instid0(VALU_DEP_2)
	v_cmpx_ne_u16_e32 0, v46
	s_cbranch_execz .LBB276_587
; %bb.580:                              ;   in Loop: Header=BB276_481 Depth=1
	v_mov_b32_e32 v45, 0x8000
	s_mov_b32 s7, exec_lo
	v_cmpx_ne_u16_e32 0x80, v46
	s_cbranch_execz .LBB276_586
; %bb.581:                              ;   in Loop: Header=BB276_481 Depth=1
	v_and_b32_e32 v47, 0x7f, v10
	v_mov_b32_e32 v45, 0x7c01
	s_mov_b32 s13, exec_lo
	s_delay_alu instid0(VALU_DEP_2)
	v_cmpx_ne_u32_e32 0x7f, v47
	s_cbranch_execz .LBB276_585
; %bb.582:                              ;   in Loop: Header=BB276_481 Depth=1
	v_and_b32_e32 v45, 7, v10
	v_lshrrev_b32_e32 v46, 3, v47
	s_mov_b32 s14, exec_lo
	v_cmpx_gt_u32_e32 8, v47
; %bb.583:                              ;   in Loop: Header=BB276_481 Depth=1
	s_delay_alu instid0(VALU_DEP_3) | instskip(NEXT) | instid1(VALU_DEP_1)
	v_clz_i32_u32_e32 v45, v45
	v_min_u32_e32 v47, 32, v45
	s_delay_alu instid0(VALU_DEP_1) | instskip(NEXT) | instid1(VALU_DEP_1)
	v_subrev_nc_u32_e32 v45, 28, v47
	v_lshlrev_b64_e32 v[45:46], v45, v[1:2]
	v_sub_nc_u32_e32 v46, 29, v47
	s_delay_alu instid0(VALU_DEP_2)
	v_and_b32_e32 v45, 7, v45
; %bb.584:                              ;   in Loop: Header=BB276_481 Depth=1
	s_wait_alu 0xfffe
	s_or_b32 exec_lo, exec_lo, s14
	v_lshlrev_b32_e32 v47, 8, v10
	v_lshl_add_u32 v46, v46, 10, 0x2000
	v_lshlrev_b32_e32 v45, 7, v45
	s_delay_alu instid0(VALU_DEP_3) | instskip(NEXT) | instid1(VALU_DEP_3)
	v_and_b32_e32 v47, 0x8000, v47
	v_and_b32_e32 v46, 0xfc00, v46
	s_delay_alu instid0(VALU_DEP_1)
	v_or3_b32 v45, v47, v46, v45
.LBB276_585:                            ;   in Loop: Header=BB276_481 Depth=1
	s_or_b32 exec_lo, exec_lo, s13
.LBB276_586:                            ;   in Loop: Header=BB276_481 Depth=1
	s_wait_alu 0xfffe
	s_or_b32 exec_lo, exec_lo, s7
.LBB276_587:                            ;   in Loop: Header=BB276_481 Depth=1
	s_wait_alu 0xfffe
	s_or_b32 exec_lo, exec_lo, s6
	v_lshrrev_b16 v1, 8, v1
	v_mov_b32_e32 v46, 0
	s_mov_b32 s6, exec_lo
	s_delay_alu instid0(VALU_DEP_2)
	v_cmpx_ne_u16_e32 0, v1
	s_cbranch_execz .LBB276_595
; %bb.588:                              ;   in Loop: Header=BB276_481 Depth=1
	v_bfrev_b32_e32 v46, 1
	s_mov_b32 s7, exec_lo
	v_cmpx_ne_u16_e32 0x80, v1
	s_cbranch_execz .LBB276_594
; %bb.589:                              ;   in Loop: Header=BB276_481 Depth=1
	v_and_b32_e32 v47, 0xffff, v1
	v_mov_b32_e32 v46, 0x7c010000
	s_mov_b32 s13, exec_lo
	s_delay_alu instid0(VALU_DEP_2) | instskip(NEXT) | instid1(VALU_DEP_1)
	v_and_b32_e32 v49, 0x7f, v47
	v_cmpx_ne_u32_e32 0x7f, v49
	s_cbranch_execz .LBB276_593
; %bb.590:                              ;   in Loop: Header=BB276_481 Depth=1
	v_and_b32_e32 v46, 7, v47
	v_lshrrev_b32_e32 v48, 3, v49
	s_mov_b32 s14, exec_lo
	v_cmpx_gt_u32_e32 8, v49
; %bb.591:                              ;   in Loop: Header=BB276_481 Depth=1
	s_delay_alu instid0(VALU_DEP_3) | instskip(NEXT) | instid1(VALU_DEP_1)
	v_clz_i32_u32_e32 v46, v46
	v_min_u32_e32 v46, 32, v46
	s_delay_alu instid0(VALU_DEP_1) | instskip(NEXT) | instid1(VALU_DEP_1)
	v_subrev_nc_u32_e32 v48, 28, v46
	v_lshlrev_b64_e32 v[49:50], v48, v[1:2]
	v_sub_nc_u32_e32 v48, 29, v46
	s_delay_alu instid0(VALU_DEP_2)
	v_and_b32_e32 v46, 7, v49
; %bb.592:                              ;   in Loop: Header=BB276_481 Depth=1
	s_wait_alu 0xfffe
	s_or_b32 exec_lo, exec_lo, s14
	v_lshlrev_b32_e32 v1, 8, v47
	v_lshl_add_u32 v47, v48, 10, 0x2000
	v_lshlrev_b32_e32 v46, 23, v46
	s_delay_alu instid0(VALU_DEP_2) | instskip(NEXT) | instid1(VALU_DEP_1)
	v_and_or_b32 v1, 0x8000, v1, v47
	v_lshl_or_b32 v46, v1, 16, v46
.LBB276_593:                            ;   in Loop: Header=BB276_481 Depth=1
	s_or_b32 exec_lo, exec_lo, s13
.LBB276_594:                            ;   in Loop: Header=BB276_481 Depth=1
	s_wait_alu 0xfffe
	s_or_b32 exec_lo, exec_lo, s7
.LBB276_595:                            ;   in Loop: Header=BB276_481 Depth=1
	s_wait_alu 0xfffe
	s_or_b32 exec_lo, exec_lo, s6
	v_lshrrev_b32_e32 v1, 16, v10
	s_mov_b32 s6, exec_lo
	s_delay_alu instid0(VALU_DEP_1) | instskip(NEXT) | instid1(VALU_DEP_1)
	v_and_b32_e32 v47, 0xff, v1
	v_cmpx_ne_u16_e32 0, v47
	s_cbranch_execz .LBB276_603
; %bb.596:                              ;   in Loop: Header=BB276_481 Depth=1
	v_mov_b32_e32 v44, 0x8000
	s_mov_b32 s7, exec_lo
	v_cmpx_ne_u16_e32 0x80, v47
	s_cbranch_execz .LBB276_602
; %bb.597:                              ;   in Loop: Header=BB276_481 Depth=1
	v_bfe_u32 v48, v10, 16, 7
	v_mov_b32_e32 v44, 0x7c01
	s_mov_b32 s13, exec_lo
	s_delay_alu instid0(VALU_DEP_2)
	v_cmpx_ne_u32_e32 0x7f, v48
	s_cbranch_execz .LBB276_601
; %bb.598:                              ;   in Loop: Header=BB276_481 Depth=1
	v_and_b32_e32 v44, 7, v1
	v_lshrrev_b32_e32 v47, 3, v48
	s_mov_b32 s14, exec_lo
	v_cmpx_gt_u32_e32 8, v48
; %bb.599:                              ;   in Loop: Header=BB276_481 Depth=1
	s_delay_alu instid0(VALU_DEP_3) | instskip(NEXT) | instid1(VALU_DEP_1)
	v_clz_i32_u32_e32 v44, v44
	v_min_u32_e32 v44, 32, v44
	s_delay_alu instid0(VALU_DEP_1) | instskip(NEXT) | instid1(VALU_DEP_1)
	v_subrev_nc_u32_e32 v47, 28, v44
	v_lshlrev_b64_e32 v[48:49], v47, v[1:2]
	v_sub_nc_u32_e32 v47, 29, v44
	s_delay_alu instid0(VALU_DEP_2)
	v_and_b32_e32 v44, 7, v48
; %bb.600:                              ;   in Loop: Header=BB276_481 Depth=1
	s_wait_alu 0xfffe
	s_or_b32 exec_lo, exec_lo, s14
	v_lshlrev_b32_e32 v1, 8, v1
	v_lshl_add_u32 v47, v47, 10, 0x2000
	v_lshlrev_b32_e32 v44, 7, v44
	s_delay_alu instid0(VALU_DEP_3) | instskip(NEXT) | instid1(VALU_DEP_3)
	v_and_b32_e32 v1, 0x8000, v1
	v_and_b32_e32 v47, 0xfc00, v47
	s_delay_alu instid0(VALU_DEP_1)
	v_or3_b32 v44, v1, v47, v44
.LBB276_601:                            ;   in Loop: Header=BB276_481 Depth=1
	s_or_b32 exec_lo, exec_lo, s13
.LBB276_602:                            ;   in Loop: Header=BB276_481 Depth=1
	s_wait_alu 0xfffe
	s_or_b32 exec_lo, exec_lo, s7
.LBB276_603:                            ;   in Loop: Header=BB276_481 Depth=1
	s_wait_alu 0xfffe
	s_or_b32 exec_lo, exec_lo, s6
	v_cmp_lt_u64_e64 s0, s[2:3], v[9:10]
	v_mov_b32_e32 v9, 0
	s_and_saveexec_b32 s6, s0
	s_cbranch_execz .LBB276_611
; %bb.604:                              ;   in Loop: Header=BB276_481 Depth=1
	v_lshrrev_b32_e32 v1, 24, v10
	v_bfrev_b32_e32 v9, 1
	s_mov_b32 s7, exec_lo
	s_delay_alu instid0(VALU_DEP_2)
	v_cmpx_ne_u32_e32 0x80, v1
	s_cbranch_execz .LBB276_610
; %bb.605:                              ;   in Loop: Header=BB276_481 Depth=1
	v_and_b32_e32 v47, 0x7f, v1
	v_mov_b32_e32 v9, 0x7c010000
	s_mov_b32 s13, exec_lo
	s_delay_alu instid0(VALU_DEP_2)
	v_cmpx_ne_u32_e32 0x7f, v47
	s_cbranch_execz .LBB276_609
; %bb.606:                              ;   in Loop: Header=BB276_481 Depth=1
	v_and_b32_e32 v9, 7, v1
	v_lshrrev_b32_e32 v10, 3, v47
	s_mov_b32 s14, exec_lo
	v_cmpx_gt_u32_e32 8, v47
; %bb.607:                              ;   in Loop: Header=BB276_481 Depth=1
	s_delay_alu instid0(VALU_DEP_3) | instskip(NEXT) | instid1(VALU_DEP_1)
	v_clz_i32_u32_e32 v9, v9
	v_min_u32_e32 v47, 32, v9
	s_delay_alu instid0(VALU_DEP_1) | instskip(NEXT) | instid1(VALU_DEP_1)
	v_subrev_nc_u32_e32 v9, 28, v47
	v_lshlrev_b64_e32 v[9:10], v9, v[1:2]
	v_sub_nc_u32_e32 v10, 29, v47
	s_delay_alu instid0(VALU_DEP_2)
	v_and_b32_e32 v9, 7, v9
; %bb.608:                              ;   in Loop: Header=BB276_481 Depth=1
	s_wait_alu 0xfffe
	s_or_b32 exec_lo, exec_lo, s14
	v_lshlrev_b32_e32 v1, 8, v1
	v_lshl_add_u32 v10, v10, 10, 0x2000
	v_lshlrev_b32_e32 v9, 23, v9
	s_delay_alu instid0(VALU_DEP_2) | instskip(NEXT) | instid1(VALU_DEP_1)
	v_and_or_b32 v1, 0x8000, v1, v10
	v_lshl_or_b32 v9, v1, 16, v9
.LBB276_609:                            ;   in Loop: Header=BB276_481 Depth=1
	s_or_b32 exec_lo, exec_lo, s13
.LBB276_610:                            ;   in Loop: Header=BB276_481 Depth=1
	s_wait_alu 0xfffe
	s_or_b32 exec_lo, exec_lo, s7
.LBB276_611:                            ;   in Loop: Header=BB276_481 Depth=1
	s_wait_alu 0xfffe
	s_or_b32 exec_lo, exec_lo, s6
	v_or_b32_e32 v1, v42, v43
	s_wait_loadcnt 0x0
	v_fma_mixlo_f16 v10, v39, v42, 0 op_sel:[0,1,0] op_sel_hi:[0,1,0]
	v_or_b32_e32 v42, v40, v41
	v_fma_mixlo_f16 v40, v39, v40, 0 op_sel:[0,1,0] op_sel_hi:[0,1,0]
	v_or_b32_e32 v43, v46, v45
	v_or_b32_e32 v44, v9, v44
	v_fma_mixlo_f16 v45, v39, v1, 0 op_sel_hi:[0,1,0]
	v_fma_mixlo_f16 v9, v39, v9, 0 op_sel:[0,1,0] op_sel_hi:[0,1,0]
	v_lshlrev_b32_e32 v41, 16, v40
	v_fma_mixlo_f16 v40, v39, v42, 0 op_sel_hi:[0,1,0]
	v_fma_mixlo_f16 v42, v39, v46, 0 op_sel:[0,1,0] op_sel_hi:[0,1,0]
	v_fma_mixlo_f16 v43, v39, v43, 0 op_sel_hi:[0,1,0]
	v_fma_mixlo_f16 v44, v39, v44, 0 op_sel_hi:[0,1,0]
	v_lshlrev_b32_e32 v1, 16, v10
	v_and_b32_e32 v10, 0xffff, v45
	v_and_b32_e32 v47, 0xffff, v40
	v_lshlrev_b32_e32 v39, 16, v42
	v_and_b32_e32 v43, 0xffff, v43
	v_lshlrev_b32_e32 v9, 16, v9
	v_and_b32_e32 v40, 0xffff, v44
	v_or_b32_e32 v42, v1, v10
	v_or_b32_e32 v46, v41, v47
	;; [unrolled: 1-line block ×3, first 2 shown]
	s_delay_alu instid0(VALU_DEP_4)
	v_or_b32_e32 v44, v9, v40
	s_and_saveexec_b32 s6, vcc_lo
	s_cbranch_execz .LBB276_613
; %bb.612:                              ;   in Loop: Header=BB276_481 Depth=1
	v_cmp_gt_i32_e64 s0, s27, v15
	s_wait_alu 0xf1ff
	s_delay_alu instid0(VALU_DEP_1) | instskip(SKIP_2) | instid1(VALU_DEP_1)
	v_cndmask_b32_e64 v42, 0, v47, s0
	v_cmp_gt_i32_e64 s0, s27, v32
	s_wait_alu 0xf1ff
	v_cndmask_b32_e64 v41, 0, v41, s0
	v_cmp_gt_i32_e64 s0, s27, v31
	s_delay_alu instid0(VALU_DEP_2) | instskip(SKIP_1) | instid1(VALU_DEP_2)
	v_or_b32_e32 v46, v41, v42
	s_wait_alu 0xf1ff
	v_cndmask_b32_e64 v10, 0, v10, s0
	v_cmp_gt_i32_e64 s0, s27, v30
	s_wait_alu 0xf1ff
	s_delay_alu instid0(VALU_DEP_1) | instskip(SKIP_1) | instid1(VALU_DEP_2)
	v_cndmask_b32_e64 v1, 0, v1, s0
	v_cmp_gt_i32_e64 s0, s27, v29
	v_or_b32_e32 v42, v1, v10
	s_wait_alu 0xf1ff
	s_delay_alu instid0(VALU_DEP_2) | instskip(SKIP_2) | instid1(VALU_DEP_1)
	v_cndmask_b32_e64 v43, 0, v43, s0
	v_cmp_gt_i32_e64 s0, s27, v28
	s_wait_alu 0xf1ff
	v_cndmask_b32_e64 v39, 0, v39, s0
	v_cmp_gt_i32_e64 s0, s27, v27
	s_delay_alu instid0(VALU_DEP_2) | instskip(SKIP_1) | instid1(VALU_DEP_2)
	v_or_b32_e32 v45, v39, v43
	s_wait_alu 0xf1ff
	v_cndmask_b32_e64 v40, 0, v40, s0
	v_cmp_gt_i32_e64 s0, s27, v25
	s_wait_alu 0xf1ff
	s_delay_alu instid0(VALU_DEP_1) | instskip(NEXT) | instid1(VALU_DEP_1)
	v_cndmask_b32_e64 v9, 0, v9, s0
	v_or_b32_e32 v44, v9, v40
.LBB276_613:                            ;   in Loop: Header=BB276_481 Depth=1
	s_wait_alu 0xfffe
	s_or_b32 exec_lo, exec_lo, s6
	;;#ASMSTART
	v_pk_mul_f16 v1, v37, v46;

	;;#ASMEND
	;;#ASMSTART
	v_pk_mul_f16 v9, v35, v42;

	;;#ASMEND
	;; [unrolled: 4-line block ×4, first 2 shown]
	;;#ASMSTART
	v_pk_add_f16 v1, v1, v9;

	;;#ASMEND
	;;#ASMSTART
	v_pk_add_f16 v1, v1, v10;

	;;#ASMEND
	;; [unrolled: 4-line block ×3, first 2 shown]
	v_dual_mov_b32 v42, 0 :: v_dual_and_b32 v9, 0xffff, v1
	v_lshrrev_b32_e32 v1, 16, v1
	;;#ASMSTART
	v_cvt_f32_f16 v39, v9;
	;;#ASMEND
	;;#ASMSTART
	v_cvt_f32_f16 v40, v1;
	;;#ASMEND
	global_load_b64 v[9:10], v[7:8], off offset:512
	global_load_b32 v41, v42, s[10:11]
	v_mov_b32_e32 v43, 0
	s_mov_b32 s6, exec_lo
	s_wait_loadcnt 0x1
	v_and_b32_e32 v1, 0xff, v9
	s_delay_alu instid0(VALU_DEP_1)
	v_cmpx_ne_u16_e32 0, v1
	s_cbranch_execz .LBB276_621
; %bb.614:                              ;   in Loop: Header=BB276_481 Depth=1
	v_mov_b32_e32 v43, 0x8000
	s_mov_b32 s7, exec_lo
	v_cmpx_ne_u16_e32 0x80, v1
	s_cbranch_execz .LBB276_620
; %bb.615:                              ;   in Loop: Header=BB276_481 Depth=1
	v_and_b32_e32 v44, 0x7f, v9
	v_mov_b32_e32 v43, 0x7c01
	s_mov_b32 s13, exec_lo
	s_delay_alu instid0(VALU_DEP_2)
	v_cmpx_ne_u32_e32 0x7f, v44
	s_cbranch_execz .LBB276_619
; %bb.616:                              ;   in Loop: Header=BB276_481 Depth=1
	v_and_b32_e32 v1, 7, v9
	v_lshrrev_b32_e32 v43, 3, v44
	s_mov_b32 s14, exec_lo
	v_cmpx_gt_u32_e32 8, v44
; %bb.617:                              ;   in Loop: Header=BB276_481 Depth=1
	s_delay_alu instid0(VALU_DEP_3) | instskip(NEXT) | instid1(VALU_DEP_1)
	v_clz_i32_u32_e32 v1, v1
	v_min_u32_e32 v1, 32, v1
	s_delay_alu instid0(VALU_DEP_1) | instskip(NEXT) | instid1(VALU_DEP_1)
	v_subrev_nc_u32_e32 v43, 28, v1
	v_lshlrev_b64_e32 v[44:45], v43, v[9:10]
	v_sub_nc_u32_e32 v43, 29, v1
	s_delay_alu instid0(VALU_DEP_2)
	v_and_b32_e32 v1, 7, v44
; %bb.618:                              ;   in Loop: Header=BB276_481 Depth=1
	s_wait_alu 0xfffe
	s_or_b32 exec_lo, exec_lo, s14
	v_lshlrev_b32_e32 v44, 8, v9
	v_lshl_add_u32 v43, v43, 10, 0x2000
	v_lshlrev_b32_e32 v1, 7, v1
	s_delay_alu instid0(VALU_DEP_3) | instskip(NEXT) | instid1(VALU_DEP_3)
	v_and_b32_e32 v44, 0x8000, v44
	v_and_b32_e32 v43, 0xfc00, v43
	s_delay_alu instid0(VALU_DEP_1)
	v_or3_b32 v43, v44, v43, v1
.LBB276_619:                            ;   in Loop: Header=BB276_481 Depth=1
	s_or_b32 exec_lo, exec_lo, s13
.LBB276_620:                            ;   in Loop: Header=BB276_481 Depth=1
	s_wait_alu 0xfffe
	s_or_b32 exec_lo, exec_lo, s7
.LBB276_621:                            ;   in Loop: Header=BB276_481 Depth=1
	s_wait_alu 0xfffe
	s_or_b32 exec_lo, exec_lo, s6
	v_lshrrev_b16 v1, 8, v9
	s_mov_b32 s6, exec_lo
	s_delay_alu instid0(VALU_DEP_1)
	v_cmpx_ne_u16_e32 0, v1
	s_cbranch_execz .LBB276_629
; %bb.622:                              ;   in Loop: Header=BB276_481 Depth=1
	v_bfrev_b32_e32 v42, 1
	s_mov_b32 s7, exec_lo
	v_cmpx_ne_u16_e32 0x80, v1
	s_cbranch_execz .LBB276_628
; %bb.623:                              ;   in Loop: Header=BB276_481 Depth=1
	v_and_b32_e32 v44, 0xffff, v1
	v_mov_b32_e32 v42, 0x7c010000
	s_mov_b32 s13, exec_lo
	s_delay_alu instid0(VALU_DEP_2) | instskip(NEXT) | instid1(VALU_DEP_1)
	v_and_b32_e32 v46, 0x7f, v44
	v_cmpx_ne_u32_e32 0x7f, v46
	s_cbranch_execz .LBB276_627
; %bb.624:                              ;   in Loop: Header=BB276_481 Depth=1
	v_and_b32_e32 v42, 7, v44
	v_lshrrev_b32_e32 v45, 3, v46
	s_mov_b32 s14, exec_lo
	v_cmpx_gt_u32_e32 8, v46
; %bb.625:                              ;   in Loop: Header=BB276_481 Depth=1
	s_delay_alu instid0(VALU_DEP_3) | instskip(NEXT) | instid1(VALU_DEP_1)
	v_clz_i32_u32_e32 v42, v42
	v_min_u32_e32 v42, 32, v42
	s_delay_alu instid0(VALU_DEP_1) | instskip(NEXT) | instid1(VALU_DEP_1)
	v_subrev_nc_u32_e32 v45, 28, v42
	v_lshlrev_b64_e32 v[46:47], v45, v[1:2]
	v_sub_nc_u32_e32 v45, 29, v42
	s_delay_alu instid0(VALU_DEP_2)
	v_and_b32_e32 v42, 7, v46
; %bb.626:                              ;   in Loop: Header=BB276_481 Depth=1
	s_wait_alu 0xfffe
	s_or_b32 exec_lo, exec_lo, s14
	v_lshlrev_b32_e32 v1, 8, v44
	v_lshl_add_u32 v44, v45, 10, 0x2000
	v_lshlrev_b32_e32 v42, 23, v42
	s_delay_alu instid0(VALU_DEP_2) | instskip(NEXT) | instid1(VALU_DEP_1)
	v_and_or_b32 v1, 0x8000, v1, v44
	v_lshl_or_b32 v42, v1, 16, v42
.LBB276_627:                            ;   in Loop: Header=BB276_481 Depth=1
	s_or_b32 exec_lo, exec_lo, s13
.LBB276_628:                            ;   in Loop: Header=BB276_481 Depth=1
	s_wait_alu 0xfffe
	s_or_b32 exec_lo, exec_lo, s7
.LBB276_629:                            ;   in Loop: Header=BB276_481 Depth=1
	s_wait_alu 0xfffe
	s_or_b32 exec_lo, exec_lo, s6
	v_lshrrev_b32_e32 v1, 16, v9
	v_mov_b32_e32 v44, 0
	s_mov_b32 s6, exec_lo
	s_delay_alu instid0(VALU_DEP_2) | instskip(NEXT) | instid1(VALU_DEP_1)
	v_dual_mov_b32 v45, 0 :: v_dual_and_b32 v46, 0xff, v1
	v_cmpx_ne_u16_e32 0, v46
	s_cbranch_execz .LBB276_637
; %bb.630:                              ;   in Loop: Header=BB276_481 Depth=1
	v_mov_b32_e32 v45, 0x8000
	s_mov_b32 s7, exec_lo
	v_cmpx_ne_u16_e32 0x80, v46
	s_cbranch_execz .LBB276_636
; %bb.631:                              ;   in Loop: Header=BB276_481 Depth=1
	v_bfe_u32 v47, v9, 16, 7
	v_mov_b32_e32 v45, 0x7c01
	s_mov_b32 s13, exec_lo
	s_delay_alu instid0(VALU_DEP_2)
	v_cmpx_ne_u32_e32 0x7f, v47
	s_cbranch_execz .LBB276_635
; %bb.632:                              ;   in Loop: Header=BB276_481 Depth=1
	v_and_b32_e32 v45, 7, v1
	v_lshrrev_b32_e32 v46, 3, v47
	s_mov_b32 s14, exec_lo
	v_cmpx_gt_u32_e32 8, v47
; %bb.633:                              ;   in Loop: Header=BB276_481 Depth=1
	s_delay_alu instid0(VALU_DEP_3) | instskip(NEXT) | instid1(VALU_DEP_1)
	v_clz_i32_u32_e32 v45, v45
	v_min_u32_e32 v47, 32, v45
	s_delay_alu instid0(VALU_DEP_1) | instskip(NEXT) | instid1(VALU_DEP_1)
	v_subrev_nc_u32_e32 v45, 28, v47
	v_lshlrev_b64_e32 v[45:46], v45, v[1:2]
	v_sub_nc_u32_e32 v46, 29, v47
	s_delay_alu instid0(VALU_DEP_2)
	v_and_b32_e32 v45, 7, v45
; %bb.634:                              ;   in Loop: Header=BB276_481 Depth=1
	s_wait_alu 0xfffe
	s_or_b32 exec_lo, exec_lo, s14
	v_lshlrev_b32_e32 v1, 8, v1
	v_lshl_add_u32 v46, v46, 10, 0x2000
	v_lshlrev_b32_e32 v45, 7, v45
	s_delay_alu instid0(VALU_DEP_3) | instskip(NEXT) | instid1(VALU_DEP_3)
	v_and_b32_e32 v1, 0x8000, v1
	v_and_b32_e32 v46, 0xfc00, v46
	s_delay_alu instid0(VALU_DEP_1)
	v_or3_b32 v45, v1, v46, v45
.LBB276_635:                            ;   in Loop: Header=BB276_481 Depth=1
	s_or_b32 exec_lo, exec_lo, s13
.LBB276_636:                            ;   in Loop: Header=BB276_481 Depth=1
	s_wait_alu 0xfffe
	s_or_b32 exec_lo, exec_lo, s7
.LBB276_637:                            ;   in Loop: Header=BB276_481 Depth=1
	s_wait_alu 0xfffe
	s_or_b32 exec_lo, exec_lo, s6
	s_delay_alu instid0(SALU_CYCLE_1)
	s_mov_b32 s6, exec_lo
	v_cmpx_lt_u32_e32 0xffffff, v9
	s_cbranch_execz .LBB276_645
; %bb.638:                              ;   in Loop: Header=BB276_481 Depth=1
	v_lshrrev_b32_e32 v1, 24, v9
	v_bfrev_b32_e32 v44, 1
	s_mov_b32 s7, exec_lo
	s_delay_alu instid0(VALU_DEP_2)
	v_cmpx_ne_u32_e32 0x80, v1
	s_cbranch_execz .LBB276_644
; %bb.639:                              ;   in Loop: Header=BB276_481 Depth=1
	v_and_b32_e32 v47, 0x7f, v1
	v_mov_b32_e32 v44, 0x7c010000
	s_mov_b32 s13, exec_lo
	s_delay_alu instid0(VALU_DEP_2)
	v_cmpx_ne_u32_e32 0x7f, v47
	s_cbranch_execz .LBB276_643
; %bb.640:                              ;   in Loop: Header=BB276_481 Depth=1
	v_and_b32_e32 v44, 7, v1
	v_lshrrev_b32_e32 v46, 3, v47
	s_mov_b32 s14, exec_lo
	v_cmpx_gt_u32_e32 8, v47
; %bb.641:                              ;   in Loop: Header=BB276_481 Depth=1
	s_delay_alu instid0(VALU_DEP_3) | instskip(NEXT) | instid1(VALU_DEP_1)
	v_clz_i32_u32_e32 v44, v44
	v_min_u32_e32 v44, 32, v44
	s_delay_alu instid0(VALU_DEP_1) | instskip(NEXT) | instid1(VALU_DEP_1)
	v_subrev_nc_u32_e32 v46, 28, v44
	v_lshlrev_b64_e32 v[47:48], v46, v[1:2]
	v_sub_nc_u32_e32 v46, 29, v44
	s_delay_alu instid0(VALU_DEP_2)
	v_and_b32_e32 v44, 7, v47
; %bb.642:                              ;   in Loop: Header=BB276_481 Depth=1
	s_wait_alu 0xfffe
	s_or_b32 exec_lo, exec_lo, s14
	v_lshlrev_b32_e32 v1, 8, v1
	v_lshl_add_u32 v46, v46, 10, 0x2000
	v_lshlrev_b32_e32 v44, 23, v44
	s_delay_alu instid0(VALU_DEP_2) | instskip(NEXT) | instid1(VALU_DEP_1)
	v_and_or_b32 v1, 0x8000, v1, v46
	v_lshl_or_b32 v44, v1, 16, v44
.LBB276_643:                            ;   in Loop: Header=BB276_481 Depth=1
	s_or_b32 exec_lo, exec_lo, s13
.LBB276_644:                            ;   in Loop: Header=BB276_481 Depth=1
	s_wait_alu 0xfffe
	s_or_b32 exec_lo, exec_lo, s7
.LBB276_645:                            ;   in Loop: Header=BB276_481 Depth=1
	s_wait_alu 0xfffe
	s_or_b32 exec_lo, exec_lo, s6
	v_dual_mov_b32 v1, v10 :: v_dual_and_b32 v48, 0xff, v10
	v_dual_mov_b32 v46, 0 :: v_dual_mov_b32 v47, 0
	s_mov_b32 s6, exec_lo
	s_delay_alu instid0(VALU_DEP_2)
	v_cmpx_ne_u16_e32 0, v48
	s_cbranch_execz .LBB276_653
; %bb.646:                              ;   in Loop: Header=BB276_481 Depth=1
	v_mov_b32_e32 v47, 0x8000
	s_mov_b32 s7, exec_lo
	v_cmpx_ne_u16_e32 0x80, v48
	s_cbranch_execz .LBB276_652
; %bb.647:                              ;   in Loop: Header=BB276_481 Depth=1
	v_and_b32_e32 v49, 0x7f, v10
	v_mov_b32_e32 v47, 0x7c01
	s_mov_b32 s13, exec_lo
	s_delay_alu instid0(VALU_DEP_2)
	v_cmpx_ne_u32_e32 0x7f, v49
	s_cbranch_execz .LBB276_651
; %bb.648:                              ;   in Loop: Header=BB276_481 Depth=1
	v_and_b32_e32 v47, 7, v10
	v_lshrrev_b32_e32 v48, 3, v49
	s_mov_b32 s14, exec_lo
	v_cmpx_gt_u32_e32 8, v49
; %bb.649:                              ;   in Loop: Header=BB276_481 Depth=1
	s_delay_alu instid0(VALU_DEP_3) | instskip(NEXT) | instid1(VALU_DEP_1)
	v_clz_i32_u32_e32 v47, v47
	v_min_u32_e32 v49, 32, v47
	s_delay_alu instid0(VALU_DEP_1) | instskip(NEXT) | instid1(VALU_DEP_1)
	v_subrev_nc_u32_e32 v47, 28, v49
	v_lshlrev_b64_e32 v[47:48], v47, v[1:2]
	v_sub_nc_u32_e32 v48, 29, v49
	s_delay_alu instid0(VALU_DEP_2)
	v_and_b32_e32 v47, 7, v47
; %bb.650:                              ;   in Loop: Header=BB276_481 Depth=1
	s_wait_alu 0xfffe
	s_or_b32 exec_lo, exec_lo, s14
	v_lshlrev_b32_e32 v49, 8, v10
	v_lshl_add_u32 v48, v48, 10, 0x2000
	v_lshlrev_b32_e32 v47, 7, v47
	s_delay_alu instid0(VALU_DEP_3) | instskip(NEXT) | instid1(VALU_DEP_3)
	v_and_b32_e32 v49, 0x8000, v49
	v_and_b32_e32 v48, 0xfc00, v48
	s_delay_alu instid0(VALU_DEP_1)
	v_or3_b32 v47, v49, v48, v47
.LBB276_651:                            ;   in Loop: Header=BB276_481 Depth=1
	s_or_b32 exec_lo, exec_lo, s13
.LBB276_652:                            ;   in Loop: Header=BB276_481 Depth=1
	s_wait_alu 0xfffe
	s_or_b32 exec_lo, exec_lo, s7
.LBB276_653:                            ;   in Loop: Header=BB276_481 Depth=1
	s_wait_alu 0xfffe
	s_or_b32 exec_lo, exec_lo, s6
	v_lshrrev_b16 v1, 8, v1
	v_mov_b32_e32 v48, 0
	s_mov_b32 s6, exec_lo
	s_delay_alu instid0(VALU_DEP_2)
	v_cmpx_ne_u16_e32 0, v1
	s_cbranch_execz .LBB276_661
; %bb.654:                              ;   in Loop: Header=BB276_481 Depth=1
	v_bfrev_b32_e32 v48, 1
	s_mov_b32 s7, exec_lo
	v_cmpx_ne_u16_e32 0x80, v1
	s_cbranch_execz .LBB276_660
; %bb.655:                              ;   in Loop: Header=BB276_481 Depth=1
	v_and_b32_e32 v49, 0xffff, v1
	v_mov_b32_e32 v48, 0x7c010000
	s_mov_b32 s13, exec_lo
	s_delay_alu instid0(VALU_DEP_2) | instskip(NEXT) | instid1(VALU_DEP_1)
	v_and_b32_e32 v51, 0x7f, v49
	v_cmpx_ne_u32_e32 0x7f, v51
	s_cbranch_execz .LBB276_659
; %bb.656:                              ;   in Loop: Header=BB276_481 Depth=1
	v_and_b32_e32 v48, 7, v49
	v_lshrrev_b32_e32 v50, 3, v51
	s_mov_b32 s14, exec_lo
	v_cmpx_gt_u32_e32 8, v51
; %bb.657:                              ;   in Loop: Header=BB276_481 Depth=1
	s_delay_alu instid0(VALU_DEP_3) | instskip(NEXT) | instid1(VALU_DEP_1)
	v_clz_i32_u32_e32 v48, v48
	v_min_u32_e32 v48, 32, v48
	s_delay_alu instid0(VALU_DEP_1) | instskip(NEXT) | instid1(VALU_DEP_1)
	v_subrev_nc_u32_e32 v50, 28, v48
	v_lshlrev_b64_e32 v[51:52], v50, v[1:2]
	v_sub_nc_u32_e32 v50, 29, v48
	s_delay_alu instid0(VALU_DEP_2)
	v_and_b32_e32 v48, 7, v51
; %bb.658:                              ;   in Loop: Header=BB276_481 Depth=1
	s_wait_alu 0xfffe
	s_or_b32 exec_lo, exec_lo, s14
	v_lshlrev_b32_e32 v1, 8, v49
	v_lshl_add_u32 v49, v50, 10, 0x2000
	v_lshlrev_b32_e32 v48, 23, v48
	s_delay_alu instid0(VALU_DEP_2) | instskip(NEXT) | instid1(VALU_DEP_1)
	v_and_or_b32 v1, 0x8000, v1, v49
	v_lshl_or_b32 v48, v1, 16, v48
.LBB276_659:                            ;   in Loop: Header=BB276_481 Depth=1
	s_or_b32 exec_lo, exec_lo, s13
.LBB276_660:                            ;   in Loop: Header=BB276_481 Depth=1
	s_wait_alu 0xfffe
	s_or_b32 exec_lo, exec_lo, s7
.LBB276_661:                            ;   in Loop: Header=BB276_481 Depth=1
	s_wait_alu 0xfffe
	s_or_b32 exec_lo, exec_lo, s6
	v_lshrrev_b32_e32 v1, 16, v10
	s_mov_b32 s6, exec_lo
	s_delay_alu instid0(VALU_DEP_1) | instskip(NEXT) | instid1(VALU_DEP_1)
	v_and_b32_e32 v49, 0xff, v1
	v_cmpx_ne_u16_e32 0, v49
	s_cbranch_execz .LBB276_669
; %bb.662:                              ;   in Loop: Header=BB276_481 Depth=1
	v_mov_b32_e32 v46, 0x8000
	s_mov_b32 s7, exec_lo
	v_cmpx_ne_u16_e32 0x80, v49
	s_cbranch_execz .LBB276_668
; %bb.663:                              ;   in Loop: Header=BB276_481 Depth=1
	v_bfe_u32 v50, v10, 16, 7
	v_mov_b32_e32 v46, 0x7c01
	s_mov_b32 s13, exec_lo
	s_delay_alu instid0(VALU_DEP_2)
	v_cmpx_ne_u32_e32 0x7f, v50
	s_cbranch_execz .LBB276_667
; %bb.664:                              ;   in Loop: Header=BB276_481 Depth=1
	v_and_b32_e32 v46, 7, v1
	v_lshrrev_b32_e32 v49, 3, v50
	s_mov_b32 s14, exec_lo
	v_cmpx_gt_u32_e32 8, v50
; %bb.665:                              ;   in Loop: Header=BB276_481 Depth=1
	s_delay_alu instid0(VALU_DEP_3) | instskip(NEXT) | instid1(VALU_DEP_1)
	v_clz_i32_u32_e32 v46, v46
	v_min_u32_e32 v46, 32, v46
	s_delay_alu instid0(VALU_DEP_1) | instskip(NEXT) | instid1(VALU_DEP_1)
	v_subrev_nc_u32_e32 v49, 28, v46
	v_lshlrev_b64_e32 v[50:51], v49, v[1:2]
	v_sub_nc_u32_e32 v49, 29, v46
	s_delay_alu instid0(VALU_DEP_2)
	v_and_b32_e32 v46, 7, v50
; %bb.666:                              ;   in Loop: Header=BB276_481 Depth=1
	s_wait_alu 0xfffe
	s_or_b32 exec_lo, exec_lo, s14
	v_lshlrev_b32_e32 v1, 8, v1
	v_lshl_add_u32 v49, v49, 10, 0x2000
	v_lshlrev_b32_e32 v46, 7, v46
	s_delay_alu instid0(VALU_DEP_3) | instskip(NEXT) | instid1(VALU_DEP_3)
	v_and_b32_e32 v1, 0x8000, v1
	v_and_b32_e32 v49, 0xfc00, v49
	s_delay_alu instid0(VALU_DEP_1)
	v_or3_b32 v46, v1, v49, v46
.LBB276_667:                            ;   in Loop: Header=BB276_481 Depth=1
	s_or_b32 exec_lo, exec_lo, s13
.LBB276_668:                            ;   in Loop: Header=BB276_481 Depth=1
	s_wait_alu 0xfffe
	s_or_b32 exec_lo, exec_lo, s7
.LBB276_669:                            ;   in Loop: Header=BB276_481 Depth=1
	s_wait_alu 0xfffe
	s_or_b32 exec_lo, exec_lo, s6
	v_cmp_lt_u64_e64 s0, s[2:3], v[9:10]
	v_mov_b32_e32 v9, 0
	s_and_saveexec_b32 s6, s0
	s_cbranch_execz .LBB276_677
; %bb.670:                              ;   in Loop: Header=BB276_481 Depth=1
	v_lshrrev_b32_e32 v1, 24, v10
	v_bfrev_b32_e32 v9, 1
	s_mov_b32 s7, exec_lo
	s_delay_alu instid0(VALU_DEP_2)
	v_cmpx_ne_u32_e32 0x80, v1
	s_cbranch_execz .LBB276_676
; %bb.671:                              ;   in Loop: Header=BB276_481 Depth=1
	v_and_b32_e32 v49, 0x7f, v1
	v_mov_b32_e32 v9, 0x7c010000
	s_mov_b32 s13, exec_lo
	s_delay_alu instid0(VALU_DEP_2)
	v_cmpx_ne_u32_e32 0x7f, v49
	s_cbranch_execz .LBB276_675
; %bb.672:                              ;   in Loop: Header=BB276_481 Depth=1
	v_and_b32_e32 v9, 7, v1
	v_lshrrev_b32_e32 v10, 3, v49
	s_mov_b32 s14, exec_lo
	v_cmpx_gt_u32_e32 8, v49
; %bb.673:                              ;   in Loop: Header=BB276_481 Depth=1
	s_delay_alu instid0(VALU_DEP_3) | instskip(NEXT) | instid1(VALU_DEP_1)
	v_clz_i32_u32_e32 v9, v9
	v_min_u32_e32 v49, 32, v9
	s_delay_alu instid0(VALU_DEP_1) | instskip(NEXT) | instid1(VALU_DEP_1)
	v_subrev_nc_u32_e32 v9, 28, v49
	v_lshlrev_b64_e32 v[9:10], v9, v[1:2]
	v_sub_nc_u32_e32 v10, 29, v49
	s_delay_alu instid0(VALU_DEP_2)
	v_and_b32_e32 v9, 7, v9
; %bb.674:                              ;   in Loop: Header=BB276_481 Depth=1
	s_wait_alu 0xfffe
	s_or_b32 exec_lo, exec_lo, s14
	v_lshlrev_b32_e32 v1, 8, v1
	v_lshl_add_u32 v10, v10, 10, 0x2000
	v_lshlrev_b32_e32 v9, 23, v9
	s_delay_alu instid0(VALU_DEP_2) | instskip(NEXT) | instid1(VALU_DEP_1)
	v_and_or_b32 v1, 0x8000, v1, v10
	v_lshl_or_b32 v9, v1, 16, v9
.LBB276_675:                            ;   in Loop: Header=BB276_481 Depth=1
	s_or_b32 exec_lo, exec_lo, s13
.LBB276_676:                            ;   in Loop: Header=BB276_481 Depth=1
	s_wait_alu 0xfffe
	s_or_b32 exec_lo, exec_lo, s7
.LBB276_677:                            ;   in Loop: Header=BB276_481 Depth=1
	s_wait_alu 0xfffe
	s_or_b32 exec_lo, exec_lo, s6
	v_or_b32_e32 v1, v44, v45
	s_wait_loadcnt 0x0
	v_fma_mixlo_f16 v10, v41, v44, 0 op_sel:[0,1,0] op_sel_hi:[0,1,0]
	v_or_b32_e32 v44, v42, v43
	v_fma_mixlo_f16 v42, v41, v42, 0 op_sel:[0,1,0] op_sel_hi:[0,1,0]
	v_or_b32_e32 v45, v48, v47
	v_or_b32_e32 v46, v9, v46
	v_fma_mixlo_f16 v47, v41, v1, 0 op_sel_hi:[0,1,0]
	v_fma_mixlo_f16 v9, v41, v9, 0 op_sel:[0,1,0] op_sel_hi:[0,1,0]
	v_lshlrev_b32_e32 v43, 16, v42
	v_fma_mixlo_f16 v42, v41, v44, 0 op_sel_hi:[0,1,0]
	v_fma_mixlo_f16 v44, v41, v48, 0 op_sel:[0,1,0] op_sel_hi:[0,1,0]
	v_fma_mixlo_f16 v45, v41, v45, 0 op_sel_hi:[0,1,0]
	v_fma_mixlo_f16 v46, v41, v46, 0 op_sel_hi:[0,1,0]
	v_lshlrev_b32_e32 v1, 16, v10
	v_and_b32_e32 v10, 0xffff, v47
	v_and_b32_e32 v49, 0xffff, v42
	v_lshlrev_b32_e32 v41, 16, v44
	v_and_b32_e32 v45, 0xffff, v45
	v_lshlrev_b32_e32 v9, 16, v9
	v_and_b32_e32 v42, 0xffff, v46
	v_or_b32_e32 v44, v1, v10
	v_or_b32_e32 v48, v43, v49
	;; [unrolled: 1-line block ×3, first 2 shown]
	s_delay_alu instid0(VALU_DEP_4)
	v_or_b32_e32 v46, v9, v42
	s_and_saveexec_b32 s6, vcc_lo
	s_cbranch_execz .LBB276_679
; %bb.678:                              ;   in Loop: Header=BB276_481 Depth=1
	v_cmp_gt_i32_e64 s0, s27, v15
	s_wait_alu 0xf1ff
	s_delay_alu instid0(VALU_DEP_1) | instskip(SKIP_2) | instid1(VALU_DEP_1)
	v_cndmask_b32_e64 v44, 0, v49, s0
	v_cmp_gt_i32_e64 s0, s27, v32
	s_wait_alu 0xf1ff
	v_cndmask_b32_e64 v43, 0, v43, s0
	v_cmp_gt_i32_e64 s0, s27, v31
	s_delay_alu instid0(VALU_DEP_2) | instskip(SKIP_1) | instid1(VALU_DEP_2)
	v_or_b32_e32 v48, v43, v44
	s_wait_alu 0xf1ff
	v_cndmask_b32_e64 v10, 0, v10, s0
	v_cmp_gt_i32_e64 s0, s27, v30
	s_wait_alu 0xf1ff
	s_delay_alu instid0(VALU_DEP_1) | instskip(SKIP_1) | instid1(VALU_DEP_2)
	v_cndmask_b32_e64 v1, 0, v1, s0
	v_cmp_gt_i32_e64 s0, s27, v29
	v_or_b32_e32 v44, v1, v10
	s_wait_alu 0xf1ff
	s_delay_alu instid0(VALU_DEP_2) | instskip(SKIP_2) | instid1(VALU_DEP_1)
	v_cndmask_b32_e64 v45, 0, v45, s0
	v_cmp_gt_i32_e64 s0, s27, v28
	s_wait_alu 0xf1ff
	v_cndmask_b32_e64 v41, 0, v41, s0
	v_cmp_gt_i32_e64 s0, s27, v27
	s_delay_alu instid0(VALU_DEP_2) | instskip(SKIP_1) | instid1(VALU_DEP_2)
	v_or_b32_e32 v47, v41, v45
	s_wait_alu 0xf1ff
	v_cndmask_b32_e64 v42, 0, v42, s0
	v_cmp_gt_i32_e64 s0, s27, v25
	s_wait_alu 0xf1ff
	s_delay_alu instid0(VALU_DEP_1) | instskip(NEXT) | instid1(VALU_DEP_1)
	v_cndmask_b32_e64 v9, 0, v9, s0
	v_or_b32_e32 v46, v9, v42
.LBB276_679:                            ;   in Loop: Header=BB276_481 Depth=1
	s_wait_alu 0xfffe
	s_or_b32 exec_lo, exec_lo, s6
	;;#ASMSTART
	v_pk_mul_f16 v1, v37, v48;

	;;#ASMEND
	;;#ASMSTART
	v_pk_mul_f16 v9, v35, v44;

	;;#ASMEND
	;;#ASMSTART
	v_pk_mul_f16 v10, v34, v47;

	;;#ASMEND
	;;#ASMSTART
	v_pk_mul_f16 v41, v33, v46;

	;;#ASMEND
	;;#ASMSTART
	v_pk_add_f16 v1, v1, v9;

	;;#ASMEND
	;;#ASMSTART
	v_pk_add_f16 v1, v1, v10;

	;;#ASMEND
	;; [unrolled: 4-line block ×3, first 2 shown]
	v_dual_mov_b32 v44, 0 :: v_dual_and_b32 v9, 0xffff, v1
	v_lshrrev_b32_e32 v1, 16, v1
	;;#ASMSTART
	v_cvt_f32_f16 v41, v9;
	;;#ASMEND
	;;#ASMSTART
	v_cvt_f32_f16 v42, v1;
	;;#ASMEND
	global_load_b64 v[9:10], v[7:8], off offset:768
	global_load_b32 v43, v44, s[10:11]
	v_mov_b32_e32 v45, 0
	s_mov_b32 s6, exec_lo
	s_wait_loadcnt 0x1
	v_and_b32_e32 v1, 0xff, v9
	s_delay_alu instid0(VALU_DEP_1)
	v_cmpx_ne_u16_e32 0, v1
	s_cbranch_execz .LBB276_687
; %bb.680:                              ;   in Loop: Header=BB276_481 Depth=1
	v_mov_b32_e32 v45, 0x8000
	s_mov_b32 s7, exec_lo
	v_cmpx_ne_u16_e32 0x80, v1
	s_cbranch_execz .LBB276_686
; %bb.681:                              ;   in Loop: Header=BB276_481 Depth=1
	v_and_b32_e32 v46, 0x7f, v9
	v_mov_b32_e32 v45, 0x7c01
	s_mov_b32 s13, exec_lo
	s_delay_alu instid0(VALU_DEP_2)
	v_cmpx_ne_u32_e32 0x7f, v46
	s_cbranch_execz .LBB276_685
; %bb.682:                              ;   in Loop: Header=BB276_481 Depth=1
	v_and_b32_e32 v1, 7, v9
	v_lshrrev_b32_e32 v45, 3, v46
	s_mov_b32 s14, exec_lo
	v_cmpx_gt_u32_e32 8, v46
; %bb.683:                              ;   in Loop: Header=BB276_481 Depth=1
	s_delay_alu instid0(VALU_DEP_3) | instskip(NEXT) | instid1(VALU_DEP_1)
	v_clz_i32_u32_e32 v1, v1
	v_min_u32_e32 v1, 32, v1
	s_delay_alu instid0(VALU_DEP_1) | instskip(NEXT) | instid1(VALU_DEP_1)
	v_subrev_nc_u32_e32 v45, 28, v1
	v_lshlrev_b64_e32 v[46:47], v45, v[9:10]
	v_sub_nc_u32_e32 v45, 29, v1
	s_delay_alu instid0(VALU_DEP_2)
	v_and_b32_e32 v1, 7, v46
; %bb.684:                              ;   in Loop: Header=BB276_481 Depth=1
	s_wait_alu 0xfffe
	s_or_b32 exec_lo, exec_lo, s14
	v_lshlrev_b32_e32 v46, 8, v9
	v_lshl_add_u32 v45, v45, 10, 0x2000
	v_lshlrev_b32_e32 v1, 7, v1
	s_delay_alu instid0(VALU_DEP_3) | instskip(NEXT) | instid1(VALU_DEP_3)
	v_and_b32_e32 v46, 0x8000, v46
	v_and_b32_e32 v45, 0xfc00, v45
	s_delay_alu instid0(VALU_DEP_1)
	v_or3_b32 v45, v46, v45, v1
.LBB276_685:                            ;   in Loop: Header=BB276_481 Depth=1
	s_or_b32 exec_lo, exec_lo, s13
.LBB276_686:                            ;   in Loop: Header=BB276_481 Depth=1
	s_wait_alu 0xfffe
	s_or_b32 exec_lo, exec_lo, s7
.LBB276_687:                            ;   in Loop: Header=BB276_481 Depth=1
	s_wait_alu 0xfffe
	s_or_b32 exec_lo, exec_lo, s6
	v_lshrrev_b16 v1, 8, v9
	s_mov_b32 s6, exec_lo
	s_delay_alu instid0(VALU_DEP_1)
	v_cmpx_ne_u16_e32 0, v1
	s_cbranch_execz .LBB276_695
; %bb.688:                              ;   in Loop: Header=BB276_481 Depth=1
	v_bfrev_b32_e32 v44, 1
	s_mov_b32 s7, exec_lo
	v_cmpx_ne_u16_e32 0x80, v1
	s_cbranch_execz .LBB276_694
; %bb.689:                              ;   in Loop: Header=BB276_481 Depth=1
	v_and_b32_e32 v46, 0xffff, v1
	v_mov_b32_e32 v44, 0x7c010000
	s_mov_b32 s13, exec_lo
	s_delay_alu instid0(VALU_DEP_2) | instskip(NEXT) | instid1(VALU_DEP_1)
	v_and_b32_e32 v48, 0x7f, v46
	v_cmpx_ne_u32_e32 0x7f, v48
	s_cbranch_execz .LBB276_693
; %bb.690:                              ;   in Loop: Header=BB276_481 Depth=1
	v_and_b32_e32 v44, 7, v46
	v_lshrrev_b32_e32 v47, 3, v48
	s_mov_b32 s14, exec_lo
	v_cmpx_gt_u32_e32 8, v48
; %bb.691:                              ;   in Loop: Header=BB276_481 Depth=1
	s_delay_alu instid0(VALU_DEP_3) | instskip(NEXT) | instid1(VALU_DEP_1)
	v_clz_i32_u32_e32 v44, v44
	v_min_u32_e32 v44, 32, v44
	s_delay_alu instid0(VALU_DEP_1) | instskip(NEXT) | instid1(VALU_DEP_1)
	v_subrev_nc_u32_e32 v47, 28, v44
	v_lshlrev_b64_e32 v[48:49], v47, v[1:2]
	v_sub_nc_u32_e32 v47, 29, v44
	s_delay_alu instid0(VALU_DEP_2)
	v_and_b32_e32 v44, 7, v48
; %bb.692:                              ;   in Loop: Header=BB276_481 Depth=1
	s_wait_alu 0xfffe
	s_or_b32 exec_lo, exec_lo, s14
	v_lshlrev_b32_e32 v1, 8, v46
	v_lshl_add_u32 v46, v47, 10, 0x2000
	v_lshlrev_b32_e32 v44, 23, v44
	s_delay_alu instid0(VALU_DEP_2) | instskip(NEXT) | instid1(VALU_DEP_1)
	v_and_or_b32 v1, 0x8000, v1, v46
	v_lshl_or_b32 v44, v1, 16, v44
.LBB276_693:                            ;   in Loop: Header=BB276_481 Depth=1
	s_or_b32 exec_lo, exec_lo, s13
.LBB276_694:                            ;   in Loop: Header=BB276_481 Depth=1
	s_wait_alu 0xfffe
	s_or_b32 exec_lo, exec_lo, s7
.LBB276_695:                            ;   in Loop: Header=BB276_481 Depth=1
	s_wait_alu 0xfffe
	s_or_b32 exec_lo, exec_lo, s6
	v_lshrrev_b32_e32 v1, 16, v9
	v_mov_b32_e32 v46, 0
	s_mov_b32 s6, exec_lo
	s_delay_alu instid0(VALU_DEP_2) | instskip(NEXT) | instid1(VALU_DEP_1)
	v_dual_mov_b32 v47, 0 :: v_dual_and_b32 v48, 0xff, v1
	v_cmpx_ne_u16_e32 0, v48
	s_cbranch_execz .LBB276_703
; %bb.696:                              ;   in Loop: Header=BB276_481 Depth=1
	v_mov_b32_e32 v47, 0x8000
	s_mov_b32 s7, exec_lo
	v_cmpx_ne_u16_e32 0x80, v48
	s_cbranch_execz .LBB276_702
; %bb.697:                              ;   in Loop: Header=BB276_481 Depth=1
	v_bfe_u32 v49, v9, 16, 7
	v_mov_b32_e32 v47, 0x7c01
	s_mov_b32 s13, exec_lo
	s_delay_alu instid0(VALU_DEP_2)
	v_cmpx_ne_u32_e32 0x7f, v49
	s_cbranch_execz .LBB276_701
; %bb.698:                              ;   in Loop: Header=BB276_481 Depth=1
	v_and_b32_e32 v47, 7, v1
	v_lshrrev_b32_e32 v48, 3, v49
	s_mov_b32 s14, exec_lo
	v_cmpx_gt_u32_e32 8, v49
; %bb.699:                              ;   in Loop: Header=BB276_481 Depth=1
	s_delay_alu instid0(VALU_DEP_3) | instskip(NEXT) | instid1(VALU_DEP_1)
	v_clz_i32_u32_e32 v47, v47
	v_min_u32_e32 v49, 32, v47
	s_delay_alu instid0(VALU_DEP_1) | instskip(NEXT) | instid1(VALU_DEP_1)
	v_subrev_nc_u32_e32 v47, 28, v49
	v_lshlrev_b64_e32 v[47:48], v47, v[1:2]
	v_sub_nc_u32_e32 v48, 29, v49
	s_delay_alu instid0(VALU_DEP_2)
	v_and_b32_e32 v47, 7, v47
; %bb.700:                              ;   in Loop: Header=BB276_481 Depth=1
	s_wait_alu 0xfffe
	s_or_b32 exec_lo, exec_lo, s14
	v_lshlrev_b32_e32 v1, 8, v1
	v_lshl_add_u32 v48, v48, 10, 0x2000
	v_lshlrev_b32_e32 v47, 7, v47
	s_delay_alu instid0(VALU_DEP_3) | instskip(NEXT) | instid1(VALU_DEP_3)
	v_and_b32_e32 v1, 0x8000, v1
	v_and_b32_e32 v48, 0xfc00, v48
	s_delay_alu instid0(VALU_DEP_1)
	v_or3_b32 v47, v1, v48, v47
.LBB276_701:                            ;   in Loop: Header=BB276_481 Depth=1
	s_or_b32 exec_lo, exec_lo, s13
.LBB276_702:                            ;   in Loop: Header=BB276_481 Depth=1
	s_wait_alu 0xfffe
	s_or_b32 exec_lo, exec_lo, s7
.LBB276_703:                            ;   in Loop: Header=BB276_481 Depth=1
	s_wait_alu 0xfffe
	s_or_b32 exec_lo, exec_lo, s6
	s_delay_alu instid0(SALU_CYCLE_1)
	s_mov_b32 s6, exec_lo
	v_cmpx_lt_u32_e32 0xffffff, v9
	s_cbranch_execz .LBB276_711
; %bb.704:                              ;   in Loop: Header=BB276_481 Depth=1
	v_lshrrev_b32_e32 v1, 24, v9
	v_bfrev_b32_e32 v46, 1
	s_mov_b32 s7, exec_lo
	s_delay_alu instid0(VALU_DEP_2)
	v_cmpx_ne_u32_e32 0x80, v1
	s_cbranch_execz .LBB276_710
; %bb.705:                              ;   in Loop: Header=BB276_481 Depth=1
	v_and_b32_e32 v49, 0x7f, v1
	v_mov_b32_e32 v46, 0x7c010000
	s_mov_b32 s13, exec_lo
	s_delay_alu instid0(VALU_DEP_2)
	v_cmpx_ne_u32_e32 0x7f, v49
	s_cbranch_execz .LBB276_709
; %bb.706:                              ;   in Loop: Header=BB276_481 Depth=1
	v_and_b32_e32 v46, 7, v1
	v_lshrrev_b32_e32 v48, 3, v49
	s_mov_b32 s14, exec_lo
	v_cmpx_gt_u32_e32 8, v49
; %bb.707:                              ;   in Loop: Header=BB276_481 Depth=1
	s_delay_alu instid0(VALU_DEP_3) | instskip(NEXT) | instid1(VALU_DEP_1)
	v_clz_i32_u32_e32 v46, v46
	v_min_u32_e32 v46, 32, v46
	s_delay_alu instid0(VALU_DEP_1) | instskip(NEXT) | instid1(VALU_DEP_1)
	v_subrev_nc_u32_e32 v48, 28, v46
	v_lshlrev_b64_e32 v[49:50], v48, v[1:2]
	v_sub_nc_u32_e32 v48, 29, v46
	s_delay_alu instid0(VALU_DEP_2)
	v_and_b32_e32 v46, 7, v49
; %bb.708:                              ;   in Loop: Header=BB276_481 Depth=1
	s_wait_alu 0xfffe
	s_or_b32 exec_lo, exec_lo, s14
	v_lshlrev_b32_e32 v1, 8, v1
	v_lshl_add_u32 v48, v48, 10, 0x2000
	v_lshlrev_b32_e32 v46, 23, v46
	s_delay_alu instid0(VALU_DEP_2) | instskip(NEXT) | instid1(VALU_DEP_1)
	v_and_or_b32 v1, 0x8000, v1, v48
	v_lshl_or_b32 v46, v1, 16, v46
.LBB276_709:                            ;   in Loop: Header=BB276_481 Depth=1
	s_or_b32 exec_lo, exec_lo, s13
.LBB276_710:                            ;   in Loop: Header=BB276_481 Depth=1
	s_wait_alu 0xfffe
	s_or_b32 exec_lo, exec_lo, s7
.LBB276_711:                            ;   in Loop: Header=BB276_481 Depth=1
	s_wait_alu 0xfffe
	s_or_b32 exec_lo, exec_lo, s6
	v_dual_mov_b32 v1, v10 :: v_dual_and_b32 v50, 0xff, v10
	v_dual_mov_b32 v48, 0 :: v_dual_mov_b32 v49, 0
	s_mov_b32 s6, exec_lo
	s_delay_alu instid0(VALU_DEP_2)
	v_cmpx_ne_u16_e32 0, v50
	s_cbranch_execz .LBB276_719
; %bb.712:                              ;   in Loop: Header=BB276_481 Depth=1
	v_mov_b32_e32 v49, 0x8000
	s_mov_b32 s7, exec_lo
	v_cmpx_ne_u16_e32 0x80, v50
	s_cbranch_execz .LBB276_718
; %bb.713:                              ;   in Loop: Header=BB276_481 Depth=1
	v_and_b32_e32 v51, 0x7f, v10
	v_mov_b32_e32 v49, 0x7c01
	s_mov_b32 s13, exec_lo
	s_delay_alu instid0(VALU_DEP_2)
	v_cmpx_ne_u32_e32 0x7f, v51
	s_cbranch_execz .LBB276_717
; %bb.714:                              ;   in Loop: Header=BB276_481 Depth=1
	v_and_b32_e32 v49, 7, v10
	v_lshrrev_b32_e32 v50, 3, v51
	s_mov_b32 s14, exec_lo
	v_cmpx_gt_u32_e32 8, v51
; %bb.715:                              ;   in Loop: Header=BB276_481 Depth=1
	s_delay_alu instid0(VALU_DEP_3) | instskip(NEXT) | instid1(VALU_DEP_1)
	v_clz_i32_u32_e32 v49, v49
	v_min_u32_e32 v51, 32, v49
	s_delay_alu instid0(VALU_DEP_1) | instskip(NEXT) | instid1(VALU_DEP_1)
	v_subrev_nc_u32_e32 v49, 28, v51
	v_lshlrev_b64_e32 v[49:50], v49, v[1:2]
	v_sub_nc_u32_e32 v50, 29, v51
	s_delay_alu instid0(VALU_DEP_2)
	v_and_b32_e32 v49, 7, v49
; %bb.716:                              ;   in Loop: Header=BB276_481 Depth=1
	s_wait_alu 0xfffe
	s_or_b32 exec_lo, exec_lo, s14
	v_lshlrev_b32_e32 v51, 8, v10
	v_lshl_add_u32 v50, v50, 10, 0x2000
	v_lshlrev_b32_e32 v49, 7, v49
	s_delay_alu instid0(VALU_DEP_3) | instskip(NEXT) | instid1(VALU_DEP_3)
	v_and_b32_e32 v51, 0x8000, v51
	v_and_b32_e32 v50, 0xfc00, v50
	s_delay_alu instid0(VALU_DEP_1)
	v_or3_b32 v49, v51, v50, v49
.LBB276_717:                            ;   in Loop: Header=BB276_481 Depth=1
	s_or_b32 exec_lo, exec_lo, s13
.LBB276_718:                            ;   in Loop: Header=BB276_481 Depth=1
	s_wait_alu 0xfffe
	s_or_b32 exec_lo, exec_lo, s7
.LBB276_719:                            ;   in Loop: Header=BB276_481 Depth=1
	s_wait_alu 0xfffe
	s_or_b32 exec_lo, exec_lo, s6
	v_lshrrev_b16 v1, 8, v1
	v_mov_b32_e32 v50, 0
	s_mov_b32 s6, exec_lo
	s_delay_alu instid0(VALU_DEP_2)
	v_cmpx_ne_u16_e32 0, v1
	s_cbranch_execz .LBB276_727
; %bb.720:                              ;   in Loop: Header=BB276_481 Depth=1
	v_bfrev_b32_e32 v50, 1
	s_mov_b32 s7, exec_lo
	v_cmpx_ne_u16_e32 0x80, v1
	s_cbranch_execz .LBB276_726
; %bb.721:                              ;   in Loop: Header=BB276_481 Depth=1
	v_and_b32_e32 v51, 0xffff, v1
	v_mov_b32_e32 v50, 0x7c010000
	s_mov_b32 s13, exec_lo
	s_delay_alu instid0(VALU_DEP_2) | instskip(NEXT) | instid1(VALU_DEP_1)
	v_and_b32_e32 v53, 0x7f, v51
	v_cmpx_ne_u32_e32 0x7f, v53
	s_cbranch_execz .LBB276_725
; %bb.722:                              ;   in Loop: Header=BB276_481 Depth=1
	v_and_b32_e32 v50, 7, v51
	v_lshrrev_b32_e32 v52, 3, v53
	s_mov_b32 s14, exec_lo
	v_cmpx_gt_u32_e32 8, v53
; %bb.723:                              ;   in Loop: Header=BB276_481 Depth=1
	s_delay_alu instid0(VALU_DEP_3) | instskip(NEXT) | instid1(VALU_DEP_1)
	v_clz_i32_u32_e32 v50, v50
	v_min_u32_e32 v50, 32, v50
	s_delay_alu instid0(VALU_DEP_1) | instskip(NEXT) | instid1(VALU_DEP_1)
	v_subrev_nc_u32_e32 v52, 28, v50
	v_lshlrev_b64_e32 v[53:54], v52, v[1:2]
	v_sub_nc_u32_e32 v52, 29, v50
	s_delay_alu instid0(VALU_DEP_2)
	v_and_b32_e32 v50, 7, v53
; %bb.724:                              ;   in Loop: Header=BB276_481 Depth=1
	s_wait_alu 0xfffe
	s_or_b32 exec_lo, exec_lo, s14
	v_lshlrev_b32_e32 v1, 8, v51
	v_lshl_add_u32 v51, v52, 10, 0x2000
	v_lshlrev_b32_e32 v50, 23, v50
	s_delay_alu instid0(VALU_DEP_2) | instskip(NEXT) | instid1(VALU_DEP_1)
	v_and_or_b32 v1, 0x8000, v1, v51
	v_lshl_or_b32 v50, v1, 16, v50
.LBB276_725:                            ;   in Loop: Header=BB276_481 Depth=1
	s_or_b32 exec_lo, exec_lo, s13
.LBB276_726:                            ;   in Loop: Header=BB276_481 Depth=1
	s_wait_alu 0xfffe
	s_or_b32 exec_lo, exec_lo, s7
.LBB276_727:                            ;   in Loop: Header=BB276_481 Depth=1
	s_wait_alu 0xfffe
	s_or_b32 exec_lo, exec_lo, s6
	v_lshrrev_b32_e32 v1, 16, v10
	s_mov_b32 s6, exec_lo
	s_delay_alu instid0(VALU_DEP_1) | instskip(NEXT) | instid1(VALU_DEP_1)
	v_and_b32_e32 v51, 0xff, v1
	v_cmpx_ne_u16_e32 0, v51
	s_cbranch_execz .LBB276_735
; %bb.728:                              ;   in Loop: Header=BB276_481 Depth=1
	v_mov_b32_e32 v48, 0x8000
	s_mov_b32 s7, exec_lo
	v_cmpx_ne_u16_e32 0x80, v51
	s_cbranch_execz .LBB276_734
; %bb.729:                              ;   in Loop: Header=BB276_481 Depth=1
	v_bfe_u32 v52, v10, 16, 7
	v_mov_b32_e32 v48, 0x7c01
	s_mov_b32 s13, exec_lo
	s_delay_alu instid0(VALU_DEP_2)
	v_cmpx_ne_u32_e32 0x7f, v52
	s_cbranch_execz .LBB276_733
; %bb.730:                              ;   in Loop: Header=BB276_481 Depth=1
	v_and_b32_e32 v48, 7, v1
	v_lshrrev_b32_e32 v51, 3, v52
	s_mov_b32 s14, exec_lo
	v_cmpx_gt_u32_e32 8, v52
; %bb.731:                              ;   in Loop: Header=BB276_481 Depth=1
	s_delay_alu instid0(VALU_DEP_3) | instskip(NEXT) | instid1(VALU_DEP_1)
	v_clz_i32_u32_e32 v48, v48
	v_min_u32_e32 v48, 32, v48
	s_delay_alu instid0(VALU_DEP_1) | instskip(NEXT) | instid1(VALU_DEP_1)
	v_subrev_nc_u32_e32 v51, 28, v48
	v_lshlrev_b64_e32 v[52:53], v51, v[1:2]
	v_sub_nc_u32_e32 v51, 29, v48
	s_delay_alu instid0(VALU_DEP_2)
	v_and_b32_e32 v48, 7, v52
; %bb.732:                              ;   in Loop: Header=BB276_481 Depth=1
	s_wait_alu 0xfffe
	s_or_b32 exec_lo, exec_lo, s14
	v_lshlrev_b32_e32 v1, 8, v1
	v_lshl_add_u32 v51, v51, 10, 0x2000
	v_lshlrev_b32_e32 v48, 7, v48
	s_delay_alu instid0(VALU_DEP_3) | instskip(NEXT) | instid1(VALU_DEP_3)
	v_and_b32_e32 v1, 0x8000, v1
	v_and_b32_e32 v51, 0xfc00, v51
	s_delay_alu instid0(VALU_DEP_1)
	v_or3_b32 v48, v1, v51, v48
.LBB276_733:                            ;   in Loop: Header=BB276_481 Depth=1
	s_or_b32 exec_lo, exec_lo, s13
.LBB276_734:                            ;   in Loop: Header=BB276_481 Depth=1
	s_wait_alu 0xfffe
	s_or_b32 exec_lo, exec_lo, s7
.LBB276_735:                            ;   in Loop: Header=BB276_481 Depth=1
	s_wait_alu 0xfffe
	s_or_b32 exec_lo, exec_lo, s6
	v_cmp_lt_u64_e64 s0, s[2:3], v[9:10]
	v_mov_b32_e32 v9, 0
	s_and_saveexec_b32 s6, s0
	s_cbranch_execz .LBB276_743
; %bb.736:                              ;   in Loop: Header=BB276_481 Depth=1
	v_lshrrev_b32_e32 v1, 24, v10
	v_bfrev_b32_e32 v9, 1
	s_mov_b32 s7, exec_lo
	s_delay_alu instid0(VALU_DEP_2)
	v_cmpx_ne_u32_e32 0x80, v1
	s_cbranch_execz .LBB276_742
; %bb.737:                              ;   in Loop: Header=BB276_481 Depth=1
	v_and_b32_e32 v51, 0x7f, v1
	v_mov_b32_e32 v9, 0x7c010000
	s_mov_b32 s13, exec_lo
	s_delay_alu instid0(VALU_DEP_2)
	v_cmpx_ne_u32_e32 0x7f, v51
	s_cbranch_execz .LBB276_741
; %bb.738:                              ;   in Loop: Header=BB276_481 Depth=1
	v_and_b32_e32 v9, 7, v1
	v_lshrrev_b32_e32 v10, 3, v51
	s_mov_b32 s14, exec_lo
	v_cmpx_gt_u32_e32 8, v51
; %bb.739:                              ;   in Loop: Header=BB276_481 Depth=1
	s_delay_alu instid0(VALU_DEP_3) | instskip(NEXT) | instid1(VALU_DEP_1)
	v_clz_i32_u32_e32 v9, v9
	v_min_u32_e32 v51, 32, v9
	s_delay_alu instid0(VALU_DEP_1) | instskip(NEXT) | instid1(VALU_DEP_1)
	v_subrev_nc_u32_e32 v9, 28, v51
	v_lshlrev_b64_e32 v[9:10], v9, v[1:2]
	v_sub_nc_u32_e32 v10, 29, v51
	s_delay_alu instid0(VALU_DEP_2)
	v_and_b32_e32 v9, 7, v9
; %bb.740:                              ;   in Loop: Header=BB276_481 Depth=1
	s_wait_alu 0xfffe
	s_or_b32 exec_lo, exec_lo, s14
	v_lshlrev_b32_e32 v1, 8, v1
	v_lshl_add_u32 v10, v10, 10, 0x2000
	v_lshlrev_b32_e32 v9, 23, v9
	s_delay_alu instid0(VALU_DEP_2) | instskip(NEXT) | instid1(VALU_DEP_1)
	v_and_or_b32 v1, 0x8000, v1, v10
	v_lshl_or_b32 v9, v1, 16, v9
.LBB276_741:                            ;   in Loop: Header=BB276_481 Depth=1
	s_or_b32 exec_lo, exec_lo, s13
.LBB276_742:                            ;   in Loop: Header=BB276_481 Depth=1
	s_wait_alu 0xfffe
	s_or_b32 exec_lo, exec_lo, s7
.LBB276_743:                            ;   in Loop: Header=BB276_481 Depth=1
	s_wait_alu 0xfffe
	s_or_b32 exec_lo, exec_lo, s6
	v_or_b32_e32 v1, v46, v47
	s_wait_loadcnt 0x0
	v_fma_mixlo_f16 v10, v43, v46, 0 op_sel:[0,1,0] op_sel_hi:[0,1,0]
	v_or_b32_e32 v46, v44, v45
	v_fma_mixlo_f16 v44, v43, v44, 0 op_sel:[0,1,0] op_sel_hi:[0,1,0]
	v_or_b32_e32 v47, v50, v49
	v_or_b32_e32 v48, v9, v48
	v_fma_mixlo_f16 v49, v43, v1, 0 op_sel_hi:[0,1,0]
	v_fma_mixlo_f16 v9, v43, v9, 0 op_sel:[0,1,0] op_sel_hi:[0,1,0]
	v_lshlrev_b32_e32 v45, 16, v44
	v_fma_mixlo_f16 v44, v43, v46, 0 op_sel_hi:[0,1,0]
	v_fma_mixlo_f16 v46, v43, v50, 0 op_sel:[0,1,0] op_sel_hi:[0,1,0]
	v_fma_mixlo_f16 v47, v43, v47, 0 op_sel_hi:[0,1,0]
	v_fma_mixlo_f16 v48, v43, v48, 0 op_sel_hi:[0,1,0]
	v_lshlrev_b32_e32 v1, 16, v10
	v_and_b32_e32 v10, 0xffff, v49
	v_and_b32_e32 v51, 0xffff, v44
	v_lshlrev_b32_e32 v43, 16, v46
	v_and_b32_e32 v47, 0xffff, v47
	v_lshlrev_b32_e32 v9, 16, v9
	v_and_b32_e32 v44, 0xffff, v48
	v_or_b32_e32 v46, v1, v10
	v_or_b32_e32 v50, v45, v51
	;; [unrolled: 1-line block ×3, first 2 shown]
	s_delay_alu instid0(VALU_DEP_4)
	v_or_b32_e32 v48, v9, v44
	s_and_saveexec_b32 s6, vcc_lo
	s_cbranch_execz .LBB276_745
; %bb.744:                              ;   in Loop: Header=BB276_481 Depth=1
	v_cmp_gt_i32_e64 s0, s27, v15
	s_wait_alu 0xf1ff
	s_delay_alu instid0(VALU_DEP_1) | instskip(SKIP_2) | instid1(VALU_DEP_1)
	v_cndmask_b32_e64 v46, 0, v51, s0
	v_cmp_gt_i32_e64 s0, s27, v32
	s_wait_alu 0xf1ff
	v_cndmask_b32_e64 v45, 0, v45, s0
	v_cmp_gt_i32_e64 s0, s27, v31
	s_delay_alu instid0(VALU_DEP_2) | instskip(SKIP_1) | instid1(VALU_DEP_2)
	v_or_b32_e32 v50, v45, v46
	s_wait_alu 0xf1ff
	v_cndmask_b32_e64 v10, 0, v10, s0
	v_cmp_gt_i32_e64 s0, s27, v30
	s_wait_alu 0xf1ff
	s_delay_alu instid0(VALU_DEP_1) | instskip(SKIP_1) | instid1(VALU_DEP_2)
	v_cndmask_b32_e64 v1, 0, v1, s0
	v_cmp_gt_i32_e64 s0, s27, v29
	v_or_b32_e32 v46, v1, v10
	s_wait_alu 0xf1ff
	s_delay_alu instid0(VALU_DEP_2) | instskip(SKIP_2) | instid1(VALU_DEP_1)
	v_cndmask_b32_e64 v47, 0, v47, s0
	v_cmp_gt_i32_e64 s0, s27, v28
	s_wait_alu 0xf1ff
	v_cndmask_b32_e64 v43, 0, v43, s0
	v_cmp_gt_i32_e64 s0, s27, v27
	s_delay_alu instid0(VALU_DEP_2) | instskip(SKIP_1) | instid1(VALU_DEP_2)
	v_or_b32_e32 v49, v43, v47
	s_wait_alu 0xf1ff
	v_cndmask_b32_e64 v44, 0, v44, s0
	v_cmp_gt_i32_e64 s0, s27, v25
	s_wait_alu 0xf1ff
	s_delay_alu instid0(VALU_DEP_1) | instskip(NEXT) | instid1(VALU_DEP_1)
	v_cndmask_b32_e64 v9, 0, v9, s0
	v_or_b32_e32 v48, v9, v44
.LBB276_745:                            ;   in Loop: Header=BB276_481 Depth=1
	s_wait_alu 0xfffe
	s_or_b32 exec_lo, exec_lo, s6
	;;#ASMSTART
	v_pk_mul_f16 v1, v37, v50;

	;;#ASMEND
	;;#ASMSTART
	v_pk_mul_f16 v9, v35, v46;

	;;#ASMEND
	;; [unrolled: 4-line block ×4, first 2 shown]
	;;#ASMSTART
	v_pk_add_f16 v1, v1, v9;

	;;#ASMEND
	;;#ASMSTART
	v_pk_add_f16 v1, v1, v10;

	;;#ASMEND
	;; [unrolled: 4-line block ×3, first 2 shown]
	v_dual_mov_b32 v46, 0 :: v_dual_and_b32 v9, 0xffff, v1
	v_lshrrev_b32_e32 v1, 16, v1
	;;#ASMSTART
	v_cvt_f32_f16 v43, v9;
	;;#ASMEND
	;;#ASMSTART
	v_cvt_f32_f16 v44, v1;
	;;#ASMEND
	global_load_b64 v[9:10], v[7:8], off offset:1024
	global_load_b32 v45, v46, s[10:11]
	v_mov_b32_e32 v47, 0
	s_mov_b32 s6, exec_lo
	s_wait_loadcnt 0x1
	v_and_b32_e32 v1, 0xff, v9
	s_delay_alu instid0(VALU_DEP_1)
	v_cmpx_ne_u16_e32 0, v1
	s_cbranch_execz .LBB276_753
; %bb.746:                              ;   in Loop: Header=BB276_481 Depth=1
	v_mov_b32_e32 v47, 0x8000
	s_mov_b32 s7, exec_lo
	v_cmpx_ne_u16_e32 0x80, v1
	s_cbranch_execz .LBB276_752
; %bb.747:                              ;   in Loop: Header=BB276_481 Depth=1
	v_and_b32_e32 v48, 0x7f, v9
	v_mov_b32_e32 v47, 0x7c01
	s_mov_b32 s13, exec_lo
	s_delay_alu instid0(VALU_DEP_2)
	v_cmpx_ne_u32_e32 0x7f, v48
	s_cbranch_execz .LBB276_751
; %bb.748:                              ;   in Loop: Header=BB276_481 Depth=1
	v_and_b32_e32 v1, 7, v9
	v_lshrrev_b32_e32 v47, 3, v48
	s_mov_b32 s14, exec_lo
	v_cmpx_gt_u32_e32 8, v48
; %bb.749:                              ;   in Loop: Header=BB276_481 Depth=1
	s_delay_alu instid0(VALU_DEP_3) | instskip(NEXT) | instid1(VALU_DEP_1)
	v_clz_i32_u32_e32 v1, v1
	v_min_u32_e32 v1, 32, v1
	s_delay_alu instid0(VALU_DEP_1) | instskip(NEXT) | instid1(VALU_DEP_1)
	v_subrev_nc_u32_e32 v47, 28, v1
	v_lshlrev_b64_e32 v[48:49], v47, v[9:10]
	v_sub_nc_u32_e32 v47, 29, v1
	s_delay_alu instid0(VALU_DEP_2)
	v_and_b32_e32 v1, 7, v48
; %bb.750:                              ;   in Loop: Header=BB276_481 Depth=1
	s_wait_alu 0xfffe
	s_or_b32 exec_lo, exec_lo, s14
	v_lshlrev_b32_e32 v48, 8, v9
	v_lshl_add_u32 v47, v47, 10, 0x2000
	v_lshlrev_b32_e32 v1, 7, v1
	s_delay_alu instid0(VALU_DEP_3) | instskip(NEXT) | instid1(VALU_DEP_3)
	v_and_b32_e32 v48, 0x8000, v48
	v_and_b32_e32 v47, 0xfc00, v47
	s_delay_alu instid0(VALU_DEP_1)
	v_or3_b32 v47, v48, v47, v1
.LBB276_751:                            ;   in Loop: Header=BB276_481 Depth=1
	s_or_b32 exec_lo, exec_lo, s13
.LBB276_752:                            ;   in Loop: Header=BB276_481 Depth=1
	s_wait_alu 0xfffe
	s_or_b32 exec_lo, exec_lo, s7
.LBB276_753:                            ;   in Loop: Header=BB276_481 Depth=1
	s_wait_alu 0xfffe
	s_or_b32 exec_lo, exec_lo, s6
	v_lshrrev_b16 v1, 8, v9
	s_mov_b32 s6, exec_lo
	s_delay_alu instid0(VALU_DEP_1)
	v_cmpx_ne_u16_e32 0, v1
	s_cbranch_execz .LBB276_761
; %bb.754:                              ;   in Loop: Header=BB276_481 Depth=1
	v_bfrev_b32_e32 v46, 1
	s_mov_b32 s7, exec_lo
	v_cmpx_ne_u16_e32 0x80, v1
	s_cbranch_execz .LBB276_760
; %bb.755:                              ;   in Loop: Header=BB276_481 Depth=1
	v_and_b32_e32 v48, 0xffff, v1
	v_mov_b32_e32 v46, 0x7c010000
	s_mov_b32 s13, exec_lo
	s_delay_alu instid0(VALU_DEP_2) | instskip(NEXT) | instid1(VALU_DEP_1)
	v_and_b32_e32 v50, 0x7f, v48
	v_cmpx_ne_u32_e32 0x7f, v50
	s_cbranch_execz .LBB276_759
; %bb.756:                              ;   in Loop: Header=BB276_481 Depth=1
	v_and_b32_e32 v46, 7, v48
	v_lshrrev_b32_e32 v49, 3, v50
	s_mov_b32 s14, exec_lo
	v_cmpx_gt_u32_e32 8, v50
; %bb.757:                              ;   in Loop: Header=BB276_481 Depth=1
	s_delay_alu instid0(VALU_DEP_3) | instskip(NEXT) | instid1(VALU_DEP_1)
	v_clz_i32_u32_e32 v46, v46
	v_min_u32_e32 v46, 32, v46
	s_delay_alu instid0(VALU_DEP_1) | instskip(NEXT) | instid1(VALU_DEP_1)
	v_subrev_nc_u32_e32 v49, 28, v46
	v_lshlrev_b64_e32 v[50:51], v49, v[1:2]
	v_sub_nc_u32_e32 v49, 29, v46
	s_delay_alu instid0(VALU_DEP_2)
	v_and_b32_e32 v46, 7, v50
; %bb.758:                              ;   in Loop: Header=BB276_481 Depth=1
	s_wait_alu 0xfffe
	s_or_b32 exec_lo, exec_lo, s14
	v_lshlrev_b32_e32 v1, 8, v48
	v_lshl_add_u32 v48, v49, 10, 0x2000
	v_lshlrev_b32_e32 v46, 23, v46
	s_delay_alu instid0(VALU_DEP_2) | instskip(NEXT) | instid1(VALU_DEP_1)
	v_and_or_b32 v1, 0x8000, v1, v48
	v_lshl_or_b32 v46, v1, 16, v46
.LBB276_759:                            ;   in Loop: Header=BB276_481 Depth=1
	s_or_b32 exec_lo, exec_lo, s13
.LBB276_760:                            ;   in Loop: Header=BB276_481 Depth=1
	s_wait_alu 0xfffe
	s_or_b32 exec_lo, exec_lo, s7
.LBB276_761:                            ;   in Loop: Header=BB276_481 Depth=1
	s_wait_alu 0xfffe
	s_or_b32 exec_lo, exec_lo, s6
	v_lshrrev_b32_e32 v1, 16, v9
	v_mov_b32_e32 v48, 0
	s_mov_b32 s6, exec_lo
	s_delay_alu instid0(VALU_DEP_2) | instskip(NEXT) | instid1(VALU_DEP_1)
	v_dual_mov_b32 v49, 0 :: v_dual_and_b32 v50, 0xff, v1
	v_cmpx_ne_u16_e32 0, v50
	s_cbranch_execz .LBB276_769
; %bb.762:                              ;   in Loop: Header=BB276_481 Depth=1
	v_mov_b32_e32 v49, 0x8000
	s_mov_b32 s7, exec_lo
	v_cmpx_ne_u16_e32 0x80, v50
	s_cbranch_execz .LBB276_768
; %bb.763:                              ;   in Loop: Header=BB276_481 Depth=1
	v_bfe_u32 v51, v9, 16, 7
	v_mov_b32_e32 v49, 0x7c01
	s_mov_b32 s13, exec_lo
	s_delay_alu instid0(VALU_DEP_2)
	v_cmpx_ne_u32_e32 0x7f, v51
	s_cbranch_execz .LBB276_767
; %bb.764:                              ;   in Loop: Header=BB276_481 Depth=1
	v_and_b32_e32 v49, 7, v1
	v_lshrrev_b32_e32 v50, 3, v51
	s_mov_b32 s14, exec_lo
	v_cmpx_gt_u32_e32 8, v51
; %bb.765:                              ;   in Loop: Header=BB276_481 Depth=1
	s_delay_alu instid0(VALU_DEP_3) | instskip(NEXT) | instid1(VALU_DEP_1)
	v_clz_i32_u32_e32 v49, v49
	v_min_u32_e32 v51, 32, v49
	s_delay_alu instid0(VALU_DEP_1) | instskip(NEXT) | instid1(VALU_DEP_1)
	v_subrev_nc_u32_e32 v49, 28, v51
	v_lshlrev_b64_e32 v[49:50], v49, v[1:2]
	v_sub_nc_u32_e32 v50, 29, v51
	s_delay_alu instid0(VALU_DEP_2)
	v_and_b32_e32 v49, 7, v49
; %bb.766:                              ;   in Loop: Header=BB276_481 Depth=1
	s_wait_alu 0xfffe
	s_or_b32 exec_lo, exec_lo, s14
	v_lshlrev_b32_e32 v1, 8, v1
	v_lshl_add_u32 v50, v50, 10, 0x2000
	v_lshlrev_b32_e32 v49, 7, v49
	s_delay_alu instid0(VALU_DEP_3) | instskip(NEXT) | instid1(VALU_DEP_3)
	v_and_b32_e32 v1, 0x8000, v1
	v_and_b32_e32 v50, 0xfc00, v50
	s_delay_alu instid0(VALU_DEP_1)
	v_or3_b32 v49, v1, v50, v49
.LBB276_767:                            ;   in Loop: Header=BB276_481 Depth=1
	s_or_b32 exec_lo, exec_lo, s13
.LBB276_768:                            ;   in Loop: Header=BB276_481 Depth=1
	s_wait_alu 0xfffe
	s_or_b32 exec_lo, exec_lo, s7
.LBB276_769:                            ;   in Loop: Header=BB276_481 Depth=1
	s_wait_alu 0xfffe
	s_or_b32 exec_lo, exec_lo, s6
	s_delay_alu instid0(SALU_CYCLE_1)
	s_mov_b32 s6, exec_lo
	v_cmpx_lt_u32_e32 0xffffff, v9
	s_cbranch_execz .LBB276_777
; %bb.770:                              ;   in Loop: Header=BB276_481 Depth=1
	v_lshrrev_b32_e32 v1, 24, v9
	v_bfrev_b32_e32 v48, 1
	s_mov_b32 s7, exec_lo
	s_delay_alu instid0(VALU_DEP_2)
	v_cmpx_ne_u32_e32 0x80, v1
	s_cbranch_execz .LBB276_776
; %bb.771:                              ;   in Loop: Header=BB276_481 Depth=1
	v_and_b32_e32 v51, 0x7f, v1
	v_mov_b32_e32 v48, 0x7c010000
	s_mov_b32 s13, exec_lo
	s_delay_alu instid0(VALU_DEP_2)
	v_cmpx_ne_u32_e32 0x7f, v51
	s_cbranch_execz .LBB276_775
; %bb.772:                              ;   in Loop: Header=BB276_481 Depth=1
	v_and_b32_e32 v48, 7, v1
	v_lshrrev_b32_e32 v50, 3, v51
	s_mov_b32 s14, exec_lo
	v_cmpx_gt_u32_e32 8, v51
; %bb.773:                              ;   in Loop: Header=BB276_481 Depth=1
	s_delay_alu instid0(VALU_DEP_3) | instskip(NEXT) | instid1(VALU_DEP_1)
	v_clz_i32_u32_e32 v48, v48
	v_min_u32_e32 v48, 32, v48
	s_delay_alu instid0(VALU_DEP_1) | instskip(NEXT) | instid1(VALU_DEP_1)
	v_subrev_nc_u32_e32 v50, 28, v48
	v_lshlrev_b64_e32 v[51:52], v50, v[1:2]
	v_sub_nc_u32_e32 v50, 29, v48
	s_delay_alu instid0(VALU_DEP_2)
	v_and_b32_e32 v48, 7, v51
; %bb.774:                              ;   in Loop: Header=BB276_481 Depth=1
	s_wait_alu 0xfffe
	s_or_b32 exec_lo, exec_lo, s14
	v_lshlrev_b32_e32 v1, 8, v1
	v_lshl_add_u32 v50, v50, 10, 0x2000
	v_lshlrev_b32_e32 v48, 23, v48
	s_delay_alu instid0(VALU_DEP_2) | instskip(NEXT) | instid1(VALU_DEP_1)
	v_and_or_b32 v1, 0x8000, v1, v50
	v_lshl_or_b32 v48, v1, 16, v48
.LBB276_775:                            ;   in Loop: Header=BB276_481 Depth=1
	s_or_b32 exec_lo, exec_lo, s13
.LBB276_776:                            ;   in Loop: Header=BB276_481 Depth=1
	s_wait_alu 0xfffe
	s_or_b32 exec_lo, exec_lo, s7
.LBB276_777:                            ;   in Loop: Header=BB276_481 Depth=1
	s_wait_alu 0xfffe
	s_or_b32 exec_lo, exec_lo, s6
	v_dual_mov_b32 v1, v10 :: v_dual_and_b32 v52, 0xff, v10
	v_dual_mov_b32 v50, 0 :: v_dual_mov_b32 v51, 0
	s_mov_b32 s6, exec_lo
	s_delay_alu instid0(VALU_DEP_2)
	v_cmpx_ne_u16_e32 0, v52
	s_cbranch_execz .LBB276_785
; %bb.778:                              ;   in Loop: Header=BB276_481 Depth=1
	v_mov_b32_e32 v51, 0x8000
	s_mov_b32 s7, exec_lo
	v_cmpx_ne_u16_e32 0x80, v52
	s_cbranch_execz .LBB276_784
; %bb.779:                              ;   in Loop: Header=BB276_481 Depth=1
	v_and_b32_e32 v53, 0x7f, v10
	v_mov_b32_e32 v51, 0x7c01
	s_mov_b32 s13, exec_lo
	s_delay_alu instid0(VALU_DEP_2)
	v_cmpx_ne_u32_e32 0x7f, v53
	s_cbranch_execz .LBB276_783
; %bb.780:                              ;   in Loop: Header=BB276_481 Depth=1
	v_and_b32_e32 v51, 7, v10
	v_lshrrev_b32_e32 v52, 3, v53
	s_mov_b32 s14, exec_lo
	v_cmpx_gt_u32_e32 8, v53
; %bb.781:                              ;   in Loop: Header=BB276_481 Depth=1
	s_delay_alu instid0(VALU_DEP_3) | instskip(NEXT) | instid1(VALU_DEP_1)
	v_clz_i32_u32_e32 v51, v51
	v_min_u32_e32 v53, 32, v51
	s_delay_alu instid0(VALU_DEP_1) | instskip(NEXT) | instid1(VALU_DEP_1)
	v_subrev_nc_u32_e32 v51, 28, v53
	v_lshlrev_b64_e32 v[51:52], v51, v[1:2]
	v_sub_nc_u32_e32 v52, 29, v53
	s_delay_alu instid0(VALU_DEP_2)
	v_and_b32_e32 v51, 7, v51
; %bb.782:                              ;   in Loop: Header=BB276_481 Depth=1
	s_wait_alu 0xfffe
	s_or_b32 exec_lo, exec_lo, s14
	v_lshlrev_b32_e32 v53, 8, v10
	v_lshl_add_u32 v52, v52, 10, 0x2000
	v_lshlrev_b32_e32 v51, 7, v51
	s_delay_alu instid0(VALU_DEP_3) | instskip(NEXT) | instid1(VALU_DEP_3)
	v_and_b32_e32 v53, 0x8000, v53
	v_and_b32_e32 v52, 0xfc00, v52
	s_delay_alu instid0(VALU_DEP_1)
	v_or3_b32 v51, v53, v52, v51
.LBB276_783:                            ;   in Loop: Header=BB276_481 Depth=1
	s_or_b32 exec_lo, exec_lo, s13
.LBB276_784:                            ;   in Loop: Header=BB276_481 Depth=1
	s_wait_alu 0xfffe
	s_or_b32 exec_lo, exec_lo, s7
.LBB276_785:                            ;   in Loop: Header=BB276_481 Depth=1
	s_wait_alu 0xfffe
	s_or_b32 exec_lo, exec_lo, s6
	v_lshrrev_b16 v1, 8, v1
	v_mov_b32_e32 v52, 0
	s_mov_b32 s6, exec_lo
	s_delay_alu instid0(VALU_DEP_2)
	v_cmpx_ne_u16_e32 0, v1
	s_cbranch_execz .LBB276_793
; %bb.786:                              ;   in Loop: Header=BB276_481 Depth=1
	v_bfrev_b32_e32 v52, 1
	s_mov_b32 s7, exec_lo
	v_cmpx_ne_u16_e32 0x80, v1
	s_cbranch_execz .LBB276_792
; %bb.787:                              ;   in Loop: Header=BB276_481 Depth=1
	v_and_b32_e32 v53, 0xffff, v1
	v_mov_b32_e32 v52, 0x7c010000
	s_mov_b32 s13, exec_lo
	s_delay_alu instid0(VALU_DEP_2) | instskip(NEXT) | instid1(VALU_DEP_1)
	v_and_b32_e32 v55, 0x7f, v53
	v_cmpx_ne_u32_e32 0x7f, v55
	s_cbranch_execz .LBB276_791
; %bb.788:                              ;   in Loop: Header=BB276_481 Depth=1
	v_and_b32_e32 v52, 7, v53
	v_lshrrev_b32_e32 v54, 3, v55
	s_mov_b32 s14, exec_lo
	v_cmpx_gt_u32_e32 8, v55
; %bb.789:                              ;   in Loop: Header=BB276_481 Depth=1
	s_delay_alu instid0(VALU_DEP_3) | instskip(NEXT) | instid1(VALU_DEP_1)
	v_clz_i32_u32_e32 v52, v52
	v_min_u32_e32 v52, 32, v52
	s_delay_alu instid0(VALU_DEP_1) | instskip(NEXT) | instid1(VALU_DEP_1)
	v_subrev_nc_u32_e32 v54, 28, v52
	v_lshlrev_b64_e32 v[55:56], v54, v[1:2]
	v_sub_nc_u32_e32 v54, 29, v52
	s_delay_alu instid0(VALU_DEP_2)
	v_and_b32_e32 v52, 7, v55
; %bb.790:                              ;   in Loop: Header=BB276_481 Depth=1
	s_wait_alu 0xfffe
	s_or_b32 exec_lo, exec_lo, s14
	v_lshlrev_b32_e32 v1, 8, v53
	v_lshl_add_u32 v53, v54, 10, 0x2000
	v_lshlrev_b32_e32 v52, 23, v52
	s_delay_alu instid0(VALU_DEP_2) | instskip(NEXT) | instid1(VALU_DEP_1)
	v_and_or_b32 v1, 0x8000, v1, v53
	v_lshl_or_b32 v52, v1, 16, v52
.LBB276_791:                            ;   in Loop: Header=BB276_481 Depth=1
	s_or_b32 exec_lo, exec_lo, s13
.LBB276_792:                            ;   in Loop: Header=BB276_481 Depth=1
	s_wait_alu 0xfffe
	s_or_b32 exec_lo, exec_lo, s7
.LBB276_793:                            ;   in Loop: Header=BB276_481 Depth=1
	s_wait_alu 0xfffe
	s_or_b32 exec_lo, exec_lo, s6
	v_lshrrev_b32_e32 v1, 16, v10
	s_mov_b32 s6, exec_lo
	s_delay_alu instid0(VALU_DEP_1) | instskip(NEXT) | instid1(VALU_DEP_1)
	v_and_b32_e32 v53, 0xff, v1
	v_cmpx_ne_u16_e32 0, v53
	s_cbranch_execz .LBB276_801
; %bb.794:                              ;   in Loop: Header=BB276_481 Depth=1
	v_mov_b32_e32 v50, 0x8000
	s_mov_b32 s7, exec_lo
	v_cmpx_ne_u16_e32 0x80, v53
	s_cbranch_execz .LBB276_800
; %bb.795:                              ;   in Loop: Header=BB276_481 Depth=1
	v_bfe_u32 v54, v10, 16, 7
	v_mov_b32_e32 v50, 0x7c01
	s_mov_b32 s13, exec_lo
	s_delay_alu instid0(VALU_DEP_2)
	v_cmpx_ne_u32_e32 0x7f, v54
	s_cbranch_execz .LBB276_799
; %bb.796:                              ;   in Loop: Header=BB276_481 Depth=1
	v_and_b32_e32 v50, 7, v1
	v_lshrrev_b32_e32 v53, 3, v54
	s_mov_b32 s14, exec_lo
	v_cmpx_gt_u32_e32 8, v54
; %bb.797:                              ;   in Loop: Header=BB276_481 Depth=1
	s_delay_alu instid0(VALU_DEP_3) | instskip(NEXT) | instid1(VALU_DEP_1)
	v_clz_i32_u32_e32 v50, v50
	v_min_u32_e32 v50, 32, v50
	s_delay_alu instid0(VALU_DEP_1) | instskip(NEXT) | instid1(VALU_DEP_1)
	v_subrev_nc_u32_e32 v53, 28, v50
	v_lshlrev_b64_e32 v[54:55], v53, v[1:2]
	v_sub_nc_u32_e32 v53, 29, v50
	s_delay_alu instid0(VALU_DEP_2)
	v_and_b32_e32 v50, 7, v54
; %bb.798:                              ;   in Loop: Header=BB276_481 Depth=1
	s_wait_alu 0xfffe
	s_or_b32 exec_lo, exec_lo, s14
	v_lshlrev_b32_e32 v1, 8, v1
	v_lshl_add_u32 v53, v53, 10, 0x2000
	v_lshlrev_b32_e32 v50, 7, v50
	s_delay_alu instid0(VALU_DEP_3) | instskip(NEXT) | instid1(VALU_DEP_3)
	v_and_b32_e32 v1, 0x8000, v1
	v_and_b32_e32 v53, 0xfc00, v53
	s_delay_alu instid0(VALU_DEP_1)
	v_or3_b32 v50, v1, v53, v50
.LBB276_799:                            ;   in Loop: Header=BB276_481 Depth=1
	s_or_b32 exec_lo, exec_lo, s13
.LBB276_800:                            ;   in Loop: Header=BB276_481 Depth=1
	s_wait_alu 0xfffe
	s_or_b32 exec_lo, exec_lo, s7
.LBB276_801:                            ;   in Loop: Header=BB276_481 Depth=1
	s_wait_alu 0xfffe
	s_or_b32 exec_lo, exec_lo, s6
	v_cmp_lt_u64_e64 s0, s[2:3], v[9:10]
	v_mov_b32_e32 v9, 0
	s_and_saveexec_b32 s6, s0
	s_cbranch_execz .LBB276_809
; %bb.802:                              ;   in Loop: Header=BB276_481 Depth=1
	v_lshrrev_b32_e32 v1, 24, v10
	v_bfrev_b32_e32 v9, 1
	s_mov_b32 s7, exec_lo
	s_delay_alu instid0(VALU_DEP_2)
	v_cmpx_ne_u32_e32 0x80, v1
	s_cbranch_execz .LBB276_808
; %bb.803:                              ;   in Loop: Header=BB276_481 Depth=1
	v_and_b32_e32 v53, 0x7f, v1
	v_mov_b32_e32 v9, 0x7c010000
	s_mov_b32 s13, exec_lo
	s_delay_alu instid0(VALU_DEP_2)
	v_cmpx_ne_u32_e32 0x7f, v53
	s_cbranch_execz .LBB276_807
; %bb.804:                              ;   in Loop: Header=BB276_481 Depth=1
	v_and_b32_e32 v9, 7, v1
	v_lshrrev_b32_e32 v10, 3, v53
	s_mov_b32 s14, exec_lo
	v_cmpx_gt_u32_e32 8, v53
; %bb.805:                              ;   in Loop: Header=BB276_481 Depth=1
	s_delay_alu instid0(VALU_DEP_3) | instskip(NEXT) | instid1(VALU_DEP_1)
	v_clz_i32_u32_e32 v9, v9
	v_min_u32_e32 v53, 32, v9
	s_delay_alu instid0(VALU_DEP_1) | instskip(NEXT) | instid1(VALU_DEP_1)
	v_subrev_nc_u32_e32 v9, 28, v53
	v_lshlrev_b64_e32 v[9:10], v9, v[1:2]
	v_sub_nc_u32_e32 v10, 29, v53
	s_delay_alu instid0(VALU_DEP_2)
	v_and_b32_e32 v9, 7, v9
; %bb.806:                              ;   in Loop: Header=BB276_481 Depth=1
	s_wait_alu 0xfffe
	s_or_b32 exec_lo, exec_lo, s14
	v_lshlrev_b32_e32 v1, 8, v1
	v_lshl_add_u32 v10, v10, 10, 0x2000
	v_lshlrev_b32_e32 v9, 23, v9
	s_delay_alu instid0(VALU_DEP_2) | instskip(NEXT) | instid1(VALU_DEP_1)
	v_and_or_b32 v1, 0x8000, v1, v10
	v_lshl_or_b32 v9, v1, 16, v9
.LBB276_807:                            ;   in Loop: Header=BB276_481 Depth=1
	s_or_b32 exec_lo, exec_lo, s13
.LBB276_808:                            ;   in Loop: Header=BB276_481 Depth=1
	s_wait_alu 0xfffe
	s_or_b32 exec_lo, exec_lo, s7
.LBB276_809:                            ;   in Loop: Header=BB276_481 Depth=1
	s_wait_alu 0xfffe
	s_or_b32 exec_lo, exec_lo, s6
	v_or_b32_e32 v1, v48, v49
	s_wait_loadcnt 0x0
	v_fma_mixlo_f16 v10, v45, v48, 0 op_sel:[0,1,0] op_sel_hi:[0,1,0]
	v_or_b32_e32 v48, v46, v47
	v_fma_mixlo_f16 v46, v45, v46, 0 op_sel:[0,1,0] op_sel_hi:[0,1,0]
	v_or_b32_e32 v49, v52, v51
	v_or_b32_e32 v50, v9, v50
	v_fma_mixlo_f16 v51, v45, v1, 0 op_sel_hi:[0,1,0]
	v_fma_mixlo_f16 v9, v45, v9, 0 op_sel:[0,1,0] op_sel_hi:[0,1,0]
	v_lshlrev_b32_e32 v47, 16, v46
	v_fma_mixlo_f16 v46, v45, v48, 0 op_sel_hi:[0,1,0]
	v_fma_mixlo_f16 v48, v45, v52, 0 op_sel:[0,1,0] op_sel_hi:[0,1,0]
	v_fma_mixlo_f16 v49, v45, v49, 0 op_sel_hi:[0,1,0]
	v_fma_mixlo_f16 v50, v45, v50, 0 op_sel_hi:[0,1,0]
	v_lshlrev_b32_e32 v1, 16, v10
	v_and_b32_e32 v10, 0xffff, v51
	v_and_b32_e32 v53, 0xffff, v46
	v_lshlrev_b32_e32 v45, 16, v48
	v_and_b32_e32 v49, 0xffff, v49
	v_lshlrev_b32_e32 v9, 16, v9
	v_and_b32_e32 v46, 0xffff, v50
	v_or_b32_e32 v48, v1, v10
	v_or_b32_e32 v52, v47, v53
	;; [unrolled: 1-line block ×3, first 2 shown]
	s_delay_alu instid0(VALU_DEP_4)
	v_or_b32_e32 v50, v9, v46
	s_and_saveexec_b32 s6, vcc_lo
	s_cbranch_execz .LBB276_811
; %bb.810:                              ;   in Loop: Header=BB276_481 Depth=1
	v_cmp_gt_i32_e64 s0, s27, v15
	s_wait_alu 0xf1ff
	s_delay_alu instid0(VALU_DEP_1) | instskip(SKIP_2) | instid1(VALU_DEP_1)
	v_cndmask_b32_e64 v48, 0, v53, s0
	v_cmp_gt_i32_e64 s0, s27, v32
	s_wait_alu 0xf1ff
	v_cndmask_b32_e64 v47, 0, v47, s0
	v_cmp_gt_i32_e64 s0, s27, v31
	s_delay_alu instid0(VALU_DEP_2) | instskip(SKIP_1) | instid1(VALU_DEP_2)
	v_or_b32_e32 v52, v47, v48
	s_wait_alu 0xf1ff
	v_cndmask_b32_e64 v10, 0, v10, s0
	v_cmp_gt_i32_e64 s0, s27, v30
	s_wait_alu 0xf1ff
	s_delay_alu instid0(VALU_DEP_1) | instskip(SKIP_1) | instid1(VALU_DEP_2)
	v_cndmask_b32_e64 v1, 0, v1, s0
	v_cmp_gt_i32_e64 s0, s27, v29
	v_or_b32_e32 v48, v1, v10
	s_wait_alu 0xf1ff
	s_delay_alu instid0(VALU_DEP_2) | instskip(SKIP_2) | instid1(VALU_DEP_1)
	v_cndmask_b32_e64 v49, 0, v49, s0
	v_cmp_gt_i32_e64 s0, s27, v28
	s_wait_alu 0xf1ff
	v_cndmask_b32_e64 v45, 0, v45, s0
	v_cmp_gt_i32_e64 s0, s27, v27
	s_delay_alu instid0(VALU_DEP_2) | instskip(SKIP_1) | instid1(VALU_DEP_2)
	v_or_b32_e32 v51, v45, v49
	s_wait_alu 0xf1ff
	v_cndmask_b32_e64 v46, 0, v46, s0
	v_cmp_gt_i32_e64 s0, s27, v25
	s_wait_alu 0xf1ff
	s_delay_alu instid0(VALU_DEP_1) | instskip(NEXT) | instid1(VALU_DEP_1)
	v_cndmask_b32_e64 v9, 0, v9, s0
	v_or_b32_e32 v50, v9, v46
.LBB276_811:                            ;   in Loop: Header=BB276_481 Depth=1
	s_wait_alu 0xfffe
	s_or_b32 exec_lo, exec_lo, s6
	;;#ASMSTART
	v_pk_mul_f16 v1, v37, v52;

	;;#ASMEND
	;;#ASMSTART
	v_pk_mul_f16 v9, v35, v48;

	;;#ASMEND
	;; [unrolled: 4-line block ×4, first 2 shown]
	;;#ASMSTART
	v_pk_add_f16 v1, v1, v9;

	;;#ASMEND
	;;#ASMSTART
	v_pk_add_f16 v1, v1, v10;

	;;#ASMEND
	;; [unrolled: 4-line block ×3, first 2 shown]
	v_dual_mov_b32 v48, 0 :: v_dual_and_b32 v9, 0xffff, v1
	v_lshrrev_b32_e32 v1, 16, v1
	;;#ASMSTART
	v_cvt_f32_f16 v45, v9;
	;;#ASMEND
	;;#ASMSTART
	v_cvt_f32_f16 v46, v1;
	;;#ASMEND
	global_load_b64 v[9:10], v[7:8], off offset:1280
	global_load_b32 v47, v48, s[10:11]
	v_mov_b32_e32 v49, 0
	s_mov_b32 s6, exec_lo
	s_wait_loadcnt 0x1
	v_and_b32_e32 v1, 0xff, v9
	s_delay_alu instid0(VALU_DEP_1)
	v_cmpx_ne_u16_e32 0, v1
	s_cbranch_execz .LBB276_819
; %bb.812:                              ;   in Loop: Header=BB276_481 Depth=1
	v_mov_b32_e32 v49, 0x8000
	s_mov_b32 s7, exec_lo
	v_cmpx_ne_u16_e32 0x80, v1
	s_cbranch_execz .LBB276_818
; %bb.813:                              ;   in Loop: Header=BB276_481 Depth=1
	v_and_b32_e32 v50, 0x7f, v9
	v_mov_b32_e32 v49, 0x7c01
	s_mov_b32 s13, exec_lo
	s_delay_alu instid0(VALU_DEP_2)
	v_cmpx_ne_u32_e32 0x7f, v50
	s_cbranch_execz .LBB276_817
; %bb.814:                              ;   in Loop: Header=BB276_481 Depth=1
	v_and_b32_e32 v1, 7, v9
	v_lshrrev_b32_e32 v49, 3, v50
	s_mov_b32 s14, exec_lo
	v_cmpx_gt_u32_e32 8, v50
; %bb.815:                              ;   in Loop: Header=BB276_481 Depth=1
	s_delay_alu instid0(VALU_DEP_3) | instskip(NEXT) | instid1(VALU_DEP_1)
	v_clz_i32_u32_e32 v1, v1
	v_min_u32_e32 v1, 32, v1
	s_delay_alu instid0(VALU_DEP_1) | instskip(NEXT) | instid1(VALU_DEP_1)
	v_subrev_nc_u32_e32 v49, 28, v1
	v_lshlrev_b64_e32 v[50:51], v49, v[9:10]
	v_sub_nc_u32_e32 v49, 29, v1
	s_delay_alu instid0(VALU_DEP_2)
	v_and_b32_e32 v1, 7, v50
; %bb.816:                              ;   in Loop: Header=BB276_481 Depth=1
	s_wait_alu 0xfffe
	s_or_b32 exec_lo, exec_lo, s14
	v_lshlrev_b32_e32 v50, 8, v9
	v_lshl_add_u32 v49, v49, 10, 0x2000
	v_lshlrev_b32_e32 v1, 7, v1
	s_delay_alu instid0(VALU_DEP_3) | instskip(NEXT) | instid1(VALU_DEP_3)
	v_and_b32_e32 v50, 0x8000, v50
	v_and_b32_e32 v49, 0xfc00, v49
	s_delay_alu instid0(VALU_DEP_1)
	v_or3_b32 v49, v50, v49, v1
.LBB276_817:                            ;   in Loop: Header=BB276_481 Depth=1
	s_or_b32 exec_lo, exec_lo, s13
.LBB276_818:                            ;   in Loop: Header=BB276_481 Depth=1
	s_wait_alu 0xfffe
	s_or_b32 exec_lo, exec_lo, s7
.LBB276_819:                            ;   in Loop: Header=BB276_481 Depth=1
	s_wait_alu 0xfffe
	s_or_b32 exec_lo, exec_lo, s6
	v_lshrrev_b16 v1, 8, v9
	s_mov_b32 s6, exec_lo
	s_delay_alu instid0(VALU_DEP_1)
	v_cmpx_ne_u16_e32 0, v1
	s_cbranch_execz .LBB276_827
; %bb.820:                              ;   in Loop: Header=BB276_481 Depth=1
	v_bfrev_b32_e32 v48, 1
	s_mov_b32 s7, exec_lo
	v_cmpx_ne_u16_e32 0x80, v1
	s_cbranch_execz .LBB276_826
; %bb.821:                              ;   in Loop: Header=BB276_481 Depth=1
	v_and_b32_e32 v50, 0xffff, v1
	v_mov_b32_e32 v48, 0x7c010000
	s_mov_b32 s13, exec_lo
	s_delay_alu instid0(VALU_DEP_2) | instskip(NEXT) | instid1(VALU_DEP_1)
	v_and_b32_e32 v52, 0x7f, v50
	v_cmpx_ne_u32_e32 0x7f, v52
	s_cbranch_execz .LBB276_825
; %bb.822:                              ;   in Loop: Header=BB276_481 Depth=1
	v_and_b32_e32 v48, 7, v50
	v_lshrrev_b32_e32 v51, 3, v52
	s_mov_b32 s14, exec_lo
	v_cmpx_gt_u32_e32 8, v52
; %bb.823:                              ;   in Loop: Header=BB276_481 Depth=1
	s_delay_alu instid0(VALU_DEP_3) | instskip(NEXT) | instid1(VALU_DEP_1)
	v_clz_i32_u32_e32 v48, v48
	v_min_u32_e32 v48, 32, v48
	s_delay_alu instid0(VALU_DEP_1) | instskip(NEXT) | instid1(VALU_DEP_1)
	v_subrev_nc_u32_e32 v51, 28, v48
	v_lshlrev_b64_e32 v[52:53], v51, v[1:2]
	v_sub_nc_u32_e32 v51, 29, v48
	s_delay_alu instid0(VALU_DEP_2)
	v_and_b32_e32 v48, 7, v52
; %bb.824:                              ;   in Loop: Header=BB276_481 Depth=1
	s_wait_alu 0xfffe
	s_or_b32 exec_lo, exec_lo, s14
	v_lshlrev_b32_e32 v1, 8, v50
	v_lshl_add_u32 v50, v51, 10, 0x2000
	v_lshlrev_b32_e32 v48, 23, v48
	s_delay_alu instid0(VALU_DEP_2) | instskip(NEXT) | instid1(VALU_DEP_1)
	v_and_or_b32 v1, 0x8000, v1, v50
	v_lshl_or_b32 v48, v1, 16, v48
.LBB276_825:                            ;   in Loop: Header=BB276_481 Depth=1
	s_or_b32 exec_lo, exec_lo, s13
.LBB276_826:                            ;   in Loop: Header=BB276_481 Depth=1
	s_wait_alu 0xfffe
	s_or_b32 exec_lo, exec_lo, s7
.LBB276_827:                            ;   in Loop: Header=BB276_481 Depth=1
	s_wait_alu 0xfffe
	s_or_b32 exec_lo, exec_lo, s6
	v_lshrrev_b32_e32 v1, 16, v9
	v_mov_b32_e32 v50, 0
	s_mov_b32 s6, exec_lo
	s_delay_alu instid0(VALU_DEP_2) | instskip(NEXT) | instid1(VALU_DEP_1)
	v_dual_mov_b32 v51, 0 :: v_dual_and_b32 v52, 0xff, v1
	v_cmpx_ne_u16_e32 0, v52
	s_cbranch_execz .LBB276_835
; %bb.828:                              ;   in Loop: Header=BB276_481 Depth=1
	v_mov_b32_e32 v51, 0x8000
	s_mov_b32 s7, exec_lo
	v_cmpx_ne_u16_e32 0x80, v52
	s_cbranch_execz .LBB276_834
; %bb.829:                              ;   in Loop: Header=BB276_481 Depth=1
	v_bfe_u32 v53, v9, 16, 7
	v_mov_b32_e32 v51, 0x7c01
	s_mov_b32 s13, exec_lo
	s_delay_alu instid0(VALU_DEP_2)
	v_cmpx_ne_u32_e32 0x7f, v53
	s_cbranch_execz .LBB276_833
; %bb.830:                              ;   in Loop: Header=BB276_481 Depth=1
	v_and_b32_e32 v51, 7, v1
	v_lshrrev_b32_e32 v52, 3, v53
	s_mov_b32 s14, exec_lo
	v_cmpx_gt_u32_e32 8, v53
; %bb.831:                              ;   in Loop: Header=BB276_481 Depth=1
	s_delay_alu instid0(VALU_DEP_3) | instskip(NEXT) | instid1(VALU_DEP_1)
	v_clz_i32_u32_e32 v51, v51
	v_min_u32_e32 v53, 32, v51
	s_delay_alu instid0(VALU_DEP_1) | instskip(NEXT) | instid1(VALU_DEP_1)
	v_subrev_nc_u32_e32 v51, 28, v53
	v_lshlrev_b64_e32 v[51:52], v51, v[1:2]
	v_sub_nc_u32_e32 v52, 29, v53
	s_delay_alu instid0(VALU_DEP_2)
	v_and_b32_e32 v51, 7, v51
; %bb.832:                              ;   in Loop: Header=BB276_481 Depth=1
	s_wait_alu 0xfffe
	s_or_b32 exec_lo, exec_lo, s14
	v_lshlrev_b32_e32 v1, 8, v1
	v_lshl_add_u32 v52, v52, 10, 0x2000
	v_lshlrev_b32_e32 v51, 7, v51
	s_delay_alu instid0(VALU_DEP_3) | instskip(NEXT) | instid1(VALU_DEP_3)
	v_and_b32_e32 v1, 0x8000, v1
	v_and_b32_e32 v52, 0xfc00, v52
	s_delay_alu instid0(VALU_DEP_1)
	v_or3_b32 v51, v1, v52, v51
.LBB276_833:                            ;   in Loop: Header=BB276_481 Depth=1
	s_or_b32 exec_lo, exec_lo, s13
.LBB276_834:                            ;   in Loop: Header=BB276_481 Depth=1
	s_wait_alu 0xfffe
	s_or_b32 exec_lo, exec_lo, s7
.LBB276_835:                            ;   in Loop: Header=BB276_481 Depth=1
	s_wait_alu 0xfffe
	s_or_b32 exec_lo, exec_lo, s6
	s_delay_alu instid0(SALU_CYCLE_1)
	s_mov_b32 s6, exec_lo
	v_cmpx_lt_u32_e32 0xffffff, v9
	s_cbranch_execz .LBB276_843
; %bb.836:                              ;   in Loop: Header=BB276_481 Depth=1
	v_lshrrev_b32_e32 v1, 24, v9
	v_bfrev_b32_e32 v50, 1
	s_mov_b32 s7, exec_lo
	s_delay_alu instid0(VALU_DEP_2)
	v_cmpx_ne_u32_e32 0x80, v1
	s_cbranch_execz .LBB276_842
; %bb.837:                              ;   in Loop: Header=BB276_481 Depth=1
	v_and_b32_e32 v53, 0x7f, v1
	v_mov_b32_e32 v50, 0x7c010000
	s_mov_b32 s13, exec_lo
	s_delay_alu instid0(VALU_DEP_2)
	v_cmpx_ne_u32_e32 0x7f, v53
	s_cbranch_execz .LBB276_841
; %bb.838:                              ;   in Loop: Header=BB276_481 Depth=1
	v_and_b32_e32 v50, 7, v1
	v_lshrrev_b32_e32 v52, 3, v53
	s_mov_b32 s14, exec_lo
	v_cmpx_gt_u32_e32 8, v53
; %bb.839:                              ;   in Loop: Header=BB276_481 Depth=1
	s_delay_alu instid0(VALU_DEP_3) | instskip(NEXT) | instid1(VALU_DEP_1)
	v_clz_i32_u32_e32 v50, v50
	v_min_u32_e32 v50, 32, v50
	s_delay_alu instid0(VALU_DEP_1) | instskip(NEXT) | instid1(VALU_DEP_1)
	v_subrev_nc_u32_e32 v52, 28, v50
	v_lshlrev_b64_e32 v[53:54], v52, v[1:2]
	v_sub_nc_u32_e32 v52, 29, v50
	s_delay_alu instid0(VALU_DEP_2)
	v_and_b32_e32 v50, 7, v53
; %bb.840:                              ;   in Loop: Header=BB276_481 Depth=1
	s_wait_alu 0xfffe
	s_or_b32 exec_lo, exec_lo, s14
	v_lshlrev_b32_e32 v1, 8, v1
	v_lshl_add_u32 v52, v52, 10, 0x2000
	v_lshlrev_b32_e32 v50, 23, v50
	s_delay_alu instid0(VALU_DEP_2) | instskip(NEXT) | instid1(VALU_DEP_1)
	v_and_or_b32 v1, 0x8000, v1, v52
	v_lshl_or_b32 v50, v1, 16, v50
.LBB276_841:                            ;   in Loop: Header=BB276_481 Depth=1
	s_or_b32 exec_lo, exec_lo, s13
.LBB276_842:                            ;   in Loop: Header=BB276_481 Depth=1
	s_wait_alu 0xfffe
	s_or_b32 exec_lo, exec_lo, s7
.LBB276_843:                            ;   in Loop: Header=BB276_481 Depth=1
	s_wait_alu 0xfffe
	s_or_b32 exec_lo, exec_lo, s6
	v_dual_mov_b32 v1, v10 :: v_dual_and_b32 v54, 0xff, v10
	v_dual_mov_b32 v52, 0 :: v_dual_mov_b32 v53, 0
	s_mov_b32 s6, exec_lo
	s_delay_alu instid0(VALU_DEP_2)
	v_cmpx_ne_u16_e32 0, v54
	s_cbranch_execz .LBB276_851
; %bb.844:                              ;   in Loop: Header=BB276_481 Depth=1
	v_mov_b32_e32 v53, 0x8000
	s_mov_b32 s7, exec_lo
	v_cmpx_ne_u16_e32 0x80, v54
	s_cbranch_execz .LBB276_850
; %bb.845:                              ;   in Loop: Header=BB276_481 Depth=1
	v_and_b32_e32 v55, 0x7f, v10
	v_mov_b32_e32 v53, 0x7c01
	s_mov_b32 s13, exec_lo
	s_delay_alu instid0(VALU_DEP_2)
	v_cmpx_ne_u32_e32 0x7f, v55
	s_cbranch_execz .LBB276_849
; %bb.846:                              ;   in Loop: Header=BB276_481 Depth=1
	v_and_b32_e32 v53, 7, v10
	v_lshrrev_b32_e32 v54, 3, v55
	s_mov_b32 s14, exec_lo
	v_cmpx_gt_u32_e32 8, v55
; %bb.847:                              ;   in Loop: Header=BB276_481 Depth=1
	s_delay_alu instid0(VALU_DEP_3) | instskip(NEXT) | instid1(VALU_DEP_1)
	v_clz_i32_u32_e32 v53, v53
	v_min_u32_e32 v55, 32, v53
	s_delay_alu instid0(VALU_DEP_1) | instskip(NEXT) | instid1(VALU_DEP_1)
	v_subrev_nc_u32_e32 v53, 28, v55
	v_lshlrev_b64_e32 v[53:54], v53, v[1:2]
	v_sub_nc_u32_e32 v54, 29, v55
	s_delay_alu instid0(VALU_DEP_2)
	v_and_b32_e32 v53, 7, v53
; %bb.848:                              ;   in Loop: Header=BB276_481 Depth=1
	s_wait_alu 0xfffe
	s_or_b32 exec_lo, exec_lo, s14
	v_lshlrev_b32_e32 v55, 8, v10
	v_lshl_add_u32 v54, v54, 10, 0x2000
	v_lshlrev_b32_e32 v53, 7, v53
	s_delay_alu instid0(VALU_DEP_3) | instskip(NEXT) | instid1(VALU_DEP_3)
	v_and_b32_e32 v55, 0x8000, v55
	v_and_b32_e32 v54, 0xfc00, v54
	s_delay_alu instid0(VALU_DEP_1)
	v_or3_b32 v53, v55, v54, v53
.LBB276_849:                            ;   in Loop: Header=BB276_481 Depth=1
	s_or_b32 exec_lo, exec_lo, s13
.LBB276_850:                            ;   in Loop: Header=BB276_481 Depth=1
	s_wait_alu 0xfffe
	s_or_b32 exec_lo, exec_lo, s7
.LBB276_851:                            ;   in Loop: Header=BB276_481 Depth=1
	s_wait_alu 0xfffe
	s_or_b32 exec_lo, exec_lo, s6
	v_lshrrev_b16 v1, 8, v1
	v_mov_b32_e32 v54, 0
	s_mov_b32 s6, exec_lo
	s_delay_alu instid0(VALU_DEP_2)
	v_cmpx_ne_u16_e32 0, v1
	s_cbranch_execz .LBB276_859
; %bb.852:                              ;   in Loop: Header=BB276_481 Depth=1
	v_bfrev_b32_e32 v54, 1
	s_mov_b32 s7, exec_lo
	v_cmpx_ne_u16_e32 0x80, v1
	s_cbranch_execz .LBB276_858
; %bb.853:                              ;   in Loop: Header=BB276_481 Depth=1
	v_and_b32_e32 v55, 0xffff, v1
	v_mov_b32_e32 v54, 0x7c010000
	s_mov_b32 s13, exec_lo
	s_delay_alu instid0(VALU_DEP_2) | instskip(NEXT) | instid1(VALU_DEP_1)
	v_and_b32_e32 v57, 0x7f, v55
	v_cmpx_ne_u32_e32 0x7f, v57
	s_cbranch_execz .LBB276_857
; %bb.854:                              ;   in Loop: Header=BB276_481 Depth=1
	v_and_b32_e32 v54, 7, v55
	v_lshrrev_b32_e32 v56, 3, v57
	s_mov_b32 s14, exec_lo
	v_cmpx_gt_u32_e32 8, v57
; %bb.855:                              ;   in Loop: Header=BB276_481 Depth=1
	s_delay_alu instid0(VALU_DEP_3) | instskip(NEXT) | instid1(VALU_DEP_1)
	v_clz_i32_u32_e32 v54, v54
	v_min_u32_e32 v54, 32, v54
	s_delay_alu instid0(VALU_DEP_1) | instskip(NEXT) | instid1(VALU_DEP_1)
	v_subrev_nc_u32_e32 v56, 28, v54
	v_lshlrev_b64_e32 v[57:58], v56, v[1:2]
	v_sub_nc_u32_e32 v56, 29, v54
	s_delay_alu instid0(VALU_DEP_2)
	v_and_b32_e32 v54, 7, v57
; %bb.856:                              ;   in Loop: Header=BB276_481 Depth=1
	s_wait_alu 0xfffe
	s_or_b32 exec_lo, exec_lo, s14
	v_lshlrev_b32_e32 v1, 8, v55
	v_lshl_add_u32 v55, v56, 10, 0x2000
	v_lshlrev_b32_e32 v54, 23, v54
	s_delay_alu instid0(VALU_DEP_2) | instskip(NEXT) | instid1(VALU_DEP_1)
	v_and_or_b32 v1, 0x8000, v1, v55
	v_lshl_or_b32 v54, v1, 16, v54
.LBB276_857:                            ;   in Loop: Header=BB276_481 Depth=1
	s_or_b32 exec_lo, exec_lo, s13
.LBB276_858:                            ;   in Loop: Header=BB276_481 Depth=1
	s_wait_alu 0xfffe
	s_or_b32 exec_lo, exec_lo, s7
.LBB276_859:                            ;   in Loop: Header=BB276_481 Depth=1
	s_wait_alu 0xfffe
	s_or_b32 exec_lo, exec_lo, s6
	v_lshrrev_b32_e32 v1, 16, v10
	s_mov_b32 s6, exec_lo
	s_delay_alu instid0(VALU_DEP_1) | instskip(NEXT) | instid1(VALU_DEP_1)
	v_and_b32_e32 v55, 0xff, v1
	v_cmpx_ne_u16_e32 0, v55
	s_cbranch_execz .LBB276_867
; %bb.860:                              ;   in Loop: Header=BB276_481 Depth=1
	v_mov_b32_e32 v52, 0x8000
	s_mov_b32 s7, exec_lo
	v_cmpx_ne_u16_e32 0x80, v55
	s_cbranch_execz .LBB276_866
; %bb.861:                              ;   in Loop: Header=BB276_481 Depth=1
	v_bfe_u32 v56, v10, 16, 7
	v_mov_b32_e32 v52, 0x7c01
	s_mov_b32 s13, exec_lo
	s_delay_alu instid0(VALU_DEP_2)
	v_cmpx_ne_u32_e32 0x7f, v56
	s_cbranch_execz .LBB276_865
; %bb.862:                              ;   in Loop: Header=BB276_481 Depth=1
	v_and_b32_e32 v52, 7, v1
	v_lshrrev_b32_e32 v55, 3, v56
	s_mov_b32 s14, exec_lo
	v_cmpx_gt_u32_e32 8, v56
; %bb.863:                              ;   in Loop: Header=BB276_481 Depth=1
	s_delay_alu instid0(VALU_DEP_3) | instskip(NEXT) | instid1(VALU_DEP_1)
	v_clz_i32_u32_e32 v52, v52
	v_min_u32_e32 v52, 32, v52
	s_delay_alu instid0(VALU_DEP_1) | instskip(NEXT) | instid1(VALU_DEP_1)
	v_subrev_nc_u32_e32 v55, 28, v52
	v_lshlrev_b64_e32 v[56:57], v55, v[1:2]
	v_sub_nc_u32_e32 v55, 29, v52
	s_delay_alu instid0(VALU_DEP_2)
	v_and_b32_e32 v52, 7, v56
; %bb.864:                              ;   in Loop: Header=BB276_481 Depth=1
	s_wait_alu 0xfffe
	s_or_b32 exec_lo, exec_lo, s14
	v_lshlrev_b32_e32 v1, 8, v1
	v_lshl_add_u32 v55, v55, 10, 0x2000
	v_lshlrev_b32_e32 v52, 7, v52
	s_delay_alu instid0(VALU_DEP_3) | instskip(NEXT) | instid1(VALU_DEP_3)
	v_and_b32_e32 v1, 0x8000, v1
	v_and_b32_e32 v55, 0xfc00, v55
	s_delay_alu instid0(VALU_DEP_1)
	v_or3_b32 v52, v1, v55, v52
.LBB276_865:                            ;   in Loop: Header=BB276_481 Depth=1
	s_or_b32 exec_lo, exec_lo, s13
.LBB276_866:                            ;   in Loop: Header=BB276_481 Depth=1
	s_wait_alu 0xfffe
	s_or_b32 exec_lo, exec_lo, s7
.LBB276_867:                            ;   in Loop: Header=BB276_481 Depth=1
	s_wait_alu 0xfffe
	s_or_b32 exec_lo, exec_lo, s6
	v_cmp_lt_u64_e64 s0, s[2:3], v[9:10]
	v_mov_b32_e32 v9, 0
	s_and_saveexec_b32 s6, s0
	s_cbranch_execz .LBB276_875
; %bb.868:                              ;   in Loop: Header=BB276_481 Depth=1
	v_lshrrev_b32_e32 v1, 24, v10
	v_bfrev_b32_e32 v9, 1
	s_mov_b32 s7, exec_lo
	s_delay_alu instid0(VALU_DEP_2)
	v_cmpx_ne_u32_e32 0x80, v1
	s_cbranch_execz .LBB276_874
; %bb.869:                              ;   in Loop: Header=BB276_481 Depth=1
	v_and_b32_e32 v55, 0x7f, v1
	v_mov_b32_e32 v9, 0x7c010000
	s_mov_b32 s13, exec_lo
	s_delay_alu instid0(VALU_DEP_2)
	v_cmpx_ne_u32_e32 0x7f, v55
	s_cbranch_execz .LBB276_873
; %bb.870:                              ;   in Loop: Header=BB276_481 Depth=1
	v_and_b32_e32 v9, 7, v1
	v_lshrrev_b32_e32 v10, 3, v55
	s_mov_b32 s14, exec_lo
	v_cmpx_gt_u32_e32 8, v55
; %bb.871:                              ;   in Loop: Header=BB276_481 Depth=1
	s_delay_alu instid0(VALU_DEP_3) | instskip(NEXT) | instid1(VALU_DEP_1)
	v_clz_i32_u32_e32 v9, v9
	v_min_u32_e32 v55, 32, v9
	s_delay_alu instid0(VALU_DEP_1) | instskip(NEXT) | instid1(VALU_DEP_1)
	v_subrev_nc_u32_e32 v9, 28, v55
	v_lshlrev_b64_e32 v[9:10], v9, v[1:2]
	v_sub_nc_u32_e32 v10, 29, v55
	s_delay_alu instid0(VALU_DEP_2)
	v_and_b32_e32 v9, 7, v9
; %bb.872:                              ;   in Loop: Header=BB276_481 Depth=1
	s_wait_alu 0xfffe
	s_or_b32 exec_lo, exec_lo, s14
	v_lshlrev_b32_e32 v1, 8, v1
	v_lshl_add_u32 v10, v10, 10, 0x2000
	v_lshlrev_b32_e32 v9, 23, v9
	s_delay_alu instid0(VALU_DEP_2) | instskip(NEXT) | instid1(VALU_DEP_1)
	v_and_or_b32 v1, 0x8000, v1, v10
	v_lshl_or_b32 v9, v1, 16, v9
.LBB276_873:                            ;   in Loop: Header=BB276_481 Depth=1
	s_or_b32 exec_lo, exec_lo, s13
.LBB276_874:                            ;   in Loop: Header=BB276_481 Depth=1
	s_wait_alu 0xfffe
	s_or_b32 exec_lo, exec_lo, s7
.LBB276_875:                            ;   in Loop: Header=BB276_481 Depth=1
	s_wait_alu 0xfffe
	s_or_b32 exec_lo, exec_lo, s6
	v_or_b32_e32 v1, v50, v51
	s_wait_loadcnt 0x0
	v_fma_mixlo_f16 v10, v47, v50, 0 op_sel:[0,1,0] op_sel_hi:[0,1,0]
	v_or_b32_e32 v50, v48, v49
	v_fma_mixlo_f16 v48, v47, v48, 0 op_sel:[0,1,0] op_sel_hi:[0,1,0]
	v_or_b32_e32 v51, v54, v53
	v_or_b32_e32 v52, v9, v52
	v_fma_mixlo_f16 v53, v47, v1, 0 op_sel_hi:[0,1,0]
	v_fma_mixlo_f16 v9, v47, v9, 0 op_sel:[0,1,0] op_sel_hi:[0,1,0]
	v_lshlrev_b32_e32 v49, 16, v48
	v_fma_mixlo_f16 v48, v47, v50, 0 op_sel_hi:[0,1,0]
	v_fma_mixlo_f16 v50, v47, v54, 0 op_sel:[0,1,0] op_sel_hi:[0,1,0]
	v_fma_mixlo_f16 v51, v47, v51, 0 op_sel_hi:[0,1,0]
	v_fma_mixlo_f16 v52, v47, v52, 0 op_sel_hi:[0,1,0]
	v_lshlrev_b32_e32 v1, 16, v10
	v_and_b32_e32 v10, 0xffff, v53
	v_and_b32_e32 v55, 0xffff, v48
	v_lshlrev_b32_e32 v47, 16, v50
	v_and_b32_e32 v51, 0xffff, v51
	v_lshlrev_b32_e32 v9, 16, v9
	v_and_b32_e32 v48, 0xffff, v52
	v_or_b32_e32 v50, v1, v10
	v_or_b32_e32 v54, v49, v55
	;; [unrolled: 1-line block ×3, first 2 shown]
	s_delay_alu instid0(VALU_DEP_4)
	v_or_b32_e32 v52, v9, v48
	s_and_saveexec_b32 s6, vcc_lo
	s_cbranch_execz .LBB276_877
; %bb.876:                              ;   in Loop: Header=BB276_481 Depth=1
	v_cmp_gt_i32_e64 s0, s27, v15
	s_wait_alu 0xf1ff
	s_delay_alu instid0(VALU_DEP_1) | instskip(SKIP_2) | instid1(VALU_DEP_1)
	v_cndmask_b32_e64 v50, 0, v55, s0
	v_cmp_gt_i32_e64 s0, s27, v32
	s_wait_alu 0xf1ff
	v_cndmask_b32_e64 v49, 0, v49, s0
	v_cmp_gt_i32_e64 s0, s27, v31
	s_delay_alu instid0(VALU_DEP_2) | instskip(SKIP_1) | instid1(VALU_DEP_2)
	v_or_b32_e32 v54, v49, v50
	s_wait_alu 0xf1ff
	v_cndmask_b32_e64 v10, 0, v10, s0
	v_cmp_gt_i32_e64 s0, s27, v30
	s_wait_alu 0xf1ff
	s_delay_alu instid0(VALU_DEP_1) | instskip(SKIP_1) | instid1(VALU_DEP_2)
	v_cndmask_b32_e64 v1, 0, v1, s0
	v_cmp_gt_i32_e64 s0, s27, v29
	v_or_b32_e32 v50, v1, v10
	s_wait_alu 0xf1ff
	s_delay_alu instid0(VALU_DEP_2) | instskip(SKIP_2) | instid1(VALU_DEP_1)
	v_cndmask_b32_e64 v51, 0, v51, s0
	v_cmp_gt_i32_e64 s0, s27, v28
	s_wait_alu 0xf1ff
	v_cndmask_b32_e64 v47, 0, v47, s0
	v_cmp_gt_i32_e64 s0, s27, v27
	s_delay_alu instid0(VALU_DEP_2) | instskip(SKIP_1) | instid1(VALU_DEP_2)
	v_or_b32_e32 v53, v47, v51
	s_wait_alu 0xf1ff
	v_cndmask_b32_e64 v48, 0, v48, s0
	v_cmp_gt_i32_e64 s0, s27, v25
	s_wait_alu 0xf1ff
	s_delay_alu instid0(VALU_DEP_1) | instskip(NEXT) | instid1(VALU_DEP_1)
	v_cndmask_b32_e64 v9, 0, v9, s0
	v_or_b32_e32 v52, v9, v48
.LBB276_877:                            ;   in Loop: Header=BB276_481 Depth=1
	s_wait_alu 0xfffe
	s_or_b32 exec_lo, exec_lo, s6
	;;#ASMSTART
	v_pk_mul_f16 v1, v37, v54;

	;;#ASMEND
	;;#ASMSTART
	v_pk_mul_f16 v9, v35, v50;

	;;#ASMEND
	;; [unrolled: 4-line block ×4, first 2 shown]
	;;#ASMSTART
	v_pk_add_f16 v1, v1, v9;

	;;#ASMEND
	;;#ASMSTART
	v_pk_add_f16 v1, v1, v10;

	;;#ASMEND
	;; [unrolled: 4-line block ×3, first 2 shown]
	v_dual_mov_b32 v48, 0 :: v_dual_and_b32 v9, 0xffff, v1
	v_lshrrev_b32_e32 v1, 16, v1
	;;#ASMSTART
	v_cvt_f32_f16 v9, v9;
	;;#ASMEND
	;;#ASMSTART
	v_cvt_f32_f16 v10, v1;
	;;#ASMEND
	global_load_b64 v[7:8], v[7:8], off offset:1536
	global_load_b32 v47, v48, s[10:11]
	v_mov_b32_e32 v49, 0
	s_mov_b32 s6, exec_lo
	s_wait_loadcnt 0x1
	v_and_b32_e32 v1, 0xff, v7
	s_delay_alu instid0(VALU_DEP_1)
	v_cmpx_ne_u16_e32 0, v1
	s_cbranch_execz .LBB276_885
; %bb.878:                              ;   in Loop: Header=BB276_481 Depth=1
	v_mov_b32_e32 v49, 0x8000
	s_mov_b32 s7, exec_lo
	v_cmpx_ne_u16_e32 0x80, v1
	s_cbranch_execz .LBB276_884
; %bb.879:                              ;   in Loop: Header=BB276_481 Depth=1
	v_and_b32_e32 v50, 0x7f, v7
	v_mov_b32_e32 v49, 0x7c01
	s_mov_b32 s13, exec_lo
	s_delay_alu instid0(VALU_DEP_2)
	v_cmpx_ne_u32_e32 0x7f, v50
	s_cbranch_execz .LBB276_883
; %bb.880:                              ;   in Loop: Header=BB276_481 Depth=1
	v_and_b32_e32 v1, 7, v7
	v_lshrrev_b32_e32 v49, 3, v50
	s_mov_b32 s14, exec_lo
	v_cmpx_gt_u32_e32 8, v50
; %bb.881:                              ;   in Loop: Header=BB276_481 Depth=1
	s_delay_alu instid0(VALU_DEP_3) | instskip(NEXT) | instid1(VALU_DEP_1)
	v_clz_i32_u32_e32 v1, v1
	v_min_u32_e32 v1, 32, v1
	s_delay_alu instid0(VALU_DEP_1) | instskip(NEXT) | instid1(VALU_DEP_1)
	v_subrev_nc_u32_e32 v49, 28, v1
	v_lshlrev_b64_e32 v[50:51], v49, v[7:8]
	v_sub_nc_u32_e32 v49, 29, v1
	s_delay_alu instid0(VALU_DEP_2)
	v_and_b32_e32 v1, 7, v50
; %bb.882:                              ;   in Loop: Header=BB276_481 Depth=1
	s_wait_alu 0xfffe
	s_or_b32 exec_lo, exec_lo, s14
	v_lshlrev_b32_e32 v50, 8, v7
	v_lshl_add_u32 v49, v49, 10, 0x2000
	v_lshlrev_b32_e32 v1, 7, v1
	s_delay_alu instid0(VALU_DEP_3) | instskip(NEXT) | instid1(VALU_DEP_3)
	v_and_b32_e32 v50, 0x8000, v50
	v_and_b32_e32 v49, 0xfc00, v49
	s_delay_alu instid0(VALU_DEP_1)
	v_or3_b32 v49, v50, v49, v1
.LBB276_883:                            ;   in Loop: Header=BB276_481 Depth=1
	s_or_b32 exec_lo, exec_lo, s13
.LBB276_884:                            ;   in Loop: Header=BB276_481 Depth=1
	s_wait_alu 0xfffe
	s_or_b32 exec_lo, exec_lo, s7
.LBB276_885:                            ;   in Loop: Header=BB276_481 Depth=1
	s_wait_alu 0xfffe
	s_or_b32 exec_lo, exec_lo, s6
	v_lshrrev_b16 v1, 8, v7
	s_mov_b32 s6, exec_lo
	s_delay_alu instid0(VALU_DEP_1)
	v_cmpx_ne_u16_e32 0, v1
	s_cbranch_execz .LBB276_893
; %bb.886:                              ;   in Loop: Header=BB276_481 Depth=1
	v_bfrev_b32_e32 v48, 1
	s_mov_b32 s7, exec_lo
	v_cmpx_ne_u16_e32 0x80, v1
	s_cbranch_execz .LBB276_892
; %bb.887:                              ;   in Loop: Header=BB276_481 Depth=1
	v_and_b32_e32 v50, 0xffff, v1
	v_mov_b32_e32 v48, 0x7c010000
	s_mov_b32 s13, exec_lo
	s_delay_alu instid0(VALU_DEP_2) | instskip(NEXT) | instid1(VALU_DEP_1)
	v_and_b32_e32 v52, 0x7f, v50
	v_cmpx_ne_u32_e32 0x7f, v52
	s_cbranch_execz .LBB276_891
; %bb.888:                              ;   in Loop: Header=BB276_481 Depth=1
	v_and_b32_e32 v48, 7, v50
	v_lshrrev_b32_e32 v51, 3, v52
	s_mov_b32 s14, exec_lo
	v_cmpx_gt_u32_e32 8, v52
; %bb.889:                              ;   in Loop: Header=BB276_481 Depth=1
	s_delay_alu instid0(VALU_DEP_3) | instskip(NEXT) | instid1(VALU_DEP_1)
	v_clz_i32_u32_e32 v48, v48
	v_min_u32_e32 v48, 32, v48
	s_delay_alu instid0(VALU_DEP_1) | instskip(NEXT) | instid1(VALU_DEP_1)
	v_subrev_nc_u32_e32 v51, 28, v48
	v_lshlrev_b64_e32 v[52:53], v51, v[1:2]
	v_sub_nc_u32_e32 v51, 29, v48
	s_delay_alu instid0(VALU_DEP_2)
	v_and_b32_e32 v48, 7, v52
; %bb.890:                              ;   in Loop: Header=BB276_481 Depth=1
	s_wait_alu 0xfffe
	s_or_b32 exec_lo, exec_lo, s14
	v_lshlrev_b32_e32 v1, 8, v50
	v_lshl_add_u32 v50, v51, 10, 0x2000
	v_lshlrev_b32_e32 v48, 23, v48
	s_delay_alu instid0(VALU_DEP_2) | instskip(NEXT) | instid1(VALU_DEP_1)
	v_and_or_b32 v1, 0x8000, v1, v50
	v_lshl_or_b32 v48, v1, 16, v48
.LBB276_891:                            ;   in Loop: Header=BB276_481 Depth=1
	s_or_b32 exec_lo, exec_lo, s13
.LBB276_892:                            ;   in Loop: Header=BB276_481 Depth=1
	s_wait_alu 0xfffe
	s_or_b32 exec_lo, exec_lo, s7
.LBB276_893:                            ;   in Loop: Header=BB276_481 Depth=1
	s_wait_alu 0xfffe
	s_or_b32 exec_lo, exec_lo, s6
	v_lshrrev_b32_e32 v1, 16, v7
	v_mov_b32_e32 v50, 0
	s_mov_b32 s6, exec_lo
	s_delay_alu instid0(VALU_DEP_2) | instskip(NEXT) | instid1(VALU_DEP_1)
	v_dual_mov_b32 v51, 0 :: v_dual_and_b32 v52, 0xff, v1
	v_cmpx_ne_u16_e32 0, v52
	s_cbranch_execz .LBB276_901
; %bb.894:                              ;   in Loop: Header=BB276_481 Depth=1
	v_mov_b32_e32 v51, 0x8000
	s_mov_b32 s7, exec_lo
	v_cmpx_ne_u16_e32 0x80, v52
	s_cbranch_execz .LBB276_900
; %bb.895:                              ;   in Loop: Header=BB276_481 Depth=1
	v_bfe_u32 v53, v7, 16, 7
	v_mov_b32_e32 v51, 0x7c01
	s_mov_b32 s13, exec_lo
	s_delay_alu instid0(VALU_DEP_2)
	v_cmpx_ne_u32_e32 0x7f, v53
	s_cbranch_execz .LBB276_899
; %bb.896:                              ;   in Loop: Header=BB276_481 Depth=1
	v_and_b32_e32 v51, 7, v1
	v_lshrrev_b32_e32 v52, 3, v53
	s_mov_b32 s14, exec_lo
	v_cmpx_gt_u32_e32 8, v53
; %bb.897:                              ;   in Loop: Header=BB276_481 Depth=1
	s_delay_alu instid0(VALU_DEP_3) | instskip(NEXT) | instid1(VALU_DEP_1)
	v_clz_i32_u32_e32 v51, v51
	v_min_u32_e32 v53, 32, v51
	s_delay_alu instid0(VALU_DEP_1) | instskip(NEXT) | instid1(VALU_DEP_1)
	v_subrev_nc_u32_e32 v51, 28, v53
	v_lshlrev_b64_e32 v[51:52], v51, v[1:2]
	v_sub_nc_u32_e32 v52, 29, v53
	s_delay_alu instid0(VALU_DEP_2)
	v_and_b32_e32 v51, 7, v51
; %bb.898:                              ;   in Loop: Header=BB276_481 Depth=1
	s_wait_alu 0xfffe
	s_or_b32 exec_lo, exec_lo, s14
	v_lshlrev_b32_e32 v1, 8, v1
	v_lshl_add_u32 v52, v52, 10, 0x2000
	v_lshlrev_b32_e32 v51, 7, v51
	s_delay_alu instid0(VALU_DEP_3) | instskip(NEXT) | instid1(VALU_DEP_3)
	v_and_b32_e32 v1, 0x8000, v1
	v_and_b32_e32 v52, 0xfc00, v52
	s_delay_alu instid0(VALU_DEP_1)
	v_or3_b32 v51, v1, v52, v51
.LBB276_899:                            ;   in Loop: Header=BB276_481 Depth=1
	s_or_b32 exec_lo, exec_lo, s13
.LBB276_900:                            ;   in Loop: Header=BB276_481 Depth=1
	s_wait_alu 0xfffe
	s_or_b32 exec_lo, exec_lo, s7
.LBB276_901:                            ;   in Loop: Header=BB276_481 Depth=1
	s_wait_alu 0xfffe
	s_or_b32 exec_lo, exec_lo, s6
	s_delay_alu instid0(SALU_CYCLE_1)
	s_mov_b32 s6, exec_lo
	v_cmpx_lt_u32_e32 0xffffff, v7
	s_cbranch_execz .LBB276_909
; %bb.902:                              ;   in Loop: Header=BB276_481 Depth=1
	v_lshrrev_b32_e32 v1, 24, v7
	v_bfrev_b32_e32 v50, 1
	s_mov_b32 s7, exec_lo
	s_delay_alu instid0(VALU_DEP_2)
	v_cmpx_ne_u32_e32 0x80, v1
	s_cbranch_execz .LBB276_908
; %bb.903:                              ;   in Loop: Header=BB276_481 Depth=1
	v_and_b32_e32 v53, 0x7f, v1
	v_mov_b32_e32 v50, 0x7c010000
	s_mov_b32 s13, exec_lo
	s_delay_alu instid0(VALU_DEP_2)
	v_cmpx_ne_u32_e32 0x7f, v53
	s_cbranch_execz .LBB276_907
; %bb.904:                              ;   in Loop: Header=BB276_481 Depth=1
	v_and_b32_e32 v50, 7, v1
	v_lshrrev_b32_e32 v52, 3, v53
	s_mov_b32 s14, exec_lo
	v_cmpx_gt_u32_e32 8, v53
; %bb.905:                              ;   in Loop: Header=BB276_481 Depth=1
	s_delay_alu instid0(VALU_DEP_3) | instskip(NEXT) | instid1(VALU_DEP_1)
	v_clz_i32_u32_e32 v50, v50
	v_min_u32_e32 v50, 32, v50
	s_delay_alu instid0(VALU_DEP_1) | instskip(NEXT) | instid1(VALU_DEP_1)
	v_subrev_nc_u32_e32 v52, 28, v50
	v_lshlrev_b64_e32 v[53:54], v52, v[1:2]
	v_sub_nc_u32_e32 v52, 29, v50
	s_delay_alu instid0(VALU_DEP_2)
	v_and_b32_e32 v50, 7, v53
; %bb.906:                              ;   in Loop: Header=BB276_481 Depth=1
	s_wait_alu 0xfffe
	s_or_b32 exec_lo, exec_lo, s14
	v_lshlrev_b32_e32 v1, 8, v1
	v_lshl_add_u32 v52, v52, 10, 0x2000
	v_lshlrev_b32_e32 v50, 23, v50
	s_delay_alu instid0(VALU_DEP_2) | instskip(NEXT) | instid1(VALU_DEP_1)
	v_and_or_b32 v1, 0x8000, v1, v52
	v_lshl_or_b32 v50, v1, 16, v50
.LBB276_907:                            ;   in Loop: Header=BB276_481 Depth=1
	s_or_b32 exec_lo, exec_lo, s13
.LBB276_908:                            ;   in Loop: Header=BB276_481 Depth=1
	s_wait_alu 0xfffe
	s_or_b32 exec_lo, exec_lo, s7
.LBB276_909:                            ;   in Loop: Header=BB276_481 Depth=1
	s_wait_alu 0xfffe
	s_or_b32 exec_lo, exec_lo, s6
	v_dual_mov_b32 v1, v8 :: v_dual_and_b32 v54, 0xff, v8
	v_dual_mov_b32 v52, 0 :: v_dual_mov_b32 v53, 0
	s_mov_b32 s6, exec_lo
	s_delay_alu instid0(VALU_DEP_2)
	v_cmpx_ne_u16_e32 0, v54
	s_cbranch_execz .LBB276_917
; %bb.910:                              ;   in Loop: Header=BB276_481 Depth=1
	v_mov_b32_e32 v53, 0x8000
	s_mov_b32 s7, exec_lo
	v_cmpx_ne_u16_e32 0x80, v54
	s_cbranch_execz .LBB276_916
; %bb.911:                              ;   in Loop: Header=BB276_481 Depth=1
	v_and_b32_e32 v55, 0x7f, v8
	v_mov_b32_e32 v53, 0x7c01
	s_mov_b32 s13, exec_lo
	s_delay_alu instid0(VALU_DEP_2)
	v_cmpx_ne_u32_e32 0x7f, v55
	s_cbranch_execz .LBB276_915
; %bb.912:                              ;   in Loop: Header=BB276_481 Depth=1
	v_and_b32_e32 v53, 7, v8
	v_lshrrev_b32_e32 v54, 3, v55
	s_mov_b32 s14, exec_lo
	v_cmpx_gt_u32_e32 8, v55
; %bb.913:                              ;   in Loop: Header=BB276_481 Depth=1
	s_delay_alu instid0(VALU_DEP_3) | instskip(NEXT) | instid1(VALU_DEP_1)
	v_clz_i32_u32_e32 v53, v53
	v_min_u32_e32 v55, 32, v53
	s_delay_alu instid0(VALU_DEP_1) | instskip(NEXT) | instid1(VALU_DEP_1)
	v_subrev_nc_u32_e32 v53, 28, v55
	v_lshlrev_b64_e32 v[53:54], v53, v[1:2]
	v_sub_nc_u32_e32 v54, 29, v55
	s_delay_alu instid0(VALU_DEP_2)
	v_and_b32_e32 v53, 7, v53
; %bb.914:                              ;   in Loop: Header=BB276_481 Depth=1
	s_wait_alu 0xfffe
	s_or_b32 exec_lo, exec_lo, s14
	v_lshlrev_b32_e32 v55, 8, v8
	v_lshl_add_u32 v54, v54, 10, 0x2000
	v_lshlrev_b32_e32 v53, 7, v53
	s_delay_alu instid0(VALU_DEP_3) | instskip(NEXT) | instid1(VALU_DEP_3)
	v_and_b32_e32 v55, 0x8000, v55
	v_and_b32_e32 v54, 0xfc00, v54
	s_delay_alu instid0(VALU_DEP_1)
	v_or3_b32 v53, v55, v54, v53
.LBB276_915:                            ;   in Loop: Header=BB276_481 Depth=1
	s_or_b32 exec_lo, exec_lo, s13
.LBB276_916:                            ;   in Loop: Header=BB276_481 Depth=1
	s_wait_alu 0xfffe
	s_or_b32 exec_lo, exec_lo, s7
.LBB276_917:                            ;   in Loop: Header=BB276_481 Depth=1
	s_wait_alu 0xfffe
	s_or_b32 exec_lo, exec_lo, s6
	v_lshrrev_b16 v1, 8, v1
	v_mov_b32_e32 v54, 0
	s_mov_b32 s6, exec_lo
	s_delay_alu instid0(VALU_DEP_2)
	v_cmpx_ne_u16_e32 0, v1
	s_cbranch_execz .LBB276_925
; %bb.918:                              ;   in Loop: Header=BB276_481 Depth=1
	v_bfrev_b32_e32 v54, 1
	s_mov_b32 s7, exec_lo
	v_cmpx_ne_u16_e32 0x80, v1
	s_cbranch_execz .LBB276_924
; %bb.919:                              ;   in Loop: Header=BB276_481 Depth=1
	v_and_b32_e32 v55, 0xffff, v1
	v_mov_b32_e32 v54, 0x7c010000
	s_mov_b32 s13, exec_lo
	s_delay_alu instid0(VALU_DEP_2) | instskip(NEXT) | instid1(VALU_DEP_1)
	v_and_b32_e32 v57, 0x7f, v55
	v_cmpx_ne_u32_e32 0x7f, v57
	s_cbranch_execz .LBB276_923
; %bb.920:                              ;   in Loop: Header=BB276_481 Depth=1
	v_and_b32_e32 v54, 7, v55
	v_lshrrev_b32_e32 v56, 3, v57
	s_mov_b32 s14, exec_lo
	v_cmpx_gt_u32_e32 8, v57
; %bb.921:                              ;   in Loop: Header=BB276_481 Depth=1
	s_delay_alu instid0(VALU_DEP_3) | instskip(NEXT) | instid1(VALU_DEP_1)
	v_clz_i32_u32_e32 v54, v54
	v_min_u32_e32 v54, 32, v54
	s_delay_alu instid0(VALU_DEP_1) | instskip(NEXT) | instid1(VALU_DEP_1)
	v_subrev_nc_u32_e32 v56, 28, v54
	v_lshlrev_b64_e32 v[57:58], v56, v[1:2]
	v_sub_nc_u32_e32 v56, 29, v54
	s_delay_alu instid0(VALU_DEP_2)
	v_and_b32_e32 v54, 7, v57
; %bb.922:                              ;   in Loop: Header=BB276_481 Depth=1
	s_wait_alu 0xfffe
	s_or_b32 exec_lo, exec_lo, s14
	v_lshlrev_b32_e32 v1, 8, v55
	v_lshl_add_u32 v55, v56, 10, 0x2000
	v_lshlrev_b32_e32 v54, 23, v54
	s_delay_alu instid0(VALU_DEP_2) | instskip(NEXT) | instid1(VALU_DEP_1)
	v_and_or_b32 v1, 0x8000, v1, v55
	v_lshl_or_b32 v54, v1, 16, v54
.LBB276_923:                            ;   in Loop: Header=BB276_481 Depth=1
	s_or_b32 exec_lo, exec_lo, s13
.LBB276_924:                            ;   in Loop: Header=BB276_481 Depth=1
	s_wait_alu 0xfffe
	s_or_b32 exec_lo, exec_lo, s7
.LBB276_925:                            ;   in Loop: Header=BB276_481 Depth=1
	s_wait_alu 0xfffe
	s_or_b32 exec_lo, exec_lo, s6
	v_lshrrev_b32_e32 v1, 16, v8
	s_mov_b32 s6, exec_lo
	s_delay_alu instid0(VALU_DEP_1) | instskip(NEXT) | instid1(VALU_DEP_1)
	v_and_b32_e32 v55, 0xff, v1
	v_cmpx_ne_u16_e32 0, v55
	s_cbranch_execz .LBB276_933
; %bb.926:                              ;   in Loop: Header=BB276_481 Depth=1
	v_mov_b32_e32 v52, 0x8000
	s_mov_b32 s7, exec_lo
	v_cmpx_ne_u16_e32 0x80, v55
	s_cbranch_execz .LBB276_932
; %bb.927:                              ;   in Loop: Header=BB276_481 Depth=1
	v_bfe_u32 v56, v8, 16, 7
	v_mov_b32_e32 v52, 0x7c01
	s_mov_b32 s13, exec_lo
	s_delay_alu instid0(VALU_DEP_2)
	v_cmpx_ne_u32_e32 0x7f, v56
	s_cbranch_execz .LBB276_931
; %bb.928:                              ;   in Loop: Header=BB276_481 Depth=1
	v_and_b32_e32 v52, 7, v1
	v_lshrrev_b32_e32 v55, 3, v56
	s_mov_b32 s14, exec_lo
	v_cmpx_gt_u32_e32 8, v56
; %bb.929:                              ;   in Loop: Header=BB276_481 Depth=1
	s_delay_alu instid0(VALU_DEP_3) | instskip(NEXT) | instid1(VALU_DEP_1)
	v_clz_i32_u32_e32 v52, v52
	v_min_u32_e32 v52, 32, v52
	s_delay_alu instid0(VALU_DEP_1) | instskip(NEXT) | instid1(VALU_DEP_1)
	v_subrev_nc_u32_e32 v55, 28, v52
	v_lshlrev_b64_e32 v[56:57], v55, v[1:2]
	v_sub_nc_u32_e32 v55, 29, v52
	s_delay_alu instid0(VALU_DEP_2)
	v_and_b32_e32 v52, 7, v56
; %bb.930:                              ;   in Loop: Header=BB276_481 Depth=1
	s_wait_alu 0xfffe
	s_or_b32 exec_lo, exec_lo, s14
	v_lshlrev_b32_e32 v1, 8, v1
	v_lshl_add_u32 v55, v55, 10, 0x2000
	v_lshlrev_b32_e32 v52, 7, v52
	s_delay_alu instid0(VALU_DEP_3) | instskip(NEXT) | instid1(VALU_DEP_3)
	v_and_b32_e32 v1, 0x8000, v1
	v_and_b32_e32 v55, 0xfc00, v55
	s_delay_alu instid0(VALU_DEP_1)
	v_or3_b32 v52, v1, v55, v52
.LBB276_931:                            ;   in Loop: Header=BB276_481 Depth=1
	s_or_b32 exec_lo, exec_lo, s13
.LBB276_932:                            ;   in Loop: Header=BB276_481 Depth=1
	s_wait_alu 0xfffe
	s_or_b32 exec_lo, exec_lo, s7
.LBB276_933:                            ;   in Loop: Header=BB276_481 Depth=1
	s_wait_alu 0xfffe
	s_or_b32 exec_lo, exec_lo, s6
	v_cmp_lt_u64_e64 s0, s[2:3], v[7:8]
	v_mov_b32_e32 v7, 0
	s_and_saveexec_b32 s6, s0
	s_cbranch_execz .LBB276_941
; %bb.934:                              ;   in Loop: Header=BB276_481 Depth=1
	v_lshrrev_b32_e32 v1, 24, v8
	v_bfrev_b32_e32 v7, 1
	s_mov_b32 s7, exec_lo
	s_delay_alu instid0(VALU_DEP_2)
	v_cmpx_ne_u32_e32 0x80, v1
	s_cbranch_execz .LBB276_940
; %bb.935:                              ;   in Loop: Header=BB276_481 Depth=1
	v_and_b32_e32 v55, 0x7f, v1
	v_mov_b32_e32 v7, 0x7c010000
	s_mov_b32 s13, exec_lo
	s_delay_alu instid0(VALU_DEP_2)
	v_cmpx_ne_u32_e32 0x7f, v55
	s_cbranch_execz .LBB276_939
; %bb.936:                              ;   in Loop: Header=BB276_481 Depth=1
	v_and_b32_e32 v7, 7, v1
	v_lshrrev_b32_e32 v8, 3, v55
	s_mov_b32 s14, exec_lo
	v_cmpx_gt_u32_e32 8, v55
; %bb.937:                              ;   in Loop: Header=BB276_481 Depth=1
	s_delay_alu instid0(VALU_DEP_3) | instskip(NEXT) | instid1(VALU_DEP_1)
	v_clz_i32_u32_e32 v7, v7
	v_min_u32_e32 v55, 32, v7
	s_delay_alu instid0(VALU_DEP_1) | instskip(NEXT) | instid1(VALU_DEP_1)
	v_subrev_nc_u32_e32 v7, 28, v55
	v_lshlrev_b64_e32 v[7:8], v7, v[1:2]
	v_sub_nc_u32_e32 v8, 29, v55
	s_delay_alu instid0(VALU_DEP_2)
	v_and_b32_e32 v7, 7, v7
; %bb.938:                              ;   in Loop: Header=BB276_481 Depth=1
	s_wait_alu 0xfffe
	s_or_b32 exec_lo, exec_lo, s14
	v_lshlrev_b32_e32 v1, 8, v1
	v_lshl_add_u32 v8, v8, 10, 0x2000
	v_lshlrev_b32_e32 v7, 23, v7
	s_delay_alu instid0(VALU_DEP_2) | instskip(NEXT) | instid1(VALU_DEP_1)
	v_and_or_b32 v1, 0x8000, v1, v8
	v_lshl_or_b32 v7, v1, 16, v7
.LBB276_939:                            ;   in Loop: Header=BB276_481 Depth=1
	s_or_b32 exec_lo, exec_lo, s13
.LBB276_940:                            ;   in Loop: Header=BB276_481 Depth=1
	s_wait_alu 0xfffe
	s_or_b32 exec_lo, exec_lo, s7
.LBB276_941:                            ;   in Loop: Header=BB276_481 Depth=1
	s_wait_alu 0xfffe
	s_or_b32 exec_lo, exec_lo, s6
	v_or_b32_e32 v1, v50, v51
	s_wait_loadcnt 0x0
	v_fma_mixlo_f16 v8, v47, v50, 0 op_sel:[0,1,0] op_sel_hi:[0,1,0]
	v_or_b32_e32 v49, v48, v49
	v_fma_mixlo_f16 v50, v47, v48, 0 op_sel:[0,1,0] op_sel_hi:[0,1,0]
	v_or_b32_e32 v51, v54, v53
	v_fma_mixlo_f16 v1, v47, v1, 0 op_sel_hi:[0,1,0]
	v_or_b32_e32 v52, v7, v52
	v_lshlrev_b32_e32 v48, 16, v8
	v_lshlrev_b32_e32 v53, 16, v50
	v_fma_mixlo_f16 v8, v47, v49, 0 op_sel_hi:[0,1,0]
	v_and_b32_e32 v50, 0xffff, v1
	v_fma_mixlo_f16 v1, v47, v54, 0 op_sel:[0,1,0] op_sel_hi:[0,1,0]
	v_fma_mixlo_f16 v49, v47, v51, 0 op_sel_hi:[0,1,0]
	v_fma_mixlo_f16 v7, v47, v7, 0 op_sel:[0,1,0] op_sel_hi:[0,1,0]
	v_fma_mixlo_f16 v47, v47, v52, 0 op_sel_hi:[0,1,0]
	v_and_b32_e32 v55, 0xffff, v8
	v_lshlrev_b32_e32 v51, 16, v1
	v_and_b32_e32 v54, 0xffff, v49
	v_lshlrev_b32_e32 v49, 16, v7
	v_and_b32_e32 v52, 0xffff, v47
	v_or_b32_e32 v1, v48, v50
	v_or_b32_e32 v47, v53, v55
	;; [unrolled: 1-line block ×3, first 2 shown]
	s_delay_alu instid0(VALU_DEP_4)
	v_or_b32_e32 v7, v49, v52
	s_and_saveexec_b32 s0, vcc_lo
	s_cbranch_execz .LBB276_480
; %bb.942:                              ;   in Loop: Header=BB276_481 Depth=1
	v_cmp_gt_i32_e32 vcc_lo, s27, v15
	s_wait_alu 0xfffd
	v_cndmask_b32_e32 v1, 0, v55, vcc_lo
	v_cmp_gt_i32_e32 vcc_lo, s27, v32
	s_wait_alu 0xfffd
	v_cndmask_b32_e32 v7, 0, v53, vcc_lo
	;; [unrolled: 3-line block ×6, first 2 shown]
	v_cmp_gt_i32_e32 vcc_lo, s27, v27
	v_or_b32_e32 v47, v7, v1
	s_wait_alu 0xfffd
	v_cndmask_b32_e32 v27, 0, v52, vcc_lo
	v_cmp_gt_i32_e32 vcc_lo, s27, v25
	s_wait_alu 0xfffd
	v_cndmask_b32_e32 v30, 0, v49, vcc_lo
	v_or_b32_e32 v1, v15, v8
	v_or_b32_e32 v8, v28, v29
	s_delay_alu instid0(VALU_DEP_3)
	v_or_b32_e32 v7, v30, v27
	s_branch .LBB276_480
.LBB276_943:
	s_or_b32 exec_lo, exec_lo, s5
.LBB276_944:
	s_wait_alu 0xfffe
	s_or_b32 exec_lo, exec_lo, s1
	ds_bpermute_b32 v1, v17, v23
	ds_bpermute_b32 v2, v17, v24
	ds_bpermute_b32 v3, v17, v22
	ds_bpermute_b32 v4, v17, v21
	ds_bpermute_b32 v14, v17, v20
	ds_bpermute_b32 v15, v17, v19
	ds_bpermute_b32 v17, v17, v16
	v_lshrrev_b32_e32 v8, 1, v18
	v_mul_u32_u24_e32 v10, 0x1c0, v13
	v_and_b32_e32 v13, 0x3c1, v0
	s_mov_b32 s0, exec_lo
	s_wait_storecnt 0x0
	s_wait_loadcnt_dscnt 0x0
	v_lshl_add_u32 v9, v8, 2, 0x100
	s_barrier_signal -1
	s_barrier_wait -1
	global_inv scope:SCOPE_SE
	v_dual_add_f32 v7, v23, v1 :: v_dual_add_f32 v6, v24, v2
	v_dual_add_f32 v5, v22, v3 :: v_dual_add_f32 v4, v21, v4
	v_dual_add_f32 v3, v20, v14 :: v_dual_add_f32 v2, v19, v15
	v_add_f32_e32 v1, v16, v17
	v_cmpx_eq_u32_e32 64, v13
	s_cbranch_execz .LBB276_946
; %bb.945:
	v_add_nc_u32_e32 v13, v9, v10
	s_delay_alu instid0(VALU_DEP_1)
	v_add_nc_u32_e32 v14, 0xfffffc80, v13
	v_add_nc_u32_e32 v15, 0xfffffcc0, v13
	v_add_nc_u32_e32 v16, 0xfffffd00, v13
	v_add_nc_u32_e32 v17, 0xfffffd40, v13
	v_add_nc_u32_e32 v18, 0xfffffd80, v13
	v_add_nc_u32_e32 v19, 0xfffffdc0, v13
	v_add_nc_u32_e32 v13, 0xfffffe00, v13
	ds_store_b32 v14, v7
	ds_store_b32 v15, v6
	;; [unrolled: 1-line block ×7, first 2 shown]
.LBB276_946:
	s_wait_alu 0xfffe
	s_or_b32 exec_lo, exec_lo, s0
	v_lshlrev_b32_e32 v8, 2, v8
	s_mov_b32 s1, exec_lo
	v_cmp_eq_u32_e32 vcc_lo, 0, v12
	s_wait_loadcnt_dscnt 0x0
	s_barrier_signal -1
	v_add3_u32 v8, 0x100, v10, v8
	s_barrier_wait -1
	global_inv scope:SCOPE_SE
	v_cmpx_gt_u32_e32 64, v0
	s_cbranch_execz .LBB276_956
; %bb.947:
	s_and_saveexec_b32 s0, vcc_lo
	s_cbranch_execnz .LBB276_971
; %bb.948:
	s_wait_alu 0xfffe
	s_or_b32 exec_lo, exec_lo, s0
	s_and_saveexec_b32 s0, vcc_lo
	s_cbranch_execnz .LBB276_972
.LBB276_949:
	s_wait_alu 0xfffe
	s_or_b32 exec_lo, exec_lo, s0
	s_and_saveexec_b32 s0, vcc_lo
	s_cbranch_execnz .LBB276_973
.LBB276_950:
	s_wait_alu 0xfffe
	s_or_b32 exec_lo, exec_lo, s0
	s_and_saveexec_b32 s0, vcc_lo
	s_cbranch_execnz .LBB276_974
.LBB276_951:
	s_wait_alu 0xfffe
	s_or_b32 exec_lo, exec_lo, s0
	s_and_saveexec_b32 s0, vcc_lo
	s_cbranch_execnz .LBB276_975
.LBB276_952:
	s_wait_alu 0xfffe
	s_or_b32 exec_lo, exec_lo, s0
	s_and_saveexec_b32 s0, vcc_lo
	s_cbranch_execnz .LBB276_976
.LBB276_953:
	s_wait_alu 0xfffe
	s_or_b32 exec_lo, exec_lo, s0
	s_and_saveexec_b32 s0, vcc_lo
	s_cbranch_execz .LBB276_955
.LBB276_954:
	ds_load_b32 v10, v8 offset:384
	s_wait_dscnt 0x0
	v_add_f32_e32 v1, v1, v10
.LBB276_955:
	s_wait_alu 0xfffe
	s_or_b32 exec_lo, exec_lo, s0
.LBB276_956:
	s_wait_alu 0xfffe
	s_or_b32 exec_lo, exec_lo, s1
	v_and_b32_e32 v10, 0x3e1, v0
	s_mov_b32 s1, exec_lo
	s_wait_loadcnt 0x0
	s_barrier_signal -1
	s_barrier_wait -1
	global_inv scope:SCOPE_SE
	v_cmpx_eq_u32_e32 32, v10
	s_cbranch_execz .LBB276_958
; %bb.957:
	ds_store_2addr_b32 v9, v7, v6 offset1:16
	ds_store_2addr_b32 v9, v5, v4 offset0:32 offset1:48
	ds_store_2addr_b32 v9, v3, v2 offset0:64 offset1:80
	ds_store_b32 v9, v1 offset:384
.LBB276_958:
	s_wait_alu 0xfffe
	s_or_b32 exec_lo, exec_lo, s1
	s_delay_alu instid0(SALU_CYCLE_1)
	s_mov_b32 s1, exec_lo
	s_wait_loadcnt_dscnt 0x0
	s_barrier_signal -1
	s_barrier_wait -1
	global_inv scope:SCOPE_SE
	v_cmpx_gt_u32_e32 32, v0
	s_cbranch_execz .LBB276_968
; %bb.959:
	s_and_saveexec_b32 s0, vcc_lo
	s_cbranch_execnz .LBB276_977
; %bb.960:
	s_wait_alu 0xfffe
	s_or_b32 exec_lo, exec_lo, s0
	s_and_saveexec_b32 s0, vcc_lo
	s_cbranch_execnz .LBB276_978
.LBB276_961:
	s_wait_alu 0xfffe
	s_or_b32 exec_lo, exec_lo, s0
	s_and_saveexec_b32 s0, vcc_lo
	s_cbranch_execnz .LBB276_979
.LBB276_962:
	s_wait_alu 0xfffe
	s_or_b32 exec_lo, exec_lo, s0
	s_and_saveexec_b32 s0, vcc_lo
	s_cbranch_execnz .LBB276_980
.LBB276_963:
	s_wait_alu 0xfffe
	s_or_b32 exec_lo, exec_lo, s0
	s_and_saveexec_b32 s0, vcc_lo
	s_cbranch_execnz .LBB276_981
.LBB276_964:
	s_wait_alu 0xfffe
	s_or_b32 exec_lo, exec_lo, s0
	s_and_saveexec_b32 s0, vcc_lo
	s_cbranch_execnz .LBB276_982
.LBB276_965:
	s_wait_alu 0xfffe
	s_or_b32 exec_lo, exec_lo, s0
	s_and_saveexec_b32 s0, vcc_lo
	s_cbranch_execz .LBB276_967
.LBB276_966:
	ds_load_b32 v0, v8 offset:384
	s_wait_dscnt 0x0
	v_add_f32_e32 v1, v1, v0
.LBB276_967:
	s_wait_alu 0xfffe
	s_or_b32 exec_lo, exec_lo, s0
.LBB276_968:
	s_wait_alu 0xfffe
	s_or_b32 exec_lo, exec_lo, s1
	s_mov_b32 s1, 0
	s_wait_loadcnt 0x0
	s_barrier_signal -1
	s_barrier_wait -1
	global_inv scope:SCOPE_SE
	s_mov_b32 s0, exec_lo
	v_cmpx_eq_u32_e32 0, v10
	s_cbranch_execz .LBB276_970
; %bb.969:
	s_mul_i32 s2, s22, 0x70
	s_mul_i32 s4, s12, s16
	s_wait_alu 0xfffe
	s_ashr_i32 s3, s2, 31
	s_ashr_i32 s5, s4, 31
	s_wait_alu 0xfffe
	s_lshl_b64 s[2:3], s[2:3], 1
	s_lshl_b64 s[4:5], s[4:5], 1
	s_wait_kmcnt 0x0
	s_wait_alu 0xfffe
	s_add_nc_u64 s[2:3], s[8:9], s[2:3]
	v_lshlrev_b32_e32 v0, 1, v11
	s_mul_i32 s0, s26, 0xe0
	s_wait_alu 0xfffe
	s_add_nc_u64 s[2:3], s[2:3], s[4:5]
	;;#ASMSTART
	v_cvt_f16_f32 v7, v7;

	;;#ASMEND
	s_wait_alu 0xfffe
	s_add_nc_u64 s[0:1], s[2:3], s[0:1]
	global_store_b16 v0, v7, s[0:1]
	;;#ASMSTART
	v_cvt_f16_f32 v6, v6;

	;;#ASMEND
	global_store_b16 v0, v6, s[0:1] offset:32
	;;#ASMSTART
	v_cvt_f16_f32 v5, v5;

	;;#ASMEND
	global_store_b16 v0, v5, s[0:1] offset:64
	;; [unrolled: 5-line block ×6, first 2 shown]
.LBB276_970:
	s_nop 0
	s_sendmsg sendmsg(MSG_DEALLOC_VGPRS)
	s_endpgm
.LBB276_971:
	ds_load_b32 v10, v8
	s_wait_dscnt 0x0
	v_add_f32_e32 v7, v7, v10
	s_wait_alu 0xfffe
	s_or_b32 exec_lo, exec_lo, s0
	s_and_saveexec_b32 s0, vcc_lo
	s_cbranch_execz .LBB276_949
.LBB276_972:
	ds_load_b32 v10, v8 offset:64
	s_wait_dscnt 0x0
	v_add_f32_e32 v6, v6, v10
	s_wait_alu 0xfffe
	s_or_b32 exec_lo, exec_lo, s0
	s_and_saveexec_b32 s0, vcc_lo
	s_cbranch_execz .LBB276_950
.LBB276_973:
	ds_load_b32 v10, v8 offset:128
	s_wait_dscnt 0x0
	v_add_f32_e32 v5, v5, v10
	s_wait_alu 0xfffe
	s_or_b32 exec_lo, exec_lo, s0
	s_and_saveexec_b32 s0, vcc_lo
	s_cbranch_execz .LBB276_951
.LBB276_974:
	ds_load_b32 v10, v8 offset:192
	s_wait_dscnt 0x0
	v_add_f32_e32 v4, v4, v10
	s_wait_alu 0xfffe
	s_or_b32 exec_lo, exec_lo, s0
	s_and_saveexec_b32 s0, vcc_lo
	s_cbranch_execz .LBB276_952
.LBB276_975:
	ds_load_b32 v10, v8 offset:256
	s_wait_dscnt 0x0
	v_add_f32_e32 v3, v3, v10
	s_wait_alu 0xfffe
	s_or_b32 exec_lo, exec_lo, s0
	s_and_saveexec_b32 s0, vcc_lo
	s_cbranch_execz .LBB276_953
.LBB276_976:
	ds_load_b32 v10, v8 offset:320
	s_wait_dscnt 0x0
	v_add_f32_e32 v2, v2, v10
	s_wait_alu 0xfffe
	s_or_b32 exec_lo, exec_lo, s0
	s_and_saveexec_b32 s0, vcc_lo
	s_cbranch_execnz .LBB276_954
	s_branch .LBB276_955
.LBB276_977:
	ds_load_b32 v0, v8
	s_wait_dscnt 0x0
	v_add_f32_e32 v7, v7, v0
	s_wait_alu 0xfffe
	s_or_b32 exec_lo, exec_lo, s0
	s_and_saveexec_b32 s0, vcc_lo
	s_cbranch_execz .LBB276_961
.LBB276_978:
	ds_load_b32 v0, v8 offset:64
	s_wait_dscnt 0x0
	v_add_f32_e32 v6, v6, v0
	s_wait_alu 0xfffe
	s_or_b32 exec_lo, exec_lo, s0
	s_and_saveexec_b32 s0, vcc_lo
	s_cbranch_execz .LBB276_962
.LBB276_979:
	ds_load_b32 v0, v8 offset:128
	s_wait_dscnt 0x0
	v_add_f32_e32 v5, v5, v0
	s_wait_alu 0xfffe
	s_or_b32 exec_lo, exec_lo, s0
	s_and_saveexec_b32 s0, vcc_lo
	s_cbranch_execz .LBB276_963
.LBB276_980:
	ds_load_b32 v0, v8 offset:192
	s_wait_dscnt 0x0
	v_add_f32_e32 v4, v4, v0
	s_wait_alu 0xfffe
	s_or_b32 exec_lo, exec_lo, s0
	s_and_saveexec_b32 s0, vcc_lo
	s_cbranch_execz .LBB276_964
.LBB276_981:
	ds_load_b32 v0, v8 offset:256
	s_wait_dscnt 0x0
	v_add_f32_e32 v3, v3, v0
	s_wait_alu 0xfffe
	s_or_b32 exec_lo, exec_lo, s0
	s_and_saveexec_b32 s0, vcc_lo
	s_cbranch_execz .LBB276_965
.LBB276_982:
	ds_load_b32 v0, v8 offset:320
	s_wait_dscnt 0x0
	v_add_f32_e32 v2, v2, v0
	s_wait_alu 0xfffe
	s_or_b32 exec_lo, exec_lo, s0
	s_and_saveexec_b32 s0, vcc_lo
	s_cbranch_execnz .LBB276_966
	s_branch .LBB276_967
	.section	.rodata,"a",@progbits
	.p2align	6, 0x0
	.amdhsa_kernel _ZN4vllm25paged_attention_v2_kernelIthLi112ELi16ELi128ELNS_18Fp8KVCacheDataTypeE1ELb0ELi512EEEvPfS2_PT_PKS3_PKT0_S9_ifPKiSB_iPKfiiiSD_SD_iiiii
		.amdhsa_group_segment_fixed_size 256
		.amdhsa_private_segment_fixed_size 0
		.amdhsa_kernarg_size 400
		.amdhsa_user_sgpr_count 2
		.amdhsa_user_sgpr_dispatch_ptr 0
		.amdhsa_user_sgpr_queue_ptr 0
		.amdhsa_user_sgpr_kernarg_segment_ptr 1
		.amdhsa_user_sgpr_dispatch_id 0
		.amdhsa_user_sgpr_private_segment_size 0
		.amdhsa_wavefront_size32 1
		.amdhsa_uses_dynamic_stack 0
		.amdhsa_enable_private_segment 0
		.amdhsa_system_sgpr_workgroup_id_x 1
		.amdhsa_system_sgpr_workgroup_id_y 1
		.amdhsa_system_sgpr_workgroup_id_z 1
		.amdhsa_system_sgpr_workgroup_info 0
		.amdhsa_system_vgpr_workitem_id 0
		.amdhsa_next_free_vgpr 122
		.amdhsa_next_free_sgpr 36
		.amdhsa_reserve_vcc 1
		.amdhsa_float_round_mode_32 0
		.amdhsa_float_round_mode_16_64 0
		.amdhsa_float_denorm_mode_32 3
		.amdhsa_float_denorm_mode_16_64 3
		.amdhsa_fp16_overflow 0
		.amdhsa_workgroup_processor_mode 1
		.amdhsa_memory_ordered 1
		.amdhsa_forward_progress 1
		.amdhsa_inst_pref_size 255
		.amdhsa_round_robin_scheduling 0
		.amdhsa_exception_fp_ieee_invalid_op 0
		.amdhsa_exception_fp_denorm_src 0
		.amdhsa_exception_fp_ieee_div_zero 0
		.amdhsa_exception_fp_ieee_overflow 0
		.amdhsa_exception_fp_ieee_underflow 0
		.amdhsa_exception_fp_ieee_inexact 0
		.amdhsa_exception_int_div_zero 0
	.end_amdhsa_kernel
	.section	.text._ZN4vllm25paged_attention_v2_kernelIthLi112ELi16ELi128ELNS_18Fp8KVCacheDataTypeE1ELb0ELi512EEEvPfS2_PT_PKS3_PKT0_S9_ifPKiSB_iPKfiiiSD_SD_iiiii,"axG",@progbits,_ZN4vllm25paged_attention_v2_kernelIthLi112ELi16ELi128ELNS_18Fp8KVCacheDataTypeE1ELb0ELi512EEEvPfS2_PT_PKS3_PKT0_S9_ifPKiSB_iPKfiiiSD_SD_iiiii,comdat
.Lfunc_end276:
	.size	_ZN4vllm25paged_attention_v2_kernelIthLi112ELi16ELi128ELNS_18Fp8KVCacheDataTypeE1ELb0ELi512EEEvPfS2_PT_PKS3_PKT0_S9_ifPKiSB_iPKfiiiSD_SD_iiiii, .Lfunc_end276-_ZN4vllm25paged_attention_v2_kernelIthLi112ELi16ELi128ELNS_18Fp8KVCacheDataTypeE1ELb0ELi512EEEvPfS2_PT_PKS3_PKT0_S9_ifPKiSB_iPKfiiiSD_SD_iiiii
                                        ; -- End function
	.set _ZN4vllm25paged_attention_v2_kernelIthLi112ELi16ELi128ELNS_18Fp8KVCacheDataTypeE1ELb0ELi512EEEvPfS2_PT_PKS3_PKT0_S9_ifPKiSB_iPKfiiiSD_SD_iiiii.num_vgpr, 122
	.set _ZN4vllm25paged_attention_v2_kernelIthLi112ELi16ELi128ELNS_18Fp8KVCacheDataTypeE1ELb0ELi512EEEvPfS2_PT_PKS3_PKT0_S9_ifPKiSB_iPKfiiiSD_SD_iiiii.num_agpr, 0
	.set _ZN4vllm25paged_attention_v2_kernelIthLi112ELi16ELi128ELNS_18Fp8KVCacheDataTypeE1ELb0ELi512EEEvPfS2_PT_PKS3_PKT0_S9_ifPKiSB_iPKfiiiSD_SD_iiiii.numbered_sgpr, 36
	.set _ZN4vllm25paged_attention_v2_kernelIthLi112ELi16ELi128ELNS_18Fp8KVCacheDataTypeE1ELb0ELi512EEEvPfS2_PT_PKS3_PKT0_S9_ifPKiSB_iPKfiiiSD_SD_iiiii.num_named_barrier, 0
	.set _ZN4vllm25paged_attention_v2_kernelIthLi112ELi16ELi128ELNS_18Fp8KVCacheDataTypeE1ELb0ELi512EEEvPfS2_PT_PKS3_PKT0_S9_ifPKiSB_iPKfiiiSD_SD_iiiii.private_seg_size, 0
	.set _ZN4vllm25paged_attention_v2_kernelIthLi112ELi16ELi128ELNS_18Fp8KVCacheDataTypeE1ELb0ELi512EEEvPfS2_PT_PKS3_PKT0_S9_ifPKiSB_iPKfiiiSD_SD_iiiii.uses_vcc, 1
	.set _ZN4vllm25paged_attention_v2_kernelIthLi112ELi16ELi128ELNS_18Fp8KVCacheDataTypeE1ELb0ELi512EEEvPfS2_PT_PKS3_PKT0_S9_ifPKiSB_iPKfiiiSD_SD_iiiii.uses_flat_scratch, 0
	.set _ZN4vllm25paged_attention_v2_kernelIthLi112ELi16ELi128ELNS_18Fp8KVCacheDataTypeE1ELb0ELi512EEEvPfS2_PT_PKS3_PKT0_S9_ifPKiSB_iPKfiiiSD_SD_iiiii.has_dyn_sized_stack, 0
	.set _ZN4vllm25paged_attention_v2_kernelIthLi112ELi16ELi128ELNS_18Fp8KVCacheDataTypeE1ELb0ELi512EEEvPfS2_PT_PKS3_PKT0_S9_ifPKiSB_iPKfiiiSD_SD_iiiii.has_recursion, 0
	.set _ZN4vllm25paged_attention_v2_kernelIthLi112ELi16ELi128ELNS_18Fp8KVCacheDataTypeE1ELb0ELi512EEEvPfS2_PT_PKS3_PKT0_S9_ifPKiSB_iPKfiiiSD_SD_iiiii.has_indirect_call, 0
	.section	.AMDGPU.csdata,"",@progbits
; Kernel info:
; codeLenInByte = 33632
; TotalNumSgprs: 38
; NumVgprs: 122
; ScratchSize: 0
; MemoryBound: 0
; FloatMode: 240
; IeeeMode: 1
; LDSByteSize: 256 bytes/workgroup (compile time only)
; SGPRBlocks: 0
; VGPRBlocks: 15
; NumSGPRsForWavesPerEU: 38
; NumVGPRsForWavesPerEU: 122
; Occupancy: 10
; WaveLimiterHint : 1
; COMPUTE_PGM_RSRC2:SCRATCH_EN: 0
; COMPUTE_PGM_RSRC2:USER_SGPR: 2
; COMPUTE_PGM_RSRC2:TRAP_HANDLER: 0
; COMPUTE_PGM_RSRC2:TGID_X_EN: 1
; COMPUTE_PGM_RSRC2:TGID_Y_EN: 1
; COMPUTE_PGM_RSRC2:TGID_Z_EN: 1
; COMPUTE_PGM_RSRC2:TIDIG_COMP_CNT: 0
	.section	.text._ZN4vllm25paged_attention_v2_kernelIthLi120ELi16ELi128ELNS_18Fp8KVCacheDataTypeE1ELb0ELi512EEEvPfS2_PT_PKS3_PKT0_S9_ifPKiSB_iPKfiiiSD_SD_iiiii,"axG",@progbits,_ZN4vllm25paged_attention_v2_kernelIthLi120ELi16ELi128ELNS_18Fp8KVCacheDataTypeE1ELb0ELi512EEEvPfS2_PT_PKS3_PKT0_S9_ifPKiSB_iPKfiiiSD_SD_iiiii,comdat
	.protected	_ZN4vllm25paged_attention_v2_kernelIthLi120ELi16ELi128ELNS_18Fp8KVCacheDataTypeE1ELb0ELi512EEEvPfS2_PT_PKS3_PKT0_S9_ifPKiSB_iPKfiiiSD_SD_iiiii ; -- Begin function _ZN4vllm25paged_attention_v2_kernelIthLi120ELi16ELi128ELNS_18Fp8KVCacheDataTypeE1ELb0ELi512EEEvPfS2_PT_PKS3_PKT0_S9_ifPKiSB_iPKfiiiSD_SD_iiiii
	.globl	_ZN4vllm25paged_attention_v2_kernelIthLi120ELi16ELi128ELNS_18Fp8KVCacheDataTypeE1ELb0ELi512EEEvPfS2_PT_PKS3_PKT0_S9_ifPKiSB_iPKfiiiSD_SD_iiiii
	.p2align	8
	.type	_ZN4vllm25paged_attention_v2_kernelIthLi120ELi16ELi128ELNS_18Fp8KVCacheDataTypeE1ELb0ELi512EEEvPfS2_PT_PKS3_PKT0_S9_ifPKiSB_iPKfiiiSD_SD_iiiii,@function
_ZN4vllm25paged_attention_v2_kernelIthLi120ELi16ELi128ELNS_18Fp8KVCacheDataTypeE1ELb0ELi512EEEvPfS2_PT_PKS3_PKT0_S9_ifPKiSB_iPKfiiiSD_SD_iiiii: ; @_ZN4vllm25paged_attention_v2_kernelIthLi120ELi16ELi128ELNS_18Fp8KVCacheDataTypeE1ELb0ELi512EEEvPfS2_PT_PKS3_PKT0_S9_ifPKiSB_iPKfiiiSD_SD_iiiii
; %bb.0:
	s_load_b64 s[2:3], s[0:1], 0x40
	s_and_b32 s15, ttmp7, 0xffff
	s_lshr_b32 s26, ttmp7, 16
	s_lshl_b32 s4, s15, 2
	s_lshl_b32 s28, s26, 9
	s_wait_kmcnt 0x0
	s_load_b32 s27, s[2:3], s4 offset:0x0
	s_wait_kmcnt 0x0
	s_cmp_ge_i32 s28, s27
	s_cbranch_scc1 .LBB277_1097
; %bb.1:
	s_clause 0x1
	s_load_b32 s30, s[0:1], 0x90
	s_load_b64 s[6:7], s[0:1], 0x30
	s_wait_kmcnt 0x0
	s_abs_i32 s5, s30
	s_abs_i32 s2, s6
	s_delay_alu instid0(SALU_CYCLE_1) | instskip(SKIP_1) | instid1(SALU_CYCLE_2)
	s_cvt_f32_u32 s3, s2
	s_sub_co_i32 s4, 0, s2
	v_rcp_iflag_f32_e32 v1, s3
	s_delay_alu instid0(TRANS32_DEP_1) | instskip(SKIP_2) | instid1(SALU_CYCLE_2)
	v_readfirstlane_b32 s3, v1
	s_mul_f32 s3, s3, 0x4f7ffffe
	s_wait_alu 0xfffe
	s_cvt_u32_f32 s3, s3
	s_wait_alu 0xfffe
	s_delay_alu instid0(SALU_CYCLE_2) | instskip(NEXT) | instid1(SALU_CYCLE_1)
	s_mul_i32 s4, s4, s3
	s_mul_hi_u32 s4, s3, s4
	s_delay_alu instid0(SALU_CYCLE_1)
	s_add_co_i32 s3, s3, s4
	s_xor_b32 s4, s30, s6
	s_wait_alu 0xfffe
	s_mul_hi_u32 s3, s5, s3
	s_ashr_i32 s4, s4, 31
	s_wait_alu 0xfffe
	s_mul_i32 s6, s3, s2
	s_delay_alu instid0(SALU_CYCLE_1)
	s_sub_co_i32 s5, s5, s6
	s_add_co_i32 s6, s3, 1
	s_sub_co_i32 s8, s5, s2
	s_cmp_ge_u32 s5, s2
	s_cselect_b32 s3, s6, s3
	s_cselect_b32 s5, s8, s5
	s_wait_alu 0xfffe
	s_add_co_i32 s6, s3, 1
	s_cmp_ge_u32 s5, s2
	s_load_b64 s[8:9], s[0:1], 0x50
	s_cselect_b32 s2, s6, s3
	s_mov_b32 s3, 0
	s_wait_alu 0xfffe
	s_xor_b32 s2, s2, s4
	s_mov_b32 s6, s3
	s_wait_alu 0xfffe
	s_sub_co_i32 s11, s2, s4
	s_delay_alu instid0(SALU_CYCLE_1) | instskip(NEXT) | instid1(SALU_CYCLE_1)
	s_abs_i32 s10, s11
	s_cvt_f32_u32 s2, s10
	s_wait_alu 0xfffe
	s_delay_alu instid0(SALU_CYCLE_2) | instskip(NEXT) | instid1(TRANS32_DEP_1)
	v_rcp_iflag_f32_e32 v1, s2
	v_readfirstlane_b32 s2, v1
	s_mul_f32 s2, s2, 0x4f7ffffe
	s_wait_alu 0xfffe
	s_delay_alu instid0(SALU_CYCLE_2) | instskip(SKIP_2) | instid1(SALU_CYCLE_1)
	s_cvt_u32_f32 s4, s2
	s_sub_co_i32 s2, 0, s10
	s_wait_alu 0xfffe
	s_mul_i32 s2, s2, s4
	s_wait_alu 0xfffe
	s_mul_hi_u32 s5, s4, s2
	s_abs_i32 s2, ttmp9
	s_add_co_i32 s4, s4, s5
	s_mov_b32 s5, s3
	s_wait_kmcnt 0x0
	s_cmp_eq_u64 s[8:9], 0
	s_cbranch_scc1 .LBB277_3
; %bb.2:
	s_mov_b32 s12, ttmp9
	s_ashr_i32 s13, ttmp9, 31
	s_delay_alu instid0(SALU_CYCLE_1) | instskip(NEXT) | instid1(SALU_CYCLE_1)
	s_lshl_b64 s[12:13], s[12:13], 2
	s_add_nc_u64 s[8:9], s[8:9], s[12:13]
	s_load_b32 s6, s[8:9], 0x0
.LBB277_3:
	s_load_b96 s[12:14], s[0:1], 0x58
	v_lshrrev_b32_e32 v11, 1, v0
	v_and_b32_e32 v12, 1, v0
	v_lshlrev_b32_e32 v10, 3, v0
	s_mul_u64 s[4:5], s[2:3], s[4:5]
	s_ashr_i32 s3, ttmp9, 31
	s_ashr_i32 s4, s11, 31
	s_mul_i32 s16, ttmp9, 0x78
	s_mov_b32 s8, exec_lo
	v_cmpx_gt_u32_e32 30, v0
	s_cbranch_execz .LBB277_5
; %bb.4:
	s_load_b64 s[18:19], s[0:1], 0x18
	s_wait_kmcnt 0x0
	s_mul_i32 s20, s12, s15
	s_ashr_i32 s17, s16, 31
	s_ashr_i32 s21, s20, 31
	v_lshlrev_b32_e32 v3, 3, v11
	s_lshl_b64 s[20:21], s[20:21], 1
	s_delay_alu instid0(VALU_DEP_1) | instskip(SKIP_2) | instid1(SALU_CYCLE_1)
	v_mad_u32_u24 v3, 0x78, v12, v3
	s_add_nc_u64 s[18:19], s[18:19], s[20:21]
	s_lshl_b64 s[20:21], s[16:17], 1
	s_add_nc_u64 s[18:19], s[18:19], s[20:21]
	global_load_b64 v[1:2], v10, s[18:19]
	s_wait_loadcnt 0x0
	ds_store_b64 v3, v[1:2]
.LBB277_5:
	s_or_b32 exec_lo, exec_lo, s8
	s_add_co_i32 s8, s27, 15
	s_wait_alu 0xfffe
	s_xor_b32 s3, s3, s4
	s_ashr_i32 s9, s8, 31
	s_lshl_b32 s31, s26, 5
	s_lshr_b32 s4, s9, 28
	s_mul_i32 s9, s5, s10
	s_add_co_i32 s8, s8, s4
	s_add_co_i32 s4, s31, 32
	s_ashr_i32 s29, s8, 4
	s_sub_co_i32 s2, s2, s9
	s_min_i32 s17, s4, s29
	s_load_b32 s4, s[0:1], 0x48
	s_add_co_i32 s8, s5, 1
	s_sub_co_i32 s9, s2, s10
	s_cmp_ge_u32 s2, s10
	v_lshrrev_b32_e32 v13, 5, v0
	s_cselect_b32 s5, s8, s5
	s_cselect_b32 s2, s9, s2
	s_add_co_i32 s8, s5, 1
	s_wait_alu 0xfffe
	s_cmp_ge_u32 s2, s10
	v_or_b32_e32 v14, s31, v13
	s_cselect_b32 s2, s8, s5
	v_mbcnt_lo_u32_b32 v15, -1, 0
	s_wait_alu 0xfffe
	s_xor_b32 s2, s2, s3
	s_wait_dscnt 0x0
	s_wait_alu 0xfffe
	s_sub_co_i32 s3, s2, s3
	v_cmp_le_i32_e64 s2, s17, v14
	s_barrier_signal -1
	s_barrier_wait -1
	global_inv scope:SCOPE_SE
                                        ; implicit-def: $vgpr2
                                        ; implicit-def: $vgpr16
	s_wait_kmcnt 0x0
	s_mul_i32 s18, s4, s15
	s_delay_alu instid0(SALU_CYCLE_1) | instskip(SKIP_1) | instid1(SALU_CYCLE_1)
	s_ashr_i32 s19, s18, 31
	s_and_saveexec_b32 s4, s2
	s_xor_b32 s4, exec_lo, s4
; %bb.6:
	v_mov_b32_e32 v2, 0
	v_mbcnt_lo_u32_b32 v15, -1, 0
	v_mov_b32_e32 v16, 32
; %bb.7:
	s_or_saveexec_b32 s24, s4
	s_clause 0x2
	s_load_b32 s12, s[0:1], 0x98
	s_load_b64 s[20:21], s[0:1], 0x38
	s_load_b128 s[8:11], s[0:1], 0x68
	v_dual_mov_b32 v18, 0xff7fffff :: v_dual_lshlrev_b32 v17, 2, v14
	s_mul_i32 s22, s3, s14
	s_xor_b32 exec_lo, exec_lo, s24
	s_cbranch_execz .LBB277_493
; %bb.8:
	s_load_b64 s[4:5], s[0:1], 0x20
	v_bfe_u32 v1, v0, 1, 4
	v_lshlrev_b32_e32 v4, 4, v13
	s_ashr_i32 s23, s22, 31
	s_cmp_neq_f32 s6, 0
	v_dual_mov_b32 v2, 0 :: v_dual_lshlrev_b32 v3, 2, v12
	v_dual_mov_b32 v18, 0xff7fffff :: v_dual_lshlrev_b32 v5, 4, v1
	v_lshlrev_b32_e32 v6, 2, v1
	v_add3_u32 v20, s28, v4, v1
	s_cselect_b32 s3, -1, 0
	s_lshl_b64 s[34:35], s[18:19], 2
	v_mul_u32_u24_e32 v19, 0x78, v12
	v_lshl_or_b32 v1, v13, 6, v6
	s_wait_kmcnt 0x0
	s_add_nc_u64 s[34:35], s[20:21], s[34:35]
	v_mov_b32_e32 v16, 32
	v_mov_b32_e32 v22, v14
	s_mov_b32 s14, 0
	v_add_nc_u32_e32 v21, 0x110, v1
	s_add_nc_u64 s[4:5], s[4:5], s[22:23]
	s_mov_b32 s23, s13
	v_add_co_u32 v4, s4, s4, v5
	s_wait_alu 0xf1ff
	v_add_co_ci_u32_e64 v5, null, s5, 0, s4
	s_sub_co_i32 s25, 1, s27
	v_add_co_u32 v3, s4, v4, v3
	s_wait_alu 0xf1ff
	v_add_co_ci_u32_e64 v4, null, 0, v5, s4
	v_add_co_u32 v5, s4, s34, v17
	s_wait_alu 0xf1ff
	v_add_co_ci_u32_e64 v6, null, s35, 0, s4
	v_cmp_eq_u32_e32 vcc_lo, 0, v12
	s_branch .LBB277_10
.LBB277_9:                              ;   in Loop: Header=BB277_10 Depth=1
	s_wait_alu 0xfffe
	s_or_b32 exec_lo, exec_lo, s5
	v_add_nc_u32_e32 v22, 4, v22
	v_add_co_u32 v5, s5, v5, 16
	v_add_nc_u32_e32 v20, 64, v20
	v_add_nc_u32_e32 v21, 0x100, v21
	s_delay_alu instid0(VALU_DEP_4) | instskip(SKIP_3) | instid1(SALU_CYCLE_1)
	v_cmp_le_i32_e64 s4, s17, v22
	s_wait_alu 0xf1ff
	v_add_co_ci_u32_e64 v6, null, 0, v6, s5
	s_or_b32 s14, s4, s14
	s_and_not1_b32 exec_lo, exec_lo, s14
	s_cbranch_execz .LBB277_492
.LBB277_10:                             ; =>This Inner Loop Header: Depth=1
	global_load_b32 v1, v[5:6], off
	v_mov_b32_e32 v25, 0
	s_mov_b32 s5, exec_lo
	s_wait_loadcnt_dscnt 0x0
	v_mad_co_i64_i32 v[7:8], null, v1, s23, v[3:4]
	global_load_b32 v9, v[7:8], off
	s_wait_loadcnt 0x0
	v_dual_mov_b32 v24, 0 :: v_dual_and_b32 v1, 0xff, v9
	global_load_b32 v23, v24, s[8:9]
	v_cmpx_ne_u16_e32 0, v1
	s_cbranch_execz .LBB277_18
; %bb.11:                               ;   in Loop: Header=BB277_10 Depth=1
	v_mov_b32_e32 v25, 0x8000
	s_mov_b32 s33, exec_lo
	v_cmpx_ne_u16_e32 0x80, v1
	s_cbranch_execz .LBB277_17
; %bb.12:                               ;   in Loop: Header=BB277_10 Depth=1
	v_and_b32_e32 v26, 0x7f, v9
	v_mov_b32_e32 v25, 0x7c01
	s_mov_b32 s34, exec_lo
	s_delay_alu instid0(VALU_DEP_2)
	v_cmpx_ne_u32_e32 0x7f, v26
	s_cbranch_execz .LBB277_16
; %bb.13:                               ;   in Loop: Header=BB277_10 Depth=1
	v_and_b32_e32 v1, 7, v9
	v_lshrrev_b32_e32 v25, 3, v26
	s_mov_b32 s35, exec_lo
	v_cmpx_gt_u32_e32 8, v26
; %bb.14:                               ;   in Loop: Header=BB277_10 Depth=1
	s_delay_alu instid0(VALU_DEP_3) | instskip(NEXT) | instid1(VALU_DEP_1)
	v_clz_i32_u32_e32 v1, v1
	v_min_u32_e32 v1, 32, v1
	s_delay_alu instid0(VALU_DEP_1) | instskip(NEXT) | instid1(VALU_DEP_1)
	v_subrev_nc_u32_e32 v25, 28, v1
	v_lshlrev_b64_e32 v[26:27], v25, v[9:10]
	v_sub_nc_u32_e32 v25, 29, v1
	s_delay_alu instid0(VALU_DEP_2)
	v_and_b32_e32 v1, 7, v26
; %bb.15:                               ;   in Loop: Header=BB277_10 Depth=1
	s_wait_alu 0xfffe
	s_or_b32 exec_lo, exec_lo, s35
	v_lshlrev_b32_e32 v26, 8, v9
	v_lshl_add_u32 v25, v25, 10, 0x2000
	v_lshlrev_b32_e32 v1, 7, v1
	s_delay_alu instid0(VALU_DEP_3) | instskip(NEXT) | instid1(VALU_DEP_3)
	v_and_b32_e32 v26, 0x8000, v26
	v_and_b32_e32 v25, 0xfc00, v25
	s_delay_alu instid0(VALU_DEP_1)
	v_or3_b32 v25, v26, v25, v1
.LBB277_16:                             ;   in Loop: Header=BB277_10 Depth=1
	s_wait_alu 0xfffe
	s_or_b32 exec_lo, exec_lo, s34
.LBB277_17:                             ;   in Loop: Header=BB277_10 Depth=1
	s_delay_alu instid0(SALU_CYCLE_1)
	s_or_b32 exec_lo, exec_lo, s33
.LBB277_18:                             ;   in Loop: Header=BB277_10 Depth=1
	s_wait_alu 0xfffe
	s_or_b32 exec_lo, exec_lo, s5
	v_lshrrev_b16 v1, 8, v9
	s_mov_b32 s5, exec_lo
	s_delay_alu instid0(VALU_DEP_1)
	v_cmpx_ne_u16_e32 0, v1
	s_cbranch_execz .LBB277_26
; %bb.19:                               ;   in Loop: Header=BB277_10 Depth=1
	v_bfrev_b32_e32 v24, 1
	s_mov_b32 s33, exec_lo
	v_cmpx_ne_u16_e32 0x80, v1
	s_cbranch_execz .LBB277_25
; %bb.20:                               ;   in Loop: Header=BB277_10 Depth=1
	v_and_b32_e32 v26, 0xffff, v1
	v_mov_b32_e32 v24, 0x7c010000
	s_mov_b32 s34, exec_lo
	s_delay_alu instid0(VALU_DEP_2) | instskip(NEXT) | instid1(VALU_DEP_1)
	v_and_b32_e32 v28, 0x7f, v26
	v_cmpx_ne_u32_e32 0x7f, v28
	s_cbranch_execz .LBB277_24
; %bb.21:                               ;   in Loop: Header=BB277_10 Depth=1
	v_and_b32_e32 v24, 7, v26
	v_lshrrev_b32_e32 v27, 3, v28
	s_mov_b32 s35, exec_lo
	v_cmpx_gt_u32_e32 8, v28
; %bb.22:                               ;   in Loop: Header=BB277_10 Depth=1
	s_delay_alu instid0(VALU_DEP_3) | instskip(NEXT) | instid1(VALU_DEP_1)
	v_clz_i32_u32_e32 v24, v24
	v_min_u32_e32 v24, 32, v24
	s_delay_alu instid0(VALU_DEP_1) | instskip(NEXT) | instid1(VALU_DEP_1)
	v_subrev_nc_u32_e32 v27, 28, v24
	v_lshlrev_b64_e32 v[28:29], v27, v[1:2]
	v_sub_nc_u32_e32 v27, 29, v24
	s_delay_alu instid0(VALU_DEP_2)
	v_and_b32_e32 v24, 7, v28
; %bb.23:                               ;   in Loop: Header=BB277_10 Depth=1
	s_wait_alu 0xfffe
	s_or_b32 exec_lo, exec_lo, s35
	v_lshlrev_b32_e32 v1, 8, v26
	v_lshl_add_u32 v26, v27, 10, 0x2000
	v_lshlrev_b32_e32 v24, 23, v24
	s_delay_alu instid0(VALU_DEP_2) | instskip(NEXT) | instid1(VALU_DEP_1)
	v_and_or_b32 v1, 0x8000, v1, v26
	v_lshl_or_b32 v24, v1, 16, v24
.LBB277_24:                             ;   in Loop: Header=BB277_10 Depth=1
	s_wait_alu 0xfffe
	s_or_b32 exec_lo, exec_lo, s34
.LBB277_25:                             ;   in Loop: Header=BB277_10 Depth=1
	s_delay_alu instid0(SALU_CYCLE_1)
	s_or_b32 exec_lo, exec_lo, s33
.LBB277_26:                             ;   in Loop: Header=BB277_10 Depth=1
	s_wait_alu 0xfffe
	s_or_b32 exec_lo, exec_lo, s5
	v_lshrrev_b32_e32 v1, 16, v9
	v_mov_b32_e32 v26, 0
	s_mov_b32 s5, exec_lo
	s_delay_alu instid0(VALU_DEP_2) | instskip(NEXT) | instid1(VALU_DEP_1)
	v_dual_mov_b32 v27, 0 :: v_dual_and_b32 v28, 0xff, v1
	v_cmpx_ne_u16_e32 0, v28
	s_cbranch_execz .LBB277_34
; %bb.27:                               ;   in Loop: Header=BB277_10 Depth=1
	v_mov_b32_e32 v27, 0x8000
	s_mov_b32 s33, exec_lo
	v_cmpx_ne_u16_e32 0x80, v28
	s_cbranch_execz .LBB277_33
; %bb.28:                               ;   in Loop: Header=BB277_10 Depth=1
	v_bfe_u32 v29, v9, 16, 7
	v_mov_b32_e32 v27, 0x7c01
	s_mov_b32 s34, exec_lo
	s_delay_alu instid0(VALU_DEP_2)
	v_cmpx_ne_u32_e32 0x7f, v29
	s_cbranch_execz .LBB277_32
; %bb.29:                               ;   in Loop: Header=BB277_10 Depth=1
	v_and_b32_e32 v27, 7, v1
	v_lshrrev_b32_e32 v28, 3, v29
	s_mov_b32 s35, exec_lo
	v_cmpx_gt_u32_e32 8, v29
; %bb.30:                               ;   in Loop: Header=BB277_10 Depth=1
	s_delay_alu instid0(VALU_DEP_3) | instskip(NEXT) | instid1(VALU_DEP_1)
	v_clz_i32_u32_e32 v27, v27
	v_min_u32_e32 v29, 32, v27
	s_delay_alu instid0(VALU_DEP_1) | instskip(NEXT) | instid1(VALU_DEP_1)
	v_subrev_nc_u32_e32 v27, 28, v29
	v_lshlrev_b64_e32 v[27:28], v27, v[1:2]
	v_sub_nc_u32_e32 v28, 29, v29
	s_delay_alu instid0(VALU_DEP_2)
	v_and_b32_e32 v27, 7, v27
; %bb.31:                               ;   in Loop: Header=BB277_10 Depth=1
	s_wait_alu 0xfffe
	s_or_b32 exec_lo, exec_lo, s35
	v_lshlrev_b32_e32 v1, 8, v1
	v_lshl_add_u32 v28, v28, 10, 0x2000
	v_lshlrev_b32_e32 v27, 7, v27
	s_delay_alu instid0(VALU_DEP_3) | instskip(NEXT) | instid1(VALU_DEP_3)
	v_and_b32_e32 v1, 0x8000, v1
	v_and_b32_e32 v28, 0xfc00, v28
	s_delay_alu instid0(VALU_DEP_1)
	v_or3_b32 v27, v1, v28, v27
.LBB277_32:                             ;   in Loop: Header=BB277_10 Depth=1
	s_wait_alu 0xfffe
	s_or_b32 exec_lo, exec_lo, s34
.LBB277_33:                             ;   in Loop: Header=BB277_10 Depth=1
	s_delay_alu instid0(SALU_CYCLE_1)
	s_or_b32 exec_lo, exec_lo, s33
.LBB277_34:                             ;   in Loop: Header=BB277_10 Depth=1
	s_wait_alu 0xfffe
	s_or_b32 exec_lo, exec_lo, s5
	s_delay_alu instid0(SALU_CYCLE_1)
	s_mov_b32 s5, exec_lo
	v_cmpx_lt_u32_e32 0xffffff, v9
	s_cbranch_execz .LBB277_42
; %bb.35:                               ;   in Loop: Header=BB277_10 Depth=1
	v_lshrrev_b32_e32 v1, 24, v9
	v_bfrev_b32_e32 v26, 1
	s_mov_b32 s33, exec_lo
	s_delay_alu instid0(VALU_DEP_2)
	v_cmpx_ne_u32_e32 0x80, v1
	s_cbranch_execz .LBB277_41
; %bb.36:                               ;   in Loop: Header=BB277_10 Depth=1
	v_and_b32_e32 v28, 0x7f, v1
	v_mov_b32_e32 v26, 0x7c010000
	s_mov_b32 s34, exec_lo
	s_delay_alu instid0(VALU_DEP_2)
	v_cmpx_ne_u32_e32 0x7f, v28
	s_cbranch_execz .LBB277_40
; %bb.37:                               ;   in Loop: Header=BB277_10 Depth=1
	v_and_b32_e32 v9, 7, v1
	v_lshrrev_b32_e32 v26, 3, v28
	s_mov_b32 s35, exec_lo
	v_cmpx_gt_u32_e32 8, v28
; %bb.38:                               ;   in Loop: Header=BB277_10 Depth=1
	s_delay_alu instid0(VALU_DEP_3) | instskip(NEXT) | instid1(VALU_DEP_1)
	v_clz_i32_u32_e32 v9, v9
	v_min_u32_e32 v9, 32, v9
	s_delay_alu instid0(VALU_DEP_1) | instskip(NEXT) | instid1(VALU_DEP_1)
	v_subrev_nc_u32_e32 v26, 28, v9
	v_lshlrev_b64_e32 v[28:29], v26, v[1:2]
	v_sub_nc_u32_e32 v26, 29, v9
	s_delay_alu instid0(VALU_DEP_2)
	v_and_b32_e32 v9, 7, v28
; %bb.39:                               ;   in Loop: Header=BB277_10 Depth=1
	s_wait_alu 0xfffe
	s_or_b32 exec_lo, exec_lo, s35
	v_lshlrev_b32_e32 v1, 8, v1
	v_lshl_add_u32 v26, v26, 10, 0x2000
	v_lshlrev_b32_e32 v9, 23, v9
	s_delay_alu instid0(VALU_DEP_2) | instskip(NEXT) | instid1(VALU_DEP_1)
	v_and_or_b32 v1, 0x8000, v1, v26
	v_lshl_or_b32 v26, v1, 16, v9
.LBB277_40:                             ;   in Loop: Header=BB277_10 Depth=1
	s_wait_alu 0xfffe
	s_or_b32 exec_lo, exec_lo, s34
.LBB277_41:                             ;   in Loop: Header=BB277_10 Depth=1
	s_delay_alu instid0(SALU_CYCLE_1)
	s_or_b32 exec_lo, exec_lo, s33
.LBB277_42:                             ;   in Loop: Header=BB277_10 Depth=1
	s_wait_alu 0xfffe
	s_or_b32 exec_lo, exec_lo, s5
	global_load_b32 v9, v[7:8], off offset:8
	v_mov_b32_e32 v29, 0
	s_mov_b32 s5, exec_lo
	s_wait_loadcnt 0x0
	v_dual_mov_b32 v28, 0 :: v_dual_and_b32 v1, 0xff, v9
	s_delay_alu instid0(VALU_DEP_1)
	v_cmpx_ne_u16_e32 0, v1
	s_cbranch_execz .LBB277_50
; %bb.43:                               ;   in Loop: Header=BB277_10 Depth=1
	v_mov_b32_e32 v29, 0x8000
	s_mov_b32 s33, exec_lo
	v_cmpx_ne_u16_e32 0x80, v1
	s_cbranch_execz .LBB277_49
; %bb.44:                               ;   in Loop: Header=BB277_10 Depth=1
	v_and_b32_e32 v30, 0x7f, v9
	v_mov_b32_e32 v29, 0x7c01
	s_mov_b32 s34, exec_lo
	s_delay_alu instid0(VALU_DEP_2)
	v_cmpx_ne_u32_e32 0x7f, v30
	s_cbranch_execz .LBB277_48
; %bb.45:                               ;   in Loop: Header=BB277_10 Depth=1
	v_and_b32_e32 v1, 7, v9
	v_lshrrev_b32_e32 v29, 3, v30
	s_mov_b32 s35, exec_lo
	v_cmpx_gt_u32_e32 8, v30
; %bb.46:                               ;   in Loop: Header=BB277_10 Depth=1
	s_delay_alu instid0(VALU_DEP_3) | instskip(NEXT) | instid1(VALU_DEP_1)
	v_clz_i32_u32_e32 v1, v1
	v_min_u32_e32 v1, 32, v1
	s_delay_alu instid0(VALU_DEP_1) | instskip(NEXT) | instid1(VALU_DEP_1)
	v_subrev_nc_u32_e32 v29, 28, v1
	v_lshlrev_b64_e32 v[30:31], v29, v[9:10]
	v_sub_nc_u32_e32 v29, 29, v1
	s_delay_alu instid0(VALU_DEP_2)
	v_and_b32_e32 v1, 7, v30
; %bb.47:                               ;   in Loop: Header=BB277_10 Depth=1
	s_wait_alu 0xfffe
	s_or_b32 exec_lo, exec_lo, s35
	v_lshlrev_b32_e32 v30, 8, v9
	v_lshl_add_u32 v29, v29, 10, 0x2000
	v_lshlrev_b32_e32 v1, 7, v1
	s_delay_alu instid0(VALU_DEP_3) | instskip(NEXT) | instid1(VALU_DEP_3)
	v_and_b32_e32 v30, 0x8000, v30
	v_and_b32_e32 v29, 0xfc00, v29
	s_delay_alu instid0(VALU_DEP_1)
	v_or3_b32 v29, v30, v29, v1
.LBB277_48:                             ;   in Loop: Header=BB277_10 Depth=1
	s_wait_alu 0xfffe
	s_or_b32 exec_lo, exec_lo, s34
.LBB277_49:                             ;   in Loop: Header=BB277_10 Depth=1
	s_delay_alu instid0(SALU_CYCLE_1)
	s_or_b32 exec_lo, exec_lo, s33
.LBB277_50:                             ;   in Loop: Header=BB277_10 Depth=1
	s_wait_alu 0xfffe
	s_or_b32 exec_lo, exec_lo, s5
	v_lshrrev_b16 v1, 8, v9
	s_mov_b32 s5, exec_lo
	s_delay_alu instid0(VALU_DEP_1)
	v_cmpx_ne_u16_e32 0, v1
	s_cbranch_execz .LBB277_58
; %bb.51:                               ;   in Loop: Header=BB277_10 Depth=1
	v_bfrev_b32_e32 v28, 1
	s_mov_b32 s33, exec_lo
	v_cmpx_ne_u16_e32 0x80, v1
	s_cbranch_execz .LBB277_57
; %bb.52:                               ;   in Loop: Header=BB277_10 Depth=1
	v_and_b32_e32 v30, 0xffff, v1
	v_mov_b32_e32 v28, 0x7c010000
	s_mov_b32 s34, exec_lo
	s_delay_alu instid0(VALU_DEP_2) | instskip(NEXT) | instid1(VALU_DEP_1)
	v_and_b32_e32 v32, 0x7f, v30
	v_cmpx_ne_u32_e32 0x7f, v32
	s_cbranch_execz .LBB277_56
; %bb.53:                               ;   in Loop: Header=BB277_10 Depth=1
	v_and_b32_e32 v28, 7, v30
	v_lshrrev_b32_e32 v31, 3, v32
	s_mov_b32 s35, exec_lo
	v_cmpx_gt_u32_e32 8, v32
; %bb.54:                               ;   in Loop: Header=BB277_10 Depth=1
	s_delay_alu instid0(VALU_DEP_3) | instskip(NEXT) | instid1(VALU_DEP_1)
	v_clz_i32_u32_e32 v28, v28
	v_min_u32_e32 v28, 32, v28
	s_delay_alu instid0(VALU_DEP_1) | instskip(NEXT) | instid1(VALU_DEP_1)
	v_subrev_nc_u32_e32 v31, 28, v28
	v_lshlrev_b64_e32 v[32:33], v31, v[1:2]
	v_sub_nc_u32_e32 v31, 29, v28
	s_delay_alu instid0(VALU_DEP_2)
	v_and_b32_e32 v28, 7, v32
; %bb.55:                               ;   in Loop: Header=BB277_10 Depth=1
	s_wait_alu 0xfffe
	s_or_b32 exec_lo, exec_lo, s35
	v_lshlrev_b32_e32 v1, 8, v30
	v_lshl_add_u32 v30, v31, 10, 0x2000
	v_lshlrev_b32_e32 v28, 23, v28
	s_delay_alu instid0(VALU_DEP_2) | instskip(NEXT) | instid1(VALU_DEP_1)
	v_and_or_b32 v1, 0x8000, v1, v30
	v_lshl_or_b32 v28, v1, 16, v28
.LBB277_56:                             ;   in Loop: Header=BB277_10 Depth=1
	s_wait_alu 0xfffe
	s_or_b32 exec_lo, exec_lo, s34
.LBB277_57:                             ;   in Loop: Header=BB277_10 Depth=1
	s_delay_alu instid0(SALU_CYCLE_1)
	s_or_b32 exec_lo, exec_lo, s33
.LBB277_58:                             ;   in Loop: Header=BB277_10 Depth=1
	s_wait_alu 0xfffe
	s_or_b32 exec_lo, exec_lo, s5
	v_lshrrev_b32_e32 v1, 16, v9
	v_mov_b32_e32 v30, 0
	s_mov_b32 s5, exec_lo
	s_delay_alu instid0(VALU_DEP_2) | instskip(NEXT) | instid1(VALU_DEP_1)
	v_dual_mov_b32 v31, 0 :: v_dual_and_b32 v32, 0xff, v1
	v_cmpx_ne_u16_e32 0, v32
	s_cbranch_execz .LBB277_66
; %bb.59:                               ;   in Loop: Header=BB277_10 Depth=1
	v_mov_b32_e32 v31, 0x8000
	s_mov_b32 s33, exec_lo
	v_cmpx_ne_u16_e32 0x80, v32
	s_cbranch_execz .LBB277_65
; %bb.60:                               ;   in Loop: Header=BB277_10 Depth=1
	v_bfe_u32 v33, v9, 16, 7
	v_mov_b32_e32 v31, 0x7c01
	s_mov_b32 s34, exec_lo
	s_delay_alu instid0(VALU_DEP_2)
	v_cmpx_ne_u32_e32 0x7f, v33
	s_cbranch_execz .LBB277_64
; %bb.61:                               ;   in Loop: Header=BB277_10 Depth=1
	v_and_b32_e32 v31, 7, v1
	v_lshrrev_b32_e32 v32, 3, v33
	s_mov_b32 s35, exec_lo
	v_cmpx_gt_u32_e32 8, v33
; %bb.62:                               ;   in Loop: Header=BB277_10 Depth=1
	s_delay_alu instid0(VALU_DEP_3) | instskip(NEXT) | instid1(VALU_DEP_1)
	v_clz_i32_u32_e32 v31, v31
	v_min_u32_e32 v33, 32, v31
	s_delay_alu instid0(VALU_DEP_1) | instskip(NEXT) | instid1(VALU_DEP_1)
	v_subrev_nc_u32_e32 v31, 28, v33
	v_lshlrev_b64_e32 v[31:32], v31, v[1:2]
	v_sub_nc_u32_e32 v32, 29, v33
	s_delay_alu instid0(VALU_DEP_2)
	v_and_b32_e32 v31, 7, v31
; %bb.63:                               ;   in Loop: Header=BB277_10 Depth=1
	s_wait_alu 0xfffe
	s_or_b32 exec_lo, exec_lo, s35
	v_lshlrev_b32_e32 v1, 8, v1
	v_lshl_add_u32 v32, v32, 10, 0x2000
	v_lshlrev_b32_e32 v31, 7, v31
	s_delay_alu instid0(VALU_DEP_3) | instskip(NEXT) | instid1(VALU_DEP_3)
	v_and_b32_e32 v1, 0x8000, v1
	v_and_b32_e32 v32, 0xfc00, v32
	s_delay_alu instid0(VALU_DEP_1)
	v_or3_b32 v31, v1, v32, v31
.LBB277_64:                             ;   in Loop: Header=BB277_10 Depth=1
	s_wait_alu 0xfffe
	s_or_b32 exec_lo, exec_lo, s34
.LBB277_65:                             ;   in Loop: Header=BB277_10 Depth=1
	s_delay_alu instid0(SALU_CYCLE_1)
	s_or_b32 exec_lo, exec_lo, s33
.LBB277_66:                             ;   in Loop: Header=BB277_10 Depth=1
	s_wait_alu 0xfffe
	s_or_b32 exec_lo, exec_lo, s5
	s_delay_alu instid0(SALU_CYCLE_1)
	s_mov_b32 s5, exec_lo
	v_cmpx_lt_u32_e32 0xffffff, v9
	s_cbranch_execz .LBB277_74
; %bb.67:                               ;   in Loop: Header=BB277_10 Depth=1
	v_lshrrev_b32_e32 v1, 24, v9
	v_bfrev_b32_e32 v30, 1
	s_mov_b32 s33, exec_lo
	s_delay_alu instid0(VALU_DEP_2)
	v_cmpx_ne_u32_e32 0x80, v1
	s_cbranch_execz .LBB277_73
; %bb.68:                               ;   in Loop: Header=BB277_10 Depth=1
	v_and_b32_e32 v32, 0x7f, v1
	v_mov_b32_e32 v30, 0x7c010000
	s_mov_b32 s34, exec_lo
	s_delay_alu instid0(VALU_DEP_2)
	v_cmpx_ne_u32_e32 0x7f, v32
	s_cbranch_execz .LBB277_72
; %bb.69:                               ;   in Loop: Header=BB277_10 Depth=1
	v_and_b32_e32 v9, 7, v1
	v_lshrrev_b32_e32 v30, 3, v32
	s_mov_b32 s35, exec_lo
	v_cmpx_gt_u32_e32 8, v32
; %bb.70:                               ;   in Loop: Header=BB277_10 Depth=1
	s_delay_alu instid0(VALU_DEP_3) | instskip(NEXT) | instid1(VALU_DEP_1)
	v_clz_i32_u32_e32 v9, v9
	v_min_u32_e32 v9, 32, v9
	s_delay_alu instid0(VALU_DEP_1) | instskip(NEXT) | instid1(VALU_DEP_1)
	v_subrev_nc_u32_e32 v30, 28, v9
	v_lshlrev_b64_e32 v[32:33], v30, v[1:2]
	v_sub_nc_u32_e32 v30, 29, v9
	s_delay_alu instid0(VALU_DEP_2)
	v_and_b32_e32 v9, 7, v32
; %bb.71:                               ;   in Loop: Header=BB277_10 Depth=1
	s_wait_alu 0xfffe
	s_or_b32 exec_lo, exec_lo, s35
	v_lshlrev_b32_e32 v1, 8, v1
	v_lshl_add_u32 v30, v30, 10, 0x2000
	v_lshlrev_b32_e32 v9, 23, v9
	s_delay_alu instid0(VALU_DEP_2) | instskip(NEXT) | instid1(VALU_DEP_1)
	v_and_or_b32 v1, 0x8000, v1, v30
	v_lshl_or_b32 v30, v1, 16, v9
.LBB277_72:                             ;   in Loop: Header=BB277_10 Depth=1
	s_wait_alu 0xfffe
	s_or_b32 exec_lo, exec_lo, s34
.LBB277_73:                             ;   in Loop: Header=BB277_10 Depth=1
	s_delay_alu instid0(SALU_CYCLE_1)
	s_or_b32 exec_lo, exec_lo, s33
.LBB277_74:                             ;   in Loop: Header=BB277_10 Depth=1
	s_wait_alu 0xfffe
	s_or_b32 exec_lo, exec_lo, s5
	global_load_b32 v9, v[7:8], off offset:256
	v_mov_b32_e32 v33, 0
	s_mov_b32 s5, exec_lo
	s_wait_loadcnt 0x0
	v_dual_mov_b32 v32, 0 :: v_dual_and_b32 v1, 0xff, v9
	s_delay_alu instid0(VALU_DEP_1)
	v_cmpx_ne_u16_e32 0, v1
	s_cbranch_execz .LBB277_82
; %bb.75:                               ;   in Loop: Header=BB277_10 Depth=1
	v_mov_b32_e32 v33, 0x8000
	s_mov_b32 s33, exec_lo
	v_cmpx_ne_u16_e32 0x80, v1
	s_cbranch_execz .LBB277_81
; %bb.76:                               ;   in Loop: Header=BB277_10 Depth=1
	v_and_b32_e32 v34, 0x7f, v9
	v_mov_b32_e32 v33, 0x7c01
	s_mov_b32 s34, exec_lo
	s_delay_alu instid0(VALU_DEP_2)
	v_cmpx_ne_u32_e32 0x7f, v34
	s_cbranch_execz .LBB277_80
; %bb.77:                               ;   in Loop: Header=BB277_10 Depth=1
	v_and_b32_e32 v1, 7, v9
	v_lshrrev_b32_e32 v33, 3, v34
	s_mov_b32 s35, exec_lo
	v_cmpx_gt_u32_e32 8, v34
; %bb.78:                               ;   in Loop: Header=BB277_10 Depth=1
	s_delay_alu instid0(VALU_DEP_3) | instskip(NEXT) | instid1(VALU_DEP_1)
	v_clz_i32_u32_e32 v1, v1
	v_min_u32_e32 v1, 32, v1
	s_delay_alu instid0(VALU_DEP_1) | instskip(NEXT) | instid1(VALU_DEP_1)
	v_subrev_nc_u32_e32 v33, 28, v1
	v_lshlrev_b64_e32 v[34:35], v33, v[9:10]
	v_sub_nc_u32_e32 v33, 29, v1
	s_delay_alu instid0(VALU_DEP_2)
	v_and_b32_e32 v1, 7, v34
; %bb.79:                               ;   in Loop: Header=BB277_10 Depth=1
	s_wait_alu 0xfffe
	s_or_b32 exec_lo, exec_lo, s35
	v_lshlrev_b32_e32 v34, 8, v9
	v_lshl_add_u32 v33, v33, 10, 0x2000
	v_lshlrev_b32_e32 v1, 7, v1
	s_delay_alu instid0(VALU_DEP_3) | instskip(NEXT) | instid1(VALU_DEP_3)
	v_and_b32_e32 v34, 0x8000, v34
	v_and_b32_e32 v33, 0xfc00, v33
	s_delay_alu instid0(VALU_DEP_1)
	v_or3_b32 v33, v34, v33, v1
.LBB277_80:                             ;   in Loop: Header=BB277_10 Depth=1
	s_wait_alu 0xfffe
	s_or_b32 exec_lo, exec_lo, s34
.LBB277_81:                             ;   in Loop: Header=BB277_10 Depth=1
	s_delay_alu instid0(SALU_CYCLE_1)
	s_or_b32 exec_lo, exec_lo, s33
.LBB277_82:                             ;   in Loop: Header=BB277_10 Depth=1
	s_wait_alu 0xfffe
	s_or_b32 exec_lo, exec_lo, s5
	v_lshrrev_b16 v1, 8, v9
	s_mov_b32 s5, exec_lo
	s_delay_alu instid0(VALU_DEP_1)
	v_cmpx_ne_u16_e32 0, v1
	s_cbranch_execz .LBB277_90
; %bb.83:                               ;   in Loop: Header=BB277_10 Depth=1
	v_bfrev_b32_e32 v32, 1
	s_mov_b32 s33, exec_lo
	v_cmpx_ne_u16_e32 0x80, v1
	s_cbranch_execz .LBB277_89
; %bb.84:                               ;   in Loop: Header=BB277_10 Depth=1
	v_and_b32_e32 v34, 0xffff, v1
	v_mov_b32_e32 v32, 0x7c010000
	s_mov_b32 s34, exec_lo
	s_delay_alu instid0(VALU_DEP_2) | instskip(NEXT) | instid1(VALU_DEP_1)
	v_and_b32_e32 v36, 0x7f, v34
	v_cmpx_ne_u32_e32 0x7f, v36
	s_cbranch_execz .LBB277_88
; %bb.85:                               ;   in Loop: Header=BB277_10 Depth=1
	v_and_b32_e32 v32, 7, v34
	v_lshrrev_b32_e32 v35, 3, v36
	s_mov_b32 s35, exec_lo
	v_cmpx_gt_u32_e32 8, v36
; %bb.86:                               ;   in Loop: Header=BB277_10 Depth=1
	s_delay_alu instid0(VALU_DEP_3) | instskip(NEXT) | instid1(VALU_DEP_1)
	v_clz_i32_u32_e32 v32, v32
	v_min_u32_e32 v32, 32, v32
	s_delay_alu instid0(VALU_DEP_1) | instskip(NEXT) | instid1(VALU_DEP_1)
	v_subrev_nc_u32_e32 v35, 28, v32
	v_lshlrev_b64_e32 v[36:37], v35, v[1:2]
	v_sub_nc_u32_e32 v35, 29, v32
	s_delay_alu instid0(VALU_DEP_2)
	v_and_b32_e32 v32, 7, v36
; %bb.87:                               ;   in Loop: Header=BB277_10 Depth=1
	s_wait_alu 0xfffe
	s_or_b32 exec_lo, exec_lo, s35
	v_lshlrev_b32_e32 v1, 8, v34
	v_lshl_add_u32 v34, v35, 10, 0x2000
	v_lshlrev_b32_e32 v32, 23, v32
	s_delay_alu instid0(VALU_DEP_2) | instskip(NEXT) | instid1(VALU_DEP_1)
	v_and_or_b32 v1, 0x8000, v1, v34
	v_lshl_or_b32 v32, v1, 16, v32
.LBB277_88:                             ;   in Loop: Header=BB277_10 Depth=1
	s_wait_alu 0xfffe
	s_or_b32 exec_lo, exec_lo, s34
.LBB277_89:                             ;   in Loop: Header=BB277_10 Depth=1
	s_delay_alu instid0(SALU_CYCLE_1)
	s_or_b32 exec_lo, exec_lo, s33
.LBB277_90:                             ;   in Loop: Header=BB277_10 Depth=1
	s_wait_alu 0xfffe
	s_or_b32 exec_lo, exec_lo, s5
	v_lshrrev_b32_e32 v1, 16, v9
	v_mov_b32_e32 v34, 0
	s_mov_b32 s5, exec_lo
	s_delay_alu instid0(VALU_DEP_2) | instskip(NEXT) | instid1(VALU_DEP_1)
	v_dual_mov_b32 v35, 0 :: v_dual_and_b32 v36, 0xff, v1
	v_cmpx_ne_u16_e32 0, v36
	s_cbranch_execz .LBB277_98
; %bb.91:                               ;   in Loop: Header=BB277_10 Depth=1
	v_mov_b32_e32 v35, 0x8000
	s_mov_b32 s33, exec_lo
	v_cmpx_ne_u16_e32 0x80, v36
	s_cbranch_execz .LBB277_97
; %bb.92:                               ;   in Loop: Header=BB277_10 Depth=1
	v_bfe_u32 v37, v9, 16, 7
	v_mov_b32_e32 v35, 0x7c01
	s_mov_b32 s34, exec_lo
	s_delay_alu instid0(VALU_DEP_2)
	v_cmpx_ne_u32_e32 0x7f, v37
	s_cbranch_execz .LBB277_96
; %bb.93:                               ;   in Loop: Header=BB277_10 Depth=1
	v_and_b32_e32 v35, 7, v1
	v_lshrrev_b32_e32 v36, 3, v37
	s_mov_b32 s35, exec_lo
	v_cmpx_gt_u32_e32 8, v37
; %bb.94:                               ;   in Loop: Header=BB277_10 Depth=1
	s_delay_alu instid0(VALU_DEP_3) | instskip(NEXT) | instid1(VALU_DEP_1)
	v_clz_i32_u32_e32 v35, v35
	v_min_u32_e32 v37, 32, v35
	s_delay_alu instid0(VALU_DEP_1) | instskip(NEXT) | instid1(VALU_DEP_1)
	v_subrev_nc_u32_e32 v35, 28, v37
	v_lshlrev_b64_e32 v[35:36], v35, v[1:2]
	v_sub_nc_u32_e32 v36, 29, v37
	s_delay_alu instid0(VALU_DEP_2)
	v_and_b32_e32 v35, 7, v35
; %bb.95:                               ;   in Loop: Header=BB277_10 Depth=1
	s_wait_alu 0xfffe
	s_or_b32 exec_lo, exec_lo, s35
	v_lshlrev_b32_e32 v1, 8, v1
	v_lshl_add_u32 v36, v36, 10, 0x2000
	v_lshlrev_b32_e32 v35, 7, v35
	s_delay_alu instid0(VALU_DEP_3) | instskip(NEXT) | instid1(VALU_DEP_3)
	v_and_b32_e32 v1, 0x8000, v1
	v_and_b32_e32 v36, 0xfc00, v36
	s_delay_alu instid0(VALU_DEP_1)
	v_or3_b32 v35, v1, v36, v35
.LBB277_96:                             ;   in Loop: Header=BB277_10 Depth=1
	s_wait_alu 0xfffe
	s_or_b32 exec_lo, exec_lo, s34
.LBB277_97:                             ;   in Loop: Header=BB277_10 Depth=1
	s_delay_alu instid0(SALU_CYCLE_1)
	s_or_b32 exec_lo, exec_lo, s33
.LBB277_98:                             ;   in Loop: Header=BB277_10 Depth=1
	s_wait_alu 0xfffe
	s_or_b32 exec_lo, exec_lo, s5
	s_delay_alu instid0(SALU_CYCLE_1)
	s_mov_b32 s5, exec_lo
	v_cmpx_lt_u32_e32 0xffffff, v9
	s_cbranch_execz .LBB277_106
; %bb.99:                               ;   in Loop: Header=BB277_10 Depth=1
	v_lshrrev_b32_e32 v1, 24, v9
	v_bfrev_b32_e32 v34, 1
	s_mov_b32 s33, exec_lo
	s_delay_alu instid0(VALU_DEP_2)
	v_cmpx_ne_u32_e32 0x80, v1
	s_cbranch_execz .LBB277_105
; %bb.100:                              ;   in Loop: Header=BB277_10 Depth=1
	v_and_b32_e32 v36, 0x7f, v1
	v_mov_b32_e32 v34, 0x7c010000
	s_mov_b32 s34, exec_lo
	s_delay_alu instid0(VALU_DEP_2)
	v_cmpx_ne_u32_e32 0x7f, v36
	s_cbranch_execz .LBB277_104
; %bb.101:                              ;   in Loop: Header=BB277_10 Depth=1
	v_and_b32_e32 v9, 7, v1
	v_lshrrev_b32_e32 v34, 3, v36
	s_mov_b32 s35, exec_lo
	v_cmpx_gt_u32_e32 8, v36
; %bb.102:                              ;   in Loop: Header=BB277_10 Depth=1
	s_delay_alu instid0(VALU_DEP_3) | instskip(NEXT) | instid1(VALU_DEP_1)
	v_clz_i32_u32_e32 v9, v9
	v_min_u32_e32 v9, 32, v9
	s_delay_alu instid0(VALU_DEP_1) | instskip(NEXT) | instid1(VALU_DEP_1)
	v_subrev_nc_u32_e32 v34, 28, v9
	v_lshlrev_b64_e32 v[36:37], v34, v[1:2]
	v_sub_nc_u32_e32 v34, 29, v9
	s_delay_alu instid0(VALU_DEP_2)
	v_and_b32_e32 v9, 7, v36
; %bb.103:                              ;   in Loop: Header=BB277_10 Depth=1
	s_wait_alu 0xfffe
	s_or_b32 exec_lo, exec_lo, s35
	v_lshlrev_b32_e32 v1, 8, v1
	v_lshl_add_u32 v34, v34, 10, 0x2000
	v_lshlrev_b32_e32 v9, 23, v9
	s_delay_alu instid0(VALU_DEP_2) | instskip(NEXT) | instid1(VALU_DEP_1)
	v_and_or_b32 v1, 0x8000, v1, v34
	v_lshl_or_b32 v34, v1, 16, v9
.LBB277_104:                            ;   in Loop: Header=BB277_10 Depth=1
	s_wait_alu 0xfffe
	s_or_b32 exec_lo, exec_lo, s34
.LBB277_105:                            ;   in Loop: Header=BB277_10 Depth=1
	s_delay_alu instid0(SALU_CYCLE_1)
	s_or_b32 exec_lo, exec_lo, s33
.LBB277_106:                            ;   in Loop: Header=BB277_10 Depth=1
	s_wait_alu 0xfffe
	s_or_b32 exec_lo, exec_lo, s5
	global_load_b32 v9, v[7:8], off offset:264
	v_mov_b32_e32 v37, 0
	s_mov_b32 s5, exec_lo
	s_wait_loadcnt 0x0
	v_dual_mov_b32 v36, 0 :: v_dual_and_b32 v1, 0xff, v9
	s_delay_alu instid0(VALU_DEP_1)
	v_cmpx_ne_u16_e32 0, v1
	s_cbranch_execz .LBB277_114
; %bb.107:                              ;   in Loop: Header=BB277_10 Depth=1
	v_mov_b32_e32 v37, 0x8000
	s_mov_b32 s33, exec_lo
	v_cmpx_ne_u16_e32 0x80, v1
	s_cbranch_execz .LBB277_113
; %bb.108:                              ;   in Loop: Header=BB277_10 Depth=1
	v_and_b32_e32 v38, 0x7f, v9
	v_mov_b32_e32 v37, 0x7c01
	s_mov_b32 s34, exec_lo
	s_delay_alu instid0(VALU_DEP_2)
	v_cmpx_ne_u32_e32 0x7f, v38
	s_cbranch_execz .LBB277_112
; %bb.109:                              ;   in Loop: Header=BB277_10 Depth=1
	v_and_b32_e32 v1, 7, v9
	v_lshrrev_b32_e32 v37, 3, v38
	s_mov_b32 s35, exec_lo
	v_cmpx_gt_u32_e32 8, v38
; %bb.110:                              ;   in Loop: Header=BB277_10 Depth=1
	s_delay_alu instid0(VALU_DEP_3) | instskip(NEXT) | instid1(VALU_DEP_1)
	v_clz_i32_u32_e32 v1, v1
	v_min_u32_e32 v1, 32, v1
	s_delay_alu instid0(VALU_DEP_1) | instskip(NEXT) | instid1(VALU_DEP_1)
	v_subrev_nc_u32_e32 v37, 28, v1
	v_lshlrev_b64_e32 v[38:39], v37, v[9:10]
	v_sub_nc_u32_e32 v37, 29, v1
	s_delay_alu instid0(VALU_DEP_2)
	v_and_b32_e32 v1, 7, v38
; %bb.111:                              ;   in Loop: Header=BB277_10 Depth=1
	s_wait_alu 0xfffe
	s_or_b32 exec_lo, exec_lo, s35
	v_lshlrev_b32_e32 v38, 8, v9
	v_lshl_add_u32 v37, v37, 10, 0x2000
	v_lshlrev_b32_e32 v1, 7, v1
	s_delay_alu instid0(VALU_DEP_3) | instskip(NEXT) | instid1(VALU_DEP_3)
	v_and_b32_e32 v38, 0x8000, v38
	v_and_b32_e32 v37, 0xfc00, v37
	s_delay_alu instid0(VALU_DEP_1)
	v_or3_b32 v37, v38, v37, v1
.LBB277_112:                            ;   in Loop: Header=BB277_10 Depth=1
	s_wait_alu 0xfffe
	s_or_b32 exec_lo, exec_lo, s34
.LBB277_113:                            ;   in Loop: Header=BB277_10 Depth=1
	s_delay_alu instid0(SALU_CYCLE_1)
	s_or_b32 exec_lo, exec_lo, s33
.LBB277_114:                            ;   in Loop: Header=BB277_10 Depth=1
	s_wait_alu 0xfffe
	s_or_b32 exec_lo, exec_lo, s5
	v_lshrrev_b16 v1, 8, v9
	s_mov_b32 s5, exec_lo
	s_delay_alu instid0(VALU_DEP_1)
	v_cmpx_ne_u16_e32 0, v1
	s_cbranch_execz .LBB277_122
; %bb.115:                              ;   in Loop: Header=BB277_10 Depth=1
	v_bfrev_b32_e32 v36, 1
	s_mov_b32 s33, exec_lo
	v_cmpx_ne_u16_e32 0x80, v1
	s_cbranch_execz .LBB277_121
; %bb.116:                              ;   in Loop: Header=BB277_10 Depth=1
	v_and_b32_e32 v38, 0xffff, v1
	v_mov_b32_e32 v36, 0x7c010000
	s_mov_b32 s34, exec_lo
	s_delay_alu instid0(VALU_DEP_2) | instskip(NEXT) | instid1(VALU_DEP_1)
	v_and_b32_e32 v40, 0x7f, v38
	v_cmpx_ne_u32_e32 0x7f, v40
	s_cbranch_execz .LBB277_120
; %bb.117:                              ;   in Loop: Header=BB277_10 Depth=1
	v_and_b32_e32 v36, 7, v38
	v_lshrrev_b32_e32 v39, 3, v40
	s_mov_b32 s35, exec_lo
	v_cmpx_gt_u32_e32 8, v40
; %bb.118:                              ;   in Loop: Header=BB277_10 Depth=1
	s_delay_alu instid0(VALU_DEP_3) | instskip(NEXT) | instid1(VALU_DEP_1)
	v_clz_i32_u32_e32 v36, v36
	v_min_u32_e32 v36, 32, v36
	s_delay_alu instid0(VALU_DEP_1) | instskip(NEXT) | instid1(VALU_DEP_1)
	v_subrev_nc_u32_e32 v39, 28, v36
	v_lshlrev_b64_e32 v[40:41], v39, v[1:2]
	v_sub_nc_u32_e32 v39, 29, v36
	s_delay_alu instid0(VALU_DEP_2)
	v_and_b32_e32 v36, 7, v40
; %bb.119:                              ;   in Loop: Header=BB277_10 Depth=1
	s_wait_alu 0xfffe
	s_or_b32 exec_lo, exec_lo, s35
	v_lshlrev_b32_e32 v1, 8, v38
	v_lshl_add_u32 v38, v39, 10, 0x2000
	v_lshlrev_b32_e32 v36, 23, v36
	s_delay_alu instid0(VALU_DEP_2) | instskip(NEXT) | instid1(VALU_DEP_1)
	v_and_or_b32 v1, 0x8000, v1, v38
	v_lshl_or_b32 v36, v1, 16, v36
.LBB277_120:                            ;   in Loop: Header=BB277_10 Depth=1
	s_wait_alu 0xfffe
	s_or_b32 exec_lo, exec_lo, s34
.LBB277_121:                            ;   in Loop: Header=BB277_10 Depth=1
	s_delay_alu instid0(SALU_CYCLE_1)
	s_or_b32 exec_lo, exec_lo, s33
.LBB277_122:                            ;   in Loop: Header=BB277_10 Depth=1
	s_wait_alu 0xfffe
	s_or_b32 exec_lo, exec_lo, s5
	v_lshrrev_b32_e32 v1, 16, v9
	v_mov_b32_e32 v38, 0
	s_mov_b32 s5, exec_lo
	s_delay_alu instid0(VALU_DEP_2) | instskip(NEXT) | instid1(VALU_DEP_1)
	v_dual_mov_b32 v39, 0 :: v_dual_and_b32 v40, 0xff, v1
	v_cmpx_ne_u16_e32 0, v40
	s_cbranch_execz .LBB277_130
; %bb.123:                              ;   in Loop: Header=BB277_10 Depth=1
	v_mov_b32_e32 v39, 0x8000
	s_mov_b32 s33, exec_lo
	v_cmpx_ne_u16_e32 0x80, v40
	s_cbranch_execz .LBB277_129
; %bb.124:                              ;   in Loop: Header=BB277_10 Depth=1
	v_bfe_u32 v41, v9, 16, 7
	v_mov_b32_e32 v39, 0x7c01
	s_mov_b32 s34, exec_lo
	s_delay_alu instid0(VALU_DEP_2)
	v_cmpx_ne_u32_e32 0x7f, v41
	s_cbranch_execz .LBB277_128
; %bb.125:                              ;   in Loop: Header=BB277_10 Depth=1
	v_and_b32_e32 v39, 7, v1
	v_lshrrev_b32_e32 v40, 3, v41
	s_mov_b32 s35, exec_lo
	v_cmpx_gt_u32_e32 8, v41
; %bb.126:                              ;   in Loop: Header=BB277_10 Depth=1
	s_delay_alu instid0(VALU_DEP_3) | instskip(NEXT) | instid1(VALU_DEP_1)
	v_clz_i32_u32_e32 v39, v39
	v_min_u32_e32 v41, 32, v39
	s_delay_alu instid0(VALU_DEP_1) | instskip(NEXT) | instid1(VALU_DEP_1)
	v_subrev_nc_u32_e32 v39, 28, v41
	v_lshlrev_b64_e32 v[39:40], v39, v[1:2]
	v_sub_nc_u32_e32 v40, 29, v41
	s_delay_alu instid0(VALU_DEP_2)
	v_and_b32_e32 v39, 7, v39
; %bb.127:                              ;   in Loop: Header=BB277_10 Depth=1
	s_wait_alu 0xfffe
	s_or_b32 exec_lo, exec_lo, s35
	v_lshlrev_b32_e32 v1, 8, v1
	v_lshl_add_u32 v40, v40, 10, 0x2000
	v_lshlrev_b32_e32 v39, 7, v39
	s_delay_alu instid0(VALU_DEP_3) | instskip(NEXT) | instid1(VALU_DEP_3)
	v_and_b32_e32 v1, 0x8000, v1
	v_and_b32_e32 v40, 0xfc00, v40
	s_delay_alu instid0(VALU_DEP_1)
	v_or3_b32 v39, v1, v40, v39
.LBB277_128:                            ;   in Loop: Header=BB277_10 Depth=1
	s_wait_alu 0xfffe
	s_or_b32 exec_lo, exec_lo, s34
.LBB277_129:                            ;   in Loop: Header=BB277_10 Depth=1
	s_delay_alu instid0(SALU_CYCLE_1)
	s_or_b32 exec_lo, exec_lo, s33
.LBB277_130:                            ;   in Loop: Header=BB277_10 Depth=1
	s_wait_alu 0xfffe
	s_or_b32 exec_lo, exec_lo, s5
	s_delay_alu instid0(SALU_CYCLE_1)
	s_mov_b32 s5, exec_lo
	v_cmpx_lt_u32_e32 0xffffff, v9
	s_cbranch_execz .LBB277_138
; %bb.131:                              ;   in Loop: Header=BB277_10 Depth=1
	v_lshrrev_b32_e32 v1, 24, v9
	v_bfrev_b32_e32 v38, 1
	s_mov_b32 s33, exec_lo
	s_delay_alu instid0(VALU_DEP_2)
	v_cmpx_ne_u32_e32 0x80, v1
	s_cbranch_execz .LBB277_137
; %bb.132:                              ;   in Loop: Header=BB277_10 Depth=1
	v_and_b32_e32 v40, 0x7f, v1
	v_mov_b32_e32 v38, 0x7c010000
	s_mov_b32 s34, exec_lo
	s_delay_alu instid0(VALU_DEP_2)
	v_cmpx_ne_u32_e32 0x7f, v40
	s_cbranch_execz .LBB277_136
; %bb.133:                              ;   in Loop: Header=BB277_10 Depth=1
	v_and_b32_e32 v9, 7, v1
	v_lshrrev_b32_e32 v38, 3, v40
	s_mov_b32 s35, exec_lo
	v_cmpx_gt_u32_e32 8, v40
; %bb.134:                              ;   in Loop: Header=BB277_10 Depth=1
	s_delay_alu instid0(VALU_DEP_3) | instskip(NEXT) | instid1(VALU_DEP_1)
	v_clz_i32_u32_e32 v9, v9
	v_min_u32_e32 v9, 32, v9
	s_delay_alu instid0(VALU_DEP_1) | instskip(NEXT) | instid1(VALU_DEP_1)
	v_subrev_nc_u32_e32 v38, 28, v9
	v_lshlrev_b64_e32 v[40:41], v38, v[1:2]
	v_sub_nc_u32_e32 v38, 29, v9
	s_delay_alu instid0(VALU_DEP_2)
	v_and_b32_e32 v9, 7, v40
; %bb.135:                              ;   in Loop: Header=BB277_10 Depth=1
	s_wait_alu 0xfffe
	s_or_b32 exec_lo, exec_lo, s35
	v_lshlrev_b32_e32 v1, 8, v1
	v_lshl_add_u32 v38, v38, 10, 0x2000
	v_lshlrev_b32_e32 v9, 23, v9
	s_delay_alu instid0(VALU_DEP_2) | instskip(NEXT) | instid1(VALU_DEP_1)
	v_and_or_b32 v1, 0x8000, v1, v38
	v_lshl_or_b32 v38, v1, 16, v9
.LBB277_136:                            ;   in Loop: Header=BB277_10 Depth=1
	s_wait_alu 0xfffe
	s_or_b32 exec_lo, exec_lo, s34
.LBB277_137:                            ;   in Loop: Header=BB277_10 Depth=1
	s_delay_alu instid0(SALU_CYCLE_1)
	s_or_b32 exec_lo, exec_lo, s33
.LBB277_138:                            ;   in Loop: Header=BB277_10 Depth=1
	s_wait_alu 0xfffe
	s_or_b32 exec_lo, exec_lo, s5
	global_load_b32 v9, v[7:8], off offset:512
	v_mov_b32_e32 v41, 0
	s_mov_b32 s5, exec_lo
	s_wait_loadcnt 0x0
	v_dual_mov_b32 v40, 0 :: v_dual_and_b32 v1, 0xff, v9
	s_delay_alu instid0(VALU_DEP_1)
	v_cmpx_ne_u16_e32 0, v1
	s_cbranch_execz .LBB277_146
; %bb.139:                              ;   in Loop: Header=BB277_10 Depth=1
	v_mov_b32_e32 v41, 0x8000
	s_mov_b32 s33, exec_lo
	v_cmpx_ne_u16_e32 0x80, v1
	s_cbranch_execz .LBB277_145
; %bb.140:                              ;   in Loop: Header=BB277_10 Depth=1
	v_and_b32_e32 v42, 0x7f, v9
	v_mov_b32_e32 v41, 0x7c01
	s_mov_b32 s34, exec_lo
	s_delay_alu instid0(VALU_DEP_2)
	v_cmpx_ne_u32_e32 0x7f, v42
	s_cbranch_execz .LBB277_144
; %bb.141:                              ;   in Loop: Header=BB277_10 Depth=1
	v_and_b32_e32 v1, 7, v9
	v_lshrrev_b32_e32 v41, 3, v42
	s_mov_b32 s35, exec_lo
	v_cmpx_gt_u32_e32 8, v42
; %bb.142:                              ;   in Loop: Header=BB277_10 Depth=1
	s_delay_alu instid0(VALU_DEP_3) | instskip(NEXT) | instid1(VALU_DEP_1)
	v_clz_i32_u32_e32 v1, v1
	v_min_u32_e32 v1, 32, v1
	s_delay_alu instid0(VALU_DEP_1) | instskip(NEXT) | instid1(VALU_DEP_1)
	v_subrev_nc_u32_e32 v41, 28, v1
	v_lshlrev_b64_e32 v[42:43], v41, v[9:10]
	v_sub_nc_u32_e32 v41, 29, v1
	s_delay_alu instid0(VALU_DEP_2)
	v_and_b32_e32 v1, 7, v42
; %bb.143:                              ;   in Loop: Header=BB277_10 Depth=1
	s_wait_alu 0xfffe
	s_or_b32 exec_lo, exec_lo, s35
	v_lshlrev_b32_e32 v42, 8, v9
	v_lshl_add_u32 v41, v41, 10, 0x2000
	v_lshlrev_b32_e32 v1, 7, v1
	s_delay_alu instid0(VALU_DEP_3) | instskip(NEXT) | instid1(VALU_DEP_3)
	v_and_b32_e32 v42, 0x8000, v42
	v_and_b32_e32 v41, 0xfc00, v41
	s_delay_alu instid0(VALU_DEP_1)
	v_or3_b32 v41, v42, v41, v1
.LBB277_144:                            ;   in Loop: Header=BB277_10 Depth=1
	s_wait_alu 0xfffe
	s_or_b32 exec_lo, exec_lo, s34
.LBB277_145:                            ;   in Loop: Header=BB277_10 Depth=1
	s_delay_alu instid0(SALU_CYCLE_1)
	s_or_b32 exec_lo, exec_lo, s33
.LBB277_146:                            ;   in Loop: Header=BB277_10 Depth=1
	s_wait_alu 0xfffe
	s_or_b32 exec_lo, exec_lo, s5
	v_lshrrev_b16 v1, 8, v9
	s_mov_b32 s5, exec_lo
	s_delay_alu instid0(VALU_DEP_1)
	v_cmpx_ne_u16_e32 0, v1
	s_cbranch_execz .LBB277_154
; %bb.147:                              ;   in Loop: Header=BB277_10 Depth=1
	v_bfrev_b32_e32 v40, 1
	s_mov_b32 s33, exec_lo
	v_cmpx_ne_u16_e32 0x80, v1
	s_cbranch_execz .LBB277_153
; %bb.148:                              ;   in Loop: Header=BB277_10 Depth=1
	v_and_b32_e32 v42, 0xffff, v1
	v_mov_b32_e32 v40, 0x7c010000
	s_mov_b32 s34, exec_lo
	s_delay_alu instid0(VALU_DEP_2) | instskip(NEXT) | instid1(VALU_DEP_1)
	v_and_b32_e32 v44, 0x7f, v42
	v_cmpx_ne_u32_e32 0x7f, v44
	s_cbranch_execz .LBB277_152
; %bb.149:                              ;   in Loop: Header=BB277_10 Depth=1
	v_and_b32_e32 v40, 7, v42
	v_lshrrev_b32_e32 v43, 3, v44
	s_mov_b32 s35, exec_lo
	v_cmpx_gt_u32_e32 8, v44
; %bb.150:                              ;   in Loop: Header=BB277_10 Depth=1
	s_delay_alu instid0(VALU_DEP_3) | instskip(NEXT) | instid1(VALU_DEP_1)
	v_clz_i32_u32_e32 v40, v40
	v_min_u32_e32 v40, 32, v40
	s_delay_alu instid0(VALU_DEP_1) | instskip(NEXT) | instid1(VALU_DEP_1)
	v_subrev_nc_u32_e32 v43, 28, v40
	v_lshlrev_b64_e32 v[44:45], v43, v[1:2]
	v_sub_nc_u32_e32 v43, 29, v40
	s_delay_alu instid0(VALU_DEP_2)
	v_and_b32_e32 v40, 7, v44
; %bb.151:                              ;   in Loop: Header=BB277_10 Depth=1
	s_wait_alu 0xfffe
	s_or_b32 exec_lo, exec_lo, s35
	v_lshlrev_b32_e32 v1, 8, v42
	v_lshl_add_u32 v42, v43, 10, 0x2000
	v_lshlrev_b32_e32 v40, 23, v40
	s_delay_alu instid0(VALU_DEP_2) | instskip(NEXT) | instid1(VALU_DEP_1)
	v_and_or_b32 v1, 0x8000, v1, v42
	v_lshl_or_b32 v40, v1, 16, v40
.LBB277_152:                            ;   in Loop: Header=BB277_10 Depth=1
	s_wait_alu 0xfffe
	s_or_b32 exec_lo, exec_lo, s34
.LBB277_153:                            ;   in Loop: Header=BB277_10 Depth=1
	s_delay_alu instid0(SALU_CYCLE_1)
	s_or_b32 exec_lo, exec_lo, s33
.LBB277_154:                            ;   in Loop: Header=BB277_10 Depth=1
	s_wait_alu 0xfffe
	s_or_b32 exec_lo, exec_lo, s5
	v_lshrrev_b32_e32 v1, 16, v9
	v_mov_b32_e32 v42, 0
	s_mov_b32 s5, exec_lo
	s_delay_alu instid0(VALU_DEP_2) | instskip(NEXT) | instid1(VALU_DEP_1)
	v_dual_mov_b32 v43, 0 :: v_dual_and_b32 v44, 0xff, v1
	v_cmpx_ne_u16_e32 0, v44
	s_cbranch_execz .LBB277_162
; %bb.155:                              ;   in Loop: Header=BB277_10 Depth=1
	v_mov_b32_e32 v43, 0x8000
	s_mov_b32 s33, exec_lo
	v_cmpx_ne_u16_e32 0x80, v44
	s_cbranch_execz .LBB277_161
; %bb.156:                              ;   in Loop: Header=BB277_10 Depth=1
	v_bfe_u32 v45, v9, 16, 7
	v_mov_b32_e32 v43, 0x7c01
	s_mov_b32 s34, exec_lo
	s_delay_alu instid0(VALU_DEP_2)
	v_cmpx_ne_u32_e32 0x7f, v45
	s_cbranch_execz .LBB277_160
; %bb.157:                              ;   in Loop: Header=BB277_10 Depth=1
	v_and_b32_e32 v43, 7, v1
	v_lshrrev_b32_e32 v44, 3, v45
	s_mov_b32 s35, exec_lo
	v_cmpx_gt_u32_e32 8, v45
; %bb.158:                              ;   in Loop: Header=BB277_10 Depth=1
	s_delay_alu instid0(VALU_DEP_3) | instskip(NEXT) | instid1(VALU_DEP_1)
	v_clz_i32_u32_e32 v43, v43
	v_min_u32_e32 v45, 32, v43
	s_delay_alu instid0(VALU_DEP_1) | instskip(NEXT) | instid1(VALU_DEP_1)
	v_subrev_nc_u32_e32 v43, 28, v45
	v_lshlrev_b64_e32 v[43:44], v43, v[1:2]
	v_sub_nc_u32_e32 v44, 29, v45
	s_delay_alu instid0(VALU_DEP_2)
	v_and_b32_e32 v43, 7, v43
; %bb.159:                              ;   in Loop: Header=BB277_10 Depth=1
	s_wait_alu 0xfffe
	s_or_b32 exec_lo, exec_lo, s35
	v_lshlrev_b32_e32 v1, 8, v1
	v_lshl_add_u32 v44, v44, 10, 0x2000
	v_lshlrev_b32_e32 v43, 7, v43
	s_delay_alu instid0(VALU_DEP_3) | instskip(NEXT) | instid1(VALU_DEP_3)
	v_and_b32_e32 v1, 0x8000, v1
	v_and_b32_e32 v44, 0xfc00, v44
	s_delay_alu instid0(VALU_DEP_1)
	v_or3_b32 v43, v1, v44, v43
.LBB277_160:                            ;   in Loop: Header=BB277_10 Depth=1
	s_wait_alu 0xfffe
	s_or_b32 exec_lo, exec_lo, s34
.LBB277_161:                            ;   in Loop: Header=BB277_10 Depth=1
	s_delay_alu instid0(SALU_CYCLE_1)
	s_or_b32 exec_lo, exec_lo, s33
.LBB277_162:                            ;   in Loop: Header=BB277_10 Depth=1
	s_wait_alu 0xfffe
	s_or_b32 exec_lo, exec_lo, s5
	s_delay_alu instid0(SALU_CYCLE_1)
	s_mov_b32 s5, exec_lo
	v_cmpx_lt_u32_e32 0xffffff, v9
	s_cbranch_execz .LBB277_170
; %bb.163:                              ;   in Loop: Header=BB277_10 Depth=1
	v_lshrrev_b32_e32 v1, 24, v9
	v_bfrev_b32_e32 v42, 1
	s_mov_b32 s33, exec_lo
	s_delay_alu instid0(VALU_DEP_2)
	v_cmpx_ne_u32_e32 0x80, v1
	s_cbranch_execz .LBB277_169
; %bb.164:                              ;   in Loop: Header=BB277_10 Depth=1
	v_and_b32_e32 v44, 0x7f, v1
	v_mov_b32_e32 v42, 0x7c010000
	s_mov_b32 s34, exec_lo
	s_delay_alu instid0(VALU_DEP_2)
	v_cmpx_ne_u32_e32 0x7f, v44
	s_cbranch_execz .LBB277_168
; %bb.165:                              ;   in Loop: Header=BB277_10 Depth=1
	v_and_b32_e32 v9, 7, v1
	v_lshrrev_b32_e32 v42, 3, v44
	s_mov_b32 s35, exec_lo
	v_cmpx_gt_u32_e32 8, v44
; %bb.166:                              ;   in Loop: Header=BB277_10 Depth=1
	s_delay_alu instid0(VALU_DEP_3) | instskip(NEXT) | instid1(VALU_DEP_1)
	v_clz_i32_u32_e32 v9, v9
	v_min_u32_e32 v9, 32, v9
	s_delay_alu instid0(VALU_DEP_1) | instskip(NEXT) | instid1(VALU_DEP_1)
	v_subrev_nc_u32_e32 v42, 28, v9
	v_lshlrev_b64_e32 v[44:45], v42, v[1:2]
	v_sub_nc_u32_e32 v42, 29, v9
	s_delay_alu instid0(VALU_DEP_2)
	v_and_b32_e32 v9, 7, v44
; %bb.167:                              ;   in Loop: Header=BB277_10 Depth=1
	s_wait_alu 0xfffe
	s_or_b32 exec_lo, exec_lo, s35
	v_lshlrev_b32_e32 v1, 8, v1
	v_lshl_add_u32 v42, v42, 10, 0x2000
	v_lshlrev_b32_e32 v9, 23, v9
	s_delay_alu instid0(VALU_DEP_2) | instskip(NEXT) | instid1(VALU_DEP_1)
	v_and_or_b32 v1, 0x8000, v1, v42
	v_lshl_or_b32 v42, v1, 16, v9
.LBB277_168:                            ;   in Loop: Header=BB277_10 Depth=1
	s_wait_alu 0xfffe
	s_or_b32 exec_lo, exec_lo, s34
.LBB277_169:                            ;   in Loop: Header=BB277_10 Depth=1
	s_delay_alu instid0(SALU_CYCLE_1)
	s_or_b32 exec_lo, exec_lo, s33
.LBB277_170:                            ;   in Loop: Header=BB277_10 Depth=1
	s_wait_alu 0xfffe
	s_or_b32 exec_lo, exec_lo, s5
	global_load_b32 v9, v[7:8], off offset:520
	v_mov_b32_e32 v45, 0
	s_mov_b32 s5, exec_lo
	s_wait_loadcnt 0x0
	v_dual_mov_b32 v44, 0 :: v_dual_and_b32 v1, 0xff, v9
	s_delay_alu instid0(VALU_DEP_1)
	v_cmpx_ne_u16_e32 0, v1
	s_cbranch_execz .LBB277_178
; %bb.171:                              ;   in Loop: Header=BB277_10 Depth=1
	v_mov_b32_e32 v45, 0x8000
	s_mov_b32 s33, exec_lo
	v_cmpx_ne_u16_e32 0x80, v1
	s_cbranch_execz .LBB277_177
; %bb.172:                              ;   in Loop: Header=BB277_10 Depth=1
	v_and_b32_e32 v46, 0x7f, v9
	v_mov_b32_e32 v45, 0x7c01
	s_mov_b32 s34, exec_lo
	s_delay_alu instid0(VALU_DEP_2)
	v_cmpx_ne_u32_e32 0x7f, v46
	s_cbranch_execz .LBB277_176
; %bb.173:                              ;   in Loop: Header=BB277_10 Depth=1
	v_and_b32_e32 v1, 7, v9
	v_lshrrev_b32_e32 v45, 3, v46
	s_mov_b32 s35, exec_lo
	v_cmpx_gt_u32_e32 8, v46
; %bb.174:                              ;   in Loop: Header=BB277_10 Depth=1
	s_delay_alu instid0(VALU_DEP_3) | instskip(NEXT) | instid1(VALU_DEP_1)
	v_clz_i32_u32_e32 v1, v1
	v_min_u32_e32 v1, 32, v1
	s_delay_alu instid0(VALU_DEP_1) | instskip(NEXT) | instid1(VALU_DEP_1)
	v_subrev_nc_u32_e32 v45, 28, v1
	v_lshlrev_b64_e32 v[46:47], v45, v[9:10]
	v_sub_nc_u32_e32 v45, 29, v1
	s_delay_alu instid0(VALU_DEP_2)
	v_and_b32_e32 v1, 7, v46
; %bb.175:                              ;   in Loop: Header=BB277_10 Depth=1
	s_wait_alu 0xfffe
	s_or_b32 exec_lo, exec_lo, s35
	v_lshlrev_b32_e32 v46, 8, v9
	v_lshl_add_u32 v45, v45, 10, 0x2000
	v_lshlrev_b32_e32 v1, 7, v1
	s_delay_alu instid0(VALU_DEP_3) | instskip(NEXT) | instid1(VALU_DEP_3)
	v_and_b32_e32 v46, 0x8000, v46
	v_and_b32_e32 v45, 0xfc00, v45
	s_delay_alu instid0(VALU_DEP_1)
	v_or3_b32 v45, v46, v45, v1
.LBB277_176:                            ;   in Loop: Header=BB277_10 Depth=1
	s_wait_alu 0xfffe
	s_or_b32 exec_lo, exec_lo, s34
.LBB277_177:                            ;   in Loop: Header=BB277_10 Depth=1
	s_delay_alu instid0(SALU_CYCLE_1)
	s_or_b32 exec_lo, exec_lo, s33
.LBB277_178:                            ;   in Loop: Header=BB277_10 Depth=1
	s_wait_alu 0xfffe
	s_or_b32 exec_lo, exec_lo, s5
	v_lshrrev_b16 v1, 8, v9
	s_mov_b32 s5, exec_lo
	s_delay_alu instid0(VALU_DEP_1)
	v_cmpx_ne_u16_e32 0, v1
	s_cbranch_execz .LBB277_186
; %bb.179:                              ;   in Loop: Header=BB277_10 Depth=1
	v_bfrev_b32_e32 v44, 1
	s_mov_b32 s33, exec_lo
	v_cmpx_ne_u16_e32 0x80, v1
	s_cbranch_execz .LBB277_185
; %bb.180:                              ;   in Loop: Header=BB277_10 Depth=1
	v_and_b32_e32 v46, 0xffff, v1
	v_mov_b32_e32 v44, 0x7c010000
	s_mov_b32 s34, exec_lo
	s_delay_alu instid0(VALU_DEP_2) | instskip(NEXT) | instid1(VALU_DEP_1)
	v_and_b32_e32 v48, 0x7f, v46
	v_cmpx_ne_u32_e32 0x7f, v48
	s_cbranch_execz .LBB277_184
; %bb.181:                              ;   in Loop: Header=BB277_10 Depth=1
	v_and_b32_e32 v44, 7, v46
	v_lshrrev_b32_e32 v47, 3, v48
	s_mov_b32 s35, exec_lo
	v_cmpx_gt_u32_e32 8, v48
; %bb.182:                              ;   in Loop: Header=BB277_10 Depth=1
	s_delay_alu instid0(VALU_DEP_3) | instskip(NEXT) | instid1(VALU_DEP_1)
	v_clz_i32_u32_e32 v44, v44
	v_min_u32_e32 v44, 32, v44
	s_delay_alu instid0(VALU_DEP_1) | instskip(NEXT) | instid1(VALU_DEP_1)
	v_subrev_nc_u32_e32 v47, 28, v44
	v_lshlrev_b64_e32 v[48:49], v47, v[1:2]
	v_sub_nc_u32_e32 v47, 29, v44
	s_delay_alu instid0(VALU_DEP_2)
	v_and_b32_e32 v44, 7, v48
; %bb.183:                              ;   in Loop: Header=BB277_10 Depth=1
	s_wait_alu 0xfffe
	s_or_b32 exec_lo, exec_lo, s35
	v_lshlrev_b32_e32 v1, 8, v46
	v_lshl_add_u32 v46, v47, 10, 0x2000
	v_lshlrev_b32_e32 v44, 23, v44
	s_delay_alu instid0(VALU_DEP_2) | instskip(NEXT) | instid1(VALU_DEP_1)
	v_and_or_b32 v1, 0x8000, v1, v46
	v_lshl_or_b32 v44, v1, 16, v44
.LBB277_184:                            ;   in Loop: Header=BB277_10 Depth=1
	s_wait_alu 0xfffe
	s_or_b32 exec_lo, exec_lo, s34
.LBB277_185:                            ;   in Loop: Header=BB277_10 Depth=1
	s_delay_alu instid0(SALU_CYCLE_1)
	s_or_b32 exec_lo, exec_lo, s33
.LBB277_186:                            ;   in Loop: Header=BB277_10 Depth=1
	s_wait_alu 0xfffe
	s_or_b32 exec_lo, exec_lo, s5
	v_lshrrev_b32_e32 v1, 16, v9
	v_mov_b32_e32 v48, 0
	s_mov_b32 s5, exec_lo
	s_delay_alu instid0(VALU_DEP_2) | instskip(NEXT) | instid1(VALU_DEP_1)
	v_dual_mov_b32 v49, 0 :: v_dual_and_b32 v46, 0xff, v1
	v_cmpx_ne_u16_e32 0, v46
	s_cbranch_execz .LBB277_194
; %bb.187:                              ;   in Loop: Header=BB277_10 Depth=1
	v_mov_b32_e32 v49, 0x8000
	s_mov_b32 s33, exec_lo
	v_cmpx_ne_u16_e32 0x80, v46
	s_cbranch_execz .LBB277_193
; %bb.188:                              ;   in Loop: Header=BB277_10 Depth=1
	v_bfe_u32 v50, v9, 16, 7
	v_mov_b32_e32 v49, 0x7c01
	s_mov_b32 s34, exec_lo
	s_delay_alu instid0(VALU_DEP_2)
	v_cmpx_ne_u32_e32 0x7f, v50
	s_cbranch_execz .LBB277_192
; %bb.189:                              ;   in Loop: Header=BB277_10 Depth=1
	v_and_b32_e32 v46, 7, v1
	v_lshrrev_b32_e32 v47, 3, v50
	s_mov_b32 s35, exec_lo
	v_cmpx_gt_u32_e32 8, v50
; %bb.190:                              ;   in Loop: Header=BB277_10 Depth=1
	s_delay_alu instid0(VALU_DEP_3) | instskip(NEXT) | instid1(VALU_DEP_1)
	v_clz_i32_u32_e32 v46, v46
	v_min_u32_e32 v49, 32, v46
	s_delay_alu instid0(VALU_DEP_1) | instskip(NEXT) | instid1(VALU_DEP_1)
	v_subrev_nc_u32_e32 v46, 28, v49
	v_lshlrev_b64_e32 v[46:47], v46, v[1:2]
	v_sub_nc_u32_e32 v47, 29, v49
	s_delay_alu instid0(VALU_DEP_2)
	v_and_b32_e32 v46, 7, v46
; %bb.191:                              ;   in Loop: Header=BB277_10 Depth=1
	s_wait_alu 0xfffe
	s_or_b32 exec_lo, exec_lo, s35
	v_lshlrev_b32_e32 v1, 8, v1
	v_lshl_add_u32 v47, v47, 10, 0x2000
	v_lshlrev_b32_e32 v46, 7, v46
	s_delay_alu instid0(VALU_DEP_3) | instskip(NEXT) | instid1(VALU_DEP_3)
	v_and_b32_e32 v1, 0x8000, v1
	v_and_b32_e32 v47, 0xfc00, v47
	s_delay_alu instid0(VALU_DEP_1)
	v_or3_b32 v49, v1, v47, v46
.LBB277_192:                            ;   in Loop: Header=BB277_10 Depth=1
	s_wait_alu 0xfffe
	s_or_b32 exec_lo, exec_lo, s34
.LBB277_193:                            ;   in Loop: Header=BB277_10 Depth=1
	s_delay_alu instid0(SALU_CYCLE_1)
	s_or_b32 exec_lo, exec_lo, s33
.LBB277_194:                            ;   in Loop: Header=BB277_10 Depth=1
	s_wait_alu 0xfffe
	s_or_b32 exec_lo, exec_lo, s5
	s_delay_alu instid0(SALU_CYCLE_1)
	s_mov_b32 s5, exec_lo
	v_cmpx_lt_u32_e32 0xffffff, v9
	s_cbranch_execz .LBB277_202
; %bb.195:                              ;   in Loop: Header=BB277_10 Depth=1
	v_lshrrev_b32_e32 v1, 24, v9
	v_bfrev_b32_e32 v48, 1
	s_mov_b32 s33, exec_lo
	s_delay_alu instid0(VALU_DEP_2)
	v_cmpx_ne_u32_e32 0x80, v1
	s_cbranch_execz .LBB277_201
; %bb.196:                              ;   in Loop: Header=BB277_10 Depth=1
	v_and_b32_e32 v47, 0x7f, v1
	v_mov_b32_e32 v48, 0x7c010000
	s_mov_b32 s34, exec_lo
	s_delay_alu instid0(VALU_DEP_2)
	v_cmpx_ne_u32_e32 0x7f, v47
	s_cbranch_execz .LBB277_200
; %bb.197:                              ;   in Loop: Header=BB277_10 Depth=1
	v_and_b32_e32 v9, 7, v1
	v_lshrrev_b32_e32 v46, 3, v47
	s_mov_b32 s35, exec_lo
	v_cmpx_gt_u32_e32 8, v47
; %bb.198:                              ;   in Loop: Header=BB277_10 Depth=1
	s_delay_alu instid0(VALU_DEP_3) | instskip(NEXT) | instid1(VALU_DEP_1)
	v_clz_i32_u32_e32 v9, v9
	v_min_u32_e32 v9, 32, v9
	s_delay_alu instid0(VALU_DEP_1) | instskip(NEXT) | instid1(VALU_DEP_1)
	v_subrev_nc_u32_e32 v46, 28, v9
	v_lshlrev_b64_e32 v[47:48], v46, v[1:2]
	v_sub_nc_u32_e32 v46, 29, v9
	s_delay_alu instid0(VALU_DEP_2)
	v_and_b32_e32 v9, 7, v47
; %bb.199:                              ;   in Loop: Header=BB277_10 Depth=1
	s_wait_alu 0xfffe
	s_or_b32 exec_lo, exec_lo, s35
	v_lshlrev_b32_e32 v1, 8, v1
	v_lshl_add_u32 v46, v46, 10, 0x2000
	v_lshlrev_b32_e32 v9, 23, v9
	s_delay_alu instid0(VALU_DEP_2) | instskip(NEXT) | instid1(VALU_DEP_1)
	v_and_or_b32 v1, 0x8000, v1, v46
	v_lshl_or_b32 v48, v1, 16, v9
.LBB277_200:                            ;   in Loop: Header=BB277_10 Depth=1
	s_wait_alu 0xfffe
	s_or_b32 exec_lo, exec_lo, s34
.LBB277_201:                            ;   in Loop: Header=BB277_10 Depth=1
	s_delay_alu instid0(SALU_CYCLE_1)
	s_or_b32 exec_lo, exec_lo, s33
.LBB277_202:                            ;   in Loop: Header=BB277_10 Depth=1
	s_wait_alu 0xfffe
	s_or_b32 exec_lo, exec_lo, s5
	global_load_b32 v9, v[7:8], off offset:768
	v_mov_b32_e32 v47, 0
	s_mov_b32 s5, exec_lo
	s_wait_loadcnt 0x0
	v_dual_mov_b32 v46, 0 :: v_dual_and_b32 v1, 0xff, v9
	s_delay_alu instid0(VALU_DEP_1)
	v_cmpx_ne_u16_e32 0, v1
	s_cbranch_execz .LBB277_210
; %bb.203:                              ;   in Loop: Header=BB277_10 Depth=1
	v_mov_b32_e32 v47, 0x8000
	s_mov_b32 s33, exec_lo
	v_cmpx_ne_u16_e32 0x80, v1
	s_cbranch_execz .LBB277_209
; %bb.204:                              ;   in Loop: Header=BB277_10 Depth=1
	v_and_b32_e32 v50, 0x7f, v9
	v_mov_b32_e32 v47, 0x7c01
	s_mov_b32 s34, exec_lo
	s_delay_alu instid0(VALU_DEP_2)
	v_cmpx_ne_u32_e32 0x7f, v50
	s_cbranch_execz .LBB277_208
; %bb.205:                              ;   in Loop: Header=BB277_10 Depth=1
	v_and_b32_e32 v1, 7, v9
	v_lshrrev_b32_e32 v47, 3, v50
	s_mov_b32 s35, exec_lo
	v_cmpx_gt_u32_e32 8, v50
; %bb.206:                              ;   in Loop: Header=BB277_10 Depth=1
	s_delay_alu instid0(VALU_DEP_3) | instskip(NEXT) | instid1(VALU_DEP_1)
	v_clz_i32_u32_e32 v1, v1
	v_min_u32_e32 v1, 32, v1
	s_delay_alu instid0(VALU_DEP_1) | instskip(NEXT) | instid1(VALU_DEP_1)
	v_subrev_nc_u32_e32 v47, 28, v1
	v_lshlrev_b64_e32 v[50:51], v47, v[9:10]
	v_sub_nc_u32_e32 v47, 29, v1
	s_delay_alu instid0(VALU_DEP_2)
	v_and_b32_e32 v1, 7, v50
; %bb.207:                              ;   in Loop: Header=BB277_10 Depth=1
	s_wait_alu 0xfffe
	s_or_b32 exec_lo, exec_lo, s35
	v_lshlrev_b32_e32 v50, 8, v9
	v_lshl_add_u32 v47, v47, 10, 0x2000
	v_lshlrev_b32_e32 v1, 7, v1
	s_delay_alu instid0(VALU_DEP_3) | instskip(NEXT) | instid1(VALU_DEP_3)
	v_and_b32_e32 v50, 0x8000, v50
	v_and_b32_e32 v47, 0xfc00, v47
	s_delay_alu instid0(VALU_DEP_1)
	v_or3_b32 v47, v50, v47, v1
.LBB277_208:                            ;   in Loop: Header=BB277_10 Depth=1
	s_wait_alu 0xfffe
	s_or_b32 exec_lo, exec_lo, s34
.LBB277_209:                            ;   in Loop: Header=BB277_10 Depth=1
	s_delay_alu instid0(SALU_CYCLE_1)
	s_or_b32 exec_lo, exec_lo, s33
.LBB277_210:                            ;   in Loop: Header=BB277_10 Depth=1
	s_wait_alu 0xfffe
	s_or_b32 exec_lo, exec_lo, s5
	v_lshrrev_b16 v1, 8, v9
	s_mov_b32 s5, exec_lo
	s_delay_alu instid0(VALU_DEP_1)
	v_cmpx_ne_u16_e32 0, v1
	s_cbranch_execz .LBB277_218
; %bb.211:                              ;   in Loop: Header=BB277_10 Depth=1
	v_bfrev_b32_e32 v46, 1
	s_mov_b32 s33, exec_lo
	v_cmpx_ne_u16_e32 0x80, v1
	s_cbranch_execz .LBB277_217
; %bb.212:                              ;   in Loop: Header=BB277_10 Depth=1
	v_and_b32_e32 v50, 0xffff, v1
	v_mov_b32_e32 v46, 0x7c010000
	s_mov_b32 s34, exec_lo
	s_delay_alu instid0(VALU_DEP_2) | instskip(NEXT) | instid1(VALU_DEP_1)
	v_and_b32_e32 v52, 0x7f, v50
	v_cmpx_ne_u32_e32 0x7f, v52
	s_cbranch_execz .LBB277_216
; %bb.213:                              ;   in Loop: Header=BB277_10 Depth=1
	v_and_b32_e32 v46, 7, v50
	v_lshrrev_b32_e32 v51, 3, v52
	s_mov_b32 s35, exec_lo
	v_cmpx_gt_u32_e32 8, v52
; %bb.214:                              ;   in Loop: Header=BB277_10 Depth=1
	s_delay_alu instid0(VALU_DEP_3) | instskip(NEXT) | instid1(VALU_DEP_1)
	v_clz_i32_u32_e32 v46, v46
	v_min_u32_e32 v46, 32, v46
	s_delay_alu instid0(VALU_DEP_1) | instskip(NEXT) | instid1(VALU_DEP_1)
	v_subrev_nc_u32_e32 v51, 28, v46
	v_lshlrev_b64_e32 v[52:53], v51, v[1:2]
	v_sub_nc_u32_e32 v51, 29, v46
	s_delay_alu instid0(VALU_DEP_2)
	v_and_b32_e32 v46, 7, v52
; %bb.215:                              ;   in Loop: Header=BB277_10 Depth=1
	s_wait_alu 0xfffe
	s_or_b32 exec_lo, exec_lo, s35
	v_lshlrev_b32_e32 v1, 8, v50
	v_lshl_add_u32 v50, v51, 10, 0x2000
	v_lshlrev_b32_e32 v46, 23, v46
	s_delay_alu instid0(VALU_DEP_2) | instskip(NEXT) | instid1(VALU_DEP_1)
	v_and_or_b32 v1, 0x8000, v1, v50
	v_lshl_or_b32 v46, v1, 16, v46
.LBB277_216:                            ;   in Loop: Header=BB277_10 Depth=1
	s_wait_alu 0xfffe
	s_or_b32 exec_lo, exec_lo, s34
.LBB277_217:                            ;   in Loop: Header=BB277_10 Depth=1
	s_delay_alu instid0(SALU_CYCLE_1)
	s_or_b32 exec_lo, exec_lo, s33
.LBB277_218:                            ;   in Loop: Header=BB277_10 Depth=1
	s_wait_alu 0xfffe
	s_or_b32 exec_lo, exec_lo, s5
	v_lshrrev_b32_e32 v1, 16, v9
	v_mov_b32_e32 v50, 0
	s_mov_b32 s5, exec_lo
	s_delay_alu instid0(VALU_DEP_2) | instskip(NEXT) | instid1(VALU_DEP_1)
	v_dual_mov_b32 v51, 0 :: v_dual_and_b32 v52, 0xff, v1
	v_cmpx_ne_u16_e32 0, v52
	s_cbranch_execz .LBB277_226
; %bb.219:                              ;   in Loop: Header=BB277_10 Depth=1
	v_mov_b32_e32 v51, 0x8000
	s_mov_b32 s33, exec_lo
	v_cmpx_ne_u16_e32 0x80, v52
	s_cbranch_execz .LBB277_225
; %bb.220:                              ;   in Loop: Header=BB277_10 Depth=1
	v_bfe_u32 v53, v9, 16, 7
	v_mov_b32_e32 v51, 0x7c01
	s_mov_b32 s34, exec_lo
	s_delay_alu instid0(VALU_DEP_2)
	v_cmpx_ne_u32_e32 0x7f, v53
	s_cbranch_execz .LBB277_224
; %bb.221:                              ;   in Loop: Header=BB277_10 Depth=1
	v_and_b32_e32 v51, 7, v1
	v_lshrrev_b32_e32 v52, 3, v53
	s_mov_b32 s35, exec_lo
	v_cmpx_gt_u32_e32 8, v53
; %bb.222:                              ;   in Loop: Header=BB277_10 Depth=1
	s_delay_alu instid0(VALU_DEP_3) | instskip(NEXT) | instid1(VALU_DEP_1)
	v_clz_i32_u32_e32 v51, v51
	v_min_u32_e32 v53, 32, v51
	s_delay_alu instid0(VALU_DEP_1) | instskip(NEXT) | instid1(VALU_DEP_1)
	v_subrev_nc_u32_e32 v51, 28, v53
	v_lshlrev_b64_e32 v[51:52], v51, v[1:2]
	v_sub_nc_u32_e32 v52, 29, v53
	s_delay_alu instid0(VALU_DEP_2)
	v_and_b32_e32 v51, 7, v51
; %bb.223:                              ;   in Loop: Header=BB277_10 Depth=1
	s_wait_alu 0xfffe
	s_or_b32 exec_lo, exec_lo, s35
	v_lshlrev_b32_e32 v1, 8, v1
	v_lshl_add_u32 v52, v52, 10, 0x2000
	v_lshlrev_b32_e32 v51, 7, v51
	s_delay_alu instid0(VALU_DEP_3) | instskip(NEXT) | instid1(VALU_DEP_3)
	v_and_b32_e32 v1, 0x8000, v1
	v_and_b32_e32 v52, 0xfc00, v52
	s_delay_alu instid0(VALU_DEP_1)
	v_or3_b32 v51, v1, v52, v51
.LBB277_224:                            ;   in Loop: Header=BB277_10 Depth=1
	s_wait_alu 0xfffe
	s_or_b32 exec_lo, exec_lo, s34
.LBB277_225:                            ;   in Loop: Header=BB277_10 Depth=1
	s_delay_alu instid0(SALU_CYCLE_1)
	s_or_b32 exec_lo, exec_lo, s33
.LBB277_226:                            ;   in Loop: Header=BB277_10 Depth=1
	s_wait_alu 0xfffe
	s_or_b32 exec_lo, exec_lo, s5
	s_delay_alu instid0(SALU_CYCLE_1)
	s_mov_b32 s5, exec_lo
	v_cmpx_lt_u32_e32 0xffffff, v9
	s_cbranch_execz .LBB277_234
; %bb.227:                              ;   in Loop: Header=BB277_10 Depth=1
	v_lshrrev_b32_e32 v1, 24, v9
	v_bfrev_b32_e32 v50, 1
	s_mov_b32 s33, exec_lo
	s_delay_alu instid0(VALU_DEP_2)
	v_cmpx_ne_u32_e32 0x80, v1
	s_cbranch_execz .LBB277_233
; %bb.228:                              ;   in Loop: Header=BB277_10 Depth=1
	v_and_b32_e32 v52, 0x7f, v1
	v_mov_b32_e32 v50, 0x7c010000
	s_mov_b32 s34, exec_lo
	s_delay_alu instid0(VALU_DEP_2)
	v_cmpx_ne_u32_e32 0x7f, v52
	s_cbranch_execz .LBB277_232
; %bb.229:                              ;   in Loop: Header=BB277_10 Depth=1
	v_and_b32_e32 v9, 7, v1
	v_lshrrev_b32_e32 v50, 3, v52
	s_mov_b32 s35, exec_lo
	v_cmpx_gt_u32_e32 8, v52
; %bb.230:                              ;   in Loop: Header=BB277_10 Depth=1
	s_delay_alu instid0(VALU_DEP_3) | instskip(NEXT) | instid1(VALU_DEP_1)
	v_clz_i32_u32_e32 v9, v9
	v_min_u32_e32 v9, 32, v9
	s_delay_alu instid0(VALU_DEP_1) | instskip(NEXT) | instid1(VALU_DEP_1)
	v_subrev_nc_u32_e32 v50, 28, v9
	v_lshlrev_b64_e32 v[52:53], v50, v[1:2]
	v_sub_nc_u32_e32 v50, 29, v9
	s_delay_alu instid0(VALU_DEP_2)
	v_and_b32_e32 v9, 7, v52
; %bb.231:                              ;   in Loop: Header=BB277_10 Depth=1
	s_wait_alu 0xfffe
	s_or_b32 exec_lo, exec_lo, s35
	v_lshlrev_b32_e32 v1, 8, v1
	v_lshl_add_u32 v50, v50, 10, 0x2000
	v_lshlrev_b32_e32 v9, 23, v9
	s_delay_alu instid0(VALU_DEP_2) | instskip(NEXT) | instid1(VALU_DEP_1)
	v_and_or_b32 v1, 0x8000, v1, v50
	v_lshl_or_b32 v50, v1, 16, v9
.LBB277_232:                            ;   in Loop: Header=BB277_10 Depth=1
	s_wait_alu 0xfffe
	s_or_b32 exec_lo, exec_lo, s34
.LBB277_233:                            ;   in Loop: Header=BB277_10 Depth=1
	s_delay_alu instid0(SALU_CYCLE_1)
	s_or_b32 exec_lo, exec_lo, s33
.LBB277_234:                            ;   in Loop: Header=BB277_10 Depth=1
	s_wait_alu 0xfffe
	s_or_b32 exec_lo, exec_lo, s5
	global_load_b32 v9, v[7:8], off offset:776
	v_mov_b32_e32 v53, 0
	s_mov_b32 s5, exec_lo
	s_wait_loadcnt 0x0
	v_dual_mov_b32 v52, 0 :: v_dual_and_b32 v1, 0xff, v9
	s_delay_alu instid0(VALU_DEP_1)
	v_cmpx_ne_u16_e32 0, v1
	s_cbranch_execz .LBB277_242
; %bb.235:                              ;   in Loop: Header=BB277_10 Depth=1
	v_mov_b32_e32 v53, 0x8000
	s_mov_b32 s33, exec_lo
	v_cmpx_ne_u16_e32 0x80, v1
	s_cbranch_execz .LBB277_241
; %bb.236:                              ;   in Loop: Header=BB277_10 Depth=1
	v_and_b32_e32 v54, 0x7f, v9
	v_mov_b32_e32 v53, 0x7c01
	s_mov_b32 s34, exec_lo
	s_delay_alu instid0(VALU_DEP_2)
	v_cmpx_ne_u32_e32 0x7f, v54
	s_cbranch_execz .LBB277_240
; %bb.237:                              ;   in Loop: Header=BB277_10 Depth=1
	v_and_b32_e32 v1, 7, v9
	v_lshrrev_b32_e32 v53, 3, v54
	s_mov_b32 s35, exec_lo
	v_cmpx_gt_u32_e32 8, v54
; %bb.238:                              ;   in Loop: Header=BB277_10 Depth=1
	s_delay_alu instid0(VALU_DEP_3) | instskip(NEXT) | instid1(VALU_DEP_1)
	v_clz_i32_u32_e32 v1, v1
	v_min_u32_e32 v1, 32, v1
	s_delay_alu instid0(VALU_DEP_1) | instskip(NEXT) | instid1(VALU_DEP_1)
	v_subrev_nc_u32_e32 v53, 28, v1
	v_lshlrev_b64_e32 v[54:55], v53, v[9:10]
	v_sub_nc_u32_e32 v53, 29, v1
	s_delay_alu instid0(VALU_DEP_2)
	v_and_b32_e32 v1, 7, v54
; %bb.239:                              ;   in Loop: Header=BB277_10 Depth=1
	s_wait_alu 0xfffe
	s_or_b32 exec_lo, exec_lo, s35
	v_lshlrev_b32_e32 v54, 8, v9
	v_lshl_add_u32 v53, v53, 10, 0x2000
	v_lshlrev_b32_e32 v1, 7, v1
	s_delay_alu instid0(VALU_DEP_3) | instskip(NEXT) | instid1(VALU_DEP_3)
	v_and_b32_e32 v54, 0x8000, v54
	v_and_b32_e32 v53, 0xfc00, v53
	s_delay_alu instid0(VALU_DEP_1)
	v_or3_b32 v53, v54, v53, v1
.LBB277_240:                            ;   in Loop: Header=BB277_10 Depth=1
	s_wait_alu 0xfffe
	s_or_b32 exec_lo, exec_lo, s34
.LBB277_241:                            ;   in Loop: Header=BB277_10 Depth=1
	s_delay_alu instid0(SALU_CYCLE_1)
	s_or_b32 exec_lo, exec_lo, s33
.LBB277_242:                            ;   in Loop: Header=BB277_10 Depth=1
	s_wait_alu 0xfffe
	s_or_b32 exec_lo, exec_lo, s5
	v_lshrrev_b16 v1, 8, v9
	s_mov_b32 s5, exec_lo
	s_delay_alu instid0(VALU_DEP_1)
	v_cmpx_ne_u16_e32 0, v1
	s_cbranch_execz .LBB277_250
; %bb.243:                              ;   in Loop: Header=BB277_10 Depth=1
	v_bfrev_b32_e32 v52, 1
	s_mov_b32 s33, exec_lo
	v_cmpx_ne_u16_e32 0x80, v1
	s_cbranch_execz .LBB277_249
; %bb.244:                              ;   in Loop: Header=BB277_10 Depth=1
	v_and_b32_e32 v54, 0xffff, v1
	v_mov_b32_e32 v52, 0x7c010000
	s_mov_b32 s34, exec_lo
	s_delay_alu instid0(VALU_DEP_2) | instskip(NEXT) | instid1(VALU_DEP_1)
	v_and_b32_e32 v56, 0x7f, v54
	v_cmpx_ne_u32_e32 0x7f, v56
	s_cbranch_execz .LBB277_248
; %bb.245:                              ;   in Loop: Header=BB277_10 Depth=1
	v_and_b32_e32 v52, 7, v54
	v_lshrrev_b32_e32 v55, 3, v56
	s_mov_b32 s35, exec_lo
	v_cmpx_gt_u32_e32 8, v56
; %bb.246:                              ;   in Loop: Header=BB277_10 Depth=1
	s_delay_alu instid0(VALU_DEP_3) | instskip(NEXT) | instid1(VALU_DEP_1)
	v_clz_i32_u32_e32 v52, v52
	v_min_u32_e32 v52, 32, v52
	s_delay_alu instid0(VALU_DEP_1) | instskip(NEXT) | instid1(VALU_DEP_1)
	v_subrev_nc_u32_e32 v55, 28, v52
	v_lshlrev_b64_e32 v[56:57], v55, v[1:2]
	v_sub_nc_u32_e32 v55, 29, v52
	s_delay_alu instid0(VALU_DEP_2)
	v_and_b32_e32 v52, 7, v56
; %bb.247:                              ;   in Loop: Header=BB277_10 Depth=1
	s_wait_alu 0xfffe
	s_or_b32 exec_lo, exec_lo, s35
	v_lshlrev_b32_e32 v1, 8, v54
	v_lshl_add_u32 v54, v55, 10, 0x2000
	v_lshlrev_b32_e32 v52, 23, v52
	s_delay_alu instid0(VALU_DEP_2) | instskip(NEXT) | instid1(VALU_DEP_1)
	v_and_or_b32 v1, 0x8000, v1, v54
	v_lshl_or_b32 v52, v1, 16, v52
.LBB277_248:                            ;   in Loop: Header=BB277_10 Depth=1
	s_wait_alu 0xfffe
	s_or_b32 exec_lo, exec_lo, s34
.LBB277_249:                            ;   in Loop: Header=BB277_10 Depth=1
	s_delay_alu instid0(SALU_CYCLE_1)
	s_or_b32 exec_lo, exec_lo, s33
.LBB277_250:                            ;   in Loop: Header=BB277_10 Depth=1
	s_wait_alu 0xfffe
	s_or_b32 exec_lo, exec_lo, s5
	v_lshrrev_b32_e32 v1, 16, v9
	v_mov_b32_e32 v54, 0
	s_mov_b32 s5, exec_lo
	s_delay_alu instid0(VALU_DEP_2) | instskip(NEXT) | instid1(VALU_DEP_1)
	v_dual_mov_b32 v55, 0 :: v_dual_and_b32 v56, 0xff, v1
	v_cmpx_ne_u16_e32 0, v56
	s_cbranch_execz .LBB277_258
; %bb.251:                              ;   in Loop: Header=BB277_10 Depth=1
	v_mov_b32_e32 v55, 0x8000
	s_mov_b32 s33, exec_lo
	v_cmpx_ne_u16_e32 0x80, v56
	s_cbranch_execz .LBB277_257
; %bb.252:                              ;   in Loop: Header=BB277_10 Depth=1
	v_bfe_u32 v57, v9, 16, 7
	v_mov_b32_e32 v55, 0x7c01
	s_mov_b32 s34, exec_lo
	s_delay_alu instid0(VALU_DEP_2)
	v_cmpx_ne_u32_e32 0x7f, v57
	s_cbranch_execz .LBB277_256
; %bb.253:                              ;   in Loop: Header=BB277_10 Depth=1
	v_and_b32_e32 v55, 7, v1
	v_lshrrev_b32_e32 v56, 3, v57
	s_mov_b32 s35, exec_lo
	v_cmpx_gt_u32_e32 8, v57
; %bb.254:                              ;   in Loop: Header=BB277_10 Depth=1
	s_delay_alu instid0(VALU_DEP_3) | instskip(NEXT) | instid1(VALU_DEP_1)
	v_clz_i32_u32_e32 v55, v55
	v_min_u32_e32 v57, 32, v55
	s_delay_alu instid0(VALU_DEP_1) | instskip(NEXT) | instid1(VALU_DEP_1)
	v_subrev_nc_u32_e32 v55, 28, v57
	v_lshlrev_b64_e32 v[55:56], v55, v[1:2]
	v_sub_nc_u32_e32 v56, 29, v57
	s_delay_alu instid0(VALU_DEP_2)
	v_and_b32_e32 v55, 7, v55
; %bb.255:                              ;   in Loop: Header=BB277_10 Depth=1
	s_wait_alu 0xfffe
	s_or_b32 exec_lo, exec_lo, s35
	v_lshlrev_b32_e32 v1, 8, v1
	v_lshl_add_u32 v56, v56, 10, 0x2000
	v_lshlrev_b32_e32 v55, 7, v55
	s_delay_alu instid0(VALU_DEP_3) | instskip(NEXT) | instid1(VALU_DEP_3)
	v_and_b32_e32 v1, 0x8000, v1
	v_and_b32_e32 v56, 0xfc00, v56
	s_delay_alu instid0(VALU_DEP_1)
	v_or3_b32 v55, v1, v56, v55
.LBB277_256:                            ;   in Loop: Header=BB277_10 Depth=1
	s_wait_alu 0xfffe
	s_or_b32 exec_lo, exec_lo, s34
.LBB277_257:                            ;   in Loop: Header=BB277_10 Depth=1
	s_delay_alu instid0(SALU_CYCLE_1)
	s_or_b32 exec_lo, exec_lo, s33
.LBB277_258:                            ;   in Loop: Header=BB277_10 Depth=1
	s_wait_alu 0xfffe
	s_or_b32 exec_lo, exec_lo, s5
	s_delay_alu instid0(SALU_CYCLE_1)
	s_mov_b32 s5, exec_lo
	v_cmpx_lt_u32_e32 0xffffff, v9
	s_cbranch_execz .LBB277_266
; %bb.259:                              ;   in Loop: Header=BB277_10 Depth=1
	v_lshrrev_b32_e32 v1, 24, v9
	v_bfrev_b32_e32 v54, 1
	s_mov_b32 s33, exec_lo
	s_delay_alu instid0(VALU_DEP_2)
	v_cmpx_ne_u32_e32 0x80, v1
	s_cbranch_execz .LBB277_265
; %bb.260:                              ;   in Loop: Header=BB277_10 Depth=1
	v_and_b32_e32 v56, 0x7f, v1
	v_mov_b32_e32 v54, 0x7c010000
	s_mov_b32 s34, exec_lo
	s_delay_alu instid0(VALU_DEP_2)
	v_cmpx_ne_u32_e32 0x7f, v56
	s_cbranch_execz .LBB277_264
; %bb.261:                              ;   in Loop: Header=BB277_10 Depth=1
	v_and_b32_e32 v9, 7, v1
	v_lshrrev_b32_e32 v54, 3, v56
	s_mov_b32 s35, exec_lo
	v_cmpx_gt_u32_e32 8, v56
; %bb.262:                              ;   in Loop: Header=BB277_10 Depth=1
	s_delay_alu instid0(VALU_DEP_3) | instskip(NEXT) | instid1(VALU_DEP_1)
	v_clz_i32_u32_e32 v9, v9
	v_min_u32_e32 v9, 32, v9
	s_delay_alu instid0(VALU_DEP_1) | instskip(NEXT) | instid1(VALU_DEP_1)
	v_subrev_nc_u32_e32 v54, 28, v9
	v_lshlrev_b64_e32 v[56:57], v54, v[1:2]
	v_sub_nc_u32_e32 v54, 29, v9
	s_delay_alu instid0(VALU_DEP_2)
	v_and_b32_e32 v9, 7, v56
; %bb.263:                              ;   in Loop: Header=BB277_10 Depth=1
	s_wait_alu 0xfffe
	s_or_b32 exec_lo, exec_lo, s35
	v_lshlrev_b32_e32 v1, 8, v1
	v_lshl_add_u32 v54, v54, 10, 0x2000
	v_lshlrev_b32_e32 v9, 23, v9
	s_delay_alu instid0(VALU_DEP_2) | instskip(NEXT) | instid1(VALU_DEP_1)
	v_and_or_b32 v1, 0x8000, v1, v54
	v_lshl_or_b32 v54, v1, 16, v9
.LBB277_264:                            ;   in Loop: Header=BB277_10 Depth=1
	s_wait_alu 0xfffe
	s_or_b32 exec_lo, exec_lo, s34
.LBB277_265:                            ;   in Loop: Header=BB277_10 Depth=1
	s_delay_alu instid0(SALU_CYCLE_1)
	s_or_b32 exec_lo, exec_lo, s33
.LBB277_266:                            ;   in Loop: Header=BB277_10 Depth=1
	s_wait_alu 0xfffe
	s_or_b32 exec_lo, exec_lo, s5
	global_load_b32 v9, v[7:8], off offset:1024
	v_mov_b32_e32 v57, 0
	s_mov_b32 s5, exec_lo
	s_wait_loadcnt 0x0
	v_dual_mov_b32 v56, 0 :: v_dual_and_b32 v1, 0xff, v9
	s_delay_alu instid0(VALU_DEP_1)
	v_cmpx_ne_u16_e32 0, v1
	s_cbranch_execz .LBB277_274
; %bb.267:                              ;   in Loop: Header=BB277_10 Depth=1
	v_mov_b32_e32 v57, 0x8000
	s_mov_b32 s33, exec_lo
	v_cmpx_ne_u16_e32 0x80, v1
	s_cbranch_execz .LBB277_273
; %bb.268:                              ;   in Loop: Header=BB277_10 Depth=1
	v_and_b32_e32 v58, 0x7f, v9
	v_mov_b32_e32 v57, 0x7c01
	s_mov_b32 s34, exec_lo
	s_delay_alu instid0(VALU_DEP_2)
	v_cmpx_ne_u32_e32 0x7f, v58
	s_cbranch_execz .LBB277_272
; %bb.269:                              ;   in Loop: Header=BB277_10 Depth=1
	v_and_b32_e32 v1, 7, v9
	v_lshrrev_b32_e32 v57, 3, v58
	s_mov_b32 s35, exec_lo
	v_cmpx_gt_u32_e32 8, v58
; %bb.270:                              ;   in Loop: Header=BB277_10 Depth=1
	s_delay_alu instid0(VALU_DEP_3) | instskip(NEXT) | instid1(VALU_DEP_1)
	v_clz_i32_u32_e32 v1, v1
	v_min_u32_e32 v1, 32, v1
	s_delay_alu instid0(VALU_DEP_1) | instskip(NEXT) | instid1(VALU_DEP_1)
	v_subrev_nc_u32_e32 v57, 28, v1
	v_lshlrev_b64_e32 v[58:59], v57, v[9:10]
	v_sub_nc_u32_e32 v57, 29, v1
	s_delay_alu instid0(VALU_DEP_2)
	v_and_b32_e32 v1, 7, v58
; %bb.271:                              ;   in Loop: Header=BB277_10 Depth=1
	s_wait_alu 0xfffe
	s_or_b32 exec_lo, exec_lo, s35
	v_lshlrev_b32_e32 v58, 8, v9
	v_lshl_add_u32 v57, v57, 10, 0x2000
	v_lshlrev_b32_e32 v1, 7, v1
	s_delay_alu instid0(VALU_DEP_3) | instskip(NEXT) | instid1(VALU_DEP_3)
	v_and_b32_e32 v58, 0x8000, v58
	v_and_b32_e32 v57, 0xfc00, v57
	s_delay_alu instid0(VALU_DEP_1)
	v_or3_b32 v57, v58, v57, v1
.LBB277_272:                            ;   in Loop: Header=BB277_10 Depth=1
	s_wait_alu 0xfffe
	s_or_b32 exec_lo, exec_lo, s34
.LBB277_273:                            ;   in Loop: Header=BB277_10 Depth=1
	s_delay_alu instid0(SALU_CYCLE_1)
	s_or_b32 exec_lo, exec_lo, s33
.LBB277_274:                            ;   in Loop: Header=BB277_10 Depth=1
	s_wait_alu 0xfffe
	s_or_b32 exec_lo, exec_lo, s5
	v_lshrrev_b16 v1, 8, v9
	s_mov_b32 s5, exec_lo
	s_delay_alu instid0(VALU_DEP_1)
	v_cmpx_ne_u16_e32 0, v1
	s_cbranch_execz .LBB277_282
; %bb.275:                              ;   in Loop: Header=BB277_10 Depth=1
	v_bfrev_b32_e32 v56, 1
	s_mov_b32 s33, exec_lo
	v_cmpx_ne_u16_e32 0x80, v1
	s_cbranch_execz .LBB277_281
; %bb.276:                              ;   in Loop: Header=BB277_10 Depth=1
	v_and_b32_e32 v58, 0xffff, v1
	v_mov_b32_e32 v56, 0x7c010000
	s_mov_b32 s34, exec_lo
	s_delay_alu instid0(VALU_DEP_2) | instskip(NEXT) | instid1(VALU_DEP_1)
	v_and_b32_e32 v60, 0x7f, v58
	v_cmpx_ne_u32_e32 0x7f, v60
	s_cbranch_execz .LBB277_280
; %bb.277:                              ;   in Loop: Header=BB277_10 Depth=1
	v_and_b32_e32 v56, 7, v58
	v_lshrrev_b32_e32 v59, 3, v60
	s_mov_b32 s35, exec_lo
	v_cmpx_gt_u32_e32 8, v60
; %bb.278:                              ;   in Loop: Header=BB277_10 Depth=1
	s_delay_alu instid0(VALU_DEP_3) | instskip(NEXT) | instid1(VALU_DEP_1)
	v_clz_i32_u32_e32 v56, v56
	v_min_u32_e32 v56, 32, v56
	s_delay_alu instid0(VALU_DEP_1) | instskip(NEXT) | instid1(VALU_DEP_1)
	v_subrev_nc_u32_e32 v59, 28, v56
	v_lshlrev_b64_e32 v[60:61], v59, v[1:2]
	v_sub_nc_u32_e32 v59, 29, v56
	s_delay_alu instid0(VALU_DEP_2)
	v_and_b32_e32 v56, 7, v60
; %bb.279:                              ;   in Loop: Header=BB277_10 Depth=1
	s_wait_alu 0xfffe
	s_or_b32 exec_lo, exec_lo, s35
	v_lshlrev_b32_e32 v1, 8, v58
	v_lshl_add_u32 v58, v59, 10, 0x2000
	v_lshlrev_b32_e32 v56, 23, v56
	s_delay_alu instid0(VALU_DEP_2) | instskip(NEXT) | instid1(VALU_DEP_1)
	v_and_or_b32 v1, 0x8000, v1, v58
	v_lshl_or_b32 v56, v1, 16, v56
.LBB277_280:                            ;   in Loop: Header=BB277_10 Depth=1
	s_wait_alu 0xfffe
	s_or_b32 exec_lo, exec_lo, s34
.LBB277_281:                            ;   in Loop: Header=BB277_10 Depth=1
	s_delay_alu instid0(SALU_CYCLE_1)
	s_or_b32 exec_lo, exec_lo, s33
.LBB277_282:                            ;   in Loop: Header=BB277_10 Depth=1
	s_wait_alu 0xfffe
	s_or_b32 exec_lo, exec_lo, s5
	v_lshrrev_b32_e32 v1, 16, v9
	v_mov_b32_e32 v58, 0
	s_mov_b32 s5, exec_lo
	s_delay_alu instid0(VALU_DEP_2) | instskip(NEXT) | instid1(VALU_DEP_1)
	v_dual_mov_b32 v59, 0 :: v_dual_and_b32 v60, 0xff, v1
	v_cmpx_ne_u16_e32 0, v60
	s_cbranch_execz .LBB277_290
; %bb.283:                              ;   in Loop: Header=BB277_10 Depth=1
	v_mov_b32_e32 v59, 0x8000
	s_mov_b32 s33, exec_lo
	v_cmpx_ne_u16_e32 0x80, v60
	s_cbranch_execz .LBB277_289
; %bb.284:                              ;   in Loop: Header=BB277_10 Depth=1
	v_bfe_u32 v61, v9, 16, 7
	v_mov_b32_e32 v59, 0x7c01
	s_mov_b32 s34, exec_lo
	s_delay_alu instid0(VALU_DEP_2)
	v_cmpx_ne_u32_e32 0x7f, v61
	s_cbranch_execz .LBB277_288
; %bb.285:                              ;   in Loop: Header=BB277_10 Depth=1
	v_and_b32_e32 v59, 7, v1
	v_lshrrev_b32_e32 v60, 3, v61
	s_mov_b32 s35, exec_lo
	v_cmpx_gt_u32_e32 8, v61
; %bb.286:                              ;   in Loop: Header=BB277_10 Depth=1
	s_delay_alu instid0(VALU_DEP_3) | instskip(NEXT) | instid1(VALU_DEP_1)
	v_clz_i32_u32_e32 v59, v59
	v_min_u32_e32 v61, 32, v59
	s_delay_alu instid0(VALU_DEP_1) | instskip(NEXT) | instid1(VALU_DEP_1)
	v_subrev_nc_u32_e32 v59, 28, v61
	v_lshlrev_b64_e32 v[59:60], v59, v[1:2]
	v_sub_nc_u32_e32 v60, 29, v61
	s_delay_alu instid0(VALU_DEP_2)
	v_and_b32_e32 v59, 7, v59
; %bb.287:                              ;   in Loop: Header=BB277_10 Depth=1
	s_wait_alu 0xfffe
	s_or_b32 exec_lo, exec_lo, s35
	v_lshlrev_b32_e32 v1, 8, v1
	v_lshl_add_u32 v60, v60, 10, 0x2000
	v_lshlrev_b32_e32 v59, 7, v59
	s_delay_alu instid0(VALU_DEP_3) | instskip(NEXT) | instid1(VALU_DEP_3)
	v_and_b32_e32 v1, 0x8000, v1
	v_and_b32_e32 v60, 0xfc00, v60
	s_delay_alu instid0(VALU_DEP_1)
	v_or3_b32 v59, v1, v60, v59
.LBB277_288:                            ;   in Loop: Header=BB277_10 Depth=1
	s_wait_alu 0xfffe
	s_or_b32 exec_lo, exec_lo, s34
.LBB277_289:                            ;   in Loop: Header=BB277_10 Depth=1
	s_delay_alu instid0(SALU_CYCLE_1)
	s_or_b32 exec_lo, exec_lo, s33
.LBB277_290:                            ;   in Loop: Header=BB277_10 Depth=1
	s_wait_alu 0xfffe
	s_or_b32 exec_lo, exec_lo, s5
	s_delay_alu instid0(SALU_CYCLE_1)
	s_mov_b32 s5, exec_lo
	v_cmpx_lt_u32_e32 0xffffff, v9
	s_cbranch_execz .LBB277_298
; %bb.291:                              ;   in Loop: Header=BB277_10 Depth=1
	v_lshrrev_b32_e32 v1, 24, v9
	v_bfrev_b32_e32 v58, 1
	s_mov_b32 s33, exec_lo
	s_delay_alu instid0(VALU_DEP_2)
	v_cmpx_ne_u32_e32 0x80, v1
	s_cbranch_execz .LBB277_297
; %bb.292:                              ;   in Loop: Header=BB277_10 Depth=1
	v_and_b32_e32 v60, 0x7f, v1
	v_mov_b32_e32 v58, 0x7c010000
	s_mov_b32 s34, exec_lo
	s_delay_alu instid0(VALU_DEP_2)
	v_cmpx_ne_u32_e32 0x7f, v60
	s_cbranch_execz .LBB277_296
; %bb.293:                              ;   in Loop: Header=BB277_10 Depth=1
	v_and_b32_e32 v9, 7, v1
	v_lshrrev_b32_e32 v58, 3, v60
	s_mov_b32 s35, exec_lo
	v_cmpx_gt_u32_e32 8, v60
; %bb.294:                              ;   in Loop: Header=BB277_10 Depth=1
	s_delay_alu instid0(VALU_DEP_3) | instskip(NEXT) | instid1(VALU_DEP_1)
	v_clz_i32_u32_e32 v9, v9
	v_min_u32_e32 v9, 32, v9
	s_delay_alu instid0(VALU_DEP_1) | instskip(NEXT) | instid1(VALU_DEP_1)
	v_subrev_nc_u32_e32 v58, 28, v9
	v_lshlrev_b64_e32 v[60:61], v58, v[1:2]
	v_sub_nc_u32_e32 v58, 29, v9
	s_delay_alu instid0(VALU_DEP_2)
	v_and_b32_e32 v9, 7, v60
; %bb.295:                              ;   in Loop: Header=BB277_10 Depth=1
	s_wait_alu 0xfffe
	s_or_b32 exec_lo, exec_lo, s35
	v_lshlrev_b32_e32 v1, 8, v1
	v_lshl_add_u32 v58, v58, 10, 0x2000
	v_lshlrev_b32_e32 v9, 23, v9
	s_delay_alu instid0(VALU_DEP_2) | instskip(NEXT) | instid1(VALU_DEP_1)
	v_and_or_b32 v1, 0x8000, v1, v58
	v_lshl_or_b32 v58, v1, 16, v9
.LBB277_296:                            ;   in Loop: Header=BB277_10 Depth=1
	s_wait_alu 0xfffe
	s_or_b32 exec_lo, exec_lo, s34
.LBB277_297:                            ;   in Loop: Header=BB277_10 Depth=1
	s_delay_alu instid0(SALU_CYCLE_1)
	s_or_b32 exec_lo, exec_lo, s33
.LBB277_298:                            ;   in Loop: Header=BB277_10 Depth=1
	s_wait_alu 0xfffe
	s_or_b32 exec_lo, exec_lo, s5
	global_load_b32 v9, v[7:8], off offset:1032
	v_mov_b32_e32 v61, 0
	s_mov_b32 s5, exec_lo
	s_wait_loadcnt 0x0
	v_dual_mov_b32 v60, 0 :: v_dual_and_b32 v1, 0xff, v9
	s_delay_alu instid0(VALU_DEP_1)
	v_cmpx_ne_u16_e32 0, v1
	s_cbranch_execz .LBB277_306
; %bb.299:                              ;   in Loop: Header=BB277_10 Depth=1
	v_mov_b32_e32 v61, 0x8000
	s_mov_b32 s33, exec_lo
	v_cmpx_ne_u16_e32 0x80, v1
	s_cbranch_execz .LBB277_305
; %bb.300:                              ;   in Loop: Header=BB277_10 Depth=1
	v_and_b32_e32 v62, 0x7f, v9
	v_mov_b32_e32 v61, 0x7c01
	s_mov_b32 s34, exec_lo
	s_delay_alu instid0(VALU_DEP_2)
	v_cmpx_ne_u32_e32 0x7f, v62
	s_cbranch_execz .LBB277_304
; %bb.301:                              ;   in Loop: Header=BB277_10 Depth=1
	v_and_b32_e32 v1, 7, v9
	v_lshrrev_b32_e32 v61, 3, v62
	s_mov_b32 s35, exec_lo
	v_cmpx_gt_u32_e32 8, v62
; %bb.302:                              ;   in Loop: Header=BB277_10 Depth=1
	s_delay_alu instid0(VALU_DEP_3) | instskip(NEXT) | instid1(VALU_DEP_1)
	v_clz_i32_u32_e32 v1, v1
	v_min_u32_e32 v1, 32, v1
	s_delay_alu instid0(VALU_DEP_1) | instskip(NEXT) | instid1(VALU_DEP_1)
	v_subrev_nc_u32_e32 v61, 28, v1
	v_lshlrev_b64_e32 v[62:63], v61, v[9:10]
	v_sub_nc_u32_e32 v61, 29, v1
	s_delay_alu instid0(VALU_DEP_2)
	v_and_b32_e32 v1, 7, v62
; %bb.303:                              ;   in Loop: Header=BB277_10 Depth=1
	s_wait_alu 0xfffe
	s_or_b32 exec_lo, exec_lo, s35
	v_lshlrev_b32_e32 v62, 8, v9
	v_lshl_add_u32 v61, v61, 10, 0x2000
	v_lshlrev_b32_e32 v1, 7, v1
	s_delay_alu instid0(VALU_DEP_3) | instskip(NEXT) | instid1(VALU_DEP_3)
	v_and_b32_e32 v62, 0x8000, v62
	v_and_b32_e32 v61, 0xfc00, v61
	s_delay_alu instid0(VALU_DEP_1)
	v_or3_b32 v61, v62, v61, v1
.LBB277_304:                            ;   in Loop: Header=BB277_10 Depth=1
	s_wait_alu 0xfffe
	s_or_b32 exec_lo, exec_lo, s34
.LBB277_305:                            ;   in Loop: Header=BB277_10 Depth=1
	s_delay_alu instid0(SALU_CYCLE_1)
	s_or_b32 exec_lo, exec_lo, s33
.LBB277_306:                            ;   in Loop: Header=BB277_10 Depth=1
	s_wait_alu 0xfffe
	s_or_b32 exec_lo, exec_lo, s5
	v_lshrrev_b16 v1, 8, v9
	s_mov_b32 s5, exec_lo
	s_delay_alu instid0(VALU_DEP_1)
	v_cmpx_ne_u16_e32 0, v1
	s_cbranch_execz .LBB277_314
; %bb.307:                              ;   in Loop: Header=BB277_10 Depth=1
	v_bfrev_b32_e32 v60, 1
	s_mov_b32 s33, exec_lo
	v_cmpx_ne_u16_e32 0x80, v1
	s_cbranch_execz .LBB277_313
; %bb.308:                              ;   in Loop: Header=BB277_10 Depth=1
	v_and_b32_e32 v62, 0xffff, v1
	v_mov_b32_e32 v60, 0x7c010000
	s_mov_b32 s34, exec_lo
	s_delay_alu instid0(VALU_DEP_2) | instskip(NEXT) | instid1(VALU_DEP_1)
	v_and_b32_e32 v64, 0x7f, v62
	v_cmpx_ne_u32_e32 0x7f, v64
	s_cbranch_execz .LBB277_312
; %bb.309:                              ;   in Loop: Header=BB277_10 Depth=1
	v_and_b32_e32 v60, 7, v62
	v_lshrrev_b32_e32 v63, 3, v64
	s_mov_b32 s35, exec_lo
	v_cmpx_gt_u32_e32 8, v64
; %bb.310:                              ;   in Loop: Header=BB277_10 Depth=1
	s_delay_alu instid0(VALU_DEP_3) | instskip(NEXT) | instid1(VALU_DEP_1)
	v_clz_i32_u32_e32 v60, v60
	v_min_u32_e32 v60, 32, v60
	s_delay_alu instid0(VALU_DEP_1) | instskip(NEXT) | instid1(VALU_DEP_1)
	v_subrev_nc_u32_e32 v63, 28, v60
	v_lshlrev_b64_e32 v[64:65], v63, v[1:2]
	v_sub_nc_u32_e32 v63, 29, v60
	s_delay_alu instid0(VALU_DEP_2)
	v_and_b32_e32 v60, 7, v64
; %bb.311:                              ;   in Loop: Header=BB277_10 Depth=1
	s_wait_alu 0xfffe
	s_or_b32 exec_lo, exec_lo, s35
	v_lshlrev_b32_e32 v1, 8, v62
	v_lshl_add_u32 v62, v63, 10, 0x2000
	v_lshlrev_b32_e32 v60, 23, v60
	s_delay_alu instid0(VALU_DEP_2) | instskip(NEXT) | instid1(VALU_DEP_1)
	v_and_or_b32 v1, 0x8000, v1, v62
	v_lshl_or_b32 v60, v1, 16, v60
.LBB277_312:                            ;   in Loop: Header=BB277_10 Depth=1
	s_wait_alu 0xfffe
	s_or_b32 exec_lo, exec_lo, s34
.LBB277_313:                            ;   in Loop: Header=BB277_10 Depth=1
	s_delay_alu instid0(SALU_CYCLE_1)
	s_or_b32 exec_lo, exec_lo, s33
.LBB277_314:                            ;   in Loop: Header=BB277_10 Depth=1
	s_wait_alu 0xfffe
	s_or_b32 exec_lo, exec_lo, s5
	v_lshrrev_b32_e32 v1, 16, v9
	v_mov_b32_e32 v62, 0
	s_mov_b32 s5, exec_lo
	s_delay_alu instid0(VALU_DEP_2) | instskip(NEXT) | instid1(VALU_DEP_1)
	v_dual_mov_b32 v63, 0 :: v_dual_and_b32 v64, 0xff, v1
	v_cmpx_ne_u16_e32 0, v64
	s_cbranch_execz .LBB277_322
; %bb.315:                              ;   in Loop: Header=BB277_10 Depth=1
	v_mov_b32_e32 v63, 0x8000
	s_mov_b32 s33, exec_lo
	v_cmpx_ne_u16_e32 0x80, v64
	s_cbranch_execz .LBB277_321
; %bb.316:                              ;   in Loop: Header=BB277_10 Depth=1
	v_bfe_u32 v65, v9, 16, 7
	v_mov_b32_e32 v63, 0x7c01
	s_mov_b32 s34, exec_lo
	s_delay_alu instid0(VALU_DEP_2)
	v_cmpx_ne_u32_e32 0x7f, v65
	s_cbranch_execz .LBB277_320
; %bb.317:                              ;   in Loop: Header=BB277_10 Depth=1
	v_and_b32_e32 v63, 7, v1
	v_lshrrev_b32_e32 v64, 3, v65
	s_mov_b32 s35, exec_lo
	v_cmpx_gt_u32_e32 8, v65
; %bb.318:                              ;   in Loop: Header=BB277_10 Depth=1
	s_delay_alu instid0(VALU_DEP_3) | instskip(NEXT) | instid1(VALU_DEP_1)
	v_clz_i32_u32_e32 v63, v63
	v_min_u32_e32 v65, 32, v63
	s_delay_alu instid0(VALU_DEP_1) | instskip(NEXT) | instid1(VALU_DEP_1)
	v_subrev_nc_u32_e32 v63, 28, v65
	v_lshlrev_b64_e32 v[63:64], v63, v[1:2]
	v_sub_nc_u32_e32 v64, 29, v65
	s_delay_alu instid0(VALU_DEP_2)
	v_and_b32_e32 v63, 7, v63
; %bb.319:                              ;   in Loop: Header=BB277_10 Depth=1
	s_wait_alu 0xfffe
	s_or_b32 exec_lo, exec_lo, s35
	v_lshlrev_b32_e32 v1, 8, v1
	v_lshl_add_u32 v64, v64, 10, 0x2000
	v_lshlrev_b32_e32 v63, 7, v63
	s_delay_alu instid0(VALU_DEP_3) | instskip(NEXT) | instid1(VALU_DEP_3)
	v_and_b32_e32 v1, 0x8000, v1
	v_and_b32_e32 v64, 0xfc00, v64
	s_delay_alu instid0(VALU_DEP_1)
	v_or3_b32 v63, v1, v64, v63
.LBB277_320:                            ;   in Loop: Header=BB277_10 Depth=1
	s_wait_alu 0xfffe
	s_or_b32 exec_lo, exec_lo, s34
.LBB277_321:                            ;   in Loop: Header=BB277_10 Depth=1
	s_delay_alu instid0(SALU_CYCLE_1)
	s_or_b32 exec_lo, exec_lo, s33
.LBB277_322:                            ;   in Loop: Header=BB277_10 Depth=1
	s_wait_alu 0xfffe
	s_or_b32 exec_lo, exec_lo, s5
	s_delay_alu instid0(SALU_CYCLE_1)
	s_mov_b32 s5, exec_lo
	v_cmpx_lt_u32_e32 0xffffff, v9
	s_cbranch_execz .LBB277_330
; %bb.323:                              ;   in Loop: Header=BB277_10 Depth=1
	v_lshrrev_b32_e32 v1, 24, v9
	v_bfrev_b32_e32 v62, 1
	s_mov_b32 s33, exec_lo
	s_delay_alu instid0(VALU_DEP_2)
	v_cmpx_ne_u32_e32 0x80, v1
	s_cbranch_execz .LBB277_329
; %bb.324:                              ;   in Loop: Header=BB277_10 Depth=1
	v_and_b32_e32 v64, 0x7f, v1
	v_mov_b32_e32 v62, 0x7c010000
	s_mov_b32 s34, exec_lo
	s_delay_alu instid0(VALU_DEP_2)
	v_cmpx_ne_u32_e32 0x7f, v64
	s_cbranch_execz .LBB277_328
; %bb.325:                              ;   in Loop: Header=BB277_10 Depth=1
	v_and_b32_e32 v9, 7, v1
	v_lshrrev_b32_e32 v62, 3, v64
	s_mov_b32 s35, exec_lo
	v_cmpx_gt_u32_e32 8, v64
; %bb.326:                              ;   in Loop: Header=BB277_10 Depth=1
	s_delay_alu instid0(VALU_DEP_3) | instskip(NEXT) | instid1(VALU_DEP_1)
	v_clz_i32_u32_e32 v9, v9
	v_min_u32_e32 v9, 32, v9
	s_delay_alu instid0(VALU_DEP_1) | instskip(NEXT) | instid1(VALU_DEP_1)
	v_subrev_nc_u32_e32 v62, 28, v9
	v_lshlrev_b64_e32 v[64:65], v62, v[1:2]
	v_sub_nc_u32_e32 v62, 29, v9
	s_delay_alu instid0(VALU_DEP_2)
	v_and_b32_e32 v9, 7, v64
; %bb.327:                              ;   in Loop: Header=BB277_10 Depth=1
	s_wait_alu 0xfffe
	s_or_b32 exec_lo, exec_lo, s35
	v_lshlrev_b32_e32 v1, 8, v1
	v_lshl_add_u32 v62, v62, 10, 0x2000
	v_lshlrev_b32_e32 v9, 23, v9
	s_delay_alu instid0(VALU_DEP_2) | instskip(NEXT) | instid1(VALU_DEP_1)
	v_and_or_b32 v1, 0x8000, v1, v62
	v_lshl_or_b32 v62, v1, 16, v9
.LBB277_328:                            ;   in Loop: Header=BB277_10 Depth=1
	s_wait_alu 0xfffe
	s_or_b32 exec_lo, exec_lo, s34
.LBB277_329:                            ;   in Loop: Header=BB277_10 Depth=1
	s_delay_alu instid0(SALU_CYCLE_1)
	s_or_b32 exec_lo, exec_lo, s33
.LBB277_330:                            ;   in Loop: Header=BB277_10 Depth=1
	s_wait_alu 0xfffe
	s_or_b32 exec_lo, exec_lo, s5
	global_load_b32 v9, v[7:8], off offset:1280
	v_mov_b32_e32 v65, 0
	s_mov_b32 s5, exec_lo
	s_wait_loadcnt 0x0
	v_dual_mov_b32 v64, 0 :: v_dual_and_b32 v1, 0xff, v9
	s_delay_alu instid0(VALU_DEP_1)
	v_cmpx_ne_u16_e32 0, v1
	s_cbranch_execz .LBB277_338
; %bb.331:                              ;   in Loop: Header=BB277_10 Depth=1
	v_mov_b32_e32 v65, 0x8000
	s_mov_b32 s33, exec_lo
	v_cmpx_ne_u16_e32 0x80, v1
	s_cbranch_execz .LBB277_337
; %bb.332:                              ;   in Loop: Header=BB277_10 Depth=1
	v_and_b32_e32 v66, 0x7f, v9
	v_mov_b32_e32 v65, 0x7c01
	s_mov_b32 s34, exec_lo
	s_delay_alu instid0(VALU_DEP_2)
	v_cmpx_ne_u32_e32 0x7f, v66
	s_cbranch_execz .LBB277_336
; %bb.333:                              ;   in Loop: Header=BB277_10 Depth=1
	v_and_b32_e32 v1, 7, v9
	v_lshrrev_b32_e32 v65, 3, v66
	s_mov_b32 s35, exec_lo
	v_cmpx_gt_u32_e32 8, v66
; %bb.334:                              ;   in Loop: Header=BB277_10 Depth=1
	s_delay_alu instid0(VALU_DEP_3) | instskip(NEXT) | instid1(VALU_DEP_1)
	v_clz_i32_u32_e32 v1, v1
	v_min_u32_e32 v1, 32, v1
	s_delay_alu instid0(VALU_DEP_1) | instskip(NEXT) | instid1(VALU_DEP_1)
	v_subrev_nc_u32_e32 v65, 28, v1
	v_lshlrev_b64_e32 v[66:67], v65, v[9:10]
	v_sub_nc_u32_e32 v65, 29, v1
	s_delay_alu instid0(VALU_DEP_2)
	v_and_b32_e32 v1, 7, v66
; %bb.335:                              ;   in Loop: Header=BB277_10 Depth=1
	s_wait_alu 0xfffe
	s_or_b32 exec_lo, exec_lo, s35
	v_lshlrev_b32_e32 v66, 8, v9
	v_lshl_add_u32 v65, v65, 10, 0x2000
	v_lshlrev_b32_e32 v1, 7, v1
	s_delay_alu instid0(VALU_DEP_3) | instskip(NEXT) | instid1(VALU_DEP_3)
	v_and_b32_e32 v66, 0x8000, v66
	v_and_b32_e32 v65, 0xfc00, v65
	s_delay_alu instid0(VALU_DEP_1)
	v_or3_b32 v65, v66, v65, v1
.LBB277_336:                            ;   in Loop: Header=BB277_10 Depth=1
	s_wait_alu 0xfffe
	s_or_b32 exec_lo, exec_lo, s34
.LBB277_337:                            ;   in Loop: Header=BB277_10 Depth=1
	s_delay_alu instid0(SALU_CYCLE_1)
	s_or_b32 exec_lo, exec_lo, s33
.LBB277_338:                            ;   in Loop: Header=BB277_10 Depth=1
	s_wait_alu 0xfffe
	s_or_b32 exec_lo, exec_lo, s5
	v_lshrrev_b16 v1, 8, v9
	s_mov_b32 s5, exec_lo
	s_delay_alu instid0(VALU_DEP_1)
	v_cmpx_ne_u16_e32 0, v1
	s_cbranch_execz .LBB277_346
; %bb.339:                              ;   in Loop: Header=BB277_10 Depth=1
	v_bfrev_b32_e32 v64, 1
	s_mov_b32 s33, exec_lo
	v_cmpx_ne_u16_e32 0x80, v1
	s_cbranch_execz .LBB277_345
; %bb.340:                              ;   in Loop: Header=BB277_10 Depth=1
	v_and_b32_e32 v66, 0xffff, v1
	v_mov_b32_e32 v64, 0x7c010000
	s_mov_b32 s34, exec_lo
	s_delay_alu instid0(VALU_DEP_2) | instskip(NEXT) | instid1(VALU_DEP_1)
	v_and_b32_e32 v68, 0x7f, v66
	v_cmpx_ne_u32_e32 0x7f, v68
	s_cbranch_execz .LBB277_344
; %bb.341:                              ;   in Loop: Header=BB277_10 Depth=1
	v_and_b32_e32 v64, 7, v66
	v_lshrrev_b32_e32 v67, 3, v68
	s_mov_b32 s35, exec_lo
	v_cmpx_gt_u32_e32 8, v68
; %bb.342:                              ;   in Loop: Header=BB277_10 Depth=1
	s_delay_alu instid0(VALU_DEP_3) | instskip(NEXT) | instid1(VALU_DEP_1)
	v_clz_i32_u32_e32 v64, v64
	v_min_u32_e32 v64, 32, v64
	s_delay_alu instid0(VALU_DEP_1) | instskip(NEXT) | instid1(VALU_DEP_1)
	v_subrev_nc_u32_e32 v67, 28, v64
	v_lshlrev_b64_e32 v[68:69], v67, v[1:2]
	v_sub_nc_u32_e32 v67, 29, v64
	s_delay_alu instid0(VALU_DEP_2)
	v_and_b32_e32 v64, 7, v68
; %bb.343:                              ;   in Loop: Header=BB277_10 Depth=1
	s_wait_alu 0xfffe
	s_or_b32 exec_lo, exec_lo, s35
	v_lshlrev_b32_e32 v1, 8, v66
	v_lshl_add_u32 v66, v67, 10, 0x2000
	v_lshlrev_b32_e32 v64, 23, v64
	s_delay_alu instid0(VALU_DEP_2) | instskip(NEXT) | instid1(VALU_DEP_1)
	v_and_or_b32 v1, 0x8000, v1, v66
	v_lshl_or_b32 v64, v1, 16, v64
.LBB277_344:                            ;   in Loop: Header=BB277_10 Depth=1
	s_wait_alu 0xfffe
	s_or_b32 exec_lo, exec_lo, s34
.LBB277_345:                            ;   in Loop: Header=BB277_10 Depth=1
	s_delay_alu instid0(SALU_CYCLE_1)
	s_or_b32 exec_lo, exec_lo, s33
.LBB277_346:                            ;   in Loop: Header=BB277_10 Depth=1
	s_wait_alu 0xfffe
	s_or_b32 exec_lo, exec_lo, s5
	v_lshrrev_b32_e32 v1, 16, v9
	v_mov_b32_e32 v66, 0
	s_mov_b32 s5, exec_lo
	s_delay_alu instid0(VALU_DEP_2) | instskip(NEXT) | instid1(VALU_DEP_1)
	v_dual_mov_b32 v67, 0 :: v_dual_and_b32 v68, 0xff, v1
	v_cmpx_ne_u16_e32 0, v68
	s_cbranch_execz .LBB277_354
; %bb.347:                              ;   in Loop: Header=BB277_10 Depth=1
	v_mov_b32_e32 v67, 0x8000
	s_mov_b32 s33, exec_lo
	v_cmpx_ne_u16_e32 0x80, v68
	s_cbranch_execz .LBB277_353
; %bb.348:                              ;   in Loop: Header=BB277_10 Depth=1
	v_bfe_u32 v69, v9, 16, 7
	v_mov_b32_e32 v67, 0x7c01
	s_mov_b32 s34, exec_lo
	s_delay_alu instid0(VALU_DEP_2)
	v_cmpx_ne_u32_e32 0x7f, v69
	s_cbranch_execz .LBB277_352
; %bb.349:                              ;   in Loop: Header=BB277_10 Depth=1
	v_and_b32_e32 v67, 7, v1
	v_lshrrev_b32_e32 v68, 3, v69
	s_mov_b32 s35, exec_lo
	v_cmpx_gt_u32_e32 8, v69
; %bb.350:                              ;   in Loop: Header=BB277_10 Depth=1
	s_delay_alu instid0(VALU_DEP_3) | instskip(NEXT) | instid1(VALU_DEP_1)
	v_clz_i32_u32_e32 v67, v67
	v_min_u32_e32 v69, 32, v67
	s_delay_alu instid0(VALU_DEP_1) | instskip(NEXT) | instid1(VALU_DEP_1)
	v_subrev_nc_u32_e32 v67, 28, v69
	v_lshlrev_b64_e32 v[67:68], v67, v[1:2]
	v_sub_nc_u32_e32 v68, 29, v69
	s_delay_alu instid0(VALU_DEP_2)
	v_and_b32_e32 v67, 7, v67
; %bb.351:                              ;   in Loop: Header=BB277_10 Depth=1
	s_wait_alu 0xfffe
	s_or_b32 exec_lo, exec_lo, s35
	v_lshlrev_b32_e32 v1, 8, v1
	v_lshl_add_u32 v68, v68, 10, 0x2000
	v_lshlrev_b32_e32 v67, 7, v67
	s_delay_alu instid0(VALU_DEP_3) | instskip(NEXT) | instid1(VALU_DEP_3)
	v_and_b32_e32 v1, 0x8000, v1
	v_and_b32_e32 v68, 0xfc00, v68
	s_delay_alu instid0(VALU_DEP_1)
	v_or3_b32 v67, v1, v68, v67
.LBB277_352:                            ;   in Loop: Header=BB277_10 Depth=1
	s_wait_alu 0xfffe
	s_or_b32 exec_lo, exec_lo, s34
.LBB277_353:                            ;   in Loop: Header=BB277_10 Depth=1
	s_delay_alu instid0(SALU_CYCLE_1)
	s_or_b32 exec_lo, exec_lo, s33
.LBB277_354:                            ;   in Loop: Header=BB277_10 Depth=1
	s_wait_alu 0xfffe
	s_or_b32 exec_lo, exec_lo, s5
	s_delay_alu instid0(SALU_CYCLE_1)
	s_mov_b32 s5, exec_lo
	v_cmpx_lt_u32_e32 0xffffff, v9
	s_cbranch_execz .LBB277_362
; %bb.355:                              ;   in Loop: Header=BB277_10 Depth=1
	v_lshrrev_b32_e32 v1, 24, v9
	v_bfrev_b32_e32 v66, 1
	s_mov_b32 s33, exec_lo
	s_delay_alu instid0(VALU_DEP_2)
	v_cmpx_ne_u32_e32 0x80, v1
	s_cbranch_execz .LBB277_361
; %bb.356:                              ;   in Loop: Header=BB277_10 Depth=1
	v_and_b32_e32 v68, 0x7f, v1
	v_mov_b32_e32 v66, 0x7c010000
	s_mov_b32 s34, exec_lo
	s_delay_alu instid0(VALU_DEP_2)
	v_cmpx_ne_u32_e32 0x7f, v68
	s_cbranch_execz .LBB277_360
; %bb.357:                              ;   in Loop: Header=BB277_10 Depth=1
	v_and_b32_e32 v9, 7, v1
	v_lshrrev_b32_e32 v66, 3, v68
	s_mov_b32 s35, exec_lo
	v_cmpx_gt_u32_e32 8, v68
; %bb.358:                              ;   in Loop: Header=BB277_10 Depth=1
	s_delay_alu instid0(VALU_DEP_3) | instskip(NEXT) | instid1(VALU_DEP_1)
	v_clz_i32_u32_e32 v9, v9
	v_min_u32_e32 v9, 32, v9
	s_delay_alu instid0(VALU_DEP_1) | instskip(NEXT) | instid1(VALU_DEP_1)
	v_subrev_nc_u32_e32 v66, 28, v9
	v_lshlrev_b64_e32 v[68:69], v66, v[1:2]
	v_sub_nc_u32_e32 v66, 29, v9
	s_delay_alu instid0(VALU_DEP_2)
	v_and_b32_e32 v9, 7, v68
; %bb.359:                              ;   in Loop: Header=BB277_10 Depth=1
	s_wait_alu 0xfffe
	s_or_b32 exec_lo, exec_lo, s35
	v_lshlrev_b32_e32 v1, 8, v1
	v_lshl_add_u32 v66, v66, 10, 0x2000
	v_lshlrev_b32_e32 v9, 23, v9
	s_delay_alu instid0(VALU_DEP_2) | instskip(NEXT) | instid1(VALU_DEP_1)
	v_and_or_b32 v1, 0x8000, v1, v66
	v_lshl_or_b32 v66, v1, 16, v9
.LBB277_360:                            ;   in Loop: Header=BB277_10 Depth=1
	s_wait_alu 0xfffe
	s_or_b32 exec_lo, exec_lo, s34
.LBB277_361:                            ;   in Loop: Header=BB277_10 Depth=1
	s_delay_alu instid0(SALU_CYCLE_1)
	s_or_b32 exec_lo, exec_lo, s33
.LBB277_362:                            ;   in Loop: Header=BB277_10 Depth=1
	s_wait_alu 0xfffe
	s_or_b32 exec_lo, exec_lo, s5
	global_load_b32 v9, v[7:8], off offset:1288
	v_mov_b32_e32 v69, 0
	s_mov_b32 s5, exec_lo
	s_wait_loadcnt 0x0
	v_dual_mov_b32 v68, 0 :: v_dual_and_b32 v1, 0xff, v9
	s_delay_alu instid0(VALU_DEP_1)
	v_cmpx_ne_u16_e32 0, v1
	s_cbranch_execz .LBB277_370
; %bb.363:                              ;   in Loop: Header=BB277_10 Depth=1
	v_mov_b32_e32 v69, 0x8000
	s_mov_b32 s33, exec_lo
	v_cmpx_ne_u16_e32 0x80, v1
	s_cbranch_execz .LBB277_369
; %bb.364:                              ;   in Loop: Header=BB277_10 Depth=1
	v_and_b32_e32 v70, 0x7f, v9
	v_mov_b32_e32 v69, 0x7c01
	s_mov_b32 s34, exec_lo
	s_delay_alu instid0(VALU_DEP_2)
	v_cmpx_ne_u32_e32 0x7f, v70
	s_cbranch_execz .LBB277_368
; %bb.365:                              ;   in Loop: Header=BB277_10 Depth=1
	v_and_b32_e32 v1, 7, v9
	v_lshrrev_b32_e32 v69, 3, v70
	s_mov_b32 s35, exec_lo
	v_cmpx_gt_u32_e32 8, v70
; %bb.366:                              ;   in Loop: Header=BB277_10 Depth=1
	s_delay_alu instid0(VALU_DEP_3) | instskip(NEXT) | instid1(VALU_DEP_1)
	v_clz_i32_u32_e32 v1, v1
	v_min_u32_e32 v1, 32, v1
	s_delay_alu instid0(VALU_DEP_1) | instskip(NEXT) | instid1(VALU_DEP_1)
	v_subrev_nc_u32_e32 v69, 28, v1
	v_lshlrev_b64_e32 v[70:71], v69, v[9:10]
	v_sub_nc_u32_e32 v69, 29, v1
	s_delay_alu instid0(VALU_DEP_2)
	v_and_b32_e32 v1, 7, v70
; %bb.367:                              ;   in Loop: Header=BB277_10 Depth=1
	s_wait_alu 0xfffe
	s_or_b32 exec_lo, exec_lo, s35
	v_lshlrev_b32_e32 v70, 8, v9
	v_lshl_add_u32 v69, v69, 10, 0x2000
	v_lshlrev_b32_e32 v1, 7, v1
	s_delay_alu instid0(VALU_DEP_3) | instskip(NEXT) | instid1(VALU_DEP_3)
	v_and_b32_e32 v70, 0x8000, v70
	v_and_b32_e32 v69, 0xfc00, v69
	s_delay_alu instid0(VALU_DEP_1)
	v_or3_b32 v69, v70, v69, v1
.LBB277_368:                            ;   in Loop: Header=BB277_10 Depth=1
	s_wait_alu 0xfffe
	s_or_b32 exec_lo, exec_lo, s34
.LBB277_369:                            ;   in Loop: Header=BB277_10 Depth=1
	s_delay_alu instid0(SALU_CYCLE_1)
	s_or_b32 exec_lo, exec_lo, s33
.LBB277_370:                            ;   in Loop: Header=BB277_10 Depth=1
	s_wait_alu 0xfffe
	s_or_b32 exec_lo, exec_lo, s5
	v_lshrrev_b16 v1, 8, v9
	s_mov_b32 s5, exec_lo
	s_delay_alu instid0(VALU_DEP_1)
	v_cmpx_ne_u16_e32 0, v1
	s_cbranch_execz .LBB277_378
; %bb.371:                              ;   in Loop: Header=BB277_10 Depth=1
	v_bfrev_b32_e32 v68, 1
	s_mov_b32 s33, exec_lo
	v_cmpx_ne_u16_e32 0x80, v1
	s_cbranch_execz .LBB277_377
; %bb.372:                              ;   in Loop: Header=BB277_10 Depth=1
	v_and_b32_e32 v70, 0xffff, v1
	v_mov_b32_e32 v68, 0x7c010000
	s_mov_b32 s34, exec_lo
	s_delay_alu instid0(VALU_DEP_2) | instskip(NEXT) | instid1(VALU_DEP_1)
	v_and_b32_e32 v72, 0x7f, v70
	v_cmpx_ne_u32_e32 0x7f, v72
	s_cbranch_execz .LBB277_376
; %bb.373:                              ;   in Loop: Header=BB277_10 Depth=1
	v_and_b32_e32 v68, 7, v70
	v_lshrrev_b32_e32 v71, 3, v72
	s_mov_b32 s35, exec_lo
	v_cmpx_gt_u32_e32 8, v72
; %bb.374:                              ;   in Loop: Header=BB277_10 Depth=1
	s_delay_alu instid0(VALU_DEP_3) | instskip(NEXT) | instid1(VALU_DEP_1)
	v_clz_i32_u32_e32 v68, v68
	v_min_u32_e32 v68, 32, v68
	s_delay_alu instid0(VALU_DEP_1) | instskip(NEXT) | instid1(VALU_DEP_1)
	v_subrev_nc_u32_e32 v71, 28, v68
	v_lshlrev_b64_e32 v[72:73], v71, v[1:2]
	v_sub_nc_u32_e32 v71, 29, v68
	s_delay_alu instid0(VALU_DEP_2)
	v_and_b32_e32 v68, 7, v72
; %bb.375:                              ;   in Loop: Header=BB277_10 Depth=1
	s_wait_alu 0xfffe
	s_or_b32 exec_lo, exec_lo, s35
	v_lshlrev_b32_e32 v1, 8, v70
	v_lshl_add_u32 v70, v71, 10, 0x2000
	v_lshlrev_b32_e32 v68, 23, v68
	s_delay_alu instid0(VALU_DEP_2) | instskip(NEXT) | instid1(VALU_DEP_1)
	v_and_or_b32 v1, 0x8000, v1, v70
	v_lshl_or_b32 v68, v1, 16, v68
.LBB277_376:                            ;   in Loop: Header=BB277_10 Depth=1
	s_wait_alu 0xfffe
	s_or_b32 exec_lo, exec_lo, s34
.LBB277_377:                            ;   in Loop: Header=BB277_10 Depth=1
	s_delay_alu instid0(SALU_CYCLE_1)
	s_or_b32 exec_lo, exec_lo, s33
.LBB277_378:                            ;   in Loop: Header=BB277_10 Depth=1
	s_wait_alu 0xfffe
	s_or_b32 exec_lo, exec_lo, s5
	v_lshrrev_b32_e32 v1, 16, v9
	v_mov_b32_e32 v70, 0
	s_mov_b32 s5, exec_lo
	s_delay_alu instid0(VALU_DEP_2) | instskip(NEXT) | instid1(VALU_DEP_1)
	v_dual_mov_b32 v71, 0 :: v_dual_and_b32 v72, 0xff, v1
	v_cmpx_ne_u16_e32 0, v72
	s_cbranch_execz .LBB277_386
; %bb.379:                              ;   in Loop: Header=BB277_10 Depth=1
	v_mov_b32_e32 v71, 0x8000
	s_mov_b32 s33, exec_lo
	v_cmpx_ne_u16_e32 0x80, v72
	s_cbranch_execz .LBB277_385
; %bb.380:                              ;   in Loop: Header=BB277_10 Depth=1
	v_bfe_u32 v73, v9, 16, 7
	v_mov_b32_e32 v71, 0x7c01
	s_mov_b32 s34, exec_lo
	s_delay_alu instid0(VALU_DEP_2)
	v_cmpx_ne_u32_e32 0x7f, v73
	s_cbranch_execz .LBB277_384
; %bb.381:                              ;   in Loop: Header=BB277_10 Depth=1
	v_and_b32_e32 v71, 7, v1
	v_lshrrev_b32_e32 v72, 3, v73
	s_mov_b32 s35, exec_lo
	v_cmpx_gt_u32_e32 8, v73
; %bb.382:                              ;   in Loop: Header=BB277_10 Depth=1
	s_delay_alu instid0(VALU_DEP_3) | instskip(NEXT) | instid1(VALU_DEP_1)
	v_clz_i32_u32_e32 v71, v71
	v_min_u32_e32 v73, 32, v71
	s_delay_alu instid0(VALU_DEP_1) | instskip(NEXT) | instid1(VALU_DEP_1)
	v_subrev_nc_u32_e32 v71, 28, v73
	v_lshlrev_b64_e32 v[71:72], v71, v[1:2]
	v_sub_nc_u32_e32 v72, 29, v73
	s_delay_alu instid0(VALU_DEP_2)
	v_and_b32_e32 v71, 7, v71
; %bb.383:                              ;   in Loop: Header=BB277_10 Depth=1
	s_wait_alu 0xfffe
	s_or_b32 exec_lo, exec_lo, s35
	v_lshlrev_b32_e32 v1, 8, v1
	v_lshl_add_u32 v72, v72, 10, 0x2000
	v_lshlrev_b32_e32 v71, 7, v71
	s_delay_alu instid0(VALU_DEP_3) | instskip(NEXT) | instid1(VALU_DEP_3)
	v_and_b32_e32 v1, 0x8000, v1
	v_and_b32_e32 v72, 0xfc00, v72
	s_delay_alu instid0(VALU_DEP_1)
	v_or3_b32 v71, v1, v72, v71
.LBB277_384:                            ;   in Loop: Header=BB277_10 Depth=1
	s_wait_alu 0xfffe
	s_or_b32 exec_lo, exec_lo, s34
.LBB277_385:                            ;   in Loop: Header=BB277_10 Depth=1
	s_delay_alu instid0(SALU_CYCLE_1)
	s_or_b32 exec_lo, exec_lo, s33
.LBB277_386:                            ;   in Loop: Header=BB277_10 Depth=1
	s_wait_alu 0xfffe
	s_or_b32 exec_lo, exec_lo, s5
	s_delay_alu instid0(SALU_CYCLE_1)
	s_mov_b32 s5, exec_lo
	v_cmpx_lt_u32_e32 0xffffff, v9
	s_cbranch_execz .LBB277_394
; %bb.387:                              ;   in Loop: Header=BB277_10 Depth=1
	v_lshrrev_b32_e32 v1, 24, v9
	v_bfrev_b32_e32 v70, 1
	s_mov_b32 s33, exec_lo
	s_delay_alu instid0(VALU_DEP_2)
	v_cmpx_ne_u32_e32 0x80, v1
	s_cbranch_execz .LBB277_393
; %bb.388:                              ;   in Loop: Header=BB277_10 Depth=1
	v_and_b32_e32 v72, 0x7f, v1
	v_mov_b32_e32 v70, 0x7c010000
	s_mov_b32 s34, exec_lo
	s_delay_alu instid0(VALU_DEP_2)
	v_cmpx_ne_u32_e32 0x7f, v72
	s_cbranch_execz .LBB277_392
; %bb.389:                              ;   in Loop: Header=BB277_10 Depth=1
	v_and_b32_e32 v9, 7, v1
	v_lshrrev_b32_e32 v70, 3, v72
	s_mov_b32 s35, exec_lo
	v_cmpx_gt_u32_e32 8, v72
; %bb.390:                              ;   in Loop: Header=BB277_10 Depth=1
	s_delay_alu instid0(VALU_DEP_3) | instskip(NEXT) | instid1(VALU_DEP_1)
	v_clz_i32_u32_e32 v9, v9
	v_min_u32_e32 v9, 32, v9
	s_delay_alu instid0(VALU_DEP_1) | instskip(NEXT) | instid1(VALU_DEP_1)
	v_subrev_nc_u32_e32 v70, 28, v9
	v_lshlrev_b64_e32 v[72:73], v70, v[1:2]
	v_sub_nc_u32_e32 v70, 29, v9
	s_delay_alu instid0(VALU_DEP_2)
	v_and_b32_e32 v9, 7, v72
; %bb.391:                              ;   in Loop: Header=BB277_10 Depth=1
	s_wait_alu 0xfffe
	s_or_b32 exec_lo, exec_lo, s35
	v_lshlrev_b32_e32 v1, 8, v1
	v_lshl_add_u32 v70, v70, 10, 0x2000
	v_lshlrev_b32_e32 v9, 23, v9
	s_delay_alu instid0(VALU_DEP_2) | instskip(NEXT) | instid1(VALU_DEP_1)
	v_and_or_b32 v1, 0x8000, v1, v70
	v_lshl_or_b32 v70, v1, 16, v9
.LBB277_392:                            ;   in Loop: Header=BB277_10 Depth=1
	s_wait_alu 0xfffe
	s_or_b32 exec_lo, exec_lo, s34
.LBB277_393:                            ;   in Loop: Header=BB277_10 Depth=1
	s_delay_alu instid0(SALU_CYCLE_1)
	s_or_b32 exec_lo, exec_lo, s33
.LBB277_394:                            ;   in Loop: Header=BB277_10 Depth=1
	s_wait_alu 0xfffe
	s_or_b32 exec_lo, exec_lo, s5
	global_load_b32 v9, v[7:8], off offset:1536
	v_mov_b32_e32 v73, 0
	s_mov_b32 s5, exec_lo
	s_wait_loadcnt 0x0
	v_dual_mov_b32 v72, 0 :: v_dual_and_b32 v1, 0xff, v9
	s_delay_alu instid0(VALU_DEP_1)
	v_cmpx_ne_u16_e32 0, v1
	s_cbranch_execz .LBB277_402
; %bb.395:                              ;   in Loop: Header=BB277_10 Depth=1
	v_mov_b32_e32 v73, 0x8000
	s_mov_b32 s33, exec_lo
	v_cmpx_ne_u16_e32 0x80, v1
	s_cbranch_execz .LBB277_401
; %bb.396:                              ;   in Loop: Header=BB277_10 Depth=1
	v_and_b32_e32 v74, 0x7f, v9
	v_mov_b32_e32 v73, 0x7c01
	s_mov_b32 s34, exec_lo
	s_delay_alu instid0(VALU_DEP_2)
	v_cmpx_ne_u32_e32 0x7f, v74
	s_cbranch_execz .LBB277_400
; %bb.397:                              ;   in Loop: Header=BB277_10 Depth=1
	v_and_b32_e32 v1, 7, v9
	v_lshrrev_b32_e32 v73, 3, v74
	s_mov_b32 s35, exec_lo
	v_cmpx_gt_u32_e32 8, v74
; %bb.398:                              ;   in Loop: Header=BB277_10 Depth=1
	s_delay_alu instid0(VALU_DEP_3) | instskip(NEXT) | instid1(VALU_DEP_1)
	v_clz_i32_u32_e32 v1, v1
	v_min_u32_e32 v1, 32, v1
	s_delay_alu instid0(VALU_DEP_1) | instskip(NEXT) | instid1(VALU_DEP_1)
	v_subrev_nc_u32_e32 v73, 28, v1
	v_lshlrev_b64_e32 v[74:75], v73, v[9:10]
	v_sub_nc_u32_e32 v73, 29, v1
	s_delay_alu instid0(VALU_DEP_2)
	v_and_b32_e32 v1, 7, v74
; %bb.399:                              ;   in Loop: Header=BB277_10 Depth=1
	s_wait_alu 0xfffe
	s_or_b32 exec_lo, exec_lo, s35
	v_lshlrev_b32_e32 v74, 8, v9
	v_lshl_add_u32 v73, v73, 10, 0x2000
	v_lshlrev_b32_e32 v1, 7, v1
	s_delay_alu instid0(VALU_DEP_3) | instskip(NEXT) | instid1(VALU_DEP_3)
	v_and_b32_e32 v74, 0x8000, v74
	v_and_b32_e32 v73, 0xfc00, v73
	s_delay_alu instid0(VALU_DEP_1)
	v_or3_b32 v73, v74, v73, v1
.LBB277_400:                            ;   in Loop: Header=BB277_10 Depth=1
	s_wait_alu 0xfffe
	s_or_b32 exec_lo, exec_lo, s34
.LBB277_401:                            ;   in Loop: Header=BB277_10 Depth=1
	s_delay_alu instid0(SALU_CYCLE_1)
	s_or_b32 exec_lo, exec_lo, s33
.LBB277_402:                            ;   in Loop: Header=BB277_10 Depth=1
	s_wait_alu 0xfffe
	s_or_b32 exec_lo, exec_lo, s5
	v_lshrrev_b16 v1, 8, v9
	s_mov_b32 s5, exec_lo
	s_delay_alu instid0(VALU_DEP_1)
	v_cmpx_ne_u16_e32 0, v1
	s_cbranch_execz .LBB277_410
; %bb.403:                              ;   in Loop: Header=BB277_10 Depth=1
	v_bfrev_b32_e32 v72, 1
	s_mov_b32 s33, exec_lo
	v_cmpx_ne_u16_e32 0x80, v1
	s_cbranch_execz .LBB277_409
; %bb.404:                              ;   in Loop: Header=BB277_10 Depth=1
	v_and_b32_e32 v74, 0xffff, v1
	v_mov_b32_e32 v72, 0x7c010000
	s_mov_b32 s34, exec_lo
	s_delay_alu instid0(VALU_DEP_2) | instskip(NEXT) | instid1(VALU_DEP_1)
	v_and_b32_e32 v76, 0x7f, v74
	v_cmpx_ne_u32_e32 0x7f, v76
	s_cbranch_execz .LBB277_408
; %bb.405:                              ;   in Loop: Header=BB277_10 Depth=1
	v_and_b32_e32 v72, 7, v74
	v_lshrrev_b32_e32 v75, 3, v76
	s_mov_b32 s35, exec_lo
	v_cmpx_gt_u32_e32 8, v76
; %bb.406:                              ;   in Loop: Header=BB277_10 Depth=1
	s_delay_alu instid0(VALU_DEP_3) | instskip(NEXT) | instid1(VALU_DEP_1)
	v_clz_i32_u32_e32 v72, v72
	v_min_u32_e32 v72, 32, v72
	s_delay_alu instid0(VALU_DEP_1) | instskip(NEXT) | instid1(VALU_DEP_1)
	v_subrev_nc_u32_e32 v75, 28, v72
	v_lshlrev_b64_e32 v[76:77], v75, v[1:2]
	v_sub_nc_u32_e32 v75, 29, v72
	s_delay_alu instid0(VALU_DEP_2)
	v_and_b32_e32 v72, 7, v76
; %bb.407:                              ;   in Loop: Header=BB277_10 Depth=1
	s_wait_alu 0xfffe
	s_or_b32 exec_lo, exec_lo, s35
	v_lshlrev_b32_e32 v1, 8, v74
	v_lshl_add_u32 v74, v75, 10, 0x2000
	v_lshlrev_b32_e32 v72, 23, v72
	s_delay_alu instid0(VALU_DEP_2) | instskip(NEXT) | instid1(VALU_DEP_1)
	v_and_or_b32 v1, 0x8000, v1, v74
	v_lshl_or_b32 v72, v1, 16, v72
.LBB277_408:                            ;   in Loop: Header=BB277_10 Depth=1
	s_wait_alu 0xfffe
	s_or_b32 exec_lo, exec_lo, s34
.LBB277_409:                            ;   in Loop: Header=BB277_10 Depth=1
	s_delay_alu instid0(SALU_CYCLE_1)
	s_or_b32 exec_lo, exec_lo, s33
.LBB277_410:                            ;   in Loop: Header=BB277_10 Depth=1
	s_wait_alu 0xfffe
	s_or_b32 exec_lo, exec_lo, s5
	v_lshrrev_b32_e32 v1, 16, v9
	v_mov_b32_e32 v74, 0
	s_mov_b32 s5, exec_lo
	s_delay_alu instid0(VALU_DEP_2) | instskip(NEXT) | instid1(VALU_DEP_1)
	v_dual_mov_b32 v75, 0 :: v_dual_and_b32 v76, 0xff, v1
	v_cmpx_ne_u16_e32 0, v76
	s_cbranch_execz .LBB277_418
; %bb.411:                              ;   in Loop: Header=BB277_10 Depth=1
	v_mov_b32_e32 v75, 0x8000
	s_mov_b32 s33, exec_lo
	v_cmpx_ne_u16_e32 0x80, v76
	s_cbranch_execz .LBB277_417
; %bb.412:                              ;   in Loop: Header=BB277_10 Depth=1
	v_bfe_u32 v77, v9, 16, 7
	v_mov_b32_e32 v75, 0x7c01
	s_mov_b32 s34, exec_lo
	s_delay_alu instid0(VALU_DEP_2)
	v_cmpx_ne_u32_e32 0x7f, v77
	s_cbranch_execz .LBB277_416
; %bb.413:                              ;   in Loop: Header=BB277_10 Depth=1
	v_and_b32_e32 v75, 7, v1
	v_lshrrev_b32_e32 v76, 3, v77
	s_mov_b32 s35, exec_lo
	v_cmpx_gt_u32_e32 8, v77
; %bb.414:                              ;   in Loop: Header=BB277_10 Depth=1
	s_delay_alu instid0(VALU_DEP_3) | instskip(NEXT) | instid1(VALU_DEP_1)
	v_clz_i32_u32_e32 v75, v75
	v_min_u32_e32 v77, 32, v75
	s_delay_alu instid0(VALU_DEP_1) | instskip(NEXT) | instid1(VALU_DEP_1)
	v_subrev_nc_u32_e32 v75, 28, v77
	v_lshlrev_b64_e32 v[75:76], v75, v[1:2]
	v_sub_nc_u32_e32 v76, 29, v77
	s_delay_alu instid0(VALU_DEP_2)
	v_and_b32_e32 v75, 7, v75
; %bb.415:                              ;   in Loop: Header=BB277_10 Depth=1
	s_wait_alu 0xfffe
	s_or_b32 exec_lo, exec_lo, s35
	v_lshlrev_b32_e32 v1, 8, v1
	v_lshl_add_u32 v76, v76, 10, 0x2000
	v_lshlrev_b32_e32 v75, 7, v75
	s_delay_alu instid0(VALU_DEP_3) | instskip(NEXT) | instid1(VALU_DEP_3)
	v_and_b32_e32 v1, 0x8000, v1
	v_and_b32_e32 v76, 0xfc00, v76
	s_delay_alu instid0(VALU_DEP_1)
	v_or3_b32 v75, v1, v76, v75
.LBB277_416:                            ;   in Loop: Header=BB277_10 Depth=1
	s_wait_alu 0xfffe
	s_or_b32 exec_lo, exec_lo, s34
.LBB277_417:                            ;   in Loop: Header=BB277_10 Depth=1
	s_delay_alu instid0(SALU_CYCLE_1)
	s_or_b32 exec_lo, exec_lo, s33
.LBB277_418:                            ;   in Loop: Header=BB277_10 Depth=1
	s_wait_alu 0xfffe
	s_or_b32 exec_lo, exec_lo, s5
	s_delay_alu instid0(SALU_CYCLE_1)
	s_mov_b32 s5, exec_lo
	v_cmpx_lt_u32_e32 0xffffff, v9
	s_cbranch_execz .LBB277_426
; %bb.419:                              ;   in Loop: Header=BB277_10 Depth=1
	v_lshrrev_b32_e32 v1, 24, v9
	v_bfrev_b32_e32 v74, 1
	s_mov_b32 s33, exec_lo
	s_delay_alu instid0(VALU_DEP_2)
	v_cmpx_ne_u32_e32 0x80, v1
	s_cbranch_execz .LBB277_425
; %bb.420:                              ;   in Loop: Header=BB277_10 Depth=1
	v_and_b32_e32 v76, 0x7f, v1
	v_mov_b32_e32 v74, 0x7c010000
	s_mov_b32 s34, exec_lo
	s_delay_alu instid0(VALU_DEP_2)
	v_cmpx_ne_u32_e32 0x7f, v76
	s_cbranch_execz .LBB277_424
; %bb.421:                              ;   in Loop: Header=BB277_10 Depth=1
	v_and_b32_e32 v9, 7, v1
	v_lshrrev_b32_e32 v74, 3, v76
	s_mov_b32 s35, exec_lo
	v_cmpx_gt_u32_e32 8, v76
; %bb.422:                              ;   in Loop: Header=BB277_10 Depth=1
	s_delay_alu instid0(VALU_DEP_3) | instskip(NEXT) | instid1(VALU_DEP_1)
	v_clz_i32_u32_e32 v9, v9
	v_min_u32_e32 v9, 32, v9
	s_delay_alu instid0(VALU_DEP_1) | instskip(NEXT) | instid1(VALU_DEP_1)
	v_subrev_nc_u32_e32 v74, 28, v9
	v_lshlrev_b64_e32 v[76:77], v74, v[1:2]
	v_sub_nc_u32_e32 v74, 29, v9
	s_delay_alu instid0(VALU_DEP_2)
	v_and_b32_e32 v9, 7, v76
; %bb.423:                              ;   in Loop: Header=BB277_10 Depth=1
	s_wait_alu 0xfffe
	s_or_b32 exec_lo, exec_lo, s35
	v_lshlrev_b32_e32 v1, 8, v1
	v_lshl_add_u32 v74, v74, 10, 0x2000
	v_lshlrev_b32_e32 v9, 23, v9
	s_delay_alu instid0(VALU_DEP_2) | instskip(NEXT) | instid1(VALU_DEP_1)
	v_and_or_b32 v1, 0x8000, v1, v74
	v_lshl_or_b32 v74, v1, 16, v9
.LBB277_424:                            ;   in Loop: Header=BB277_10 Depth=1
	s_wait_alu 0xfffe
	s_or_b32 exec_lo, exec_lo, s34
.LBB277_425:                            ;   in Loop: Header=BB277_10 Depth=1
	s_delay_alu instid0(SALU_CYCLE_1)
	s_or_b32 exec_lo, exec_lo, s33
.LBB277_426:                            ;   in Loop: Header=BB277_10 Depth=1
	s_wait_alu 0xfffe
	s_or_b32 exec_lo, exec_lo, s5
	global_load_b32 v9, v[7:8], off offset:1544
	v_mov_b32_e32 v77, 0
	s_mov_b32 s5, exec_lo
	s_wait_loadcnt 0x0
	v_dual_mov_b32 v76, 0 :: v_dual_and_b32 v1, 0xff, v9
	s_delay_alu instid0(VALU_DEP_1)
	v_cmpx_ne_u16_e32 0, v1
	s_cbranch_execz .LBB277_434
; %bb.427:                              ;   in Loop: Header=BB277_10 Depth=1
	v_mov_b32_e32 v77, 0x8000
	s_mov_b32 s33, exec_lo
	v_cmpx_ne_u16_e32 0x80, v1
	s_cbranch_execz .LBB277_433
; %bb.428:                              ;   in Loop: Header=BB277_10 Depth=1
	v_and_b32_e32 v78, 0x7f, v9
	v_mov_b32_e32 v77, 0x7c01
	s_mov_b32 s34, exec_lo
	s_delay_alu instid0(VALU_DEP_2)
	v_cmpx_ne_u32_e32 0x7f, v78
	s_cbranch_execz .LBB277_432
; %bb.429:                              ;   in Loop: Header=BB277_10 Depth=1
	v_and_b32_e32 v1, 7, v9
	v_lshrrev_b32_e32 v77, 3, v78
	s_mov_b32 s35, exec_lo
	v_cmpx_gt_u32_e32 8, v78
; %bb.430:                              ;   in Loop: Header=BB277_10 Depth=1
	s_delay_alu instid0(VALU_DEP_3) | instskip(NEXT) | instid1(VALU_DEP_1)
	v_clz_i32_u32_e32 v1, v1
	v_min_u32_e32 v1, 32, v1
	s_delay_alu instid0(VALU_DEP_1) | instskip(NEXT) | instid1(VALU_DEP_1)
	v_subrev_nc_u32_e32 v77, 28, v1
	v_lshlrev_b64_e32 v[78:79], v77, v[9:10]
	v_sub_nc_u32_e32 v77, 29, v1
	s_delay_alu instid0(VALU_DEP_2)
	v_and_b32_e32 v1, 7, v78
; %bb.431:                              ;   in Loop: Header=BB277_10 Depth=1
	s_wait_alu 0xfffe
	s_or_b32 exec_lo, exec_lo, s35
	v_lshlrev_b32_e32 v78, 8, v9
	v_lshl_add_u32 v77, v77, 10, 0x2000
	v_lshlrev_b32_e32 v1, 7, v1
	s_delay_alu instid0(VALU_DEP_3) | instskip(NEXT) | instid1(VALU_DEP_3)
	v_and_b32_e32 v78, 0x8000, v78
	v_and_b32_e32 v77, 0xfc00, v77
	s_delay_alu instid0(VALU_DEP_1)
	v_or3_b32 v77, v78, v77, v1
.LBB277_432:                            ;   in Loop: Header=BB277_10 Depth=1
	s_wait_alu 0xfffe
	s_or_b32 exec_lo, exec_lo, s34
.LBB277_433:                            ;   in Loop: Header=BB277_10 Depth=1
	s_delay_alu instid0(SALU_CYCLE_1)
	s_or_b32 exec_lo, exec_lo, s33
.LBB277_434:                            ;   in Loop: Header=BB277_10 Depth=1
	s_wait_alu 0xfffe
	s_or_b32 exec_lo, exec_lo, s5
	v_lshrrev_b16 v1, 8, v9
	s_mov_b32 s5, exec_lo
	s_delay_alu instid0(VALU_DEP_1)
	v_cmpx_ne_u16_e32 0, v1
	s_cbranch_execz .LBB277_442
; %bb.435:                              ;   in Loop: Header=BB277_10 Depth=1
	v_bfrev_b32_e32 v76, 1
	s_mov_b32 s33, exec_lo
	v_cmpx_ne_u16_e32 0x80, v1
	s_cbranch_execz .LBB277_441
; %bb.436:                              ;   in Loop: Header=BB277_10 Depth=1
	v_and_b32_e32 v78, 0xffff, v1
	v_mov_b32_e32 v76, 0x7c010000
	s_mov_b32 s34, exec_lo
	s_delay_alu instid0(VALU_DEP_2) | instskip(NEXT) | instid1(VALU_DEP_1)
	v_and_b32_e32 v80, 0x7f, v78
	v_cmpx_ne_u32_e32 0x7f, v80
	s_cbranch_execz .LBB277_440
; %bb.437:                              ;   in Loop: Header=BB277_10 Depth=1
	v_and_b32_e32 v76, 7, v78
	v_lshrrev_b32_e32 v79, 3, v80
	s_mov_b32 s35, exec_lo
	v_cmpx_gt_u32_e32 8, v80
; %bb.438:                              ;   in Loop: Header=BB277_10 Depth=1
	s_delay_alu instid0(VALU_DEP_3) | instskip(NEXT) | instid1(VALU_DEP_1)
	v_clz_i32_u32_e32 v76, v76
	v_min_u32_e32 v76, 32, v76
	s_delay_alu instid0(VALU_DEP_1) | instskip(NEXT) | instid1(VALU_DEP_1)
	v_subrev_nc_u32_e32 v79, 28, v76
	v_lshlrev_b64_e32 v[80:81], v79, v[1:2]
	v_sub_nc_u32_e32 v79, 29, v76
	s_delay_alu instid0(VALU_DEP_2)
	v_and_b32_e32 v76, 7, v80
; %bb.439:                              ;   in Loop: Header=BB277_10 Depth=1
	s_wait_alu 0xfffe
	s_or_b32 exec_lo, exec_lo, s35
	v_lshlrev_b32_e32 v1, 8, v78
	v_lshl_add_u32 v78, v79, 10, 0x2000
	v_lshlrev_b32_e32 v76, 23, v76
	s_delay_alu instid0(VALU_DEP_2) | instskip(NEXT) | instid1(VALU_DEP_1)
	v_and_or_b32 v1, 0x8000, v1, v78
	v_lshl_or_b32 v76, v1, 16, v76
.LBB277_440:                            ;   in Loop: Header=BB277_10 Depth=1
	s_wait_alu 0xfffe
	s_or_b32 exec_lo, exec_lo, s34
.LBB277_441:                            ;   in Loop: Header=BB277_10 Depth=1
	s_delay_alu instid0(SALU_CYCLE_1)
	s_or_b32 exec_lo, exec_lo, s33
.LBB277_442:                            ;   in Loop: Header=BB277_10 Depth=1
	s_wait_alu 0xfffe
	s_or_b32 exec_lo, exec_lo, s5
	v_lshrrev_b32_e32 v1, 16, v9
	v_mov_b32_e32 v78, 0
	s_mov_b32 s5, exec_lo
	s_delay_alu instid0(VALU_DEP_2) | instskip(NEXT) | instid1(VALU_DEP_1)
	v_dual_mov_b32 v79, 0 :: v_dual_and_b32 v80, 0xff, v1
	v_cmpx_ne_u16_e32 0, v80
	s_cbranch_execz .LBB277_450
; %bb.443:                              ;   in Loop: Header=BB277_10 Depth=1
	v_mov_b32_e32 v79, 0x8000
	s_mov_b32 s33, exec_lo
	v_cmpx_ne_u16_e32 0x80, v80
	s_cbranch_execz .LBB277_449
; %bb.444:                              ;   in Loop: Header=BB277_10 Depth=1
	v_bfe_u32 v81, v9, 16, 7
	v_mov_b32_e32 v79, 0x7c01
	s_mov_b32 s34, exec_lo
	s_delay_alu instid0(VALU_DEP_2)
	v_cmpx_ne_u32_e32 0x7f, v81
	s_cbranch_execz .LBB277_448
; %bb.445:                              ;   in Loop: Header=BB277_10 Depth=1
	v_and_b32_e32 v79, 7, v1
	v_lshrrev_b32_e32 v80, 3, v81
	s_mov_b32 s35, exec_lo
	v_cmpx_gt_u32_e32 8, v81
; %bb.446:                              ;   in Loop: Header=BB277_10 Depth=1
	s_delay_alu instid0(VALU_DEP_3) | instskip(NEXT) | instid1(VALU_DEP_1)
	v_clz_i32_u32_e32 v79, v79
	v_min_u32_e32 v81, 32, v79
	s_delay_alu instid0(VALU_DEP_1) | instskip(NEXT) | instid1(VALU_DEP_1)
	v_subrev_nc_u32_e32 v79, 28, v81
	v_lshlrev_b64_e32 v[79:80], v79, v[1:2]
	v_sub_nc_u32_e32 v80, 29, v81
	s_delay_alu instid0(VALU_DEP_2)
	v_and_b32_e32 v79, 7, v79
; %bb.447:                              ;   in Loop: Header=BB277_10 Depth=1
	s_wait_alu 0xfffe
	s_or_b32 exec_lo, exec_lo, s35
	v_lshlrev_b32_e32 v1, 8, v1
	v_lshl_add_u32 v80, v80, 10, 0x2000
	v_lshlrev_b32_e32 v79, 7, v79
	s_delay_alu instid0(VALU_DEP_3) | instskip(NEXT) | instid1(VALU_DEP_3)
	v_and_b32_e32 v1, 0x8000, v1
	v_and_b32_e32 v80, 0xfc00, v80
	s_delay_alu instid0(VALU_DEP_1)
	v_or3_b32 v79, v1, v80, v79
.LBB277_448:                            ;   in Loop: Header=BB277_10 Depth=1
	s_wait_alu 0xfffe
	s_or_b32 exec_lo, exec_lo, s34
.LBB277_449:                            ;   in Loop: Header=BB277_10 Depth=1
	s_delay_alu instid0(SALU_CYCLE_1)
	s_or_b32 exec_lo, exec_lo, s33
.LBB277_450:                            ;   in Loop: Header=BB277_10 Depth=1
	s_wait_alu 0xfffe
	s_or_b32 exec_lo, exec_lo, s5
	s_delay_alu instid0(SALU_CYCLE_1)
	s_mov_b32 s5, exec_lo
	v_cmpx_lt_u32_e32 0xffffff, v9
	s_cbranch_execz .LBB277_458
; %bb.451:                              ;   in Loop: Header=BB277_10 Depth=1
	v_lshrrev_b32_e32 v1, 24, v9
	v_bfrev_b32_e32 v78, 1
	s_mov_b32 s33, exec_lo
	s_delay_alu instid0(VALU_DEP_2)
	v_cmpx_ne_u32_e32 0x80, v1
	s_cbranch_execz .LBB277_457
; %bb.452:                              ;   in Loop: Header=BB277_10 Depth=1
	v_and_b32_e32 v80, 0x7f, v1
	v_mov_b32_e32 v78, 0x7c010000
	s_mov_b32 s34, exec_lo
	s_delay_alu instid0(VALU_DEP_2)
	v_cmpx_ne_u32_e32 0x7f, v80
	s_cbranch_execz .LBB277_456
; %bb.453:                              ;   in Loop: Header=BB277_10 Depth=1
	v_and_b32_e32 v9, 7, v1
	v_lshrrev_b32_e32 v78, 3, v80
	s_mov_b32 s35, exec_lo
	v_cmpx_gt_u32_e32 8, v80
; %bb.454:                              ;   in Loop: Header=BB277_10 Depth=1
	s_delay_alu instid0(VALU_DEP_3) | instskip(NEXT) | instid1(VALU_DEP_1)
	v_clz_i32_u32_e32 v9, v9
	v_min_u32_e32 v9, 32, v9
	s_delay_alu instid0(VALU_DEP_1) | instskip(NEXT) | instid1(VALU_DEP_1)
	v_subrev_nc_u32_e32 v78, 28, v9
	v_lshlrev_b64_e32 v[80:81], v78, v[1:2]
	v_sub_nc_u32_e32 v78, 29, v9
	s_delay_alu instid0(VALU_DEP_2)
	v_and_b32_e32 v9, 7, v80
; %bb.455:                              ;   in Loop: Header=BB277_10 Depth=1
	s_wait_alu 0xfffe
	s_or_b32 exec_lo, exec_lo, s35
	v_lshlrev_b32_e32 v1, 8, v1
	v_lshl_add_u32 v78, v78, 10, 0x2000
	v_lshlrev_b32_e32 v9, 23, v9
	s_delay_alu instid0(VALU_DEP_2) | instskip(NEXT) | instid1(VALU_DEP_1)
	v_and_or_b32 v1, 0x8000, v1, v78
	v_lshl_or_b32 v78, v1, 16, v9
.LBB277_456:                            ;   in Loop: Header=BB277_10 Depth=1
	s_wait_alu 0xfffe
	s_or_b32 exec_lo, exec_lo, s34
.LBB277_457:                            ;   in Loop: Header=BB277_10 Depth=1
	s_delay_alu instid0(SALU_CYCLE_1)
	s_or_b32 exec_lo, exec_lo, s33
.LBB277_458:                            ;   in Loop: Header=BB277_10 Depth=1
	s_wait_alu 0xfffe
	s_or_b32 exec_lo, exec_lo, s5
	global_load_b32 v7, v[7:8], off offset:1792
	v_mov_b32_e32 v9, 0
	s_mov_b32 s5, exec_lo
	s_wait_loadcnt 0x0
	v_dual_mov_b32 v8, 0 :: v_dual_and_b32 v1, 0xff, v7
	s_delay_alu instid0(VALU_DEP_1)
	v_cmpx_ne_u16_e32 0, v1
	s_cbranch_execz .LBB277_466
; %bb.459:                              ;   in Loop: Header=BB277_10 Depth=1
	v_mov_b32_e32 v9, 0x8000
	s_mov_b32 s33, exec_lo
	v_cmpx_ne_u16_e32 0x80, v1
	s_cbranch_execz .LBB277_465
; %bb.460:                              ;   in Loop: Header=BB277_10 Depth=1
	v_and_b32_e32 v80, 0x7f, v7
	v_mov_b32_e32 v9, 0x7c01
	s_mov_b32 s34, exec_lo
	s_delay_alu instid0(VALU_DEP_2)
	v_cmpx_ne_u32_e32 0x7f, v80
	s_cbranch_execz .LBB277_464
; %bb.461:                              ;   in Loop: Header=BB277_10 Depth=1
	v_and_b32_e32 v1, 7, v7
	v_lshrrev_b32_e32 v9, 3, v80
	s_mov_b32 s35, exec_lo
	v_cmpx_gt_u32_e32 8, v80
; %bb.462:                              ;   in Loop: Header=BB277_10 Depth=1
	s_delay_alu instid0(VALU_DEP_3) | instskip(NEXT) | instid1(VALU_DEP_1)
	v_clz_i32_u32_e32 v1, v1
	v_min_u32_e32 v1, 32, v1
	s_delay_alu instid0(VALU_DEP_1) | instskip(NEXT) | instid1(VALU_DEP_1)
	v_subrev_nc_u32_e32 v9, 28, v1
	v_lshlrev_b64_e32 v[80:81], v9, v[7:8]
	v_sub_nc_u32_e32 v9, 29, v1
	s_delay_alu instid0(VALU_DEP_2)
	v_and_b32_e32 v1, 7, v80
; %bb.463:                              ;   in Loop: Header=BB277_10 Depth=1
	s_wait_alu 0xfffe
	s_or_b32 exec_lo, exec_lo, s35
	v_lshlrev_b32_e32 v80, 8, v7
	v_lshl_add_u32 v9, v9, 10, 0x2000
	v_lshlrev_b32_e32 v1, 7, v1
	s_delay_alu instid0(VALU_DEP_3) | instskip(NEXT) | instid1(VALU_DEP_3)
	v_and_b32_e32 v80, 0x8000, v80
	v_and_b32_e32 v9, 0xfc00, v9
	s_delay_alu instid0(VALU_DEP_1)
	v_or3_b32 v9, v80, v9, v1
.LBB277_464:                            ;   in Loop: Header=BB277_10 Depth=1
	s_wait_alu 0xfffe
	s_or_b32 exec_lo, exec_lo, s34
.LBB277_465:                            ;   in Loop: Header=BB277_10 Depth=1
	s_delay_alu instid0(SALU_CYCLE_1)
	s_or_b32 exec_lo, exec_lo, s33
.LBB277_466:                            ;   in Loop: Header=BB277_10 Depth=1
	s_wait_alu 0xfffe
	s_or_b32 exec_lo, exec_lo, s5
	v_lshrrev_b16 v1, 8, v7
	s_mov_b32 s5, exec_lo
	s_delay_alu instid0(VALU_DEP_1)
	v_cmpx_ne_u16_e32 0, v1
	s_cbranch_execz .LBB277_474
; %bb.467:                              ;   in Loop: Header=BB277_10 Depth=1
	v_bfrev_b32_e32 v8, 1
	s_mov_b32 s33, exec_lo
	v_cmpx_ne_u16_e32 0x80, v1
	s_cbranch_execz .LBB277_473
; %bb.468:                              ;   in Loop: Header=BB277_10 Depth=1
	v_and_b32_e32 v80, 0xffff, v1
	v_mov_b32_e32 v8, 0x7c010000
	s_mov_b32 s34, exec_lo
	s_delay_alu instid0(VALU_DEP_2) | instskip(NEXT) | instid1(VALU_DEP_1)
	v_and_b32_e32 v82, 0x7f, v80
	v_cmpx_ne_u32_e32 0x7f, v82
	s_cbranch_execz .LBB277_472
; %bb.469:                              ;   in Loop: Header=BB277_10 Depth=1
	v_and_b32_e32 v8, 7, v80
	v_lshrrev_b32_e32 v81, 3, v82
	s_mov_b32 s35, exec_lo
	v_cmpx_gt_u32_e32 8, v82
; %bb.470:                              ;   in Loop: Header=BB277_10 Depth=1
	s_delay_alu instid0(VALU_DEP_3) | instskip(NEXT) | instid1(VALU_DEP_1)
	v_clz_i32_u32_e32 v8, v8
	v_min_u32_e32 v8, 32, v8
	s_delay_alu instid0(VALU_DEP_1) | instskip(NEXT) | instid1(VALU_DEP_1)
	v_subrev_nc_u32_e32 v81, 28, v8
	v_lshlrev_b64_e32 v[82:83], v81, v[1:2]
	v_sub_nc_u32_e32 v81, 29, v8
	s_delay_alu instid0(VALU_DEP_2)
	v_and_b32_e32 v8, 7, v82
; %bb.471:                              ;   in Loop: Header=BB277_10 Depth=1
	s_wait_alu 0xfffe
	s_or_b32 exec_lo, exec_lo, s35
	v_lshlrev_b32_e32 v1, 8, v80
	v_lshl_add_u32 v80, v81, 10, 0x2000
	v_lshlrev_b32_e32 v8, 23, v8
	s_delay_alu instid0(VALU_DEP_2) | instskip(NEXT) | instid1(VALU_DEP_1)
	v_and_or_b32 v1, 0x8000, v1, v80
	v_lshl_or_b32 v8, v1, 16, v8
.LBB277_472:                            ;   in Loop: Header=BB277_10 Depth=1
	s_wait_alu 0xfffe
	s_or_b32 exec_lo, exec_lo, s34
.LBB277_473:                            ;   in Loop: Header=BB277_10 Depth=1
	s_delay_alu instid0(SALU_CYCLE_1)
	s_or_b32 exec_lo, exec_lo, s33
.LBB277_474:                            ;   in Loop: Header=BB277_10 Depth=1
	s_wait_alu 0xfffe
	s_or_b32 exec_lo, exec_lo, s5
	v_lshrrev_b32_e32 v1, 16, v7
	v_mov_b32_e32 v80, 0
	s_mov_b32 s5, exec_lo
	s_delay_alu instid0(VALU_DEP_2) | instskip(NEXT) | instid1(VALU_DEP_1)
	v_dual_mov_b32 v81, 0 :: v_dual_and_b32 v82, 0xff, v1
	v_cmpx_ne_u16_e32 0, v82
	s_cbranch_execz .LBB277_482
; %bb.475:                              ;   in Loop: Header=BB277_10 Depth=1
	v_mov_b32_e32 v81, 0x8000
	s_mov_b32 s33, exec_lo
	v_cmpx_ne_u16_e32 0x80, v82
	s_cbranch_execz .LBB277_481
; %bb.476:                              ;   in Loop: Header=BB277_10 Depth=1
	v_bfe_u32 v83, v7, 16, 7
	v_mov_b32_e32 v81, 0x7c01
	s_mov_b32 s34, exec_lo
	s_delay_alu instid0(VALU_DEP_2)
	v_cmpx_ne_u32_e32 0x7f, v83
	s_cbranch_execz .LBB277_480
; %bb.477:                              ;   in Loop: Header=BB277_10 Depth=1
	v_and_b32_e32 v81, 7, v1
	v_lshrrev_b32_e32 v82, 3, v83
	s_mov_b32 s35, exec_lo
	v_cmpx_gt_u32_e32 8, v83
; %bb.478:                              ;   in Loop: Header=BB277_10 Depth=1
	s_delay_alu instid0(VALU_DEP_3) | instskip(NEXT) | instid1(VALU_DEP_1)
	v_clz_i32_u32_e32 v81, v81
	v_min_u32_e32 v83, 32, v81
	s_delay_alu instid0(VALU_DEP_1) | instskip(NEXT) | instid1(VALU_DEP_1)
	v_subrev_nc_u32_e32 v81, 28, v83
	v_lshlrev_b64_e32 v[81:82], v81, v[1:2]
	v_sub_nc_u32_e32 v82, 29, v83
	s_delay_alu instid0(VALU_DEP_2)
	v_and_b32_e32 v81, 7, v81
; %bb.479:                              ;   in Loop: Header=BB277_10 Depth=1
	s_wait_alu 0xfffe
	s_or_b32 exec_lo, exec_lo, s35
	v_lshlrev_b32_e32 v1, 8, v1
	v_lshl_add_u32 v82, v82, 10, 0x2000
	v_lshlrev_b32_e32 v81, 7, v81
	s_delay_alu instid0(VALU_DEP_3) | instskip(NEXT) | instid1(VALU_DEP_3)
	v_and_b32_e32 v1, 0x8000, v1
	v_and_b32_e32 v82, 0xfc00, v82
	s_delay_alu instid0(VALU_DEP_1)
	v_or3_b32 v81, v1, v82, v81
.LBB277_480:                            ;   in Loop: Header=BB277_10 Depth=1
	s_wait_alu 0xfffe
	s_or_b32 exec_lo, exec_lo, s34
.LBB277_481:                            ;   in Loop: Header=BB277_10 Depth=1
	s_delay_alu instid0(SALU_CYCLE_1)
	s_or_b32 exec_lo, exec_lo, s33
.LBB277_482:                            ;   in Loop: Header=BB277_10 Depth=1
	s_wait_alu 0xfffe
	s_or_b32 exec_lo, exec_lo, s5
	s_delay_alu instid0(SALU_CYCLE_1)
	s_mov_b32 s5, exec_lo
	v_cmpx_lt_u32_e32 0xffffff, v7
	s_cbranch_execz .LBB277_490
; %bb.483:                              ;   in Loop: Header=BB277_10 Depth=1
	v_lshrrev_b32_e32 v1, 24, v7
	v_bfrev_b32_e32 v80, 1
	s_mov_b32 s33, exec_lo
	s_delay_alu instid0(VALU_DEP_2)
	v_cmpx_ne_u32_e32 0x80, v1
	s_cbranch_execz .LBB277_489
; %bb.484:                              ;   in Loop: Header=BB277_10 Depth=1
	v_and_b32_e32 v82, 0x7f, v1
	v_mov_b32_e32 v80, 0x7c010000
	s_mov_b32 s34, exec_lo
	s_delay_alu instid0(VALU_DEP_2)
	v_cmpx_ne_u32_e32 0x7f, v82
	s_cbranch_execz .LBB277_488
; %bb.485:                              ;   in Loop: Header=BB277_10 Depth=1
	v_and_b32_e32 v7, 7, v1
	v_lshrrev_b32_e32 v80, 3, v82
	s_mov_b32 s35, exec_lo
	v_cmpx_gt_u32_e32 8, v82
; %bb.486:                              ;   in Loop: Header=BB277_10 Depth=1
	s_delay_alu instid0(VALU_DEP_3) | instskip(NEXT) | instid1(VALU_DEP_1)
	v_clz_i32_u32_e32 v7, v7
	v_min_u32_e32 v7, 32, v7
	s_delay_alu instid0(VALU_DEP_1) | instskip(NEXT) | instid1(VALU_DEP_1)
	v_subrev_nc_u32_e32 v80, 28, v7
	v_lshlrev_b64_e32 v[82:83], v80, v[1:2]
	v_sub_nc_u32_e32 v80, 29, v7
	s_delay_alu instid0(VALU_DEP_2)
	v_and_b32_e32 v7, 7, v82
; %bb.487:                              ;   in Loop: Header=BB277_10 Depth=1
	s_wait_alu 0xfffe
	s_or_b32 exec_lo, exec_lo, s35
	v_lshlrev_b32_e32 v1, 8, v1
	v_lshl_add_u32 v80, v80, 10, 0x2000
	v_lshlrev_b32_e32 v7, 23, v7
	s_delay_alu instid0(VALU_DEP_2) | instskip(NEXT) | instid1(VALU_DEP_1)
	v_and_or_b32 v1, 0x8000, v1, v80
	v_lshl_or_b32 v80, v1, 16, v7
.LBB277_488:                            ;   in Loop: Header=BB277_10 Depth=1
	s_wait_alu 0xfffe
	s_or_b32 exec_lo, exec_lo, s34
.LBB277_489:                            ;   in Loop: Header=BB277_10 Depth=1
	s_delay_alu instid0(SALU_CYCLE_1)
	s_or_b32 exec_lo, exec_lo, s33
.LBB277_490:                            ;   in Loop: Header=BB277_10 Depth=1
	s_wait_alu 0xfffe
	s_or_b32 exec_lo, exec_lo, s5
	ds_load_b64 v[82:83], v19
	v_or_b32_e32 v1, v24, v25
	v_or_b32_e32 v7, v26, v27
	v_fma_mixlo_f16 v24, v23, v24, 0 op_sel:[0,1,0] op_sel_hi:[0,1,0]
	v_fma_mixlo_f16 v25, v23, v26, 0 op_sel:[0,1,0] op_sel_hi:[0,1,0]
	v_or_b32_e32 v29, v28, v29
	v_fma_mixlo_f16 v1, v23, v1, 0 op_sel_hi:[0,1,0]
	v_fma_mixlo_f16 v7, v23, v7, 0 op_sel_hi:[0,1,0]
	v_and_b32_e32 v26, 0xffff, v24
	v_and_b32_e32 v84, 0xffff, v25
	v_or_b32_e32 v31, v30, v31
	v_and_b32_e32 v24, 0xffff, v1
	v_fma_mixlo_f16 v28, v23, v28, 0 op_sel:[0,1,0] op_sel_hi:[0,1,0]
	v_fma_mixlo_f16 v30, v23, v30, 0 op_sel:[0,1,0] op_sel_hi:[0,1,0]
	v_fma_mixlo_f16 v29, v23, v29, 0 op_sel_hi:[0,1,0]
	v_fma_mixlo_f16 v31, v23, v31, 0 op_sel_hi:[0,1,0]
	v_or_b32_e32 v71, v70, v71
	v_or_b32_e32 v33, v32, v33
	v_and_b32_e32 v88, 0xffff, v30
	v_or_b32_e32 v35, v34, v35
	s_wait_dscnt 0x0
	v_and_b32_e32 v1, 0xffff, v82
	v_lshrrev_b32_e32 v25, 16, v82
	v_lshrrev_b32_e32 v27, 16, v83
	v_and_b32_e32 v83, 0xffff, v83
	;;#ASMSTART
	v_cvt_f32_f16 v1, v1;
	;;#ASMEND
	v_and_b32_e32 v82, 0xffff, v7
	;;#ASMSTART
	v_cvt_f32_f16 v7, v25;
	;;#ASMEND
	;;#ASMSTART
	v_cvt_f32_f16 v24, v24;
	;;#ASMEND
	;; [unrolled: 3-line block ×7, first 2 shown]
	ds_load_b64 v[84:85], v19 offset:8
	v_and_b32_e32 v86, 0xffff, v28
	v_and_b32_e32 v30, 0xffff, v29
	v_and_b32_e32 v87, 0xffff, v31
	v_fma_mixlo_f16 v71, v23, v71, 0 op_sel_hi:[0,1,0]
	v_fma_mixlo_f16 v32, v23, v32, 0 op_sel:[0,1,0] op_sel_hi:[0,1,0]
	v_fma_mixlo_f16 v34, v23, v34, 0 op_sel:[0,1,0] op_sel_hi:[0,1,0]
	v_fma_mixlo_f16 v33, v23, v33, 0 op_sel_hi:[0,1,0]
	v_fma_mixlo_f16 v35, v23, v35, 0 op_sel_hi:[0,1,0]
	v_and_b32_e32 v129, 0xffff, v71
	v_and_b32_e32 v90, 0xffff, v32
	;; [unrolled: 1-line block ×3, first 2 shown]
	v_or_b32_e32 v37, v36, v37
	v_and_b32_e32 v92, 0xffff, v35
	v_or_b32_e32 v39, v38, v39
	v_fma_mixlo_f16 v36, v23, v36, 0 op_sel:[0,1,0] op_sel_hi:[0,1,0]
	v_fma_mixlo_f16 v38, v23, v38, 0 op_sel:[0,1,0] op_sel_hi:[0,1,0]
	v_fma_mixlo_f16 v37, v23, v37, 0 op_sel_hi:[0,1,0]
	v_or_b32_e32 v41, v40, v41
	v_fma_mixlo_f16 v39, v23, v39, 0 op_sel_hi:[0,1,0]
	s_wait_dscnt 0x0
	v_and_b32_e32 v28, 0xffff, v84
	v_lshrrev_b32_e32 v29, 16, v84
	v_lshrrev_b32_e32 v89, 16, v85
	v_and_b32_e32 v85, 0xffff, v85
	;;#ASMSTART
	v_cvt_f32_f16 v28, v28;
	;;#ASMEND
	;;#ASMSTART
	v_cvt_f32_f16 v29, v29;
	;;#ASMEND
	;; [unrolled: 3-line block ×8, first 2 shown]
	ds_load_b64 v[88:89], v19 offset:16
	v_dual_mul_f32 v71, v85, v87 :: v_dual_and_b32 v94, 0xffff, v36
	v_and_b32_e32 v95, 0xffff, v38
	v_and_b32_e32 v38, 0xffff, v37
	s_delay_alu instid0(VALU_DEP_3)
	v_dual_fmac_f32 v71, v26, v82 :: v_dual_and_b32 v96, 0xffff, v39
	v_and_b32_e32 v34, 0xffff, v33
	v_or_b32_e32 v43, v42, v43
	v_fma_mixlo_f16 v40, v23, v40, 0 op_sel:[0,1,0] op_sel_hi:[0,1,0]
	v_fma_mixlo_f16 v42, v23, v42, 0 op_sel:[0,1,0] op_sel_hi:[0,1,0]
	v_fma_mixlo_f16 v41, v23, v41, 0 op_sel_hi:[0,1,0]
	v_or_b32_e32 v45, v44, v45
	v_fma_mixlo_f16 v43, v23, v43, 0 op_sel_hi:[0,1,0]
	v_and_b32_e32 v98, 0xffff, v40
	v_and_b32_e32 v99, 0xffff, v42
	;; [unrolled: 1-line block ×3, first 2 shown]
	v_or_b32_e32 v49, v48, v49
	v_and_b32_e32 v100, 0xffff, v43
	v_fma_mixlo_f16 v44, v23, v44, 0 op_sel:[0,1,0] op_sel_hi:[0,1,0]
	s_wait_dscnt 0x0
	v_and_b32_e32 v32, 0xffff, v88
	v_lshrrev_b32_e32 v33, 16, v88
	v_lshrrev_b32_e32 v93, 16, v89
	v_and_b32_e32 v88, 0xffff, v89
	;;#ASMSTART
	v_cvt_f32_f16 v32, v32;
	;;#ASMEND
	;;#ASMSTART
	v_cvt_f32_f16 v33, v33;
	;;#ASMEND
	;; [unrolled: 3-line block ×8, first 2 shown]
	ds_load_b64 v[92:93], v19 offset:24
	v_fma_mixlo_f16 v48, v23, v48, 0 op_sel:[0,1,0] op_sel_hi:[0,1,0]
	v_fma_mixlo_f16 v45, v23, v45, 0 op_sel_hi:[0,1,0]
	v_fma_mixlo_f16 v49, v23, v49, 0 op_sel_hi:[0,1,0]
	v_and_b32_e32 v104, 0xffff, v44
	v_or_b32_e32 v47, v46, v47
	v_and_b32_e32 v105, 0xffff, v48
	v_and_b32_e32 v45, 0xffff, v45
	v_or_b32_e32 v51, v50, v51
	v_fma_mixlo_f16 v46, v23, v46, 0 op_sel:[0,1,0] op_sel_hi:[0,1,0]
	v_fma_mixlo_f16 v50, v23, v50, 0 op_sel:[0,1,0] op_sel_hi:[0,1,0]
	v_fma_mixlo_f16 v47, v23, v47, 0 op_sel_hi:[0,1,0]
	v_or_b32_e32 v53, v52, v53
	v_fma_mixlo_f16 v51, v23, v51, 0 op_sel_hi:[0,1,0]
	v_and_b32_e32 v106, 0xffff, v46
	v_and_b32_e32 v107, 0xffff, v50
	v_and_b32_e32 v50, 0xffff, v47
	v_or_b32_e32 v55, v54, v55
	v_and_b32_e32 v108, 0xffff, v51
	v_fma_mixlo_f16 v52, v23, v52, 0 op_sel:[0,1,0] op_sel_hi:[0,1,0]
	s_wait_dscnt 0x0
	v_and_b32_e32 v36, 0xffff, v92
	v_lshrrev_b32_e32 v37, 16, v92
	v_lshrrev_b32_e32 v97, 16, v93
	v_and_b32_e32 v92, 0xffff, v93
	;;#ASMSTART
	v_cvt_f32_f16 v36, v36;
	;;#ASMEND
	;;#ASMSTART
	v_cvt_f32_f16 v37, v37;
	;;#ASMEND
	;; [unrolled: 3-line block ×8, first 2 shown]
	ds_load_b64 v[96:97], v19 offset:32
	v_fma_mixlo_f16 v54, v23, v54, 0 op_sel:[0,1,0] op_sel_hi:[0,1,0]
	v_fma_mixlo_f16 v53, v23, v53, 0 op_sel_hi:[0,1,0]
	v_fma_mixlo_f16 v55, v23, v55, 0 op_sel_hi:[0,1,0]
	v_and_b32_e32 v52, 0xffff, v52
	v_or_b32_e32 v57, v56, v57
	v_and_b32_e32 v113, 0xffff, v54
	v_and_b32_e32 v53, 0xffff, v53
	;; [unrolled: 1-line block ×3, first 2 shown]
	v_or_b32_e32 v59, v58, v59
	v_fma_mixlo_f16 v56, v23, v56, 0 op_sel:[0,1,0] op_sel_hi:[0,1,0]
	v_fma_mixlo_f16 v58, v23, v58, 0 op_sel:[0,1,0] op_sel_hi:[0,1,0]
	v_fma_mixlo_f16 v57, v23, v57, 0 op_sel_hi:[0,1,0]
	v_or_b32_e32 v61, v60, v61
	v_fma_mixlo_f16 v59, v23, v59, 0 op_sel_hi:[0,1,0]
	v_and_b32_e32 v114, 0xffff, v56
	v_and_b32_e32 v117, 0xffff, v58
	;; [unrolled: 1-line block ×3, first 2 shown]
	v_or_b32_e32 v63, v62, v63
	v_and_b32_e32 v116, 0xffff, v59
	s_wait_dscnt 0x0
	v_and_b32_e32 v40, 0xffff, v96
	v_lshrrev_b32_e32 v41, 16, v96
	v_lshrrev_b32_e32 v101, 16, v97
	v_and_b32_e32 v96, 0xffff, v97
	;;#ASMSTART
	v_cvt_f32_f16 v40, v40;
	;;#ASMEND
	;;#ASMSTART
	v_cvt_f32_f16 v41, v41;
	;;#ASMEND
	;; [unrolled: 3-line block ×8, first 2 shown]
	ds_load_b64 v[100:101], v19 offset:40
	v_fma_mixlo_f16 v60, v23, v60, 0 op_sel:[0,1,0] op_sel_hi:[0,1,0]
	v_fma_mixlo_f16 v62, v23, v62, 0 op_sel:[0,1,0] op_sel_hi:[0,1,0]
	v_fma_mixlo_f16 v61, v23, v61, 0 op_sel_hi:[0,1,0]
	v_fma_mixlo_f16 v63, v23, v63, 0 op_sel_hi:[0,1,0]
	v_or_b32_e32 v65, v64, v65
	v_and_b32_e32 v118, 0xffff, v60
	v_and_b32_e32 v121, 0xffff, v62
	;; [unrolled: 1-line block ×4, first 2 shown]
	v_or_b32_e32 v67, v66, v67
	v_fma_mixlo_f16 v64, v23, v64, 0 op_sel:[0,1,0] op_sel_hi:[0,1,0]
	v_fma_mixlo_f16 v66, v23, v66, 0 op_sel:[0,1,0] op_sel_hi:[0,1,0]
	v_fma_mixlo_f16 v65, v23, v65, 0 op_sel_hi:[0,1,0]
	v_or_b32_e32 v69, v68, v69
	v_fma_mixlo_f16 v67, v23, v67, 0 op_sel_hi:[0,1,0]
	v_and_b32_e32 v122, 0xffff, v64
	v_and_b32_e32 v125, 0xffff, v66
	;; [unrolled: 1-line block ×3, first 2 shown]
	v_or_b32_e32 v73, v72, v73
	s_wait_dscnt 0x0
	v_and_b32_e32 v44, 0xffff, v100
	v_lshrrev_b32_e32 v48, 16, v100
	v_and_b32_e32 v100, 0xffff, v49
	v_lshrrev_b32_e32 v49, 16, v101
	v_and_b32_e32 v101, 0xffff, v101
	;;#ASMSTART
	v_cvt_f32_f16 v102, v44;
	;;#ASMEND
	;;#ASMSTART
	v_cvt_f32_f16 v44, v48;
	;;#ASMEND
	;; [unrolled: 3-line block ×8, first 2 shown]
	ds_load_b64 v[104:105], v19 offset:48
	v_and_b32_e32 v124, 0xffff, v67
	v_fma_mixlo_f16 v72, v23, v72, 0 op_sel:[0,1,0] op_sel_hi:[0,1,0]
	v_fma_mixlo_f16 v69, v23, v69, 0 op_sel_hi:[0,1,0]
	v_fma_mixlo_f16 v70, v23, v70, 0 op_sel:[0,1,0] op_sel_hi:[0,1,0]
	v_or_b32_e32 v79, v78, v79
	v_or_b32_e32 v75, v74, v75
	v_mul_f32_e32 v31, v28, v31
	v_fma_mixlo_f16 v68, v23, v68, 0 op_sel:[0,1,0] op_sel_hi:[0,1,0]
	v_or_b32_e32 v77, v76, v77
	v_and_b32_e32 v128, 0xffff, v72
	v_dual_mul_f32 v69, v29, v84 :: v_dual_and_b32 v72, 0xffff, v69
	v_and_b32_e32 v127, 0xffff, v70
	v_fma_mixlo_f16 v70, v23, v73, 0 op_sel_hi:[0,1,0]
	v_fma_mixlo_f16 v73, v23, v75, 0 op_sel_hi:[0,1,0]
	;; [unrolled: 1-line block ×3, first 2 shown]
	v_fmac_f32_e32 v31, v1, v24
	v_and_b32_e32 v126, 0xffff, v68
	v_fma_mixlo_f16 v68, v23, v77, 0 op_sel_hi:[0,1,0]
	s_wait_dscnt 0x0
	v_and_b32_e32 v46, 0xffff, v104
	v_lshrrev_b32_e32 v104, 16, v104
	v_lshrrev_b32_e32 v109, 16, v105
	v_and_b32_e32 v51, 0xffff, v105
	;;#ASMSTART
	v_cvt_f32_f16 v47, v46;
	;;#ASMEND
	;;#ASMSTART
	v_cvt_f32_f16 v46, v104;
	;;#ASMEND
	;; [unrolled: 3-line block ×8, first 2 shown]
	ds_load_b64 v[108:109], v19 offset:56
	v_dual_mul_f32 v30, v30, v86 :: v_dual_fmac_f32 v69, v7, v25
	v_fmac_f32_e32 v31, v32, v34
	v_fmac_f32_e32 v71, v88, v90
	v_fma_mixlo_f16 v74, v23, v74, 0 op_sel:[0,1,0] op_sel_hi:[0,1,0]
	s_delay_alu instid0(VALU_DEP_4)
	v_fmac_f32_e32 v30, v27, v83
	v_fmac_f32_e32 v69, v33, v35
	;; [unrolled: 1-line block ×4, first 2 shown]
	v_and_b32_e32 v24, 0xffff, v70
	v_fmac_f32_e32 v30, v89, v91
	v_fmac_f32_e32 v69, v37, v39
	;; [unrolled: 1-line block ×4, first 2 shown]
	s_delay_alu instid0(VALU_DEP_4) | instskip(NEXT) | instid1(VALU_DEP_4)
	v_dual_fmac_f32 v30, v93, v95 :: v_dual_and_b32 v25, 0xffff, v73
	v_fmac_f32_e32 v69, v41, v43
	s_delay_alu instid0(VALU_DEP_4) | instskip(NEXT) | instid1(VALU_DEP_4)
	v_fmac_f32_e32 v31, v102, v103
	v_fmac_f32_e32 v71, v48, v100
	s_wait_dscnt 0x0
	v_and_b32_e32 v54, 0xffff, v108
	v_lshrrev_b32_e32 v108, 16, v108
	v_lshrrev_b32_e32 v111, 16, v109
	v_and_b32_e32 v110, 0xffff, v109
	;;#ASMSTART
	v_cvt_f32_f16 v54, v54;
	;;#ASMEND
	;;#ASMSTART
	v_cvt_f32_f16 v55, v108;
	;;#ASMEND
	;; [unrolled: 3-line block ×8, first 2 shown]
	ds_load_b64 v[52:53], v19 offset:64
	v_fmac_f32_e32 v69, v44, v45
	v_and_b32_e32 v7, 0xffff, v74
	v_dual_fmac_f32 v31, v47, v105 :: v_dual_fmac_f32 v30, v97, v99
	v_fmac_f32_e32 v71, v51, v106
	s_delay_alu instid0(VALU_DEP_4) | instskip(SKIP_1) | instid1(VALU_DEP_4)
	v_fmac_f32_e32 v69, v46, v50
	v_fma_mixlo_f16 v76, v23, v76, 0 op_sel:[0,1,0] op_sel_hi:[0,1,0]
	v_dual_fmac_f32 v31, v54, v108 :: v_dual_fmac_f32 v30, v49, v101
	s_delay_alu instid0(VALU_DEP_4) | instskip(NEXT) | instid1(VALU_DEP_4)
	v_fmac_f32_e32 v71, v110, v112
	v_fmac_f32_e32 v69, v55, v109
	v_fma_mixlo_f16 v78, v23, v78, 0 op_sel:[0,1,0] op_sel_hi:[0,1,0]
	s_delay_alu instid0(VALU_DEP_4) | instskip(SKIP_2) | instid1(VALU_DEP_3)
	v_dual_fmac_f32 v30, v104, v107 :: v_dual_and_b32 v37, 0xffff, v68
	v_and_b32_e32 v40, 0xffff, v75
	v_or_b32_e32 v42, v80, v81
	v_dual_fmac_f32 v30, v111, v113 :: v_dual_and_b32 v41, 0xffff, v78
	s_wait_dscnt 0x0
	v_and_b32_e32 v56, 0xffff, v52
	v_lshrrev_b32_e32 v52, 16, v52
	v_lshrrev_b32_e32 v115, 16, v53
	v_and_b32_e32 v53, 0xffff, v53
	;;#ASMSTART
	v_cvt_f32_f16 v56, v56;
	;;#ASMEND
	;;#ASMSTART
	v_cvt_f32_f16 v57, v52;
	;;#ASMEND
	;; [unrolled: 3-line block ×8, first 2 shown]
	ds_load_b64 v[52:53], v19 offset:72
	v_fmac_f32_e32 v31, v56, v58
	v_fmac_f32_e32 v69, v57, v59
	v_dual_fmac_f32 v71, v114, v116 :: v_dual_fmac_f32 v30, v115, v117
	v_fma_mixlo_f16 v42, v23, v42, 0 op_sel_hi:[0,1,0]
	s_wait_dscnt 0x0
	v_and_b32_e32 v60, 0xffff, v52
	v_lshrrev_b32_e32 v52, 16, v52
	v_lshrrev_b32_e32 v119, 16, v53
	v_and_b32_e32 v53, 0xffff, v53
	;;#ASMSTART
	v_cvt_f32_f16 v60, v60;
	;;#ASMEND
	;;#ASMSTART
	v_cvt_f32_f16 v61, v52;
	;;#ASMEND
	;;#ASMSTART
	v_cvt_f32_f16 v62, v62;
	;;#ASMEND
	;;#ASMSTART
	v_cvt_f32_f16 v63, v118;
	;;#ASMEND
	;;#ASMSTART
	v_cvt_f32_f16 v118, v53;
	;;#ASMEND
	;;#ASMSTART
	v_cvt_f32_f16 v119, v119;
	;;#ASMEND
	;;#ASMSTART
	v_cvt_f32_f16 v120, v120;
	;;#ASMEND
	;;#ASMSTART
	v_cvt_f32_f16 v121, v121;
	;;#ASMEND
	ds_load_b64 v[52:53], v19 offset:80
	v_fmac_f32_e32 v31, v60, v62
	v_fmac_f32_e32 v69, v61, v63
	v_dual_fmac_f32 v71, v118, v120 :: v_dual_fmac_f32 v30, v119, v121
	s_wait_dscnt 0x0
	v_and_b32_e32 v64, 0xffff, v52
	v_lshrrev_b32_e32 v52, 16, v52
	v_lshrrev_b32_e32 v123, 16, v53
	v_and_b32_e32 v53, 0xffff, v53
	;;#ASMSTART
	v_cvt_f32_f16 v64, v64;
	;;#ASMEND
	;;#ASMSTART
	v_cvt_f32_f16 v65, v52;
	;;#ASMEND
	;;#ASMSTART
	v_cvt_f32_f16 v66, v66;
	;;#ASMEND
	;;#ASMSTART
	v_cvt_f32_f16 v67, v122;
	;;#ASMEND
	;;#ASMSTART
	v_cvt_f32_f16 v122, v53;
	;;#ASMEND
	;;#ASMSTART
	v_cvt_f32_f16 v123, v123;
	;;#ASMEND
	;;#ASMSTART
	v_cvt_f32_f16 v124, v124;
	;;#ASMEND
	;;#ASMSTART
	v_cvt_f32_f16 v125, v125;
	;;#ASMEND
	ds_load_b64 v[52:53], v19 offset:88
	v_fmac_f32_e32 v31, v64, v66
	v_fmac_f32_e32 v69, v65, v67
	v_dual_fmac_f32 v71, v122, v124 :: v_dual_fmac_f32 v30, v123, v125
	;; [unrolled: 33-line block ×3, first 2 shown]
	s_wait_dscnt 0x0
	v_and_b32_e32 v1, 0xffff, v28
	v_lshrrev_b32_e32 v26, 16, v28
	v_lshrrev_b32_e32 v32, 16, v29
	v_and_b32_e32 v29, 0xffff, v29
	;;#ASMSTART
	v_cvt_f32_f16 v1, v1;
	;;#ASMEND
	;;#ASMSTART
	v_cvt_f32_f16 v26, v26;
	;;#ASMEND
	;;#ASMSTART
	v_cvt_f32_f16 v27, v24;
	;;#ASMEND
	;;#ASMSTART
	v_cvt_f32_f16 v28, v128;
	;;#ASMEND
	;;#ASMSTART
	v_cvt_f32_f16 v29, v29;
	;;#ASMEND
	;;#ASMSTART
	v_cvt_f32_f16 v32, v32;
	;;#ASMEND
	;;#ASMSTART
	v_cvt_f32_f16 v33, v25;
	;;#ASMEND
	;;#ASMSTART
	v_cvt_f32_f16 v34, v7;
	;;#ASMEND
	ds_load_b64 v[24:25], v19 offset:104
	v_or_b32_e32 v7, v8, v9
	v_fma_mixlo_f16 v9, v23, v8, 0 op_sel:[0,1,0] op_sel_hi:[0,1,0]
	v_fmac_f32_e32 v31, v1, v27
	v_fmac_f32_e32 v69, v26, v28
	;; [unrolled: 1-line block ×3, first 2 shown]
	v_fma_mixlo_f16 v35, v23, v7, 0 op_sel_hi:[0,1,0]
	v_fma_mixlo_f16 v1, v23, v80, 0 op_sel:[0,1,0] op_sel_hi:[0,1,0]
	v_and_b32_e32 v26, 0xffff, v9
	s_wait_dscnt 0x0
	v_dual_fmac_f32 v30, v32, v34 :: v_dual_and_b32 v7, 0xffff, v24
	v_lshrrev_b32_e32 v8, 16, v24
	;;#ASMSTART
	v_cvt_f32_f16 v24, v7;
	;;#ASMEND
	;;#ASMSTART
	v_cvt_f32_f16 v36, v8;
	;;#ASMEND
	v_and_b32_e32 v7, 0xffff, v76
	v_and_b32_e32 v8, 0xffff, v25
	v_lshrrev_b32_e32 v39, 16, v25
	;;#ASMSTART
	v_cvt_f32_f16 v37, v37;
	;;#ASMEND
	;;#ASMSTART
	v_cvt_f32_f16 v25, v7;
	;;#ASMEND
	;; [unrolled: 3-line block ×6, first 2 shown]
	ds_load_b64 v[7:8], v19 offset:112
	v_fmac_f32_e32 v31, v24, v37
	v_fmac_f32_e32 v69, v36, v25
	v_fmac_f32_e32 v71, v38, v40
	v_dual_fmac_f32 v30, v39, v41 :: v_dual_and_b32 v25, 0xffff, v35
	s_wait_dscnt 0x0
	v_and_b32_e32 v23, 0xffff, v7
	v_lshrrev_b32_e32 v24, 16, v7
	;;#ASMSTART
	v_cvt_f32_f16 v7, v23;
	;;#ASMEND
	;;#ASMSTART
	v_cvt_f32_f16 v9, v24;
	;;#ASMEND
	;; [unrolled: 3-line block ×4, first 2 shown]
	v_and_b32_e32 v25, 0xffff, v8
	v_lshrrev_b32_e32 v8, 16, v8
	v_fmac_f32_e32 v31, v7, v23
	;;#ASMSTART
	v_cvt_f32_f16 v7, v25;
	;;#ASMEND
	v_dual_fmac_f32 v69, v9, v24 :: v_dual_and_b32 v26, 0xffff, v42
	;;#ASMSTART
	v_cvt_f32_f16 v8, v8;
	;;#ASMEND
	;;#ASMSTART
	v_cvt_f32_f16 v9, v26;
	;;#ASMEND
	v_fmac_f32_e32 v71, v7, v9
	v_xor_b32_e32 v7, 1, v15
	v_and_b32_e32 v23, 0xffff, v1
	v_add_f32_e32 v1, v31, v69
	;;#ASMSTART
	v_cvt_f32_f16 v9, v23;
	;;#ASMEND
	v_fmac_f32_e32 v30, v8, v9
	v_cmp_gt_i32_e64 s4, 32, v7
	s_delay_alu instid0(VALU_DEP_3) | instskip(SKIP_1) | instid1(VALU_DEP_2)
	v_add_f32_e32 v1, v1, v71
	s_wait_alu 0xf1ff
	v_cndmask_b32_e64 v7, v15, v7, s4
	s_delay_alu instid0(VALU_DEP_2) | instskip(NEXT) | instid1(VALU_DEP_2)
	v_add_f32_e32 v1, v30, v1
	v_lshlrev_b32_e32 v7, 2, v7
	ds_bpermute_b32 v7, v7, v1
	s_and_saveexec_b32 s5, vcc_lo
	s_cbranch_execz .LBB277_9
; %bb.491:                              ;   in Loop: Header=BB277_10 Depth=1
	s_wait_dscnt 0x0
	v_dual_add_f32 v1, v1, v7 :: v_dual_add_nc_u32 v8, s25, v20
	v_cmp_gt_i32_e64 s4, s27, v20
	s_delay_alu instid0(VALU_DEP_2) | instskip(NEXT) | instid1(VALU_DEP_1)
	v_cvt_f32_i32_e32 v8, v8
	v_mul_f32_e32 v8, s6, v8
	s_delay_alu instid0(VALU_DEP_1) | instskip(NEXT) | instid1(VALU_DEP_1)
	v_cndmask_b32_e64 v7, 0, v8, s3
	v_dual_max_num_f32 v8, v18, v18 :: v_dual_fmac_f32 v7, s7, v1
	s_delay_alu instid0(VALU_DEP_1) | instskip(SKIP_2) | instid1(VALU_DEP_2)
	v_max_num_f32_e32 v1, v8, v7
	s_wait_alu 0xf1ff
	v_cndmask_b32_e64 v7, 0, v7, s4
	v_cndmask_b32_e64 v18, v18, v1, s4
	ds_store_b32 v21, v7
	s_branch .LBB277_9
.LBB277_492:
	s_or_b32 exec_lo, exec_lo, s14
.LBB277_493:
	s_delay_alu instid0(SALU_CYCLE_1)
	s_or_b32 exec_lo, exec_lo, s24
	v_xor_b32_e32 v1, 16, v15
	v_xor_b32_e32 v3, 8, v15
	s_load_b128 s[4:7], s[0:1], 0x0
	s_wait_kmcnt 0x0
	s_clause 0x1
	s_load_b64 s[8:9], s[0:1], 0x10
	s_load_b64 s[24:25], s[0:1], 0x28
	v_max_num_f32_e32 v5, v18, v18
	v_cmp_lt_i32_e32 vcc_lo, v1, v16
	v_cndmask_b32_e32 v1, v15, v1, vcc_lo
	v_cmp_lt_i32_e32 vcc_lo, v3, v16
	s_wait_alu 0xfffd
	v_cndmask_b32_e32 v3, v15, v3, vcc_lo
	s_delay_alu instid0(VALU_DEP_1) | instskip(SKIP_4) | instid1(VALU_DEP_1)
	v_lshlrev_b32_e32 v6, 2, v3
	v_lshlrev_b32_e32 v4, 2, v1
	ds_bpermute_b32 v1, v4, v18
	s_wait_dscnt 0x0
	v_max_num_f32_e32 v1, v1, v1
	v_max_num_f32_e32 v1, v5, v1
	v_xor_b32_e32 v5, 4, v15
	ds_bpermute_b32 v3, v6, v1
	v_cmp_lt_i32_e32 vcc_lo, v5, v16
	s_wait_alu 0xfffd
	v_cndmask_b32_e32 v5, v15, v5, vcc_lo
	s_delay_alu instid0(VALU_DEP_1) | instskip(SKIP_1) | instid1(VALU_DEP_1)
	v_lshlrev_b32_e32 v7, 2, v5
	v_xor_b32_e32 v5, 2, v15
	v_cmp_lt_i32_e32 vcc_lo, v5, v16
	s_wait_dscnt 0x0
	v_max_num_f32_e32 v3, v3, v3
	s_wait_alu 0xfffd
	s_delay_alu instid0(VALU_DEP_1) | instskip(SKIP_3) | instid1(VALU_DEP_1)
	v_dual_cndmask_b32 v8, v15, v5 :: v_dual_max_num_f32 v1, v1, v3
	ds_bpermute_b32 v3, v7, v1
	s_wait_dscnt 0x0
	v_max_num_f32_e32 v3, v3, v3
	v_max_num_f32_e32 v5, v1, v3
	v_lshlrev_b32_e32 v3, 2, v8
	v_and_b32_e32 v1, 31, v0
	v_lshlrev_b32_e32 v8, 2, v13
	ds_bpermute_b32 v9, v3, v5
	v_cmp_eq_u32_e32 vcc_lo, 0, v1
	s_and_saveexec_b32 s0, vcc_lo
	s_cbranch_execz .LBB277_495
; %bb.494:
	s_wait_dscnt 0x0
	v_max_num_f32_e32 v9, v9, v9
	v_max_num_f32_e32 v5, v5, v5
	s_delay_alu instid0(VALU_DEP_1)
	v_max_num_f32_e32 v5, v5, v9
	ds_store_b32 v8, v5 offset:240
.LBB277_495:
	s_or_b32 exec_lo, exec_lo, s0
	v_cmp_gt_u32_e64 s0, 4, v1
	v_mov_b32_e32 v5, 0xff7fffff
	s_wait_dscnt 0x0
	v_lshlrev_b32_e32 v9, 2, v1
	s_wait_loadcnt 0x0
	s_barrier_signal -1
	s_barrier_wait -1
	global_inv scope:SCOPE_SE
	s_and_saveexec_b32 s1, s0
; %bb.496:
	ds_load_b32 v5, v9 offset:240
; %bb.497:
	s_or_b32 exec_lo, exec_lo, s1
	s_wait_dscnt 0x0
	ds_bpermute_b32 v18, v3, v5
	v_xor_b32_e32 v19, 1, v15
	v_dual_max_num_f32 v5, v5, v5 :: v_dual_lshlrev_b32 v2, 2, v2
	s_delay_alu instid0(VALU_DEP_2) | instskip(NEXT) | instid1(VALU_DEP_1)
	v_cmp_lt_i32_e64 s1, v19, v16
	v_cndmask_b32_e64 v16, v15, v19, s1
	s_sub_co_i32 s1, s17, s31
	s_wait_alu 0xfffe
	s_lshl_b32 s1, s1, 4
	s_wait_alu 0xfffe
	s_add_co_i32 s1, s1, s28
	s_wait_alu 0xfffe
	s_min_i32 s1, s1, s27
	s_wait_alu 0xfffe
	s_sub_co_i32 s14, s1, s28
	s_wait_dscnt 0x0
	v_max_num_f32_e32 v18, v18, v18
	v_lshlrev_b32_e32 v16, 2, v16
	v_cmp_gt_i32_e64 s1, s14, v0
	s_delay_alu instid0(VALU_DEP_3) | instskip(SKIP_3) | instid1(VALU_DEP_1)
	v_max_num_f32_e32 v5, v5, v18
	ds_bpermute_b32 v18, v16, v5
	s_wait_dscnt 0x0
	v_max_num_f32_e32 v18, v18, v18
	v_dual_max_num_f32 v5, v5, v18 :: v_dual_mov_b32 v18, 0
	ds_bpermute_b32 v2, v2, v5
	v_lshl_add_u32 v5, v0, 2, 0x110
	s_and_saveexec_b32 s23, s1
	s_cbranch_execz .LBB277_501
; %bb.498:
	v_lshl_add_u32 v19, v0, 2, 0x110
	v_mov_b32_e32 v18, 0
	v_mov_b32_e32 v20, v0
	s_mov_b32 s31, 0
.LBB277_499:                            ; =>This Inner Loop Header: Depth=1
	ds_load_b32 v21, v19
	v_add_nc_u32_e32 v20, 0x80, v20
	s_delay_alu instid0(VALU_DEP_1) | instskip(SKIP_4) | instid1(VALU_DEP_1)
	v_cmp_le_i32_e64 s3, s14, v20
	s_wait_alu 0xfffe
	s_or_b32 s31, s3, s31
	s_wait_dscnt 0x0
	v_sub_f32_e32 v21, v21, v2
	v_mul_f32_e32 v21, 0x3fb8aa3b, v21
	s_delay_alu instid0(VALU_DEP_1)
	v_exp_f32_e32 v21, v21
	ds_store_b32 v19, v21
	v_dual_add_f32 v18, v18, v21 :: v_dual_add_nc_u32 v19, 0x200, v19
	s_wait_alu 0xfffe
	s_and_not1_b32 exec_lo, exec_lo, s31
	s_cbranch_execnz .LBB277_499
; %bb.500:
	s_or_b32 exec_lo, exec_lo, s31
.LBB277_501:
	s_wait_alu 0xfffe
	s_or_b32 exec_lo, exec_lo, s23
	ds_bpermute_b32 v4, v4, v18
	s_wait_dscnt 0x0
	v_add_f32_e32 v4, v18, v4
	ds_bpermute_b32 v6, v6, v4
	s_wait_dscnt 0x0
	v_add_f32_e32 v4, v4, v6
	;; [unrolled: 3-line block ×5, first 2 shown]
	s_and_saveexec_b32 s3, vcc_lo
; %bb.502:
	ds_store_b32 v8, v4 offset:256
; %bb.503:
	s_wait_alu 0xfffe
	s_or_b32 exec_lo, exec_lo, s3
	s_wait_loadcnt_dscnt 0x0
	s_barrier_signal -1
	s_barrier_wait -1
	global_inv scope:SCOPE_SE
	s_and_saveexec_b32 s3, s0
; %bb.504:
	ds_load_b32 v4, v9 offset:256
; %bb.505:
	s_wait_alu 0xfffe
	s_or_b32 exec_lo, exec_lo, s3
	s_wait_dscnt 0x0
	ds_bpermute_b32 v3, v3, v4
	v_lshlrev_b32_e32 v6, 2, v15
	s_wait_dscnt 0x0
	v_add_f32_e32 v3, v4, v3
	ds_bpermute_b32 v4, v16, v3
	s_wait_dscnt 0x0
	v_dual_add_f32 v3, v3, v4 :: v_dual_and_b32 v4, 0xffffff80, v6
	ds_bpermute_b32 v3, v4, v3
	s_and_saveexec_b32 s0, s1
	s_cbranch_execz .LBB277_508
; %bb.506:
	s_wait_dscnt 0x0
	v_add_f32_e32 v4, 0x358637bd, v3
	s_mov_b32 s1, 0
	s_delay_alu instid0(VALU_DEP_1) | instskip(SKIP_1) | instid1(VALU_DEP_2)
	v_div_scale_f32 v6, null, v4, v4, 1.0
	v_div_scale_f32 v9, vcc_lo, 1.0, v4, 1.0
	v_rcp_f32_e32 v7, v6
	s_delay_alu instid0(TRANS32_DEP_1) | instskip(NEXT) | instid1(VALU_DEP_1)
	v_fma_f32 v8, -v6, v7, 1.0
	v_fmac_f32_e32 v7, v8, v7
	s_delay_alu instid0(VALU_DEP_1) | instskip(NEXT) | instid1(VALU_DEP_1)
	v_mul_f32_e32 v8, v9, v7
	v_fma_f32 v15, -v6, v8, v9
	s_delay_alu instid0(VALU_DEP_1) | instskip(NEXT) | instid1(VALU_DEP_1)
	v_fmac_f32_e32 v8, v15, v7
	v_fma_f32 v6, -v6, v8, v9
	s_wait_alu 0xfffd
	s_delay_alu instid0(VALU_DEP_1) | instskip(NEXT) | instid1(VALU_DEP_1)
	v_div_fmas_f32 v6, v6, v7, v8
	v_div_fixup_f32 v4, v6, v4, 1.0
	v_mov_b32_e32 v6, v0
.LBB277_507:                            ; =>This Inner Loop Header: Depth=1
	ds_load_b32 v7, v5
	s_wait_dscnt 0x0
	v_dual_mul_f32 v7, v4, v7 :: v_dual_add_nc_u32 v6, 0x80, v6
	s_delay_alu instid0(VALU_DEP_1)
	v_cmp_le_i32_e32 vcc_lo, s14, v6
	ds_store_b32 v5, v7
	v_add_nc_u32_e32 v5, 0x200, v5
	s_wait_alu 0xfffe
	s_or_b32 s1, vcc_lo, s1
	s_wait_alu 0xfffe
	s_and_not1_b32 exec_lo, exec_lo, s1
	s_cbranch_execnz .LBB277_507
.LBB277_508:
	s_wait_alu 0xfffe
	s_or_b32 exec_lo, exec_lo, s0
	s_mul_i32 s0, s12, s15
	s_wait_loadcnt_dscnt 0x0
	s_wait_alu 0xfffe
	s_mul_i32 s14, s0, s30
	s_mov_b32 s0, exec_lo
	s_barrier_signal -1
	s_barrier_wait -1
	global_inv scope:SCOPE_SE
	v_cmpx_eq_u32_e32 0, v0
	s_cbranch_execz .LBB277_510
; %bb.509:
	s_wait_alu 0xfffe
	s_ashr_i32 s15, s14, 31
	s_mul_i32 s30, s12, ttmp9
	s_lshl_b32 s1, s26, 2
	s_wait_alu 0xfffe
	s_lshl_b64 s[34:35], s[14:15], 2
	s_ashr_i32 s31, s30, 31
	v_mov_b32_e32 v4, s1
	s_wait_alu 0xfffe
	s_add_nc_u64 s[6:7], s[6:7], s[34:35]
	s_lshl_b64 s[30:31], s[30:31], 2
	s_add_nc_u64 s[4:5], s[4:5], s[34:35]
	s_wait_alu 0xfffe
	s_add_nc_u64 s[6:7], s[6:7], s[30:31]
	s_add_nc_u64 s[4:5], s[4:5], s[30:31]
	s_clause 0x1
	global_store_b32 v4, v2, s[6:7]
	global_store_b32 v4, v3, s[4:5]
.LBB277_510:
	s_wait_alu 0xfffe
	s_or_b32 exec_lo, exec_lo, s0
	v_lshrrev_b32_e32 v15, 1, v1
	s_and_saveexec_b32 s0, s2
	s_wait_alu 0xfffe
	s_xor_b32 s0, exec_lo, s0
; %bb.511:
	v_lshrrev_b32_e32 v15, 1, v1
                                        ; implicit-def: $vgpr14
                                        ; implicit-def: $vgpr10
                                        ; implicit-def: $vgpr17
; %bb.512:
	s_wait_alu 0xfffe
	s_or_saveexec_b32 s6, s0
	v_dual_mov_b32 v24, 0 :: v_dual_mov_b32 v25, 0
	v_dual_mov_b32 v23, 0 :: v_dual_mov_b32 v22, 0
	v_dual_mov_b32 v21, 0 :: v_dual_mov_b32 v20, 0
	v_dual_mov_b32 v19, 0 :: v_dual_mov_b32 v18, 0
	s_wait_alu 0xfffe
	s_xor_b32 exec_lo, exec_lo, s6
	s_cbranch_execz .LBB277_1046
; %bb.513:
	v_dual_mov_b32 v18, 0 :: v_dual_lshlrev_b32 v3, 5, v12
	s_lshl_b64 s[0:1], s[18:19], 2
	v_dual_mov_b32 v2, 0 :: v_dual_and_b32 v1, 8, v10
	s_delay_alu instid0(VALU_DEP_2)
	v_lshl_or_b32 v3, v13, 6, v3
	v_or_b32_e32 v4, 0x70, v15
	v_lshl_add_u32 v5, v13, 4, s28
	s_wait_alu 0xfffe
	s_add_nc_u64 s[0:1], s[20:21], s[0:1]
	v_lshl_or_b32 v26, v15, 4, v1
	v_dual_mov_b32 v20, 0 :: v_dual_add_nc_u32 v29, 0x110, v3
	s_wait_alu 0xfffe
	v_add_co_u32 v3, s0, s0, v17
	v_cmp_gt_u32_e32 vcc_lo, 0x78, v4
	v_lshl_or_b32 v27, v4, 4, v1
	v_add3_u32 v28, v5, v1, 7
	s_wait_alu 0xf1ff
	v_add_co_ci_u32_e64 v4, null, s1, 0, s0
	v_dual_mov_b32 v19, 0 :: v_dual_mov_b32 v22, 0
	v_dual_mov_b32 v21, 0 :: v_dual_mov_b32 v24, 0
	v_mov_b32_e32 v23, 0
	v_mov_b32_e32 v25, 0
	s_ashr_i32 s23, s22, 31
	s_mov_b32 s4, -1
	s_mov_b32 s7, s13
	s_wait_kmcnt 0x0
	s_wait_alu 0xfffe
	s_add_nc_u64 s[2:3], s[24:25], s[22:23]
	s_mov_b32 s5, 0xffffff
	s_add_co_i32 s29, s29, -1
	s_mov_b32 s13, 0
	s_branch .LBB277_516
.LBB277_514:                            ;   in Loop: Header=BB277_516 Depth=1
	s_wait_alu 0xfffe
	s_or_b32 exec_lo, exec_lo, s1
	;;#ASMSTART
	v_pk_mul_f16 v1, v35, v51;

	;;#ASMEND
	;;#ASMSTART
	v_pk_mul_f16 v5, v34, v50;

	;;#ASMEND
	;; [unrolled: 4-line block ×4, first 2 shown]
	;;#ASMSTART
	v_pk_add_f16 v1, v1, v5;

	;;#ASMEND
	;;#ASMSTART
	v_pk_add_f16 v1, v1, v6;

	;;#ASMEND
	;; [unrolled: 4-line block ×3, first 2 shown]
	v_and_b32_e32 v5, 0xffff, v1
	v_lshrrev_b32_e32 v6, 16, v1
	;;#ASMSTART
	v_cvt_f32_f16 v1, v5;
	;;#ASMEND
	;;#ASMSTART
	v_cvt_f32_f16 v5, v6;
	;;#ASMEND
	s_delay_alu instid0(VALU_DEP_2) | instskip(NEXT) | instid1(VALU_DEP_1)
	v_add_f32_e32 v1, v1, v5
	v_add_f32_e32 v18, v18, v1
.LBB277_515:                            ;   in Loop: Header=BB277_516 Depth=1
	s_wait_alu 0xfffe
	s_or_b32 exec_lo, exec_lo, s15
	v_dual_add_f32 v1, v7, v8 :: v_dual_add_f32 v6, v42, v43
	v_add_f32_e32 v5, v9, v10
	v_dual_add_f32 v7, v40, v41 :: v_dual_add_nc_u32 v14, 4, v14
	s_delay_alu instid0(VALU_DEP_3)
	v_add_f32_e32 v19, v19, v1
	v_add_f32_e32 v1, v38, v39
	v_dual_add_f32 v21, v21, v6 :: v_dual_add_nc_u32 v28, 64, v28
	v_add_f32_e32 v6, v30, v31
	v_add_f32_e32 v20, v20, v5
	v_add_f32_e32 v5, v36, v37
	v_cmp_le_i32_e64 s0, s17, v14
	v_add_co_u32 v3, s1, v3, 16
	v_dual_add_f32 v22, v22, v7 :: v_dual_add_f32 v23, v23, v1
	s_delay_alu instid0(VALU_DEP_4) | instskip(SKIP_4) | instid1(SALU_CYCLE_1)
	v_dual_add_f32 v24, v24, v6 :: v_dual_add_f32 v25, v25, v5
	v_add_nc_u32_e32 v29, 0x100, v29
	s_wait_alu 0xf1ff
	v_add_co_ci_u32_e64 v4, null, 0, v4, s1
	s_or_b32 s13, s0, s13
	s_and_not1_b32 exec_lo, exec_lo, s13
	s_cbranch_execz .LBB277_1045
.LBB277_516:                            ; =>This Inner Loop Header: Depth=1
	global_load_b32 v1, v[3:4], off
	ds_load_2addr_b64 v[7:10], v29 offset1:1
	ds_load_2addr_b64 v[35:38], v29 offset0:2 offset1:3
	v_mov_b32_e32 v39, 0
	s_mov_b32 s1, exec_lo
	s_wait_dscnt 0x1
	;;#ASMSTART
	v_cvt_f16_f32 v33, v7;

	;;#ASMEND
	;;#ASMSTART
	v_cvt_f16_f32 v30, v8;

	;;#ASMEND
	;; [unrolled: 4-line block ×4, first 2 shown]
	s_wait_dscnt 0x0
	;;#ASMSTART
	v_cvt_f16_f32 v35, v35;

	;;#ASMEND
	;;#ASMSTART
	v_cvt_f16_f32 v32, v36;

	;;#ASMEND
	;; [unrolled: 4-line block ×4, first 2 shown]
	s_wait_loadcnt 0x0
	s_wait_alu 0xfffe
	v_mad_co_i64_i32 v[5:6], null, v1, s7, s[2:3]
	s_delay_alu instid0(VALU_DEP_1) | instskip(SKIP_1) | instid1(VALU_DEP_2)
	v_add_co_u32 v7, s0, v5, v26
	s_wait_alu 0xf1ff
	v_add_co_ci_u32_e64 v8, null, 0, v6, s0
	global_load_b64 v[9:10], v[7:8], off
	global_load_b32 v38, v2, s[10:11]
	s_wait_loadcnt 0x1
	v_and_b32_e32 v1, 0xff, v9
	s_delay_alu instid0(VALU_DEP_1)
	v_cmpx_ne_u16_e32 0, v1
	s_cbranch_execz .LBB277_524
; %bb.517:                              ;   in Loop: Header=BB277_516 Depth=1
	v_mov_b32_e32 v39, 0x8000
	s_mov_b32 s15, exec_lo
	v_cmpx_ne_u16_e32 0x80, v1
	s_cbranch_execz .LBB277_523
; %bb.518:                              ;   in Loop: Header=BB277_516 Depth=1
	v_and_b32_e32 v40, 0x7f, v9
	v_mov_b32_e32 v39, 0x7c01
	s_mov_b32 s18, exec_lo
	s_delay_alu instid0(VALU_DEP_2)
	v_cmpx_ne_u32_e32 0x7f, v40
	s_cbranch_execz .LBB277_522
; %bb.519:                              ;   in Loop: Header=BB277_516 Depth=1
	v_and_b32_e32 v1, 7, v9
	v_lshrrev_b32_e32 v17, 3, v40
	s_mov_b32 s19, exec_lo
	v_cmpx_gt_u32_e32 8, v40
; %bb.520:                              ;   in Loop: Header=BB277_516 Depth=1
	s_delay_alu instid0(VALU_DEP_3) | instskip(NEXT) | instid1(VALU_DEP_1)
	v_clz_i32_u32_e32 v1, v1
	v_min_u32_e32 v1, 32, v1
	s_delay_alu instid0(VALU_DEP_1) | instskip(NEXT) | instid1(VALU_DEP_1)
	v_subrev_nc_u32_e32 v17, 28, v1
	v_lshlrev_b64_e32 v[39:40], v17, v[9:10]
	v_sub_nc_u32_e32 v17, 29, v1
	s_delay_alu instid0(VALU_DEP_2)
	v_and_b32_e32 v1, 7, v39
; %bb.521:                              ;   in Loop: Header=BB277_516 Depth=1
	s_or_b32 exec_lo, exec_lo, s19
	v_lshlrev_b32_e32 v39, 8, v9
	s_delay_alu instid0(VALU_DEP_3) | instskip(NEXT) | instid1(VALU_DEP_3)
	v_lshl_add_u32 v17, v17, 10, 0x2000
	v_lshlrev_b32_e32 v1, 7, v1
	s_delay_alu instid0(VALU_DEP_3) | instskip(NEXT) | instid1(VALU_DEP_3)
	v_and_b32_e32 v39, 0x8000, v39
	v_and_b32_e32 v17, 0xfc00, v17
	s_delay_alu instid0(VALU_DEP_1)
	v_or3_b32 v39, v39, v17, v1
.LBB277_522:                            ;   in Loop: Header=BB277_516 Depth=1
	s_or_b32 exec_lo, exec_lo, s18
.LBB277_523:                            ;   in Loop: Header=BB277_516 Depth=1
	s_wait_alu 0xfffe
	s_or_b32 exec_lo, exec_lo, s15
.LBB277_524:                            ;   in Loop: Header=BB277_516 Depth=1
	s_delay_alu instid0(SALU_CYCLE_1) | instskip(SKIP_3) | instid1(VALU_DEP_2)
	s_or_b32 exec_lo, exec_lo, s1
	v_lshrrev_b16 v1, 8, v9
	v_dual_mov_b32 v17, 0 :: v_dual_mov_b32 v40, 0
	s_mov_b32 s1, exec_lo
	v_cmpx_ne_u16_e32 0, v1
	s_cbranch_execz .LBB277_532
; %bb.525:                              ;   in Loop: Header=BB277_516 Depth=1
	v_bfrev_b32_e32 v40, 1
	s_mov_b32 s15, exec_lo
	v_cmpx_ne_u16_e32 0x80, v1
	s_cbranch_execz .LBB277_531
; %bb.526:                              ;   in Loop: Header=BB277_516 Depth=1
	v_and_b32_e32 v41, 0xffff, v1
	v_mov_b32_e32 v40, 0x7c010000
	s_mov_b32 s18, exec_lo
	s_delay_alu instid0(VALU_DEP_2) | instskip(NEXT) | instid1(VALU_DEP_1)
	v_and_b32_e32 v43, 0x7f, v41
	v_cmpx_ne_u32_e32 0x7f, v43
	s_cbranch_execz .LBB277_530
; %bb.527:                              ;   in Loop: Header=BB277_516 Depth=1
	v_and_b32_e32 v40, 7, v41
	v_lshrrev_b32_e32 v42, 3, v43
	s_mov_b32 s19, exec_lo
	v_cmpx_gt_u32_e32 8, v43
; %bb.528:                              ;   in Loop: Header=BB277_516 Depth=1
	s_delay_alu instid0(VALU_DEP_3) | instskip(NEXT) | instid1(VALU_DEP_1)
	v_clz_i32_u32_e32 v40, v40
	v_min_u32_e32 v40, 32, v40
	s_delay_alu instid0(VALU_DEP_1) | instskip(NEXT) | instid1(VALU_DEP_1)
	v_subrev_nc_u32_e32 v42, 28, v40
	v_lshlrev_b64_e32 v[43:44], v42, v[1:2]
	v_sub_nc_u32_e32 v42, 29, v40
	s_delay_alu instid0(VALU_DEP_2)
	v_and_b32_e32 v40, 7, v43
; %bb.529:                              ;   in Loop: Header=BB277_516 Depth=1
	s_or_b32 exec_lo, exec_lo, s19
	v_lshlrev_b32_e32 v1, 8, v41
	s_delay_alu instid0(VALU_DEP_3) | instskip(NEXT) | instid1(VALU_DEP_3)
	v_lshl_add_u32 v41, v42, 10, 0x2000
	v_lshlrev_b32_e32 v40, 23, v40
	s_delay_alu instid0(VALU_DEP_2) | instskip(NEXT) | instid1(VALU_DEP_1)
	v_and_or_b32 v1, 0x8000, v1, v41
	v_lshl_or_b32 v40, v1, 16, v40
.LBB277_530:                            ;   in Loop: Header=BB277_516 Depth=1
	s_or_b32 exec_lo, exec_lo, s18
.LBB277_531:                            ;   in Loop: Header=BB277_516 Depth=1
	s_wait_alu 0xfffe
	s_or_b32 exec_lo, exec_lo, s15
.LBB277_532:                            ;   in Loop: Header=BB277_516 Depth=1
	s_wait_alu 0xfffe
	s_or_b32 exec_lo, exec_lo, s1
	v_lshrrev_b32_e32 v1, 16, v9
	s_mov_b32 s1, exec_lo
	s_delay_alu instid0(VALU_DEP_1) | instskip(NEXT) | instid1(VALU_DEP_1)
	v_and_b32_e32 v41, 0xff, v1
	v_cmpx_ne_u16_e32 0, v41
	s_cbranch_execz .LBB277_540
; %bb.533:                              ;   in Loop: Header=BB277_516 Depth=1
	v_mov_b32_e32 v17, 0x8000
	s_mov_b32 s15, exec_lo
	v_cmpx_ne_u16_e32 0x80, v41
	s_cbranch_execz .LBB277_539
; %bb.534:                              ;   in Loop: Header=BB277_516 Depth=1
	v_bfe_u32 v42, v9, 16, 7
	v_mov_b32_e32 v17, 0x7c01
	s_mov_b32 s18, exec_lo
	s_delay_alu instid0(VALU_DEP_2)
	v_cmpx_ne_u32_e32 0x7f, v42
	s_cbranch_execz .LBB277_538
; %bb.535:                              ;   in Loop: Header=BB277_516 Depth=1
	v_and_b32_e32 v17, 7, v1
	v_lshrrev_b32_e32 v41, 3, v42
	s_mov_b32 s19, exec_lo
	v_cmpx_gt_u32_e32 8, v42
; %bb.536:                              ;   in Loop: Header=BB277_516 Depth=1
	s_delay_alu instid0(VALU_DEP_3) | instskip(NEXT) | instid1(VALU_DEP_1)
	v_clz_i32_u32_e32 v17, v17
	v_min_u32_e32 v17, 32, v17
	s_delay_alu instid0(VALU_DEP_1) | instskip(NEXT) | instid1(VALU_DEP_1)
	v_subrev_nc_u32_e32 v41, 28, v17
	v_lshlrev_b64_e32 v[42:43], v41, v[1:2]
	v_sub_nc_u32_e32 v41, 29, v17
	s_delay_alu instid0(VALU_DEP_2)
	v_and_b32_e32 v17, 7, v42
; %bb.537:                              ;   in Loop: Header=BB277_516 Depth=1
	s_or_b32 exec_lo, exec_lo, s19
	v_lshlrev_b32_e32 v1, 8, v1
	s_delay_alu instid0(VALU_DEP_3) | instskip(NEXT) | instid1(VALU_DEP_3)
	v_lshl_add_u32 v41, v41, 10, 0x2000
	v_lshlrev_b32_e32 v17, 7, v17
	s_delay_alu instid0(VALU_DEP_3) | instskip(NEXT) | instid1(VALU_DEP_3)
	v_and_b32_e32 v1, 0x8000, v1
	v_and_b32_e32 v41, 0xfc00, v41
	s_delay_alu instid0(VALU_DEP_1)
	v_or3_b32 v17, v1, v41, v17
.LBB277_538:                            ;   in Loop: Header=BB277_516 Depth=1
	s_or_b32 exec_lo, exec_lo, s18
.LBB277_539:                            ;   in Loop: Header=BB277_516 Depth=1
	s_wait_alu 0xfffe
	s_or_b32 exec_lo, exec_lo, s15
.LBB277_540:                            ;   in Loop: Header=BB277_516 Depth=1
	s_wait_alu 0xfffe
	s_or_b32 exec_lo, exec_lo, s1
	v_dual_mov_b32 v41, 0 :: v_dual_mov_b32 v42, 0
	s_mov_b32 s1, exec_lo
	v_cmpx_lt_u32_e32 0xffffff, v9
	s_cbranch_execz .LBB277_548
; %bb.541:                              ;   in Loop: Header=BB277_516 Depth=1
	v_lshrrev_b32_e32 v1, 24, v9
	v_bfrev_b32_e32 v42, 1
	s_mov_b32 s15, exec_lo
	s_delay_alu instid0(VALU_DEP_2)
	v_cmpx_ne_u32_e32 0x80, v1
	s_cbranch_execz .LBB277_547
; %bb.542:                              ;   in Loop: Header=BB277_516 Depth=1
	v_and_b32_e32 v44, 0x7f, v1
	v_mov_b32_e32 v42, 0x7c010000
	s_mov_b32 s18, exec_lo
	s_delay_alu instid0(VALU_DEP_2)
	v_cmpx_ne_u32_e32 0x7f, v44
	s_cbranch_execz .LBB277_546
; %bb.543:                              ;   in Loop: Header=BB277_516 Depth=1
	v_and_b32_e32 v42, 7, v1
	v_lshrrev_b32_e32 v43, 3, v44
	s_mov_b32 s19, exec_lo
	v_cmpx_gt_u32_e32 8, v44
; %bb.544:                              ;   in Loop: Header=BB277_516 Depth=1
	s_delay_alu instid0(VALU_DEP_3) | instskip(NEXT) | instid1(VALU_DEP_1)
	v_clz_i32_u32_e32 v42, v42
	v_min_u32_e32 v44, 32, v42
	s_delay_alu instid0(VALU_DEP_1) | instskip(NEXT) | instid1(VALU_DEP_1)
	v_subrev_nc_u32_e32 v42, 28, v44
	v_lshlrev_b64_e32 v[42:43], v42, v[1:2]
	v_sub_nc_u32_e32 v43, 29, v44
	s_delay_alu instid0(VALU_DEP_2)
	v_and_b32_e32 v42, 7, v42
; %bb.545:                              ;   in Loop: Header=BB277_516 Depth=1
	s_or_b32 exec_lo, exec_lo, s19
	v_lshlrev_b32_e32 v1, 8, v1
	s_delay_alu instid0(VALU_DEP_3) | instskip(NEXT) | instid1(VALU_DEP_3)
	v_lshl_add_u32 v43, v43, 10, 0x2000
	v_lshlrev_b32_e32 v42, 23, v42
	s_delay_alu instid0(VALU_DEP_2) | instskip(NEXT) | instid1(VALU_DEP_1)
	v_and_or_b32 v1, 0x8000, v1, v43
	v_lshl_or_b32 v42, v1, 16, v42
.LBB277_546:                            ;   in Loop: Header=BB277_516 Depth=1
	s_or_b32 exec_lo, exec_lo, s18
.LBB277_547:                            ;   in Loop: Header=BB277_516 Depth=1
	s_wait_alu 0xfffe
	s_or_b32 exec_lo, exec_lo, s15
.LBB277_548:                            ;   in Loop: Header=BB277_516 Depth=1
	s_wait_alu 0xfffe
	s_or_b32 exec_lo, exec_lo, s1
	v_and_b32_e32 v43, 0xff, v10
	v_mov_b32_e32 v1, v10
	s_mov_b32 s1, exec_lo
	s_delay_alu instid0(VALU_DEP_2)
	v_cmpx_ne_u16_e32 0, v43
	s_cbranch_execz .LBB277_556
; %bb.549:                              ;   in Loop: Header=BB277_516 Depth=1
	v_mov_b32_e32 v41, 0x8000
	s_mov_b32 s15, exec_lo
	v_cmpx_ne_u16_e32 0x80, v43
	s_cbranch_execz .LBB277_555
; %bb.550:                              ;   in Loop: Header=BB277_516 Depth=1
	v_and_b32_e32 v44, 0x7f, v10
	v_mov_b32_e32 v41, 0x7c01
	s_mov_b32 s18, exec_lo
	s_delay_alu instid0(VALU_DEP_2)
	v_cmpx_ne_u32_e32 0x7f, v44
	s_cbranch_execz .LBB277_554
; %bb.551:                              ;   in Loop: Header=BB277_516 Depth=1
	v_and_b32_e32 v41, 7, v10
	v_lshrrev_b32_e32 v43, 3, v44
	s_mov_b32 s19, exec_lo
	v_cmpx_gt_u32_e32 8, v44
; %bb.552:                              ;   in Loop: Header=BB277_516 Depth=1
	s_delay_alu instid0(VALU_DEP_3) | instskip(NEXT) | instid1(VALU_DEP_1)
	v_clz_i32_u32_e32 v41, v41
	v_min_u32_e32 v41, 32, v41
	s_delay_alu instid0(VALU_DEP_1) | instskip(NEXT) | instid1(VALU_DEP_1)
	v_subrev_nc_u32_e32 v43, 28, v41
	v_lshlrev_b64_e32 v[44:45], v43, v[1:2]
	v_sub_nc_u32_e32 v43, 29, v41
	s_delay_alu instid0(VALU_DEP_2)
	v_and_b32_e32 v41, 7, v44
; %bb.553:                              ;   in Loop: Header=BB277_516 Depth=1
	s_or_b32 exec_lo, exec_lo, s19
	v_lshlrev_b32_e32 v44, 8, v10
	s_delay_alu instid0(VALU_DEP_3) | instskip(NEXT) | instid1(VALU_DEP_3)
	v_lshl_add_u32 v43, v43, 10, 0x2000
	v_lshlrev_b32_e32 v41, 7, v41
	s_delay_alu instid0(VALU_DEP_3) | instskip(NEXT) | instid1(VALU_DEP_3)
	v_and_b32_e32 v44, 0x8000, v44
	v_and_b32_e32 v43, 0xfc00, v43
	s_delay_alu instid0(VALU_DEP_1)
	v_or3_b32 v41, v44, v43, v41
.LBB277_554:                            ;   in Loop: Header=BB277_516 Depth=1
	s_or_b32 exec_lo, exec_lo, s18
.LBB277_555:                            ;   in Loop: Header=BB277_516 Depth=1
	s_wait_alu 0xfffe
	s_or_b32 exec_lo, exec_lo, s15
.LBB277_556:                            ;   in Loop: Header=BB277_516 Depth=1
	s_wait_alu 0xfffe
	s_or_b32 exec_lo, exec_lo, s1
	v_lshrrev_b16 v1, 8, v1
	v_dual_mov_b32 v44, 0 :: v_dual_mov_b32 v43, 0
	s_mov_b32 s1, exec_lo
	s_delay_alu instid0(VALU_DEP_2)
	v_cmpx_ne_u16_e32 0, v1
	s_cbranch_execz .LBB277_564
; %bb.557:                              ;   in Loop: Header=BB277_516 Depth=1
	v_bfrev_b32_e32 v43, 1
	s_mov_b32 s15, exec_lo
	v_cmpx_ne_u16_e32 0x80, v1
	s_cbranch_execz .LBB277_563
; %bb.558:                              ;   in Loop: Header=BB277_516 Depth=1
	v_and_b32_e32 v45, 0xffff, v1
	v_mov_b32_e32 v43, 0x7c010000
	s_mov_b32 s18, exec_lo
	s_delay_alu instid0(VALU_DEP_2) | instskip(NEXT) | instid1(VALU_DEP_1)
	v_and_b32_e32 v47, 0x7f, v45
	v_cmpx_ne_u32_e32 0x7f, v47
	s_cbranch_execz .LBB277_562
; %bb.559:                              ;   in Loop: Header=BB277_516 Depth=1
	v_and_b32_e32 v43, 7, v45
	v_lshrrev_b32_e32 v46, 3, v47
	s_mov_b32 s19, exec_lo
	v_cmpx_gt_u32_e32 8, v47
; %bb.560:                              ;   in Loop: Header=BB277_516 Depth=1
	s_delay_alu instid0(VALU_DEP_3) | instskip(NEXT) | instid1(VALU_DEP_1)
	v_clz_i32_u32_e32 v43, v43
	v_min_u32_e32 v43, 32, v43
	s_delay_alu instid0(VALU_DEP_1) | instskip(NEXT) | instid1(VALU_DEP_1)
	v_subrev_nc_u32_e32 v46, 28, v43
	v_lshlrev_b64_e32 v[47:48], v46, v[1:2]
	v_sub_nc_u32_e32 v46, 29, v43
	s_delay_alu instid0(VALU_DEP_2)
	v_and_b32_e32 v43, 7, v47
; %bb.561:                              ;   in Loop: Header=BB277_516 Depth=1
	s_or_b32 exec_lo, exec_lo, s19
	v_lshlrev_b32_e32 v1, 8, v45
	s_delay_alu instid0(VALU_DEP_3) | instskip(NEXT) | instid1(VALU_DEP_3)
	v_lshl_add_u32 v45, v46, 10, 0x2000
	v_lshlrev_b32_e32 v43, 23, v43
	s_delay_alu instid0(VALU_DEP_2) | instskip(NEXT) | instid1(VALU_DEP_1)
	v_and_or_b32 v1, 0x8000, v1, v45
	v_lshl_or_b32 v43, v1, 16, v43
.LBB277_562:                            ;   in Loop: Header=BB277_516 Depth=1
	s_or_b32 exec_lo, exec_lo, s18
.LBB277_563:                            ;   in Loop: Header=BB277_516 Depth=1
	s_wait_alu 0xfffe
	s_or_b32 exec_lo, exec_lo, s15
.LBB277_564:                            ;   in Loop: Header=BB277_516 Depth=1
	s_wait_alu 0xfffe
	s_or_b32 exec_lo, exec_lo, s1
	v_lshrrev_b32_e32 v1, 16, v10
	s_mov_b32 s1, exec_lo
	s_delay_alu instid0(VALU_DEP_1) | instskip(NEXT) | instid1(VALU_DEP_1)
	v_and_b32_e32 v45, 0xff, v1
	v_cmpx_ne_u16_e32 0, v45
	s_cbranch_execz .LBB277_572
; %bb.565:                              ;   in Loop: Header=BB277_516 Depth=1
	v_mov_b32_e32 v44, 0x8000
	s_mov_b32 s15, exec_lo
	v_cmpx_ne_u16_e32 0x80, v45
	s_cbranch_execz .LBB277_571
; %bb.566:                              ;   in Loop: Header=BB277_516 Depth=1
	v_bfe_u32 v46, v10, 16, 7
	v_mov_b32_e32 v44, 0x7c01
	s_mov_b32 s18, exec_lo
	s_delay_alu instid0(VALU_DEP_2)
	v_cmpx_ne_u32_e32 0x7f, v46
	s_cbranch_execz .LBB277_570
; %bb.567:                              ;   in Loop: Header=BB277_516 Depth=1
	v_and_b32_e32 v44, 7, v1
	v_lshrrev_b32_e32 v45, 3, v46
	s_mov_b32 s19, exec_lo
	v_cmpx_gt_u32_e32 8, v46
; %bb.568:                              ;   in Loop: Header=BB277_516 Depth=1
	s_delay_alu instid0(VALU_DEP_3) | instskip(NEXT) | instid1(VALU_DEP_1)
	v_clz_i32_u32_e32 v44, v44
	v_min_u32_e32 v46, 32, v44
	s_delay_alu instid0(VALU_DEP_1) | instskip(NEXT) | instid1(VALU_DEP_1)
	v_subrev_nc_u32_e32 v44, 28, v46
	v_lshlrev_b64_e32 v[44:45], v44, v[1:2]
	v_sub_nc_u32_e32 v45, 29, v46
	s_delay_alu instid0(VALU_DEP_2)
	v_and_b32_e32 v44, 7, v44
; %bb.569:                              ;   in Loop: Header=BB277_516 Depth=1
	s_or_b32 exec_lo, exec_lo, s19
	v_lshlrev_b32_e32 v1, 8, v1
	s_delay_alu instid0(VALU_DEP_3) | instskip(NEXT) | instid1(VALU_DEP_3)
	v_lshl_add_u32 v45, v45, 10, 0x2000
	v_lshlrev_b32_e32 v44, 7, v44
	s_delay_alu instid0(VALU_DEP_3) | instskip(NEXT) | instid1(VALU_DEP_3)
	v_and_b32_e32 v1, 0x8000, v1
	v_and_b32_e32 v45, 0xfc00, v45
	s_delay_alu instid0(VALU_DEP_1)
	v_or3_b32 v44, v1, v45, v44
.LBB277_570:                            ;   in Loop: Header=BB277_516 Depth=1
	s_or_b32 exec_lo, exec_lo, s18
.LBB277_571:                            ;   in Loop: Header=BB277_516 Depth=1
	s_wait_alu 0xfffe
	s_or_b32 exec_lo, exec_lo, s15
.LBB277_572:                            ;   in Loop: Header=BB277_516 Depth=1
	s_wait_alu 0xfffe
	s_or_b32 exec_lo, exec_lo, s1
	v_cmp_lt_u64_e64 s0, s[4:5], v[9:10]
	v_mov_b32_e32 v9, 0
	s_and_saveexec_b32 s1, s0
	s_cbranch_execz .LBB277_580
; %bb.573:                              ;   in Loop: Header=BB277_516 Depth=1
	v_lshrrev_b32_e32 v1, 24, v10
	v_bfrev_b32_e32 v9, 1
	s_mov_b32 s15, exec_lo
	s_delay_alu instid0(VALU_DEP_2)
	v_cmpx_ne_u32_e32 0x80, v1
	s_cbranch_execz .LBB277_579
; %bb.574:                              ;   in Loop: Header=BB277_516 Depth=1
	v_and_b32_e32 v45, 0x7f, v1
	v_mov_b32_e32 v9, 0x7c010000
	s_mov_b32 s18, exec_lo
	s_delay_alu instid0(VALU_DEP_2)
	v_cmpx_ne_u32_e32 0x7f, v45
	s_cbranch_execz .LBB277_578
; %bb.575:                              ;   in Loop: Header=BB277_516 Depth=1
	v_and_b32_e32 v9, 7, v1
	v_lshrrev_b32_e32 v10, 3, v45
	s_mov_b32 s19, exec_lo
	v_cmpx_gt_u32_e32 8, v45
; %bb.576:                              ;   in Loop: Header=BB277_516 Depth=1
	s_delay_alu instid0(VALU_DEP_3) | instskip(NEXT) | instid1(VALU_DEP_1)
	v_clz_i32_u32_e32 v9, v9
	v_min_u32_e32 v45, 32, v9
	s_delay_alu instid0(VALU_DEP_1) | instskip(NEXT) | instid1(VALU_DEP_1)
	v_subrev_nc_u32_e32 v9, 28, v45
	v_lshlrev_b64_e32 v[9:10], v9, v[1:2]
	v_sub_nc_u32_e32 v10, 29, v45
	s_delay_alu instid0(VALU_DEP_2)
	v_and_b32_e32 v9, 7, v9
; %bb.577:                              ;   in Loop: Header=BB277_516 Depth=1
	s_or_b32 exec_lo, exec_lo, s19
	v_lshlrev_b32_e32 v1, 8, v1
	s_delay_alu instid0(VALU_DEP_3) | instskip(NEXT) | instid1(VALU_DEP_3)
	v_lshl_add_u32 v10, v10, 10, 0x2000
	v_lshlrev_b32_e32 v9, 23, v9
	s_delay_alu instid0(VALU_DEP_2) | instskip(NEXT) | instid1(VALU_DEP_1)
	v_and_or_b32 v1, 0x8000, v1, v10
	v_lshl_or_b32 v9, v1, 16, v9
.LBB277_578:                            ;   in Loop: Header=BB277_516 Depth=1
	s_or_b32 exec_lo, exec_lo, s18
.LBB277_579:                            ;   in Loop: Header=BB277_516 Depth=1
	s_wait_alu 0xfffe
	s_or_b32 exec_lo, exec_lo, s15
.LBB277_580:                            ;   in Loop: Header=BB277_516 Depth=1
	s_wait_alu 0xfffe
	s_or_b32 exec_lo, exec_lo, s1
	v_or_b32_e32 v1, v42, v17
	s_wait_loadcnt 0x0
	v_fma_mixlo_f16 v10, v38, v42, 0 op_sel:[0,1,0] op_sel_hi:[0,1,0]
	v_or_b32_e32 v39, v40, v39
	v_fma_mixlo_f16 v40, v38, v40, 0 op_sel:[0,1,0] op_sel_hi:[0,1,0]
	v_or_b32_e32 v45, v43, v41
	v_fma_mixlo_f16 v42, v38, v1, 0 op_sel_hi:[0,1,0]
	v_or_b32_e32 v44, v9, v44
	v_lshlrev_b32_e32 v1, 16, v10
	v_lshlrev_b32_e32 v41, 16, v40
	v_fma_mixlo_f16 v10, v38, v39, 0 op_sel_hi:[0,1,0]
	v_and_b32_e32 v40, 0xffff, v42
	v_fma_mixlo_f16 v39, v38, v43, 0 op_sel:[0,1,0] op_sel_hi:[0,1,0]
	v_fma_mixlo_f16 v42, v38, v45, 0 op_sel_hi:[0,1,0]
	v_fma_mixlo_f16 v9, v38, v9, 0 op_sel:[0,1,0] op_sel_hi:[0,1,0]
	v_fma_mixlo_f16 v38, v38, v44, 0 op_sel_hi:[0,1,0]
	v_and_b32_e32 v46, 0xffff, v10
	v_lshlrev_b32_e32 v10, 16, v39
	v_and_b32_e32 v39, 0xffff, v42
	v_lshlrev_b32_e32 v9, 16, v9
	v_and_b32_e32 v38, 0xffff, v38
	v_add_nc_u32_e32 v17, -7, v28
	v_cmp_eq_u32_e64 s0, s29, v14
	v_or_b32_e32 v42, v1, v40
	v_or_b32_e32 v43, v41, v46
	;; [unrolled: 1-line block ×4, first 2 shown]
	s_and_saveexec_b32 s15, s0
	s_cbranch_execz .LBB277_582
; %bb.581:                              ;   in Loop: Header=BB277_516 Depth=1
	v_add_nc_u32_e32 v42, -6, v28
	v_cmp_gt_i32_e64 s1, s27, v17
	v_add_nc_u32_e32 v43, -5, v28
	v_add_nc_u32_e32 v45, -2, v28
	s_wait_alu 0xf1ff
	s_delay_alu instid0(VALU_DEP_3) | instskip(SKIP_3) | instid1(VALU_DEP_2)
	v_cndmask_b32_e64 v44, 0, v46, s1
	v_cmp_gt_i32_e64 s1, s27, v42
	v_add_nc_u32_e32 v42, -4, v28
	s_wait_alu 0xf1ff
	v_cndmask_b32_e64 v41, 0, v41, s1
	v_cmp_gt_i32_e64 s1, s27, v43
	v_add_nc_u32_e32 v43, -3, v28
	s_wait_alu 0xf1ff
	s_delay_alu instid0(VALU_DEP_2) | instskip(SKIP_3) | instid1(VALU_DEP_2)
	v_cndmask_b32_e64 v40, 0, v40, s1
	v_cmp_gt_i32_e64 s1, s27, v42
	v_add_nc_u32_e32 v42, -1, v28
	s_wait_alu 0xf1ff
	v_cndmask_b32_e64 v1, 0, v1, s1
	v_cmp_gt_i32_e64 s1, s27, v43
	v_or_b32_e32 v43, v41, v44
	s_wait_alu 0xf1ff
	s_delay_alu instid0(VALU_DEP_2) | instskip(SKIP_2) | instid1(VALU_DEP_1)
	v_cndmask_b32_e64 v39, 0, v39, s1
	v_cmp_gt_i32_e64 s1, s27, v45
	s_wait_alu 0xf1ff
	v_cndmask_b32_e64 v10, 0, v10, s1
	v_cmp_gt_i32_e64 s1, s27, v42
	v_or_b32_e32 v42, v1, v40
	s_delay_alu instid0(VALU_DEP_3) | instskip(SKIP_1) | instid1(VALU_DEP_3)
	v_or_b32_e32 v44, v10, v39
	s_wait_alu 0xf1ff
	v_cndmask_b32_e64 v38, 0, v38, s1
	v_cmp_gt_i32_e64 s1, s27, v28
	s_wait_alu 0xf1ff
	s_delay_alu instid0(VALU_DEP_1) | instskip(NEXT) | instid1(VALU_DEP_1)
	v_cndmask_b32_e64 v9, 0, v9, s1
	v_or_b32_e32 v45, v9, v38
.LBB277_582:                            ;   in Loop: Header=BB277_516 Depth=1
	s_wait_alu 0xfffe
	s_or_b32 exec_lo, exec_lo, s15
	v_dual_mov_b32 v38, 0 :: v_dual_and_b32 v1, 0xffff, v33
	v_and_b32_e32 v9, 0xffff, v34
	v_and_b32_e32 v10, 0xffff, v35
	;; [unrolled: 1-line block ×3, first 2 shown]
	s_delay_alu instid0(VALU_DEP_4)
	v_lshl_or_b32 v35, v30, 16, v1
	;;#ASMSTART
	v_pk_mul_f16 v1, v35, v43;

	;;#ASMEND
	v_lshl_or_b32 v34, v31, 16, v9
	v_lshl_or_b32 v33, v32, 16, v10
	;; [unrolled: 1-line block ×3, first 2 shown]
	;;#ASMSTART
	v_pk_mul_f16 v9, v34, v42;

	;;#ASMEND
	;;#ASMSTART
	v_pk_mul_f16 v10, v33, v44;

	;;#ASMEND
	;; [unrolled: 4-line block ×3, first 2 shown]
	;;#ASMSTART
	v_pk_add_f16 v1, v1, v9;

	;;#ASMEND
	;;#ASMSTART
	v_pk_add_f16 v1, v1, v10;

	;;#ASMEND
	;; [unrolled: 4-line block ×3, first 2 shown]
	v_and_b32_e32 v9, 0xffff, v1
	v_lshrrev_b32_e32 v1, 16, v1
	;;#ASMSTART
	v_cvt_f32_f16 v30, v9;
	;;#ASMEND
	;;#ASMSTART
	v_cvt_f32_f16 v31, v1;
	;;#ASMEND
	global_load_b64 v[9:10], v[7:8], off offset:256
	v_mov_b32_e32 v37, 0
	s_mov_b32 s15, exec_lo
	global_load_b32 v36, v37, s[10:11]
	s_wait_loadcnt 0x1
	v_and_b32_e32 v1, 0xff, v9
	s_delay_alu instid0(VALU_DEP_1)
	v_cmpx_ne_u16_e32 0, v1
	s_cbranch_execz .LBB277_590
; %bb.583:                              ;   in Loop: Header=BB277_516 Depth=1
	v_mov_b32_e32 v38, 0x8000
	s_mov_b32 s18, exec_lo
	v_cmpx_ne_u16_e32 0x80, v1
	s_cbranch_execz .LBB277_589
; %bb.584:                              ;   in Loop: Header=BB277_516 Depth=1
	v_and_b32_e32 v39, 0x7f, v9
	v_mov_b32_e32 v38, 0x7c01
	s_mov_b32 s19, exec_lo
	s_delay_alu instid0(VALU_DEP_2)
	v_cmpx_ne_u32_e32 0x7f, v39
	s_cbranch_execz .LBB277_588
; %bb.585:                              ;   in Loop: Header=BB277_516 Depth=1
	v_and_b32_e32 v1, 7, v9
	v_lshrrev_b32_e32 v38, 3, v39
	s_mov_b32 s20, exec_lo
	v_cmpx_gt_u32_e32 8, v39
; %bb.586:                              ;   in Loop: Header=BB277_516 Depth=1
	s_delay_alu instid0(VALU_DEP_3) | instskip(NEXT) | instid1(VALU_DEP_1)
	v_clz_i32_u32_e32 v1, v1
	v_min_u32_e32 v1, 32, v1
	s_delay_alu instid0(VALU_DEP_1) | instskip(NEXT) | instid1(VALU_DEP_1)
	v_subrev_nc_u32_e32 v38, 28, v1
	v_lshlrev_b64_e32 v[39:40], v38, v[9:10]
	v_sub_nc_u32_e32 v38, 29, v1
	s_delay_alu instid0(VALU_DEP_2)
	v_and_b32_e32 v1, 7, v39
; %bb.587:                              ;   in Loop: Header=BB277_516 Depth=1
	s_or_b32 exec_lo, exec_lo, s20
	v_lshlrev_b32_e32 v39, 8, v9
	s_delay_alu instid0(VALU_DEP_3) | instskip(NEXT) | instid1(VALU_DEP_3)
	v_lshl_add_u32 v38, v38, 10, 0x2000
	v_lshlrev_b32_e32 v1, 7, v1
	s_delay_alu instid0(VALU_DEP_3) | instskip(NEXT) | instid1(VALU_DEP_3)
	v_and_b32_e32 v39, 0x8000, v39
	v_and_b32_e32 v38, 0xfc00, v38
	s_delay_alu instid0(VALU_DEP_1)
	v_or3_b32 v38, v39, v38, v1
.LBB277_588:                            ;   in Loop: Header=BB277_516 Depth=1
	s_or_b32 exec_lo, exec_lo, s19
.LBB277_589:                            ;   in Loop: Header=BB277_516 Depth=1
	s_delay_alu instid0(SALU_CYCLE_1)
	s_or_b32 exec_lo, exec_lo, s18
.LBB277_590:                            ;   in Loop: Header=BB277_516 Depth=1
	s_wait_alu 0xfffe
	s_or_b32 exec_lo, exec_lo, s15
	v_lshrrev_b16 v1, 8, v9
	s_mov_b32 s15, exec_lo
	s_delay_alu instid0(VALU_DEP_1)
	v_cmpx_ne_u16_e32 0, v1
	s_cbranch_execz .LBB277_598
; %bb.591:                              ;   in Loop: Header=BB277_516 Depth=1
	v_bfrev_b32_e32 v37, 1
	s_mov_b32 s18, exec_lo
	v_cmpx_ne_u16_e32 0x80, v1
	s_cbranch_execz .LBB277_597
; %bb.592:                              ;   in Loop: Header=BB277_516 Depth=1
	v_and_b32_e32 v39, 0xffff, v1
	v_mov_b32_e32 v37, 0x7c010000
	s_mov_b32 s19, exec_lo
	s_delay_alu instid0(VALU_DEP_2) | instskip(NEXT) | instid1(VALU_DEP_1)
	v_and_b32_e32 v41, 0x7f, v39
	v_cmpx_ne_u32_e32 0x7f, v41
	s_cbranch_execz .LBB277_596
; %bb.593:                              ;   in Loop: Header=BB277_516 Depth=1
	v_and_b32_e32 v37, 7, v39
	v_lshrrev_b32_e32 v40, 3, v41
	s_mov_b32 s20, exec_lo
	v_cmpx_gt_u32_e32 8, v41
; %bb.594:                              ;   in Loop: Header=BB277_516 Depth=1
	s_delay_alu instid0(VALU_DEP_3) | instskip(NEXT) | instid1(VALU_DEP_1)
	v_clz_i32_u32_e32 v37, v37
	v_min_u32_e32 v37, 32, v37
	s_delay_alu instid0(VALU_DEP_1) | instskip(NEXT) | instid1(VALU_DEP_1)
	v_subrev_nc_u32_e32 v40, 28, v37
	v_lshlrev_b64_e32 v[41:42], v40, v[1:2]
	v_sub_nc_u32_e32 v40, 29, v37
	s_delay_alu instid0(VALU_DEP_2)
	v_and_b32_e32 v37, 7, v41
; %bb.595:                              ;   in Loop: Header=BB277_516 Depth=1
	s_or_b32 exec_lo, exec_lo, s20
	v_lshlrev_b32_e32 v1, 8, v39
	s_delay_alu instid0(VALU_DEP_3) | instskip(NEXT) | instid1(VALU_DEP_3)
	v_lshl_add_u32 v39, v40, 10, 0x2000
	v_lshlrev_b32_e32 v37, 23, v37
	s_delay_alu instid0(VALU_DEP_2) | instskip(NEXT) | instid1(VALU_DEP_1)
	v_and_or_b32 v1, 0x8000, v1, v39
	v_lshl_or_b32 v37, v1, 16, v37
.LBB277_596:                            ;   in Loop: Header=BB277_516 Depth=1
	s_or_b32 exec_lo, exec_lo, s19
.LBB277_597:                            ;   in Loop: Header=BB277_516 Depth=1
	s_delay_alu instid0(SALU_CYCLE_1)
	s_or_b32 exec_lo, exec_lo, s18
.LBB277_598:                            ;   in Loop: Header=BB277_516 Depth=1
	s_wait_alu 0xfffe
	s_or_b32 exec_lo, exec_lo, s15
	v_lshrrev_b32_e32 v1, 16, v9
	v_mov_b32_e32 v39, 0
	s_mov_b32 s15, exec_lo
	s_delay_alu instid0(VALU_DEP_2) | instskip(NEXT) | instid1(VALU_DEP_1)
	v_dual_mov_b32 v40, 0 :: v_dual_and_b32 v41, 0xff, v1
	v_cmpx_ne_u16_e32 0, v41
	s_cbranch_execz .LBB277_606
; %bb.599:                              ;   in Loop: Header=BB277_516 Depth=1
	v_mov_b32_e32 v40, 0x8000
	s_mov_b32 s18, exec_lo
	v_cmpx_ne_u16_e32 0x80, v41
	s_cbranch_execz .LBB277_605
; %bb.600:                              ;   in Loop: Header=BB277_516 Depth=1
	v_bfe_u32 v42, v9, 16, 7
	v_mov_b32_e32 v40, 0x7c01
	s_mov_b32 s19, exec_lo
	s_delay_alu instid0(VALU_DEP_2)
	v_cmpx_ne_u32_e32 0x7f, v42
	s_cbranch_execz .LBB277_604
; %bb.601:                              ;   in Loop: Header=BB277_516 Depth=1
	v_and_b32_e32 v40, 7, v1
	v_lshrrev_b32_e32 v41, 3, v42
	s_mov_b32 s20, exec_lo
	v_cmpx_gt_u32_e32 8, v42
; %bb.602:                              ;   in Loop: Header=BB277_516 Depth=1
	s_delay_alu instid0(VALU_DEP_3) | instskip(NEXT) | instid1(VALU_DEP_1)
	v_clz_i32_u32_e32 v40, v40
	v_min_u32_e32 v42, 32, v40
	s_delay_alu instid0(VALU_DEP_1) | instskip(NEXT) | instid1(VALU_DEP_1)
	v_subrev_nc_u32_e32 v40, 28, v42
	v_lshlrev_b64_e32 v[40:41], v40, v[1:2]
	v_sub_nc_u32_e32 v41, 29, v42
	s_delay_alu instid0(VALU_DEP_2)
	v_and_b32_e32 v40, 7, v40
; %bb.603:                              ;   in Loop: Header=BB277_516 Depth=1
	s_or_b32 exec_lo, exec_lo, s20
	v_lshlrev_b32_e32 v1, 8, v1
	s_delay_alu instid0(VALU_DEP_3) | instskip(NEXT) | instid1(VALU_DEP_3)
	v_lshl_add_u32 v41, v41, 10, 0x2000
	v_lshlrev_b32_e32 v40, 7, v40
	s_delay_alu instid0(VALU_DEP_3) | instskip(NEXT) | instid1(VALU_DEP_3)
	v_and_b32_e32 v1, 0x8000, v1
	v_and_b32_e32 v41, 0xfc00, v41
	s_delay_alu instid0(VALU_DEP_1)
	v_or3_b32 v40, v1, v41, v40
.LBB277_604:                            ;   in Loop: Header=BB277_516 Depth=1
	s_or_b32 exec_lo, exec_lo, s19
.LBB277_605:                            ;   in Loop: Header=BB277_516 Depth=1
	s_delay_alu instid0(SALU_CYCLE_1)
	s_or_b32 exec_lo, exec_lo, s18
.LBB277_606:                            ;   in Loop: Header=BB277_516 Depth=1
	s_wait_alu 0xfffe
	s_or_b32 exec_lo, exec_lo, s15
	s_delay_alu instid0(SALU_CYCLE_1)
	s_mov_b32 s15, exec_lo
	v_cmpx_lt_u32_e32 0xffffff, v9
	s_cbranch_execz .LBB277_614
; %bb.607:                              ;   in Loop: Header=BB277_516 Depth=1
	v_lshrrev_b32_e32 v1, 24, v9
	v_bfrev_b32_e32 v39, 1
	s_mov_b32 s18, exec_lo
	s_delay_alu instid0(VALU_DEP_2)
	v_cmpx_ne_u32_e32 0x80, v1
	s_cbranch_execz .LBB277_613
; %bb.608:                              ;   in Loop: Header=BB277_516 Depth=1
	v_and_b32_e32 v42, 0x7f, v1
	v_mov_b32_e32 v39, 0x7c010000
	s_mov_b32 s19, exec_lo
	s_delay_alu instid0(VALU_DEP_2)
	v_cmpx_ne_u32_e32 0x7f, v42
	s_cbranch_execz .LBB277_612
; %bb.609:                              ;   in Loop: Header=BB277_516 Depth=1
	v_and_b32_e32 v39, 7, v1
	v_lshrrev_b32_e32 v41, 3, v42
	s_mov_b32 s20, exec_lo
	v_cmpx_gt_u32_e32 8, v42
; %bb.610:                              ;   in Loop: Header=BB277_516 Depth=1
	s_delay_alu instid0(VALU_DEP_3) | instskip(NEXT) | instid1(VALU_DEP_1)
	v_clz_i32_u32_e32 v39, v39
	v_min_u32_e32 v39, 32, v39
	s_delay_alu instid0(VALU_DEP_1) | instskip(NEXT) | instid1(VALU_DEP_1)
	v_subrev_nc_u32_e32 v41, 28, v39
	v_lshlrev_b64_e32 v[42:43], v41, v[1:2]
	v_sub_nc_u32_e32 v41, 29, v39
	s_delay_alu instid0(VALU_DEP_2)
	v_and_b32_e32 v39, 7, v42
; %bb.611:                              ;   in Loop: Header=BB277_516 Depth=1
	s_or_b32 exec_lo, exec_lo, s20
	v_lshlrev_b32_e32 v1, 8, v1
	s_delay_alu instid0(VALU_DEP_3) | instskip(NEXT) | instid1(VALU_DEP_3)
	v_lshl_add_u32 v41, v41, 10, 0x2000
	v_lshlrev_b32_e32 v39, 23, v39
	s_delay_alu instid0(VALU_DEP_2) | instskip(NEXT) | instid1(VALU_DEP_1)
	v_and_or_b32 v1, 0x8000, v1, v41
	v_lshl_or_b32 v39, v1, 16, v39
.LBB277_612:                            ;   in Loop: Header=BB277_516 Depth=1
	s_or_b32 exec_lo, exec_lo, s19
.LBB277_613:                            ;   in Loop: Header=BB277_516 Depth=1
	s_delay_alu instid0(SALU_CYCLE_1)
	s_or_b32 exec_lo, exec_lo, s18
.LBB277_614:                            ;   in Loop: Header=BB277_516 Depth=1
	s_wait_alu 0xfffe
	s_or_b32 exec_lo, exec_lo, s15
	v_dual_mov_b32 v42, 0 :: v_dual_and_b32 v43, 0xff, v10
	v_mov_b32_e32 v1, v10
	v_mov_b32_e32 v41, 0
	s_mov_b32 s15, exec_lo
	s_delay_alu instid0(VALU_DEP_3)
	v_cmpx_ne_u16_e32 0, v43
	s_cbranch_execz .LBB277_622
; %bb.615:                              ;   in Loop: Header=BB277_516 Depth=1
	v_mov_b32_e32 v42, 0x8000
	s_mov_b32 s18, exec_lo
	v_cmpx_ne_u16_e32 0x80, v43
	s_cbranch_execz .LBB277_621
; %bb.616:                              ;   in Loop: Header=BB277_516 Depth=1
	v_and_b32_e32 v44, 0x7f, v10
	v_mov_b32_e32 v42, 0x7c01
	s_mov_b32 s19, exec_lo
	s_delay_alu instid0(VALU_DEP_2)
	v_cmpx_ne_u32_e32 0x7f, v44
	s_cbranch_execz .LBB277_620
; %bb.617:                              ;   in Loop: Header=BB277_516 Depth=1
	v_and_b32_e32 v42, 7, v10
	v_lshrrev_b32_e32 v43, 3, v44
	s_mov_b32 s20, exec_lo
	v_cmpx_gt_u32_e32 8, v44
; %bb.618:                              ;   in Loop: Header=BB277_516 Depth=1
	s_delay_alu instid0(VALU_DEP_3) | instskip(NEXT) | instid1(VALU_DEP_1)
	v_clz_i32_u32_e32 v42, v42
	v_min_u32_e32 v44, 32, v42
	s_delay_alu instid0(VALU_DEP_1) | instskip(NEXT) | instid1(VALU_DEP_1)
	v_subrev_nc_u32_e32 v42, 28, v44
	v_lshlrev_b64_e32 v[42:43], v42, v[1:2]
	v_sub_nc_u32_e32 v43, 29, v44
	s_delay_alu instid0(VALU_DEP_2)
	v_and_b32_e32 v42, 7, v42
; %bb.619:                              ;   in Loop: Header=BB277_516 Depth=1
	s_or_b32 exec_lo, exec_lo, s20
	v_lshlrev_b32_e32 v44, 8, v10
	s_delay_alu instid0(VALU_DEP_3) | instskip(NEXT) | instid1(VALU_DEP_3)
	v_lshl_add_u32 v43, v43, 10, 0x2000
	v_lshlrev_b32_e32 v42, 7, v42
	s_delay_alu instid0(VALU_DEP_3) | instskip(NEXT) | instid1(VALU_DEP_3)
	v_and_b32_e32 v44, 0x8000, v44
	v_and_b32_e32 v43, 0xfc00, v43
	s_delay_alu instid0(VALU_DEP_1)
	v_or3_b32 v42, v44, v43, v42
.LBB277_620:                            ;   in Loop: Header=BB277_516 Depth=1
	s_or_b32 exec_lo, exec_lo, s19
.LBB277_621:                            ;   in Loop: Header=BB277_516 Depth=1
	s_delay_alu instid0(SALU_CYCLE_1)
	s_or_b32 exec_lo, exec_lo, s18
.LBB277_622:                            ;   in Loop: Header=BB277_516 Depth=1
	s_wait_alu 0xfffe
	s_or_b32 exec_lo, exec_lo, s15
	v_lshrrev_b16 v1, 8, v1
	v_mov_b32_e32 v43, 0
	s_mov_b32 s15, exec_lo
	s_delay_alu instid0(VALU_DEP_2)
	v_cmpx_ne_u16_e32 0, v1
	s_cbranch_execz .LBB277_630
; %bb.623:                              ;   in Loop: Header=BB277_516 Depth=1
	v_bfrev_b32_e32 v43, 1
	s_mov_b32 s18, exec_lo
	v_cmpx_ne_u16_e32 0x80, v1
	s_cbranch_execz .LBB277_629
; %bb.624:                              ;   in Loop: Header=BB277_516 Depth=1
	v_and_b32_e32 v44, 0xffff, v1
	v_mov_b32_e32 v43, 0x7c010000
	s_mov_b32 s19, exec_lo
	s_delay_alu instid0(VALU_DEP_2) | instskip(NEXT) | instid1(VALU_DEP_1)
	v_and_b32_e32 v46, 0x7f, v44
	v_cmpx_ne_u32_e32 0x7f, v46
	s_cbranch_execz .LBB277_628
; %bb.625:                              ;   in Loop: Header=BB277_516 Depth=1
	v_and_b32_e32 v43, 7, v44
	v_lshrrev_b32_e32 v45, 3, v46
	s_mov_b32 s20, exec_lo
	v_cmpx_gt_u32_e32 8, v46
; %bb.626:                              ;   in Loop: Header=BB277_516 Depth=1
	s_delay_alu instid0(VALU_DEP_3) | instskip(NEXT) | instid1(VALU_DEP_1)
	v_clz_i32_u32_e32 v43, v43
	v_min_u32_e32 v43, 32, v43
	s_delay_alu instid0(VALU_DEP_1) | instskip(NEXT) | instid1(VALU_DEP_1)
	v_subrev_nc_u32_e32 v45, 28, v43
	v_lshlrev_b64_e32 v[46:47], v45, v[1:2]
	v_sub_nc_u32_e32 v45, 29, v43
	s_delay_alu instid0(VALU_DEP_2)
	v_and_b32_e32 v43, 7, v46
; %bb.627:                              ;   in Loop: Header=BB277_516 Depth=1
	s_or_b32 exec_lo, exec_lo, s20
	v_lshlrev_b32_e32 v1, 8, v44
	s_delay_alu instid0(VALU_DEP_3) | instskip(NEXT) | instid1(VALU_DEP_3)
	v_lshl_add_u32 v44, v45, 10, 0x2000
	v_lshlrev_b32_e32 v43, 23, v43
	s_delay_alu instid0(VALU_DEP_2) | instskip(NEXT) | instid1(VALU_DEP_1)
	v_and_or_b32 v1, 0x8000, v1, v44
	v_lshl_or_b32 v43, v1, 16, v43
.LBB277_628:                            ;   in Loop: Header=BB277_516 Depth=1
	s_or_b32 exec_lo, exec_lo, s19
.LBB277_629:                            ;   in Loop: Header=BB277_516 Depth=1
	s_delay_alu instid0(SALU_CYCLE_1)
	s_or_b32 exec_lo, exec_lo, s18
.LBB277_630:                            ;   in Loop: Header=BB277_516 Depth=1
	s_wait_alu 0xfffe
	s_or_b32 exec_lo, exec_lo, s15
	v_lshrrev_b32_e32 v1, 16, v10
	s_mov_b32 s15, exec_lo
	s_delay_alu instid0(VALU_DEP_1) | instskip(NEXT) | instid1(VALU_DEP_1)
	v_and_b32_e32 v44, 0xff, v1
	v_cmpx_ne_u16_e32 0, v44
	s_cbranch_execz .LBB277_638
; %bb.631:                              ;   in Loop: Header=BB277_516 Depth=1
	v_mov_b32_e32 v41, 0x8000
	s_mov_b32 s18, exec_lo
	v_cmpx_ne_u16_e32 0x80, v44
	s_cbranch_execz .LBB277_637
; %bb.632:                              ;   in Loop: Header=BB277_516 Depth=1
	v_bfe_u32 v45, v10, 16, 7
	v_mov_b32_e32 v41, 0x7c01
	s_mov_b32 s19, exec_lo
	s_delay_alu instid0(VALU_DEP_2)
	v_cmpx_ne_u32_e32 0x7f, v45
	s_cbranch_execz .LBB277_636
; %bb.633:                              ;   in Loop: Header=BB277_516 Depth=1
	v_and_b32_e32 v41, 7, v1
	v_lshrrev_b32_e32 v44, 3, v45
	s_mov_b32 s20, exec_lo
	v_cmpx_gt_u32_e32 8, v45
; %bb.634:                              ;   in Loop: Header=BB277_516 Depth=1
	s_delay_alu instid0(VALU_DEP_3) | instskip(NEXT) | instid1(VALU_DEP_1)
	v_clz_i32_u32_e32 v41, v41
	v_min_u32_e32 v41, 32, v41
	s_delay_alu instid0(VALU_DEP_1) | instskip(NEXT) | instid1(VALU_DEP_1)
	v_subrev_nc_u32_e32 v44, 28, v41
	v_lshlrev_b64_e32 v[45:46], v44, v[1:2]
	v_sub_nc_u32_e32 v44, 29, v41
	s_delay_alu instid0(VALU_DEP_2)
	v_and_b32_e32 v41, 7, v45
; %bb.635:                              ;   in Loop: Header=BB277_516 Depth=1
	s_or_b32 exec_lo, exec_lo, s20
	v_lshlrev_b32_e32 v1, 8, v1
	s_delay_alu instid0(VALU_DEP_3) | instskip(NEXT) | instid1(VALU_DEP_3)
	v_lshl_add_u32 v44, v44, 10, 0x2000
	v_lshlrev_b32_e32 v41, 7, v41
	s_delay_alu instid0(VALU_DEP_3) | instskip(NEXT) | instid1(VALU_DEP_3)
	v_and_b32_e32 v1, 0x8000, v1
	v_and_b32_e32 v44, 0xfc00, v44
	s_delay_alu instid0(VALU_DEP_1)
	v_or3_b32 v41, v1, v44, v41
.LBB277_636:                            ;   in Loop: Header=BB277_516 Depth=1
	s_or_b32 exec_lo, exec_lo, s19
.LBB277_637:                            ;   in Loop: Header=BB277_516 Depth=1
	s_delay_alu instid0(SALU_CYCLE_1)
	s_or_b32 exec_lo, exec_lo, s18
.LBB277_638:                            ;   in Loop: Header=BB277_516 Depth=1
	s_wait_alu 0xfffe
	s_or_b32 exec_lo, exec_lo, s15
	v_cmp_lt_u64_e64 s1, s[4:5], v[9:10]
	v_mov_b32_e32 v9, 0
	s_and_saveexec_b32 s15, s1
	s_cbranch_execz .LBB277_646
; %bb.639:                              ;   in Loop: Header=BB277_516 Depth=1
	v_lshrrev_b32_e32 v1, 24, v10
	v_bfrev_b32_e32 v9, 1
	s_mov_b32 s18, exec_lo
	s_delay_alu instid0(VALU_DEP_2)
	v_cmpx_ne_u32_e32 0x80, v1
	s_cbranch_execz .LBB277_645
; %bb.640:                              ;   in Loop: Header=BB277_516 Depth=1
	v_and_b32_e32 v44, 0x7f, v1
	v_mov_b32_e32 v9, 0x7c010000
	s_mov_b32 s19, exec_lo
	s_delay_alu instid0(VALU_DEP_2)
	v_cmpx_ne_u32_e32 0x7f, v44
	s_cbranch_execz .LBB277_644
; %bb.641:                              ;   in Loop: Header=BB277_516 Depth=1
	v_and_b32_e32 v9, 7, v1
	v_lshrrev_b32_e32 v10, 3, v44
	s_mov_b32 s20, exec_lo
	v_cmpx_gt_u32_e32 8, v44
; %bb.642:                              ;   in Loop: Header=BB277_516 Depth=1
	s_delay_alu instid0(VALU_DEP_3) | instskip(NEXT) | instid1(VALU_DEP_1)
	v_clz_i32_u32_e32 v9, v9
	v_min_u32_e32 v44, 32, v9
	s_delay_alu instid0(VALU_DEP_1) | instskip(NEXT) | instid1(VALU_DEP_1)
	v_subrev_nc_u32_e32 v9, 28, v44
	v_lshlrev_b64_e32 v[9:10], v9, v[1:2]
	v_sub_nc_u32_e32 v10, 29, v44
	s_delay_alu instid0(VALU_DEP_2)
	v_and_b32_e32 v9, 7, v9
; %bb.643:                              ;   in Loop: Header=BB277_516 Depth=1
	s_or_b32 exec_lo, exec_lo, s20
	v_lshlrev_b32_e32 v1, 8, v1
	s_delay_alu instid0(VALU_DEP_3) | instskip(NEXT) | instid1(VALU_DEP_3)
	v_lshl_add_u32 v10, v10, 10, 0x2000
	v_lshlrev_b32_e32 v9, 23, v9
	s_delay_alu instid0(VALU_DEP_2) | instskip(NEXT) | instid1(VALU_DEP_1)
	v_and_or_b32 v1, 0x8000, v1, v10
	v_lshl_or_b32 v9, v1, 16, v9
.LBB277_644:                            ;   in Loop: Header=BB277_516 Depth=1
	s_or_b32 exec_lo, exec_lo, s19
.LBB277_645:                            ;   in Loop: Header=BB277_516 Depth=1
	s_delay_alu instid0(SALU_CYCLE_1)
	s_or_b32 exec_lo, exec_lo, s18
.LBB277_646:                            ;   in Loop: Header=BB277_516 Depth=1
	s_wait_alu 0xfffe
	s_or_b32 exec_lo, exec_lo, s15
	v_or_b32_e32 v1, v39, v40
	s_wait_loadcnt 0x0
	v_fma_mixlo_f16 v10, v36, v39, 0 op_sel:[0,1,0] op_sel_hi:[0,1,0]
	v_or_b32_e32 v38, v37, v38
	v_fma_mixlo_f16 v37, v36, v37, 0 op_sel:[0,1,0] op_sel_hi:[0,1,0]
	v_or_b32_e32 v40, v43, v42
	v_or_b32_e32 v41, v9, v41
	v_fma_mixlo_f16 v42, v36, v1, 0 op_sel_hi:[0,1,0]
	v_lshlrev_b32_e32 v1, 16, v10
	v_lshlrev_b32_e32 v39, 16, v37
	v_fma_mixlo_f16 v10, v36, v38, 0 op_sel_hi:[0,1,0]
	v_fma_mixlo_f16 v37, v36, v43, 0 op_sel:[0,1,0] op_sel_hi:[0,1,0]
	v_fma_mixlo_f16 v40, v36, v40, 0 op_sel_hi:[0,1,0]
	v_fma_mixlo_f16 v9, v36, v9, 0 op_sel:[0,1,0] op_sel_hi:[0,1,0]
	v_fma_mixlo_f16 v36, v36, v41, 0 op_sel_hi:[0,1,0]
	v_and_b32_e32 v38, 0xffff, v42
	v_and_b32_e32 v43, 0xffff, v10
	v_lshlrev_b32_e32 v10, 16, v37
	v_and_b32_e32 v37, 0xffff, v40
	v_lshlrev_b32_e32 v9, 16, v9
	v_and_b32_e32 v36, 0xffff, v36
	v_or_b32_e32 v40, v1, v38
	v_or_b32_e32 v44, v39, v43
	;; [unrolled: 1-line block ×3, first 2 shown]
	s_delay_alu instid0(VALU_DEP_4)
	v_or_b32_e32 v41, v9, v36
	s_and_saveexec_b32 s15, s0
	s_cbranch_execz .LBB277_648
; %bb.647:                              ;   in Loop: Header=BB277_516 Depth=1
	v_add_nc_u32_e32 v40, -6, v28
	v_cmp_gt_i32_e64 s1, s27, v17
	v_add_nc_u32_e32 v41, -5, v28
	s_wait_alu 0xf1ff
	s_delay_alu instid0(VALU_DEP_2) | instskip(SKIP_4) | instid1(VALU_DEP_3)
	v_cndmask_b32_e64 v42, 0, v43, s1
	v_cmp_gt_i32_e64 s1, s27, v40
	v_add_nc_u32_e32 v40, -4, v28
	v_add_nc_u32_e32 v43, -2, v28
	s_wait_alu 0xf1ff
	v_cndmask_b32_e64 v39, 0, v39, s1
	v_cmp_gt_i32_e64 s1, s27, v41
	v_add_nc_u32_e32 v41, -3, v28
	s_delay_alu instid0(VALU_DEP_3) | instskip(SKIP_1) | instid1(VALU_DEP_3)
	v_or_b32_e32 v44, v39, v42
	s_wait_alu 0xf1ff
	v_cndmask_b32_e64 v38, 0, v38, s1
	v_cmp_gt_i32_e64 s1, s27, v40
	v_add_nc_u32_e32 v40, -1, v28
	s_wait_alu 0xf1ff
	s_delay_alu instid0(VALU_DEP_2) | instskip(SKIP_2) | instid1(VALU_DEP_1)
	v_cndmask_b32_e64 v1, 0, v1, s1
	v_cmp_gt_i32_e64 s1, s27, v41
	s_wait_alu 0xf1ff
	v_cndmask_b32_e64 v37, 0, v37, s1
	v_cmp_gt_i32_e64 s1, s27, v43
	s_wait_alu 0xf1ff
	s_delay_alu instid0(VALU_DEP_1) | instskip(SKIP_2) | instid1(VALU_DEP_3)
	v_cndmask_b32_e64 v10, 0, v10, s1
	v_cmp_gt_i32_e64 s1, s27, v40
	v_or_b32_e32 v40, v1, v38
	v_or_b32_e32 v42, v10, v37
	s_wait_alu 0xf1ff
	s_delay_alu instid0(VALU_DEP_3) | instskip(SKIP_2) | instid1(VALU_DEP_1)
	v_cndmask_b32_e64 v36, 0, v36, s1
	v_cmp_gt_i32_e64 s1, s27, v28
	s_wait_alu 0xf1ff
	v_cndmask_b32_e64 v9, 0, v9, s1
	s_delay_alu instid0(VALU_DEP_1)
	v_or_b32_e32 v41, v9, v36
.LBB277_648:                            ;   in Loop: Header=BB277_516 Depth=1
	s_wait_alu 0xfffe
	s_or_b32 exec_lo, exec_lo, s15
	;;#ASMSTART
	v_pk_mul_f16 v1, v35, v44;

	;;#ASMEND
	;;#ASMSTART
	v_pk_mul_f16 v9, v34, v40;

	;;#ASMEND
	;;#ASMSTART
	v_pk_mul_f16 v10, v33, v42;

	;;#ASMEND
	;;#ASMSTART
	v_pk_mul_f16 v36, v32, v41;

	;;#ASMEND
	;;#ASMSTART
	v_pk_add_f16 v1, v1, v9;

	;;#ASMEND
	;;#ASMSTART
	v_pk_add_f16 v1, v1, v10;

	;;#ASMEND
	;; [unrolled: 4-line block ×3, first 2 shown]
	v_dual_mov_b32 v40, 0 :: v_dual_and_b32 v9, 0xffff, v1
	v_lshrrev_b32_e32 v1, 16, v1
	;;#ASMSTART
	v_cvt_f32_f16 v36, v9;
	;;#ASMEND
	;;#ASMSTART
	v_cvt_f32_f16 v37, v1;
	;;#ASMEND
	global_load_b64 v[9:10], v[7:8], off offset:512
	v_mov_b32_e32 v39, 0
	s_mov_b32 s15, exec_lo
	global_load_b32 v38, v39, s[10:11]
	s_wait_loadcnt 0x1
	v_and_b32_e32 v1, 0xff, v9
	s_delay_alu instid0(VALU_DEP_1)
	v_cmpx_ne_u16_e32 0, v1
	s_cbranch_execz .LBB277_656
; %bb.649:                              ;   in Loop: Header=BB277_516 Depth=1
	v_mov_b32_e32 v40, 0x8000
	s_mov_b32 s18, exec_lo
	v_cmpx_ne_u16_e32 0x80, v1
	s_cbranch_execz .LBB277_655
; %bb.650:                              ;   in Loop: Header=BB277_516 Depth=1
	v_and_b32_e32 v41, 0x7f, v9
	v_mov_b32_e32 v40, 0x7c01
	s_mov_b32 s19, exec_lo
	s_delay_alu instid0(VALU_DEP_2)
	v_cmpx_ne_u32_e32 0x7f, v41
	s_cbranch_execz .LBB277_654
; %bb.651:                              ;   in Loop: Header=BB277_516 Depth=1
	v_and_b32_e32 v1, 7, v9
	v_lshrrev_b32_e32 v40, 3, v41
	s_mov_b32 s20, exec_lo
	v_cmpx_gt_u32_e32 8, v41
; %bb.652:                              ;   in Loop: Header=BB277_516 Depth=1
	s_delay_alu instid0(VALU_DEP_3) | instskip(NEXT) | instid1(VALU_DEP_1)
	v_clz_i32_u32_e32 v1, v1
	v_min_u32_e32 v1, 32, v1
	s_delay_alu instid0(VALU_DEP_1) | instskip(NEXT) | instid1(VALU_DEP_1)
	v_subrev_nc_u32_e32 v40, 28, v1
	v_lshlrev_b64_e32 v[41:42], v40, v[9:10]
	v_sub_nc_u32_e32 v40, 29, v1
	s_delay_alu instid0(VALU_DEP_2)
	v_and_b32_e32 v1, 7, v41
; %bb.653:                              ;   in Loop: Header=BB277_516 Depth=1
	s_or_b32 exec_lo, exec_lo, s20
	v_lshlrev_b32_e32 v41, 8, v9
	s_delay_alu instid0(VALU_DEP_3) | instskip(NEXT) | instid1(VALU_DEP_3)
	v_lshl_add_u32 v40, v40, 10, 0x2000
	v_lshlrev_b32_e32 v1, 7, v1
	s_delay_alu instid0(VALU_DEP_3) | instskip(NEXT) | instid1(VALU_DEP_3)
	v_and_b32_e32 v41, 0x8000, v41
	v_and_b32_e32 v40, 0xfc00, v40
	s_delay_alu instid0(VALU_DEP_1)
	v_or3_b32 v40, v41, v40, v1
.LBB277_654:                            ;   in Loop: Header=BB277_516 Depth=1
	s_or_b32 exec_lo, exec_lo, s19
.LBB277_655:                            ;   in Loop: Header=BB277_516 Depth=1
	s_delay_alu instid0(SALU_CYCLE_1)
	s_or_b32 exec_lo, exec_lo, s18
.LBB277_656:                            ;   in Loop: Header=BB277_516 Depth=1
	s_wait_alu 0xfffe
	s_or_b32 exec_lo, exec_lo, s15
	v_lshrrev_b16 v1, 8, v9
	s_mov_b32 s15, exec_lo
	s_delay_alu instid0(VALU_DEP_1)
	v_cmpx_ne_u16_e32 0, v1
	s_cbranch_execz .LBB277_664
; %bb.657:                              ;   in Loop: Header=BB277_516 Depth=1
	v_bfrev_b32_e32 v39, 1
	s_mov_b32 s18, exec_lo
	v_cmpx_ne_u16_e32 0x80, v1
	s_cbranch_execz .LBB277_663
; %bb.658:                              ;   in Loop: Header=BB277_516 Depth=1
	v_and_b32_e32 v41, 0xffff, v1
	v_mov_b32_e32 v39, 0x7c010000
	s_mov_b32 s19, exec_lo
	s_delay_alu instid0(VALU_DEP_2) | instskip(NEXT) | instid1(VALU_DEP_1)
	v_and_b32_e32 v43, 0x7f, v41
	v_cmpx_ne_u32_e32 0x7f, v43
	s_cbranch_execz .LBB277_662
; %bb.659:                              ;   in Loop: Header=BB277_516 Depth=1
	v_and_b32_e32 v39, 7, v41
	v_lshrrev_b32_e32 v42, 3, v43
	s_mov_b32 s20, exec_lo
	v_cmpx_gt_u32_e32 8, v43
; %bb.660:                              ;   in Loop: Header=BB277_516 Depth=1
	s_delay_alu instid0(VALU_DEP_3) | instskip(NEXT) | instid1(VALU_DEP_1)
	v_clz_i32_u32_e32 v39, v39
	v_min_u32_e32 v39, 32, v39
	s_delay_alu instid0(VALU_DEP_1) | instskip(NEXT) | instid1(VALU_DEP_1)
	v_subrev_nc_u32_e32 v42, 28, v39
	v_lshlrev_b64_e32 v[43:44], v42, v[1:2]
	v_sub_nc_u32_e32 v42, 29, v39
	s_delay_alu instid0(VALU_DEP_2)
	v_and_b32_e32 v39, 7, v43
; %bb.661:                              ;   in Loop: Header=BB277_516 Depth=1
	s_or_b32 exec_lo, exec_lo, s20
	v_lshlrev_b32_e32 v1, 8, v41
	s_delay_alu instid0(VALU_DEP_3) | instskip(NEXT) | instid1(VALU_DEP_3)
	v_lshl_add_u32 v41, v42, 10, 0x2000
	v_lshlrev_b32_e32 v39, 23, v39
	s_delay_alu instid0(VALU_DEP_2) | instskip(NEXT) | instid1(VALU_DEP_1)
	v_and_or_b32 v1, 0x8000, v1, v41
	v_lshl_or_b32 v39, v1, 16, v39
.LBB277_662:                            ;   in Loop: Header=BB277_516 Depth=1
	s_or_b32 exec_lo, exec_lo, s19
.LBB277_663:                            ;   in Loop: Header=BB277_516 Depth=1
	s_delay_alu instid0(SALU_CYCLE_1)
	s_or_b32 exec_lo, exec_lo, s18
.LBB277_664:                            ;   in Loop: Header=BB277_516 Depth=1
	s_wait_alu 0xfffe
	s_or_b32 exec_lo, exec_lo, s15
	v_lshrrev_b32_e32 v1, 16, v9
	v_mov_b32_e32 v41, 0
	s_mov_b32 s15, exec_lo
	s_delay_alu instid0(VALU_DEP_2) | instskip(NEXT) | instid1(VALU_DEP_1)
	v_dual_mov_b32 v42, 0 :: v_dual_and_b32 v43, 0xff, v1
	v_cmpx_ne_u16_e32 0, v43
	s_cbranch_execz .LBB277_672
; %bb.665:                              ;   in Loop: Header=BB277_516 Depth=1
	v_mov_b32_e32 v42, 0x8000
	s_mov_b32 s18, exec_lo
	v_cmpx_ne_u16_e32 0x80, v43
	s_cbranch_execz .LBB277_671
; %bb.666:                              ;   in Loop: Header=BB277_516 Depth=1
	v_bfe_u32 v44, v9, 16, 7
	v_mov_b32_e32 v42, 0x7c01
	s_mov_b32 s19, exec_lo
	s_delay_alu instid0(VALU_DEP_2)
	v_cmpx_ne_u32_e32 0x7f, v44
	s_cbranch_execz .LBB277_670
; %bb.667:                              ;   in Loop: Header=BB277_516 Depth=1
	v_and_b32_e32 v42, 7, v1
	v_lshrrev_b32_e32 v43, 3, v44
	s_mov_b32 s20, exec_lo
	v_cmpx_gt_u32_e32 8, v44
; %bb.668:                              ;   in Loop: Header=BB277_516 Depth=1
	s_delay_alu instid0(VALU_DEP_3) | instskip(NEXT) | instid1(VALU_DEP_1)
	v_clz_i32_u32_e32 v42, v42
	v_min_u32_e32 v44, 32, v42
	s_delay_alu instid0(VALU_DEP_1) | instskip(NEXT) | instid1(VALU_DEP_1)
	v_subrev_nc_u32_e32 v42, 28, v44
	v_lshlrev_b64_e32 v[42:43], v42, v[1:2]
	v_sub_nc_u32_e32 v43, 29, v44
	s_delay_alu instid0(VALU_DEP_2)
	v_and_b32_e32 v42, 7, v42
; %bb.669:                              ;   in Loop: Header=BB277_516 Depth=1
	s_or_b32 exec_lo, exec_lo, s20
	v_lshlrev_b32_e32 v1, 8, v1
	s_delay_alu instid0(VALU_DEP_3) | instskip(NEXT) | instid1(VALU_DEP_3)
	v_lshl_add_u32 v43, v43, 10, 0x2000
	v_lshlrev_b32_e32 v42, 7, v42
	s_delay_alu instid0(VALU_DEP_3) | instskip(NEXT) | instid1(VALU_DEP_3)
	v_and_b32_e32 v1, 0x8000, v1
	v_and_b32_e32 v43, 0xfc00, v43
	s_delay_alu instid0(VALU_DEP_1)
	v_or3_b32 v42, v1, v43, v42
.LBB277_670:                            ;   in Loop: Header=BB277_516 Depth=1
	s_or_b32 exec_lo, exec_lo, s19
.LBB277_671:                            ;   in Loop: Header=BB277_516 Depth=1
	s_delay_alu instid0(SALU_CYCLE_1)
	s_or_b32 exec_lo, exec_lo, s18
.LBB277_672:                            ;   in Loop: Header=BB277_516 Depth=1
	s_wait_alu 0xfffe
	s_or_b32 exec_lo, exec_lo, s15
	s_delay_alu instid0(SALU_CYCLE_1)
	s_mov_b32 s15, exec_lo
	v_cmpx_lt_u32_e32 0xffffff, v9
	s_cbranch_execz .LBB277_680
; %bb.673:                              ;   in Loop: Header=BB277_516 Depth=1
	v_lshrrev_b32_e32 v1, 24, v9
	v_bfrev_b32_e32 v41, 1
	s_mov_b32 s18, exec_lo
	s_delay_alu instid0(VALU_DEP_2)
	v_cmpx_ne_u32_e32 0x80, v1
	s_cbranch_execz .LBB277_679
; %bb.674:                              ;   in Loop: Header=BB277_516 Depth=1
	v_and_b32_e32 v44, 0x7f, v1
	v_mov_b32_e32 v41, 0x7c010000
	s_mov_b32 s19, exec_lo
	s_delay_alu instid0(VALU_DEP_2)
	v_cmpx_ne_u32_e32 0x7f, v44
	s_cbranch_execz .LBB277_678
; %bb.675:                              ;   in Loop: Header=BB277_516 Depth=1
	v_and_b32_e32 v41, 7, v1
	v_lshrrev_b32_e32 v43, 3, v44
	s_mov_b32 s20, exec_lo
	v_cmpx_gt_u32_e32 8, v44
; %bb.676:                              ;   in Loop: Header=BB277_516 Depth=1
	s_delay_alu instid0(VALU_DEP_3) | instskip(NEXT) | instid1(VALU_DEP_1)
	v_clz_i32_u32_e32 v41, v41
	v_min_u32_e32 v41, 32, v41
	s_delay_alu instid0(VALU_DEP_1) | instskip(NEXT) | instid1(VALU_DEP_1)
	v_subrev_nc_u32_e32 v43, 28, v41
	v_lshlrev_b64_e32 v[44:45], v43, v[1:2]
	v_sub_nc_u32_e32 v43, 29, v41
	s_delay_alu instid0(VALU_DEP_2)
	v_and_b32_e32 v41, 7, v44
; %bb.677:                              ;   in Loop: Header=BB277_516 Depth=1
	s_or_b32 exec_lo, exec_lo, s20
	v_lshlrev_b32_e32 v1, 8, v1
	s_delay_alu instid0(VALU_DEP_3) | instskip(NEXT) | instid1(VALU_DEP_3)
	v_lshl_add_u32 v43, v43, 10, 0x2000
	v_lshlrev_b32_e32 v41, 23, v41
	s_delay_alu instid0(VALU_DEP_2) | instskip(NEXT) | instid1(VALU_DEP_1)
	v_and_or_b32 v1, 0x8000, v1, v43
	v_lshl_or_b32 v41, v1, 16, v41
.LBB277_678:                            ;   in Loop: Header=BB277_516 Depth=1
	s_or_b32 exec_lo, exec_lo, s19
.LBB277_679:                            ;   in Loop: Header=BB277_516 Depth=1
	s_delay_alu instid0(SALU_CYCLE_1)
	s_or_b32 exec_lo, exec_lo, s18
.LBB277_680:                            ;   in Loop: Header=BB277_516 Depth=1
	s_wait_alu 0xfffe
	s_or_b32 exec_lo, exec_lo, s15
	v_dual_mov_b32 v44, 0 :: v_dual_and_b32 v45, 0xff, v10
	v_mov_b32_e32 v1, v10
	v_mov_b32_e32 v43, 0
	s_mov_b32 s15, exec_lo
	s_delay_alu instid0(VALU_DEP_3)
	v_cmpx_ne_u16_e32 0, v45
	s_cbranch_execz .LBB277_688
; %bb.681:                              ;   in Loop: Header=BB277_516 Depth=1
	v_mov_b32_e32 v44, 0x8000
	s_mov_b32 s18, exec_lo
	v_cmpx_ne_u16_e32 0x80, v45
	s_cbranch_execz .LBB277_687
; %bb.682:                              ;   in Loop: Header=BB277_516 Depth=1
	v_and_b32_e32 v46, 0x7f, v10
	v_mov_b32_e32 v44, 0x7c01
	s_mov_b32 s19, exec_lo
	s_delay_alu instid0(VALU_DEP_2)
	v_cmpx_ne_u32_e32 0x7f, v46
	s_cbranch_execz .LBB277_686
; %bb.683:                              ;   in Loop: Header=BB277_516 Depth=1
	v_and_b32_e32 v44, 7, v10
	v_lshrrev_b32_e32 v45, 3, v46
	s_mov_b32 s20, exec_lo
	v_cmpx_gt_u32_e32 8, v46
; %bb.684:                              ;   in Loop: Header=BB277_516 Depth=1
	s_delay_alu instid0(VALU_DEP_3) | instskip(NEXT) | instid1(VALU_DEP_1)
	v_clz_i32_u32_e32 v44, v44
	v_min_u32_e32 v46, 32, v44
	s_delay_alu instid0(VALU_DEP_1) | instskip(NEXT) | instid1(VALU_DEP_1)
	v_subrev_nc_u32_e32 v44, 28, v46
	v_lshlrev_b64_e32 v[44:45], v44, v[1:2]
	v_sub_nc_u32_e32 v45, 29, v46
	s_delay_alu instid0(VALU_DEP_2)
	v_and_b32_e32 v44, 7, v44
; %bb.685:                              ;   in Loop: Header=BB277_516 Depth=1
	s_or_b32 exec_lo, exec_lo, s20
	v_lshlrev_b32_e32 v46, 8, v10
	s_delay_alu instid0(VALU_DEP_3) | instskip(NEXT) | instid1(VALU_DEP_3)
	v_lshl_add_u32 v45, v45, 10, 0x2000
	v_lshlrev_b32_e32 v44, 7, v44
	s_delay_alu instid0(VALU_DEP_3) | instskip(NEXT) | instid1(VALU_DEP_3)
	v_and_b32_e32 v46, 0x8000, v46
	v_and_b32_e32 v45, 0xfc00, v45
	s_delay_alu instid0(VALU_DEP_1)
	v_or3_b32 v44, v46, v45, v44
.LBB277_686:                            ;   in Loop: Header=BB277_516 Depth=1
	s_or_b32 exec_lo, exec_lo, s19
.LBB277_687:                            ;   in Loop: Header=BB277_516 Depth=1
	s_delay_alu instid0(SALU_CYCLE_1)
	s_or_b32 exec_lo, exec_lo, s18
.LBB277_688:                            ;   in Loop: Header=BB277_516 Depth=1
	s_wait_alu 0xfffe
	s_or_b32 exec_lo, exec_lo, s15
	v_lshrrev_b16 v1, 8, v1
	v_mov_b32_e32 v45, 0
	s_mov_b32 s15, exec_lo
	s_delay_alu instid0(VALU_DEP_2)
	v_cmpx_ne_u16_e32 0, v1
	s_cbranch_execz .LBB277_696
; %bb.689:                              ;   in Loop: Header=BB277_516 Depth=1
	v_bfrev_b32_e32 v45, 1
	s_mov_b32 s18, exec_lo
	v_cmpx_ne_u16_e32 0x80, v1
	s_cbranch_execz .LBB277_695
; %bb.690:                              ;   in Loop: Header=BB277_516 Depth=1
	v_and_b32_e32 v46, 0xffff, v1
	v_mov_b32_e32 v45, 0x7c010000
	s_mov_b32 s19, exec_lo
	s_delay_alu instid0(VALU_DEP_2) | instskip(NEXT) | instid1(VALU_DEP_1)
	v_and_b32_e32 v48, 0x7f, v46
	v_cmpx_ne_u32_e32 0x7f, v48
	s_cbranch_execz .LBB277_694
; %bb.691:                              ;   in Loop: Header=BB277_516 Depth=1
	v_and_b32_e32 v45, 7, v46
	v_lshrrev_b32_e32 v47, 3, v48
	s_mov_b32 s20, exec_lo
	v_cmpx_gt_u32_e32 8, v48
; %bb.692:                              ;   in Loop: Header=BB277_516 Depth=1
	s_delay_alu instid0(VALU_DEP_3) | instskip(NEXT) | instid1(VALU_DEP_1)
	v_clz_i32_u32_e32 v45, v45
	v_min_u32_e32 v45, 32, v45
	s_delay_alu instid0(VALU_DEP_1) | instskip(NEXT) | instid1(VALU_DEP_1)
	v_subrev_nc_u32_e32 v47, 28, v45
	v_lshlrev_b64_e32 v[48:49], v47, v[1:2]
	v_sub_nc_u32_e32 v47, 29, v45
	s_delay_alu instid0(VALU_DEP_2)
	v_and_b32_e32 v45, 7, v48
; %bb.693:                              ;   in Loop: Header=BB277_516 Depth=1
	s_or_b32 exec_lo, exec_lo, s20
	v_lshlrev_b32_e32 v1, 8, v46
	s_delay_alu instid0(VALU_DEP_3) | instskip(NEXT) | instid1(VALU_DEP_3)
	v_lshl_add_u32 v46, v47, 10, 0x2000
	v_lshlrev_b32_e32 v45, 23, v45
	s_delay_alu instid0(VALU_DEP_2) | instskip(NEXT) | instid1(VALU_DEP_1)
	v_and_or_b32 v1, 0x8000, v1, v46
	v_lshl_or_b32 v45, v1, 16, v45
.LBB277_694:                            ;   in Loop: Header=BB277_516 Depth=1
	s_or_b32 exec_lo, exec_lo, s19
.LBB277_695:                            ;   in Loop: Header=BB277_516 Depth=1
	s_delay_alu instid0(SALU_CYCLE_1)
	s_or_b32 exec_lo, exec_lo, s18
.LBB277_696:                            ;   in Loop: Header=BB277_516 Depth=1
	s_wait_alu 0xfffe
	s_or_b32 exec_lo, exec_lo, s15
	v_lshrrev_b32_e32 v1, 16, v10
	s_mov_b32 s15, exec_lo
	s_delay_alu instid0(VALU_DEP_1) | instskip(NEXT) | instid1(VALU_DEP_1)
	v_and_b32_e32 v46, 0xff, v1
	v_cmpx_ne_u16_e32 0, v46
	s_cbranch_execz .LBB277_704
; %bb.697:                              ;   in Loop: Header=BB277_516 Depth=1
	v_mov_b32_e32 v43, 0x8000
	s_mov_b32 s18, exec_lo
	v_cmpx_ne_u16_e32 0x80, v46
	s_cbranch_execz .LBB277_703
; %bb.698:                              ;   in Loop: Header=BB277_516 Depth=1
	v_bfe_u32 v47, v10, 16, 7
	v_mov_b32_e32 v43, 0x7c01
	s_mov_b32 s19, exec_lo
	s_delay_alu instid0(VALU_DEP_2)
	v_cmpx_ne_u32_e32 0x7f, v47
	s_cbranch_execz .LBB277_702
; %bb.699:                              ;   in Loop: Header=BB277_516 Depth=1
	v_and_b32_e32 v43, 7, v1
	v_lshrrev_b32_e32 v46, 3, v47
	s_mov_b32 s20, exec_lo
	v_cmpx_gt_u32_e32 8, v47
; %bb.700:                              ;   in Loop: Header=BB277_516 Depth=1
	s_delay_alu instid0(VALU_DEP_3) | instskip(NEXT) | instid1(VALU_DEP_1)
	v_clz_i32_u32_e32 v43, v43
	v_min_u32_e32 v43, 32, v43
	s_delay_alu instid0(VALU_DEP_1) | instskip(NEXT) | instid1(VALU_DEP_1)
	v_subrev_nc_u32_e32 v46, 28, v43
	v_lshlrev_b64_e32 v[47:48], v46, v[1:2]
	v_sub_nc_u32_e32 v46, 29, v43
	s_delay_alu instid0(VALU_DEP_2)
	v_and_b32_e32 v43, 7, v47
; %bb.701:                              ;   in Loop: Header=BB277_516 Depth=1
	s_or_b32 exec_lo, exec_lo, s20
	v_lshlrev_b32_e32 v1, 8, v1
	s_delay_alu instid0(VALU_DEP_3) | instskip(NEXT) | instid1(VALU_DEP_3)
	v_lshl_add_u32 v46, v46, 10, 0x2000
	v_lshlrev_b32_e32 v43, 7, v43
	s_delay_alu instid0(VALU_DEP_3) | instskip(NEXT) | instid1(VALU_DEP_3)
	v_and_b32_e32 v1, 0x8000, v1
	v_and_b32_e32 v46, 0xfc00, v46
	s_delay_alu instid0(VALU_DEP_1)
	v_or3_b32 v43, v1, v46, v43
.LBB277_702:                            ;   in Loop: Header=BB277_516 Depth=1
	s_or_b32 exec_lo, exec_lo, s19
.LBB277_703:                            ;   in Loop: Header=BB277_516 Depth=1
	s_delay_alu instid0(SALU_CYCLE_1)
	s_or_b32 exec_lo, exec_lo, s18
.LBB277_704:                            ;   in Loop: Header=BB277_516 Depth=1
	s_wait_alu 0xfffe
	s_or_b32 exec_lo, exec_lo, s15
	v_cmp_lt_u64_e64 s1, s[4:5], v[9:10]
	v_mov_b32_e32 v9, 0
	s_and_saveexec_b32 s15, s1
	s_cbranch_execz .LBB277_712
; %bb.705:                              ;   in Loop: Header=BB277_516 Depth=1
	v_lshrrev_b32_e32 v1, 24, v10
	v_bfrev_b32_e32 v9, 1
	s_mov_b32 s18, exec_lo
	s_delay_alu instid0(VALU_DEP_2)
	v_cmpx_ne_u32_e32 0x80, v1
	s_cbranch_execz .LBB277_711
; %bb.706:                              ;   in Loop: Header=BB277_516 Depth=1
	v_and_b32_e32 v46, 0x7f, v1
	v_mov_b32_e32 v9, 0x7c010000
	s_mov_b32 s19, exec_lo
	s_delay_alu instid0(VALU_DEP_2)
	v_cmpx_ne_u32_e32 0x7f, v46
	s_cbranch_execz .LBB277_710
; %bb.707:                              ;   in Loop: Header=BB277_516 Depth=1
	v_and_b32_e32 v9, 7, v1
	v_lshrrev_b32_e32 v10, 3, v46
	s_mov_b32 s20, exec_lo
	v_cmpx_gt_u32_e32 8, v46
; %bb.708:                              ;   in Loop: Header=BB277_516 Depth=1
	s_delay_alu instid0(VALU_DEP_3) | instskip(NEXT) | instid1(VALU_DEP_1)
	v_clz_i32_u32_e32 v9, v9
	v_min_u32_e32 v46, 32, v9
	s_delay_alu instid0(VALU_DEP_1) | instskip(NEXT) | instid1(VALU_DEP_1)
	v_subrev_nc_u32_e32 v9, 28, v46
	v_lshlrev_b64_e32 v[9:10], v9, v[1:2]
	v_sub_nc_u32_e32 v10, 29, v46
	s_delay_alu instid0(VALU_DEP_2)
	v_and_b32_e32 v9, 7, v9
; %bb.709:                              ;   in Loop: Header=BB277_516 Depth=1
	s_or_b32 exec_lo, exec_lo, s20
	v_lshlrev_b32_e32 v1, 8, v1
	s_delay_alu instid0(VALU_DEP_3) | instskip(NEXT) | instid1(VALU_DEP_3)
	v_lshl_add_u32 v10, v10, 10, 0x2000
	v_lshlrev_b32_e32 v9, 23, v9
	s_delay_alu instid0(VALU_DEP_2) | instskip(NEXT) | instid1(VALU_DEP_1)
	v_and_or_b32 v1, 0x8000, v1, v10
	v_lshl_or_b32 v9, v1, 16, v9
.LBB277_710:                            ;   in Loop: Header=BB277_516 Depth=1
	s_or_b32 exec_lo, exec_lo, s19
.LBB277_711:                            ;   in Loop: Header=BB277_516 Depth=1
	s_delay_alu instid0(SALU_CYCLE_1)
	s_or_b32 exec_lo, exec_lo, s18
.LBB277_712:                            ;   in Loop: Header=BB277_516 Depth=1
	s_wait_alu 0xfffe
	s_or_b32 exec_lo, exec_lo, s15
	v_or_b32_e32 v1, v41, v42
	s_wait_loadcnt 0x0
	v_fma_mixlo_f16 v10, v38, v41, 0 op_sel:[0,1,0] op_sel_hi:[0,1,0]
	v_or_b32_e32 v40, v39, v40
	v_fma_mixlo_f16 v39, v38, v39, 0 op_sel:[0,1,0] op_sel_hi:[0,1,0]
	v_or_b32_e32 v42, v45, v44
	v_or_b32_e32 v43, v9, v43
	v_fma_mixlo_f16 v44, v38, v1, 0 op_sel_hi:[0,1,0]
	v_lshlrev_b32_e32 v1, 16, v10
	v_lshlrev_b32_e32 v41, 16, v39
	v_fma_mixlo_f16 v10, v38, v40, 0 op_sel_hi:[0,1,0]
	v_fma_mixlo_f16 v39, v38, v45, 0 op_sel:[0,1,0] op_sel_hi:[0,1,0]
	v_fma_mixlo_f16 v42, v38, v42, 0 op_sel_hi:[0,1,0]
	v_fma_mixlo_f16 v9, v38, v9, 0 op_sel:[0,1,0] op_sel_hi:[0,1,0]
	v_fma_mixlo_f16 v38, v38, v43, 0 op_sel_hi:[0,1,0]
	v_and_b32_e32 v40, 0xffff, v44
	v_and_b32_e32 v45, 0xffff, v10
	v_lshlrev_b32_e32 v10, 16, v39
	v_and_b32_e32 v39, 0xffff, v42
	v_lshlrev_b32_e32 v9, 16, v9
	v_and_b32_e32 v38, 0xffff, v38
	v_or_b32_e32 v42, v1, v40
	v_or_b32_e32 v46, v41, v45
	;; [unrolled: 1-line block ×3, first 2 shown]
	s_delay_alu instid0(VALU_DEP_4)
	v_or_b32_e32 v43, v9, v38
	s_and_saveexec_b32 s15, s0
	s_cbranch_execz .LBB277_714
; %bb.713:                              ;   in Loop: Header=BB277_516 Depth=1
	v_add_nc_u32_e32 v42, -6, v28
	v_cmp_gt_i32_e64 s1, s27, v17
	v_add_nc_u32_e32 v43, -5, v28
	s_wait_alu 0xf1ff
	s_delay_alu instid0(VALU_DEP_2) | instskip(SKIP_4) | instid1(VALU_DEP_3)
	v_cndmask_b32_e64 v44, 0, v45, s1
	v_cmp_gt_i32_e64 s1, s27, v42
	v_add_nc_u32_e32 v42, -4, v28
	v_add_nc_u32_e32 v45, -2, v28
	s_wait_alu 0xf1ff
	v_cndmask_b32_e64 v41, 0, v41, s1
	v_cmp_gt_i32_e64 s1, s27, v43
	v_add_nc_u32_e32 v43, -3, v28
	s_delay_alu instid0(VALU_DEP_3) | instskip(SKIP_1) | instid1(VALU_DEP_3)
	v_or_b32_e32 v46, v41, v44
	s_wait_alu 0xf1ff
	v_cndmask_b32_e64 v40, 0, v40, s1
	v_cmp_gt_i32_e64 s1, s27, v42
	v_add_nc_u32_e32 v42, -1, v28
	s_wait_alu 0xf1ff
	s_delay_alu instid0(VALU_DEP_2) | instskip(SKIP_2) | instid1(VALU_DEP_1)
	v_cndmask_b32_e64 v1, 0, v1, s1
	v_cmp_gt_i32_e64 s1, s27, v43
	s_wait_alu 0xf1ff
	v_cndmask_b32_e64 v39, 0, v39, s1
	v_cmp_gt_i32_e64 s1, s27, v45
	s_wait_alu 0xf1ff
	s_delay_alu instid0(VALU_DEP_1) | instskip(SKIP_2) | instid1(VALU_DEP_3)
	v_cndmask_b32_e64 v10, 0, v10, s1
	v_cmp_gt_i32_e64 s1, s27, v42
	v_or_b32_e32 v42, v1, v40
	v_or_b32_e32 v44, v10, v39
	s_wait_alu 0xf1ff
	s_delay_alu instid0(VALU_DEP_3) | instskip(SKIP_2) | instid1(VALU_DEP_1)
	v_cndmask_b32_e64 v38, 0, v38, s1
	v_cmp_gt_i32_e64 s1, s27, v28
	s_wait_alu 0xf1ff
	v_cndmask_b32_e64 v9, 0, v9, s1
	s_delay_alu instid0(VALU_DEP_1)
	v_or_b32_e32 v43, v9, v38
.LBB277_714:                            ;   in Loop: Header=BB277_516 Depth=1
	s_wait_alu 0xfffe
	s_or_b32 exec_lo, exec_lo, s15
	;;#ASMSTART
	v_pk_mul_f16 v1, v35, v46;

	;;#ASMEND
	;;#ASMSTART
	v_pk_mul_f16 v9, v34, v42;

	;;#ASMEND
	;; [unrolled: 4-line block ×4, first 2 shown]
	;;#ASMSTART
	v_pk_add_f16 v1, v1, v9;

	;;#ASMEND
	;;#ASMSTART
	v_pk_add_f16 v1, v1, v10;

	;;#ASMEND
	;;#ASMSTART
	v_pk_add_f16 v1, v1, v38;

	;;#ASMEND
	v_dual_mov_b32 v42, 0 :: v_dual_and_b32 v9, 0xffff, v1
	v_lshrrev_b32_e32 v1, 16, v1
	;;#ASMSTART
	v_cvt_f32_f16 v38, v9;
	;;#ASMEND
	;;#ASMSTART
	v_cvt_f32_f16 v39, v1;
	;;#ASMEND
	global_load_b64 v[9:10], v[7:8], off offset:768
	v_mov_b32_e32 v41, 0
	s_mov_b32 s15, exec_lo
	global_load_b32 v40, v41, s[10:11]
	s_wait_loadcnt 0x1
	v_and_b32_e32 v1, 0xff, v9
	s_delay_alu instid0(VALU_DEP_1)
	v_cmpx_ne_u16_e32 0, v1
	s_cbranch_execz .LBB277_722
; %bb.715:                              ;   in Loop: Header=BB277_516 Depth=1
	v_mov_b32_e32 v42, 0x8000
	s_mov_b32 s18, exec_lo
	v_cmpx_ne_u16_e32 0x80, v1
	s_cbranch_execz .LBB277_721
; %bb.716:                              ;   in Loop: Header=BB277_516 Depth=1
	v_and_b32_e32 v43, 0x7f, v9
	v_mov_b32_e32 v42, 0x7c01
	s_mov_b32 s19, exec_lo
	s_delay_alu instid0(VALU_DEP_2)
	v_cmpx_ne_u32_e32 0x7f, v43
	s_cbranch_execz .LBB277_720
; %bb.717:                              ;   in Loop: Header=BB277_516 Depth=1
	v_and_b32_e32 v1, 7, v9
	v_lshrrev_b32_e32 v42, 3, v43
	s_mov_b32 s20, exec_lo
	v_cmpx_gt_u32_e32 8, v43
; %bb.718:                              ;   in Loop: Header=BB277_516 Depth=1
	s_delay_alu instid0(VALU_DEP_3) | instskip(NEXT) | instid1(VALU_DEP_1)
	v_clz_i32_u32_e32 v1, v1
	v_min_u32_e32 v1, 32, v1
	s_delay_alu instid0(VALU_DEP_1) | instskip(NEXT) | instid1(VALU_DEP_1)
	v_subrev_nc_u32_e32 v42, 28, v1
	v_lshlrev_b64_e32 v[43:44], v42, v[9:10]
	v_sub_nc_u32_e32 v42, 29, v1
	s_delay_alu instid0(VALU_DEP_2)
	v_and_b32_e32 v1, 7, v43
; %bb.719:                              ;   in Loop: Header=BB277_516 Depth=1
	s_or_b32 exec_lo, exec_lo, s20
	v_lshlrev_b32_e32 v43, 8, v9
	s_delay_alu instid0(VALU_DEP_3) | instskip(NEXT) | instid1(VALU_DEP_3)
	v_lshl_add_u32 v42, v42, 10, 0x2000
	v_lshlrev_b32_e32 v1, 7, v1
	s_delay_alu instid0(VALU_DEP_3) | instskip(NEXT) | instid1(VALU_DEP_3)
	v_and_b32_e32 v43, 0x8000, v43
	v_and_b32_e32 v42, 0xfc00, v42
	s_delay_alu instid0(VALU_DEP_1)
	v_or3_b32 v42, v43, v42, v1
.LBB277_720:                            ;   in Loop: Header=BB277_516 Depth=1
	s_or_b32 exec_lo, exec_lo, s19
.LBB277_721:                            ;   in Loop: Header=BB277_516 Depth=1
	s_delay_alu instid0(SALU_CYCLE_1)
	s_or_b32 exec_lo, exec_lo, s18
.LBB277_722:                            ;   in Loop: Header=BB277_516 Depth=1
	s_wait_alu 0xfffe
	s_or_b32 exec_lo, exec_lo, s15
	v_lshrrev_b16 v1, 8, v9
	s_mov_b32 s15, exec_lo
	s_delay_alu instid0(VALU_DEP_1)
	v_cmpx_ne_u16_e32 0, v1
	s_cbranch_execz .LBB277_730
; %bb.723:                              ;   in Loop: Header=BB277_516 Depth=1
	v_bfrev_b32_e32 v41, 1
	s_mov_b32 s18, exec_lo
	v_cmpx_ne_u16_e32 0x80, v1
	s_cbranch_execz .LBB277_729
; %bb.724:                              ;   in Loop: Header=BB277_516 Depth=1
	v_and_b32_e32 v43, 0xffff, v1
	v_mov_b32_e32 v41, 0x7c010000
	s_mov_b32 s19, exec_lo
	s_delay_alu instid0(VALU_DEP_2) | instskip(NEXT) | instid1(VALU_DEP_1)
	v_and_b32_e32 v45, 0x7f, v43
	v_cmpx_ne_u32_e32 0x7f, v45
	s_cbranch_execz .LBB277_728
; %bb.725:                              ;   in Loop: Header=BB277_516 Depth=1
	v_and_b32_e32 v41, 7, v43
	v_lshrrev_b32_e32 v44, 3, v45
	s_mov_b32 s20, exec_lo
	v_cmpx_gt_u32_e32 8, v45
; %bb.726:                              ;   in Loop: Header=BB277_516 Depth=1
	s_delay_alu instid0(VALU_DEP_3) | instskip(NEXT) | instid1(VALU_DEP_1)
	v_clz_i32_u32_e32 v41, v41
	v_min_u32_e32 v41, 32, v41
	s_delay_alu instid0(VALU_DEP_1) | instskip(NEXT) | instid1(VALU_DEP_1)
	v_subrev_nc_u32_e32 v44, 28, v41
	v_lshlrev_b64_e32 v[45:46], v44, v[1:2]
	v_sub_nc_u32_e32 v44, 29, v41
	s_delay_alu instid0(VALU_DEP_2)
	v_and_b32_e32 v41, 7, v45
; %bb.727:                              ;   in Loop: Header=BB277_516 Depth=1
	s_or_b32 exec_lo, exec_lo, s20
	v_lshlrev_b32_e32 v1, 8, v43
	s_delay_alu instid0(VALU_DEP_3) | instskip(NEXT) | instid1(VALU_DEP_3)
	v_lshl_add_u32 v43, v44, 10, 0x2000
	v_lshlrev_b32_e32 v41, 23, v41
	s_delay_alu instid0(VALU_DEP_2) | instskip(NEXT) | instid1(VALU_DEP_1)
	v_and_or_b32 v1, 0x8000, v1, v43
	v_lshl_or_b32 v41, v1, 16, v41
.LBB277_728:                            ;   in Loop: Header=BB277_516 Depth=1
	s_or_b32 exec_lo, exec_lo, s19
.LBB277_729:                            ;   in Loop: Header=BB277_516 Depth=1
	s_delay_alu instid0(SALU_CYCLE_1)
	s_or_b32 exec_lo, exec_lo, s18
.LBB277_730:                            ;   in Loop: Header=BB277_516 Depth=1
	s_wait_alu 0xfffe
	s_or_b32 exec_lo, exec_lo, s15
	v_lshrrev_b32_e32 v1, 16, v9
	v_mov_b32_e32 v43, 0
	s_mov_b32 s15, exec_lo
	s_delay_alu instid0(VALU_DEP_2) | instskip(NEXT) | instid1(VALU_DEP_1)
	v_dual_mov_b32 v44, 0 :: v_dual_and_b32 v45, 0xff, v1
	v_cmpx_ne_u16_e32 0, v45
	s_cbranch_execz .LBB277_738
; %bb.731:                              ;   in Loop: Header=BB277_516 Depth=1
	v_mov_b32_e32 v44, 0x8000
	s_mov_b32 s18, exec_lo
	v_cmpx_ne_u16_e32 0x80, v45
	s_cbranch_execz .LBB277_737
; %bb.732:                              ;   in Loop: Header=BB277_516 Depth=1
	v_bfe_u32 v46, v9, 16, 7
	v_mov_b32_e32 v44, 0x7c01
	s_mov_b32 s19, exec_lo
	s_delay_alu instid0(VALU_DEP_2)
	v_cmpx_ne_u32_e32 0x7f, v46
	s_cbranch_execz .LBB277_736
; %bb.733:                              ;   in Loop: Header=BB277_516 Depth=1
	v_and_b32_e32 v44, 7, v1
	v_lshrrev_b32_e32 v45, 3, v46
	s_mov_b32 s20, exec_lo
	v_cmpx_gt_u32_e32 8, v46
; %bb.734:                              ;   in Loop: Header=BB277_516 Depth=1
	s_delay_alu instid0(VALU_DEP_3) | instskip(NEXT) | instid1(VALU_DEP_1)
	v_clz_i32_u32_e32 v44, v44
	v_min_u32_e32 v46, 32, v44
	s_delay_alu instid0(VALU_DEP_1) | instskip(NEXT) | instid1(VALU_DEP_1)
	v_subrev_nc_u32_e32 v44, 28, v46
	v_lshlrev_b64_e32 v[44:45], v44, v[1:2]
	v_sub_nc_u32_e32 v45, 29, v46
	s_delay_alu instid0(VALU_DEP_2)
	v_and_b32_e32 v44, 7, v44
; %bb.735:                              ;   in Loop: Header=BB277_516 Depth=1
	s_or_b32 exec_lo, exec_lo, s20
	v_lshlrev_b32_e32 v1, 8, v1
	s_delay_alu instid0(VALU_DEP_3) | instskip(NEXT) | instid1(VALU_DEP_3)
	v_lshl_add_u32 v45, v45, 10, 0x2000
	v_lshlrev_b32_e32 v44, 7, v44
	s_delay_alu instid0(VALU_DEP_3) | instskip(NEXT) | instid1(VALU_DEP_3)
	v_and_b32_e32 v1, 0x8000, v1
	v_and_b32_e32 v45, 0xfc00, v45
	s_delay_alu instid0(VALU_DEP_1)
	v_or3_b32 v44, v1, v45, v44
.LBB277_736:                            ;   in Loop: Header=BB277_516 Depth=1
	s_or_b32 exec_lo, exec_lo, s19
.LBB277_737:                            ;   in Loop: Header=BB277_516 Depth=1
	s_delay_alu instid0(SALU_CYCLE_1)
	s_or_b32 exec_lo, exec_lo, s18
.LBB277_738:                            ;   in Loop: Header=BB277_516 Depth=1
	s_wait_alu 0xfffe
	s_or_b32 exec_lo, exec_lo, s15
	s_delay_alu instid0(SALU_CYCLE_1)
	s_mov_b32 s15, exec_lo
	v_cmpx_lt_u32_e32 0xffffff, v9
	s_cbranch_execz .LBB277_746
; %bb.739:                              ;   in Loop: Header=BB277_516 Depth=1
	v_lshrrev_b32_e32 v1, 24, v9
	v_bfrev_b32_e32 v43, 1
	s_mov_b32 s18, exec_lo
	s_delay_alu instid0(VALU_DEP_2)
	v_cmpx_ne_u32_e32 0x80, v1
	s_cbranch_execz .LBB277_745
; %bb.740:                              ;   in Loop: Header=BB277_516 Depth=1
	v_and_b32_e32 v46, 0x7f, v1
	v_mov_b32_e32 v43, 0x7c010000
	s_mov_b32 s19, exec_lo
	s_delay_alu instid0(VALU_DEP_2)
	v_cmpx_ne_u32_e32 0x7f, v46
	s_cbranch_execz .LBB277_744
; %bb.741:                              ;   in Loop: Header=BB277_516 Depth=1
	v_and_b32_e32 v43, 7, v1
	v_lshrrev_b32_e32 v45, 3, v46
	s_mov_b32 s20, exec_lo
	v_cmpx_gt_u32_e32 8, v46
; %bb.742:                              ;   in Loop: Header=BB277_516 Depth=1
	s_delay_alu instid0(VALU_DEP_3) | instskip(NEXT) | instid1(VALU_DEP_1)
	v_clz_i32_u32_e32 v43, v43
	v_min_u32_e32 v43, 32, v43
	s_delay_alu instid0(VALU_DEP_1) | instskip(NEXT) | instid1(VALU_DEP_1)
	v_subrev_nc_u32_e32 v45, 28, v43
	v_lshlrev_b64_e32 v[46:47], v45, v[1:2]
	v_sub_nc_u32_e32 v45, 29, v43
	s_delay_alu instid0(VALU_DEP_2)
	v_and_b32_e32 v43, 7, v46
; %bb.743:                              ;   in Loop: Header=BB277_516 Depth=1
	s_or_b32 exec_lo, exec_lo, s20
	v_lshlrev_b32_e32 v1, 8, v1
	s_delay_alu instid0(VALU_DEP_3) | instskip(NEXT) | instid1(VALU_DEP_3)
	v_lshl_add_u32 v45, v45, 10, 0x2000
	v_lshlrev_b32_e32 v43, 23, v43
	s_delay_alu instid0(VALU_DEP_2) | instskip(NEXT) | instid1(VALU_DEP_1)
	v_and_or_b32 v1, 0x8000, v1, v45
	v_lshl_or_b32 v43, v1, 16, v43
.LBB277_744:                            ;   in Loop: Header=BB277_516 Depth=1
	s_or_b32 exec_lo, exec_lo, s19
.LBB277_745:                            ;   in Loop: Header=BB277_516 Depth=1
	s_delay_alu instid0(SALU_CYCLE_1)
	s_or_b32 exec_lo, exec_lo, s18
.LBB277_746:                            ;   in Loop: Header=BB277_516 Depth=1
	s_wait_alu 0xfffe
	s_or_b32 exec_lo, exec_lo, s15
	v_dual_mov_b32 v46, 0 :: v_dual_and_b32 v47, 0xff, v10
	v_mov_b32_e32 v1, v10
	v_mov_b32_e32 v45, 0
	s_mov_b32 s15, exec_lo
	s_delay_alu instid0(VALU_DEP_3)
	v_cmpx_ne_u16_e32 0, v47
	s_cbranch_execz .LBB277_754
; %bb.747:                              ;   in Loop: Header=BB277_516 Depth=1
	v_mov_b32_e32 v46, 0x8000
	s_mov_b32 s18, exec_lo
	v_cmpx_ne_u16_e32 0x80, v47
	s_cbranch_execz .LBB277_753
; %bb.748:                              ;   in Loop: Header=BB277_516 Depth=1
	v_and_b32_e32 v48, 0x7f, v10
	v_mov_b32_e32 v46, 0x7c01
	s_mov_b32 s19, exec_lo
	s_delay_alu instid0(VALU_DEP_2)
	v_cmpx_ne_u32_e32 0x7f, v48
	s_cbranch_execz .LBB277_752
; %bb.749:                              ;   in Loop: Header=BB277_516 Depth=1
	v_and_b32_e32 v46, 7, v10
	v_lshrrev_b32_e32 v47, 3, v48
	s_mov_b32 s20, exec_lo
	v_cmpx_gt_u32_e32 8, v48
; %bb.750:                              ;   in Loop: Header=BB277_516 Depth=1
	s_delay_alu instid0(VALU_DEP_3) | instskip(NEXT) | instid1(VALU_DEP_1)
	v_clz_i32_u32_e32 v46, v46
	v_min_u32_e32 v48, 32, v46
	s_delay_alu instid0(VALU_DEP_1) | instskip(NEXT) | instid1(VALU_DEP_1)
	v_subrev_nc_u32_e32 v46, 28, v48
	v_lshlrev_b64_e32 v[46:47], v46, v[1:2]
	v_sub_nc_u32_e32 v47, 29, v48
	s_delay_alu instid0(VALU_DEP_2)
	v_and_b32_e32 v46, 7, v46
; %bb.751:                              ;   in Loop: Header=BB277_516 Depth=1
	s_or_b32 exec_lo, exec_lo, s20
	v_lshlrev_b32_e32 v48, 8, v10
	s_delay_alu instid0(VALU_DEP_3) | instskip(NEXT) | instid1(VALU_DEP_3)
	v_lshl_add_u32 v47, v47, 10, 0x2000
	v_lshlrev_b32_e32 v46, 7, v46
	s_delay_alu instid0(VALU_DEP_3) | instskip(NEXT) | instid1(VALU_DEP_3)
	v_and_b32_e32 v48, 0x8000, v48
	v_and_b32_e32 v47, 0xfc00, v47
	s_delay_alu instid0(VALU_DEP_1)
	v_or3_b32 v46, v48, v47, v46
.LBB277_752:                            ;   in Loop: Header=BB277_516 Depth=1
	s_or_b32 exec_lo, exec_lo, s19
.LBB277_753:                            ;   in Loop: Header=BB277_516 Depth=1
	s_delay_alu instid0(SALU_CYCLE_1)
	s_or_b32 exec_lo, exec_lo, s18
.LBB277_754:                            ;   in Loop: Header=BB277_516 Depth=1
	s_wait_alu 0xfffe
	s_or_b32 exec_lo, exec_lo, s15
	v_lshrrev_b16 v1, 8, v1
	v_mov_b32_e32 v47, 0
	s_mov_b32 s15, exec_lo
	s_delay_alu instid0(VALU_DEP_2)
	v_cmpx_ne_u16_e32 0, v1
	s_cbranch_execz .LBB277_762
; %bb.755:                              ;   in Loop: Header=BB277_516 Depth=1
	v_bfrev_b32_e32 v47, 1
	s_mov_b32 s18, exec_lo
	v_cmpx_ne_u16_e32 0x80, v1
	s_cbranch_execz .LBB277_761
; %bb.756:                              ;   in Loop: Header=BB277_516 Depth=1
	v_and_b32_e32 v48, 0xffff, v1
	v_mov_b32_e32 v47, 0x7c010000
	s_mov_b32 s19, exec_lo
	s_delay_alu instid0(VALU_DEP_2) | instskip(NEXT) | instid1(VALU_DEP_1)
	v_and_b32_e32 v50, 0x7f, v48
	v_cmpx_ne_u32_e32 0x7f, v50
	s_cbranch_execz .LBB277_760
; %bb.757:                              ;   in Loop: Header=BB277_516 Depth=1
	v_and_b32_e32 v47, 7, v48
	v_lshrrev_b32_e32 v49, 3, v50
	s_mov_b32 s20, exec_lo
	v_cmpx_gt_u32_e32 8, v50
; %bb.758:                              ;   in Loop: Header=BB277_516 Depth=1
	s_delay_alu instid0(VALU_DEP_3) | instskip(NEXT) | instid1(VALU_DEP_1)
	v_clz_i32_u32_e32 v47, v47
	v_min_u32_e32 v47, 32, v47
	s_delay_alu instid0(VALU_DEP_1) | instskip(NEXT) | instid1(VALU_DEP_1)
	v_subrev_nc_u32_e32 v49, 28, v47
	v_lshlrev_b64_e32 v[50:51], v49, v[1:2]
	v_sub_nc_u32_e32 v49, 29, v47
	s_delay_alu instid0(VALU_DEP_2)
	v_and_b32_e32 v47, 7, v50
; %bb.759:                              ;   in Loop: Header=BB277_516 Depth=1
	s_or_b32 exec_lo, exec_lo, s20
	v_lshlrev_b32_e32 v1, 8, v48
	s_delay_alu instid0(VALU_DEP_3) | instskip(NEXT) | instid1(VALU_DEP_3)
	v_lshl_add_u32 v48, v49, 10, 0x2000
	v_lshlrev_b32_e32 v47, 23, v47
	s_delay_alu instid0(VALU_DEP_2) | instskip(NEXT) | instid1(VALU_DEP_1)
	v_and_or_b32 v1, 0x8000, v1, v48
	v_lshl_or_b32 v47, v1, 16, v47
.LBB277_760:                            ;   in Loop: Header=BB277_516 Depth=1
	s_or_b32 exec_lo, exec_lo, s19
.LBB277_761:                            ;   in Loop: Header=BB277_516 Depth=1
	s_delay_alu instid0(SALU_CYCLE_1)
	s_or_b32 exec_lo, exec_lo, s18
.LBB277_762:                            ;   in Loop: Header=BB277_516 Depth=1
	s_wait_alu 0xfffe
	s_or_b32 exec_lo, exec_lo, s15
	v_lshrrev_b32_e32 v1, 16, v10
	s_mov_b32 s15, exec_lo
	s_delay_alu instid0(VALU_DEP_1) | instskip(NEXT) | instid1(VALU_DEP_1)
	v_and_b32_e32 v48, 0xff, v1
	v_cmpx_ne_u16_e32 0, v48
	s_cbranch_execz .LBB277_770
; %bb.763:                              ;   in Loop: Header=BB277_516 Depth=1
	v_mov_b32_e32 v45, 0x8000
	s_mov_b32 s18, exec_lo
	v_cmpx_ne_u16_e32 0x80, v48
	s_cbranch_execz .LBB277_769
; %bb.764:                              ;   in Loop: Header=BB277_516 Depth=1
	v_bfe_u32 v49, v10, 16, 7
	v_mov_b32_e32 v45, 0x7c01
	s_mov_b32 s19, exec_lo
	s_delay_alu instid0(VALU_DEP_2)
	v_cmpx_ne_u32_e32 0x7f, v49
	s_cbranch_execz .LBB277_768
; %bb.765:                              ;   in Loop: Header=BB277_516 Depth=1
	v_and_b32_e32 v45, 7, v1
	v_lshrrev_b32_e32 v48, 3, v49
	s_mov_b32 s20, exec_lo
	v_cmpx_gt_u32_e32 8, v49
; %bb.766:                              ;   in Loop: Header=BB277_516 Depth=1
	s_delay_alu instid0(VALU_DEP_3) | instskip(NEXT) | instid1(VALU_DEP_1)
	v_clz_i32_u32_e32 v45, v45
	v_min_u32_e32 v45, 32, v45
	s_delay_alu instid0(VALU_DEP_1) | instskip(NEXT) | instid1(VALU_DEP_1)
	v_subrev_nc_u32_e32 v48, 28, v45
	v_lshlrev_b64_e32 v[49:50], v48, v[1:2]
	v_sub_nc_u32_e32 v48, 29, v45
	s_delay_alu instid0(VALU_DEP_2)
	v_and_b32_e32 v45, 7, v49
; %bb.767:                              ;   in Loop: Header=BB277_516 Depth=1
	s_or_b32 exec_lo, exec_lo, s20
	v_lshlrev_b32_e32 v1, 8, v1
	s_delay_alu instid0(VALU_DEP_3) | instskip(NEXT) | instid1(VALU_DEP_3)
	v_lshl_add_u32 v48, v48, 10, 0x2000
	v_lshlrev_b32_e32 v45, 7, v45
	s_delay_alu instid0(VALU_DEP_3) | instskip(NEXT) | instid1(VALU_DEP_3)
	v_and_b32_e32 v1, 0x8000, v1
	v_and_b32_e32 v48, 0xfc00, v48
	s_delay_alu instid0(VALU_DEP_1)
	v_or3_b32 v45, v1, v48, v45
.LBB277_768:                            ;   in Loop: Header=BB277_516 Depth=1
	s_or_b32 exec_lo, exec_lo, s19
.LBB277_769:                            ;   in Loop: Header=BB277_516 Depth=1
	s_delay_alu instid0(SALU_CYCLE_1)
	s_or_b32 exec_lo, exec_lo, s18
.LBB277_770:                            ;   in Loop: Header=BB277_516 Depth=1
	s_wait_alu 0xfffe
	s_or_b32 exec_lo, exec_lo, s15
	v_cmp_lt_u64_e64 s1, s[4:5], v[9:10]
	v_mov_b32_e32 v9, 0
	s_and_saveexec_b32 s15, s1
	s_cbranch_execz .LBB277_778
; %bb.771:                              ;   in Loop: Header=BB277_516 Depth=1
	v_lshrrev_b32_e32 v1, 24, v10
	v_bfrev_b32_e32 v9, 1
	s_mov_b32 s18, exec_lo
	s_delay_alu instid0(VALU_DEP_2)
	v_cmpx_ne_u32_e32 0x80, v1
	s_cbranch_execz .LBB277_777
; %bb.772:                              ;   in Loop: Header=BB277_516 Depth=1
	v_and_b32_e32 v48, 0x7f, v1
	v_mov_b32_e32 v9, 0x7c010000
	s_mov_b32 s19, exec_lo
	s_delay_alu instid0(VALU_DEP_2)
	v_cmpx_ne_u32_e32 0x7f, v48
	s_cbranch_execz .LBB277_776
; %bb.773:                              ;   in Loop: Header=BB277_516 Depth=1
	v_and_b32_e32 v9, 7, v1
	v_lshrrev_b32_e32 v10, 3, v48
	s_mov_b32 s20, exec_lo
	v_cmpx_gt_u32_e32 8, v48
; %bb.774:                              ;   in Loop: Header=BB277_516 Depth=1
	s_delay_alu instid0(VALU_DEP_3) | instskip(NEXT) | instid1(VALU_DEP_1)
	v_clz_i32_u32_e32 v9, v9
	v_min_u32_e32 v48, 32, v9
	s_delay_alu instid0(VALU_DEP_1) | instskip(NEXT) | instid1(VALU_DEP_1)
	v_subrev_nc_u32_e32 v9, 28, v48
	v_lshlrev_b64_e32 v[9:10], v9, v[1:2]
	v_sub_nc_u32_e32 v10, 29, v48
	s_delay_alu instid0(VALU_DEP_2)
	v_and_b32_e32 v9, 7, v9
; %bb.775:                              ;   in Loop: Header=BB277_516 Depth=1
	s_or_b32 exec_lo, exec_lo, s20
	v_lshlrev_b32_e32 v1, 8, v1
	s_delay_alu instid0(VALU_DEP_3) | instskip(NEXT) | instid1(VALU_DEP_3)
	v_lshl_add_u32 v10, v10, 10, 0x2000
	v_lshlrev_b32_e32 v9, 23, v9
	s_delay_alu instid0(VALU_DEP_2) | instskip(NEXT) | instid1(VALU_DEP_1)
	v_and_or_b32 v1, 0x8000, v1, v10
	v_lshl_or_b32 v9, v1, 16, v9
.LBB277_776:                            ;   in Loop: Header=BB277_516 Depth=1
	s_or_b32 exec_lo, exec_lo, s19
.LBB277_777:                            ;   in Loop: Header=BB277_516 Depth=1
	s_delay_alu instid0(SALU_CYCLE_1)
	s_or_b32 exec_lo, exec_lo, s18
.LBB277_778:                            ;   in Loop: Header=BB277_516 Depth=1
	s_wait_alu 0xfffe
	s_or_b32 exec_lo, exec_lo, s15
	v_or_b32_e32 v1, v43, v44
	s_wait_loadcnt 0x0
	v_fma_mixlo_f16 v10, v40, v43, 0 op_sel:[0,1,0] op_sel_hi:[0,1,0]
	v_or_b32_e32 v42, v41, v42
	v_fma_mixlo_f16 v41, v40, v41, 0 op_sel:[0,1,0] op_sel_hi:[0,1,0]
	v_or_b32_e32 v44, v47, v46
	v_or_b32_e32 v45, v9, v45
	v_fma_mixlo_f16 v46, v40, v1, 0 op_sel_hi:[0,1,0]
	v_lshlrev_b32_e32 v1, 16, v10
	v_lshlrev_b32_e32 v43, 16, v41
	v_fma_mixlo_f16 v10, v40, v42, 0 op_sel_hi:[0,1,0]
	v_fma_mixlo_f16 v41, v40, v47, 0 op_sel:[0,1,0] op_sel_hi:[0,1,0]
	v_fma_mixlo_f16 v44, v40, v44, 0 op_sel_hi:[0,1,0]
	v_fma_mixlo_f16 v9, v40, v9, 0 op_sel:[0,1,0] op_sel_hi:[0,1,0]
	v_fma_mixlo_f16 v40, v40, v45, 0 op_sel_hi:[0,1,0]
	v_and_b32_e32 v42, 0xffff, v46
	v_and_b32_e32 v47, 0xffff, v10
	v_lshlrev_b32_e32 v10, 16, v41
	v_and_b32_e32 v41, 0xffff, v44
	v_lshlrev_b32_e32 v9, 16, v9
	v_and_b32_e32 v40, 0xffff, v40
	v_or_b32_e32 v44, v1, v42
	v_or_b32_e32 v48, v43, v47
	;; [unrolled: 1-line block ×3, first 2 shown]
	s_delay_alu instid0(VALU_DEP_4)
	v_or_b32_e32 v45, v9, v40
	s_and_saveexec_b32 s15, s0
	s_cbranch_execz .LBB277_780
; %bb.779:                              ;   in Loop: Header=BB277_516 Depth=1
	v_add_nc_u32_e32 v44, -6, v28
	v_cmp_gt_i32_e64 s1, s27, v17
	v_add_nc_u32_e32 v45, -5, v28
	s_wait_alu 0xf1ff
	s_delay_alu instid0(VALU_DEP_2) | instskip(SKIP_4) | instid1(VALU_DEP_3)
	v_cndmask_b32_e64 v46, 0, v47, s1
	v_cmp_gt_i32_e64 s1, s27, v44
	v_add_nc_u32_e32 v44, -4, v28
	v_add_nc_u32_e32 v47, -2, v28
	s_wait_alu 0xf1ff
	v_cndmask_b32_e64 v43, 0, v43, s1
	v_cmp_gt_i32_e64 s1, s27, v45
	v_add_nc_u32_e32 v45, -3, v28
	s_delay_alu instid0(VALU_DEP_3) | instskip(SKIP_1) | instid1(VALU_DEP_3)
	v_or_b32_e32 v48, v43, v46
	s_wait_alu 0xf1ff
	v_cndmask_b32_e64 v42, 0, v42, s1
	v_cmp_gt_i32_e64 s1, s27, v44
	v_add_nc_u32_e32 v44, -1, v28
	s_wait_alu 0xf1ff
	s_delay_alu instid0(VALU_DEP_2) | instskip(SKIP_2) | instid1(VALU_DEP_1)
	v_cndmask_b32_e64 v1, 0, v1, s1
	v_cmp_gt_i32_e64 s1, s27, v45
	s_wait_alu 0xf1ff
	v_cndmask_b32_e64 v41, 0, v41, s1
	v_cmp_gt_i32_e64 s1, s27, v47
	s_wait_alu 0xf1ff
	s_delay_alu instid0(VALU_DEP_1) | instskip(SKIP_2) | instid1(VALU_DEP_3)
	v_cndmask_b32_e64 v10, 0, v10, s1
	v_cmp_gt_i32_e64 s1, s27, v44
	v_or_b32_e32 v44, v1, v42
	v_or_b32_e32 v46, v10, v41
	s_wait_alu 0xf1ff
	s_delay_alu instid0(VALU_DEP_3) | instskip(SKIP_2) | instid1(VALU_DEP_1)
	v_cndmask_b32_e64 v40, 0, v40, s1
	v_cmp_gt_i32_e64 s1, s27, v28
	s_wait_alu 0xf1ff
	v_cndmask_b32_e64 v9, 0, v9, s1
	s_delay_alu instid0(VALU_DEP_1)
	v_or_b32_e32 v45, v9, v40
.LBB277_780:                            ;   in Loop: Header=BB277_516 Depth=1
	s_wait_alu 0xfffe
	s_or_b32 exec_lo, exec_lo, s15
	;;#ASMSTART
	v_pk_mul_f16 v1, v35, v48;

	;;#ASMEND
	;;#ASMSTART
	v_pk_mul_f16 v9, v34, v44;

	;;#ASMEND
	;; [unrolled: 4-line block ×4, first 2 shown]
	;;#ASMSTART
	v_pk_add_f16 v1, v1, v9;

	;;#ASMEND
	;;#ASMSTART
	v_pk_add_f16 v1, v1, v10;

	;;#ASMEND
	;; [unrolled: 4-line block ×3, first 2 shown]
	v_dual_mov_b32 v44, 0 :: v_dual_and_b32 v9, 0xffff, v1
	v_lshrrev_b32_e32 v1, 16, v1
	;;#ASMSTART
	v_cvt_f32_f16 v40, v9;
	;;#ASMEND
	;;#ASMSTART
	v_cvt_f32_f16 v41, v1;
	;;#ASMEND
	global_load_b64 v[9:10], v[7:8], off offset:1024
	v_mov_b32_e32 v43, 0
	s_mov_b32 s15, exec_lo
	global_load_b32 v42, v43, s[10:11]
	s_wait_loadcnt 0x1
	v_and_b32_e32 v1, 0xff, v9
	s_delay_alu instid0(VALU_DEP_1)
	v_cmpx_ne_u16_e32 0, v1
	s_cbranch_execz .LBB277_788
; %bb.781:                              ;   in Loop: Header=BB277_516 Depth=1
	v_mov_b32_e32 v44, 0x8000
	s_mov_b32 s18, exec_lo
	v_cmpx_ne_u16_e32 0x80, v1
	s_cbranch_execz .LBB277_787
; %bb.782:                              ;   in Loop: Header=BB277_516 Depth=1
	v_and_b32_e32 v45, 0x7f, v9
	v_mov_b32_e32 v44, 0x7c01
	s_mov_b32 s19, exec_lo
	s_delay_alu instid0(VALU_DEP_2)
	v_cmpx_ne_u32_e32 0x7f, v45
	s_cbranch_execz .LBB277_786
; %bb.783:                              ;   in Loop: Header=BB277_516 Depth=1
	v_and_b32_e32 v1, 7, v9
	v_lshrrev_b32_e32 v44, 3, v45
	s_mov_b32 s20, exec_lo
	v_cmpx_gt_u32_e32 8, v45
; %bb.784:                              ;   in Loop: Header=BB277_516 Depth=1
	s_delay_alu instid0(VALU_DEP_3) | instskip(NEXT) | instid1(VALU_DEP_1)
	v_clz_i32_u32_e32 v1, v1
	v_min_u32_e32 v1, 32, v1
	s_delay_alu instid0(VALU_DEP_1) | instskip(NEXT) | instid1(VALU_DEP_1)
	v_subrev_nc_u32_e32 v44, 28, v1
	v_lshlrev_b64_e32 v[45:46], v44, v[9:10]
	v_sub_nc_u32_e32 v44, 29, v1
	s_delay_alu instid0(VALU_DEP_2)
	v_and_b32_e32 v1, 7, v45
; %bb.785:                              ;   in Loop: Header=BB277_516 Depth=1
	s_or_b32 exec_lo, exec_lo, s20
	v_lshlrev_b32_e32 v45, 8, v9
	s_delay_alu instid0(VALU_DEP_3) | instskip(NEXT) | instid1(VALU_DEP_3)
	v_lshl_add_u32 v44, v44, 10, 0x2000
	v_lshlrev_b32_e32 v1, 7, v1
	s_delay_alu instid0(VALU_DEP_3) | instskip(NEXT) | instid1(VALU_DEP_3)
	v_and_b32_e32 v45, 0x8000, v45
	v_and_b32_e32 v44, 0xfc00, v44
	s_delay_alu instid0(VALU_DEP_1)
	v_or3_b32 v44, v45, v44, v1
.LBB277_786:                            ;   in Loop: Header=BB277_516 Depth=1
	s_or_b32 exec_lo, exec_lo, s19
.LBB277_787:                            ;   in Loop: Header=BB277_516 Depth=1
	s_delay_alu instid0(SALU_CYCLE_1)
	s_or_b32 exec_lo, exec_lo, s18
.LBB277_788:                            ;   in Loop: Header=BB277_516 Depth=1
	s_wait_alu 0xfffe
	s_or_b32 exec_lo, exec_lo, s15
	v_lshrrev_b16 v1, 8, v9
	s_mov_b32 s15, exec_lo
	s_delay_alu instid0(VALU_DEP_1)
	v_cmpx_ne_u16_e32 0, v1
	s_cbranch_execz .LBB277_796
; %bb.789:                              ;   in Loop: Header=BB277_516 Depth=1
	v_bfrev_b32_e32 v43, 1
	s_mov_b32 s18, exec_lo
	v_cmpx_ne_u16_e32 0x80, v1
	s_cbranch_execz .LBB277_795
; %bb.790:                              ;   in Loop: Header=BB277_516 Depth=1
	v_and_b32_e32 v45, 0xffff, v1
	v_mov_b32_e32 v43, 0x7c010000
	s_mov_b32 s19, exec_lo
	s_delay_alu instid0(VALU_DEP_2) | instskip(NEXT) | instid1(VALU_DEP_1)
	v_and_b32_e32 v47, 0x7f, v45
	v_cmpx_ne_u32_e32 0x7f, v47
	s_cbranch_execz .LBB277_794
; %bb.791:                              ;   in Loop: Header=BB277_516 Depth=1
	v_and_b32_e32 v43, 7, v45
	v_lshrrev_b32_e32 v46, 3, v47
	s_mov_b32 s20, exec_lo
	v_cmpx_gt_u32_e32 8, v47
; %bb.792:                              ;   in Loop: Header=BB277_516 Depth=1
	s_delay_alu instid0(VALU_DEP_3) | instskip(NEXT) | instid1(VALU_DEP_1)
	v_clz_i32_u32_e32 v43, v43
	v_min_u32_e32 v43, 32, v43
	s_delay_alu instid0(VALU_DEP_1) | instskip(NEXT) | instid1(VALU_DEP_1)
	v_subrev_nc_u32_e32 v46, 28, v43
	v_lshlrev_b64_e32 v[47:48], v46, v[1:2]
	v_sub_nc_u32_e32 v46, 29, v43
	s_delay_alu instid0(VALU_DEP_2)
	v_and_b32_e32 v43, 7, v47
; %bb.793:                              ;   in Loop: Header=BB277_516 Depth=1
	s_or_b32 exec_lo, exec_lo, s20
	v_lshlrev_b32_e32 v1, 8, v45
	s_delay_alu instid0(VALU_DEP_3) | instskip(NEXT) | instid1(VALU_DEP_3)
	v_lshl_add_u32 v45, v46, 10, 0x2000
	v_lshlrev_b32_e32 v43, 23, v43
	s_delay_alu instid0(VALU_DEP_2) | instskip(NEXT) | instid1(VALU_DEP_1)
	v_and_or_b32 v1, 0x8000, v1, v45
	v_lshl_or_b32 v43, v1, 16, v43
.LBB277_794:                            ;   in Loop: Header=BB277_516 Depth=1
	s_or_b32 exec_lo, exec_lo, s19
.LBB277_795:                            ;   in Loop: Header=BB277_516 Depth=1
	s_delay_alu instid0(SALU_CYCLE_1)
	s_or_b32 exec_lo, exec_lo, s18
.LBB277_796:                            ;   in Loop: Header=BB277_516 Depth=1
	s_wait_alu 0xfffe
	s_or_b32 exec_lo, exec_lo, s15
	v_lshrrev_b32_e32 v1, 16, v9
	v_mov_b32_e32 v45, 0
	s_mov_b32 s15, exec_lo
	s_delay_alu instid0(VALU_DEP_2) | instskip(NEXT) | instid1(VALU_DEP_1)
	v_dual_mov_b32 v46, 0 :: v_dual_and_b32 v47, 0xff, v1
	v_cmpx_ne_u16_e32 0, v47
	s_cbranch_execz .LBB277_804
; %bb.797:                              ;   in Loop: Header=BB277_516 Depth=1
	v_mov_b32_e32 v46, 0x8000
	s_mov_b32 s18, exec_lo
	v_cmpx_ne_u16_e32 0x80, v47
	s_cbranch_execz .LBB277_803
; %bb.798:                              ;   in Loop: Header=BB277_516 Depth=1
	v_bfe_u32 v48, v9, 16, 7
	v_mov_b32_e32 v46, 0x7c01
	s_mov_b32 s19, exec_lo
	s_delay_alu instid0(VALU_DEP_2)
	v_cmpx_ne_u32_e32 0x7f, v48
	s_cbranch_execz .LBB277_802
; %bb.799:                              ;   in Loop: Header=BB277_516 Depth=1
	v_and_b32_e32 v46, 7, v1
	v_lshrrev_b32_e32 v47, 3, v48
	s_mov_b32 s20, exec_lo
	v_cmpx_gt_u32_e32 8, v48
; %bb.800:                              ;   in Loop: Header=BB277_516 Depth=1
	s_delay_alu instid0(VALU_DEP_3) | instskip(NEXT) | instid1(VALU_DEP_1)
	v_clz_i32_u32_e32 v46, v46
	v_min_u32_e32 v48, 32, v46
	s_delay_alu instid0(VALU_DEP_1) | instskip(NEXT) | instid1(VALU_DEP_1)
	v_subrev_nc_u32_e32 v46, 28, v48
	v_lshlrev_b64_e32 v[46:47], v46, v[1:2]
	v_sub_nc_u32_e32 v47, 29, v48
	s_delay_alu instid0(VALU_DEP_2)
	v_and_b32_e32 v46, 7, v46
; %bb.801:                              ;   in Loop: Header=BB277_516 Depth=1
	s_or_b32 exec_lo, exec_lo, s20
	v_lshlrev_b32_e32 v1, 8, v1
	s_delay_alu instid0(VALU_DEP_3) | instskip(NEXT) | instid1(VALU_DEP_3)
	v_lshl_add_u32 v47, v47, 10, 0x2000
	v_lshlrev_b32_e32 v46, 7, v46
	s_delay_alu instid0(VALU_DEP_3) | instskip(NEXT) | instid1(VALU_DEP_3)
	v_and_b32_e32 v1, 0x8000, v1
	v_and_b32_e32 v47, 0xfc00, v47
	s_delay_alu instid0(VALU_DEP_1)
	v_or3_b32 v46, v1, v47, v46
.LBB277_802:                            ;   in Loop: Header=BB277_516 Depth=1
	s_or_b32 exec_lo, exec_lo, s19
.LBB277_803:                            ;   in Loop: Header=BB277_516 Depth=1
	s_delay_alu instid0(SALU_CYCLE_1)
	s_or_b32 exec_lo, exec_lo, s18
.LBB277_804:                            ;   in Loop: Header=BB277_516 Depth=1
	s_wait_alu 0xfffe
	s_or_b32 exec_lo, exec_lo, s15
	s_delay_alu instid0(SALU_CYCLE_1)
	s_mov_b32 s15, exec_lo
	v_cmpx_lt_u32_e32 0xffffff, v9
	s_cbranch_execz .LBB277_812
; %bb.805:                              ;   in Loop: Header=BB277_516 Depth=1
	v_lshrrev_b32_e32 v1, 24, v9
	v_bfrev_b32_e32 v45, 1
	s_mov_b32 s18, exec_lo
	s_delay_alu instid0(VALU_DEP_2)
	v_cmpx_ne_u32_e32 0x80, v1
	s_cbranch_execz .LBB277_811
; %bb.806:                              ;   in Loop: Header=BB277_516 Depth=1
	v_and_b32_e32 v48, 0x7f, v1
	v_mov_b32_e32 v45, 0x7c010000
	s_mov_b32 s19, exec_lo
	s_delay_alu instid0(VALU_DEP_2)
	v_cmpx_ne_u32_e32 0x7f, v48
	s_cbranch_execz .LBB277_810
; %bb.807:                              ;   in Loop: Header=BB277_516 Depth=1
	v_and_b32_e32 v45, 7, v1
	v_lshrrev_b32_e32 v47, 3, v48
	s_mov_b32 s20, exec_lo
	v_cmpx_gt_u32_e32 8, v48
; %bb.808:                              ;   in Loop: Header=BB277_516 Depth=1
	s_delay_alu instid0(VALU_DEP_3) | instskip(NEXT) | instid1(VALU_DEP_1)
	v_clz_i32_u32_e32 v45, v45
	v_min_u32_e32 v45, 32, v45
	s_delay_alu instid0(VALU_DEP_1) | instskip(NEXT) | instid1(VALU_DEP_1)
	v_subrev_nc_u32_e32 v47, 28, v45
	v_lshlrev_b64_e32 v[48:49], v47, v[1:2]
	v_sub_nc_u32_e32 v47, 29, v45
	s_delay_alu instid0(VALU_DEP_2)
	v_and_b32_e32 v45, 7, v48
; %bb.809:                              ;   in Loop: Header=BB277_516 Depth=1
	s_or_b32 exec_lo, exec_lo, s20
	v_lshlrev_b32_e32 v1, 8, v1
	s_delay_alu instid0(VALU_DEP_3) | instskip(NEXT) | instid1(VALU_DEP_3)
	v_lshl_add_u32 v47, v47, 10, 0x2000
	v_lshlrev_b32_e32 v45, 23, v45
	s_delay_alu instid0(VALU_DEP_2) | instskip(NEXT) | instid1(VALU_DEP_1)
	v_and_or_b32 v1, 0x8000, v1, v47
	v_lshl_or_b32 v45, v1, 16, v45
.LBB277_810:                            ;   in Loop: Header=BB277_516 Depth=1
	s_or_b32 exec_lo, exec_lo, s19
.LBB277_811:                            ;   in Loop: Header=BB277_516 Depth=1
	s_delay_alu instid0(SALU_CYCLE_1)
	s_or_b32 exec_lo, exec_lo, s18
.LBB277_812:                            ;   in Loop: Header=BB277_516 Depth=1
	s_wait_alu 0xfffe
	s_or_b32 exec_lo, exec_lo, s15
	v_dual_mov_b32 v48, 0 :: v_dual_and_b32 v49, 0xff, v10
	v_mov_b32_e32 v1, v10
	v_mov_b32_e32 v47, 0
	s_mov_b32 s15, exec_lo
	s_delay_alu instid0(VALU_DEP_3)
	v_cmpx_ne_u16_e32 0, v49
	s_cbranch_execz .LBB277_820
; %bb.813:                              ;   in Loop: Header=BB277_516 Depth=1
	v_mov_b32_e32 v48, 0x8000
	s_mov_b32 s18, exec_lo
	v_cmpx_ne_u16_e32 0x80, v49
	s_cbranch_execz .LBB277_819
; %bb.814:                              ;   in Loop: Header=BB277_516 Depth=1
	v_and_b32_e32 v50, 0x7f, v10
	v_mov_b32_e32 v48, 0x7c01
	s_mov_b32 s19, exec_lo
	s_delay_alu instid0(VALU_DEP_2)
	v_cmpx_ne_u32_e32 0x7f, v50
	s_cbranch_execz .LBB277_818
; %bb.815:                              ;   in Loop: Header=BB277_516 Depth=1
	v_and_b32_e32 v48, 7, v10
	v_lshrrev_b32_e32 v49, 3, v50
	s_mov_b32 s20, exec_lo
	v_cmpx_gt_u32_e32 8, v50
; %bb.816:                              ;   in Loop: Header=BB277_516 Depth=1
	s_delay_alu instid0(VALU_DEP_3) | instskip(NEXT) | instid1(VALU_DEP_1)
	v_clz_i32_u32_e32 v48, v48
	v_min_u32_e32 v50, 32, v48
	s_delay_alu instid0(VALU_DEP_1) | instskip(NEXT) | instid1(VALU_DEP_1)
	v_subrev_nc_u32_e32 v48, 28, v50
	v_lshlrev_b64_e32 v[48:49], v48, v[1:2]
	v_sub_nc_u32_e32 v49, 29, v50
	s_delay_alu instid0(VALU_DEP_2)
	v_and_b32_e32 v48, 7, v48
; %bb.817:                              ;   in Loop: Header=BB277_516 Depth=1
	s_or_b32 exec_lo, exec_lo, s20
	v_lshlrev_b32_e32 v50, 8, v10
	s_delay_alu instid0(VALU_DEP_3) | instskip(NEXT) | instid1(VALU_DEP_3)
	v_lshl_add_u32 v49, v49, 10, 0x2000
	v_lshlrev_b32_e32 v48, 7, v48
	s_delay_alu instid0(VALU_DEP_3) | instskip(NEXT) | instid1(VALU_DEP_3)
	v_and_b32_e32 v50, 0x8000, v50
	v_and_b32_e32 v49, 0xfc00, v49
	s_delay_alu instid0(VALU_DEP_1)
	v_or3_b32 v48, v50, v49, v48
.LBB277_818:                            ;   in Loop: Header=BB277_516 Depth=1
	s_or_b32 exec_lo, exec_lo, s19
.LBB277_819:                            ;   in Loop: Header=BB277_516 Depth=1
	s_delay_alu instid0(SALU_CYCLE_1)
	s_or_b32 exec_lo, exec_lo, s18
.LBB277_820:                            ;   in Loop: Header=BB277_516 Depth=1
	s_wait_alu 0xfffe
	s_or_b32 exec_lo, exec_lo, s15
	v_lshrrev_b16 v1, 8, v1
	v_mov_b32_e32 v49, 0
	s_mov_b32 s15, exec_lo
	s_delay_alu instid0(VALU_DEP_2)
	v_cmpx_ne_u16_e32 0, v1
	s_cbranch_execz .LBB277_828
; %bb.821:                              ;   in Loop: Header=BB277_516 Depth=1
	v_bfrev_b32_e32 v49, 1
	s_mov_b32 s18, exec_lo
	v_cmpx_ne_u16_e32 0x80, v1
	s_cbranch_execz .LBB277_827
; %bb.822:                              ;   in Loop: Header=BB277_516 Depth=1
	v_and_b32_e32 v50, 0xffff, v1
	v_mov_b32_e32 v49, 0x7c010000
	s_mov_b32 s19, exec_lo
	s_delay_alu instid0(VALU_DEP_2) | instskip(NEXT) | instid1(VALU_DEP_1)
	v_and_b32_e32 v52, 0x7f, v50
	v_cmpx_ne_u32_e32 0x7f, v52
	s_cbranch_execz .LBB277_826
; %bb.823:                              ;   in Loop: Header=BB277_516 Depth=1
	v_and_b32_e32 v49, 7, v50
	v_lshrrev_b32_e32 v51, 3, v52
	s_mov_b32 s20, exec_lo
	v_cmpx_gt_u32_e32 8, v52
; %bb.824:                              ;   in Loop: Header=BB277_516 Depth=1
	s_delay_alu instid0(VALU_DEP_3) | instskip(NEXT) | instid1(VALU_DEP_1)
	v_clz_i32_u32_e32 v49, v49
	v_min_u32_e32 v49, 32, v49
	s_delay_alu instid0(VALU_DEP_1) | instskip(NEXT) | instid1(VALU_DEP_1)
	v_subrev_nc_u32_e32 v51, 28, v49
	v_lshlrev_b64_e32 v[52:53], v51, v[1:2]
	v_sub_nc_u32_e32 v51, 29, v49
	s_delay_alu instid0(VALU_DEP_2)
	v_and_b32_e32 v49, 7, v52
; %bb.825:                              ;   in Loop: Header=BB277_516 Depth=1
	s_or_b32 exec_lo, exec_lo, s20
	v_lshlrev_b32_e32 v1, 8, v50
	s_delay_alu instid0(VALU_DEP_3) | instskip(NEXT) | instid1(VALU_DEP_3)
	v_lshl_add_u32 v50, v51, 10, 0x2000
	v_lshlrev_b32_e32 v49, 23, v49
	s_delay_alu instid0(VALU_DEP_2) | instskip(NEXT) | instid1(VALU_DEP_1)
	v_and_or_b32 v1, 0x8000, v1, v50
	v_lshl_or_b32 v49, v1, 16, v49
.LBB277_826:                            ;   in Loop: Header=BB277_516 Depth=1
	s_or_b32 exec_lo, exec_lo, s19
.LBB277_827:                            ;   in Loop: Header=BB277_516 Depth=1
	s_delay_alu instid0(SALU_CYCLE_1)
	s_or_b32 exec_lo, exec_lo, s18
.LBB277_828:                            ;   in Loop: Header=BB277_516 Depth=1
	s_wait_alu 0xfffe
	s_or_b32 exec_lo, exec_lo, s15
	v_lshrrev_b32_e32 v1, 16, v10
	s_mov_b32 s15, exec_lo
	s_delay_alu instid0(VALU_DEP_1) | instskip(NEXT) | instid1(VALU_DEP_1)
	v_and_b32_e32 v50, 0xff, v1
	v_cmpx_ne_u16_e32 0, v50
	s_cbranch_execz .LBB277_836
; %bb.829:                              ;   in Loop: Header=BB277_516 Depth=1
	v_mov_b32_e32 v47, 0x8000
	s_mov_b32 s18, exec_lo
	v_cmpx_ne_u16_e32 0x80, v50
	s_cbranch_execz .LBB277_835
; %bb.830:                              ;   in Loop: Header=BB277_516 Depth=1
	v_bfe_u32 v51, v10, 16, 7
	v_mov_b32_e32 v47, 0x7c01
	s_mov_b32 s19, exec_lo
	s_delay_alu instid0(VALU_DEP_2)
	v_cmpx_ne_u32_e32 0x7f, v51
	s_cbranch_execz .LBB277_834
; %bb.831:                              ;   in Loop: Header=BB277_516 Depth=1
	v_and_b32_e32 v47, 7, v1
	v_lshrrev_b32_e32 v50, 3, v51
	s_mov_b32 s20, exec_lo
	v_cmpx_gt_u32_e32 8, v51
; %bb.832:                              ;   in Loop: Header=BB277_516 Depth=1
	s_delay_alu instid0(VALU_DEP_3) | instskip(NEXT) | instid1(VALU_DEP_1)
	v_clz_i32_u32_e32 v47, v47
	v_min_u32_e32 v47, 32, v47
	s_delay_alu instid0(VALU_DEP_1) | instskip(NEXT) | instid1(VALU_DEP_1)
	v_subrev_nc_u32_e32 v50, 28, v47
	v_lshlrev_b64_e32 v[51:52], v50, v[1:2]
	v_sub_nc_u32_e32 v50, 29, v47
	s_delay_alu instid0(VALU_DEP_2)
	v_and_b32_e32 v47, 7, v51
; %bb.833:                              ;   in Loop: Header=BB277_516 Depth=1
	s_or_b32 exec_lo, exec_lo, s20
	v_lshlrev_b32_e32 v1, 8, v1
	s_delay_alu instid0(VALU_DEP_3) | instskip(NEXT) | instid1(VALU_DEP_3)
	v_lshl_add_u32 v50, v50, 10, 0x2000
	v_lshlrev_b32_e32 v47, 7, v47
	s_delay_alu instid0(VALU_DEP_3) | instskip(NEXT) | instid1(VALU_DEP_3)
	v_and_b32_e32 v1, 0x8000, v1
	v_and_b32_e32 v50, 0xfc00, v50
	s_delay_alu instid0(VALU_DEP_1)
	v_or3_b32 v47, v1, v50, v47
.LBB277_834:                            ;   in Loop: Header=BB277_516 Depth=1
	s_or_b32 exec_lo, exec_lo, s19
.LBB277_835:                            ;   in Loop: Header=BB277_516 Depth=1
	s_delay_alu instid0(SALU_CYCLE_1)
	s_or_b32 exec_lo, exec_lo, s18
.LBB277_836:                            ;   in Loop: Header=BB277_516 Depth=1
	s_wait_alu 0xfffe
	s_or_b32 exec_lo, exec_lo, s15
	v_cmp_lt_u64_e64 s1, s[4:5], v[9:10]
	v_mov_b32_e32 v9, 0
	s_and_saveexec_b32 s15, s1
	s_cbranch_execz .LBB277_844
; %bb.837:                              ;   in Loop: Header=BB277_516 Depth=1
	v_lshrrev_b32_e32 v1, 24, v10
	v_bfrev_b32_e32 v9, 1
	s_mov_b32 s18, exec_lo
	s_delay_alu instid0(VALU_DEP_2)
	v_cmpx_ne_u32_e32 0x80, v1
	s_cbranch_execz .LBB277_843
; %bb.838:                              ;   in Loop: Header=BB277_516 Depth=1
	v_and_b32_e32 v50, 0x7f, v1
	v_mov_b32_e32 v9, 0x7c010000
	s_mov_b32 s19, exec_lo
	s_delay_alu instid0(VALU_DEP_2)
	v_cmpx_ne_u32_e32 0x7f, v50
	s_cbranch_execz .LBB277_842
; %bb.839:                              ;   in Loop: Header=BB277_516 Depth=1
	v_and_b32_e32 v9, 7, v1
	v_lshrrev_b32_e32 v10, 3, v50
	s_mov_b32 s20, exec_lo
	v_cmpx_gt_u32_e32 8, v50
; %bb.840:                              ;   in Loop: Header=BB277_516 Depth=1
	s_delay_alu instid0(VALU_DEP_3) | instskip(NEXT) | instid1(VALU_DEP_1)
	v_clz_i32_u32_e32 v9, v9
	v_min_u32_e32 v50, 32, v9
	s_delay_alu instid0(VALU_DEP_1) | instskip(NEXT) | instid1(VALU_DEP_1)
	v_subrev_nc_u32_e32 v9, 28, v50
	v_lshlrev_b64_e32 v[9:10], v9, v[1:2]
	v_sub_nc_u32_e32 v10, 29, v50
	s_delay_alu instid0(VALU_DEP_2)
	v_and_b32_e32 v9, 7, v9
; %bb.841:                              ;   in Loop: Header=BB277_516 Depth=1
	s_or_b32 exec_lo, exec_lo, s20
	v_lshlrev_b32_e32 v1, 8, v1
	s_delay_alu instid0(VALU_DEP_3) | instskip(NEXT) | instid1(VALU_DEP_3)
	v_lshl_add_u32 v10, v10, 10, 0x2000
	v_lshlrev_b32_e32 v9, 23, v9
	s_delay_alu instid0(VALU_DEP_2) | instskip(NEXT) | instid1(VALU_DEP_1)
	v_and_or_b32 v1, 0x8000, v1, v10
	v_lshl_or_b32 v9, v1, 16, v9
.LBB277_842:                            ;   in Loop: Header=BB277_516 Depth=1
	s_or_b32 exec_lo, exec_lo, s19
.LBB277_843:                            ;   in Loop: Header=BB277_516 Depth=1
	s_delay_alu instid0(SALU_CYCLE_1)
	s_or_b32 exec_lo, exec_lo, s18
.LBB277_844:                            ;   in Loop: Header=BB277_516 Depth=1
	s_wait_alu 0xfffe
	s_or_b32 exec_lo, exec_lo, s15
	v_or_b32_e32 v1, v45, v46
	s_wait_loadcnt 0x0
	v_fma_mixlo_f16 v10, v42, v45, 0 op_sel:[0,1,0] op_sel_hi:[0,1,0]
	v_or_b32_e32 v44, v43, v44
	v_fma_mixlo_f16 v43, v42, v43, 0 op_sel:[0,1,0] op_sel_hi:[0,1,0]
	v_or_b32_e32 v46, v49, v48
	v_or_b32_e32 v47, v9, v47
	v_fma_mixlo_f16 v48, v42, v1, 0 op_sel_hi:[0,1,0]
	v_lshlrev_b32_e32 v1, 16, v10
	v_lshlrev_b32_e32 v45, 16, v43
	v_fma_mixlo_f16 v10, v42, v44, 0 op_sel_hi:[0,1,0]
	v_fma_mixlo_f16 v43, v42, v49, 0 op_sel:[0,1,0] op_sel_hi:[0,1,0]
	v_fma_mixlo_f16 v46, v42, v46, 0 op_sel_hi:[0,1,0]
	v_fma_mixlo_f16 v9, v42, v9, 0 op_sel:[0,1,0] op_sel_hi:[0,1,0]
	v_fma_mixlo_f16 v42, v42, v47, 0 op_sel_hi:[0,1,0]
	v_and_b32_e32 v44, 0xffff, v48
	v_and_b32_e32 v49, 0xffff, v10
	v_lshlrev_b32_e32 v10, 16, v43
	v_and_b32_e32 v43, 0xffff, v46
	v_lshlrev_b32_e32 v9, 16, v9
	v_and_b32_e32 v42, 0xffff, v42
	v_or_b32_e32 v46, v1, v44
	v_or_b32_e32 v50, v45, v49
	;; [unrolled: 1-line block ×3, first 2 shown]
	s_delay_alu instid0(VALU_DEP_4)
	v_or_b32_e32 v47, v9, v42
	s_and_saveexec_b32 s15, s0
	s_cbranch_execz .LBB277_846
; %bb.845:                              ;   in Loop: Header=BB277_516 Depth=1
	v_add_nc_u32_e32 v46, -6, v28
	v_cmp_gt_i32_e64 s1, s27, v17
	v_add_nc_u32_e32 v47, -5, v28
	s_wait_alu 0xf1ff
	s_delay_alu instid0(VALU_DEP_2) | instskip(SKIP_4) | instid1(VALU_DEP_3)
	v_cndmask_b32_e64 v48, 0, v49, s1
	v_cmp_gt_i32_e64 s1, s27, v46
	v_add_nc_u32_e32 v46, -4, v28
	v_add_nc_u32_e32 v49, -2, v28
	s_wait_alu 0xf1ff
	v_cndmask_b32_e64 v45, 0, v45, s1
	v_cmp_gt_i32_e64 s1, s27, v47
	v_add_nc_u32_e32 v47, -3, v28
	s_delay_alu instid0(VALU_DEP_3) | instskip(SKIP_1) | instid1(VALU_DEP_3)
	v_or_b32_e32 v50, v45, v48
	s_wait_alu 0xf1ff
	v_cndmask_b32_e64 v44, 0, v44, s1
	v_cmp_gt_i32_e64 s1, s27, v46
	v_add_nc_u32_e32 v46, -1, v28
	s_wait_alu 0xf1ff
	s_delay_alu instid0(VALU_DEP_2) | instskip(SKIP_2) | instid1(VALU_DEP_1)
	v_cndmask_b32_e64 v1, 0, v1, s1
	v_cmp_gt_i32_e64 s1, s27, v47
	s_wait_alu 0xf1ff
	v_cndmask_b32_e64 v43, 0, v43, s1
	v_cmp_gt_i32_e64 s1, s27, v49
	s_wait_alu 0xf1ff
	s_delay_alu instid0(VALU_DEP_1) | instskip(SKIP_2) | instid1(VALU_DEP_3)
	v_cndmask_b32_e64 v10, 0, v10, s1
	v_cmp_gt_i32_e64 s1, s27, v46
	v_or_b32_e32 v46, v1, v44
	v_or_b32_e32 v48, v10, v43
	s_wait_alu 0xf1ff
	s_delay_alu instid0(VALU_DEP_3) | instskip(SKIP_2) | instid1(VALU_DEP_1)
	v_cndmask_b32_e64 v42, 0, v42, s1
	v_cmp_gt_i32_e64 s1, s27, v28
	s_wait_alu 0xf1ff
	v_cndmask_b32_e64 v9, 0, v9, s1
	s_delay_alu instid0(VALU_DEP_1)
	v_or_b32_e32 v47, v9, v42
.LBB277_846:                            ;   in Loop: Header=BB277_516 Depth=1
	s_wait_alu 0xfffe
	s_or_b32 exec_lo, exec_lo, s15
	;;#ASMSTART
	v_pk_mul_f16 v1, v35, v50;

	;;#ASMEND
	;;#ASMSTART
	v_pk_mul_f16 v9, v34, v46;

	;;#ASMEND
	;;#ASMSTART
	v_pk_mul_f16 v10, v33, v48;

	;;#ASMEND
	;;#ASMSTART
	v_pk_mul_f16 v42, v32, v47;

	;;#ASMEND
	;;#ASMSTART
	v_pk_add_f16 v1, v1, v9;

	;;#ASMEND
	;;#ASMSTART
	v_pk_add_f16 v1, v1, v10;

	;;#ASMEND
	;; [unrolled: 4-line block ×3, first 2 shown]
	v_dual_mov_b32 v46, 0 :: v_dual_and_b32 v9, 0xffff, v1
	v_lshrrev_b32_e32 v1, 16, v1
	;;#ASMSTART
	v_cvt_f32_f16 v42, v9;
	;;#ASMEND
	;;#ASMSTART
	v_cvt_f32_f16 v43, v1;
	;;#ASMEND
	global_load_b64 v[9:10], v[7:8], off offset:1280
	v_mov_b32_e32 v45, 0
	s_mov_b32 s15, exec_lo
	global_load_b32 v44, v45, s[10:11]
	s_wait_loadcnt 0x1
	v_and_b32_e32 v1, 0xff, v9
	s_delay_alu instid0(VALU_DEP_1)
	v_cmpx_ne_u16_e32 0, v1
	s_cbranch_execz .LBB277_854
; %bb.847:                              ;   in Loop: Header=BB277_516 Depth=1
	v_mov_b32_e32 v46, 0x8000
	s_mov_b32 s18, exec_lo
	v_cmpx_ne_u16_e32 0x80, v1
	s_cbranch_execz .LBB277_853
; %bb.848:                              ;   in Loop: Header=BB277_516 Depth=1
	v_and_b32_e32 v47, 0x7f, v9
	v_mov_b32_e32 v46, 0x7c01
	s_mov_b32 s19, exec_lo
	s_delay_alu instid0(VALU_DEP_2)
	v_cmpx_ne_u32_e32 0x7f, v47
	s_cbranch_execz .LBB277_852
; %bb.849:                              ;   in Loop: Header=BB277_516 Depth=1
	v_and_b32_e32 v1, 7, v9
	v_lshrrev_b32_e32 v46, 3, v47
	s_mov_b32 s20, exec_lo
	v_cmpx_gt_u32_e32 8, v47
; %bb.850:                              ;   in Loop: Header=BB277_516 Depth=1
	s_delay_alu instid0(VALU_DEP_3) | instskip(NEXT) | instid1(VALU_DEP_1)
	v_clz_i32_u32_e32 v1, v1
	v_min_u32_e32 v1, 32, v1
	s_delay_alu instid0(VALU_DEP_1) | instskip(NEXT) | instid1(VALU_DEP_1)
	v_subrev_nc_u32_e32 v46, 28, v1
	v_lshlrev_b64_e32 v[47:48], v46, v[9:10]
	v_sub_nc_u32_e32 v46, 29, v1
	s_delay_alu instid0(VALU_DEP_2)
	v_and_b32_e32 v1, 7, v47
; %bb.851:                              ;   in Loop: Header=BB277_516 Depth=1
	s_or_b32 exec_lo, exec_lo, s20
	v_lshlrev_b32_e32 v47, 8, v9
	s_delay_alu instid0(VALU_DEP_3) | instskip(NEXT) | instid1(VALU_DEP_3)
	v_lshl_add_u32 v46, v46, 10, 0x2000
	v_lshlrev_b32_e32 v1, 7, v1
	s_delay_alu instid0(VALU_DEP_3) | instskip(NEXT) | instid1(VALU_DEP_3)
	v_and_b32_e32 v47, 0x8000, v47
	v_and_b32_e32 v46, 0xfc00, v46
	s_delay_alu instid0(VALU_DEP_1)
	v_or3_b32 v46, v47, v46, v1
.LBB277_852:                            ;   in Loop: Header=BB277_516 Depth=1
	s_or_b32 exec_lo, exec_lo, s19
.LBB277_853:                            ;   in Loop: Header=BB277_516 Depth=1
	s_delay_alu instid0(SALU_CYCLE_1)
	s_or_b32 exec_lo, exec_lo, s18
.LBB277_854:                            ;   in Loop: Header=BB277_516 Depth=1
	s_wait_alu 0xfffe
	s_or_b32 exec_lo, exec_lo, s15
	v_lshrrev_b16 v1, 8, v9
	s_mov_b32 s15, exec_lo
	s_delay_alu instid0(VALU_DEP_1)
	v_cmpx_ne_u16_e32 0, v1
	s_cbranch_execz .LBB277_862
; %bb.855:                              ;   in Loop: Header=BB277_516 Depth=1
	v_bfrev_b32_e32 v45, 1
	s_mov_b32 s18, exec_lo
	v_cmpx_ne_u16_e32 0x80, v1
	s_cbranch_execz .LBB277_861
; %bb.856:                              ;   in Loop: Header=BB277_516 Depth=1
	v_and_b32_e32 v47, 0xffff, v1
	v_mov_b32_e32 v45, 0x7c010000
	s_mov_b32 s19, exec_lo
	s_delay_alu instid0(VALU_DEP_2) | instskip(NEXT) | instid1(VALU_DEP_1)
	v_and_b32_e32 v49, 0x7f, v47
	v_cmpx_ne_u32_e32 0x7f, v49
	s_cbranch_execz .LBB277_860
; %bb.857:                              ;   in Loop: Header=BB277_516 Depth=1
	v_and_b32_e32 v45, 7, v47
	v_lshrrev_b32_e32 v48, 3, v49
	s_mov_b32 s20, exec_lo
	v_cmpx_gt_u32_e32 8, v49
; %bb.858:                              ;   in Loop: Header=BB277_516 Depth=1
	s_delay_alu instid0(VALU_DEP_3) | instskip(NEXT) | instid1(VALU_DEP_1)
	v_clz_i32_u32_e32 v45, v45
	v_min_u32_e32 v45, 32, v45
	s_delay_alu instid0(VALU_DEP_1) | instskip(NEXT) | instid1(VALU_DEP_1)
	v_subrev_nc_u32_e32 v48, 28, v45
	v_lshlrev_b64_e32 v[49:50], v48, v[1:2]
	v_sub_nc_u32_e32 v48, 29, v45
	s_delay_alu instid0(VALU_DEP_2)
	v_and_b32_e32 v45, 7, v49
; %bb.859:                              ;   in Loop: Header=BB277_516 Depth=1
	s_or_b32 exec_lo, exec_lo, s20
	v_lshlrev_b32_e32 v1, 8, v47
	s_delay_alu instid0(VALU_DEP_3) | instskip(NEXT) | instid1(VALU_DEP_3)
	v_lshl_add_u32 v47, v48, 10, 0x2000
	v_lshlrev_b32_e32 v45, 23, v45
	s_delay_alu instid0(VALU_DEP_2) | instskip(NEXT) | instid1(VALU_DEP_1)
	v_and_or_b32 v1, 0x8000, v1, v47
	v_lshl_or_b32 v45, v1, 16, v45
.LBB277_860:                            ;   in Loop: Header=BB277_516 Depth=1
	s_or_b32 exec_lo, exec_lo, s19
.LBB277_861:                            ;   in Loop: Header=BB277_516 Depth=1
	s_delay_alu instid0(SALU_CYCLE_1)
	s_or_b32 exec_lo, exec_lo, s18
.LBB277_862:                            ;   in Loop: Header=BB277_516 Depth=1
	s_wait_alu 0xfffe
	s_or_b32 exec_lo, exec_lo, s15
	v_lshrrev_b32_e32 v1, 16, v9
	v_mov_b32_e32 v47, 0
	s_mov_b32 s15, exec_lo
	s_delay_alu instid0(VALU_DEP_2) | instskip(NEXT) | instid1(VALU_DEP_1)
	v_dual_mov_b32 v48, 0 :: v_dual_and_b32 v49, 0xff, v1
	v_cmpx_ne_u16_e32 0, v49
	s_cbranch_execz .LBB277_870
; %bb.863:                              ;   in Loop: Header=BB277_516 Depth=1
	v_mov_b32_e32 v48, 0x8000
	s_mov_b32 s18, exec_lo
	v_cmpx_ne_u16_e32 0x80, v49
	s_cbranch_execz .LBB277_869
; %bb.864:                              ;   in Loop: Header=BB277_516 Depth=1
	v_bfe_u32 v50, v9, 16, 7
	v_mov_b32_e32 v48, 0x7c01
	s_mov_b32 s19, exec_lo
	s_delay_alu instid0(VALU_DEP_2)
	v_cmpx_ne_u32_e32 0x7f, v50
	s_cbranch_execz .LBB277_868
; %bb.865:                              ;   in Loop: Header=BB277_516 Depth=1
	v_and_b32_e32 v48, 7, v1
	v_lshrrev_b32_e32 v49, 3, v50
	s_mov_b32 s20, exec_lo
	v_cmpx_gt_u32_e32 8, v50
; %bb.866:                              ;   in Loop: Header=BB277_516 Depth=1
	s_delay_alu instid0(VALU_DEP_3) | instskip(NEXT) | instid1(VALU_DEP_1)
	v_clz_i32_u32_e32 v48, v48
	v_min_u32_e32 v50, 32, v48
	s_delay_alu instid0(VALU_DEP_1) | instskip(NEXT) | instid1(VALU_DEP_1)
	v_subrev_nc_u32_e32 v48, 28, v50
	v_lshlrev_b64_e32 v[48:49], v48, v[1:2]
	v_sub_nc_u32_e32 v49, 29, v50
	s_delay_alu instid0(VALU_DEP_2)
	v_and_b32_e32 v48, 7, v48
; %bb.867:                              ;   in Loop: Header=BB277_516 Depth=1
	s_or_b32 exec_lo, exec_lo, s20
	v_lshlrev_b32_e32 v1, 8, v1
	s_delay_alu instid0(VALU_DEP_3) | instskip(NEXT) | instid1(VALU_DEP_3)
	v_lshl_add_u32 v49, v49, 10, 0x2000
	v_lshlrev_b32_e32 v48, 7, v48
	s_delay_alu instid0(VALU_DEP_3) | instskip(NEXT) | instid1(VALU_DEP_3)
	v_and_b32_e32 v1, 0x8000, v1
	v_and_b32_e32 v49, 0xfc00, v49
	s_delay_alu instid0(VALU_DEP_1)
	v_or3_b32 v48, v1, v49, v48
.LBB277_868:                            ;   in Loop: Header=BB277_516 Depth=1
	s_or_b32 exec_lo, exec_lo, s19
.LBB277_869:                            ;   in Loop: Header=BB277_516 Depth=1
	s_delay_alu instid0(SALU_CYCLE_1)
	s_or_b32 exec_lo, exec_lo, s18
.LBB277_870:                            ;   in Loop: Header=BB277_516 Depth=1
	s_wait_alu 0xfffe
	s_or_b32 exec_lo, exec_lo, s15
	s_delay_alu instid0(SALU_CYCLE_1)
	s_mov_b32 s15, exec_lo
	v_cmpx_lt_u32_e32 0xffffff, v9
	s_cbranch_execz .LBB277_878
; %bb.871:                              ;   in Loop: Header=BB277_516 Depth=1
	v_lshrrev_b32_e32 v1, 24, v9
	v_bfrev_b32_e32 v47, 1
	s_mov_b32 s18, exec_lo
	s_delay_alu instid0(VALU_DEP_2)
	v_cmpx_ne_u32_e32 0x80, v1
	s_cbranch_execz .LBB277_877
; %bb.872:                              ;   in Loop: Header=BB277_516 Depth=1
	v_and_b32_e32 v50, 0x7f, v1
	v_mov_b32_e32 v47, 0x7c010000
	s_mov_b32 s19, exec_lo
	s_delay_alu instid0(VALU_DEP_2)
	v_cmpx_ne_u32_e32 0x7f, v50
	s_cbranch_execz .LBB277_876
; %bb.873:                              ;   in Loop: Header=BB277_516 Depth=1
	v_and_b32_e32 v47, 7, v1
	v_lshrrev_b32_e32 v49, 3, v50
	s_mov_b32 s20, exec_lo
	v_cmpx_gt_u32_e32 8, v50
; %bb.874:                              ;   in Loop: Header=BB277_516 Depth=1
	s_delay_alu instid0(VALU_DEP_3) | instskip(NEXT) | instid1(VALU_DEP_1)
	v_clz_i32_u32_e32 v47, v47
	v_min_u32_e32 v47, 32, v47
	s_delay_alu instid0(VALU_DEP_1) | instskip(NEXT) | instid1(VALU_DEP_1)
	v_subrev_nc_u32_e32 v49, 28, v47
	v_lshlrev_b64_e32 v[50:51], v49, v[1:2]
	v_sub_nc_u32_e32 v49, 29, v47
	s_delay_alu instid0(VALU_DEP_2)
	v_and_b32_e32 v47, 7, v50
; %bb.875:                              ;   in Loop: Header=BB277_516 Depth=1
	s_or_b32 exec_lo, exec_lo, s20
	v_lshlrev_b32_e32 v1, 8, v1
	s_delay_alu instid0(VALU_DEP_3) | instskip(NEXT) | instid1(VALU_DEP_3)
	v_lshl_add_u32 v49, v49, 10, 0x2000
	v_lshlrev_b32_e32 v47, 23, v47
	s_delay_alu instid0(VALU_DEP_2) | instskip(NEXT) | instid1(VALU_DEP_1)
	v_and_or_b32 v1, 0x8000, v1, v49
	v_lshl_or_b32 v47, v1, 16, v47
.LBB277_876:                            ;   in Loop: Header=BB277_516 Depth=1
	s_or_b32 exec_lo, exec_lo, s19
.LBB277_877:                            ;   in Loop: Header=BB277_516 Depth=1
	s_delay_alu instid0(SALU_CYCLE_1)
	s_or_b32 exec_lo, exec_lo, s18
.LBB277_878:                            ;   in Loop: Header=BB277_516 Depth=1
	s_wait_alu 0xfffe
	s_or_b32 exec_lo, exec_lo, s15
	v_dual_mov_b32 v50, 0 :: v_dual_and_b32 v51, 0xff, v10
	v_mov_b32_e32 v1, v10
	v_mov_b32_e32 v49, 0
	s_mov_b32 s15, exec_lo
	s_delay_alu instid0(VALU_DEP_3)
	v_cmpx_ne_u16_e32 0, v51
	s_cbranch_execz .LBB277_886
; %bb.879:                              ;   in Loop: Header=BB277_516 Depth=1
	v_mov_b32_e32 v50, 0x8000
	s_mov_b32 s18, exec_lo
	v_cmpx_ne_u16_e32 0x80, v51
	s_cbranch_execz .LBB277_885
; %bb.880:                              ;   in Loop: Header=BB277_516 Depth=1
	v_and_b32_e32 v52, 0x7f, v10
	v_mov_b32_e32 v50, 0x7c01
	s_mov_b32 s19, exec_lo
	s_delay_alu instid0(VALU_DEP_2)
	v_cmpx_ne_u32_e32 0x7f, v52
	s_cbranch_execz .LBB277_884
; %bb.881:                              ;   in Loop: Header=BB277_516 Depth=1
	v_and_b32_e32 v50, 7, v10
	v_lshrrev_b32_e32 v51, 3, v52
	s_mov_b32 s20, exec_lo
	v_cmpx_gt_u32_e32 8, v52
; %bb.882:                              ;   in Loop: Header=BB277_516 Depth=1
	s_delay_alu instid0(VALU_DEP_3) | instskip(NEXT) | instid1(VALU_DEP_1)
	v_clz_i32_u32_e32 v50, v50
	v_min_u32_e32 v52, 32, v50
	s_delay_alu instid0(VALU_DEP_1) | instskip(NEXT) | instid1(VALU_DEP_1)
	v_subrev_nc_u32_e32 v50, 28, v52
	v_lshlrev_b64_e32 v[50:51], v50, v[1:2]
	v_sub_nc_u32_e32 v51, 29, v52
	s_delay_alu instid0(VALU_DEP_2)
	v_and_b32_e32 v50, 7, v50
; %bb.883:                              ;   in Loop: Header=BB277_516 Depth=1
	s_or_b32 exec_lo, exec_lo, s20
	v_lshlrev_b32_e32 v52, 8, v10
	s_delay_alu instid0(VALU_DEP_3) | instskip(NEXT) | instid1(VALU_DEP_3)
	v_lshl_add_u32 v51, v51, 10, 0x2000
	v_lshlrev_b32_e32 v50, 7, v50
	s_delay_alu instid0(VALU_DEP_3) | instskip(NEXT) | instid1(VALU_DEP_3)
	v_and_b32_e32 v52, 0x8000, v52
	v_and_b32_e32 v51, 0xfc00, v51
	s_delay_alu instid0(VALU_DEP_1)
	v_or3_b32 v50, v52, v51, v50
.LBB277_884:                            ;   in Loop: Header=BB277_516 Depth=1
	s_or_b32 exec_lo, exec_lo, s19
.LBB277_885:                            ;   in Loop: Header=BB277_516 Depth=1
	s_delay_alu instid0(SALU_CYCLE_1)
	s_or_b32 exec_lo, exec_lo, s18
.LBB277_886:                            ;   in Loop: Header=BB277_516 Depth=1
	s_wait_alu 0xfffe
	s_or_b32 exec_lo, exec_lo, s15
	v_lshrrev_b16 v1, 8, v1
	v_mov_b32_e32 v51, 0
	s_mov_b32 s15, exec_lo
	s_delay_alu instid0(VALU_DEP_2)
	v_cmpx_ne_u16_e32 0, v1
	s_cbranch_execz .LBB277_894
; %bb.887:                              ;   in Loop: Header=BB277_516 Depth=1
	v_bfrev_b32_e32 v51, 1
	s_mov_b32 s18, exec_lo
	v_cmpx_ne_u16_e32 0x80, v1
	s_cbranch_execz .LBB277_893
; %bb.888:                              ;   in Loop: Header=BB277_516 Depth=1
	v_and_b32_e32 v52, 0xffff, v1
	v_mov_b32_e32 v51, 0x7c010000
	s_mov_b32 s19, exec_lo
	s_delay_alu instid0(VALU_DEP_2) | instskip(NEXT) | instid1(VALU_DEP_1)
	v_and_b32_e32 v54, 0x7f, v52
	v_cmpx_ne_u32_e32 0x7f, v54
	s_cbranch_execz .LBB277_892
; %bb.889:                              ;   in Loop: Header=BB277_516 Depth=1
	v_and_b32_e32 v51, 7, v52
	v_lshrrev_b32_e32 v53, 3, v54
	s_mov_b32 s20, exec_lo
	v_cmpx_gt_u32_e32 8, v54
; %bb.890:                              ;   in Loop: Header=BB277_516 Depth=1
	s_delay_alu instid0(VALU_DEP_3) | instskip(NEXT) | instid1(VALU_DEP_1)
	v_clz_i32_u32_e32 v51, v51
	v_min_u32_e32 v51, 32, v51
	s_delay_alu instid0(VALU_DEP_1) | instskip(NEXT) | instid1(VALU_DEP_1)
	v_subrev_nc_u32_e32 v53, 28, v51
	v_lshlrev_b64_e32 v[54:55], v53, v[1:2]
	v_sub_nc_u32_e32 v53, 29, v51
	s_delay_alu instid0(VALU_DEP_2)
	v_and_b32_e32 v51, 7, v54
; %bb.891:                              ;   in Loop: Header=BB277_516 Depth=1
	s_or_b32 exec_lo, exec_lo, s20
	v_lshlrev_b32_e32 v1, 8, v52
	s_delay_alu instid0(VALU_DEP_3) | instskip(NEXT) | instid1(VALU_DEP_3)
	v_lshl_add_u32 v52, v53, 10, 0x2000
	v_lshlrev_b32_e32 v51, 23, v51
	s_delay_alu instid0(VALU_DEP_2) | instskip(NEXT) | instid1(VALU_DEP_1)
	v_and_or_b32 v1, 0x8000, v1, v52
	v_lshl_or_b32 v51, v1, 16, v51
.LBB277_892:                            ;   in Loop: Header=BB277_516 Depth=1
	s_or_b32 exec_lo, exec_lo, s19
.LBB277_893:                            ;   in Loop: Header=BB277_516 Depth=1
	s_delay_alu instid0(SALU_CYCLE_1)
	s_or_b32 exec_lo, exec_lo, s18
.LBB277_894:                            ;   in Loop: Header=BB277_516 Depth=1
	s_wait_alu 0xfffe
	s_or_b32 exec_lo, exec_lo, s15
	v_lshrrev_b32_e32 v1, 16, v10
	s_mov_b32 s15, exec_lo
	s_delay_alu instid0(VALU_DEP_1) | instskip(NEXT) | instid1(VALU_DEP_1)
	v_and_b32_e32 v52, 0xff, v1
	v_cmpx_ne_u16_e32 0, v52
	s_cbranch_execz .LBB277_902
; %bb.895:                              ;   in Loop: Header=BB277_516 Depth=1
	v_mov_b32_e32 v49, 0x8000
	s_mov_b32 s18, exec_lo
	v_cmpx_ne_u16_e32 0x80, v52
	s_cbranch_execz .LBB277_901
; %bb.896:                              ;   in Loop: Header=BB277_516 Depth=1
	v_bfe_u32 v53, v10, 16, 7
	v_mov_b32_e32 v49, 0x7c01
	s_mov_b32 s19, exec_lo
	s_delay_alu instid0(VALU_DEP_2)
	v_cmpx_ne_u32_e32 0x7f, v53
	s_cbranch_execz .LBB277_900
; %bb.897:                              ;   in Loop: Header=BB277_516 Depth=1
	v_and_b32_e32 v49, 7, v1
	v_lshrrev_b32_e32 v52, 3, v53
	s_mov_b32 s20, exec_lo
	v_cmpx_gt_u32_e32 8, v53
; %bb.898:                              ;   in Loop: Header=BB277_516 Depth=1
	s_delay_alu instid0(VALU_DEP_3) | instskip(NEXT) | instid1(VALU_DEP_1)
	v_clz_i32_u32_e32 v49, v49
	v_min_u32_e32 v49, 32, v49
	s_delay_alu instid0(VALU_DEP_1) | instskip(NEXT) | instid1(VALU_DEP_1)
	v_subrev_nc_u32_e32 v52, 28, v49
	v_lshlrev_b64_e32 v[53:54], v52, v[1:2]
	v_sub_nc_u32_e32 v52, 29, v49
	s_delay_alu instid0(VALU_DEP_2)
	v_and_b32_e32 v49, 7, v53
; %bb.899:                              ;   in Loop: Header=BB277_516 Depth=1
	s_or_b32 exec_lo, exec_lo, s20
	v_lshlrev_b32_e32 v1, 8, v1
	s_delay_alu instid0(VALU_DEP_3) | instskip(NEXT) | instid1(VALU_DEP_3)
	v_lshl_add_u32 v52, v52, 10, 0x2000
	v_lshlrev_b32_e32 v49, 7, v49
	s_delay_alu instid0(VALU_DEP_3) | instskip(NEXT) | instid1(VALU_DEP_3)
	v_and_b32_e32 v1, 0x8000, v1
	v_and_b32_e32 v52, 0xfc00, v52
	s_delay_alu instid0(VALU_DEP_1)
	v_or3_b32 v49, v1, v52, v49
.LBB277_900:                            ;   in Loop: Header=BB277_516 Depth=1
	s_or_b32 exec_lo, exec_lo, s19
.LBB277_901:                            ;   in Loop: Header=BB277_516 Depth=1
	s_delay_alu instid0(SALU_CYCLE_1)
	s_or_b32 exec_lo, exec_lo, s18
.LBB277_902:                            ;   in Loop: Header=BB277_516 Depth=1
	s_wait_alu 0xfffe
	s_or_b32 exec_lo, exec_lo, s15
	v_cmp_lt_u64_e64 s1, s[4:5], v[9:10]
	v_mov_b32_e32 v9, 0
	s_and_saveexec_b32 s15, s1
	s_cbranch_execz .LBB277_910
; %bb.903:                              ;   in Loop: Header=BB277_516 Depth=1
	v_lshrrev_b32_e32 v1, 24, v10
	v_bfrev_b32_e32 v9, 1
	s_mov_b32 s18, exec_lo
	s_delay_alu instid0(VALU_DEP_2)
	v_cmpx_ne_u32_e32 0x80, v1
	s_cbranch_execz .LBB277_909
; %bb.904:                              ;   in Loop: Header=BB277_516 Depth=1
	v_and_b32_e32 v52, 0x7f, v1
	v_mov_b32_e32 v9, 0x7c010000
	s_mov_b32 s19, exec_lo
	s_delay_alu instid0(VALU_DEP_2)
	v_cmpx_ne_u32_e32 0x7f, v52
	s_cbranch_execz .LBB277_908
; %bb.905:                              ;   in Loop: Header=BB277_516 Depth=1
	v_and_b32_e32 v9, 7, v1
	v_lshrrev_b32_e32 v10, 3, v52
	s_mov_b32 s20, exec_lo
	v_cmpx_gt_u32_e32 8, v52
; %bb.906:                              ;   in Loop: Header=BB277_516 Depth=1
	s_delay_alu instid0(VALU_DEP_3) | instskip(NEXT) | instid1(VALU_DEP_1)
	v_clz_i32_u32_e32 v9, v9
	v_min_u32_e32 v52, 32, v9
	s_delay_alu instid0(VALU_DEP_1) | instskip(NEXT) | instid1(VALU_DEP_1)
	v_subrev_nc_u32_e32 v9, 28, v52
	v_lshlrev_b64_e32 v[9:10], v9, v[1:2]
	v_sub_nc_u32_e32 v10, 29, v52
	s_delay_alu instid0(VALU_DEP_2)
	v_and_b32_e32 v9, 7, v9
; %bb.907:                              ;   in Loop: Header=BB277_516 Depth=1
	s_or_b32 exec_lo, exec_lo, s20
	v_lshlrev_b32_e32 v1, 8, v1
	s_delay_alu instid0(VALU_DEP_3) | instskip(NEXT) | instid1(VALU_DEP_3)
	v_lshl_add_u32 v10, v10, 10, 0x2000
	v_lshlrev_b32_e32 v9, 23, v9
	s_delay_alu instid0(VALU_DEP_2) | instskip(NEXT) | instid1(VALU_DEP_1)
	v_and_or_b32 v1, 0x8000, v1, v10
	v_lshl_or_b32 v9, v1, 16, v9
.LBB277_908:                            ;   in Loop: Header=BB277_516 Depth=1
	s_or_b32 exec_lo, exec_lo, s19
.LBB277_909:                            ;   in Loop: Header=BB277_516 Depth=1
	s_delay_alu instid0(SALU_CYCLE_1)
	s_or_b32 exec_lo, exec_lo, s18
.LBB277_910:                            ;   in Loop: Header=BB277_516 Depth=1
	s_wait_alu 0xfffe
	s_or_b32 exec_lo, exec_lo, s15
	v_or_b32_e32 v1, v47, v48
	s_wait_loadcnt 0x0
	v_fma_mixlo_f16 v10, v44, v47, 0 op_sel:[0,1,0] op_sel_hi:[0,1,0]
	v_or_b32_e32 v46, v45, v46
	v_fma_mixlo_f16 v45, v44, v45, 0 op_sel:[0,1,0] op_sel_hi:[0,1,0]
	v_or_b32_e32 v48, v51, v50
	v_or_b32_e32 v49, v9, v49
	v_fma_mixlo_f16 v50, v44, v1, 0 op_sel_hi:[0,1,0]
	v_lshlrev_b32_e32 v1, 16, v10
	v_lshlrev_b32_e32 v47, 16, v45
	v_fma_mixlo_f16 v10, v44, v46, 0 op_sel_hi:[0,1,0]
	v_fma_mixlo_f16 v45, v44, v51, 0 op_sel:[0,1,0] op_sel_hi:[0,1,0]
	v_fma_mixlo_f16 v48, v44, v48, 0 op_sel_hi:[0,1,0]
	v_fma_mixlo_f16 v9, v44, v9, 0 op_sel:[0,1,0] op_sel_hi:[0,1,0]
	v_fma_mixlo_f16 v44, v44, v49, 0 op_sel_hi:[0,1,0]
	v_and_b32_e32 v46, 0xffff, v50
	v_and_b32_e32 v51, 0xffff, v10
	v_lshlrev_b32_e32 v10, 16, v45
	v_and_b32_e32 v45, 0xffff, v48
	v_lshlrev_b32_e32 v9, 16, v9
	v_and_b32_e32 v44, 0xffff, v44
	v_or_b32_e32 v48, v1, v46
	v_or_b32_e32 v52, v47, v51
	;; [unrolled: 1-line block ×3, first 2 shown]
	s_delay_alu instid0(VALU_DEP_4)
	v_or_b32_e32 v49, v9, v44
	s_and_saveexec_b32 s15, s0
	s_cbranch_execz .LBB277_912
; %bb.911:                              ;   in Loop: Header=BB277_516 Depth=1
	v_add_nc_u32_e32 v48, -6, v28
	v_cmp_gt_i32_e64 s1, s27, v17
	v_add_nc_u32_e32 v49, -5, v28
	s_wait_alu 0xf1ff
	s_delay_alu instid0(VALU_DEP_2) | instskip(SKIP_4) | instid1(VALU_DEP_3)
	v_cndmask_b32_e64 v50, 0, v51, s1
	v_cmp_gt_i32_e64 s1, s27, v48
	v_add_nc_u32_e32 v48, -4, v28
	v_add_nc_u32_e32 v51, -2, v28
	s_wait_alu 0xf1ff
	v_cndmask_b32_e64 v47, 0, v47, s1
	v_cmp_gt_i32_e64 s1, s27, v49
	v_add_nc_u32_e32 v49, -3, v28
	s_delay_alu instid0(VALU_DEP_3) | instskip(SKIP_1) | instid1(VALU_DEP_3)
	v_or_b32_e32 v52, v47, v50
	s_wait_alu 0xf1ff
	v_cndmask_b32_e64 v46, 0, v46, s1
	v_cmp_gt_i32_e64 s1, s27, v48
	v_add_nc_u32_e32 v48, -1, v28
	s_wait_alu 0xf1ff
	s_delay_alu instid0(VALU_DEP_2) | instskip(SKIP_2) | instid1(VALU_DEP_1)
	v_cndmask_b32_e64 v1, 0, v1, s1
	v_cmp_gt_i32_e64 s1, s27, v49
	s_wait_alu 0xf1ff
	v_cndmask_b32_e64 v45, 0, v45, s1
	v_cmp_gt_i32_e64 s1, s27, v51
	s_wait_alu 0xf1ff
	s_delay_alu instid0(VALU_DEP_1) | instskip(SKIP_2) | instid1(VALU_DEP_3)
	v_cndmask_b32_e64 v10, 0, v10, s1
	v_cmp_gt_i32_e64 s1, s27, v48
	v_or_b32_e32 v48, v1, v46
	v_or_b32_e32 v50, v10, v45
	s_wait_alu 0xf1ff
	s_delay_alu instid0(VALU_DEP_3) | instskip(SKIP_2) | instid1(VALU_DEP_1)
	v_cndmask_b32_e64 v44, 0, v44, s1
	v_cmp_gt_i32_e64 s1, s27, v28
	s_wait_alu 0xf1ff
	v_cndmask_b32_e64 v9, 0, v9, s1
	s_delay_alu instid0(VALU_DEP_1)
	v_or_b32_e32 v49, v9, v44
.LBB277_912:                            ;   in Loop: Header=BB277_516 Depth=1
	s_wait_alu 0xfffe
	s_or_b32 exec_lo, exec_lo, s15
	;;#ASMSTART
	v_pk_mul_f16 v1, v35, v52;

	;;#ASMEND
	;;#ASMSTART
	v_pk_mul_f16 v9, v34, v48;

	;;#ASMEND
	;; [unrolled: 4-line block ×4, first 2 shown]
	;;#ASMSTART
	v_pk_add_f16 v1, v1, v9;

	;;#ASMEND
	;;#ASMSTART
	v_pk_add_f16 v1, v1, v10;

	;;#ASMEND
	;; [unrolled: 4-line block ×3, first 2 shown]
	v_dual_mov_b32 v46, 0 :: v_dual_and_b32 v9, 0xffff, v1
	v_lshrrev_b32_e32 v1, 16, v1
	;;#ASMSTART
	v_cvt_f32_f16 v9, v9;
	;;#ASMEND
	;;#ASMSTART
	v_cvt_f32_f16 v10, v1;
	;;#ASMEND
	global_load_b64 v[7:8], v[7:8], off offset:1536
	v_mov_b32_e32 v45, 0
	s_mov_b32 s15, exec_lo
	global_load_b32 v44, v45, s[10:11]
	s_wait_loadcnt 0x1
	v_and_b32_e32 v1, 0xff, v7
	s_delay_alu instid0(VALU_DEP_1)
	v_cmpx_ne_u16_e32 0, v1
	s_cbranch_execz .LBB277_920
; %bb.913:                              ;   in Loop: Header=BB277_516 Depth=1
	v_mov_b32_e32 v46, 0x8000
	s_mov_b32 s18, exec_lo
	v_cmpx_ne_u16_e32 0x80, v1
	s_cbranch_execz .LBB277_919
; %bb.914:                              ;   in Loop: Header=BB277_516 Depth=1
	v_and_b32_e32 v47, 0x7f, v7
	v_mov_b32_e32 v46, 0x7c01
	s_mov_b32 s19, exec_lo
	s_delay_alu instid0(VALU_DEP_2)
	v_cmpx_ne_u32_e32 0x7f, v47
	s_cbranch_execz .LBB277_918
; %bb.915:                              ;   in Loop: Header=BB277_516 Depth=1
	v_and_b32_e32 v1, 7, v7
	v_lshrrev_b32_e32 v46, 3, v47
	s_mov_b32 s20, exec_lo
	v_cmpx_gt_u32_e32 8, v47
; %bb.916:                              ;   in Loop: Header=BB277_516 Depth=1
	s_delay_alu instid0(VALU_DEP_3) | instskip(NEXT) | instid1(VALU_DEP_1)
	v_clz_i32_u32_e32 v1, v1
	v_min_u32_e32 v1, 32, v1
	s_delay_alu instid0(VALU_DEP_1) | instskip(NEXT) | instid1(VALU_DEP_1)
	v_subrev_nc_u32_e32 v46, 28, v1
	v_lshlrev_b64_e32 v[47:48], v46, v[7:8]
	v_sub_nc_u32_e32 v46, 29, v1
	s_delay_alu instid0(VALU_DEP_2)
	v_and_b32_e32 v1, 7, v47
; %bb.917:                              ;   in Loop: Header=BB277_516 Depth=1
	s_or_b32 exec_lo, exec_lo, s20
	v_lshlrev_b32_e32 v47, 8, v7
	s_delay_alu instid0(VALU_DEP_3) | instskip(NEXT) | instid1(VALU_DEP_3)
	v_lshl_add_u32 v46, v46, 10, 0x2000
	v_lshlrev_b32_e32 v1, 7, v1
	s_delay_alu instid0(VALU_DEP_3) | instskip(NEXT) | instid1(VALU_DEP_3)
	v_and_b32_e32 v47, 0x8000, v47
	v_and_b32_e32 v46, 0xfc00, v46
	s_delay_alu instid0(VALU_DEP_1)
	v_or3_b32 v46, v47, v46, v1
.LBB277_918:                            ;   in Loop: Header=BB277_516 Depth=1
	s_or_b32 exec_lo, exec_lo, s19
.LBB277_919:                            ;   in Loop: Header=BB277_516 Depth=1
	s_delay_alu instid0(SALU_CYCLE_1)
	s_or_b32 exec_lo, exec_lo, s18
.LBB277_920:                            ;   in Loop: Header=BB277_516 Depth=1
	s_wait_alu 0xfffe
	s_or_b32 exec_lo, exec_lo, s15
	v_lshrrev_b16 v1, 8, v7
	s_mov_b32 s15, exec_lo
	s_delay_alu instid0(VALU_DEP_1)
	v_cmpx_ne_u16_e32 0, v1
	s_cbranch_execz .LBB277_928
; %bb.921:                              ;   in Loop: Header=BB277_516 Depth=1
	v_bfrev_b32_e32 v45, 1
	s_mov_b32 s18, exec_lo
	v_cmpx_ne_u16_e32 0x80, v1
	s_cbranch_execz .LBB277_927
; %bb.922:                              ;   in Loop: Header=BB277_516 Depth=1
	v_and_b32_e32 v47, 0xffff, v1
	v_mov_b32_e32 v45, 0x7c010000
	s_mov_b32 s19, exec_lo
	s_delay_alu instid0(VALU_DEP_2) | instskip(NEXT) | instid1(VALU_DEP_1)
	v_and_b32_e32 v49, 0x7f, v47
	v_cmpx_ne_u32_e32 0x7f, v49
	s_cbranch_execz .LBB277_926
; %bb.923:                              ;   in Loop: Header=BB277_516 Depth=1
	v_and_b32_e32 v45, 7, v47
	v_lshrrev_b32_e32 v48, 3, v49
	s_mov_b32 s20, exec_lo
	v_cmpx_gt_u32_e32 8, v49
; %bb.924:                              ;   in Loop: Header=BB277_516 Depth=1
	s_delay_alu instid0(VALU_DEP_3) | instskip(NEXT) | instid1(VALU_DEP_1)
	v_clz_i32_u32_e32 v45, v45
	v_min_u32_e32 v45, 32, v45
	s_delay_alu instid0(VALU_DEP_1) | instskip(NEXT) | instid1(VALU_DEP_1)
	v_subrev_nc_u32_e32 v48, 28, v45
	v_lshlrev_b64_e32 v[49:50], v48, v[1:2]
	v_sub_nc_u32_e32 v48, 29, v45
	s_delay_alu instid0(VALU_DEP_2)
	v_and_b32_e32 v45, 7, v49
; %bb.925:                              ;   in Loop: Header=BB277_516 Depth=1
	s_or_b32 exec_lo, exec_lo, s20
	v_lshlrev_b32_e32 v1, 8, v47
	s_delay_alu instid0(VALU_DEP_3) | instskip(NEXT) | instid1(VALU_DEP_3)
	v_lshl_add_u32 v47, v48, 10, 0x2000
	v_lshlrev_b32_e32 v45, 23, v45
	s_delay_alu instid0(VALU_DEP_2) | instskip(NEXT) | instid1(VALU_DEP_1)
	v_and_or_b32 v1, 0x8000, v1, v47
	v_lshl_or_b32 v45, v1, 16, v45
.LBB277_926:                            ;   in Loop: Header=BB277_516 Depth=1
	s_or_b32 exec_lo, exec_lo, s19
.LBB277_927:                            ;   in Loop: Header=BB277_516 Depth=1
	s_delay_alu instid0(SALU_CYCLE_1)
	s_or_b32 exec_lo, exec_lo, s18
.LBB277_928:                            ;   in Loop: Header=BB277_516 Depth=1
	s_wait_alu 0xfffe
	s_or_b32 exec_lo, exec_lo, s15
	v_lshrrev_b32_e32 v1, 16, v7
	v_mov_b32_e32 v47, 0
	s_mov_b32 s15, exec_lo
	s_delay_alu instid0(VALU_DEP_2) | instskip(NEXT) | instid1(VALU_DEP_1)
	v_dual_mov_b32 v48, 0 :: v_dual_and_b32 v49, 0xff, v1
	v_cmpx_ne_u16_e32 0, v49
	s_cbranch_execz .LBB277_936
; %bb.929:                              ;   in Loop: Header=BB277_516 Depth=1
	v_mov_b32_e32 v48, 0x8000
	s_mov_b32 s18, exec_lo
	v_cmpx_ne_u16_e32 0x80, v49
	s_cbranch_execz .LBB277_935
; %bb.930:                              ;   in Loop: Header=BB277_516 Depth=1
	v_bfe_u32 v50, v7, 16, 7
	v_mov_b32_e32 v48, 0x7c01
	s_mov_b32 s19, exec_lo
	s_delay_alu instid0(VALU_DEP_2)
	v_cmpx_ne_u32_e32 0x7f, v50
	s_cbranch_execz .LBB277_934
; %bb.931:                              ;   in Loop: Header=BB277_516 Depth=1
	v_and_b32_e32 v48, 7, v1
	v_lshrrev_b32_e32 v49, 3, v50
	s_mov_b32 s20, exec_lo
	v_cmpx_gt_u32_e32 8, v50
; %bb.932:                              ;   in Loop: Header=BB277_516 Depth=1
	s_delay_alu instid0(VALU_DEP_3) | instskip(NEXT) | instid1(VALU_DEP_1)
	v_clz_i32_u32_e32 v48, v48
	v_min_u32_e32 v50, 32, v48
	s_delay_alu instid0(VALU_DEP_1) | instskip(NEXT) | instid1(VALU_DEP_1)
	v_subrev_nc_u32_e32 v48, 28, v50
	v_lshlrev_b64_e32 v[48:49], v48, v[1:2]
	v_sub_nc_u32_e32 v49, 29, v50
	s_delay_alu instid0(VALU_DEP_2)
	v_and_b32_e32 v48, 7, v48
; %bb.933:                              ;   in Loop: Header=BB277_516 Depth=1
	s_or_b32 exec_lo, exec_lo, s20
	v_lshlrev_b32_e32 v1, 8, v1
	s_delay_alu instid0(VALU_DEP_3) | instskip(NEXT) | instid1(VALU_DEP_3)
	v_lshl_add_u32 v49, v49, 10, 0x2000
	v_lshlrev_b32_e32 v48, 7, v48
	s_delay_alu instid0(VALU_DEP_3) | instskip(NEXT) | instid1(VALU_DEP_3)
	v_and_b32_e32 v1, 0x8000, v1
	v_and_b32_e32 v49, 0xfc00, v49
	s_delay_alu instid0(VALU_DEP_1)
	v_or3_b32 v48, v1, v49, v48
.LBB277_934:                            ;   in Loop: Header=BB277_516 Depth=1
	s_or_b32 exec_lo, exec_lo, s19
.LBB277_935:                            ;   in Loop: Header=BB277_516 Depth=1
	s_delay_alu instid0(SALU_CYCLE_1)
	s_or_b32 exec_lo, exec_lo, s18
.LBB277_936:                            ;   in Loop: Header=BB277_516 Depth=1
	s_wait_alu 0xfffe
	s_or_b32 exec_lo, exec_lo, s15
	s_delay_alu instid0(SALU_CYCLE_1)
	s_mov_b32 s15, exec_lo
	v_cmpx_lt_u32_e32 0xffffff, v7
	s_cbranch_execz .LBB277_944
; %bb.937:                              ;   in Loop: Header=BB277_516 Depth=1
	v_lshrrev_b32_e32 v1, 24, v7
	v_bfrev_b32_e32 v47, 1
	s_mov_b32 s18, exec_lo
	s_delay_alu instid0(VALU_DEP_2)
	v_cmpx_ne_u32_e32 0x80, v1
	s_cbranch_execz .LBB277_943
; %bb.938:                              ;   in Loop: Header=BB277_516 Depth=1
	v_and_b32_e32 v50, 0x7f, v1
	v_mov_b32_e32 v47, 0x7c010000
	s_mov_b32 s19, exec_lo
	s_delay_alu instid0(VALU_DEP_2)
	v_cmpx_ne_u32_e32 0x7f, v50
	s_cbranch_execz .LBB277_942
; %bb.939:                              ;   in Loop: Header=BB277_516 Depth=1
	v_and_b32_e32 v47, 7, v1
	v_lshrrev_b32_e32 v49, 3, v50
	s_mov_b32 s20, exec_lo
	v_cmpx_gt_u32_e32 8, v50
; %bb.940:                              ;   in Loop: Header=BB277_516 Depth=1
	s_delay_alu instid0(VALU_DEP_3) | instskip(NEXT) | instid1(VALU_DEP_1)
	v_clz_i32_u32_e32 v47, v47
	v_min_u32_e32 v47, 32, v47
	s_delay_alu instid0(VALU_DEP_1) | instskip(NEXT) | instid1(VALU_DEP_1)
	v_subrev_nc_u32_e32 v49, 28, v47
	v_lshlrev_b64_e32 v[50:51], v49, v[1:2]
	v_sub_nc_u32_e32 v49, 29, v47
	s_delay_alu instid0(VALU_DEP_2)
	v_and_b32_e32 v47, 7, v50
; %bb.941:                              ;   in Loop: Header=BB277_516 Depth=1
	s_or_b32 exec_lo, exec_lo, s20
	v_lshlrev_b32_e32 v1, 8, v1
	s_delay_alu instid0(VALU_DEP_3) | instskip(NEXT) | instid1(VALU_DEP_3)
	v_lshl_add_u32 v49, v49, 10, 0x2000
	v_lshlrev_b32_e32 v47, 23, v47
	s_delay_alu instid0(VALU_DEP_2) | instskip(NEXT) | instid1(VALU_DEP_1)
	v_and_or_b32 v1, 0x8000, v1, v49
	v_lshl_or_b32 v47, v1, 16, v47
.LBB277_942:                            ;   in Loop: Header=BB277_516 Depth=1
	s_or_b32 exec_lo, exec_lo, s19
.LBB277_943:                            ;   in Loop: Header=BB277_516 Depth=1
	s_delay_alu instid0(SALU_CYCLE_1)
	s_or_b32 exec_lo, exec_lo, s18
.LBB277_944:                            ;   in Loop: Header=BB277_516 Depth=1
	s_wait_alu 0xfffe
	s_or_b32 exec_lo, exec_lo, s15
	v_dual_mov_b32 v50, 0 :: v_dual_and_b32 v51, 0xff, v8
	v_mov_b32_e32 v1, v8
	v_mov_b32_e32 v49, 0
	s_mov_b32 s15, exec_lo
	s_delay_alu instid0(VALU_DEP_3)
	v_cmpx_ne_u16_e32 0, v51
	s_cbranch_execz .LBB277_952
; %bb.945:                              ;   in Loop: Header=BB277_516 Depth=1
	v_mov_b32_e32 v50, 0x8000
	s_mov_b32 s18, exec_lo
	v_cmpx_ne_u16_e32 0x80, v51
	s_cbranch_execz .LBB277_951
; %bb.946:                              ;   in Loop: Header=BB277_516 Depth=1
	v_and_b32_e32 v52, 0x7f, v8
	v_mov_b32_e32 v50, 0x7c01
	s_mov_b32 s19, exec_lo
	s_delay_alu instid0(VALU_DEP_2)
	v_cmpx_ne_u32_e32 0x7f, v52
	s_cbranch_execz .LBB277_950
; %bb.947:                              ;   in Loop: Header=BB277_516 Depth=1
	v_and_b32_e32 v50, 7, v8
	v_lshrrev_b32_e32 v51, 3, v52
	s_mov_b32 s20, exec_lo
	v_cmpx_gt_u32_e32 8, v52
; %bb.948:                              ;   in Loop: Header=BB277_516 Depth=1
	s_delay_alu instid0(VALU_DEP_3) | instskip(NEXT) | instid1(VALU_DEP_1)
	v_clz_i32_u32_e32 v50, v50
	v_min_u32_e32 v52, 32, v50
	s_delay_alu instid0(VALU_DEP_1) | instskip(NEXT) | instid1(VALU_DEP_1)
	v_subrev_nc_u32_e32 v50, 28, v52
	v_lshlrev_b64_e32 v[50:51], v50, v[1:2]
	v_sub_nc_u32_e32 v51, 29, v52
	s_delay_alu instid0(VALU_DEP_2)
	v_and_b32_e32 v50, 7, v50
; %bb.949:                              ;   in Loop: Header=BB277_516 Depth=1
	s_or_b32 exec_lo, exec_lo, s20
	v_lshlrev_b32_e32 v52, 8, v8
	s_delay_alu instid0(VALU_DEP_3) | instskip(NEXT) | instid1(VALU_DEP_3)
	v_lshl_add_u32 v51, v51, 10, 0x2000
	v_lshlrev_b32_e32 v50, 7, v50
	s_delay_alu instid0(VALU_DEP_3) | instskip(NEXT) | instid1(VALU_DEP_3)
	v_and_b32_e32 v52, 0x8000, v52
	v_and_b32_e32 v51, 0xfc00, v51
	s_delay_alu instid0(VALU_DEP_1)
	v_or3_b32 v50, v52, v51, v50
.LBB277_950:                            ;   in Loop: Header=BB277_516 Depth=1
	s_or_b32 exec_lo, exec_lo, s19
.LBB277_951:                            ;   in Loop: Header=BB277_516 Depth=1
	s_delay_alu instid0(SALU_CYCLE_1)
	s_or_b32 exec_lo, exec_lo, s18
.LBB277_952:                            ;   in Loop: Header=BB277_516 Depth=1
	s_wait_alu 0xfffe
	s_or_b32 exec_lo, exec_lo, s15
	v_lshrrev_b16 v1, 8, v1
	v_mov_b32_e32 v51, 0
	s_mov_b32 s15, exec_lo
	s_delay_alu instid0(VALU_DEP_2)
	v_cmpx_ne_u16_e32 0, v1
	s_cbranch_execz .LBB277_960
; %bb.953:                              ;   in Loop: Header=BB277_516 Depth=1
	v_bfrev_b32_e32 v51, 1
	s_mov_b32 s18, exec_lo
	v_cmpx_ne_u16_e32 0x80, v1
	s_cbranch_execz .LBB277_959
; %bb.954:                              ;   in Loop: Header=BB277_516 Depth=1
	v_and_b32_e32 v52, 0xffff, v1
	v_mov_b32_e32 v51, 0x7c010000
	s_mov_b32 s19, exec_lo
	s_delay_alu instid0(VALU_DEP_2) | instskip(NEXT) | instid1(VALU_DEP_1)
	v_and_b32_e32 v54, 0x7f, v52
	v_cmpx_ne_u32_e32 0x7f, v54
	s_cbranch_execz .LBB277_958
; %bb.955:                              ;   in Loop: Header=BB277_516 Depth=1
	v_and_b32_e32 v51, 7, v52
	v_lshrrev_b32_e32 v53, 3, v54
	s_mov_b32 s20, exec_lo
	v_cmpx_gt_u32_e32 8, v54
; %bb.956:                              ;   in Loop: Header=BB277_516 Depth=1
	s_delay_alu instid0(VALU_DEP_3) | instskip(NEXT) | instid1(VALU_DEP_1)
	v_clz_i32_u32_e32 v51, v51
	v_min_u32_e32 v51, 32, v51
	s_delay_alu instid0(VALU_DEP_1) | instskip(NEXT) | instid1(VALU_DEP_1)
	v_subrev_nc_u32_e32 v53, 28, v51
	v_lshlrev_b64_e32 v[54:55], v53, v[1:2]
	v_sub_nc_u32_e32 v53, 29, v51
	s_delay_alu instid0(VALU_DEP_2)
	v_and_b32_e32 v51, 7, v54
; %bb.957:                              ;   in Loop: Header=BB277_516 Depth=1
	s_or_b32 exec_lo, exec_lo, s20
	v_lshlrev_b32_e32 v1, 8, v52
	s_delay_alu instid0(VALU_DEP_3) | instskip(NEXT) | instid1(VALU_DEP_3)
	v_lshl_add_u32 v52, v53, 10, 0x2000
	v_lshlrev_b32_e32 v51, 23, v51
	s_delay_alu instid0(VALU_DEP_2) | instskip(NEXT) | instid1(VALU_DEP_1)
	v_and_or_b32 v1, 0x8000, v1, v52
	v_lshl_or_b32 v51, v1, 16, v51
.LBB277_958:                            ;   in Loop: Header=BB277_516 Depth=1
	s_or_b32 exec_lo, exec_lo, s19
.LBB277_959:                            ;   in Loop: Header=BB277_516 Depth=1
	s_delay_alu instid0(SALU_CYCLE_1)
	s_or_b32 exec_lo, exec_lo, s18
.LBB277_960:                            ;   in Loop: Header=BB277_516 Depth=1
	s_wait_alu 0xfffe
	s_or_b32 exec_lo, exec_lo, s15
	v_lshrrev_b32_e32 v1, 16, v8
	s_mov_b32 s15, exec_lo
	s_delay_alu instid0(VALU_DEP_1) | instskip(NEXT) | instid1(VALU_DEP_1)
	v_and_b32_e32 v52, 0xff, v1
	v_cmpx_ne_u16_e32 0, v52
	s_cbranch_execz .LBB277_968
; %bb.961:                              ;   in Loop: Header=BB277_516 Depth=1
	v_mov_b32_e32 v49, 0x8000
	s_mov_b32 s18, exec_lo
	v_cmpx_ne_u16_e32 0x80, v52
	s_cbranch_execz .LBB277_967
; %bb.962:                              ;   in Loop: Header=BB277_516 Depth=1
	v_bfe_u32 v53, v8, 16, 7
	v_mov_b32_e32 v49, 0x7c01
	s_mov_b32 s19, exec_lo
	s_delay_alu instid0(VALU_DEP_2)
	v_cmpx_ne_u32_e32 0x7f, v53
	s_cbranch_execz .LBB277_966
; %bb.963:                              ;   in Loop: Header=BB277_516 Depth=1
	v_and_b32_e32 v49, 7, v1
	v_lshrrev_b32_e32 v52, 3, v53
	s_mov_b32 s20, exec_lo
	v_cmpx_gt_u32_e32 8, v53
; %bb.964:                              ;   in Loop: Header=BB277_516 Depth=1
	s_delay_alu instid0(VALU_DEP_3) | instskip(NEXT) | instid1(VALU_DEP_1)
	v_clz_i32_u32_e32 v49, v49
	v_min_u32_e32 v49, 32, v49
	s_delay_alu instid0(VALU_DEP_1) | instskip(NEXT) | instid1(VALU_DEP_1)
	v_subrev_nc_u32_e32 v52, 28, v49
	v_lshlrev_b64_e32 v[53:54], v52, v[1:2]
	v_sub_nc_u32_e32 v52, 29, v49
	s_delay_alu instid0(VALU_DEP_2)
	v_and_b32_e32 v49, 7, v53
; %bb.965:                              ;   in Loop: Header=BB277_516 Depth=1
	s_or_b32 exec_lo, exec_lo, s20
	v_lshlrev_b32_e32 v1, 8, v1
	s_delay_alu instid0(VALU_DEP_3) | instskip(NEXT) | instid1(VALU_DEP_3)
	v_lshl_add_u32 v52, v52, 10, 0x2000
	v_lshlrev_b32_e32 v49, 7, v49
	s_delay_alu instid0(VALU_DEP_3) | instskip(NEXT) | instid1(VALU_DEP_3)
	v_and_b32_e32 v1, 0x8000, v1
	v_and_b32_e32 v52, 0xfc00, v52
	s_delay_alu instid0(VALU_DEP_1)
	v_or3_b32 v49, v1, v52, v49
.LBB277_966:                            ;   in Loop: Header=BB277_516 Depth=1
	s_or_b32 exec_lo, exec_lo, s19
.LBB277_967:                            ;   in Loop: Header=BB277_516 Depth=1
	s_delay_alu instid0(SALU_CYCLE_1)
	s_or_b32 exec_lo, exec_lo, s18
.LBB277_968:                            ;   in Loop: Header=BB277_516 Depth=1
	s_wait_alu 0xfffe
	s_or_b32 exec_lo, exec_lo, s15
	v_cmp_lt_u64_e64 s1, s[4:5], v[7:8]
	v_mov_b32_e32 v7, 0
	s_and_saveexec_b32 s15, s1
	s_cbranch_execz .LBB277_976
; %bb.969:                              ;   in Loop: Header=BB277_516 Depth=1
	v_lshrrev_b32_e32 v1, 24, v8
	v_bfrev_b32_e32 v7, 1
	s_mov_b32 s18, exec_lo
	s_delay_alu instid0(VALU_DEP_2)
	v_cmpx_ne_u32_e32 0x80, v1
	s_cbranch_execz .LBB277_975
; %bb.970:                              ;   in Loop: Header=BB277_516 Depth=1
	v_and_b32_e32 v52, 0x7f, v1
	v_mov_b32_e32 v7, 0x7c010000
	s_mov_b32 s19, exec_lo
	s_delay_alu instid0(VALU_DEP_2)
	v_cmpx_ne_u32_e32 0x7f, v52
	s_cbranch_execz .LBB277_974
; %bb.971:                              ;   in Loop: Header=BB277_516 Depth=1
	v_and_b32_e32 v7, 7, v1
	v_lshrrev_b32_e32 v8, 3, v52
	s_mov_b32 s20, exec_lo
	v_cmpx_gt_u32_e32 8, v52
; %bb.972:                              ;   in Loop: Header=BB277_516 Depth=1
	s_delay_alu instid0(VALU_DEP_3) | instskip(NEXT) | instid1(VALU_DEP_1)
	v_clz_i32_u32_e32 v7, v7
	v_min_u32_e32 v52, 32, v7
	s_delay_alu instid0(VALU_DEP_1) | instskip(NEXT) | instid1(VALU_DEP_1)
	v_subrev_nc_u32_e32 v7, 28, v52
	v_lshlrev_b64_e32 v[7:8], v7, v[1:2]
	v_sub_nc_u32_e32 v8, 29, v52
	s_delay_alu instid0(VALU_DEP_2)
	v_and_b32_e32 v7, 7, v7
; %bb.973:                              ;   in Loop: Header=BB277_516 Depth=1
	s_or_b32 exec_lo, exec_lo, s20
	v_lshlrev_b32_e32 v1, 8, v1
	s_delay_alu instid0(VALU_DEP_3) | instskip(NEXT) | instid1(VALU_DEP_3)
	v_lshl_add_u32 v8, v8, 10, 0x2000
	v_lshlrev_b32_e32 v7, 23, v7
	s_delay_alu instid0(VALU_DEP_2) | instskip(NEXT) | instid1(VALU_DEP_1)
	v_and_or_b32 v1, 0x8000, v1, v8
	v_lshl_or_b32 v7, v1, 16, v7
.LBB277_974:                            ;   in Loop: Header=BB277_516 Depth=1
	s_or_b32 exec_lo, exec_lo, s19
.LBB277_975:                            ;   in Loop: Header=BB277_516 Depth=1
	s_delay_alu instid0(SALU_CYCLE_1)
	s_or_b32 exec_lo, exec_lo, s18
.LBB277_976:                            ;   in Loop: Header=BB277_516 Depth=1
	s_wait_alu 0xfffe
	s_or_b32 exec_lo, exec_lo, s15
	v_or_b32_e32 v1, v47, v48
	s_wait_loadcnt 0x0
	v_fma_mixlo_f16 v8, v44, v47, 0 op_sel:[0,1,0] op_sel_hi:[0,1,0]
	v_or_b32_e32 v46, v45, v46
	v_fma_mixlo_f16 v45, v44, v45, 0 op_sel:[0,1,0] op_sel_hi:[0,1,0]
	v_or_b32_e32 v48, v51, v50
	v_or_b32_e32 v49, v7, v49
	v_fma_mixlo_f16 v50, v44, v1, 0 op_sel_hi:[0,1,0]
	v_lshlrev_b32_e32 v1, 16, v8
	v_lshlrev_b32_e32 v47, 16, v45
	v_fma_mixlo_f16 v8, v44, v46, 0 op_sel_hi:[0,1,0]
	v_fma_mixlo_f16 v45, v44, v51, 0 op_sel:[0,1,0] op_sel_hi:[0,1,0]
	v_fma_mixlo_f16 v48, v44, v48, 0 op_sel_hi:[0,1,0]
	v_fma_mixlo_f16 v7, v44, v7, 0 op_sel:[0,1,0] op_sel_hi:[0,1,0]
	v_fma_mixlo_f16 v44, v44, v49, 0 op_sel_hi:[0,1,0]
	v_and_b32_e32 v46, 0xffff, v50
	v_and_b32_e32 v51, 0xffff, v8
	v_lshlrev_b32_e32 v8, 16, v45
	v_and_b32_e32 v45, 0xffff, v48
	v_lshlrev_b32_e32 v7, 16, v7
	v_and_b32_e32 v44, 0xffff, v44
	v_or_b32_e32 v48, v1, v46
	v_or_b32_e32 v52, v47, v51
	;; [unrolled: 1-line block ×3, first 2 shown]
	s_delay_alu instid0(VALU_DEP_4)
	v_or_b32_e32 v49, v7, v44
	s_and_saveexec_b32 s15, s0
	s_cbranch_execz .LBB277_978
; %bb.977:                              ;   in Loop: Header=BB277_516 Depth=1
	v_add_nc_u32_e32 v48, -6, v28
	v_cmp_gt_i32_e64 s1, s27, v17
	v_add_nc_u32_e32 v49, -5, v28
	s_wait_alu 0xf1ff
	s_delay_alu instid0(VALU_DEP_2) | instskip(SKIP_4) | instid1(VALU_DEP_3)
	v_cndmask_b32_e64 v50, 0, v51, s1
	v_cmp_gt_i32_e64 s1, s27, v48
	v_add_nc_u32_e32 v48, -4, v28
	v_add_nc_u32_e32 v51, -2, v28
	s_wait_alu 0xf1ff
	v_cndmask_b32_e64 v47, 0, v47, s1
	v_cmp_gt_i32_e64 s1, s27, v49
	v_add_nc_u32_e32 v49, -3, v28
	s_delay_alu instid0(VALU_DEP_3) | instskip(SKIP_1) | instid1(VALU_DEP_3)
	v_or_b32_e32 v52, v47, v50
	s_wait_alu 0xf1ff
	v_cndmask_b32_e64 v46, 0, v46, s1
	v_cmp_gt_i32_e64 s1, s27, v48
	v_add_nc_u32_e32 v48, -1, v28
	s_wait_alu 0xf1ff
	s_delay_alu instid0(VALU_DEP_2) | instskip(SKIP_2) | instid1(VALU_DEP_1)
	v_cndmask_b32_e64 v1, 0, v1, s1
	v_cmp_gt_i32_e64 s1, s27, v49
	s_wait_alu 0xf1ff
	v_cndmask_b32_e64 v45, 0, v45, s1
	v_cmp_gt_i32_e64 s1, s27, v51
	s_wait_alu 0xf1ff
	s_delay_alu instid0(VALU_DEP_1) | instskip(SKIP_2) | instid1(VALU_DEP_3)
	v_cndmask_b32_e64 v8, 0, v8, s1
	v_cmp_gt_i32_e64 s1, s27, v48
	v_or_b32_e32 v48, v1, v46
	v_or_b32_e32 v50, v8, v45
	s_wait_alu 0xf1ff
	s_delay_alu instid0(VALU_DEP_3) | instskip(SKIP_2) | instid1(VALU_DEP_1)
	v_cndmask_b32_e64 v44, 0, v44, s1
	v_cmp_gt_i32_e64 s1, s27, v28
	s_wait_alu 0xf1ff
	v_cndmask_b32_e64 v7, 0, v7, s1
	s_delay_alu instid0(VALU_DEP_1)
	v_or_b32_e32 v49, v7, v44
.LBB277_978:                            ;   in Loop: Header=BB277_516 Depth=1
	s_wait_alu 0xfffe
	s_or_b32 exec_lo, exec_lo, s15
	;;#ASMSTART
	v_pk_mul_f16 v1, v35, v52;

	;;#ASMEND
	;;#ASMSTART
	v_pk_mul_f16 v7, v34, v48;

	;;#ASMEND
	;; [unrolled: 4-line block ×4, first 2 shown]
	;;#ASMSTART
	v_pk_add_f16 v1, v1, v7;

	;;#ASMEND
	;;#ASMSTART
	v_pk_add_f16 v1, v1, v8;

	;;#ASMEND
	;; [unrolled: 4-line block ×3, first 2 shown]
	v_and_b32_e32 v7, 0xffff, v1
	v_lshrrev_b32_e32 v1, 16, v1
	;;#ASMSTART
	v_cvt_f32_f16 v7, v7;
	;;#ASMEND
	;;#ASMSTART
	v_cvt_f32_f16 v8, v1;
	;;#ASMEND
	s_and_saveexec_b32 s15, vcc_lo
	s_cbranch_execz .LBB277_515
; %bb.979:                              ;   in Loop: Header=BB277_516 Depth=1
	v_add_co_u32 v5, s1, v5, v27
	s_wait_alu 0xf1ff
	v_add_co_ci_u32_e64 v6, null, 0, v6, s1
	v_dual_mov_b32 v45, 0 :: v_dual_mov_b32 v46, 0
	s_mov_b32 s18, exec_lo
	global_load_b64 v[5:6], v[5:6], off
	global_load_b32 v44, v45, s[10:11]
	s_wait_loadcnt 0x1
	v_and_b32_e32 v1, 0xff, v5
	s_delay_alu instid0(VALU_DEP_1)
	v_cmpx_ne_u16_e32 0, v1
	s_cbranch_execz .LBB277_987
; %bb.980:                              ;   in Loop: Header=BB277_516 Depth=1
	v_mov_b32_e32 v46, 0x8000
	s_mov_b32 s19, exec_lo
	v_cmpx_ne_u16_e32 0x80, v1
	s_cbranch_execz .LBB277_986
; %bb.981:                              ;   in Loop: Header=BB277_516 Depth=1
	v_and_b32_e32 v47, 0x7f, v5
	v_mov_b32_e32 v46, 0x7c01
	s_mov_b32 s20, exec_lo
	s_delay_alu instid0(VALU_DEP_2)
	v_cmpx_ne_u32_e32 0x7f, v47
	s_cbranch_execz .LBB277_985
; %bb.982:                              ;   in Loop: Header=BB277_516 Depth=1
	v_and_b32_e32 v1, 7, v5
	v_lshrrev_b32_e32 v46, 3, v47
	s_mov_b32 s21, exec_lo
	v_cmpx_gt_u32_e32 8, v47
; %bb.983:                              ;   in Loop: Header=BB277_516 Depth=1
	s_delay_alu instid0(VALU_DEP_3) | instskip(NEXT) | instid1(VALU_DEP_1)
	v_clz_i32_u32_e32 v1, v1
	v_min_u32_e32 v1, 32, v1
	s_delay_alu instid0(VALU_DEP_1) | instskip(NEXT) | instid1(VALU_DEP_1)
	v_subrev_nc_u32_e32 v46, 28, v1
	v_lshlrev_b64_e32 v[47:48], v46, v[5:6]
	v_sub_nc_u32_e32 v46, 29, v1
	s_delay_alu instid0(VALU_DEP_2)
	v_and_b32_e32 v1, 7, v47
; %bb.984:                              ;   in Loop: Header=BB277_516 Depth=1
	s_or_b32 exec_lo, exec_lo, s21
	v_lshlrev_b32_e32 v47, 8, v5
	s_delay_alu instid0(VALU_DEP_3) | instskip(NEXT) | instid1(VALU_DEP_3)
	v_lshl_add_u32 v46, v46, 10, 0x2000
	v_lshlrev_b32_e32 v1, 7, v1
	s_delay_alu instid0(VALU_DEP_3) | instskip(NEXT) | instid1(VALU_DEP_3)
	v_and_b32_e32 v47, 0x8000, v47
	v_and_b32_e32 v46, 0xfc00, v46
	s_delay_alu instid0(VALU_DEP_1)
	v_or3_b32 v46, v47, v46, v1
.LBB277_985:                            ;   in Loop: Header=BB277_516 Depth=1
	s_or_b32 exec_lo, exec_lo, s20
.LBB277_986:                            ;   in Loop: Header=BB277_516 Depth=1
	s_delay_alu instid0(SALU_CYCLE_1)
	s_or_b32 exec_lo, exec_lo, s19
.LBB277_987:                            ;   in Loop: Header=BB277_516 Depth=1
	s_delay_alu instid0(SALU_CYCLE_1) | instskip(SKIP_2) | instid1(VALU_DEP_1)
	s_or_b32 exec_lo, exec_lo, s18
	v_lshrrev_b16 v1, 8, v5
	s_mov_b32 s18, exec_lo
	v_cmpx_ne_u16_e32 0, v1
	s_cbranch_execz .LBB277_995
; %bb.988:                              ;   in Loop: Header=BB277_516 Depth=1
	v_bfrev_b32_e32 v45, 1
	s_mov_b32 s19, exec_lo
	v_cmpx_ne_u16_e32 0x80, v1
	s_cbranch_execz .LBB277_994
; %bb.989:                              ;   in Loop: Header=BB277_516 Depth=1
	v_and_b32_e32 v47, 0xffff, v1
	v_mov_b32_e32 v45, 0x7c010000
	s_mov_b32 s20, exec_lo
	s_delay_alu instid0(VALU_DEP_2) | instskip(NEXT) | instid1(VALU_DEP_1)
	v_and_b32_e32 v49, 0x7f, v47
	v_cmpx_ne_u32_e32 0x7f, v49
	s_cbranch_execz .LBB277_993
; %bb.990:                              ;   in Loop: Header=BB277_516 Depth=1
	v_and_b32_e32 v45, 7, v47
	v_lshrrev_b32_e32 v48, 3, v49
	s_mov_b32 s21, exec_lo
	v_cmpx_gt_u32_e32 8, v49
; %bb.991:                              ;   in Loop: Header=BB277_516 Depth=1
	s_delay_alu instid0(VALU_DEP_3) | instskip(NEXT) | instid1(VALU_DEP_1)
	v_clz_i32_u32_e32 v45, v45
	v_min_u32_e32 v45, 32, v45
	s_delay_alu instid0(VALU_DEP_1) | instskip(NEXT) | instid1(VALU_DEP_1)
	v_subrev_nc_u32_e32 v48, 28, v45
	v_lshlrev_b64_e32 v[49:50], v48, v[1:2]
	v_sub_nc_u32_e32 v48, 29, v45
	s_delay_alu instid0(VALU_DEP_2)
	v_and_b32_e32 v45, 7, v49
; %bb.992:                              ;   in Loop: Header=BB277_516 Depth=1
	s_or_b32 exec_lo, exec_lo, s21
	v_lshlrev_b32_e32 v1, 8, v47
	s_delay_alu instid0(VALU_DEP_3) | instskip(NEXT) | instid1(VALU_DEP_3)
	v_lshl_add_u32 v47, v48, 10, 0x2000
	v_lshlrev_b32_e32 v45, 23, v45
	s_delay_alu instid0(VALU_DEP_2) | instskip(NEXT) | instid1(VALU_DEP_1)
	v_and_or_b32 v1, 0x8000, v1, v47
	v_lshl_or_b32 v45, v1, 16, v45
.LBB277_993:                            ;   in Loop: Header=BB277_516 Depth=1
	s_or_b32 exec_lo, exec_lo, s20
.LBB277_994:                            ;   in Loop: Header=BB277_516 Depth=1
	s_delay_alu instid0(SALU_CYCLE_1)
	s_or_b32 exec_lo, exec_lo, s19
.LBB277_995:                            ;   in Loop: Header=BB277_516 Depth=1
	s_delay_alu instid0(SALU_CYCLE_1) | instskip(SKIP_3) | instid1(VALU_DEP_2)
	s_or_b32 exec_lo, exec_lo, s18
	v_lshrrev_b32_e32 v1, 16, v5
	v_mov_b32_e32 v47, 0
	s_mov_b32 s18, exec_lo
	v_dual_mov_b32 v48, 0 :: v_dual_and_b32 v49, 0xff, v1
	s_delay_alu instid0(VALU_DEP_1)
	v_cmpx_ne_u16_e32 0, v49
	s_cbranch_execz .LBB277_1003
; %bb.996:                              ;   in Loop: Header=BB277_516 Depth=1
	v_mov_b32_e32 v48, 0x8000
	s_mov_b32 s19, exec_lo
	v_cmpx_ne_u16_e32 0x80, v49
	s_cbranch_execz .LBB277_1002
; %bb.997:                              ;   in Loop: Header=BB277_516 Depth=1
	v_bfe_u32 v50, v5, 16, 7
	v_mov_b32_e32 v48, 0x7c01
	s_mov_b32 s20, exec_lo
	s_delay_alu instid0(VALU_DEP_2)
	v_cmpx_ne_u32_e32 0x7f, v50
	s_cbranch_execz .LBB277_1001
; %bb.998:                              ;   in Loop: Header=BB277_516 Depth=1
	v_and_b32_e32 v48, 7, v1
	v_lshrrev_b32_e32 v49, 3, v50
	s_mov_b32 s21, exec_lo
	v_cmpx_gt_u32_e32 8, v50
; %bb.999:                              ;   in Loop: Header=BB277_516 Depth=1
	s_delay_alu instid0(VALU_DEP_3) | instskip(NEXT) | instid1(VALU_DEP_1)
	v_clz_i32_u32_e32 v48, v48
	v_min_u32_e32 v50, 32, v48
	s_delay_alu instid0(VALU_DEP_1) | instskip(NEXT) | instid1(VALU_DEP_1)
	v_subrev_nc_u32_e32 v48, 28, v50
	v_lshlrev_b64_e32 v[48:49], v48, v[1:2]
	v_sub_nc_u32_e32 v49, 29, v50
	s_delay_alu instid0(VALU_DEP_2)
	v_and_b32_e32 v48, 7, v48
; %bb.1000:                             ;   in Loop: Header=BB277_516 Depth=1
	s_or_b32 exec_lo, exec_lo, s21
	v_lshlrev_b32_e32 v1, 8, v1
	s_delay_alu instid0(VALU_DEP_3) | instskip(NEXT) | instid1(VALU_DEP_3)
	v_lshl_add_u32 v49, v49, 10, 0x2000
	v_lshlrev_b32_e32 v48, 7, v48
	s_delay_alu instid0(VALU_DEP_3) | instskip(NEXT) | instid1(VALU_DEP_3)
	v_and_b32_e32 v1, 0x8000, v1
	v_and_b32_e32 v49, 0xfc00, v49
	s_delay_alu instid0(VALU_DEP_1)
	v_or3_b32 v48, v1, v49, v48
.LBB277_1001:                           ;   in Loop: Header=BB277_516 Depth=1
	s_or_b32 exec_lo, exec_lo, s20
.LBB277_1002:                           ;   in Loop: Header=BB277_516 Depth=1
	s_delay_alu instid0(SALU_CYCLE_1)
	s_or_b32 exec_lo, exec_lo, s19
.LBB277_1003:                           ;   in Loop: Header=BB277_516 Depth=1
	s_delay_alu instid0(SALU_CYCLE_1) | instskip(NEXT) | instid1(SALU_CYCLE_1)
	s_or_b32 exec_lo, exec_lo, s18
	s_mov_b32 s18, exec_lo
	v_cmpx_lt_u32_e32 0xffffff, v5
	s_cbranch_execz .LBB277_1011
; %bb.1004:                             ;   in Loop: Header=BB277_516 Depth=1
	v_lshrrev_b32_e32 v1, 24, v5
	v_bfrev_b32_e32 v47, 1
	s_mov_b32 s19, exec_lo
	s_delay_alu instid0(VALU_DEP_2)
	v_cmpx_ne_u32_e32 0x80, v1
	s_cbranch_execz .LBB277_1010
; %bb.1005:                             ;   in Loop: Header=BB277_516 Depth=1
	v_and_b32_e32 v50, 0x7f, v1
	v_mov_b32_e32 v47, 0x7c010000
	s_mov_b32 s20, exec_lo
	s_delay_alu instid0(VALU_DEP_2)
	v_cmpx_ne_u32_e32 0x7f, v50
	s_cbranch_execz .LBB277_1009
; %bb.1006:                             ;   in Loop: Header=BB277_516 Depth=1
	v_and_b32_e32 v47, 7, v1
	v_lshrrev_b32_e32 v49, 3, v50
	s_mov_b32 s21, exec_lo
	v_cmpx_gt_u32_e32 8, v50
; %bb.1007:                             ;   in Loop: Header=BB277_516 Depth=1
	s_delay_alu instid0(VALU_DEP_3) | instskip(NEXT) | instid1(VALU_DEP_1)
	v_clz_i32_u32_e32 v47, v47
	v_min_u32_e32 v47, 32, v47
	s_delay_alu instid0(VALU_DEP_1) | instskip(NEXT) | instid1(VALU_DEP_1)
	v_subrev_nc_u32_e32 v49, 28, v47
	v_lshlrev_b64_e32 v[50:51], v49, v[1:2]
	v_sub_nc_u32_e32 v49, 29, v47
	s_delay_alu instid0(VALU_DEP_2)
	v_and_b32_e32 v47, 7, v50
; %bb.1008:                             ;   in Loop: Header=BB277_516 Depth=1
	s_or_b32 exec_lo, exec_lo, s21
	v_lshlrev_b32_e32 v1, 8, v1
	s_delay_alu instid0(VALU_DEP_3) | instskip(NEXT) | instid1(VALU_DEP_3)
	v_lshl_add_u32 v49, v49, 10, 0x2000
	v_lshlrev_b32_e32 v47, 23, v47
	s_delay_alu instid0(VALU_DEP_2) | instskip(NEXT) | instid1(VALU_DEP_1)
	v_and_or_b32 v1, 0x8000, v1, v49
	v_lshl_or_b32 v47, v1, 16, v47
.LBB277_1009:                           ;   in Loop: Header=BB277_516 Depth=1
	s_or_b32 exec_lo, exec_lo, s20
.LBB277_1010:                           ;   in Loop: Header=BB277_516 Depth=1
	s_delay_alu instid0(SALU_CYCLE_1)
	s_or_b32 exec_lo, exec_lo, s19
.LBB277_1011:                           ;   in Loop: Header=BB277_516 Depth=1
	s_delay_alu instid0(SALU_CYCLE_1) | instskip(SKIP_4) | instid1(VALU_DEP_3)
	s_or_b32 exec_lo, exec_lo, s18
	v_dual_mov_b32 v50, 0 :: v_dual_and_b32 v51, 0xff, v6
	v_mov_b32_e32 v1, v6
	v_mov_b32_e32 v49, 0
	s_mov_b32 s18, exec_lo
	v_cmpx_ne_u16_e32 0, v51
	s_cbranch_execz .LBB277_1019
; %bb.1012:                             ;   in Loop: Header=BB277_516 Depth=1
	v_mov_b32_e32 v50, 0x8000
	s_mov_b32 s19, exec_lo
	v_cmpx_ne_u16_e32 0x80, v51
	s_cbranch_execz .LBB277_1018
; %bb.1013:                             ;   in Loop: Header=BB277_516 Depth=1
	v_and_b32_e32 v52, 0x7f, v6
	v_mov_b32_e32 v50, 0x7c01
	s_mov_b32 s20, exec_lo
	s_delay_alu instid0(VALU_DEP_2)
	v_cmpx_ne_u32_e32 0x7f, v52
	s_cbranch_execz .LBB277_1017
; %bb.1014:                             ;   in Loop: Header=BB277_516 Depth=1
	v_and_b32_e32 v50, 7, v6
	v_lshrrev_b32_e32 v51, 3, v52
	s_mov_b32 s21, exec_lo
	v_cmpx_gt_u32_e32 8, v52
; %bb.1015:                             ;   in Loop: Header=BB277_516 Depth=1
	s_delay_alu instid0(VALU_DEP_3) | instskip(NEXT) | instid1(VALU_DEP_1)
	v_clz_i32_u32_e32 v50, v50
	v_min_u32_e32 v52, 32, v50
	s_delay_alu instid0(VALU_DEP_1) | instskip(NEXT) | instid1(VALU_DEP_1)
	v_subrev_nc_u32_e32 v50, 28, v52
	v_lshlrev_b64_e32 v[50:51], v50, v[1:2]
	v_sub_nc_u32_e32 v51, 29, v52
	s_delay_alu instid0(VALU_DEP_2)
	v_and_b32_e32 v50, 7, v50
; %bb.1016:                             ;   in Loop: Header=BB277_516 Depth=1
	s_or_b32 exec_lo, exec_lo, s21
	v_lshlrev_b32_e32 v52, 8, v6
	s_delay_alu instid0(VALU_DEP_3) | instskip(NEXT) | instid1(VALU_DEP_3)
	v_lshl_add_u32 v51, v51, 10, 0x2000
	v_lshlrev_b32_e32 v50, 7, v50
	s_delay_alu instid0(VALU_DEP_3) | instskip(NEXT) | instid1(VALU_DEP_3)
	v_and_b32_e32 v52, 0x8000, v52
	v_and_b32_e32 v51, 0xfc00, v51
	s_delay_alu instid0(VALU_DEP_1)
	v_or3_b32 v50, v52, v51, v50
.LBB277_1017:                           ;   in Loop: Header=BB277_516 Depth=1
	s_or_b32 exec_lo, exec_lo, s20
.LBB277_1018:                           ;   in Loop: Header=BB277_516 Depth=1
	s_delay_alu instid0(SALU_CYCLE_1)
	s_or_b32 exec_lo, exec_lo, s19
.LBB277_1019:                           ;   in Loop: Header=BB277_516 Depth=1
	s_delay_alu instid0(SALU_CYCLE_1) | instskip(SKIP_3) | instid1(VALU_DEP_2)
	s_or_b32 exec_lo, exec_lo, s18
	v_lshrrev_b16 v1, 8, v1
	v_mov_b32_e32 v51, 0
	s_mov_b32 s18, exec_lo
	v_cmpx_ne_u16_e32 0, v1
	s_cbranch_execz .LBB277_1027
; %bb.1020:                             ;   in Loop: Header=BB277_516 Depth=1
	v_bfrev_b32_e32 v51, 1
	s_mov_b32 s19, exec_lo
	v_cmpx_ne_u16_e32 0x80, v1
	s_cbranch_execz .LBB277_1026
; %bb.1021:                             ;   in Loop: Header=BB277_516 Depth=1
	v_and_b32_e32 v52, 0xffff, v1
	v_mov_b32_e32 v51, 0x7c010000
	s_mov_b32 s20, exec_lo
	s_delay_alu instid0(VALU_DEP_2) | instskip(NEXT) | instid1(VALU_DEP_1)
	v_and_b32_e32 v54, 0x7f, v52
	v_cmpx_ne_u32_e32 0x7f, v54
	s_cbranch_execz .LBB277_1025
; %bb.1022:                             ;   in Loop: Header=BB277_516 Depth=1
	v_and_b32_e32 v51, 7, v52
	v_lshrrev_b32_e32 v53, 3, v54
	s_mov_b32 s21, exec_lo
	v_cmpx_gt_u32_e32 8, v54
; %bb.1023:                             ;   in Loop: Header=BB277_516 Depth=1
	s_delay_alu instid0(VALU_DEP_3) | instskip(NEXT) | instid1(VALU_DEP_1)
	v_clz_i32_u32_e32 v51, v51
	v_min_u32_e32 v51, 32, v51
	s_delay_alu instid0(VALU_DEP_1) | instskip(NEXT) | instid1(VALU_DEP_1)
	v_subrev_nc_u32_e32 v53, 28, v51
	v_lshlrev_b64_e32 v[54:55], v53, v[1:2]
	v_sub_nc_u32_e32 v53, 29, v51
	s_delay_alu instid0(VALU_DEP_2)
	v_and_b32_e32 v51, 7, v54
; %bb.1024:                             ;   in Loop: Header=BB277_516 Depth=1
	s_or_b32 exec_lo, exec_lo, s21
	v_lshlrev_b32_e32 v1, 8, v52
	s_delay_alu instid0(VALU_DEP_3) | instskip(NEXT) | instid1(VALU_DEP_3)
	v_lshl_add_u32 v52, v53, 10, 0x2000
	v_lshlrev_b32_e32 v51, 23, v51
	s_delay_alu instid0(VALU_DEP_2) | instskip(NEXT) | instid1(VALU_DEP_1)
	v_and_or_b32 v1, 0x8000, v1, v52
	v_lshl_or_b32 v51, v1, 16, v51
.LBB277_1025:                           ;   in Loop: Header=BB277_516 Depth=1
	s_or_b32 exec_lo, exec_lo, s20
.LBB277_1026:                           ;   in Loop: Header=BB277_516 Depth=1
	s_delay_alu instid0(SALU_CYCLE_1)
	s_or_b32 exec_lo, exec_lo, s19
.LBB277_1027:                           ;   in Loop: Header=BB277_516 Depth=1
	s_delay_alu instid0(SALU_CYCLE_1) | instskip(SKIP_2) | instid1(VALU_DEP_1)
	s_or_b32 exec_lo, exec_lo, s18
	v_lshrrev_b32_e32 v1, 16, v6
	s_mov_b32 s18, exec_lo
	v_and_b32_e32 v52, 0xff, v1
	s_delay_alu instid0(VALU_DEP_1)
	v_cmpx_ne_u16_e32 0, v52
	s_cbranch_execz .LBB277_1035
; %bb.1028:                             ;   in Loop: Header=BB277_516 Depth=1
	v_mov_b32_e32 v49, 0x8000
	s_mov_b32 s19, exec_lo
	v_cmpx_ne_u16_e32 0x80, v52
	s_cbranch_execz .LBB277_1034
; %bb.1029:                             ;   in Loop: Header=BB277_516 Depth=1
	v_bfe_u32 v53, v6, 16, 7
	v_mov_b32_e32 v49, 0x7c01
	s_mov_b32 s20, exec_lo
	s_delay_alu instid0(VALU_DEP_2)
	v_cmpx_ne_u32_e32 0x7f, v53
	s_cbranch_execz .LBB277_1033
; %bb.1030:                             ;   in Loop: Header=BB277_516 Depth=1
	v_and_b32_e32 v49, 7, v1
	v_lshrrev_b32_e32 v52, 3, v53
	s_mov_b32 s21, exec_lo
	v_cmpx_gt_u32_e32 8, v53
; %bb.1031:                             ;   in Loop: Header=BB277_516 Depth=1
	s_delay_alu instid0(VALU_DEP_3) | instskip(NEXT) | instid1(VALU_DEP_1)
	v_clz_i32_u32_e32 v49, v49
	v_min_u32_e32 v49, 32, v49
	s_delay_alu instid0(VALU_DEP_1) | instskip(NEXT) | instid1(VALU_DEP_1)
	v_subrev_nc_u32_e32 v52, 28, v49
	v_lshlrev_b64_e32 v[53:54], v52, v[1:2]
	v_sub_nc_u32_e32 v52, 29, v49
	s_delay_alu instid0(VALU_DEP_2)
	v_and_b32_e32 v49, 7, v53
; %bb.1032:                             ;   in Loop: Header=BB277_516 Depth=1
	s_or_b32 exec_lo, exec_lo, s21
	v_lshlrev_b32_e32 v1, 8, v1
	s_delay_alu instid0(VALU_DEP_3) | instskip(NEXT) | instid1(VALU_DEP_3)
	v_lshl_add_u32 v52, v52, 10, 0x2000
	v_lshlrev_b32_e32 v49, 7, v49
	s_delay_alu instid0(VALU_DEP_3) | instskip(NEXT) | instid1(VALU_DEP_3)
	v_and_b32_e32 v1, 0x8000, v1
	v_and_b32_e32 v52, 0xfc00, v52
	s_delay_alu instid0(VALU_DEP_1)
	v_or3_b32 v49, v1, v52, v49
.LBB277_1033:                           ;   in Loop: Header=BB277_516 Depth=1
	s_or_b32 exec_lo, exec_lo, s20
.LBB277_1034:                           ;   in Loop: Header=BB277_516 Depth=1
	s_delay_alu instid0(SALU_CYCLE_1)
	s_or_b32 exec_lo, exec_lo, s19
.LBB277_1035:                           ;   in Loop: Header=BB277_516 Depth=1
	s_delay_alu instid0(SALU_CYCLE_1)
	s_or_b32 exec_lo, exec_lo, s18
	v_cmp_lt_u64_e64 s1, s[4:5], v[5:6]
	v_mov_b32_e32 v5, 0
	s_and_saveexec_b32 s18, s1
	s_cbranch_execz .LBB277_1043
; %bb.1036:                             ;   in Loop: Header=BB277_516 Depth=1
	v_lshrrev_b32_e32 v1, 24, v6
	v_bfrev_b32_e32 v5, 1
	s_mov_b32 s19, exec_lo
	s_delay_alu instid0(VALU_DEP_2)
	v_cmpx_ne_u32_e32 0x80, v1
	s_cbranch_execz .LBB277_1042
; %bb.1037:                             ;   in Loop: Header=BB277_516 Depth=1
	v_and_b32_e32 v52, 0x7f, v1
	v_mov_b32_e32 v5, 0x7c010000
	s_mov_b32 s20, exec_lo
	s_delay_alu instid0(VALU_DEP_2)
	v_cmpx_ne_u32_e32 0x7f, v52
	s_cbranch_execz .LBB277_1041
; %bb.1038:                             ;   in Loop: Header=BB277_516 Depth=1
	v_and_b32_e32 v5, 7, v1
	v_lshrrev_b32_e32 v6, 3, v52
	s_mov_b32 s21, exec_lo
	v_cmpx_gt_u32_e32 8, v52
; %bb.1039:                             ;   in Loop: Header=BB277_516 Depth=1
	s_delay_alu instid0(VALU_DEP_3) | instskip(NEXT) | instid1(VALU_DEP_1)
	v_clz_i32_u32_e32 v5, v5
	v_min_u32_e32 v52, 32, v5
	s_delay_alu instid0(VALU_DEP_1) | instskip(NEXT) | instid1(VALU_DEP_1)
	v_subrev_nc_u32_e32 v5, 28, v52
	v_lshlrev_b64_e32 v[5:6], v5, v[1:2]
	v_sub_nc_u32_e32 v6, 29, v52
	s_delay_alu instid0(VALU_DEP_2)
	v_and_b32_e32 v5, 7, v5
; %bb.1040:                             ;   in Loop: Header=BB277_516 Depth=1
	s_or_b32 exec_lo, exec_lo, s21
	v_lshlrev_b32_e32 v1, 8, v1
	s_delay_alu instid0(VALU_DEP_3) | instskip(NEXT) | instid1(VALU_DEP_3)
	v_lshl_add_u32 v6, v6, 10, 0x2000
	v_lshlrev_b32_e32 v5, 23, v5
	s_delay_alu instid0(VALU_DEP_2) | instskip(NEXT) | instid1(VALU_DEP_1)
	v_and_or_b32 v1, 0x8000, v1, v6
	v_lshl_or_b32 v5, v1, 16, v5
.LBB277_1041:                           ;   in Loop: Header=BB277_516 Depth=1
	s_or_b32 exec_lo, exec_lo, s20
.LBB277_1042:                           ;   in Loop: Header=BB277_516 Depth=1
	s_delay_alu instid0(SALU_CYCLE_1)
	s_or_b32 exec_lo, exec_lo, s19
.LBB277_1043:                           ;   in Loop: Header=BB277_516 Depth=1
	s_delay_alu instid0(SALU_CYCLE_1)
	s_or_b32 exec_lo, exec_lo, s18
	v_or_b32_e32 v1, v47, v48
	s_wait_loadcnt 0x0
	v_fma_mixlo_f16 v6, v44, v47, 0 op_sel:[0,1,0] op_sel_hi:[0,1,0]
	v_or_b32_e32 v46, v45, v46
	v_fma_mixlo_f16 v45, v44, v45, 0 op_sel:[0,1,0] op_sel_hi:[0,1,0]
	v_or_b32_e32 v48, v51, v50
	v_or_b32_e32 v49, v5, v49
	v_fma_mixlo_f16 v50, v44, v1, 0 op_sel_hi:[0,1,0]
	v_lshlrev_b32_e32 v1, 16, v6
	v_lshlrev_b32_e32 v47, 16, v45
	v_fma_mixlo_f16 v6, v44, v46, 0 op_sel_hi:[0,1,0]
	v_fma_mixlo_f16 v45, v44, v51, 0 op_sel:[0,1,0] op_sel_hi:[0,1,0]
	v_fma_mixlo_f16 v48, v44, v48, 0 op_sel_hi:[0,1,0]
	v_fma_mixlo_f16 v5, v44, v5, 0 op_sel:[0,1,0] op_sel_hi:[0,1,0]
	v_fma_mixlo_f16 v44, v44, v49, 0 op_sel_hi:[0,1,0]
	v_and_b32_e32 v46, 0xffff, v50
	v_and_b32_e32 v52, 0xffff, v6
	v_lshlrev_b32_e32 v6, 16, v45
	v_and_b32_e32 v45, 0xffff, v48
	v_lshlrev_b32_e32 v5, 16, v5
	v_and_b32_e32 v44, 0xffff, v44
	v_or_b32_e32 v50, v1, v46
	v_or_b32_e32 v51, v47, v52
	;; [unrolled: 1-line block ×3, first 2 shown]
	s_delay_alu instid0(VALU_DEP_4)
	v_or_b32_e32 v48, v5, v44
	s_and_saveexec_b32 s1, s0
	s_cbranch_execz .LBB277_514
; %bb.1044:                             ;   in Loop: Header=BB277_516 Depth=1
	v_add_nc_u32_e32 v48, -6, v28
	v_cmp_gt_i32_e64 s0, s27, v17
	v_add_nc_u32_e32 v49, -5, v28
	v_add_nc_u32_e32 v50, -2, v28
	s_wait_alu 0xf1ff
	s_delay_alu instid0(VALU_DEP_3) | instskip(SKIP_3) | instid1(VALU_DEP_2)
	v_cndmask_b32_e64 v17, 0, v52, s0
	v_cmp_gt_i32_e64 s0, s27, v48
	v_add_nc_u32_e32 v48, -4, v28
	s_wait_alu 0xf1ff
	v_cndmask_b32_e64 v47, 0, v47, s0
	v_cmp_gt_i32_e64 s0, s27, v49
	v_add_nc_u32_e32 v49, -3, v28
	s_delay_alu instid0(VALU_DEP_3) | instskip(SKIP_1) | instid1(VALU_DEP_3)
	v_or_b32_e32 v51, v47, v17
	s_wait_alu 0xf1ff
	v_cndmask_b32_e64 v46, 0, v46, s0
	v_cmp_gt_i32_e64 s0, s27, v48
	v_add_nc_u32_e32 v48, -1, v28
	s_wait_alu 0xf1ff
	s_delay_alu instid0(VALU_DEP_2) | instskip(SKIP_2) | instid1(VALU_DEP_1)
	v_cndmask_b32_e64 v1, 0, v1, s0
	v_cmp_gt_i32_e64 s0, s27, v49
	s_wait_alu 0xf1ff
	v_cndmask_b32_e64 v45, 0, v45, s0
	v_cmp_gt_i32_e64 s0, s27, v50
	v_or_b32_e32 v50, v1, v46
	s_wait_alu 0xf1ff
	s_delay_alu instid0(VALU_DEP_2) | instskip(SKIP_1) | instid1(VALU_DEP_2)
	v_cndmask_b32_e64 v6, 0, v6, s0
	v_cmp_gt_i32_e64 s0, s27, v48
	v_or_b32_e32 v49, v6, v45
	s_wait_alu 0xf1ff
	s_delay_alu instid0(VALU_DEP_2) | instskip(SKIP_2) | instid1(VALU_DEP_1)
	v_cndmask_b32_e64 v44, 0, v44, s0
	v_cmp_gt_i32_e64 s0, s27, v28
	s_wait_alu 0xf1ff
	v_cndmask_b32_e64 v5, 0, v5, s0
	s_delay_alu instid0(VALU_DEP_1)
	v_or_b32_e32 v48, v5, v44
	s_branch .LBB277_514
.LBB277_1045:
	s_or_b32 exec_lo, exec_lo, s13
.LBB277_1046:
	s_delay_alu instid0(SALU_CYCLE_1)
	s_or_b32 exec_lo, exec_lo, s6
	ds_bpermute_b32 v1, v16, v24
	ds_bpermute_b32 v2, v16, v25
	ds_bpermute_b32 v3, v16, v23
	ds_bpermute_b32 v4, v16, v22
	ds_bpermute_b32 v10, v16, v21
	ds_bpermute_b32 v14, v16, v20
	ds_bpermute_b32 v17, v16, v19
	ds_bpermute_b32 v16, v16, v18
	s_movk_i32 s0, 0x1e0
	v_cmp_eq_u32_e32 vcc_lo, 0, v12
	v_and_b32_e32 v12, 0x3c0, v0
	s_wait_alu 0xfffe
	v_mad_u32_u24 v9, v13, s0, 0x110
	s_mov_b32 s1, exec_lo
	s_wait_storecnt 0x0
	s_wait_loadcnt_dscnt 0x0
	s_barrier_signal -1
	s_barrier_wait -1
	global_inv scope:SCOPE_SE
	v_dual_add_f32 v8, v24, v1 :: v_dual_add_f32 v7, v25, v2
	v_dual_add_f32 v6, v23, v3 :: v_dual_add_f32 v5, v22, v4
	v_add_f32_e32 v4, v21, v10
	v_dual_add_f32 v3, v20, v14 :: v_dual_add_f32 v2, v19, v17
	v_add_f32_e32 v1, v18, v16
	v_cmpx_eq_u32_e32 64, v12
	s_cbranch_execz .LBB277_1051
; %bb.1047:
	v_add_nc_u32_e32 v10, 0xfffffc40, v9
	s_and_saveexec_b32 s0, vcc_lo
	s_cbranch_execz .LBB277_1049
; %bb.1048:
	s_delay_alu instid0(VALU_DEP_1)
	v_lshl_add_u32 v12, v15, 2, v10
	ds_store_2addr_b32 v12, v8, v7 offset1:16
	ds_store_2addr_b32 v12, v6, v5 offset0:32 offset1:48
	ds_store_2addr_b32 v12, v4, v3 offset0:64 offset1:80
	ds_store_b32 v12, v2 offset:384
.LBB277_1049:
	s_wait_alu 0xfffe
	s_or_b32 exec_lo, exec_lo, s0
	v_or_b32_e32 v12, 0x70, v15
	s_delay_alu instid0(VALU_DEP_1)
	v_cmp_gt_u32_e64 s0, 0x78, v12
	s_and_b32 s0, vcc_lo, s0
	s_wait_alu 0xfffe
	s_and_b32 exec_lo, exec_lo, s0
; %bb.1050:
	v_lshl_add_u32 v10, v12, 2, v10
	ds_store_b32 v10, v1
.LBB277_1051:
	s_wait_alu 0xfffe
	s_or_b32 exec_lo, exec_lo, s1
	s_delay_alu instid0(SALU_CYCLE_1)
	s_mov_b32 s1, exec_lo
	s_wait_loadcnt_dscnt 0x0
	s_barrier_signal -1
	s_barrier_wait -1
	global_inv scope:SCOPE_SE
	v_cmpx_gt_u32_e32 64, v0
	s_cbranch_execz .LBB277_1063
; %bb.1052:
	s_and_saveexec_b32 s0, vcc_lo
	s_cbranch_execnz .LBB277_1098
; %bb.1053:
	s_wait_alu 0xfffe
	s_or_b32 exec_lo, exec_lo, s0
	s_and_saveexec_b32 s0, vcc_lo
	s_cbranch_execnz .LBB277_1099
.LBB277_1054:
	s_wait_alu 0xfffe
	s_or_b32 exec_lo, exec_lo, s0
	s_and_saveexec_b32 s0, vcc_lo
	s_cbranch_execnz .LBB277_1100
.LBB277_1055:
	s_wait_alu 0xfffe
	s_or_b32 exec_lo, exec_lo, s0
	s_and_saveexec_b32 s0, vcc_lo
	s_cbranch_execnz .LBB277_1101
.LBB277_1056:
	s_wait_alu 0xfffe
	s_or_b32 exec_lo, exec_lo, s0
	s_and_saveexec_b32 s0, vcc_lo
	s_cbranch_execnz .LBB277_1102
.LBB277_1057:
	s_wait_alu 0xfffe
	s_or_b32 exec_lo, exec_lo, s0
	s_and_saveexec_b32 s0, vcc_lo
	s_cbranch_execnz .LBB277_1103
.LBB277_1058:
	s_wait_alu 0xfffe
	s_or_b32 exec_lo, exec_lo, s0
	s_and_saveexec_b32 s0, vcc_lo
	s_cbranch_execz .LBB277_1060
.LBB277_1059:
	v_lshl_add_u32 v10, v15, 2, v9
	ds_load_b32 v10, v10 offset:384
	s_wait_dscnt 0x0
	v_add_f32_e32 v2, v2, v10
.LBB277_1060:
	s_wait_alu 0xfffe
	s_or_b32 exec_lo, exec_lo, s0
	v_or_b32_e32 v10, 0x70, v15
	s_delay_alu instid0(VALU_DEP_1)
	v_cmp_gt_u32_e64 s0, 0x78, v10
	s_and_b32 s2, vcc_lo, s0
	s_wait_alu 0xfffe
	s_and_saveexec_b32 s0, s2
	s_cbranch_execz .LBB277_1062
; %bb.1061:
	v_lshl_add_u32 v10, v15, 2, v9
	ds_load_b32 v10, v10 offset:448
	s_wait_dscnt 0x0
	v_add_f32_e32 v1, v1, v10
.LBB277_1062:
	s_wait_alu 0xfffe
	s_or_b32 exec_lo, exec_lo, s0
.LBB277_1063:
	s_wait_alu 0xfffe
	s_or_b32 exec_lo, exec_lo, s1
	v_and_b32_e32 v10, 0x3e0, v0
	s_mov_b32 s1, exec_lo
	s_wait_loadcnt 0x0
	s_barrier_signal -1
	s_barrier_wait -1
	global_inv scope:SCOPE_SE
	v_cmpx_eq_u32_e32 32, v10
	s_cbranch_execz .LBB277_1068
; %bb.1064:
	v_lshl_add_u32 v10, v15, 2, 0x110
	s_and_saveexec_b32 s0, vcc_lo
	s_cbranch_execz .LBB277_1066
; %bb.1065:
	ds_store_2addr_b32 v10, v8, v7 offset1:16
	ds_store_2addr_b32 v10, v6, v5 offset0:32 offset1:48
	ds_store_2addr_b32 v10, v4, v3 offset0:64 offset1:80
	ds_store_b32 v10, v2 offset:384
.LBB277_1066:
	s_wait_alu 0xfffe
	s_or_b32 exec_lo, exec_lo, s0
	v_or_b32_e32 v12, 0x70, v15
	s_delay_alu instid0(VALU_DEP_1)
	v_cmp_gt_u32_e64 s0, 0x78, v12
	s_and_b32 s0, vcc_lo, s0
	s_wait_alu 0xfffe
	s_and_b32 exec_lo, exec_lo, s0
; %bb.1067:
	ds_store_b32 v10, v1 offset:448
.LBB277_1068:
	s_wait_alu 0xfffe
	s_or_b32 exec_lo, exec_lo, s1
	v_cmp_gt_u32_e64 s0, 32, v0
	s_wait_loadcnt_dscnt 0x0
	s_barrier_signal -1
	s_barrier_wait -1
	global_inv scope:SCOPE_SE
	s_and_saveexec_b32 s2, s0
	s_cbranch_execz .LBB277_1080
; %bb.1069:
	v_lshl_add_u32 v0, v15, 2, v9
	s_and_saveexec_b32 s1, vcc_lo
	s_cbranch_execnz .LBB277_1104
; %bb.1070:
	s_wait_alu 0xfffe
	s_or_b32 exec_lo, exec_lo, s1
	s_and_saveexec_b32 s1, vcc_lo
	s_cbranch_execnz .LBB277_1105
.LBB277_1071:
	s_wait_alu 0xfffe
	s_or_b32 exec_lo, exec_lo, s1
	s_and_saveexec_b32 s1, vcc_lo
	s_cbranch_execnz .LBB277_1106
.LBB277_1072:
	s_wait_alu 0xfffe
	s_or_b32 exec_lo, exec_lo, s1
	s_and_saveexec_b32 s1, vcc_lo
	s_cbranch_execnz .LBB277_1107
.LBB277_1073:
	s_wait_alu 0xfffe
	s_or_b32 exec_lo, exec_lo, s1
	s_and_saveexec_b32 s1, vcc_lo
	s_cbranch_execnz .LBB277_1108
.LBB277_1074:
	s_wait_alu 0xfffe
	s_or_b32 exec_lo, exec_lo, s1
	s_and_saveexec_b32 s1, vcc_lo
	s_cbranch_execnz .LBB277_1109
.LBB277_1075:
	s_wait_alu 0xfffe
	s_or_b32 exec_lo, exec_lo, s1
	s_and_saveexec_b32 s1, vcc_lo
	s_cbranch_execz .LBB277_1077
.LBB277_1076:
	ds_load_b32 v9, v0 offset:384
	s_wait_dscnt 0x0
	v_add_f32_e32 v2, v2, v9
.LBB277_1077:
	s_wait_alu 0xfffe
	s_or_b32 exec_lo, exec_lo, s1
	v_or_b32_e32 v9, 0x70, v15
	s_delay_alu instid0(VALU_DEP_1)
	v_cmp_gt_u32_e64 s1, 0x78, v9
	s_and_b32 s3, vcc_lo, s1
	s_wait_alu 0xfffe
	s_and_saveexec_b32 s1, s3
	s_cbranch_execz .LBB277_1079
; %bb.1078:
	ds_load_b32 v0, v0 offset:448
	s_wait_dscnt 0x0
	v_add_f32_e32 v1, v1, v0
.LBB277_1079:
	s_wait_alu 0xfffe
	s_or_b32 exec_lo, exec_lo, s1
.LBB277_1080:
	s_wait_alu 0xfffe
	s_or_b32 exec_lo, exec_lo, s2
	s_wait_loadcnt 0x0
	s_barrier_signal -1
	s_barrier_wait -1
	global_inv scope:SCOPE_SE
	s_and_saveexec_b32 s1, s0
	s_cbranch_execz .LBB277_1097
; %bb.1081:
	s_mul_i32 s0, s14, 0x78
	s_mul_i32 s2, s12, s16
	s_wait_alu 0xfffe
	s_ashr_i32 s1, s0, 31
	s_ashr_i32 s3, s2, 31
	s_wait_alu 0xfffe
	s_lshl_b64 s[0:1], s[0:1], 1
	s_lshl_b64 s[2:3], s[2:3], 1
	s_wait_kmcnt 0x0
	s_wait_alu 0xfffe
	s_add_nc_u64 s[0:1], s[8:9], s[0:1]
	v_lshlrev_b32_e32 v0, 1, v11
	s_mul_i32 s4, s26, 0xf0
	s_wait_alu 0xfffe
	s_add_nc_u64 s[0:1], s[0:1], s[2:3]
	s_mov_b32 s5, 0
	s_wait_alu 0xfffe
	s_add_nc_u64 s[2:3], s[0:1], s[4:5]
	s_and_saveexec_b32 s0, vcc_lo
	s_cbranch_execz .LBB277_1083
; %bb.1082:
	;;#ASMSTART
	v_cvt_f16_f32 v8, v8;

	;;#ASMEND
	global_store_b16 v0, v8, s[2:3]
.LBB277_1083:
	s_wait_alu 0xfffe
	s_or_b32 exec_lo, exec_lo, s0
	v_or_b32_e32 v8, 16, v11
	s_delay_alu instid0(VALU_DEP_1)
	v_cmp_gt_u32_e64 s0, 0x78, v8
	s_and_b32 s1, vcc_lo, s0
	s_wait_alu 0xfffe
	s_and_saveexec_b32 s0, s1
	s_cbranch_execz .LBB277_1085
; %bb.1084:
	;;#ASMSTART
	v_cvt_f16_f32 v7, v7;

	;;#ASMEND
	global_store_b16 v0, v7, s[2:3] offset:32
.LBB277_1085:
	s_wait_alu 0xfffe
	s_or_b32 exec_lo, exec_lo, s0
	v_or_b32_e32 v7, 32, v11
	s_delay_alu instid0(VALU_DEP_1)
	v_cmp_gt_u32_e64 s0, 0x78, v7
	s_and_b32 s1, vcc_lo, s0
	s_wait_alu 0xfffe
	s_and_saveexec_b32 s0, s1
	s_cbranch_execz .LBB277_1087
; %bb.1086:
	;;#ASMSTART
	v_cvt_f16_f32 v6, v6;

	;;#ASMEND
	global_store_b16 v0, v6, s[2:3] offset:64
.LBB277_1087:
	;; [unrolled: 16-line block ×6, first 2 shown]
	s_wait_alu 0xfffe
	s_or_b32 exec_lo, exec_lo, s0
	v_or_b32_e32 v2, 0x70, v11
	s_delay_alu instid0(VALU_DEP_1)
	v_cmp_gt_u32_e64 s0, 0x78, v2
	s_and_b32 s0, vcc_lo, s0
	s_wait_alu 0xfffe
	s_and_b32 exec_lo, exec_lo, s0
	s_cbranch_execz .LBB277_1097
; %bb.1096:
	;;#ASMSTART
	v_cvt_f16_f32 v1, v1;

	;;#ASMEND
	global_store_b16 v0, v1, s[2:3] offset:224
.LBB277_1097:
	s_nop 0
	s_sendmsg sendmsg(MSG_DEALLOC_VGPRS)
	s_endpgm
.LBB277_1098:
	v_lshl_add_u32 v10, v15, 2, v9
	ds_load_b32 v10, v10
	s_wait_dscnt 0x0
	v_add_f32_e32 v8, v8, v10
	s_wait_alu 0xfffe
	s_or_b32 exec_lo, exec_lo, s0
	s_and_saveexec_b32 s0, vcc_lo
	s_cbranch_execz .LBB277_1054
.LBB277_1099:
	v_lshl_add_u32 v10, v15, 2, v9
	ds_load_b32 v10, v10 offset:64
	s_wait_dscnt 0x0
	v_add_f32_e32 v7, v7, v10
	s_wait_alu 0xfffe
	s_or_b32 exec_lo, exec_lo, s0
	s_and_saveexec_b32 s0, vcc_lo
	s_cbranch_execz .LBB277_1055
.LBB277_1100:
	v_lshl_add_u32 v10, v15, 2, v9
	ds_load_b32 v10, v10 offset:128
	s_wait_dscnt 0x0
	v_add_f32_e32 v6, v6, v10
	s_wait_alu 0xfffe
	s_or_b32 exec_lo, exec_lo, s0
	s_and_saveexec_b32 s0, vcc_lo
	s_cbranch_execz .LBB277_1056
.LBB277_1101:
	v_lshl_add_u32 v10, v15, 2, v9
	ds_load_b32 v10, v10 offset:192
	s_wait_dscnt 0x0
	v_add_f32_e32 v5, v5, v10
	s_wait_alu 0xfffe
	s_or_b32 exec_lo, exec_lo, s0
	s_and_saveexec_b32 s0, vcc_lo
	s_cbranch_execz .LBB277_1057
.LBB277_1102:
	v_lshl_add_u32 v10, v15, 2, v9
	ds_load_b32 v10, v10 offset:256
	s_wait_dscnt 0x0
	v_add_f32_e32 v4, v4, v10
	s_wait_alu 0xfffe
	s_or_b32 exec_lo, exec_lo, s0
	s_and_saveexec_b32 s0, vcc_lo
	s_cbranch_execz .LBB277_1058
.LBB277_1103:
	v_lshl_add_u32 v10, v15, 2, v9
	ds_load_b32 v10, v10 offset:320
	s_wait_dscnt 0x0
	v_add_f32_e32 v3, v3, v10
	s_wait_alu 0xfffe
	s_or_b32 exec_lo, exec_lo, s0
	s_and_saveexec_b32 s0, vcc_lo
	s_cbranch_execnz .LBB277_1059
	s_branch .LBB277_1060
.LBB277_1104:
	ds_load_b32 v9, v0
	s_wait_dscnt 0x0
	v_add_f32_e32 v8, v8, v9
	s_wait_alu 0xfffe
	s_or_b32 exec_lo, exec_lo, s1
	s_and_saveexec_b32 s1, vcc_lo
	s_cbranch_execz .LBB277_1071
.LBB277_1105:
	ds_load_b32 v9, v0 offset:64
	s_wait_dscnt 0x0
	v_add_f32_e32 v7, v7, v9
	s_wait_alu 0xfffe
	s_or_b32 exec_lo, exec_lo, s1
	s_and_saveexec_b32 s1, vcc_lo
	s_cbranch_execz .LBB277_1072
.LBB277_1106:
	ds_load_b32 v9, v0 offset:128
	s_wait_dscnt 0x0
	v_add_f32_e32 v6, v6, v9
	s_wait_alu 0xfffe
	s_or_b32 exec_lo, exec_lo, s1
	s_and_saveexec_b32 s1, vcc_lo
	s_cbranch_execz .LBB277_1073
.LBB277_1107:
	ds_load_b32 v9, v0 offset:192
	s_wait_dscnt 0x0
	v_add_f32_e32 v5, v5, v9
	s_wait_alu 0xfffe
	s_or_b32 exec_lo, exec_lo, s1
	s_and_saveexec_b32 s1, vcc_lo
	s_cbranch_execz .LBB277_1074
.LBB277_1108:
	ds_load_b32 v9, v0 offset:256
	s_wait_dscnt 0x0
	v_add_f32_e32 v4, v4, v9
	s_wait_alu 0xfffe
	s_or_b32 exec_lo, exec_lo, s1
	s_and_saveexec_b32 s1, vcc_lo
	s_cbranch_execz .LBB277_1075
.LBB277_1109:
	ds_load_b32 v9, v0 offset:320
	s_wait_dscnt 0x0
	v_add_f32_e32 v3, v3, v9
	s_wait_alu 0xfffe
	s_or_b32 exec_lo, exec_lo, s1
	s_and_saveexec_b32 s1, vcc_lo
	s_cbranch_execnz .LBB277_1076
	s_branch .LBB277_1077
	.section	.rodata,"a",@progbits
	.p2align	6, 0x0
	.amdhsa_kernel _ZN4vllm25paged_attention_v2_kernelIthLi120ELi16ELi128ELNS_18Fp8KVCacheDataTypeE1ELb0ELi512EEEvPfS2_PT_PKS3_PKT0_S9_ifPKiSB_iPKfiiiSD_SD_iiiii
		.amdhsa_group_segment_fixed_size 272
		.amdhsa_private_segment_fixed_size 0
		.amdhsa_kernarg_size 400
		.amdhsa_user_sgpr_count 2
		.amdhsa_user_sgpr_dispatch_ptr 0
		.amdhsa_user_sgpr_queue_ptr 0
		.amdhsa_user_sgpr_kernarg_segment_ptr 1
		.amdhsa_user_sgpr_dispatch_id 0
		.amdhsa_user_sgpr_private_segment_size 0
		.amdhsa_wavefront_size32 1
		.amdhsa_uses_dynamic_stack 0
		.amdhsa_enable_private_segment 0
		.amdhsa_system_sgpr_workgroup_id_x 1
		.amdhsa_system_sgpr_workgroup_id_y 1
		.amdhsa_system_sgpr_workgroup_id_z 1
		.amdhsa_system_sgpr_workgroup_info 0
		.amdhsa_system_vgpr_workitem_id 0
		.amdhsa_next_free_vgpr 130
		.amdhsa_next_free_sgpr 36
		.amdhsa_reserve_vcc 1
		.amdhsa_float_round_mode_32 0
		.amdhsa_float_round_mode_16_64 0
		.amdhsa_float_denorm_mode_32 3
		.amdhsa_float_denorm_mode_16_64 3
		.amdhsa_fp16_overflow 0
		.amdhsa_workgroup_processor_mode 1
		.amdhsa_memory_ordered 1
		.amdhsa_forward_progress 1
		.amdhsa_inst_pref_size 255
		.amdhsa_round_robin_scheduling 0
		.amdhsa_exception_fp_ieee_invalid_op 0
		.amdhsa_exception_fp_denorm_src 0
		.amdhsa_exception_fp_ieee_div_zero 0
		.amdhsa_exception_fp_ieee_overflow 0
		.amdhsa_exception_fp_ieee_underflow 0
		.amdhsa_exception_fp_ieee_inexact 0
		.amdhsa_exception_int_div_zero 0
	.end_amdhsa_kernel
	.section	.text._ZN4vllm25paged_attention_v2_kernelIthLi120ELi16ELi128ELNS_18Fp8KVCacheDataTypeE1ELb0ELi512EEEvPfS2_PT_PKS3_PKT0_S9_ifPKiSB_iPKfiiiSD_SD_iiiii,"axG",@progbits,_ZN4vllm25paged_attention_v2_kernelIthLi120ELi16ELi128ELNS_18Fp8KVCacheDataTypeE1ELb0ELi512EEEvPfS2_PT_PKS3_PKT0_S9_ifPKiSB_iPKfiiiSD_SD_iiiii,comdat
.Lfunc_end277:
	.size	_ZN4vllm25paged_attention_v2_kernelIthLi120ELi16ELi128ELNS_18Fp8KVCacheDataTypeE1ELb0ELi512EEEvPfS2_PT_PKS3_PKT0_S9_ifPKiSB_iPKfiiiSD_SD_iiiii, .Lfunc_end277-_ZN4vllm25paged_attention_v2_kernelIthLi120ELi16ELi128ELNS_18Fp8KVCacheDataTypeE1ELb0ELi512EEEvPfS2_PT_PKS3_PKT0_S9_ifPKiSB_iPKfiiiSD_SD_iiiii
                                        ; -- End function
	.set _ZN4vllm25paged_attention_v2_kernelIthLi120ELi16ELi128ELNS_18Fp8KVCacheDataTypeE1ELb0ELi512EEEvPfS2_PT_PKS3_PKT0_S9_ifPKiSB_iPKfiiiSD_SD_iiiii.num_vgpr, 130
	.set _ZN4vllm25paged_attention_v2_kernelIthLi120ELi16ELi128ELNS_18Fp8KVCacheDataTypeE1ELb0ELi512EEEvPfS2_PT_PKS3_PKT0_S9_ifPKiSB_iPKfiiiSD_SD_iiiii.num_agpr, 0
	.set _ZN4vllm25paged_attention_v2_kernelIthLi120ELi16ELi128ELNS_18Fp8KVCacheDataTypeE1ELb0ELi512EEEvPfS2_PT_PKS3_PKT0_S9_ifPKiSB_iPKfiiiSD_SD_iiiii.numbered_sgpr, 36
	.set _ZN4vllm25paged_attention_v2_kernelIthLi120ELi16ELi128ELNS_18Fp8KVCacheDataTypeE1ELb0ELi512EEEvPfS2_PT_PKS3_PKT0_S9_ifPKiSB_iPKfiiiSD_SD_iiiii.num_named_barrier, 0
	.set _ZN4vllm25paged_attention_v2_kernelIthLi120ELi16ELi128ELNS_18Fp8KVCacheDataTypeE1ELb0ELi512EEEvPfS2_PT_PKS3_PKT0_S9_ifPKiSB_iPKfiiiSD_SD_iiiii.private_seg_size, 0
	.set _ZN4vllm25paged_attention_v2_kernelIthLi120ELi16ELi128ELNS_18Fp8KVCacheDataTypeE1ELb0ELi512EEEvPfS2_PT_PKS3_PKT0_S9_ifPKiSB_iPKfiiiSD_SD_iiiii.uses_vcc, 1
	.set _ZN4vllm25paged_attention_v2_kernelIthLi120ELi16ELi128ELNS_18Fp8KVCacheDataTypeE1ELb0ELi512EEEvPfS2_PT_PKS3_PKT0_S9_ifPKiSB_iPKfiiiSD_SD_iiiii.uses_flat_scratch, 0
	.set _ZN4vllm25paged_attention_v2_kernelIthLi120ELi16ELi128ELNS_18Fp8KVCacheDataTypeE1ELb0ELi512EEEvPfS2_PT_PKS3_PKT0_S9_ifPKiSB_iPKfiiiSD_SD_iiiii.has_dyn_sized_stack, 0
	.set _ZN4vllm25paged_attention_v2_kernelIthLi120ELi16ELi128ELNS_18Fp8KVCacheDataTypeE1ELb0ELi512EEEvPfS2_PT_PKS3_PKT0_S9_ifPKiSB_iPKfiiiSD_SD_iiiii.has_recursion, 0
	.set _ZN4vllm25paged_attention_v2_kernelIthLi120ELi16ELi128ELNS_18Fp8KVCacheDataTypeE1ELb0ELi512EEEvPfS2_PT_PKS3_PKT0_S9_ifPKiSB_iPKfiiiSD_SD_iiiii.has_indirect_call, 0
	.section	.AMDGPU.csdata,"",@progbits
; Kernel info:
; codeLenInByte = 37732
; TotalNumSgprs: 38
; NumVgprs: 130
; ScratchSize: 0
; MemoryBound: 0
; FloatMode: 240
; IeeeMode: 1
; LDSByteSize: 272 bytes/workgroup (compile time only)
; SGPRBlocks: 0
; VGPRBlocks: 16
; NumSGPRsForWavesPerEU: 38
; NumVGPRsForWavesPerEU: 130
; Occupancy: 10
; WaveLimiterHint : 1
; COMPUTE_PGM_RSRC2:SCRATCH_EN: 0
; COMPUTE_PGM_RSRC2:USER_SGPR: 2
; COMPUTE_PGM_RSRC2:TRAP_HANDLER: 0
; COMPUTE_PGM_RSRC2:TGID_X_EN: 1
; COMPUTE_PGM_RSRC2:TGID_Y_EN: 1
; COMPUTE_PGM_RSRC2:TGID_Z_EN: 1
; COMPUTE_PGM_RSRC2:TIDIG_COMP_CNT: 0
	.section	.text._ZN4vllm25paged_attention_v2_kernelIthLi128ELi16ELi128ELNS_18Fp8KVCacheDataTypeE1ELb0ELi512EEEvPfS2_PT_PKS3_PKT0_S9_ifPKiSB_iPKfiiiSD_SD_iiiii,"axG",@progbits,_ZN4vllm25paged_attention_v2_kernelIthLi128ELi16ELi128ELNS_18Fp8KVCacheDataTypeE1ELb0ELi512EEEvPfS2_PT_PKS3_PKT0_S9_ifPKiSB_iPKfiiiSD_SD_iiiii,comdat
	.protected	_ZN4vllm25paged_attention_v2_kernelIthLi128ELi16ELi128ELNS_18Fp8KVCacheDataTypeE1ELb0ELi512EEEvPfS2_PT_PKS3_PKT0_S9_ifPKiSB_iPKfiiiSD_SD_iiiii ; -- Begin function _ZN4vllm25paged_attention_v2_kernelIthLi128ELi16ELi128ELNS_18Fp8KVCacheDataTypeE1ELb0ELi512EEEvPfS2_PT_PKS3_PKT0_S9_ifPKiSB_iPKfiiiSD_SD_iiiii
	.globl	_ZN4vllm25paged_attention_v2_kernelIthLi128ELi16ELi128ELNS_18Fp8KVCacheDataTypeE1ELb0ELi512EEEvPfS2_PT_PKS3_PKT0_S9_ifPKiSB_iPKfiiiSD_SD_iiiii
	.p2align	8
	.type	_ZN4vllm25paged_attention_v2_kernelIthLi128ELi16ELi128ELNS_18Fp8KVCacheDataTypeE1ELb0ELi512EEEvPfS2_PT_PKS3_PKT0_S9_ifPKiSB_iPKfiiiSD_SD_iiiii,@function
_ZN4vllm25paged_attention_v2_kernelIthLi128ELi16ELi128ELNS_18Fp8KVCacheDataTypeE1ELb0ELi512EEEvPfS2_PT_PKS3_PKT0_S9_ifPKiSB_iPKfiiiSD_SD_iiiii: ; @_ZN4vllm25paged_attention_v2_kernelIthLi128ELi16ELi128ELNS_18Fp8KVCacheDataTypeE1ELb0ELi512EEEvPfS2_PT_PKS3_PKT0_S9_ifPKiSB_iPKfiiiSD_SD_iiiii
; %bb.0:
	s_load_b64 s[2:3], s[0:1], 0x40
	s_and_b32 s29, ttmp7, 0xffff
	s_lshr_b32 s26, ttmp7, 16
	s_lshl_b32 s4, s29, 2
	s_lshl_b32 s28, s26, 9
	s_wait_kmcnt 0x0
	s_load_b32 s27, s[2:3], s4 offset:0x0
	s_wait_kmcnt 0x0
	s_cmp_ge_i32 s28, s27
	s_cbranch_scc1 .LBB278_1102
; %bb.1:
	s_clause 0x1
	s_load_b32 s30, s[0:1], 0x90
	s_load_b64 s[6:7], s[0:1], 0x30
	s_wait_kmcnt 0x0
	s_abs_i32 s5, s30
	s_abs_i32 s2, s6
	s_delay_alu instid0(SALU_CYCLE_1) | instskip(SKIP_1) | instid1(SALU_CYCLE_2)
	s_cvt_f32_u32 s3, s2
	s_sub_co_i32 s4, 0, s2
	v_rcp_iflag_f32_e32 v1, s3
	s_delay_alu instid0(TRANS32_DEP_1) | instskip(SKIP_2) | instid1(SALU_CYCLE_2)
	v_readfirstlane_b32 s3, v1
	s_mul_f32 s3, s3, 0x4f7ffffe
	s_wait_alu 0xfffe
	s_cvt_u32_f32 s3, s3
	s_wait_alu 0xfffe
	s_delay_alu instid0(SALU_CYCLE_2) | instskip(NEXT) | instid1(SALU_CYCLE_1)
	s_mul_i32 s4, s4, s3
	s_mul_hi_u32 s4, s3, s4
	s_delay_alu instid0(SALU_CYCLE_1)
	s_add_co_i32 s3, s3, s4
	s_xor_b32 s4, s30, s6
	s_wait_alu 0xfffe
	s_mul_hi_u32 s3, s5, s3
	s_ashr_i32 s4, s4, 31
	s_wait_alu 0xfffe
	s_mul_i32 s6, s3, s2
	s_delay_alu instid0(SALU_CYCLE_1)
	s_sub_co_i32 s5, s5, s6
	s_add_co_i32 s6, s3, 1
	s_sub_co_i32 s8, s5, s2
	s_cmp_ge_u32 s5, s2
	s_cselect_b32 s3, s6, s3
	s_cselect_b32 s5, s8, s5
	s_wait_alu 0xfffe
	s_add_co_i32 s6, s3, 1
	s_cmp_ge_u32 s5, s2
	s_load_b64 s[8:9], s[0:1], 0x50
	s_cselect_b32 s2, s6, s3
	s_mov_b32 s5, 0
	s_wait_alu 0xfffe
	s_xor_b32 s2, s2, s4
	s_mov_b32 s12, s5
	s_wait_alu 0xfffe
	s_sub_co_i32 s10, s2, s4
	s_abs_i32 s4, ttmp9
	s_abs_i32 s6, s10
	s_delay_alu instid0(SALU_CYCLE_1) | instskip(SKIP_2) | instid1(SALU_CYCLE_1)
	s_cvt_f32_u32 s2, s6
	s_sub_co_i32 s3, 0, s6
	s_wait_alu 0xfffe
	v_rcp_iflag_f32_e32 v1, s2
	s_delay_alu instid0(TRANS32_DEP_1) | instskip(SKIP_2) | instid1(SALU_CYCLE_2)
	v_readfirstlane_b32 s2, v1
	s_mul_f32 s2, s2, 0x4f7ffffe
	s_wait_alu 0xfffe
	s_cvt_u32_f32 s2, s2
	s_wait_alu 0xfffe
	s_delay_alu instid0(SALU_CYCLE_2)
	s_mul_i32 s3, s3, s2
	s_wait_alu 0xfffe
	s_mul_hi_u32 s3, s2, s3
	s_wait_alu 0xfffe
	s_add_co_i32 s2, s2, s3
	s_mov_b32 s3, s5
	s_wait_kmcnt 0x0
	s_cmp_eq_u64 s[8:9], 0
	s_cbranch_scc1 .LBB278_3
; %bb.2:
	s_mov_b32 s12, ttmp9
	s_ashr_i32 s13, ttmp9, 31
	s_delay_alu instid0(SALU_CYCLE_1) | instskip(NEXT) | instid1(SALU_CYCLE_1)
	s_lshl_b64 s[12:13], s[12:13], 2
	s_add_nc_u64 s[8:9], s[8:9], s[12:13]
	s_load_b32 s12, s[8:9], 0x0
.LBB278_3:
	s_load_b96 s[16:18], s[0:1], 0x58
	s_mul_u64 s[2:3], s[4:5], s[2:3]
	v_lshrrev_b32_e32 v11, 1, v0
	v_and_b32_e32 v12, 1, v0
	v_cmp_gt_u32_e64 s2, 32, v0
	v_lshlrev_b32_e32 v10, 3, v0
	s_ashr_i32 s5, ttmp9, 31
	s_ashr_i32 s8, s10, 31
	s_lshl_b32 s20, ttmp9, 7
	s_wait_alu 0xfffe
	s_and_saveexec_b32 s9, s2
	s_cbranch_execz .LBB278_5
; %bb.4:
	s_load_b64 s[10:11], s[0:1], 0x18
	s_wait_kmcnt 0x0
	s_mul_i32 s14, s16, s29
	s_ashr_i32 s21, s20, 31
	s_ashr_i32 s15, s14, 31
	v_lshlrev_b32_e32 v3, 3, v11
	s_lshl_b64 s[14:15], s[14:15], 1
	s_delay_alu instid0(VALU_DEP_1) | instskip(SKIP_2) | instid1(SALU_CYCLE_1)
	v_lshl_add_u32 v3, v12, 7, v3
	s_add_nc_u64 s[10:11], s[10:11], s[14:15]
	s_lshl_b64 s[14:15], s[20:21], 1
	s_add_nc_u64 s[10:11], s[10:11], s[14:15]
	global_load_b64 v[1:2], v10, s[10:11]
	s_wait_loadcnt 0x0
	ds_store_b64 v3, v[1:2]
.LBB278_5:
	s_or_b32 exec_lo, exec_lo, s9
	s_add_co_i32 s9, s27, 15
	s_xor_b32 s5, s5, s8
	s_ashr_i32 s10, s9, 31
	s_lshl_b32 s33, s26, 5
	s_lshr_b32 s8, s10, 28
	s_mul_i32 s10, s3, s6
	s_add_co_i32 s9, s9, s8
	s_add_co_i32 s8, s33, 32
	s_ashr_i32 s31, s9, 4
	s_load_b32 s9, s[0:1], 0x48
	s_sub_co_i32 s4, s4, s10
	s_min_i32 s21, s8, s31
	s_add_co_i32 s8, s3, 1
	s_sub_co_i32 s10, s4, s6
	s_cmp_ge_u32 s4, s6
	v_lshrrev_b32_e32 v13, 5, v0
	s_cselect_b32 s3, s8, s3
	s_cselect_b32 s4, s10, s4
	s_wait_alu 0xfffe
	s_add_co_i32 s8, s3, 1
	s_cmp_ge_u32 s4, s6
	v_or_b32_e32 v14, s33, v13
	s_cselect_b32 s3, s8, s3
	v_mbcnt_lo_u32_b32 v16, -1, 0
	s_wait_alu 0xfffe
	s_xor_b32 s3, s3, s5
	s_wait_dscnt 0x0
	s_wait_alu 0xfffe
	s_sub_co_i32 s4, s3, s5
	v_cmp_gt_i32_e64 s3, s21, v14
	s_mov_b32 s5, exec_lo
	s_barrier_signal -1
	s_wait_kmcnt 0x0
	s_mul_i32 s22, s9, s29
	s_barrier_wait -1
	s_ashr_i32 s23, s22, 31
	global_inv scope:SCOPE_SE
                                        ; implicit-def: $vgpr2
                                        ; implicit-def: $vgpr17
	v_cmpx_le_i32_e64 s21, v14
	s_xor_b32 s5, exec_lo, s5
; %bb.6:
	v_dual_mov_b32 v2, 0 :: v_dual_mov_b32 v17, 32
	v_mbcnt_lo_u32_b32 v16, -1, 0
; %bb.7:
	s_or_saveexec_b32 s13, s5
	s_clause 0x2
	s_load_b32 s16, s[0:1], 0x98
	s_load_b64 s[24:25], s[0:1], 0x38
	s_load_b128 s[8:11], s[0:1], 0x68
	v_dual_mov_b32 v18, 0xff7fffff :: v_dual_lshlrev_b32 v15, 2, v14
	s_mul_i32 s18, s4, s18
	s_xor_b32 exec_lo, exec_lo, s13
	s_cbranch_execz .LBB278_525
; %bb.8:
	s_load_b64 s[14:15], s[0:1], 0x20
	v_bfe_u32 v1, v0, 1, 4
	v_dual_mov_b32 v17, 32 :: v_dual_lshlrev_b32 v4, 4, v13
	s_ashr_i32 s19, s18, 31
	s_cmp_neq_f32 s12, 0
	s_delay_alu instid0(VALU_DEP_2)
	v_dual_mov_b32 v22, v14 :: v_dual_lshlrev_b32 v5, 4, v1
	v_lshlrev_b32_e32 v6, 2, v1
	v_dual_mov_b32 v2, 0 :: v_dual_lshlrev_b32 v3, 2, v12
	v_add3_u32 v20, s28, v4, v1
	s_cselect_b32 s4, -1, 0
	s_lshl_b64 s[34:35], s[22:23], 2
	v_lshl_or_b32 v1, v13, 6, v6
	s_wait_kmcnt 0x0
	s_add_nc_u64 s[34:35], s[24:25], s[34:35]
	v_dual_mov_b32 v18, 0xff7fffff :: v_dual_lshlrev_b32 v19, 7, v12
	v_cmp_eq_u32_e32 vcc_lo, 0, v12
	v_add_nc_u32_e32 v21, 0x120, v1
	s_add_nc_u64 s[14:15], s[14:15], s[18:19]
	s_sub_co_i32 s19, 1, s27
	v_add_co_u32 v4, s5, s14, v5
	s_delay_alu instid0(VALU_DEP_1)
	v_add_co_ci_u32_e64 v5, null, s15, 0, s5
	s_mov_b32 s15, s17
	v_add_co_u32 v3, s5, v4, v3
	s_wait_alu 0xf1ff
	v_add_co_ci_u32_e64 v4, null, 0, v5, s5
	v_add_co_u32 v5, s5, s34, v15
	s_wait_alu 0xf1ff
	v_add_co_ci_u32_e64 v6, null, s35, 0, s5
	s_mov_b32 s14, 0
	s_branch .LBB278_10
.LBB278_9:                              ;   in Loop: Header=BB278_10 Depth=1
	s_wait_alu 0xfffe
	s_or_b32 exec_lo, exec_lo, s6
	v_add_nc_u32_e32 v22, 4, v22
	v_add_co_u32 v5, s6, v5, 16
	v_add_nc_u32_e32 v20, 64, v20
	v_add_nc_u32_e32 v21, 0x100, v21
	s_delay_alu instid0(VALU_DEP_4)
	v_cmp_le_i32_e64 s5, s21, v22
	s_wait_alu 0xf1ff
	v_add_co_ci_u32_e64 v6, null, 0, v6, s6
	s_or_b32 s14, s5, s14
	s_wait_alu 0xfffe
	s_and_not1_b32 exec_lo, exec_lo, s14
	s_cbranch_execz .LBB278_524
.LBB278_10:                             ; =>This Inner Loop Header: Depth=1
	global_load_b32 v1, v[5:6], off
	v_mov_b32_e32 v25, 0
	s_mov_b32 s6, exec_lo
	s_wait_loadcnt_dscnt 0x0
	s_wait_alu 0xfffe
	v_mad_co_i64_i32 v[7:8], null, v1, s15, v[3:4]
	global_load_b32 v9, v[7:8], off
	s_wait_loadcnt 0x0
	v_dual_mov_b32 v24, 0 :: v_dual_and_b32 v1, 0xff, v9
	global_load_b32 v23, v24, s[8:9]
	v_cmpx_ne_u16_e32 0, v1
	s_cbranch_execz .LBB278_18
; %bb.11:                               ;   in Loop: Header=BB278_10 Depth=1
	v_mov_b32_e32 v25, 0x8000
	s_mov_b32 s34, exec_lo
	v_cmpx_ne_u16_e32 0x80, v1
	s_cbranch_execz .LBB278_17
; %bb.12:                               ;   in Loop: Header=BB278_10 Depth=1
	v_and_b32_e32 v26, 0x7f, v9
	v_mov_b32_e32 v25, 0x7c01
	s_mov_b32 s35, exec_lo
	s_delay_alu instid0(VALU_DEP_2)
	v_cmpx_ne_u32_e32 0x7f, v26
	s_cbranch_execz .LBB278_16
; %bb.13:                               ;   in Loop: Header=BB278_10 Depth=1
	v_and_b32_e32 v1, 7, v9
	v_lshrrev_b32_e32 v25, 3, v26
	s_mov_b32 s36, exec_lo
	v_cmpx_gt_u32_e32 8, v26
; %bb.14:                               ;   in Loop: Header=BB278_10 Depth=1
	s_delay_alu instid0(VALU_DEP_3) | instskip(NEXT) | instid1(VALU_DEP_1)
	v_clz_i32_u32_e32 v1, v1
	v_min_u32_e32 v1, 32, v1
	s_delay_alu instid0(VALU_DEP_1) | instskip(NEXT) | instid1(VALU_DEP_1)
	v_subrev_nc_u32_e32 v25, 28, v1
	v_lshlrev_b64_e32 v[26:27], v25, v[9:10]
	v_sub_nc_u32_e32 v25, 29, v1
	s_delay_alu instid0(VALU_DEP_2)
	v_and_b32_e32 v1, 7, v26
; %bb.15:                               ;   in Loop: Header=BB278_10 Depth=1
	s_or_b32 exec_lo, exec_lo, s36
	v_lshlrev_b32_e32 v26, 8, v9
	s_delay_alu instid0(VALU_DEP_3) | instskip(NEXT) | instid1(VALU_DEP_3)
	v_lshl_add_u32 v25, v25, 10, 0x2000
	v_lshlrev_b32_e32 v1, 7, v1
	s_delay_alu instid0(VALU_DEP_3) | instskip(NEXT) | instid1(VALU_DEP_3)
	v_and_b32_e32 v26, 0x8000, v26
	v_and_b32_e32 v25, 0xfc00, v25
	s_delay_alu instid0(VALU_DEP_1)
	v_or3_b32 v25, v26, v25, v1
.LBB278_16:                             ;   in Loop: Header=BB278_10 Depth=1
	s_wait_alu 0xfffe
	s_or_b32 exec_lo, exec_lo, s35
.LBB278_17:                             ;   in Loop: Header=BB278_10 Depth=1
	s_wait_alu 0xfffe
	s_or_b32 exec_lo, exec_lo, s34
.LBB278_18:                             ;   in Loop: Header=BB278_10 Depth=1
	s_delay_alu instid0(SALU_CYCLE_1) | instskip(SKIP_2) | instid1(VALU_DEP_1)
	s_or_b32 exec_lo, exec_lo, s6
	v_lshrrev_b16 v1, 8, v9
	s_mov_b32 s6, exec_lo
	v_cmpx_ne_u16_e32 0, v1
	s_cbranch_execz .LBB278_26
; %bb.19:                               ;   in Loop: Header=BB278_10 Depth=1
	v_bfrev_b32_e32 v24, 1
	s_mov_b32 s34, exec_lo
	v_cmpx_ne_u16_e32 0x80, v1
	s_cbranch_execz .LBB278_25
; %bb.20:                               ;   in Loop: Header=BB278_10 Depth=1
	v_and_b32_e32 v26, 0xffff, v1
	v_mov_b32_e32 v24, 0x7c010000
	s_mov_b32 s35, exec_lo
	s_delay_alu instid0(VALU_DEP_2) | instskip(NEXT) | instid1(VALU_DEP_1)
	v_and_b32_e32 v28, 0x7f, v26
	v_cmpx_ne_u32_e32 0x7f, v28
	s_cbranch_execz .LBB278_24
; %bb.21:                               ;   in Loop: Header=BB278_10 Depth=1
	v_and_b32_e32 v24, 7, v26
	v_lshrrev_b32_e32 v27, 3, v28
	s_mov_b32 s36, exec_lo
	v_cmpx_gt_u32_e32 8, v28
; %bb.22:                               ;   in Loop: Header=BB278_10 Depth=1
	s_delay_alu instid0(VALU_DEP_3) | instskip(NEXT) | instid1(VALU_DEP_1)
	v_clz_i32_u32_e32 v24, v24
	v_min_u32_e32 v24, 32, v24
	s_delay_alu instid0(VALU_DEP_1) | instskip(NEXT) | instid1(VALU_DEP_1)
	v_subrev_nc_u32_e32 v27, 28, v24
	v_lshlrev_b64_e32 v[28:29], v27, v[1:2]
	v_sub_nc_u32_e32 v27, 29, v24
	s_delay_alu instid0(VALU_DEP_2)
	v_and_b32_e32 v24, 7, v28
; %bb.23:                               ;   in Loop: Header=BB278_10 Depth=1
	s_or_b32 exec_lo, exec_lo, s36
	v_lshlrev_b32_e32 v1, 8, v26
	s_delay_alu instid0(VALU_DEP_3) | instskip(NEXT) | instid1(VALU_DEP_3)
	v_lshl_add_u32 v26, v27, 10, 0x2000
	v_lshlrev_b32_e32 v24, 23, v24
	s_delay_alu instid0(VALU_DEP_2) | instskip(NEXT) | instid1(VALU_DEP_1)
	v_and_or_b32 v1, 0x8000, v1, v26
	v_lshl_or_b32 v24, v1, 16, v24
.LBB278_24:                             ;   in Loop: Header=BB278_10 Depth=1
	s_wait_alu 0xfffe
	s_or_b32 exec_lo, exec_lo, s35
.LBB278_25:                             ;   in Loop: Header=BB278_10 Depth=1
	s_wait_alu 0xfffe
	s_or_b32 exec_lo, exec_lo, s34
.LBB278_26:                             ;   in Loop: Header=BB278_10 Depth=1
	s_wait_alu 0xfffe
	s_or_b32 exec_lo, exec_lo, s6
	v_lshrrev_b32_e32 v1, 16, v9
	v_mov_b32_e32 v26, 0
	s_mov_b32 s6, exec_lo
	s_delay_alu instid0(VALU_DEP_2) | instskip(NEXT) | instid1(VALU_DEP_1)
	v_dual_mov_b32 v27, 0 :: v_dual_and_b32 v28, 0xff, v1
	v_cmpx_ne_u16_e32 0, v28
	s_cbranch_execz .LBB278_34
; %bb.27:                               ;   in Loop: Header=BB278_10 Depth=1
	v_mov_b32_e32 v27, 0x8000
	s_mov_b32 s34, exec_lo
	v_cmpx_ne_u16_e32 0x80, v28
	s_cbranch_execz .LBB278_33
; %bb.28:                               ;   in Loop: Header=BB278_10 Depth=1
	v_bfe_u32 v29, v9, 16, 7
	v_mov_b32_e32 v27, 0x7c01
	s_mov_b32 s35, exec_lo
	s_delay_alu instid0(VALU_DEP_2)
	v_cmpx_ne_u32_e32 0x7f, v29
	s_cbranch_execz .LBB278_32
; %bb.29:                               ;   in Loop: Header=BB278_10 Depth=1
	v_and_b32_e32 v27, 7, v1
	v_lshrrev_b32_e32 v28, 3, v29
	s_mov_b32 s36, exec_lo
	v_cmpx_gt_u32_e32 8, v29
; %bb.30:                               ;   in Loop: Header=BB278_10 Depth=1
	s_delay_alu instid0(VALU_DEP_3) | instskip(NEXT) | instid1(VALU_DEP_1)
	v_clz_i32_u32_e32 v27, v27
	v_min_u32_e32 v29, 32, v27
	s_delay_alu instid0(VALU_DEP_1) | instskip(NEXT) | instid1(VALU_DEP_1)
	v_subrev_nc_u32_e32 v27, 28, v29
	v_lshlrev_b64_e32 v[27:28], v27, v[1:2]
	v_sub_nc_u32_e32 v28, 29, v29
	s_delay_alu instid0(VALU_DEP_2)
	v_and_b32_e32 v27, 7, v27
; %bb.31:                               ;   in Loop: Header=BB278_10 Depth=1
	s_or_b32 exec_lo, exec_lo, s36
	v_lshlrev_b32_e32 v1, 8, v1
	s_delay_alu instid0(VALU_DEP_3) | instskip(NEXT) | instid1(VALU_DEP_3)
	v_lshl_add_u32 v28, v28, 10, 0x2000
	v_lshlrev_b32_e32 v27, 7, v27
	s_delay_alu instid0(VALU_DEP_3) | instskip(NEXT) | instid1(VALU_DEP_3)
	v_and_b32_e32 v1, 0x8000, v1
	v_and_b32_e32 v28, 0xfc00, v28
	s_delay_alu instid0(VALU_DEP_1)
	v_or3_b32 v27, v1, v28, v27
.LBB278_32:                             ;   in Loop: Header=BB278_10 Depth=1
	s_wait_alu 0xfffe
	s_or_b32 exec_lo, exec_lo, s35
.LBB278_33:                             ;   in Loop: Header=BB278_10 Depth=1
	s_wait_alu 0xfffe
	s_or_b32 exec_lo, exec_lo, s34
.LBB278_34:                             ;   in Loop: Header=BB278_10 Depth=1
	s_wait_alu 0xfffe
	s_or_b32 exec_lo, exec_lo, s6
	s_delay_alu instid0(SALU_CYCLE_1)
	s_mov_b32 s6, exec_lo
	v_cmpx_lt_u32_e32 0xffffff, v9
	s_cbranch_execz .LBB278_42
; %bb.35:                               ;   in Loop: Header=BB278_10 Depth=1
	v_lshrrev_b32_e32 v1, 24, v9
	v_bfrev_b32_e32 v26, 1
	s_mov_b32 s34, exec_lo
	s_delay_alu instid0(VALU_DEP_2)
	v_cmpx_ne_u32_e32 0x80, v1
	s_cbranch_execz .LBB278_41
; %bb.36:                               ;   in Loop: Header=BB278_10 Depth=1
	v_and_b32_e32 v28, 0x7f, v1
	v_mov_b32_e32 v26, 0x7c010000
	s_mov_b32 s35, exec_lo
	s_delay_alu instid0(VALU_DEP_2)
	v_cmpx_ne_u32_e32 0x7f, v28
	s_cbranch_execz .LBB278_40
; %bb.37:                               ;   in Loop: Header=BB278_10 Depth=1
	v_and_b32_e32 v9, 7, v1
	v_lshrrev_b32_e32 v26, 3, v28
	s_mov_b32 s36, exec_lo
	v_cmpx_gt_u32_e32 8, v28
; %bb.38:                               ;   in Loop: Header=BB278_10 Depth=1
	s_delay_alu instid0(VALU_DEP_3) | instskip(NEXT) | instid1(VALU_DEP_1)
	v_clz_i32_u32_e32 v9, v9
	v_min_u32_e32 v9, 32, v9
	s_delay_alu instid0(VALU_DEP_1) | instskip(NEXT) | instid1(VALU_DEP_1)
	v_subrev_nc_u32_e32 v26, 28, v9
	v_lshlrev_b64_e32 v[28:29], v26, v[1:2]
	v_sub_nc_u32_e32 v26, 29, v9
	s_delay_alu instid0(VALU_DEP_2)
	v_and_b32_e32 v9, 7, v28
; %bb.39:                               ;   in Loop: Header=BB278_10 Depth=1
	s_or_b32 exec_lo, exec_lo, s36
	v_lshlrev_b32_e32 v1, 8, v1
	s_delay_alu instid0(VALU_DEP_3) | instskip(NEXT) | instid1(VALU_DEP_3)
	v_lshl_add_u32 v26, v26, 10, 0x2000
	v_lshlrev_b32_e32 v9, 23, v9
	s_delay_alu instid0(VALU_DEP_2) | instskip(NEXT) | instid1(VALU_DEP_1)
	v_and_or_b32 v1, 0x8000, v1, v26
	v_lshl_or_b32 v26, v1, 16, v9
.LBB278_40:                             ;   in Loop: Header=BB278_10 Depth=1
	s_wait_alu 0xfffe
	s_or_b32 exec_lo, exec_lo, s35
.LBB278_41:                             ;   in Loop: Header=BB278_10 Depth=1
	s_wait_alu 0xfffe
	s_or_b32 exec_lo, exec_lo, s34
.LBB278_42:                             ;   in Loop: Header=BB278_10 Depth=1
	s_wait_alu 0xfffe
	s_or_b32 exec_lo, exec_lo, s6
	global_load_b32 v9, v[7:8], off offset:8
	v_mov_b32_e32 v29, 0
	s_mov_b32 s6, exec_lo
	s_wait_loadcnt 0x0
	v_dual_mov_b32 v28, 0 :: v_dual_and_b32 v1, 0xff, v9
	s_delay_alu instid0(VALU_DEP_1)
	v_cmpx_ne_u16_e32 0, v1
	s_cbranch_execz .LBB278_50
; %bb.43:                               ;   in Loop: Header=BB278_10 Depth=1
	v_mov_b32_e32 v29, 0x8000
	s_mov_b32 s34, exec_lo
	v_cmpx_ne_u16_e32 0x80, v1
	s_cbranch_execz .LBB278_49
; %bb.44:                               ;   in Loop: Header=BB278_10 Depth=1
	v_and_b32_e32 v30, 0x7f, v9
	v_mov_b32_e32 v29, 0x7c01
	s_mov_b32 s35, exec_lo
	s_delay_alu instid0(VALU_DEP_2)
	v_cmpx_ne_u32_e32 0x7f, v30
	s_cbranch_execz .LBB278_48
; %bb.45:                               ;   in Loop: Header=BB278_10 Depth=1
	v_and_b32_e32 v1, 7, v9
	v_lshrrev_b32_e32 v29, 3, v30
	s_mov_b32 s36, exec_lo
	v_cmpx_gt_u32_e32 8, v30
; %bb.46:                               ;   in Loop: Header=BB278_10 Depth=1
	s_delay_alu instid0(VALU_DEP_3) | instskip(NEXT) | instid1(VALU_DEP_1)
	v_clz_i32_u32_e32 v1, v1
	v_min_u32_e32 v1, 32, v1
	s_delay_alu instid0(VALU_DEP_1) | instskip(NEXT) | instid1(VALU_DEP_1)
	v_subrev_nc_u32_e32 v29, 28, v1
	v_lshlrev_b64_e32 v[30:31], v29, v[9:10]
	v_sub_nc_u32_e32 v29, 29, v1
	s_delay_alu instid0(VALU_DEP_2)
	v_and_b32_e32 v1, 7, v30
; %bb.47:                               ;   in Loop: Header=BB278_10 Depth=1
	s_or_b32 exec_lo, exec_lo, s36
	v_lshlrev_b32_e32 v30, 8, v9
	s_delay_alu instid0(VALU_DEP_3) | instskip(NEXT) | instid1(VALU_DEP_3)
	v_lshl_add_u32 v29, v29, 10, 0x2000
	v_lshlrev_b32_e32 v1, 7, v1
	s_delay_alu instid0(VALU_DEP_3) | instskip(NEXT) | instid1(VALU_DEP_3)
	v_and_b32_e32 v30, 0x8000, v30
	v_and_b32_e32 v29, 0xfc00, v29
	s_delay_alu instid0(VALU_DEP_1)
	v_or3_b32 v29, v30, v29, v1
.LBB278_48:                             ;   in Loop: Header=BB278_10 Depth=1
	s_wait_alu 0xfffe
	s_or_b32 exec_lo, exec_lo, s35
.LBB278_49:                             ;   in Loop: Header=BB278_10 Depth=1
	s_wait_alu 0xfffe
	s_or_b32 exec_lo, exec_lo, s34
.LBB278_50:                             ;   in Loop: Header=BB278_10 Depth=1
	s_wait_alu 0xfffe
	s_or_b32 exec_lo, exec_lo, s6
	v_lshrrev_b16 v1, 8, v9
	s_mov_b32 s6, exec_lo
	s_delay_alu instid0(VALU_DEP_1)
	v_cmpx_ne_u16_e32 0, v1
	s_cbranch_execz .LBB278_58
; %bb.51:                               ;   in Loop: Header=BB278_10 Depth=1
	v_bfrev_b32_e32 v28, 1
	s_mov_b32 s34, exec_lo
	v_cmpx_ne_u16_e32 0x80, v1
	s_cbranch_execz .LBB278_57
; %bb.52:                               ;   in Loop: Header=BB278_10 Depth=1
	v_and_b32_e32 v30, 0xffff, v1
	v_mov_b32_e32 v28, 0x7c010000
	s_mov_b32 s35, exec_lo
	s_delay_alu instid0(VALU_DEP_2) | instskip(NEXT) | instid1(VALU_DEP_1)
	v_and_b32_e32 v32, 0x7f, v30
	v_cmpx_ne_u32_e32 0x7f, v32
	s_cbranch_execz .LBB278_56
; %bb.53:                               ;   in Loop: Header=BB278_10 Depth=1
	v_and_b32_e32 v28, 7, v30
	v_lshrrev_b32_e32 v31, 3, v32
	s_mov_b32 s36, exec_lo
	v_cmpx_gt_u32_e32 8, v32
; %bb.54:                               ;   in Loop: Header=BB278_10 Depth=1
	s_delay_alu instid0(VALU_DEP_3) | instskip(NEXT) | instid1(VALU_DEP_1)
	v_clz_i32_u32_e32 v28, v28
	v_min_u32_e32 v28, 32, v28
	s_delay_alu instid0(VALU_DEP_1) | instskip(NEXT) | instid1(VALU_DEP_1)
	v_subrev_nc_u32_e32 v31, 28, v28
	v_lshlrev_b64_e32 v[32:33], v31, v[1:2]
	v_sub_nc_u32_e32 v31, 29, v28
	s_delay_alu instid0(VALU_DEP_2)
	v_and_b32_e32 v28, 7, v32
; %bb.55:                               ;   in Loop: Header=BB278_10 Depth=1
	s_or_b32 exec_lo, exec_lo, s36
	v_lshlrev_b32_e32 v1, 8, v30
	s_delay_alu instid0(VALU_DEP_3) | instskip(NEXT) | instid1(VALU_DEP_3)
	v_lshl_add_u32 v30, v31, 10, 0x2000
	v_lshlrev_b32_e32 v28, 23, v28
	s_delay_alu instid0(VALU_DEP_2) | instskip(NEXT) | instid1(VALU_DEP_1)
	v_and_or_b32 v1, 0x8000, v1, v30
	v_lshl_or_b32 v28, v1, 16, v28
.LBB278_56:                             ;   in Loop: Header=BB278_10 Depth=1
	s_wait_alu 0xfffe
	s_or_b32 exec_lo, exec_lo, s35
.LBB278_57:                             ;   in Loop: Header=BB278_10 Depth=1
	s_wait_alu 0xfffe
	s_or_b32 exec_lo, exec_lo, s34
.LBB278_58:                             ;   in Loop: Header=BB278_10 Depth=1
	s_wait_alu 0xfffe
	s_or_b32 exec_lo, exec_lo, s6
	v_lshrrev_b32_e32 v1, 16, v9
	v_mov_b32_e32 v30, 0
	s_mov_b32 s6, exec_lo
	s_delay_alu instid0(VALU_DEP_2) | instskip(NEXT) | instid1(VALU_DEP_1)
	v_dual_mov_b32 v31, 0 :: v_dual_and_b32 v32, 0xff, v1
	v_cmpx_ne_u16_e32 0, v32
	s_cbranch_execz .LBB278_66
; %bb.59:                               ;   in Loop: Header=BB278_10 Depth=1
	v_mov_b32_e32 v31, 0x8000
	s_mov_b32 s34, exec_lo
	v_cmpx_ne_u16_e32 0x80, v32
	s_cbranch_execz .LBB278_65
; %bb.60:                               ;   in Loop: Header=BB278_10 Depth=1
	v_bfe_u32 v33, v9, 16, 7
	v_mov_b32_e32 v31, 0x7c01
	s_mov_b32 s35, exec_lo
	s_delay_alu instid0(VALU_DEP_2)
	v_cmpx_ne_u32_e32 0x7f, v33
	s_cbranch_execz .LBB278_64
; %bb.61:                               ;   in Loop: Header=BB278_10 Depth=1
	v_and_b32_e32 v31, 7, v1
	v_lshrrev_b32_e32 v32, 3, v33
	s_mov_b32 s36, exec_lo
	v_cmpx_gt_u32_e32 8, v33
; %bb.62:                               ;   in Loop: Header=BB278_10 Depth=1
	s_delay_alu instid0(VALU_DEP_3) | instskip(NEXT) | instid1(VALU_DEP_1)
	v_clz_i32_u32_e32 v31, v31
	v_min_u32_e32 v33, 32, v31
	s_delay_alu instid0(VALU_DEP_1) | instskip(NEXT) | instid1(VALU_DEP_1)
	v_subrev_nc_u32_e32 v31, 28, v33
	v_lshlrev_b64_e32 v[31:32], v31, v[1:2]
	v_sub_nc_u32_e32 v32, 29, v33
	s_delay_alu instid0(VALU_DEP_2)
	v_and_b32_e32 v31, 7, v31
; %bb.63:                               ;   in Loop: Header=BB278_10 Depth=1
	s_or_b32 exec_lo, exec_lo, s36
	v_lshlrev_b32_e32 v1, 8, v1
	s_delay_alu instid0(VALU_DEP_3) | instskip(NEXT) | instid1(VALU_DEP_3)
	v_lshl_add_u32 v32, v32, 10, 0x2000
	v_lshlrev_b32_e32 v31, 7, v31
	s_delay_alu instid0(VALU_DEP_3) | instskip(NEXT) | instid1(VALU_DEP_3)
	v_and_b32_e32 v1, 0x8000, v1
	v_and_b32_e32 v32, 0xfc00, v32
	s_delay_alu instid0(VALU_DEP_1)
	v_or3_b32 v31, v1, v32, v31
.LBB278_64:                             ;   in Loop: Header=BB278_10 Depth=1
	s_wait_alu 0xfffe
	s_or_b32 exec_lo, exec_lo, s35
.LBB278_65:                             ;   in Loop: Header=BB278_10 Depth=1
	s_wait_alu 0xfffe
	s_or_b32 exec_lo, exec_lo, s34
.LBB278_66:                             ;   in Loop: Header=BB278_10 Depth=1
	s_wait_alu 0xfffe
	s_or_b32 exec_lo, exec_lo, s6
	s_delay_alu instid0(SALU_CYCLE_1)
	s_mov_b32 s6, exec_lo
	v_cmpx_lt_u32_e32 0xffffff, v9
	s_cbranch_execz .LBB278_74
; %bb.67:                               ;   in Loop: Header=BB278_10 Depth=1
	v_lshrrev_b32_e32 v1, 24, v9
	v_bfrev_b32_e32 v30, 1
	s_mov_b32 s34, exec_lo
	s_delay_alu instid0(VALU_DEP_2)
	v_cmpx_ne_u32_e32 0x80, v1
	s_cbranch_execz .LBB278_73
; %bb.68:                               ;   in Loop: Header=BB278_10 Depth=1
	v_and_b32_e32 v32, 0x7f, v1
	v_mov_b32_e32 v30, 0x7c010000
	s_mov_b32 s35, exec_lo
	s_delay_alu instid0(VALU_DEP_2)
	v_cmpx_ne_u32_e32 0x7f, v32
	s_cbranch_execz .LBB278_72
; %bb.69:                               ;   in Loop: Header=BB278_10 Depth=1
	v_and_b32_e32 v9, 7, v1
	v_lshrrev_b32_e32 v30, 3, v32
	s_mov_b32 s36, exec_lo
	v_cmpx_gt_u32_e32 8, v32
; %bb.70:                               ;   in Loop: Header=BB278_10 Depth=1
	s_delay_alu instid0(VALU_DEP_3) | instskip(NEXT) | instid1(VALU_DEP_1)
	v_clz_i32_u32_e32 v9, v9
	v_min_u32_e32 v9, 32, v9
	s_delay_alu instid0(VALU_DEP_1) | instskip(NEXT) | instid1(VALU_DEP_1)
	v_subrev_nc_u32_e32 v30, 28, v9
	v_lshlrev_b64_e32 v[32:33], v30, v[1:2]
	v_sub_nc_u32_e32 v30, 29, v9
	s_delay_alu instid0(VALU_DEP_2)
	v_and_b32_e32 v9, 7, v32
; %bb.71:                               ;   in Loop: Header=BB278_10 Depth=1
	s_or_b32 exec_lo, exec_lo, s36
	v_lshlrev_b32_e32 v1, 8, v1
	s_delay_alu instid0(VALU_DEP_3) | instskip(NEXT) | instid1(VALU_DEP_3)
	v_lshl_add_u32 v30, v30, 10, 0x2000
	v_lshlrev_b32_e32 v9, 23, v9
	s_delay_alu instid0(VALU_DEP_2) | instskip(NEXT) | instid1(VALU_DEP_1)
	v_and_or_b32 v1, 0x8000, v1, v30
	v_lshl_or_b32 v30, v1, 16, v9
.LBB278_72:                             ;   in Loop: Header=BB278_10 Depth=1
	s_wait_alu 0xfffe
	s_or_b32 exec_lo, exec_lo, s35
.LBB278_73:                             ;   in Loop: Header=BB278_10 Depth=1
	s_wait_alu 0xfffe
	s_or_b32 exec_lo, exec_lo, s34
.LBB278_74:                             ;   in Loop: Header=BB278_10 Depth=1
	s_wait_alu 0xfffe
	s_or_b32 exec_lo, exec_lo, s6
	global_load_b32 v9, v[7:8], off offset:256
	v_mov_b32_e32 v33, 0
	s_mov_b32 s6, exec_lo
	s_wait_loadcnt 0x0
	v_dual_mov_b32 v32, 0 :: v_dual_and_b32 v1, 0xff, v9
	s_delay_alu instid0(VALU_DEP_1)
	v_cmpx_ne_u16_e32 0, v1
	s_cbranch_execz .LBB278_82
; %bb.75:                               ;   in Loop: Header=BB278_10 Depth=1
	v_mov_b32_e32 v33, 0x8000
	s_mov_b32 s34, exec_lo
	v_cmpx_ne_u16_e32 0x80, v1
	s_cbranch_execz .LBB278_81
; %bb.76:                               ;   in Loop: Header=BB278_10 Depth=1
	v_and_b32_e32 v34, 0x7f, v9
	v_mov_b32_e32 v33, 0x7c01
	s_mov_b32 s35, exec_lo
	s_delay_alu instid0(VALU_DEP_2)
	v_cmpx_ne_u32_e32 0x7f, v34
	s_cbranch_execz .LBB278_80
; %bb.77:                               ;   in Loop: Header=BB278_10 Depth=1
	v_and_b32_e32 v1, 7, v9
	v_lshrrev_b32_e32 v33, 3, v34
	s_mov_b32 s36, exec_lo
	v_cmpx_gt_u32_e32 8, v34
; %bb.78:                               ;   in Loop: Header=BB278_10 Depth=1
	s_delay_alu instid0(VALU_DEP_3) | instskip(NEXT) | instid1(VALU_DEP_1)
	v_clz_i32_u32_e32 v1, v1
	v_min_u32_e32 v1, 32, v1
	s_delay_alu instid0(VALU_DEP_1) | instskip(NEXT) | instid1(VALU_DEP_1)
	v_subrev_nc_u32_e32 v33, 28, v1
	v_lshlrev_b64_e32 v[34:35], v33, v[9:10]
	v_sub_nc_u32_e32 v33, 29, v1
	s_delay_alu instid0(VALU_DEP_2)
	v_and_b32_e32 v1, 7, v34
; %bb.79:                               ;   in Loop: Header=BB278_10 Depth=1
	s_or_b32 exec_lo, exec_lo, s36
	v_lshlrev_b32_e32 v34, 8, v9
	s_delay_alu instid0(VALU_DEP_3) | instskip(NEXT) | instid1(VALU_DEP_3)
	v_lshl_add_u32 v33, v33, 10, 0x2000
	v_lshlrev_b32_e32 v1, 7, v1
	s_delay_alu instid0(VALU_DEP_3) | instskip(NEXT) | instid1(VALU_DEP_3)
	v_and_b32_e32 v34, 0x8000, v34
	v_and_b32_e32 v33, 0xfc00, v33
	s_delay_alu instid0(VALU_DEP_1)
	v_or3_b32 v33, v34, v33, v1
.LBB278_80:                             ;   in Loop: Header=BB278_10 Depth=1
	s_wait_alu 0xfffe
	s_or_b32 exec_lo, exec_lo, s35
.LBB278_81:                             ;   in Loop: Header=BB278_10 Depth=1
	s_wait_alu 0xfffe
	s_or_b32 exec_lo, exec_lo, s34
.LBB278_82:                             ;   in Loop: Header=BB278_10 Depth=1
	s_wait_alu 0xfffe
	s_or_b32 exec_lo, exec_lo, s6
	v_lshrrev_b16 v1, 8, v9
	s_mov_b32 s6, exec_lo
	s_delay_alu instid0(VALU_DEP_1)
	v_cmpx_ne_u16_e32 0, v1
	s_cbranch_execz .LBB278_90
; %bb.83:                               ;   in Loop: Header=BB278_10 Depth=1
	v_bfrev_b32_e32 v32, 1
	s_mov_b32 s34, exec_lo
	v_cmpx_ne_u16_e32 0x80, v1
	s_cbranch_execz .LBB278_89
; %bb.84:                               ;   in Loop: Header=BB278_10 Depth=1
	v_and_b32_e32 v34, 0xffff, v1
	v_mov_b32_e32 v32, 0x7c010000
	s_mov_b32 s35, exec_lo
	s_delay_alu instid0(VALU_DEP_2) | instskip(NEXT) | instid1(VALU_DEP_1)
	v_and_b32_e32 v36, 0x7f, v34
	v_cmpx_ne_u32_e32 0x7f, v36
	s_cbranch_execz .LBB278_88
; %bb.85:                               ;   in Loop: Header=BB278_10 Depth=1
	v_and_b32_e32 v32, 7, v34
	v_lshrrev_b32_e32 v35, 3, v36
	s_mov_b32 s36, exec_lo
	v_cmpx_gt_u32_e32 8, v36
; %bb.86:                               ;   in Loop: Header=BB278_10 Depth=1
	s_delay_alu instid0(VALU_DEP_3) | instskip(NEXT) | instid1(VALU_DEP_1)
	v_clz_i32_u32_e32 v32, v32
	v_min_u32_e32 v32, 32, v32
	s_delay_alu instid0(VALU_DEP_1) | instskip(NEXT) | instid1(VALU_DEP_1)
	v_subrev_nc_u32_e32 v35, 28, v32
	v_lshlrev_b64_e32 v[36:37], v35, v[1:2]
	v_sub_nc_u32_e32 v35, 29, v32
	s_delay_alu instid0(VALU_DEP_2)
	v_and_b32_e32 v32, 7, v36
; %bb.87:                               ;   in Loop: Header=BB278_10 Depth=1
	s_or_b32 exec_lo, exec_lo, s36
	v_lshlrev_b32_e32 v1, 8, v34
	s_delay_alu instid0(VALU_DEP_3) | instskip(NEXT) | instid1(VALU_DEP_3)
	v_lshl_add_u32 v34, v35, 10, 0x2000
	v_lshlrev_b32_e32 v32, 23, v32
	s_delay_alu instid0(VALU_DEP_2) | instskip(NEXT) | instid1(VALU_DEP_1)
	v_and_or_b32 v1, 0x8000, v1, v34
	v_lshl_or_b32 v32, v1, 16, v32
.LBB278_88:                             ;   in Loop: Header=BB278_10 Depth=1
	s_wait_alu 0xfffe
	s_or_b32 exec_lo, exec_lo, s35
.LBB278_89:                             ;   in Loop: Header=BB278_10 Depth=1
	s_wait_alu 0xfffe
	s_or_b32 exec_lo, exec_lo, s34
.LBB278_90:                             ;   in Loop: Header=BB278_10 Depth=1
	s_wait_alu 0xfffe
	s_or_b32 exec_lo, exec_lo, s6
	v_lshrrev_b32_e32 v1, 16, v9
	v_mov_b32_e32 v34, 0
	s_mov_b32 s6, exec_lo
	s_delay_alu instid0(VALU_DEP_2) | instskip(NEXT) | instid1(VALU_DEP_1)
	v_dual_mov_b32 v35, 0 :: v_dual_and_b32 v36, 0xff, v1
	v_cmpx_ne_u16_e32 0, v36
	s_cbranch_execz .LBB278_98
; %bb.91:                               ;   in Loop: Header=BB278_10 Depth=1
	v_mov_b32_e32 v35, 0x8000
	s_mov_b32 s34, exec_lo
	v_cmpx_ne_u16_e32 0x80, v36
	s_cbranch_execz .LBB278_97
; %bb.92:                               ;   in Loop: Header=BB278_10 Depth=1
	v_bfe_u32 v37, v9, 16, 7
	v_mov_b32_e32 v35, 0x7c01
	s_mov_b32 s35, exec_lo
	s_delay_alu instid0(VALU_DEP_2)
	v_cmpx_ne_u32_e32 0x7f, v37
	s_cbranch_execz .LBB278_96
; %bb.93:                               ;   in Loop: Header=BB278_10 Depth=1
	v_and_b32_e32 v35, 7, v1
	v_lshrrev_b32_e32 v36, 3, v37
	s_mov_b32 s36, exec_lo
	v_cmpx_gt_u32_e32 8, v37
; %bb.94:                               ;   in Loop: Header=BB278_10 Depth=1
	s_delay_alu instid0(VALU_DEP_3) | instskip(NEXT) | instid1(VALU_DEP_1)
	v_clz_i32_u32_e32 v35, v35
	v_min_u32_e32 v37, 32, v35
	s_delay_alu instid0(VALU_DEP_1) | instskip(NEXT) | instid1(VALU_DEP_1)
	v_subrev_nc_u32_e32 v35, 28, v37
	v_lshlrev_b64_e32 v[35:36], v35, v[1:2]
	v_sub_nc_u32_e32 v36, 29, v37
	s_delay_alu instid0(VALU_DEP_2)
	v_and_b32_e32 v35, 7, v35
; %bb.95:                               ;   in Loop: Header=BB278_10 Depth=1
	s_or_b32 exec_lo, exec_lo, s36
	v_lshlrev_b32_e32 v1, 8, v1
	s_delay_alu instid0(VALU_DEP_3) | instskip(NEXT) | instid1(VALU_DEP_3)
	v_lshl_add_u32 v36, v36, 10, 0x2000
	v_lshlrev_b32_e32 v35, 7, v35
	s_delay_alu instid0(VALU_DEP_3) | instskip(NEXT) | instid1(VALU_DEP_3)
	v_and_b32_e32 v1, 0x8000, v1
	v_and_b32_e32 v36, 0xfc00, v36
	s_delay_alu instid0(VALU_DEP_1)
	v_or3_b32 v35, v1, v36, v35
.LBB278_96:                             ;   in Loop: Header=BB278_10 Depth=1
	s_wait_alu 0xfffe
	s_or_b32 exec_lo, exec_lo, s35
.LBB278_97:                             ;   in Loop: Header=BB278_10 Depth=1
	s_wait_alu 0xfffe
	s_or_b32 exec_lo, exec_lo, s34
.LBB278_98:                             ;   in Loop: Header=BB278_10 Depth=1
	s_wait_alu 0xfffe
	s_or_b32 exec_lo, exec_lo, s6
	s_delay_alu instid0(SALU_CYCLE_1)
	s_mov_b32 s6, exec_lo
	v_cmpx_lt_u32_e32 0xffffff, v9
	s_cbranch_execz .LBB278_106
; %bb.99:                               ;   in Loop: Header=BB278_10 Depth=1
	v_lshrrev_b32_e32 v1, 24, v9
	v_bfrev_b32_e32 v34, 1
	s_mov_b32 s34, exec_lo
	s_delay_alu instid0(VALU_DEP_2)
	v_cmpx_ne_u32_e32 0x80, v1
	s_cbranch_execz .LBB278_105
; %bb.100:                              ;   in Loop: Header=BB278_10 Depth=1
	v_and_b32_e32 v36, 0x7f, v1
	v_mov_b32_e32 v34, 0x7c010000
	s_mov_b32 s35, exec_lo
	s_delay_alu instid0(VALU_DEP_2)
	v_cmpx_ne_u32_e32 0x7f, v36
	s_cbranch_execz .LBB278_104
; %bb.101:                              ;   in Loop: Header=BB278_10 Depth=1
	v_and_b32_e32 v9, 7, v1
	v_lshrrev_b32_e32 v34, 3, v36
	s_mov_b32 s36, exec_lo
	v_cmpx_gt_u32_e32 8, v36
; %bb.102:                              ;   in Loop: Header=BB278_10 Depth=1
	s_delay_alu instid0(VALU_DEP_3) | instskip(NEXT) | instid1(VALU_DEP_1)
	v_clz_i32_u32_e32 v9, v9
	v_min_u32_e32 v9, 32, v9
	s_delay_alu instid0(VALU_DEP_1) | instskip(NEXT) | instid1(VALU_DEP_1)
	v_subrev_nc_u32_e32 v34, 28, v9
	v_lshlrev_b64_e32 v[36:37], v34, v[1:2]
	v_sub_nc_u32_e32 v34, 29, v9
	s_delay_alu instid0(VALU_DEP_2)
	v_and_b32_e32 v9, 7, v36
; %bb.103:                              ;   in Loop: Header=BB278_10 Depth=1
	s_or_b32 exec_lo, exec_lo, s36
	v_lshlrev_b32_e32 v1, 8, v1
	s_delay_alu instid0(VALU_DEP_3) | instskip(NEXT) | instid1(VALU_DEP_3)
	v_lshl_add_u32 v34, v34, 10, 0x2000
	v_lshlrev_b32_e32 v9, 23, v9
	s_delay_alu instid0(VALU_DEP_2) | instskip(NEXT) | instid1(VALU_DEP_1)
	v_and_or_b32 v1, 0x8000, v1, v34
	v_lshl_or_b32 v34, v1, 16, v9
.LBB278_104:                            ;   in Loop: Header=BB278_10 Depth=1
	s_wait_alu 0xfffe
	s_or_b32 exec_lo, exec_lo, s35
.LBB278_105:                            ;   in Loop: Header=BB278_10 Depth=1
	s_wait_alu 0xfffe
	s_or_b32 exec_lo, exec_lo, s34
.LBB278_106:                            ;   in Loop: Header=BB278_10 Depth=1
	s_wait_alu 0xfffe
	s_or_b32 exec_lo, exec_lo, s6
	global_load_b32 v9, v[7:8], off offset:264
	v_mov_b32_e32 v37, 0
	s_mov_b32 s6, exec_lo
	s_wait_loadcnt 0x0
	v_dual_mov_b32 v36, 0 :: v_dual_and_b32 v1, 0xff, v9
	s_delay_alu instid0(VALU_DEP_1)
	v_cmpx_ne_u16_e32 0, v1
	s_cbranch_execz .LBB278_114
; %bb.107:                              ;   in Loop: Header=BB278_10 Depth=1
	v_mov_b32_e32 v37, 0x8000
	s_mov_b32 s34, exec_lo
	v_cmpx_ne_u16_e32 0x80, v1
	s_cbranch_execz .LBB278_113
; %bb.108:                              ;   in Loop: Header=BB278_10 Depth=1
	v_and_b32_e32 v38, 0x7f, v9
	v_mov_b32_e32 v37, 0x7c01
	s_mov_b32 s35, exec_lo
	s_delay_alu instid0(VALU_DEP_2)
	v_cmpx_ne_u32_e32 0x7f, v38
	s_cbranch_execz .LBB278_112
; %bb.109:                              ;   in Loop: Header=BB278_10 Depth=1
	v_and_b32_e32 v1, 7, v9
	v_lshrrev_b32_e32 v37, 3, v38
	s_mov_b32 s36, exec_lo
	v_cmpx_gt_u32_e32 8, v38
; %bb.110:                              ;   in Loop: Header=BB278_10 Depth=1
	s_delay_alu instid0(VALU_DEP_3) | instskip(NEXT) | instid1(VALU_DEP_1)
	v_clz_i32_u32_e32 v1, v1
	v_min_u32_e32 v1, 32, v1
	s_delay_alu instid0(VALU_DEP_1) | instskip(NEXT) | instid1(VALU_DEP_1)
	v_subrev_nc_u32_e32 v37, 28, v1
	v_lshlrev_b64_e32 v[38:39], v37, v[9:10]
	v_sub_nc_u32_e32 v37, 29, v1
	s_delay_alu instid0(VALU_DEP_2)
	v_and_b32_e32 v1, 7, v38
; %bb.111:                              ;   in Loop: Header=BB278_10 Depth=1
	s_or_b32 exec_lo, exec_lo, s36
	v_lshlrev_b32_e32 v38, 8, v9
	s_delay_alu instid0(VALU_DEP_3) | instskip(NEXT) | instid1(VALU_DEP_3)
	v_lshl_add_u32 v37, v37, 10, 0x2000
	v_lshlrev_b32_e32 v1, 7, v1
	s_delay_alu instid0(VALU_DEP_3) | instskip(NEXT) | instid1(VALU_DEP_3)
	v_and_b32_e32 v38, 0x8000, v38
	v_and_b32_e32 v37, 0xfc00, v37
	s_delay_alu instid0(VALU_DEP_1)
	v_or3_b32 v37, v38, v37, v1
.LBB278_112:                            ;   in Loop: Header=BB278_10 Depth=1
	s_wait_alu 0xfffe
	s_or_b32 exec_lo, exec_lo, s35
.LBB278_113:                            ;   in Loop: Header=BB278_10 Depth=1
	s_wait_alu 0xfffe
	s_or_b32 exec_lo, exec_lo, s34
.LBB278_114:                            ;   in Loop: Header=BB278_10 Depth=1
	s_wait_alu 0xfffe
	s_or_b32 exec_lo, exec_lo, s6
	v_lshrrev_b16 v1, 8, v9
	s_mov_b32 s6, exec_lo
	s_delay_alu instid0(VALU_DEP_1)
	v_cmpx_ne_u16_e32 0, v1
	s_cbranch_execz .LBB278_122
; %bb.115:                              ;   in Loop: Header=BB278_10 Depth=1
	v_bfrev_b32_e32 v36, 1
	s_mov_b32 s34, exec_lo
	v_cmpx_ne_u16_e32 0x80, v1
	s_cbranch_execz .LBB278_121
; %bb.116:                              ;   in Loop: Header=BB278_10 Depth=1
	v_and_b32_e32 v38, 0xffff, v1
	v_mov_b32_e32 v36, 0x7c010000
	s_mov_b32 s35, exec_lo
	s_delay_alu instid0(VALU_DEP_2) | instskip(NEXT) | instid1(VALU_DEP_1)
	v_and_b32_e32 v40, 0x7f, v38
	v_cmpx_ne_u32_e32 0x7f, v40
	s_cbranch_execz .LBB278_120
; %bb.117:                              ;   in Loop: Header=BB278_10 Depth=1
	v_and_b32_e32 v36, 7, v38
	v_lshrrev_b32_e32 v39, 3, v40
	s_mov_b32 s36, exec_lo
	v_cmpx_gt_u32_e32 8, v40
; %bb.118:                              ;   in Loop: Header=BB278_10 Depth=1
	s_delay_alu instid0(VALU_DEP_3) | instskip(NEXT) | instid1(VALU_DEP_1)
	v_clz_i32_u32_e32 v36, v36
	v_min_u32_e32 v36, 32, v36
	s_delay_alu instid0(VALU_DEP_1) | instskip(NEXT) | instid1(VALU_DEP_1)
	v_subrev_nc_u32_e32 v39, 28, v36
	v_lshlrev_b64_e32 v[40:41], v39, v[1:2]
	v_sub_nc_u32_e32 v39, 29, v36
	s_delay_alu instid0(VALU_DEP_2)
	v_and_b32_e32 v36, 7, v40
; %bb.119:                              ;   in Loop: Header=BB278_10 Depth=1
	s_or_b32 exec_lo, exec_lo, s36
	v_lshlrev_b32_e32 v1, 8, v38
	s_delay_alu instid0(VALU_DEP_3) | instskip(NEXT) | instid1(VALU_DEP_3)
	v_lshl_add_u32 v38, v39, 10, 0x2000
	v_lshlrev_b32_e32 v36, 23, v36
	s_delay_alu instid0(VALU_DEP_2) | instskip(NEXT) | instid1(VALU_DEP_1)
	v_and_or_b32 v1, 0x8000, v1, v38
	v_lshl_or_b32 v36, v1, 16, v36
.LBB278_120:                            ;   in Loop: Header=BB278_10 Depth=1
	s_wait_alu 0xfffe
	s_or_b32 exec_lo, exec_lo, s35
.LBB278_121:                            ;   in Loop: Header=BB278_10 Depth=1
	s_wait_alu 0xfffe
	s_or_b32 exec_lo, exec_lo, s34
.LBB278_122:                            ;   in Loop: Header=BB278_10 Depth=1
	s_wait_alu 0xfffe
	s_or_b32 exec_lo, exec_lo, s6
	v_lshrrev_b32_e32 v1, 16, v9
	v_mov_b32_e32 v38, 0
	s_mov_b32 s6, exec_lo
	s_delay_alu instid0(VALU_DEP_2) | instskip(NEXT) | instid1(VALU_DEP_1)
	v_dual_mov_b32 v39, 0 :: v_dual_and_b32 v40, 0xff, v1
	v_cmpx_ne_u16_e32 0, v40
	s_cbranch_execz .LBB278_130
; %bb.123:                              ;   in Loop: Header=BB278_10 Depth=1
	v_mov_b32_e32 v39, 0x8000
	s_mov_b32 s34, exec_lo
	v_cmpx_ne_u16_e32 0x80, v40
	s_cbranch_execz .LBB278_129
; %bb.124:                              ;   in Loop: Header=BB278_10 Depth=1
	v_bfe_u32 v41, v9, 16, 7
	v_mov_b32_e32 v39, 0x7c01
	s_mov_b32 s35, exec_lo
	s_delay_alu instid0(VALU_DEP_2)
	v_cmpx_ne_u32_e32 0x7f, v41
	s_cbranch_execz .LBB278_128
; %bb.125:                              ;   in Loop: Header=BB278_10 Depth=1
	v_and_b32_e32 v39, 7, v1
	v_lshrrev_b32_e32 v40, 3, v41
	s_mov_b32 s36, exec_lo
	v_cmpx_gt_u32_e32 8, v41
; %bb.126:                              ;   in Loop: Header=BB278_10 Depth=1
	s_delay_alu instid0(VALU_DEP_3) | instskip(NEXT) | instid1(VALU_DEP_1)
	v_clz_i32_u32_e32 v39, v39
	v_min_u32_e32 v41, 32, v39
	s_delay_alu instid0(VALU_DEP_1) | instskip(NEXT) | instid1(VALU_DEP_1)
	v_subrev_nc_u32_e32 v39, 28, v41
	v_lshlrev_b64_e32 v[39:40], v39, v[1:2]
	v_sub_nc_u32_e32 v40, 29, v41
	s_delay_alu instid0(VALU_DEP_2)
	v_and_b32_e32 v39, 7, v39
; %bb.127:                              ;   in Loop: Header=BB278_10 Depth=1
	s_or_b32 exec_lo, exec_lo, s36
	v_lshlrev_b32_e32 v1, 8, v1
	s_delay_alu instid0(VALU_DEP_3) | instskip(NEXT) | instid1(VALU_DEP_3)
	v_lshl_add_u32 v40, v40, 10, 0x2000
	v_lshlrev_b32_e32 v39, 7, v39
	s_delay_alu instid0(VALU_DEP_3) | instskip(NEXT) | instid1(VALU_DEP_3)
	v_and_b32_e32 v1, 0x8000, v1
	v_and_b32_e32 v40, 0xfc00, v40
	s_delay_alu instid0(VALU_DEP_1)
	v_or3_b32 v39, v1, v40, v39
.LBB278_128:                            ;   in Loop: Header=BB278_10 Depth=1
	s_wait_alu 0xfffe
	s_or_b32 exec_lo, exec_lo, s35
.LBB278_129:                            ;   in Loop: Header=BB278_10 Depth=1
	s_wait_alu 0xfffe
	s_or_b32 exec_lo, exec_lo, s34
.LBB278_130:                            ;   in Loop: Header=BB278_10 Depth=1
	s_wait_alu 0xfffe
	s_or_b32 exec_lo, exec_lo, s6
	s_delay_alu instid0(SALU_CYCLE_1)
	s_mov_b32 s6, exec_lo
	v_cmpx_lt_u32_e32 0xffffff, v9
	s_cbranch_execz .LBB278_138
; %bb.131:                              ;   in Loop: Header=BB278_10 Depth=1
	v_lshrrev_b32_e32 v1, 24, v9
	v_bfrev_b32_e32 v38, 1
	s_mov_b32 s34, exec_lo
	s_delay_alu instid0(VALU_DEP_2)
	v_cmpx_ne_u32_e32 0x80, v1
	s_cbranch_execz .LBB278_137
; %bb.132:                              ;   in Loop: Header=BB278_10 Depth=1
	v_and_b32_e32 v40, 0x7f, v1
	v_mov_b32_e32 v38, 0x7c010000
	s_mov_b32 s35, exec_lo
	s_delay_alu instid0(VALU_DEP_2)
	v_cmpx_ne_u32_e32 0x7f, v40
	s_cbranch_execz .LBB278_136
; %bb.133:                              ;   in Loop: Header=BB278_10 Depth=1
	v_and_b32_e32 v9, 7, v1
	v_lshrrev_b32_e32 v38, 3, v40
	s_mov_b32 s36, exec_lo
	v_cmpx_gt_u32_e32 8, v40
; %bb.134:                              ;   in Loop: Header=BB278_10 Depth=1
	s_delay_alu instid0(VALU_DEP_3) | instskip(NEXT) | instid1(VALU_DEP_1)
	v_clz_i32_u32_e32 v9, v9
	v_min_u32_e32 v9, 32, v9
	s_delay_alu instid0(VALU_DEP_1) | instskip(NEXT) | instid1(VALU_DEP_1)
	v_subrev_nc_u32_e32 v38, 28, v9
	v_lshlrev_b64_e32 v[40:41], v38, v[1:2]
	v_sub_nc_u32_e32 v38, 29, v9
	s_delay_alu instid0(VALU_DEP_2)
	v_and_b32_e32 v9, 7, v40
; %bb.135:                              ;   in Loop: Header=BB278_10 Depth=1
	s_or_b32 exec_lo, exec_lo, s36
	v_lshlrev_b32_e32 v1, 8, v1
	s_delay_alu instid0(VALU_DEP_3) | instskip(NEXT) | instid1(VALU_DEP_3)
	v_lshl_add_u32 v38, v38, 10, 0x2000
	v_lshlrev_b32_e32 v9, 23, v9
	s_delay_alu instid0(VALU_DEP_2) | instskip(NEXT) | instid1(VALU_DEP_1)
	v_and_or_b32 v1, 0x8000, v1, v38
	v_lshl_or_b32 v38, v1, 16, v9
.LBB278_136:                            ;   in Loop: Header=BB278_10 Depth=1
	s_wait_alu 0xfffe
	s_or_b32 exec_lo, exec_lo, s35
.LBB278_137:                            ;   in Loop: Header=BB278_10 Depth=1
	s_wait_alu 0xfffe
	s_or_b32 exec_lo, exec_lo, s34
.LBB278_138:                            ;   in Loop: Header=BB278_10 Depth=1
	s_wait_alu 0xfffe
	s_or_b32 exec_lo, exec_lo, s6
	global_load_b32 v9, v[7:8], off offset:512
	v_mov_b32_e32 v41, 0
	s_mov_b32 s6, exec_lo
	s_wait_loadcnt 0x0
	v_dual_mov_b32 v40, 0 :: v_dual_and_b32 v1, 0xff, v9
	s_delay_alu instid0(VALU_DEP_1)
	v_cmpx_ne_u16_e32 0, v1
	s_cbranch_execz .LBB278_146
; %bb.139:                              ;   in Loop: Header=BB278_10 Depth=1
	v_mov_b32_e32 v41, 0x8000
	s_mov_b32 s34, exec_lo
	v_cmpx_ne_u16_e32 0x80, v1
	s_cbranch_execz .LBB278_145
; %bb.140:                              ;   in Loop: Header=BB278_10 Depth=1
	v_and_b32_e32 v42, 0x7f, v9
	v_mov_b32_e32 v41, 0x7c01
	s_mov_b32 s35, exec_lo
	s_delay_alu instid0(VALU_DEP_2)
	v_cmpx_ne_u32_e32 0x7f, v42
	s_cbranch_execz .LBB278_144
; %bb.141:                              ;   in Loop: Header=BB278_10 Depth=1
	v_and_b32_e32 v1, 7, v9
	v_lshrrev_b32_e32 v41, 3, v42
	s_mov_b32 s36, exec_lo
	v_cmpx_gt_u32_e32 8, v42
; %bb.142:                              ;   in Loop: Header=BB278_10 Depth=1
	s_delay_alu instid0(VALU_DEP_3) | instskip(NEXT) | instid1(VALU_DEP_1)
	v_clz_i32_u32_e32 v1, v1
	v_min_u32_e32 v1, 32, v1
	s_delay_alu instid0(VALU_DEP_1) | instskip(NEXT) | instid1(VALU_DEP_1)
	v_subrev_nc_u32_e32 v41, 28, v1
	v_lshlrev_b64_e32 v[42:43], v41, v[9:10]
	v_sub_nc_u32_e32 v41, 29, v1
	s_delay_alu instid0(VALU_DEP_2)
	v_and_b32_e32 v1, 7, v42
; %bb.143:                              ;   in Loop: Header=BB278_10 Depth=1
	s_or_b32 exec_lo, exec_lo, s36
	v_lshlrev_b32_e32 v42, 8, v9
	s_delay_alu instid0(VALU_DEP_3) | instskip(NEXT) | instid1(VALU_DEP_3)
	v_lshl_add_u32 v41, v41, 10, 0x2000
	v_lshlrev_b32_e32 v1, 7, v1
	s_delay_alu instid0(VALU_DEP_3) | instskip(NEXT) | instid1(VALU_DEP_3)
	v_and_b32_e32 v42, 0x8000, v42
	v_and_b32_e32 v41, 0xfc00, v41
	s_delay_alu instid0(VALU_DEP_1)
	v_or3_b32 v41, v42, v41, v1
.LBB278_144:                            ;   in Loop: Header=BB278_10 Depth=1
	s_wait_alu 0xfffe
	s_or_b32 exec_lo, exec_lo, s35
.LBB278_145:                            ;   in Loop: Header=BB278_10 Depth=1
	s_wait_alu 0xfffe
	s_or_b32 exec_lo, exec_lo, s34
.LBB278_146:                            ;   in Loop: Header=BB278_10 Depth=1
	s_wait_alu 0xfffe
	s_or_b32 exec_lo, exec_lo, s6
	v_lshrrev_b16 v1, 8, v9
	s_mov_b32 s6, exec_lo
	s_delay_alu instid0(VALU_DEP_1)
	v_cmpx_ne_u16_e32 0, v1
	s_cbranch_execz .LBB278_154
; %bb.147:                              ;   in Loop: Header=BB278_10 Depth=1
	v_bfrev_b32_e32 v40, 1
	s_mov_b32 s34, exec_lo
	v_cmpx_ne_u16_e32 0x80, v1
	s_cbranch_execz .LBB278_153
; %bb.148:                              ;   in Loop: Header=BB278_10 Depth=1
	v_and_b32_e32 v42, 0xffff, v1
	v_mov_b32_e32 v40, 0x7c010000
	s_mov_b32 s35, exec_lo
	s_delay_alu instid0(VALU_DEP_2) | instskip(NEXT) | instid1(VALU_DEP_1)
	v_and_b32_e32 v44, 0x7f, v42
	v_cmpx_ne_u32_e32 0x7f, v44
	s_cbranch_execz .LBB278_152
; %bb.149:                              ;   in Loop: Header=BB278_10 Depth=1
	v_and_b32_e32 v40, 7, v42
	v_lshrrev_b32_e32 v43, 3, v44
	s_mov_b32 s36, exec_lo
	v_cmpx_gt_u32_e32 8, v44
; %bb.150:                              ;   in Loop: Header=BB278_10 Depth=1
	s_delay_alu instid0(VALU_DEP_3) | instskip(NEXT) | instid1(VALU_DEP_1)
	v_clz_i32_u32_e32 v40, v40
	v_min_u32_e32 v40, 32, v40
	s_delay_alu instid0(VALU_DEP_1) | instskip(NEXT) | instid1(VALU_DEP_1)
	v_subrev_nc_u32_e32 v43, 28, v40
	v_lshlrev_b64_e32 v[44:45], v43, v[1:2]
	v_sub_nc_u32_e32 v43, 29, v40
	s_delay_alu instid0(VALU_DEP_2)
	v_and_b32_e32 v40, 7, v44
; %bb.151:                              ;   in Loop: Header=BB278_10 Depth=1
	s_or_b32 exec_lo, exec_lo, s36
	v_lshlrev_b32_e32 v1, 8, v42
	s_delay_alu instid0(VALU_DEP_3) | instskip(NEXT) | instid1(VALU_DEP_3)
	v_lshl_add_u32 v42, v43, 10, 0x2000
	v_lshlrev_b32_e32 v40, 23, v40
	s_delay_alu instid0(VALU_DEP_2) | instskip(NEXT) | instid1(VALU_DEP_1)
	v_and_or_b32 v1, 0x8000, v1, v42
	v_lshl_or_b32 v40, v1, 16, v40
.LBB278_152:                            ;   in Loop: Header=BB278_10 Depth=1
	s_wait_alu 0xfffe
	s_or_b32 exec_lo, exec_lo, s35
.LBB278_153:                            ;   in Loop: Header=BB278_10 Depth=1
	s_wait_alu 0xfffe
	s_or_b32 exec_lo, exec_lo, s34
.LBB278_154:                            ;   in Loop: Header=BB278_10 Depth=1
	s_wait_alu 0xfffe
	s_or_b32 exec_lo, exec_lo, s6
	v_lshrrev_b32_e32 v1, 16, v9
	v_mov_b32_e32 v44, 0
	s_mov_b32 s6, exec_lo
	s_delay_alu instid0(VALU_DEP_2) | instskip(NEXT) | instid1(VALU_DEP_1)
	v_dual_mov_b32 v45, 0 :: v_dual_and_b32 v42, 0xff, v1
	v_cmpx_ne_u16_e32 0, v42
	s_cbranch_execz .LBB278_162
; %bb.155:                              ;   in Loop: Header=BB278_10 Depth=1
	v_mov_b32_e32 v45, 0x8000
	s_mov_b32 s34, exec_lo
	v_cmpx_ne_u16_e32 0x80, v42
	s_cbranch_execz .LBB278_161
; %bb.156:                              ;   in Loop: Header=BB278_10 Depth=1
	v_bfe_u32 v46, v9, 16, 7
	v_mov_b32_e32 v45, 0x7c01
	s_mov_b32 s35, exec_lo
	s_delay_alu instid0(VALU_DEP_2)
	v_cmpx_ne_u32_e32 0x7f, v46
	s_cbranch_execz .LBB278_160
; %bb.157:                              ;   in Loop: Header=BB278_10 Depth=1
	v_and_b32_e32 v42, 7, v1
	v_lshrrev_b32_e32 v43, 3, v46
	s_mov_b32 s36, exec_lo
	v_cmpx_gt_u32_e32 8, v46
; %bb.158:                              ;   in Loop: Header=BB278_10 Depth=1
	s_delay_alu instid0(VALU_DEP_3) | instskip(NEXT) | instid1(VALU_DEP_1)
	v_clz_i32_u32_e32 v42, v42
	v_min_u32_e32 v45, 32, v42
	s_delay_alu instid0(VALU_DEP_1) | instskip(NEXT) | instid1(VALU_DEP_1)
	v_subrev_nc_u32_e32 v42, 28, v45
	v_lshlrev_b64_e32 v[42:43], v42, v[1:2]
	v_sub_nc_u32_e32 v43, 29, v45
	s_delay_alu instid0(VALU_DEP_2)
	v_and_b32_e32 v42, 7, v42
; %bb.159:                              ;   in Loop: Header=BB278_10 Depth=1
	s_or_b32 exec_lo, exec_lo, s36
	v_lshlrev_b32_e32 v1, 8, v1
	s_delay_alu instid0(VALU_DEP_3) | instskip(NEXT) | instid1(VALU_DEP_3)
	v_lshl_add_u32 v43, v43, 10, 0x2000
	v_lshlrev_b32_e32 v42, 7, v42
	s_delay_alu instid0(VALU_DEP_3) | instskip(NEXT) | instid1(VALU_DEP_3)
	v_and_b32_e32 v1, 0x8000, v1
	v_and_b32_e32 v43, 0xfc00, v43
	s_delay_alu instid0(VALU_DEP_1)
	v_or3_b32 v45, v1, v43, v42
.LBB278_160:                            ;   in Loop: Header=BB278_10 Depth=1
	s_wait_alu 0xfffe
	s_or_b32 exec_lo, exec_lo, s35
.LBB278_161:                            ;   in Loop: Header=BB278_10 Depth=1
	s_wait_alu 0xfffe
	s_or_b32 exec_lo, exec_lo, s34
.LBB278_162:                            ;   in Loop: Header=BB278_10 Depth=1
	s_wait_alu 0xfffe
	s_or_b32 exec_lo, exec_lo, s6
	s_delay_alu instid0(SALU_CYCLE_1)
	s_mov_b32 s6, exec_lo
	v_cmpx_lt_u32_e32 0xffffff, v9
	s_cbranch_execz .LBB278_170
; %bb.163:                              ;   in Loop: Header=BB278_10 Depth=1
	v_lshrrev_b32_e32 v1, 24, v9
	v_bfrev_b32_e32 v44, 1
	s_mov_b32 s34, exec_lo
	s_delay_alu instid0(VALU_DEP_2)
	v_cmpx_ne_u32_e32 0x80, v1
	s_cbranch_execz .LBB278_169
; %bb.164:                              ;   in Loop: Header=BB278_10 Depth=1
	v_and_b32_e32 v43, 0x7f, v1
	v_mov_b32_e32 v44, 0x7c010000
	s_mov_b32 s35, exec_lo
	s_delay_alu instid0(VALU_DEP_2)
	v_cmpx_ne_u32_e32 0x7f, v43
	s_cbranch_execz .LBB278_168
; %bb.165:                              ;   in Loop: Header=BB278_10 Depth=1
	v_and_b32_e32 v9, 7, v1
	v_lshrrev_b32_e32 v42, 3, v43
	s_mov_b32 s36, exec_lo
	v_cmpx_gt_u32_e32 8, v43
; %bb.166:                              ;   in Loop: Header=BB278_10 Depth=1
	s_delay_alu instid0(VALU_DEP_3) | instskip(NEXT) | instid1(VALU_DEP_1)
	v_clz_i32_u32_e32 v9, v9
	v_min_u32_e32 v9, 32, v9
	s_delay_alu instid0(VALU_DEP_1) | instskip(NEXT) | instid1(VALU_DEP_1)
	v_subrev_nc_u32_e32 v42, 28, v9
	v_lshlrev_b64_e32 v[43:44], v42, v[1:2]
	v_sub_nc_u32_e32 v42, 29, v9
	s_delay_alu instid0(VALU_DEP_2)
	v_and_b32_e32 v9, 7, v43
; %bb.167:                              ;   in Loop: Header=BB278_10 Depth=1
	s_or_b32 exec_lo, exec_lo, s36
	v_lshlrev_b32_e32 v1, 8, v1
	s_delay_alu instid0(VALU_DEP_3) | instskip(NEXT) | instid1(VALU_DEP_3)
	v_lshl_add_u32 v42, v42, 10, 0x2000
	v_lshlrev_b32_e32 v9, 23, v9
	s_delay_alu instid0(VALU_DEP_2) | instskip(NEXT) | instid1(VALU_DEP_1)
	v_and_or_b32 v1, 0x8000, v1, v42
	v_lshl_or_b32 v44, v1, 16, v9
.LBB278_168:                            ;   in Loop: Header=BB278_10 Depth=1
	s_wait_alu 0xfffe
	s_or_b32 exec_lo, exec_lo, s35
.LBB278_169:                            ;   in Loop: Header=BB278_10 Depth=1
	s_wait_alu 0xfffe
	s_or_b32 exec_lo, exec_lo, s34
.LBB278_170:                            ;   in Loop: Header=BB278_10 Depth=1
	s_wait_alu 0xfffe
	s_or_b32 exec_lo, exec_lo, s6
	global_load_b32 v9, v[7:8], off offset:520
	v_mov_b32_e32 v43, 0
	s_mov_b32 s6, exec_lo
	s_wait_loadcnt 0x0
	v_dual_mov_b32 v42, 0 :: v_dual_and_b32 v1, 0xff, v9
	s_delay_alu instid0(VALU_DEP_1)
	v_cmpx_ne_u16_e32 0, v1
	s_cbranch_execz .LBB278_178
; %bb.171:                              ;   in Loop: Header=BB278_10 Depth=1
	v_mov_b32_e32 v43, 0x8000
	s_mov_b32 s34, exec_lo
	v_cmpx_ne_u16_e32 0x80, v1
	s_cbranch_execz .LBB278_177
; %bb.172:                              ;   in Loop: Header=BB278_10 Depth=1
	v_and_b32_e32 v46, 0x7f, v9
	v_mov_b32_e32 v43, 0x7c01
	s_mov_b32 s35, exec_lo
	s_delay_alu instid0(VALU_DEP_2)
	v_cmpx_ne_u32_e32 0x7f, v46
	s_cbranch_execz .LBB278_176
; %bb.173:                              ;   in Loop: Header=BB278_10 Depth=1
	v_and_b32_e32 v1, 7, v9
	v_lshrrev_b32_e32 v43, 3, v46
	s_mov_b32 s36, exec_lo
	v_cmpx_gt_u32_e32 8, v46
; %bb.174:                              ;   in Loop: Header=BB278_10 Depth=1
	s_delay_alu instid0(VALU_DEP_3) | instskip(NEXT) | instid1(VALU_DEP_1)
	v_clz_i32_u32_e32 v1, v1
	v_min_u32_e32 v1, 32, v1
	s_delay_alu instid0(VALU_DEP_1) | instskip(NEXT) | instid1(VALU_DEP_1)
	v_subrev_nc_u32_e32 v43, 28, v1
	v_lshlrev_b64_e32 v[46:47], v43, v[9:10]
	v_sub_nc_u32_e32 v43, 29, v1
	s_delay_alu instid0(VALU_DEP_2)
	v_and_b32_e32 v1, 7, v46
; %bb.175:                              ;   in Loop: Header=BB278_10 Depth=1
	s_or_b32 exec_lo, exec_lo, s36
	v_lshlrev_b32_e32 v46, 8, v9
	s_delay_alu instid0(VALU_DEP_3) | instskip(NEXT) | instid1(VALU_DEP_3)
	v_lshl_add_u32 v43, v43, 10, 0x2000
	v_lshlrev_b32_e32 v1, 7, v1
	s_delay_alu instid0(VALU_DEP_3) | instskip(NEXT) | instid1(VALU_DEP_3)
	v_and_b32_e32 v46, 0x8000, v46
	v_and_b32_e32 v43, 0xfc00, v43
	s_delay_alu instid0(VALU_DEP_1)
	v_or3_b32 v43, v46, v43, v1
.LBB278_176:                            ;   in Loop: Header=BB278_10 Depth=1
	s_wait_alu 0xfffe
	s_or_b32 exec_lo, exec_lo, s35
.LBB278_177:                            ;   in Loop: Header=BB278_10 Depth=1
	s_wait_alu 0xfffe
	s_or_b32 exec_lo, exec_lo, s34
.LBB278_178:                            ;   in Loop: Header=BB278_10 Depth=1
	s_wait_alu 0xfffe
	s_or_b32 exec_lo, exec_lo, s6
	v_lshrrev_b16 v1, 8, v9
	s_mov_b32 s6, exec_lo
	s_delay_alu instid0(VALU_DEP_1)
	v_cmpx_ne_u16_e32 0, v1
	s_cbranch_execz .LBB278_186
; %bb.179:                              ;   in Loop: Header=BB278_10 Depth=1
	v_bfrev_b32_e32 v42, 1
	s_mov_b32 s34, exec_lo
	v_cmpx_ne_u16_e32 0x80, v1
	s_cbranch_execz .LBB278_185
; %bb.180:                              ;   in Loop: Header=BB278_10 Depth=1
	v_and_b32_e32 v46, 0xffff, v1
	v_mov_b32_e32 v42, 0x7c010000
	s_mov_b32 s35, exec_lo
	s_delay_alu instid0(VALU_DEP_2) | instskip(NEXT) | instid1(VALU_DEP_1)
	v_and_b32_e32 v48, 0x7f, v46
	v_cmpx_ne_u32_e32 0x7f, v48
	s_cbranch_execz .LBB278_184
; %bb.181:                              ;   in Loop: Header=BB278_10 Depth=1
	v_and_b32_e32 v42, 7, v46
	v_lshrrev_b32_e32 v47, 3, v48
	s_mov_b32 s36, exec_lo
	v_cmpx_gt_u32_e32 8, v48
; %bb.182:                              ;   in Loop: Header=BB278_10 Depth=1
	s_delay_alu instid0(VALU_DEP_3) | instskip(NEXT) | instid1(VALU_DEP_1)
	v_clz_i32_u32_e32 v42, v42
	v_min_u32_e32 v42, 32, v42
	s_delay_alu instid0(VALU_DEP_1) | instskip(NEXT) | instid1(VALU_DEP_1)
	v_subrev_nc_u32_e32 v47, 28, v42
	v_lshlrev_b64_e32 v[48:49], v47, v[1:2]
	v_sub_nc_u32_e32 v47, 29, v42
	s_delay_alu instid0(VALU_DEP_2)
	v_and_b32_e32 v42, 7, v48
; %bb.183:                              ;   in Loop: Header=BB278_10 Depth=1
	s_or_b32 exec_lo, exec_lo, s36
	v_lshlrev_b32_e32 v1, 8, v46
	s_delay_alu instid0(VALU_DEP_3) | instskip(NEXT) | instid1(VALU_DEP_3)
	v_lshl_add_u32 v46, v47, 10, 0x2000
	v_lshlrev_b32_e32 v42, 23, v42
	s_delay_alu instid0(VALU_DEP_2) | instskip(NEXT) | instid1(VALU_DEP_1)
	v_and_or_b32 v1, 0x8000, v1, v46
	v_lshl_or_b32 v42, v1, 16, v42
.LBB278_184:                            ;   in Loop: Header=BB278_10 Depth=1
	s_wait_alu 0xfffe
	s_or_b32 exec_lo, exec_lo, s35
.LBB278_185:                            ;   in Loop: Header=BB278_10 Depth=1
	s_wait_alu 0xfffe
	s_or_b32 exec_lo, exec_lo, s34
.LBB278_186:                            ;   in Loop: Header=BB278_10 Depth=1
	s_wait_alu 0xfffe
	s_or_b32 exec_lo, exec_lo, s6
	v_lshrrev_b32_e32 v1, 16, v9
	v_mov_b32_e32 v46, 0
	s_mov_b32 s6, exec_lo
	s_delay_alu instid0(VALU_DEP_2) | instskip(NEXT) | instid1(VALU_DEP_1)
	v_dual_mov_b32 v47, 0 :: v_dual_and_b32 v48, 0xff, v1
	v_cmpx_ne_u16_e32 0, v48
	s_cbranch_execz .LBB278_194
; %bb.187:                              ;   in Loop: Header=BB278_10 Depth=1
	v_mov_b32_e32 v47, 0x8000
	s_mov_b32 s34, exec_lo
	v_cmpx_ne_u16_e32 0x80, v48
	s_cbranch_execz .LBB278_193
; %bb.188:                              ;   in Loop: Header=BB278_10 Depth=1
	v_bfe_u32 v49, v9, 16, 7
	v_mov_b32_e32 v47, 0x7c01
	s_mov_b32 s35, exec_lo
	s_delay_alu instid0(VALU_DEP_2)
	v_cmpx_ne_u32_e32 0x7f, v49
	s_cbranch_execz .LBB278_192
; %bb.189:                              ;   in Loop: Header=BB278_10 Depth=1
	v_and_b32_e32 v47, 7, v1
	v_lshrrev_b32_e32 v48, 3, v49
	s_mov_b32 s36, exec_lo
	v_cmpx_gt_u32_e32 8, v49
; %bb.190:                              ;   in Loop: Header=BB278_10 Depth=1
	s_delay_alu instid0(VALU_DEP_3) | instskip(NEXT) | instid1(VALU_DEP_1)
	v_clz_i32_u32_e32 v47, v47
	v_min_u32_e32 v49, 32, v47
	s_delay_alu instid0(VALU_DEP_1) | instskip(NEXT) | instid1(VALU_DEP_1)
	v_subrev_nc_u32_e32 v47, 28, v49
	v_lshlrev_b64_e32 v[47:48], v47, v[1:2]
	v_sub_nc_u32_e32 v48, 29, v49
	s_delay_alu instid0(VALU_DEP_2)
	v_and_b32_e32 v47, 7, v47
; %bb.191:                              ;   in Loop: Header=BB278_10 Depth=1
	s_or_b32 exec_lo, exec_lo, s36
	v_lshlrev_b32_e32 v1, 8, v1
	s_delay_alu instid0(VALU_DEP_3) | instskip(NEXT) | instid1(VALU_DEP_3)
	v_lshl_add_u32 v48, v48, 10, 0x2000
	v_lshlrev_b32_e32 v47, 7, v47
	s_delay_alu instid0(VALU_DEP_3) | instskip(NEXT) | instid1(VALU_DEP_3)
	v_and_b32_e32 v1, 0x8000, v1
	v_and_b32_e32 v48, 0xfc00, v48
	s_delay_alu instid0(VALU_DEP_1)
	v_or3_b32 v47, v1, v48, v47
.LBB278_192:                            ;   in Loop: Header=BB278_10 Depth=1
	s_wait_alu 0xfffe
	s_or_b32 exec_lo, exec_lo, s35
.LBB278_193:                            ;   in Loop: Header=BB278_10 Depth=1
	s_wait_alu 0xfffe
	s_or_b32 exec_lo, exec_lo, s34
.LBB278_194:                            ;   in Loop: Header=BB278_10 Depth=1
	s_wait_alu 0xfffe
	s_or_b32 exec_lo, exec_lo, s6
	s_delay_alu instid0(SALU_CYCLE_1)
	s_mov_b32 s6, exec_lo
	v_cmpx_lt_u32_e32 0xffffff, v9
	s_cbranch_execz .LBB278_202
; %bb.195:                              ;   in Loop: Header=BB278_10 Depth=1
	v_lshrrev_b32_e32 v1, 24, v9
	v_bfrev_b32_e32 v46, 1
	s_mov_b32 s34, exec_lo
	s_delay_alu instid0(VALU_DEP_2)
	v_cmpx_ne_u32_e32 0x80, v1
	s_cbranch_execz .LBB278_201
; %bb.196:                              ;   in Loop: Header=BB278_10 Depth=1
	v_and_b32_e32 v48, 0x7f, v1
	v_mov_b32_e32 v46, 0x7c010000
	s_mov_b32 s35, exec_lo
	s_delay_alu instid0(VALU_DEP_2)
	v_cmpx_ne_u32_e32 0x7f, v48
	s_cbranch_execz .LBB278_200
; %bb.197:                              ;   in Loop: Header=BB278_10 Depth=1
	v_and_b32_e32 v9, 7, v1
	v_lshrrev_b32_e32 v46, 3, v48
	s_mov_b32 s36, exec_lo
	v_cmpx_gt_u32_e32 8, v48
; %bb.198:                              ;   in Loop: Header=BB278_10 Depth=1
	s_delay_alu instid0(VALU_DEP_3) | instskip(NEXT) | instid1(VALU_DEP_1)
	v_clz_i32_u32_e32 v9, v9
	v_min_u32_e32 v9, 32, v9
	s_delay_alu instid0(VALU_DEP_1) | instskip(NEXT) | instid1(VALU_DEP_1)
	v_subrev_nc_u32_e32 v46, 28, v9
	v_lshlrev_b64_e32 v[48:49], v46, v[1:2]
	v_sub_nc_u32_e32 v46, 29, v9
	s_delay_alu instid0(VALU_DEP_2)
	v_and_b32_e32 v9, 7, v48
; %bb.199:                              ;   in Loop: Header=BB278_10 Depth=1
	s_or_b32 exec_lo, exec_lo, s36
	v_lshlrev_b32_e32 v1, 8, v1
	s_delay_alu instid0(VALU_DEP_3) | instskip(NEXT) | instid1(VALU_DEP_3)
	v_lshl_add_u32 v46, v46, 10, 0x2000
	v_lshlrev_b32_e32 v9, 23, v9
	s_delay_alu instid0(VALU_DEP_2) | instskip(NEXT) | instid1(VALU_DEP_1)
	v_and_or_b32 v1, 0x8000, v1, v46
	v_lshl_or_b32 v46, v1, 16, v9
.LBB278_200:                            ;   in Loop: Header=BB278_10 Depth=1
	s_wait_alu 0xfffe
	s_or_b32 exec_lo, exec_lo, s35
.LBB278_201:                            ;   in Loop: Header=BB278_10 Depth=1
	s_wait_alu 0xfffe
	s_or_b32 exec_lo, exec_lo, s34
.LBB278_202:                            ;   in Loop: Header=BB278_10 Depth=1
	s_wait_alu 0xfffe
	s_or_b32 exec_lo, exec_lo, s6
	global_load_b32 v9, v[7:8], off offset:768
	v_mov_b32_e32 v49, 0
	s_mov_b32 s6, exec_lo
	s_wait_loadcnt 0x0
	v_dual_mov_b32 v48, 0 :: v_dual_and_b32 v1, 0xff, v9
	s_delay_alu instid0(VALU_DEP_1)
	v_cmpx_ne_u16_e32 0, v1
	s_cbranch_execz .LBB278_210
; %bb.203:                              ;   in Loop: Header=BB278_10 Depth=1
	v_mov_b32_e32 v49, 0x8000
	s_mov_b32 s34, exec_lo
	v_cmpx_ne_u16_e32 0x80, v1
	s_cbranch_execz .LBB278_209
; %bb.204:                              ;   in Loop: Header=BB278_10 Depth=1
	v_and_b32_e32 v50, 0x7f, v9
	v_mov_b32_e32 v49, 0x7c01
	s_mov_b32 s35, exec_lo
	s_delay_alu instid0(VALU_DEP_2)
	v_cmpx_ne_u32_e32 0x7f, v50
	s_cbranch_execz .LBB278_208
; %bb.205:                              ;   in Loop: Header=BB278_10 Depth=1
	v_and_b32_e32 v1, 7, v9
	v_lshrrev_b32_e32 v49, 3, v50
	s_mov_b32 s36, exec_lo
	v_cmpx_gt_u32_e32 8, v50
; %bb.206:                              ;   in Loop: Header=BB278_10 Depth=1
	s_delay_alu instid0(VALU_DEP_3) | instskip(NEXT) | instid1(VALU_DEP_1)
	v_clz_i32_u32_e32 v1, v1
	v_min_u32_e32 v1, 32, v1
	s_delay_alu instid0(VALU_DEP_1) | instskip(NEXT) | instid1(VALU_DEP_1)
	v_subrev_nc_u32_e32 v49, 28, v1
	v_lshlrev_b64_e32 v[50:51], v49, v[9:10]
	v_sub_nc_u32_e32 v49, 29, v1
	s_delay_alu instid0(VALU_DEP_2)
	v_and_b32_e32 v1, 7, v50
; %bb.207:                              ;   in Loop: Header=BB278_10 Depth=1
	s_or_b32 exec_lo, exec_lo, s36
	v_lshlrev_b32_e32 v50, 8, v9
	s_delay_alu instid0(VALU_DEP_3) | instskip(NEXT) | instid1(VALU_DEP_3)
	v_lshl_add_u32 v49, v49, 10, 0x2000
	v_lshlrev_b32_e32 v1, 7, v1
	s_delay_alu instid0(VALU_DEP_3) | instskip(NEXT) | instid1(VALU_DEP_3)
	v_and_b32_e32 v50, 0x8000, v50
	v_and_b32_e32 v49, 0xfc00, v49
	s_delay_alu instid0(VALU_DEP_1)
	v_or3_b32 v49, v50, v49, v1
.LBB278_208:                            ;   in Loop: Header=BB278_10 Depth=1
	s_wait_alu 0xfffe
	s_or_b32 exec_lo, exec_lo, s35
.LBB278_209:                            ;   in Loop: Header=BB278_10 Depth=1
	s_wait_alu 0xfffe
	s_or_b32 exec_lo, exec_lo, s34
.LBB278_210:                            ;   in Loop: Header=BB278_10 Depth=1
	s_wait_alu 0xfffe
	s_or_b32 exec_lo, exec_lo, s6
	v_lshrrev_b16 v1, 8, v9
	s_mov_b32 s6, exec_lo
	s_delay_alu instid0(VALU_DEP_1)
	v_cmpx_ne_u16_e32 0, v1
	s_cbranch_execz .LBB278_218
; %bb.211:                              ;   in Loop: Header=BB278_10 Depth=1
	v_bfrev_b32_e32 v48, 1
	s_mov_b32 s34, exec_lo
	v_cmpx_ne_u16_e32 0x80, v1
	s_cbranch_execz .LBB278_217
; %bb.212:                              ;   in Loop: Header=BB278_10 Depth=1
	v_and_b32_e32 v50, 0xffff, v1
	v_mov_b32_e32 v48, 0x7c010000
	s_mov_b32 s35, exec_lo
	s_delay_alu instid0(VALU_DEP_2) | instskip(NEXT) | instid1(VALU_DEP_1)
	v_and_b32_e32 v52, 0x7f, v50
	v_cmpx_ne_u32_e32 0x7f, v52
	s_cbranch_execz .LBB278_216
; %bb.213:                              ;   in Loop: Header=BB278_10 Depth=1
	v_and_b32_e32 v48, 7, v50
	v_lshrrev_b32_e32 v51, 3, v52
	s_mov_b32 s36, exec_lo
	v_cmpx_gt_u32_e32 8, v52
; %bb.214:                              ;   in Loop: Header=BB278_10 Depth=1
	s_delay_alu instid0(VALU_DEP_3) | instskip(NEXT) | instid1(VALU_DEP_1)
	v_clz_i32_u32_e32 v48, v48
	v_min_u32_e32 v48, 32, v48
	s_delay_alu instid0(VALU_DEP_1) | instskip(NEXT) | instid1(VALU_DEP_1)
	v_subrev_nc_u32_e32 v51, 28, v48
	v_lshlrev_b64_e32 v[52:53], v51, v[1:2]
	v_sub_nc_u32_e32 v51, 29, v48
	s_delay_alu instid0(VALU_DEP_2)
	v_and_b32_e32 v48, 7, v52
; %bb.215:                              ;   in Loop: Header=BB278_10 Depth=1
	s_or_b32 exec_lo, exec_lo, s36
	v_lshlrev_b32_e32 v1, 8, v50
	s_delay_alu instid0(VALU_DEP_3) | instskip(NEXT) | instid1(VALU_DEP_3)
	v_lshl_add_u32 v50, v51, 10, 0x2000
	v_lshlrev_b32_e32 v48, 23, v48
	s_delay_alu instid0(VALU_DEP_2) | instskip(NEXT) | instid1(VALU_DEP_1)
	v_and_or_b32 v1, 0x8000, v1, v50
	v_lshl_or_b32 v48, v1, 16, v48
.LBB278_216:                            ;   in Loop: Header=BB278_10 Depth=1
	s_wait_alu 0xfffe
	s_or_b32 exec_lo, exec_lo, s35
.LBB278_217:                            ;   in Loop: Header=BB278_10 Depth=1
	s_wait_alu 0xfffe
	s_or_b32 exec_lo, exec_lo, s34
.LBB278_218:                            ;   in Loop: Header=BB278_10 Depth=1
	s_wait_alu 0xfffe
	s_or_b32 exec_lo, exec_lo, s6
	v_lshrrev_b32_e32 v1, 16, v9
	v_mov_b32_e32 v50, 0
	s_mov_b32 s6, exec_lo
	s_delay_alu instid0(VALU_DEP_2) | instskip(NEXT) | instid1(VALU_DEP_1)
	v_dual_mov_b32 v51, 0 :: v_dual_and_b32 v52, 0xff, v1
	v_cmpx_ne_u16_e32 0, v52
	s_cbranch_execz .LBB278_226
; %bb.219:                              ;   in Loop: Header=BB278_10 Depth=1
	v_mov_b32_e32 v51, 0x8000
	s_mov_b32 s34, exec_lo
	v_cmpx_ne_u16_e32 0x80, v52
	s_cbranch_execz .LBB278_225
; %bb.220:                              ;   in Loop: Header=BB278_10 Depth=1
	v_bfe_u32 v53, v9, 16, 7
	v_mov_b32_e32 v51, 0x7c01
	s_mov_b32 s35, exec_lo
	s_delay_alu instid0(VALU_DEP_2)
	v_cmpx_ne_u32_e32 0x7f, v53
	s_cbranch_execz .LBB278_224
; %bb.221:                              ;   in Loop: Header=BB278_10 Depth=1
	v_and_b32_e32 v51, 7, v1
	v_lshrrev_b32_e32 v52, 3, v53
	s_mov_b32 s36, exec_lo
	v_cmpx_gt_u32_e32 8, v53
; %bb.222:                              ;   in Loop: Header=BB278_10 Depth=1
	s_delay_alu instid0(VALU_DEP_3) | instskip(NEXT) | instid1(VALU_DEP_1)
	v_clz_i32_u32_e32 v51, v51
	v_min_u32_e32 v53, 32, v51
	s_delay_alu instid0(VALU_DEP_1) | instskip(NEXT) | instid1(VALU_DEP_1)
	v_subrev_nc_u32_e32 v51, 28, v53
	v_lshlrev_b64_e32 v[51:52], v51, v[1:2]
	v_sub_nc_u32_e32 v52, 29, v53
	s_delay_alu instid0(VALU_DEP_2)
	v_and_b32_e32 v51, 7, v51
; %bb.223:                              ;   in Loop: Header=BB278_10 Depth=1
	s_or_b32 exec_lo, exec_lo, s36
	v_lshlrev_b32_e32 v1, 8, v1
	s_delay_alu instid0(VALU_DEP_3) | instskip(NEXT) | instid1(VALU_DEP_3)
	v_lshl_add_u32 v52, v52, 10, 0x2000
	v_lshlrev_b32_e32 v51, 7, v51
	s_delay_alu instid0(VALU_DEP_3) | instskip(NEXT) | instid1(VALU_DEP_3)
	v_and_b32_e32 v1, 0x8000, v1
	v_and_b32_e32 v52, 0xfc00, v52
	s_delay_alu instid0(VALU_DEP_1)
	v_or3_b32 v51, v1, v52, v51
.LBB278_224:                            ;   in Loop: Header=BB278_10 Depth=1
	s_wait_alu 0xfffe
	s_or_b32 exec_lo, exec_lo, s35
.LBB278_225:                            ;   in Loop: Header=BB278_10 Depth=1
	s_wait_alu 0xfffe
	s_or_b32 exec_lo, exec_lo, s34
.LBB278_226:                            ;   in Loop: Header=BB278_10 Depth=1
	s_wait_alu 0xfffe
	s_or_b32 exec_lo, exec_lo, s6
	s_delay_alu instid0(SALU_CYCLE_1)
	s_mov_b32 s6, exec_lo
	v_cmpx_lt_u32_e32 0xffffff, v9
	s_cbranch_execz .LBB278_234
; %bb.227:                              ;   in Loop: Header=BB278_10 Depth=1
	v_lshrrev_b32_e32 v1, 24, v9
	v_bfrev_b32_e32 v50, 1
	s_mov_b32 s34, exec_lo
	s_delay_alu instid0(VALU_DEP_2)
	v_cmpx_ne_u32_e32 0x80, v1
	s_cbranch_execz .LBB278_233
; %bb.228:                              ;   in Loop: Header=BB278_10 Depth=1
	v_and_b32_e32 v52, 0x7f, v1
	v_mov_b32_e32 v50, 0x7c010000
	s_mov_b32 s35, exec_lo
	s_delay_alu instid0(VALU_DEP_2)
	v_cmpx_ne_u32_e32 0x7f, v52
	s_cbranch_execz .LBB278_232
; %bb.229:                              ;   in Loop: Header=BB278_10 Depth=1
	v_and_b32_e32 v9, 7, v1
	v_lshrrev_b32_e32 v50, 3, v52
	s_mov_b32 s36, exec_lo
	v_cmpx_gt_u32_e32 8, v52
; %bb.230:                              ;   in Loop: Header=BB278_10 Depth=1
	s_delay_alu instid0(VALU_DEP_3) | instskip(NEXT) | instid1(VALU_DEP_1)
	v_clz_i32_u32_e32 v9, v9
	v_min_u32_e32 v9, 32, v9
	s_delay_alu instid0(VALU_DEP_1) | instskip(NEXT) | instid1(VALU_DEP_1)
	v_subrev_nc_u32_e32 v50, 28, v9
	v_lshlrev_b64_e32 v[52:53], v50, v[1:2]
	v_sub_nc_u32_e32 v50, 29, v9
	s_delay_alu instid0(VALU_DEP_2)
	v_and_b32_e32 v9, 7, v52
; %bb.231:                              ;   in Loop: Header=BB278_10 Depth=1
	s_or_b32 exec_lo, exec_lo, s36
	v_lshlrev_b32_e32 v1, 8, v1
	s_delay_alu instid0(VALU_DEP_3) | instskip(NEXT) | instid1(VALU_DEP_3)
	v_lshl_add_u32 v50, v50, 10, 0x2000
	v_lshlrev_b32_e32 v9, 23, v9
	s_delay_alu instid0(VALU_DEP_2) | instskip(NEXT) | instid1(VALU_DEP_1)
	v_and_or_b32 v1, 0x8000, v1, v50
	v_lshl_or_b32 v50, v1, 16, v9
.LBB278_232:                            ;   in Loop: Header=BB278_10 Depth=1
	s_wait_alu 0xfffe
	s_or_b32 exec_lo, exec_lo, s35
.LBB278_233:                            ;   in Loop: Header=BB278_10 Depth=1
	s_wait_alu 0xfffe
	s_or_b32 exec_lo, exec_lo, s34
.LBB278_234:                            ;   in Loop: Header=BB278_10 Depth=1
	s_wait_alu 0xfffe
	s_or_b32 exec_lo, exec_lo, s6
	global_load_b32 v9, v[7:8], off offset:776
	v_mov_b32_e32 v53, 0
	s_mov_b32 s6, exec_lo
	s_wait_loadcnt 0x0
	v_dual_mov_b32 v52, 0 :: v_dual_and_b32 v1, 0xff, v9
	s_delay_alu instid0(VALU_DEP_1)
	v_cmpx_ne_u16_e32 0, v1
	s_cbranch_execz .LBB278_242
; %bb.235:                              ;   in Loop: Header=BB278_10 Depth=1
	v_mov_b32_e32 v53, 0x8000
	s_mov_b32 s34, exec_lo
	v_cmpx_ne_u16_e32 0x80, v1
	s_cbranch_execz .LBB278_241
; %bb.236:                              ;   in Loop: Header=BB278_10 Depth=1
	v_and_b32_e32 v54, 0x7f, v9
	v_mov_b32_e32 v53, 0x7c01
	s_mov_b32 s35, exec_lo
	s_delay_alu instid0(VALU_DEP_2)
	v_cmpx_ne_u32_e32 0x7f, v54
	s_cbranch_execz .LBB278_240
; %bb.237:                              ;   in Loop: Header=BB278_10 Depth=1
	v_and_b32_e32 v1, 7, v9
	v_lshrrev_b32_e32 v53, 3, v54
	s_mov_b32 s36, exec_lo
	v_cmpx_gt_u32_e32 8, v54
; %bb.238:                              ;   in Loop: Header=BB278_10 Depth=1
	s_delay_alu instid0(VALU_DEP_3) | instskip(NEXT) | instid1(VALU_DEP_1)
	v_clz_i32_u32_e32 v1, v1
	v_min_u32_e32 v1, 32, v1
	s_delay_alu instid0(VALU_DEP_1) | instskip(NEXT) | instid1(VALU_DEP_1)
	v_subrev_nc_u32_e32 v53, 28, v1
	v_lshlrev_b64_e32 v[54:55], v53, v[9:10]
	v_sub_nc_u32_e32 v53, 29, v1
	s_delay_alu instid0(VALU_DEP_2)
	v_and_b32_e32 v1, 7, v54
; %bb.239:                              ;   in Loop: Header=BB278_10 Depth=1
	s_or_b32 exec_lo, exec_lo, s36
	v_lshlrev_b32_e32 v54, 8, v9
	s_delay_alu instid0(VALU_DEP_3) | instskip(NEXT) | instid1(VALU_DEP_3)
	v_lshl_add_u32 v53, v53, 10, 0x2000
	v_lshlrev_b32_e32 v1, 7, v1
	s_delay_alu instid0(VALU_DEP_3) | instskip(NEXT) | instid1(VALU_DEP_3)
	v_and_b32_e32 v54, 0x8000, v54
	v_and_b32_e32 v53, 0xfc00, v53
	s_delay_alu instid0(VALU_DEP_1)
	v_or3_b32 v53, v54, v53, v1
.LBB278_240:                            ;   in Loop: Header=BB278_10 Depth=1
	s_wait_alu 0xfffe
	s_or_b32 exec_lo, exec_lo, s35
.LBB278_241:                            ;   in Loop: Header=BB278_10 Depth=1
	s_wait_alu 0xfffe
	s_or_b32 exec_lo, exec_lo, s34
.LBB278_242:                            ;   in Loop: Header=BB278_10 Depth=1
	s_wait_alu 0xfffe
	s_or_b32 exec_lo, exec_lo, s6
	v_lshrrev_b16 v1, 8, v9
	s_mov_b32 s6, exec_lo
	s_delay_alu instid0(VALU_DEP_1)
	v_cmpx_ne_u16_e32 0, v1
	s_cbranch_execz .LBB278_250
; %bb.243:                              ;   in Loop: Header=BB278_10 Depth=1
	v_bfrev_b32_e32 v52, 1
	s_mov_b32 s34, exec_lo
	v_cmpx_ne_u16_e32 0x80, v1
	s_cbranch_execz .LBB278_249
; %bb.244:                              ;   in Loop: Header=BB278_10 Depth=1
	v_and_b32_e32 v54, 0xffff, v1
	v_mov_b32_e32 v52, 0x7c010000
	s_mov_b32 s35, exec_lo
	s_delay_alu instid0(VALU_DEP_2) | instskip(NEXT) | instid1(VALU_DEP_1)
	v_and_b32_e32 v56, 0x7f, v54
	v_cmpx_ne_u32_e32 0x7f, v56
	s_cbranch_execz .LBB278_248
; %bb.245:                              ;   in Loop: Header=BB278_10 Depth=1
	v_and_b32_e32 v52, 7, v54
	v_lshrrev_b32_e32 v55, 3, v56
	s_mov_b32 s36, exec_lo
	v_cmpx_gt_u32_e32 8, v56
; %bb.246:                              ;   in Loop: Header=BB278_10 Depth=1
	s_delay_alu instid0(VALU_DEP_3) | instskip(NEXT) | instid1(VALU_DEP_1)
	v_clz_i32_u32_e32 v52, v52
	v_min_u32_e32 v52, 32, v52
	s_delay_alu instid0(VALU_DEP_1) | instskip(NEXT) | instid1(VALU_DEP_1)
	v_subrev_nc_u32_e32 v55, 28, v52
	v_lshlrev_b64_e32 v[56:57], v55, v[1:2]
	v_sub_nc_u32_e32 v55, 29, v52
	s_delay_alu instid0(VALU_DEP_2)
	v_and_b32_e32 v52, 7, v56
; %bb.247:                              ;   in Loop: Header=BB278_10 Depth=1
	s_or_b32 exec_lo, exec_lo, s36
	v_lshlrev_b32_e32 v1, 8, v54
	s_delay_alu instid0(VALU_DEP_3) | instskip(NEXT) | instid1(VALU_DEP_3)
	v_lshl_add_u32 v54, v55, 10, 0x2000
	v_lshlrev_b32_e32 v52, 23, v52
	s_delay_alu instid0(VALU_DEP_2) | instskip(NEXT) | instid1(VALU_DEP_1)
	v_and_or_b32 v1, 0x8000, v1, v54
	v_lshl_or_b32 v52, v1, 16, v52
.LBB278_248:                            ;   in Loop: Header=BB278_10 Depth=1
	s_wait_alu 0xfffe
	s_or_b32 exec_lo, exec_lo, s35
.LBB278_249:                            ;   in Loop: Header=BB278_10 Depth=1
	s_wait_alu 0xfffe
	s_or_b32 exec_lo, exec_lo, s34
.LBB278_250:                            ;   in Loop: Header=BB278_10 Depth=1
	s_wait_alu 0xfffe
	s_or_b32 exec_lo, exec_lo, s6
	v_lshrrev_b32_e32 v1, 16, v9
	v_mov_b32_e32 v54, 0
	s_mov_b32 s6, exec_lo
	s_delay_alu instid0(VALU_DEP_2) | instskip(NEXT) | instid1(VALU_DEP_1)
	v_dual_mov_b32 v55, 0 :: v_dual_and_b32 v56, 0xff, v1
	v_cmpx_ne_u16_e32 0, v56
	s_cbranch_execz .LBB278_258
; %bb.251:                              ;   in Loop: Header=BB278_10 Depth=1
	v_mov_b32_e32 v55, 0x8000
	s_mov_b32 s34, exec_lo
	v_cmpx_ne_u16_e32 0x80, v56
	s_cbranch_execz .LBB278_257
; %bb.252:                              ;   in Loop: Header=BB278_10 Depth=1
	v_bfe_u32 v57, v9, 16, 7
	v_mov_b32_e32 v55, 0x7c01
	s_mov_b32 s35, exec_lo
	s_delay_alu instid0(VALU_DEP_2)
	v_cmpx_ne_u32_e32 0x7f, v57
	s_cbranch_execz .LBB278_256
; %bb.253:                              ;   in Loop: Header=BB278_10 Depth=1
	v_and_b32_e32 v55, 7, v1
	v_lshrrev_b32_e32 v56, 3, v57
	s_mov_b32 s36, exec_lo
	v_cmpx_gt_u32_e32 8, v57
; %bb.254:                              ;   in Loop: Header=BB278_10 Depth=1
	s_delay_alu instid0(VALU_DEP_3) | instskip(NEXT) | instid1(VALU_DEP_1)
	v_clz_i32_u32_e32 v55, v55
	v_min_u32_e32 v57, 32, v55
	s_delay_alu instid0(VALU_DEP_1) | instskip(NEXT) | instid1(VALU_DEP_1)
	v_subrev_nc_u32_e32 v55, 28, v57
	v_lshlrev_b64_e32 v[55:56], v55, v[1:2]
	v_sub_nc_u32_e32 v56, 29, v57
	s_delay_alu instid0(VALU_DEP_2)
	v_and_b32_e32 v55, 7, v55
; %bb.255:                              ;   in Loop: Header=BB278_10 Depth=1
	s_or_b32 exec_lo, exec_lo, s36
	v_lshlrev_b32_e32 v1, 8, v1
	s_delay_alu instid0(VALU_DEP_3) | instskip(NEXT) | instid1(VALU_DEP_3)
	v_lshl_add_u32 v56, v56, 10, 0x2000
	v_lshlrev_b32_e32 v55, 7, v55
	s_delay_alu instid0(VALU_DEP_3) | instskip(NEXT) | instid1(VALU_DEP_3)
	v_and_b32_e32 v1, 0x8000, v1
	v_and_b32_e32 v56, 0xfc00, v56
	s_delay_alu instid0(VALU_DEP_1)
	v_or3_b32 v55, v1, v56, v55
.LBB278_256:                            ;   in Loop: Header=BB278_10 Depth=1
	s_wait_alu 0xfffe
	s_or_b32 exec_lo, exec_lo, s35
.LBB278_257:                            ;   in Loop: Header=BB278_10 Depth=1
	s_wait_alu 0xfffe
	s_or_b32 exec_lo, exec_lo, s34
.LBB278_258:                            ;   in Loop: Header=BB278_10 Depth=1
	s_wait_alu 0xfffe
	s_or_b32 exec_lo, exec_lo, s6
	s_delay_alu instid0(SALU_CYCLE_1)
	s_mov_b32 s6, exec_lo
	v_cmpx_lt_u32_e32 0xffffff, v9
	s_cbranch_execz .LBB278_266
; %bb.259:                              ;   in Loop: Header=BB278_10 Depth=1
	v_lshrrev_b32_e32 v1, 24, v9
	v_bfrev_b32_e32 v54, 1
	s_mov_b32 s34, exec_lo
	s_delay_alu instid0(VALU_DEP_2)
	v_cmpx_ne_u32_e32 0x80, v1
	s_cbranch_execz .LBB278_265
; %bb.260:                              ;   in Loop: Header=BB278_10 Depth=1
	v_and_b32_e32 v56, 0x7f, v1
	v_mov_b32_e32 v54, 0x7c010000
	s_mov_b32 s35, exec_lo
	s_delay_alu instid0(VALU_DEP_2)
	v_cmpx_ne_u32_e32 0x7f, v56
	s_cbranch_execz .LBB278_264
; %bb.261:                              ;   in Loop: Header=BB278_10 Depth=1
	v_and_b32_e32 v9, 7, v1
	v_lshrrev_b32_e32 v54, 3, v56
	s_mov_b32 s36, exec_lo
	v_cmpx_gt_u32_e32 8, v56
; %bb.262:                              ;   in Loop: Header=BB278_10 Depth=1
	s_delay_alu instid0(VALU_DEP_3) | instskip(NEXT) | instid1(VALU_DEP_1)
	v_clz_i32_u32_e32 v9, v9
	v_min_u32_e32 v9, 32, v9
	s_delay_alu instid0(VALU_DEP_1) | instskip(NEXT) | instid1(VALU_DEP_1)
	v_subrev_nc_u32_e32 v54, 28, v9
	v_lshlrev_b64_e32 v[56:57], v54, v[1:2]
	v_sub_nc_u32_e32 v54, 29, v9
	s_delay_alu instid0(VALU_DEP_2)
	v_and_b32_e32 v9, 7, v56
; %bb.263:                              ;   in Loop: Header=BB278_10 Depth=1
	s_or_b32 exec_lo, exec_lo, s36
	v_lshlrev_b32_e32 v1, 8, v1
	s_delay_alu instid0(VALU_DEP_3) | instskip(NEXT) | instid1(VALU_DEP_3)
	v_lshl_add_u32 v54, v54, 10, 0x2000
	v_lshlrev_b32_e32 v9, 23, v9
	s_delay_alu instid0(VALU_DEP_2) | instskip(NEXT) | instid1(VALU_DEP_1)
	v_and_or_b32 v1, 0x8000, v1, v54
	v_lshl_or_b32 v54, v1, 16, v9
.LBB278_264:                            ;   in Loop: Header=BB278_10 Depth=1
	s_wait_alu 0xfffe
	s_or_b32 exec_lo, exec_lo, s35
.LBB278_265:                            ;   in Loop: Header=BB278_10 Depth=1
	s_wait_alu 0xfffe
	s_or_b32 exec_lo, exec_lo, s34
.LBB278_266:                            ;   in Loop: Header=BB278_10 Depth=1
	s_wait_alu 0xfffe
	s_or_b32 exec_lo, exec_lo, s6
	global_load_b32 v9, v[7:8], off offset:1024
	v_mov_b32_e32 v57, 0
	s_mov_b32 s6, exec_lo
	s_wait_loadcnt 0x0
	v_dual_mov_b32 v56, 0 :: v_dual_and_b32 v1, 0xff, v9
	s_delay_alu instid0(VALU_DEP_1)
	v_cmpx_ne_u16_e32 0, v1
	s_cbranch_execz .LBB278_274
; %bb.267:                              ;   in Loop: Header=BB278_10 Depth=1
	v_mov_b32_e32 v57, 0x8000
	s_mov_b32 s34, exec_lo
	v_cmpx_ne_u16_e32 0x80, v1
	s_cbranch_execz .LBB278_273
; %bb.268:                              ;   in Loop: Header=BB278_10 Depth=1
	v_and_b32_e32 v58, 0x7f, v9
	v_mov_b32_e32 v57, 0x7c01
	s_mov_b32 s35, exec_lo
	s_delay_alu instid0(VALU_DEP_2)
	v_cmpx_ne_u32_e32 0x7f, v58
	s_cbranch_execz .LBB278_272
; %bb.269:                              ;   in Loop: Header=BB278_10 Depth=1
	v_and_b32_e32 v1, 7, v9
	v_lshrrev_b32_e32 v57, 3, v58
	s_mov_b32 s36, exec_lo
	v_cmpx_gt_u32_e32 8, v58
; %bb.270:                              ;   in Loop: Header=BB278_10 Depth=1
	s_delay_alu instid0(VALU_DEP_3) | instskip(NEXT) | instid1(VALU_DEP_1)
	v_clz_i32_u32_e32 v1, v1
	v_min_u32_e32 v1, 32, v1
	s_delay_alu instid0(VALU_DEP_1) | instskip(NEXT) | instid1(VALU_DEP_1)
	v_subrev_nc_u32_e32 v57, 28, v1
	v_lshlrev_b64_e32 v[58:59], v57, v[9:10]
	v_sub_nc_u32_e32 v57, 29, v1
	s_delay_alu instid0(VALU_DEP_2)
	v_and_b32_e32 v1, 7, v58
; %bb.271:                              ;   in Loop: Header=BB278_10 Depth=1
	s_or_b32 exec_lo, exec_lo, s36
	v_lshlrev_b32_e32 v58, 8, v9
	s_delay_alu instid0(VALU_DEP_3) | instskip(NEXT) | instid1(VALU_DEP_3)
	v_lshl_add_u32 v57, v57, 10, 0x2000
	v_lshlrev_b32_e32 v1, 7, v1
	s_delay_alu instid0(VALU_DEP_3) | instskip(NEXT) | instid1(VALU_DEP_3)
	v_and_b32_e32 v58, 0x8000, v58
	v_and_b32_e32 v57, 0xfc00, v57
	s_delay_alu instid0(VALU_DEP_1)
	v_or3_b32 v57, v58, v57, v1
.LBB278_272:                            ;   in Loop: Header=BB278_10 Depth=1
	s_wait_alu 0xfffe
	s_or_b32 exec_lo, exec_lo, s35
.LBB278_273:                            ;   in Loop: Header=BB278_10 Depth=1
	s_wait_alu 0xfffe
	s_or_b32 exec_lo, exec_lo, s34
.LBB278_274:                            ;   in Loop: Header=BB278_10 Depth=1
	s_wait_alu 0xfffe
	s_or_b32 exec_lo, exec_lo, s6
	v_lshrrev_b16 v1, 8, v9
	s_mov_b32 s6, exec_lo
	s_delay_alu instid0(VALU_DEP_1)
	v_cmpx_ne_u16_e32 0, v1
	s_cbranch_execz .LBB278_282
; %bb.275:                              ;   in Loop: Header=BB278_10 Depth=1
	v_bfrev_b32_e32 v56, 1
	s_mov_b32 s34, exec_lo
	v_cmpx_ne_u16_e32 0x80, v1
	s_cbranch_execz .LBB278_281
; %bb.276:                              ;   in Loop: Header=BB278_10 Depth=1
	v_and_b32_e32 v58, 0xffff, v1
	v_mov_b32_e32 v56, 0x7c010000
	s_mov_b32 s35, exec_lo
	s_delay_alu instid0(VALU_DEP_2) | instskip(NEXT) | instid1(VALU_DEP_1)
	v_and_b32_e32 v60, 0x7f, v58
	v_cmpx_ne_u32_e32 0x7f, v60
	s_cbranch_execz .LBB278_280
; %bb.277:                              ;   in Loop: Header=BB278_10 Depth=1
	v_and_b32_e32 v56, 7, v58
	v_lshrrev_b32_e32 v59, 3, v60
	s_mov_b32 s36, exec_lo
	v_cmpx_gt_u32_e32 8, v60
; %bb.278:                              ;   in Loop: Header=BB278_10 Depth=1
	s_delay_alu instid0(VALU_DEP_3) | instskip(NEXT) | instid1(VALU_DEP_1)
	v_clz_i32_u32_e32 v56, v56
	v_min_u32_e32 v56, 32, v56
	s_delay_alu instid0(VALU_DEP_1) | instskip(NEXT) | instid1(VALU_DEP_1)
	v_subrev_nc_u32_e32 v59, 28, v56
	v_lshlrev_b64_e32 v[60:61], v59, v[1:2]
	v_sub_nc_u32_e32 v59, 29, v56
	s_delay_alu instid0(VALU_DEP_2)
	v_and_b32_e32 v56, 7, v60
; %bb.279:                              ;   in Loop: Header=BB278_10 Depth=1
	s_or_b32 exec_lo, exec_lo, s36
	v_lshlrev_b32_e32 v1, 8, v58
	s_delay_alu instid0(VALU_DEP_3) | instskip(NEXT) | instid1(VALU_DEP_3)
	v_lshl_add_u32 v58, v59, 10, 0x2000
	v_lshlrev_b32_e32 v56, 23, v56
	s_delay_alu instid0(VALU_DEP_2) | instskip(NEXT) | instid1(VALU_DEP_1)
	v_and_or_b32 v1, 0x8000, v1, v58
	v_lshl_or_b32 v56, v1, 16, v56
.LBB278_280:                            ;   in Loop: Header=BB278_10 Depth=1
	s_wait_alu 0xfffe
	s_or_b32 exec_lo, exec_lo, s35
.LBB278_281:                            ;   in Loop: Header=BB278_10 Depth=1
	s_wait_alu 0xfffe
	s_or_b32 exec_lo, exec_lo, s34
.LBB278_282:                            ;   in Loop: Header=BB278_10 Depth=1
	s_wait_alu 0xfffe
	s_or_b32 exec_lo, exec_lo, s6
	v_lshrrev_b32_e32 v1, 16, v9
	v_mov_b32_e32 v58, 0
	s_mov_b32 s6, exec_lo
	s_delay_alu instid0(VALU_DEP_2) | instskip(NEXT) | instid1(VALU_DEP_1)
	v_dual_mov_b32 v59, 0 :: v_dual_and_b32 v60, 0xff, v1
	v_cmpx_ne_u16_e32 0, v60
	s_cbranch_execz .LBB278_290
; %bb.283:                              ;   in Loop: Header=BB278_10 Depth=1
	v_mov_b32_e32 v59, 0x8000
	s_mov_b32 s34, exec_lo
	v_cmpx_ne_u16_e32 0x80, v60
	s_cbranch_execz .LBB278_289
; %bb.284:                              ;   in Loop: Header=BB278_10 Depth=1
	v_bfe_u32 v61, v9, 16, 7
	v_mov_b32_e32 v59, 0x7c01
	s_mov_b32 s35, exec_lo
	s_delay_alu instid0(VALU_DEP_2)
	v_cmpx_ne_u32_e32 0x7f, v61
	s_cbranch_execz .LBB278_288
; %bb.285:                              ;   in Loop: Header=BB278_10 Depth=1
	v_and_b32_e32 v59, 7, v1
	v_lshrrev_b32_e32 v60, 3, v61
	s_mov_b32 s36, exec_lo
	v_cmpx_gt_u32_e32 8, v61
; %bb.286:                              ;   in Loop: Header=BB278_10 Depth=1
	s_delay_alu instid0(VALU_DEP_3) | instskip(NEXT) | instid1(VALU_DEP_1)
	v_clz_i32_u32_e32 v59, v59
	v_min_u32_e32 v61, 32, v59
	s_delay_alu instid0(VALU_DEP_1) | instskip(NEXT) | instid1(VALU_DEP_1)
	v_subrev_nc_u32_e32 v59, 28, v61
	v_lshlrev_b64_e32 v[59:60], v59, v[1:2]
	v_sub_nc_u32_e32 v60, 29, v61
	s_delay_alu instid0(VALU_DEP_2)
	v_and_b32_e32 v59, 7, v59
; %bb.287:                              ;   in Loop: Header=BB278_10 Depth=1
	s_or_b32 exec_lo, exec_lo, s36
	v_lshlrev_b32_e32 v1, 8, v1
	s_delay_alu instid0(VALU_DEP_3) | instskip(NEXT) | instid1(VALU_DEP_3)
	v_lshl_add_u32 v60, v60, 10, 0x2000
	v_lshlrev_b32_e32 v59, 7, v59
	s_delay_alu instid0(VALU_DEP_3) | instskip(NEXT) | instid1(VALU_DEP_3)
	v_and_b32_e32 v1, 0x8000, v1
	v_and_b32_e32 v60, 0xfc00, v60
	s_delay_alu instid0(VALU_DEP_1)
	v_or3_b32 v59, v1, v60, v59
.LBB278_288:                            ;   in Loop: Header=BB278_10 Depth=1
	s_wait_alu 0xfffe
	s_or_b32 exec_lo, exec_lo, s35
.LBB278_289:                            ;   in Loop: Header=BB278_10 Depth=1
	s_wait_alu 0xfffe
	s_or_b32 exec_lo, exec_lo, s34
.LBB278_290:                            ;   in Loop: Header=BB278_10 Depth=1
	s_wait_alu 0xfffe
	s_or_b32 exec_lo, exec_lo, s6
	s_delay_alu instid0(SALU_CYCLE_1)
	s_mov_b32 s6, exec_lo
	v_cmpx_lt_u32_e32 0xffffff, v9
	s_cbranch_execz .LBB278_298
; %bb.291:                              ;   in Loop: Header=BB278_10 Depth=1
	v_lshrrev_b32_e32 v1, 24, v9
	v_bfrev_b32_e32 v58, 1
	s_mov_b32 s34, exec_lo
	s_delay_alu instid0(VALU_DEP_2)
	v_cmpx_ne_u32_e32 0x80, v1
	s_cbranch_execz .LBB278_297
; %bb.292:                              ;   in Loop: Header=BB278_10 Depth=1
	v_and_b32_e32 v60, 0x7f, v1
	v_mov_b32_e32 v58, 0x7c010000
	s_mov_b32 s35, exec_lo
	s_delay_alu instid0(VALU_DEP_2)
	v_cmpx_ne_u32_e32 0x7f, v60
	s_cbranch_execz .LBB278_296
; %bb.293:                              ;   in Loop: Header=BB278_10 Depth=1
	v_and_b32_e32 v9, 7, v1
	v_lshrrev_b32_e32 v58, 3, v60
	s_mov_b32 s36, exec_lo
	v_cmpx_gt_u32_e32 8, v60
; %bb.294:                              ;   in Loop: Header=BB278_10 Depth=1
	s_delay_alu instid0(VALU_DEP_3) | instskip(NEXT) | instid1(VALU_DEP_1)
	v_clz_i32_u32_e32 v9, v9
	v_min_u32_e32 v9, 32, v9
	s_delay_alu instid0(VALU_DEP_1) | instskip(NEXT) | instid1(VALU_DEP_1)
	v_subrev_nc_u32_e32 v58, 28, v9
	v_lshlrev_b64_e32 v[60:61], v58, v[1:2]
	v_sub_nc_u32_e32 v58, 29, v9
	s_delay_alu instid0(VALU_DEP_2)
	v_and_b32_e32 v9, 7, v60
; %bb.295:                              ;   in Loop: Header=BB278_10 Depth=1
	s_or_b32 exec_lo, exec_lo, s36
	v_lshlrev_b32_e32 v1, 8, v1
	s_delay_alu instid0(VALU_DEP_3) | instskip(NEXT) | instid1(VALU_DEP_3)
	v_lshl_add_u32 v58, v58, 10, 0x2000
	v_lshlrev_b32_e32 v9, 23, v9
	s_delay_alu instid0(VALU_DEP_2) | instskip(NEXT) | instid1(VALU_DEP_1)
	v_and_or_b32 v1, 0x8000, v1, v58
	v_lshl_or_b32 v58, v1, 16, v9
.LBB278_296:                            ;   in Loop: Header=BB278_10 Depth=1
	s_wait_alu 0xfffe
	s_or_b32 exec_lo, exec_lo, s35
.LBB278_297:                            ;   in Loop: Header=BB278_10 Depth=1
	s_wait_alu 0xfffe
	s_or_b32 exec_lo, exec_lo, s34
.LBB278_298:                            ;   in Loop: Header=BB278_10 Depth=1
	s_wait_alu 0xfffe
	s_or_b32 exec_lo, exec_lo, s6
	global_load_b32 v9, v[7:8], off offset:1032
	v_mov_b32_e32 v61, 0
	s_mov_b32 s6, exec_lo
	s_wait_loadcnt 0x0
	v_dual_mov_b32 v60, 0 :: v_dual_and_b32 v1, 0xff, v9
	s_delay_alu instid0(VALU_DEP_1)
	v_cmpx_ne_u16_e32 0, v1
	s_cbranch_execz .LBB278_306
; %bb.299:                              ;   in Loop: Header=BB278_10 Depth=1
	v_mov_b32_e32 v61, 0x8000
	s_mov_b32 s34, exec_lo
	v_cmpx_ne_u16_e32 0x80, v1
	s_cbranch_execz .LBB278_305
; %bb.300:                              ;   in Loop: Header=BB278_10 Depth=1
	v_and_b32_e32 v62, 0x7f, v9
	v_mov_b32_e32 v61, 0x7c01
	s_mov_b32 s35, exec_lo
	s_delay_alu instid0(VALU_DEP_2)
	v_cmpx_ne_u32_e32 0x7f, v62
	s_cbranch_execz .LBB278_304
; %bb.301:                              ;   in Loop: Header=BB278_10 Depth=1
	v_and_b32_e32 v1, 7, v9
	v_lshrrev_b32_e32 v61, 3, v62
	s_mov_b32 s36, exec_lo
	v_cmpx_gt_u32_e32 8, v62
; %bb.302:                              ;   in Loop: Header=BB278_10 Depth=1
	s_delay_alu instid0(VALU_DEP_3) | instskip(NEXT) | instid1(VALU_DEP_1)
	v_clz_i32_u32_e32 v1, v1
	v_min_u32_e32 v1, 32, v1
	s_delay_alu instid0(VALU_DEP_1) | instskip(NEXT) | instid1(VALU_DEP_1)
	v_subrev_nc_u32_e32 v61, 28, v1
	v_lshlrev_b64_e32 v[62:63], v61, v[9:10]
	v_sub_nc_u32_e32 v61, 29, v1
	s_delay_alu instid0(VALU_DEP_2)
	v_and_b32_e32 v1, 7, v62
; %bb.303:                              ;   in Loop: Header=BB278_10 Depth=1
	s_or_b32 exec_lo, exec_lo, s36
	v_lshlrev_b32_e32 v62, 8, v9
	s_delay_alu instid0(VALU_DEP_3) | instskip(NEXT) | instid1(VALU_DEP_3)
	v_lshl_add_u32 v61, v61, 10, 0x2000
	v_lshlrev_b32_e32 v1, 7, v1
	s_delay_alu instid0(VALU_DEP_3) | instskip(NEXT) | instid1(VALU_DEP_3)
	v_and_b32_e32 v62, 0x8000, v62
	v_and_b32_e32 v61, 0xfc00, v61
	s_delay_alu instid0(VALU_DEP_1)
	v_or3_b32 v61, v62, v61, v1
.LBB278_304:                            ;   in Loop: Header=BB278_10 Depth=1
	s_wait_alu 0xfffe
	s_or_b32 exec_lo, exec_lo, s35
.LBB278_305:                            ;   in Loop: Header=BB278_10 Depth=1
	s_wait_alu 0xfffe
	s_or_b32 exec_lo, exec_lo, s34
.LBB278_306:                            ;   in Loop: Header=BB278_10 Depth=1
	s_wait_alu 0xfffe
	s_or_b32 exec_lo, exec_lo, s6
	v_lshrrev_b16 v1, 8, v9
	s_mov_b32 s6, exec_lo
	s_delay_alu instid0(VALU_DEP_1)
	v_cmpx_ne_u16_e32 0, v1
	s_cbranch_execz .LBB278_314
; %bb.307:                              ;   in Loop: Header=BB278_10 Depth=1
	v_bfrev_b32_e32 v60, 1
	s_mov_b32 s34, exec_lo
	v_cmpx_ne_u16_e32 0x80, v1
	s_cbranch_execz .LBB278_313
; %bb.308:                              ;   in Loop: Header=BB278_10 Depth=1
	v_and_b32_e32 v62, 0xffff, v1
	v_mov_b32_e32 v60, 0x7c010000
	s_mov_b32 s35, exec_lo
	s_delay_alu instid0(VALU_DEP_2) | instskip(NEXT) | instid1(VALU_DEP_1)
	v_and_b32_e32 v64, 0x7f, v62
	v_cmpx_ne_u32_e32 0x7f, v64
	s_cbranch_execz .LBB278_312
; %bb.309:                              ;   in Loop: Header=BB278_10 Depth=1
	v_and_b32_e32 v60, 7, v62
	v_lshrrev_b32_e32 v63, 3, v64
	s_mov_b32 s36, exec_lo
	v_cmpx_gt_u32_e32 8, v64
; %bb.310:                              ;   in Loop: Header=BB278_10 Depth=1
	s_delay_alu instid0(VALU_DEP_3) | instskip(NEXT) | instid1(VALU_DEP_1)
	v_clz_i32_u32_e32 v60, v60
	v_min_u32_e32 v60, 32, v60
	s_delay_alu instid0(VALU_DEP_1) | instskip(NEXT) | instid1(VALU_DEP_1)
	v_subrev_nc_u32_e32 v63, 28, v60
	v_lshlrev_b64_e32 v[64:65], v63, v[1:2]
	v_sub_nc_u32_e32 v63, 29, v60
	s_delay_alu instid0(VALU_DEP_2)
	v_and_b32_e32 v60, 7, v64
; %bb.311:                              ;   in Loop: Header=BB278_10 Depth=1
	s_or_b32 exec_lo, exec_lo, s36
	v_lshlrev_b32_e32 v1, 8, v62
	s_delay_alu instid0(VALU_DEP_3) | instskip(NEXT) | instid1(VALU_DEP_3)
	v_lshl_add_u32 v62, v63, 10, 0x2000
	v_lshlrev_b32_e32 v60, 23, v60
	s_delay_alu instid0(VALU_DEP_2) | instskip(NEXT) | instid1(VALU_DEP_1)
	v_and_or_b32 v1, 0x8000, v1, v62
	v_lshl_or_b32 v60, v1, 16, v60
.LBB278_312:                            ;   in Loop: Header=BB278_10 Depth=1
	s_wait_alu 0xfffe
	s_or_b32 exec_lo, exec_lo, s35
.LBB278_313:                            ;   in Loop: Header=BB278_10 Depth=1
	s_wait_alu 0xfffe
	s_or_b32 exec_lo, exec_lo, s34
.LBB278_314:                            ;   in Loop: Header=BB278_10 Depth=1
	s_wait_alu 0xfffe
	s_or_b32 exec_lo, exec_lo, s6
	v_lshrrev_b32_e32 v1, 16, v9
	v_mov_b32_e32 v62, 0
	s_mov_b32 s6, exec_lo
	s_delay_alu instid0(VALU_DEP_2) | instskip(NEXT) | instid1(VALU_DEP_1)
	v_dual_mov_b32 v63, 0 :: v_dual_and_b32 v64, 0xff, v1
	v_cmpx_ne_u16_e32 0, v64
	s_cbranch_execz .LBB278_322
; %bb.315:                              ;   in Loop: Header=BB278_10 Depth=1
	v_mov_b32_e32 v63, 0x8000
	s_mov_b32 s34, exec_lo
	v_cmpx_ne_u16_e32 0x80, v64
	s_cbranch_execz .LBB278_321
; %bb.316:                              ;   in Loop: Header=BB278_10 Depth=1
	v_bfe_u32 v65, v9, 16, 7
	v_mov_b32_e32 v63, 0x7c01
	s_mov_b32 s35, exec_lo
	s_delay_alu instid0(VALU_DEP_2)
	v_cmpx_ne_u32_e32 0x7f, v65
	s_cbranch_execz .LBB278_320
; %bb.317:                              ;   in Loop: Header=BB278_10 Depth=1
	v_and_b32_e32 v63, 7, v1
	v_lshrrev_b32_e32 v64, 3, v65
	s_mov_b32 s36, exec_lo
	v_cmpx_gt_u32_e32 8, v65
; %bb.318:                              ;   in Loop: Header=BB278_10 Depth=1
	s_delay_alu instid0(VALU_DEP_3) | instskip(NEXT) | instid1(VALU_DEP_1)
	v_clz_i32_u32_e32 v63, v63
	v_min_u32_e32 v65, 32, v63
	s_delay_alu instid0(VALU_DEP_1) | instskip(NEXT) | instid1(VALU_DEP_1)
	v_subrev_nc_u32_e32 v63, 28, v65
	v_lshlrev_b64_e32 v[63:64], v63, v[1:2]
	v_sub_nc_u32_e32 v64, 29, v65
	s_delay_alu instid0(VALU_DEP_2)
	v_and_b32_e32 v63, 7, v63
; %bb.319:                              ;   in Loop: Header=BB278_10 Depth=1
	s_or_b32 exec_lo, exec_lo, s36
	v_lshlrev_b32_e32 v1, 8, v1
	s_delay_alu instid0(VALU_DEP_3) | instskip(NEXT) | instid1(VALU_DEP_3)
	v_lshl_add_u32 v64, v64, 10, 0x2000
	v_lshlrev_b32_e32 v63, 7, v63
	s_delay_alu instid0(VALU_DEP_3) | instskip(NEXT) | instid1(VALU_DEP_3)
	v_and_b32_e32 v1, 0x8000, v1
	v_and_b32_e32 v64, 0xfc00, v64
	s_delay_alu instid0(VALU_DEP_1)
	v_or3_b32 v63, v1, v64, v63
.LBB278_320:                            ;   in Loop: Header=BB278_10 Depth=1
	s_wait_alu 0xfffe
	s_or_b32 exec_lo, exec_lo, s35
.LBB278_321:                            ;   in Loop: Header=BB278_10 Depth=1
	s_wait_alu 0xfffe
	s_or_b32 exec_lo, exec_lo, s34
.LBB278_322:                            ;   in Loop: Header=BB278_10 Depth=1
	s_wait_alu 0xfffe
	s_or_b32 exec_lo, exec_lo, s6
	s_delay_alu instid0(SALU_CYCLE_1)
	s_mov_b32 s6, exec_lo
	v_cmpx_lt_u32_e32 0xffffff, v9
	s_cbranch_execz .LBB278_330
; %bb.323:                              ;   in Loop: Header=BB278_10 Depth=1
	v_lshrrev_b32_e32 v1, 24, v9
	v_bfrev_b32_e32 v62, 1
	s_mov_b32 s34, exec_lo
	s_delay_alu instid0(VALU_DEP_2)
	v_cmpx_ne_u32_e32 0x80, v1
	s_cbranch_execz .LBB278_329
; %bb.324:                              ;   in Loop: Header=BB278_10 Depth=1
	v_and_b32_e32 v64, 0x7f, v1
	v_mov_b32_e32 v62, 0x7c010000
	s_mov_b32 s35, exec_lo
	s_delay_alu instid0(VALU_DEP_2)
	v_cmpx_ne_u32_e32 0x7f, v64
	s_cbranch_execz .LBB278_328
; %bb.325:                              ;   in Loop: Header=BB278_10 Depth=1
	v_and_b32_e32 v9, 7, v1
	v_lshrrev_b32_e32 v62, 3, v64
	s_mov_b32 s36, exec_lo
	v_cmpx_gt_u32_e32 8, v64
; %bb.326:                              ;   in Loop: Header=BB278_10 Depth=1
	s_delay_alu instid0(VALU_DEP_3) | instskip(NEXT) | instid1(VALU_DEP_1)
	v_clz_i32_u32_e32 v9, v9
	v_min_u32_e32 v9, 32, v9
	s_delay_alu instid0(VALU_DEP_1) | instskip(NEXT) | instid1(VALU_DEP_1)
	v_subrev_nc_u32_e32 v62, 28, v9
	v_lshlrev_b64_e32 v[64:65], v62, v[1:2]
	v_sub_nc_u32_e32 v62, 29, v9
	s_delay_alu instid0(VALU_DEP_2)
	v_and_b32_e32 v9, 7, v64
; %bb.327:                              ;   in Loop: Header=BB278_10 Depth=1
	s_or_b32 exec_lo, exec_lo, s36
	v_lshlrev_b32_e32 v1, 8, v1
	s_delay_alu instid0(VALU_DEP_3) | instskip(NEXT) | instid1(VALU_DEP_3)
	v_lshl_add_u32 v62, v62, 10, 0x2000
	v_lshlrev_b32_e32 v9, 23, v9
	s_delay_alu instid0(VALU_DEP_2) | instskip(NEXT) | instid1(VALU_DEP_1)
	v_and_or_b32 v1, 0x8000, v1, v62
	v_lshl_or_b32 v62, v1, 16, v9
.LBB278_328:                            ;   in Loop: Header=BB278_10 Depth=1
	s_wait_alu 0xfffe
	s_or_b32 exec_lo, exec_lo, s35
.LBB278_329:                            ;   in Loop: Header=BB278_10 Depth=1
	s_wait_alu 0xfffe
	s_or_b32 exec_lo, exec_lo, s34
.LBB278_330:                            ;   in Loop: Header=BB278_10 Depth=1
	s_wait_alu 0xfffe
	s_or_b32 exec_lo, exec_lo, s6
	global_load_b32 v9, v[7:8], off offset:1280
	v_mov_b32_e32 v65, 0
	s_mov_b32 s6, exec_lo
	s_wait_loadcnt 0x0
	v_dual_mov_b32 v64, 0 :: v_dual_and_b32 v1, 0xff, v9
	s_delay_alu instid0(VALU_DEP_1)
	v_cmpx_ne_u16_e32 0, v1
	s_cbranch_execz .LBB278_338
; %bb.331:                              ;   in Loop: Header=BB278_10 Depth=1
	v_mov_b32_e32 v65, 0x8000
	s_mov_b32 s34, exec_lo
	v_cmpx_ne_u16_e32 0x80, v1
	s_cbranch_execz .LBB278_337
; %bb.332:                              ;   in Loop: Header=BB278_10 Depth=1
	v_and_b32_e32 v66, 0x7f, v9
	v_mov_b32_e32 v65, 0x7c01
	s_mov_b32 s35, exec_lo
	s_delay_alu instid0(VALU_DEP_2)
	v_cmpx_ne_u32_e32 0x7f, v66
	s_cbranch_execz .LBB278_336
; %bb.333:                              ;   in Loop: Header=BB278_10 Depth=1
	v_and_b32_e32 v1, 7, v9
	v_lshrrev_b32_e32 v65, 3, v66
	s_mov_b32 s36, exec_lo
	v_cmpx_gt_u32_e32 8, v66
; %bb.334:                              ;   in Loop: Header=BB278_10 Depth=1
	s_delay_alu instid0(VALU_DEP_3) | instskip(NEXT) | instid1(VALU_DEP_1)
	v_clz_i32_u32_e32 v1, v1
	v_min_u32_e32 v1, 32, v1
	s_delay_alu instid0(VALU_DEP_1) | instskip(NEXT) | instid1(VALU_DEP_1)
	v_subrev_nc_u32_e32 v65, 28, v1
	v_lshlrev_b64_e32 v[66:67], v65, v[9:10]
	v_sub_nc_u32_e32 v65, 29, v1
	s_delay_alu instid0(VALU_DEP_2)
	v_and_b32_e32 v1, 7, v66
; %bb.335:                              ;   in Loop: Header=BB278_10 Depth=1
	s_or_b32 exec_lo, exec_lo, s36
	v_lshlrev_b32_e32 v66, 8, v9
	s_delay_alu instid0(VALU_DEP_3) | instskip(NEXT) | instid1(VALU_DEP_3)
	v_lshl_add_u32 v65, v65, 10, 0x2000
	v_lshlrev_b32_e32 v1, 7, v1
	s_delay_alu instid0(VALU_DEP_3) | instskip(NEXT) | instid1(VALU_DEP_3)
	v_and_b32_e32 v66, 0x8000, v66
	v_and_b32_e32 v65, 0xfc00, v65
	s_delay_alu instid0(VALU_DEP_1)
	v_or3_b32 v65, v66, v65, v1
.LBB278_336:                            ;   in Loop: Header=BB278_10 Depth=1
	s_wait_alu 0xfffe
	s_or_b32 exec_lo, exec_lo, s35
.LBB278_337:                            ;   in Loop: Header=BB278_10 Depth=1
	s_wait_alu 0xfffe
	s_or_b32 exec_lo, exec_lo, s34
.LBB278_338:                            ;   in Loop: Header=BB278_10 Depth=1
	s_wait_alu 0xfffe
	s_or_b32 exec_lo, exec_lo, s6
	v_lshrrev_b16 v1, 8, v9
	s_mov_b32 s6, exec_lo
	s_delay_alu instid0(VALU_DEP_1)
	v_cmpx_ne_u16_e32 0, v1
	s_cbranch_execz .LBB278_346
; %bb.339:                              ;   in Loop: Header=BB278_10 Depth=1
	v_bfrev_b32_e32 v64, 1
	s_mov_b32 s34, exec_lo
	v_cmpx_ne_u16_e32 0x80, v1
	s_cbranch_execz .LBB278_345
; %bb.340:                              ;   in Loop: Header=BB278_10 Depth=1
	v_and_b32_e32 v66, 0xffff, v1
	v_mov_b32_e32 v64, 0x7c010000
	s_mov_b32 s35, exec_lo
	s_delay_alu instid0(VALU_DEP_2) | instskip(NEXT) | instid1(VALU_DEP_1)
	v_and_b32_e32 v68, 0x7f, v66
	v_cmpx_ne_u32_e32 0x7f, v68
	s_cbranch_execz .LBB278_344
; %bb.341:                              ;   in Loop: Header=BB278_10 Depth=1
	v_and_b32_e32 v64, 7, v66
	v_lshrrev_b32_e32 v67, 3, v68
	s_mov_b32 s36, exec_lo
	v_cmpx_gt_u32_e32 8, v68
; %bb.342:                              ;   in Loop: Header=BB278_10 Depth=1
	s_delay_alu instid0(VALU_DEP_3) | instskip(NEXT) | instid1(VALU_DEP_1)
	v_clz_i32_u32_e32 v64, v64
	v_min_u32_e32 v64, 32, v64
	s_delay_alu instid0(VALU_DEP_1) | instskip(NEXT) | instid1(VALU_DEP_1)
	v_subrev_nc_u32_e32 v67, 28, v64
	v_lshlrev_b64_e32 v[68:69], v67, v[1:2]
	v_sub_nc_u32_e32 v67, 29, v64
	s_delay_alu instid0(VALU_DEP_2)
	v_and_b32_e32 v64, 7, v68
; %bb.343:                              ;   in Loop: Header=BB278_10 Depth=1
	s_or_b32 exec_lo, exec_lo, s36
	v_lshlrev_b32_e32 v1, 8, v66
	s_delay_alu instid0(VALU_DEP_3) | instskip(NEXT) | instid1(VALU_DEP_3)
	v_lshl_add_u32 v66, v67, 10, 0x2000
	v_lshlrev_b32_e32 v64, 23, v64
	s_delay_alu instid0(VALU_DEP_2) | instskip(NEXT) | instid1(VALU_DEP_1)
	v_and_or_b32 v1, 0x8000, v1, v66
	v_lshl_or_b32 v64, v1, 16, v64
.LBB278_344:                            ;   in Loop: Header=BB278_10 Depth=1
	s_wait_alu 0xfffe
	s_or_b32 exec_lo, exec_lo, s35
.LBB278_345:                            ;   in Loop: Header=BB278_10 Depth=1
	s_wait_alu 0xfffe
	s_or_b32 exec_lo, exec_lo, s34
.LBB278_346:                            ;   in Loop: Header=BB278_10 Depth=1
	s_wait_alu 0xfffe
	s_or_b32 exec_lo, exec_lo, s6
	v_lshrrev_b32_e32 v1, 16, v9
	v_mov_b32_e32 v66, 0
	s_mov_b32 s6, exec_lo
	s_delay_alu instid0(VALU_DEP_2) | instskip(NEXT) | instid1(VALU_DEP_1)
	v_dual_mov_b32 v67, 0 :: v_dual_and_b32 v68, 0xff, v1
	v_cmpx_ne_u16_e32 0, v68
	s_cbranch_execz .LBB278_354
; %bb.347:                              ;   in Loop: Header=BB278_10 Depth=1
	v_mov_b32_e32 v67, 0x8000
	s_mov_b32 s34, exec_lo
	v_cmpx_ne_u16_e32 0x80, v68
	s_cbranch_execz .LBB278_353
; %bb.348:                              ;   in Loop: Header=BB278_10 Depth=1
	v_bfe_u32 v69, v9, 16, 7
	v_mov_b32_e32 v67, 0x7c01
	s_mov_b32 s35, exec_lo
	s_delay_alu instid0(VALU_DEP_2)
	v_cmpx_ne_u32_e32 0x7f, v69
	s_cbranch_execz .LBB278_352
; %bb.349:                              ;   in Loop: Header=BB278_10 Depth=1
	v_and_b32_e32 v67, 7, v1
	v_lshrrev_b32_e32 v68, 3, v69
	s_mov_b32 s36, exec_lo
	v_cmpx_gt_u32_e32 8, v69
; %bb.350:                              ;   in Loop: Header=BB278_10 Depth=1
	s_delay_alu instid0(VALU_DEP_3) | instskip(NEXT) | instid1(VALU_DEP_1)
	v_clz_i32_u32_e32 v67, v67
	v_min_u32_e32 v69, 32, v67
	s_delay_alu instid0(VALU_DEP_1) | instskip(NEXT) | instid1(VALU_DEP_1)
	v_subrev_nc_u32_e32 v67, 28, v69
	v_lshlrev_b64_e32 v[67:68], v67, v[1:2]
	v_sub_nc_u32_e32 v68, 29, v69
	s_delay_alu instid0(VALU_DEP_2)
	v_and_b32_e32 v67, 7, v67
; %bb.351:                              ;   in Loop: Header=BB278_10 Depth=1
	s_or_b32 exec_lo, exec_lo, s36
	v_lshlrev_b32_e32 v1, 8, v1
	s_delay_alu instid0(VALU_DEP_3) | instskip(NEXT) | instid1(VALU_DEP_3)
	v_lshl_add_u32 v68, v68, 10, 0x2000
	v_lshlrev_b32_e32 v67, 7, v67
	s_delay_alu instid0(VALU_DEP_3) | instskip(NEXT) | instid1(VALU_DEP_3)
	v_and_b32_e32 v1, 0x8000, v1
	v_and_b32_e32 v68, 0xfc00, v68
	s_delay_alu instid0(VALU_DEP_1)
	v_or3_b32 v67, v1, v68, v67
.LBB278_352:                            ;   in Loop: Header=BB278_10 Depth=1
	s_wait_alu 0xfffe
	s_or_b32 exec_lo, exec_lo, s35
.LBB278_353:                            ;   in Loop: Header=BB278_10 Depth=1
	s_wait_alu 0xfffe
	s_or_b32 exec_lo, exec_lo, s34
.LBB278_354:                            ;   in Loop: Header=BB278_10 Depth=1
	s_wait_alu 0xfffe
	s_or_b32 exec_lo, exec_lo, s6
	s_delay_alu instid0(SALU_CYCLE_1)
	s_mov_b32 s6, exec_lo
	v_cmpx_lt_u32_e32 0xffffff, v9
	s_cbranch_execz .LBB278_362
; %bb.355:                              ;   in Loop: Header=BB278_10 Depth=1
	v_lshrrev_b32_e32 v1, 24, v9
	v_bfrev_b32_e32 v66, 1
	s_mov_b32 s34, exec_lo
	s_delay_alu instid0(VALU_DEP_2)
	v_cmpx_ne_u32_e32 0x80, v1
	s_cbranch_execz .LBB278_361
; %bb.356:                              ;   in Loop: Header=BB278_10 Depth=1
	v_and_b32_e32 v68, 0x7f, v1
	v_mov_b32_e32 v66, 0x7c010000
	s_mov_b32 s35, exec_lo
	s_delay_alu instid0(VALU_DEP_2)
	v_cmpx_ne_u32_e32 0x7f, v68
	s_cbranch_execz .LBB278_360
; %bb.357:                              ;   in Loop: Header=BB278_10 Depth=1
	v_and_b32_e32 v9, 7, v1
	v_lshrrev_b32_e32 v66, 3, v68
	s_mov_b32 s36, exec_lo
	v_cmpx_gt_u32_e32 8, v68
; %bb.358:                              ;   in Loop: Header=BB278_10 Depth=1
	s_delay_alu instid0(VALU_DEP_3) | instskip(NEXT) | instid1(VALU_DEP_1)
	v_clz_i32_u32_e32 v9, v9
	v_min_u32_e32 v9, 32, v9
	s_delay_alu instid0(VALU_DEP_1) | instskip(NEXT) | instid1(VALU_DEP_1)
	v_subrev_nc_u32_e32 v66, 28, v9
	v_lshlrev_b64_e32 v[68:69], v66, v[1:2]
	v_sub_nc_u32_e32 v66, 29, v9
	s_delay_alu instid0(VALU_DEP_2)
	v_and_b32_e32 v9, 7, v68
; %bb.359:                              ;   in Loop: Header=BB278_10 Depth=1
	s_or_b32 exec_lo, exec_lo, s36
	v_lshlrev_b32_e32 v1, 8, v1
	s_delay_alu instid0(VALU_DEP_3) | instskip(NEXT) | instid1(VALU_DEP_3)
	v_lshl_add_u32 v66, v66, 10, 0x2000
	v_lshlrev_b32_e32 v9, 23, v9
	s_delay_alu instid0(VALU_DEP_2) | instskip(NEXT) | instid1(VALU_DEP_1)
	v_and_or_b32 v1, 0x8000, v1, v66
	v_lshl_or_b32 v66, v1, 16, v9
.LBB278_360:                            ;   in Loop: Header=BB278_10 Depth=1
	s_wait_alu 0xfffe
	s_or_b32 exec_lo, exec_lo, s35
.LBB278_361:                            ;   in Loop: Header=BB278_10 Depth=1
	s_wait_alu 0xfffe
	s_or_b32 exec_lo, exec_lo, s34
.LBB278_362:                            ;   in Loop: Header=BB278_10 Depth=1
	s_wait_alu 0xfffe
	s_or_b32 exec_lo, exec_lo, s6
	global_load_b32 v9, v[7:8], off offset:1288
	v_mov_b32_e32 v69, 0
	s_mov_b32 s6, exec_lo
	s_wait_loadcnt 0x0
	v_dual_mov_b32 v68, 0 :: v_dual_and_b32 v1, 0xff, v9
	s_delay_alu instid0(VALU_DEP_1)
	v_cmpx_ne_u16_e32 0, v1
	s_cbranch_execz .LBB278_370
; %bb.363:                              ;   in Loop: Header=BB278_10 Depth=1
	v_mov_b32_e32 v69, 0x8000
	s_mov_b32 s34, exec_lo
	v_cmpx_ne_u16_e32 0x80, v1
	s_cbranch_execz .LBB278_369
; %bb.364:                              ;   in Loop: Header=BB278_10 Depth=1
	v_and_b32_e32 v70, 0x7f, v9
	v_mov_b32_e32 v69, 0x7c01
	s_mov_b32 s35, exec_lo
	s_delay_alu instid0(VALU_DEP_2)
	v_cmpx_ne_u32_e32 0x7f, v70
	s_cbranch_execz .LBB278_368
; %bb.365:                              ;   in Loop: Header=BB278_10 Depth=1
	v_and_b32_e32 v1, 7, v9
	v_lshrrev_b32_e32 v69, 3, v70
	s_mov_b32 s36, exec_lo
	v_cmpx_gt_u32_e32 8, v70
; %bb.366:                              ;   in Loop: Header=BB278_10 Depth=1
	s_delay_alu instid0(VALU_DEP_3) | instskip(NEXT) | instid1(VALU_DEP_1)
	v_clz_i32_u32_e32 v1, v1
	v_min_u32_e32 v1, 32, v1
	s_delay_alu instid0(VALU_DEP_1) | instskip(NEXT) | instid1(VALU_DEP_1)
	v_subrev_nc_u32_e32 v69, 28, v1
	v_lshlrev_b64_e32 v[70:71], v69, v[9:10]
	v_sub_nc_u32_e32 v69, 29, v1
	s_delay_alu instid0(VALU_DEP_2)
	v_and_b32_e32 v1, 7, v70
; %bb.367:                              ;   in Loop: Header=BB278_10 Depth=1
	s_or_b32 exec_lo, exec_lo, s36
	v_lshlrev_b32_e32 v70, 8, v9
	s_delay_alu instid0(VALU_DEP_3) | instskip(NEXT) | instid1(VALU_DEP_3)
	v_lshl_add_u32 v69, v69, 10, 0x2000
	v_lshlrev_b32_e32 v1, 7, v1
	s_delay_alu instid0(VALU_DEP_3) | instskip(NEXT) | instid1(VALU_DEP_3)
	v_and_b32_e32 v70, 0x8000, v70
	v_and_b32_e32 v69, 0xfc00, v69
	s_delay_alu instid0(VALU_DEP_1)
	v_or3_b32 v69, v70, v69, v1
.LBB278_368:                            ;   in Loop: Header=BB278_10 Depth=1
	s_wait_alu 0xfffe
	s_or_b32 exec_lo, exec_lo, s35
.LBB278_369:                            ;   in Loop: Header=BB278_10 Depth=1
	s_wait_alu 0xfffe
	s_or_b32 exec_lo, exec_lo, s34
.LBB278_370:                            ;   in Loop: Header=BB278_10 Depth=1
	s_wait_alu 0xfffe
	s_or_b32 exec_lo, exec_lo, s6
	v_lshrrev_b16 v1, 8, v9
	s_mov_b32 s6, exec_lo
	s_delay_alu instid0(VALU_DEP_1)
	v_cmpx_ne_u16_e32 0, v1
	s_cbranch_execz .LBB278_378
; %bb.371:                              ;   in Loop: Header=BB278_10 Depth=1
	v_bfrev_b32_e32 v68, 1
	s_mov_b32 s34, exec_lo
	v_cmpx_ne_u16_e32 0x80, v1
	s_cbranch_execz .LBB278_377
; %bb.372:                              ;   in Loop: Header=BB278_10 Depth=1
	v_and_b32_e32 v70, 0xffff, v1
	v_mov_b32_e32 v68, 0x7c010000
	s_mov_b32 s35, exec_lo
	s_delay_alu instid0(VALU_DEP_2) | instskip(NEXT) | instid1(VALU_DEP_1)
	v_and_b32_e32 v72, 0x7f, v70
	v_cmpx_ne_u32_e32 0x7f, v72
	s_cbranch_execz .LBB278_376
; %bb.373:                              ;   in Loop: Header=BB278_10 Depth=1
	v_and_b32_e32 v68, 7, v70
	v_lshrrev_b32_e32 v71, 3, v72
	s_mov_b32 s36, exec_lo
	v_cmpx_gt_u32_e32 8, v72
; %bb.374:                              ;   in Loop: Header=BB278_10 Depth=1
	s_delay_alu instid0(VALU_DEP_3) | instskip(NEXT) | instid1(VALU_DEP_1)
	v_clz_i32_u32_e32 v68, v68
	v_min_u32_e32 v68, 32, v68
	s_delay_alu instid0(VALU_DEP_1) | instskip(NEXT) | instid1(VALU_DEP_1)
	v_subrev_nc_u32_e32 v71, 28, v68
	v_lshlrev_b64_e32 v[72:73], v71, v[1:2]
	v_sub_nc_u32_e32 v71, 29, v68
	s_delay_alu instid0(VALU_DEP_2)
	v_and_b32_e32 v68, 7, v72
; %bb.375:                              ;   in Loop: Header=BB278_10 Depth=1
	s_or_b32 exec_lo, exec_lo, s36
	v_lshlrev_b32_e32 v1, 8, v70
	s_delay_alu instid0(VALU_DEP_3) | instskip(NEXT) | instid1(VALU_DEP_3)
	v_lshl_add_u32 v70, v71, 10, 0x2000
	v_lshlrev_b32_e32 v68, 23, v68
	s_delay_alu instid0(VALU_DEP_2) | instskip(NEXT) | instid1(VALU_DEP_1)
	v_and_or_b32 v1, 0x8000, v1, v70
	v_lshl_or_b32 v68, v1, 16, v68
.LBB278_376:                            ;   in Loop: Header=BB278_10 Depth=1
	s_wait_alu 0xfffe
	s_or_b32 exec_lo, exec_lo, s35
.LBB278_377:                            ;   in Loop: Header=BB278_10 Depth=1
	s_wait_alu 0xfffe
	s_or_b32 exec_lo, exec_lo, s34
.LBB278_378:                            ;   in Loop: Header=BB278_10 Depth=1
	s_wait_alu 0xfffe
	s_or_b32 exec_lo, exec_lo, s6
	v_lshrrev_b32_e32 v1, 16, v9
	v_mov_b32_e32 v70, 0
	s_mov_b32 s6, exec_lo
	s_delay_alu instid0(VALU_DEP_2) | instskip(NEXT) | instid1(VALU_DEP_1)
	v_dual_mov_b32 v71, 0 :: v_dual_and_b32 v72, 0xff, v1
	v_cmpx_ne_u16_e32 0, v72
	s_cbranch_execz .LBB278_386
; %bb.379:                              ;   in Loop: Header=BB278_10 Depth=1
	v_mov_b32_e32 v71, 0x8000
	s_mov_b32 s34, exec_lo
	v_cmpx_ne_u16_e32 0x80, v72
	s_cbranch_execz .LBB278_385
; %bb.380:                              ;   in Loop: Header=BB278_10 Depth=1
	v_bfe_u32 v73, v9, 16, 7
	v_mov_b32_e32 v71, 0x7c01
	s_mov_b32 s35, exec_lo
	s_delay_alu instid0(VALU_DEP_2)
	v_cmpx_ne_u32_e32 0x7f, v73
	s_cbranch_execz .LBB278_384
; %bb.381:                              ;   in Loop: Header=BB278_10 Depth=1
	v_and_b32_e32 v71, 7, v1
	v_lshrrev_b32_e32 v72, 3, v73
	s_mov_b32 s36, exec_lo
	v_cmpx_gt_u32_e32 8, v73
; %bb.382:                              ;   in Loop: Header=BB278_10 Depth=1
	s_delay_alu instid0(VALU_DEP_3) | instskip(NEXT) | instid1(VALU_DEP_1)
	v_clz_i32_u32_e32 v71, v71
	v_min_u32_e32 v73, 32, v71
	s_delay_alu instid0(VALU_DEP_1) | instskip(NEXT) | instid1(VALU_DEP_1)
	v_subrev_nc_u32_e32 v71, 28, v73
	v_lshlrev_b64_e32 v[71:72], v71, v[1:2]
	v_sub_nc_u32_e32 v72, 29, v73
	s_delay_alu instid0(VALU_DEP_2)
	v_and_b32_e32 v71, 7, v71
; %bb.383:                              ;   in Loop: Header=BB278_10 Depth=1
	s_or_b32 exec_lo, exec_lo, s36
	v_lshlrev_b32_e32 v1, 8, v1
	s_delay_alu instid0(VALU_DEP_3) | instskip(NEXT) | instid1(VALU_DEP_3)
	v_lshl_add_u32 v72, v72, 10, 0x2000
	v_lshlrev_b32_e32 v71, 7, v71
	s_delay_alu instid0(VALU_DEP_3) | instskip(NEXT) | instid1(VALU_DEP_3)
	v_and_b32_e32 v1, 0x8000, v1
	v_and_b32_e32 v72, 0xfc00, v72
	s_delay_alu instid0(VALU_DEP_1)
	v_or3_b32 v71, v1, v72, v71
.LBB278_384:                            ;   in Loop: Header=BB278_10 Depth=1
	s_wait_alu 0xfffe
	s_or_b32 exec_lo, exec_lo, s35
.LBB278_385:                            ;   in Loop: Header=BB278_10 Depth=1
	s_wait_alu 0xfffe
	s_or_b32 exec_lo, exec_lo, s34
.LBB278_386:                            ;   in Loop: Header=BB278_10 Depth=1
	s_wait_alu 0xfffe
	s_or_b32 exec_lo, exec_lo, s6
	s_delay_alu instid0(SALU_CYCLE_1)
	s_mov_b32 s6, exec_lo
	v_cmpx_lt_u32_e32 0xffffff, v9
	s_cbranch_execz .LBB278_394
; %bb.387:                              ;   in Loop: Header=BB278_10 Depth=1
	v_lshrrev_b32_e32 v1, 24, v9
	v_bfrev_b32_e32 v70, 1
	s_mov_b32 s34, exec_lo
	s_delay_alu instid0(VALU_DEP_2)
	v_cmpx_ne_u32_e32 0x80, v1
	s_cbranch_execz .LBB278_393
; %bb.388:                              ;   in Loop: Header=BB278_10 Depth=1
	v_and_b32_e32 v72, 0x7f, v1
	v_mov_b32_e32 v70, 0x7c010000
	s_mov_b32 s35, exec_lo
	s_delay_alu instid0(VALU_DEP_2)
	v_cmpx_ne_u32_e32 0x7f, v72
	s_cbranch_execz .LBB278_392
; %bb.389:                              ;   in Loop: Header=BB278_10 Depth=1
	v_and_b32_e32 v9, 7, v1
	v_lshrrev_b32_e32 v70, 3, v72
	s_mov_b32 s36, exec_lo
	v_cmpx_gt_u32_e32 8, v72
; %bb.390:                              ;   in Loop: Header=BB278_10 Depth=1
	s_delay_alu instid0(VALU_DEP_3) | instskip(NEXT) | instid1(VALU_DEP_1)
	v_clz_i32_u32_e32 v9, v9
	v_min_u32_e32 v9, 32, v9
	s_delay_alu instid0(VALU_DEP_1) | instskip(NEXT) | instid1(VALU_DEP_1)
	v_subrev_nc_u32_e32 v70, 28, v9
	v_lshlrev_b64_e32 v[72:73], v70, v[1:2]
	v_sub_nc_u32_e32 v70, 29, v9
	s_delay_alu instid0(VALU_DEP_2)
	v_and_b32_e32 v9, 7, v72
; %bb.391:                              ;   in Loop: Header=BB278_10 Depth=1
	s_or_b32 exec_lo, exec_lo, s36
	v_lshlrev_b32_e32 v1, 8, v1
	s_delay_alu instid0(VALU_DEP_3) | instskip(NEXT) | instid1(VALU_DEP_3)
	v_lshl_add_u32 v70, v70, 10, 0x2000
	v_lshlrev_b32_e32 v9, 23, v9
	s_delay_alu instid0(VALU_DEP_2) | instskip(NEXT) | instid1(VALU_DEP_1)
	v_and_or_b32 v1, 0x8000, v1, v70
	v_lshl_or_b32 v70, v1, 16, v9
.LBB278_392:                            ;   in Loop: Header=BB278_10 Depth=1
	s_wait_alu 0xfffe
	s_or_b32 exec_lo, exec_lo, s35
.LBB278_393:                            ;   in Loop: Header=BB278_10 Depth=1
	s_wait_alu 0xfffe
	s_or_b32 exec_lo, exec_lo, s34
.LBB278_394:                            ;   in Loop: Header=BB278_10 Depth=1
	s_wait_alu 0xfffe
	s_or_b32 exec_lo, exec_lo, s6
	global_load_b32 v9, v[7:8], off offset:1536
	v_mov_b32_e32 v73, 0
	s_mov_b32 s6, exec_lo
	s_wait_loadcnt 0x0
	v_dual_mov_b32 v72, 0 :: v_dual_and_b32 v1, 0xff, v9
	s_delay_alu instid0(VALU_DEP_1)
	v_cmpx_ne_u16_e32 0, v1
	s_cbranch_execz .LBB278_402
; %bb.395:                              ;   in Loop: Header=BB278_10 Depth=1
	v_mov_b32_e32 v73, 0x8000
	s_mov_b32 s34, exec_lo
	v_cmpx_ne_u16_e32 0x80, v1
	s_cbranch_execz .LBB278_401
; %bb.396:                              ;   in Loop: Header=BB278_10 Depth=1
	v_and_b32_e32 v74, 0x7f, v9
	v_mov_b32_e32 v73, 0x7c01
	s_mov_b32 s35, exec_lo
	s_delay_alu instid0(VALU_DEP_2)
	v_cmpx_ne_u32_e32 0x7f, v74
	s_cbranch_execz .LBB278_400
; %bb.397:                              ;   in Loop: Header=BB278_10 Depth=1
	v_and_b32_e32 v1, 7, v9
	v_lshrrev_b32_e32 v73, 3, v74
	s_mov_b32 s36, exec_lo
	v_cmpx_gt_u32_e32 8, v74
; %bb.398:                              ;   in Loop: Header=BB278_10 Depth=1
	s_delay_alu instid0(VALU_DEP_3) | instskip(NEXT) | instid1(VALU_DEP_1)
	v_clz_i32_u32_e32 v1, v1
	v_min_u32_e32 v1, 32, v1
	s_delay_alu instid0(VALU_DEP_1) | instskip(NEXT) | instid1(VALU_DEP_1)
	v_subrev_nc_u32_e32 v73, 28, v1
	v_lshlrev_b64_e32 v[74:75], v73, v[9:10]
	v_sub_nc_u32_e32 v73, 29, v1
	s_delay_alu instid0(VALU_DEP_2)
	v_and_b32_e32 v1, 7, v74
; %bb.399:                              ;   in Loop: Header=BB278_10 Depth=1
	s_or_b32 exec_lo, exec_lo, s36
	v_lshlrev_b32_e32 v74, 8, v9
	s_delay_alu instid0(VALU_DEP_3) | instskip(NEXT) | instid1(VALU_DEP_3)
	v_lshl_add_u32 v73, v73, 10, 0x2000
	v_lshlrev_b32_e32 v1, 7, v1
	s_delay_alu instid0(VALU_DEP_3) | instskip(NEXT) | instid1(VALU_DEP_3)
	v_and_b32_e32 v74, 0x8000, v74
	v_and_b32_e32 v73, 0xfc00, v73
	s_delay_alu instid0(VALU_DEP_1)
	v_or3_b32 v73, v74, v73, v1
.LBB278_400:                            ;   in Loop: Header=BB278_10 Depth=1
	s_wait_alu 0xfffe
	s_or_b32 exec_lo, exec_lo, s35
.LBB278_401:                            ;   in Loop: Header=BB278_10 Depth=1
	s_wait_alu 0xfffe
	s_or_b32 exec_lo, exec_lo, s34
.LBB278_402:                            ;   in Loop: Header=BB278_10 Depth=1
	s_wait_alu 0xfffe
	s_or_b32 exec_lo, exec_lo, s6
	v_lshrrev_b16 v1, 8, v9
	s_mov_b32 s6, exec_lo
	s_delay_alu instid0(VALU_DEP_1)
	v_cmpx_ne_u16_e32 0, v1
	s_cbranch_execz .LBB278_410
; %bb.403:                              ;   in Loop: Header=BB278_10 Depth=1
	v_bfrev_b32_e32 v72, 1
	s_mov_b32 s34, exec_lo
	v_cmpx_ne_u16_e32 0x80, v1
	s_cbranch_execz .LBB278_409
; %bb.404:                              ;   in Loop: Header=BB278_10 Depth=1
	v_and_b32_e32 v74, 0xffff, v1
	v_mov_b32_e32 v72, 0x7c010000
	s_mov_b32 s35, exec_lo
	s_delay_alu instid0(VALU_DEP_2) | instskip(NEXT) | instid1(VALU_DEP_1)
	v_and_b32_e32 v76, 0x7f, v74
	v_cmpx_ne_u32_e32 0x7f, v76
	s_cbranch_execz .LBB278_408
; %bb.405:                              ;   in Loop: Header=BB278_10 Depth=1
	v_and_b32_e32 v72, 7, v74
	v_lshrrev_b32_e32 v75, 3, v76
	s_mov_b32 s36, exec_lo
	v_cmpx_gt_u32_e32 8, v76
; %bb.406:                              ;   in Loop: Header=BB278_10 Depth=1
	s_delay_alu instid0(VALU_DEP_3) | instskip(NEXT) | instid1(VALU_DEP_1)
	v_clz_i32_u32_e32 v72, v72
	v_min_u32_e32 v72, 32, v72
	s_delay_alu instid0(VALU_DEP_1) | instskip(NEXT) | instid1(VALU_DEP_1)
	v_subrev_nc_u32_e32 v75, 28, v72
	v_lshlrev_b64_e32 v[76:77], v75, v[1:2]
	v_sub_nc_u32_e32 v75, 29, v72
	s_delay_alu instid0(VALU_DEP_2)
	v_and_b32_e32 v72, 7, v76
; %bb.407:                              ;   in Loop: Header=BB278_10 Depth=1
	s_or_b32 exec_lo, exec_lo, s36
	v_lshlrev_b32_e32 v1, 8, v74
	s_delay_alu instid0(VALU_DEP_3) | instskip(NEXT) | instid1(VALU_DEP_3)
	v_lshl_add_u32 v74, v75, 10, 0x2000
	v_lshlrev_b32_e32 v72, 23, v72
	s_delay_alu instid0(VALU_DEP_2) | instskip(NEXT) | instid1(VALU_DEP_1)
	v_and_or_b32 v1, 0x8000, v1, v74
	v_lshl_or_b32 v72, v1, 16, v72
.LBB278_408:                            ;   in Loop: Header=BB278_10 Depth=1
	s_wait_alu 0xfffe
	s_or_b32 exec_lo, exec_lo, s35
.LBB278_409:                            ;   in Loop: Header=BB278_10 Depth=1
	s_wait_alu 0xfffe
	s_or_b32 exec_lo, exec_lo, s34
.LBB278_410:                            ;   in Loop: Header=BB278_10 Depth=1
	s_wait_alu 0xfffe
	s_or_b32 exec_lo, exec_lo, s6
	v_lshrrev_b32_e32 v1, 16, v9
	v_mov_b32_e32 v74, 0
	s_mov_b32 s6, exec_lo
	s_delay_alu instid0(VALU_DEP_2) | instskip(NEXT) | instid1(VALU_DEP_1)
	v_dual_mov_b32 v75, 0 :: v_dual_and_b32 v76, 0xff, v1
	v_cmpx_ne_u16_e32 0, v76
	s_cbranch_execz .LBB278_418
; %bb.411:                              ;   in Loop: Header=BB278_10 Depth=1
	v_mov_b32_e32 v75, 0x8000
	s_mov_b32 s34, exec_lo
	v_cmpx_ne_u16_e32 0x80, v76
	s_cbranch_execz .LBB278_417
; %bb.412:                              ;   in Loop: Header=BB278_10 Depth=1
	v_bfe_u32 v77, v9, 16, 7
	v_mov_b32_e32 v75, 0x7c01
	s_mov_b32 s35, exec_lo
	s_delay_alu instid0(VALU_DEP_2)
	v_cmpx_ne_u32_e32 0x7f, v77
	s_cbranch_execz .LBB278_416
; %bb.413:                              ;   in Loop: Header=BB278_10 Depth=1
	v_and_b32_e32 v75, 7, v1
	v_lshrrev_b32_e32 v76, 3, v77
	s_mov_b32 s36, exec_lo
	v_cmpx_gt_u32_e32 8, v77
; %bb.414:                              ;   in Loop: Header=BB278_10 Depth=1
	s_delay_alu instid0(VALU_DEP_3) | instskip(NEXT) | instid1(VALU_DEP_1)
	v_clz_i32_u32_e32 v75, v75
	v_min_u32_e32 v77, 32, v75
	s_delay_alu instid0(VALU_DEP_1) | instskip(NEXT) | instid1(VALU_DEP_1)
	v_subrev_nc_u32_e32 v75, 28, v77
	v_lshlrev_b64_e32 v[75:76], v75, v[1:2]
	v_sub_nc_u32_e32 v76, 29, v77
	s_delay_alu instid0(VALU_DEP_2)
	v_and_b32_e32 v75, 7, v75
; %bb.415:                              ;   in Loop: Header=BB278_10 Depth=1
	s_or_b32 exec_lo, exec_lo, s36
	v_lshlrev_b32_e32 v1, 8, v1
	s_delay_alu instid0(VALU_DEP_3) | instskip(NEXT) | instid1(VALU_DEP_3)
	v_lshl_add_u32 v76, v76, 10, 0x2000
	v_lshlrev_b32_e32 v75, 7, v75
	s_delay_alu instid0(VALU_DEP_3) | instskip(NEXT) | instid1(VALU_DEP_3)
	v_and_b32_e32 v1, 0x8000, v1
	v_and_b32_e32 v76, 0xfc00, v76
	s_delay_alu instid0(VALU_DEP_1)
	v_or3_b32 v75, v1, v76, v75
.LBB278_416:                            ;   in Loop: Header=BB278_10 Depth=1
	s_wait_alu 0xfffe
	s_or_b32 exec_lo, exec_lo, s35
.LBB278_417:                            ;   in Loop: Header=BB278_10 Depth=1
	s_wait_alu 0xfffe
	s_or_b32 exec_lo, exec_lo, s34
.LBB278_418:                            ;   in Loop: Header=BB278_10 Depth=1
	s_wait_alu 0xfffe
	s_or_b32 exec_lo, exec_lo, s6
	s_delay_alu instid0(SALU_CYCLE_1)
	s_mov_b32 s6, exec_lo
	v_cmpx_lt_u32_e32 0xffffff, v9
	s_cbranch_execz .LBB278_426
; %bb.419:                              ;   in Loop: Header=BB278_10 Depth=1
	v_lshrrev_b32_e32 v1, 24, v9
	v_bfrev_b32_e32 v74, 1
	s_mov_b32 s34, exec_lo
	s_delay_alu instid0(VALU_DEP_2)
	v_cmpx_ne_u32_e32 0x80, v1
	s_cbranch_execz .LBB278_425
; %bb.420:                              ;   in Loop: Header=BB278_10 Depth=1
	v_and_b32_e32 v76, 0x7f, v1
	v_mov_b32_e32 v74, 0x7c010000
	s_mov_b32 s35, exec_lo
	s_delay_alu instid0(VALU_DEP_2)
	v_cmpx_ne_u32_e32 0x7f, v76
	s_cbranch_execz .LBB278_424
; %bb.421:                              ;   in Loop: Header=BB278_10 Depth=1
	v_and_b32_e32 v9, 7, v1
	v_lshrrev_b32_e32 v74, 3, v76
	s_mov_b32 s36, exec_lo
	v_cmpx_gt_u32_e32 8, v76
; %bb.422:                              ;   in Loop: Header=BB278_10 Depth=1
	s_delay_alu instid0(VALU_DEP_3) | instskip(NEXT) | instid1(VALU_DEP_1)
	v_clz_i32_u32_e32 v9, v9
	v_min_u32_e32 v9, 32, v9
	s_delay_alu instid0(VALU_DEP_1) | instskip(NEXT) | instid1(VALU_DEP_1)
	v_subrev_nc_u32_e32 v74, 28, v9
	v_lshlrev_b64_e32 v[76:77], v74, v[1:2]
	v_sub_nc_u32_e32 v74, 29, v9
	s_delay_alu instid0(VALU_DEP_2)
	v_and_b32_e32 v9, 7, v76
; %bb.423:                              ;   in Loop: Header=BB278_10 Depth=1
	s_or_b32 exec_lo, exec_lo, s36
	v_lshlrev_b32_e32 v1, 8, v1
	s_delay_alu instid0(VALU_DEP_3) | instskip(NEXT) | instid1(VALU_DEP_3)
	v_lshl_add_u32 v74, v74, 10, 0x2000
	v_lshlrev_b32_e32 v9, 23, v9
	s_delay_alu instid0(VALU_DEP_2) | instskip(NEXT) | instid1(VALU_DEP_1)
	v_and_or_b32 v1, 0x8000, v1, v74
	v_lshl_or_b32 v74, v1, 16, v9
.LBB278_424:                            ;   in Loop: Header=BB278_10 Depth=1
	s_wait_alu 0xfffe
	s_or_b32 exec_lo, exec_lo, s35
.LBB278_425:                            ;   in Loop: Header=BB278_10 Depth=1
	s_wait_alu 0xfffe
	s_or_b32 exec_lo, exec_lo, s34
.LBB278_426:                            ;   in Loop: Header=BB278_10 Depth=1
	s_wait_alu 0xfffe
	s_or_b32 exec_lo, exec_lo, s6
	global_load_b32 v9, v[7:8], off offset:1544
	v_mov_b32_e32 v77, 0
	s_mov_b32 s6, exec_lo
	s_wait_loadcnt 0x0
	v_dual_mov_b32 v76, 0 :: v_dual_and_b32 v1, 0xff, v9
	s_delay_alu instid0(VALU_DEP_1)
	v_cmpx_ne_u16_e32 0, v1
	s_cbranch_execz .LBB278_434
; %bb.427:                              ;   in Loop: Header=BB278_10 Depth=1
	v_mov_b32_e32 v77, 0x8000
	s_mov_b32 s34, exec_lo
	v_cmpx_ne_u16_e32 0x80, v1
	s_cbranch_execz .LBB278_433
; %bb.428:                              ;   in Loop: Header=BB278_10 Depth=1
	v_and_b32_e32 v78, 0x7f, v9
	v_mov_b32_e32 v77, 0x7c01
	s_mov_b32 s35, exec_lo
	s_delay_alu instid0(VALU_DEP_2)
	v_cmpx_ne_u32_e32 0x7f, v78
	s_cbranch_execz .LBB278_432
; %bb.429:                              ;   in Loop: Header=BB278_10 Depth=1
	v_and_b32_e32 v1, 7, v9
	v_lshrrev_b32_e32 v77, 3, v78
	s_mov_b32 s36, exec_lo
	v_cmpx_gt_u32_e32 8, v78
; %bb.430:                              ;   in Loop: Header=BB278_10 Depth=1
	s_delay_alu instid0(VALU_DEP_3) | instskip(NEXT) | instid1(VALU_DEP_1)
	v_clz_i32_u32_e32 v1, v1
	v_min_u32_e32 v1, 32, v1
	s_delay_alu instid0(VALU_DEP_1) | instskip(NEXT) | instid1(VALU_DEP_1)
	v_subrev_nc_u32_e32 v77, 28, v1
	v_lshlrev_b64_e32 v[78:79], v77, v[9:10]
	v_sub_nc_u32_e32 v77, 29, v1
	s_delay_alu instid0(VALU_DEP_2)
	v_and_b32_e32 v1, 7, v78
; %bb.431:                              ;   in Loop: Header=BB278_10 Depth=1
	s_or_b32 exec_lo, exec_lo, s36
	v_lshlrev_b32_e32 v78, 8, v9
	s_delay_alu instid0(VALU_DEP_3) | instskip(NEXT) | instid1(VALU_DEP_3)
	v_lshl_add_u32 v77, v77, 10, 0x2000
	v_lshlrev_b32_e32 v1, 7, v1
	s_delay_alu instid0(VALU_DEP_3) | instskip(NEXT) | instid1(VALU_DEP_3)
	v_and_b32_e32 v78, 0x8000, v78
	v_and_b32_e32 v77, 0xfc00, v77
	s_delay_alu instid0(VALU_DEP_1)
	v_or3_b32 v77, v78, v77, v1
.LBB278_432:                            ;   in Loop: Header=BB278_10 Depth=1
	s_wait_alu 0xfffe
	s_or_b32 exec_lo, exec_lo, s35
.LBB278_433:                            ;   in Loop: Header=BB278_10 Depth=1
	s_wait_alu 0xfffe
	s_or_b32 exec_lo, exec_lo, s34
.LBB278_434:                            ;   in Loop: Header=BB278_10 Depth=1
	s_wait_alu 0xfffe
	s_or_b32 exec_lo, exec_lo, s6
	v_lshrrev_b16 v1, 8, v9
	s_mov_b32 s6, exec_lo
	s_delay_alu instid0(VALU_DEP_1)
	v_cmpx_ne_u16_e32 0, v1
	s_cbranch_execz .LBB278_442
; %bb.435:                              ;   in Loop: Header=BB278_10 Depth=1
	v_bfrev_b32_e32 v76, 1
	s_mov_b32 s34, exec_lo
	v_cmpx_ne_u16_e32 0x80, v1
	s_cbranch_execz .LBB278_441
; %bb.436:                              ;   in Loop: Header=BB278_10 Depth=1
	v_and_b32_e32 v78, 0xffff, v1
	v_mov_b32_e32 v76, 0x7c010000
	s_mov_b32 s35, exec_lo
	s_delay_alu instid0(VALU_DEP_2) | instskip(NEXT) | instid1(VALU_DEP_1)
	v_and_b32_e32 v80, 0x7f, v78
	v_cmpx_ne_u32_e32 0x7f, v80
	s_cbranch_execz .LBB278_440
; %bb.437:                              ;   in Loop: Header=BB278_10 Depth=1
	v_and_b32_e32 v76, 7, v78
	v_lshrrev_b32_e32 v79, 3, v80
	s_mov_b32 s36, exec_lo
	v_cmpx_gt_u32_e32 8, v80
; %bb.438:                              ;   in Loop: Header=BB278_10 Depth=1
	s_delay_alu instid0(VALU_DEP_3) | instskip(NEXT) | instid1(VALU_DEP_1)
	v_clz_i32_u32_e32 v76, v76
	v_min_u32_e32 v76, 32, v76
	s_delay_alu instid0(VALU_DEP_1) | instskip(NEXT) | instid1(VALU_DEP_1)
	v_subrev_nc_u32_e32 v79, 28, v76
	v_lshlrev_b64_e32 v[80:81], v79, v[1:2]
	v_sub_nc_u32_e32 v79, 29, v76
	s_delay_alu instid0(VALU_DEP_2)
	v_and_b32_e32 v76, 7, v80
; %bb.439:                              ;   in Loop: Header=BB278_10 Depth=1
	s_or_b32 exec_lo, exec_lo, s36
	v_lshlrev_b32_e32 v1, 8, v78
	s_delay_alu instid0(VALU_DEP_3) | instskip(NEXT) | instid1(VALU_DEP_3)
	v_lshl_add_u32 v78, v79, 10, 0x2000
	v_lshlrev_b32_e32 v76, 23, v76
	s_delay_alu instid0(VALU_DEP_2) | instskip(NEXT) | instid1(VALU_DEP_1)
	v_and_or_b32 v1, 0x8000, v1, v78
	v_lshl_or_b32 v76, v1, 16, v76
.LBB278_440:                            ;   in Loop: Header=BB278_10 Depth=1
	s_wait_alu 0xfffe
	s_or_b32 exec_lo, exec_lo, s35
.LBB278_441:                            ;   in Loop: Header=BB278_10 Depth=1
	s_wait_alu 0xfffe
	s_or_b32 exec_lo, exec_lo, s34
.LBB278_442:                            ;   in Loop: Header=BB278_10 Depth=1
	s_wait_alu 0xfffe
	s_or_b32 exec_lo, exec_lo, s6
	v_lshrrev_b32_e32 v1, 16, v9
	v_mov_b32_e32 v78, 0
	s_mov_b32 s6, exec_lo
	s_delay_alu instid0(VALU_DEP_2) | instskip(NEXT) | instid1(VALU_DEP_1)
	v_dual_mov_b32 v79, 0 :: v_dual_and_b32 v80, 0xff, v1
	v_cmpx_ne_u16_e32 0, v80
	s_cbranch_execz .LBB278_450
; %bb.443:                              ;   in Loop: Header=BB278_10 Depth=1
	v_mov_b32_e32 v79, 0x8000
	s_mov_b32 s34, exec_lo
	v_cmpx_ne_u16_e32 0x80, v80
	s_cbranch_execz .LBB278_449
; %bb.444:                              ;   in Loop: Header=BB278_10 Depth=1
	v_bfe_u32 v81, v9, 16, 7
	v_mov_b32_e32 v79, 0x7c01
	s_mov_b32 s35, exec_lo
	s_delay_alu instid0(VALU_DEP_2)
	v_cmpx_ne_u32_e32 0x7f, v81
	s_cbranch_execz .LBB278_448
; %bb.445:                              ;   in Loop: Header=BB278_10 Depth=1
	v_and_b32_e32 v79, 7, v1
	v_lshrrev_b32_e32 v80, 3, v81
	s_mov_b32 s36, exec_lo
	v_cmpx_gt_u32_e32 8, v81
; %bb.446:                              ;   in Loop: Header=BB278_10 Depth=1
	s_delay_alu instid0(VALU_DEP_3) | instskip(NEXT) | instid1(VALU_DEP_1)
	v_clz_i32_u32_e32 v79, v79
	v_min_u32_e32 v81, 32, v79
	s_delay_alu instid0(VALU_DEP_1) | instskip(NEXT) | instid1(VALU_DEP_1)
	v_subrev_nc_u32_e32 v79, 28, v81
	v_lshlrev_b64_e32 v[79:80], v79, v[1:2]
	v_sub_nc_u32_e32 v80, 29, v81
	s_delay_alu instid0(VALU_DEP_2)
	v_and_b32_e32 v79, 7, v79
; %bb.447:                              ;   in Loop: Header=BB278_10 Depth=1
	s_or_b32 exec_lo, exec_lo, s36
	v_lshlrev_b32_e32 v1, 8, v1
	s_delay_alu instid0(VALU_DEP_3) | instskip(NEXT) | instid1(VALU_DEP_3)
	v_lshl_add_u32 v80, v80, 10, 0x2000
	v_lshlrev_b32_e32 v79, 7, v79
	s_delay_alu instid0(VALU_DEP_3) | instskip(NEXT) | instid1(VALU_DEP_3)
	v_and_b32_e32 v1, 0x8000, v1
	v_and_b32_e32 v80, 0xfc00, v80
	s_delay_alu instid0(VALU_DEP_1)
	v_or3_b32 v79, v1, v80, v79
.LBB278_448:                            ;   in Loop: Header=BB278_10 Depth=1
	s_wait_alu 0xfffe
	s_or_b32 exec_lo, exec_lo, s35
.LBB278_449:                            ;   in Loop: Header=BB278_10 Depth=1
	s_wait_alu 0xfffe
	s_or_b32 exec_lo, exec_lo, s34
.LBB278_450:                            ;   in Loop: Header=BB278_10 Depth=1
	s_wait_alu 0xfffe
	s_or_b32 exec_lo, exec_lo, s6
	s_delay_alu instid0(SALU_CYCLE_1)
	s_mov_b32 s6, exec_lo
	v_cmpx_lt_u32_e32 0xffffff, v9
	s_cbranch_execz .LBB278_458
; %bb.451:                              ;   in Loop: Header=BB278_10 Depth=1
	v_lshrrev_b32_e32 v1, 24, v9
	v_bfrev_b32_e32 v78, 1
	s_mov_b32 s34, exec_lo
	s_delay_alu instid0(VALU_DEP_2)
	v_cmpx_ne_u32_e32 0x80, v1
	s_cbranch_execz .LBB278_457
; %bb.452:                              ;   in Loop: Header=BB278_10 Depth=1
	v_and_b32_e32 v80, 0x7f, v1
	v_mov_b32_e32 v78, 0x7c010000
	s_mov_b32 s35, exec_lo
	s_delay_alu instid0(VALU_DEP_2)
	v_cmpx_ne_u32_e32 0x7f, v80
	s_cbranch_execz .LBB278_456
; %bb.453:                              ;   in Loop: Header=BB278_10 Depth=1
	v_and_b32_e32 v9, 7, v1
	v_lshrrev_b32_e32 v78, 3, v80
	s_mov_b32 s36, exec_lo
	v_cmpx_gt_u32_e32 8, v80
; %bb.454:                              ;   in Loop: Header=BB278_10 Depth=1
	s_delay_alu instid0(VALU_DEP_3) | instskip(NEXT) | instid1(VALU_DEP_1)
	v_clz_i32_u32_e32 v9, v9
	v_min_u32_e32 v9, 32, v9
	s_delay_alu instid0(VALU_DEP_1) | instskip(NEXT) | instid1(VALU_DEP_1)
	v_subrev_nc_u32_e32 v78, 28, v9
	v_lshlrev_b64_e32 v[80:81], v78, v[1:2]
	v_sub_nc_u32_e32 v78, 29, v9
	s_delay_alu instid0(VALU_DEP_2)
	v_and_b32_e32 v9, 7, v80
; %bb.455:                              ;   in Loop: Header=BB278_10 Depth=1
	s_or_b32 exec_lo, exec_lo, s36
	v_lshlrev_b32_e32 v1, 8, v1
	s_delay_alu instid0(VALU_DEP_3) | instskip(NEXT) | instid1(VALU_DEP_3)
	v_lshl_add_u32 v78, v78, 10, 0x2000
	v_lshlrev_b32_e32 v9, 23, v9
	s_delay_alu instid0(VALU_DEP_2) | instskip(NEXT) | instid1(VALU_DEP_1)
	v_and_or_b32 v1, 0x8000, v1, v78
	v_lshl_or_b32 v78, v1, 16, v9
.LBB278_456:                            ;   in Loop: Header=BB278_10 Depth=1
	s_wait_alu 0xfffe
	s_or_b32 exec_lo, exec_lo, s35
.LBB278_457:                            ;   in Loop: Header=BB278_10 Depth=1
	s_wait_alu 0xfffe
	s_or_b32 exec_lo, exec_lo, s34
.LBB278_458:                            ;   in Loop: Header=BB278_10 Depth=1
	s_wait_alu 0xfffe
	s_or_b32 exec_lo, exec_lo, s6
	global_load_b32 v9, v[7:8], off offset:1792
	v_mov_b32_e32 v81, 0
	s_mov_b32 s6, exec_lo
	s_wait_loadcnt 0x0
	v_dual_mov_b32 v80, 0 :: v_dual_and_b32 v1, 0xff, v9
	s_delay_alu instid0(VALU_DEP_1)
	v_cmpx_ne_u16_e32 0, v1
	s_cbranch_execz .LBB278_466
; %bb.459:                              ;   in Loop: Header=BB278_10 Depth=1
	v_mov_b32_e32 v81, 0x8000
	s_mov_b32 s34, exec_lo
	v_cmpx_ne_u16_e32 0x80, v1
	s_cbranch_execz .LBB278_465
; %bb.460:                              ;   in Loop: Header=BB278_10 Depth=1
	v_and_b32_e32 v82, 0x7f, v9
	v_mov_b32_e32 v81, 0x7c01
	s_mov_b32 s35, exec_lo
	s_delay_alu instid0(VALU_DEP_2)
	v_cmpx_ne_u32_e32 0x7f, v82
	s_cbranch_execz .LBB278_464
; %bb.461:                              ;   in Loop: Header=BB278_10 Depth=1
	v_and_b32_e32 v1, 7, v9
	v_lshrrev_b32_e32 v81, 3, v82
	s_mov_b32 s36, exec_lo
	v_cmpx_gt_u32_e32 8, v82
; %bb.462:                              ;   in Loop: Header=BB278_10 Depth=1
	s_delay_alu instid0(VALU_DEP_3) | instskip(NEXT) | instid1(VALU_DEP_1)
	v_clz_i32_u32_e32 v1, v1
	v_min_u32_e32 v1, 32, v1
	s_delay_alu instid0(VALU_DEP_1) | instskip(NEXT) | instid1(VALU_DEP_1)
	v_subrev_nc_u32_e32 v81, 28, v1
	v_lshlrev_b64_e32 v[82:83], v81, v[9:10]
	v_sub_nc_u32_e32 v81, 29, v1
	s_delay_alu instid0(VALU_DEP_2)
	v_and_b32_e32 v1, 7, v82
; %bb.463:                              ;   in Loop: Header=BB278_10 Depth=1
	s_or_b32 exec_lo, exec_lo, s36
	v_lshlrev_b32_e32 v82, 8, v9
	s_delay_alu instid0(VALU_DEP_3) | instskip(NEXT) | instid1(VALU_DEP_3)
	v_lshl_add_u32 v81, v81, 10, 0x2000
	v_lshlrev_b32_e32 v1, 7, v1
	s_delay_alu instid0(VALU_DEP_3) | instskip(NEXT) | instid1(VALU_DEP_3)
	v_and_b32_e32 v82, 0x8000, v82
	v_and_b32_e32 v81, 0xfc00, v81
	s_delay_alu instid0(VALU_DEP_1)
	v_or3_b32 v81, v82, v81, v1
.LBB278_464:                            ;   in Loop: Header=BB278_10 Depth=1
	s_wait_alu 0xfffe
	s_or_b32 exec_lo, exec_lo, s35
.LBB278_465:                            ;   in Loop: Header=BB278_10 Depth=1
	s_wait_alu 0xfffe
	s_or_b32 exec_lo, exec_lo, s34
.LBB278_466:                            ;   in Loop: Header=BB278_10 Depth=1
	s_wait_alu 0xfffe
	s_or_b32 exec_lo, exec_lo, s6
	v_lshrrev_b16 v1, 8, v9
	s_mov_b32 s6, exec_lo
	s_delay_alu instid0(VALU_DEP_1)
	v_cmpx_ne_u16_e32 0, v1
	s_cbranch_execz .LBB278_474
; %bb.467:                              ;   in Loop: Header=BB278_10 Depth=1
	v_bfrev_b32_e32 v80, 1
	s_mov_b32 s34, exec_lo
	v_cmpx_ne_u16_e32 0x80, v1
	s_cbranch_execz .LBB278_473
; %bb.468:                              ;   in Loop: Header=BB278_10 Depth=1
	v_and_b32_e32 v82, 0xffff, v1
	v_mov_b32_e32 v80, 0x7c010000
	s_mov_b32 s35, exec_lo
	s_delay_alu instid0(VALU_DEP_2) | instskip(NEXT) | instid1(VALU_DEP_1)
	v_and_b32_e32 v84, 0x7f, v82
	v_cmpx_ne_u32_e32 0x7f, v84
	s_cbranch_execz .LBB278_472
; %bb.469:                              ;   in Loop: Header=BB278_10 Depth=1
	v_and_b32_e32 v80, 7, v82
	v_lshrrev_b32_e32 v83, 3, v84
	s_mov_b32 s36, exec_lo
	v_cmpx_gt_u32_e32 8, v84
; %bb.470:                              ;   in Loop: Header=BB278_10 Depth=1
	s_delay_alu instid0(VALU_DEP_3) | instskip(NEXT) | instid1(VALU_DEP_1)
	v_clz_i32_u32_e32 v80, v80
	v_min_u32_e32 v80, 32, v80
	s_delay_alu instid0(VALU_DEP_1) | instskip(NEXT) | instid1(VALU_DEP_1)
	v_subrev_nc_u32_e32 v83, 28, v80
	v_lshlrev_b64_e32 v[84:85], v83, v[1:2]
	v_sub_nc_u32_e32 v83, 29, v80
	s_delay_alu instid0(VALU_DEP_2)
	v_and_b32_e32 v80, 7, v84
; %bb.471:                              ;   in Loop: Header=BB278_10 Depth=1
	s_or_b32 exec_lo, exec_lo, s36
	v_lshlrev_b32_e32 v1, 8, v82
	s_delay_alu instid0(VALU_DEP_3) | instskip(NEXT) | instid1(VALU_DEP_3)
	v_lshl_add_u32 v82, v83, 10, 0x2000
	v_lshlrev_b32_e32 v80, 23, v80
	s_delay_alu instid0(VALU_DEP_2) | instskip(NEXT) | instid1(VALU_DEP_1)
	v_and_or_b32 v1, 0x8000, v1, v82
	v_lshl_or_b32 v80, v1, 16, v80
.LBB278_472:                            ;   in Loop: Header=BB278_10 Depth=1
	s_wait_alu 0xfffe
	s_or_b32 exec_lo, exec_lo, s35
.LBB278_473:                            ;   in Loop: Header=BB278_10 Depth=1
	s_wait_alu 0xfffe
	s_or_b32 exec_lo, exec_lo, s34
.LBB278_474:                            ;   in Loop: Header=BB278_10 Depth=1
	s_wait_alu 0xfffe
	s_or_b32 exec_lo, exec_lo, s6
	v_lshrrev_b32_e32 v1, 16, v9
	v_mov_b32_e32 v82, 0
	s_mov_b32 s6, exec_lo
	s_delay_alu instid0(VALU_DEP_2) | instskip(NEXT) | instid1(VALU_DEP_1)
	v_dual_mov_b32 v83, 0 :: v_dual_and_b32 v84, 0xff, v1
	v_cmpx_ne_u16_e32 0, v84
	s_cbranch_execz .LBB278_482
; %bb.475:                              ;   in Loop: Header=BB278_10 Depth=1
	v_mov_b32_e32 v83, 0x8000
	s_mov_b32 s34, exec_lo
	v_cmpx_ne_u16_e32 0x80, v84
	s_cbranch_execz .LBB278_481
; %bb.476:                              ;   in Loop: Header=BB278_10 Depth=1
	v_bfe_u32 v85, v9, 16, 7
	v_mov_b32_e32 v83, 0x7c01
	s_mov_b32 s35, exec_lo
	s_delay_alu instid0(VALU_DEP_2)
	v_cmpx_ne_u32_e32 0x7f, v85
	s_cbranch_execz .LBB278_480
; %bb.477:                              ;   in Loop: Header=BB278_10 Depth=1
	v_and_b32_e32 v83, 7, v1
	v_lshrrev_b32_e32 v84, 3, v85
	s_mov_b32 s36, exec_lo
	v_cmpx_gt_u32_e32 8, v85
; %bb.478:                              ;   in Loop: Header=BB278_10 Depth=1
	s_delay_alu instid0(VALU_DEP_3) | instskip(NEXT) | instid1(VALU_DEP_1)
	v_clz_i32_u32_e32 v83, v83
	v_min_u32_e32 v85, 32, v83
	s_delay_alu instid0(VALU_DEP_1) | instskip(NEXT) | instid1(VALU_DEP_1)
	v_subrev_nc_u32_e32 v83, 28, v85
	v_lshlrev_b64_e32 v[83:84], v83, v[1:2]
	v_sub_nc_u32_e32 v84, 29, v85
	s_delay_alu instid0(VALU_DEP_2)
	v_and_b32_e32 v83, 7, v83
; %bb.479:                              ;   in Loop: Header=BB278_10 Depth=1
	s_or_b32 exec_lo, exec_lo, s36
	v_lshlrev_b32_e32 v1, 8, v1
	s_delay_alu instid0(VALU_DEP_3) | instskip(NEXT) | instid1(VALU_DEP_3)
	v_lshl_add_u32 v84, v84, 10, 0x2000
	v_lshlrev_b32_e32 v83, 7, v83
	s_delay_alu instid0(VALU_DEP_3) | instskip(NEXT) | instid1(VALU_DEP_3)
	v_and_b32_e32 v1, 0x8000, v1
	v_and_b32_e32 v84, 0xfc00, v84
	s_delay_alu instid0(VALU_DEP_1)
	v_or3_b32 v83, v1, v84, v83
.LBB278_480:                            ;   in Loop: Header=BB278_10 Depth=1
	s_wait_alu 0xfffe
	s_or_b32 exec_lo, exec_lo, s35
.LBB278_481:                            ;   in Loop: Header=BB278_10 Depth=1
	s_wait_alu 0xfffe
	s_or_b32 exec_lo, exec_lo, s34
.LBB278_482:                            ;   in Loop: Header=BB278_10 Depth=1
	s_wait_alu 0xfffe
	s_or_b32 exec_lo, exec_lo, s6
	s_delay_alu instid0(SALU_CYCLE_1)
	s_mov_b32 s6, exec_lo
	v_cmpx_lt_u32_e32 0xffffff, v9
	s_cbranch_execz .LBB278_490
; %bb.483:                              ;   in Loop: Header=BB278_10 Depth=1
	v_lshrrev_b32_e32 v1, 24, v9
	v_bfrev_b32_e32 v82, 1
	s_mov_b32 s34, exec_lo
	s_delay_alu instid0(VALU_DEP_2)
	v_cmpx_ne_u32_e32 0x80, v1
	s_cbranch_execz .LBB278_489
; %bb.484:                              ;   in Loop: Header=BB278_10 Depth=1
	v_and_b32_e32 v84, 0x7f, v1
	v_mov_b32_e32 v82, 0x7c010000
	s_mov_b32 s35, exec_lo
	s_delay_alu instid0(VALU_DEP_2)
	v_cmpx_ne_u32_e32 0x7f, v84
	s_cbranch_execz .LBB278_488
; %bb.485:                              ;   in Loop: Header=BB278_10 Depth=1
	v_and_b32_e32 v9, 7, v1
	v_lshrrev_b32_e32 v82, 3, v84
	s_mov_b32 s36, exec_lo
	v_cmpx_gt_u32_e32 8, v84
; %bb.486:                              ;   in Loop: Header=BB278_10 Depth=1
	s_delay_alu instid0(VALU_DEP_3) | instskip(NEXT) | instid1(VALU_DEP_1)
	v_clz_i32_u32_e32 v9, v9
	v_min_u32_e32 v9, 32, v9
	s_delay_alu instid0(VALU_DEP_1) | instskip(NEXT) | instid1(VALU_DEP_1)
	v_subrev_nc_u32_e32 v82, 28, v9
	v_lshlrev_b64_e32 v[84:85], v82, v[1:2]
	v_sub_nc_u32_e32 v82, 29, v9
	s_delay_alu instid0(VALU_DEP_2)
	v_and_b32_e32 v9, 7, v84
; %bb.487:                              ;   in Loop: Header=BB278_10 Depth=1
	s_or_b32 exec_lo, exec_lo, s36
	v_lshlrev_b32_e32 v1, 8, v1
	s_delay_alu instid0(VALU_DEP_3) | instskip(NEXT) | instid1(VALU_DEP_3)
	v_lshl_add_u32 v82, v82, 10, 0x2000
	v_lshlrev_b32_e32 v9, 23, v9
	s_delay_alu instid0(VALU_DEP_2) | instskip(NEXT) | instid1(VALU_DEP_1)
	v_and_or_b32 v1, 0x8000, v1, v82
	v_lshl_or_b32 v82, v1, 16, v9
.LBB278_488:                            ;   in Loop: Header=BB278_10 Depth=1
	s_wait_alu 0xfffe
	s_or_b32 exec_lo, exec_lo, s35
.LBB278_489:                            ;   in Loop: Header=BB278_10 Depth=1
	s_wait_alu 0xfffe
	s_or_b32 exec_lo, exec_lo, s34
.LBB278_490:                            ;   in Loop: Header=BB278_10 Depth=1
	s_wait_alu 0xfffe
	s_or_b32 exec_lo, exec_lo, s6
	global_load_b32 v7, v[7:8], off offset:1800
	v_mov_b32_e32 v9, 0
	s_mov_b32 s6, exec_lo
	s_wait_loadcnt 0x0
	v_dual_mov_b32 v8, 0 :: v_dual_and_b32 v1, 0xff, v7
	s_delay_alu instid0(VALU_DEP_1)
	v_cmpx_ne_u16_e32 0, v1
	s_cbranch_execz .LBB278_498
; %bb.491:                              ;   in Loop: Header=BB278_10 Depth=1
	v_mov_b32_e32 v9, 0x8000
	s_mov_b32 s34, exec_lo
	v_cmpx_ne_u16_e32 0x80, v1
	s_cbranch_execz .LBB278_497
; %bb.492:                              ;   in Loop: Header=BB278_10 Depth=1
	v_and_b32_e32 v84, 0x7f, v7
	v_mov_b32_e32 v9, 0x7c01
	s_mov_b32 s35, exec_lo
	s_delay_alu instid0(VALU_DEP_2)
	v_cmpx_ne_u32_e32 0x7f, v84
	s_cbranch_execz .LBB278_496
; %bb.493:                              ;   in Loop: Header=BB278_10 Depth=1
	v_and_b32_e32 v1, 7, v7
	v_lshrrev_b32_e32 v9, 3, v84
	s_mov_b32 s36, exec_lo
	v_cmpx_gt_u32_e32 8, v84
; %bb.494:                              ;   in Loop: Header=BB278_10 Depth=1
	s_delay_alu instid0(VALU_DEP_3) | instskip(NEXT) | instid1(VALU_DEP_1)
	v_clz_i32_u32_e32 v1, v1
	v_min_u32_e32 v1, 32, v1
	s_delay_alu instid0(VALU_DEP_1) | instskip(NEXT) | instid1(VALU_DEP_1)
	v_subrev_nc_u32_e32 v9, 28, v1
	v_lshlrev_b64_e32 v[84:85], v9, v[7:8]
	v_sub_nc_u32_e32 v9, 29, v1
	s_delay_alu instid0(VALU_DEP_2)
	v_and_b32_e32 v1, 7, v84
; %bb.495:                              ;   in Loop: Header=BB278_10 Depth=1
	s_or_b32 exec_lo, exec_lo, s36
	v_lshlrev_b32_e32 v84, 8, v7
	s_delay_alu instid0(VALU_DEP_3) | instskip(NEXT) | instid1(VALU_DEP_3)
	v_lshl_add_u32 v9, v9, 10, 0x2000
	v_lshlrev_b32_e32 v1, 7, v1
	s_delay_alu instid0(VALU_DEP_3) | instskip(NEXT) | instid1(VALU_DEP_3)
	v_and_b32_e32 v84, 0x8000, v84
	v_and_b32_e32 v9, 0xfc00, v9
	s_delay_alu instid0(VALU_DEP_1)
	v_or3_b32 v9, v84, v9, v1
.LBB278_496:                            ;   in Loop: Header=BB278_10 Depth=1
	s_wait_alu 0xfffe
	s_or_b32 exec_lo, exec_lo, s35
.LBB278_497:                            ;   in Loop: Header=BB278_10 Depth=1
	s_wait_alu 0xfffe
	s_or_b32 exec_lo, exec_lo, s34
.LBB278_498:                            ;   in Loop: Header=BB278_10 Depth=1
	s_wait_alu 0xfffe
	s_or_b32 exec_lo, exec_lo, s6
	v_lshrrev_b16 v1, 8, v7
	s_mov_b32 s6, exec_lo
	s_delay_alu instid0(VALU_DEP_1)
	v_cmpx_ne_u16_e32 0, v1
	s_cbranch_execz .LBB278_506
; %bb.499:                              ;   in Loop: Header=BB278_10 Depth=1
	v_bfrev_b32_e32 v8, 1
	s_mov_b32 s34, exec_lo
	v_cmpx_ne_u16_e32 0x80, v1
	s_cbranch_execz .LBB278_505
; %bb.500:                              ;   in Loop: Header=BB278_10 Depth=1
	v_and_b32_e32 v84, 0xffff, v1
	v_mov_b32_e32 v8, 0x7c010000
	s_mov_b32 s35, exec_lo
	s_delay_alu instid0(VALU_DEP_2) | instskip(NEXT) | instid1(VALU_DEP_1)
	v_and_b32_e32 v86, 0x7f, v84
	v_cmpx_ne_u32_e32 0x7f, v86
	s_cbranch_execz .LBB278_504
; %bb.501:                              ;   in Loop: Header=BB278_10 Depth=1
	v_and_b32_e32 v8, 7, v84
	v_lshrrev_b32_e32 v85, 3, v86
	s_mov_b32 s36, exec_lo
	v_cmpx_gt_u32_e32 8, v86
; %bb.502:                              ;   in Loop: Header=BB278_10 Depth=1
	s_delay_alu instid0(VALU_DEP_3) | instskip(NEXT) | instid1(VALU_DEP_1)
	v_clz_i32_u32_e32 v8, v8
	v_min_u32_e32 v8, 32, v8
	s_delay_alu instid0(VALU_DEP_1) | instskip(NEXT) | instid1(VALU_DEP_1)
	v_subrev_nc_u32_e32 v85, 28, v8
	v_lshlrev_b64_e32 v[86:87], v85, v[1:2]
	v_sub_nc_u32_e32 v85, 29, v8
	s_delay_alu instid0(VALU_DEP_2)
	v_and_b32_e32 v8, 7, v86
; %bb.503:                              ;   in Loop: Header=BB278_10 Depth=1
	s_or_b32 exec_lo, exec_lo, s36
	v_lshlrev_b32_e32 v1, 8, v84
	s_delay_alu instid0(VALU_DEP_3) | instskip(NEXT) | instid1(VALU_DEP_3)
	v_lshl_add_u32 v84, v85, 10, 0x2000
	v_lshlrev_b32_e32 v8, 23, v8
	s_delay_alu instid0(VALU_DEP_2) | instskip(NEXT) | instid1(VALU_DEP_1)
	v_and_or_b32 v1, 0x8000, v1, v84
	v_lshl_or_b32 v8, v1, 16, v8
.LBB278_504:                            ;   in Loop: Header=BB278_10 Depth=1
	s_wait_alu 0xfffe
	s_or_b32 exec_lo, exec_lo, s35
.LBB278_505:                            ;   in Loop: Header=BB278_10 Depth=1
	s_wait_alu 0xfffe
	s_or_b32 exec_lo, exec_lo, s34
.LBB278_506:                            ;   in Loop: Header=BB278_10 Depth=1
	s_wait_alu 0xfffe
	s_or_b32 exec_lo, exec_lo, s6
	v_lshrrev_b32_e32 v1, 16, v7
	v_mov_b32_e32 v84, 0
	s_mov_b32 s6, exec_lo
	s_delay_alu instid0(VALU_DEP_2) | instskip(NEXT) | instid1(VALU_DEP_1)
	v_dual_mov_b32 v85, 0 :: v_dual_and_b32 v86, 0xff, v1
	v_cmpx_ne_u16_e32 0, v86
	s_cbranch_execz .LBB278_514
; %bb.507:                              ;   in Loop: Header=BB278_10 Depth=1
	v_mov_b32_e32 v85, 0x8000
	s_mov_b32 s34, exec_lo
	v_cmpx_ne_u16_e32 0x80, v86
	s_cbranch_execz .LBB278_513
; %bb.508:                              ;   in Loop: Header=BB278_10 Depth=1
	v_bfe_u32 v87, v7, 16, 7
	v_mov_b32_e32 v85, 0x7c01
	s_mov_b32 s35, exec_lo
	s_delay_alu instid0(VALU_DEP_2)
	v_cmpx_ne_u32_e32 0x7f, v87
	s_cbranch_execz .LBB278_512
; %bb.509:                              ;   in Loop: Header=BB278_10 Depth=1
	v_and_b32_e32 v85, 7, v1
	v_lshrrev_b32_e32 v86, 3, v87
	s_mov_b32 s36, exec_lo
	v_cmpx_gt_u32_e32 8, v87
; %bb.510:                              ;   in Loop: Header=BB278_10 Depth=1
	s_delay_alu instid0(VALU_DEP_3) | instskip(NEXT) | instid1(VALU_DEP_1)
	v_clz_i32_u32_e32 v85, v85
	v_min_u32_e32 v87, 32, v85
	s_delay_alu instid0(VALU_DEP_1) | instskip(NEXT) | instid1(VALU_DEP_1)
	v_subrev_nc_u32_e32 v85, 28, v87
	v_lshlrev_b64_e32 v[85:86], v85, v[1:2]
	v_sub_nc_u32_e32 v86, 29, v87
	s_delay_alu instid0(VALU_DEP_2)
	v_and_b32_e32 v85, 7, v85
; %bb.511:                              ;   in Loop: Header=BB278_10 Depth=1
	s_or_b32 exec_lo, exec_lo, s36
	v_lshlrev_b32_e32 v1, 8, v1
	s_delay_alu instid0(VALU_DEP_3) | instskip(NEXT) | instid1(VALU_DEP_3)
	v_lshl_add_u32 v86, v86, 10, 0x2000
	v_lshlrev_b32_e32 v85, 7, v85
	s_delay_alu instid0(VALU_DEP_3) | instskip(NEXT) | instid1(VALU_DEP_3)
	v_and_b32_e32 v1, 0x8000, v1
	v_and_b32_e32 v86, 0xfc00, v86
	s_delay_alu instid0(VALU_DEP_1)
	v_or3_b32 v85, v1, v86, v85
.LBB278_512:                            ;   in Loop: Header=BB278_10 Depth=1
	s_wait_alu 0xfffe
	s_or_b32 exec_lo, exec_lo, s35
.LBB278_513:                            ;   in Loop: Header=BB278_10 Depth=1
	s_wait_alu 0xfffe
	s_or_b32 exec_lo, exec_lo, s34
.LBB278_514:                            ;   in Loop: Header=BB278_10 Depth=1
	s_wait_alu 0xfffe
	s_or_b32 exec_lo, exec_lo, s6
	s_delay_alu instid0(SALU_CYCLE_1)
	s_mov_b32 s6, exec_lo
	v_cmpx_lt_u32_e32 0xffffff, v7
	s_cbranch_execz .LBB278_522
; %bb.515:                              ;   in Loop: Header=BB278_10 Depth=1
	v_lshrrev_b32_e32 v1, 24, v7
	v_bfrev_b32_e32 v84, 1
	s_mov_b32 s34, exec_lo
	s_delay_alu instid0(VALU_DEP_2)
	v_cmpx_ne_u32_e32 0x80, v1
	s_cbranch_execz .LBB278_521
; %bb.516:                              ;   in Loop: Header=BB278_10 Depth=1
	v_and_b32_e32 v86, 0x7f, v1
	v_mov_b32_e32 v84, 0x7c010000
	s_mov_b32 s35, exec_lo
	s_delay_alu instid0(VALU_DEP_2)
	v_cmpx_ne_u32_e32 0x7f, v86
	s_cbranch_execz .LBB278_520
; %bb.517:                              ;   in Loop: Header=BB278_10 Depth=1
	v_and_b32_e32 v7, 7, v1
	v_lshrrev_b32_e32 v84, 3, v86
	s_mov_b32 s36, exec_lo
	v_cmpx_gt_u32_e32 8, v86
; %bb.518:                              ;   in Loop: Header=BB278_10 Depth=1
	s_delay_alu instid0(VALU_DEP_3) | instskip(NEXT) | instid1(VALU_DEP_1)
	v_clz_i32_u32_e32 v7, v7
	v_min_u32_e32 v7, 32, v7
	s_delay_alu instid0(VALU_DEP_1) | instskip(NEXT) | instid1(VALU_DEP_1)
	v_subrev_nc_u32_e32 v84, 28, v7
	v_lshlrev_b64_e32 v[86:87], v84, v[1:2]
	v_sub_nc_u32_e32 v84, 29, v7
	s_delay_alu instid0(VALU_DEP_2)
	v_and_b32_e32 v7, 7, v86
; %bb.519:                              ;   in Loop: Header=BB278_10 Depth=1
	s_or_b32 exec_lo, exec_lo, s36
	v_lshlrev_b32_e32 v1, 8, v1
	s_delay_alu instid0(VALU_DEP_3) | instskip(NEXT) | instid1(VALU_DEP_3)
	v_lshl_add_u32 v84, v84, 10, 0x2000
	v_lshlrev_b32_e32 v7, 23, v7
	s_delay_alu instid0(VALU_DEP_2) | instskip(NEXT) | instid1(VALU_DEP_1)
	v_and_or_b32 v1, 0x8000, v1, v84
	v_lshl_or_b32 v84, v1, 16, v7
.LBB278_520:                            ;   in Loop: Header=BB278_10 Depth=1
	s_wait_alu 0xfffe
	s_or_b32 exec_lo, exec_lo, s35
.LBB278_521:                            ;   in Loop: Header=BB278_10 Depth=1
	s_wait_alu 0xfffe
	s_or_b32 exec_lo, exec_lo, s34
.LBB278_522:                            ;   in Loop: Header=BB278_10 Depth=1
	s_wait_alu 0xfffe
	s_or_b32 exec_lo, exec_lo, s6
	ds_load_b64 v[86:87], v19
	v_or_b32_e32 v1, v24, v25
	v_or_b32_e32 v7, v26, v27
	v_fma_mixlo_f16 v24, v23, v24, 0 op_sel:[0,1,0] op_sel_hi:[0,1,0]
	v_fma_mixlo_f16 v25, v23, v26, 0 op_sel:[0,1,0] op_sel_hi:[0,1,0]
	v_or_b32_e32 v29, v28, v29
	v_fma_mixlo_f16 v1, v23, v1, 0 op_sel_hi:[0,1,0]
	v_fma_mixlo_f16 v7, v23, v7, 0 op_sel_hi:[0,1,0]
	v_and_b32_e32 v24, 0xffff, v24
	v_and_b32_e32 v88, 0xffff, v25
	v_or_b32_e32 v31, v30, v31
	v_and_b32_e32 v25, 0xffff, v1
	v_fma_mixlo_f16 v28, v23, v28, 0 op_sel:[0,1,0] op_sel_hi:[0,1,0]
	v_fma_mixlo_f16 v30, v23, v30, 0 op_sel:[0,1,0] op_sel_hi:[0,1,0]
	v_fma_mixlo_f16 v29, v23, v29, 0 op_sel_hi:[0,1,0]
	v_or_b32_e32 v69, v68, v69
	v_fma_mixlo_f16 v68, v23, v68, 0 op_sel:[0,1,0] op_sel_hi:[0,1,0]
	v_fma_mixlo_f16 v31, v23, v31, 0 op_sel_hi:[0,1,0]
	v_and_b32_e32 v92, 0xffff, v28
	v_or_b32_e32 v33, v32, v33
	s_wait_dscnt 0x0
	v_and_b32_e32 v1, 0xffff, v86
	v_lshrrev_b32_e32 v26, 16, v86
	v_and_b32_e32 v86, 0xffff, v7
	v_lshrrev_b32_e32 v89, 16, v87
	v_and_b32_e32 v27, 0xffff, v87
	;;#ASMSTART
	v_cvt_f32_f16 v1, v1;
	;;#ASMEND
	;;#ASMSTART
	v_cvt_f32_f16 v7, v26;
	;;#ASMEND
	;; [unrolled: 3-line block ×8, first 2 shown]
	ds_load_b64 v[88:89], v19 offset:8
	v_and_b32_e32 v93, 0xffff, v30
	v_and_b32_e32 v29, 0xffff, v29
	;; [unrolled: 1-line block ×3, first 2 shown]
	v_or_b32_e32 v35, v34, v35
	v_fma_mixlo_f16 v32, v23, v32, 0 op_sel:[0,1,0] op_sel_hi:[0,1,0]
	v_fma_mixlo_f16 v34, v23, v34, 0 op_sel:[0,1,0] op_sel_hi:[0,1,0]
	v_fma_mixlo_f16 v33, v23, v33, 0 op_sel_hi:[0,1,0]
	v_or_b32_e32 v37, v36, v37
	v_fma_mixlo_f16 v35, v23, v35, 0 op_sel_hi:[0,1,0]
	v_or_b32_e32 v39, v38, v39
	v_fma_mixlo_f16 v36, v23, v36, 0 op_sel:[0,1,0] op_sel_hi:[0,1,0]
	v_fma_mixlo_f16 v38, v23, v38, 0 op_sel:[0,1,0] op_sel_hi:[0,1,0]
	v_fma_mixlo_f16 v37, v23, v37, 0 op_sel_hi:[0,1,0]
	v_and_b32_e32 v96, 0xffff, v35
	v_fma_mixlo_f16 v39, v23, v39, 0 op_sel_hi:[0,1,0]
	v_and_b32_e32 v98, 0xffff, v36
	v_or_b32_e32 v41, v40, v41
	v_or_b32_e32 v45, v44, v45
	v_fma_mixlo_f16 v40, v23, v40, 0 op_sel:[0,1,0] op_sel_hi:[0,1,0]
	s_wait_dscnt 0x0
	v_and_b32_e32 v28, 0xffff, v88
	v_lshrrev_b32_e32 v30, 16, v88
	;;#ASMSTART
	v_cvt_f32_f16 v90, v28;
	;;#ASMEND
	;;#ASMSTART
	v_cvt_f32_f16 v28, v30;
	;;#ASMEND
	;; [unrolled: 3-line block ×3, first 2 shown]
	v_mul_f32_e32 v68, v90, v91
	v_and_b32_e32 v88, 0xffff, v31
	v_and_b32_e32 v31, 0xffff, v89
	v_lshrrev_b32_e32 v94, 16, v89
	;;#ASMSTART
	v_cvt_f32_f16 v30, v92;
	;;#ASMEND
	;;#ASMSTART
	v_cvt_f32_f16 v31, v31;
	;;#ASMEND
	;; [unrolled: 3-line block ×4, first 2 shown]
	v_fmac_f32_e32 v68, v1, v25
	;;#ASMSTART
	v_cvt_f32_f16 v89, v93;
	;;#ASMEND
	ds_load_b64 v[92:93], v19 offset:16
	v_mul_f32_e32 v28, v28, v30
	v_and_b32_e32 v94, 0xffff, v32
	v_and_b32_e32 v100, 0xffff, v39
	v_fma_mixlo_f16 v44, v23, v44, 0 op_sel:[0,1,0] op_sel_hi:[0,1,0]
	v_fma_mixlo_f16 v41, v23, v41, 0 op_sel_hi:[0,1,0]
	v_fmac_f32_e32 v28, v7, v26
	v_and_b32_e32 v95, 0xffff, v34
	v_and_b32_e32 v34, 0xffff, v33
	v_fma_mixlo_f16 v45, v23, v45, 0 op_sel_hi:[0,1,0]
	v_and_b32_e32 v102, 0xffff, v40
	v_or_b32_e32 v61, v60, v61
	v_or_b32_e32 v43, v42, v43
	;; [unrolled: 1-line block ×3, first 2 shown]
	v_and_b32_e32 v104, 0xffff, v45
	v_fma_mixlo_f16 v42, v23, v42, 0 op_sel:[0,1,0] op_sel_hi:[0,1,0]
	v_fma_mixlo_f16 v61, v23, v61, 0 op_sel_hi:[0,1,0]
	v_fma_mixlo_f16 v46, v23, v46, 0 op_sel:[0,1,0] op_sel_hi:[0,1,0]
	v_fma_mixlo_f16 v43, v23, v43, 0 op_sel_hi:[0,1,0]
	v_fma_mixlo_f16 v47, v23, v47, 0 op_sel_hi:[0,1,0]
	s_wait_dscnt 0x0
	v_and_b32_e32 v32, 0xffff, v92
	v_lshrrev_b32_e32 v33, 16, v92
	v_lshrrev_b32_e32 v97, 16, v93
	v_and_b32_e32 v92, 0xffff, v93
	;;#ASMSTART
	v_cvt_f32_f16 v32, v32;
	;;#ASMEND
	;;#ASMSTART
	v_cvt_f32_f16 v33, v33;
	;;#ASMEND
	;; [unrolled: 3-line block ×7, first 2 shown]
	v_fmac_f32_e32 v28, v33, v35
	;;#ASMSTART
	v_cvt_f32_f16 v95, v95;
	;;#ASMEND
	ds_load_b64 v[96:97], v19 offset:24
	v_and_b32_e32 v99, 0xffff, v38
	v_and_b32_e32 v38, 0xffff, v37
	v_dual_fmac_f32 v68, v32, v34 :: v_dual_and_b32 v103, 0xffff, v44
	v_and_b32_e32 v44, 0xffff, v41
	v_and_b32_e32 v106, 0xffff, v42
	;; [unrolled: 1-line block ×3, first 2 shown]
	v_or_b32_e32 v49, v48, v49
	v_mul_f32_e32 v30, v31, v88
	v_or_b32_e32 v51, v50, v51
	v_fma_mixlo_f16 v48, v23, v48, 0 op_sel:[0,1,0] op_sel_hi:[0,1,0]
	v_fma_mixlo_f16 v50, v23, v50, 0 op_sel:[0,1,0] op_sel_hi:[0,1,0]
	v_fma_mixlo_f16 v49, v23, v49, 0 op_sel_hi:[0,1,0]
	v_fmac_f32_e32 v30, v27, v87
	v_fma_mixlo_f16 v51, v23, v51, 0 op_sel_hi:[0,1,0]
	v_and_b32_e32 v112, 0xffff, v48
	v_or_b32_e32 v53, v52, v53
	s_delay_alu instid0(VALU_DEP_4)
	v_dual_fmac_f32 v30, v92, v94 :: v_dual_and_b32 v49, 0xffff, v49
	s_wait_dscnt 0x0
	v_and_b32_e32 v36, 0xffff, v96
	v_lshrrev_b32_e32 v37, 16, v96
	v_lshrrev_b32_e32 v101, 16, v97
	v_and_b32_e32 v96, 0xffff, v97
	;;#ASMSTART
	v_cvt_f32_f16 v36, v36;
	;;#ASMEND
	;;#ASMSTART
	v_cvt_f32_f16 v37, v37;
	;;#ASMEND
	;; [unrolled: 3-line block ×7, first 2 shown]
	v_fmac_f32_e32 v28, v37, v39
	;;#ASMSTART
	v_cvt_f32_f16 v99, v99;
	;;#ASMEND
	ds_load_b64 v[100:101], v19 offset:32
	v_dual_fmac_f32 v68, v36, v38 :: v_dual_and_b32 v61, 0xffff, v61
	v_or_b32_e32 v55, v54, v55
	v_fma_mixlo_f16 v52, v23, v52, 0 op_sel:[0,1,0] op_sel_hi:[0,1,0]
	v_fma_mixlo_f16 v54, v23, v54, 0 op_sel:[0,1,0] op_sel_hi:[0,1,0]
	v_fma_mixlo_f16 v53, v23, v53, 0 op_sel_hi:[0,1,0]
	v_or_b32_e32 v59, v58, v59
	v_fma_mixlo_f16 v55, v23, v55, 0 op_sel_hi:[0,1,0]
	v_and_b32_e32 v114, 0xffff, v52
	v_or_b32_e32 v57, v56, v57
	v_fma_mixlo_f16 v56, v23, v56, 0 op_sel:[0,1,0] op_sel_hi:[0,1,0]
	v_fma_mixlo_f16 v59, v23, v59, 0 op_sel_hi:[0,1,0]
	v_and_b32_e32 v116, 0xffff, v55
	v_fma_mixlo_f16 v58, v23, v58, 0 op_sel:[0,1,0] op_sel_hi:[0,1,0]
	v_fma_mixlo_f16 v57, v23, v57, 0 op_sel_hi:[0,1,0]
	v_and_b32_e32 v118, 0xffff, v56
	v_fmac_f32_e32 v30, v96, v98
	v_and_b32_e32 v120, 0xffff, v59
	v_or_b32_e32 v63, v62, v63
	s_wait_dscnt 0x0
	v_and_b32_e32 v40, 0xffff, v100
	v_lshrrev_b32_e32 v41, 16, v100
	v_lshrrev_b32_e32 v105, 16, v101
	v_and_b32_e32 v100, 0xffff, v101
	;;#ASMSTART
	v_cvt_f32_f16 v40, v40;
	;;#ASMEND
	;;#ASMSTART
	v_cvt_f32_f16 v41, v41;
	;;#ASMEND
	;; [unrolled: 3-line block ×8, first 2 shown]
	ds_load_b64 v[104:105], v19 offset:40
	v_dual_fmac_f32 v68, v40, v44 :: v_dual_and_b32 v107, 0xffff, v46
	v_and_b32_e32 v46, 0xffff, v43
	v_dual_fmac_f32 v28, v41, v45 :: v_dual_and_b32 v113, 0xffff, v50
	v_fmac_f32_e32 v30, v100, v102
	v_fma_mixlo_f16 v60, v23, v60, 0 op_sel:[0,1,0] op_sel_hi:[0,1,0]
	v_fma_mixlo_f16 v62, v23, v62, 0 op_sel:[0,1,0] op_sel_hi:[0,1,0]
	v_fma_mixlo_f16 v63, v23, v63, 0 op_sel_hi:[0,1,0]
	v_or_b32_e32 v65, v64, v65
	v_or_b32_e32 v67, v66, v67
	v_and_b32_e32 v60, 0xffff, v60
	v_fma_mixlo_f16 v64, v23, v64, 0 op_sel:[0,1,0] op_sel_hi:[0,1,0]
	v_and_b32_e32 v124, 0xffff, v63
	v_fma_mixlo_f16 v66, v23, v66, 0 op_sel:[0,1,0] op_sel_hi:[0,1,0]
	v_fma_mixlo_f16 v65, v23, v65, 0 op_sel_hi:[0,1,0]
	v_fma_mixlo_f16 v67, v23, v67, 0 op_sel_hi:[0,1,0]
	v_and_b32_e32 v126, 0xffff, v64
	v_or_b32_e32 v71, v70, v71
	s_wait_dscnt 0x0
	v_and_b32_e32 v42, 0xffff, v104
	v_lshrrev_b32_e32 v43, 16, v104
	v_lshrrev_b32_e32 v109, 16, v105
	v_and_b32_e32 v104, 0xffff, v105
	;;#ASMSTART
	v_cvt_f32_f16 v42, v42;
	;;#ASMEND
	;;#ASMSTART
	v_cvt_f32_f16 v43, v43;
	;;#ASMEND
	;; [unrolled: 3-line block ×8, first 2 shown]
	ds_load_b64 v[108:109], v19 offset:48
	v_dual_fmac_f32 v28, v43, v47 :: v_dual_and_b32 v115, 0xffff, v54
	v_and_b32_e32 v54, 0xffff, v53
	v_fmac_f32_e32 v68, v42, v46
	v_and_b32_e32 v128, 0xffff, v67
	v_fma_mixlo_f16 v69, v23, v69, 0 op_sel_hi:[0,1,0]
	v_fma_mixlo_f16 v70, v23, v70, 0 op_sel:[0,1,0] op_sel_hi:[0,1,0]
	v_fma_mixlo_f16 v71, v23, v71, 0 op_sel_hi:[0,1,0]
	v_or_b32_e32 v73, v72, v73
	v_or_b32_e32 v75, v74, v75
	v_fma_mixlo_f16 v72, v23, v72, 0 op_sel:[0,1,0] op_sel_hi:[0,1,0]
	v_dual_mul_f32 v29, v29, v89 :: v_dual_and_b32 v132, 0xffff, v70
	s_delay_alu instid0(VALU_DEP_4) | instskip(NEXT) | instid1(VALU_DEP_4)
	v_fma_mixlo_f16 v73, v23, v73, 0 op_sel_hi:[0,1,0]
	v_fma_mixlo_f16 v75, v23, v75, 0 op_sel_hi:[0,1,0]
	v_fma_mixlo_f16 v74, v23, v74, 0 op_sel:[0,1,0] op_sel_hi:[0,1,0]
	v_or_b32_e32 v77, v76, v77
	v_fmac_f32_e32 v29, v24, v86
	v_or_b32_e32 v79, v78, v79
	s_wait_dscnt 0x0
	v_and_b32_e32 v48, 0xffff, v108
	v_lshrrev_b32_e32 v50, 16, v108
	v_and_b32_e32 v108, 0xffff, v51
	v_lshrrev_b32_e32 v51, 16, v109
	v_and_b32_e32 v109, 0xffff, v109
	;;#ASMSTART
	v_cvt_f32_f16 v110, v48;
	;;#ASMEND
	;;#ASMSTART
	v_cvt_f32_f16 v48, v50;
	;;#ASMEND
	;; [unrolled: 3-line block ×8, first 2 shown]
	ds_load_b64 v[112:113], v19 offset:56
	v_dual_fmac_f32 v68, v110, v111 :: v_dual_and_b32 v119, 0xffff, v58
	v_and_b32_e32 v58, 0xffff, v57
	v_dual_fmac_f32 v28, v48, v49 :: v_dual_and_b32 v125, 0xffff, v62
	v_fma_mixlo_f16 v76, v23, v76, 0 op_sel:[0,1,0] op_sel_hi:[0,1,0]
	v_fma_mixlo_f16 v78, v23, v78, 0 op_sel:[0,1,0] op_sel_hi:[0,1,0]
	v_fmac_f32_e32 v30, v104, v106
	v_and_b32_e32 v129, 0xffff, v66
	v_dual_fmac_f32 v29, v93, v95 :: v_dual_and_b32 v66, 0xffff, v65
	v_and_b32_e32 v76, 0xffff, v76
	s_delay_alu instid0(VALU_DEP_4)
	v_fmac_f32_e32 v30, v50, v108
	v_or_b32_e32 v81, v80, v81
	v_or_b32_e32 v83, v82, v83
	v_fmac_f32_e32 v29, v97, v99
	v_fma_mixlo_f16 v80, v23, v80, 0 op_sel:[0,1,0] op_sel_hi:[0,1,0]
	v_fma_mixlo_f16 v82, v23, v82, 0 op_sel:[0,1,0] op_sel_hi:[0,1,0]
	v_or_b32_e32 v47, v84, v85
	s_wait_dscnt 0x0
	v_and_b32_e32 v52, 0xffff, v112
	v_lshrrev_b32_e32 v112, 16, v112
	v_lshrrev_b32_e32 v117, 16, v113
	v_and_b32_e32 v55, 0xffff, v113
	;;#ASMSTART
	v_cvt_f32_f16 v53, v52;
	;;#ASMEND
	;;#ASMSTART
	v_cvt_f32_f16 v52, v112;
	;;#ASMEND
	;; [unrolled: 3-line block ×8, first 2 shown]
	ds_load_b64 v[116:117], v19 offset:64
	v_dual_fmac_f32 v28, v52, v54 :: v_dual_and_b32 v131, 0xffff, v69
	v_dual_fmac_f32 v68, v53, v113 :: v_dual_and_b32 v133, 0xffff, v71
	v_dual_fmac_f32 v30, v55, v114 :: v_dual_fmac_f32 v29, v101, v103
	s_delay_alu instid0(VALU_DEP_1) | instskip(NEXT) | instid1(VALU_DEP_1)
	v_dual_fmac_f32 v29, v105, v107 :: v_dual_and_b32 v46, 0xffff, v82
	v_fmac_f32_e32 v29, v51, v109
	s_wait_dscnt 0x0
	v_and_b32_e32 v59, 0xffff, v117
	v_and_b32_e32 v56, 0xffff, v116
	v_lshrrev_b32_e32 v116, 16, v116
	v_lshrrev_b32_e32 v121, 16, v117
	;;#ASMSTART
	v_cvt_f32_f16 v57, v56;
	;;#ASMEND
	;;#ASMSTART
	v_cvt_f32_f16 v56, v116;
	;;#ASMEND
	;; [unrolled: 3-line block ×8, first 2 shown]
	ds_load_b64 v[120:121], v19 offset:72
	v_dual_fmac_f32 v28, v56, v58 :: v_dual_and_b32 v73, 0xffff, v73
	v_fmac_f32_e32 v30, v59, v118
	v_dual_fmac_f32 v68, v57, v117 :: v_dual_fmac_f32 v29, v112, v115
	s_wait_dscnt 0x0
	s_delay_alu instid0(VALU_DEP_1)
	v_dual_fmac_f32 v29, v116, v119 :: v_dual_and_b32 v62, 0xffff, v120
	v_lshrrev_b32_e32 v120, 16, v120
	v_lshrrev_b32_e32 v123, 16, v121
	v_and_b32_e32 v122, 0xffff, v121
	;;#ASMSTART
	v_cvt_f32_f16 v62, v62;
	;;#ASMEND
	;;#ASMSTART
	v_cvt_f32_f16 v63, v120;
	;;#ASMEND
	;; [unrolled: 3-line block ×8, first 2 shown]
	ds_load_b64 v[60:61], v19 offset:80
	v_dual_fmac_f32 v68, v62, v120 :: v_dual_and_b32 v75, 0xffff, v75
	v_fmac_f32_e32 v28, v63, v121
	v_dual_fmac_f32 v30, v122, v124 :: v_dual_fmac_f32 v29, v123, v125
	s_wait_dscnt 0x0
	v_lshrrev_b32_e32 v127, 16, v61
	v_and_b32_e32 v61, 0xffff, v61
	v_and_b32_e32 v64, 0xffff, v60
	v_lshrrev_b32_e32 v60, 16, v60
	;;#ASMSTART
	v_cvt_f32_f16 v64, v64;
	;;#ASMEND
	;;#ASMSTART
	v_cvt_f32_f16 v65, v60;
	;;#ASMEND
	;; [unrolled: 3-line block ×8, first 2 shown]
	ds_load_b64 v[60:61], v19 offset:88
	v_fmac_f32_e32 v68, v64, v66
	v_dual_fmac_f32 v28, v65, v67 :: v_dual_fmac_f32 v29, v127, v129
	s_wait_dscnt 0x0
	v_and_b32_e32 v69, 0xffff, v60
	v_lshrrev_b32_e32 v60, 16, v60
	v_lshrrev_b32_e32 v134, 16, v61
	v_and_b32_e32 v61, 0xffff, v61
	;;#ASMSTART
	v_cvt_f32_f16 v69, v69;
	;;#ASMEND
	;;#ASMSTART
	v_cvt_f32_f16 v70, v60;
	;;#ASMEND
	;; [unrolled: 3-line block ×8, first 2 shown]
	ds_load_b64 v[60:61], v19 offset:96
	v_and_b32_e32 v133, 0xffff, v72
	v_and_b32_e32 v134, 0xffff, v74
	v_fma_mixlo_f16 v74, v23, v77, 0 op_sel_hi:[0,1,0]
	v_fma_mixlo_f16 v77, v23, v79, 0 op_sel_hi:[0,1,0]
	v_fma_mixlo_f16 v72, v23, v81, 0 op_sel_hi:[0,1,0]
	v_fma_mixlo_f16 v79, v23, v83, 0 op_sel_hi:[0,1,0]
	v_fmac_f32_e32 v30, v126, v128
	v_and_b32_e32 v34, 0xffff, v74
	v_and_b32_e32 v38, 0xffff, v77
	;; [unrolled: 1-line block ×4, first 2 shown]
	v_fmac_f32_e32 v68, v69, v71
	v_fmac_f32_e32 v28, v70, v90
	;; [unrolled: 1-line block ×3, first 2 shown]
	s_wait_dscnt 0x0
	v_and_b32_e32 v1, 0xffff, v60
	v_lshrrev_b32_e32 v24, 16, v61
	v_and_b32_e32 v25, 0xffff, v61
	v_lshrrev_b32_e32 v7, 16, v60
	;;#ASMSTART
	v_cvt_f32_f16 v1, v1;
	;;#ASMEND
	;;#ASMSTART
	v_cvt_f32_f16 v26, v7;
	;;#ASMEND
	;; [unrolled: 3-line block ×8, first 2 shown]
	ds_load_b64 v[24:25], v19 offset:104
	v_dual_fmac_f32 v28, v26, v31 :: v_dual_and_b32 v7, 0xffff, v78
	v_fmac_f32_e32 v68, v1, v27
	v_fma_mixlo_f16 v1, v23, v47, 0 op_sel_hi:[0,1,0]
	s_wait_dscnt 0x0
	v_dual_fmac_f32 v29, v61, v75 :: v_dual_and_b32 v32, 0xffff, v24
	v_lshrrev_b32_e32 v24, 16, v24
	v_lshrrev_b32_e32 v37, 16, v25
	v_and_b32_e32 v25, 0xffff, v25
	;;#ASMSTART
	v_cvt_f32_f16 v32, v32;
	;;#ASMEND
	;;#ASMSTART
	v_cvt_f32_f16 v33, v24;
	;;#ASMEND
	;; [unrolled: 3-line block ×8, first 2 shown]
	ds_load_b64 v[24:25], v19 offset:112
	v_or_b32_e32 v7, v8, v9
	v_fma_mixlo_f16 v9, v23, v8, 0 op_sel:[0,1,0] op_sel_hi:[0,1,0]
	v_fmac_f32_e32 v30, v91, v131
	v_fmac_f32_e32 v28, v33, v35
	;; [unrolled: 1-line block ×3, first 2 shown]
	v_fma_mixlo_f16 v40, v23, v7, 0 op_sel_hi:[0,1,0]
	v_fma_mixlo_f16 v23, v23, v84, 0 op_sel:[0,1,0] op_sel_hi:[0,1,0]
	v_and_b32_e32 v27, 0xffff, v9
	v_dual_fmac_f32 v30, v60, v73 :: v_dual_fmac_f32 v29, v37, v39
	s_delay_alu instid0(VALU_DEP_4)
	v_and_b32_e32 v26, 0xffff, v40
	s_wait_dscnt 0x0
	v_and_b32_e32 v7, 0xffff, v24
	v_lshrrev_b32_e32 v8, 16, v24
	;;#ASMSTART
	v_cvt_f32_f16 v24, v7;
	;;#ASMEND
	;;#ASMSTART
	v_cvt_f32_f16 v41, v8;
	;;#ASMEND
	v_and_b32_e32 v7, 0xffff, v80
	v_and_b32_e32 v8, 0xffff, v25
	v_lshrrev_b32_e32 v44, 16, v25
	;;#ASMSTART
	v_cvt_f32_f16 v42, v42;
	;;#ASMEND
	;;#ASMSTART
	v_cvt_f32_f16 v25, v7;
	;;#ASMEND
	;;#ASMSTART
	v_cvt_f32_f16 v43, v8;
	;;#ASMEND
	;;#ASMSTART
	v_cvt_f32_f16 v44, v44;
	;;#ASMEND
	;;#ASMSTART
	v_cvt_f32_f16 v45, v45;
	;;#ASMEND
	;;#ASMSTART
	v_cvt_f32_f16 v46, v46;
	;;#ASMEND
	ds_load_b64 v[7:8], v19 offset:120
	v_fmac_f32_e32 v28, v41, v25
	v_fmac_f32_e32 v68, v24, v42
	s_wait_dscnt 0x0
	v_dual_fmac_f32 v29, v44, v46 :: v_dual_and_b32 v24, 0xffff, v7
	v_lshrrev_b32_e32 v25, 16, v7
	;;#ASMSTART
	v_cvt_f32_f16 v7, v24;
	;;#ASMEND
	;;#ASMSTART
	v_cvt_f32_f16 v9, v25;
	;;#ASMEND
	;; [unrolled: 3-line block ×4, first 2 shown]
	v_dual_fmac_f32 v28, v9, v25 :: v_dual_and_b32 v9, 0xffff, v23
	v_fmac_f32_e32 v30, v36, v38
	v_and_b32_e32 v26, 0xffff, v8
	v_lshrrev_b32_e32 v8, 16, v8
	v_dual_fmac_f32 v68, v7, v24 :: v_dual_and_b32 v27, 0xffff, v1
	s_delay_alu instid0(VALU_DEP_4)
	v_fmac_f32_e32 v30, v43, v45
	;;#ASMSTART
	v_cvt_f32_f16 v1, v26;
	;;#ASMEND
	;;#ASMSTART
	v_cvt_f32_f16 v7, v8;
	;;#ASMEND
	;; [unrolled: 3-line block ×4, first 2 shown]
	v_fmac_f32_e32 v30, v1, v8
	v_xor_b32_e32 v8, 1, v16
	v_add_f32_e32 v1, v68, v28
	v_fmac_f32_e32 v29, v7, v9
	s_delay_alu instid0(VALU_DEP_3) | instskip(NEXT) | instid1(VALU_DEP_3)
	v_cmp_gt_i32_e64 s5, 32, v8
	v_add_f32_e32 v1, v1, v30
	s_wait_alu 0xf1ff
	s_delay_alu instid0(VALU_DEP_2) | instskip(NEXT) | instid1(VALU_DEP_2)
	v_cndmask_b32_e64 v7, v16, v8, s5
	v_add_f32_e32 v1, v29, v1
	s_delay_alu instid0(VALU_DEP_2)
	v_lshlrev_b32_e32 v7, 2, v7
	ds_bpermute_b32 v7, v7, v1
	s_and_saveexec_b32 s6, vcc_lo
	s_cbranch_execz .LBB278_9
; %bb.523:                              ;   in Loop: Header=BB278_10 Depth=1
	s_wait_dscnt 0x0
	v_dual_add_f32 v1, v1, v7 :: v_dual_add_nc_u32 v8, s19, v20
	v_cmp_gt_i32_e64 s5, s27, v20
	s_delay_alu instid0(VALU_DEP_2) | instskip(NEXT) | instid1(VALU_DEP_1)
	v_cvt_f32_i32_e32 v8, v8
	v_mul_f32_e32 v8, s12, v8
	s_delay_alu instid0(VALU_DEP_1) | instskip(NEXT) | instid1(VALU_DEP_1)
	v_cndmask_b32_e64 v7, 0, v8, s4
	v_dual_max_num_f32 v8, v18, v18 :: v_dual_fmac_f32 v7, s7, v1
	s_delay_alu instid0(VALU_DEP_1) | instskip(SKIP_2) | instid1(VALU_DEP_2)
	v_max_num_f32_e32 v1, v8, v7
	s_wait_alu 0xf1ff
	v_cndmask_b32_e64 v7, 0, v7, s5
	v_cndmask_b32_e64 v18, v18, v1, s5
	ds_store_b32 v21, v7
	s_branch .LBB278_9
.LBB278_524:
	s_or_b32 exec_lo, exec_lo, s14
.LBB278_525:
	s_delay_alu instid0(SALU_CYCLE_1)
	s_or_b32 exec_lo, exec_lo, s13
	v_xor_b32_e32 v1, 16, v16
	v_xor_b32_e32 v3, 8, v16
	s_wait_dscnt 0x0
	v_xor_b32_e32 v7, 2, v16
	s_clause 0x1
	s_load_b128 s[12:15], s[0:1], 0x0
	s_load_b64 s[6:7], s[0:1], 0x10
	s_wait_kmcnt 0x0
	s_load_b64 s[8:9], s[0:1], 0x28
	v_max_num_f32_e32 v6, v18, v18
	v_cmp_lt_i32_e32 vcc_lo, v1, v17
	v_cndmask_b32_e32 v1, v16, v1, vcc_lo
	v_cmp_lt_i32_e32 vcc_lo, v3, v17
	s_wait_alu 0xfffd
	s_delay_alu instid0(VALU_DEP_2) | instskip(SKIP_4) | instid1(VALU_DEP_1)
	v_dual_cndmask_b32 v3, v16, v3 :: v_dual_lshlrev_b32 v4, 2, v1
	ds_bpermute_b32 v1, v4, v18
	v_lshlrev_b32_e32 v5, 2, v3
	s_wait_dscnt 0x0
	v_dual_max_num_f32 v1, v1, v1 :: v_dual_and_b32 v18, 31, v0
	v_max_num_f32_e32 v1, v6, v1
	v_xor_b32_e32 v6, 4, v16
	s_delay_alu instid0(VALU_DEP_1) | instskip(SKIP_3) | instid1(VALU_DEP_2)
	v_cmp_lt_i32_e32 vcc_lo, v6, v17
	s_wait_alu 0xfffd
	v_cndmask_b32_e32 v6, v16, v6, vcc_lo
	v_cmp_lt_i32_e32 vcc_lo, v7, v17
	v_lshlrev_b32_e32 v6, 2, v6
	ds_bpermute_b32 v3, v5, v1
	s_wait_alu 0xfffd
	v_cndmask_b32_e32 v7, v16, v7, vcc_lo
	v_cmp_eq_u32_e32 vcc_lo, 0, v18
	s_wait_dscnt 0x0
	v_max_num_f32_e32 v3, v3, v3
	s_delay_alu instid0(VALU_DEP_1) | instskip(SKIP_3) | instid1(VALU_DEP_1)
	v_max_num_f32_e32 v1, v1, v3
	ds_bpermute_b32 v3, v6, v1
	s_wait_dscnt 0x0
	v_max_num_f32_e32 v3, v3, v3
	v_max_num_f32_e32 v1, v1, v3
	v_lshlrev_b32_e32 v3, 2, v7
	v_lshlrev_b32_e32 v7, 2, v13
	ds_bpermute_b32 v8, v3, v1
	s_and_saveexec_b32 s0, vcc_lo
	s_cbranch_execz .LBB278_527
; %bb.526:
	s_wait_dscnt 0x0
	v_dual_max_num_f32 v8, v8, v8 :: v_dual_max_num_f32 v1, v1, v1
	s_delay_alu instid0(VALU_DEP_1)
	v_max_num_f32_e32 v1, v1, v8
	ds_store_b32 v7, v1 offset:256
.LBB278_527:
	s_or_b32 exec_lo, exec_lo, s0
	v_cmp_gt_u32_e64 s0, 4, v18
	s_wait_dscnt 0x0
	v_dual_mov_b32 v1, 0xff7fffff :: v_dual_lshlrev_b32 v8, 2, v18
	s_wait_loadcnt 0x0
	s_barrier_signal -1
	s_barrier_wait -1
	global_inv scope:SCOPE_SE
	s_and_saveexec_b32 s1, s0
; %bb.528:
	ds_load_b32 v1, v8 offset:256
; %bb.529:
	s_or_b32 exec_lo, exec_lo, s1
	s_wait_dscnt 0x0
	ds_bpermute_b32 v9, v3, v1
	v_xor_b32_e32 v19, 1, v16
	v_dual_max_num_f32 v1, v1, v1 :: v_dual_lshlrev_b32 v2, 2, v2
	s_delay_alu instid0(VALU_DEP_2) | instskip(NEXT) | instid1(VALU_DEP_1)
	v_cmp_lt_i32_e64 s1, v19, v17
	v_cndmask_b32_e64 v17, v16, v19, s1
	s_sub_co_i32 s1, s21, s33
	s_wait_alu 0xfffe
	s_lshl_b32 s1, s1, 4
	s_delay_alu instid0(VALU_DEP_1)
	v_lshlrev_b32_e32 v17, 2, v17
	s_wait_alu 0xfffe
	s_add_co_i32 s1, s1, s28
	s_wait_alu 0xfffe
	s_min_i32 s1, s1, s27
	s_wait_dscnt 0x0
	v_max_num_f32_e32 v9, v9, v9
	s_wait_alu 0xfffe
	s_sub_co_i32 s5, s1, s28
	s_wait_alu 0xfffe
	v_cmp_gt_i32_e64 s1, s5, v0
	v_max_num_f32_e32 v1, v1, v9
	ds_bpermute_b32 v9, v17, v1
	s_wait_dscnt 0x0
	v_max_num_f32_e32 v9, v9, v9
	s_delay_alu instid0(VALU_DEP_1)
	v_max_num_f32_e32 v1, v1, v9
	v_mov_b32_e32 v9, 0
	ds_bpermute_b32 v1, v2, v1
	v_lshl_add_u32 v2, v0, 2, 0x120
	s_and_saveexec_b32 s19, s1
	s_cbranch_execz .LBB278_533
; %bb.530:
	v_lshl_add_u32 v19, v0, 2, 0x120
	v_dual_mov_b32 v9, 0 :: v_dual_mov_b32 v20, v0
	s_mov_b32 s33, 0
.LBB278_531:                            ; =>This Inner Loop Header: Depth=1
	ds_load_b32 v21, v19
	v_add_nc_u32_e32 v20, 0x80, v20
	s_delay_alu instid0(VALU_DEP_1) | instskip(SKIP_4) | instid1(VALU_DEP_1)
	v_cmp_le_i32_e64 s4, s5, v20
	s_wait_alu 0xfffe
	s_or_b32 s33, s4, s33
	s_wait_dscnt 0x0
	v_sub_f32_e32 v21, v21, v1
	v_mul_f32_e32 v21, 0x3fb8aa3b, v21
	s_delay_alu instid0(VALU_DEP_1)
	v_exp_f32_e32 v21, v21
	ds_store_b32 v19, v21
	v_add_f32_e32 v9, v9, v21
	v_add_nc_u32_e32 v19, 0x200, v19
	s_wait_alu 0xfffe
	s_and_not1_b32 exec_lo, exec_lo, s33
	s_cbranch_execnz .LBB278_531
; %bb.532:
	s_or_b32 exec_lo, exec_lo, s33
.LBB278_533:
	s_wait_alu 0xfffe
	s_or_b32 exec_lo, exec_lo, s19
	ds_bpermute_b32 v4, v4, v9
	s_wait_dscnt 0x0
	v_add_f32_e32 v4, v9, v4
	ds_bpermute_b32 v5, v5, v4
	s_wait_dscnt 0x0
	v_add_f32_e32 v4, v4, v5
	;; [unrolled: 3-line block ×5, first 2 shown]
	s_and_saveexec_b32 s4, vcc_lo
; %bb.534:
	ds_store_b32 v7, v4 offset:272
; %bb.535:
	s_wait_alu 0xfffe
	s_or_b32 exec_lo, exec_lo, s4
	s_wait_loadcnt_dscnt 0x0
	s_barrier_signal -1
	s_barrier_wait -1
	global_inv scope:SCOPE_SE
	s_and_saveexec_b32 s4, s0
; %bb.536:
	ds_load_b32 v4, v8 offset:272
; %bb.537:
	s_wait_alu 0xfffe
	s_or_b32 exec_lo, exec_lo, s4
	s_wait_dscnt 0x0
	ds_bpermute_b32 v3, v3, v4
	v_lshlrev_b32_e32 v5, 2, v16
	s_wait_dscnt 0x0
	v_add_f32_e32 v3, v4, v3
	ds_bpermute_b32 v4, v17, v3
	s_wait_dscnt 0x0
	v_dual_add_f32 v3, v3, v4 :: v_dual_and_b32 v4, 0xffffff80, v5
	ds_bpermute_b32 v3, v4, v3
	s_and_saveexec_b32 s0, s1
	s_cbranch_execz .LBB278_540
; %bb.538:
	s_wait_dscnt 0x0
	v_add_f32_e32 v4, 0x358637bd, v3
	s_mov_b32 s1, 0
	s_delay_alu instid0(VALU_DEP_1) | instskip(SKIP_1) | instid1(VALU_DEP_2)
	v_div_scale_f32 v5, null, v4, v4, 1.0
	v_div_scale_f32 v8, vcc_lo, 1.0, v4, 1.0
	v_rcp_f32_e32 v6, v5
	s_delay_alu instid0(TRANS32_DEP_1) | instskip(NEXT) | instid1(VALU_DEP_1)
	v_fma_f32 v7, -v5, v6, 1.0
	v_fmac_f32_e32 v6, v7, v6
	s_delay_alu instid0(VALU_DEP_1) | instskip(NEXT) | instid1(VALU_DEP_1)
	v_mul_f32_e32 v7, v8, v6
	v_fma_f32 v9, -v5, v7, v8
	s_delay_alu instid0(VALU_DEP_1) | instskip(NEXT) | instid1(VALU_DEP_1)
	v_fmac_f32_e32 v7, v9, v6
	v_fma_f32 v5, -v5, v7, v8
	s_wait_alu 0xfffd
	s_delay_alu instid0(VALU_DEP_1) | instskip(NEXT) | instid1(VALU_DEP_1)
	v_div_fmas_f32 v5, v5, v6, v7
	v_div_fixup_f32 v4, v5, v4, 1.0
	v_mov_b32_e32 v5, v0
.LBB278_539:                            ; =>This Inner Loop Header: Depth=1
	ds_load_b32 v6, v2
	s_wait_dscnt 0x0
	v_dual_mul_f32 v6, v4, v6 :: v_dual_add_nc_u32 v5, 0x80, v5
	s_delay_alu instid0(VALU_DEP_1)
	v_cmp_le_i32_e32 vcc_lo, s5, v5
	ds_store_b32 v2, v6
	v_add_nc_u32_e32 v2, 0x200, v2
	s_wait_alu 0xfffe
	s_or_b32 s1, vcc_lo, s1
	s_wait_alu 0xfffe
	s_and_not1_b32 exec_lo, exec_lo, s1
	s_cbranch_execnz .LBB278_539
.LBB278_540:
	s_wait_alu 0xfffe
	s_or_b32 exec_lo, exec_lo, s0
	s_mul_i32 s0, s16, s29
	s_wait_loadcnt_dscnt 0x0
	s_wait_alu 0xfffe
	s_mul_i32 s4, s0, s30
	s_mov_b32 s0, exec_lo
	s_barrier_signal -1
	s_barrier_wait -1
	global_inv scope:SCOPE_SE
	v_cmpx_eq_u32_e32 0, v0
	s_cbranch_execz .LBB278_542
; %bb.541:
	s_wait_alu 0xfffe
	s_ashr_i32 s5, s4, 31
	s_mul_i32 s34, s16, ttmp9
	s_lshl_b32 s1, s26, 2
	s_wait_alu 0xfffe
	s_lshl_b64 s[36:37], s[4:5], 2
	s_ashr_i32 s35, s34, 31
	v_mov_b32_e32 v2, s1
	s_add_nc_u64 s[14:15], s[14:15], s[36:37]
	s_wait_alu 0xfffe
	s_lshl_b64 s[34:35], s[34:35], 2
	s_add_nc_u64 s[12:13], s[12:13], s[36:37]
	s_wait_alu 0xfffe
	s_add_nc_u64 s[14:15], s[14:15], s[34:35]
	s_add_nc_u64 s[12:13], s[12:13], s[34:35]
	s_clause 0x1
	global_store_b32 v2, v1, s[14:15]
	global_store_b32 v2, v3, s[12:13]
.LBB278_542:
	s_wait_alu 0xfffe
	s_or_b32 exec_lo, exec_lo, s0
	v_dual_mov_b32 v24, 0 :: v_dual_mov_b32 v25, 0
	v_dual_mov_b32 v23, 0 :: v_dual_mov_b32 v22, 0
	;; [unrolled: 1-line block ×4, first 2 shown]
	s_and_saveexec_b32 s1, s3
	s_cbranch_execz .LBB278_1074
; %bb.543:
	v_dual_mov_b32 v16, 0 :: v_dual_lshlrev_b32 v3, 5, v12
	v_dual_mov_b32 v19, 0 :: v_dual_and_b32 v4, 0xf8, v10
	s_ashr_i32 s19, s18, 31
	s_delay_alu instid0(VALU_DEP_2)
	v_lshl_or_b32 v6, v13, 6, v3
	s_wait_kmcnt 0x0
	s_wait_alu 0xfffe
	s_add_nc_u64 s[12:13], s[8:9], s[18:19]
	v_dual_mov_b32 v2, 0 :: v_dual_and_b32 v1, 8, v10
	s_wait_alu 0xfffe
	v_add_co_u32 v3, s0, s12, v4
	v_lshl_add_u32 v5, v13, 4, s28
	s_wait_alu 0xf1ff
	v_add_co_ci_u32_e64 v4, null, s13, 0, s0
	s_lshl_b64 s[12:13], s[22:23], 2
	v_dual_mov_b32 v20, 0 :: v_dual_add_nc_u32 v27, 0x120, v6
	s_wait_alu 0xfffe
	s_add_nc_u64 s[12:13], s[24:25], s[12:13]
	v_add3_u32 v26, v5, v1, 7
	s_wait_alu 0xfffe
	v_add_co_u32 v5, s0, s12, v15
	s_wait_alu 0xf1ff
	v_add_co_ci_u32_e64 v6, null, s13, 0, s0
	v_dual_mov_b32 v21, 0 :: v_dual_mov_b32 v22, 0
	v_dual_mov_b32 v23, 0 :: v_dual_mov_b32 v24, 0
	v_mov_b32_e32 v25, 0
	s_mov_b32 s8, -1
	s_mov_b32 s3, s17
	s_mov_b32 s9, 0xffffff
	s_add_co_i32 s31, s31, -1
	s_mov_b32 s5, 0
	s_branch .LBB278_545
.LBB278_544:                            ;   in Loop: Header=BB278_545 Depth=1
	s_wait_alu 0xfffe
	s_or_b32 exec_lo, exec_lo, s0
	v_dual_add_f32 v9, v9, v10 :: v_dual_add_f32 v10, v48, v49
	v_dual_add_f32 v15, v46, v47 :: v_dual_add_f32 v28, v44, v45
	v_add_co_u32 v5, s0, v5, 16
	s_delay_alu instid0(VALU_DEP_3)
	v_dual_add_f32 v19, v19, v9 :: v_dual_add_f32 v20, v20, v10
	;;#ASMSTART
	v_pk_mul_f16 v9, v38, v50;

	;;#ASMEND
	;;#ASMSTART
	v_pk_mul_f16 v1, v36, v1;

	;;#ASMEND
	;; [unrolled: 4-line block ×4, first 2 shown]
	;;#ASMSTART
	v_pk_add_f16 v1, v9, v1;

	;;#ASMEND
	;;#ASMSTART
	v_pk_add_f16 v1, v1, v8;

	;;#ASMEND
	;; [unrolled: 4-line block ×3, first 2 shown]
	v_dual_add_f32 v8, v37, v39 :: v_dual_and_b32 v9, 0xffff, v1
	v_lshrrev_b32_e32 v10, 16, v1
	v_dual_add_f32 v1, v42, v43 :: v_dual_add_nc_u32 v14, 4, v14
	;;#ASMSTART
	v_cvt_f32_f16 v9, v9;
	;;#ASMEND
	v_dual_add_f32 v7, v40, v41 :: v_dual_add_nc_u32 v26, 64, v26
	;;#ASMSTART
	v_cvt_f32_f16 v10, v10;
	;;#ASMEND
	v_dual_add_f32 v9, v9, v10 :: v_dual_add_f32 v24, v24, v8
	v_cmp_le_i32_e32 vcc_lo, s21, v14
	v_dual_add_f32 v21, v21, v15 :: v_dual_add_f32 v22, v22, v28
	v_add_f32_e32 v23, v23, v1
	s_delay_alu instid0(VALU_DEP_4)
	v_dual_add_f32 v25, v25, v7 :: v_dual_add_f32 v16, v16, v9
	v_add_nc_u32_e32 v27, 0x100, v27
	s_wait_alu 0xf1ff
	v_add_co_ci_u32_e64 v6, null, 0, v6, s0
	s_or_b32 s5, vcc_lo, s5
	s_wait_alu 0xfffe
	s_and_not1_b32 exec_lo, exec_lo, s5
	s_cbranch_execz .LBB278_1073
.LBB278_545:                            ; =>This Inner Loop Header: Depth=1
	global_load_b32 v1, v[5:6], off
	ds_load_2addr_b64 v[28:31], v27 offset1:1
	ds_load_2addr_b64 v[40:43], v27 offset0:2 offset1:3
	s_mov_b32 s0, exec_lo
	s_wait_dscnt 0x1
	;;#ASMSTART
	v_cvt_f16_f32 v34, v28;

	;;#ASMEND
	;;#ASMSTART
	v_cvt_f16_f32 v35, v29;

	;;#ASMEND
	;; [unrolled: 4-line block ×4, first 2 shown]
	s_wait_dscnt 0x0
	;;#ASMSTART
	v_cvt_f16_f32 v40, v40;

	;;#ASMEND
	;;#ASMSTART
	v_cvt_f16_f32 v37, v41;

	;;#ASMEND
	;; [unrolled: 4-line block ×4, first 2 shown]
	v_mov_b32_e32 v29, 0
	s_wait_loadcnt 0x0
	s_wait_alu 0xfffe
	v_mad_co_i64_i32 v[7:8], null, v1, s3, v[3:4]
	global_load_b64 v[9:10], v[7:8], off
	global_load_b32 v28, v2, s[10:11]
	s_wait_loadcnt 0x1
	v_and_b32_e32 v1, 0xff, v9
	s_delay_alu instid0(VALU_DEP_1)
	v_cmpx_ne_u16_e32 0, v1
	s_cbranch_execz .LBB278_553
; %bb.546:                              ;   in Loop: Header=BB278_545 Depth=1
	v_mov_b32_e32 v29, 0x8000
	s_mov_b32 s12, exec_lo
	v_cmpx_ne_u16_e32 0x80, v1
	s_cbranch_execz .LBB278_552
; %bb.547:                              ;   in Loop: Header=BB278_545 Depth=1
	v_and_b32_e32 v30, 0x7f, v9
	v_mov_b32_e32 v29, 0x7c01
	s_mov_b32 s13, exec_lo
	s_delay_alu instid0(VALU_DEP_2)
	v_cmpx_ne_u32_e32 0x7f, v30
	s_cbranch_execz .LBB278_551
; %bb.548:                              ;   in Loop: Header=BB278_545 Depth=1
	v_and_b32_e32 v1, 7, v9
	v_lshrrev_b32_e32 v15, 3, v30
	s_mov_b32 s14, exec_lo
	v_cmpx_gt_u32_e32 8, v30
; %bb.549:                              ;   in Loop: Header=BB278_545 Depth=1
	s_delay_alu instid0(VALU_DEP_3) | instskip(NEXT) | instid1(VALU_DEP_1)
	v_clz_i32_u32_e32 v1, v1
	v_min_u32_e32 v1, 32, v1
	s_delay_alu instid0(VALU_DEP_1) | instskip(NEXT) | instid1(VALU_DEP_1)
	v_subrev_nc_u32_e32 v15, 28, v1
	v_lshlrev_b64_e32 v[29:30], v15, v[9:10]
	v_sub_nc_u32_e32 v15, 29, v1
	s_delay_alu instid0(VALU_DEP_2)
	v_and_b32_e32 v1, 7, v29
; %bb.550:                              ;   in Loop: Header=BB278_545 Depth=1
	s_wait_alu 0xfffe
	s_or_b32 exec_lo, exec_lo, s14
	v_lshlrev_b32_e32 v29, 8, v9
	v_lshl_add_u32 v15, v15, 10, 0x2000
	v_lshlrev_b32_e32 v1, 7, v1
	s_delay_alu instid0(VALU_DEP_3) | instskip(NEXT) | instid1(VALU_DEP_3)
	v_and_b32_e32 v29, 0x8000, v29
	v_and_b32_e32 v15, 0xfc00, v15
	s_delay_alu instid0(VALU_DEP_1)
	v_or3_b32 v29, v29, v15, v1
.LBB278_551:                            ;   in Loop: Header=BB278_545 Depth=1
	s_wait_alu 0xfffe
	s_or_b32 exec_lo, exec_lo, s13
.LBB278_552:                            ;   in Loop: Header=BB278_545 Depth=1
	s_wait_alu 0xfffe
	s_or_b32 exec_lo, exec_lo, s12
.LBB278_553:                            ;   in Loop: Header=BB278_545 Depth=1
	s_delay_alu instid0(SALU_CYCLE_1) | instskip(SKIP_3) | instid1(VALU_DEP_2)
	s_or_b32 exec_lo, exec_lo, s0
	v_lshrrev_b16 v1, 8, v9
	v_dual_mov_b32 v15, 0 :: v_dual_mov_b32 v30, 0
	s_mov_b32 s0, exec_lo
	v_cmpx_ne_u16_e32 0, v1
	s_cbranch_execz .LBB278_561
; %bb.554:                              ;   in Loop: Header=BB278_545 Depth=1
	v_bfrev_b32_e32 v30, 1
	s_mov_b32 s12, exec_lo
	v_cmpx_ne_u16_e32 0x80, v1
	s_cbranch_execz .LBB278_560
; %bb.555:                              ;   in Loop: Header=BB278_545 Depth=1
	v_and_b32_e32 v31, 0xffff, v1
	v_mov_b32_e32 v30, 0x7c010000
	s_mov_b32 s13, exec_lo
	s_delay_alu instid0(VALU_DEP_2) | instskip(NEXT) | instid1(VALU_DEP_1)
	v_and_b32_e32 v33, 0x7f, v31
	v_cmpx_ne_u32_e32 0x7f, v33
	s_cbranch_execz .LBB278_559
; %bb.556:                              ;   in Loop: Header=BB278_545 Depth=1
	v_and_b32_e32 v30, 7, v31
	v_lshrrev_b32_e32 v32, 3, v33
	s_mov_b32 s14, exec_lo
	v_cmpx_gt_u32_e32 8, v33
; %bb.557:                              ;   in Loop: Header=BB278_545 Depth=1
	s_delay_alu instid0(VALU_DEP_3) | instskip(NEXT) | instid1(VALU_DEP_1)
	v_clz_i32_u32_e32 v30, v30
	v_min_u32_e32 v30, 32, v30
	s_delay_alu instid0(VALU_DEP_1) | instskip(NEXT) | instid1(VALU_DEP_1)
	v_subrev_nc_u32_e32 v32, 28, v30
	v_lshlrev_b64_e32 v[42:43], v32, v[1:2]
	v_sub_nc_u32_e32 v32, 29, v30
	s_delay_alu instid0(VALU_DEP_2)
	v_and_b32_e32 v30, 7, v42
; %bb.558:                              ;   in Loop: Header=BB278_545 Depth=1
	s_wait_alu 0xfffe
	s_or_b32 exec_lo, exec_lo, s14
	v_lshlrev_b32_e32 v1, 8, v31
	v_lshl_add_u32 v31, v32, 10, 0x2000
	v_lshlrev_b32_e32 v30, 23, v30
	s_delay_alu instid0(VALU_DEP_2) | instskip(NEXT) | instid1(VALU_DEP_1)
	v_and_or_b32 v1, 0x8000, v1, v31
	v_lshl_or_b32 v30, v1, 16, v30
.LBB278_559:                            ;   in Loop: Header=BB278_545 Depth=1
	s_wait_alu 0xfffe
	s_or_b32 exec_lo, exec_lo, s13
.LBB278_560:                            ;   in Loop: Header=BB278_545 Depth=1
	s_wait_alu 0xfffe
	s_or_b32 exec_lo, exec_lo, s12
.LBB278_561:                            ;   in Loop: Header=BB278_545 Depth=1
	s_wait_alu 0xfffe
	s_or_b32 exec_lo, exec_lo, s0
	v_lshrrev_b32_e32 v1, 16, v9
	s_mov_b32 s0, exec_lo
	s_delay_alu instid0(VALU_DEP_1) | instskip(NEXT) | instid1(VALU_DEP_1)
	v_and_b32_e32 v31, 0xff, v1
	v_cmpx_ne_u16_e32 0, v31
	s_cbranch_execz .LBB278_569
; %bb.562:                              ;   in Loop: Header=BB278_545 Depth=1
	v_mov_b32_e32 v15, 0x8000
	s_mov_b32 s12, exec_lo
	v_cmpx_ne_u16_e32 0x80, v31
	s_cbranch_execz .LBB278_568
; %bb.563:                              ;   in Loop: Header=BB278_545 Depth=1
	v_bfe_u32 v32, v9, 16, 7
	v_mov_b32_e32 v15, 0x7c01
	s_mov_b32 s13, exec_lo
	s_delay_alu instid0(VALU_DEP_2)
	v_cmpx_ne_u32_e32 0x7f, v32
	s_cbranch_execz .LBB278_567
; %bb.564:                              ;   in Loop: Header=BB278_545 Depth=1
	v_and_b32_e32 v15, 7, v1
	v_lshrrev_b32_e32 v31, 3, v32
	s_mov_b32 s14, exec_lo
	v_cmpx_gt_u32_e32 8, v32
; %bb.565:                              ;   in Loop: Header=BB278_545 Depth=1
	s_delay_alu instid0(VALU_DEP_3) | instskip(NEXT) | instid1(VALU_DEP_1)
	v_clz_i32_u32_e32 v15, v15
	v_min_u32_e32 v15, 32, v15
	s_delay_alu instid0(VALU_DEP_1) | instskip(NEXT) | instid1(VALU_DEP_1)
	v_subrev_nc_u32_e32 v31, 28, v15
	v_lshlrev_b64_e32 v[32:33], v31, v[1:2]
	v_sub_nc_u32_e32 v31, 29, v15
	s_delay_alu instid0(VALU_DEP_2)
	v_and_b32_e32 v15, 7, v32
; %bb.566:                              ;   in Loop: Header=BB278_545 Depth=1
	s_wait_alu 0xfffe
	s_or_b32 exec_lo, exec_lo, s14
	v_lshlrev_b32_e32 v1, 8, v1
	v_lshl_add_u32 v31, v31, 10, 0x2000
	v_lshlrev_b32_e32 v15, 7, v15
	s_delay_alu instid0(VALU_DEP_3) | instskip(NEXT) | instid1(VALU_DEP_3)
	v_and_b32_e32 v1, 0x8000, v1
	v_and_b32_e32 v31, 0xfc00, v31
	s_delay_alu instid0(VALU_DEP_1)
	v_or3_b32 v15, v1, v31, v15
.LBB278_567:                            ;   in Loop: Header=BB278_545 Depth=1
	s_wait_alu 0xfffe
	s_or_b32 exec_lo, exec_lo, s13
.LBB278_568:                            ;   in Loop: Header=BB278_545 Depth=1
	s_wait_alu 0xfffe
	s_or_b32 exec_lo, exec_lo, s12
.LBB278_569:                            ;   in Loop: Header=BB278_545 Depth=1
	s_wait_alu 0xfffe
	s_or_b32 exec_lo, exec_lo, s0
	v_dual_mov_b32 v31, 0 :: v_dual_mov_b32 v32, 0
	s_mov_b32 s0, exec_lo
	v_cmpx_lt_u32_e32 0xffffff, v9
	s_cbranch_execz .LBB278_577
; %bb.570:                              ;   in Loop: Header=BB278_545 Depth=1
	v_lshrrev_b32_e32 v1, 24, v9
	v_bfrev_b32_e32 v32, 1
	s_mov_b32 s12, exec_lo
	s_delay_alu instid0(VALU_DEP_2)
	v_cmpx_ne_u32_e32 0x80, v1
	s_cbranch_execz .LBB278_576
; %bb.571:                              ;   in Loop: Header=BB278_545 Depth=1
	v_and_b32_e32 v42, 0x7f, v1
	v_mov_b32_e32 v32, 0x7c010000
	s_mov_b32 s13, exec_lo
	s_delay_alu instid0(VALU_DEP_2)
	v_cmpx_ne_u32_e32 0x7f, v42
	s_cbranch_execz .LBB278_575
; %bb.572:                              ;   in Loop: Header=BB278_545 Depth=1
	v_and_b32_e32 v32, 7, v1
	v_lshrrev_b32_e32 v33, 3, v42
	s_mov_b32 s14, exec_lo
	v_cmpx_gt_u32_e32 8, v42
; %bb.573:                              ;   in Loop: Header=BB278_545 Depth=1
	s_delay_alu instid0(VALU_DEP_3) | instskip(NEXT) | instid1(VALU_DEP_1)
	v_clz_i32_u32_e32 v32, v32
	v_min_u32_e32 v42, 32, v32
	s_delay_alu instid0(VALU_DEP_1) | instskip(NEXT) | instid1(VALU_DEP_1)
	v_subrev_nc_u32_e32 v32, 28, v42
	v_lshlrev_b64_e32 v[32:33], v32, v[1:2]
	v_sub_nc_u32_e32 v33, 29, v42
	s_delay_alu instid0(VALU_DEP_2)
	v_and_b32_e32 v32, 7, v32
; %bb.574:                              ;   in Loop: Header=BB278_545 Depth=1
	s_wait_alu 0xfffe
	s_or_b32 exec_lo, exec_lo, s14
	v_lshlrev_b32_e32 v1, 8, v1
	v_lshl_add_u32 v33, v33, 10, 0x2000
	v_lshlrev_b32_e32 v32, 23, v32
	s_delay_alu instid0(VALU_DEP_2) | instskip(NEXT) | instid1(VALU_DEP_1)
	v_and_or_b32 v1, 0x8000, v1, v33
	v_lshl_or_b32 v32, v1, 16, v32
.LBB278_575:                            ;   in Loop: Header=BB278_545 Depth=1
	s_wait_alu 0xfffe
	s_or_b32 exec_lo, exec_lo, s13
.LBB278_576:                            ;   in Loop: Header=BB278_545 Depth=1
	s_wait_alu 0xfffe
	s_or_b32 exec_lo, exec_lo, s12
.LBB278_577:                            ;   in Loop: Header=BB278_545 Depth=1
	s_wait_alu 0xfffe
	s_or_b32 exec_lo, exec_lo, s0
	v_and_b32_e32 v33, 0xff, v10
	v_mov_b32_e32 v1, v10
	s_mov_b32 s0, exec_lo
	s_delay_alu instid0(VALU_DEP_2)
	v_cmpx_ne_u16_e32 0, v33
	s_cbranch_execz .LBB278_585
; %bb.578:                              ;   in Loop: Header=BB278_545 Depth=1
	v_mov_b32_e32 v31, 0x8000
	s_mov_b32 s12, exec_lo
	v_cmpx_ne_u16_e32 0x80, v33
	s_cbranch_execz .LBB278_584
; %bb.579:                              ;   in Loop: Header=BB278_545 Depth=1
	v_and_b32_e32 v42, 0x7f, v10
	v_mov_b32_e32 v31, 0x7c01
	s_mov_b32 s13, exec_lo
	s_delay_alu instid0(VALU_DEP_2)
	v_cmpx_ne_u32_e32 0x7f, v42
	s_cbranch_execz .LBB278_583
; %bb.580:                              ;   in Loop: Header=BB278_545 Depth=1
	v_and_b32_e32 v31, 7, v10
	v_lshrrev_b32_e32 v33, 3, v42
	s_mov_b32 s14, exec_lo
	v_cmpx_gt_u32_e32 8, v42
; %bb.581:                              ;   in Loop: Header=BB278_545 Depth=1
	s_delay_alu instid0(VALU_DEP_3) | instskip(NEXT) | instid1(VALU_DEP_1)
	v_clz_i32_u32_e32 v31, v31
	v_min_u32_e32 v31, 32, v31
	s_delay_alu instid0(VALU_DEP_1) | instskip(NEXT) | instid1(VALU_DEP_1)
	v_subrev_nc_u32_e32 v33, 28, v31
	v_lshlrev_b64_e32 v[42:43], v33, v[1:2]
	v_sub_nc_u32_e32 v33, 29, v31
	s_delay_alu instid0(VALU_DEP_2)
	v_and_b32_e32 v31, 7, v42
; %bb.582:                              ;   in Loop: Header=BB278_545 Depth=1
	s_wait_alu 0xfffe
	s_or_b32 exec_lo, exec_lo, s14
	v_lshlrev_b32_e32 v42, 8, v10
	v_lshl_add_u32 v33, v33, 10, 0x2000
	v_lshlrev_b32_e32 v31, 7, v31
	s_delay_alu instid0(VALU_DEP_3) | instskip(NEXT) | instid1(VALU_DEP_3)
	v_and_b32_e32 v42, 0x8000, v42
	v_and_b32_e32 v33, 0xfc00, v33
	s_delay_alu instid0(VALU_DEP_1)
	v_or3_b32 v31, v42, v33, v31
.LBB278_583:                            ;   in Loop: Header=BB278_545 Depth=1
	s_wait_alu 0xfffe
	s_or_b32 exec_lo, exec_lo, s13
.LBB278_584:                            ;   in Loop: Header=BB278_545 Depth=1
	s_wait_alu 0xfffe
	s_or_b32 exec_lo, exec_lo, s12
.LBB278_585:                            ;   in Loop: Header=BB278_545 Depth=1
	s_wait_alu 0xfffe
	s_or_b32 exec_lo, exec_lo, s0
	v_lshrrev_b16 v1, 8, v1
	v_dual_mov_b32 v42, 0 :: v_dual_mov_b32 v33, 0
	s_mov_b32 s0, exec_lo
	s_delay_alu instid0(VALU_DEP_2)
	v_cmpx_ne_u16_e32 0, v1
	s_cbranch_execz .LBB278_593
; %bb.586:                              ;   in Loop: Header=BB278_545 Depth=1
	v_bfrev_b32_e32 v33, 1
	s_mov_b32 s12, exec_lo
	v_cmpx_ne_u16_e32 0x80, v1
	s_cbranch_execz .LBB278_592
; %bb.587:                              ;   in Loop: Header=BB278_545 Depth=1
	v_and_b32_e32 v43, 0xffff, v1
	v_mov_b32_e32 v33, 0x7c010000
	s_mov_b32 s13, exec_lo
	s_delay_alu instid0(VALU_DEP_2) | instskip(NEXT) | instid1(VALU_DEP_1)
	v_and_b32_e32 v45, 0x7f, v43
	v_cmpx_ne_u32_e32 0x7f, v45
	s_cbranch_execz .LBB278_591
; %bb.588:                              ;   in Loop: Header=BB278_545 Depth=1
	v_and_b32_e32 v33, 7, v43
	v_lshrrev_b32_e32 v44, 3, v45
	s_mov_b32 s14, exec_lo
	v_cmpx_gt_u32_e32 8, v45
; %bb.589:                              ;   in Loop: Header=BB278_545 Depth=1
	s_delay_alu instid0(VALU_DEP_3) | instskip(NEXT) | instid1(VALU_DEP_1)
	v_clz_i32_u32_e32 v33, v33
	v_min_u32_e32 v33, 32, v33
	s_delay_alu instid0(VALU_DEP_1) | instskip(NEXT) | instid1(VALU_DEP_1)
	v_subrev_nc_u32_e32 v44, 28, v33
	v_lshlrev_b64_e32 v[45:46], v44, v[1:2]
	v_sub_nc_u32_e32 v44, 29, v33
	s_delay_alu instid0(VALU_DEP_2)
	v_and_b32_e32 v33, 7, v45
; %bb.590:                              ;   in Loop: Header=BB278_545 Depth=1
	s_wait_alu 0xfffe
	s_or_b32 exec_lo, exec_lo, s14
	v_lshlrev_b32_e32 v1, 8, v43
	v_lshl_add_u32 v43, v44, 10, 0x2000
	v_lshlrev_b32_e32 v33, 23, v33
	s_delay_alu instid0(VALU_DEP_2) | instskip(NEXT) | instid1(VALU_DEP_1)
	v_and_or_b32 v1, 0x8000, v1, v43
	v_lshl_or_b32 v33, v1, 16, v33
.LBB278_591:                            ;   in Loop: Header=BB278_545 Depth=1
	s_wait_alu 0xfffe
	s_or_b32 exec_lo, exec_lo, s13
.LBB278_592:                            ;   in Loop: Header=BB278_545 Depth=1
	s_wait_alu 0xfffe
	s_or_b32 exec_lo, exec_lo, s12
.LBB278_593:                            ;   in Loop: Header=BB278_545 Depth=1
	s_wait_alu 0xfffe
	s_or_b32 exec_lo, exec_lo, s0
	v_lshrrev_b32_e32 v1, 16, v10
	s_mov_b32 s0, exec_lo
	s_delay_alu instid0(VALU_DEP_1) | instskip(NEXT) | instid1(VALU_DEP_1)
	v_and_b32_e32 v43, 0xff, v1
	v_cmpx_ne_u16_e32 0, v43
	s_cbranch_execz .LBB278_601
; %bb.594:                              ;   in Loop: Header=BB278_545 Depth=1
	v_mov_b32_e32 v42, 0x8000
	s_mov_b32 s12, exec_lo
	v_cmpx_ne_u16_e32 0x80, v43
	s_cbranch_execz .LBB278_600
; %bb.595:                              ;   in Loop: Header=BB278_545 Depth=1
	v_bfe_u32 v44, v10, 16, 7
	v_mov_b32_e32 v42, 0x7c01
	s_mov_b32 s13, exec_lo
	s_delay_alu instid0(VALU_DEP_2)
	v_cmpx_ne_u32_e32 0x7f, v44
	s_cbranch_execz .LBB278_599
; %bb.596:                              ;   in Loop: Header=BB278_545 Depth=1
	v_and_b32_e32 v42, 7, v1
	v_lshrrev_b32_e32 v43, 3, v44
	s_mov_b32 s14, exec_lo
	v_cmpx_gt_u32_e32 8, v44
; %bb.597:                              ;   in Loop: Header=BB278_545 Depth=1
	s_delay_alu instid0(VALU_DEP_3) | instskip(NEXT) | instid1(VALU_DEP_1)
	v_clz_i32_u32_e32 v42, v42
	v_min_u32_e32 v44, 32, v42
	s_delay_alu instid0(VALU_DEP_1) | instskip(NEXT) | instid1(VALU_DEP_1)
	v_subrev_nc_u32_e32 v42, 28, v44
	v_lshlrev_b64_e32 v[42:43], v42, v[1:2]
	v_sub_nc_u32_e32 v43, 29, v44
	s_delay_alu instid0(VALU_DEP_2)
	v_and_b32_e32 v42, 7, v42
; %bb.598:                              ;   in Loop: Header=BB278_545 Depth=1
	s_wait_alu 0xfffe
	s_or_b32 exec_lo, exec_lo, s14
	v_lshlrev_b32_e32 v1, 8, v1
	v_lshl_add_u32 v43, v43, 10, 0x2000
	v_lshlrev_b32_e32 v42, 7, v42
	s_delay_alu instid0(VALU_DEP_3) | instskip(NEXT) | instid1(VALU_DEP_3)
	v_and_b32_e32 v1, 0x8000, v1
	v_and_b32_e32 v43, 0xfc00, v43
	s_delay_alu instid0(VALU_DEP_1)
	v_or3_b32 v42, v1, v43, v42
.LBB278_599:                            ;   in Loop: Header=BB278_545 Depth=1
	s_wait_alu 0xfffe
	s_or_b32 exec_lo, exec_lo, s13
.LBB278_600:                            ;   in Loop: Header=BB278_545 Depth=1
	s_wait_alu 0xfffe
	s_or_b32 exec_lo, exec_lo, s12
.LBB278_601:                            ;   in Loop: Header=BB278_545 Depth=1
	s_wait_alu 0xfffe
	s_or_b32 exec_lo, exec_lo, s0
	v_cmp_lt_u64_e32 vcc_lo, s[8:9], v[9:10]
	v_mov_b32_e32 v9, 0
	s_and_saveexec_b32 s0, vcc_lo
	s_cbranch_execz .LBB278_609
; %bb.602:                              ;   in Loop: Header=BB278_545 Depth=1
	v_lshrrev_b32_e32 v1, 24, v10
	v_bfrev_b32_e32 v9, 1
	s_mov_b32 s12, exec_lo
	s_delay_alu instid0(VALU_DEP_2)
	v_cmpx_ne_u32_e32 0x80, v1
	s_cbranch_execz .LBB278_608
; %bb.603:                              ;   in Loop: Header=BB278_545 Depth=1
	v_and_b32_e32 v43, 0x7f, v1
	v_mov_b32_e32 v9, 0x7c010000
	s_mov_b32 s13, exec_lo
	s_delay_alu instid0(VALU_DEP_2)
	v_cmpx_ne_u32_e32 0x7f, v43
	s_cbranch_execz .LBB278_607
; %bb.604:                              ;   in Loop: Header=BB278_545 Depth=1
	v_and_b32_e32 v9, 7, v1
	v_lshrrev_b32_e32 v10, 3, v43
	s_mov_b32 s14, exec_lo
	v_cmpx_gt_u32_e32 8, v43
; %bb.605:                              ;   in Loop: Header=BB278_545 Depth=1
	s_delay_alu instid0(VALU_DEP_3) | instskip(NEXT) | instid1(VALU_DEP_1)
	v_clz_i32_u32_e32 v9, v9
	v_min_u32_e32 v43, 32, v9
	s_delay_alu instid0(VALU_DEP_1) | instskip(NEXT) | instid1(VALU_DEP_1)
	v_subrev_nc_u32_e32 v9, 28, v43
	v_lshlrev_b64_e32 v[9:10], v9, v[1:2]
	v_sub_nc_u32_e32 v10, 29, v43
	s_delay_alu instid0(VALU_DEP_2)
	v_and_b32_e32 v9, 7, v9
; %bb.606:                              ;   in Loop: Header=BB278_545 Depth=1
	s_wait_alu 0xfffe
	s_or_b32 exec_lo, exec_lo, s14
	v_lshlrev_b32_e32 v1, 8, v1
	v_lshl_add_u32 v10, v10, 10, 0x2000
	v_lshlrev_b32_e32 v9, 23, v9
	s_delay_alu instid0(VALU_DEP_2) | instskip(NEXT) | instid1(VALU_DEP_1)
	v_and_or_b32 v1, 0x8000, v1, v10
	v_lshl_or_b32 v9, v1, 16, v9
.LBB278_607:                            ;   in Loop: Header=BB278_545 Depth=1
	s_wait_alu 0xfffe
	s_or_b32 exec_lo, exec_lo, s13
.LBB278_608:                            ;   in Loop: Header=BB278_545 Depth=1
	s_wait_alu 0xfffe
	s_or_b32 exec_lo, exec_lo, s12
.LBB278_609:                            ;   in Loop: Header=BB278_545 Depth=1
	s_wait_alu 0xfffe
	s_or_b32 exec_lo, exec_lo, s0
	v_or_b32_e32 v1, v32, v15
	s_wait_loadcnt 0x0
	v_fma_mixlo_f16 v10, v28, v32, 0 op_sel:[0,1,0] op_sel_hi:[0,1,0]
	v_or_b32_e32 v29, v30, v29
	v_fma_mixlo_f16 v30, v28, v30, 0 op_sel:[0,1,0] op_sel_hi:[0,1,0]
	v_or_b32_e32 v31, v33, v31
	v_fma_mixlo_f16 v1, v28, v1, 0 op_sel_hi:[0,1,0]
	v_or_b32_e32 v32, v9, v42
	v_fma_mixlo_f16 v9, v28, v9, 0 op_sel:[0,1,0] op_sel_hi:[0,1,0]
	v_lshlrev_b32_e32 v48, 16, v30
	v_fma_mixlo_f16 v30, v28, v31, 0 op_sel_hi:[0,1,0]
	v_and_b32_e32 v45, 0xffff, v1
	v_fma_mixlo_f16 v1, v28, v29, 0 op_sel_hi:[0,1,0]
	v_fma_mixlo_f16 v29, v28, v33, 0 op_sel:[0,1,0] op_sel_hi:[0,1,0]
	v_fma_mixlo_f16 v28, v28, v32, 0 op_sel_hi:[0,1,0]
	v_lshlrev_b32_e32 v10, 16, v10
	v_and_b32_e32 v49, 0xffff, v30
	v_and_b32_e32 v50, 0xffff, v1
	v_lshlrev_b32_e32 v46, 16, v29
	v_lshlrev_b32_e32 v43, 16, v9
	v_and_b32_e32 v47, 0xffff, v28
	v_add_nc_u32_e32 v15, -7, v26
	v_cmp_eq_u32_e32 vcc_lo, s31, v14
	v_or_b32_e32 v1, v10, v45
	v_or_b32_e32 v9, v48, v50
	;; [unrolled: 1-line block ×4, first 2 shown]
	v_add_nc_u32_e32 v33, -6, v26
	v_add_nc_u32_e32 v32, -5, v26
	;; [unrolled: 1-line block ×6, first 2 shown]
	s_and_saveexec_b32 s12, vcc_lo
	s_cbranch_execz .LBB278_611
; %bb.610:                              ;   in Loop: Header=BB278_545 Depth=1
	v_cmp_gt_i32_e64 s0, s27, v15
	s_wait_alu 0xf1ff
	s_delay_alu instid0(VALU_DEP_1) | instskip(SKIP_2) | instid1(VALU_DEP_1)
	v_cndmask_b32_e64 v1, 0, v50, s0
	v_cmp_gt_i32_e64 s0, s27, v33
	s_wait_alu 0xf1ff
	v_cndmask_b32_e64 v9, 0, v48, s0
	v_cmp_gt_i32_e64 s0, s27, v32
	s_delay_alu instid0(VALU_DEP_2) | instskip(SKIP_1) | instid1(VALU_DEP_2)
	v_or_b32_e32 v9, v9, v1
	s_wait_alu 0xf1ff
	v_cndmask_b32_e64 v42, 0, v45, s0
	v_cmp_gt_i32_e64 s0, s27, v31
	s_wait_alu 0xf1ff
	s_delay_alu instid0(VALU_DEP_1) | instskip(SKIP_1) | instid1(VALU_DEP_2)
	v_cndmask_b32_e64 v10, 0, v10, s0
	v_cmp_gt_i32_e64 s0, s27, v30
	v_or_b32_e32 v1, v10, v42
	s_wait_alu 0xf1ff
	s_delay_alu instid0(VALU_DEP_2) | instskip(SKIP_2) | instid1(VALU_DEP_1)
	v_cndmask_b32_e64 v44, 0, v49, s0
	v_cmp_gt_i32_e64 s0, s27, v29
	s_wait_alu 0xf1ff
	v_cndmask_b32_e64 v45, 0, v46, s0
	v_cmp_gt_i32_e64 s0, s27, v28
	s_delay_alu instid0(VALU_DEP_2) | instskip(SKIP_1) | instid1(VALU_DEP_2)
	v_or_b32_e32 v42, v45, v44
	s_wait_alu 0xf1ff
	v_cndmask_b32_e64 v46, 0, v47, s0
	v_cmp_gt_i32_e64 s0, s27, v26
	s_wait_alu 0xf1ff
	s_delay_alu instid0(VALU_DEP_1) | instskip(NEXT) | instid1(VALU_DEP_1)
	v_cndmask_b32_e64 v43, 0, v43, s0
	v_or_b32_e32 v44, v43, v46
.LBB278_611:                            ;   in Loop: Header=BB278_545 Depth=1
	s_wait_alu 0xfffe
	s_or_b32 exec_lo, exec_lo, s12
	v_and_b32_e32 v10, 0xffff, v34
	v_and_b32_e32 v34, 0xffff, v38
	;; [unrolled: 1-line block ×4, first 2 shown]
	s_mov_b32 s12, exec_lo
	s_delay_alu instid0(VALU_DEP_3) | instskip(NEXT) | instid1(VALU_DEP_3)
	v_lshl_or_b32 v36, v36, 16, v34
	v_lshl_or_b32 v34, v39, 16, v41
	v_mov_b32_e32 v41, 0
	v_lshl_or_b32 v38, v35, 16, v10
	;;#ASMSTART
	v_pk_mul_f16 v9, v38, v9;

	;;#ASMEND
	;;#ASMSTART
	v_pk_mul_f16 v1, v36, v1;

	;;#ASMEND
	v_lshl_or_b32 v35, v37, 16, v40
	;;#ASMSTART
	v_pk_mul_f16 v10, v35, v42;

	;;#ASMEND
	;;#ASMSTART
	v_pk_mul_f16 v37, v34, v44;

	;;#ASMEND
	;;#ASMSTART
	v_pk_add_f16 v1, v9, v1;

	;;#ASMEND
	;;#ASMSTART
	v_pk_add_f16 v1, v1, v10;
	;; [unrolled: 4-line block ×3, first 2 shown]

	;;#ASMEND
	v_and_b32_e32 v9, 0xffff, v1
	v_lshrrev_b32_e32 v1, 16, v1
	;;#ASMSTART
	v_cvt_f32_f16 v37, v9;
	;;#ASMEND
	;;#ASMSTART
	v_cvt_f32_f16 v39, v1;
	;;#ASMEND
	global_load_b64 v[9:10], v[7:8], off offset:256
	global_load_b32 v40, v41, s[10:11]
	s_wait_loadcnt 0x1
	v_dual_mov_b32 v42, 0 :: v_dual_and_b32 v1, 0xff, v9
	s_delay_alu instid0(VALU_DEP_1)
	v_cmpx_ne_u16_e32 0, v1
	s_cbranch_execz .LBB278_619
; %bb.612:                              ;   in Loop: Header=BB278_545 Depth=1
	v_mov_b32_e32 v42, 0x8000
	s_mov_b32 s13, exec_lo
	v_cmpx_ne_u16_e32 0x80, v1
	s_cbranch_execz .LBB278_618
; %bb.613:                              ;   in Loop: Header=BB278_545 Depth=1
	v_and_b32_e32 v43, 0x7f, v9
	v_mov_b32_e32 v42, 0x7c01
	s_mov_b32 s14, exec_lo
	s_delay_alu instid0(VALU_DEP_2)
	v_cmpx_ne_u32_e32 0x7f, v43
	s_cbranch_execz .LBB278_617
; %bb.614:                              ;   in Loop: Header=BB278_545 Depth=1
	v_and_b32_e32 v1, 7, v9
	v_lshrrev_b32_e32 v42, 3, v43
	s_mov_b32 s15, exec_lo
	v_cmpx_gt_u32_e32 8, v43
; %bb.615:                              ;   in Loop: Header=BB278_545 Depth=1
	s_delay_alu instid0(VALU_DEP_3) | instskip(NEXT) | instid1(VALU_DEP_1)
	v_clz_i32_u32_e32 v1, v1
	v_min_u32_e32 v1, 32, v1
	s_delay_alu instid0(VALU_DEP_1) | instskip(NEXT) | instid1(VALU_DEP_1)
	v_subrev_nc_u32_e32 v42, 28, v1
	v_lshlrev_b64_e32 v[43:44], v42, v[9:10]
	v_sub_nc_u32_e32 v42, 29, v1
	s_delay_alu instid0(VALU_DEP_2)
	v_and_b32_e32 v1, 7, v43
; %bb.616:                              ;   in Loop: Header=BB278_545 Depth=1
	s_wait_alu 0xfffe
	s_or_b32 exec_lo, exec_lo, s15
	v_lshlrev_b32_e32 v43, 8, v9
	v_lshl_add_u32 v42, v42, 10, 0x2000
	v_lshlrev_b32_e32 v1, 7, v1
	s_delay_alu instid0(VALU_DEP_3) | instskip(NEXT) | instid1(VALU_DEP_3)
	v_and_b32_e32 v43, 0x8000, v43
	v_and_b32_e32 v42, 0xfc00, v42
	s_delay_alu instid0(VALU_DEP_1)
	v_or3_b32 v42, v43, v42, v1
.LBB278_617:                            ;   in Loop: Header=BB278_545 Depth=1
	s_wait_alu 0xfffe
	s_or_b32 exec_lo, exec_lo, s14
.LBB278_618:                            ;   in Loop: Header=BB278_545 Depth=1
	s_wait_alu 0xfffe
	s_or_b32 exec_lo, exec_lo, s13
.LBB278_619:                            ;   in Loop: Header=BB278_545 Depth=1
	s_wait_alu 0xfffe
	s_or_b32 exec_lo, exec_lo, s12
	v_lshrrev_b16 v1, 8, v9
	s_mov_b32 s12, exec_lo
	s_delay_alu instid0(VALU_DEP_1)
	v_cmpx_ne_u16_e32 0, v1
	s_cbranch_execz .LBB278_627
; %bb.620:                              ;   in Loop: Header=BB278_545 Depth=1
	v_bfrev_b32_e32 v41, 1
	s_mov_b32 s13, exec_lo
	v_cmpx_ne_u16_e32 0x80, v1
	s_cbranch_execz .LBB278_626
; %bb.621:                              ;   in Loop: Header=BB278_545 Depth=1
	v_and_b32_e32 v43, 0xffff, v1
	v_mov_b32_e32 v41, 0x7c010000
	s_mov_b32 s14, exec_lo
	s_delay_alu instid0(VALU_DEP_2) | instskip(NEXT) | instid1(VALU_DEP_1)
	v_and_b32_e32 v45, 0x7f, v43
	v_cmpx_ne_u32_e32 0x7f, v45
	s_cbranch_execz .LBB278_625
; %bb.622:                              ;   in Loop: Header=BB278_545 Depth=1
	v_and_b32_e32 v41, 7, v43
	v_lshrrev_b32_e32 v44, 3, v45
	s_mov_b32 s15, exec_lo
	v_cmpx_gt_u32_e32 8, v45
; %bb.623:                              ;   in Loop: Header=BB278_545 Depth=1
	s_delay_alu instid0(VALU_DEP_3) | instskip(NEXT) | instid1(VALU_DEP_1)
	v_clz_i32_u32_e32 v41, v41
	v_min_u32_e32 v41, 32, v41
	s_delay_alu instid0(VALU_DEP_1) | instskip(NEXT) | instid1(VALU_DEP_1)
	v_subrev_nc_u32_e32 v44, 28, v41
	v_lshlrev_b64_e32 v[45:46], v44, v[1:2]
	v_sub_nc_u32_e32 v44, 29, v41
	s_delay_alu instid0(VALU_DEP_2)
	v_and_b32_e32 v41, 7, v45
; %bb.624:                              ;   in Loop: Header=BB278_545 Depth=1
	s_wait_alu 0xfffe
	s_or_b32 exec_lo, exec_lo, s15
	v_lshlrev_b32_e32 v1, 8, v43
	v_lshl_add_u32 v43, v44, 10, 0x2000
	v_lshlrev_b32_e32 v41, 23, v41
	s_delay_alu instid0(VALU_DEP_2) | instskip(NEXT) | instid1(VALU_DEP_1)
	v_and_or_b32 v1, 0x8000, v1, v43
	v_lshl_or_b32 v41, v1, 16, v41
.LBB278_625:                            ;   in Loop: Header=BB278_545 Depth=1
	s_wait_alu 0xfffe
	s_or_b32 exec_lo, exec_lo, s14
.LBB278_626:                            ;   in Loop: Header=BB278_545 Depth=1
	s_wait_alu 0xfffe
	s_or_b32 exec_lo, exec_lo, s13
.LBB278_627:                            ;   in Loop: Header=BB278_545 Depth=1
	s_wait_alu 0xfffe
	s_or_b32 exec_lo, exec_lo, s12
	v_lshrrev_b32_e32 v1, 16, v9
	v_mov_b32_e32 v43, 0
	s_mov_b32 s12, exec_lo
	s_delay_alu instid0(VALU_DEP_2) | instskip(NEXT) | instid1(VALU_DEP_1)
	v_dual_mov_b32 v44, 0 :: v_dual_and_b32 v45, 0xff, v1
	v_cmpx_ne_u16_e32 0, v45
	s_cbranch_execz .LBB278_635
; %bb.628:                              ;   in Loop: Header=BB278_545 Depth=1
	v_mov_b32_e32 v44, 0x8000
	s_mov_b32 s13, exec_lo
	v_cmpx_ne_u16_e32 0x80, v45
	s_cbranch_execz .LBB278_634
; %bb.629:                              ;   in Loop: Header=BB278_545 Depth=1
	v_bfe_u32 v46, v9, 16, 7
	v_mov_b32_e32 v44, 0x7c01
	s_mov_b32 s14, exec_lo
	s_delay_alu instid0(VALU_DEP_2)
	v_cmpx_ne_u32_e32 0x7f, v46
	s_cbranch_execz .LBB278_633
; %bb.630:                              ;   in Loop: Header=BB278_545 Depth=1
	v_and_b32_e32 v44, 7, v1
	v_lshrrev_b32_e32 v45, 3, v46
	s_mov_b32 s15, exec_lo
	v_cmpx_gt_u32_e32 8, v46
; %bb.631:                              ;   in Loop: Header=BB278_545 Depth=1
	s_delay_alu instid0(VALU_DEP_3) | instskip(NEXT) | instid1(VALU_DEP_1)
	v_clz_i32_u32_e32 v44, v44
	v_min_u32_e32 v46, 32, v44
	s_delay_alu instid0(VALU_DEP_1) | instskip(NEXT) | instid1(VALU_DEP_1)
	v_subrev_nc_u32_e32 v44, 28, v46
	v_lshlrev_b64_e32 v[44:45], v44, v[1:2]
	v_sub_nc_u32_e32 v45, 29, v46
	s_delay_alu instid0(VALU_DEP_2)
	v_and_b32_e32 v44, 7, v44
; %bb.632:                              ;   in Loop: Header=BB278_545 Depth=1
	s_wait_alu 0xfffe
	s_or_b32 exec_lo, exec_lo, s15
	v_lshlrev_b32_e32 v1, 8, v1
	v_lshl_add_u32 v45, v45, 10, 0x2000
	v_lshlrev_b32_e32 v44, 7, v44
	s_delay_alu instid0(VALU_DEP_3) | instskip(NEXT) | instid1(VALU_DEP_3)
	v_and_b32_e32 v1, 0x8000, v1
	v_and_b32_e32 v45, 0xfc00, v45
	s_delay_alu instid0(VALU_DEP_1)
	v_or3_b32 v44, v1, v45, v44
.LBB278_633:                            ;   in Loop: Header=BB278_545 Depth=1
	s_wait_alu 0xfffe
	s_or_b32 exec_lo, exec_lo, s14
.LBB278_634:                            ;   in Loop: Header=BB278_545 Depth=1
	s_wait_alu 0xfffe
	s_or_b32 exec_lo, exec_lo, s13
.LBB278_635:                            ;   in Loop: Header=BB278_545 Depth=1
	s_wait_alu 0xfffe
	s_or_b32 exec_lo, exec_lo, s12
	s_delay_alu instid0(SALU_CYCLE_1)
	s_mov_b32 s12, exec_lo
	v_cmpx_lt_u32_e32 0xffffff, v9
	s_cbranch_execz .LBB278_643
; %bb.636:                              ;   in Loop: Header=BB278_545 Depth=1
	v_lshrrev_b32_e32 v1, 24, v9
	v_bfrev_b32_e32 v43, 1
	s_mov_b32 s13, exec_lo
	s_delay_alu instid0(VALU_DEP_2)
	v_cmpx_ne_u32_e32 0x80, v1
	s_cbranch_execz .LBB278_642
; %bb.637:                              ;   in Loop: Header=BB278_545 Depth=1
	v_and_b32_e32 v46, 0x7f, v1
	v_mov_b32_e32 v43, 0x7c010000
	s_mov_b32 s14, exec_lo
	s_delay_alu instid0(VALU_DEP_2)
	v_cmpx_ne_u32_e32 0x7f, v46
	s_cbranch_execz .LBB278_641
; %bb.638:                              ;   in Loop: Header=BB278_545 Depth=1
	v_and_b32_e32 v43, 7, v1
	v_lshrrev_b32_e32 v45, 3, v46
	s_mov_b32 s15, exec_lo
	v_cmpx_gt_u32_e32 8, v46
; %bb.639:                              ;   in Loop: Header=BB278_545 Depth=1
	s_delay_alu instid0(VALU_DEP_3) | instskip(NEXT) | instid1(VALU_DEP_1)
	v_clz_i32_u32_e32 v43, v43
	v_min_u32_e32 v43, 32, v43
	s_delay_alu instid0(VALU_DEP_1) | instskip(NEXT) | instid1(VALU_DEP_1)
	v_subrev_nc_u32_e32 v45, 28, v43
	v_lshlrev_b64_e32 v[46:47], v45, v[1:2]
	v_sub_nc_u32_e32 v45, 29, v43
	s_delay_alu instid0(VALU_DEP_2)
	v_and_b32_e32 v43, 7, v46
; %bb.640:                              ;   in Loop: Header=BB278_545 Depth=1
	s_wait_alu 0xfffe
	s_or_b32 exec_lo, exec_lo, s15
	v_lshlrev_b32_e32 v1, 8, v1
	v_lshl_add_u32 v45, v45, 10, 0x2000
	v_lshlrev_b32_e32 v43, 23, v43
	s_delay_alu instid0(VALU_DEP_2) | instskip(NEXT) | instid1(VALU_DEP_1)
	v_and_or_b32 v1, 0x8000, v1, v45
	v_lshl_or_b32 v43, v1, 16, v43
.LBB278_641:                            ;   in Loop: Header=BB278_545 Depth=1
	s_wait_alu 0xfffe
	s_or_b32 exec_lo, exec_lo, s14
.LBB278_642:                            ;   in Loop: Header=BB278_545 Depth=1
	s_wait_alu 0xfffe
	s_or_b32 exec_lo, exec_lo, s13
.LBB278_643:                            ;   in Loop: Header=BB278_545 Depth=1
	s_wait_alu 0xfffe
	s_or_b32 exec_lo, exec_lo, s12
	v_dual_mov_b32 v46, 0 :: v_dual_and_b32 v47, 0xff, v10
	v_mov_b32_e32 v1, v10
	v_mov_b32_e32 v45, 0
	s_mov_b32 s12, exec_lo
	s_delay_alu instid0(VALU_DEP_3)
	v_cmpx_ne_u16_e32 0, v47
	s_cbranch_execz .LBB278_651
; %bb.644:                              ;   in Loop: Header=BB278_545 Depth=1
	v_mov_b32_e32 v46, 0x8000
	s_mov_b32 s13, exec_lo
	v_cmpx_ne_u16_e32 0x80, v47
	s_cbranch_execz .LBB278_650
; %bb.645:                              ;   in Loop: Header=BB278_545 Depth=1
	v_and_b32_e32 v48, 0x7f, v10
	v_mov_b32_e32 v46, 0x7c01
	s_mov_b32 s14, exec_lo
	s_delay_alu instid0(VALU_DEP_2)
	v_cmpx_ne_u32_e32 0x7f, v48
	s_cbranch_execz .LBB278_649
; %bb.646:                              ;   in Loop: Header=BB278_545 Depth=1
	v_and_b32_e32 v46, 7, v10
	v_lshrrev_b32_e32 v47, 3, v48
	s_mov_b32 s15, exec_lo
	v_cmpx_gt_u32_e32 8, v48
; %bb.647:                              ;   in Loop: Header=BB278_545 Depth=1
	s_delay_alu instid0(VALU_DEP_3) | instskip(NEXT) | instid1(VALU_DEP_1)
	v_clz_i32_u32_e32 v46, v46
	v_min_u32_e32 v48, 32, v46
	s_delay_alu instid0(VALU_DEP_1) | instskip(NEXT) | instid1(VALU_DEP_1)
	v_subrev_nc_u32_e32 v46, 28, v48
	v_lshlrev_b64_e32 v[46:47], v46, v[1:2]
	v_sub_nc_u32_e32 v47, 29, v48
	s_delay_alu instid0(VALU_DEP_2)
	v_and_b32_e32 v46, 7, v46
; %bb.648:                              ;   in Loop: Header=BB278_545 Depth=1
	s_wait_alu 0xfffe
	s_or_b32 exec_lo, exec_lo, s15
	v_lshlrev_b32_e32 v48, 8, v10
	v_lshl_add_u32 v47, v47, 10, 0x2000
	v_lshlrev_b32_e32 v46, 7, v46
	s_delay_alu instid0(VALU_DEP_3) | instskip(NEXT) | instid1(VALU_DEP_3)
	v_and_b32_e32 v48, 0x8000, v48
	v_and_b32_e32 v47, 0xfc00, v47
	s_delay_alu instid0(VALU_DEP_1)
	v_or3_b32 v46, v48, v47, v46
.LBB278_649:                            ;   in Loop: Header=BB278_545 Depth=1
	s_wait_alu 0xfffe
	s_or_b32 exec_lo, exec_lo, s14
.LBB278_650:                            ;   in Loop: Header=BB278_545 Depth=1
	s_wait_alu 0xfffe
	s_or_b32 exec_lo, exec_lo, s13
.LBB278_651:                            ;   in Loop: Header=BB278_545 Depth=1
	s_wait_alu 0xfffe
	s_or_b32 exec_lo, exec_lo, s12
	v_lshrrev_b16 v1, 8, v1
	v_mov_b32_e32 v47, 0
	s_mov_b32 s12, exec_lo
	s_delay_alu instid0(VALU_DEP_2)
	v_cmpx_ne_u16_e32 0, v1
	s_cbranch_execz .LBB278_659
; %bb.652:                              ;   in Loop: Header=BB278_545 Depth=1
	v_bfrev_b32_e32 v47, 1
	s_mov_b32 s13, exec_lo
	v_cmpx_ne_u16_e32 0x80, v1
	s_cbranch_execz .LBB278_658
; %bb.653:                              ;   in Loop: Header=BB278_545 Depth=1
	v_and_b32_e32 v48, 0xffff, v1
	v_mov_b32_e32 v47, 0x7c010000
	s_mov_b32 s14, exec_lo
	s_delay_alu instid0(VALU_DEP_2) | instskip(NEXT) | instid1(VALU_DEP_1)
	v_and_b32_e32 v50, 0x7f, v48
	v_cmpx_ne_u32_e32 0x7f, v50
	s_cbranch_execz .LBB278_657
; %bb.654:                              ;   in Loop: Header=BB278_545 Depth=1
	v_and_b32_e32 v47, 7, v48
	v_lshrrev_b32_e32 v49, 3, v50
	s_mov_b32 s15, exec_lo
	v_cmpx_gt_u32_e32 8, v50
; %bb.655:                              ;   in Loop: Header=BB278_545 Depth=1
	s_delay_alu instid0(VALU_DEP_3) | instskip(NEXT) | instid1(VALU_DEP_1)
	v_clz_i32_u32_e32 v47, v47
	v_min_u32_e32 v47, 32, v47
	s_delay_alu instid0(VALU_DEP_1) | instskip(NEXT) | instid1(VALU_DEP_1)
	v_subrev_nc_u32_e32 v49, 28, v47
	v_lshlrev_b64_e32 v[50:51], v49, v[1:2]
	v_sub_nc_u32_e32 v49, 29, v47
	s_delay_alu instid0(VALU_DEP_2)
	v_and_b32_e32 v47, 7, v50
; %bb.656:                              ;   in Loop: Header=BB278_545 Depth=1
	s_wait_alu 0xfffe
	s_or_b32 exec_lo, exec_lo, s15
	v_lshlrev_b32_e32 v1, 8, v48
	v_lshl_add_u32 v48, v49, 10, 0x2000
	v_lshlrev_b32_e32 v47, 23, v47
	s_delay_alu instid0(VALU_DEP_2) | instskip(NEXT) | instid1(VALU_DEP_1)
	v_and_or_b32 v1, 0x8000, v1, v48
	v_lshl_or_b32 v47, v1, 16, v47
.LBB278_657:                            ;   in Loop: Header=BB278_545 Depth=1
	s_wait_alu 0xfffe
	s_or_b32 exec_lo, exec_lo, s14
.LBB278_658:                            ;   in Loop: Header=BB278_545 Depth=1
	s_wait_alu 0xfffe
	s_or_b32 exec_lo, exec_lo, s13
.LBB278_659:                            ;   in Loop: Header=BB278_545 Depth=1
	s_wait_alu 0xfffe
	s_or_b32 exec_lo, exec_lo, s12
	v_lshrrev_b32_e32 v1, 16, v10
	s_mov_b32 s12, exec_lo
	s_delay_alu instid0(VALU_DEP_1) | instskip(NEXT) | instid1(VALU_DEP_1)
	v_and_b32_e32 v48, 0xff, v1
	v_cmpx_ne_u16_e32 0, v48
	s_cbranch_execz .LBB278_667
; %bb.660:                              ;   in Loop: Header=BB278_545 Depth=1
	v_mov_b32_e32 v45, 0x8000
	s_mov_b32 s13, exec_lo
	v_cmpx_ne_u16_e32 0x80, v48
	s_cbranch_execz .LBB278_666
; %bb.661:                              ;   in Loop: Header=BB278_545 Depth=1
	v_bfe_u32 v49, v10, 16, 7
	v_mov_b32_e32 v45, 0x7c01
	s_mov_b32 s14, exec_lo
	s_delay_alu instid0(VALU_DEP_2)
	v_cmpx_ne_u32_e32 0x7f, v49
	s_cbranch_execz .LBB278_665
; %bb.662:                              ;   in Loop: Header=BB278_545 Depth=1
	v_and_b32_e32 v45, 7, v1
	v_lshrrev_b32_e32 v48, 3, v49
	s_mov_b32 s15, exec_lo
	v_cmpx_gt_u32_e32 8, v49
; %bb.663:                              ;   in Loop: Header=BB278_545 Depth=1
	s_delay_alu instid0(VALU_DEP_3) | instskip(NEXT) | instid1(VALU_DEP_1)
	v_clz_i32_u32_e32 v45, v45
	v_min_u32_e32 v45, 32, v45
	s_delay_alu instid0(VALU_DEP_1) | instskip(NEXT) | instid1(VALU_DEP_1)
	v_subrev_nc_u32_e32 v48, 28, v45
	v_lshlrev_b64_e32 v[49:50], v48, v[1:2]
	v_sub_nc_u32_e32 v48, 29, v45
	s_delay_alu instid0(VALU_DEP_2)
	v_and_b32_e32 v45, 7, v49
; %bb.664:                              ;   in Loop: Header=BB278_545 Depth=1
	s_wait_alu 0xfffe
	s_or_b32 exec_lo, exec_lo, s15
	v_lshlrev_b32_e32 v1, 8, v1
	v_lshl_add_u32 v48, v48, 10, 0x2000
	v_lshlrev_b32_e32 v45, 7, v45
	s_delay_alu instid0(VALU_DEP_3) | instskip(NEXT) | instid1(VALU_DEP_3)
	v_and_b32_e32 v1, 0x8000, v1
	v_and_b32_e32 v48, 0xfc00, v48
	s_delay_alu instid0(VALU_DEP_1)
	v_or3_b32 v45, v1, v48, v45
.LBB278_665:                            ;   in Loop: Header=BB278_545 Depth=1
	s_wait_alu 0xfffe
	s_or_b32 exec_lo, exec_lo, s14
.LBB278_666:                            ;   in Loop: Header=BB278_545 Depth=1
	s_wait_alu 0xfffe
	s_or_b32 exec_lo, exec_lo, s13
.LBB278_667:                            ;   in Loop: Header=BB278_545 Depth=1
	s_wait_alu 0xfffe
	s_or_b32 exec_lo, exec_lo, s12
	v_cmp_lt_u64_e64 s0, s[8:9], v[9:10]
	v_mov_b32_e32 v9, 0
	s_and_saveexec_b32 s12, s0
	s_cbranch_execz .LBB278_675
; %bb.668:                              ;   in Loop: Header=BB278_545 Depth=1
	v_lshrrev_b32_e32 v1, 24, v10
	v_bfrev_b32_e32 v9, 1
	s_mov_b32 s13, exec_lo
	s_delay_alu instid0(VALU_DEP_2)
	v_cmpx_ne_u32_e32 0x80, v1
	s_cbranch_execz .LBB278_674
; %bb.669:                              ;   in Loop: Header=BB278_545 Depth=1
	v_and_b32_e32 v48, 0x7f, v1
	v_mov_b32_e32 v9, 0x7c010000
	s_mov_b32 s14, exec_lo
	s_delay_alu instid0(VALU_DEP_2)
	v_cmpx_ne_u32_e32 0x7f, v48
	s_cbranch_execz .LBB278_673
; %bb.670:                              ;   in Loop: Header=BB278_545 Depth=1
	v_and_b32_e32 v9, 7, v1
	v_lshrrev_b32_e32 v10, 3, v48
	s_mov_b32 s15, exec_lo
	v_cmpx_gt_u32_e32 8, v48
; %bb.671:                              ;   in Loop: Header=BB278_545 Depth=1
	s_delay_alu instid0(VALU_DEP_3) | instskip(NEXT) | instid1(VALU_DEP_1)
	v_clz_i32_u32_e32 v9, v9
	v_min_u32_e32 v48, 32, v9
	s_delay_alu instid0(VALU_DEP_1) | instskip(NEXT) | instid1(VALU_DEP_1)
	v_subrev_nc_u32_e32 v9, 28, v48
	v_lshlrev_b64_e32 v[9:10], v9, v[1:2]
	v_sub_nc_u32_e32 v10, 29, v48
	s_delay_alu instid0(VALU_DEP_2)
	v_and_b32_e32 v9, 7, v9
; %bb.672:                              ;   in Loop: Header=BB278_545 Depth=1
	s_wait_alu 0xfffe
	s_or_b32 exec_lo, exec_lo, s15
	v_lshlrev_b32_e32 v1, 8, v1
	v_lshl_add_u32 v10, v10, 10, 0x2000
	v_lshlrev_b32_e32 v9, 23, v9
	s_delay_alu instid0(VALU_DEP_2) | instskip(NEXT) | instid1(VALU_DEP_1)
	v_and_or_b32 v1, 0x8000, v1, v10
	v_lshl_or_b32 v9, v1, 16, v9
.LBB278_673:                            ;   in Loop: Header=BB278_545 Depth=1
	s_wait_alu 0xfffe
	s_or_b32 exec_lo, exec_lo, s14
.LBB278_674:                            ;   in Loop: Header=BB278_545 Depth=1
	s_wait_alu 0xfffe
	s_or_b32 exec_lo, exec_lo, s13
.LBB278_675:                            ;   in Loop: Header=BB278_545 Depth=1
	s_wait_alu 0xfffe
	s_or_b32 exec_lo, exec_lo, s12
	v_or_b32_e32 v1, v43, v44
	s_wait_loadcnt 0x0
	v_fma_mixlo_f16 v10, v40, v43, 0 op_sel:[0,1,0] op_sel_hi:[0,1,0]
	v_or_b32_e32 v43, v41, v42
	v_fma_mixlo_f16 v41, v40, v41, 0 op_sel:[0,1,0] op_sel_hi:[0,1,0]
	v_or_b32_e32 v44, v47, v46
	v_or_b32_e32 v45, v9, v45
	v_fma_mixlo_f16 v46, v40, v1, 0 op_sel_hi:[0,1,0]
	v_fma_mixlo_f16 v9, v40, v9, 0 op_sel:[0,1,0] op_sel_hi:[0,1,0]
	v_lshlrev_b32_e32 v42, 16, v41
	v_fma_mixlo_f16 v41, v40, v43, 0 op_sel_hi:[0,1,0]
	v_fma_mixlo_f16 v43, v40, v47, 0 op_sel:[0,1,0] op_sel_hi:[0,1,0]
	v_fma_mixlo_f16 v44, v40, v44, 0 op_sel_hi:[0,1,0]
	v_fma_mixlo_f16 v45, v40, v45, 0 op_sel_hi:[0,1,0]
	v_lshlrev_b32_e32 v1, 16, v10
	v_and_b32_e32 v10, 0xffff, v46
	v_and_b32_e32 v48, 0xffff, v41
	v_lshlrev_b32_e32 v40, 16, v43
	v_and_b32_e32 v44, 0xffff, v44
	v_lshlrev_b32_e32 v9, 16, v9
	v_and_b32_e32 v41, 0xffff, v45
	v_or_b32_e32 v43, v1, v10
	v_or_b32_e32 v47, v42, v48
	;; [unrolled: 1-line block ×3, first 2 shown]
	s_delay_alu instid0(VALU_DEP_4)
	v_or_b32_e32 v45, v9, v41
	s_and_saveexec_b32 s12, vcc_lo
	s_cbranch_execz .LBB278_677
; %bb.676:                              ;   in Loop: Header=BB278_545 Depth=1
	v_cmp_gt_i32_e64 s0, s27, v15
	s_wait_alu 0xf1ff
	s_delay_alu instid0(VALU_DEP_1) | instskip(SKIP_2) | instid1(VALU_DEP_1)
	v_cndmask_b32_e64 v43, 0, v48, s0
	v_cmp_gt_i32_e64 s0, s27, v33
	s_wait_alu 0xf1ff
	v_cndmask_b32_e64 v42, 0, v42, s0
	v_cmp_gt_i32_e64 s0, s27, v32
	s_delay_alu instid0(VALU_DEP_2) | instskip(SKIP_1) | instid1(VALU_DEP_2)
	v_or_b32_e32 v47, v42, v43
	s_wait_alu 0xf1ff
	v_cndmask_b32_e64 v10, 0, v10, s0
	v_cmp_gt_i32_e64 s0, s27, v31
	s_wait_alu 0xf1ff
	s_delay_alu instid0(VALU_DEP_1) | instskip(SKIP_1) | instid1(VALU_DEP_2)
	v_cndmask_b32_e64 v1, 0, v1, s0
	v_cmp_gt_i32_e64 s0, s27, v30
	v_or_b32_e32 v43, v1, v10
	s_wait_alu 0xf1ff
	s_delay_alu instid0(VALU_DEP_2) | instskip(SKIP_2) | instid1(VALU_DEP_1)
	v_cndmask_b32_e64 v44, 0, v44, s0
	v_cmp_gt_i32_e64 s0, s27, v29
	s_wait_alu 0xf1ff
	v_cndmask_b32_e64 v40, 0, v40, s0
	v_cmp_gt_i32_e64 s0, s27, v28
	s_delay_alu instid0(VALU_DEP_2) | instskip(SKIP_1) | instid1(VALU_DEP_2)
	v_or_b32_e32 v46, v40, v44
	s_wait_alu 0xf1ff
	v_cndmask_b32_e64 v41, 0, v41, s0
	v_cmp_gt_i32_e64 s0, s27, v26
	s_wait_alu 0xf1ff
	s_delay_alu instid0(VALU_DEP_1) | instskip(NEXT) | instid1(VALU_DEP_1)
	v_cndmask_b32_e64 v9, 0, v9, s0
	v_or_b32_e32 v45, v9, v41
.LBB278_677:                            ;   in Loop: Header=BB278_545 Depth=1
	s_wait_alu 0xfffe
	s_or_b32 exec_lo, exec_lo, s12
	;;#ASMSTART
	v_pk_mul_f16 v1, v38, v47;

	;;#ASMEND
	;;#ASMSTART
	v_pk_mul_f16 v9, v36, v43;

	;;#ASMEND
	;; [unrolled: 4-line block ×4, first 2 shown]
	;;#ASMSTART
	v_pk_add_f16 v1, v1, v9;

	;;#ASMEND
	;;#ASMSTART
	v_pk_add_f16 v1, v1, v10;

	;;#ASMEND
	;; [unrolled: 4-line block ×3, first 2 shown]
	v_dual_mov_b32 v44, 0 :: v_dual_and_b32 v9, 0xffff, v1
	v_lshrrev_b32_e32 v1, 16, v1
	;;#ASMSTART
	v_cvt_f32_f16 v40, v9;
	;;#ASMEND
	;;#ASMSTART
	v_cvt_f32_f16 v41, v1;
	;;#ASMEND
	global_load_b64 v[9:10], v[7:8], off offset:512
	v_mov_b32_e32 v43, 0
	s_mov_b32 s12, exec_lo
	global_load_b32 v42, v43, s[10:11]
	s_wait_loadcnt 0x1
	v_and_b32_e32 v1, 0xff, v9
	s_delay_alu instid0(VALU_DEP_1)
	v_cmpx_ne_u16_e32 0, v1
	s_cbranch_execz .LBB278_685
; %bb.678:                              ;   in Loop: Header=BB278_545 Depth=1
	v_mov_b32_e32 v44, 0x8000
	s_mov_b32 s13, exec_lo
	v_cmpx_ne_u16_e32 0x80, v1
	s_cbranch_execz .LBB278_684
; %bb.679:                              ;   in Loop: Header=BB278_545 Depth=1
	v_and_b32_e32 v45, 0x7f, v9
	v_mov_b32_e32 v44, 0x7c01
	s_mov_b32 s14, exec_lo
	s_delay_alu instid0(VALU_DEP_2)
	v_cmpx_ne_u32_e32 0x7f, v45
	s_cbranch_execz .LBB278_683
; %bb.680:                              ;   in Loop: Header=BB278_545 Depth=1
	v_and_b32_e32 v1, 7, v9
	v_lshrrev_b32_e32 v44, 3, v45
	s_mov_b32 s15, exec_lo
	v_cmpx_gt_u32_e32 8, v45
; %bb.681:                              ;   in Loop: Header=BB278_545 Depth=1
	s_delay_alu instid0(VALU_DEP_3) | instskip(NEXT) | instid1(VALU_DEP_1)
	v_clz_i32_u32_e32 v1, v1
	v_min_u32_e32 v1, 32, v1
	s_delay_alu instid0(VALU_DEP_1) | instskip(NEXT) | instid1(VALU_DEP_1)
	v_subrev_nc_u32_e32 v44, 28, v1
	v_lshlrev_b64_e32 v[45:46], v44, v[9:10]
	v_sub_nc_u32_e32 v44, 29, v1
	s_delay_alu instid0(VALU_DEP_2)
	v_and_b32_e32 v1, 7, v45
; %bb.682:                              ;   in Loop: Header=BB278_545 Depth=1
	s_wait_alu 0xfffe
	s_or_b32 exec_lo, exec_lo, s15
	v_lshlrev_b32_e32 v45, 8, v9
	v_lshl_add_u32 v44, v44, 10, 0x2000
	v_lshlrev_b32_e32 v1, 7, v1
	s_delay_alu instid0(VALU_DEP_3) | instskip(NEXT) | instid1(VALU_DEP_3)
	v_and_b32_e32 v45, 0x8000, v45
	v_and_b32_e32 v44, 0xfc00, v44
	s_delay_alu instid0(VALU_DEP_1)
	v_or3_b32 v44, v45, v44, v1
.LBB278_683:                            ;   in Loop: Header=BB278_545 Depth=1
	s_wait_alu 0xfffe
	s_or_b32 exec_lo, exec_lo, s14
.LBB278_684:                            ;   in Loop: Header=BB278_545 Depth=1
	s_wait_alu 0xfffe
	s_or_b32 exec_lo, exec_lo, s13
.LBB278_685:                            ;   in Loop: Header=BB278_545 Depth=1
	s_wait_alu 0xfffe
	s_or_b32 exec_lo, exec_lo, s12
	v_lshrrev_b16 v1, 8, v9
	s_mov_b32 s12, exec_lo
	s_delay_alu instid0(VALU_DEP_1)
	v_cmpx_ne_u16_e32 0, v1
	s_cbranch_execz .LBB278_693
; %bb.686:                              ;   in Loop: Header=BB278_545 Depth=1
	v_bfrev_b32_e32 v43, 1
	s_mov_b32 s13, exec_lo
	v_cmpx_ne_u16_e32 0x80, v1
	s_cbranch_execz .LBB278_692
; %bb.687:                              ;   in Loop: Header=BB278_545 Depth=1
	v_and_b32_e32 v45, 0xffff, v1
	v_mov_b32_e32 v43, 0x7c010000
	s_mov_b32 s14, exec_lo
	s_delay_alu instid0(VALU_DEP_2) | instskip(NEXT) | instid1(VALU_DEP_1)
	v_and_b32_e32 v47, 0x7f, v45
	v_cmpx_ne_u32_e32 0x7f, v47
	s_cbranch_execz .LBB278_691
; %bb.688:                              ;   in Loop: Header=BB278_545 Depth=1
	v_and_b32_e32 v43, 7, v45
	v_lshrrev_b32_e32 v46, 3, v47
	s_mov_b32 s15, exec_lo
	v_cmpx_gt_u32_e32 8, v47
; %bb.689:                              ;   in Loop: Header=BB278_545 Depth=1
	s_delay_alu instid0(VALU_DEP_3) | instskip(NEXT) | instid1(VALU_DEP_1)
	v_clz_i32_u32_e32 v43, v43
	v_min_u32_e32 v43, 32, v43
	s_delay_alu instid0(VALU_DEP_1) | instskip(NEXT) | instid1(VALU_DEP_1)
	v_subrev_nc_u32_e32 v46, 28, v43
	v_lshlrev_b64_e32 v[47:48], v46, v[1:2]
	v_sub_nc_u32_e32 v46, 29, v43
	s_delay_alu instid0(VALU_DEP_2)
	v_and_b32_e32 v43, 7, v47
; %bb.690:                              ;   in Loop: Header=BB278_545 Depth=1
	s_wait_alu 0xfffe
	s_or_b32 exec_lo, exec_lo, s15
	v_lshlrev_b32_e32 v1, 8, v45
	v_lshl_add_u32 v45, v46, 10, 0x2000
	v_lshlrev_b32_e32 v43, 23, v43
	s_delay_alu instid0(VALU_DEP_2) | instskip(NEXT) | instid1(VALU_DEP_1)
	v_and_or_b32 v1, 0x8000, v1, v45
	v_lshl_or_b32 v43, v1, 16, v43
.LBB278_691:                            ;   in Loop: Header=BB278_545 Depth=1
	s_wait_alu 0xfffe
	s_or_b32 exec_lo, exec_lo, s14
.LBB278_692:                            ;   in Loop: Header=BB278_545 Depth=1
	s_wait_alu 0xfffe
	s_or_b32 exec_lo, exec_lo, s13
.LBB278_693:                            ;   in Loop: Header=BB278_545 Depth=1
	s_wait_alu 0xfffe
	s_or_b32 exec_lo, exec_lo, s12
	v_lshrrev_b32_e32 v1, 16, v9
	v_mov_b32_e32 v45, 0
	s_mov_b32 s12, exec_lo
	s_delay_alu instid0(VALU_DEP_2) | instskip(NEXT) | instid1(VALU_DEP_1)
	v_dual_mov_b32 v46, 0 :: v_dual_and_b32 v47, 0xff, v1
	v_cmpx_ne_u16_e32 0, v47
	s_cbranch_execz .LBB278_701
; %bb.694:                              ;   in Loop: Header=BB278_545 Depth=1
	v_mov_b32_e32 v46, 0x8000
	s_mov_b32 s13, exec_lo
	v_cmpx_ne_u16_e32 0x80, v47
	s_cbranch_execz .LBB278_700
; %bb.695:                              ;   in Loop: Header=BB278_545 Depth=1
	v_bfe_u32 v48, v9, 16, 7
	v_mov_b32_e32 v46, 0x7c01
	s_mov_b32 s14, exec_lo
	s_delay_alu instid0(VALU_DEP_2)
	v_cmpx_ne_u32_e32 0x7f, v48
	s_cbranch_execz .LBB278_699
; %bb.696:                              ;   in Loop: Header=BB278_545 Depth=1
	v_and_b32_e32 v46, 7, v1
	v_lshrrev_b32_e32 v47, 3, v48
	s_mov_b32 s15, exec_lo
	v_cmpx_gt_u32_e32 8, v48
; %bb.697:                              ;   in Loop: Header=BB278_545 Depth=1
	s_delay_alu instid0(VALU_DEP_3) | instskip(NEXT) | instid1(VALU_DEP_1)
	v_clz_i32_u32_e32 v46, v46
	v_min_u32_e32 v48, 32, v46
	s_delay_alu instid0(VALU_DEP_1) | instskip(NEXT) | instid1(VALU_DEP_1)
	v_subrev_nc_u32_e32 v46, 28, v48
	v_lshlrev_b64_e32 v[46:47], v46, v[1:2]
	v_sub_nc_u32_e32 v47, 29, v48
	s_delay_alu instid0(VALU_DEP_2)
	v_and_b32_e32 v46, 7, v46
; %bb.698:                              ;   in Loop: Header=BB278_545 Depth=1
	s_wait_alu 0xfffe
	s_or_b32 exec_lo, exec_lo, s15
	v_lshlrev_b32_e32 v1, 8, v1
	v_lshl_add_u32 v47, v47, 10, 0x2000
	v_lshlrev_b32_e32 v46, 7, v46
	s_delay_alu instid0(VALU_DEP_3) | instskip(NEXT) | instid1(VALU_DEP_3)
	v_and_b32_e32 v1, 0x8000, v1
	v_and_b32_e32 v47, 0xfc00, v47
	s_delay_alu instid0(VALU_DEP_1)
	v_or3_b32 v46, v1, v47, v46
.LBB278_699:                            ;   in Loop: Header=BB278_545 Depth=1
	s_wait_alu 0xfffe
	s_or_b32 exec_lo, exec_lo, s14
.LBB278_700:                            ;   in Loop: Header=BB278_545 Depth=1
	s_wait_alu 0xfffe
	s_or_b32 exec_lo, exec_lo, s13
.LBB278_701:                            ;   in Loop: Header=BB278_545 Depth=1
	s_wait_alu 0xfffe
	s_or_b32 exec_lo, exec_lo, s12
	s_delay_alu instid0(SALU_CYCLE_1)
	s_mov_b32 s12, exec_lo
	v_cmpx_lt_u32_e32 0xffffff, v9
	s_cbranch_execz .LBB278_709
; %bb.702:                              ;   in Loop: Header=BB278_545 Depth=1
	v_lshrrev_b32_e32 v1, 24, v9
	v_bfrev_b32_e32 v45, 1
	s_mov_b32 s13, exec_lo
	s_delay_alu instid0(VALU_DEP_2)
	v_cmpx_ne_u32_e32 0x80, v1
	s_cbranch_execz .LBB278_708
; %bb.703:                              ;   in Loop: Header=BB278_545 Depth=1
	v_and_b32_e32 v48, 0x7f, v1
	v_mov_b32_e32 v45, 0x7c010000
	s_mov_b32 s14, exec_lo
	s_delay_alu instid0(VALU_DEP_2)
	v_cmpx_ne_u32_e32 0x7f, v48
	s_cbranch_execz .LBB278_707
; %bb.704:                              ;   in Loop: Header=BB278_545 Depth=1
	v_and_b32_e32 v45, 7, v1
	v_lshrrev_b32_e32 v47, 3, v48
	s_mov_b32 s15, exec_lo
	v_cmpx_gt_u32_e32 8, v48
; %bb.705:                              ;   in Loop: Header=BB278_545 Depth=1
	s_delay_alu instid0(VALU_DEP_3) | instskip(NEXT) | instid1(VALU_DEP_1)
	v_clz_i32_u32_e32 v45, v45
	v_min_u32_e32 v45, 32, v45
	s_delay_alu instid0(VALU_DEP_1) | instskip(NEXT) | instid1(VALU_DEP_1)
	v_subrev_nc_u32_e32 v47, 28, v45
	v_lshlrev_b64_e32 v[48:49], v47, v[1:2]
	v_sub_nc_u32_e32 v47, 29, v45
	s_delay_alu instid0(VALU_DEP_2)
	v_and_b32_e32 v45, 7, v48
; %bb.706:                              ;   in Loop: Header=BB278_545 Depth=1
	s_wait_alu 0xfffe
	s_or_b32 exec_lo, exec_lo, s15
	v_lshlrev_b32_e32 v1, 8, v1
	v_lshl_add_u32 v47, v47, 10, 0x2000
	v_lshlrev_b32_e32 v45, 23, v45
	s_delay_alu instid0(VALU_DEP_2) | instskip(NEXT) | instid1(VALU_DEP_1)
	v_and_or_b32 v1, 0x8000, v1, v47
	v_lshl_or_b32 v45, v1, 16, v45
.LBB278_707:                            ;   in Loop: Header=BB278_545 Depth=1
	s_wait_alu 0xfffe
	s_or_b32 exec_lo, exec_lo, s14
.LBB278_708:                            ;   in Loop: Header=BB278_545 Depth=1
	s_wait_alu 0xfffe
	s_or_b32 exec_lo, exec_lo, s13
.LBB278_709:                            ;   in Loop: Header=BB278_545 Depth=1
	s_wait_alu 0xfffe
	s_or_b32 exec_lo, exec_lo, s12
	v_dual_mov_b32 v48, 0 :: v_dual_and_b32 v49, 0xff, v10
	v_mov_b32_e32 v1, v10
	v_mov_b32_e32 v47, 0
	s_mov_b32 s12, exec_lo
	s_delay_alu instid0(VALU_DEP_3)
	v_cmpx_ne_u16_e32 0, v49
	s_cbranch_execz .LBB278_717
; %bb.710:                              ;   in Loop: Header=BB278_545 Depth=1
	v_mov_b32_e32 v48, 0x8000
	s_mov_b32 s13, exec_lo
	v_cmpx_ne_u16_e32 0x80, v49
	s_cbranch_execz .LBB278_716
; %bb.711:                              ;   in Loop: Header=BB278_545 Depth=1
	v_and_b32_e32 v50, 0x7f, v10
	v_mov_b32_e32 v48, 0x7c01
	s_mov_b32 s14, exec_lo
	s_delay_alu instid0(VALU_DEP_2)
	v_cmpx_ne_u32_e32 0x7f, v50
	s_cbranch_execz .LBB278_715
; %bb.712:                              ;   in Loop: Header=BB278_545 Depth=1
	v_and_b32_e32 v48, 7, v10
	v_lshrrev_b32_e32 v49, 3, v50
	s_mov_b32 s15, exec_lo
	v_cmpx_gt_u32_e32 8, v50
; %bb.713:                              ;   in Loop: Header=BB278_545 Depth=1
	s_delay_alu instid0(VALU_DEP_3) | instskip(NEXT) | instid1(VALU_DEP_1)
	v_clz_i32_u32_e32 v48, v48
	v_min_u32_e32 v50, 32, v48
	s_delay_alu instid0(VALU_DEP_1) | instskip(NEXT) | instid1(VALU_DEP_1)
	v_subrev_nc_u32_e32 v48, 28, v50
	v_lshlrev_b64_e32 v[48:49], v48, v[1:2]
	v_sub_nc_u32_e32 v49, 29, v50
	s_delay_alu instid0(VALU_DEP_2)
	v_and_b32_e32 v48, 7, v48
; %bb.714:                              ;   in Loop: Header=BB278_545 Depth=1
	s_wait_alu 0xfffe
	s_or_b32 exec_lo, exec_lo, s15
	v_lshlrev_b32_e32 v50, 8, v10
	v_lshl_add_u32 v49, v49, 10, 0x2000
	v_lshlrev_b32_e32 v48, 7, v48
	s_delay_alu instid0(VALU_DEP_3) | instskip(NEXT) | instid1(VALU_DEP_3)
	v_and_b32_e32 v50, 0x8000, v50
	v_and_b32_e32 v49, 0xfc00, v49
	s_delay_alu instid0(VALU_DEP_1)
	v_or3_b32 v48, v50, v49, v48
.LBB278_715:                            ;   in Loop: Header=BB278_545 Depth=1
	s_wait_alu 0xfffe
	s_or_b32 exec_lo, exec_lo, s14
.LBB278_716:                            ;   in Loop: Header=BB278_545 Depth=1
	s_wait_alu 0xfffe
	s_or_b32 exec_lo, exec_lo, s13
.LBB278_717:                            ;   in Loop: Header=BB278_545 Depth=1
	s_wait_alu 0xfffe
	s_or_b32 exec_lo, exec_lo, s12
	v_lshrrev_b16 v1, 8, v1
	v_mov_b32_e32 v49, 0
	s_mov_b32 s12, exec_lo
	s_delay_alu instid0(VALU_DEP_2)
	v_cmpx_ne_u16_e32 0, v1
	s_cbranch_execz .LBB278_725
; %bb.718:                              ;   in Loop: Header=BB278_545 Depth=1
	v_bfrev_b32_e32 v49, 1
	s_mov_b32 s13, exec_lo
	v_cmpx_ne_u16_e32 0x80, v1
	s_cbranch_execz .LBB278_724
; %bb.719:                              ;   in Loop: Header=BB278_545 Depth=1
	v_and_b32_e32 v50, 0xffff, v1
	v_mov_b32_e32 v49, 0x7c010000
	s_mov_b32 s14, exec_lo
	s_delay_alu instid0(VALU_DEP_2) | instskip(NEXT) | instid1(VALU_DEP_1)
	v_and_b32_e32 v52, 0x7f, v50
	v_cmpx_ne_u32_e32 0x7f, v52
	s_cbranch_execz .LBB278_723
; %bb.720:                              ;   in Loop: Header=BB278_545 Depth=1
	v_and_b32_e32 v49, 7, v50
	v_lshrrev_b32_e32 v51, 3, v52
	s_mov_b32 s15, exec_lo
	v_cmpx_gt_u32_e32 8, v52
; %bb.721:                              ;   in Loop: Header=BB278_545 Depth=1
	s_delay_alu instid0(VALU_DEP_3) | instskip(NEXT) | instid1(VALU_DEP_1)
	v_clz_i32_u32_e32 v49, v49
	v_min_u32_e32 v49, 32, v49
	s_delay_alu instid0(VALU_DEP_1) | instskip(NEXT) | instid1(VALU_DEP_1)
	v_subrev_nc_u32_e32 v51, 28, v49
	v_lshlrev_b64_e32 v[52:53], v51, v[1:2]
	v_sub_nc_u32_e32 v51, 29, v49
	s_delay_alu instid0(VALU_DEP_2)
	v_and_b32_e32 v49, 7, v52
; %bb.722:                              ;   in Loop: Header=BB278_545 Depth=1
	s_wait_alu 0xfffe
	s_or_b32 exec_lo, exec_lo, s15
	v_lshlrev_b32_e32 v1, 8, v50
	v_lshl_add_u32 v50, v51, 10, 0x2000
	v_lshlrev_b32_e32 v49, 23, v49
	s_delay_alu instid0(VALU_DEP_2) | instskip(NEXT) | instid1(VALU_DEP_1)
	v_and_or_b32 v1, 0x8000, v1, v50
	v_lshl_or_b32 v49, v1, 16, v49
.LBB278_723:                            ;   in Loop: Header=BB278_545 Depth=1
	s_wait_alu 0xfffe
	s_or_b32 exec_lo, exec_lo, s14
.LBB278_724:                            ;   in Loop: Header=BB278_545 Depth=1
	s_wait_alu 0xfffe
	s_or_b32 exec_lo, exec_lo, s13
.LBB278_725:                            ;   in Loop: Header=BB278_545 Depth=1
	s_wait_alu 0xfffe
	s_or_b32 exec_lo, exec_lo, s12
	v_lshrrev_b32_e32 v1, 16, v10
	s_mov_b32 s12, exec_lo
	s_delay_alu instid0(VALU_DEP_1) | instskip(NEXT) | instid1(VALU_DEP_1)
	v_and_b32_e32 v50, 0xff, v1
	v_cmpx_ne_u16_e32 0, v50
	s_cbranch_execz .LBB278_733
; %bb.726:                              ;   in Loop: Header=BB278_545 Depth=1
	v_mov_b32_e32 v47, 0x8000
	s_mov_b32 s13, exec_lo
	v_cmpx_ne_u16_e32 0x80, v50
	s_cbranch_execz .LBB278_732
; %bb.727:                              ;   in Loop: Header=BB278_545 Depth=1
	v_bfe_u32 v51, v10, 16, 7
	v_mov_b32_e32 v47, 0x7c01
	s_mov_b32 s14, exec_lo
	s_delay_alu instid0(VALU_DEP_2)
	v_cmpx_ne_u32_e32 0x7f, v51
	s_cbranch_execz .LBB278_731
; %bb.728:                              ;   in Loop: Header=BB278_545 Depth=1
	v_and_b32_e32 v47, 7, v1
	v_lshrrev_b32_e32 v50, 3, v51
	s_mov_b32 s15, exec_lo
	v_cmpx_gt_u32_e32 8, v51
; %bb.729:                              ;   in Loop: Header=BB278_545 Depth=1
	s_delay_alu instid0(VALU_DEP_3) | instskip(NEXT) | instid1(VALU_DEP_1)
	v_clz_i32_u32_e32 v47, v47
	v_min_u32_e32 v47, 32, v47
	s_delay_alu instid0(VALU_DEP_1) | instskip(NEXT) | instid1(VALU_DEP_1)
	v_subrev_nc_u32_e32 v50, 28, v47
	v_lshlrev_b64_e32 v[51:52], v50, v[1:2]
	v_sub_nc_u32_e32 v50, 29, v47
	s_delay_alu instid0(VALU_DEP_2)
	v_and_b32_e32 v47, 7, v51
; %bb.730:                              ;   in Loop: Header=BB278_545 Depth=1
	s_wait_alu 0xfffe
	s_or_b32 exec_lo, exec_lo, s15
	v_lshlrev_b32_e32 v1, 8, v1
	v_lshl_add_u32 v50, v50, 10, 0x2000
	v_lshlrev_b32_e32 v47, 7, v47
	s_delay_alu instid0(VALU_DEP_3) | instskip(NEXT) | instid1(VALU_DEP_3)
	v_and_b32_e32 v1, 0x8000, v1
	v_and_b32_e32 v50, 0xfc00, v50
	s_delay_alu instid0(VALU_DEP_1)
	v_or3_b32 v47, v1, v50, v47
.LBB278_731:                            ;   in Loop: Header=BB278_545 Depth=1
	s_wait_alu 0xfffe
	s_or_b32 exec_lo, exec_lo, s14
.LBB278_732:                            ;   in Loop: Header=BB278_545 Depth=1
	s_wait_alu 0xfffe
	s_or_b32 exec_lo, exec_lo, s13
.LBB278_733:                            ;   in Loop: Header=BB278_545 Depth=1
	s_wait_alu 0xfffe
	s_or_b32 exec_lo, exec_lo, s12
	v_cmp_lt_u64_e64 s0, s[8:9], v[9:10]
	v_mov_b32_e32 v9, 0
	s_and_saveexec_b32 s12, s0
	s_cbranch_execz .LBB278_741
; %bb.734:                              ;   in Loop: Header=BB278_545 Depth=1
	v_lshrrev_b32_e32 v1, 24, v10
	v_bfrev_b32_e32 v9, 1
	s_mov_b32 s13, exec_lo
	s_delay_alu instid0(VALU_DEP_2)
	v_cmpx_ne_u32_e32 0x80, v1
	s_cbranch_execz .LBB278_740
; %bb.735:                              ;   in Loop: Header=BB278_545 Depth=1
	v_and_b32_e32 v50, 0x7f, v1
	v_mov_b32_e32 v9, 0x7c010000
	s_mov_b32 s14, exec_lo
	s_delay_alu instid0(VALU_DEP_2)
	v_cmpx_ne_u32_e32 0x7f, v50
	s_cbranch_execz .LBB278_739
; %bb.736:                              ;   in Loop: Header=BB278_545 Depth=1
	v_and_b32_e32 v9, 7, v1
	v_lshrrev_b32_e32 v10, 3, v50
	s_mov_b32 s15, exec_lo
	v_cmpx_gt_u32_e32 8, v50
; %bb.737:                              ;   in Loop: Header=BB278_545 Depth=1
	s_delay_alu instid0(VALU_DEP_3) | instskip(NEXT) | instid1(VALU_DEP_1)
	v_clz_i32_u32_e32 v9, v9
	v_min_u32_e32 v50, 32, v9
	s_delay_alu instid0(VALU_DEP_1) | instskip(NEXT) | instid1(VALU_DEP_1)
	v_subrev_nc_u32_e32 v9, 28, v50
	v_lshlrev_b64_e32 v[9:10], v9, v[1:2]
	v_sub_nc_u32_e32 v10, 29, v50
	s_delay_alu instid0(VALU_DEP_2)
	v_and_b32_e32 v9, 7, v9
; %bb.738:                              ;   in Loop: Header=BB278_545 Depth=1
	s_wait_alu 0xfffe
	s_or_b32 exec_lo, exec_lo, s15
	v_lshlrev_b32_e32 v1, 8, v1
	v_lshl_add_u32 v10, v10, 10, 0x2000
	v_lshlrev_b32_e32 v9, 23, v9
	s_delay_alu instid0(VALU_DEP_2) | instskip(NEXT) | instid1(VALU_DEP_1)
	v_and_or_b32 v1, 0x8000, v1, v10
	v_lshl_or_b32 v9, v1, 16, v9
.LBB278_739:                            ;   in Loop: Header=BB278_545 Depth=1
	s_wait_alu 0xfffe
	s_or_b32 exec_lo, exec_lo, s14
.LBB278_740:                            ;   in Loop: Header=BB278_545 Depth=1
	s_wait_alu 0xfffe
	s_or_b32 exec_lo, exec_lo, s13
.LBB278_741:                            ;   in Loop: Header=BB278_545 Depth=1
	s_wait_alu 0xfffe
	s_or_b32 exec_lo, exec_lo, s12
	v_or_b32_e32 v1, v45, v46
	s_wait_loadcnt 0x0
	v_fma_mixlo_f16 v10, v42, v45, 0 op_sel:[0,1,0] op_sel_hi:[0,1,0]
	v_or_b32_e32 v45, v43, v44
	v_fma_mixlo_f16 v43, v42, v43, 0 op_sel:[0,1,0] op_sel_hi:[0,1,0]
	v_or_b32_e32 v46, v49, v48
	v_or_b32_e32 v47, v9, v47
	v_fma_mixlo_f16 v48, v42, v1, 0 op_sel_hi:[0,1,0]
	v_fma_mixlo_f16 v9, v42, v9, 0 op_sel:[0,1,0] op_sel_hi:[0,1,0]
	v_lshlrev_b32_e32 v44, 16, v43
	v_fma_mixlo_f16 v43, v42, v45, 0 op_sel_hi:[0,1,0]
	v_fma_mixlo_f16 v45, v42, v49, 0 op_sel:[0,1,0] op_sel_hi:[0,1,0]
	v_fma_mixlo_f16 v46, v42, v46, 0 op_sel_hi:[0,1,0]
	v_fma_mixlo_f16 v47, v42, v47, 0 op_sel_hi:[0,1,0]
	v_lshlrev_b32_e32 v1, 16, v10
	v_and_b32_e32 v10, 0xffff, v48
	v_and_b32_e32 v50, 0xffff, v43
	v_lshlrev_b32_e32 v42, 16, v45
	v_and_b32_e32 v46, 0xffff, v46
	v_lshlrev_b32_e32 v9, 16, v9
	v_and_b32_e32 v43, 0xffff, v47
	v_or_b32_e32 v45, v1, v10
	v_or_b32_e32 v49, v44, v50
	;; [unrolled: 1-line block ×3, first 2 shown]
	s_delay_alu instid0(VALU_DEP_4)
	v_or_b32_e32 v47, v9, v43
	s_and_saveexec_b32 s12, vcc_lo
	s_cbranch_execz .LBB278_743
; %bb.742:                              ;   in Loop: Header=BB278_545 Depth=1
	v_cmp_gt_i32_e64 s0, s27, v15
	s_wait_alu 0xf1ff
	s_delay_alu instid0(VALU_DEP_1) | instskip(SKIP_2) | instid1(VALU_DEP_1)
	v_cndmask_b32_e64 v45, 0, v50, s0
	v_cmp_gt_i32_e64 s0, s27, v33
	s_wait_alu 0xf1ff
	v_cndmask_b32_e64 v44, 0, v44, s0
	v_cmp_gt_i32_e64 s0, s27, v32
	s_delay_alu instid0(VALU_DEP_2) | instskip(SKIP_1) | instid1(VALU_DEP_2)
	v_or_b32_e32 v49, v44, v45
	s_wait_alu 0xf1ff
	v_cndmask_b32_e64 v10, 0, v10, s0
	v_cmp_gt_i32_e64 s0, s27, v31
	s_wait_alu 0xf1ff
	s_delay_alu instid0(VALU_DEP_1) | instskip(SKIP_1) | instid1(VALU_DEP_2)
	v_cndmask_b32_e64 v1, 0, v1, s0
	v_cmp_gt_i32_e64 s0, s27, v30
	v_or_b32_e32 v45, v1, v10
	s_wait_alu 0xf1ff
	s_delay_alu instid0(VALU_DEP_2) | instskip(SKIP_2) | instid1(VALU_DEP_1)
	v_cndmask_b32_e64 v46, 0, v46, s0
	v_cmp_gt_i32_e64 s0, s27, v29
	s_wait_alu 0xf1ff
	v_cndmask_b32_e64 v42, 0, v42, s0
	v_cmp_gt_i32_e64 s0, s27, v28
	s_delay_alu instid0(VALU_DEP_2) | instskip(SKIP_1) | instid1(VALU_DEP_2)
	v_or_b32_e32 v48, v42, v46
	s_wait_alu 0xf1ff
	v_cndmask_b32_e64 v43, 0, v43, s0
	v_cmp_gt_i32_e64 s0, s27, v26
	s_wait_alu 0xf1ff
	s_delay_alu instid0(VALU_DEP_1) | instskip(NEXT) | instid1(VALU_DEP_1)
	v_cndmask_b32_e64 v9, 0, v9, s0
	v_or_b32_e32 v47, v9, v43
.LBB278_743:                            ;   in Loop: Header=BB278_545 Depth=1
	s_wait_alu 0xfffe
	s_or_b32 exec_lo, exec_lo, s12
	;;#ASMSTART
	v_pk_mul_f16 v1, v38, v49;

	;;#ASMEND
	;;#ASMSTART
	v_pk_mul_f16 v9, v36, v45;

	;;#ASMEND
	;; [unrolled: 4-line block ×4, first 2 shown]
	;;#ASMSTART
	v_pk_add_f16 v1, v1, v9;

	;;#ASMEND
	;;#ASMSTART
	v_pk_add_f16 v1, v1, v10;

	;;#ASMEND
	;; [unrolled: 4-line block ×3, first 2 shown]
	v_dual_mov_b32 v46, 0 :: v_dual_and_b32 v9, 0xffff, v1
	v_lshrrev_b32_e32 v1, 16, v1
	;;#ASMSTART
	v_cvt_f32_f16 v42, v9;
	;;#ASMEND
	;;#ASMSTART
	v_cvt_f32_f16 v43, v1;
	;;#ASMEND
	global_load_b64 v[9:10], v[7:8], off offset:768
	v_mov_b32_e32 v45, 0
	s_mov_b32 s12, exec_lo
	global_load_b32 v44, v45, s[10:11]
	s_wait_loadcnt 0x1
	v_and_b32_e32 v1, 0xff, v9
	s_delay_alu instid0(VALU_DEP_1)
	v_cmpx_ne_u16_e32 0, v1
	s_cbranch_execz .LBB278_751
; %bb.744:                              ;   in Loop: Header=BB278_545 Depth=1
	v_mov_b32_e32 v46, 0x8000
	s_mov_b32 s13, exec_lo
	v_cmpx_ne_u16_e32 0x80, v1
	s_cbranch_execz .LBB278_750
; %bb.745:                              ;   in Loop: Header=BB278_545 Depth=1
	v_and_b32_e32 v47, 0x7f, v9
	v_mov_b32_e32 v46, 0x7c01
	s_mov_b32 s14, exec_lo
	s_delay_alu instid0(VALU_DEP_2)
	v_cmpx_ne_u32_e32 0x7f, v47
	s_cbranch_execz .LBB278_749
; %bb.746:                              ;   in Loop: Header=BB278_545 Depth=1
	v_and_b32_e32 v1, 7, v9
	v_lshrrev_b32_e32 v46, 3, v47
	s_mov_b32 s15, exec_lo
	v_cmpx_gt_u32_e32 8, v47
; %bb.747:                              ;   in Loop: Header=BB278_545 Depth=1
	s_delay_alu instid0(VALU_DEP_3) | instskip(NEXT) | instid1(VALU_DEP_1)
	v_clz_i32_u32_e32 v1, v1
	v_min_u32_e32 v1, 32, v1
	s_delay_alu instid0(VALU_DEP_1) | instskip(NEXT) | instid1(VALU_DEP_1)
	v_subrev_nc_u32_e32 v46, 28, v1
	v_lshlrev_b64_e32 v[47:48], v46, v[9:10]
	v_sub_nc_u32_e32 v46, 29, v1
	s_delay_alu instid0(VALU_DEP_2)
	v_and_b32_e32 v1, 7, v47
; %bb.748:                              ;   in Loop: Header=BB278_545 Depth=1
	s_wait_alu 0xfffe
	s_or_b32 exec_lo, exec_lo, s15
	v_lshlrev_b32_e32 v47, 8, v9
	v_lshl_add_u32 v46, v46, 10, 0x2000
	v_lshlrev_b32_e32 v1, 7, v1
	s_delay_alu instid0(VALU_DEP_3) | instskip(NEXT) | instid1(VALU_DEP_3)
	v_and_b32_e32 v47, 0x8000, v47
	v_and_b32_e32 v46, 0xfc00, v46
	s_delay_alu instid0(VALU_DEP_1)
	v_or3_b32 v46, v47, v46, v1
.LBB278_749:                            ;   in Loop: Header=BB278_545 Depth=1
	s_wait_alu 0xfffe
	s_or_b32 exec_lo, exec_lo, s14
.LBB278_750:                            ;   in Loop: Header=BB278_545 Depth=1
	s_wait_alu 0xfffe
	s_or_b32 exec_lo, exec_lo, s13
.LBB278_751:                            ;   in Loop: Header=BB278_545 Depth=1
	s_wait_alu 0xfffe
	s_or_b32 exec_lo, exec_lo, s12
	v_lshrrev_b16 v1, 8, v9
	s_mov_b32 s12, exec_lo
	s_delay_alu instid0(VALU_DEP_1)
	v_cmpx_ne_u16_e32 0, v1
	s_cbranch_execz .LBB278_759
; %bb.752:                              ;   in Loop: Header=BB278_545 Depth=1
	v_bfrev_b32_e32 v45, 1
	s_mov_b32 s13, exec_lo
	v_cmpx_ne_u16_e32 0x80, v1
	s_cbranch_execz .LBB278_758
; %bb.753:                              ;   in Loop: Header=BB278_545 Depth=1
	v_and_b32_e32 v47, 0xffff, v1
	v_mov_b32_e32 v45, 0x7c010000
	s_mov_b32 s14, exec_lo
	s_delay_alu instid0(VALU_DEP_2) | instskip(NEXT) | instid1(VALU_DEP_1)
	v_and_b32_e32 v49, 0x7f, v47
	v_cmpx_ne_u32_e32 0x7f, v49
	s_cbranch_execz .LBB278_757
; %bb.754:                              ;   in Loop: Header=BB278_545 Depth=1
	v_and_b32_e32 v45, 7, v47
	v_lshrrev_b32_e32 v48, 3, v49
	s_mov_b32 s15, exec_lo
	v_cmpx_gt_u32_e32 8, v49
; %bb.755:                              ;   in Loop: Header=BB278_545 Depth=1
	s_delay_alu instid0(VALU_DEP_3) | instskip(NEXT) | instid1(VALU_DEP_1)
	v_clz_i32_u32_e32 v45, v45
	v_min_u32_e32 v45, 32, v45
	s_delay_alu instid0(VALU_DEP_1) | instskip(NEXT) | instid1(VALU_DEP_1)
	v_subrev_nc_u32_e32 v48, 28, v45
	v_lshlrev_b64_e32 v[49:50], v48, v[1:2]
	v_sub_nc_u32_e32 v48, 29, v45
	s_delay_alu instid0(VALU_DEP_2)
	v_and_b32_e32 v45, 7, v49
; %bb.756:                              ;   in Loop: Header=BB278_545 Depth=1
	s_wait_alu 0xfffe
	s_or_b32 exec_lo, exec_lo, s15
	v_lshlrev_b32_e32 v1, 8, v47
	v_lshl_add_u32 v47, v48, 10, 0x2000
	v_lshlrev_b32_e32 v45, 23, v45
	s_delay_alu instid0(VALU_DEP_2) | instskip(NEXT) | instid1(VALU_DEP_1)
	v_and_or_b32 v1, 0x8000, v1, v47
	v_lshl_or_b32 v45, v1, 16, v45
.LBB278_757:                            ;   in Loop: Header=BB278_545 Depth=1
	s_wait_alu 0xfffe
	s_or_b32 exec_lo, exec_lo, s14
.LBB278_758:                            ;   in Loop: Header=BB278_545 Depth=1
	s_wait_alu 0xfffe
	s_or_b32 exec_lo, exec_lo, s13
.LBB278_759:                            ;   in Loop: Header=BB278_545 Depth=1
	s_wait_alu 0xfffe
	s_or_b32 exec_lo, exec_lo, s12
	v_lshrrev_b32_e32 v1, 16, v9
	v_mov_b32_e32 v47, 0
	s_mov_b32 s12, exec_lo
	s_delay_alu instid0(VALU_DEP_2) | instskip(NEXT) | instid1(VALU_DEP_1)
	v_dual_mov_b32 v48, 0 :: v_dual_and_b32 v49, 0xff, v1
	v_cmpx_ne_u16_e32 0, v49
	s_cbranch_execz .LBB278_767
; %bb.760:                              ;   in Loop: Header=BB278_545 Depth=1
	v_mov_b32_e32 v48, 0x8000
	s_mov_b32 s13, exec_lo
	v_cmpx_ne_u16_e32 0x80, v49
	s_cbranch_execz .LBB278_766
; %bb.761:                              ;   in Loop: Header=BB278_545 Depth=1
	v_bfe_u32 v50, v9, 16, 7
	v_mov_b32_e32 v48, 0x7c01
	s_mov_b32 s14, exec_lo
	s_delay_alu instid0(VALU_DEP_2)
	v_cmpx_ne_u32_e32 0x7f, v50
	s_cbranch_execz .LBB278_765
; %bb.762:                              ;   in Loop: Header=BB278_545 Depth=1
	v_and_b32_e32 v48, 7, v1
	v_lshrrev_b32_e32 v49, 3, v50
	s_mov_b32 s15, exec_lo
	v_cmpx_gt_u32_e32 8, v50
; %bb.763:                              ;   in Loop: Header=BB278_545 Depth=1
	s_delay_alu instid0(VALU_DEP_3) | instskip(NEXT) | instid1(VALU_DEP_1)
	v_clz_i32_u32_e32 v48, v48
	v_min_u32_e32 v50, 32, v48
	s_delay_alu instid0(VALU_DEP_1) | instskip(NEXT) | instid1(VALU_DEP_1)
	v_subrev_nc_u32_e32 v48, 28, v50
	v_lshlrev_b64_e32 v[48:49], v48, v[1:2]
	v_sub_nc_u32_e32 v49, 29, v50
	s_delay_alu instid0(VALU_DEP_2)
	v_and_b32_e32 v48, 7, v48
; %bb.764:                              ;   in Loop: Header=BB278_545 Depth=1
	s_wait_alu 0xfffe
	s_or_b32 exec_lo, exec_lo, s15
	v_lshlrev_b32_e32 v1, 8, v1
	v_lshl_add_u32 v49, v49, 10, 0x2000
	v_lshlrev_b32_e32 v48, 7, v48
	s_delay_alu instid0(VALU_DEP_3) | instskip(NEXT) | instid1(VALU_DEP_3)
	v_and_b32_e32 v1, 0x8000, v1
	v_and_b32_e32 v49, 0xfc00, v49
	s_delay_alu instid0(VALU_DEP_1)
	v_or3_b32 v48, v1, v49, v48
.LBB278_765:                            ;   in Loop: Header=BB278_545 Depth=1
	s_wait_alu 0xfffe
	s_or_b32 exec_lo, exec_lo, s14
.LBB278_766:                            ;   in Loop: Header=BB278_545 Depth=1
	s_wait_alu 0xfffe
	s_or_b32 exec_lo, exec_lo, s13
.LBB278_767:                            ;   in Loop: Header=BB278_545 Depth=1
	s_wait_alu 0xfffe
	s_or_b32 exec_lo, exec_lo, s12
	s_delay_alu instid0(SALU_CYCLE_1)
	s_mov_b32 s12, exec_lo
	v_cmpx_lt_u32_e32 0xffffff, v9
	s_cbranch_execz .LBB278_775
; %bb.768:                              ;   in Loop: Header=BB278_545 Depth=1
	v_lshrrev_b32_e32 v1, 24, v9
	v_bfrev_b32_e32 v47, 1
	s_mov_b32 s13, exec_lo
	s_delay_alu instid0(VALU_DEP_2)
	v_cmpx_ne_u32_e32 0x80, v1
	s_cbranch_execz .LBB278_774
; %bb.769:                              ;   in Loop: Header=BB278_545 Depth=1
	v_and_b32_e32 v50, 0x7f, v1
	v_mov_b32_e32 v47, 0x7c010000
	s_mov_b32 s14, exec_lo
	s_delay_alu instid0(VALU_DEP_2)
	v_cmpx_ne_u32_e32 0x7f, v50
	s_cbranch_execz .LBB278_773
; %bb.770:                              ;   in Loop: Header=BB278_545 Depth=1
	v_and_b32_e32 v47, 7, v1
	v_lshrrev_b32_e32 v49, 3, v50
	s_mov_b32 s15, exec_lo
	v_cmpx_gt_u32_e32 8, v50
; %bb.771:                              ;   in Loop: Header=BB278_545 Depth=1
	s_delay_alu instid0(VALU_DEP_3) | instskip(NEXT) | instid1(VALU_DEP_1)
	v_clz_i32_u32_e32 v47, v47
	v_min_u32_e32 v47, 32, v47
	s_delay_alu instid0(VALU_DEP_1) | instskip(NEXT) | instid1(VALU_DEP_1)
	v_subrev_nc_u32_e32 v49, 28, v47
	v_lshlrev_b64_e32 v[50:51], v49, v[1:2]
	v_sub_nc_u32_e32 v49, 29, v47
	s_delay_alu instid0(VALU_DEP_2)
	v_and_b32_e32 v47, 7, v50
; %bb.772:                              ;   in Loop: Header=BB278_545 Depth=1
	s_wait_alu 0xfffe
	s_or_b32 exec_lo, exec_lo, s15
	v_lshlrev_b32_e32 v1, 8, v1
	v_lshl_add_u32 v49, v49, 10, 0x2000
	v_lshlrev_b32_e32 v47, 23, v47
	s_delay_alu instid0(VALU_DEP_2) | instskip(NEXT) | instid1(VALU_DEP_1)
	v_and_or_b32 v1, 0x8000, v1, v49
	v_lshl_or_b32 v47, v1, 16, v47
.LBB278_773:                            ;   in Loop: Header=BB278_545 Depth=1
	s_wait_alu 0xfffe
	s_or_b32 exec_lo, exec_lo, s14
.LBB278_774:                            ;   in Loop: Header=BB278_545 Depth=1
	s_wait_alu 0xfffe
	s_or_b32 exec_lo, exec_lo, s13
.LBB278_775:                            ;   in Loop: Header=BB278_545 Depth=1
	s_wait_alu 0xfffe
	s_or_b32 exec_lo, exec_lo, s12
	v_dual_mov_b32 v50, 0 :: v_dual_and_b32 v51, 0xff, v10
	v_mov_b32_e32 v1, v10
	v_mov_b32_e32 v49, 0
	s_mov_b32 s12, exec_lo
	s_delay_alu instid0(VALU_DEP_3)
	v_cmpx_ne_u16_e32 0, v51
	s_cbranch_execz .LBB278_783
; %bb.776:                              ;   in Loop: Header=BB278_545 Depth=1
	v_mov_b32_e32 v50, 0x8000
	s_mov_b32 s13, exec_lo
	v_cmpx_ne_u16_e32 0x80, v51
	s_cbranch_execz .LBB278_782
; %bb.777:                              ;   in Loop: Header=BB278_545 Depth=1
	v_and_b32_e32 v52, 0x7f, v10
	v_mov_b32_e32 v50, 0x7c01
	s_mov_b32 s14, exec_lo
	s_delay_alu instid0(VALU_DEP_2)
	v_cmpx_ne_u32_e32 0x7f, v52
	s_cbranch_execz .LBB278_781
; %bb.778:                              ;   in Loop: Header=BB278_545 Depth=1
	v_and_b32_e32 v50, 7, v10
	v_lshrrev_b32_e32 v51, 3, v52
	s_mov_b32 s15, exec_lo
	v_cmpx_gt_u32_e32 8, v52
; %bb.779:                              ;   in Loop: Header=BB278_545 Depth=1
	s_delay_alu instid0(VALU_DEP_3) | instskip(NEXT) | instid1(VALU_DEP_1)
	v_clz_i32_u32_e32 v50, v50
	v_min_u32_e32 v52, 32, v50
	s_delay_alu instid0(VALU_DEP_1) | instskip(NEXT) | instid1(VALU_DEP_1)
	v_subrev_nc_u32_e32 v50, 28, v52
	v_lshlrev_b64_e32 v[50:51], v50, v[1:2]
	v_sub_nc_u32_e32 v51, 29, v52
	s_delay_alu instid0(VALU_DEP_2)
	v_and_b32_e32 v50, 7, v50
; %bb.780:                              ;   in Loop: Header=BB278_545 Depth=1
	s_wait_alu 0xfffe
	s_or_b32 exec_lo, exec_lo, s15
	v_lshlrev_b32_e32 v52, 8, v10
	v_lshl_add_u32 v51, v51, 10, 0x2000
	v_lshlrev_b32_e32 v50, 7, v50
	s_delay_alu instid0(VALU_DEP_3) | instskip(NEXT) | instid1(VALU_DEP_3)
	v_and_b32_e32 v52, 0x8000, v52
	v_and_b32_e32 v51, 0xfc00, v51
	s_delay_alu instid0(VALU_DEP_1)
	v_or3_b32 v50, v52, v51, v50
.LBB278_781:                            ;   in Loop: Header=BB278_545 Depth=1
	s_wait_alu 0xfffe
	s_or_b32 exec_lo, exec_lo, s14
.LBB278_782:                            ;   in Loop: Header=BB278_545 Depth=1
	s_wait_alu 0xfffe
	s_or_b32 exec_lo, exec_lo, s13
.LBB278_783:                            ;   in Loop: Header=BB278_545 Depth=1
	s_wait_alu 0xfffe
	s_or_b32 exec_lo, exec_lo, s12
	v_lshrrev_b16 v1, 8, v1
	v_mov_b32_e32 v51, 0
	s_mov_b32 s12, exec_lo
	s_delay_alu instid0(VALU_DEP_2)
	v_cmpx_ne_u16_e32 0, v1
	s_cbranch_execz .LBB278_791
; %bb.784:                              ;   in Loop: Header=BB278_545 Depth=1
	v_bfrev_b32_e32 v51, 1
	s_mov_b32 s13, exec_lo
	v_cmpx_ne_u16_e32 0x80, v1
	s_cbranch_execz .LBB278_790
; %bb.785:                              ;   in Loop: Header=BB278_545 Depth=1
	v_and_b32_e32 v52, 0xffff, v1
	v_mov_b32_e32 v51, 0x7c010000
	s_mov_b32 s14, exec_lo
	s_delay_alu instid0(VALU_DEP_2) | instskip(NEXT) | instid1(VALU_DEP_1)
	v_and_b32_e32 v54, 0x7f, v52
	v_cmpx_ne_u32_e32 0x7f, v54
	s_cbranch_execz .LBB278_789
; %bb.786:                              ;   in Loop: Header=BB278_545 Depth=1
	v_and_b32_e32 v51, 7, v52
	v_lshrrev_b32_e32 v53, 3, v54
	s_mov_b32 s15, exec_lo
	v_cmpx_gt_u32_e32 8, v54
; %bb.787:                              ;   in Loop: Header=BB278_545 Depth=1
	s_delay_alu instid0(VALU_DEP_3) | instskip(NEXT) | instid1(VALU_DEP_1)
	v_clz_i32_u32_e32 v51, v51
	v_min_u32_e32 v51, 32, v51
	s_delay_alu instid0(VALU_DEP_1) | instskip(NEXT) | instid1(VALU_DEP_1)
	v_subrev_nc_u32_e32 v53, 28, v51
	v_lshlrev_b64_e32 v[54:55], v53, v[1:2]
	v_sub_nc_u32_e32 v53, 29, v51
	s_delay_alu instid0(VALU_DEP_2)
	v_and_b32_e32 v51, 7, v54
; %bb.788:                              ;   in Loop: Header=BB278_545 Depth=1
	s_wait_alu 0xfffe
	s_or_b32 exec_lo, exec_lo, s15
	v_lshlrev_b32_e32 v1, 8, v52
	v_lshl_add_u32 v52, v53, 10, 0x2000
	v_lshlrev_b32_e32 v51, 23, v51
	s_delay_alu instid0(VALU_DEP_2) | instskip(NEXT) | instid1(VALU_DEP_1)
	v_and_or_b32 v1, 0x8000, v1, v52
	v_lshl_or_b32 v51, v1, 16, v51
.LBB278_789:                            ;   in Loop: Header=BB278_545 Depth=1
	s_wait_alu 0xfffe
	s_or_b32 exec_lo, exec_lo, s14
.LBB278_790:                            ;   in Loop: Header=BB278_545 Depth=1
	s_wait_alu 0xfffe
	s_or_b32 exec_lo, exec_lo, s13
.LBB278_791:                            ;   in Loop: Header=BB278_545 Depth=1
	s_wait_alu 0xfffe
	s_or_b32 exec_lo, exec_lo, s12
	v_lshrrev_b32_e32 v1, 16, v10
	s_mov_b32 s12, exec_lo
	s_delay_alu instid0(VALU_DEP_1) | instskip(NEXT) | instid1(VALU_DEP_1)
	v_and_b32_e32 v52, 0xff, v1
	v_cmpx_ne_u16_e32 0, v52
	s_cbranch_execz .LBB278_799
; %bb.792:                              ;   in Loop: Header=BB278_545 Depth=1
	v_mov_b32_e32 v49, 0x8000
	s_mov_b32 s13, exec_lo
	v_cmpx_ne_u16_e32 0x80, v52
	s_cbranch_execz .LBB278_798
; %bb.793:                              ;   in Loop: Header=BB278_545 Depth=1
	v_bfe_u32 v53, v10, 16, 7
	v_mov_b32_e32 v49, 0x7c01
	s_mov_b32 s14, exec_lo
	s_delay_alu instid0(VALU_DEP_2)
	v_cmpx_ne_u32_e32 0x7f, v53
	s_cbranch_execz .LBB278_797
; %bb.794:                              ;   in Loop: Header=BB278_545 Depth=1
	v_and_b32_e32 v49, 7, v1
	v_lshrrev_b32_e32 v52, 3, v53
	s_mov_b32 s15, exec_lo
	v_cmpx_gt_u32_e32 8, v53
; %bb.795:                              ;   in Loop: Header=BB278_545 Depth=1
	s_delay_alu instid0(VALU_DEP_3) | instskip(NEXT) | instid1(VALU_DEP_1)
	v_clz_i32_u32_e32 v49, v49
	v_min_u32_e32 v49, 32, v49
	s_delay_alu instid0(VALU_DEP_1) | instskip(NEXT) | instid1(VALU_DEP_1)
	v_subrev_nc_u32_e32 v52, 28, v49
	v_lshlrev_b64_e32 v[53:54], v52, v[1:2]
	v_sub_nc_u32_e32 v52, 29, v49
	s_delay_alu instid0(VALU_DEP_2)
	v_and_b32_e32 v49, 7, v53
; %bb.796:                              ;   in Loop: Header=BB278_545 Depth=1
	s_wait_alu 0xfffe
	s_or_b32 exec_lo, exec_lo, s15
	v_lshlrev_b32_e32 v1, 8, v1
	v_lshl_add_u32 v52, v52, 10, 0x2000
	v_lshlrev_b32_e32 v49, 7, v49
	s_delay_alu instid0(VALU_DEP_3) | instskip(NEXT) | instid1(VALU_DEP_3)
	v_and_b32_e32 v1, 0x8000, v1
	v_and_b32_e32 v52, 0xfc00, v52
	s_delay_alu instid0(VALU_DEP_1)
	v_or3_b32 v49, v1, v52, v49
.LBB278_797:                            ;   in Loop: Header=BB278_545 Depth=1
	s_wait_alu 0xfffe
	s_or_b32 exec_lo, exec_lo, s14
.LBB278_798:                            ;   in Loop: Header=BB278_545 Depth=1
	s_wait_alu 0xfffe
	s_or_b32 exec_lo, exec_lo, s13
.LBB278_799:                            ;   in Loop: Header=BB278_545 Depth=1
	s_wait_alu 0xfffe
	s_or_b32 exec_lo, exec_lo, s12
	v_cmp_lt_u64_e64 s0, s[8:9], v[9:10]
	v_mov_b32_e32 v9, 0
	s_and_saveexec_b32 s12, s0
	s_cbranch_execz .LBB278_807
; %bb.800:                              ;   in Loop: Header=BB278_545 Depth=1
	v_lshrrev_b32_e32 v1, 24, v10
	v_bfrev_b32_e32 v9, 1
	s_mov_b32 s13, exec_lo
	s_delay_alu instid0(VALU_DEP_2)
	v_cmpx_ne_u32_e32 0x80, v1
	s_cbranch_execz .LBB278_806
; %bb.801:                              ;   in Loop: Header=BB278_545 Depth=1
	v_and_b32_e32 v52, 0x7f, v1
	v_mov_b32_e32 v9, 0x7c010000
	s_mov_b32 s14, exec_lo
	s_delay_alu instid0(VALU_DEP_2)
	v_cmpx_ne_u32_e32 0x7f, v52
	s_cbranch_execz .LBB278_805
; %bb.802:                              ;   in Loop: Header=BB278_545 Depth=1
	v_and_b32_e32 v9, 7, v1
	v_lshrrev_b32_e32 v10, 3, v52
	s_mov_b32 s15, exec_lo
	v_cmpx_gt_u32_e32 8, v52
; %bb.803:                              ;   in Loop: Header=BB278_545 Depth=1
	s_delay_alu instid0(VALU_DEP_3) | instskip(NEXT) | instid1(VALU_DEP_1)
	v_clz_i32_u32_e32 v9, v9
	v_min_u32_e32 v52, 32, v9
	s_delay_alu instid0(VALU_DEP_1) | instskip(NEXT) | instid1(VALU_DEP_1)
	v_subrev_nc_u32_e32 v9, 28, v52
	v_lshlrev_b64_e32 v[9:10], v9, v[1:2]
	v_sub_nc_u32_e32 v10, 29, v52
	s_delay_alu instid0(VALU_DEP_2)
	v_and_b32_e32 v9, 7, v9
; %bb.804:                              ;   in Loop: Header=BB278_545 Depth=1
	s_wait_alu 0xfffe
	s_or_b32 exec_lo, exec_lo, s15
	v_lshlrev_b32_e32 v1, 8, v1
	v_lshl_add_u32 v10, v10, 10, 0x2000
	v_lshlrev_b32_e32 v9, 23, v9
	s_delay_alu instid0(VALU_DEP_2) | instskip(NEXT) | instid1(VALU_DEP_1)
	v_and_or_b32 v1, 0x8000, v1, v10
	v_lshl_or_b32 v9, v1, 16, v9
.LBB278_805:                            ;   in Loop: Header=BB278_545 Depth=1
	s_wait_alu 0xfffe
	s_or_b32 exec_lo, exec_lo, s14
.LBB278_806:                            ;   in Loop: Header=BB278_545 Depth=1
	s_wait_alu 0xfffe
	s_or_b32 exec_lo, exec_lo, s13
.LBB278_807:                            ;   in Loop: Header=BB278_545 Depth=1
	s_wait_alu 0xfffe
	s_or_b32 exec_lo, exec_lo, s12
	v_or_b32_e32 v1, v47, v48
	s_wait_loadcnt 0x0
	v_fma_mixlo_f16 v10, v44, v47, 0 op_sel:[0,1,0] op_sel_hi:[0,1,0]
	v_or_b32_e32 v47, v45, v46
	v_fma_mixlo_f16 v45, v44, v45, 0 op_sel:[0,1,0] op_sel_hi:[0,1,0]
	v_or_b32_e32 v48, v51, v50
	v_or_b32_e32 v49, v9, v49
	v_fma_mixlo_f16 v50, v44, v1, 0 op_sel_hi:[0,1,0]
	v_fma_mixlo_f16 v9, v44, v9, 0 op_sel:[0,1,0] op_sel_hi:[0,1,0]
	v_lshlrev_b32_e32 v46, 16, v45
	v_fma_mixlo_f16 v45, v44, v47, 0 op_sel_hi:[0,1,0]
	v_fma_mixlo_f16 v47, v44, v51, 0 op_sel:[0,1,0] op_sel_hi:[0,1,0]
	v_fma_mixlo_f16 v48, v44, v48, 0 op_sel_hi:[0,1,0]
	v_fma_mixlo_f16 v49, v44, v49, 0 op_sel_hi:[0,1,0]
	v_lshlrev_b32_e32 v1, 16, v10
	v_and_b32_e32 v10, 0xffff, v50
	v_and_b32_e32 v52, 0xffff, v45
	v_lshlrev_b32_e32 v44, 16, v47
	v_and_b32_e32 v48, 0xffff, v48
	v_lshlrev_b32_e32 v9, 16, v9
	v_and_b32_e32 v45, 0xffff, v49
	v_or_b32_e32 v47, v1, v10
	v_or_b32_e32 v51, v46, v52
	;; [unrolled: 1-line block ×3, first 2 shown]
	s_delay_alu instid0(VALU_DEP_4)
	v_or_b32_e32 v49, v9, v45
	s_and_saveexec_b32 s12, vcc_lo
	s_cbranch_execz .LBB278_809
; %bb.808:                              ;   in Loop: Header=BB278_545 Depth=1
	v_cmp_gt_i32_e64 s0, s27, v15
	s_wait_alu 0xf1ff
	s_delay_alu instid0(VALU_DEP_1) | instskip(SKIP_2) | instid1(VALU_DEP_1)
	v_cndmask_b32_e64 v47, 0, v52, s0
	v_cmp_gt_i32_e64 s0, s27, v33
	s_wait_alu 0xf1ff
	v_cndmask_b32_e64 v46, 0, v46, s0
	v_cmp_gt_i32_e64 s0, s27, v32
	s_delay_alu instid0(VALU_DEP_2) | instskip(SKIP_1) | instid1(VALU_DEP_2)
	v_or_b32_e32 v51, v46, v47
	s_wait_alu 0xf1ff
	v_cndmask_b32_e64 v10, 0, v10, s0
	v_cmp_gt_i32_e64 s0, s27, v31
	s_wait_alu 0xf1ff
	s_delay_alu instid0(VALU_DEP_1) | instskip(SKIP_1) | instid1(VALU_DEP_2)
	v_cndmask_b32_e64 v1, 0, v1, s0
	v_cmp_gt_i32_e64 s0, s27, v30
	v_or_b32_e32 v47, v1, v10
	s_wait_alu 0xf1ff
	s_delay_alu instid0(VALU_DEP_2) | instskip(SKIP_2) | instid1(VALU_DEP_1)
	v_cndmask_b32_e64 v48, 0, v48, s0
	v_cmp_gt_i32_e64 s0, s27, v29
	s_wait_alu 0xf1ff
	v_cndmask_b32_e64 v44, 0, v44, s0
	v_cmp_gt_i32_e64 s0, s27, v28
	s_delay_alu instid0(VALU_DEP_2) | instskip(SKIP_1) | instid1(VALU_DEP_2)
	v_or_b32_e32 v50, v44, v48
	s_wait_alu 0xf1ff
	v_cndmask_b32_e64 v45, 0, v45, s0
	v_cmp_gt_i32_e64 s0, s27, v26
	s_wait_alu 0xf1ff
	s_delay_alu instid0(VALU_DEP_1) | instskip(NEXT) | instid1(VALU_DEP_1)
	v_cndmask_b32_e64 v9, 0, v9, s0
	v_or_b32_e32 v49, v9, v45
.LBB278_809:                            ;   in Loop: Header=BB278_545 Depth=1
	s_wait_alu 0xfffe
	s_or_b32 exec_lo, exec_lo, s12
	;;#ASMSTART
	v_pk_mul_f16 v1, v38, v51;

	;;#ASMEND
	;;#ASMSTART
	v_pk_mul_f16 v9, v36, v47;

	;;#ASMEND
	;; [unrolled: 4-line block ×4, first 2 shown]
	;;#ASMSTART
	v_pk_add_f16 v1, v1, v9;

	;;#ASMEND
	;;#ASMSTART
	v_pk_add_f16 v1, v1, v10;

	;;#ASMEND
	;; [unrolled: 4-line block ×3, first 2 shown]
	v_dual_mov_b32 v48, 0 :: v_dual_and_b32 v9, 0xffff, v1
	v_lshrrev_b32_e32 v1, 16, v1
	;;#ASMSTART
	v_cvt_f32_f16 v44, v9;
	;;#ASMEND
	;;#ASMSTART
	v_cvt_f32_f16 v45, v1;
	;;#ASMEND
	global_load_b64 v[9:10], v[7:8], off offset:1024
	v_mov_b32_e32 v47, 0
	s_mov_b32 s12, exec_lo
	global_load_b32 v46, v47, s[10:11]
	s_wait_loadcnt 0x1
	v_and_b32_e32 v1, 0xff, v9
	s_delay_alu instid0(VALU_DEP_1)
	v_cmpx_ne_u16_e32 0, v1
	s_cbranch_execz .LBB278_817
; %bb.810:                              ;   in Loop: Header=BB278_545 Depth=1
	v_mov_b32_e32 v48, 0x8000
	s_mov_b32 s13, exec_lo
	v_cmpx_ne_u16_e32 0x80, v1
	s_cbranch_execz .LBB278_816
; %bb.811:                              ;   in Loop: Header=BB278_545 Depth=1
	v_and_b32_e32 v49, 0x7f, v9
	v_mov_b32_e32 v48, 0x7c01
	s_mov_b32 s14, exec_lo
	s_delay_alu instid0(VALU_DEP_2)
	v_cmpx_ne_u32_e32 0x7f, v49
	s_cbranch_execz .LBB278_815
; %bb.812:                              ;   in Loop: Header=BB278_545 Depth=1
	v_and_b32_e32 v1, 7, v9
	v_lshrrev_b32_e32 v48, 3, v49
	s_mov_b32 s15, exec_lo
	v_cmpx_gt_u32_e32 8, v49
; %bb.813:                              ;   in Loop: Header=BB278_545 Depth=1
	s_delay_alu instid0(VALU_DEP_3) | instskip(NEXT) | instid1(VALU_DEP_1)
	v_clz_i32_u32_e32 v1, v1
	v_min_u32_e32 v1, 32, v1
	s_delay_alu instid0(VALU_DEP_1) | instskip(NEXT) | instid1(VALU_DEP_1)
	v_subrev_nc_u32_e32 v48, 28, v1
	v_lshlrev_b64_e32 v[49:50], v48, v[9:10]
	v_sub_nc_u32_e32 v48, 29, v1
	s_delay_alu instid0(VALU_DEP_2)
	v_and_b32_e32 v1, 7, v49
; %bb.814:                              ;   in Loop: Header=BB278_545 Depth=1
	s_wait_alu 0xfffe
	s_or_b32 exec_lo, exec_lo, s15
	v_lshlrev_b32_e32 v49, 8, v9
	v_lshl_add_u32 v48, v48, 10, 0x2000
	v_lshlrev_b32_e32 v1, 7, v1
	s_delay_alu instid0(VALU_DEP_3) | instskip(NEXT) | instid1(VALU_DEP_3)
	v_and_b32_e32 v49, 0x8000, v49
	v_and_b32_e32 v48, 0xfc00, v48
	s_delay_alu instid0(VALU_DEP_1)
	v_or3_b32 v48, v49, v48, v1
.LBB278_815:                            ;   in Loop: Header=BB278_545 Depth=1
	s_wait_alu 0xfffe
	s_or_b32 exec_lo, exec_lo, s14
.LBB278_816:                            ;   in Loop: Header=BB278_545 Depth=1
	s_wait_alu 0xfffe
	s_or_b32 exec_lo, exec_lo, s13
.LBB278_817:                            ;   in Loop: Header=BB278_545 Depth=1
	s_wait_alu 0xfffe
	s_or_b32 exec_lo, exec_lo, s12
	v_lshrrev_b16 v1, 8, v9
	s_mov_b32 s12, exec_lo
	s_delay_alu instid0(VALU_DEP_1)
	v_cmpx_ne_u16_e32 0, v1
	s_cbranch_execz .LBB278_825
; %bb.818:                              ;   in Loop: Header=BB278_545 Depth=1
	v_bfrev_b32_e32 v47, 1
	s_mov_b32 s13, exec_lo
	v_cmpx_ne_u16_e32 0x80, v1
	s_cbranch_execz .LBB278_824
; %bb.819:                              ;   in Loop: Header=BB278_545 Depth=1
	v_and_b32_e32 v49, 0xffff, v1
	v_mov_b32_e32 v47, 0x7c010000
	s_mov_b32 s14, exec_lo
	s_delay_alu instid0(VALU_DEP_2) | instskip(NEXT) | instid1(VALU_DEP_1)
	v_and_b32_e32 v51, 0x7f, v49
	v_cmpx_ne_u32_e32 0x7f, v51
	s_cbranch_execz .LBB278_823
; %bb.820:                              ;   in Loop: Header=BB278_545 Depth=1
	v_and_b32_e32 v47, 7, v49
	v_lshrrev_b32_e32 v50, 3, v51
	s_mov_b32 s15, exec_lo
	v_cmpx_gt_u32_e32 8, v51
; %bb.821:                              ;   in Loop: Header=BB278_545 Depth=1
	s_delay_alu instid0(VALU_DEP_3) | instskip(NEXT) | instid1(VALU_DEP_1)
	v_clz_i32_u32_e32 v47, v47
	v_min_u32_e32 v47, 32, v47
	s_delay_alu instid0(VALU_DEP_1) | instskip(NEXT) | instid1(VALU_DEP_1)
	v_subrev_nc_u32_e32 v50, 28, v47
	v_lshlrev_b64_e32 v[51:52], v50, v[1:2]
	v_sub_nc_u32_e32 v50, 29, v47
	s_delay_alu instid0(VALU_DEP_2)
	v_and_b32_e32 v47, 7, v51
; %bb.822:                              ;   in Loop: Header=BB278_545 Depth=1
	s_wait_alu 0xfffe
	s_or_b32 exec_lo, exec_lo, s15
	v_lshlrev_b32_e32 v1, 8, v49
	v_lshl_add_u32 v49, v50, 10, 0x2000
	v_lshlrev_b32_e32 v47, 23, v47
	s_delay_alu instid0(VALU_DEP_2) | instskip(NEXT) | instid1(VALU_DEP_1)
	v_and_or_b32 v1, 0x8000, v1, v49
	v_lshl_or_b32 v47, v1, 16, v47
.LBB278_823:                            ;   in Loop: Header=BB278_545 Depth=1
	s_wait_alu 0xfffe
	s_or_b32 exec_lo, exec_lo, s14
.LBB278_824:                            ;   in Loop: Header=BB278_545 Depth=1
	s_wait_alu 0xfffe
	s_or_b32 exec_lo, exec_lo, s13
.LBB278_825:                            ;   in Loop: Header=BB278_545 Depth=1
	s_wait_alu 0xfffe
	s_or_b32 exec_lo, exec_lo, s12
	v_lshrrev_b32_e32 v1, 16, v9
	v_mov_b32_e32 v49, 0
	s_mov_b32 s12, exec_lo
	s_delay_alu instid0(VALU_DEP_2) | instskip(NEXT) | instid1(VALU_DEP_1)
	v_dual_mov_b32 v50, 0 :: v_dual_and_b32 v51, 0xff, v1
	v_cmpx_ne_u16_e32 0, v51
	s_cbranch_execz .LBB278_833
; %bb.826:                              ;   in Loop: Header=BB278_545 Depth=1
	v_mov_b32_e32 v50, 0x8000
	s_mov_b32 s13, exec_lo
	v_cmpx_ne_u16_e32 0x80, v51
	s_cbranch_execz .LBB278_832
; %bb.827:                              ;   in Loop: Header=BB278_545 Depth=1
	v_bfe_u32 v52, v9, 16, 7
	v_mov_b32_e32 v50, 0x7c01
	s_mov_b32 s14, exec_lo
	s_delay_alu instid0(VALU_DEP_2)
	v_cmpx_ne_u32_e32 0x7f, v52
	s_cbranch_execz .LBB278_831
; %bb.828:                              ;   in Loop: Header=BB278_545 Depth=1
	v_and_b32_e32 v50, 7, v1
	v_lshrrev_b32_e32 v51, 3, v52
	s_mov_b32 s15, exec_lo
	v_cmpx_gt_u32_e32 8, v52
; %bb.829:                              ;   in Loop: Header=BB278_545 Depth=1
	s_delay_alu instid0(VALU_DEP_3) | instskip(NEXT) | instid1(VALU_DEP_1)
	v_clz_i32_u32_e32 v50, v50
	v_min_u32_e32 v52, 32, v50
	s_delay_alu instid0(VALU_DEP_1) | instskip(NEXT) | instid1(VALU_DEP_1)
	v_subrev_nc_u32_e32 v50, 28, v52
	v_lshlrev_b64_e32 v[50:51], v50, v[1:2]
	v_sub_nc_u32_e32 v51, 29, v52
	s_delay_alu instid0(VALU_DEP_2)
	v_and_b32_e32 v50, 7, v50
; %bb.830:                              ;   in Loop: Header=BB278_545 Depth=1
	s_wait_alu 0xfffe
	s_or_b32 exec_lo, exec_lo, s15
	v_lshlrev_b32_e32 v1, 8, v1
	v_lshl_add_u32 v51, v51, 10, 0x2000
	v_lshlrev_b32_e32 v50, 7, v50
	s_delay_alu instid0(VALU_DEP_3) | instskip(NEXT) | instid1(VALU_DEP_3)
	v_and_b32_e32 v1, 0x8000, v1
	v_and_b32_e32 v51, 0xfc00, v51
	s_delay_alu instid0(VALU_DEP_1)
	v_or3_b32 v50, v1, v51, v50
.LBB278_831:                            ;   in Loop: Header=BB278_545 Depth=1
	s_wait_alu 0xfffe
	s_or_b32 exec_lo, exec_lo, s14
.LBB278_832:                            ;   in Loop: Header=BB278_545 Depth=1
	s_wait_alu 0xfffe
	s_or_b32 exec_lo, exec_lo, s13
.LBB278_833:                            ;   in Loop: Header=BB278_545 Depth=1
	s_wait_alu 0xfffe
	s_or_b32 exec_lo, exec_lo, s12
	s_delay_alu instid0(SALU_CYCLE_1)
	s_mov_b32 s12, exec_lo
	v_cmpx_lt_u32_e32 0xffffff, v9
	s_cbranch_execz .LBB278_841
; %bb.834:                              ;   in Loop: Header=BB278_545 Depth=1
	v_lshrrev_b32_e32 v1, 24, v9
	v_bfrev_b32_e32 v49, 1
	s_mov_b32 s13, exec_lo
	s_delay_alu instid0(VALU_DEP_2)
	v_cmpx_ne_u32_e32 0x80, v1
	s_cbranch_execz .LBB278_840
; %bb.835:                              ;   in Loop: Header=BB278_545 Depth=1
	v_and_b32_e32 v52, 0x7f, v1
	v_mov_b32_e32 v49, 0x7c010000
	s_mov_b32 s14, exec_lo
	s_delay_alu instid0(VALU_DEP_2)
	v_cmpx_ne_u32_e32 0x7f, v52
	s_cbranch_execz .LBB278_839
; %bb.836:                              ;   in Loop: Header=BB278_545 Depth=1
	v_and_b32_e32 v49, 7, v1
	v_lshrrev_b32_e32 v51, 3, v52
	s_mov_b32 s15, exec_lo
	v_cmpx_gt_u32_e32 8, v52
; %bb.837:                              ;   in Loop: Header=BB278_545 Depth=1
	s_delay_alu instid0(VALU_DEP_3) | instskip(NEXT) | instid1(VALU_DEP_1)
	v_clz_i32_u32_e32 v49, v49
	v_min_u32_e32 v49, 32, v49
	s_delay_alu instid0(VALU_DEP_1) | instskip(NEXT) | instid1(VALU_DEP_1)
	v_subrev_nc_u32_e32 v51, 28, v49
	v_lshlrev_b64_e32 v[52:53], v51, v[1:2]
	v_sub_nc_u32_e32 v51, 29, v49
	s_delay_alu instid0(VALU_DEP_2)
	v_and_b32_e32 v49, 7, v52
; %bb.838:                              ;   in Loop: Header=BB278_545 Depth=1
	s_wait_alu 0xfffe
	s_or_b32 exec_lo, exec_lo, s15
	v_lshlrev_b32_e32 v1, 8, v1
	v_lshl_add_u32 v51, v51, 10, 0x2000
	v_lshlrev_b32_e32 v49, 23, v49
	s_delay_alu instid0(VALU_DEP_2) | instskip(NEXT) | instid1(VALU_DEP_1)
	v_and_or_b32 v1, 0x8000, v1, v51
	v_lshl_or_b32 v49, v1, 16, v49
.LBB278_839:                            ;   in Loop: Header=BB278_545 Depth=1
	s_wait_alu 0xfffe
	s_or_b32 exec_lo, exec_lo, s14
.LBB278_840:                            ;   in Loop: Header=BB278_545 Depth=1
	s_wait_alu 0xfffe
	s_or_b32 exec_lo, exec_lo, s13
.LBB278_841:                            ;   in Loop: Header=BB278_545 Depth=1
	s_wait_alu 0xfffe
	s_or_b32 exec_lo, exec_lo, s12
	v_dual_mov_b32 v52, 0 :: v_dual_and_b32 v53, 0xff, v10
	v_mov_b32_e32 v1, v10
	v_mov_b32_e32 v51, 0
	s_mov_b32 s12, exec_lo
	s_delay_alu instid0(VALU_DEP_3)
	v_cmpx_ne_u16_e32 0, v53
	s_cbranch_execz .LBB278_849
; %bb.842:                              ;   in Loop: Header=BB278_545 Depth=1
	v_mov_b32_e32 v52, 0x8000
	s_mov_b32 s13, exec_lo
	v_cmpx_ne_u16_e32 0x80, v53
	s_cbranch_execz .LBB278_848
; %bb.843:                              ;   in Loop: Header=BB278_545 Depth=1
	v_and_b32_e32 v54, 0x7f, v10
	v_mov_b32_e32 v52, 0x7c01
	s_mov_b32 s14, exec_lo
	s_delay_alu instid0(VALU_DEP_2)
	v_cmpx_ne_u32_e32 0x7f, v54
	s_cbranch_execz .LBB278_847
; %bb.844:                              ;   in Loop: Header=BB278_545 Depth=1
	v_and_b32_e32 v52, 7, v10
	v_lshrrev_b32_e32 v53, 3, v54
	s_mov_b32 s15, exec_lo
	v_cmpx_gt_u32_e32 8, v54
; %bb.845:                              ;   in Loop: Header=BB278_545 Depth=1
	s_delay_alu instid0(VALU_DEP_3) | instskip(NEXT) | instid1(VALU_DEP_1)
	v_clz_i32_u32_e32 v52, v52
	v_min_u32_e32 v54, 32, v52
	s_delay_alu instid0(VALU_DEP_1) | instskip(NEXT) | instid1(VALU_DEP_1)
	v_subrev_nc_u32_e32 v52, 28, v54
	v_lshlrev_b64_e32 v[52:53], v52, v[1:2]
	v_sub_nc_u32_e32 v53, 29, v54
	s_delay_alu instid0(VALU_DEP_2)
	v_and_b32_e32 v52, 7, v52
; %bb.846:                              ;   in Loop: Header=BB278_545 Depth=1
	s_wait_alu 0xfffe
	s_or_b32 exec_lo, exec_lo, s15
	v_lshlrev_b32_e32 v54, 8, v10
	v_lshl_add_u32 v53, v53, 10, 0x2000
	v_lshlrev_b32_e32 v52, 7, v52
	s_delay_alu instid0(VALU_DEP_3) | instskip(NEXT) | instid1(VALU_DEP_3)
	v_and_b32_e32 v54, 0x8000, v54
	v_and_b32_e32 v53, 0xfc00, v53
	s_delay_alu instid0(VALU_DEP_1)
	v_or3_b32 v52, v54, v53, v52
.LBB278_847:                            ;   in Loop: Header=BB278_545 Depth=1
	s_wait_alu 0xfffe
	s_or_b32 exec_lo, exec_lo, s14
.LBB278_848:                            ;   in Loop: Header=BB278_545 Depth=1
	s_wait_alu 0xfffe
	s_or_b32 exec_lo, exec_lo, s13
.LBB278_849:                            ;   in Loop: Header=BB278_545 Depth=1
	s_wait_alu 0xfffe
	s_or_b32 exec_lo, exec_lo, s12
	v_lshrrev_b16 v1, 8, v1
	v_mov_b32_e32 v53, 0
	s_mov_b32 s12, exec_lo
	s_delay_alu instid0(VALU_DEP_2)
	v_cmpx_ne_u16_e32 0, v1
	s_cbranch_execz .LBB278_857
; %bb.850:                              ;   in Loop: Header=BB278_545 Depth=1
	v_bfrev_b32_e32 v53, 1
	s_mov_b32 s13, exec_lo
	v_cmpx_ne_u16_e32 0x80, v1
	s_cbranch_execz .LBB278_856
; %bb.851:                              ;   in Loop: Header=BB278_545 Depth=1
	v_and_b32_e32 v54, 0xffff, v1
	v_mov_b32_e32 v53, 0x7c010000
	s_mov_b32 s14, exec_lo
	s_delay_alu instid0(VALU_DEP_2) | instskip(NEXT) | instid1(VALU_DEP_1)
	v_and_b32_e32 v56, 0x7f, v54
	v_cmpx_ne_u32_e32 0x7f, v56
	s_cbranch_execz .LBB278_855
; %bb.852:                              ;   in Loop: Header=BB278_545 Depth=1
	v_and_b32_e32 v53, 7, v54
	v_lshrrev_b32_e32 v55, 3, v56
	s_mov_b32 s15, exec_lo
	v_cmpx_gt_u32_e32 8, v56
; %bb.853:                              ;   in Loop: Header=BB278_545 Depth=1
	s_delay_alu instid0(VALU_DEP_3) | instskip(NEXT) | instid1(VALU_DEP_1)
	v_clz_i32_u32_e32 v53, v53
	v_min_u32_e32 v53, 32, v53
	s_delay_alu instid0(VALU_DEP_1) | instskip(NEXT) | instid1(VALU_DEP_1)
	v_subrev_nc_u32_e32 v55, 28, v53
	v_lshlrev_b64_e32 v[56:57], v55, v[1:2]
	v_sub_nc_u32_e32 v55, 29, v53
	s_delay_alu instid0(VALU_DEP_2)
	v_and_b32_e32 v53, 7, v56
; %bb.854:                              ;   in Loop: Header=BB278_545 Depth=1
	s_wait_alu 0xfffe
	s_or_b32 exec_lo, exec_lo, s15
	v_lshlrev_b32_e32 v1, 8, v54
	v_lshl_add_u32 v54, v55, 10, 0x2000
	v_lshlrev_b32_e32 v53, 23, v53
	s_delay_alu instid0(VALU_DEP_2) | instskip(NEXT) | instid1(VALU_DEP_1)
	v_and_or_b32 v1, 0x8000, v1, v54
	v_lshl_or_b32 v53, v1, 16, v53
.LBB278_855:                            ;   in Loop: Header=BB278_545 Depth=1
	s_wait_alu 0xfffe
	s_or_b32 exec_lo, exec_lo, s14
.LBB278_856:                            ;   in Loop: Header=BB278_545 Depth=1
	s_wait_alu 0xfffe
	s_or_b32 exec_lo, exec_lo, s13
.LBB278_857:                            ;   in Loop: Header=BB278_545 Depth=1
	s_wait_alu 0xfffe
	s_or_b32 exec_lo, exec_lo, s12
	v_lshrrev_b32_e32 v1, 16, v10
	s_mov_b32 s12, exec_lo
	s_delay_alu instid0(VALU_DEP_1) | instskip(NEXT) | instid1(VALU_DEP_1)
	v_and_b32_e32 v54, 0xff, v1
	v_cmpx_ne_u16_e32 0, v54
	s_cbranch_execz .LBB278_865
; %bb.858:                              ;   in Loop: Header=BB278_545 Depth=1
	v_mov_b32_e32 v51, 0x8000
	s_mov_b32 s13, exec_lo
	v_cmpx_ne_u16_e32 0x80, v54
	s_cbranch_execz .LBB278_864
; %bb.859:                              ;   in Loop: Header=BB278_545 Depth=1
	v_bfe_u32 v55, v10, 16, 7
	v_mov_b32_e32 v51, 0x7c01
	s_mov_b32 s14, exec_lo
	s_delay_alu instid0(VALU_DEP_2)
	v_cmpx_ne_u32_e32 0x7f, v55
	s_cbranch_execz .LBB278_863
; %bb.860:                              ;   in Loop: Header=BB278_545 Depth=1
	v_and_b32_e32 v51, 7, v1
	v_lshrrev_b32_e32 v54, 3, v55
	s_mov_b32 s15, exec_lo
	v_cmpx_gt_u32_e32 8, v55
; %bb.861:                              ;   in Loop: Header=BB278_545 Depth=1
	s_delay_alu instid0(VALU_DEP_3) | instskip(NEXT) | instid1(VALU_DEP_1)
	v_clz_i32_u32_e32 v51, v51
	v_min_u32_e32 v51, 32, v51
	s_delay_alu instid0(VALU_DEP_1) | instskip(NEXT) | instid1(VALU_DEP_1)
	v_subrev_nc_u32_e32 v54, 28, v51
	v_lshlrev_b64_e32 v[55:56], v54, v[1:2]
	v_sub_nc_u32_e32 v54, 29, v51
	s_delay_alu instid0(VALU_DEP_2)
	v_and_b32_e32 v51, 7, v55
; %bb.862:                              ;   in Loop: Header=BB278_545 Depth=1
	s_wait_alu 0xfffe
	s_or_b32 exec_lo, exec_lo, s15
	v_lshlrev_b32_e32 v1, 8, v1
	v_lshl_add_u32 v54, v54, 10, 0x2000
	v_lshlrev_b32_e32 v51, 7, v51
	s_delay_alu instid0(VALU_DEP_3) | instskip(NEXT) | instid1(VALU_DEP_3)
	v_and_b32_e32 v1, 0x8000, v1
	v_and_b32_e32 v54, 0xfc00, v54
	s_delay_alu instid0(VALU_DEP_1)
	v_or3_b32 v51, v1, v54, v51
.LBB278_863:                            ;   in Loop: Header=BB278_545 Depth=1
	s_wait_alu 0xfffe
	s_or_b32 exec_lo, exec_lo, s14
.LBB278_864:                            ;   in Loop: Header=BB278_545 Depth=1
	s_wait_alu 0xfffe
	s_or_b32 exec_lo, exec_lo, s13
.LBB278_865:                            ;   in Loop: Header=BB278_545 Depth=1
	s_wait_alu 0xfffe
	s_or_b32 exec_lo, exec_lo, s12
	v_cmp_lt_u64_e64 s0, s[8:9], v[9:10]
	v_mov_b32_e32 v9, 0
	s_and_saveexec_b32 s12, s0
	s_cbranch_execz .LBB278_873
; %bb.866:                              ;   in Loop: Header=BB278_545 Depth=1
	v_lshrrev_b32_e32 v1, 24, v10
	v_bfrev_b32_e32 v9, 1
	s_mov_b32 s13, exec_lo
	s_delay_alu instid0(VALU_DEP_2)
	v_cmpx_ne_u32_e32 0x80, v1
	s_cbranch_execz .LBB278_872
; %bb.867:                              ;   in Loop: Header=BB278_545 Depth=1
	v_and_b32_e32 v54, 0x7f, v1
	v_mov_b32_e32 v9, 0x7c010000
	s_mov_b32 s14, exec_lo
	s_delay_alu instid0(VALU_DEP_2)
	v_cmpx_ne_u32_e32 0x7f, v54
	s_cbranch_execz .LBB278_871
; %bb.868:                              ;   in Loop: Header=BB278_545 Depth=1
	v_and_b32_e32 v9, 7, v1
	v_lshrrev_b32_e32 v10, 3, v54
	s_mov_b32 s15, exec_lo
	v_cmpx_gt_u32_e32 8, v54
; %bb.869:                              ;   in Loop: Header=BB278_545 Depth=1
	s_delay_alu instid0(VALU_DEP_3) | instskip(NEXT) | instid1(VALU_DEP_1)
	v_clz_i32_u32_e32 v9, v9
	v_min_u32_e32 v54, 32, v9
	s_delay_alu instid0(VALU_DEP_1) | instskip(NEXT) | instid1(VALU_DEP_1)
	v_subrev_nc_u32_e32 v9, 28, v54
	v_lshlrev_b64_e32 v[9:10], v9, v[1:2]
	v_sub_nc_u32_e32 v10, 29, v54
	s_delay_alu instid0(VALU_DEP_2)
	v_and_b32_e32 v9, 7, v9
; %bb.870:                              ;   in Loop: Header=BB278_545 Depth=1
	s_wait_alu 0xfffe
	s_or_b32 exec_lo, exec_lo, s15
	v_lshlrev_b32_e32 v1, 8, v1
	v_lshl_add_u32 v10, v10, 10, 0x2000
	v_lshlrev_b32_e32 v9, 23, v9
	s_delay_alu instid0(VALU_DEP_2) | instskip(NEXT) | instid1(VALU_DEP_1)
	v_and_or_b32 v1, 0x8000, v1, v10
	v_lshl_or_b32 v9, v1, 16, v9
.LBB278_871:                            ;   in Loop: Header=BB278_545 Depth=1
	s_wait_alu 0xfffe
	s_or_b32 exec_lo, exec_lo, s14
.LBB278_872:                            ;   in Loop: Header=BB278_545 Depth=1
	s_wait_alu 0xfffe
	s_or_b32 exec_lo, exec_lo, s13
.LBB278_873:                            ;   in Loop: Header=BB278_545 Depth=1
	s_wait_alu 0xfffe
	s_or_b32 exec_lo, exec_lo, s12
	v_or_b32_e32 v1, v49, v50
	s_wait_loadcnt 0x0
	v_fma_mixlo_f16 v10, v46, v49, 0 op_sel:[0,1,0] op_sel_hi:[0,1,0]
	v_or_b32_e32 v49, v47, v48
	v_fma_mixlo_f16 v47, v46, v47, 0 op_sel:[0,1,0] op_sel_hi:[0,1,0]
	v_or_b32_e32 v50, v53, v52
	v_or_b32_e32 v51, v9, v51
	v_fma_mixlo_f16 v52, v46, v1, 0 op_sel_hi:[0,1,0]
	v_fma_mixlo_f16 v9, v46, v9, 0 op_sel:[0,1,0] op_sel_hi:[0,1,0]
	v_lshlrev_b32_e32 v48, 16, v47
	v_fma_mixlo_f16 v47, v46, v49, 0 op_sel_hi:[0,1,0]
	v_fma_mixlo_f16 v49, v46, v53, 0 op_sel:[0,1,0] op_sel_hi:[0,1,0]
	v_fma_mixlo_f16 v50, v46, v50, 0 op_sel_hi:[0,1,0]
	v_fma_mixlo_f16 v51, v46, v51, 0 op_sel_hi:[0,1,0]
	v_lshlrev_b32_e32 v1, 16, v10
	v_and_b32_e32 v10, 0xffff, v52
	v_and_b32_e32 v54, 0xffff, v47
	v_lshlrev_b32_e32 v46, 16, v49
	v_and_b32_e32 v50, 0xffff, v50
	v_lshlrev_b32_e32 v9, 16, v9
	v_and_b32_e32 v47, 0xffff, v51
	v_or_b32_e32 v49, v1, v10
	v_or_b32_e32 v53, v48, v54
	;; [unrolled: 1-line block ×3, first 2 shown]
	s_delay_alu instid0(VALU_DEP_4)
	v_or_b32_e32 v51, v9, v47
	s_and_saveexec_b32 s12, vcc_lo
	s_cbranch_execz .LBB278_875
; %bb.874:                              ;   in Loop: Header=BB278_545 Depth=1
	v_cmp_gt_i32_e64 s0, s27, v15
	s_wait_alu 0xf1ff
	s_delay_alu instid0(VALU_DEP_1) | instskip(SKIP_2) | instid1(VALU_DEP_1)
	v_cndmask_b32_e64 v49, 0, v54, s0
	v_cmp_gt_i32_e64 s0, s27, v33
	s_wait_alu 0xf1ff
	v_cndmask_b32_e64 v48, 0, v48, s0
	v_cmp_gt_i32_e64 s0, s27, v32
	s_delay_alu instid0(VALU_DEP_2) | instskip(SKIP_1) | instid1(VALU_DEP_2)
	v_or_b32_e32 v53, v48, v49
	s_wait_alu 0xf1ff
	v_cndmask_b32_e64 v10, 0, v10, s0
	v_cmp_gt_i32_e64 s0, s27, v31
	s_wait_alu 0xf1ff
	s_delay_alu instid0(VALU_DEP_1) | instskip(SKIP_1) | instid1(VALU_DEP_2)
	v_cndmask_b32_e64 v1, 0, v1, s0
	v_cmp_gt_i32_e64 s0, s27, v30
	v_or_b32_e32 v49, v1, v10
	s_wait_alu 0xf1ff
	s_delay_alu instid0(VALU_DEP_2) | instskip(SKIP_2) | instid1(VALU_DEP_1)
	v_cndmask_b32_e64 v50, 0, v50, s0
	v_cmp_gt_i32_e64 s0, s27, v29
	s_wait_alu 0xf1ff
	v_cndmask_b32_e64 v46, 0, v46, s0
	v_cmp_gt_i32_e64 s0, s27, v28
	s_delay_alu instid0(VALU_DEP_2) | instskip(SKIP_1) | instid1(VALU_DEP_2)
	v_or_b32_e32 v52, v46, v50
	s_wait_alu 0xf1ff
	v_cndmask_b32_e64 v47, 0, v47, s0
	v_cmp_gt_i32_e64 s0, s27, v26
	s_wait_alu 0xf1ff
	s_delay_alu instid0(VALU_DEP_1) | instskip(NEXT) | instid1(VALU_DEP_1)
	v_cndmask_b32_e64 v9, 0, v9, s0
	v_or_b32_e32 v51, v9, v47
.LBB278_875:                            ;   in Loop: Header=BB278_545 Depth=1
	s_wait_alu 0xfffe
	s_or_b32 exec_lo, exec_lo, s12
	;;#ASMSTART
	v_pk_mul_f16 v1, v38, v53;

	;;#ASMEND
	;;#ASMSTART
	v_pk_mul_f16 v9, v36, v49;

	;;#ASMEND
	;; [unrolled: 4-line block ×4, first 2 shown]
	;;#ASMSTART
	v_pk_add_f16 v1, v1, v9;

	;;#ASMEND
	;;#ASMSTART
	v_pk_add_f16 v1, v1, v10;

	;;#ASMEND
	;; [unrolled: 4-line block ×3, first 2 shown]
	v_dual_mov_b32 v50, 0 :: v_dual_and_b32 v9, 0xffff, v1
	v_lshrrev_b32_e32 v1, 16, v1
	;;#ASMSTART
	v_cvt_f32_f16 v46, v9;
	;;#ASMEND
	;;#ASMSTART
	v_cvt_f32_f16 v47, v1;
	;;#ASMEND
	global_load_b64 v[9:10], v[7:8], off offset:1280
	v_mov_b32_e32 v49, 0
	s_mov_b32 s12, exec_lo
	global_load_b32 v48, v49, s[10:11]
	s_wait_loadcnt 0x1
	v_and_b32_e32 v1, 0xff, v9
	s_delay_alu instid0(VALU_DEP_1)
	v_cmpx_ne_u16_e32 0, v1
	s_cbranch_execz .LBB278_883
; %bb.876:                              ;   in Loop: Header=BB278_545 Depth=1
	v_mov_b32_e32 v50, 0x8000
	s_mov_b32 s13, exec_lo
	v_cmpx_ne_u16_e32 0x80, v1
	s_cbranch_execz .LBB278_882
; %bb.877:                              ;   in Loop: Header=BB278_545 Depth=1
	v_and_b32_e32 v51, 0x7f, v9
	v_mov_b32_e32 v50, 0x7c01
	s_mov_b32 s14, exec_lo
	s_delay_alu instid0(VALU_DEP_2)
	v_cmpx_ne_u32_e32 0x7f, v51
	s_cbranch_execz .LBB278_881
; %bb.878:                              ;   in Loop: Header=BB278_545 Depth=1
	v_and_b32_e32 v1, 7, v9
	v_lshrrev_b32_e32 v50, 3, v51
	s_mov_b32 s15, exec_lo
	v_cmpx_gt_u32_e32 8, v51
; %bb.879:                              ;   in Loop: Header=BB278_545 Depth=1
	s_delay_alu instid0(VALU_DEP_3) | instskip(NEXT) | instid1(VALU_DEP_1)
	v_clz_i32_u32_e32 v1, v1
	v_min_u32_e32 v1, 32, v1
	s_delay_alu instid0(VALU_DEP_1) | instskip(NEXT) | instid1(VALU_DEP_1)
	v_subrev_nc_u32_e32 v50, 28, v1
	v_lshlrev_b64_e32 v[51:52], v50, v[9:10]
	v_sub_nc_u32_e32 v50, 29, v1
	s_delay_alu instid0(VALU_DEP_2)
	v_and_b32_e32 v1, 7, v51
; %bb.880:                              ;   in Loop: Header=BB278_545 Depth=1
	s_wait_alu 0xfffe
	s_or_b32 exec_lo, exec_lo, s15
	v_lshlrev_b32_e32 v51, 8, v9
	v_lshl_add_u32 v50, v50, 10, 0x2000
	v_lshlrev_b32_e32 v1, 7, v1
	s_delay_alu instid0(VALU_DEP_3) | instskip(NEXT) | instid1(VALU_DEP_3)
	v_and_b32_e32 v51, 0x8000, v51
	v_and_b32_e32 v50, 0xfc00, v50
	s_delay_alu instid0(VALU_DEP_1)
	v_or3_b32 v50, v51, v50, v1
.LBB278_881:                            ;   in Loop: Header=BB278_545 Depth=1
	s_wait_alu 0xfffe
	s_or_b32 exec_lo, exec_lo, s14
.LBB278_882:                            ;   in Loop: Header=BB278_545 Depth=1
	s_wait_alu 0xfffe
	s_or_b32 exec_lo, exec_lo, s13
.LBB278_883:                            ;   in Loop: Header=BB278_545 Depth=1
	s_wait_alu 0xfffe
	s_or_b32 exec_lo, exec_lo, s12
	v_lshrrev_b16 v1, 8, v9
	s_mov_b32 s12, exec_lo
	s_delay_alu instid0(VALU_DEP_1)
	v_cmpx_ne_u16_e32 0, v1
	s_cbranch_execz .LBB278_891
; %bb.884:                              ;   in Loop: Header=BB278_545 Depth=1
	v_bfrev_b32_e32 v49, 1
	s_mov_b32 s13, exec_lo
	v_cmpx_ne_u16_e32 0x80, v1
	s_cbranch_execz .LBB278_890
; %bb.885:                              ;   in Loop: Header=BB278_545 Depth=1
	v_and_b32_e32 v51, 0xffff, v1
	v_mov_b32_e32 v49, 0x7c010000
	s_mov_b32 s14, exec_lo
	s_delay_alu instid0(VALU_DEP_2) | instskip(NEXT) | instid1(VALU_DEP_1)
	v_and_b32_e32 v53, 0x7f, v51
	v_cmpx_ne_u32_e32 0x7f, v53
	s_cbranch_execz .LBB278_889
; %bb.886:                              ;   in Loop: Header=BB278_545 Depth=1
	v_and_b32_e32 v49, 7, v51
	v_lshrrev_b32_e32 v52, 3, v53
	s_mov_b32 s15, exec_lo
	v_cmpx_gt_u32_e32 8, v53
; %bb.887:                              ;   in Loop: Header=BB278_545 Depth=1
	s_delay_alu instid0(VALU_DEP_3) | instskip(NEXT) | instid1(VALU_DEP_1)
	v_clz_i32_u32_e32 v49, v49
	v_min_u32_e32 v49, 32, v49
	s_delay_alu instid0(VALU_DEP_1) | instskip(NEXT) | instid1(VALU_DEP_1)
	v_subrev_nc_u32_e32 v52, 28, v49
	v_lshlrev_b64_e32 v[53:54], v52, v[1:2]
	v_sub_nc_u32_e32 v52, 29, v49
	s_delay_alu instid0(VALU_DEP_2)
	v_and_b32_e32 v49, 7, v53
; %bb.888:                              ;   in Loop: Header=BB278_545 Depth=1
	s_wait_alu 0xfffe
	s_or_b32 exec_lo, exec_lo, s15
	v_lshlrev_b32_e32 v1, 8, v51
	v_lshl_add_u32 v51, v52, 10, 0x2000
	v_lshlrev_b32_e32 v49, 23, v49
	s_delay_alu instid0(VALU_DEP_2) | instskip(NEXT) | instid1(VALU_DEP_1)
	v_and_or_b32 v1, 0x8000, v1, v51
	v_lshl_or_b32 v49, v1, 16, v49
.LBB278_889:                            ;   in Loop: Header=BB278_545 Depth=1
	s_wait_alu 0xfffe
	s_or_b32 exec_lo, exec_lo, s14
.LBB278_890:                            ;   in Loop: Header=BB278_545 Depth=1
	s_wait_alu 0xfffe
	s_or_b32 exec_lo, exec_lo, s13
.LBB278_891:                            ;   in Loop: Header=BB278_545 Depth=1
	s_wait_alu 0xfffe
	s_or_b32 exec_lo, exec_lo, s12
	v_lshrrev_b32_e32 v1, 16, v9
	v_mov_b32_e32 v51, 0
	s_mov_b32 s12, exec_lo
	s_delay_alu instid0(VALU_DEP_2) | instskip(NEXT) | instid1(VALU_DEP_1)
	v_dual_mov_b32 v52, 0 :: v_dual_and_b32 v53, 0xff, v1
	v_cmpx_ne_u16_e32 0, v53
	s_cbranch_execz .LBB278_899
; %bb.892:                              ;   in Loop: Header=BB278_545 Depth=1
	v_mov_b32_e32 v52, 0x8000
	s_mov_b32 s13, exec_lo
	v_cmpx_ne_u16_e32 0x80, v53
	s_cbranch_execz .LBB278_898
; %bb.893:                              ;   in Loop: Header=BB278_545 Depth=1
	v_bfe_u32 v54, v9, 16, 7
	v_mov_b32_e32 v52, 0x7c01
	s_mov_b32 s14, exec_lo
	s_delay_alu instid0(VALU_DEP_2)
	v_cmpx_ne_u32_e32 0x7f, v54
	s_cbranch_execz .LBB278_897
; %bb.894:                              ;   in Loop: Header=BB278_545 Depth=1
	v_and_b32_e32 v52, 7, v1
	v_lshrrev_b32_e32 v53, 3, v54
	s_mov_b32 s15, exec_lo
	v_cmpx_gt_u32_e32 8, v54
; %bb.895:                              ;   in Loop: Header=BB278_545 Depth=1
	s_delay_alu instid0(VALU_DEP_3) | instskip(NEXT) | instid1(VALU_DEP_1)
	v_clz_i32_u32_e32 v52, v52
	v_min_u32_e32 v54, 32, v52
	s_delay_alu instid0(VALU_DEP_1) | instskip(NEXT) | instid1(VALU_DEP_1)
	v_subrev_nc_u32_e32 v52, 28, v54
	v_lshlrev_b64_e32 v[52:53], v52, v[1:2]
	v_sub_nc_u32_e32 v53, 29, v54
	s_delay_alu instid0(VALU_DEP_2)
	v_and_b32_e32 v52, 7, v52
; %bb.896:                              ;   in Loop: Header=BB278_545 Depth=1
	s_wait_alu 0xfffe
	s_or_b32 exec_lo, exec_lo, s15
	v_lshlrev_b32_e32 v1, 8, v1
	v_lshl_add_u32 v53, v53, 10, 0x2000
	v_lshlrev_b32_e32 v52, 7, v52
	s_delay_alu instid0(VALU_DEP_3) | instskip(NEXT) | instid1(VALU_DEP_3)
	v_and_b32_e32 v1, 0x8000, v1
	v_and_b32_e32 v53, 0xfc00, v53
	s_delay_alu instid0(VALU_DEP_1)
	v_or3_b32 v52, v1, v53, v52
.LBB278_897:                            ;   in Loop: Header=BB278_545 Depth=1
	s_wait_alu 0xfffe
	s_or_b32 exec_lo, exec_lo, s14
.LBB278_898:                            ;   in Loop: Header=BB278_545 Depth=1
	s_wait_alu 0xfffe
	s_or_b32 exec_lo, exec_lo, s13
.LBB278_899:                            ;   in Loop: Header=BB278_545 Depth=1
	s_wait_alu 0xfffe
	s_or_b32 exec_lo, exec_lo, s12
	s_delay_alu instid0(SALU_CYCLE_1)
	s_mov_b32 s12, exec_lo
	v_cmpx_lt_u32_e32 0xffffff, v9
	s_cbranch_execz .LBB278_907
; %bb.900:                              ;   in Loop: Header=BB278_545 Depth=1
	v_lshrrev_b32_e32 v1, 24, v9
	v_bfrev_b32_e32 v51, 1
	s_mov_b32 s13, exec_lo
	s_delay_alu instid0(VALU_DEP_2)
	v_cmpx_ne_u32_e32 0x80, v1
	s_cbranch_execz .LBB278_906
; %bb.901:                              ;   in Loop: Header=BB278_545 Depth=1
	v_and_b32_e32 v54, 0x7f, v1
	v_mov_b32_e32 v51, 0x7c010000
	s_mov_b32 s14, exec_lo
	s_delay_alu instid0(VALU_DEP_2)
	v_cmpx_ne_u32_e32 0x7f, v54
	s_cbranch_execz .LBB278_905
; %bb.902:                              ;   in Loop: Header=BB278_545 Depth=1
	v_and_b32_e32 v51, 7, v1
	v_lshrrev_b32_e32 v53, 3, v54
	s_mov_b32 s15, exec_lo
	v_cmpx_gt_u32_e32 8, v54
; %bb.903:                              ;   in Loop: Header=BB278_545 Depth=1
	s_delay_alu instid0(VALU_DEP_3) | instskip(NEXT) | instid1(VALU_DEP_1)
	v_clz_i32_u32_e32 v51, v51
	v_min_u32_e32 v51, 32, v51
	s_delay_alu instid0(VALU_DEP_1) | instskip(NEXT) | instid1(VALU_DEP_1)
	v_subrev_nc_u32_e32 v53, 28, v51
	v_lshlrev_b64_e32 v[54:55], v53, v[1:2]
	v_sub_nc_u32_e32 v53, 29, v51
	s_delay_alu instid0(VALU_DEP_2)
	v_and_b32_e32 v51, 7, v54
; %bb.904:                              ;   in Loop: Header=BB278_545 Depth=1
	s_wait_alu 0xfffe
	s_or_b32 exec_lo, exec_lo, s15
	v_lshlrev_b32_e32 v1, 8, v1
	v_lshl_add_u32 v53, v53, 10, 0x2000
	v_lshlrev_b32_e32 v51, 23, v51
	s_delay_alu instid0(VALU_DEP_2) | instskip(NEXT) | instid1(VALU_DEP_1)
	v_and_or_b32 v1, 0x8000, v1, v53
	v_lshl_or_b32 v51, v1, 16, v51
.LBB278_905:                            ;   in Loop: Header=BB278_545 Depth=1
	s_wait_alu 0xfffe
	s_or_b32 exec_lo, exec_lo, s14
.LBB278_906:                            ;   in Loop: Header=BB278_545 Depth=1
	s_wait_alu 0xfffe
	s_or_b32 exec_lo, exec_lo, s13
.LBB278_907:                            ;   in Loop: Header=BB278_545 Depth=1
	s_wait_alu 0xfffe
	s_or_b32 exec_lo, exec_lo, s12
	v_dual_mov_b32 v54, 0 :: v_dual_and_b32 v55, 0xff, v10
	v_mov_b32_e32 v1, v10
	v_mov_b32_e32 v53, 0
	s_mov_b32 s12, exec_lo
	s_delay_alu instid0(VALU_DEP_3)
	v_cmpx_ne_u16_e32 0, v55
	s_cbranch_execz .LBB278_915
; %bb.908:                              ;   in Loop: Header=BB278_545 Depth=1
	v_mov_b32_e32 v54, 0x8000
	s_mov_b32 s13, exec_lo
	v_cmpx_ne_u16_e32 0x80, v55
	s_cbranch_execz .LBB278_914
; %bb.909:                              ;   in Loop: Header=BB278_545 Depth=1
	v_and_b32_e32 v56, 0x7f, v10
	v_mov_b32_e32 v54, 0x7c01
	s_mov_b32 s14, exec_lo
	s_delay_alu instid0(VALU_DEP_2)
	v_cmpx_ne_u32_e32 0x7f, v56
	s_cbranch_execz .LBB278_913
; %bb.910:                              ;   in Loop: Header=BB278_545 Depth=1
	v_and_b32_e32 v54, 7, v10
	v_lshrrev_b32_e32 v55, 3, v56
	s_mov_b32 s15, exec_lo
	v_cmpx_gt_u32_e32 8, v56
; %bb.911:                              ;   in Loop: Header=BB278_545 Depth=1
	s_delay_alu instid0(VALU_DEP_3) | instskip(NEXT) | instid1(VALU_DEP_1)
	v_clz_i32_u32_e32 v54, v54
	v_min_u32_e32 v56, 32, v54
	s_delay_alu instid0(VALU_DEP_1) | instskip(NEXT) | instid1(VALU_DEP_1)
	v_subrev_nc_u32_e32 v54, 28, v56
	v_lshlrev_b64_e32 v[54:55], v54, v[1:2]
	v_sub_nc_u32_e32 v55, 29, v56
	s_delay_alu instid0(VALU_DEP_2)
	v_and_b32_e32 v54, 7, v54
; %bb.912:                              ;   in Loop: Header=BB278_545 Depth=1
	s_wait_alu 0xfffe
	s_or_b32 exec_lo, exec_lo, s15
	v_lshlrev_b32_e32 v56, 8, v10
	v_lshl_add_u32 v55, v55, 10, 0x2000
	v_lshlrev_b32_e32 v54, 7, v54
	s_delay_alu instid0(VALU_DEP_3) | instskip(NEXT) | instid1(VALU_DEP_3)
	v_and_b32_e32 v56, 0x8000, v56
	v_and_b32_e32 v55, 0xfc00, v55
	s_delay_alu instid0(VALU_DEP_1)
	v_or3_b32 v54, v56, v55, v54
.LBB278_913:                            ;   in Loop: Header=BB278_545 Depth=1
	s_wait_alu 0xfffe
	s_or_b32 exec_lo, exec_lo, s14
.LBB278_914:                            ;   in Loop: Header=BB278_545 Depth=1
	s_wait_alu 0xfffe
	s_or_b32 exec_lo, exec_lo, s13
.LBB278_915:                            ;   in Loop: Header=BB278_545 Depth=1
	s_wait_alu 0xfffe
	s_or_b32 exec_lo, exec_lo, s12
	v_lshrrev_b16 v1, 8, v1
	v_mov_b32_e32 v55, 0
	s_mov_b32 s12, exec_lo
	s_delay_alu instid0(VALU_DEP_2)
	v_cmpx_ne_u16_e32 0, v1
	s_cbranch_execz .LBB278_923
; %bb.916:                              ;   in Loop: Header=BB278_545 Depth=1
	v_bfrev_b32_e32 v55, 1
	s_mov_b32 s13, exec_lo
	v_cmpx_ne_u16_e32 0x80, v1
	s_cbranch_execz .LBB278_922
; %bb.917:                              ;   in Loop: Header=BB278_545 Depth=1
	v_and_b32_e32 v56, 0xffff, v1
	v_mov_b32_e32 v55, 0x7c010000
	s_mov_b32 s14, exec_lo
	s_delay_alu instid0(VALU_DEP_2) | instskip(NEXT) | instid1(VALU_DEP_1)
	v_and_b32_e32 v58, 0x7f, v56
	v_cmpx_ne_u32_e32 0x7f, v58
	s_cbranch_execz .LBB278_921
; %bb.918:                              ;   in Loop: Header=BB278_545 Depth=1
	v_and_b32_e32 v55, 7, v56
	v_lshrrev_b32_e32 v57, 3, v58
	s_mov_b32 s15, exec_lo
	v_cmpx_gt_u32_e32 8, v58
; %bb.919:                              ;   in Loop: Header=BB278_545 Depth=1
	s_delay_alu instid0(VALU_DEP_3) | instskip(NEXT) | instid1(VALU_DEP_1)
	v_clz_i32_u32_e32 v55, v55
	v_min_u32_e32 v55, 32, v55
	s_delay_alu instid0(VALU_DEP_1) | instskip(NEXT) | instid1(VALU_DEP_1)
	v_subrev_nc_u32_e32 v57, 28, v55
	v_lshlrev_b64_e32 v[58:59], v57, v[1:2]
	v_sub_nc_u32_e32 v57, 29, v55
	s_delay_alu instid0(VALU_DEP_2)
	v_and_b32_e32 v55, 7, v58
; %bb.920:                              ;   in Loop: Header=BB278_545 Depth=1
	s_wait_alu 0xfffe
	s_or_b32 exec_lo, exec_lo, s15
	v_lshlrev_b32_e32 v1, 8, v56
	v_lshl_add_u32 v56, v57, 10, 0x2000
	v_lshlrev_b32_e32 v55, 23, v55
	s_delay_alu instid0(VALU_DEP_2) | instskip(NEXT) | instid1(VALU_DEP_1)
	v_and_or_b32 v1, 0x8000, v1, v56
	v_lshl_or_b32 v55, v1, 16, v55
.LBB278_921:                            ;   in Loop: Header=BB278_545 Depth=1
	s_wait_alu 0xfffe
	s_or_b32 exec_lo, exec_lo, s14
.LBB278_922:                            ;   in Loop: Header=BB278_545 Depth=1
	s_wait_alu 0xfffe
	s_or_b32 exec_lo, exec_lo, s13
.LBB278_923:                            ;   in Loop: Header=BB278_545 Depth=1
	s_wait_alu 0xfffe
	s_or_b32 exec_lo, exec_lo, s12
	v_lshrrev_b32_e32 v1, 16, v10
	s_mov_b32 s12, exec_lo
	s_delay_alu instid0(VALU_DEP_1) | instskip(NEXT) | instid1(VALU_DEP_1)
	v_and_b32_e32 v56, 0xff, v1
	v_cmpx_ne_u16_e32 0, v56
	s_cbranch_execz .LBB278_931
; %bb.924:                              ;   in Loop: Header=BB278_545 Depth=1
	v_mov_b32_e32 v53, 0x8000
	s_mov_b32 s13, exec_lo
	v_cmpx_ne_u16_e32 0x80, v56
	s_cbranch_execz .LBB278_930
; %bb.925:                              ;   in Loop: Header=BB278_545 Depth=1
	v_bfe_u32 v57, v10, 16, 7
	v_mov_b32_e32 v53, 0x7c01
	s_mov_b32 s14, exec_lo
	s_delay_alu instid0(VALU_DEP_2)
	v_cmpx_ne_u32_e32 0x7f, v57
	s_cbranch_execz .LBB278_929
; %bb.926:                              ;   in Loop: Header=BB278_545 Depth=1
	v_and_b32_e32 v53, 7, v1
	v_lshrrev_b32_e32 v56, 3, v57
	s_mov_b32 s15, exec_lo
	v_cmpx_gt_u32_e32 8, v57
; %bb.927:                              ;   in Loop: Header=BB278_545 Depth=1
	s_delay_alu instid0(VALU_DEP_3) | instskip(NEXT) | instid1(VALU_DEP_1)
	v_clz_i32_u32_e32 v53, v53
	v_min_u32_e32 v53, 32, v53
	s_delay_alu instid0(VALU_DEP_1) | instskip(NEXT) | instid1(VALU_DEP_1)
	v_subrev_nc_u32_e32 v56, 28, v53
	v_lshlrev_b64_e32 v[57:58], v56, v[1:2]
	v_sub_nc_u32_e32 v56, 29, v53
	s_delay_alu instid0(VALU_DEP_2)
	v_and_b32_e32 v53, 7, v57
; %bb.928:                              ;   in Loop: Header=BB278_545 Depth=1
	s_wait_alu 0xfffe
	s_or_b32 exec_lo, exec_lo, s15
	v_lshlrev_b32_e32 v1, 8, v1
	v_lshl_add_u32 v56, v56, 10, 0x2000
	v_lshlrev_b32_e32 v53, 7, v53
	s_delay_alu instid0(VALU_DEP_3) | instskip(NEXT) | instid1(VALU_DEP_3)
	v_and_b32_e32 v1, 0x8000, v1
	v_and_b32_e32 v56, 0xfc00, v56
	s_delay_alu instid0(VALU_DEP_1)
	v_or3_b32 v53, v1, v56, v53
.LBB278_929:                            ;   in Loop: Header=BB278_545 Depth=1
	s_wait_alu 0xfffe
	s_or_b32 exec_lo, exec_lo, s14
.LBB278_930:                            ;   in Loop: Header=BB278_545 Depth=1
	s_wait_alu 0xfffe
	s_or_b32 exec_lo, exec_lo, s13
.LBB278_931:                            ;   in Loop: Header=BB278_545 Depth=1
	s_wait_alu 0xfffe
	s_or_b32 exec_lo, exec_lo, s12
	v_cmp_lt_u64_e64 s0, s[8:9], v[9:10]
	v_mov_b32_e32 v9, 0
	s_and_saveexec_b32 s12, s0
	s_cbranch_execz .LBB278_939
; %bb.932:                              ;   in Loop: Header=BB278_545 Depth=1
	v_lshrrev_b32_e32 v1, 24, v10
	v_bfrev_b32_e32 v9, 1
	s_mov_b32 s13, exec_lo
	s_delay_alu instid0(VALU_DEP_2)
	v_cmpx_ne_u32_e32 0x80, v1
	s_cbranch_execz .LBB278_938
; %bb.933:                              ;   in Loop: Header=BB278_545 Depth=1
	v_and_b32_e32 v56, 0x7f, v1
	v_mov_b32_e32 v9, 0x7c010000
	s_mov_b32 s14, exec_lo
	s_delay_alu instid0(VALU_DEP_2)
	v_cmpx_ne_u32_e32 0x7f, v56
	s_cbranch_execz .LBB278_937
; %bb.934:                              ;   in Loop: Header=BB278_545 Depth=1
	v_and_b32_e32 v9, 7, v1
	v_lshrrev_b32_e32 v10, 3, v56
	s_mov_b32 s15, exec_lo
	v_cmpx_gt_u32_e32 8, v56
; %bb.935:                              ;   in Loop: Header=BB278_545 Depth=1
	s_delay_alu instid0(VALU_DEP_3) | instskip(NEXT) | instid1(VALU_DEP_1)
	v_clz_i32_u32_e32 v9, v9
	v_min_u32_e32 v56, 32, v9
	s_delay_alu instid0(VALU_DEP_1) | instskip(NEXT) | instid1(VALU_DEP_1)
	v_subrev_nc_u32_e32 v9, 28, v56
	v_lshlrev_b64_e32 v[9:10], v9, v[1:2]
	v_sub_nc_u32_e32 v10, 29, v56
	s_delay_alu instid0(VALU_DEP_2)
	v_and_b32_e32 v9, 7, v9
; %bb.936:                              ;   in Loop: Header=BB278_545 Depth=1
	s_wait_alu 0xfffe
	s_or_b32 exec_lo, exec_lo, s15
	v_lshlrev_b32_e32 v1, 8, v1
	v_lshl_add_u32 v10, v10, 10, 0x2000
	v_lshlrev_b32_e32 v9, 23, v9
	s_delay_alu instid0(VALU_DEP_2) | instskip(NEXT) | instid1(VALU_DEP_1)
	v_and_or_b32 v1, 0x8000, v1, v10
	v_lshl_or_b32 v9, v1, 16, v9
.LBB278_937:                            ;   in Loop: Header=BB278_545 Depth=1
	s_wait_alu 0xfffe
	s_or_b32 exec_lo, exec_lo, s14
.LBB278_938:                            ;   in Loop: Header=BB278_545 Depth=1
	s_wait_alu 0xfffe
	s_or_b32 exec_lo, exec_lo, s13
.LBB278_939:                            ;   in Loop: Header=BB278_545 Depth=1
	s_wait_alu 0xfffe
	s_or_b32 exec_lo, exec_lo, s12
	v_or_b32_e32 v1, v51, v52
	s_wait_loadcnt 0x0
	v_fma_mixlo_f16 v10, v48, v51, 0 op_sel:[0,1,0] op_sel_hi:[0,1,0]
	v_or_b32_e32 v51, v49, v50
	v_fma_mixlo_f16 v49, v48, v49, 0 op_sel:[0,1,0] op_sel_hi:[0,1,0]
	v_or_b32_e32 v52, v55, v54
	v_or_b32_e32 v53, v9, v53
	v_fma_mixlo_f16 v54, v48, v1, 0 op_sel_hi:[0,1,0]
	v_fma_mixlo_f16 v9, v48, v9, 0 op_sel:[0,1,0] op_sel_hi:[0,1,0]
	v_lshlrev_b32_e32 v50, 16, v49
	v_fma_mixlo_f16 v49, v48, v51, 0 op_sel_hi:[0,1,0]
	v_fma_mixlo_f16 v51, v48, v55, 0 op_sel:[0,1,0] op_sel_hi:[0,1,0]
	v_fma_mixlo_f16 v52, v48, v52, 0 op_sel_hi:[0,1,0]
	v_fma_mixlo_f16 v53, v48, v53, 0 op_sel_hi:[0,1,0]
	v_lshlrev_b32_e32 v1, 16, v10
	v_and_b32_e32 v10, 0xffff, v54
	v_and_b32_e32 v56, 0xffff, v49
	v_lshlrev_b32_e32 v48, 16, v51
	v_and_b32_e32 v52, 0xffff, v52
	v_lshlrev_b32_e32 v9, 16, v9
	v_and_b32_e32 v49, 0xffff, v53
	v_or_b32_e32 v51, v1, v10
	v_or_b32_e32 v55, v50, v56
	;; [unrolled: 1-line block ×3, first 2 shown]
	s_delay_alu instid0(VALU_DEP_4)
	v_or_b32_e32 v53, v9, v49
	s_and_saveexec_b32 s12, vcc_lo
	s_cbranch_execz .LBB278_941
; %bb.940:                              ;   in Loop: Header=BB278_545 Depth=1
	v_cmp_gt_i32_e64 s0, s27, v15
	s_wait_alu 0xf1ff
	s_delay_alu instid0(VALU_DEP_1) | instskip(SKIP_2) | instid1(VALU_DEP_1)
	v_cndmask_b32_e64 v51, 0, v56, s0
	v_cmp_gt_i32_e64 s0, s27, v33
	s_wait_alu 0xf1ff
	v_cndmask_b32_e64 v50, 0, v50, s0
	v_cmp_gt_i32_e64 s0, s27, v32
	s_delay_alu instid0(VALU_DEP_2) | instskip(SKIP_1) | instid1(VALU_DEP_2)
	v_or_b32_e32 v55, v50, v51
	s_wait_alu 0xf1ff
	v_cndmask_b32_e64 v10, 0, v10, s0
	v_cmp_gt_i32_e64 s0, s27, v31
	s_wait_alu 0xf1ff
	s_delay_alu instid0(VALU_DEP_1) | instskip(SKIP_1) | instid1(VALU_DEP_2)
	v_cndmask_b32_e64 v1, 0, v1, s0
	v_cmp_gt_i32_e64 s0, s27, v30
	v_or_b32_e32 v51, v1, v10
	s_wait_alu 0xf1ff
	s_delay_alu instid0(VALU_DEP_2) | instskip(SKIP_2) | instid1(VALU_DEP_1)
	v_cndmask_b32_e64 v52, 0, v52, s0
	v_cmp_gt_i32_e64 s0, s27, v29
	s_wait_alu 0xf1ff
	v_cndmask_b32_e64 v48, 0, v48, s0
	v_cmp_gt_i32_e64 s0, s27, v28
	s_delay_alu instid0(VALU_DEP_2) | instskip(SKIP_1) | instid1(VALU_DEP_2)
	v_or_b32_e32 v54, v48, v52
	s_wait_alu 0xf1ff
	v_cndmask_b32_e64 v49, 0, v49, s0
	v_cmp_gt_i32_e64 s0, s27, v26
	s_wait_alu 0xf1ff
	s_delay_alu instid0(VALU_DEP_1) | instskip(NEXT) | instid1(VALU_DEP_1)
	v_cndmask_b32_e64 v9, 0, v9, s0
	v_or_b32_e32 v53, v9, v49
.LBB278_941:                            ;   in Loop: Header=BB278_545 Depth=1
	s_wait_alu 0xfffe
	s_or_b32 exec_lo, exec_lo, s12
	;;#ASMSTART
	v_pk_mul_f16 v1, v38, v55;

	;;#ASMEND
	;;#ASMSTART
	v_pk_mul_f16 v9, v36, v51;

	;;#ASMEND
	;; [unrolled: 4-line block ×4, first 2 shown]
	;;#ASMSTART
	v_pk_add_f16 v1, v1, v9;

	;;#ASMEND
	;;#ASMSTART
	v_pk_add_f16 v1, v1, v10;

	;;#ASMEND
	;; [unrolled: 4-line block ×3, first 2 shown]
	v_dual_mov_b32 v52, 0 :: v_dual_and_b32 v9, 0xffff, v1
	v_lshrrev_b32_e32 v1, 16, v1
	;;#ASMSTART
	v_cvt_f32_f16 v48, v9;
	;;#ASMEND
	;;#ASMSTART
	v_cvt_f32_f16 v49, v1;
	;;#ASMEND
	global_load_b64 v[9:10], v[7:8], off offset:1536
	v_mov_b32_e32 v51, 0
	s_mov_b32 s12, exec_lo
	global_load_b32 v50, v51, s[10:11]
	s_wait_loadcnt 0x1
	v_and_b32_e32 v1, 0xff, v9
	s_delay_alu instid0(VALU_DEP_1)
	v_cmpx_ne_u16_e32 0, v1
	s_cbranch_execz .LBB278_949
; %bb.942:                              ;   in Loop: Header=BB278_545 Depth=1
	v_mov_b32_e32 v52, 0x8000
	s_mov_b32 s13, exec_lo
	v_cmpx_ne_u16_e32 0x80, v1
	s_cbranch_execz .LBB278_948
; %bb.943:                              ;   in Loop: Header=BB278_545 Depth=1
	v_and_b32_e32 v53, 0x7f, v9
	v_mov_b32_e32 v52, 0x7c01
	s_mov_b32 s14, exec_lo
	s_delay_alu instid0(VALU_DEP_2)
	v_cmpx_ne_u32_e32 0x7f, v53
	s_cbranch_execz .LBB278_947
; %bb.944:                              ;   in Loop: Header=BB278_545 Depth=1
	v_and_b32_e32 v1, 7, v9
	v_lshrrev_b32_e32 v52, 3, v53
	s_mov_b32 s15, exec_lo
	v_cmpx_gt_u32_e32 8, v53
; %bb.945:                              ;   in Loop: Header=BB278_545 Depth=1
	s_delay_alu instid0(VALU_DEP_3) | instskip(NEXT) | instid1(VALU_DEP_1)
	v_clz_i32_u32_e32 v1, v1
	v_min_u32_e32 v1, 32, v1
	s_delay_alu instid0(VALU_DEP_1) | instskip(NEXT) | instid1(VALU_DEP_1)
	v_subrev_nc_u32_e32 v52, 28, v1
	v_lshlrev_b64_e32 v[53:54], v52, v[9:10]
	v_sub_nc_u32_e32 v52, 29, v1
	s_delay_alu instid0(VALU_DEP_2)
	v_and_b32_e32 v1, 7, v53
; %bb.946:                              ;   in Loop: Header=BB278_545 Depth=1
	s_wait_alu 0xfffe
	s_or_b32 exec_lo, exec_lo, s15
	v_lshlrev_b32_e32 v53, 8, v9
	v_lshl_add_u32 v52, v52, 10, 0x2000
	v_lshlrev_b32_e32 v1, 7, v1
	s_delay_alu instid0(VALU_DEP_3) | instskip(NEXT) | instid1(VALU_DEP_3)
	v_and_b32_e32 v53, 0x8000, v53
	v_and_b32_e32 v52, 0xfc00, v52
	s_delay_alu instid0(VALU_DEP_1)
	v_or3_b32 v52, v53, v52, v1
.LBB278_947:                            ;   in Loop: Header=BB278_545 Depth=1
	s_wait_alu 0xfffe
	s_or_b32 exec_lo, exec_lo, s14
.LBB278_948:                            ;   in Loop: Header=BB278_545 Depth=1
	s_wait_alu 0xfffe
	s_or_b32 exec_lo, exec_lo, s13
.LBB278_949:                            ;   in Loop: Header=BB278_545 Depth=1
	s_wait_alu 0xfffe
	s_or_b32 exec_lo, exec_lo, s12
	v_lshrrev_b16 v1, 8, v9
	s_mov_b32 s12, exec_lo
	s_delay_alu instid0(VALU_DEP_1)
	v_cmpx_ne_u16_e32 0, v1
	s_cbranch_execz .LBB278_957
; %bb.950:                              ;   in Loop: Header=BB278_545 Depth=1
	v_bfrev_b32_e32 v51, 1
	s_mov_b32 s13, exec_lo
	v_cmpx_ne_u16_e32 0x80, v1
	s_cbranch_execz .LBB278_956
; %bb.951:                              ;   in Loop: Header=BB278_545 Depth=1
	v_and_b32_e32 v53, 0xffff, v1
	v_mov_b32_e32 v51, 0x7c010000
	s_mov_b32 s14, exec_lo
	s_delay_alu instid0(VALU_DEP_2) | instskip(NEXT) | instid1(VALU_DEP_1)
	v_and_b32_e32 v55, 0x7f, v53
	v_cmpx_ne_u32_e32 0x7f, v55
	s_cbranch_execz .LBB278_955
; %bb.952:                              ;   in Loop: Header=BB278_545 Depth=1
	v_and_b32_e32 v51, 7, v53
	v_lshrrev_b32_e32 v54, 3, v55
	s_mov_b32 s15, exec_lo
	v_cmpx_gt_u32_e32 8, v55
; %bb.953:                              ;   in Loop: Header=BB278_545 Depth=1
	s_delay_alu instid0(VALU_DEP_3) | instskip(NEXT) | instid1(VALU_DEP_1)
	v_clz_i32_u32_e32 v51, v51
	v_min_u32_e32 v51, 32, v51
	s_delay_alu instid0(VALU_DEP_1) | instskip(NEXT) | instid1(VALU_DEP_1)
	v_subrev_nc_u32_e32 v54, 28, v51
	v_lshlrev_b64_e32 v[55:56], v54, v[1:2]
	v_sub_nc_u32_e32 v54, 29, v51
	s_delay_alu instid0(VALU_DEP_2)
	v_and_b32_e32 v51, 7, v55
; %bb.954:                              ;   in Loop: Header=BB278_545 Depth=1
	s_wait_alu 0xfffe
	s_or_b32 exec_lo, exec_lo, s15
	v_lshlrev_b32_e32 v1, 8, v53
	v_lshl_add_u32 v53, v54, 10, 0x2000
	v_lshlrev_b32_e32 v51, 23, v51
	s_delay_alu instid0(VALU_DEP_2) | instskip(NEXT) | instid1(VALU_DEP_1)
	v_and_or_b32 v1, 0x8000, v1, v53
	v_lshl_or_b32 v51, v1, 16, v51
.LBB278_955:                            ;   in Loop: Header=BB278_545 Depth=1
	s_wait_alu 0xfffe
	s_or_b32 exec_lo, exec_lo, s14
.LBB278_956:                            ;   in Loop: Header=BB278_545 Depth=1
	s_wait_alu 0xfffe
	s_or_b32 exec_lo, exec_lo, s13
.LBB278_957:                            ;   in Loop: Header=BB278_545 Depth=1
	s_wait_alu 0xfffe
	s_or_b32 exec_lo, exec_lo, s12
	v_lshrrev_b32_e32 v1, 16, v9
	v_mov_b32_e32 v53, 0
	s_mov_b32 s12, exec_lo
	s_delay_alu instid0(VALU_DEP_2) | instskip(NEXT) | instid1(VALU_DEP_1)
	v_dual_mov_b32 v54, 0 :: v_dual_and_b32 v55, 0xff, v1
	v_cmpx_ne_u16_e32 0, v55
	s_cbranch_execz .LBB278_965
; %bb.958:                              ;   in Loop: Header=BB278_545 Depth=1
	v_mov_b32_e32 v54, 0x8000
	s_mov_b32 s13, exec_lo
	v_cmpx_ne_u16_e32 0x80, v55
	s_cbranch_execz .LBB278_964
; %bb.959:                              ;   in Loop: Header=BB278_545 Depth=1
	v_bfe_u32 v56, v9, 16, 7
	v_mov_b32_e32 v54, 0x7c01
	s_mov_b32 s14, exec_lo
	s_delay_alu instid0(VALU_DEP_2)
	v_cmpx_ne_u32_e32 0x7f, v56
	s_cbranch_execz .LBB278_963
; %bb.960:                              ;   in Loop: Header=BB278_545 Depth=1
	v_and_b32_e32 v54, 7, v1
	v_lshrrev_b32_e32 v55, 3, v56
	s_mov_b32 s15, exec_lo
	v_cmpx_gt_u32_e32 8, v56
; %bb.961:                              ;   in Loop: Header=BB278_545 Depth=1
	s_delay_alu instid0(VALU_DEP_3) | instskip(NEXT) | instid1(VALU_DEP_1)
	v_clz_i32_u32_e32 v54, v54
	v_min_u32_e32 v56, 32, v54
	s_delay_alu instid0(VALU_DEP_1) | instskip(NEXT) | instid1(VALU_DEP_1)
	v_subrev_nc_u32_e32 v54, 28, v56
	v_lshlrev_b64_e32 v[54:55], v54, v[1:2]
	v_sub_nc_u32_e32 v55, 29, v56
	s_delay_alu instid0(VALU_DEP_2)
	v_and_b32_e32 v54, 7, v54
; %bb.962:                              ;   in Loop: Header=BB278_545 Depth=1
	s_wait_alu 0xfffe
	s_or_b32 exec_lo, exec_lo, s15
	v_lshlrev_b32_e32 v1, 8, v1
	v_lshl_add_u32 v55, v55, 10, 0x2000
	v_lshlrev_b32_e32 v54, 7, v54
	s_delay_alu instid0(VALU_DEP_3) | instskip(NEXT) | instid1(VALU_DEP_3)
	v_and_b32_e32 v1, 0x8000, v1
	v_and_b32_e32 v55, 0xfc00, v55
	s_delay_alu instid0(VALU_DEP_1)
	v_or3_b32 v54, v1, v55, v54
.LBB278_963:                            ;   in Loop: Header=BB278_545 Depth=1
	s_wait_alu 0xfffe
	s_or_b32 exec_lo, exec_lo, s14
.LBB278_964:                            ;   in Loop: Header=BB278_545 Depth=1
	s_wait_alu 0xfffe
	s_or_b32 exec_lo, exec_lo, s13
.LBB278_965:                            ;   in Loop: Header=BB278_545 Depth=1
	s_wait_alu 0xfffe
	s_or_b32 exec_lo, exec_lo, s12
	s_delay_alu instid0(SALU_CYCLE_1)
	s_mov_b32 s12, exec_lo
	v_cmpx_lt_u32_e32 0xffffff, v9
	s_cbranch_execz .LBB278_973
; %bb.966:                              ;   in Loop: Header=BB278_545 Depth=1
	v_lshrrev_b32_e32 v1, 24, v9
	v_bfrev_b32_e32 v53, 1
	s_mov_b32 s13, exec_lo
	s_delay_alu instid0(VALU_DEP_2)
	v_cmpx_ne_u32_e32 0x80, v1
	s_cbranch_execz .LBB278_972
; %bb.967:                              ;   in Loop: Header=BB278_545 Depth=1
	v_and_b32_e32 v56, 0x7f, v1
	v_mov_b32_e32 v53, 0x7c010000
	s_mov_b32 s14, exec_lo
	s_delay_alu instid0(VALU_DEP_2)
	v_cmpx_ne_u32_e32 0x7f, v56
	s_cbranch_execz .LBB278_971
; %bb.968:                              ;   in Loop: Header=BB278_545 Depth=1
	v_and_b32_e32 v53, 7, v1
	v_lshrrev_b32_e32 v55, 3, v56
	s_mov_b32 s15, exec_lo
	v_cmpx_gt_u32_e32 8, v56
; %bb.969:                              ;   in Loop: Header=BB278_545 Depth=1
	s_delay_alu instid0(VALU_DEP_3) | instskip(NEXT) | instid1(VALU_DEP_1)
	v_clz_i32_u32_e32 v53, v53
	v_min_u32_e32 v53, 32, v53
	s_delay_alu instid0(VALU_DEP_1) | instskip(NEXT) | instid1(VALU_DEP_1)
	v_subrev_nc_u32_e32 v55, 28, v53
	v_lshlrev_b64_e32 v[56:57], v55, v[1:2]
	v_sub_nc_u32_e32 v55, 29, v53
	s_delay_alu instid0(VALU_DEP_2)
	v_and_b32_e32 v53, 7, v56
; %bb.970:                              ;   in Loop: Header=BB278_545 Depth=1
	s_wait_alu 0xfffe
	s_or_b32 exec_lo, exec_lo, s15
	v_lshlrev_b32_e32 v1, 8, v1
	v_lshl_add_u32 v55, v55, 10, 0x2000
	v_lshlrev_b32_e32 v53, 23, v53
	s_delay_alu instid0(VALU_DEP_2) | instskip(NEXT) | instid1(VALU_DEP_1)
	v_and_or_b32 v1, 0x8000, v1, v55
	v_lshl_or_b32 v53, v1, 16, v53
.LBB278_971:                            ;   in Loop: Header=BB278_545 Depth=1
	s_wait_alu 0xfffe
	s_or_b32 exec_lo, exec_lo, s14
.LBB278_972:                            ;   in Loop: Header=BB278_545 Depth=1
	s_wait_alu 0xfffe
	s_or_b32 exec_lo, exec_lo, s13
.LBB278_973:                            ;   in Loop: Header=BB278_545 Depth=1
	s_wait_alu 0xfffe
	s_or_b32 exec_lo, exec_lo, s12
	v_dual_mov_b32 v56, 0 :: v_dual_and_b32 v57, 0xff, v10
	v_mov_b32_e32 v1, v10
	v_mov_b32_e32 v55, 0
	s_mov_b32 s12, exec_lo
	s_delay_alu instid0(VALU_DEP_3)
	v_cmpx_ne_u16_e32 0, v57
	s_cbranch_execz .LBB278_981
; %bb.974:                              ;   in Loop: Header=BB278_545 Depth=1
	v_mov_b32_e32 v56, 0x8000
	s_mov_b32 s13, exec_lo
	v_cmpx_ne_u16_e32 0x80, v57
	s_cbranch_execz .LBB278_980
; %bb.975:                              ;   in Loop: Header=BB278_545 Depth=1
	v_and_b32_e32 v58, 0x7f, v10
	v_mov_b32_e32 v56, 0x7c01
	s_mov_b32 s14, exec_lo
	s_delay_alu instid0(VALU_DEP_2)
	v_cmpx_ne_u32_e32 0x7f, v58
	s_cbranch_execz .LBB278_979
; %bb.976:                              ;   in Loop: Header=BB278_545 Depth=1
	v_and_b32_e32 v56, 7, v10
	v_lshrrev_b32_e32 v57, 3, v58
	s_mov_b32 s15, exec_lo
	v_cmpx_gt_u32_e32 8, v58
; %bb.977:                              ;   in Loop: Header=BB278_545 Depth=1
	s_delay_alu instid0(VALU_DEP_3) | instskip(NEXT) | instid1(VALU_DEP_1)
	v_clz_i32_u32_e32 v56, v56
	v_min_u32_e32 v58, 32, v56
	s_delay_alu instid0(VALU_DEP_1) | instskip(NEXT) | instid1(VALU_DEP_1)
	v_subrev_nc_u32_e32 v56, 28, v58
	v_lshlrev_b64_e32 v[56:57], v56, v[1:2]
	v_sub_nc_u32_e32 v57, 29, v58
	s_delay_alu instid0(VALU_DEP_2)
	v_and_b32_e32 v56, 7, v56
; %bb.978:                              ;   in Loop: Header=BB278_545 Depth=1
	s_wait_alu 0xfffe
	s_or_b32 exec_lo, exec_lo, s15
	v_lshlrev_b32_e32 v58, 8, v10
	v_lshl_add_u32 v57, v57, 10, 0x2000
	v_lshlrev_b32_e32 v56, 7, v56
	s_delay_alu instid0(VALU_DEP_3) | instskip(NEXT) | instid1(VALU_DEP_3)
	v_and_b32_e32 v58, 0x8000, v58
	v_and_b32_e32 v57, 0xfc00, v57
	s_delay_alu instid0(VALU_DEP_1)
	v_or3_b32 v56, v58, v57, v56
.LBB278_979:                            ;   in Loop: Header=BB278_545 Depth=1
	s_wait_alu 0xfffe
	s_or_b32 exec_lo, exec_lo, s14
.LBB278_980:                            ;   in Loop: Header=BB278_545 Depth=1
	s_wait_alu 0xfffe
	s_or_b32 exec_lo, exec_lo, s13
.LBB278_981:                            ;   in Loop: Header=BB278_545 Depth=1
	s_wait_alu 0xfffe
	s_or_b32 exec_lo, exec_lo, s12
	v_lshrrev_b16 v1, 8, v1
	v_mov_b32_e32 v57, 0
	s_mov_b32 s12, exec_lo
	s_delay_alu instid0(VALU_DEP_2)
	v_cmpx_ne_u16_e32 0, v1
	s_cbranch_execz .LBB278_989
; %bb.982:                              ;   in Loop: Header=BB278_545 Depth=1
	v_bfrev_b32_e32 v57, 1
	s_mov_b32 s13, exec_lo
	v_cmpx_ne_u16_e32 0x80, v1
	s_cbranch_execz .LBB278_988
; %bb.983:                              ;   in Loop: Header=BB278_545 Depth=1
	v_and_b32_e32 v58, 0xffff, v1
	v_mov_b32_e32 v57, 0x7c010000
	s_mov_b32 s14, exec_lo
	s_delay_alu instid0(VALU_DEP_2) | instskip(NEXT) | instid1(VALU_DEP_1)
	v_and_b32_e32 v60, 0x7f, v58
	v_cmpx_ne_u32_e32 0x7f, v60
	s_cbranch_execz .LBB278_987
; %bb.984:                              ;   in Loop: Header=BB278_545 Depth=1
	v_and_b32_e32 v57, 7, v58
	v_lshrrev_b32_e32 v59, 3, v60
	s_mov_b32 s15, exec_lo
	v_cmpx_gt_u32_e32 8, v60
; %bb.985:                              ;   in Loop: Header=BB278_545 Depth=1
	s_delay_alu instid0(VALU_DEP_3) | instskip(NEXT) | instid1(VALU_DEP_1)
	v_clz_i32_u32_e32 v57, v57
	v_min_u32_e32 v57, 32, v57
	s_delay_alu instid0(VALU_DEP_1) | instskip(NEXT) | instid1(VALU_DEP_1)
	v_subrev_nc_u32_e32 v59, 28, v57
	v_lshlrev_b64_e32 v[60:61], v59, v[1:2]
	v_sub_nc_u32_e32 v59, 29, v57
	s_delay_alu instid0(VALU_DEP_2)
	v_and_b32_e32 v57, 7, v60
; %bb.986:                              ;   in Loop: Header=BB278_545 Depth=1
	s_wait_alu 0xfffe
	s_or_b32 exec_lo, exec_lo, s15
	v_lshlrev_b32_e32 v1, 8, v58
	v_lshl_add_u32 v58, v59, 10, 0x2000
	v_lshlrev_b32_e32 v57, 23, v57
	s_delay_alu instid0(VALU_DEP_2) | instskip(NEXT) | instid1(VALU_DEP_1)
	v_and_or_b32 v1, 0x8000, v1, v58
	v_lshl_or_b32 v57, v1, 16, v57
.LBB278_987:                            ;   in Loop: Header=BB278_545 Depth=1
	s_wait_alu 0xfffe
	s_or_b32 exec_lo, exec_lo, s14
.LBB278_988:                            ;   in Loop: Header=BB278_545 Depth=1
	s_wait_alu 0xfffe
	s_or_b32 exec_lo, exec_lo, s13
.LBB278_989:                            ;   in Loop: Header=BB278_545 Depth=1
	s_wait_alu 0xfffe
	s_or_b32 exec_lo, exec_lo, s12
	v_lshrrev_b32_e32 v1, 16, v10
	s_mov_b32 s12, exec_lo
	s_delay_alu instid0(VALU_DEP_1) | instskip(NEXT) | instid1(VALU_DEP_1)
	v_and_b32_e32 v58, 0xff, v1
	v_cmpx_ne_u16_e32 0, v58
	s_cbranch_execz .LBB278_997
; %bb.990:                              ;   in Loop: Header=BB278_545 Depth=1
	v_mov_b32_e32 v55, 0x8000
	s_mov_b32 s13, exec_lo
	v_cmpx_ne_u16_e32 0x80, v58
	s_cbranch_execz .LBB278_996
; %bb.991:                              ;   in Loop: Header=BB278_545 Depth=1
	v_bfe_u32 v59, v10, 16, 7
	v_mov_b32_e32 v55, 0x7c01
	s_mov_b32 s14, exec_lo
	s_delay_alu instid0(VALU_DEP_2)
	v_cmpx_ne_u32_e32 0x7f, v59
	s_cbranch_execz .LBB278_995
; %bb.992:                              ;   in Loop: Header=BB278_545 Depth=1
	v_and_b32_e32 v55, 7, v1
	v_lshrrev_b32_e32 v58, 3, v59
	s_mov_b32 s15, exec_lo
	v_cmpx_gt_u32_e32 8, v59
; %bb.993:                              ;   in Loop: Header=BB278_545 Depth=1
	s_delay_alu instid0(VALU_DEP_3) | instskip(NEXT) | instid1(VALU_DEP_1)
	v_clz_i32_u32_e32 v55, v55
	v_min_u32_e32 v55, 32, v55
	s_delay_alu instid0(VALU_DEP_1) | instskip(NEXT) | instid1(VALU_DEP_1)
	v_subrev_nc_u32_e32 v58, 28, v55
	v_lshlrev_b64_e32 v[59:60], v58, v[1:2]
	v_sub_nc_u32_e32 v58, 29, v55
	s_delay_alu instid0(VALU_DEP_2)
	v_and_b32_e32 v55, 7, v59
; %bb.994:                              ;   in Loop: Header=BB278_545 Depth=1
	s_wait_alu 0xfffe
	s_or_b32 exec_lo, exec_lo, s15
	v_lshlrev_b32_e32 v1, 8, v1
	v_lshl_add_u32 v58, v58, 10, 0x2000
	v_lshlrev_b32_e32 v55, 7, v55
	s_delay_alu instid0(VALU_DEP_3) | instskip(NEXT) | instid1(VALU_DEP_3)
	v_and_b32_e32 v1, 0x8000, v1
	v_and_b32_e32 v58, 0xfc00, v58
	s_delay_alu instid0(VALU_DEP_1)
	v_or3_b32 v55, v1, v58, v55
.LBB278_995:                            ;   in Loop: Header=BB278_545 Depth=1
	s_wait_alu 0xfffe
	s_or_b32 exec_lo, exec_lo, s14
.LBB278_996:                            ;   in Loop: Header=BB278_545 Depth=1
	s_wait_alu 0xfffe
	s_or_b32 exec_lo, exec_lo, s13
.LBB278_997:                            ;   in Loop: Header=BB278_545 Depth=1
	s_wait_alu 0xfffe
	s_or_b32 exec_lo, exec_lo, s12
	v_cmp_lt_u64_e64 s0, s[8:9], v[9:10]
	v_mov_b32_e32 v9, 0
	s_and_saveexec_b32 s12, s0
	s_cbranch_execz .LBB278_1005
; %bb.998:                              ;   in Loop: Header=BB278_545 Depth=1
	v_lshrrev_b32_e32 v1, 24, v10
	v_bfrev_b32_e32 v9, 1
	s_mov_b32 s13, exec_lo
	s_delay_alu instid0(VALU_DEP_2)
	v_cmpx_ne_u32_e32 0x80, v1
	s_cbranch_execz .LBB278_1004
; %bb.999:                              ;   in Loop: Header=BB278_545 Depth=1
	v_and_b32_e32 v58, 0x7f, v1
	v_mov_b32_e32 v9, 0x7c010000
	s_mov_b32 s14, exec_lo
	s_delay_alu instid0(VALU_DEP_2)
	v_cmpx_ne_u32_e32 0x7f, v58
	s_cbranch_execz .LBB278_1003
; %bb.1000:                             ;   in Loop: Header=BB278_545 Depth=1
	v_and_b32_e32 v9, 7, v1
	v_lshrrev_b32_e32 v10, 3, v58
	s_mov_b32 s15, exec_lo
	v_cmpx_gt_u32_e32 8, v58
; %bb.1001:                             ;   in Loop: Header=BB278_545 Depth=1
	s_delay_alu instid0(VALU_DEP_3) | instskip(NEXT) | instid1(VALU_DEP_1)
	v_clz_i32_u32_e32 v9, v9
	v_min_u32_e32 v58, 32, v9
	s_delay_alu instid0(VALU_DEP_1) | instskip(NEXT) | instid1(VALU_DEP_1)
	v_subrev_nc_u32_e32 v9, 28, v58
	v_lshlrev_b64_e32 v[9:10], v9, v[1:2]
	v_sub_nc_u32_e32 v10, 29, v58
	s_delay_alu instid0(VALU_DEP_2)
	v_and_b32_e32 v9, 7, v9
; %bb.1002:                             ;   in Loop: Header=BB278_545 Depth=1
	s_wait_alu 0xfffe
	s_or_b32 exec_lo, exec_lo, s15
	v_lshlrev_b32_e32 v1, 8, v1
	v_lshl_add_u32 v10, v10, 10, 0x2000
	v_lshlrev_b32_e32 v9, 23, v9
	s_delay_alu instid0(VALU_DEP_2) | instskip(NEXT) | instid1(VALU_DEP_1)
	v_and_or_b32 v1, 0x8000, v1, v10
	v_lshl_or_b32 v9, v1, 16, v9
.LBB278_1003:                           ;   in Loop: Header=BB278_545 Depth=1
	s_wait_alu 0xfffe
	s_or_b32 exec_lo, exec_lo, s14
.LBB278_1004:                           ;   in Loop: Header=BB278_545 Depth=1
	s_wait_alu 0xfffe
	s_or_b32 exec_lo, exec_lo, s13
.LBB278_1005:                           ;   in Loop: Header=BB278_545 Depth=1
	s_wait_alu 0xfffe
	s_or_b32 exec_lo, exec_lo, s12
	v_or_b32_e32 v1, v53, v54
	s_wait_loadcnt 0x0
	v_fma_mixlo_f16 v10, v50, v53, 0 op_sel:[0,1,0] op_sel_hi:[0,1,0]
	v_or_b32_e32 v53, v51, v52
	v_fma_mixlo_f16 v51, v50, v51, 0 op_sel:[0,1,0] op_sel_hi:[0,1,0]
	v_or_b32_e32 v54, v57, v56
	v_or_b32_e32 v55, v9, v55
	v_fma_mixlo_f16 v56, v50, v1, 0 op_sel_hi:[0,1,0]
	v_fma_mixlo_f16 v9, v50, v9, 0 op_sel:[0,1,0] op_sel_hi:[0,1,0]
	v_lshlrev_b32_e32 v52, 16, v51
	v_fma_mixlo_f16 v51, v50, v53, 0 op_sel_hi:[0,1,0]
	v_fma_mixlo_f16 v53, v50, v57, 0 op_sel:[0,1,0] op_sel_hi:[0,1,0]
	v_fma_mixlo_f16 v54, v50, v54, 0 op_sel_hi:[0,1,0]
	v_fma_mixlo_f16 v55, v50, v55, 0 op_sel_hi:[0,1,0]
	v_lshlrev_b32_e32 v1, 16, v10
	v_and_b32_e32 v10, 0xffff, v56
	v_and_b32_e32 v58, 0xffff, v51
	v_lshlrev_b32_e32 v50, 16, v53
	v_and_b32_e32 v54, 0xffff, v54
	v_lshlrev_b32_e32 v9, 16, v9
	v_and_b32_e32 v51, 0xffff, v55
	v_or_b32_e32 v53, v1, v10
	v_or_b32_e32 v57, v52, v58
	;; [unrolled: 1-line block ×3, first 2 shown]
	s_delay_alu instid0(VALU_DEP_4)
	v_or_b32_e32 v55, v9, v51
	s_and_saveexec_b32 s12, vcc_lo
	s_cbranch_execz .LBB278_1007
; %bb.1006:                             ;   in Loop: Header=BB278_545 Depth=1
	v_cmp_gt_i32_e64 s0, s27, v15
	s_wait_alu 0xf1ff
	s_delay_alu instid0(VALU_DEP_1) | instskip(SKIP_2) | instid1(VALU_DEP_1)
	v_cndmask_b32_e64 v53, 0, v58, s0
	v_cmp_gt_i32_e64 s0, s27, v33
	s_wait_alu 0xf1ff
	v_cndmask_b32_e64 v52, 0, v52, s0
	v_cmp_gt_i32_e64 s0, s27, v32
	s_delay_alu instid0(VALU_DEP_2) | instskip(SKIP_1) | instid1(VALU_DEP_2)
	v_or_b32_e32 v57, v52, v53
	s_wait_alu 0xf1ff
	v_cndmask_b32_e64 v10, 0, v10, s0
	v_cmp_gt_i32_e64 s0, s27, v31
	s_wait_alu 0xf1ff
	s_delay_alu instid0(VALU_DEP_1) | instskip(SKIP_1) | instid1(VALU_DEP_2)
	v_cndmask_b32_e64 v1, 0, v1, s0
	v_cmp_gt_i32_e64 s0, s27, v30
	v_or_b32_e32 v53, v1, v10
	s_wait_alu 0xf1ff
	s_delay_alu instid0(VALU_DEP_2) | instskip(SKIP_2) | instid1(VALU_DEP_1)
	v_cndmask_b32_e64 v54, 0, v54, s0
	v_cmp_gt_i32_e64 s0, s27, v29
	s_wait_alu 0xf1ff
	v_cndmask_b32_e64 v50, 0, v50, s0
	v_cmp_gt_i32_e64 s0, s27, v28
	s_delay_alu instid0(VALU_DEP_2) | instskip(SKIP_1) | instid1(VALU_DEP_2)
	v_or_b32_e32 v56, v50, v54
	s_wait_alu 0xf1ff
	v_cndmask_b32_e64 v51, 0, v51, s0
	v_cmp_gt_i32_e64 s0, s27, v26
	s_wait_alu 0xf1ff
	s_delay_alu instid0(VALU_DEP_1) | instskip(NEXT) | instid1(VALU_DEP_1)
	v_cndmask_b32_e64 v9, 0, v9, s0
	v_or_b32_e32 v55, v9, v51
.LBB278_1007:                           ;   in Loop: Header=BB278_545 Depth=1
	s_wait_alu 0xfffe
	s_or_b32 exec_lo, exec_lo, s12
	;;#ASMSTART
	v_pk_mul_f16 v1, v38, v57;

	;;#ASMEND
	;;#ASMSTART
	v_pk_mul_f16 v9, v36, v53;

	;;#ASMEND
	;; [unrolled: 4-line block ×4, first 2 shown]
	;;#ASMSTART
	v_pk_add_f16 v1, v1, v9;

	;;#ASMEND
	;;#ASMSTART
	v_pk_add_f16 v1, v1, v10;

	;;#ASMEND
	;; [unrolled: 4-line block ×3, first 2 shown]
	v_dual_mov_b32 v52, 0 :: v_dual_and_b32 v9, 0xffff, v1
	v_lshrrev_b32_e32 v1, 16, v1
	;;#ASMSTART
	v_cvt_f32_f16 v9, v9;
	;;#ASMEND
	;;#ASMSTART
	v_cvt_f32_f16 v10, v1;
	;;#ASMEND
	global_load_b64 v[7:8], v[7:8], off offset:1792
	v_mov_b32_e32 v51, 0
	s_mov_b32 s12, exec_lo
	global_load_b32 v50, v51, s[10:11]
	s_wait_loadcnt 0x1
	v_and_b32_e32 v1, 0xff, v7
	s_delay_alu instid0(VALU_DEP_1)
	v_cmpx_ne_u16_e32 0, v1
	s_cbranch_execz .LBB278_1015
; %bb.1008:                             ;   in Loop: Header=BB278_545 Depth=1
	v_mov_b32_e32 v52, 0x8000
	s_mov_b32 s13, exec_lo
	v_cmpx_ne_u16_e32 0x80, v1
	s_cbranch_execz .LBB278_1014
; %bb.1009:                             ;   in Loop: Header=BB278_545 Depth=1
	v_and_b32_e32 v53, 0x7f, v7
	v_mov_b32_e32 v52, 0x7c01
	s_mov_b32 s14, exec_lo
	s_delay_alu instid0(VALU_DEP_2)
	v_cmpx_ne_u32_e32 0x7f, v53
	s_cbranch_execz .LBB278_1013
; %bb.1010:                             ;   in Loop: Header=BB278_545 Depth=1
	v_and_b32_e32 v1, 7, v7
	v_lshrrev_b32_e32 v52, 3, v53
	s_mov_b32 s15, exec_lo
	v_cmpx_gt_u32_e32 8, v53
; %bb.1011:                             ;   in Loop: Header=BB278_545 Depth=1
	s_delay_alu instid0(VALU_DEP_3) | instskip(NEXT) | instid1(VALU_DEP_1)
	v_clz_i32_u32_e32 v1, v1
	v_min_u32_e32 v1, 32, v1
	s_delay_alu instid0(VALU_DEP_1) | instskip(NEXT) | instid1(VALU_DEP_1)
	v_subrev_nc_u32_e32 v52, 28, v1
	v_lshlrev_b64_e32 v[53:54], v52, v[7:8]
	v_sub_nc_u32_e32 v52, 29, v1
	s_delay_alu instid0(VALU_DEP_2)
	v_and_b32_e32 v1, 7, v53
; %bb.1012:                             ;   in Loop: Header=BB278_545 Depth=1
	s_wait_alu 0xfffe
	s_or_b32 exec_lo, exec_lo, s15
	v_lshlrev_b32_e32 v53, 8, v7
	v_lshl_add_u32 v52, v52, 10, 0x2000
	v_lshlrev_b32_e32 v1, 7, v1
	s_delay_alu instid0(VALU_DEP_3) | instskip(NEXT) | instid1(VALU_DEP_3)
	v_and_b32_e32 v53, 0x8000, v53
	v_and_b32_e32 v52, 0xfc00, v52
	s_delay_alu instid0(VALU_DEP_1)
	v_or3_b32 v52, v53, v52, v1
.LBB278_1013:                           ;   in Loop: Header=BB278_545 Depth=1
	s_wait_alu 0xfffe
	s_or_b32 exec_lo, exec_lo, s14
.LBB278_1014:                           ;   in Loop: Header=BB278_545 Depth=1
	s_wait_alu 0xfffe
	s_or_b32 exec_lo, exec_lo, s13
.LBB278_1015:                           ;   in Loop: Header=BB278_545 Depth=1
	s_wait_alu 0xfffe
	s_or_b32 exec_lo, exec_lo, s12
	v_lshrrev_b16 v1, 8, v7
	s_mov_b32 s12, exec_lo
	s_delay_alu instid0(VALU_DEP_1)
	v_cmpx_ne_u16_e32 0, v1
	s_cbranch_execz .LBB278_1023
; %bb.1016:                             ;   in Loop: Header=BB278_545 Depth=1
	v_bfrev_b32_e32 v51, 1
	s_mov_b32 s13, exec_lo
	v_cmpx_ne_u16_e32 0x80, v1
	s_cbranch_execz .LBB278_1022
; %bb.1017:                             ;   in Loop: Header=BB278_545 Depth=1
	v_and_b32_e32 v53, 0xffff, v1
	v_mov_b32_e32 v51, 0x7c010000
	s_mov_b32 s14, exec_lo
	s_delay_alu instid0(VALU_DEP_2) | instskip(NEXT) | instid1(VALU_DEP_1)
	v_and_b32_e32 v55, 0x7f, v53
	v_cmpx_ne_u32_e32 0x7f, v55
	s_cbranch_execz .LBB278_1021
; %bb.1018:                             ;   in Loop: Header=BB278_545 Depth=1
	v_and_b32_e32 v51, 7, v53
	v_lshrrev_b32_e32 v54, 3, v55
	s_mov_b32 s15, exec_lo
	v_cmpx_gt_u32_e32 8, v55
; %bb.1019:                             ;   in Loop: Header=BB278_545 Depth=1
	s_delay_alu instid0(VALU_DEP_3) | instskip(NEXT) | instid1(VALU_DEP_1)
	v_clz_i32_u32_e32 v51, v51
	v_min_u32_e32 v51, 32, v51
	s_delay_alu instid0(VALU_DEP_1) | instskip(NEXT) | instid1(VALU_DEP_1)
	v_subrev_nc_u32_e32 v54, 28, v51
	v_lshlrev_b64_e32 v[55:56], v54, v[1:2]
	v_sub_nc_u32_e32 v54, 29, v51
	s_delay_alu instid0(VALU_DEP_2)
	v_and_b32_e32 v51, 7, v55
; %bb.1020:                             ;   in Loop: Header=BB278_545 Depth=1
	s_wait_alu 0xfffe
	s_or_b32 exec_lo, exec_lo, s15
	v_lshlrev_b32_e32 v1, 8, v53
	v_lshl_add_u32 v53, v54, 10, 0x2000
	v_lshlrev_b32_e32 v51, 23, v51
	s_delay_alu instid0(VALU_DEP_2) | instskip(NEXT) | instid1(VALU_DEP_1)
	v_and_or_b32 v1, 0x8000, v1, v53
	v_lshl_or_b32 v51, v1, 16, v51
.LBB278_1021:                           ;   in Loop: Header=BB278_545 Depth=1
	s_wait_alu 0xfffe
	s_or_b32 exec_lo, exec_lo, s14
.LBB278_1022:                           ;   in Loop: Header=BB278_545 Depth=1
	s_wait_alu 0xfffe
	s_or_b32 exec_lo, exec_lo, s13
.LBB278_1023:                           ;   in Loop: Header=BB278_545 Depth=1
	s_wait_alu 0xfffe
	s_or_b32 exec_lo, exec_lo, s12
	v_lshrrev_b32_e32 v1, 16, v7
	v_mov_b32_e32 v53, 0
	s_mov_b32 s12, exec_lo
	s_delay_alu instid0(VALU_DEP_2) | instskip(NEXT) | instid1(VALU_DEP_1)
	v_dual_mov_b32 v54, 0 :: v_dual_and_b32 v55, 0xff, v1
	v_cmpx_ne_u16_e32 0, v55
	s_cbranch_execz .LBB278_1031
; %bb.1024:                             ;   in Loop: Header=BB278_545 Depth=1
	v_mov_b32_e32 v54, 0x8000
	s_mov_b32 s13, exec_lo
	v_cmpx_ne_u16_e32 0x80, v55
	s_cbranch_execz .LBB278_1030
; %bb.1025:                             ;   in Loop: Header=BB278_545 Depth=1
	v_bfe_u32 v56, v7, 16, 7
	v_mov_b32_e32 v54, 0x7c01
	s_mov_b32 s14, exec_lo
	s_delay_alu instid0(VALU_DEP_2)
	v_cmpx_ne_u32_e32 0x7f, v56
	s_cbranch_execz .LBB278_1029
; %bb.1026:                             ;   in Loop: Header=BB278_545 Depth=1
	v_and_b32_e32 v54, 7, v1
	v_lshrrev_b32_e32 v55, 3, v56
	s_mov_b32 s15, exec_lo
	v_cmpx_gt_u32_e32 8, v56
; %bb.1027:                             ;   in Loop: Header=BB278_545 Depth=1
	s_delay_alu instid0(VALU_DEP_3) | instskip(NEXT) | instid1(VALU_DEP_1)
	v_clz_i32_u32_e32 v54, v54
	v_min_u32_e32 v56, 32, v54
	s_delay_alu instid0(VALU_DEP_1) | instskip(NEXT) | instid1(VALU_DEP_1)
	v_subrev_nc_u32_e32 v54, 28, v56
	v_lshlrev_b64_e32 v[54:55], v54, v[1:2]
	v_sub_nc_u32_e32 v55, 29, v56
	s_delay_alu instid0(VALU_DEP_2)
	v_and_b32_e32 v54, 7, v54
; %bb.1028:                             ;   in Loop: Header=BB278_545 Depth=1
	s_wait_alu 0xfffe
	s_or_b32 exec_lo, exec_lo, s15
	v_lshlrev_b32_e32 v1, 8, v1
	v_lshl_add_u32 v55, v55, 10, 0x2000
	v_lshlrev_b32_e32 v54, 7, v54
	s_delay_alu instid0(VALU_DEP_3) | instskip(NEXT) | instid1(VALU_DEP_3)
	v_and_b32_e32 v1, 0x8000, v1
	v_and_b32_e32 v55, 0xfc00, v55
	s_delay_alu instid0(VALU_DEP_1)
	v_or3_b32 v54, v1, v55, v54
.LBB278_1029:                           ;   in Loop: Header=BB278_545 Depth=1
	s_wait_alu 0xfffe
	s_or_b32 exec_lo, exec_lo, s14
.LBB278_1030:                           ;   in Loop: Header=BB278_545 Depth=1
	s_wait_alu 0xfffe
	s_or_b32 exec_lo, exec_lo, s13
.LBB278_1031:                           ;   in Loop: Header=BB278_545 Depth=1
	s_wait_alu 0xfffe
	s_or_b32 exec_lo, exec_lo, s12
	s_delay_alu instid0(SALU_CYCLE_1)
	s_mov_b32 s12, exec_lo
	v_cmpx_lt_u32_e32 0xffffff, v7
	s_cbranch_execz .LBB278_1039
; %bb.1032:                             ;   in Loop: Header=BB278_545 Depth=1
	v_lshrrev_b32_e32 v1, 24, v7
	v_bfrev_b32_e32 v53, 1
	s_mov_b32 s13, exec_lo
	s_delay_alu instid0(VALU_DEP_2)
	v_cmpx_ne_u32_e32 0x80, v1
	s_cbranch_execz .LBB278_1038
; %bb.1033:                             ;   in Loop: Header=BB278_545 Depth=1
	v_and_b32_e32 v56, 0x7f, v1
	v_mov_b32_e32 v53, 0x7c010000
	s_mov_b32 s14, exec_lo
	s_delay_alu instid0(VALU_DEP_2)
	v_cmpx_ne_u32_e32 0x7f, v56
	s_cbranch_execz .LBB278_1037
; %bb.1034:                             ;   in Loop: Header=BB278_545 Depth=1
	v_and_b32_e32 v53, 7, v1
	v_lshrrev_b32_e32 v55, 3, v56
	s_mov_b32 s15, exec_lo
	v_cmpx_gt_u32_e32 8, v56
; %bb.1035:                             ;   in Loop: Header=BB278_545 Depth=1
	s_delay_alu instid0(VALU_DEP_3) | instskip(NEXT) | instid1(VALU_DEP_1)
	v_clz_i32_u32_e32 v53, v53
	v_min_u32_e32 v53, 32, v53
	s_delay_alu instid0(VALU_DEP_1) | instskip(NEXT) | instid1(VALU_DEP_1)
	v_subrev_nc_u32_e32 v55, 28, v53
	v_lshlrev_b64_e32 v[56:57], v55, v[1:2]
	v_sub_nc_u32_e32 v55, 29, v53
	s_delay_alu instid0(VALU_DEP_2)
	v_and_b32_e32 v53, 7, v56
; %bb.1036:                             ;   in Loop: Header=BB278_545 Depth=1
	s_wait_alu 0xfffe
	s_or_b32 exec_lo, exec_lo, s15
	v_lshlrev_b32_e32 v1, 8, v1
	v_lshl_add_u32 v55, v55, 10, 0x2000
	v_lshlrev_b32_e32 v53, 23, v53
	s_delay_alu instid0(VALU_DEP_2) | instskip(NEXT) | instid1(VALU_DEP_1)
	v_and_or_b32 v1, 0x8000, v1, v55
	v_lshl_or_b32 v53, v1, 16, v53
.LBB278_1037:                           ;   in Loop: Header=BB278_545 Depth=1
	s_wait_alu 0xfffe
	s_or_b32 exec_lo, exec_lo, s14
.LBB278_1038:                           ;   in Loop: Header=BB278_545 Depth=1
	s_wait_alu 0xfffe
	s_or_b32 exec_lo, exec_lo, s13
.LBB278_1039:                           ;   in Loop: Header=BB278_545 Depth=1
	s_wait_alu 0xfffe
	s_or_b32 exec_lo, exec_lo, s12
	v_dual_mov_b32 v56, 0 :: v_dual_and_b32 v57, 0xff, v8
	v_mov_b32_e32 v1, v8
	v_mov_b32_e32 v55, 0
	s_mov_b32 s12, exec_lo
	s_delay_alu instid0(VALU_DEP_3)
	v_cmpx_ne_u16_e32 0, v57
	s_cbranch_execz .LBB278_1047
; %bb.1040:                             ;   in Loop: Header=BB278_545 Depth=1
	v_mov_b32_e32 v56, 0x8000
	s_mov_b32 s13, exec_lo
	v_cmpx_ne_u16_e32 0x80, v57
	s_cbranch_execz .LBB278_1046
; %bb.1041:                             ;   in Loop: Header=BB278_545 Depth=1
	v_and_b32_e32 v58, 0x7f, v8
	v_mov_b32_e32 v56, 0x7c01
	s_mov_b32 s14, exec_lo
	s_delay_alu instid0(VALU_DEP_2)
	v_cmpx_ne_u32_e32 0x7f, v58
	s_cbranch_execz .LBB278_1045
; %bb.1042:                             ;   in Loop: Header=BB278_545 Depth=1
	v_and_b32_e32 v56, 7, v8
	v_lshrrev_b32_e32 v57, 3, v58
	s_mov_b32 s15, exec_lo
	v_cmpx_gt_u32_e32 8, v58
; %bb.1043:                             ;   in Loop: Header=BB278_545 Depth=1
	s_delay_alu instid0(VALU_DEP_3) | instskip(NEXT) | instid1(VALU_DEP_1)
	v_clz_i32_u32_e32 v56, v56
	v_min_u32_e32 v58, 32, v56
	s_delay_alu instid0(VALU_DEP_1) | instskip(NEXT) | instid1(VALU_DEP_1)
	v_subrev_nc_u32_e32 v56, 28, v58
	v_lshlrev_b64_e32 v[56:57], v56, v[1:2]
	v_sub_nc_u32_e32 v57, 29, v58
	s_delay_alu instid0(VALU_DEP_2)
	v_and_b32_e32 v56, 7, v56
; %bb.1044:                             ;   in Loop: Header=BB278_545 Depth=1
	s_wait_alu 0xfffe
	s_or_b32 exec_lo, exec_lo, s15
	v_lshlrev_b32_e32 v58, 8, v8
	v_lshl_add_u32 v57, v57, 10, 0x2000
	v_lshlrev_b32_e32 v56, 7, v56
	s_delay_alu instid0(VALU_DEP_3) | instskip(NEXT) | instid1(VALU_DEP_3)
	v_and_b32_e32 v58, 0x8000, v58
	v_and_b32_e32 v57, 0xfc00, v57
	s_delay_alu instid0(VALU_DEP_1)
	v_or3_b32 v56, v58, v57, v56
.LBB278_1045:                           ;   in Loop: Header=BB278_545 Depth=1
	s_wait_alu 0xfffe
	s_or_b32 exec_lo, exec_lo, s14
.LBB278_1046:                           ;   in Loop: Header=BB278_545 Depth=1
	s_wait_alu 0xfffe
	s_or_b32 exec_lo, exec_lo, s13
.LBB278_1047:                           ;   in Loop: Header=BB278_545 Depth=1
	s_wait_alu 0xfffe
	s_or_b32 exec_lo, exec_lo, s12
	v_lshrrev_b16 v1, 8, v1
	v_mov_b32_e32 v57, 0
	s_mov_b32 s12, exec_lo
	s_delay_alu instid0(VALU_DEP_2)
	v_cmpx_ne_u16_e32 0, v1
	s_cbranch_execz .LBB278_1055
; %bb.1048:                             ;   in Loop: Header=BB278_545 Depth=1
	v_bfrev_b32_e32 v57, 1
	s_mov_b32 s13, exec_lo
	v_cmpx_ne_u16_e32 0x80, v1
	s_cbranch_execz .LBB278_1054
; %bb.1049:                             ;   in Loop: Header=BB278_545 Depth=1
	v_and_b32_e32 v58, 0xffff, v1
	v_mov_b32_e32 v57, 0x7c010000
	s_mov_b32 s14, exec_lo
	s_delay_alu instid0(VALU_DEP_2) | instskip(NEXT) | instid1(VALU_DEP_1)
	v_and_b32_e32 v60, 0x7f, v58
	v_cmpx_ne_u32_e32 0x7f, v60
	s_cbranch_execz .LBB278_1053
; %bb.1050:                             ;   in Loop: Header=BB278_545 Depth=1
	v_and_b32_e32 v57, 7, v58
	v_lshrrev_b32_e32 v59, 3, v60
	s_mov_b32 s15, exec_lo
	v_cmpx_gt_u32_e32 8, v60
; %bb.1051:                             ;   in Loop: Header=BB278_545 Depth=1
	s_delay_alu instid0(VALU_DEP_3) | instskip(NEXT) | instid1(VALU_DEP_1)
	v_clz_i32_u32_e32 v57, v57
	v_min_u32_e32 v57, 32, v57
	s_delay_alu instid0(VALU_DEP_1) | instskip(NEXT) | instid1(VALU_DEP_1)
	v_subrev_nc_u32_e32 v59, 28, v57
	v_lshlrev_b64_e32 v[60:61], v59, v[1:2]
	v_sub_nc_u32_e32 v59, 29, v57
	s_delay_alu instid0(VALU_DEP_2)
	v_and_b32_e32 v57, 7, v60
; %bb.1052:                             ;   in Loop: Header=BB278_545 Depth=1
	s_wait_alu 0xfffe
	s_or_b32 exec_lo, exec_lo, s15
	v_lshlrev_b32_e32 v1, 8, v58
	v_lshl_add_u32 v58, v59, 10, 0x2000
	v_lshlrev_b32_e32 v57, 23, v57
	s_delay_alu instid0(VALU_DEP_2) | instskip(NEXT) | instid1(VALU_DEP_1)
	v_and_or_b32 v1, 0x8000, v1, v58
	v_lshl_or_b32 v57, v1, 16, v57
.LBB278_1053:                           ;   in Loop: Header=BB278_545 Depth=1
	s_wait_alu 0xfffe
	s_or_b32 exec_lo, exec_lo, s14
.LBB278_1054:                           ;   in Loop: Header=BB278_545 Depth=1
	s_wait_alu 0xfffe
	s_or_b32 exec_lo, exec_lo, s13
.LBB278_1055:                           ;   in Loop: Header=BB278_545 Depth=1
	s_wait_alu 0xfffe
	s_or_b32 exec_lo, exec_lo, s12
	v_lshrrev_b32_e32 v1, 16, v8
	s_mov_b32 s12, exec_lo
	s_delay_alu instid0(VALU_DEP_1) | instskip(NEXT) | instid1(VALU_DEP_1)
	v_and_b32_e32 v58, 0xff, v1
	v_cmpx_ne_u16_e32 0, v58
	s_cbranch_execz .LBB278_1063
; %bb.1056:                             ;   in Loop: Header=BB278_545 Depth=1
	v_mov_b32_e32 v55, 0x8000
	s_mov_b32 s13, exec_lo
	v_cmpx_ne_u16_e32 0x80, v58
	s_cbranch_execz .LBB278_1062
; %bb.1057:                             ;   in Loop: Header=BB278_545 Depth=1
	v_bfe_u32 v59, v8, 16, 7
	v_mov_b32_e32 v55, 0x7c01
	s_mov_b32 s14, exec_lo
	s_delay_alu instid0(VALU_DEP_2)
	v_cmpx_ne_u32_e32 0x7f, v59
	s_cbranch_execz .LBB278_1061
; %bb.1058:                             ;   in Loop: Header=BB278_545 Depth=1
	v_and_b32_e32 v55, 7, v1
	v_lshrrev_b32_e32 v58, 3, v59
	s_mov_b32 s15, exec_lo
	v_cmpx_gt_u32_e32 8, v59
; %bb.1059:                             ;   in Loop: Header=BB278_545 Depth=1
	s_delay_alu instid0(VALU_DEP_3) | instskip(NEXT) | instid1(VALU_DEP_1)
	v_clz_i32_u32_e32 v55, v55
	v_min_u32_e32 v55, 32, v55
	s_delay_alu instid0(VALU_DEP_1) | instskip(NEXT) | instid1(VALU_DEP_1)
	v_subrev_nc_u32_e32 v58, 28, v55
	v_lshlrev_b64_e32 v[59:60], v58, v[1:2]
	v_sub_nc_u32_e32 v58, 29, v55
	s_delay_alu instid0(VALU_DEP_2)
	v_and_b32_e32 v55, 7, v59
; %bb.1060:                             ;   in Loop: Header=BB278_545 Depth=1
	s_wait_alu 0xfffe
	s_or_b32 exec_lo, exec_lo, s15
	v_lshlrev_b32_e32 v1, 8, v1
	v_lshl_add_u32 v58, v58, 10, 0x2000
	v_lshlrev_b32_e32 v55, 7, v55
	s_delay_alu instid0(VALU_DEP_3) | instskip(NEXT) | instid1(VALU_DEP_3)
	v_and_b32_e32 v1, 0x8000, v1
	v_and_b32_e32 v58, 0xfc00, v58
	s_delay_alu instid0(VALU_DEP_1)
	v_or3_b32 v55, v1, v58, v55
.LBB278_1061:                           ;   in Loop: Header=BB278_545 Depth=1
	s_wait_alu 0xfffe
	s_or_b32 exec_lo, exec_lo, s14
.LBB278_1062:                           ;   in Loop: Header=BB278_545 Depth=1
	s_wait_alu 0xfffe
	s_or_b32 exec_lo, exec_lo, s13
.LBB278_1063:                           ;   in Loop: Header=BB278_545 Depth=1
	s_wait_alu 0xfffe
	s_or_b32 exec_lo, exec_lo, s12
	v_cmp_lt_u64_e64 s0, s[8:9], v[7:8]
	v_mov_b32_e32 v7, 0
	s_and_saveexec_b32 s12, s0
	s_cbranch_execz .LBB278_1071
; %bb.1064:                             ;   in Loop: Header=BB278_545 Depth=1
	v_lshrrev_b32_e32 v1, 24, v8
	v_bfrev_b32_e32 v7, 1
	s_mov_b32 s13, exec_lo
	s_delay_alu instid0(VALU_DEP_2)
	v_cmpx_ne_u32_e32 0x80, v1
	s_cbranch_execz .LBB278_1070
; %bb.1065:                             ;   in Loop: Header=BB278_545 Depth=1
	v_and_b32_e32 v58, 0x7f, v1
	v_mov_b32_e32 v7, 0x7c010000
	s_mov_b32 s14, exec_lo
	s_delay_alu instid0(VALU_DEP_2)
	v_cmpx_ne_u32_e32 0x7f, v58
	s_cbranch_execz .LBB278_1069
; %bb.1066:                             ;   in Loop: Header=BB278_545 Depth=1
	v_and_b32_e32 v7, 7, v1
	v_lshrrev_b32_e32 v8, 3, v58
	s_mov_b32 s15, exec_lo
	v_cmpx_gt_u32_e32 8, v58
; %bb.1067:                             ;   in Loop: Header=BB278_545 Depth=1
	s_delay_alu instid0(VALU_DEP_3) | instskip(NEXT) | instid1(VALU_DEP_1)
	v_clz_i32_u32_e32 v7, v7
	v_min_u32_e32 v58, 32, v7
	s_delay_alu instid0(VALU_DEP_1) | instskip(NEXT) | instid1(VALU_DEP_1)
	v_subrev_nc_u32_e32 v7, 28, v58
	v_lshlrev_b64_e32 v[7:8], v7, v[1:2]
	v_sub_nc_u32_e32 v8, 29, v58
	s_delay_alu instid0(VALU_DEP_2)
	v_and_b32_e32 v7, 7, v7
; %bb.1068:                             ;   in Loop: Header=BB278_545 Depth=1
	s_wait_alu 0xfffe
	s_or_b32 exec_lo, exec_lo, s15
	v_lshlrev_b32_e32 v1, 8, v1
	v_lshl_add_u32 v8, v8, 10, 0x2000
	v_lshlrev_b32_e32 v7, 23, v7
	s_delay_alu instid0(VALU_DEP_2) | instskip(NEXT) | instid1(VALU_DEP_1)
	v_and_or_b32 v1, 0x8000, v1, v8
	v_lshl_or_b32 v7, v1, 16, v7
.LBB278_1069:                           ;   in Loop: Header=BB278_545 Depth=1
	s_wait_alu 0xfffe
	s_or_b32 exec_lo, exec_lo, s14
.LBB278_1070:                           ;   in Loop: Header=BB278_545 Depth=1
	s_wait_alu 0xfffe
	s_or_b32 exec_lo, exec_lo, s13
.LBB278_1071:                           ;   in Loop: Header=BB278_545 Depth=1
	s_wait_alu 0xfffe
	s_or_b32 exec_lo, exec_lo, s12
	v_or_b32_e32 v1, v53, v54
	s_wait_loadcnt 0x0
	v_fma_mixlo_f16 v8, v50, v53, 0 op_sel:[0,1,0] op_sel_hi:[0,1,0]
	v_or_b32_e32 v52, v51, v52
	v_fma_mixlo_f16 v53, v50, v51, 0 op_sel:[0,1,0] op_sel_hi:[0,1,0]
	v_or_b32_e32 v54, v57, v56
	v_fma_mixlo_f16 v1, v50, v1, 0 op_sel_hi:[0,1,0]
	v_or_b32_e32 v55, v7, v55
	v_lshlrev_b32_e32 v51, 16, v8
	v_lshlrev_b32_e32 v56, 16, v53
	v_fma_mixlo_f16 v8, v50, v52, 0 op_sel_hi:[0,1,0]
	v_and_b32_e32 v53, 0xffff, v1
	v_fma_mixlo_f16 v1, v50, v57, 0 op_sel:[0,1,0] op_sel_hi:[0,1,0]
	v_fma_mixlo_f16 v52, v50, v54, 0 op_sel_hi:[0,1,0]
	v_fma_mixlo_f16 v7, v50, v7, 0 op_sel:[0,1,0] op_sel_hi:[0,1,0]
	v_fma_mixlo_f16 v50, v50, v55, 0 op_sel_hi:[0,1,0]
	v_and_b32_e32 v58, 0xffff, v8
	v_lshlrev_b32_e32 v54, 16, v1
	v_and_b32_e32 v57, 0xffff, v52
	v_lshlrev_b32_e32 v52, 16, v7
	v_and_b32_e32 v55, 0xffff, v50
	v_or_b32_e32 v1, v51, v53
	v_or_b32_e32 v50, v56, v58
	;; [unrolled: 1-line block ×3, first 2 shown]
	s_delay_alu instid0(VALU_DEP_4)
	v_or_b32_e32 v7, v52, v55
	s_and_saveexec_b32 s0, vcc_lo
	s_cbranch_execz .LBB278_544
; %bb.1072:                             ;   in Loop: Header=BB278_545 Depth=1
	v_cmp_gt_i32_e32 vcc_lo, s27, v15
	s_wait_alu 0xfffd
	v_cndmask_b32_e32 v1, 0, v58, vcc_lo
	v_cmp_gt_i32_e32 vcc_lo, s27, v33
	s_wait_alu 0xfffd
	v_cndmask_b32_e32 v7, 0, v56, vcc_lo
	;; [unrolled: 3-line block ×5, first 2 shown]
	v_cmp_gt_i32_e32 vcc_lo, s27, v29
	v_or_b32_e32 v50, v7, v1
	v_or_b32_e32 v1, v15, v8
	s_wait_alu 0xfffd
	v_cndmask_b32_e32 v29, 0, v54, vcc_lo
	v_cmp_gt_i32_e32 vcc_lo, s27, v28
	s_wait_alu 0xfffd
	v_cndmask_b32_e32 v28, 0, v55, vcc_lo
	v_cmp_gt_i32_e32 vcc_lo, s27, v26
	v_or_b32_e32 v8, v29, v30
	s_wait_alu 0xfffd
	v_cndmask_b32_e32 v31, 0, v52, vcc_lo
	s_delay_alu instid0(VALU_DEP_1)
	v_or_b32_e32 v7, v31, v28
	s_branch .LBB278_544
.LBB278_1073:
	s_or_b32 exec_lo, exec_lo, s5
.LBB278_1074:
	s_wait_alu 0xfffe
	s_or_b32 exec_lo, exec_lo, s1
	ds_bpermute_b32 v1, v17, v24
	ds_bpermute_b32 v2, v17, v25
	;; [unrolled: 1-line block ×8, first 2 shown]
	v_lshrrev_b32_e32 v9, 1, v18
	v_lshlrev_b32_e32 v13, 9, v13
	v_and_b32_e32 v18, 0x3c1, v0
	s_mov_b32 s0, exec_lo
	s_wait_storecnt 0x0
	s_wait_loadcnt_dscnt 0x0
	v_lshl_add_u32 v10, v9, 2, 0x120
	s_barrier_signal -1
	s_barrier_wait -1
	global_inv scope:SCOPE_SE
	v_dual_add_f32 v8, v24, v1 :: v_dual_add_f32 v7, v25, v2
	v_dual_add_f32 v6, v23, v3 :: v_dual_add_f32 v5, v22, v4
	;; [unrolled: 1-line block ×4, first 2 shown]
	v_cmpx_eq_u32_e32 64, v18
	s_cbranch_execz .LBB278_1076
; %bb.1075:
	v_add_nc_u32_e32 v14, v10, v13
	s_delay_alu instid0(VALU_DEP_1)
	v_add_nc_u32_e32 v15, 0xfffffc00, v14
	v_add_nc_u32_e32 v16, 0xfffffc40, v14
	;; [unrolled: 1-line block ×8, first 2 shown]
	ds_store_b32 v15, v8
	ds_store_b32 v16, v7
	;; [unrolled: 1-line block ×8, first 2 shown]
.LBB278_1076:
	s_wait_alu 0xfffe
	s_or_b32 exec_lo, exec_lo, s0
	v_lshlrev_b32_e32 v9, 2, v9
	s_mov_b32 s1, exec_lo
	v_cmp_eq_u32_e32 vcc_lo, 0, v12
	s_wait_loadcnt_dscnt 0x0
	s_barrier_signal -1
	v_add3_u32 v9, 0x120, v13, v9
	s_barrier_wait -1
	global_inv scope:SCOPE_SE
	v_cmpx_gt_u32_e32 64, v0
	s_cbranch_execz .LBB278_1087
; %bb.1077:
	s_and_saveexec_b32 s0, vcc_lo
	s_cbranch_execnz .LBB278_1103
; %bb.1078:
	s_wait_alu 0xfffe
	s_or_b32 exec_lo, exec_lo, s0
	s_and_saveexec_b32 s0, vcc_lo
	s_cbranch_execnz .LBB278_1104
.LBB278_1079:
	s_wait_alu 0xfffe
	s_or_b32 exec_lo, exec_lo, s0
	s_and_saveexec_b32 s0, vcc_lo
	s_cbranch_execnz .LBB278_1105
.LBB278_1080:
	s_wait_alu 0xfffe
	s_or_b32 exec_lo, exec_lo, s0
	s_and_saveexec_b32 s0, vcc_lo
	s_cbranch_execnz .LBB278_1106
.LBB278_1081:
	s_wait_alu 0xfffe
	s_or_b32 exec_lo, exec_lo, s0
	s_and_saveexec_b32 s0, vcc_lo
	s_cbranch_execnz .LBB278_1107
.LBB278_1082:
	s_wait_alu 0xfffe
	s_or_b32 exec_lo, exec_lo, s0
	s_and_saveexec_b32 s0, vcc_lo
	s_cbranch_execnz .LBB278_1108
.LBB278_1083:
	s_wait_alu 0xfffe
	s_or_b32 exec_lo, exec_lo, s0
	s_and_saveexec_b32 s0, vcc_lo
	s_cbranch_execnz .LBB278_1109
.LBB278_1084:
	s_wait_alu 0xfffe
	s_or_b32 exec_lo, exec_lo, s0
	s_and_saveexec_b32 s0, vcc_lo
	s_cbranch_execz .LBB278_1086
.LBB278_1085:
	ds_load_b32 v12, v9 offset:448
	s_wait_dscnt 0x0
	v_add_f32_e32 v1, v1, v12
.LBB278_1086:
	s_wait_alu 0xfffe
	s_or_b32 exec_lo, exec_lo, s0
.LBB278_1087:
	s_wait_alu 0xfffe
	s_or_b32 exec_lo, exec_lo, s1
	v_and_b32_e32 v0, 0x3e1, v0
	s_mov_b32 s1, exec_lo
	s_wait_loadcnt 0x0
	s_barrier_signal -1
	s_barrier_wait -1
	global_inv scope:SCOPE_SE
	v_cmpx_eq_u32_e32 32, v0
	s_cbranch_execz .LBB278_1089
; %bb.1088:
	ds_store_2addr_b32 v10, v8, v7 offset1:16
	ds_store_2addr_b32 v10, v6, v5 offset0:32 offset1:48
	ds_store_2addr_b32 v10, v4, v3 offset0:64 offset1:80
	;; [unrolled: 1-line block ×3, first 2 shown]
.LBB278_1089:
	s_wait_alu 0xfffe
	s_or_b32 exec_lo, exec_lo, s1
	s_wait_loadcnt_dscnt 0x0
	s_barrier_signal -1
	s_barrier_wait -1
	global_inv scope:SCOPE_SE
	s_and_saveexec_b32 s0, s2
	s_cbranch_execz .LBB278_1100
; %bb.1090:
	s_and_saveexec_b32 s1, vcc_lo
	s_cbranch_execnz .LBB278_1110
; %bb.1091:
	s_wait_alu 0xfffe
	s_or_b32 exec_lo, exec_lo, s1
	s_and_saveexec_b32 s1, vcc_lo
	s_cbranch_execnz .LBB278_1111
.LBB278_1092:
	s_wait_alu 0xfffe
	s_or_b32 exec_lo, exec_lo, s1
	s_and_saveexec_b32 s1, vcc_lo
	s_cbranch_execnz .LBB278_1112
.LBB278_1093:
	s_wait_alu 0xfffe
	s_or_b32 exec_lo, exec_lo, s1
	s_and_saveexec_b32 s1, vcc_lo
	s_cbranch_execnz .LBB278_1113
.LBB278_1094:
	s_wait_alu 0xfffe
	s_or_b32 exec_lo, exec_lo, s1
	s_and_saveexec_b32 s1, vcc_lo
	s_cbranch_execnz .LBB278_1114
.LBB278_1095:
	s_wait_alu 0xfffe
	s_or_b32 exec_lo, exec_lo, s1
	s_and_saveexec_b32 s1, vcc_lo
	s_cbranch_execnz .LBB278_1115
.LBB278_1096:
	s_wait_alu 0xfffe
	s_or_b32 exec_lo, exec_lo, s1
	s_and_saveexec_b32 s1, vcc_lo
	s_cbranch_execnz .LBB278_1116
.LBB278_1097:
	s_wait_alu 0xfffe
	s_or_b32 exec_lo, exec_lo, s1
	s_and_saveexec_b32 s1, vcc_lo
	s_cbranch_execz .LBB278_1099
.LBB278_1098:
	ds_load_b32 v9, v9 offset:448
	s_wait_dscnt 0x0
	v_add_f32_e32 v1, v1, v9
.LBB278_1099:
	s_wait_alu 0xfffe
	s_or_b32 exec_lo, exec_lo, s1
.LBB278_1100:
	s_wait_alu 0xfffe
	s_or_b32 exec_lo, exec_lo, s0
	s_mov_b32 s1, 0
	s_wait_loadcnt 0x0
	s_barrier_signal -1
	s_barrier_wait -1
	global_inv scope:SCOPE_SE
	s_mov_b32 s0, exec_lo
	v_cmpx_eq_u32_e32 0, v0
	s_cbranch_execz .LBB278_1102
; %bb.1101:
	s_lshl_b32 s2, s4, 7
	s_mul_i32 s4, s16, s20
	s_wait_alu 0xfffe
	s_ashr_i32 s3, s2, 31
	s_ashr_i32 s5, s4, 31
	s_wait_alu 0xfffe
	s_lshl_b64 s[2:3], s[2:3], 1
	s_lshl_b64 s[4:5], s[4:5], 1
	s_wait_alu 0xfffe
	s_add_nc_u64 s[2:3], s[6:7], s[2:3]
	v_lshlrev_b32_e32 v0, 1, v11
	s_lshl_b32 s0, s26, 8
	s_wait_alu 0xfffe
	s_add_nc_u64 s[2:3], s[2:3], s[4:5]
	;;#ASMSTART
	v_cvt_f16_f32 v8, v8;

	;;#ASMEND
	s_wait_alu 0xfffe
	s_add_nc_u64 s[0:1], s[2:3], s[0:1]
	global_store_b16 v0, v8, s[0:1]
	;;#ASMSTART
	v_cvt_f16_f32 v7, v7;

	;;#ASMEND
	global_store_b16 v0, v7, s[0:1] offset:32
	;;#ASMSTART
	v_cvt_f16_f32 v6, v6;

	;;#ASMEND
	global_store_b16 v0, v6, s[0:1] offset:64
	;; [unrolled: 5-line block ×7, first 2 shown]
.LBB278_1102:
	s_nop 0
	s_sendmsg sendmsg(MSG_DEALLOC_VGPRS)
	s_endpgm
.LBB278_1103:
	ds_load_b32 v12, v9
	s_wait_dscnt 0x0
	v_add_f32_e32 v8, v8, v12
	s_wait_alu 0xfffe
	s_or_b32 exec_lo, exec_lo, s0
	s_and_saveexec_b32 s0, vcc_lo
	s_cbranch_execz .LBB278_1079
.LBB278_1104:
	ds_load_b32 v12, v9 offset:64
	s_wait_dscnt 0x0
	v_add_f32_e32 v7, v7, v12
	s_wait_alu 0xfffe
	s_or_b32 exec_lo, exec_lo, s0
	s_and_saveexec_b32 s0, vcc_lo
	s_cbranch_execz .LBB278_1080
.LBB278_1105:
	ds_load_b32 v12, v9 offset:128
	s_wait_dscnt 0x0
	v_add_f32_e32 v6, v6, v12
	s_wait_alu 0xfffe
	s_or_b32 exec_lo, exec_lo, s0
	s_and_saveexec_b32 s0, vcc_lo
	s_cbranch_execz .LBB278_1081
.LBB278_1106:
	ds_load_b32 v12, v9 offset:192
	s_wait_dscnt 0x0
	v_add_f32_e32 v5, v5, v12
	s_wait_alu 0xfffe
	s_or_b32 exec_lo, exec_lo, s0
	s_and_saveexec_b32 s0, vcc_lo
	s_cbranch_execz .LBB278_1082
.LBB278_1107:
	ds_load_b32 v12, v9 offset:256
	s_wait_dscnt 0x0
	v_add_f32_e32 v4, v4, v12
	s_wait_alu 0xfffe
	s_or_b32 exec_lo, exec_lo, s0
	s_and_saveexec_b32 s0, vcc_lo
	s_cbranch_execz .LBB278_1083
.LBB278_1108:
	ds_load_b32 v12, v9 offset:320
	s_wait_dscnt 0x0
	v_add_f32_e32 v3, v3, v12
	s_wait_alu 0xfffe
	s_or_b32 exec_lo, exec_lo, s0
	s_and_saveexec_b32 s0, vcc_lo
	s_cbranch_execz .LBB278_1084
.LBB278_1109:
	ds_load_b32 v12, v9 offset:384
	s_wait_dscnt 0x0
	v_add_f32_e32 v2, v2, v12
	s_wait_alu 0xfffe
	s_or_b32 exec_lo, exec_lo, s0
	s_and_saveexec_b32 s0, vcc_lo
	s_cbranch_execnz .LBB278_1085
	s_branch .LBB278_1086
.LBB278_1110:
	ds_load_b32 v10, v9
	s_wait_dscnt 0x0
	v_add_f32_e32 v8, v8, v10
	s_wait_alu 0xfffe
	s_or_b32 exec_lo, exec_lo, s1
	s_and_saveexec_b32 s1, vcc_lo
	s_cbranch_execz .LBB278_1092
.LBB278_1111:
	ds_load_b32 v10, v9 offset:64
	s_wait_dscnt 0x0
	v_add_f32_e32 v7, v7, v10
	s_wait_alu 0xfffe
	s_or_b32 exec_lo, exec_lo, s1
	s_and_saveexec_b32 s1, vcc_lo
	s_cbranch_execz .LBB278_1093
.LBB278_1112:
	ds_load_b32 v10, v9 offset:128
	s_wait_dscnt 0x0
	v_add_f32_e32 v6, v6, v10
	s_wait_alu 0xfffe
	s_or_b32 exec_lo, exec_lo, s1
	s_and_saveexec_b32 s1, vcc_lo
	s_cbranch_execz .LBB278_1094
.LBB278_1113:
	ds_load_b32 v10, v9 offset:192
	s_wait_dscnt 0x0
	v_add_f32_e32 v5, v5, v10
	s_wait_alu 0xfffe
	s_or_b32 exec_lo, exec_lo, s1
	s_and_saveexec_b32 s1, vcc_lo
	s_cbranch_execz .LBB278_1095
.LBB278_1114:
	ds_load_b32 v10, v9 offset:256
	s_wait_dscnt 0x0
	v_add_f32_e32 v4, v4, v10
	s_wait_alu 0xfffe
	s_or_b32 exec_lo, exec_lo, s1
	s_and_saveexec_b32 s1, vcc_lo
	s_cbranch_execz .LBB278_1096
.LBB278_1115:
	ds_load_b32 v10, v9 offset:320
	s_wait_dscnt 0x0
	v_add_f32_e32 v3, v3, v10
	s_wait_alu 0xfffe
	s_or_b32 exec_lo, exec_lo, s1
	s_and_saveexec_b32 s1, vcc_lo
	s_cbranch_execz .LBB278_1097
.LBB278_1116:
	ds_load_b32 v10, v9 offset:384
	s_wait_dscnt 0x0
	v_add_f32_e32 v2, v2, v10
	s_wait_alu 0xfffe
	s_or_b32 exec_lo, exec_lo, s1
	s_and_saveexec_b32 s1, vcc_lo
	s_cbranch_execnz .LBB278_1098
	s_branch .LBB278_1099
	.section	.rodata,"a",@progbits
	.p2align	6, 0x0
	.amdhsa_kernel _ZN4vllm25paged_attention_v2_kernelIthLi128ELi16ELi128ELNS_18Fp8KVCacheDataTypeE1ELb0ELi512EEEvPfS2_PT_PKS3_PKT0_S9_ifPKiSB_iPKfiiiSD_SD_iiiii
		.amdhsa_group_segment_fixed_size 288
		.amdhsa_private_segment_fixed_size 0
		.amdhsa_kernarg_size 400
		.amdhsa_user_sgpr_count 2
		.amdhsa_user_sgpr_dispatch_ptr 0
		.amdhsa_user_sgpr_queue_ptr 0
		.amdhsa_user_sgpr_kernarg_segment_ptr 1
		.amdhsa_user_sgpr_dispatch_id 0
		.amdhsa_user_sgpr_private_segment_size 0
		.amdhsa_wavefront_size32 1
		.amdhsa_uses_dynamic_stack 0
		.amdhsa_enable_private_segment 0
		.amdhsa_system_sgpr_workgroup_id_x 1
		.amdhsa_system_sgpr_workgroup_id_y 1
		.amdhsa_system_sgpr_workgroup_id_z 1
		.amdhsa_system_sgpr_workgroup_info 0
		.amdhsa_system_vgpr_workitem_id 0
		.amdhsa_next_free_vgpr 135
		.amdhsa_next_free_sgpr 38
		.amdhsa_reserve_vcc 1
		.amdhsa_float_round_mode_32 0
		.amdhsa_float_round_mode_16_64 0
		.amdhsa_float_denorm_mode_32 3
		.amdhsa_float_denorm_mode_16_64 3
		.amdhsa_fp16_overflow 0
		.amdhsa_workgroup_processor_mode 1
		.amdhsa_memory_ordered 1
		.amdhsa_forward_progress 1
		.amdhsa_inst_pref_size 255
		.amdhsa_round_robin_scheduling 0
		.amdhsa_exception_fp_ieee_invalid_op 0
		.amdhsa_exception_fp_denorm_src 0
		.amdhsa_exception_fp_ieee_div_zero 0
		.amdhsa_exception_fp_ieee_overflow 0
		.amdhsa_exception_fp_ieee_underflow 0
		.amdhsa_exception_fp_ieee_inexact 0
		.amdhsa_exception_int_div_zero 0
	.end_amdhsa_kernel
	.section	.text._ZN4vllm25paged_attention_v2_kernelIthLi128ELi16ELi128ELNS_18Fp8KVCacheDataTypeE1ELb0ELi512EEEvPfS2_PT_PKS3_PKT0_S9_ifPKiSB_iPKfiiiSD_SD_iiiii,"axG",@progbits,_ZN4vllm25paged_attention_v2_kernelIthLi128ELi16ELi128ELNS_18Fp8KVCacheDataTypeE1ELb0ELi512EEEvPfS2_PT_PKS3_PKT0_S9_ifPKiSB_iPKfiiiSD_SD_iiiii,comdat
.Lfunc_end278:
	.size	_ZN4vllm25paged_attention_v2_kernelIthLi128ELi16ELi128ELNS_18Fp8KVCacheDataTypeE1ELb0ELi512EEEvPfS2_PT_PKS3_PKT0_S9_ifPKiSB_iPKfiiiSD_SD_iiiii, .Lfunc_end278-_ZN4vllm25paged_attention_v2_kernelIthLi128ELi16ELi128ELNS_18Fp8KVCacheDataTypeE1ELb0ELi512EEEvPfS2_PT_PKS3_PKT0_S9_ifPKiSB_iPKfiiiSD_SD_iiiii
                                        ; -- End function
	.set _ZN4vllm25paged_attention_v2_kernelIthLi128ELi16ELi128ELNS_18Fp8KVCacheDataTypeE1ELb0ELi512EEEvPfS2_PT_PKS3_PKT0_S9_ifPKiSB_iPKfiiiSD_SD_iiiii.num_vgpr, 135
	.set _ZN4vllm25paged_attention_v2_kernelIthLi128ELi16ELi128ELNS_18Fp8KVCacheDataTypeE1ELb0ELi512EEEvPfS2_PT_PKS3_PKT0_S9_ifPKiSB_iPKfiiiSD_SD_iiiii.num_agpr, 0
	.set _ZN4vllm25paged_attention_v2_kernelIthLi128ELi16ELi128ELNS_18Fp8KVCacheDataTypeE1ELb0ELi512EEEvPfS2_PT_PKS3_PKT0_S9_ifPKiSB_iPKfiiiSD_SD_iiiii.numbered_sgpr, 38
	.set _ZN4vllm25paged_attention_v2_kernelIthLi128ELi16ELi128ELNS_18Fp8KVCacheDataTypeE1ELb0ELi512EEEvPfS2_PT_PKS3_PKT0_S9_ifPKiSB_iPKfiiiSD_SD_iiiii.num_named_barrier, 0
	.set _ZN4vllm25paged_attention_v2_kernelIthLi128ELi16ELi128ELNS_18Fp8KVCacheDataTypeE1ELb0ELi512EEEvPfS2_PT_PKS3_PKT0_S9_ifPKiSB_iPKfiiiSD_SD_iiiii.private_seg_size, 0
	.set _ZN4vllm25paged_attention_v2_kernelIthLi128ELi16ELi128ELNS_18Fp8KVCacheDataTypeE1ELb0ELi512EEEvPfS2_PT_PKS3_PKT0_S9_ifPKiSB_iPKfiiiSD_SD_iiiii.uses_vcc, 1
	.set _ZN4vllm25paged_attention_v2_kernelIthLi128ELi16ELi128ELNS_18Fp8KVCacheDataTypeE1ELb0ELi512EEEvPfS2_PT_PKS3_PKT0_S9_ifPKiSB_iPKfiiiSD_SD_iiiii.uses_flat_scratch, 0
	.set _ZN4vllm25paged_attention_v2_kernelIthLi128ELi16ELi128ELNS_18Fp8KVCacheDataTypeE1ELb0ELi512EEEvPfS2_PT_PKS3_PKT0_S9_ifPKiSB_iPKfiiiSD_SD_iiiii.has_dyn_sized_stack, 0
	.set _ZN4vllm25paged_attention_v2_kernelIthLi128ELi16ELi128ELNS_18Fp8KVCacheDataTypeE1ELb0ELi512EEEvPfS2_PT_PKS3_PKT0_S9_ifPKiSB_iPKfiiiSD_SD_iiiii.has_recursion, 0
	.set _ZN4vllm25paged_attention_v2_kernelIthLi128ELi16ELi128ELNS_18Fp8KVCacheDataTypeE1ELb0ELi512EEEvPfS2_PT_PKS3_PKT0_S9_ifPKiSB_iPKfiiiSD_SD_iiiii.has_indirect_call, 0
	.section	.AMDGPU.csdata,"",@progbits
; Kernel info:
; codeLenInByte = 38212
; TotalNumSgprs: 40
; NumVgprs: 135
; ScratchSize: 0
; MemoryBound: 0
; FloatMode: 240
; IeeeMode: 1
; LDSByteSize: 288 bytes/workgroup (compile time only)
; SGPRBlocks: 0
; VGPRBlocks: 16
; NumSGPRsForWavesPerEU: 40
; NumVGPRsForWavesPerEU: 135
; Occupancy: 10
; WaveLimiterHint : 1
; COMPUTE_PGM_RSRC2:SCRATCH_EN: 0
; COMPUTE_PGM_RSRC2:USER_SGPR: 2
; COMPUTE_PGM_RSRC2:TRAP_HANDLER: 0
; COMPUTE_PGM_RSRC2:TGID_X_EN: 1
; COMPUTE_PGM_RSRC2:TGID_Y_EN: 1
; COMPUTE_PGM_RSRC2:TGID_Z_EN: 1
; COMPUTE_PGM_RSRC2:TIDIG_COMP_CNT: 0
	.text
	.p2align	2                               ; -- Begin function _ZN4vllm22paged_attention_kernelIthLi192ELi16ELi128ELNS_18Fp8KVCacheDataTypeE1ELb0ELi512EEEvPfS2_PT_PKS3_PKT0_S9_ifPKiSB_iPKfiiiSD_SD_iiiii
	.type	_ZN4vllm22paged_attention_kernelIthLi192ELi16ELi128ELNS_18Fp8KVCacheDataTypeE1ELb0ELi512EEEvPfS2_PT_PKS3_PKT0_S9_ifPKiSB_iPKfiiiSD_SD_iiiii,@function
_ZN4vllm22paged_attention_kernelIthLi192ELi16ELi128ELNS_18Fp8KVCacheDataTypeE1ELb0ELi512EEEvPfS2_PT_PKS3_PKT0_S9_ifPKiSB_iPKfiiiSD_SD_iiiii: ; @_ZN4vllm22paged_attention_kernelIthLi192ELi16ELi128ELNS_18Fp8KVCacheDataTypeE1ELb0ELi512EEEvPfS2_PT_PKS3_PKT0_S9_ifPKiSB_iPKfiiiSD_SD_iiiii
; %bb.0:
	s_wait_loadcnt_dscnt 0x0
	s_wait_expcnt 0x0
	s_wait_samplecnt 0x0
	s_wait_bvhcnt 0x0
	s_wait_kmcnt 0x0
	s_clause 0x1f
	scratch_store_b32 off, v40, s32 offset:148
	; meta instruction
	scratch_store_b32 off, v41, s32 offset:144
	; meta instruction
	;; [unrolled: 2-line block ×31, first 2 shown]
	scratch_store_b32 off, v95, s32 offset:24
	s_clause 0x5
	scratch_store_b32 off, v104, s32 offset:20
	; meta instruction
	scratch_store_b32 off, v105, s32 offset:16
	; meta instruction
	;; [unrolled: 2-line block ×5, first 2 shown]
	scratch_store_b32 off, v109, s32
	s_and_b32 s13, ttmp7, 0xffff
	s_lshr_b32 s11, ttmp7, 16
	s_wait_alu 0xfffe
	s_lshl_b32 s0, s13, 2
	s_lshl_b32 s12, s11, 9
	s_wait_alu 0xfffe
	v_add_co_u32 v16, vcc_lo, v16, s0
	s_wait_alu 0xfffd
	v_add_co_ci_u32_e64 v17, null, 0, v17, vcc_lo
	s_mov_b32 s10, exec_lo
	flat_load_b32 v32, v[16:17]
	s_wait_loadcnt_dscnt 0x0
	v_cmpx_lt_i32_e64 s12, v32
	s_cbranch_execz .LBB279_1632
; %bb.1:
	v_sub_nc_u32_e32 v16, 0, v12
	s_clause 0x1
	s_load_u16 s0, s[8:9], 0x12
	s_load_b32 s1, s[8:9], 0x0
	s_mov_b32 s6, s15
	v_max_i32_e32 v16, v12, v16
	s_delay_alu instid0(VALU_DEP_1) | instskip(SKIP_1) | instid1(VALU_DEP_2)
	v_cvt_f32_u32_e32 v17, v16
	v_sub_nc_u32_e32 v28, 0, v16
	v_rcp_iflag_f32_e32 v17, v17
	v_mov_b32_e32 v48, 0
	s_wait_kmcnt 0x0
	s_cmp_lg_u32 s0, 0
	s_cselect_b32 s0, -1, 0
	s_delay_alu instid0(TRANS32_DEP_1)
	v_mul_f32_e32 v17, 0x4f7ffffe, v17
	global_load_u16 v29, v48, s[8:9] offset:22
	s_wait_alu 0xfffe
	s_cmp_lg_u32 s0, 0
	s_add_co_ci_u32 s14, s1, 0
	v_cvt_u32_f32_e32 v17, v17
	s_mov_b32 s1, exec_lo
	s_wait_alu 0xfffe
	s_abs_i32 s0, s14
	v_xor_b32_e32 v12, s14, v12
	v_mul_lo_u32 v28, v28, v17
	s_delay_alu instid0(VALU_DEP_2) | instskip(NEXT) | instid1(VALU_DEP_2)
	v_ashrrev_i32_e32 v12, 31, v12
	v_mul_hi_u32 v28, v17, v28
	s_delay_alu instid0(VALU_DEP_1) | instskip(SKIP_1) | instid1(VALU_DEP_1)
	v_add_nc_u32_e32 v17, v17, v28
	s_wait_alu 0xfffe
	v_mul_hi_u32 v17, s0, v17
	s_delay_alu instid0(VALU_DEP_1) | instskip(SKIP_1) | instid1(VALU_DEP_2)
	v_mul_lo_u32 v28, v17, v16
	v_add_nc_u32_e32 v30, 1, v17
	v_sub_nc_u32_e32 v28, s0, v28
	s_abs_i32 s0, ttmp9
	s_delay_alu instid0(VALU_DEP_1) | instskip(SKIP_2) | instid1(VALU_DEP_2)
	v_sub_nc_u32_e32 v33, v28, v16
	v_cmp_ge_u32_e32 vcc_lo, v28, v16
	s_wait_alu 0xfffd
	v_dual_cndmask_b32 v17, v17, v30 :: v_dual_cndmask_b32 v28, v28, v33
	s_delay_alu instid0(VALU_DEP_1) | instskip(NEXT) | instid1(VALU_DEP_2)
	v_add_nc_u32_e32 v30, 1, v17
	v_cmp_ge_u32_e32 vcc_lo, v28, v16
	s_wait_alu 0xfffd
	s_delay_alu instid0(VALU_DEP_2) | instskip(NEXT) | instid1(VALU_DEP_1)
	v_cndmask_b32_e32 v16, v17, v30, vcc_lo
	v_xor_b32_e32 v16, v16, v12
	s_delay_alu instid0(VALU_DEP_1) | instskip(NEXT) | instid1(VALU_DEP_1)
	v_sub_nc_u32_e32 v28, v16, v12
	v_sub_nc_u32_e32 v12, 0, v28
	s_delay_alu instid0(VALU_DEP_1) | instskip(NEXT) | instid1(VALU_DEP_1)
	v_max_i32_e32 v12, v28, v12
	v_cvt_f32_u32_e32 v16, v12
	v_sub_nc_u32_e32 v17, 0, v12
	s_delay_alu instid0(VALU_DEP_2) | instskip(NEXT) | instid1(TRANS32_DEP_1)
	v_rcp_iflag_f32_e32 v16, v16
	v_mul_f32_e32 v16, 0x4f7ffffe, v16
	s_delay_alu instid0(VALU_DEP_1) | instskip(NEXT) | instid1(VALU_DEP_1)
	v_cvt_u32_f32_e32 v16, v16
	v_mul_lo_u32 v17, v17, v16
	s_delay_alu instid0(VALU_DEP_1) | instskip(NEXT) | instid1(VALU_DEP_1)
	v_mul_hi_u32 v17, v16, v17
	v_add_nc_u32_e32 v16, v16, v17
	s_wait_alu 0xfffe
	s_delay_alu instid0(VALU_DEP_1)
	v_mad_co_u64_u32 v[16:17], null, s0, v16, 0
	s_wait_loadcnt 0x0
	v_readfirstlane_b32 s15, v29
	v_cmpx_ne_u64_e32 0, v[19:20]
	s_cbranch_execz .LBB279_3
; %bb.2:
	s_mov_b32 s2, ttmp9
	s_ashr_i32 s3, ttmp9, 31
	s_wait_alu 0xfffe
	s_lshl_b64 s[2:3], s[2:3], 2
	s_wait_alu 0xfffe
	v_add_co_u32 v19, vcc_lo, v19, s2
	s_wait_alu 0xfffd
	v_add_co_ci_u32_e64 v20, null, s3, v20, vcc_lo
	flat_load_b32 v48, v[19:20]
.LBB279_3:
	s_or_b32 exec_lo, exec_lo, s1
	v_and_b32_e32 v29, 0x3ff, v31
	v_ashrrev_i32_e32 v16, 31, v28
	v_bfe_u32 v28, v31, 1, 9
	v_and_b32_e32 v30, 1, v31
	s_ashr_i32 s1, ttmp9, 31
	v_lshlrev_b32_e32 v35, 3, v29
	s_mul_i32 s4, ttmp9, 0xc0
	s_mov_b32 s2, exec_lo
	v_cmpx_gt_u32_e32 48, v29
	s_cbranch_execz .LBB279_5
; %bb.4:
	v_mul_lo_u32 v19, v21, s13
	s_wait_alu 0xfffe
	s_ashr_i32 s5, s4, 31
	s_wait_alu 0xfffe
	s_lshl_b64 s[16:17], s[4:5], 1
	s_delay_alu instid0(VALU_DEP_1) | instskip(NEXT) | instid1(VALU_DEP_1)
	v_ashrrev_i32_e32 v20, 31, v19
	v_lshlrev_b64_e32 v[19:20], 1, v[19:20]
	s_delay_alu instid0(VALU_DEP_1) | instskip(SKIP_1) | instid1(VALU_DEP_2)
	v_add_co_u32 v6, vcc_lo, v6, v19
	s_wait_alu 0xfffd
	v_add_co_ci_u32_e64 v7, null, v7, v20, vcc_lo
	v_lshlrev_b32_e32 v19, 3, v28
	s_wait_alu 0xfffe
	v_add_co_u32 v6, vcc_lo, v6, s16
	s_wait_alu 0xfffd
	v_add_co_ci_u32_e64 v7, null, s17, v7, vcc_lo
	v_mad_u32_u24 v19, 0xc0, v30, v19
	s_delay_alu instid0(VALU_DEP_3) | instskip(SKIP_1) | instid1(VALU_DEP_3)
	v_add_co_u32 v6, vcc_lo, v6, v35
	s_wait_alu 0xfffd
	v_add_co_ci_u32_e64 v7, null, 0, v7, vcc_lo
	flat_load_b64 v[6:7], v[6:7]
	s_wait_loadcnt_dscnt 0x0
	ds_store_b64 v19, v[6:7]
.LBB279_5:
	s_wait_alu 0xfffe
	s_or_b32 exec_lo, exec_lo, s2
	v_mul_lo_u32 v6, v17, v12
	v_add_nc_u32_e32 v7, 15, v32
	v_add_nc_u32_e32 v20, 1, v17
	v_lshrrev_b32_e32 v31, 5, v29
	v_xor_b32_e32 v16, s1, v16
	s_lshl_b32 s16, s11, 5
	v_ashrrev_i32_e32 v19, 31, v7
	v_mbcnt_lo_u32_b32 v39, -1, 0
	v_sub_nc_u32_e32 v6, s0, v6
	s_wait_alu 0xfffe
	s_add_co_i32 s0, s16, 32
	v_or_b32_e32 v34, s16, v31
	v_lshrrev_b32_e32 v19, 28, v19
	s_wait_storecnt 0x0
	s_wait_loadcnt_dscnt 0x0
	v_sub_nc_u32_e32 v21, v6, v12
	v_cmp_ge_u32_e32 vcc_lo, v6, v12
	s_barrier_signal -1
	v_add_nc_u32_e32 v7, v7, v19
	s_barrier_wait -1
	global_inv scope:SCOPE_SE
	s_wait_alu 0xfffd
	v_cndmask_b32_e32 v17, v17, v20, vcc_lo
	v_cndmask_b32_e32 v19, v6, v21, vcc_lo
	v_ashrrev_i32_e32 v36, 4, v7
	v_mul_lo_u32 v6, v18, s13
                                        ; implicit-def: $vgpr49
	s_delay_alu instid0(VALU_DEP_4) | instskip(NEXT) | instid1(VALU_DEP_4)
	v_add_nc_u32_e32 v20, 1, v17
	v_cmp_ge_u32_e32 vcc_lo, v19, v12
	s_wait_alu 0xfffe
	v_min_i32_e32 v33, s0, v36
	s_wait_alu 0xfffd
	v_cndmask_b32_e32 v7, v17, v20, vcc_lo
	s_delay_alu instid0(VALU_DEP_2) | instskip(NEXT) | instid1(VALU_DEP_2)
	v_cmp_ge_i32_e64 s0, v34, v33
                                        ; implicit-def: $vgpr17
	v_xor_b32_e32 v12, v7, v16
	v_ashrrev_i32_e32 v7, 31, v6
	s_delay_alu instid0(VALU_DEP_2)
	v_sub_nc_u32_e32 v12, v12, v16
	s_and_saveexec_b32 s1, s0
	s_wait_alu 0xfffe
	s_xor_b32 s1, exec_lo, s1
; %bb.6:
	v_mov_b32_e32 v17, 0
	v_mbcnt_lo_u32_b32 v39, -1, 0
	v_mov_b32_e32 v49, 32
                                        ; implicit-def: $vgpr48
                                        ; implicit-def: $vgpr13
                                        ; implicit-def: $vgpr24
                                        ; implicit-def: $vgpr8
                                        ; implicit-def: $vgpr9
; %bb.7:
	s_wait_alu 0xfffe
	s_or_saveexec_b32 s17, s1
	s_load_b32 s5, s[8:9], 0x8
	v_mul_lo_u32 v37, v12, v23
	v_lshlrev_b64_e32 v[6:7], 2, v[6:7]
	v_dual_mov_b32 v50, 0xff7fffff :: v_dual_lshlrev_b32 v23, 2, v34
	s_delay_alu instid0(VALU_DEP_3)
	v_ashrrev_i32_e32 v38, 31, v37
	s_xor_b32 exec_lo, exec_lo, s17
	s_cbranch_execz .LBB279_781
; %bb.8:
	v_bfe_u32 v12, v29, 1, 4
	v_add_co_u32 v8, vcc_lo, v8, v37
	s_wait_alu 0xfffd
	v_add_co_ci_u32_e64 v9, null, v9, v38, vcc_lo
	s_delay_alu instid0(VALU_DEP_3) | instskip(SKIP_2) | instid1(VALU_DEP_3)
	v_dual_mov_b32 v17, 0 :: v_dual_lshlrev_b32 v16, 4, v12
	v_dual_mov_b32 v55, v34 :: v_dual_lshlrev_b32 v20, 4, v31
	;; [unrolled: 1-line block ×3, first 2 shown]
	v_add_co_u32 v8, vcc_lo, v8, v16
	v_dual_mov_b32 v49, 32 :: v_dual_lshlrev_b32 v16, 2, v30
	s_wait_alu 0xfffd
	v_add_co_ci_u32_e64 v9, null, 0, v9, vcc_lo
	s_ashr_i32 s7, s6, 31
	v_add_co_u32 v8, s2, v8, v16
	s_wait_alu 0xf1ff
	v_add_co_ci_u32_e64 v9, null, 0, v9, s2
	v_add_co_u32 v16, s2, v6, v23
	s_wait_alu 0xf1ff
	v_add_co_ci_u32_e64 v19, null, 0, v7, s2
	v_mul_u32_u24_e32 v51, 0xc0, v30
	s_delay_alu instid0(VALU_DEP_3)
	v_add_co_u32 v18, s2, v14, v16
	v_cmp_neq_f32_e64 s1, 0, v48
	s_getpc_b64 s[8:9]
	s_wait_alu 0xfffe
	s_sext_i32_i16 s9, s9
	s_add_co_u32 s8, s8, llvm.amdgcn.dynlds.offset.table@rel32@lo+12
	s_wait_alu 0xfffe
	s_add_co_ci_u32 s9, s9, llvm.amdgcn.dynlds.offset.table@rel32@hi+24
	v_add_co_ci_u32_e64 v19, null, v15, v19, s2
	v_sub_nc_u32_e32 v52, 1, v32
	v_add3_u32 v53, s12, v20, v12
	v_lshl_or_b32 v54, v31, 6, v21
	s_lshl_b64 s[2:3], s[6:7], 2
	s_mov_b32 s7, 0
	s_wait_alu 0xfffe
	s_add_nc_u64 s[8:9], s[8:9], s[2:3]
	v_cmp_eq_u32_e32 vcc_lo, 0, v30
	s_branch .LBB279_10
.LBB279_9:                              ;   in Loop: Header=BB279_10 Depth=1
	s_wait_alu 0xfffe
	s_or_b32 exec_lo, exec_lo, s3
	v_add_nc_u32_e32 v55, 4, v55
	v_add_co_u32 v18, s3, v18, 16
	s_wait_alu 0xf1ff
	v_add_co_ci_u32_e64 v19, null, 0, v19, s3
	s_delay_alu instid0(VALU_DEP_3)
	v_cmp_ge_i32_e64 s2, v55, v33
	v_add_nc_u32_e32 v53, 64, v53
	v_add_nc_u32_e32 v54, 0x100, v54
	s_or_b32 s7, s2, s7
	s_wait_alu 0xfffe
	s_and_not1_b32 exec_lo, exec_lo, s7
	s_cbranch_execz .LBB279_780
.LBB279_10:                             ; =>This Inner Loop Header: Depth=1
	flat_load_b32 v12, v[18:19]
	v_mov_b32_e32 v66, 0
	s_mov_b32 s3, exec_lo
	v_mov_b32_e32 v65, 0
	s_wait_loadcnt_dscnt 0x0
	v_mad_co_i64_i32 v[20:21], null, v12, v22, v[8:9]
	flat_load_b32 v12, v[20:21]
	flat_load_b32 v64, v[24:25]
	s_wait_loadcnt_dscnt 0x101
	v_and_b32_e32 v16, 0xff, v12
	s_delay_alu instid0(VALU_DEP_1)
	v_cmpx_ne_u16_e32 0, v16
	s_cbranch_execz .LBB279_18
; %bb.11:                               ;   in Loop: Header=BB279_10 Depth=1
	v_mov_b32_e32 v66, 0x8000
	s_mov_b32 s18, exec_lo
	v_cmpx_ne_u16_e32 0x80, v16
	s_cbranch_execz .LBB279_17
; %bb.12:                               ;   in Loop: Header=BB279_10 Depth=1
	v_and_b32_e32 v67, 0x7f, v12
	v_mov_b32_e32 v66, 0x7c01
	s_mov_b32 s19, exec_lo
	s_delay_alu instid0(VALU_DEP_2)
	v_cmpx_ne_u32_e32 0x7f, v67
	s_cbranch_execz .LBB279_16
; %bb.13:                               ;   in Loop: Header=BB279_10 Depth=1
	v_and_b32_e32 v16, 7, v12
	v_lshrrev_b32_e32 v66, 3, v67
	s_mov_b32 s20, exec_lo
	v_cmpx_gt_u32_e32 8, v67
; %bb.14:                               ;   in Loop: Header=BB279_10 Depth=1
	s_delay_alu instid0(VALU_DEP_3) | instskip(NEXT) | instid1(VALU_DEP_1)
	v_clz_i32_u32_e32 v16, v16
	v_min_u32_e32 v16, 32, v16
	s_delay_alu instid0(VALU_DEP_1) | instskip(NEXT) | instid1(VALU_DEP_1)
	v_subrev_nc_u32_e32 v66, 28, v16
	v_lshlrev_b64_e32 v[67:68], v66, v[12:13]
	v_sub_nc_u32_e32 v66, 29, v16
	s_delay_alu instid0(VALU_DEP_2)
	v_and_b32_e32 v16, 7, v67
; %bb.15:                               ;   in Loop: Header=BB279_10 Depth=1
	s_wait_alu 0xfffe
	s_or_b32 exec_lo, exec_lo, s20
	v_lshlrev_b32_e32 v67, 8, v12
	v_lshl_add_u32 v66, v66, 10, 0x2000
	v_lshlrev_b32_e32 v16, 7, v16
	s_delay_alu instid0(VALU_DEP_3) | instskip(NEXT) | instid1(VALU_DEP_3)
	v_and_b32_e32 v67, 0x8000, v67
	v_and_b32_e32 v66, 0xfc00, v66
	s_delay_alu instid0(VALU_DEP_1)
	v_or3_b32 v66, v67, v66, v16
.LBB279_16:                             ;   in Loop: Header=BB279_10 Depth=1
	s_wait_alu 0xfffe
	s_or_b32 exec_lo, exec_lo, s19
.LBB279_17:                             ;   in Loop: Header=BB279_10 Depth=1
	s_wait_alu 0xfffe
	s_or_b32 exec_lo, exec_lo, s18
.LBB279_18:                             ;   in Loop: Header=BB279_10 Depth=1
	s_wait_alu 0xfffe
	s_or_b32 exec_lo, exec_lo, s3
	v_lshrrev_b16 v16, 8, v12
	s_mov_b32 s3, exec_lo
	s_delay_alu instid0(VALU_DEP_1)
	v_cmpx_ne_u16_e32 0, v16
	s_cbranch_execz .LBB279_26
; %bb.19:                               ;   in Loop: Header=BB279_10 Depth=1
	v_bfrev_b32_e32 v65, 1
	s_mov_b32 s18, exec_lo
	v_cmpx_ne_u16_e32 0x80, v16
	s_cbranch_execz .LBB279_25
; %bb.20:                               ;   in Loop: Header=BB279_10 Depth=1
	v_and_b32_e32 v67, 0xffff, v16
	v_mov_b32_e32 v65, 0x7c010000
	s_mov_b32 s19, exec_lo
	s_delay_alu instid0(VALU_DEP_2) | instskip(NEXT) | instid1(VALU_DEP_1)
	v_and_b32_e32 v69, 0x7f, v67
	v_cmpx_ne_u32_e32 0x7f, v69
	s_cbranch_execz .LBB279_24
; %bb.21:                               ;   in Loop: Header=BB279_10 Depth=1
	v_and_b32_e32 v65, 7, v67
	v_lshrrev_b32_e32 v68, 3, v69
	s_mov_b32 s20, exec_lo
	v_cmpx_gt_u32_e32 8, v69
; %bb.22:                               ;   in Loop: Header=BB279_10 Depth=1
	s_delay_alu instid0(VALU_DEP_3) | instskip(NEXT) | instid1(VALU_DEP_1)
	v_clz_i32_u32_e32 v65, v65
	v_min_u32_e32 v65, 32, v65
	s_delay_alu instid0(VALU_DEP_1) | instskip(NEXT) | instid1(VALU_DEP_1)
	v_subrev_nc_u32_e32 v68, 28, v65
	v_lshlrev_b64_e32 v[69:70], v68, v[16:17]
	v_sub_nc_u32_e32 v68, 29, v65
	s_delay_alu instid0(VALU_DEP_2)
	v_and_b32_e32 v65, 7, v69
; %bb.23:                               ;   in Loop: Header=BB279_10 Depth=1
	s_wait_alu 0xfffe
	s_or_b32 exec_lo, exec_lo, s20
	v_lshlrev_b32_e32 v16, 8, v67
	v_lshl_add_u32 v67, v68, 10, 0x2000
	v_lshlrev_b32_e32 v65, 23, v65
	s_delay_alu instid0(VALU_DEP_2) | instskip(NEXT) | instid1(VALU_DEP_1)
	v_and_or_b32 v16, 0x8000, v16, v67
	v_lshl_or_b32 v65, v16, 16, v65
.LBB279_24:                             ;   in Loop: Header=BB279_10 Depth=1
	s_wait_alu 0xfffe
	s_or_b32 exec_lo, exec_lo, s19
.LBB279_25:                             ;   in Loop: Header=BB279_10 Depth=1
	s_wait_alu 0xfffe
	s_or_b32 exec_lo, exec_lo, s18
.LBB279_26:                             ;   in Loop: Header=BB279_10 Depth=1
	s_wait_alu 0xfffe
	s_or_b32 exec_lo, exec_lo, s3
	v_lshrrev_b32_e32 v16, 16, v12
	v_mov_b32_e32 v67, 0
	s_mov_b32 s3, exec_lo
	s_delay_alu instid0(VALU_DEP_2) | instskip(NEXT) | instid1(VALU_DEP_1)
	v_dual_mov_b32 v68, 0 :: v_dual_and_b32 v69, 0xff, v16
	v_cmpx_ne_u16_e32 0, v69
	s_cbranch_execz .LBB279_34
; %bb.27:                               ;   in Loop: Header=BB279_10 Depth=1
	v_mov_b32_e32 v68, 0x8000
	s_mov_b32 s18, exec_lo
	v_cmpx_ne_u16_e32 0x80, v69
	s_cbranch_execz .LBB279_33
; %bb.28:                               ;   in Loop: Header=BB279_10 Depth=1
	v_bfe_u32 v70, v12, 16, 7
	v_mov_b32_e32 v68, 0x7c01
	s_mov_b32 s19, exec_lo
	s_delay_alu instid0(VALU_DEP_2)
	v_cmpx_ne_u32_e32 0x7f, v70
	s_cbranch_execz .LBB279_32
; %bb.29:                               ;   in Loop: Header=BB279_10 Depth=1
	v_and_b32_e32 v68, 7, v16
	v_lshrrev_b32_e32 v69, 3, v70
	s_mov_b32 s20, exec_lo
	v_cmpx_gt_u32_e32 8, v70
; %bb.30:                               ;   in Loop: Header=BB279_10 Depth=1
	s_delay_alu instid0(VALU_DEP_3) | instskip(NEXT) | instid1(VALU_DEP_1)
	v_clz_i32_u32_e32 v68, v68
	v_min_u32_e32 v70, 32, v68
	s_delay_alu instid0(VALU_DEP_1) | instskip(NEXT) | instid1(VALU_DEP_1)
	v_subrev_nc_u32_e32 v68, 28, v70
	v_lshlrev_b64_e32 v[68:69], v68, v[16:17]
	v_sub_nc_u32_e32 v69, 29, v70
	s_delay_alu instid0(VALU_DEP_2)
	v_and_b32_e32 v68, 7, v68
; %bb.31:                               ;   in Loop: Header=BB279_10 Depth=1
	s_wait_alu 0xfffe
	s_or_b32 exec_lo, exec_lo, s20
	v_lshlrev_b32_e32 v16, 8, v16
	v_lshl_add_u32 v69, v69, 10, 0x2000
	v_lshlrev_b32_e32 v68, 7, v68
	s_delay_alu instid0(VALU_DEP_3) | instskip(NEXT) | instid1(VALU_DEP_3)
	v_and_b32_e32 v16, 0x8000, v16
	v_and_b32_e32 v69, 0xfc00, v69
	s_delay_alu instid0(VALU_DEP_1)
	v_or3_b32 v68, v16, v69, v68
.LBB279_32:                             ;   in Loop: Header=BB279_10 Depth=1
	s_wait_alu 0xfffe
	s_or_b32 exec_lo, exec_lo, s19
.LBB279_33:                             ;   in Loop: Header=BB279_10 Depth=1
	s_wait_alu 0xfffe
	s_or_b32 exec_lo, exec_lo, s18
.LBB279_34:                             ;   in Loop: Header=BB279_10 Depth=1
	s_wait_alu 0xfffe
	s_or_b32 exec_lo, exec_lo, s3
	s_delay_alu instid0(SALU_CYCLE_1)
	s_mov_b32 s3, exec_lo
	v_cmpx_lt_u32_e32 0xffffff, v12
	s_cbranch_execz .LBB279_42
; %bb.35:                               ;   in Loop: Header=BB279_10 Depth=1
	v_lshrrev_b32_e32 v16, 24, v12
	v_bfrev_b32_e32 v67, 1
	s_mov_b32 s18, exec_lo
	s_delay_alu instid0(VALU_DEP_2)
	v_cmpx_ne_u32_e32 0x80, v16
	s_cbranch_execz .LBB279_41
; %bb.36:                               ;   in Loop: Header=BB279_10 Depth=1
	v_and_b32_e32 v69, 0x7f, v16
	v_mov_b32_e32 v67, 0x7c010000
	s_mov_b32 s19, exec_lo
	s_delay_alu instid0(VALU_DEP_2)
	v_cmpx_ne_u32_e32 0x7f, v69
	s_cbranch_execz .LBB279_40
; %bb.37:                               ;   in Loop: Header=BB279_10 Depth=1
	v_and_b32_e32 v12, 7, v16
	v_lshrrev_b32_e32 v67, 3, v69
	s_mov_b32 s20, exec_lo
	v_cmpx_gt_u32_e32 8, v69
; %bb.38:                               ;   in Loop: Header=BB279_10 Depth=1
	s_delay_alu instid0(VALU_DEP_3) | instskip(NEXT) | instid1(VALU_DEP_1)
	v_clz_i32_u32_e32 v12, v12
	v_min_u32_e32 v12, 32, v12
	s_delay_alu instid0(VALU_DEP_1) | instskip(NEXT) | instid1(VALU_DEP_1)
	v_subrev_nc_u32_e32 v67, 28, v12
	v_lshlrev_b64_e32 v[69:70], v67, v[16:17]
	v_sub_nc_u32_e32 v67, 29, v12
	s_delay_alu instid0(VALU_DEP_2)
	v_and_b32_e32 v12, 7, v69
; %bb.39:                               ;   in Loop: Header=BB279_10 Depth=1
	s_wait_alu 0xfffe
	s_or_b32 exec_lo, exec_lo, s20
	v_lshlrev_b32_e32 v16, 8, v16
	v_lshl_add_u32 v67, v67, 10, 0x2000
	v_lshlrev_b32_e32 v12, 23, v12
	s_delay_alu instid0(VALU_DEP_2) | instskip(NEXT) | instid1(VALU_DEP_1)
	v_and_or_b32 v16, 0x8000, v16, v67
	v_lshl_or_b32 v67, v16, 16, v12
.LBB279_40:                             ;   in Loop: Header=BB279_10 Depth=1
	s_wait_alu 0xfffe
	s_or_b32 exec_lo, exec_lo, s19
.LBB279_41:                             ;   in Loop: Header=BB279_10 Depth=1
	s_wait_alu 0xfffe
	s_or_b32 exec_lo, exec_lo, s18
.LBB279_42:                             ;   in Loop: Header=BB279_10 Depth=1
	s_wait_alu 0xfffe
	s_or_b32 exec_lo, exec_lo, s3
	flat_load_b32 v12, v[20:21] offset:8
	v_mov_b32_e32 v70, 0
	s_mov_b32 s3, exec_lo
	s_wait_loadcnt_dscnt 0x0
	v_dual_mov_b32 v69, 0 :: v_dual_and_b32 v16, 0xff, v12
	s_delay_alu instid0(VALU_DEP_1)
	v_cmpx_ne_u16_e32 0, v16
	s_cbranch_execz .LBB279_50
; %bb.43:                               ;   in Loop: Header=BB279_10 Depth=1
	v_mov_b32_e32 v70, 0x8000
	s_mov_b32 s18, exec_lo
	v_cmpx_ne_u16_e32 0x80, v16
	s_cbranch_execz .LBB279_49
; %bb.44:                               ;   in Loop: Header=BB279_10 Depth=1
	v_and_b32_e32 v71, 0x7f, v12
	v_mov_b32_e32 v70, 0x7c01
	s_mov_b32 s19, exec_lo
	s_delay_alu instid0(VALU_DEP_2)
	v_cmpx_ne_u32_e32 0x7f, v71
	s_cbranch_execz .LBB279_48
; %bb.45:                               ;   in Loop: Header=BB279_10 Depth=1
	v_and_b32_e32 v16, 7, v12
	v_lshrrev_b32_e32 v70, 3, v71
	s_mov_b32 s20, exec_lo
	v_cmpx_gt_u32_e32 8, v71
; %bb.46:                               ;   in Loop: Header=BB279_10 Depth=1
	s_delay_alu instid0(VALU_DEP_3) | instskip(NEXT) | instid1(VALU_DEP_1)
	v_clz_i32_u32_e32 v16, v16
	v_min_u32_e32 v16, 32, v16
	s_delay_alu instid0(VALU_DEP_1) | instskip(NEXT) | instid1(VALU_DEP_1)
	v_subrev_nc_u32_e32 v70, 28, v16
	v_lshlrev_b64_e32 v[80:81], v70, v[12:13]
	v_sub_nc_u32_e32 v70, 29, v16
	s_delay_alu instid0(VALU_DEP_2)
	v_and_b32_e32 v16, 7, v80
; %bb.47:                               ;   in Loop: Header=BB279_10 Depth=1
	s_wait_alu 0xfffe
	s_or_b32 exec_lo, exec_lo, s20
	v_lshlrev_b32_e32 v71, 8, v12
	v_lshl_add_u32 v70, v70, 10, 0x2000
	v_lshlrev_b32_e32 v16, 7, v16
	s_delay_alu instid0(VALU_DEP_3) | instskip(NEXT) | instid1(VALU_DEP_3)
	v_and_b32_e32 v71, 0x8000, v71
	v_and_b32_e32 v70, 0xfc00, v70
	s_delay_alu instid0(VALU_DEP_1)
	v_or3_b32 v70, v71, v70, v16
.LBB279_48:                             ;   in Loop: Header=BB279_10 Depth=1
	s_wait_alu 0xfffe
	s_or_b32 exec_lo, exec_lo, s19
.LBB279_49:                             ;   in Loop: Header=BB279_10 Depth=1
	s_wait_alu 0xfffe
	s_or_b32 exec_lo, exec_lo, s18
.LBB279_50:                             ;   in Loop: Header=BB279_10 Depth=1
	s_wait_alu 0xfffe
	s_or_b32 exec_lo, exec_lo, s3
	v_lshrrev_b16 v16, 8, v12
	s_mov_b32 s3, exec_lo
	s_delay_alu instid0(VALU_DEP_1)
	v_cmpx_ne_u16_e32 0, v16
	s_cbranch_execz .LBB279_58
; %bb.51:                               ;   in Loop: Header=BB279_10 Depth=1
	v_bfrev_b32_e32 v69, 1
	s_mov_b32 s18, exec_lo
	v_cmpx_ne_u16_e32 0x80, v16
	s_cbranch_execz .LBB279_57
; %bb.52:                               ;   in Loop: Header=BB279_10 Depth=1
	v_and_b32_e32 v71, 0xffff, v16
	v_mov_b32_e32 v69, 0x7c010000
	s_mov_b32 s19, exec_lo
	s_delay_alu instid0(VALU_DEP_2) | instskip(NEXT) | instid1(VALU_DEP_1)
	v_and_b32_e32 v81, 0x7f, v71
	v_cmpx_ne_u32_e32 0x7f, v81
	s_cbranch_execz .LBB279_56
; %bb.53:                               ;   in Loop: Header=BB279_10 Depth=1
	v_and_b32_e32 v69, 7, v71
	v_lshrrev_b32_e32 v80, 3, v81
	s_mov_b32 s20, exec_lo
	v_cmpx_gt_u32_e32 8, v81
; %bb.54:                               ;   in Loop: Header=BB279_10 Depth=1
	s_delay_alu instid0(VALU_DEP_3) | instskip(NEXT) | instid1(VALU_DEP_1)
	v_clz_i32_u32_e32 v69, v69
	v_min_u32_e32 v69, 32, v69
	s_delay_alu instid0(VALU_DEP_1) | instskip(NEXT) | instid1(VALU_DEP_1)
	v_subrev_nc_u32_e32 v80, 28, v69
	v_lshlrev_b64_e32 v[81:82], v80, v[16:17]
	v_sub_nc_u32_e32 v80, 29, v69
	s_delay_alu instid0(VALU_DEP_2)
	v_and_b32_e32 v69, 7, v81
; %bb.55:                               ;   in Loop: Header=BB279_10 Depth=1
	s_wait_alu 0xfffe
	s_or_b32 exec_lo, exec_lo, s20
	v_lshlrev_b32_e32 v16, 8, v71
	v_lshl_add_u32 v71, v80, 10, 0x2000
	v_lshlrev_b32_e32 v69, 23, v69
	s_delay_alu instid0(VALU_DEP_2) | instskip(NEXT) | instid1(VALU_DEP_1)
	v_and_or_b32 v16, 0x8000, v16, v71
	v_lshl_or_b32 v69, v16, 16, v69
.LBB279_56:                             ;   in Loop: Header=BB279_10 Depth=1
	s_wait_alu 0xfffe
	s_or_b32 exec_lo, exec_lo, s19
.LBB279_57:                             ;   in Loop: Header=BB279_10 Depth=1
	s_wait_alu 0xfffe
	s_or_b32 exec_lo, exec_lo, s18
.LBB279_58:                             ;   in Loop: Header=BB279_10 Depth=1
	s_wait_alu 0xfffe
	s_or_b32 exec_lo, exec_lo, s3
	v_lshrrev_b32_e32 v16, 16, v12
	v_mov_b32_e32 v71, 0
	s_mov_b32 s3, exec_lo
	s_delay_alu instid0(VALU_DEP_2) | instskip(NEXT) | instid1(VALU_DEP_1)
	v_dual_mov_b32 v80, 0 :: v_dual_and_b32 v81, 0xff, v16
	v_cmpx_ne_u16_e32 0, v81
	s_cbranch_execz .LBB279_66
; %bb.59:                               ;   in Loop: Header=BB279_10 Depth=1
	v_mov_b32_e32 v80, 0x8000
	s_mov_b32 s18, exec_lo
	v_cmpx_ne_u16_e32 0x80, v81
	s_cbranch_execz .LBB279_65
; %bb.60:                               ;   in Loop: Header=BB279_10 Depth=1
	v_bfe_u32 v82, v12, 16, 7
	v_mov_b32_e32 v80, 0x7c01
	s_mov_b32 s19, exec_lo
	s_delay_alu instid0(VALU_DEP_2)
	v_cmpx_ne_u32_e32 0x7f, v82
	s_cbranch_execz .LBB279_64
; %bb.61:                               ;   in Loop: Header=BB279_10 Depth=1
	v_and_b32_e32 v80, 7, v16
	v_lshrrev_b32_e32 v81, 3, v82
	s_mov_b32 s20, exec_lo
	v_cmpx_gt_u32_e32 8, v82
; %bb.62:                               ;   in Loop: Header=BB279_10 Depth=1
	s_delay_alu instid0(VALU_DEP_3) | instskip(NEXT) | instid1(VALU_DEP_1)
	v_clz_i32_u32_e32 v80, v80
	v_min_u32_e32 v82, 32, v80
	s_delay_alu instid0(VALU_DEP_1) | instskip(NEXT) | instid1(VALU_DEP_1)
	v_subrev_nc_u32_e32 v80, 28, v82
	v_lshlrev_b64_e32 v[80:81], v80, v[16:17]
	v_sub_nc_u32_e32 v81, 29, v82
	s_delay_alu instid0(VALU_DEP_2)
	v_and_b32_e32 v80, 7, v80
; %bb.63:                               ;   in Loop: Header=BB279_10 Depth=1
	s_wait_alu 0xfffe
	s_or_b32 exec_lo, exec_lo, s20
	v_lshlrev_b32_e32 v16, 8, v16
	v_lshl_add_u32 v81, v81, 10, 0x2000
	v_lshlrev_b32_e32 v80, 7, v80
	s_delay_alu instid0(VALU_DEP_3) | instskip(NEXT) | instid1(VALU_DEP_3)
	v_and_b32_e32 v16, 0x8000, v16
	v_and_b32_e32 v81, 0xfc00, v81
	s_delay_alu instid0(VALU_DEP_1)
	v_or3_b32 v80, v16, v81, v80
.LBB279_64:                             ;   in Loop: Header=BB279_10 Depth=1
	s_wait_alu 0xfffe
	s_or_b32 exec_lo, exec_lo, s19
.LBB279_65:                             ;   in Loop: Header=BB279_10 Depth=1
	s_wait_alu 0xfffe
	s_or_b32 exec_lo, exec_lo, s18
.LBB279_66:                             ;   in Loop: Header=BB279_10 Depth=1
	s_wait_alu 0xfffe
	s_or_b32 exec_lo, exec_lo, s3
	s_delay_alu instid0(SALU_CYCLE_1)
	s_mov_b32 s3, exec_lo
	v_cmpx_lt_u32_e32 0xffffff, v12
	s_cbranch_execz .LBB279_74
; %bb.67:                               ;   in Loop: Header=BB279_10 Depth=1
	v_lshrrev_b32_e32 v16, 24, v12
	v_bfrev_b32_e32 v71, 1
	s_mov_b32 s18, exec_lo
	s_delay_alu instid0(VALU_DEP_2)
	v_cmpx_ne_u32_e32 0x80, v16
	s_cbranch_execz .LBB279_73
; %bb.68:                               ;   in Loop: Header=BB279_10 Depth=1
	v_and_b32_e32 v81, 0x7f, v16
	v_mov_b32_e32 v71, 0x7c010000
	s_mov_b32 s19, exec_lo
	s_delay_alu instid0(VALU_DEP_2)
	v_cmpx_ne_u32_e32 0x7f, v81
	s_cbranch_execz .LBB279_72
; %bb.69:                               ;   in Loop: Header=BB279_10 Depth=1
	v_and_b32_e32 v12, 7, v16
	v_lshrrev_b32_e32 v71, 3, v81
	s_mov_b32 s20, exec_lo
	v_cmpx_gt_u32_e32 8, v81
; %bb.70:                               ;   in Loop: Header=BB279_10 Depth=1
	s_delay_alu instid0(VALU_DEP_3) | instskip(NEXT) | instid1(VALU_DEP_1)
	v_clz_i32_u32_e32 v12, v12
	v_min_u32_e32 v12, 32, v12
	s_delay_alu instid0(VALU_DEP_1) | instskip(NEXT) | instid1(VALU_DEP_1)
	v_subrev_nc_u32_e32 v71, 28, v12
	v_lshlrev_b64_e32 v[81:82], v71, v[16:17]
	v_sub_nc_u32_e32 v71, 29, v12
	s_delay_alu instid0(VALU_DEP_2)
	v_and_b32_e32 v12, 7, v81
; %bb.71:                               ;   in Loop: Header=BB279_10 Depth=1
	s_wait_alu 0xfffe
	s_or_b32 exec_lo, exec_lo, s20
	v_lshlrev_b32_e32 v16, 8, v16
	v_lshl_add_u32 v71, v71, 10, 0x2000
	v_lshlrev_b32_e32 v12, 23, v12
	s_delay_alu instid0(VALU_DEP_2) | instskip(NEXT) | instid1(VALU_DEP_1)
	v_and_or_b32 v16, 0x8000, v16, v71
	v_lshl_or_b32 v71, v16, 16, v12
.LBB279_72:                             ;   in Loop: Header=BB279_10 Depth=1
	s_wait_alu 0xfffe
	s_or_b32 exec_lo, exec_lo, s19
.LBB279_73:                             ;   in Loop: Header=BB279_10 Depth=1
	s_wait_alu 0xfffe
	s_or_b32 exec_lo, exec_lo, s18
.LBB279_74:                             ;   in Loop: Header=BB279_10 Depth=1
	s_wait_alu 0xfffe
	s_or_b32 exec_lo, exec_lo, s3
	flat_load_b32 v12, v[20:21] offset:256
	v_mov_b32_e32 v82, 0
	s_mov_b32 s3, exec_lo
	s_wait_loadcnt_dscnt 0x0
	v_dual_mov_b32 v81, 0 :: v_dual_and_b32 v16, 0xff, v12
	s_delay_alu instid0(VALU_DEP_1)
	v_cmpx_ne_u16_e32 0, v16
	s_cbranch_execz .LBB279_82
; %bb.75:                               ;   in Loop: Header=BB279_10 Depth=1
	v_mov_b32_e32 v82, 0x8000
	s_mov_b32 s18, exec_lo
	v_cmpx_ne_u16_e32 0x80, v16
	s_cbranch_execz .LBB279_81
; %bb.76:                               ;   in Loop: Header=BB279_10 Depth=1
	v_and_b32_e32 v83, 0x7f, v12
	v_mov_b32_e32 v82, 0x7c01
	s_mov_b32 s19, exec_lo
	s_delay_alu instid0(VALU_DEP_2)
	v_cmpx_ne_u32_e32 0x7f, v83
	s_cbranch_execz .LBB279_80
; %bb.77:                               ;   in Loop: Header=BB279_10 Depth=1
	v_and_b32_e32 v16, 7, v12
	v_lshrrev_b32_e32 v82, 3, v83
	s_mov_b32 s20, exec_lo
	v_cmpx_gt_u32_e32 8, v83
; %bb.78:                               ;   in Loop: Header=BB279_10 Depth=1
	s_delay_alu instid0(VALU_DEP_3) | instskip(NEXT) | instid1(VALU_DEP_1)
	v_clz_i32_u32_e32 v16, v16
	v_min_u32_e32 v16, 32, v16
	s_delay_alu instid0(VALU_DEP_1) | instskip(NEXT) | instid1(VALU_DEP_1)
	v_subrev_nc_u32_e32 v82, 28, v16
	v_lshlrev_b64_e32 v[83:84], v82, v[12:13]
	v_sub_nc_u32_e32 v82, 29, v16
	s_delay_alu instid0(VALU_DEP_2)
	v_and_b32_e32 v16, 7, v83
; %bb.79:                               ;   in Loop: Header=BB279_10 Depth=1
	s_wait_alu 0xfffe
	s_or_b32 exec_lo, exec_lo, s20
	v_lshlrev_b32_e32 v83, 8, v12
	v_lshl_add_u32 v82, v82, 10, 0x2000
	v_lshlrev_b32_e32 v16, 7, v16
	s_delay_alu instid0(VALU_DEP_3) | instskip(NEXT) | instid1(VALU_DEP_3)
	v_and_b32_e32 v83, 0x8000, v83
	v_and_b32_e32 v82, 0xfc00, v82
	s_delay_alu instid0(VALU_DEP_1)
	v_or3_b32 v82, v83, v82, v16
.LBB279_80:                             ;   in Loop: Header=BB279_10 Depth=1
	s_wait_alu 0xfffe
	s_or_b32 exec_lo, exec_lo, s19
.LBB279_81:                             ;   in Loop: Header=BB279_10 Depth=1
	s_wait_alu 0xfffe
	s_or_b32 exec_lo, exec_lo, s18
.LBB279_82:                             ;   in Loop: Header=BB279_10 Depth=1
	s_wait_alu 0xfffe
	s_or_b32 exec_lo, exec_lo, s3
	v_lshrrev_b16 v16, 8, v12
	s_mov_b32 s3, exec_lo
	s_delay_alu instid0(VALU_DEP_1)
	v_cmpx_ne_u16_e32 0, v16
	s_cbranch_execz .LBB279_90
; %bb.83:                               ;   in Loop: Header=BB279_10 Depth=1
	v_bfrev_b32_e32 v81, 1
	s_mov_b32 s18, exec_lo
	v_cmpx_ne_u16_e32 0x80, v16
	s_cbranch_execz .LBB279_89
; %bb.84:                               ;   in Loop: Header=BB279_10 Depth=1
	v_and_b32_e32 v83, 0xffff, v16
	v_mov_b32_e32 v81, 0x7c010000
	s_mov_b32 s19, exec_lo
	s_delay_alu instid0(VALU_DEP_2) | instskip(NEXT) | instid1(VALU_DEP_1)
	v_and_b32_e32 v85, 0x7f, v83
	v_cmpx_ne_u32_e32 0x7f, v85
	s_cbranch_execz .LBB279_88
; %bb.85:                               ;   in Loop: Header=BB279_10 Depth=1
	v_and_b32_e32 v81, 7, v83
	v_lshrrev_b32_e32 v84, 3, v85
	s_mov_b32 s20, exec_lo
	v_cmpx_gt_u32_e32 8, v85
; %bb.86:                               ;   in Loop: Header=BB279_10 Depth=1
	s_delay_alu instid0(VALU_DEP_3) | instskip(NEXT) | instid1(VALU_DEP_1)
	v_clz_i32_u32_e32 v81, v81
	v_min_u32_e32 v81, 32, v81
	s_delay_alu instid0(VALU_DEP_1) | instskip(NEXT) | instid1(VALU_DEP_1)
	v_subrev_nc_u32_e32 v84, 28, v81
	v_lshlrev_b64_e32 v[85:86], v84, v[16:17]
	v_sub_nc_u32_e32 v84, 29, v81
	s_delay_alu instid0(VALU_DEP_2)
	v_and_b32_e32 v81, 7, v85
; %bb.87:                               ;   in Loop: Header=BB279_10 Depth=1
	s_wait_alu 0xfffe
	s_or_b32 exec_lo, exec_lo, s20
	v_lshlrev_b32_e32 v16, 8, v83
	v_lshl_add_u32 v83, v84, 10, 0x2000
	v_lshlrev_b32_e32 v81, 23, v81
	s_delay_alu instid0(VALU_DEP_2) | instskip(NEXT) | instid1(VALU_DEP_1)
	v_and_or_b32 v16, 0x8000, v16, v83
	v_lshl_or_b32 v81, v16, 16, v81
.LBB279_88:                             ;   in Loop: Header=BB279_10 Depth=1
	s_wait_alu 0xfffe
	s_or_b32 exec_lo, exec_lo, s19
.LBB279_89:                             ;   in Loop: Header=BB279_10 Depth=1
	s_wait_alu 0xfffe
	s_or_b32 exec_lo, exec_lo, s18
.LBB279_90:                             ;   in Loop: Header=BB279_10 Depth=1
	s_wait_alu 0xfffe
	s_or_b32 exec_lo, exec_lo, s3
	v_lshrrev_b32_e32 v16, 16, v12
	v_mov_b32_e32 v83, 0
	s_mov_b32 s3, exec_lo
	s_delay_alu instid0(VALU_DEP_2) | instskip(NEXT) | instid1(VALU_DEP_1)
	v_dual_mov_b32 v84, 0 :: v_dual_and_b32 v85, 0xff, v16
	v_cmpx_ne_u16_e32 0, v85
	s_cbranch_execz .LBB279_98
; %bb.91:                               ;   in Loop: Header=BB279_10 Depth=1
	v_mov_b32_e32 v84, 0x8000
	s_mov_b32 s18, exec_lo
	v_cmpx_ne_u16_e32 0x80, v85
	s_cbranch_execz .LBB279_97
; %bb.92:                               ;   in Loop: Header=BB279_10 Depth=1
	v_bfe_u32 v86, v12, 16, 7
	v_mov_b32_e32 v84, 0x7c01
	s_mov_b32 s19, exec_lo
	s_delay_alu instid0(VALU_DEP_2)
	v_cmpx_ne_u32_e32 0x7f, v86
	s_cbranch_execz .LBB279_96
; %bb.93:                               ;   in Loop: Header=BB279_10 Depth=1
	v_and_b32_e32 v84, 7, v16
	v_lshrrev_b32_e32 v85, 3, v86
	s_mov_b32 s20, exec_lo
	v_cmpx_gt_u32_e32 8, v86
; %bb.94:                               ;   in Loop: Header=BB279_10 Depth=1
	s_delay_alu instid0(VALU_DEP_3) | instskip(NEXT) | instid1(VALU_DEP_1)
	v_clz_i32_u32_e32 v84, v84
	v_min_u32_e32 v86, 32, v84
	s_delay_alu instid0(VALU_DEP_1) | instskip(NEXT) | instid1(VALU_DEP_1)
	v_subrev_nc_u32_e32 v84, 28, v86
	v_lshlrev_b64_e32 v[84:85], v84, v[16:17]
	v_sub_nc_u32_e32 v85, 29, v86
	s_delay_alu instid0(VALU_DEP_2)
	v_and_b32_e32 v84, 7, v84
; %bb.95:                               ;   in Loop: Header=BB279_10 Depth=1
	s_wait_alu 0xfffe
	s_or_b32 exec_lo, exec_lo, s20
	v_lshlrev_b32_e32 v16, 8, v16
	v_lshl_add_u32 v85, v85, 10, 0x2000
	v_lshlrev_b32_e32 v84, 7, v84
	s_delay_alu instid0(VALU_DEP_3) | instskip(NEXT) | instid1(VALU_DEP_3)
	v_and_b32_e32 v16, 0x8000, v16
	v_and_b32_e32 v85, 0xfc00, v85
	s_delay_alu instid0(VALU_DEP_1)
	v_or3_b32 v84, v16, v85, v84
.LBB279_96:                             ;   in Loop: Header=BB279_10 Depth=1
	s_wait_alu 0xfffe
	s_or_b32 exec_lo, exec_lo, s19
.LBB279_97:                             ;   in Loop: Header=BB279_10 Depth=1
	s_wait_alu 0xfffe
	s_or_b32 exec_lo, exec_lo, s18
.LBB279_98:                             ;   in Loop: Header=BB279_10 Depth=1
	s_wait_alu 0xfffe
	s_or_b32 exec_lo, exec_lo, s3
	s_delay_alu instid0(SALU_CYCLE_1)
	s_mov_b32 s3, exec_lo
	v_cmpx_lt_u32_e32 0xffffff, v12
	s_cbranch_execz .LBB279_106
; %bb.99:                               ;   in Loop: Header=BB279_10 Depth=1
	v_lshrrev_b32_e32 v16, 24, v12
	v_bfrev_b32_e32 v83, 1
	s_mov_b32 s18, exec_lo
	s_delay_alu instid0(VALU_DEP_2)
	v_cmpx_ne_u32_e32 0x80, v16
	s_cbranch_execz .LBB279_105
; %bb.100:                              ;   in Loop: Header=BB279_10 Depth=1
	v_and_b32_e32 v85, 0x7f, v16
	v_mov_b32_e32 v83, 0x7c010000
	s_mov_b32 s19, exec_lo
	s_delay_alu instid0(VALU_DEP_2)
	v_cmpx_ne_u32_e32 0x7f, v85
	s_cbranch_execz .LBB279_104
; %bb.101:                              ;   in Loop: Header=BB279_10 Depth=1
	v_and_b32_e32 v12, 7, v16
	v_lshrrev_b32_e32 v83, 3, v85
	s_mov_b32 s20, exec_lo
	v_cmpx_gt_u32_e32 8, v85
; %bb.102:                              ;   in Loop: Header=BB279_10 Depth=1
	s_delay_alu instid0(VALU_DEP_3) | instskip(NEXT) | instid1(VALU_DEP_1)
	v_clz_i32_u32_e32 v12, v12
	v_min_u32_e32 v12, 32, v12
	s_delay_alu instid0(VALU_DEP_1) | instskip(NEXT) | instid1(VALU_DEP_1)
	v_subrev_nc_u32_e32 v83, 28, v12
	v_lshlrev_b64_e32 v[85:86], v83, v[16:17]
	v_sub_nc_u32_e32 v83, 29, v12
	s_delay_alu instid0(VALU_DEP_2)
	v_and_b32_e32 v12, 7, v85
; %bb.103:                              ;   in Loop: Header=BB279_10 Depth=1
	s_wait_alu 0xfffe
	s_or_b32 exec_lo, exec_lo, s20
	v_lshlrev_b32_e32 v16, 8, v16
	v_lshl_add_u32 v83, v83, 10, 0x2000
	v_lshlrev_b32_e32 v12, 23, v12
	s_delay_alu instid0(VALU_DEP_2) | instskip(NEXT) | instid1(VALU_DEP_1)
	v_and_or_b32 v16, 0x8000, v16, v83
	v_lshl_or_b32 v83, v16, 16, v12
.LBB279_104:                            ;   in Loop: Header=BB279_10 Depth=1
	s_wait_alu 0xfffe
	s_or_b32 exec_lo, exec_lo, s19
.LBB279_105:                            ;   in Loop: Header=BB279_10 Depth=1
	s_wait_alu 0xfffe
	s_or_b32 exec_lo, exec_lo, s18
.LBB279_106:                            ;   in Loop: Header=BB279_10 Depth=1
	s_wait_alu 0xfffe
	s_or_b32 exec_lo, exec_lo, s3
	flat_load_b32 v12, v[20:21] offset:264
	v_mov_b32_e32 v86, 0
	s_mov_b32 s3, exec_lo
	s_wait_loadcnt_dscnt 0x0
	v_dual_mov_b32 v85, 0 :: v_dual_and_b32 v16, 0xff, v12
	s_delay_alu instid0(VALU_DEP_1)
	v_cmpx_ne_u16_e32 0, v16
	s_cbranch_execz .LBB279_114
; %bb.107:                              ;   in Loop: Header=BB279_10 Depth=1
	v_mov_b32_e32 v86, 0x8000
	s_mov_b32 s18, exec_lo
	v_cmpx_ne_u16_e32 0x80, v16
	s_cbranch_execz .LBB279_113
; %bb.108:                              ;   in Loop: Header=BB279_10 Depth=1
	v_and_b32_e32 v87, 0x7f, v12
	v_mov_b32_e32 v86, 0x7c01
	s_mov_b32 s19, exec_lo
	s_delay_alu instid0(VALU_DEP_2)
	v_cmpx_ne_u32_e32 0x7f, v87
	s_cbranch_execz .LBB279_112
; %bb.109:                              ;   in Loop: Header=BB279_10 Depth=1
	v_and_b32_e32 v16, 7, v12
	v_lshrrev_b32_e32 v86, 3, v87
	s_mov_b32 s20, exec_lo
	v_cmpx_gt_u32_e32 8, v87
; %bb.110:                              ;   in Loop: Header=BB279_10 Depth=1
	s_delay_alu instid0(VALU_DEP_3) | instskip(NEXT) | instid1(VALU_DEP_1)
	v_clz_i32_u32_e32 v16, v16
	v_min_u32_e32 v16, 32, v16
	s_delay_alu instid0(VALU_DEP_1) | instskip(NEXT) | instid1(VALU_DEP_1)
	v_subrev_nc_u32_e32 v86, 28, v16
	v_lshlrev_b64_e32 v[96:97], v86, v[12:13]
	v_sub_nc_u32_e32 v86, 29, v16
	s_delay_alu instid0(VALU_DEP_2)
	v_and_b32_e32 v16, 7, v96
; %bb.111:                              ;   in Loop: Header=BB279_10 Depth=1
	s_wait_alu 0xfffe
	s_or_b32 exec_lo, exec_lo, s20
	v_lshlrev_b32_e32 v87, 8, v12
	v_lshl_add_u32 v86, v86, 10, 0x2000
	v_lshlrev_b32_e32 v16, 7, v16
	s_delay_alu instid0(VALU_DEP_3) | instskip(NEXT) | instid1(VALU_DEP_3)
	v_and_b32_e32 v87, 0x8000, v87
	v_and_b32_e32 v86, 0xfc00, v86
	s_delay_alu instid0(VALU_DEP_1)
	v_or3_b32 v86, v87, v86, v16
.LBB279_112:                            ;   in Loop: Header=BB279_10 Depth=1
	s_wait_alu 0xfffe
	s_or_b32 exec_lo, exec_lo, s19
.LBB279_113:                            ;   in Loop: Header=BB279_10 Depth=1
	s_wait_alu 0xfffe
	s_or_b32 exec_lo, exec_lo, s18
.LBB279_114:                            ;   in Loop: Header=BB279_10 Depth=1
	s_wait_alu 0xfffe
	s_or_b32 exec_lo, exec_lo, s3
	v_lshrrev_b16 v16, 8, v12
	s_mov_b32 s3, exec_lo
	s_delay_alu instid0(VALU_DEP_1)
	v_cmpx_ne_u16_e32 0, v16
	s_cbranch_execz .LBB279_122
; %bb.115:                              ;   in Loop: Header=BB279_10 Depth=1
	v_bfrev_b32_e32 v85, 1
	s_mov_b32 s18, exec_lo
	v_cmpx_ne_u16_e32 0x80, v16
	s_cbranch_execz .LBB279_121
; %bb.116:                              ;   in Loop: Header=BB279_10 Depth=1
	v_and_b32_e32 v87, 0xffff, v16
	v_mov_b32_e32 v85, 0x7c010000
	s_mov_b32 s19, exec_lo
	s_delay_alu instid0(VALU_DEP_2) | instskip(NEXT) | instid1(VALU_DEP_1)
	v_and_b32_e32 v97, 0x7f, v87
	v_cmpx_ne_u32_e32 0x7f, v97
	s_cbranch_execz .LBB279_120
; %bb.117:                              ;   in Loop: Header=BB279_10 Depth=1
	v_and_b32_e32 v85, 7, v87
	v_lshrrev_b32_e32 v96, 3, v97
	s_mov_b32 s20, exec_lo
	v_cmpx_gt_u32_e32 8, v97
; %bb.118:                              ;   in Loop: Header=BB279_10 Depth=1
	s_delay_alu instid0(VALU_DEP_3) | instskip(NEXT) | instid1(VALU_DEP_1)
	v_clz_i32_u32_e32 v85, v85
	v_min_u32_e32 v85, 32, v85
	s_delay_alu instid0(VALU_DEP_1) | instskip(NEXT) | instid1(VALU_DEP_1)
	v_subrev_nc_u32_e32 v96, 28, v85
	v_lshlrev_b64_e32 v[97:98], v96, v[16:17]
	v_sub_nc_u32_e32 v96, 29, v85
	s_delay_alu instid0(VALU_DEP_2)
	v_and_b32_e32 v85, 7, v97
; %bb.119:                              ;   in Loop: Header=BB279_10 Depth=1
	s_wait_alu 0xfffe
	s_or_b32 exec_lo, exec_lo, s20
	v_lshlrev_b32_e32 v16, 8, v87
	v_lshl_add_u32 v87, v96, 10, 0x2000
	v_lshlrev_b32_e32 v85, 23, v85
	s_delay_alu instid0(VALU_DEP_2) | instskip(NEXT) | instid1(VALU_DEP_1)
	v_and_or_b32 v16, 0x8000, v16, v87
	v_lshl_or_b32 v85, v16, 16, v85
.LBB279_120:                            ;   in Loop: Header=BB279_10 Depth=1
	s_wait_alu 0xfffe
	s_or_b32 exec_lo, exec_lo, s19
.LBB279_121:                            ;   in Loop: Header=BB279_10 Depth=1
	s_wait_alu 0xfffe
	s_or_b32 exec_lo, exec_lo, s18
.LBB279_122:                            ;   in Loop: Header=BB279_10 Depth=1
	s_wait_alu 0xfffe
	s_or_b32 exec_lo, exec_lo, s3
	v_lshrrev_b32_e32 v16, 16, v12
	v_mov_b32_e32 v87, 0
	s_mov_b32 s3, exec_lo
	s_delay_alu instid0(VALU_DEP_2) | instskip(NEXT) | instid1(VALU_DEP_1)
	v_dual_mov_b32 v96, 0 :: v_dual_and_b32 v97, 0xff, v16
	v_cmpx_ne_u16_e32 0, v97
	s_cbranch_execz .LBB279_130
; %bb.123:                              ;   in Loop: Header=BB279_10 Depth=1
	v_mov_b32_e32 v96, 0x8000
	s_mov_b32 s18, exec_lo
	v_cmpx_ne_u16_e32 0x80, v97
	s_cbranch_execz .LBB279_129
; %bb.124:                              ;   in Loop: Header=BB279_10 Depth=1
	v_bfe_u32 v98, v12, 16, 7
	v_mov_b32_e32 v96, 0x7c01
	s_mov_b32 s19, exec_lo
	s_delay_alu instid0(VALU_DEP_2)
	v_cmpx_ne_u32_e32 0x7f, v98
	s_cbranch_execz .LBB279_128
; %bb.125:                              ;   in Loop: Header=BB279_10 Depth=1
	v_and_b32_e32 v96, 7, v16
	v_lshrrev_b32_e32 v97, 3, v98
	s_mov_b32 s20, exec_lo
	v_cmpx_gt_u32_e32 8, v98
; %bb.126:                              ;   in Loop: Header=BB279_10 Depth=1
	s_delay_alu instid0(VALU_DEP_3) | instskip(NEXT) | instid1(VALU_DEP_1)
	v_clz_i32_u32_e32 v96, v96
	v_min_u32_e32 v98, 32, v96
	s_delay_alu instid0(VALU_DEP_1) | instskip(NEXT) | instid1(VALU_DEP_1)
	v_subrev_nc_u32_e32 v96, 28, v98
	v_lshlrev_b64_e32 v[96:97], v96, v[16:17]
	v_sub_nc_u32_e32 v97, 29, v98
	s_delay_alu instid0(VALU_DEP_2)
	v_and_b32_e32 v96, 7, v96
; %bb.127:                              ;   in Loop: Header=BB279_10 Depth=1
	s_wait_alu 0xfffe
	s_or_b32 exec_lo, exec_lo, s20
	v_lshlrev_b32_e32 v16, 8, v16
	v_lshl_add_u32 v97, v97, 10, 0x2000
	v_lshlrev_b32_e32 v96, 7, v96
	s_delay_alu instid0(VALU_DEP_3) | instskip(NEXT) | instid1(VALU_DEP_3)
	v_and_b32_e32 v16, 0x8000, v16
	v_and_b32_e32 v97, 0xfc00, v97
	s_delay_alu instid0(VALU_DEP_1)
	v_or3_b32 v96, v16, v97, v96
.LBB279_128:                            ;   in Loop: Header=BB279_10 Depth=1
	s_wait_alu 0xfffe
	s_or_b32 exec_lo, exec_lo, s19
.LBB279_129:                            ;   in Loop: Header=BB279_10 Depth=1
	s_wait_alu 0xfffe
	s_or_b32 exec_lo, exec_lo, s18
.LBB279_130:                            ;   in Loop: Header=BB279_10 Depth=1
	s_wait_alu 0xfffe
	s_or_b32 exec_lo, exec_lo, s3
	s_delay_alu instid0(SALU_CYCLE_1)
	s_mov_b32 s3, exec_lo
	v_cmpx_lt_u32_e32 0xffffff, v12
	s_cbranch_execz .LBB279_138
; %bb.131:                              ;   in Loop: Header=BB279_10 Depth=1
	v_lshrrev_b32_e32 v16, 24, v12
	v_bfrev_b32_e32 v87, 1
	s_mov_b32 s18, exec_lo
	s_delay_alu instid0(VALU_DEP_2)
	v_cmpx_ne_u32_e32 0x80, v16
	s_cbranch_execz .LBB279_137
; %bb.132:                              ;   in Loop: Header=BB279_10 Depth=1
	v_and_b32_e32 v97, 0x7f, v16
	v_mov_b32_e32 v87, 0x7c010000
	s_mov_b32 s19, exec_lo
	s_delay_alu instid0(VALU_DEP_2)
	v_cmpx_ne_u32_e32 0x7f, v97
	s_cbranch_execz .LBB279_136
; %bb.133:                              ;   in Loop: Header=BB279_10 Depth=1
	v_and_b32_e32 v12, 7, v16
	v_lshrrev_b32_e32 v87, 3, v97
	s_mov_b32 s20, exec_lo
	v_cmpx_gt_u32_e32 8, v97
; %bb.134:                              ;   in Loop: Header=BB279_10 Depth=1
	s_delay_alu instid0(VALU_DEP_3) | instskip(NEXT) | instid1(VALU_DEP_1)
	v_clz_i32_u32_e32 v12, v12
	v_min_u32_e32 v12, 32, v12
	s_delay_alu instid0(VALU_DEP_1) | instskip(NEXT) | instid1(VALU_DEP_1)
	v_subrev_nc_u32_e32 v87, 28, v12
	v_lshlrev_b64_e32 v[97:98], v87, v[16:17]
	v_sub_nc_u32_e32 v87, 29, v12
	s_delay_alu instid0(VALU_DEP_2)
	v_and_b32_e32 v12, 7, v97
; %bb.135:                              ;   in Loop: Header=BB279_10 Depth=1
	s_wait_alu 0xfffe
	s_or_b32 exec_lo, exec_lo, s20
	v_lshlrev_b32_e32 v16, 8, v16
	v_lshl_add_u32 v87, v87, 10, 0x2000
	v_lshlrev_b32_e32 v12, 23, v12
	s_delay_alu instid0(VALU_DEP_2) | instskip(NEXT) | instid1(VALU_DEP_1)
	v_and_or_b32 v16, 0x8000, v16, v87
	v_lshl_or_b32 v87, v16, 16, v12
.LBB279_136:                            ;   in Loop: Header=BB279_10 Depth=1
	s_wait_alu 0xfffe
	s_or_b32 exec_lo, exec_lo, s19
.LBB279_137:                            ;   in Loop: Header=BB279_10 Depth=1
	s_wait_alu 0xfffe
	s_or_b32 exec_lo, exec_lo, s18
.LBB279_138:                            ;   in Loop: Header=BB279_10 Depth=1
	s_wait_alu 0xfffe
	s_or_b32 exec_lo, exec_lo, s3
	flat_load_b32 v12, v[20:21] offset:512
	v_mov_b32_e32 v98, 0
	s_mov_b32 s3, exec_lo
	s_wait_loadcnt_dscnt 0x0
	v_dual_mov_b32 v97, 0 :: v_dual_and_b32 v16, 0xff, v12
	s_delay_alu instid0(VALU_DEP_1)
	v_cmpx_ne_u16_e32 0, v16
	s_cbranch_execz .LBB279_146
; %bb.139:                              ;   in Loop: Header=BB279_10 Depth=1
	v_mov_b32_e32 v98, 0x8000
	s_mov_b32 s18, exec_lo
	v_cmpx_ne_u16_e32 0x80, v16
	s_cbranch_execz .LBB279_145
; %bb.140:                              ;   in Loop: Header=BB279_10 Depth=1
	v_and_b32_e32 v99, 0x7f, v12
	v_mov_b32_e32 v98, 0x7c01
	s_mov_b32 s19, exec_lo
	s_delay_alu instid0(VALU_DEP_2)
	v_cmpx_ne_u32_e32 0x7f, v99
	s_cbranch_execz .LBB279_144
; %bb.141:                              ;   in Loop: Header=BB279_10 Depth=1
	v_and_b32_e32 v16, 7, v12
	v_lshrrev_b32_e32 v98, 3, v99
	s_mov_b32 s20, exec_lo
	v_cmpx_gt_u32_e32 8, v99
; %bb.142:                              ;   in Loop: Header=BB279_10 Depth=1
	s_delay_alu instid0(VALU_DEP_3) | instskip(NEXT) | instid1(VALU_DEP_1)
	v_clz_i32_u32_e32 v16, v16
	v_min_u32_e32 v16, 32, v16
	s_delay_alu instid0(VALU_DEP_1) | instskip(NEXT) | instid1(VALU_DEP_1)
	v_subrev_nc_u32_e32 v98, 28, v16
	v_lshlrev_b64_e32 v[99:100], v98, v[12:13]
	v_sub_nc_u32_e32 v98, 29, v16
	s_delay_alu instid0(VALU_DEP_2)
	v_and_b32_e32 v16, 7, v99
; %bb.143:                              ;   in Loop: Header=BB279_10 Depth=1
	s_wait_alu 0xfffe
	s_or_b32 exec_lo, exec_lo, s20
	v_lshlrev_b32_e32 v99, 8, v12
	v_lshl_add_u32 v98, v98, 10, 0x2000
	v_lshlrev_b32_e32 v16, 7, v16
	s_delay_alu instid0(VALU_DEP_3) | instskip(NEXT) | instid1(VALU_DEP_3)
	v_and_b32_e32 v99, 0x8000, v99
	v_and_b32_e32 v98, 0xfc00, v98
	s_delay_alu instid0(VALU_DEP_1)
	v_or3_b32 v98, v99, v98, v16
.LBB279_144:                            ;   in Loop: Header=BB279_10 Depth=1
	s_wait_alu 0xfffe
	s_or_b32 exec_lo, exec_lo, s19
.LBB279_145:                            ;   in Loop: Header=BB279_10 Depth=1
	s_wait_alu 0xfffe
	s_or_b32 exec_lo, exec_lo, s18
.LBB279_146:                            ;   in Loop: Header=BB279_10 Depth=1
	s_wait_alu 0xfffe
	s_or_b32 exec_lo, exec_lo, s3
	v_lshrrev_b16 v16, 8, v12
	s_mov_b32 s3, exec_lo
	s_delay_alu instid0(VALU_DEP_1)
	v_cmpx_ne_u16_e32 0, v16
	s_cbranch_execz .LBB279_154
; %bb.147:                              ;   in Loop: Header=BB279_10 Depth=1
	v_bfrev_b32_e32 v97, 1
	s_mov_b32 s18, exec_lo
	v_cmpx_ne_u16_e32 0x80, v16
	s_cbranch_execz .LBB279_153
; %bb.148:                              ;   in Loop: Header=BB279_10 Depth=1
	v_and_b32_e32 v99, 0xffff, v16
	v_mov_b32_e32 v97, 0x7c010000
	s_mov_b32 s19, exec_lo
	s_delay_alu instid0(VALU_DEP_2) | instskip(NEXT) | instid1(VALU_DEP_1)
	v_and_b32_e32 v101, 0x7f, v99
	v_cmpx_ne_u32_e32 0x7f, v101
	s_cbranch_execz .LBB279_152
; %bb.149:                              ;   in Loop: Header=BB279_10 Depth=1
	v_and_b32_e32 v97, 7, v99
	v_lshrrev_b32_e32 v100, 3, v101
	s_mov_b32 s20, exec_lo
	v_cmpx_gt_u32_e32 8, v101
; %bb.150:                              ;   in Loop: Header=BB279_10 Depth=1
	s_delay_alu instid0(VALU_DEP_3) | instskip(NEXT) | instid1(VALU_DEP_1)
	v_clz_i32_u32_e32 v97, v97
	v_min_u32_e32 v97, 32, v97
	s_delay_alu instid0(VALU_DEP_1) | instskip(NEXT) | instid1(VALU_DEP_1)
	v_subrev_nc_u32_e32 v100, 28, v97
	v_lshlrev_b64_e32 v[101:102], v100, v[16:17]
	v_sub_nc_u32_e32 v100, 29, v97
	s_delay_alu instid0(VALU_DEP_2)
	v_and_b32_e32 v97, 7, v101
; %bb.151:                              ;   in Loop: Header=BB279_10 Depth=1
	s_wait_alu 0xfffe
	s_or_b32 exec_lo, exec_lo, s20
	v_lshlrev_b32_e32 v16, 8, v99
	v_lshl_add_u32 v99, v100, 10, 0x2000
	v_lshlrev_b32_e32 v97, 23, v97
	s_delay_alu instid0(VALU_DEP_2) | instskip(NEXT) | instid1(VALU_DEP_1)
	v_and_or_b32 v16, 0x8000, v16, v99
	v_lshl_or_b32 v97, v16, 16, v97
.LBB279_152:                            ;   in Loop: Header=BB279_10 Depth=1
	s_wait_alu 0xfffe
	s_or_b32 exec_lo, exec_lo, s19
.LBB279_153:                            ;   in Loop: Header=BB279_10 Depth=1
	s_wait_alu 0xfffe
	s_or_b32 exec_lo, exec_lo, s18
.LBB279_154:                            ;   in Loop: Header=BB279_10 Depth=1
	s_wait_alu 0xfffe
	s_or_b32 exec_lo, exec_lo, s3
	v_lshrrev_b32_e32 v16, 16, v12
	v_mov_b32_e32 v99, 0
	s_mov_b32 s3, exec_lo
	s_delay_alu instid0(VALU_DEP_2) | instskip(NEXT) | instid1(VALU_DEP_1)
	v_dual_mov_b32 v100, 0 :: v_dual_and_b32 v101, 0xff, v16
	v_cmpx_ne_u16_e32 0, v101
	s_cbranch_execz .LBB279_162
; %bb.155:                              ;   in Loop: Header=BB279_10 Depth=1
	v_mov_b32_e32 v100, 0x8000
	s_mov_b32 s18, exec_lo
	v_cmpx_ne_u16_e32 0x80, v101
	s_cbranch_execz .LBB279_161
; %bb.156:                              ;   in Loop: Header=BB279_10 Depth=1
	v_bfe_u32 v102, v12, 16, 7
	v_mov_b32_e32 v100, 0x7c01
	s_mov_b32 s19, exec_lo
	s_delay_alu instid0(VALU_DEP_2)
	v_cmpx_ne_u32_e32 0x7f, v102
	s_cbranch_execz .LBB279_160
; %bb.157:                              ;   in Loop: Header=BB279_10 Depth=1
	v_and_b32_e32 v100, 7, v16
	v_lshrrev_b32_e32 v101, 3, v102
	s_mov_b32 s20, exec_lo
	v_cmpx_gt_u32_e32 8, v102
; %bb.158:                              ;   in Loop: Header=BB279_10 Depth=1
	s_delay_alu instid0(VALU_DEP_3) | instskip(NEXT) | instid1(VALU_DEP_1)
	v_clz_i32_u32_e32 v100, v100
	v_min_u32_e32 v102, 32, v100
	s_delay_alu instid0(VALU_DEP_1) | instskip(NEXT) | instid1(VALU_DEP_1)
	v_subrev_nc_u32_e32 v100, 28, v102
	v_lshlrev_b64_e32 v[100:101], v100, v[16:17]
	v_sub_nc_u32_e32 v101, 29, v102
	s_delay_alu instid0(VALU_DEP_2)
	v_and_b32_e32 v100, 7, v100
; %bb.159:                              ;   in Loop: Header=BB279_10 Depth=1
	s_wait_alu 0xfffe
	s_or_b32 exec_lo, exec_lo, s20
	v_lshlrev_b32_e32 v16, 8, v16
	v_lshl_add_u32 v101, v101, 10, 0x2000
	v_lshlrev_b32_e32 v100, 7, v100
	s_delay_alu instid0(VALU_DEP_3) | instskip(NEXT) | instid1(VALU_DEP_3)
	v_and_b32_e32 v16, 0x8000, v16
	v_and_b32_e32 v101, 0xfc00, v101
	s_delay_alu instid0(VALU_DEP_1)
	v_or3_b32 v100, v16, v101, v100
.LBB279_160:                            ;   in Loop: Header=BB279_10 Depth=1
	s_wait_alu 0xfffe
	s_or_b32 exec_lo, exec_lo, s19
.LBB279_161:                            ;   in Loop: Header=BB279_10 Depth=1
	s_wait_alu 0xfffe
	s_or_b32 exec_lo, exec_lo, s18
.LBB279_162:                            ;   in Loop: Header=BB279_10 Depth=1
	s_wait_alu 0xfffe
	s_or_b32 exec_lo, exec_lo, s3
	s_delay_alu instid0(SALU_CYCLE_1)
	s_mov_b32 s3, exec_lo
	v_cmpx_lt_u32_e32 0xffffff, v12
	s_cbranch_execz .LBB279_170
; %bb.163:                              ;   in Loop: Header=BB279_10 Depth=1
	v_lshrrev_b32_e32 v16, 24, v12
	v_bfrev_b32_e32 v99, 1
	s_mov_b32 s18, exec_lo
	s_delay_alu instid0(VALU_DEP_2)
	v_cmpx_ne_u32_e32 0x80, v16
	s_cbranch_execz .LBB279_169
; %bb.164:                              ;   in Loop: Header=BB279_10 Depth=1
	v_and_b32_e32 v101, 0x7f, v16
	v_mov_b32_e32 v99, 0x7c010000
	s_mov_b32 s19, exec_lo
	s_delay_alu instid0(VALU_DEP_2)
	v_cmpx_ne_u32_e32 0x7f, v101
	s_cbranch_execz .LBB279_168
; %bb.165:                              ;   in Loop: Header=BB279_10 Depth=1
	v_and_b32_e32 v12, 7, v16
	v_lshrrev_b32_e32 v99, 3, v101
	s_mov_b32 s20, exec_lo
	v_cmpx_gt_u32_e32 8, v101
; %bb.166:                              ;   in Loop: Header=BB279_10 Depth=1
	s_delay_alu instid0(VALU_DEP_3) | instskip(NEXT) | instid1(VALU_DEP_1)
	v_clz_i32_u32_e32 v12, v12
	v_min_u32_e32 v12, 32, v12
	s_delay_alu instid0(VALU_DEP_1) | instskip(NEXT) | instid1(VALU_DEP_1)
	v_subrev_nc_u32_e32 v99, 28, v12
	v_lshlrev_b64_e32 v[101:102], v99, v[16:17]
	v_sub_nc_u32_e32 v99, 29, v12
	s_delay_alu instid0(VALU_DEP_2)
	v_and_b32_e32 v12, 7, v101
; %bb.167:                              ;   in Loop: Header=BB279_10 Depth=1
	s_wait_alu 0xfffe
	s_or_b32 exec_lo, exec_lo, s20
	v_lshlrev_b32_e32 v16, 8, v16
	v_lshl_add_u32 v99, v99, 10, 0x2000
	v_lshlrev_b32_e32 v12, 23, v12
	s_delay_alu instid0(VALU_DEP_2) | instskip(NEXT) | instid1(VALU_DEP_1)
	v_and_or_b32 v16, 0x8000, v16, v99
	v_lshl_or_b32 v99, v16, 16, v12
.LBB279_168:                            ;   in Loop: Header=BB279_10 Depth=1
	s_wait_alu 0xfffe
	s_or_b32 exec_lo, exec_lo, s19
.LBB279_169:                            ;   in Loop: Header=BB279_10 Depth=1
	s_wait_alu 0xfffe
	s_or_b32 exec_lo, exec_lo, s18
.LBB279_170:                            ;   in Loop: Header=BB279_10 Depth=1
	s_wait_alu 0xfffe
	s_or_b32 exec_lo, exec_lo, s3
	flat_load_b32 v12, v[20:21] offset:520
	v_mov_b32_e32 v102, 0
	s_mov_b32 s3, exec_lo
	s_wait_loadcnt_dscnt 0x0
	v_dual_mov_b32 v101, 0 :: v_dual_and_b32 v16, 0xff, v12
	s_delay_alu instid0(VALU_DEP_1)
	v_cmpx_ne_u16_e32 0, v16
	s_cbranch_execz .LBB279_178
; %bb.171:                              ;   in Loop: Header=BB279_10 Depth=1
	v_mov_b32_e32 v102, 0x8000
	s_mov_b32 s18, exec_lo
	v_cmpx_ne_u16_e32 0x80, v16
	s_cbranch_execz .LBB279_177
; %bb.172:                              ;   in Loop: Header=BB279_10 Depth=1
	v_and_b32_e32 v103, 0x7f, v12
	v_mov_b32_e32 v102, 0x7c01
	s_mov_b32 s19, exec_lo
	s_delay_alu instid0(VALU_DEP_2)
	v_cmpx_ne_u32_e32 0x7f, v103
	s_cbranch_execz .LBB279_176
; %bb.173:                              ;   in Loop: Header=BB279_10 Depth=1
	v_and_b32_e32 v16, 7, v12
	v_lshrrev_b32_e32 v102, 3, v103
	s_mov_b32 s20, exec_lo
	v_cmpx_gt_u32_e32 8, v103
; %bb.174:                              ;   in Loop: Header=BB279_10 Depth=1
	s_delay_alu instid0(VALU_DEP_3) | instskip(NEXT) | instid1(VALU_DEP_1)
	v_clz_i32_u32_e32 v16, v16
	v_min_u32_e32 v16, 32, v16
	s_delay_alu instid0(VALU_DEP_1) | instskip(NEXT) | instid1(VALU_DEP_1)
	v_subrev_nc_u32_e32 v102, 28, v16
	v_lshlrev_b64_e32 v[112:113], v102, v[12:13]
	v_sub_nc_u32_e32 v102, 29, v16
	s_delay_alu instid0(VALU_DEP_2)
	v_and_b32_e32 v16, 7, v112
; %bb.175:                              ;   in Loop: Header=BB279_10 Depth=1
	s_wait_alu 0xfffe
	s_or_b32 exec_lo, exec_lo, s20
	v_lshlrev_b32_e32 v103, 8, v12
	v_lshl_add_u32 v102, v102, 10, 0x2000
	v_lshlrev_b32_e32 v16, 7, v16
	s_delay_alu instid0(VALU_DEP_3) | instskip(NEXT) | instid1(VALU_DEP_3)
	v_and_b32_e32 v103, 0x8000, v103
	v_and_b32_e32 v102, 0xfc00, v102
	s_delay_alu instid0(VALU_DEP_1)
	v_or3_b32 v102, v103, v102, v16
.LBB279_176:                            ;   in Loop: Header=BB279_10 Depth=1
	s_wait_alu 0xfffe
	s_or_b32 exec_lo, exec_lo, s19
.LBB279_177:                            ;   in Loop: Header=BB279_10 Depth=1
	s_wait_alu 0xfffe
	s_or_b32 exec_lo, exec_lo, s18
.LBB279_178:                            ;   in Loop: Header=BB279_10 Depth=1
	s_wait_alu 0xfffe
	s_or_b32 exec_lo, exec_lo, s3
	v_lshrrev_b16 v16, 8, v12
	s_mov_b32 s3, exec_lo
	s_delay_alu instid0(VALU_DEP_1)
	v_cmpx_ne_u16_e32 0, v16
	s_cbranch_execz .LBB279_186
; %bb.179:                              ;   in Loop: Header=BB279_10 Depth=1
	v_bfrev_b32_e32 v101, 1
	s_mov_b32 s18, exec_lo
	v_cmpx_ne_u16_e32 0x80, v16
	s_cbranch_execz .LBB279_185
; %bb.180:                              ;   in Loop: Header=BB279_10 Depth=1
	v_and_b32_e32 v103, 0xffff, v16
	v_mov_b32_e32 v101, 0x7c010000
	s_mov_b32 s19, exec_lo
	s_delay_alu instid0(VALU_DEP_2) | instskip(NEXT) | instid1(VALU_DEP_1)
	v_and_b32_e32 v113, 0x7f, v103
	v_cmpx_ne_u32_e32 0x7f, v113
	s_cbranch_execz .LBB279_184
; %bb.181:                              ;   in Loop: Header=BB279_10 Depth=1
	v_and_b32_e32 v101, 7, v103
	v_lshrrev_b32_e32 v112, 3, v113
	s_mov_b32 s20, exec_lo
	v_cmpx_gt_u32_e32 8, v113
; %bb.182:                              ;   in Loop: Header=BB279_10 Depth=1
	s_delay_alu instid0(VALU_DEP_3) | instskip(NEXT) | instid1(VALU_DEP_1)
	v_clz_i32_u32_e32 v101, v101
	v_min_u32_e32 v101, 32, v101
	s_delay_alu instid0(VALU_DEP_1) | instskip(NEXT) | instid1(VALU_DEP_1)
	v_subrev_nc_u32_e32 v112, 28, v101
	v_lshlrev_b64_e32 v[113:114], v112, v[16:17]
	v_sub_nc_u32_e32 v112, 29, v101
	s_delay_alu instid0(VALU_DEP_2)
	v_and_b32_e32 v101, 7, v113
; %bb.183:                              ;   in Loop: Header=BB279_10 Depth=1
	s_wait_alu 0xfffe
	s_or_b32 exec_lo, exec_lo, s20
	v_lshlrev_b32_e32 v16, 8, v103
	v_lshl_add_u32 v103, v112, 10, 0x2000
	v_lshlrev_b32_e32 v101, 23, v101
	s_delay_alu instid0(VALU_DEP_2) | instskip(NEXT) | instid1(VALU_DEP_1)
	v_and_or_b32 v16, 0x8000, v16, v103
	v_lshl_or_b32 v101, v16, 16, v101
.LBB279_184:                            ;   in Loop: Header=BB279_10 Depth=1
	s_wait_alu 0xfffe
	s_or_b32 exec_lo, exec_lo, s19
.LBB279_185:                            ;   in Loop: Header=BB279_10 Depth=1
	s_wait_alu 0xfffe
	s_or_b32 exec_lo, exec_lo, s18
.LBB279_186:                            ;   in Loop: Header=BB279_10 Depth=1
	s_wait_alu 0xfffe
	s_or_b32 exec_lo, exec_lo, s3
	v_lshrrev_b32_e32 v16, 16, v12
	v_mov_b32_e32 v103, 0
	s_mov_b32 s3, exec_lo
	s_delay_alu instid0(VALU_DEP_2) | instskip(NEXT) | instid1(VALU_DEP_1)
	v_dual_mov_b32 v112, 0 :: v_dual_and_b32 v113, 0xff, v16
	v_cmpx_ne_u16_e32 0, v113
	s_cbranch_execz .LBB279_194
; %bb.187:                              ;   in Loop: Header=BB279_10 Depth=1
	v_mov_b32_e32 v112, 0x8000
	s_mov_b32 s18, exec_lo
	v_cmpx_ne_u16_e32 0x80, v113
	s_cbranch_execz .LBB279_193
; %bb.188:                              ;   in Loop: Header=BB279_10 Depth=1
	v_bfe_u32 v114, v12, 16, 7
	v_mov_b32_e32 v112, 0x7c01
	s_mov_b32 s19, exec_lo
	s_delay_alu instid0(VALU_DEP_2)
	v_cmpx_ne_u32_e32 0x7f, v114
	s_cbranch_execz .LBB279_192
; %bb.189:                              ;   in Loop: Header=BB279_10 Depth=1
	v_and_b32_e32 v112, 7, v16
	v_lshrrev_b32_e32 v113, 3, v114
	s_mov_b32 s20, exec_lo
	v_cmpx_gt_u32_e32 8, v114
; %bb.190:                              ;   in Loop: Header=BB279_10 Depth=1
	s_delay_alu instid0(VALU_DEP_3) | instskip(NEXT) | instid1(VALU_DEP_1)
	v_clz_i32_u32_e32 v112, v112
	v_min_u32_e32 v114, 32, v112
	s_delay_alu instid0(VALU_DEP_1) | instskip(NEXT) | instid1(VALU_DEP_1)
	v_subrev_nc_u32_e32 v112, 28, v114
	v_lshlrev_b64_e32 v[112:113], v112, v[16:17]
	v_sub_nc_u32_e32 v113, 29, v114
	s_delay_alu instid0(VALU_DEP_2)
	v_and_b32_e32 v112, 7, v112
; %bb.191:                              ;   in Loop: Header=BB279_10 Depth=1
	s_wait_alu 0xfffe
	s_or_b32 exec_lo, exec_lo, s20
	v_lshlrev_b32_e32 v16, 8, v16
	v_lshl_add_u32 v113, v113, 10, 0x2000
	v_lshlrev_b32_e32 v112, 7, v112
	s_delay_alu instid0(VALU_DEP_3) | instskip(NEXT) | instid1(VALU_DEP_3)
	v_and_b32_e32 v16, 0x8000, v16
	v_and_b32_e32 v113, 0xfc00, v113
	s_delay_alu instid0(VALU_DEP_1)
	v_or3_b32 v112, v16, v113, v112
.LBB279_192:                            ;   in Loop: Header=BB279_10 Depth=1
	s_wait_alu 0xfffe
	s_or_b32 exec_lo, exec_lo, s19
.LBB279_193:                            ;   in Loop: Header=BB279_10 Depth=1
	s_wait_alu 0xfffe
	s_or_b32 exec_lo, exec_lo, s18
.LBB279_194:                            ;   in Loop: Header=BB279_10 Depth=1
	s_wait_alu 0xfffe
	s_or_b32 exec_lo, exec_lo, s3
	s_delay_alu instid0(SALU_CYCLE_1)
	s_mov_b32 s3, exec_lo
	v_cmpx_lt_u32_e32 0xffffff, v12
	s_cbranch_execz .LBB279_202
; %bb.195:                              ;   in Loop: Header=BB279_10 Depth=1
	v_lshrrev_b32_e32 v16, 24, v12
	v_bfrev_b32_e32 v103, 1
	s_mov_b32 s18, exec_lo
	s_delay_alu instid0(VALU_DEP_2)
	v_cmpx_ne_u32_e32 0x80, v16
	s_cbranch_execz .LBB279_201
; %bb.196:                              ;   in Loop: Header=BB279_10 Depth=1
	v_and_b32_e32 v113, 0x7f, v16
	v_mov_b32_e32 v103, 0x7c010000
	s_mov_b32 s19, exec_lo
	s_delay_alu instid0(VALU_DEP_2)
	v_cmpx_ne_u32_e32 0x7f, v113
	s_cbranch_execz .LBB279_200
; %bb.197:                              ;   in Loop: Header=BB279_10 Depth=1
	v_and_b32_e32 v12, 7, v16
	v_lshrrev_b32_e32 v103, 3, v113
	s_mov_b32 s20, exec_lo
	v_cmpx_gt_u32_e32 8, v113
; %bb.198:                              ;   in Loop: Header=BB279_10 Depth=1
	s_delay_alu instid0(VALU_DEP_3) | instskip(NEXT) | instid1(VALU_DEP_1)
	v_clz_i32_u32_e32 v12, v12
	v_min_u32_e32 v12, 32, v12
	s_delay_alu instid0(VALU_DEP_1) | instskip(NEXT) | instid1(VALU_DEP_1)
	v_subrev_nc_u32_e32 v103, 28, v12
	v_lshlrev_b64_e32 v[113:114], v103, v[16:17]
	v_sub_nc_u32_e32 v103, 29, v12
	s_delay_alu instid0(VALU_DEP_2)
	v_and_b32_e32 v12, 7, v113
; %bb.199:                              ;   in Loop: Header=BB279_10 Depth=1
	s_wait_alu 0xfffe
	s_or_b32 exec_lo, exec_lo, s20
	v_lshlrev_b32_e32 v16, 8, v16
	v_lshl_add_u32 v103, v103, 10, 0x2000
	v_lshlrev_b32_e32 v12, 23, v12
	s_delay_alu instid0(VALU_DEP_2) | instskip(NEXT) | instid1(VALU_DEP_1)
	v_and_or_b32 v16, 0x8000, v16, v103
	v_lshl_or_b32 v103, v16, 16, v12
.LBB279_200:                            ;   in Loop: Header=BB279_10 Depth=1
	s_wait_alu 0xfffe
	s_or_b32 exec_lo, exec_lo, s19
.LBB279_201:                            ;   in Loop: Header=BB279_10 Depth=1
	s_wait_alu 0xfffe
	s_or_b32 exec_lo, exec_lo, s18
.LBB279_202:                            ;   in Loop: Header=BB279_10 Depth=1
	s_wait_alu 0xfffe
	s_or_b32 exec_lo, exec_lo, s3
	flat_load_b32 v12, v[20:21] offset:768
	v_mov_b32_e32 v114, 0
	s_mov_b32 s3, exec_lo
	s_wait_loadcnt_dscnt 0x0
	v_dual_mov_b32 v113, 0 :: v_dual_and_b32 v16, 0xff, v12
	s_delay_alu instid0(VALU_DEP_1)
	v_cmpx_ne_u16_e32 0, v16
	s_cbranch_execz .LBB279_210
; %bb.203:                              ;   in Loop: Header=BB279_10 Depth=1
	v_mov_b32_e32 v114, 0x8000
	s_mov_b32 s18, exec_lo
	v_cmpx_ne_u16_e32 0x80, v16
	s_cbranch_execz .LBB279_209
; %bb.204:                              ;   in Loop: Header=BB279_10 Depth=1
	v_and_b32_e32 v115, 0x7f, v12
	v_mov_b32_e32 v114, 0x7c01
	s_mov_b32 s19, exec_lo
	s_delay_alu instid0(VALU_DEP_2)
	v_cmpx_ne_u32_e32 0x7f, v115
	s_cbranch_execz .LBB279_208
; %bb.205:                              ;   in Loop: Header=BB279_10 Depth=1
	v_and_b32_e32 v16, 7, v12
	v_lshrrev_b32_e32 v114, 3, v115
	s_mov_b32 s20, exec_lo
	v_cmpx_gt_u32_e32 8, v115
; %bb.206:                              ;   in Loop: Header=BB279_10 Depth=1
	s_delay_alu instid0(VALU_DEP_3) | instskip(NEXT) | instid1(VALU_DEP_1)
	v_clz_i32_u32_e32 v16, v16
	v_min_u32_e32 v16, 32, v16
	s_delay_alu instid0(VALU_DEP_1) | instskip(NEXT) | instid1(VALU_DEP_1)
	v_subrev_nc_u32_e32 v114, 28, v16
	v_lshlrev_b64_e32 v[115:116], v114, v[12:13]
	v_sub_nc_u32_e32 v114, 29, v16
	s_delay_alu instid0(VALU_DEP_2)
	v_and_b32_e32 v16, 7, v115
; %bb.207:                              ;   in Loop: Header=BB279_10 Depth=1
	s_wait_alu 0xfffe
	s_or_b32 exec_lo, exec_lo, s20
	v_lshlrev_b32_e32 v115, 8, v12
	v_lshl_add_u32 v114, v114, 10, 0x2000
	v_lshlrev_b32_e32 v16, 7, v16
	s_delay_alu instid0(VALU_DEP_3) | instskip(NEXT) | instid1(VALU_DEP_3)
	v_and_b32_e32 v115, 0x8000, v115
	v_and_b32_e32 v114, 0xfc00, v114
	s_delay_alu instid0(VALU_DEP_1)
	v_or3_b32 v114, v115, v114, v16
.LBB279_208:                            ;   in Loop: Header=BB279_10 Depth=1
	s_wait_alu 0xfffe
	s_or_b32 exec_lo, exec_lo, s19
.LBB279_209:                            ;   in Loop: Header=BB279_10 Depth=1
	s_wait_alu 0xfffe
	s_or_b32 exec_lo, exec_lo, s18
.LBB279_210:                            ;   in Loop: Header=BB279_10 Depth=1
	s_wait_alu 0xfffe
	s_or_b32 exec_lo, exec_lo, s3
	v_lshrrev_b16 v16, 8, v12
	s_mov_b32 s3, exec_lo
	s_delay_alu instid0(VALU_DEP_1)
	v_cmpx_ne_u16_e32 0, v16
	s_cbranch_execz .LBB279_218
; %bb.211:                              ;   in Loop: Header=BB279_10 Depth=1
	v_bfrev_b32_e32 v113, 1
	s_mov_b32 s18, exec_lo
	v_cmpx_ne_u16_e32 0x80, v16
	s_cbranch_execz .LBB279_217
; %bb.212:                              ;   in Loop: Header=BB279_10 Depth=1
	v_and_b32_e32 v115, 0xffff, v16
	v_mov_b32_e32 v113, 0x7c010000
	s_mov_b32 s19, exec_lo
	s_delay_alu instid0(VALU_DEP_2) | instskip(NEXT) | instid1(VALU_DEP_1)
	v_and_b32_e32 v117, 0x7f, v115
	v_cmpx_ne_u32_e32 0x7f, v117
	s_cbranch_execz .LBB279_216
; %bb.213:                              ;   in Loop: Header=BB279_10 Depth=1
	v_and_b32_e32 v113, 7, v115
	v_lshrrev_b32_e32 v116, 3, v117
	s_mov_b32 s20, exec_lo
	v_cmpx_gt_u32_e32 8, v117
; %bb.214:                              ;   in Loop: Header=BB279_10 Depth=1
	s_delay_alu instid0(VALU_DEP_3) | instskip(NEXT) | instid1(VALU_DEP_1)
	v_clz_i32_u32_e32 v113, v113
	v_min_u32_e32 v113, 32, v113
	s_delay_alu instid0(VALU_DEP_1) | instskip(NEXT) | instid1(VALU_DEP_1)
	v_subrev_nc_u32_e32 v116, 28, v113
	v_lshlrev_b64_e32 v[117:118], v116, v[16:17]
	v_sub_nc_u32_e32 v116, 29, v113
	s_delay_alu instid0(VALU_DEP_2)
	v_and_b32_e32 v113, 7, v117
; %bb.215:                              ;   in Loop: Header=BB279_10 Depth=1
	s_wait_alu 0xfffe
	s_or_b32 exec_lo, exec_lo, s20
	v_lshlrev_b32_e32 v16, 8, v115
	v_lshl_add_u32 v115, v116, 10, 0x2000
	v_lshlrev_b32_e32 v113, 23, v113
	s_delay_alu instid0(VALU_DEP_2) | instskip(NEXT) | instid1(VALU_DEP_1)
	v_and_or_b32 v16, 0x8000, v16, v115
	v_lshl_or_b32 v113, v16, 16, v113
.LBB279_216:                            ;   in Loop: Header=BB279_10 Depth=1
	s_wait_alu 0xfffe
	s_or_b32 exec_lo, exec_lo, s19
.LBB279_217:                            ;   in Loop: Header=BB279_10 Depth=1
	s_wait_alu 0xfffe
	s_or_b32 exec_lo, exec_lo, s18
.LBB279_218:                            ;   in Loop: Header=BB279_10 Depth=1
	s_wait_alu 0xfffe
	s_or_b32 exec_lo, exec_lo, s3
	v_lshrrev_b32_e32 v16, 16, v12
	v_mov_b32_e32 v115, 0
	s_mov_b32 s3, exec_lo
	s_delay_alu instid0(VALU_DEP_2) | instskip(NEXT) | instid1(VALU_DEP_1)
	v_dual_mov_b32 v116, 0 :: v_dual_and_b32 v117, 0xff, v16
	v_cmpx_ne_u16_e32 0, v117
	s_cbranch_execz .LBB279_226
; %bb.219:                              ;   in Loop: Header=BB279_10 Depth=1
	v_mov_b32_e32 v116, 0x8000
	s_mov_b32 s18, exec_lo
	v_cmpx_ne_u16_e32 0x80, v117
	s_cbranch_execz .LBB279_225
; %bb.220:                              ;   in Loop: Header=BB279_10 Depth=1
	v_bfe_u32 v118, v12, 16, 7
	v_mov_b32_e32 v116, 0x7c01
	s_mov_b32 s19, exec_lo
	s_delay_alu instid0(VALU_DEP_2)
	v_cmpx_ne_u32_e32 0x7f, v118
	s_cbranch_execz .LBB279_224
; %bb.221:                              ;   in Loop: Header=BB279_10 Depth=1
	v_and_b32_e32 v116, 7, v16
	v_lshrrev_b32_e32 v117, 3, v118
	s_mov_b32 s20, exec_lo
	v_cmpx_gt_u32_e32 8, v118
; %bb.222:                              ;   in Loop: Header=BB279_10 Depth=1
	s_delay_alu instid0(VALU_DEP_3) | instskip(NEXT) | instid1(VALU_DEP_1)
	v_clz_i32_u32_e32 v116, v116
	v_min_u32_e32 v118, 32, v116
	s_delay_alu instid0(VALU_DEP_1) | instskip(NEXT) | instid1(VALU_DEP_1)
	v_subrev_nc_u32_e32 v116, 28, v118
	v_lshlrev_b64_e32 v[116:117], v116, v[16:17]
	v_sub_nc_u32_e32 v117, 29, v118
	s_delay_alu instid0(VALU_DEP_2)
	v_and_b32_e32 v116, 7, v116
; %bb.223:                              ;   in Loop: Header=BB279_10 Depth=1
	s_wait_alu 0xfffe
	s_or_b32 exec_lo, exec_lo, s20
	v_lshlrev_b32_e32 v16, 8, v16
	v_lshl_add_u32 v117, v117, 10, 0x2000
	v_lshlrev_b32_e32 v116, 7, v116
	s_delay_alu instid0(VALU_DEP_3) | instskip(NEXT) | instid1(VALU_DEP_3)
	v_and_b32_e32 v16, 0x8000, v16
	v_and_b32_e32 v117, 0xfc00, v117
	s_delay_alu instid0(VALU_DEP_1)
	v_or3_b32 v116, v16, v117, v116
.LBB279_224:                            ;   in Loop: Header=BB279_10 Depth=1
	s_wait_alu 0xfffe
	s_or_b32 exec_lo, exec_lo, s19
.LBB279_225:                            ;   in Loop: Header=BB279_10 Depth=1
	s_wait_alu 0xfffe
	s_or_b32 exec_lo, exec_lo, s18
.LBB279_226:                            ;   in Loop: Header=BB279_10 Depth=1
	s_wait_alu 0xfffe
	s_or_b32 exec_lo, exec_lo, s3
	s_delay_alu instid0(SALU_CYCLE_1)
	s_mov_b32 s3, exec_lo
	v_cmpx_lt_u32_e32 0xffffff, v12
	s_cbranch_execz .LBB279_234
; %bb.227:                              ;   in Loop: Header=BB279_10 Depth=1
	v_lshrrev_b32_e32 v16, 24, v12
	v_bfrev_b32_e32 v115, 1
	s_mov_b32 s18, exec_lo
	s_delay_alu instid0(VALU_DEP_2)
	v_cmpx_ne_u32_e32 0x80, v16
	s_cbranch_execz .LBB279_233
; %bb.228:                              ;   in Loop: Header=BB279_10 Depth=1
	v_and_b32_e32 v117, 0x7f, v16
	v_mov_b32_e32 v115, 0x7c010000
	s_mov_b32 s19, exec_lo
	s_delay_alu instid0(VALU_DEP_2)
	v_cmpx_ne_u32_e32 0x7f, v117
	s_cbranch_execz .LBB279_232
; %bb.229:                              ;   in Loop: Header=BB279_10 Depth=1
	v_and_b32_e32 v12, 7, v16
	v_lshrrev_b32_e32 v115, 3, v117
	s_mov_b32 s20, exec_lo
	v_cmpx_gt_u32_e32 8, v117
; %bb.230:                              ;   in Loop: Header=BB279_10 Depth=1
	s_delay_alu instid0(VALU_DEP_3) | instskip(NEXT) | instid1(VALU_DEP_1)
	v_clz_i32_u32_e32 v12, v12
	v_min_u32_e32 v12, 32, v12
	s_delay_alu instid0(VALU_DEP_1) | instskip(NEXT) | instid1(VALU_DEP_1)
	v_subrev_nc_u32_e32 v115, 28, v12
	v_lshlrev_b64_e32 v[117:118], v115, v[16:17]
	v_sub_nc_u32_e32 v115, 29, v12
	s_delay_alu instid0(VALU_DEP_2)
	v_and_b32_e32 v12, 7, v117
; %bb.231:                              ;   in Loop: Header=BB279_10 Depth=1
	s_wait_alu 0xfffe
	s_or_b32 exec_lo, exec_lo, s20
	v_lshlrev_b32_e32 v16, 8, v16
	v_lshl_add_u32 v115, v115, 10, 0x2000
	v_lshlrev_b32_e32 v12, 23, v12
	s_delay_alu instid0(VALU_DEP_2) | instskip(NEXT) | instid1(VALU_DEP_1)
	v_and_or_b32 v16, 0x8000, v16, v115
	v_lshl_or_b32 v115, v16, 16, v12
.LBB279_232:                            ;   in Loop: Header=BB279_10 Depth=1
	s_wait_alu 0xfffe
	s_or_b32 exec_lo, exec_lo, s19
.LBB279_233:                            ;   in Loop: Header=BB279_10 Depth=1
	s_wait_alu 0xfffe
	s_or_b32 exec_lo, exec_lo, s18
.LBB279_234:                            ;   in Loop: Header=BB279_10 Depth=1
	s_wait_alu 0xfffe
	s_or_b32 exec_lo, exec_lo, s3
	flat_load_b32 v12, v[20:21] offset:776
	v_mov_b32_e32 v118, 0
	s_mov_b32 s3, exec_lo
	s_wait_loadcnt_dscnt 0x0
	v_dual_mov_b32 v117, 0 :: v_dual_and_b32 v16, 0xff, v12
	s_delay_alu instid0(VALU_DEP_1)
	v_cmpx_ne_u16_e32 0, v16
	s_cbranch_execz .LBB279_242
; %bb.235:                              ;   in Loop: Header=BB279_10 Depth=1
	v_mov_b32_e32 v118, 0x8000
	s_mov_b32 s18, exec_lo
	v_cmpx_ne_u16_e32 0x80, v16
	s_cbranch_execz .LBB279_241
; %bb.236:                              ;   in Loop: Header=BB279_10 Depth=1
	v_and_b32_e32 v119, 0x7f, v12
	v_mov_b32_e32 v118, 0x7c01
	s_mov_b32 s19, exec_lo
	s_delay_alu instid0(VALU_DEP_2)
	v_cmpx_ne_u32_e32 0x7f, v119
	s_cbranch_execz .LBB279_240
; %bb.237:                              ;   in Loop: Header=BB279_10 Depth=1
	v_and_b32_e32 v16, 7, v12
	v_lshrrev_b32_e32 v118, 3, v119
	s_mov_b32 s20, exec_lo
	v_cmpx_gt_u32_e32 8, v119
; %bb.238:                              ;   in Loop: Header=BB279_10 Depth=1
	s_delay_alu instid0(VALU_DEP_3) | instskip(NEXT) | instid1(VALU_DEP_1)
	v_clz_i32_u32_e32 v16, v16
	v_min_u32_e32 v16, 32, v16
	s_delay_alu instid0(VALU_DEP_1) | instskip(NEXT) | instid1(VALU_DEP_1)
	v_subrev_nc_u32_e32 v118, 28, v16
	v_lshlrev_b64_e32 v[128:129], v118, v[12:13]
	v_sub_nc_u32_e32 v118, 29, v16
	s_delay_alu instid0(VALU_DEP_2)
	v_and_b32_e32 v16, 7, v128
; %bb.239:                              ;   in Loop: Header=BB279_10 Depth=1
	s_wait_alu 0xfffe
	s_or_b32 exec_lo, exec_lo, s20
	v_lshlrev_b32_e32 v119, 8, v12
	v_lshl_add_u32 v118, v118, 10, 0x2000
	v_lshlrev_b32_e32 v16, 7, v16
	s_delay_alu instid0(VALU_DEP_3) | instskip(NEXT) | instid1(VALU_DEP_3)
	v_and_b32_e32 v119, 0x8000, v119
	v_and_b32_e32 v118, 0xfc00, v118
	s_delay_alu instid0(VALU_DEP_1)
	v_or3_b32 v118, v119, v118, v16
.LBB279_240:                            ;   in Loop: Header=BB279_10 Depth=1
	s_wait_alu 0xfffe
	s_or_b32 exec_lo, exec_lo, s19
.LBB279_241:                            ;   in Loop: Header=BB279_10 Depth=1
	s_wait_alu 0xfffe
	s_or_b32 exec_lo, exec_lo, s18
.LBB279_242:                            ;   in Loop: Header=BB279_10 Depth=1
	s_wait_alu 0xfffe
	s_or_b32 exec_lo, exec_lo, s3
	v_lshrrev_b16 v16, 8, v12
	s_mov_b32 s3, exec_lo
	s_delay_alu instid0(VALU_DEP_1)
	v_cmpx_ne_u16_e32 0, v16
	s_cbranch_execz .LBB279_250
; %bb.243:                              ;   in Loop: Header=BB279_10 Depth=1
	v_bfrev_b32_e32 v117, 1
	s_mov_b32 s18, exec_lo
	v_cmpx_ne_u16_e32 0x80, v16
	s_cbranch_execz .LBB279_249
; %bb.244:                              ;   in Loop: Header=BB279_10 Depth=1
	v_and_b32_e32 v119, 0xffff, v16
	v_mov_b32_e32 v117, 0x7c010000
	s_mov_b32 s19, exec_lo
	s_delay_alu instid0(VALU_DEP_2) | instskip(NEXT) | instid1(VALU_DEP_1)
	v_and_b32_e32 v129, 0x7f, v119
	v_cmpx_ne_u32_e32 0x7f, v129
	s_cbranch_execz .LBB279_248
; %bb.245:                              ;   in Loop: Header=BB279_10 Depth=1
	v_and_b32_e32 v117, 7, v119
	v_lshrrev_b32_e32 v128, 3, v129
	s_mov_b32 s20, exec_lo
	v_cmpx_gt_u32_e32 8, v129
; %bb.246:                              ;   in Loop: Header=BB279_10 Depth=1
	s_delay_alu instid0(VALU_DEP_3) | instskip(NEXT) | instid1(VALU_DEP_1)
	v_clz_i32_u32_e32 v117, v117
	v_min_u32_e32 v117, 32, v117
	s_delay_alu instid0(VALU_DEP_1) | instskip(NEXT) | instid1(VALU_DEP_1)
	v_subrev_nc_u32_e32 v128, 28, v117
	v_lshlrev_b64_e32 v[129:130], v128, v[16:17]
	v_sub_nc_u32_e32 v128, 29, v117
	s_delay_alu instid0(VALU_DEP_2)
	v_and_b32_e32 v117, 7, v129
; %bb.247:                              ;   in Loop: Header=BB279_10 Depth=1
	s_wait_alu 0xfffe
	s_or_b32 exec_lo, exec_lo, s20
	v_lshlrev_b32_e32 v16, 8, v119
	v_lshl_add_u32 v119, v128, 10, 0x2000
	v_lshlrev_b32_e32 v117, 23, v117
	s_delay_alu instid0(VALU_DEP_2) | instskip(NEXT) | instid1(VALU_DEP_1)
	v_and_or_b32 v16, 0x8000, v16, v119
	v_lshl_or_b32 v117, v16, 16, v117
.LBB279_248:                            ;   in Loop: Header=BB279_10 Depth=1
	s_wait_alu 0xfffe
	s_or_b32 exec_lo, exec_lo, s19
.LBB279_249:                            ;   in Loop: Header=BB279_10 Depth=1
	s_wait_alu 0xfffe
	s_or_b32 exec_lo, exec_lo, s18
.LBB279_250:                            ;   in Loop: Header=BB279_10 Depth=1
	s_wait_alu 0xfffe
	s_or_b32 exec_lo, exec_lo, s3
	v_lshrrev_b32_e32 v16, 16, v12
	v_mov_b32_e32 v119, 0
	s_mov_b32 s3, exec_lo
	s_delay_alu instid0(VALU_DEP_2) | instskip(NEXT) | instid1(VALU_DEP_1)
	v_dual_mov_b32 v128, 0 :: v_dual_and_b32 v129, 0xff, v16
	v_cmpx_ne_u16_e64 0, v129
	s_cbranch_execz .LBB279_258
; %bb.251:                              ;   in Loop: Header=BB279_10 Depth=1
	v_mov_b32_e32 v128, 0x8000
	s_mov_b32 s18, exec_lo
	v_cmpx_ne_u16_e64 0x80, v129
	s_cbranch_execz .LBB279_257
; %bb.252:                              ;   in Loop: Header=BB279_10 Depth=1
	v_bfe_u32 v130, v12, 16, 7
	v_mov_b32_e32 v128, 0x7c01
	s_mov_b32 s19, exec_lo
	s_delay_alu instid0(VALU_DEP_2)
	v_cmpx_ne_u32_e32 0x7f, v130
	s_cbranch_execz .LBB279_256
; %bb.253:                              ;   in Loop: Header=BB279_10 Depth=1
	v_and_b32_e32 v128, 7, v16
	v_lshrrev_b32_e32 v129, 3, v130
	s_mov_b32 s20, exec_lo
	v_cmpx_gt_u32_e32 8, v130
; %bb.254:                              ;   in Loop: Header=BB279_10 Depth=1
	s_delay_alu instid0(VALU_DEP_3) | instskip(NEXT) | instid1(VALU_DEP_1)
	v_clz_i32_u32_e32 v128, v128
	v_min_u32_e32 v130, 32, v128
	s_delay_alu instid0(VALU_DEP_1) | instskip(NEXT) | instid1(VALU_DEP_1)
	v_subrev_nc_u32_e32 v128, 28, v130
	v_lshlrev_b64_e32 v[128:129], v128, v[16:17]
	v_sub_nc_u32_e32 v129, 29, v130
	s_delay_alu instid0(VALU_DEP_2)
	v_and_b32_e32 v128, 7, v128
; %bb.255:                              ;   in Loop: Header=BB279_10 Depth=1
	s_wait_alu 0xfffe
	s_or_b32 exec_lo, exec_lo, s20
	v_lshlrev_b32_e32 v16, 8, v16
	v_lshl_add_u32 v129, v129, 10, 0x2000
	v_lshlrev_b32_e32 v128, 7, v128
	s_delay_alu instid0(VALU_DEP_3) | instskip(NEXT) | instid1(VALU_DEP_3)
	v_and_b32_e32 v16, 0x8000, v16
	v_and_b32_e32 v129, 0xfc00, v129
	s_delay_alu instid0(VALU_DEP_1)
	v_or3_b32 v128, v16, v129, v128
.LBB279_256:                            ;   in Loop: Header=BB279_10 Depth=1
	s_wait_alu 0xfffe
	s_or_b32 exec_lo, exec_lo, s19
.LBB279_257:                            ;   in Loop: Header=BB279_10 Depth=1
	s_wait_alu 0xfffe
	s_or_b32 exec_lo, exec_lo, s18
.LBB279_258:                            ;   in Loop: Header=BB279_10 Depth=1
	s_wait_alu 0xfffe
	s_or_b32 exec_lo, exec_lo, s3
	s_delay_alu instid0(SALU_CYCLE_1)
	s_mov_b32 s3, exec_lo
	v_cmpx_lt_u32_e32 0xffffff, v12
	s_cbranch_execz .LBB279_266
; %bb.259:                              ;   in Loop: Header=BB279_10 Depth=1
	v_lshrrev_b32_e32 v16, 24, v12
	v_bfrev_b32_e32 v119, 1
	s_mov_b32 s18, exec_lo
	s_delay_alu instid0(VALU_DEP_2)
	v_cmpx_ne_u32_e32 0x80, v16
	s_cbranch_execz .LBB279_265
; %bb.260:                              ;   in Loop: Header=BB279_10 Depth=1
	v_and_b32_e32 v129, 0x7f, v16
	v_mov_b32_e32 v119, 0x7c010000
	s_mov_b32 s19, exec_lo
	s_delay_alu instid0(VALU_DEP_2)
	v_cmpx_ne_u32_e32 0x7f, v129
	s_cbranch_execz .LBB279_264
; %bb.261:                              ;   in Loop: Header=BB279_10 Depth=1
	v_and_b32_e32 v12, 7, v16
	v_lshrrev_b32_e32 v119, 3, v129
	s_mov_b32 s20, exec_lo
	v_cmpx_gt_u32_e32 8, v129
; %bb.262:                              ;   in Loop: Header=BB279_10 Depth=1
	s_delay_alu instid0(VALU_DEP_3) | instskip(NEXT) | instid1(VALU_DEP_1)
	v_clz_i32_u32_e32 v12, v12
	v_min_u32_e32 v12, 32, v12
	s_delay_alu instid0(VALU_DEP_1) | instskip(NEXT) | instid1(VALU_DEP_1)
	v_subrev_nc_u32_e32 v119, 28, v12
	v_lshlrev_b64_e32 v[129:130], v119, v[16:17]
	v_sub_nc_u32_e32 v119, 29, v12
	s_delay_alu instid0(VALU_DEP_2)
	v_and_b32_e32 v12, 7, v129
; %bb.263:                              ;   in Loop: Header=BB279_10 Depth=1
	s_wait_alu 0xfffe
	s_or_b32 exec_lo, exec_lo, s20
	v_lshlrev_b32_e32 v16, 8, v16
	v_lshl_add_u32 v119, v119, 10, 0x2000
	v_lshlrev_b32_e32 v12, 23, v12
	s_delay_alu instid0(VALU_DEP_2) | instskip(NEXT) | instid1(VALU_DEP_1)
	v_and_or_b32 v16, 0x8000, v16, v119
	v_lshl_or_b32 v119, v16, 16, v12
.LBB279_264:                            ;   in Loop: Header=BB279_10 Depth=1
	s_wait_alu 0xfffe
	s_or_b32 exec_lo, exec_lo, s19
.LBB279_265:                            ;   in Loop: Header=BB279_10 Depth=1
	s_wait_alu 0xfffe
	s_or_b32 exec_lo, exec_lo, s18
.LBB279_266:                            ;   in Loop: Header=BB279_10 Depth=1
	s_wait_alu 0xfffe
	s_or_b32 exec_lo, exec_lo, s3
	flat_load_b32 v12, v[20:21] offset:1024
	v_mov_b32_e32 v130, 0
	s_mov_b32 s3, exec_lo
	s_wait_loadcnt_dscnt 0x0
	v_dual_mov_b32 v129, 0 :: v_dual_and_b32 v16, 0xff, v12
	s_delay_alu instid0(VALU_DEP_1)
	v_cmpx_ne_u16_e32 0, v16
	s_cbranch_execz .LBB279_274
; %bb.267:                              ;   in Loop: Header=BB279_10 Depth=1
	v_mov_b32_e32 v130, 0x8000
	s_mov_b32 s18, exec_lo
	v_cmpx_ne_u16_e32 0x80, v16
	s_cbranch_execz .LBB279_273
; %bb.268:                              ;   in Loop: Header=BB279_10 Depth=1
	v_and_b32_e32 v131, 0x7f, v12
	v_mov_b32_e32 v130, 0x7c01
	s_mov_b32 s19, exec_lo
	s_delay_alu instid0(VALU_DEP_2)
	v_cmpx_ne_u32_e32 0x7f, v131
	s_cbranch_execz .LBB279_272
; %bb.269:                              ;   in Loop: Header=BB279_10 Depth=1
	v_and_b32_e32 v16, 7, v12
	v_lshrrev_b32_e32 v130, 3, v131
	s_mov_b32 s20, exec_lo
	v_cmpx_gt_u32_e32 8, v131
; %bb.270:                              ;   in Loop: Header=BB279_10 Depth=1
	s_delay_alu instid0(VALU_DEP_3) | instskip(NEXT) | instid1(VALU_DEP_1)
	v_clz_i32_u32_e32 v16, v16
	v_min_u32_e32 v16, 32, v16
	s_delay_alu instid0(VALU_DEP_1) | instskip(NEXT) | instid1(VALU_DEP_1)
	v_subrev_nc_u32_e32 v130, 28, v16
	v_lshlrev_b64_e32 v[131:132], v130, v[12:13]
	v_sub_nc_u32_e32 v130, 29, v16
	s_delay_alu instid0(VALU_DEP_2)
	v_and_b32_e32 v16, 7, v131
; %bb.271:                              ;   in Loop: Header=BB279_10 Depth=1
	s_wait_alu 0xfffe
	s_or_b32 exec_lo, exec_lo, s20
	v_lshlrev_b32_e32 v131, 8, v12
	v_lshl_add_u32 v130, v130, 10, 0x2000
	v_lshlrev_b32_e32 v16, 7, v16
	s_delay_alu instid0(VALU_DEP_3) | instskip(NEXT) | instid1(VALU_DEP_3)
	v_and_b32_e32 v131, 0x8000, v131
	v_and_b32_e32 v130, 0xfc00, v130
	s_delay_alu instid0(VALU_DEP_1)
	v_or3_b32 v130, v131, v130, v16
.LBB279_272:                            ;   in Loop: Header=BB279_10 Depth=1
	s_wait_alu 0xfffe
	s_or_b32 exec_lo, exec_lo, s19
.LBB279_273:                            ;   in Loop: Header=BB279_10 Depth=1
	s_wait_alu 0xfffe
	s_or_b32 exec_lo, exec_lo, s18
.LBB279_274:                            ;   in Loop: Header=BB279_10 Depth=1
	s_wait_alu 0xfffe
	s_or_b32 exec_lo, exec_lo, s3
	v_lshrrev_b16 v16, 8, v12
	s_mov_b32 s3, exec_lo
	s_delay_alu instid0(VALU_DEP_1)
	v_cmpx_ne_u16_e32 0, v16
	s_cbranch_execz .LBB279_282
; %bb.275:                              ;   in Loop: Header=BB279_10 Depth=1
	v_bfrev_b32_e32 v129, 1
	s_mov_b32 s18, exec_lo
	v_cmpx_ne_u16_e32 0x80, v16
	s_cbranch_execz .LBB279_281
; %bb.276:                              ;   in Loop: Header=BB279_10 Depth=1
	v_and_b32_e32 v131, 0xffff, v16
	v_mov_b32_e32 v129, 0x7c010000
	s_mov_b32 s19, exec_lo
	s_delay_alu instid0(VALU_DEP_2) | instskip(NEXT) | instid1(VALU_DEP_1)
	v_and_b32_e32 v133, 0x7f, v131
	v_cmpx_ne_u32_e32 0x7f, v133
	s_cbranch_execz .LBB279_280
; %bb.277:                              ;   in Loop: Header=BB279_10 Depth=1
	v_and_b32_e32 v129, 7, v131
	v_lshrrev_b32_e32 v132, 3, v133
	s_mov_b32 s20, exec_lo
	v_cmpx_gt_u32_e32 8, v133
; %bb.278:                              ;   in Loop: Header=BB279_10 Depth=1
	s_delay_alu instid0(VALU_DEP_3) | instskip(NEXT) | instid1(VALU_DEP_1)
	v_clz_i32_u32_e32 v129, v129
	v_min_u32_e32 v129, 32, v129
	s_delay_alu instid0(VALU_DEP_1) | instskip(NEXT) | instid1(VALU_DEP_1)
	v_subrev_nc_u32_e32 v132, 28, v129
	v_lshlrev_b64_e32 v[133:134], v132, v[16:17]
	v_sub_nc_u32_e32 v132, 29, v129
	s_delay_alu instid0(VALU_DEP_2)
	v_and_b32_e32 v129, 7, v133
; %bb.279:                              ;   in Loop: Header=BB279_10 Depth=1
	s_wait_alu 0xfffe
	s_or_b32 exec_lo, exec_lo, s20
	v_lshlrev_b32_e32 v16, 8, v131
	v_lshl_add_u32 v131, v132, 10, 0x2000
	v_lshlrev_b32_e32 v129, 23, v129
	s_delay_alu instid0(VALU_DEP_2) | instskip(NEXT) | instid1(VALU_DEP_1)
	v_and_or_b32 v16, 0x8000, v16, v131
	v_lshl_or_b32 v129, v16, 16, v129
.LBB279_280:                            ;   in Loop: Header=BB279_10 Depth=1
	s_wait_alu 0xfffe
	s_or_b32 exec_lo, exec_lo, s19
.LBB279_281:                            ;   in Loop: Header=BB279_10 Depth=1
	s_wait_alu 0xfffe
	s_or_b32 exec_lo, exec_lo, s18
.LBB279_282:                            ;   in Loop: Header=BB279_10 Depth=1
	s_wait_alu 0xfffe
	s_or_b32 exec_lo, exec_lo, s3
	v_lshrrev_b32_e32 v16, 16, v12
	v_mov_b32_e32 v131, 0
	s_mov_b32 s3, exec_lo
	s_delay_alu instid0(VALU_DEP_2) | instskip(NEXT) | instid1(VALU_DEP_1)
	v_dual_mov_b32 v132, 0 :: v_dual_and_b32 v133, 0xff, v16
	v_cmpx_ne_u16_e64 0, v133
	s_cbranch_execz .LBB279_290
; %bb.283:                              ;   in Loop: Header=BB279_10 Depth=1
	v_mov_b32_e32 v132, 0x8000
	s_mov_b32 s18, exec_lo
	v_cmpx_ne_u16_e64 0x80, v133
	s_cbranch_execz .LBB279_289
; %bb.284:                              ;   in Loop: Header=BB279_10 Depth=1
	v_bfe_u32 v134, v12, 16, 7
	v_mov_b32_e32 v132, 0x7c01
	s_mov_b32 s19, exec_lo
	s_delay_alu instid0(VALU_DEP_2)
	v_cmpx_ne_u32_e32 0x7f, v134
	s_cbranch_execz .LBB279_288
; %bb.285:                              ;   in Loop: Header=BB279_10 Depth=1
	v_and_b32_e32 v132, 7, v16
	v_lshrrev_b32_e32 v133, 3, v134
	s_mov_b32 s20, exec_lo
	v_cmpx_gt_u32_e32 8, v134
; %bb.286:                              ;   in Loop: Header=BB279_10 Depth=1
	s_delay_alu instid0(VALU_DEP_3) | instskip(NEXT) | instid1(VALU_DEP_1)
	v_clz_i32_u32_e32 v132, v132
	v_min_u32_e32 v134, 32, v132
	s_delay_alu instid0(VALU_DEP_1) | instskip(NEXT) | instid1(VALU_DEP_1)
	v_subrev_nc_u32_e32 v132, 28, v134
	v_lshlrev_b64_e32 v[132:133], v132, v[16:17]
	v_sub_nc_u32_e32 v133, 29, v134
	s_delay_alu instid0(VALU_DEP_2)
	v_and_b32_e32 v132, 7, v132
; %bb.287:                              ;   in Loop: Header=BB279_10 Depth=1
	s_wait_alu 0xfffe
	s_or_b32 exec_lo, exec_lo, s20
	v_lshlrev_b32_e32 v16, 8, v16
	v_lshl_add_u32 v133, v133, 10, 0x2000
	v_lshlrev_b32_e32 v132, 7, v132
	s_delay_alu instid0(VALU_DEP_3) | instskip(NEXT) | instid1(VALU_DEP_3)
	v_and_b32_e32 v16, 0x8000, v16
	v_and_b32_e32 v133, 0xfc00, v133
	s_delay_alu instid0(VALU_DEP_1)
	v_or3_b32 v132, v16, v133, v132
.LBB279_288:                            ;   in Loop: Header=BB279_10 Depth=1
	s_wait_alu 0xfffe
	s_or_b32 exec_lo, exec_lo, s19
.LBB279_289:                            ;   in Loop: Header=BB279_10 Depth=1
	s_wait_alu 0xfffe
	s_or_b32 exec_lo, exec_lo, s18
.LBB279_290:                            ;   in Loop: Header=BB279_10 Depth=1
	s_wait_alu 0xfffe
	s_or_b32 exec_lo, exec_lo, s3
	s_delay_alu instid0(SALU_CYCLE_1)
	s_mov_b32 s3, exec_lo
	v_cmpx_lt_u32_e32 0xffffff, v12
	s_cbranch_execz .LBB279_298
; %bb.291:                              ;   in Loop: Header=BB279_10 Depth=1
	v_lshrrev_b32_e32 v16, 24, v12
	v_bfrev_b32_e32 v131, 1
	s_mov_b32 s18, exec_lo
	s_delay_alu instid0(VALU_DEP_2)
	v_cmpx_ne_u32_e32 0x80, v16
	s_cbranch_execz .LBB279_297
; %bb.292:                              ;   in Loop: Header=BB279_10 Depth=1
	v_and_b32_e32 v133, 0x7f, v16
	v_mov_b32_e32 v131, 0x7c010000
	s_mov_b32 s19, exec_lo
	s_delay_alu instid0(VALU_DEP_2)
	v_cmpx_ne_u32_e32 0x7f, v133
	s_cbranch_execz .LBB279_296
; %bb.293:                              ;   in Loop: Header=BB279_10 Depth=1
	v_and_b32_e32 v12, 7, v16
	v_lshrrev_b32_e32 v131, 3, v133
	s_mov_b32 s20, exec_lo
	v_cmpx_gt_u32_e32 8, v133
; %bb.294:                              ;   in Loop: Header=BB279_10 Depth=1
	s_delay_alu instid0(VALU_DEP_3) | instskip(NEXT) | instid1(VALU_DEP_1)
	v_clz_i32_u32_e32 v12, v12
	v_min_u32_e32 v12, 32, v12
	s_delay_alu instid0(VALU_DEP_1) | instskip(NEXT) | instid1(VALU_DEP_1)
	v_subrev_nc_u32_e32 v131, 28, v12
	v_lshlrev_b64_e32 v[133:134], v131, v[16:17]
	v_sub_nc_u32_e32 v131, 29, v12
	s_delay_alu instid0(VALU_DEP_2)
	v_and_b32_e32 v12, 7, v133
; %bb.295:                              ;   in Loop: Header=BB279_10 Depth=1
	s_wait_alu 0xfffe
	s_or_b32 exec_lo, exec_lo, s20
	v_lshlrev_b32_e32 v16, 8, v16
	v_lshl_add_u32 v131, v131, 10, 0x2000
	v_lshlrev_b32_e32 v12, 23, v12
	s_delay_alu instid0(VALU_DEP_2) | instskip(NEXT) | instid1(VALU_DEP_1)
	v_and_or_b32 v16, 0x8000, v16, v131
	v_lshl_or_b32 v131, v16, 16, v12
.LBB279_296:                            ;   in Loop: Header=BB279_10 Depth=1
	s_wait_alu 0xfffe
	s_or_b32 exec_lo, exec_lo, s19
.LBB279_297:                            ;   in Loop: Header=BB279_10 Depth=1
	s_wait_alu 0xfffe
	s_or_b32 exec_lo, exec_lo, s18
.LBB279_298:                            ;   in Loop: Header=BB279_10 Depth=1
	s_wait_alu 0xfffe
	s_or_b32 exec_lo, exec_lo, s3
	flat_load_b32 v12, v[20:21] offset:1032
	v_mov_b32_e32 v134, 0
	s_mov_b32 s3, exec_lo
	s_wait_loadcnt_dscnt 0x0
	v_dual_mov_b32 v133, 0 :: v_dual_and_b32 v16, 0xff, v12
	s_delay_alu instid0(VALU_DEP_1)
	v_cmpx_ne_u16_e32 0, v16
	s_cbranch_execz .LBB279_306
; %bb.299:                              ;   in Loop: Header=BB279_10 Depth=1
	v_mov_b32_e32 v134, 0x8000
	s_mov_b32 s18, exec_lo
	v_cmpx_ne_u16_e32 0x80, v16
	s_cbranch_execz .LBB279_305
; %bb.300:                              ;   in Loop: Header=BB279_10 Depth=1
	v_and_b32_e32 v135, 0x7f, v12
	v_mov_b32_e32 v134, 0x7c01
	s_mov_b32 s19, exec_lo
	s_delay_alu instid0(VALU_DEP_2)
	v_cmpx_ne_u32_e32 0x7f, v135
	s_cbranch_execz .LBB279_304
; %bb.301:                              ;   in Loop: Header=BB279_10 Depth=1
	v_and_b32_e32 v16, 7, v12
	v_lshrrev_b32_e32 v134, 3, v135
	s_mov_b32 s20, exec_lo
	v_cmpx_gt_u32_e32 8, v135
; %bb.302:                              ;   in Loop: Header=BB279_10 Depth=1
	s_delay_alu instid0(VALU_DEP_3) | instskip(NEXT) | instid1(VALU_DEP_1)
	v_clz_i32_u32_e32 v16, v16
	v_min_u32_e32 v16, 32, v16
	s_delay_alu instid0(VALU_DEP_1) | instskip(NEXT) | instid1(VALU_DEP_1)
	v_subrev_nc_u32_e32 v134, 28, v16
	v_lshlrev_b64_e32 v[144:145], v134, v[12:13]
	v_sub_nc_u32_e32 v134, 29, v16
	s_delay_alu instid0(VALU_DEP_2)
	v_and_b32_e32 v16, 7, v144
; %bb.303:                              ;   in Loop: Header=BB279_10 Depth=1
	s_wait_alu 0xfffe
	s_or_b32 exec_lo, exec_lo, s20
	v_lshlrev_b32_e32 v135, 8, v12
	v_lshl_add_u32 v134, v134, 10, 0x2000
	v_lshlrev_b32_e32 v16, 7, v16
	s_delay_alu instid0(VALU_DEP_3) | instskip(NEXT) | instid1(VALU_DEP_3)
	v_and_b32_e32 v135, 0x8000, v135
	v_and_b32_e32 v134, 0xfc00, v134
	s_delay_alu instid0(VALU_DEP_1)
	v_or3_b32 v134, v135, v134, v16
.LBB279_304:                            ;   in Loop: Header=BB279_10 Depth=1
	s_wait_alu 0xfffe
	s_or_b32 exec_lo, exec_lo, s19
.LBB279_305:                            ;   in Loop: Header=BB279_10 Depth=1
	s_wait_alu 0xfffe
	s_or_b32 exec_lo, exec_lo, s18
.LBB279_306:                            ;   in Loop: Header=BB279_10 Depth=1
	s_wait_alu 0xfffe
	s_or_b32 exec_lo, exec_lo, s3
	v_lshrrev_b16 v16, 8, v12
	s_mov_b32 s3, exec_lo
	s_delay_alu instid0(VALU_DEP_1)
	v_cmpx_ne_u16_e32 0, v16
	s_cbranch_execz .LBB279_314
; %bb.307:                              ;   in Loop: Header=BB279_10 Depth=1
	v_bfrev_b32_e32 v133, 1
	s_mov_b32 s18, exec_lo
	v_cmpx_ne_u16_e32 0x80, v16
	s_cbranch_execz .LBB279_313
; %bb.308:                              ;   in Loop: Header=BB279_10 Depth=1
	v_and_b32_e32 v135, 0xffff, v16
	v_mov_b32_e32 v133, 0x7c010000
	s_mov_b32 s19, exec_lo
	s_delay_alu instid0(VALU_DEP_2) | instskip(NEXT) | instid1(VALU_DEP_1)
	v_and_b32_e32 v145, 0x7f, v135
	v_cmpx_ne_u32_e32 0x7f, v145
	s_cbranch_execz .LBB279_312
; %bb.309:                              ;   in Loop: Header=BB279_10 Depth=1
	v_and_b32_e32 v133, 7, v135
	v_lshrrev_b32_e32 v144, 3, v145
	s_mov_b32 s20, exec_lo
	v_cmpx_gt_u32_e32 8, v145
; %bb.310:                              ;   in Loop: Header=BB279_10 Depth=1
	s_delay_alu instid0(VALU_DEP_3) | instskip(NEXT) | instid1(VALU_DEP_1)
	v_clz_i32_u32_e32 v133, v133
	v_min_u32_e32 v133, 32, v133
	s_delay_alu instid0(VALU_DEP_1) | instskip(NEXT) | instid1(VALU_DEP_1)
	v_subrev_nc_u32_e32 v144, 28, v133
	v_lshlrev_b64_e32 v[145:146], v144, v[16:17]
	v_sub_nc_u32_e32 v144, 29, v133
	s_delay_alu instid0(VALU_DEP_2)
	v_and_b32_e32 v133, 7, v145
; %bb.311:                              ;   in Loop: Header=BB279_10 Depth=1
	s_wait_alu 0xfffe
	s_or_b32 exec_lo, exec_lo, s20
	v_lshlrev_b32_e32 v16, 8, v135
	v_lshl_add_u32 v135, v144, 10, 0x2000
	v_lshlrev_b32_e32 v133, 23, v133
	s_delay_alu instid0(VALU_DEP_2) | instskip(NEXT) | instid1(VALU_DEP_1)
	v_and_or_b32 v16, 0x8000, v16, v135
	v_lshl_or_b32 v133, v16, 16, v133
.LBB279_312:                            ;   in Loop: Header=BB279_10 Depth=1
	s_wait_alu 0xfffe
	s_or_b32 exec_lo, exec_lo, s19
.LBB279_313:                            ;   in Loop: Header=BB279_10 Depth=1
	s_wait_alu 0xfffe
	s_or_b32 exec_lo, exec_lo, s18
.LBB279_314:                            ;   in Loop: Header=BB279_10 Depth=1
	s_wait_alu 0xfffe
	s_or_b32 exec_lo, exec_lo, s3
	v_lshrrev_b32_e32 v16, 16, v12
	v_mov_b32_e32 v135, 0
	s_mov_b32 s3, exec_lo
	s_delay_alu instid0(VALU_DEP_2) | instskip(NEXT) | instid1(VALU_DEP_1)
	v_dual_mov_b32 v144, 0 :: v_dual_and_b32 v145, 0xff, v16
	v_cmpx_ne_u16_e64 0, v145
	s_cbranch_execz .LBB279_322
; %bb.315:                              ;   in Loop: Header=BB279_10 Depth=1
	v_mov_b32_e32 v144, 0x8000
	s_mov_b32 s18, exec_lo
	v_cmpx_ne_u16_e64 0x80, v145
	s_cbranch_execz .LBB279_321
; %bb.316:                              ;   in Loop: Header=BB279_10 Depth=1
	v_bfe_u32 v146, v12, 16, 7
	v_mov_b32_e32 v144, 0x7c01
	s_mov_b32 s19, exec_lo
	s_delay_alu instid0(VALU_DEP_2)
	v_cmpx_ne_u32_e32 0x7f, v146
	s_cbranch_execz .LBB279_320
; %bb.317:                              ;   in Loop: Header=BB279_10 Depth=1
	v_and_b32_e32 v144, 7, v16
	v_lshrrev_b32_e32 v145, 3, v146
	s_mov_b32 s20, exec_lo
	v_cmpx_gt_u32_e32 8, v146
; %bb.318:                              ;   in Loop: Header=BB279_10 Depth=1
	s_delay_alu instid0(VALU_DEP_3) | instskip(NEXT) | instid1(VALU_DEP_1)
	v_clz_i32_u32_e32 v144, v144
	v_min_u32_e32 v146, 32, v144
	s_delay_alu instid0(VALU_DEP_1) | instskip(NEXT) | instid1(VALU_DEP_1)
	v_subrev_nc_u32_e32 v144, 28, v146
	v_lshlrev_b64_e32 v[144:145], v144, v[16:17]
	v_sub_nc_u32_e32 v145, 29, v146
	s_delay_alu instid0(VALU_DEP_2)
	v_and_b32_e32 v144, 7, v144
; %bb.319:                              ;   in Loop: Header=BB279_10 Depth=1
	s_wait_alu 0xfffe
	s_or_b32 exec_lo, exec_lo, s20
	v_lshlrev_b32_e32 v16, 8, v16
	v_lshl_add_u32 v145, v145, 10, 0x2000
	v_lshlrev_b32_e32 v144, 7, v144
	s_delay_alu instid0(VALU_DEP_3) | instskip(NEXT) | instid1(VALU_DEP_3)
	v_and_b32_e32 v16, 0x8000, v16
	v_and_b32_e32 v145, 0xfc00, v145
	s_delay_alu instid0(VALU_DEP_1)
	v_or3_b32 v144, v16, v145, v144
.LBB279_320:                            ;   in Loop: Header=BB279_10 Depth=1
	s_wait_alu 0xfffe
	s_or_b32 exec_lo, exec_lo, s19
.LBB279_321:                            ;   in Loop: Header=BB279_10 Depth=1
	s_wait_alu 0xfffe
	s_or_b32 exec_lo, exec_lo, s18
.LBB279_322:                            ;   in Loop: Header=BB279_10 Depth=1
	s_wait_alu 0xfffe
	s_or_b32 exec_lo, exec_lo, s3
	s_delay_alu instid0(SALU_CYCLE_1)
	s_mov_b32 s3, exec_lo
	v_cmpx_lt_u32_e32 0xffffff, v12
	s_cbranch_execz .LBB279_330
; %bb.323:                              ;   in Loop: Header=BB279_10 Depth=1
	v_lshrrev_b32_e32 v16, 24, v12
	v_bfrev_b32_e32 v135, 1
	s_mov_b32 s18, exec_lo
	s_delay_alu instid0(VALU_DEP_2)
	v_cmpx_ne_u32_e32 0x80, v16
	s_cbranch_execz .LBB279_329
; %bb.324:                              ;   in Loop: Header=BB279_10 Depth=1
	v_and_b32_e32 v145, 0x7f, v16
	v_mov_b32_e32 v135, 0x7c010000
	s_mov_b32 s19, exec_lo
	s_delay_alu instid0(VALU_DEP_2)
	v_cmpx_ne_u32_e32 0x7f, v145
	s_cbranch_execz .LBB279_328
; %bb.325:                              ;   in Loop: Header=BB279_10 Depth=1
	v_and_b32_e32 v12, 7, v16
	v_lshrrev_b32_e32 v135, 3, v145
	s_mov_b32 s20, exec_lo
	v_cmpx_gt_u32_e32 8, v145
; %bb.326:                              ;   in Loop: Header=BB279_10 Depth=1
	s_delay_alu instid0(VALU_DEP_3) | instskip(NEXT) | instid1(VALU_DEP_1)
	v_clz_i32_u32_e32 v12, v12
	v_min_u32_e32 v12, 32, v12
	s_delay_alu instid0(VALU_DEP_1) | instskip(NEXT) | instid1(VALU_DEP_1)
	v_subrev_nc_u32_e32 v135, 28, v12
	v_lshlrev_b64_e32 v[145:146], v135, v[16:17]
	v_sub_nc_u32_e32 v135, 29, v12
	s_delay_alu instid0(VALU_DEP_2)
	v_and_b32_e32 v12, 7, v145
; %bb.327:                              ;   in Loop: Header=BB279_10 Depth=1
	s_wait_alu 0xfffe
	s_or_b32 exec_lo, exec_lo, s20
	v_lshlrev_b32_e32 v16, 8, v16
	v_lshl_add_u32 v135, v135, 10, 0x2000
	v_lshlrev_b32_e32 v12, 23, v12
	s_delay_alu instid0(VALU_DEP_2) | instskip(NEXT) | instid1(VALU_DEP_1)
	v_and_or_b32 v16, 0x8000, v16, v135
	v_lshl_or_b32 v135, v16, 16, v12
.LBB279_328:                            ;   in Loop: Header=BB279_10 Depth=1
	s_wait_alu 0xfffe
	s_or_b32 exec_lo, exec_lo, s19
.LBB279_329:                            ;   in Loop: Header=BB279_10 Depth=1
	s_wait_alu 0xfffe
	s_or_b32 exec_lo, exec_lo, s18
.LBB279_330:                            ;   in Loop: Header=BB279_10 Depth=1
	s_wait_alu 0xfffe
	s_or_b32 exec_lo, exec_lo, s3
	flat_load_b32 v12, v[20:21] offset:1280
	v_mov_b32_e32 v146, 0
	s_mov_b32 s3, exec_lo
	s_wait_loadcnt_dscnt 0x0
	v_dual_mov_b32 v145, 0 :: v_dual_and_b32 v16, 0xff, v12
	s_delay_alu instid0(VALU_DEP_1)
	v_cmpx_ne_u16_e32 0, v16
	s_cbranch_execz .LBB279_338
; %bb.331:                              ;   in Loop: Header=BB279_10 Depth=1
	v_mov_b32_e32 v146, 0x8000
	s_mov_b32 s18, exec_lo
	v_cmpx_ne_u16_e32 0x80, v16
	s_cbranch_execz .LBB279_337
; %bb.332:                              ;   in Loop: Header=BB279_10 Depth=1
	v_and_b32_e32 v147, 0x7f, v12
	v_mov_b32_e32 v146, 0x7c01
	s_mov_b32 s19, exec_lo
	s_delay_alu instid0(VALU_DEP_2)
	v_cmpx_ne_u32_e32 0x7f, v147
	s_cbranch_execz .LBB279_336
; %bb.333:                              ;   in Loop: Header=BB279_10 Depth=1
	v_and_b32_e32 v16, 7, v12
	v_lshrrev_b32_e32 v146, 3, v147
	s_mov_b32 s20, exec_lo
	v_cmpx_gt_u32_e32 8, v147
; %bb.334:                              ;   in Loop: Header=BB279_10 Depth=1
	s_delay_alu instid0(VALU_DEP_3) | instskip(NEXT) | instid1(VALU_DEP_1)
	v_clz_i32_u32_e32 v16, v16
	v_min_u32_e32 v16, 32, v16
	s_delay_alu instid0(VALU_DEP_1) | instskip(NEXT) | instid1(VALU_DEP_1)
	v_subrev_nc_u32_e32 v146, 28, v16
	v_lshlrev_b64_e32 v[147:148], v146, v[12:13]
	v_sub_nc_u32_e32 v146, 29, v16
	s_delay_alu instid0(VALU_DEP_2)
	v_and_b32_e32 v16, 7, v147
; %bb.335:                              ;   in Loop: Header=BB279_10 Depth=1
	s_wait_alu 0xfffe
	s_or_b32 exec_lo, exec_lo, s20
	v_lshlrev_b32_e32 v147, 8, v12
	v_lshl_add_u32 v146, v146, 10, 0x2000
	v_lshlrev_b32_e32 v16, 7, v16
	s_delay_alu instid0(VALU_DEP_3) | instskip(NEXT) | instid1(VALU_DEP_3)
	v_and_b32_e32 v147, 0x8000, v147
	v_and_b32_e32 v146, 0xfc00, v146
	s_delay_alu instid0(VALU_DEP_1)
	v_or3_b32 v146, v147, v146, v16
.LBB279_336:                            ;   in Loop: Header=BB279_10 Depth=1
	s_wait_alu 0xfffe
	s_or_b32 exec_lo, exec_lo, s19
.LBB279_337:                            ;   in Loop: Header=BB279_10 Depth=1
	s_wait_alu 0xfffe
	s_or_b32 exec_lo, exec_lo, s18
.LBB279_338:                            ;   in Loop: Header=BB279_10 Depth=1
	s_wait_alu 0xfffe
	s_or_b32 exec_lo, exec_lo, s3
	v_lshrrev_b16 v16, 8, v12
	s_mov_b32 s3, exec_lo
	s_delay_alu instid0(VALU_DEP_1)
	v_cmpx_ne_u16_e32 0, v16
	s_cbranch_execz .LBB279_346
; %bb.339:                              ;   in Loop: Header=BB279_10 Depth=1
	v_bfrev_b32_e32 v145, 1
	s_mov_b32 s18, exec_lo
	v_cmpx_ne_u16_e32 0x80, v16
	s_cbranch_execz .LBB279_345
; %bb.340:                              ;   in Loop: Header=BB279_10 Depth=1
	v_and_b32_e32 v147, 0xffff, v16
	v_mov_b32_e32 v145, 0x7c010000
	s_mov_b32 s19, exec_lo
	s_delay_alu instid0(VALU_DEP_2) | instskip(NEXT) | instid1(VALU_DEP_1)
	v_and_b32_e32 v149, 0x7f, v147
	v_cmpx_ne_u32_e32 0x7f, v149
	s_cbranch_execz .LBB279_344
; %bb.341:                              ;   in Loop: Header=BB279_10 Depth=1
	v_and_b32_e32 v145, 7, v147
	v_lshrrev_b32_e32 v148, 3, v149
	s_mov_b32 s20, exec_lo
	v_cmpx_gt_u32_e32 8, v149
; %bb.342:                              ;   in Loop: Header=BB279_10 Depth=1
	s_delay_alu instid0(VALU_DEP_3) | instskip(NEXT) | instid1(VALU_DEP_1)
	v_clz_i32_u32_e32 v145, v145
	v_min_u32_e32 v145, 32, v145
	s_delay_alu instid0(VALU_DEP_1) | instskip(NEXT) | instid1(VALU_DEP_1)
	v_subrev_nc_u32_e32 v148, 28, v145
	v_lshlrev_b64_e32 v[149:150], v148, v[16:17]
	v_sub_nc_u32_e32 v148, 29, v145
	s_delay_alu instid0(VALU_DEP_2)
	v_and_b32_e32 v145, 7, v149
; %bb.343:                              ;   in Loop: Header=BB279_10 Depth=1
	s_wait_alu 0xfffe
	s_or_b32 exec_lo, exec_lo, s20
	v_lshlrev_b32_e32 v16, 8, v147
	v_lshl_add_u32 v147, v148, 10, 0x2000
	v_lshlrev_b32_e32 v145, 23, v145
	s_delay_alu instid0(VALU_DEP_2) | instskip(NEXT) | instid1(VALU_DEP_1)
	v_and_or_b32 v16, 0x8000, v16, v147
	v_lshl_or_b32 v145, v16, 16, v145
.LBB279_344:                            ;   in Loop: Header=BB279_10 Depth=1
	s_wait_alu 0xfffe
	s_or_b32 exec_lo, exec_lo, s19
.LBB279_345:                            ;   in Loop: Header=BB279_10 Depth=1
	s_wait_alu 0xfffe
	s_or_b32 exec_lo, exec_lo, s18
.LBB279_346:                            ;   in Loop: Header=BB279_10 Depth=1
	s_wait_alu 0xfffe
	s_or_b32 exec_lo, exec_lo, s3
	v_lshrrev_b32_e32 v16, 16, v12
	v_mov_b32_e32 v147, 0
	s_mov_b32 s3, exec_lo
	s_delay_alu instid0(VALU_DEP_2) | instskip(NEXT) | instid1(VALU_DEP_1)
	v_dual_mov_b32 v148, 0 :: v_dual_and_b32 v149, 0xff, v16
	v_cmpx_ne_u16_e64 0, v149
	s_cbranch_execz .LBB279_354
; %bb.347:                              ;   in Loop: Header=BB279_10 Depth=1
	v_mov_b32_e32 v148, 0x8000
	s_mov_b32 s18, exec_lo
	v_cmpx_ne_u16_e64 0x80, v149
	s_cbranch_execz .LBB279_353
; %bb.348:                              ;   in Loop: Header=BB279_10 Depth=1
	v_bfe_u32 v150, v12, 16, 7
	v_mov_b32_e32 v148, 0x7c01
	s_mov_b32 s19, exec_lo
	s_delay_alu instid0(VALU_DEP_2)
	v_cmpx_ne_u32_e32 0x7f, v150
	s_cbranch_execz .LBB279_352
; %bb.349:                              ;   in Loop: Header=BB279_10 Depth=1
	v_and_b32_e32 v148, 7, v16
	v_lshrrev_b32_e32 v149, 3, v150
	s_mov_b32 s20, exec_lo
	v_cmpx_gt_u32_e32 8, v150
; %bb.350:                              ;   in Loop: Header=BB279_10 Depth=1
	s_delay_alu instid0(VALU_DEP_3) | instskip(NEXT) | instid1(VALU_DEP_1)
	v_clz_i32_u32_e32 v148, v148
	v_min_u32_e32 v150, 32, v148
	s_delay_alu instid0(VALU_DEP_1) | instskip(NEXT) | instid1(VALU_DEP_1)
	v_subrev_nc_u32_e32 v148, 28, v150
	v_lshlrev_b64_e32 v[148:149], v148, v[16:17]
	v_sub_nc_u32_e32 v149, 29, v150
	s_delay_alu instid0(VALU_DEP_2)
	v_and_b32_e32 v148, 7, v148
; %bb.351:                              ;   in Loop: Header=BB279_10 Depth=1
	s_wait_alu 0xfffe
	s_or_b32 exec_lo, exec_lo, s20
	v_lshlrev_b32_e32 v16, 8, v16
	v_lshl_add_u32 v149, v149, 10, 0x2000
	v_lshlrev_b32_e32 v148, 7, v148
	s_delay_alu instid0(VALU_DEP_3) | instskip(NEXT) | instid1(VALU_DEP_3)
	v_and_b32_e32 v16, 0x8000, v16
	v_and_b32_e32 v149, 0xfc00, v149
	s_delay_alu instid0(VALU_DEP_1)
	v_or3_b32 v148, v16, v149, v148
.LBB279_352:                            ;   in Loop: Header=BB279_10 Depth=1
	s_wait_alu 0xfffe
	s_or_b32 exec_lo, exec_lo, s19
.LBB279_353:                            ;   in Loop: Header=BB279_10 Depth=1
	s_wait_alu 0xfffe
	s_or_b32 exec_lo, exec_lo, s18
.LBB279_354:                            ;   in Loop: Header=BB279_10 Depth=1
	s_wait_alu 0xfffe
	s_or_b32 exec_lo, exec_lo, s3
	s_delay_alu instid0(SALU_CYCLE_1)
	s_mov_b32 s3, exec_lo
	v_cmpx_lt_u32_e32 0xffffff, v12
	s_cbranch_execz .LBB279_362
; %bb.355:                              ;   in Loop: Header=BB279_10 Depth=1
	v_lshrrev_b32_e32 v16, 24, v12
	v_bfrev_b32_e32 v147, 1
	s_mov_b32 s18, exec_lo
	s_delay_alu instid0(VALU_DEP_2)
	v_cmpx_ne_u32_e32 0x80, v16
	s_cbranch_execz .LBB279_361
; %bb.356:                              ;   in Loop: Header=BB279_10 Depth=1
	v_and_b32_e32 v149, 0x7f, v16
	v_mov_b32_e32 v147, 0x7c010000
	s_mov_b32 s19, exec_lo
	s_delay_alu instid0(VALU_DEP_2)
	v_cmpx_ne_u32_e32 0x7f, v149
	s_cbranch_execz .LBB279_360
; %bb.357:                              ;   in Loop: Header=BB279_10 Depth=1
	v_and_b32_e32 v12, 7, v16
	v_lshrrev_b32_e32 v147, 3, v149
	s_mov_b32 s20, exec_lo
	v_cmpx_gt_u32_e32 8, v149
; %bb.358:                              ;   in Loop: Header=BB279_10 Depth=1
	s_delay_alu instid0(VALU_DEP_3) | instskip(NEXT) | instid1(VALU_DEP_1)
	v_clz_i32_u32_e32 v12, v12
	v_min_u32_e32 v12, 32, v12
	s_delay_alu instid0(VALU_DEP_1) | instskip(NEXT) | instid1(VALU_DEP_1)
	v_subrev_nc_u32_e32 v147, 28, v12
	v_lshlrev_b64_e32 v[149:150], v147, v[16:17]
	v_sub_nc_u32_e32 v147, 29, v12
	s_delay_alu instid0(VALU_DEP_2)
	v_and_b32_e32 v12, 7, v149
; %bb.359:                              ;   in Loop: Header=BB279_10 Depth=1
	s_wait_alu 0xfffe
	s_or_b32 exec_lo, exec_lo, s20
	v_lshlrev_b32_e32 v16, 8, v16
	v_lshl_add_u32 v147, v147, 10, 0x2000
	v_lshlrev_b32_e32 v12, 23, v12
	s_delay_alu instid0(VALU_DEP_2) | instskip(NEXT) | instid1(VALU_DEP_1)
	v_and_or_b32 v16, 0x8000, v16, v147
	v_lshl_or_b32 v147, v16, 16, v12
.LBB279_360:                            ;   in Loop: Header=BB279_10 Depth=1
	s_wait_alu 0xfffe
	s_or_b32 exec_lo, exec_lo, s19
.LBB279_361:                            ;   in Loop: Header=BB279_10 Depth=1
	s_wait_alu 0xfffe
	s_or_b32 exec_lo, exec_lo, s18
.LBB279_362:                            ;   in Loop: Header=BB279_10 Depth=1
	s_wait_alu 0xfffe
	s_or_b32 exec_lo, exec_lo, s3
	flat_load_b32 v12, v[20:21] offset:1288
	v_mov_b32_e32 v150, 0
	s_mov_b32 s3, exec_lo
	s_wait_loadcnt_dscnt 0x0
	v_dual_mov_b32 v149, 0 :: v_dual_and_b32 v16, 0xff, v12
	s_delay_alu instid0(VALU_DEP_1)
	v_cmpx_ne_u16_e32 0, v16
	s_cbranch_execz .LBB279_370
; %bb.363:                              ;   in Loop: Header=BB279_10 Depth=1
	v_mov_b32_e32 v150, 0x8000
	s_mov_b32 s18, exec_lo
	v_cmpx_ne_u16_e32 0x80, v16
	s_cbranch_execz .LBB279_369
; %bb.364:                              ;   in Loop: Header=BB279_10 Depth=1
	v_and_b32_e32 v151, 0x7f, v12
	v_mov_b32_e32 v150, 0x7c01
	s_mov_b32 s19, exec_lo
	s_delay_alu instid0(VALU_DEP_2)
	v_cmpx_ne_u32_e32 0x7f, v151
	s_cbranch_execz .LBB279_368
; %bb.365:                              ;   in Loop: Header=BB279_10 Depth=1
	v_and_b32_e32 v16, 7, v12
	v_lshrrev_b32_e32 v150, 3, v151
	s_mov_b32 s20, exec_lo
	v_cmpx_gt_u32_e32 8, v151
; %bb.366:                              ;   in Loop: Header=BB279_10 Depth=1
	s_delay_alu instid0(VALU_DEP_3) | instskip(NEXT) | instid1(VALU_DEP_1)
	v_clz_i32_u32_e32 v16, v16
	v_min_u32_e32 v16, 32, v16
	s_delay_alu instid0(VALU_DEP_1) | instskip(NEXT) | instid1(VALU_DEP_1)
	v_subrev_nc_u32_e32 v150, 28, v16
	v_lshlrev_b64_e32 v[160:161], v150, v[12:13]
	v_sub_nc_u32_e32 v150, 29, v16
	s_delay_alu instid0(VALU_DEP_2)
	v_and_b32_e32 v16, 7, v160
; %bb.367:                              ;   in Loop: Header=BB279_10 Depth=1
	s_wait_alu 0xfffe
	s_or_b32 exec_lo, exec_lo, s20
	v_lshlrev_b32_e32 v151, 8, v12
	v_lshl_add_u32 v150, v150, 10, 0x2000
	v_lshlrev_b32_e32 v16, 7, v16
	s_delay_alu instid0(VALU_DEP_3) | instskip(NEXT) | instid1(VALU_DEP_3)
	v_and_b32_e32 v151, 0x8000, v151
	v_and_b32_e32 v150, 0xfc00, v150
	s_delay_alu instid0(VALU_DEP_1)
	v_or3_b32 v150, v151, v150, v16
.LBB279_368:                            ;   in Loop: Header=BB279_10 Depth=1
	s_wait_alu 0xfffe
	s_or_b32 exec_lo, exec_lo, s19
.LBB279_369:                            ;   in Loop: Header=BB279_10 Depth=1
	s_wait_alu 0xfffe
	s_or_b32 exec_lo, exec_lo, s18
.LBB279_370:                            ;   in Loop: Header=BB279_10 Depth=1
	s_wait_alu 0xfffe
	s_or_b32 exec_lo, exec_lo, s3
	v_lshrrev_b16 v16, 8, v12
	s_mov_b32 s3, exec_lo
	s_delay_alu instid0(VALU_DEP_1)
	v_cmpx_ne_u16_e32 0, v16
	s_cbranch_execz .LBB279_378
; %bb.371:                              ;   in Loop: Header=BB279_10 Depth=1
	v_bfrev_b32_e32 v149, 1
	s_mov_b32 s18, exec_lo
	v_cmpx_ne_u16_e32 0x80, v16
	s_cbranch_execz .LBB279_377
; %bb.372:                              ;   in Loop: Header=BB279_10 Depth=1
	v_and_b32_e32 v151, 0xffff, v16
	v_mov_b32_e32 v149, 0x7c010000
	s_mov_b32 s19, exec_lo
	s_delay_alu instid0(VALU_DEP_2) | instskip(NEXT) | instid1(VALU_DEP_1)
	v_and_b32_e32 v161, 0x7f, v151
	v_cmpx_ne_u32_e32 0x7f, v161
	s_cbranch_execz .LBB279_376
; %bb.373:                              ;   in Loop: Header=BB279_10 Depth=1
	v_and_b32_e32 v149, 7, v151
	v_lshrrev_b32_e32 v160, 3, v161
	s_mov_b32 s20, exec_lo
	v_cmpx_gt_u32_e32 8, v161
; %bb.374:                              ;   in Loop: Header=BB279_10 Depth=1
	s_delay_alu instid0(VALU_DEP_3) | instskip(NEXT) | instid1(VALU_DEP_1)
	v_clz_i32_u32_e32 v149, v149
	v_min_u32_e32 v149, 32, v149
	s_delay_alu instid0(VALU_DEP_1) | instskip(NEXT) | instid1(VALU_DEP_1)
	v_subrev_nc_u32_e32 v160, 28, v149
	v_lshlrev_b64_e32 v[161:162], v160, v[16:17]
	v_sub_nc_u32_e32 v160, 29, v149
	s_delay_alu instid0(VALU_DEP_2)
	v_and_b32_e32 v149, 7, v161
; %bb.375:                              ;   in Loop: Header=BB279_10 Depth=1
	s_wait_alu 0xfffe
	s_or_b32 exec_lo, exec_lo, s20
	v_lshlrev_b32_e32 v16, 8, v151
	v_lshl_add_u32 v151, v160, 10, 0x2000
	v_lshlrev_b32_e32 v149, 23, v149
	s_delay_alu instid0(VALU_DEP_2) | instskip(NEXT) | instid1(VALU_DEP_1)
	v_and_or_b32 v16, 0x8000, v16, v151
	v_lshl_or_b32 v149, v16, 16, v149
.LBB279_376:                            ;   in Loop: Header=BB279_10 Depth=1
	s_wait_alu 0xfffe
	s_or_b32 exec_lo, exec_lo, s19
.LBB279_377:                            ;   in Loop: Header=BB279_10 Depth=1
	s_wait_alu 0xfffe
	s_or_b32 exec_lo, exec_lo, s18
.LBB279_378:                            ;   in Loop: Header=BB279_10 Depth=1
	s_wait_alu 0xfffe
	s_or_b32 exec_lo, exec_lo, s3
	v_lshrrev_b32_e32 v16, 16, v12
	v_mov_b32_e32 v151, 0
	s_mov_b32 s3, exec_lo
	s_delay_alu instid0(VALU_DEP_2) | instskip(NEXT) | instid1(VALU_DEP_1)
	v_dual_mov_b32 v160, 0 :: v_dual_and_b32 v161, 0xff, v16
	v_cmpx_ne_u16_e64 0, v161
	s_cbranch_execz .LBB279_386
; %bb.379:                              ;   in Loop: Header=BB279_10 Depth=1
	v_mov_b32_e32 v160, 0x8000
	s_mov_b32 s18, exec_lo
	v_cmpx_ne_u16_e64 0x80, v161
	s_cbranch_execz .LBB279_385
; %bb.380:                              ;   in Loop: Header=BB279_10 Depth=1
	v_bfe_u32 v162, v12, 16, 7
	v_mov_b32_e32 v160, 0x7c01
	s_mov_b32 s19, exec_lo
	s_delay_alu instid0(VALU_DEP_2)
	v_cmpx_ne_u32_e32 0x7f, v162
	s_cbranch_execz .LBB279_384
; %bb.381:                              ;   in Loop: Header=BB279_10 Depth=1
	v_and_b32_e32 v160, 7, v16
	v_lshrrev_b32_e32 v161, 3, v162
	s_mov_b32 s20, exec_lo
	v_cmpx_gt_u32_e32 8, v162
; %bb.382:                              ;   in Loop: Header=BB279_10 Depth=1
	s_delay_alu instid0(VALU_DEP_3) | instskip(NEXT) | instid1(VALU_DEP_1)
	v_clz_i32_u32_e32 v160, v160
	v_min_u32_e32 v162, 32, v160
	s_delay_alu instid0(VALU_DEP_1) | instskip(NEXT) | instid1(VALU_DEP_1)
	v_subrev_nc_u32_e32 v160, 28, v162
	v_lshlrev_b64_e32 v[160:161], v160, v[16:17]
	v_sub_nc_u32_e32 v161, 29, v162
	s_delay_alu instid0(VALU_DEP_2)
	v_and_b32_e32 v160, 7, v160
; %bb.383:                              ;   in Loop: Header=BB279_10 Depth=1
	s_wait_alu 0xfffe
	s_or_b32 exec_lo, exec_lo, s20
	v_lshlrev_b32_e32 v16, 8, v16
	v_lshl_add_u32 v161, v161, 10, 0x2000
	v_lshlrev_b32_e32 v160, 7, v160
	s_delay_alu instid0(VALU_DEP_3) | instskip(NEXT) | instid1(VALU_DEP_3)
	v_and_b32_e32 v16, 0x8000, v16
	v_and_b32_e32 v161, 0xfc00, v161
	s_delay_alu instid0(VALU_DEP_1)
	v_or3_b32 v160, v16, v161, v160
.LBB279_384:                            ;   in Loop: Header=BB279_10 Depth=1
	s_wait_alu 0xfffe
	s_or_b32 exec_lo, exec_lo, s19
.LBB279_385:                            ;   in Loop: Header=BB279_10 Depth=1
	s_wait_alu 0xfffe
	s_or_b32 exec_lo, exec_lo, s18
.LBB279_386:                            ;   in Loop: Header=BB279_10 Depth=1
	s_wait_alu 0xfffe
	s_or_b32 exec_lo, exec_lo, s3
	s_delay_alu instid0(SALU_CYCLE_1)
	s_mov_b32 s3, exec_lo
	v_cmpx_lt_u32_e32 0xffffff, v12
	s_cbranch_execz .LBB279_394
; %bb.387:                              ;   in Loop: Header=BB279_10 Depth=1
	v_lshrrev_b32_e32 v16, 24, v12
	v_bfrev_b32_e32 v151, 1
	s_mov_b32 s18, exec_lo
	s_delay_alu instid0(VALU_DEP_2)
	v_cmpx_ne_u32_e32 0x80, v16
	s_cbranch_execz .LBB279_393
; %bb.388:                              ;   in Loop: Header=BB279_10 Depth=1
	v_and_b32_e32 v161, 0x7f, v16
	v_mov_b32_e32 v151, 0x7c010000
	s_mov_b32 s19, exec_lo
	s_delay_alu instid0(VALU_DEP_2)
	v_cmpx_ne_u32_e32 0x7f, v161
	s_cbranch_execz .LBB279_392
; %bb.389:                              ;   in Loop: Header=BB279_10 Depth=1
	v_and_b32_e32 v12, 7, v16
	v_lshrrev_b32_e32 v151, 3, v161
	s_mov_b32 s20, exec_lo
	v_cmpx_gt_u32_e32 8, v161
; %bb.390:                              ;   in Loop: Header=BB279_10 Depth=1
	s_delay_alu instid0(VALU_DEP_3) | instskip(NEXT) | instid1(VALU_DEP_1)
	v_clz_i32_u32_e32 v12, v12
	v_min_u32_e32 v12, 32, v12
	s_delay_alu instid0(VALU_DEP_1) | instskip(NEXT) | instid1(VALU_DEP_1)
	v_subrev_nc_u32_e32 v151, 28, v12
	v_lshlrev_b64_e32 v[161:162], v151, v[16:17]
	v_sub_nc_u32_e32 v151, 29, v12
	s_delay_alu instid0(VALU_DEP_2)
	v_and_b32_e32 v12, 7, v161
; %bb.391:                              ;   in Loop: Header=BB279_10 Depth=1
	s_wait_alu 0xfffe
	s_or_b32 exec_lo, exec_lo, s20
	v_lshlrev_b32_e32 v16, 8, v16
	v_lshl_add_u32 v151, v151, 10, 0x2000
	v_lshlrev_b32_e32 v12, 23, v12
	s_delay_alu instid0(VALU_DEP_2) | instskip(NEXT) | instid1(VALU_DEP_1)
	v_and_or_b32 v16, 0x8000, v16, v151
	v_lshl_or_b32 v151, v16, 16, v12
.LBB279_392:                            ;   in Loop: Header=BB279_10 Depth=1
	s_wait_alu 0xfffe
	s_or_b32 exec_lo, exec_lo, s19
.LBB279_393:                            ;   in Loop: Header=BB279_10 Depth=1
	s_wait_alu 0xfffe
	s_or_b32 exec_lo, exec_lo, s18
.LBB279_394:                            ;   in Loop: Header=BB279_10 Depth=1
	s_wait_alu 0xfffe
	s_or_b32 exec_lo, exec_lo, s3
	flat_load_b32 v12, v[20:21] offset:1536
	v_mov_b32_e32 v162, 0
	s_mov_b32 s3, exec_lo
	s_wait_loadcnt_dscnt 0x0
	v_dual_mov_b32 v161, 0 :: v_dual_and_b32 v16, 0xff, v12
	s_delay_alu instid0(VALU_DEP_1)
	v_cmpx_ne_u16_e32 0, v16
	s_cbranch_execz .LBB279_402
; %bb.395:                              ;   in Loop: Header=BB279_10 Depth=1
	v_mov_b32_e32 v162, 0x8000
	s_mov_b32 s18, exec_lo
	v_cmpx_ne_u16_e32 0x80, v16
	s_cbranch_execz .LBB279_401
; %bb.396:                              ;   in Loop: Header=BB279_10 Depth=1
	v_and_b32_e32 v163, 0x7f, v12
	v_mov_b32_e32 v162, 0x7c01
	s_mov_b32 s19, exec_lo
	s_delay_alu instid0(VALU_DEP_2)
	v_cmpx_ne_u32_e32 0x7f, v163
	s_cbranch_execz .LBB279_400
; %bb.397:                              ;   in Loop: Header=BB279_10 Depth=1
	v_and_b32_e32 v16, 7, v12
	v_lshrrev_b32_e32 v162, 3, v163
	s_mov_b32 s20, exec_lo
	v_cmpx_gt_u32_e32 8, v163
; %bb.398:                              ;   in Loop: Header=BB279_10 Depth=1
	s_delay_alu instid0(VALU_DEP_3) | instskip(NEXT) | instid1(VALU_DEP_1)
	v_clz_i32_u32_e32 v16, v16
	v_min_u32_e32 v16, 32, v16
	s_delay_alu instid0(VALU_DEP_1) | instskip(NEXT) | instid1(VALU_DEP_1)
	v_subrev_nc_u32_e32 v162, 28, v16
	v_lshlrev_b64_e32 v[163:164], v162, v[12:13]
	v_sub_nc_u32_e32 v162, 29, v16
	s_delay_alu instid0(VALU_DEP_2)
	v_and_b32_e32 v16, 7, v163
; %bb.399:                              ;   in Loop: Header=BB279_10 Depth=1
	s_wait_alu 0xfffe
	s_or_b32 exec_lo, exec_lo, s20
	v_lshlrev_b32_e32 v163, 8, v12
	v_lshl_add_u32 v162, v162, 10, 0x2000
	v_lshlrev_b32_e32 v16, 7, v16
	s_delay_alu instid0(VALU_DEP_3) | instskip(NEXT) | instid1(VALU_DEP_3)
	v_and_b32_e32 v163, 0x8000, v163
	v_and_b32_e32 v162, 0xfc00, v162
	s_delay_alu instid0(VALU_DEP_1)
	v_or3_b32 v162, v163, v162, v16
.LBB279_400:                            ;   in Loop: Header=BB279_10 Depth=1
	s_wait_alu 0xfffe
	s_or_b32 exec_lo, exec_lo, s19
.LBB279_401:                            ;   in Loop: Header=BB279_10 Depth=1
	s_wait_alu 0xfffe
	s_or_b32 exec_lo, exec_lo, s18
.LBB279_402:                            ;   in Loop: Header=BB279_10 Depth=1
	s_wait_alu 0xfffe
	s_or_b32 exec_lo, exec_lo, s3
	v_lshrrev_b16 v16, 8, v12
	s_mov_b32 s3, exec_lo
	s_delay_alu instid0(VALU_DEP_1)
	v_cmpx_ne_u16_e32 0, v16
	s_cbranch_execz .LBB279_410
; %bb.403:                              ;   in Loop: Header=BB279_10 Depth=1
	v_bfrev_b32_e32 v161, 1
	s_mov_b32 s18, exec_lo
	v_cmpx_ne_u16_e32 0x80, v16
	s_cbranch_execz .LBB279_409
; %bb.404:                              ;   in Loop: Header=BB279_10 Depth=1
	v_and_b32_e32 v163, 0xffff, v16
	v_mov_b32_e32 v161, 0x7c010000
	s_mov_b32 s19, exec_lo
	s_delay_alu instid0(VALU_DEP_2) | instskip(NEXT) | instid1(VALU_DEP_1)
	v_and_b32_e32 v165, 0x7f, v163
	v_cmpx_ne_u32_e32 0x7f, v165
	s_cbranch_execz .LBB279_408
; %bb.405:                              ;   in Loop: Header=BB279_10 Depth=1
	v_and_b32_e32 v161, 7, v163
	v_lshrrev_b32_e32 v164, 3, v165
	s_mov_b32 s20, exec_lo
	v_cmpx_gt_u32_e32 8, v165
; %bb.406:                              ;   in Loop: Header=BB279_10 Depth=1
	s_delay_alu instid0(VALU_DEP_3) | instskip(NEXT) | instid1(VALU_DEP_1)
	v_clz_i32_u32_e32 v161, v161
	v_min_u32_e32 v161, 32, v161
	s_delay_alu instid0(VALU_DEP_1) | instskip(NEXT) | instid1(VALU_DEP_1)
	v_subrev_nc_u32_e32 v164, 28, v161
	v_lshlrev_b64_e32 v[165:166], v164, v[16:17]
	v_sub_nc_u32_e32 v164, 29, v161
	s_delay_alu instid0(VALU_DEP_2)
	v_and_b32_e32 v161, 7, v165
; %bb.407:                              ;   in Loop: Header=BB279_10 Depth=1
	s_wait_alu 0xfffe
	s_or_b32 exec_lo, exec_lo, s20
	v_lshlrev_b32_e32 v16, 8, v163
	v_lshl_add_u32 v163, v164, 10, 0x2000
	v_lshlrev_b32_e32 v161, 23, v161
	s_delay_alu instid0(VALU_DEP_2) | instskip(NEXT) | instid1(VALU_DEP_1)
	v_and_or_b32 v16, 0x8000, v16, v163
	v_lshl_or_b32 v161, v16, 16, v161
.LBB279_408:                            ;   in Loop: Header=BB279_10 Depth=1
	s_wait_alu 0xfffe
	s_or_b32 exec_lo, exec_lo, s19
.LBB279_409:                            ;   in Loop: Header=BB279_10 Depth=1
	s_wait_alu 0xfffe
	s_or_b32 exec_lo, exec_lo, s18
.LBB279_410:                            ;   in Loop: Header=BB279_10 Depth=1
	s_wait_alu 0xfffe
	s_or_b32 exec_lo, exec_lo, s3
	v_lshrrev_b32_e32 v16, 16, v12
	v_mov_b32_e32 v163, 0
	s_mov_b32 s3, exec_lo
	s_delay_alu instid0(VALU_DEP_2) | instskip(NEXT) | instid1(VALU_DEP_1)
	v_dual_mov_b32 v164, 0 :: v_dual_and_b32 v165, 0xff, v16
	v_cmpx_ne_u16_e64 0, v165
	s_cbranch_execz .LBB279_418
; %bb.411:                              ;   in Loop: Header=BB279_10 Depth=1
	v_mov_b32_e32 v164, 0x8000
	s_mov_b32 s18, exec_lo
	v_cmpx_ne_u16_e64 0x80, v165
	s_cbranch_execz .LBB279_417
; %bb.412:                              ;   in Loop: Header=BB279_10 Depth=1
	v_bfe_u32 v166, v12, 16, 7
	v_mov_b32_e32 v164, 0x7c01
	s_mov_b32 s19, exec_lo
	s_delay_alu instid0(VALU_DEP_2)
	v_cmpx_ne_u32_e32 0x7f, v166
	s_cbranch_execz .LBB279_416
; %bb.413:                              ;   in Loop: Header=BB279_10 Depth=1
	v_and_b32_e32 v164, 7, v16
	v_lshrrev_b32_e32 v165, 3, v166
	s_mov_b32 s20, exec_lo
	v_cmpx_gt_u32_e32 8, v166
; %bb.414:                              ;   in Loop: Header=BB279_10 Depth=1
	s_delay_alu instid0(VALU_DEP_3) | instskip(NEXT) | instid1(VALU_DEP_1)
	v_clz_i32_u32_e32 v164, v164
	v_min_u32_e32 v166, 32, v164
	s_delay_alu instid0(VALU_DEP_1) | instskip(NEXT) | instid1(VALU_DEP_1)
	v_subrev_nc_u32_e32 v164, 28, v166
	v_lshlrev_b64_e32 v[164:165], v164, v[16:17]
	v_sub_nc_u32_e32 v165, 29, v166
	s_delay_alu instid0(VALU_DEP_2)
	v_and_b32_e32 v164, 7, v164
; %bb.415:                              ;   in Loop: Header=BB279_10 Depth=1
	s_wait_alu 0xfffe
	s_or_b32 exec_lo, exec_lo, s20
	v_lshlrev_b32_e32 v16, 8, v16
	v_lshl_add_u32 v165, v165, 10, 0x2000
	v_lshlrev_b32_e32 v164, 7, v164
	s_delay_alu instid0(VALU_DEP_3) | instskip(NEXT) | instid1(VALU_DEP_3)
	v_and_b32_e32 v16, 0x8000, v16
	v_and_b32_e32 v165, 0xfc00, v165
	s_delay_alu instid0(VALU_DEP_1)
	v_or3_b32 v164, v16, v165, v164
.LBB279_416:                            ;   in Loop: Header=BB279_10 Depth=1
	s_wait_alu 0xfffe
	s_or_b32 exec_lo, exec_lo, s19
.LBB279_417:                            ;   in Loop: Header=BB279_10 Depth=1
	s_wait_alu 0xfffe
	s_or_b32 exec_lo, exec_lo, s18
.LBB279_418:                            ;   in Loop: Header=BB279_10 Depth=1
	s_wait_alu 0xfffe
	s_or_b32 exec_lo, exec_lo, s3
	s_delay_alu instid0(SALU_CYCLE_1)
	s_mov_b32 s3, exec_lo
	v_cmpx_lt_u32_e32 0xffffff, v12
	s_cbranch_execz .LBB279_426
; %bb.419:                              ;   in Loop: Header=BB279_10 Depth=1
	v_lshrrev_b32_e32 v16, 24, v12
	v_bfrev_b32_e32 v163, 1
	s_mov_b32 s18, exec_lo
	s_delay_alu instid0(VALU_DEP_2)
	v_cmpx_ne_u32_e32 0x80, v16
	s_cbranch_execz .LBB279_425
; %bb.420:                              ;   in Loop: Header=BB279_10 Depth=1
	v_and_b32_e32 v165, 0x7f, v16
	v_mov_b32_e32 v163, 0x7c010000
	s_mov_b32 s19, exec_lo
	s_delay_alu instid0(VALU_DEP_2)
	v_cmpx_ne_u32_e32 0x7f, v165
	s_cbranch_execz .LBB279_424
; %bb.421:                              ;   in Loop: Header=BB279_10 Depth=1
	v_and_b32_e32 v12, 7, v16
	v_lshrrev_b32_e32 v163, 3, v165
	s_mov_b32 s20, exec_lo
	v_cmpx_gt_u32_e32 8, v165
; %bb.422:                              ;   in Loop: Header=BB279_10 Depth=1
	s_delay_alu instid0(VALU_DEP_3) | instskip(NEXT) | instid1(VALU_DEP_1)
	v_clz_i32_u32_e32 v12, v12
	v_min_u32_e32 v12, 32, v12
	s_delay_alu instid0(VALU_DEP_1) | instskip(NEXT) | instid1(VALU_DEP_1)
	v_subrev_nc_u32_e32 v163, 28, v12
	v_lshlrev_b64_e32 v[165:166], v163, v[16:17]
	v_sub_nc_u32_e32 v163, 29, v12
	s_delay_alu instid0(VALU_DEP_2)
	v_and_b32_e32 v12, 7, v165
; %bb.423:                              ;   in Loop: Header=BB279_10 Depth=1
	s_wait_alu 0xfffe
	s_or_b32 exec_lo, exec_lo, s20
	v_lshlrev_b32_e32 v16, 8, v16
	v_lshl_add_u32 v163, v163, 10, 0x2000
	v_lshlrev_b32_e32 v12, 23, v12
	s_delay_alu instid0(VALU_DEP_2) | instskip(NEXT) | instid1(VALU_DEP_1)
	v_and_or_b32 v16, 0x8000, v16, v163
	v_lshl_or_b32 v163, v16, 16, v12
.LBB279_424:                            ;   in Loop: Header=BB279_10 Depth=1
	s_wait_alu 0xfffe
	s_or_b32 exec_lo, exec_lo, s19
.LBB279_425:                            ;   in Loop: Header=BB279_10 Depth=1
	s_wait_alu 0xfffe
	s_or_b32 exec_lo, exec_lo, s18
.LBB279_426:                            ;   in Loop: Header=BB279_10 Depth=1
	s_wait_alu 0xfffe
	s_or_b32 exec_lo, exec_lo, s3
	flat_load_b32 v12, v[20:21] offset:1544
	v_mov_b32_e32 v166, 0
	s_mov_b32 s3, exec_lo
	s_wait_loadcnt_dscnt 0x0
	v_dual_mov_b32 v165, 0 :: v_dual_and_b32 v16, 0xff, v12
	s_delay_alu instid0(VALU_DEP_1)
	v_cmpx_ne_u16_e32 0, v16
	s_cbranch_execz .LBB279_434
; %bb.427:                              ;   in Loop: Header=BB279_10 Depth=1
	v_mov_b32_e32 v166, 0x8000
	s_mov_b32 s18, exec_lo
	v_cmpx_ne_u16_e32 0x80, v16
	s_cbranch_execz .LBB279_433
; %bb.428:                              ;   in Loop: Header=BB279_10 Depth=1
	v_and_b32_e32 v167, 0x7f, v12
	v_mov_b32_e32 v166, 0x7c01
	s_mov_b32 s19, exec_lo
	s_delay_alu instid0(VALU_DEP_2)
	v_cmpx_ne_u32_e32 0x7f, v167
	s_cbranch_execz .LBB279_432
; %bb.429:                              ;   in Loop: Header=BB279_10 Depth=1
	v_and_b32_e32 v16, 7, v12
	v_lshrrev_b32_e32 v166, 3, v167
	s_mov_b32 s20, exec_lo
	v_cmpx_gt_u32_e32 8, v167
; %bb.430:                              ;   in Loop: Header=BB279_10 Depth=1
	s_delay_alu instid0(VALU_DEP_3) | instskip(NEXT) | instid1(VALU_DEP_1)
	v_clz_i32_u32_e32 v16, v16
	v_min_u32_e32 v16, 32, v16
	s_delay_alu instid0(VALU_DEP_1) | instskip(NEXT) | instid1(VALU_DEP_1)
	v_subrev_nc_u32_e32 v166, 28, v16
	v_lshlrev_b64_e32 v[176:177], v166, v[12:13]
	v_sub_nc_u32_e32 v166, 29, v16
	s_delay_alu instid0(VALU_DEP_2)
	v_and_b32_e32 v16, 7, v176
; %bb.431:                              ;   in Loop: Header=BB279_10 Depth=1
	s_wait_alu 0xfffe
	s_or_b32 exec_lo, exec_lo, s20
	v_lshlrev_b32_e32 v167, 8, v12
	v_lshl_add_u32 v166, v166, 10, 0x2000
	v_lshlrev_b32_e32 v16, 7, v16
	s_delay_alu instid0(VALU_DEP_3) | instskip(NEXT) | instid1(VALU_DEP_3)
	v_and_b32_e32 v167, 0x8000, v167
	v_and_b32_e32 v166, 0xfc00, v166
	s_delay_alu instid0(VALU_DEP_1)
	v_or3_b32 v166, v167, v166, v16
.LBB279_432:                            ;   in Loop: Header=BB279_10 Depth=1
	s_wait_alu 0xfffe
	s_or_b32 exec_lo, exec_lo, s19
.LBB279_433:                            ;   in Loop: Header=BB279_10 Depth=1
	s_wait_alu 0xfffe
	s_or_b32 exec_lo, exec_lo, s18
.LBB279_434:                            ;   in Loop: Header=BB279_10 Depth=1
	s_wait_alu 0xfffe
	s_or_b32 exec_lo, exec_lo, s3
	v_lshrrev_b16 v16, 8, v12
	s_mov_b32 s3, exec_lo
	s_delay_alu instid0(VALU_DEP_1)
	v_cmpx_ne_u16_e32 0, v16
	s_cbranch_execz .LBB279_442
; %bb.435:                              ;   in Loop: Header=BB279_10 Depth=1
	v_bfrev_b32_e32 v165, 1
	s_mov_b32 s18, exec_lo
	v_cmpx_ne_u16_e32 0x80, v16
	s_cbranch_execz .LBB279_441
; %bb.436:                              ;   in Loop: Header=BB279_10 Depth=1
	v_and_b32_e32 v167, 0xffff, v16
	v_mov_b32_e32 v165, 0x7c010000
	s_mov_b32 s19, exec_lo
	s_delay_alu instid0(VALU_DEP_2) | instskip(NEXT) | instid1(VALU_DEP_1)
	v_and_b32_e32 v177, 0x7f, v167
	v_cmpx_ne_u32_e32 0x7f, v177
	s_cbranch_execz .LBB279_440
; %bb.437:                              ;   in Loop: Header=BB279_10 Depth=1
	v_and_b32_e32 v165, 7, v167
	v_lshrrev_b32_e32 v176, 3, v177
	s_mov_b32 s20, exec_lo
	v_cmpx_gt_u32_e32 8, v177
; %bb.438:                              ;   in Loop: Header=BB279_10 Depth=1
	s_delay_alu instid0(VALU_DEP_3) | instskip(NEXT) | instid1(VALU_DEP_1)
	v_clz_i32_u32_e32 v165, v165
	v_min_u32_e32 v165, 32, v165
	s_delay_alu instid0(VALU_DEP_1) | instskip(NEXT) | instid1(VALU_DEP_1)
	v_subrev_nc_u32_e32 v176, 28, v165
	v_lshlrev_b64_e32 v[177:178], v176, v[16:17]
	v_sub_nc_u32_e32 v176, 29, v165
	s_delay_alu instid0(VALU_DEP_2)
	v_and_b32_e32 v165, 7, v177
; %bb.439:                              ;   in Loop: Header=BB279_10 Depth=1
	s_wait_alu 0xfffe
	s_or_b32 exec_lo, exec_lo, s20
	v_lshlrev_b32_e32 v16, 8, v167
	v_lshl_add_u32 v167, v176, 10, 0x2000
	v_lshlrev_b32_e32 v165, 23, v165
	s_delay_alu instid0(VALU_DEP_2) | instskip(NEXT) | instid1(VALU_DEP_1)
	v_and_or_b32 v16, 0x8000, v16, v167
	v_lshl_or_b32 v165, v16, 16, v165
.LBB279_440:                            ;   in Loop: Header=BB279_10 Depth=1
	s_wait_alu 0xfffe
	s_or_b32 exec_lo, exec_lo, s19
.LBB279_441:                            ;   in Loop: Header=BB279_10 Depth=1
	s_wait_alu 0xfffe
	s_or_b32 exec_lo, exec_lo, s18
.LBB279_442:                            ;   in Loop: Header=BB279_10 Depth=1
	s_wait_alu 0xfffe
	s_or_b32 exec_lo, exec_lo, s3
	v_lshrrev_b32_e32 v16, 16, v12
	v_mov_b32_e32 v167, 0
	s_mov_b32 s3, exec_lo
	s_delay_alu instid0(VALU_DEP_2) | instskip(NEXT) | instid1(VALU_DEP_1)
	v_dual_mov_b32 v176, 0 :: v_dual_and_b32 v177, 0xff, v16
	v_cmpx_ne_u16_e64 0, v177
	s_cbranch_execz .LBB279_450
; %bb.443:                              ;   in Loop: Header=BB279_10 Depth=1
	v_mov_b32_e32 v176, 0x8000
	s_mov_b32 s18, exec_lo
	v_cmpx_ne_u16_e64 0x80, v177
	s_cbranch_execz .LBB279_449
; %bb.444:                              ;   in Loop: Header=BB279_10 Depth=1
	v_bfe_u32 v178, v12, 16, 7
	v_mov_b32_e32 v176, 0x7c01
	s_mov_b32 s19, exec_lo
	s_delay_alu instid0(VALU_DEP_2)
	v_cmpx_ne_u32_e32 0x7f, v178
	s_cbranch_execz .LBB279_448
; %bb.445:                              ;   in Loop: Header=BB279_10 Depth=1
	v_and_b32_e32 v176, 7, v16
	v_lshrrev_b32_e32 v177, 3, v178
	s_mov_b32 s20, exec_lo
	v_cmpx_gt_u32_e32 8, v178
; %bb.446:                              ;   in Loop: Header=BB279_10 Depth=1
	s_delay_alu instid0(VALU_DEP_3) | instskip(NEXT) | instid1(VALU_DEP_1)
	v_clz_i32_u32_e32 v176, v176
	v_min_u32_e32 v178, 32, v176
	s_delay_alu instid0(VALU_DEP_1) | instskip(NEXT) | instid1(VALU_DEP_1)
	v_subrev_nc_u32_e32 v176, 28, v178
	v_lshlrev_b64_e32 v[176:177], v176, v[16:17]
	v_sub_nc_u32_e32 v177, 29, v178
	s_delay_alu instid0(VALU_DEP_2)
	v_and_b32_e32 v176, 7, v176
; %bb.447:                              ;   in Loop: Header=BB279_10 Depth=1
	s_wait_alu 0xfffe
	s_or_b32 exec_lo, exec_lo, s20
	v_lshlrev_b32_e32 v16, 8, v16
	v_lshl_add_u32 v177, v177, 10, 0x2000
	v_lshlrev_b32_e32 v176, 7, v176
	s_delay_alu instid0(VALU_DEP_3) | instskip(NEXT) | instid1(VALU_DEP_3)
	v_and_b32_e32 v16, 0x8000, v16
	v_and_b32_e32 v177, 0xfc00, v177
	s_delay_alu instid0(VALU_DEP_1)
	v_or3_b32 v176, v16, v177, v176
.LBB279_448:                            ;   in Loop: Header=BB279_10 Depth=1
	s_wait_alu 0xfffe
	s_or_b32 exec_lo, exec_lo, s19
.LBB279_449:                            ;   in Loop: Header=BB279_10 Depth=1
	s_wait_alu 0xfffe
	s_or_b32 exec_lo, exec_lo, s18
.LBB279_450:                            ;   in Loop: Header=BB279_10 Depth=1
	s_wait_alu 0xfffe
	s_or_b32 exec_lo, exec_lo, s3
	s_delay_alu instid0(SALU_CYCLE_1)
	s_mov_b32 s3, exec_lo
	v_cmpx_lt_u32_e32 0xffffff, v12
	s_cbranch_execz .LBB279_458
; %bb.451:                              ;   in Loop: Header=BB279_10 Depth=1
	v_lshrrev_b32_e32 v16, 24, v12
	v_bfrev_b32_e32 v167, 1
	s_mov_b32 s18, exec_lo
	s_delay_alu instid0(VALU_DEP_2)
	v_cmpx_ne_u32_e32 0x80, v16
	s_cbranch_execz .LBB279_457
; %bb.452:                              ;   in Loop: Header=BB279_10 Depth=1
	v_and_b32_e32 v177, 0x7f, v16
	v_mov_b32_e32 v167, 0x7c010000
	s_mov_b32 s19, exec_lo
	s_delay_alu instid0(VALU_DEP_2)
	v_cmpx_ne_u32_e32 0x7f, v177
	s_cbranch_execz .LBB279_456
; %bb.453:                              ;   in Loop: Header=BB279_10 Depth=1
	v_and_b32_e32 v12, 7, v16
	v_lshrrev_b32_e32 v167, 3, v177
	s_mov_b32 s20, exec_lo
	v_cmpx_gt_u32_e32 8, v177
; %bb.454:                              ;   in Loop: Header=BB279_10 Depth=1
	s_delay_alu instid0(VALU_DEP_3) | instskip(NEXT) | instid1(VALU_DEP_1)
	v_clz_i32_u32_e32 v12, v12
	v_min_u32_e32 v12, 32, v12
	s_delay_alu instid0(VALU_DEP_1) | instskip(NEXT) | instid1(VALU_DEP_1)
	v_subrev_nc_u32_e32 v167, 28, v12
	v_lshlrev_b64_e32 v[177:178], v167, v[16:17]
	v_sub_nc_u32_e32 v167, 29, v12
	s_delay_alu instid0(VALU_DEP_2)
	v_and_b32_e32 v12, 7, v177
; %bb.455:                              ;   in Loop: Header=BB279_10 Depth=1
	s_wait_alu 0xfffe
	s_or_b32 exec_lo, exec_lo, s20
	v_lshlrev_b32_e32 v16, 8, v16
	v_lshl_add_u32 v167, v167, 10, 0x2000
	v_lshlrev_b32_e32 v12, 23, v12
	s_delay_alu instid0(VALU_DEP_2) | instskip(NEXT) | instid1(VALU_DEP_1)
	v_and_or_b32 v16, 0x8000, v16, v167
	v_lshl_or_b32 v167, v16, 16, v12
.LBB279_456:                            ;   in Loop: Header=BB279_10 Depth=1
	s_wait_alu 0xfffe
	s_or_b32 exec_lo, exec_lo, s19
.LBB279_457:                            ;   in Loop: Header=BB279_10 Depth=1
	s_wait_alu 0xfffe
	s_or_b32 exec_lo, exec_lo, s18
.LBB279_458:                            ;   in Loop: Header=BB279_10 Depth=1
	s_wait_alu 0xfffe
	s_or_b32 exec_lo, exec_lo, s3
	flat_load_b32 v12, v[20:21] offset:1792
	v_mov_b32_e32 v178, 0
	s_mov_b32 s3, exec_lo
	s_wait_loadcnt_dscnt 0x0
	v_dual_mov_b32 v177, 0 :: v_dual_and_b32 v16, 0xff, v12
	s_delay_alu instid0(VALU_DEP_1)
	v_cmpx_ne_u16_e32 0, v16
	s_cbranch_execz .LBB279_466
; %bb.459:                              ;   in Loop: Header=BB279_10 Depth=1
	v_mov_b32_e32 v178, 0x8000
	s_mov_b32 s18, exec_lo
	v_cmpx_ne_u16_e32 0x80, v16
	s_cbranch_execz .LBB279_465
; %bb.460:                              ;   in Loop: Header=BB279_10 Depth=1
	v_and_b32_e32 v179, 0x7f, v12
	v_mov_b32_e32 v178, 0x7c01
	s_mov_b32 s19, exec_lo
	s_delay_alu instid0(VALU_DEP_2)
	v_cmpx_ne_u32_e32 0x7f, v179
	s_cbranch_execz .LBB279_464
; %bb.461:                              ;   in Loop: Header=BB279_10 Depth=1
	v_and_b32_e32 v16, 7, v12
	v_lshrrev_b32_e32 v178, 3, v179
	s_mov_b32 s20, exec_lo
	v_cmpx_gt_u32_e32 8, v179
; %bb.462:                              ;   in Loop: Header=BB279_10 Depth=1
	s_delay_alu instid0(VALU_DEP_3) | instskip(NEXT) | instid1(VALU_DEP_1)
	v_clz_i32_u32_e32 v16, v16
	v_min_u32_e32 v16, 32, v16
	s_delay_alu instid0(VALU_DEP_1) | instskip(NEXT) | instid1(VALU_DEP_1)
	v_subrev_nc_u32_e32 v178, 28, v16
	v_lshlrev_b64_e32 v[179:180], v178, v[12:13]
	v_sub_nc_u32_e32 v178, 29, v16
	s_delay_alu instid0(VALU_DEP_2)
	v_and_b32_e32 v16, 7, v179
; %bb.463:                              ;   in Loop: Header=BB279_10 Depth=1
	s_wait_alu 0xfffe
	s_or_b32 exec_lo, exec_lo, s20
	v_lshlrev_b32_e32 v179, 8, v12
	v_lshl_add_u32 v178, v178, 10, 0x2000
	v_lshlrev_b32_e32 v16, 7, v16
	s_delay_alu instid0(VALU_DEP_3) | instskip(NEXT) | instid1(VALU_DEP_3)
	v_and_b32_e32 v179, 0x8000, v179
	v_and_b32_e32 v178, 0xfc00, v178
	s_delay_alu instid0(VALU_DEP_1)
	v_or3_b32 v178, v179, v178, v16
.LBB279_464:                            ;   in Loop: Header=BB279_10 Depth=1
	s_wait_alu 0xfffe
	s_or_b32 exec_lo, exec_lo, s19
.LBB279_465:                            ;   in Loop: Header=BB279_10 Depth=1
	s_wait_alu 0xfffe
	s_or_b32 exec_lo, exec_lo, s18
.LBB279_466:                            ;   in Loop: Header=BB279_10 Depth=1
	s_wait_alu 0xfffe
	s_or_b32 exec_lo, exec_lo, s3
	v_lshrrev_b16 v16, 8, v12
	s_mov_b32 s3, exec_lo
	s_delay_alu instid0(VALU_DEP_1)
	v_cmpx_ne_u16_e32 0, v16
	s_cbranch_execz .LBB279_474
; %bb.467:                              ;   in Loop: Header=BB279_10 Depth=1
	v_bfrev_b32_e32 v177, 1
	s_mov_b32 s18, exec_lo
	v_cmpx_ne_u16_e32 0x80, v16
	s_cbranch_execz .LBB279_473
; %bb.468:                              ;   in Loop: Header=BB279_10 Depth=1
	v_and_b32_e32 v179, 0xffff, v16
	v_mov_b32_e32 v177, 0x7c010000
	s_mov_b32 s19, exec_lo
	s_delay_alu instid0(VALU_DEP_2) | instskip(NEXT) | instid1(VALU_DEP_1)
	v_and_b32_e32 v181, 0x7f, v179
	v_cmpx_ne_u32_e32 0x7f, v181
	s_cbranch_execz .LBB279_472
; %bb.469:                              ;   in Loop: Header=BB279_10 Depth=1
	v_and_b32_e32 v177, 7, v179
	v_lshrrev_b32_e32 v180, 3, v181
	s_mov_b32 s20, exec_lo
	v_cmpx_gt_u32_e32 8, v181
; %bb.470:                              ;   in Loop: Header=BB279_10 Depth=1
	s_delay_alu instid0(VALU_DEP_3) | instskip(NEXT) | instid1(VALU_DEP_1)
	v_clz_i32_u32_e32 v177, v177
	v_min_u32_e32 v177, 32, v177
	s_delay_alu instid0(VALU_DEP_1) | instskip(NEXT) | instid1(VALU_DEP_1)
	v_subrev_nc_u32_e32 v180, 28, v177
	v_lshlrev_b64_e32 v[181:182], v180, v[16:17]
	v_sub_nc_u32_e32 v180, 29, v177
	s_delay_alu instid0(VALU_DEP_2)
	v_and_b32_e32 v177, 7, v181
; %bb.471:                              ;   in Loop: Header=BB279_10 Depth=1
	s_wait_alu 0xfffe
	s_or_b32 exec_lo, exec_lo, s20
	v_lshlrev_b32_e32 v16, 8, v179
	v_lshl_add_u32 v179, v180, 10, 0x2000
	v_lshlrev_b32_e32 v177, 23, v177
	s_delay_alu instid0(VALU_DEP_2) | instskip(NEXT) | instid1(VALU_DEP_1)
	v_and_or_b32 v16, 0x8000, v16, v179
	v_lshl_or_b32 v177, v16, 16, v177
.LBB279_472:                            ;   in Loop: Header=BB279_10 Depth=1
	s_wait_alu 0xfffe
	s_or_b32 exec_lo, exec_lo, s19
.LBB279_473:                            ;   in Loop: Header=BB279_10 Depth=1
	s_wait_alu 0xfffe
	s_or_b32 exec_lo, exec_lo, s18
.LBB279_474:                            ;   in Loop: Header=BB279_10 Depth=1
	s_wait_alu 0xfffe
	s_or_b32 exec_lo, exec_lo, s3
	v_lshrrev_b32_e32 v16, 16, v12
	v_mov_b32_e32 v179, 0
	s_mov_b32 s3, exec_lo
	s_delay_alu instid0(VALU_DEP_2) | instskip(NEXT) | instid1(VALU_DEP_1)
	v_dual_mov_b32 v180, 0 :: v_dual_and_b32 v181, 0xff, v16
	v_cmpx_ne_u16_e64 0, v181
	s_cbranch_execz .LBB279_482
; %bb.475:                              ;   in Loop: Header=BB279_10 Depth=1
	v_mov_b32_e32 v180, 0x8000
	s_mov_b32 s18, exec_lo
	v_cmpx_ne_u16_e64 0x80, v181
	s_cbranch_execz .LBB279_481
; %bb.476:                              ;   in Loop: Header=BB279_10 Depth=1
	v_bfe_u32 v182, v12, 16, 7
	v_mov_b32_e32 v180, 0x7c01
	s_mov_b32 s19, exec_lo
	s_delay_alu instid0(VALU_DEP_2)
	v_cmpx_ne_u32_e32 0x7f, v182
	s_cbranch_execz .LBB279_480
; %bb.477:                              ;   in Loop: Header=BB279_10 Depth=1
	v_and_b32_e32 v180, 7, v16
	v_lshrrev_b32_e32 v181, 3, v182
	s_mov_b32 s20, exec_lo
	v_cmpx_gt_u32_e32 8, v182
; %bb.478:                              ;   in Loop: Header=BB279_10 Depth=1
	s_delay_alu instid0(VALU_DEP_3) | instskip(NEXT) | instid1(VALU_DEP_1)
	v_clz_i32_u32_e32 v180, v180
	v_min_u32_e32 v182, 32, v180
	s_delay_alu instid0(VALU_DEP_1) | instskip(NEXT) | instid1(VALU_DEP_1)
	v_subrev_nc_u32_e32 v180, 28, v182
	v_lshlrev_b64_e32 v[180:181], v180, v[16:17]
	v_sub_nc_u32_e32 v181, 29, v182
	s_delay_alu instid0(VALU_DEP_2)
	v_and_b32_e32 v180, 7, v180
; %bb.479:                              ;   in Loop: Header=BB279_10 Depth=1
	s_wait_alu 0xfffe
	s_or_b32 exec_lo, exec_lo, s20
	v_lshlrev_b32_e32 v16, 8, v16
	v_lshl_add_u32 v181, v181, 10, 0x2000
	v_lshlrev_b32_e32 v180, 7, v180
	s_delay_alu instid0(VALU_DEP_3) | instskip(NEXT) | instid1(VALU_DEP_3)
	v_and_b32_e32 v16, 0x8000, v16
	v_and_b32_e32 v181, 0xfc00, v181
	s_delay_alu instid0(VALU_DEP_1)
	v_or3_b32 v180, v16, v181, v180
.LBB279_480:                            ;   in Loop: Header=BB279_10 Depth=1
	s_wait_alu 0xfffe
	s_or_b32 exec_lo, exec_lo, s19
.LBB279_481:                            ;   in Loop: Header=BB279_10 Depth=1
	s_wait_alu 0xfffe
	s_or_b32 exec_lo, exec_lo, s18
.LBB279_482:                            ;   in Loop: Header=BB279_10 Depth=1
	s_wait_alu 0xfffe
	s_or_b32 exec_lo, exec_lo, s3
	s_delay_alu instid0(SALU_CYCLE_1)
	s_mov_b32 s3, exec_lo
	v_cmpx_lt_u32_e32 0xffffff, v12
	s_cbranch_execz .LBB279_490
; %bb.483:                              ;   in Loop: Header=BB279_10 Depth=1
	v_lshrrev_b32_e32 v16, 24, v12
	v_bfrev_b32_e32 v179, 1
	s_mov_b32 s18, exec_lo
	s_delay_alu instid0(VALU_DEP_2)
	v_cmpx_ne_u32_e32 0x80, v16
	s_cbranch_execz .LBB279_489
; %bb.484:                              ;   in Loop: Header=BB279_10 Depth=1
	v_and_b32_e32 v181, 0x7f, v16
	v_mov_b32_e32 v179, 0x7c010000
	s_mov_b32 s19, exec_lo
	s_delay_alu instid0(VALU_DEP_2)
	v_cmpx_ne_u32_e32 0x7f, v181
	s_cbranch_execz .LBB279_488
; %bb.485:                              ;   in Loop: Header=BB279_10 Depth=1
	v_and_b32_e32 v12, 7, v16
	v_lshrrev_b32_e32 v179, 3, v181
	s_mov_b32 s20, exec_lo
	v_cmpx_gt_u32_e32 8, v181
; %bb.486:                              ;   in Loop: Header=BB279_10 Depth=1
	s_delay_alu instid0(VALU_DEP_3) | instskip(NEXT) | instid1(VALU_DEP_1)
	v_clz_i32_u32_e32 v12, v12
	v_min_u32_e32 v12, 32, v12
	s_delay_alu instid0(VALU_DEP_1) | instskip(NEXT) | instid1(VALU_DEP_1)
	v_subrev_nc_u32_e32 v179, 28, v12
	v_lshlrev_b64_e32 v[181:182], v179, v[16:17]
	v_sub_nc_u32_e32 v179, 29, v12
	s_delay_alu instid0(VALU_DEP_2)
	v_and_b32_e32 v12, 7, v181
; %bb.487:                              ;   in Loop: Header=BB279_10 Depth=1
	s_wait_alu 0xfffe
	s_or_b32 exec_lo, exec_lo, s20
	v_lshlrev_b32_e32 v16, 8, v16
	v_lshl_add_u32 v179, v179, 10, 0x2000
	v_lshlrev_b32_e32 v12, 23, v12
	s_delay_alu instid0(VALU_DEP_2) | instskip(NEXT) | instid1(VALU_DEP_1)
	v_and_or_b32 v16, 0x8000, v16, v179
	v_lshl_or_b32 v179, v16, 16, v12
.LBB279_488:                            ;   in Loop: Header=BB279_10 Depth=1
	s_wait_alu 0xfffe
	s_or_b32 exec_lo, exec_lo, s19
.LBB279_489:                            ;   in Loop: Header=BB279_10 Depth=1
	s_wait_alu 0xfffe
	s_or_b32 exec_lo, exec_lo, s18
.LBB279_490:                            ;   in Loop: Header=BB279_10 Depth=1
	s_wait_alu 0xfffe
	s_or_b32 exec_lo, exec_lo, s3
	flat_load_b32 v12, v[20:21] offset:1800
	v_mov_b32_e32 v182, 0
	s_mov_b32 s3, exec_lo
	s_wait_loadcnt_dscnt 0x0
	v_dual_mov_b32 v181, 0 :: v_dual_and_b32 v16, 0xff, v12
	s_delay_alu instid0(VALU_DEP_1)
	v_cmpx_ne_u16_e32 0, v16
	s_cbranch_execz .LBB279_498
; %bb.491:                              ;   in Loop: Header=BB279_10 Depth=1
	v_mov_b32_e32 v182, 0x8000
	s_mov_b32 s18, exec_lo
	v_cmpx_ne_u16_e32 0x80, v16
	s_cbranch_execz .LBB279_497
; %bb.492:                              ;   in Loop: Header=BB279_10 Depth=1
	v_and_b32_e32 v183, 0x7f, v12
	v_mov_b32_e32 v182, 0x7c01
	s_mov_b32 s19, exec_lo
	s_delay_alu instid0(VALU_DEP_2)
	v_cmpx_ne_u32_e32 0x7f, v183
	s_cbranch_execz .LBB279_496
; %bb.493:                              ;   in Loop: Header=BB279_10 Depth=1
	v_and_b32_e32 v16, 7, v12
	v_lshrrev_b32_e32 v182, 3, v183
	s_mov_b32 s20, exec_lo
	v_cmpx_gt_u32_e32 8, v183
; %bb.494:                              ;   in Loop: Header=BB279_10 Depth=1
	s_delay_alu instid0(VALU_DEP_3) | instskip(NEXT) | instid1(VALU_DEP_1)
	v_clz_i32_u32_e32 v16, v16
	v_min_u32_e32 v16, 32, v16
	s_delay_alu instid0(VALU_DEP_1) | instskip(NEXT) | instid1(VALU_DEP_1)
	v_subrev_nc_u32_e32 v182, 28, v16
	v_lshlrev_b64_e32 v[40:41], v182, v[12:13]
	v_sub_nc_u32_e32 v182, 29, v16
	s_delay_alu instid0(VALU_DEP_2)
	v_and_b32_e32 v16, 7, v40
; %bb.495:                              ;   in Loop: Header=BB279_10 Depth=1
	s_wait_alu 0xfffe
	s_or_b32 exec_lo, exec_lo, s20
	v_lshlrev_b32_e32 v183, 8, v12
	v_lshl_add_u32 v182, v182, 10, 0x2000
	v_lshlrev_b32_e32 v16, 7, v16
	s_delay_alu instid0(VALU_DEP_3) | instskip(NEXT) | instid1(VALU_DEP_3)
	v_and_b32_e32 v183, 0x8000, v183
	v_and_b32_e32 v182, 0xfc00, v182
	s_delay_alu instid0(VALU_DEP_1)
	v_or3_b32 v182, v183, v182, v16
.LBB279_496:                            ;   in Loop: Header=BB279_10 Depth=1
	s_wait_alu 0xfffe
	s_or_b32 exec_lo, exec_lo, s19
.LBB279_497:                            ;   in Loop: Header=BB279_10 Depth=1
	s_wait_alu 0xfffe
	s_or_b32 exec_lo, exec_lo, s18
.LBB279_498:                            ;   in Loop: Header=BB279_10 Depth=1
	s_wait_alu 0xfffe
	s_or_b32 exec_lo, exec_lo, s3
	v_lshrrev_b16 v16, 8, v12
	s_mov_b32 s3, exec_lo
	s_delay_alu instid0(VALU_DEP_1)
	v_cmpx_ne_u16_e32 0, v16
	s_cbranch_execz .LBB279_506
; %bb.499:                              ;   in Loop: Header=BB279_10 Depth=1
	v_bfrev_b32_e32 v181, 1
	s_mov_b32 s18, exec_lo
	v_cmpx_ne_u16_e32 0x80, v16
	s_cbranch_execz .LBB279_505
; %bb.500:                              ;   in Loop: Header=BB279_10 Depth=1
	v_and_b32_e32 v183, 0xffff, v16
	v_mov_b32_e32 v181, 0x7c010000
	s_mov_b32 s19, exec_lo
	s_delay_alu instid0(VALU_DEP_2) | instskip(NEXT) | instid1(VALU_DEP_1)
	v_and_b32_e32 v41, 0x7f, v183
	v_cmpx_ne_u32_e32 0x7f, v41
	s_cbranch_execz .LBB279_504
; %bb.501:                              ;   in Loop: Header=BB279_10 Depth=1
	v_and_b32_e32 v181, 7, v183
	v_lshrrev_b32_e32 v40, 3, v41
	s_mov_b32 s20, exec_lo
	v_cmpx_gt_u32_e32 8, v41
; %bb.502:                              ;   in Loop: Header=BB279_10 Depth=1
	s_delay_alu instid0(VALU_DEP_3) | instskip(NEXT) | instid1(VALU_DEP_1)
	v_clz_i32_u32_e32 v181, v181
	v_min_u32_e32 v181, 32, v181
	s_delay_alu instid0(VALU_DEP_1) | instskip(NEXT) | instid1(VALU_DEP_1)
	v_subrev_nc_u32_e32 v40, 28, v181
	v_lshlrev_b64_e32 v[41:42], v40, v[16:17]
	v_sub_nc_u32_e32 v40, 29, v181
	s_delay_alu instid0(VALU_DEP_2)
	v_and_b32_e32 v181, 7, v41
; %bb.503:                              ;   in Loop: Header=BB279_10 Depth=1
	s_wait_alu 0xfffe
	s_or_b32 exec_lo, exec_lo, s20
	v_lshlrev_b32_e32 v16, 8, v183
	v_lshl_add_u32 v183, v40, 10, 0x2000
	v_lshlrev_b32_e32 v181, 23, v181
	s_delay_alu instid0(VALU_DEP_2) | instskip(NEXT) | instid1(VALU_DEP_1)
	v_and_or_b32 v16, 0x8000, v16, v183
	v_lshl_or_b32 v181, v16, 16, v181
.LBB279_504:                            ;   in Loop: Header=BB279_10 Depth=1
	s_wait_alu 0xfffe
	s_or_b32 exec_lo, exec_lo, s19
.LBB279_505:                            ;   in Loop: Header=BB279_10 Depth=1
	s_wait_alu 0xfffe
	s_or_b32 exec_lo, exec_lo, s18
.LBB279_506:                            ;   in Loop: Header=BB279_10 Depth=1
	s_wait_alu 0xfffe
	s_or_b32 exec_lo, exec_lo, s3
	v_lshrrev_b32_e32 v16, 16, v12
	v_mov_b32_e32 v183, 0
	s_mov_b32 s3, exec_lo
	s_delay_alu instid0(VALU_DEP_2) | instskip(NEXT) | instid1(VALU_DEP_1)
	v_dual_mov_b32 v40, 0 :: v_dual_and_b32 v41, 0xff, v16
	v_cmpx_ne_u16_e32 0, v41
	s_cbranch_execz .LBB279_514
; %bb.507:                              ;   in Loop: Header=BB279_10 Depth=1
	v_mov_b32_e32 v40, 0x8000
	s_mov_b32 s18, exec_lo
	v_cmpx_ne_u16_e32 0x80, v41
	s_cbranch_execz .LBB279_513
; %bb.508:                              ;   in Loop: Header=BB279_10 Depth=1
	v_bfe_u32 v42, v12, 16, 7
	v_mov_b32_e32 v40, 0x7c01
	s_mov_b32 s19, exec_lo
	s_delay_alu instid0(VALU_DEP_2)
	v_cmpx_ne_u32_e32 0x7f, v42
	s_cbranch_execz .LBB279_512
; %bb.509:                              ;   in Loop: Header=BB279_10 Depth=1
	v_and_b32_e32 v40, 7, v16
	v_lshrrev_b32_e32 v41, 3, v42
	s_mov_b32 s20, exec_lo
	v_cmpx_gt_u32_e32 8, v42
; %bb.510:                              ;   in Loop: Header=BB279_10 Depth=1
	s_delay_alu instid0(VALU_DEP_3) | instskip(NEXT) | instid1(VALU_DEP_1)
	v_clz_i32_u32_e32 v40, v40
	v_min_u32_e32 v42, 32, v40
	s_delay_alu instid0(VALU_DEP_1) | instskip(NEXT) | instid1(VALU_DEP_1)
	v_subrev_nc_u32_e32 v40, 28, v42
	v_lshlrev_b64_e32 v[40:41], v40, v[16:17]
	v_sub_nc_u32_e32 v41, 29, v42
	s_delay_alu instid0(VALU_DEP_2)
	v_and_b32_e32 v40, 7, v40
; %bb.511:                              ;   in Loop: Header=BB279_10 Depth=1
	s_wait_alu 0xfffe
	s_or_b32 exec_lo, exec_lo, s20
	v_lshlrev_b32_e32 v16, 8, v16
	v_lshl_add_u32 v41, v41, 10, 0x2000
	v_lshlrev_b32_e32 v40, 7, v40
	s_delay_alu instid0(VALU_DEP_3) | instskip(NEXT) | instid1(VALU_DEP_3)
	v_and_b32_e32 v16, 0x8000, v16
	v_and_b32_e32 v41, 0xfc00, v41
	s_delay_alu instid0(VALU_DEP_1)
	v_or3_b32 v40, v16, v41, v40
.LBB279_512:                            ;   in Loop: Header=BB279_10 Depth=1
	s_wait_alu 0xfffe
	s_or_b32 exec_lo, exec_lo, s19
.LBB279_513:                            ;   in Loop: Header=BB279_10 Depth=1
	s_wait_alu 0xfffe
	s_or_b32 exec_lo, exec_lo, s18
.LBB279_514:                            ;   in Loop: Header=BB279_10 Depth=1
	s_wait_alu 0xfffe
	s_or_b32 exec_lo, exec_lo, s3
	s_delay_alu instid0(SALU_CYCLE_1)
	s_mov_b32 s3, exec_lo
	v_cmpx_lt_u32_e32 0xffffff, v12
	s_cbranch_execz .LBB279_522
; %bb.515:                              ;   in Loop: Header=BB279_10 Depth=1
	v_lshrrev_b32_e32 v16, 24, v12
	v_bfrev_b32_e32 v183, 1
	s_mov_b32 s18, exec_lo
	s_delay_alu instid0(VALU_DEP_2)
	v_cmpx_ne_u32_e32 0x80, v16
	s_cbranch_execz .LBB279_521
; %bb.516:                              ;   in Loop: Header=BB279_10 Depth=1
	v_and_b32_e32 v41, 0x7f, v16
	v_mov_b32_e32 v183, 0x7c010000
	s_mov_b32 s19, exec_lo
	s_delay_alu instid0(VALU_DEP_2)
	v_cmpx_ne_u32_e32 0x7f, v41
	s_cbranch_execz .LBB279_520
; %bb.517:                              ;   in Loop: Header=BB279_10 Depth=1
	v_and_b32_e32 v12, 7, v16
	v_lshrrev_b32_e32 v183, 3, v41
	s_mov_b32 s20, exec_lo
	v_cmpx_gt_u32_e32 8, v41
; %bb.518:                              ;   in Loop: Header=BB279_10 Depth=1
	s_delay_alu instid0(VALU_DEP_3) | instskip(NEXT) | instid1(VALU_DEP_1)
	v_clz_i32_u32_e32 v12, v12
	v_min_u32_e32 v12, 32, v12
	s_delay_alu instid0(VALU_DEP_1) | instskip(NEXT) | instid1(VALU_DEP_1)
	v_subrev_nc_u32_e32 v183, 28, v12
	v_lshlrev_b64_e32 v[41:42], v183, v[16:17]
	v_sub_nc_u32_e32 v183, 29, v12
	s_delay_alu instid0(VALU_DEP_2)
	v_and_b32_e32 v12, 7, v41
; %bb.519:                              ;   in Loop: Header=BB279_10 Depth=1
	s_wait_alu 0xfffe
	s_or_b32 exec_lo, exec_lo, s20
	v_lshlrev_b32_e32 v16, 8, v16
	v_lshl_add_u32 v183, v183, 10, 0x2000
	v_lshlrev_b32_e32 v12, 23, v12
	s_delay_alu instid0(VALU_DEP_2) | instskip(NEXT) | instid1(VALU_DEP_1)
	v_and_or_b32 v16, 0x8000, v16, v183
	v_lshl_or_b32 v183, v16, 16, v12
.LBB279_520:                            ;   in Loop: Header=BB279_10 Depth=1
	s_wait_alu 0xfffe
	s_or_b32 exec_lo, exec_lo, s19
.LBB279_521:                            ;   in Loop: Header=BB279_10 Depth=1
	s_wait_alu 0xfffe
	s_or_b32 exec_lo, exec_lo, s18
.LBB279_522:                            ;   in Loop: Header=BB279_10 Depth=1
	s_wait_alu 0xfffe
	s_or_b32 exec_lo, exec_lo, s3
	flat_load_b32 v12, v[20:21] offset:2048
	v_mov_b32_e32 v42, 0
	s_mov_b32 s3, exec_lo
	s_wait_loadcnt_dscnt 0x0
	v_dual_mov_b32 v41, 0 :: v_dual_and_b32 v16, 0xff, v12
	s_delay_alu instid0(VALU_DEP_1)
	v_cmpx_ne_u16_e32 0, v16
	s_cbranch_execz .LBB279_530
; %bb.523:                              ;   in Loop: Header=BB279_10 Depth=1
	v_mov_b32_e32 v42, 0x8000
	s_mov_b32 s18, exec_lo
	v_cmpx_ne_u16_e32 0x80, v16
	s_cbranch_execz .LBB279_529
; %bb.524:                              ;   in Loop: Header=BB279_10 Depth=1
	v_and_b32_e32 v43, 0x7f, v12
	v_mov_b32_e32 v42, 0x7c01
	s_mov_b32 s19, exec_lo
	s_delay_alu instid0(VALU_DEP_2)
	v_cmpx_ne_u32_e32 0x7f, v43
	s_cbranch_execz .LBB279_528
; %bb.525:                              ;   in Loop: Header=BB279_10 Depth=1
	v_and_b32_e32 v16, 7, v12
	v_lshrrev_b32_e32 v42, 3, v43
	s_mov_b32 s20, exec_lo
	v_cmpx_gt_u32_e32 8, v43
; %bb.526:                              ;   in Loop: Header=BB279_10 Depth=1
	s_delay_alu instid0(VALU_DEP_3) | instskip(NEXT) | instid1(VALU_DEP_1)
	v_clz_i32_u32_e32 v16, v16
	v_min_u32_e32 v16, 32, v16
	s_delay_alu instid0(VALU_DEP_1) | instskip(NEXT) | instid1(VALU_DEP_1)
	v_subrev_nc_u32_e32 v42, 28, v16
	v_lshlrev_b64_e32 v[43:44], v42, v[12:13]
	v_sub_nc_u32_e32 v42, 29, v16
	s_delay_alu instid0(VALU_DEP_2)
	v_and_b32_e32 v16, 7, v43
; %bb.527:                              ;   in Loop: Header=BB279_10 Depth=1
	s_wait_alu 0xfffe
	s_or_b32 exec_lo, exec_lo, s20
	v_lshlrev_b32_e32 v43, 8, v12
	v_lshl_add_u32 v42, v42, 10, 0x2000
	v_lshlrev_b32_e32 v16, 7, v16
	s_delay_alu instid0(VALU_DEP_3) | instskip(NEXT) | instid1(VALU_DEP_3)
	v_and_b32_e32 v43, 0x8000, v43
	v_and_b32_e32 v42, 0xfc00, v42
	s_delay_alu instid0(VALU_DEP_1)
	v_or3_b32 v42, v43, v42, v16
.LBB279_528:                            ;   in Loop: Header=BB279_10 Depth=1
	s_wait_alu 0xfffe
	s_or_b32 exec_lo, exec_lo, s19
.LBB279_529:                            ;   in Loop: Header=BB279_10 Depth=1
	s_wait_alu 0xfffe
	s_or_b32 exec_lo, exec_lo, s18
.LBB279_530:                            ;   in Loop: Header=BB279_10 Depth=1
	s_wait_alu 0xfffe
	s_or_b32 exec_lo, exec_lo, s3
	v_lshrrev_b16 v16, 8, v12
	s_mov_b32 s3, exec_lo
	s_delay_alu instid0(VALU_DEP_1)
	v_cmpx_ne_u16_e32 0, v16
	s_cbranch_execz .LBB279_538
; %bb.531:                              ;   in Loop: Header=BB279_10 Depth=1
	v_bfrev_b32_e32 v41, 1
	s_mov_b32 s18, exec_lo
	v_cmpx_ne_u16_e32 0x80, v16
	s_cbranch_execz .LBB279_537
; %bb.532:                              ;   in Loop: Header=BB279_10 Depth=1
	v_and_b32_e32 v43, 0xffff, v16
	v_mov_b32_e32 v41, 0x7c010000
	s_mov_b32 s19, exec_lo
	s_delay_alu instid0(VALU_DEP_2) | instskip(NEXT) | instid1(VALU_DEP_1)
	v_and_b32_e32 v45, 0x7f, v43
	v_cmpx_ne_u32_e32 0x7f, v45
	s_cbranch_execz .LBB279_536
; %bb.533:                              ;   in Loop: Header=BB279_10 Depth=1
	v_and_b32_e32 v41, 7, v43
	v_lshrrev_b32_e32 v44, 3, v45
	s_mov_b32 s20, exec_lo
	v_cmpx_gt_u32_e32 8, v45
; %bb.534:                              ;   in Loop: Header=BB279_10 Depth=1
	s_delay_alu instid0(VALU_DEP_3) | instskip(NEXT) | instid1(VALU_DEP_1)
	v_clz_i32_u32_e32 v41, v41
	v_min_u32_e32 v41, 32, v41
	s_delay_alu instid0(VALU_DEP_1) | instskip(NEXT) | instid1(VALU_DEP_1)
	v_subrev_nc_u32_e32 v44, 28, v41
	v_lshlrev_b64_e32 v[45:46], v44, v[16:17]
	v_sub_nc_u32_e32 v44, 29, v41
	s_delay_alu instid0(VALU_DEP_2)
	v_and_b32_e32 v41, 7, v45
; %bb.535:                              ;   in Loop: Header=BB279_10 Depth=1
	s_wait_alu 0xfffe
	s_or_b32 exec_lo, exec_lo, s20
	v_lshlrev_b32_e32 v16, 8, v43
	v_lshl_add_u32 v43, v44, 10, 0x2000
	v_lshlrev_b32_e32 v41, 23, v41
	s_delay_alu instid0(VALU_DEP_2) | instskip(NEXT) | instid1(VALU_DEP_1)
	v_and_or_b32 v16, 0x8000, v16, v43
	v_lshl_or_b32 v41, v16, 16, v41
.LBB279_536:                            ;   in Loop: Header=BB279_10 Depth=1
	s_wait_alu 0xfffe
	s_or_b32 exec_lo, exec_lo, s19
.LBB279_537:                            ;   in Loop: Header=BB279_10 Depth=1
	s_wait_alu 0xfffe
	s_or_b32 exec_lo, exec_lo, s18
.LBB279_538:                            ;   in Loop: Header=BB279_10 Depth=1
	s_wait_alu 0xfffe
	s_or_b32 exec_lo, exec_lo, s3
	v_lshrrev_b32_e32 v16, 16, v12
	v_mov_b32_e32 v43, 0
	s_mov_b32 s3, exec_lo
	s_delay_alu instid0(VALU_DEP_2) | instskip(NEXT) | instid1(VALU_DEP_1)
	v_dual_mov_b32 v44, 0 :: v_dual_and_b32 v45, 0xff, v16
	v_cmpx_ne_u16_e32 0, v45
	s_cbranch_execz .LBB279_546
; %bb.539:                              ;   in Loop: Header=BB279_10 Depth=1
	v_mov_b32_e32 v44, 0x8000
	s_mov_b32 s18, exec_lo
	v_cmpx_ne_u16_e32 0x80, v45
	s_cbranch_execz .LBB279_545
; %bb.540:                              ;   in Loop: Header=BB279_10 Depth=1
	v_bfe_u32 v46, v12, 16, 7
	v_mov_b32_e32 v44, 0x7c01
	s_mov_b32 s19, exec_lo
	s_delay_alu instid0(VALU_DEP_2)
	v_cmpx_ne_u32_e32 0x7f, v46
	s_cbranch_execz .LBB279_544
; %bb.541:                              ;   in Loop: Header=BB279_10 Depth=1
	v_and_b32_e32 v44, 7, v16
	v_lshrrev_b32_e32 v45, 3, v46
	s_mov_b32 s20, exec_lo
	v_cmpx_gt_u32_e32 8, v46
; %bb.542:                              ;   in Loop: Header=BB279_10 Depth=1
	s_delay_alu instid0(VALU_DEP_3) | instskip(NEXT) | instid1(VALU_DEP_1)
	v_clz_i32_u32_e32 v44, v44
	v_min_u32_e32 v46, 32, v44
	s_delay_alu instid0(VALU_DEP_1) | instskip(NEXT) | instid1(VALU_DEP_1)
	v_subrev_nc_u32_e32 v44, 28, v46
	v_lshlrev_b64_e32 v[44:45], v44, v[16:17]
	v_sub_nc_u32_e32 v45, 29, v46
	s_delay_alu instid0(VALU_DEP_2)
	v_and_b32_e32 v44, 7, v44
; %bb.543:                              ;   in Loop: Header=BB279_10 Depth=1
	s_wait_alu 0xfffe
	s_or_b32 exec_lo, exec_lo, s20
	v_lshlrev_b32_e32 v16, 8, v16
	v_lshl_add_u32 v45, v45, 10, 0x2000
	v_lshlrev_b32_e32 v44, 7, v44
	s_delay_alu instid0(VALU_DEP_3) | instskip(NEXT) | instid1(VALU_DEP_3)
	v_and_b32_e32 v16, 0x8000, v16
	v_and_b32_e32 v45, 0xfc00, v45
	s_delay_alu instid0(VALU_DEP_1)
	v_or3_b32 v44, v16, v45, v44
.LBB279_544:                            ;   in Loop: Header=BB279_10 Depth=1
	s_wait_alu 0xfffe
	s_or_b32 exec_lo, exec_lo, s19
.LBB279_545:                            ;   in Loop: Header=BB279_10 Depth=1
	s_wait_alu 0xfffe
	s_or_b32 exec_lo, exec_lo, s18
.LBB279_546:                            ;   in Loop: Header=BB279_10 Depth=1
	s_wait_alu 0xfffe
	s_or_b32 exec_lo, exec_lo, s3
	s_delay_alu instid0(SALU_CYCLE_1)
	s_mov_b32 s3, exec_lo
	v_cmpx_lt_u32_e32 0xffffff, v12
	s_cbranch_execz .LBB279_554
; %bb.547:                              ;   in Loop: Header=BB279_10 Depth=1
	v_lshrrev_b32_e32 v16, 24, v12
	v_bfrev_b32_e32 v43, 1
	s_mov_b32 s18, exec_lo
	s_delay_alu instid0(VALU_DEP_2)
	v_cmpx_ne_u32_e32 0x80, v16
	s_cbranch_execz .LBB279_553
; %bb.548:                              ;   in Loop: Header=BB279_10 Depth=1
	v_and_b32_e32 v45, 0x7f, v16
	v_mov_b32_e32 v43, 0x7c010000
	s_mov_b32 s19, exec_lo
	s_delay_alu instid0(VALU_DEP_2)
	v_cmpx_ne_u32_e32 0x7f, v45
	s_cbranch_execz .LBB279_552
; %bb.549:                              ;   in Loop: Header=BB279_10 Depth=1
	v_and_b32_e32 v12, 7, v16
	v_lshrrev_b32_e32 v43, 3, v45
	s_mov_b32 s20, exec_lo
	v_cmpx_gt_u32_e32 8, v45
; %bb.550:                              ;   in Loop: Header=BB279_10 Depth=1
	s_delay_alu instid0(VALU_DEP_3) | instskip(NEXT) | instid1(VALU_DEP_1)
	v_clz_i32_u32_e32 v12, v12
	v_min_u32_e32 v12, 32, v12
	s_delay_alu instid0(VALU_DEP_1) | instskip(NEXT) | instid1(VALU_DEP_1)
	v_subrev_nc_u32_e32 v43, 28, v12
	v_lshlrev_b64_e32 v[45:46], v43, v[16:17]
	v_sub_nc_u32_e32 v43, 29, v12
	s_delay_alu instid0(VALU_DEP_2)
	v_and_b32_e32 v12, 7, v45
; %bb.551:                              ;   in Loop: Header=BB279_10 Depth=1
	s_wait_alu 0xfffe
	s_or_b32 exec_lo, exec_lo, s20
	v_lshlrev_b32_e32 v16, 8, v16
	v_lshl_add_u32 v43, v43, 10, 0x2000
	v_lshlrev_b32_e32 v12, 23, v12
	s_delay_alu instid0(VALU_DEP_2) | instskip(NEXT) | instid1(VALU_DEP_1)
	v_and_or_b32 v16, 0x8000, v16, v43
	v_lshl_or_b32 v43, v16, 16, v12
.LBB279_552:                            ;   in Loop: Header=BB279_10 Depth=1
	s_wait_alu 0xfffe
	s_or_b32 exec_lo, exec_lo, s19
.LBB279_553:                            ;   in Loop: Header=BB279_10 Depth=1
	s_wait_alu 0xfffe
	s_or_b32 exec_lo, exec_lo, s18
.LBB279_554:                            ;   in Loop: Header=BB279_10 Depth=1
	s_wait_alu 0xfffe
	s_or_b32 exec_lo, exec_lo, s3
	flat_load_b32 v12, v[20:21] offset:2056
	v_mov_b32_e32 v46, 0
	s_mov_b32 s3, exec_lo
	s_wait_loadcnt_dscnt 0x0
	v_dual_mov_b32 v45, 0 :: v_dual_and_b32 v16, 0xff, v12
	s_delay_alu instid0(VALU_DEP_1)
	v_cmpx_ne_u16_e32 0, v16
	s_cbranch_execz .LBB279_562
; %bb.555:                              ;   in Loop: Header=BB279_10 Depth=1
	v_mov_b32_e32 v46, 0x8000
	s_mov_b32 s18, exec_lo
	v_cmpx_ne_u16_e32 0x80, v16
	s_cbranch_execz .LBB279_561
; %bb.556:                              ;   in Loop: Header=BB279_10 Depth=1
	v_and_b32_e32 v47, 0x7f, v12
	v_mov_b32_e32 v46, 0x7c01
	s_mov_b32 s19, exec_lo
	s_delay_alu instid0(VALU_DEP_2)
	v_cmpx_ne_u32_e32 0x7f, v47
	s_cbranch_execz .LBB279_560
; %bb.557:                              ;   in Loop: Header=BB279_10 Depth=1
	v_and_b32_e32 v16, 7, v12
	v_lshrrev_b32_e32 v46, 3, v47
	s_mov_b32 s20, exec_lo
	v_cmpx_gt_u32_e32 8, v47
; %bb.558:                              ;   in Loop: Header=BB279_10 Depth=1
	s_delay_alu instid0(VALU_DEP_3) | instskip(NEXT) | instid1(VALU_DEP_1)
	v_clz_i32_u32_e32 v16, v16
	v_min_u32_e32 v16, 32, v16
	s_delay_alu instid0(VALU_DEP_1) | instskip(NEXT) | instid1(VALU_DEP_1)
	v_subrev_nc_u32_e32 v46, 28, v16
	v_lshlrev_b64_e32 v[56:57], v46, v[12:13]
	v_sub_nc_u32_e32 v46, 29, v16
	s_delay_alu instid0(VALU_DEP_2)
	v_and_b32_e32 v16, 7, v56
; %bb.559:                              ;   in Loop: Header=BB279_10 Depth=1
	s_wait_alu 0xfffe
	s_or_b32 exec_lo, exec_lo, s20
	v_lshlrev_b32_e32 v47, 8, v12
	v_lshl_add_u32 v46, v46, 10, 0x2000
	v_lshlrev_b32_e32 v16, 7, v16
	s_delay_alu instid0(VALU_DEP_3) | instskip(NEXT) | instid1(VALU_DEP_3)
	v_and_b32_e32 v47, 0x8000, v47
	v_and_b32_e32 v46, 0xfc00, v46
	s_delay_alu instid0(VALU_DEP_1)
	v_or3_b32 v46, v47, v46, v16
.LBB279_560:                            ;   in Loop: Header=BB279_10 Depth=1
	s_wait_alu 0xfffe
	s_or_b32 exec_lo, exec_lo, s19
.LBB279_561:                            ;   in Loop: Header=BB279_10 Depth=1
	s_wait_alu 0xfffe
	s_or_b32 exec_lo, exec_lo, s18
.LBB279_562:                            ;   in Loop: Header=BB279_10 Depth=1
	s_wait_alu 0xfffe
	s_or_b32 exec_lo, exec_lo, s3
	v_lshrrev_b16 v16, 8, v12
	s_mov_b32 s3, exec_lo
	s_delay_alu instid0(VALU_DEP_1)
	v_cmpx_ne_u16_e32 0, v16
	s_cbranch_execz .LBB279_570
; %bb.563:                              ;   in Loop: Header=BB279_10 Depth=1
	v_bfrev_b32_e32 v45, 1
	s_mov_b32 s18, exec_lo
	v_cmpx_ne_u16_e32 0x80, v16
	s_cbranch_execz .LBB279_569
; %bb.564:                              ;   in Loop: Header=BB279_10 Depth=1
	v_and_b32_e32 v47, 0xffff, v16
	v_mov_b32_e32 v45, 0x7c010000
	s_mov_b32 s19, exec_lo
	s_delay_alu instid0(VALU_DEP_2) | instskip(NEXT) | instid1(VALU_DEP_1)
	v_and_b32_e32 v57, 0x7f, v47
	v_cmpx_ne_u32_e32 0x7f, v57
	s_cbranch_execz .LBB279_568
; %bb.565:                              ;   in Loop: Header=BB279_10 Depth=1
	v_and_b32_e32 v45, 7, v47
	v_lshrrev_b32_e32 v56, 3, v57
	s_mov_b32 s20, exec_lo
	v_cmpx_gt_u32_e32 8, v57
; %bb.566:                              ;   in Loop: Header=BB279_10 Depth=1
	s_delay_alu instid0(VALU_DEP_3) | instskip(NEXT) | instid1(VALU_DEP_1)
	v_clz_i32_u32_e32 v45, v45
	v_min_u32_e32 v45, 32, v45
	s_delay_alu instid0(VALU_DEP_1) | instskip(NEXT) | instid1(VALU_DEP_1)
	v_subrev_nc_u32_e32 v56, 28, v45
	v_lshlrev_b64_e32 v[57:58], v56, v[16:17]
	v_sub_nc_u32_e32 v56, 29, v45
	s_delay_alu instid0(VALU_DEP_2)
	v_and_b32_e32 v45, 7, v57
; %bb.567:                              ;   in Loop: Header=BB279_10 Depth=1
	s_wait_alu 0xfffe
	s_or_b32 exec_lo, exec_lo, s20
	v_lshlrev_b32_e32 v16, 8, v47
	v_lshl_add_u32 v47, v56, 10, 0x2000
	v_lshlrev_b32_e32 v45, 23, v45
	s_delay_alu instid0(VALU_DEP_2) | instskip(NEXT) | instid1(VALU_DEP_1)
	v_and_or_b32 v16, 0x8000, v16, v47
	v_lshl_or_b32 v45, v16, 16, v45
.LBB279_568:                            ;   in Loop: Header=BB279_10 Depth=1
	s_wait_alu 0xfffe
	s_or_b32 exec_lo, exec_lo, s19
.LBB279_569:                            ;   in Loop: Header=BB279_10 Depth=1
	s_wait_alu 0xfffe
	s_or_b32 exec_lo, exec_lo, s18
.LBB279_570:                            ;   in Loop: Header=BB279_10 Depth=1
	s_wait_alu 0xfffe
	s_or_b32 exec_lo, exec_lo, s3
	v_lshrrev_b32_e32 v16, 16, v12
	v_mov_b32_e32 v47, 0
	s_mov_b32 s3, exec_lo
	s_delay_alu instid0(VALU_DEP_2) | instskip(NEXT) | instid1(VALU_DEP_1)
	v_dual_mov_b32 v56, 0 :: v_dual_and_b32 v57, 0xff, v16
	v_cmpx_ne_u16_e32 0, v57
	s_cbranch_execz .LBB279_578
; %bb.571:                              ;   in Loop: Header=BB279_10 Depth=1
	v_mov_b32_e32 v56, 0x8000
	s_mov_b32 s18, exec_lo
	v_cmpx_ne_u16_e32 0x80, v57
	s_cbranch_execz .LBB279_577
; %bb.572:                              ;   in Loop: Header=BB279_10 Depth=1
	v_bfe_u32 v58, v12, 16, 7
	v_mov_b32_e32 v56, 0x7c01
	s_mov_b32 s19, exec_lo
	s_delay_alu instid0(VALU_DEP_2)
	v_cmpx_ne_u32_e32 0x7f, v58
	s_cbranch_execz .LBB279_576
; %bb.573:                              ;   in Loop: Header=BB279_10 Depth=1
	v_and_b32_e32 v56, 7, v16
	v_lshrrev_b32_e32 v57, 3, v58
	s_mov_b32 s20, exec_lo
	v_cmpx_gt_u32_e32 8, v58
; %bb.574:                              ;   in Loop: Header=BB279_10 Depth=1
	s_delay_alu instid0(VALU_DEP_3) | instskip(NEXT) | instid1(VALU_DEP_1)
	v_clz_i32_u32_e32 v56, v56
	v_min_u32_e32 v58, 32, v56
	s_delay_alu instid0(VALU_DEP_1) | instskip(NEXT) | instid1(VALU_DEP_1)
	v_subrev_nc_u32_e32 v56, 28, v58
	v_lshlrev_b64_e32 v[56:57], v56, v[16:17]
	v_sub_nc_u32_e32 v57, 29, v58
	s_delay_alu instid0(VALU_DEP_2)
	v_and_b32_e32 v56, 7, v56
; %bb.575:                              ;   in Loop: Header=BB279_10 Depth=1
	s_wait_alu 0xfffe
	s_or_b32 exec_lo, exec_lo, s20
	v_lshlrev_b32_e32 v16, 8, v16
	v_lshl_add_u32 v57, v57, 10, 0x2000
	v_lshlrev_b32_e32 v56, 7, v56
	s_delay_alu instid0(VALU_DEP_3) | instskip(NEXT) | instid1(VALU_DEP_3)
	v_and_b32_e32 v16, 0x8000, v16
	v_and_b32_e32 v57, 0xfc00, v57
	s_delay_alu instid0(VALU_DEP_1)
	v_or3_b32 v56, v16, v57, v56
.LBB279_576:                            ;   in Loop: Header=BB279_10 Depth=1
	s_wait_alu 0xfffe
	s_or_b32 exec_lo, exec_lo, s19
.LBB279_577:                            ;   in Loop: Header=BB279_10 Depth=1
	s_wait_alu 0xfffe
	s_or_b32 exec_lo, exec_lo, s18
.LBB279_578:                            ;   in Loop: Header=BB279_10 Depth=1
	s_wait_alu 0xfffe
	s_or_b32 exec_lo, exec_lo, s3
	s_delay_alu instid0(SALU_CYCLE_1)
	s_mov_b32 s3, exec_lo
	v_cmpx_lt_u32_e32 0xffffff, v12
	s_cbranch_execz .LBB279_586
; %bb.579:                              ;   in Loop: Header=BB279_10 Depth=1
	v_lshrrev_b32_e32 v16, 24, v12
	v_bfrev_b32_e32 v47, 1
	s_mov_b32 s18, exec_lo
	s_delay_alu instid0(VALU_DEP_2)
	v_cmpx_ne_u32_e32 0x80, v16
	s_cbranch_execz .LBB279_585
; %bb.580:                              ;   in Loop: Header=BB279_10 Depth=1
	v_and_b32_e32 v57, 0x7f, v16
	v_mov_b32_e32 v47, 0x7c010000
	s_mov_b32 s19, exec_lo
	s_delay_alu instid0(VALU_DEP_2)
	v_cmpx_ne_u32_e32 0x7f, v57
	s_cbranch_execz .LBB279_584
; %bb.581:                              ;   in Loop: Header=BB279_10 Depth=1
	v_and_b32_e32 v12, 7, v16
	v_lshrrev_b32_e32 v47, 3, v57
	s_mov_b32 s20, exec_lo
	v_cmpx_gt_u32_e32 8, v57
; %bb.582:                              ;   in Loop: Header=BB279_10 Depth=1
	s_delay_alu instid0(VALU_DEP_3) | instskip(NEXT) | instid1(VALU_DEP_1)
	v_clz_i32_u32_e32 v12, v12
	v_min_u32_e32 v12, 32, v12
	s_delay_alu instid0(VALU_DEP_1) | instskip(NEXT) | instid1(VALU_DEP_1)
	v_subrev_nc_u32_e32 v47, 28, v12
	v_lshlrev_b64_e32 v[57:58], v47, v[16:17]
	v_sub_nc_u32_e32 v47, 29, v12
	s_delay_alu instid0(VALU_DEP_2)
	v_and_b32_e32 v12, 7, v57
; %bb.583:                              ;   in Loop: Header=BB279_10 Depth=1
	s_wait_alu 0xfffe
	s_or_b32 exec_lo, exec_lo, s20
	v_lshlrev_b32_e32 v16, 8, v16
	v_lshl_add_u32 v47, v47, 10, 0x2000
	v_lshlrev_b32_e32 v12, 23, v12
	s_delay_alu instid0(VALU_DEP_2) | instskip(NEXT) | instid1(VALU_DEP_1)
	v_and_or_b32 v16, 0x8000, v16, v47
	v_lshl_or_b32 v47, v16, 16, v12
.LBB279_584:                            ;   in Loop: Header=BB279_10 Depth=1
	s_wait_alu 0xfffe
	s_or_b32 exec_lo, exec_lo, s19
.LBB279_585:                            ;   in Loop: Header=BB279_10 Depth=1
	s_wait_alu 0xfffe
	s_or_b32 exec_lo, exec_lo, s18
.LBB279_586:                            ;   in Loop: Header=BB279_10 Depth=1
	s_wait_alu 0xfffe
	s_or_b32 exec_lo, exec_lo, s3
	flat_load_b32 v12, v[20:21] offset:2304
	v_mov_b32_e32 v58, 0
	s_mov_b32 s3, exec_lo
	s_wait_loadcnt_dscnt 0x0
	v_dual_mov_b32 v57, 0 :: v_dual_and_b32 v16, 0xff, v12
	s_delay_alu instid0(VALU_DEP_1)
	v_cmpx_ne_u16_e32 0, v16
	s_cbranch_execz .LBB279_594
; %bb.587:                              ;   in Loop: Header=BB279_10 Depth=1
	v_mov_b32_e32 v58, 0x8000
	s_mov_b32 s18, exec_lo
	v_cmpx_ne_u16_e32 0x80, v16
	s_cbranch_execz .LBB279_593
; %bb.588:                              ;   in Loop: Header=BB279_10 Depth=1
	v_and_b32_e32 v59, 0x7f, v12
	v_mov_b32_e32 v58, 0x7c01
	s_mov_b32 s19, exec_lo
	s_delay_alu instid0(VALU_DEP_2)
	v_cmpx_ne_u32_e32 0x7f, v59
	s_cbranch_execz .LBB279_592
; %bb.589:                              ;   in Loop: Header=BB279_10 Depth=1
	v_and_b32_e32 v16, 7, v12
	v_lshrrev_b32_e32 v58, 3, v59
	s_mov_b32 s20, exec_lo
	v_cmpx_gt_u32_e32 8, v59
; %bb.590:                              ;   in Loop: Header=BB279_10 Depth=1
	s_delay_alu instid0(VALU_DEP_3) | instskip(NEXT) | instid1(VALU_DEP_1)
	v_clz_i32_u32_e32 v16, v16
	v_min_u32_e32 v16, 32, v16
	s_delay_alu instid0(VALU_DEP_1) | instskip(NEXT) | instid1(VALU_DEP_1)
	v_subrev_nc_u32_e32 v58, 28, v16
	v_lshlrev_b64_e32 v[59:60], v58, v[12:13]
	v_sub_nc_u32_e32 v58, 29, v16
	s_delay_alu instid0(VALU_DEP_2)
	v_and_b32_e32 v16, 7, v59
; %bb.591:                              ;   in Loop: Header=BB279_10 Depth=1
	s_wait_alu 0xfffe
	s_or_b32 exec_lo, exec_lo, s20
	v_lshlrev_b32_e32 v59, 8, v12
	v_lshl_add_u32 v58, v58, 10, 0x2000
	v_lshlrev_b32_e32 v16, 7, v16
	s_delay_alu instid0(VALU_DEP_3) | instskip(NEXT) | instid1(VALU_DEP_3)
	v_and_b32_e32 v59, 0x8000, v59
	v_and_b32_e32 v58, 0xfc00, v58
	s_delay_alu instid0(VALU_DEP_1)
	v_or3_b32 v58, v59, v58, v16
.LBB279_592:                            ;   in Loop: Header=BB279_10 Depth=1
	s_wait_alu 0xfffe
	s_or_b32 exec_lo, exec_lo, s19
.LBB279_593:                            ;   in Loop: Header=BB279_10 Depth=1
	s_wait_alu 0xfffe
	s_or_b32 exec_lo, exec_lo, s18
.LBB279_594:                            ;   in Loop: Header=BB279_10 Depth=1
	s_wait_alu 0xfffe
	s_or_b32 exec_lo, exec_lo, s3
	v_lshrrev_b16 v16, 8, v12
	s_mov_b32 s3, exec_lo
	s_delay_alu instid0(VALU_DEP_1)
	v_cmpx_ne_u16_e32 0, v16
	s_cbranch_execz .LBB279_602
; %bb.595:                              ;   in Loop: Header=BB279_10 Depth=1
	v_bfrev_b32_e32 v57, 1
	s_mov_b32 s18, exec_lo
	v_cmpx_ne_u16_e32 0x80, v16
	s_cbranch_execz .LBB279_601
; %bb.596:                              ;   in Loop: Header=BB279_10 Depth=1
	v_and_b32_e32 v59, 0xffff, v16
	v_mov_b32_e32 v57, 0x7c010000
	s_mov_b32 s19, exec_lo
	s_delay_alu instid0(VALU_DEP_2) | instskip(NEXT) | instid1(VALU_DEP_1)
	v_and_b32_e32 v61, 0x7f, v59
	v_cmpx_ne_u32_e32 0x7f, v61
	s_cbranch_execz .LBB279_600
; %bb.597:                              ;   in Loop: Header=BB279_10 Depth=1
	v_and_b32_e32 v57, 7, v59
	v_lshrrev_b32_e32 v60, 3, v61
	s_mov_b32 s20, exec_lo
	v_cmpx_gt_u32_e32 8, v61
; %bb.598:                              ;   in Loop: Header=BB279_10 Depth=1
	s_delay_alu instid0(VALU_DEP_3) | instskip(NEXT) | instid1(VALU_DEP_1)
	v_clz_i32_u32_e32 v57, v57
	v_min_u32_e32 v57, 32, v57
	s_delay_alu instid0(VALU_DEP_1) | instskip(NEXT) | instid1(VALU_DEP_1)
	v_subrev_nc_u32_e32 v60, 28, v57
	v_lshlrev_b64_e32 v[61:62], v60, v[16:17]
	v_sub_nc_u32_e32 v60, 29, v57
	s_delay_alu instid0(VALU_DEP_2)
	v_and_b32_e32 v57, 7, v61
; %bb.599:                              ;   in Loop: Header=BB279_10 Depth=1
	s_wait_alu 0xfffe
	s_or_b32 exec_lo, exec_lo, s20
	v_lshlrev_b32_e32 v16, 8, v59
	v_lshl_add_u32 v59, v60, 10, 0x2000
	v_lshlrev_b32_e32 v57, 23, v57
	s_delay_alu instid0(VALU_DEP_2) | instskip(NEXT) | instid1(VALU_DEP_1)
	v_and_or_b32 v16, 0x8000, v16, v59
	v_lshl_or_b32 v57, v16, 16, v57
.LBB279_600:                            ;   in Loop: Header=BB279_10 Depth=1
	s_wait_alu 0xfffe
	s_or_b32 exec_lo, exec_lo, s19
.LBB279_601:                            ;   in Loop: Header=BB279_10 Depth=1
	s_wait_alu 0xfffe
	s_or_b32 exec_lo, exec_lo, s18
.LBB279_602:                            ;   in Loop: Header=BB279_10 Depth=1
	s_wait_alu 0xfffe
	s_or_b32 exec_lo, exec_lo, s3
	v_lshrrev_b32_e32 v16, 16, v12
	v_mov_b32_e32 v59, 0
	s_mov_b32 s3, exec_lo
	s_delay_alu instid0(VALU_DEP_2) | instskip(NEXT) | instid1(VALU_DEP_1)
	v_dual_mov_b32 v60, 0 :: v_dual_and_b32 v61, 0xff, v16
	v_cmpx_ne_u16_e32 0, v61
	s_cbranch_execz .LBB279_610
; %bb.603:                              ;   in Loop: Header=BB279_10 Depth=1
	v_mov_b32_e32 v60, 0x8000
	s_mov_b32 s18, exec_lo
	v_cmpx_ne_u16_e32 0x80, v61
	s_cbranch_execz .LBB279_609
; %bb.604:                              ;   in Loop: Header=BB279_10 Depth=1
	v_bfe_u32 v62, v12, 16, 7
	v_mov_b32_e32 v60, 0x7c01
	s_mov_b32 s19, exec_lo
	s_delay_alu instid0(VALU_DEP_2)
	v_cmpx_ne_u32_e32 0x7f, v62
	s_cbranch_execz .LBB279_608
; %bb.605:                              ;   in Loop: Header=BB279_10 Depth=1
	v_and_b32_e32 v60, 7, v16
	v_lshrrev_b32_e32 v61, 3, v62
	s_mov_b32 s20, exec_lo
	v_cmpx_gt_u32_e32 8, v62
; %bb.606:                              ;   in Loop: Header=BB279_10 Depth=1
	s_delay_alu instid0(VALU_DEP_3) | instskip(NEXT) | instid1(VALU_DEP_1)
	v_clz_i32_u32_e32 v60, v60
	v_min_u32_e32 v62, 32, v60
	s_delay_alu instid0(VALU_DEP_1) | instskip(NEXT) | instid1(VALU_DEP_1)
	v_subrev_nc_u32_e32 v60, 28, v62
	v_lshlrev_b64_e32 v[60:61], v60, v[16:17]
	v_sub_nc_u32_e32 v61, 29, v62
	s_delay_alu instid0(VALU_DEP_2)
	v_and_b32_e32 v60, 7, v60
; %bb.607:                              ;   in Loop: Header=BB279_10 Depth=1
	s_wait_alu 0xfffe
	s_or_b32 exec_lo, exec_lo, s20
	v_lshlrev_b32_e32 v16, 8, v16
	v_lshl_add_u32 v61, v61, 10, 0x2000
	v_lshlrev_b32_e32 v60, 7, v60
	s_delay_alu instid0(VALU_DEP_3) | instskip(NEXT) | instid1(VALU_DEP_3)
	v_and_b32_e32 v16, 0x8000, v16
	v_and_b32_e32 v61, 0xfc00, v61
	s_delay_alu instid0(VALU_DEP_1)
	v_or3_b32 v60, v16, v61, v60
.LBB279_608:                            ;   in Loop: Header=BB279_10 Depth=1
	s_wait_alu 0xfffe
	s_or_b32 exec_lo, exec_lo, s19
.LBB279_609:                            ;   in Loop: Header=BB279_10 Depth=1
	s_wait_alu 0xfffe
	s_or_b32 exec_lo, exec_lo, s18
.LBB279_610:                            ;   in Loop: Header=BB279_10 Depth=1
	s_wait_alu 0xfffe
	s_or_b32 exec_lo, exec_lo, s3
	s_delay_alu instid0(SALU_CYCLE_1)
	s_mov_b32 s3, exec_lo
	v_cmpx_lt_u32_e32 0xffffff, v12
	s_cbranch_execz .LBB279_618
; %bb.611:                              ;   in Loop: Header=BB279_10 Depth=1
	v_lshrrev_b32_e32 v16, 24, v12
	v_bfrev_b32_e32 v59, 1
	s_mov_b32 s18, exec_lo
	s_delay_alu instid0(VALU_DEP_2)
	v_cmpx_ne_u32_e32 0x80, v16
	s_cbranch_execz .LBB279_617
; %bb.612:                              ;   in Loop: Header=BB279_10 Depth=1
	v_and_b32_e32 v61, 0x7f, v16
	v_mov_b32_e32 v59, 0x7c010000
	s_mov_b32 s19, exec_lo
	s_delay_alu instid0(VALU_DEP_2)
	v_cmpx_ne_u32_e32 0x7f, v61
	s_cbranch_execz .LBB279_616
; %bb.613:                              ;   in Loop: Header=BB279_10 Depth=1
	v_and_b32_e32 v12, 7, v16
	v_lshrrev_b32_e32 v59, 3, v61
	s_mov_b32 s20, exec_lo
	v_cmpx_gt_u32_e32 8, v61
; %bb.614:                              ;   in Loop: Header=BB279_10 Depth=1
	s_delay_alu instid0(VALU_DEP_3) | instskip(NEXT) | instid1(VALU_DEP_1)
	v_clz_i32_u32_e32 v12, v12
	v_min_u32_e32 v12, 32, v12
	s_delay_alu instid0(VALU_DEP_1) | instskip(NEXT) | instid1(VALU_DEP_1)
	v_subrev_nc_u32_e32 v59, 28, v12
	v_lshlrev_b64_e32 v[61:62], v59, v[16:17]
	v_sub_nc_u32_e32 v59, 29, v12
	s_delay_alu instid0(VALU_DEP_2)
	v_and_b32_e32 v12, 7, v61
; %bb.615:                              ;   in Loop: Header=BB279_10 Depth=1
	s_wait_alu 0xfffe
	s_or_b32 exec_lo, exec_lo, s20
	v_lshlrev_b32_e32 v16, 8, v16
	v_lshl_add_u32 v59, v59, 10, 0x2000
	v_lshlrev_b32_e32 v12, 23, v12
	s_delay_alu instid0(VALU_DEP_2) | instskip(NEXT) | instid1(VALU_DEP_1)
	v_and_or_b32 v16, 0x8000, v16, v59
	v_lshl_or_b32 v59, v16, 16, v12
.LBB279_616:                            ;   in Loop: Header=BB279_10 Depth=1
	s_wait_alu 0xfffe
	s_or_b32 exec_lo, exec_lo, s19
.LBB279_617:                            ;   in Loop: Header=BB279_10 Depth=1
	s_wait_alu 0xfffe
	s_or_b32 exec_lo, exec_lo, s18
.LBB279_618:                            ;   in Loop: Header=BB279_10 Depth=1
	s_wait_alu 0xfffe
	s_or_b32 exec_lo, exec_lo, s3
	flat_load_b32 v12, v[20:21] offset:2312
	v_mov_b32_e32 v62, 0
	s_mov_b32 s3, exec_lo
	s_wait_loadcnt_dscnt 0x0
	v_dual_mov_b32 v61, 0 :: v_dual_and_b32 v16, 0xff, v12
	s_delay_alu instid0(VALU_DEP_1)
	v_cmpx_ne_u16_e32 0, v16
	s_cbranch_execz .LBB279_626
; %bb.619:                              ;   in Loop: Header=BB279_10 Depth=1
	v_mov_b32_e32 v62, 0x8000
	s_mov_b32 s18, exec_lo
	v_cmpx_ne_u16_e32 0x80, v16
	s_cbranch_execz .LBB279_625
; %bb.620:                              ;   in Loop: Header=BB279_10 Depth=1
	v_and_b32_e32 v63, 0x7f, v12
	v_mov_b32_e32 v62, 0x7c01
	s_mov_b32 s19, exec_lo
	s_delay_alu instid0(VALU_DEP_2)
	v_cmpx_ne_u32_e32 0x7f, v63
	s_cbranch_execz .LBB279_624
; %bb.621:                              ;   in Loop: Header=BB279_10 Depth=1
	v_and_b32_e32 v16, 7, v12
	v_lshrrev_b32_e32 v62, 3, v63
	s_mov_b32 s20, exec_lo
	v_cmpx_gt_u32_e32 8, v63
; %bb.622:                              ;   in Loop: Header=BB279_10 Depth=1
	s_delay_alu instid0(VALU_DEP_3) | instskip(NEXT) | instid1(VALU_DEP_1)
	v_clz_i32_u32_e32 v16, v16
	v_min_u32_e32 v16, 32, v16
	s_delay_alu instid0(VALU_DEP_1) | instskip(NEXT) | instid1(VALU_DEP_1)
	v_subrev_nc_u32_e32 v62, 28, v16
	v_lshlrev_b64_e32 v[72:73], v62, v[12:13]
	v_sub_nc_u32_e32 v62, 29, v16
	s_delay_alu instid0(VALU_DEP_2)
	v_and_b32_e32 v16, 7, v72
; %bb.623:                              ;   in Loop: Header=BB279_10 Depth=1
	s_wait_alu 0xfffe
	s_or_b32 exec_lo, exec_lo, s20
	v_lshlrev_b32_e32 v63, 8, v12
	v_lshl_add_u32 v62, v62, 10, 0x2000
	v_lshlrev_b32_e32 v16, 7, v16
	s_delay_alu instid0(VALU_DEP_3) | instskip(NEXT) | instid1(VALU_DEP_3)
	v_and_b32_e32 v63, 0x8000, v63
	v_and_b32_e32 v62, 0xfc00, v62
	s_delay_alu instid0(VALU_DEP_1)
	v_or3_b32 v62, v63, v62, v16
.LBB279_624:                            ;   in Loop: Header=BB279_10 Depth=1
	s_wait_alu 0xfffe
	s_or_b32 exec_lo, exec_lo, s19
.LBB279_625:                            ;   in Loop: Header=BB279_10 Depth=1
	s_wait_alu 0xfffe
	s_or_b32 exec_lo, exec_lo, s18
.LBB279_626:                            ;   in Loop: Header=BB279_10 Depth=1
	s_wait_alu 0xfffe
	s_or_b32 exec_lo, exec_lo, s3
	v_lshrrev_b16 v16, 8, v12
	s_mov_b32 s3, exec_lo
	s_delay_alu instid0(VALU_DEP_1)
	v_cmpx_ne_u16_e32 0, v16
	s_cbranch_execz .LBB279_634
; %bb.627:                              ;   in Loop: Header=BB279_10 Depth=1
	v_bfrev_b32_e32 v61, 1
	s_mov_b32 s18, exec_lo
	v_cmpx_ne_u16_e32 0x80, v16
	s_cbranch_execz .LBB279_633
; %bb.628:                              ;   in Loop: Header=BB279_10 Depth=1
	v_and_b32_e32 v63, 0xffff, v16
	v_mov_b32_e32 v61, 0x7c010000
	s_mov_b32 s19, exec_lo
	s_delay_alu instid0(VALU_DEP_2) | instskip(NEXT) | instid1(VALU_DEP_1)
	v_and_b32_e32 v73, 0x7f, v63
	v_cmpx_ne_u32_e32 0x7f, v73
	s_cbranch_execz .LBB279_632
; %bb.629:                              ;   in Loop: Header=BB279_10 Depth=1
	v_and_b32_e32 v61, 7, v63
	v_lshrrev_b32_e32 v72, 3, v73
	s_mov_b32 s20, exec_lo
	v_cmpx_gt_u32_e32 8, v73
; %bb.630:                              ;   in Loop: Header=BB279_10 Depth=1
	s_delay_alu instid0(VALU_DEP_3) | instskip(NEXT) | instid1(VALU_DEP_1)
	v_clz_i32_u32_e32 v61, v61
	v_min_u32_e32 v61, 32, v61
	s_delay_alu instid0(VALU_DEP_1) | instskip(NEXT) | instid1(VALU_DEP_1)
	v_subrev_nc_u32_e32 v72, 28, v61
	v_lshlrev_b64_e32 v[73:74], v72, v[16:17]
	v_sub_nc_u32_e32 v72, 29, v61
	s_delay_alu instid0(VALU_DEP_2)
	v_and_b32_e32 v61, 7, v73
; %bb.631:                              ;   in Loop: Header=BB279_10 Depth=1
	s_wait_alu 0xfffe
	s_or_b32 exec_lo, exec_lo, s20
	v_lshlrev_b32_e32 v16, 8, v63
	v_lshl_add_u32 v63, v72, 10, 0x2000
	v_lshlrev_b32_e32 v61, 23, v61
	s_delay_alu instid0(VALU_DEP_2) | instskip(NEXT) | instid1(VALU_DEP_1)
	v_and_or_b32 v16, 0x8000, v16, v63
	v_lshl_or_b32 v61, v16, 16, v61
.LBB279_632:                            ;   in Loop: Header=BB279_10 Depth=1
	s_wait_alu 0xfffe
	s_or_b32 exec_lo, exec_lo, s19
.LBB279_633:                            ;   in Loop: Header=BB279_10 Depth=1
	s_wait_alu 0xfffe
	s_or_b32 exec_lo, exec_lo, s18
.LBB279_634:                            ;   in Loop: Header=BB279_10 Depth=1
	s_wait_alu 0xfffe
	s_or_b32 exec_lo, exec_lo, s3
	v_lshrrev_b32_e32 v16, 16, v12
	v_mov_b32_e32 v63, 0
	s_mov_b32 s3, exec_lo
	s_delay_alu instid0(VALU_DEP_2) | instskip(NEXT) | instid1(VALU_DEP_1)
	v_dual_mov_b32 v72, 0 :: v_dual_and_b32 v73, 0xff, v16
	v_cmpx_ne_u16_e32 0, v73
	s_cbranch_execz .LBB279_642
; %bb.635:                              ;   in Loop: Header=BB279_10 Depth=1
	v_mov_b32_e32 v72, 0x8000
	s_mov_b32 s18, exec_lo
	v_cmpx_ne_u16_e32 0x80, v73
	s_cbranch_execz .LBB279_641
; %bb.636:                              ;   in Loop: Header=BB279_10 Depth=1
	v_bfe_u32 v74, v12, 16, 7
	v_mov_b32_e32 v72, 0x7c01
	s_mov_b32 s19, exec_lo
	s_delay_alu instid0(VALU_DEP_2)
	v_cmpx_ne_u32_e32 0x7f, v74
	s_cbranch_execz .LBB279_640
; %bb.637:                              ;   in Loop: Header=BB279_10 Depth=1
	v_and_b32_e32 v72, 7, v16
	v_lshrrev_b32_e32 v73, 3, v74
	s_mov_b32 s20, exec_lo
	v_cmpx_gt_u32_e32 8, v74
; %bb.638:                              ;   in Loop: Header=BB279_10 Depth=1
	s_delay_alu instid0(VALU_DEP_3) | instskip(NEXT) | instid1(VALU_DEP_1)
	v_clz_i32_u32_e32 v72, v72
	v_min_u32_e32 v74, 32, v72
	s_delay_alu instid0(VALU_DEP_1) | instskip(NEXT) | instid1(VALU_DEP_1)
	v_subrev_nc_u32_e32 v72, 28, v74
	v_lshlrev_b64_e32 v[72:73], v72, v[16:17]
	v_sub_nc_u32_e32 v73, 29, v74
	s_delay_alu instid0(VALU_DEP_2)
	v_and_b32_e32 v72, 7, v72
; %bb.639:                              ;   in Loop: Header=BB279_10 Depth=1
	s_wait_alu 0xfffe
	s_or_b32 exec_lo, exec_lo, s20
	v_lshlrev_b32_e32 v16, 8, v16
	v_lshl_add_u32 v73, v73, 10, 0x2000
	v_lshlrev_b32_e32 v72, 7, v72
	s_delay_alu instid0(VALU_DEP_3) | instskip(NEXT) | instid1(VALU_DEP_3)
	v_and_b32_e32 v16, 0x8000, v16
	v_and_b32_e32 v73, 0xfc00, v73
	s_delay_alu instid0(VALU_DEP_1)
	v_or3_b32 v72, v16, v73, v72
.LBB279_640:                            ;   in Loop: Header=BB279_10 Depth=1
	s_wait_alu 0xfffe
	s_or_b32 exec_lo, exec_lo, s19
.LBB279_641:                            ;   in Loop: Header=BB279_10 Depth=1
	s_wait_alu 0xfffe
	s_or_b32 exec_lo, exec_lo, s18
.LBB279_642:                            ;   in Loop: Header=BB279_10 Depth=1
	s_wait_alu 0xfffe
	s_or_b32 exec_lo, exec_lo, s3
	s_delay_alu instid0(SALU_CYCLE_1)
	s_mov_b32 s3, exec_lo
	v_cmpx_lt_u32_e32 0xffffff, v12
	s_cbranch_execz .LBB279_650
; %bb.643:                              ;   in Loop: Header=BB279_10 Depth=1
	v_lshrrev_b32_e32 v16, 24, v12
	v_bfrev_b32_e32 v63, 1
	s_mov_b32 s18, exec_lo
	s_delay_alu instid0(VALU_DEP_2)
	v_cmpx_ne_u32_e32 0x80, v16
	s_cbranch_execz .LBB279_649
; %bb.644:                              ;   in Loop: Header=BB279_10 Depth=1
	v_and_b32_e32 v73, 0x7f, v16
	v_mov_b32_e32 v63, 0x7c010000
	s_mov_b32 s19, exec_lo
	s_delay_alu instid0(VALU_DEP_2)
	v_cmpx_ne_u32_e32 0x7f, v73
	s_cbranch_execz .LBB279_648
; %bb.645:                              ;   in Loop: Header=BB279_10 Depth=1
	v_and_b32_e32 v12, 7, v16
	v_lshrrev_b32_e32 v63, 3, v73
	s_mov_b32 s20, exec_lo
	v_cmpx_gt_u32_e32 8, v73
; %bb.646:                              ;   in Loop: Header=BB279_10 Depth=1
	s_delay_alu instid0(VALU_DEP_3) | instskip(NEXT) | instid1(VALU_DEP_1)
	v_clz_i32_u32_e32 v12, v12
	v_min_u32_e32 v12, 32, v12
	s_delay_alu instid0(VALU_DEP_1) | instskip(NEXT) | instid1(VALU_DEP_1)
	v_subrev_nc_u32_e32 v63, 28, v12
	v_lshlrev_b64_e32 v[73:74], v63, v[16:17]
	v_sub_nc_u32_e32 v63, 29, v12
	s_delay_alu instid0(VALU_DEP_2)
	v_and_b32_e32 v12, 7, v73
; %bb.647:                              ;   in Loop: Header=BB279_10 Depth=1
	s_wait_alu 0xfffe
	s_or_b32 exec_lo, exec_lo, s20
	v_lshlrev_b32_e32 v16, 8, v16
	v_lshl_add_u32 v63, v63, 10, 0x2000
	v_lshlrev_b32_e32 v12, 23, v12
	s_delay_alu instid0(VALU_DEP_2) | instskip(NEXT) | instid1(VALU_DEP_1)
	v_and_or_b32 v16, 0x8000, v16, v63
	v_lshl_or_b32 v63, v16, 16, v12
.LBB279_648:                            ;   in Loop: Header=BB279_10 Depth=1
	s_wait_alu 0xfffe
	s_or_b32 exec_lo, exec_lo, s19
.LBB279_649:                            ;   in Loop: Header=BB279_10 Depth=1
	s_wait_alu 0xfffe
	s_or_b32 exec_lo, exec_lo, s18
.LBB279_650:                            ;   in Loop: Header=BB279_10 Depth=1
	s_wait_alu 0xfffe
	s_or_b32 exec_lo, exec_lo, s3
	flat_load_b32 v12, v[20:21] offset:2560
	v_mov_b32_e32 v74, 0
	s_mov_b32 s3, exec_lo
	s_wait_loadcnt_dscnt 0x0
	v_dual_mov_b32 v73, 0 :: v_dual_and_b32 v16, 0xff, v12
	s_delay_alu instid0(VALU_DEP_1)
	v_cmpx_ne_u16_e32 0, v16
	s_cbranch_execz .LBB279_658
; %bb.651:                              ;   in Loop: Header=BB279_10 Depth=1
	v_mov_b32_e32 v74, 0x8000
	s_mov_b32 s18, exec_lo
	v_cmpx_ne_u16_e32 0x80, v16
	s_cbranch_execz .LBB279_657
; %bb.652:                              ;   in Loop: Header=BB279_10 Depth=1
	v_and_b32_e32 v75, 0x7f, v12
	v_mov_b32_e32 v74, 0x7c01
	s_mov_b32 s19, exec_lo
	s_delay_alu instid0(VALU_DEP_2)
	v_cmpx_ne_u32_e32 0x7f, v75
	s_cbranch_execz .LBB279_656
; %bb.653:                              ;   in Loop: Header=BB279_10 Depth=1
	v_and_b32_e32 v16, 7, v12
	v_lshrrev_b32_e32 v74, 3, v75
	s_mov_b32 s20, exec_lo
	v_cmpx_gt_u32_e32 8, v75
; %bb.654:                              ;   in Loop: Header=BB279_10 Depth=1
	s_delay_alu instid0(VALU_DEP_3) | instskip(NEXT) | instid1(VALU_DEP_1)
	v_clz_i32_u32_e32 v16, v16
	v_min_u32_e32 v16, 32, v16
	s_delay_alu instid0(VALU_DEP_1) | instskip(NEXT) | instid1(VALU_DEP_1)
	v_subrev_nc_u32_e32 v74, 28, v16
	v_lshlrev_b64_e32 v[75:76], v74, v[12:13]
	v_sub_nc_u32_e32 v74, 29, v16
	s_delay_alu instid0(VALU_DEP_2)
	v_and_b32_e32 v16, 7, v75
; %bb.655:                              ;   in Loop: Header=BB279_10 Depth=1
	s_wait_alu 0xfffe
	s_or_b32 exec_lo, exec_lo, s20
	v_lshlrev_b32_e32 v75, 8, v12
	v_lshl_add_u32 v74, v74, 10, 0x2000
	v_lshlrev_b32_e32 v16, 7, v16
	s_delay_alu instid0(VALU_DEP_3) | instskip(NEXT) | instid1(VALU_DEP_3)
	v_and_b32_e32 v75, 0x8000, v75
	v_and_b32_e32 v74, 0xfc00, v74
	s_delay_alu instid0(VALU_DEP_1)
	v_or3_b32 v74, v75, v74, v16
.LBB279_656:                            ;   in Loop: Header=BB279_10 Depth=1
	s_wait_alu 0xfffe
	s_or_b32 exec_lo, exec_lo, s19
.LBB279_657:                            ;   in Loop: Header=BB279_10 Depth=1
	s_wait_alu 0xfffe
	s_or_b32 exec_lo, exec_lo, s18
.LBB279_658:                            ;   in Loop: Header=BB279_10 Depth=1
	s_wait_alu 0xfffe
	s_or_b32 exec_lo, exec_lo, s3
	v_lshrrev_b16 v16, 8, v12
	s_mov_b32 s3, exec_lo
	s_delay_alu instid0(VALU_DEP_1)
	v_cmpx_ne_u16_e32 0, v16
	s_cbranch_execz .LBB279_666
; %bb.659:                              ;   in Loop: Header=BB279_10 Depth=1
	v_bfrev_b32_e32 v73, 1
	s_mov_b32 s18, exec_lo
	v_cmpx_ne_u16_e32 0x80, v16
	s_cbranch_execz .LBB279_665
; %bb.660:                              ;   in Loop: Header=BB279_10 Depth=1
	v_and_b32_e32 v75, 0xffff, v16
	v_mov_b32_e32 v73, 0x7c010000
	s_mov_b32 s19, exec_lo
	s_delay_alu instid0(VALU_DEP_2) | instskip(NEXT) | instid1(VALU_DEP_1)
	v_and_b32_e32 v77, 0x7f, v75
	v_cmpx_ne_u32_e32 0x7f, v77
	s_cbranch_execz .LBB279_664
; %bb.661:                              ;   in Loop: Header=BB279_10 Depth=1
	v_and_b32_e32 v73, 7, v75
	v_lshrrev_b32_e32 v76, 3, v77
	s_mov_b32 s20, exec_lo
	v_cmpx_gt_u32_e32 8, v77
; %bb.662:                              ;   in Loop: Header=BB279_10 Depth=1
	s_delay_alu instid0(VALU_DEP_3) | instskip(NEXT) | instid1(VALU_DEP_1)
	v_clz_i32_u32_e32 v73, v73
	v_min_u32_e32 v73, 32, v73
	s_delay_alu instid0(VALU_DEP_1) | instskip(NEXT) | instid1(VALU_DEP_1)
	v_subrev_nc_u32_e32 v76, 28, v73
	v_lshlrev_b64_e32 v[77:78], v76, v[16:17]
	v_sub_nc_u32_e32 v76, 29, v73
	s_delay_alu instid0(VALU_DEP_2)
	v_and_b32_e32 v73, 7, v77
; %bb.663:                              ;   in Loop: Header=BB279_10 Depth=1
	s_wait_alu 0xfffe
	s_or_b32 exec_lo, exec_lo, s20
	v_lshlrev_b32_e32 v16, 8, v75
	v_lshl_add_u32 v75, v76, 10, 0x2000
	v_lshlrev_b32_e32 v73, 23, v73
	s_delay_alu instid0(VALU_DEP_2) | instskip(NEXT) | instid1(VALU_DEP_1)
	v_and_or_b32 v16, 0x8000, v16, v75
	v_lshl_or_b32 v73, v16, 16, v73
.LBB279_664:                            ;   in Loop: Header=BB279_10 Depth=1
	s_wait_alu 0xfffe
	s_or_b32 exec_lo, exec_lo, s19
.LBB279_665:                            ;   in Loop: Header=BB279_10 Depth=1
	s_wait_alu 0xfffe
	s_or_b32 exec_lo, exec_lo, s18
.LBB279_666:                            ;   in Loop: Header=BB279_10 Depth=1
	s_wait_alu 0xfffe
	s_or_b32 exec_lo, exec_lo, s3
	v_lshrrev_b32_e32 v16, 16, v12
	v_mov_b32_e32 v75, 0
	s_mov_b32 s3, exec_lo
	s_delay_alu instid0(VALU_DEP_2) | instskip(NEXT) | instid1(VALU_DEP_1)
	v_dual_mov_b32 v76, 0 :: v_dual_and_b32 v77, 0xff, v16
	v_cmpx_ne_u16_e32 0, v77
	s_cbranch_execz .LBB279_674
; %bb.667:                              ;   in Loop: Header=BB279_10 Depth=1
	v_mov_b32_e32 v76, 0x8000
	s_mov_b32 s18, exec_lo
	v_cmpx_ne_u16_e32 0x80, v77
	s_cbranch_execz .LBB279_673
; %bb.668:                              ;   in Loop: Header=BB279_10 Depth=1
	v_bfe_u32 v78, v12, 16, 7
	v_mov_b32_e32 v76, 0x7c01
	s_mov_b32 s19, exec_lo
	s_delay_alu instid0(VALU_DEP_2)
	v_cmpx_ne_u32_e32 0x7f, v78
	s_cbranch_execz .LBB279_672
; %bb.669:                              ;   in Loop: Header=BB279_10 Depth=1
	v_and_b32_e32 v76, 7, v16
	v_lshrrev_b32_e32 v77, 3, v78
	s_mov_b32 s20, exec_lo
	v_cmpx_gt_u32_e32 8, v78
; %bb.670:                              ;   in Loop: Header=BB279_10 Depth=1
	s_delay_alu instid0(VALU_DEP_3) | instskip(NEXT) | instid1(VALU_DEP_1)
	v_clz_i32_u32_e32 v76, v76
	v_min_u32_e32 v78, 32, v76
	s_delay_alu instid0(VALU_DEP_1) | instskip(NEXT) | instid1(VALU_DEP_1)
	v_subrev_nc_u32_e32 v76, 28, v78
	v_lshlrev_b64_e32 v[76:77], v76, v[16:17]
	v_sub_nc_u32_e32 v77, 29, v78
	s_delay_alu instid0(VALU_DEP_2)
	v_and_b32_e32 v76, 7, v76
; %bb.671:                              ;   in Loop: Header=BB279_10 Depth=1
	s_wait_alu 0xfffe
	s_or_b32 exec_lo, exec_lo, s20
	v_lshlrev_b32_e32 v16, 8, v16
	v_lshl_add_u32 v77, v77, 10, 0x2000
	v_lshlrev_b32_e32 v76, 7, v76
	s_delay_alu instid0(VALU_DEP_3) | instskip(NEXT) | instid1(VALU_DEP_3)
	v_and_b32_e32 v16, 0x8000, v16
	v_and_b32_e32 v77, 0xfc00, v77
	s_delay_alu instid0(VALU_DEP_1)
	v_or3_b32 v76, v16, v77, v76
.LBB279_672:                            ;   in Loop: Header=BB279_10 Depth=1
	s_wait_alu 0xfffe
	s_or_b32 exec_lo, exec_lo, s19
.LBB279_673:                            ;   in Loop: Header=BB279_10 Depth=1
	s_wait_alu 0xfffe
	s_or_b32 exec_lo, exec_lo, s18
.LBB279_674:                            ;   in Loop: Header=BB279_10 Depth=1
	s_wait_alu 0xfffe
	s_or_b32 exec_lo, exec_lo, s3
	s_delay_alu instid0(SALU_CYCLE_1)
	s_mov_b32 s3, exec_lo
	v_cmpx_lt_u32_e32 0xffffff, v12
	s_cbranch_execz .LBB279_682
; %bb.675:                              ;   in Loop: Header=BB279_10 Depth=1
	v_lshrrev_b32_e32 v16, 24, v12
	v_bfrev_b32_e32 v75, 1
	s_mov_b32 s18, exec_lo
	s_delay_alu instid0(VALU_DEP_2)
	v_cmpx_ne_u32_e32 0x80, v16
	s_cbranch_execz .LBB279_681
; %bb.676:                              ;   in Loop: Header=BB279_10 Depth=1
	v_and_b32_e32 v77, 0x7f, v16
	v_mov_b32_e32 v75, 0x7c010000
	s_mov_b32 s19, exec_lo
	s_delay_alu instid0(VALU_DEP_2)
	v_cmpx_ne_u32_e32 0x7f, v77
	s_cbranch_execz .LBB279_680
; %bb.677:                              ;   in Loop: Header=BB279_10 Depth=1
	v_and_b32_e32 v12, 7, v16
	v_lshrrev_b32_e32 v75, 3, v77
	s_mov_b32 s20, exec_lo
	v_cmpx_gt_u32_e32 8, v77
; %bb.678:                              ;   in Loop: Header=BB279_10 Depth=1
	s_delay_alu instid0(VALU_DEP_3) | instskip(NEXT) | instid1(VALU_DEP_1)
	v_clz_i32_u32_e32 v12, v12
	v_min_u32_e32 v12, 32, v12
	s_delay_alu instid0(VALU_DEP_1) | instskip(NEXT) | instid1(VALU_DEP_1)
	v_subrev_nc_u32_e32 v75, 28, v12
	v_lshlrev_b64_e32 v[77:78], v75, v[16:17]
	v_sub_nc_u32_e32 v75, 29, v12
	s_delay_alu instid0(VALU_DEP_2)
	v_and_b32_e32 v12, 7, v77
; %bb.679:                              ;   in Loop: Header=BB279_10 Depth=1
	s_wait_alu 0xfffe
	s_or_b32 exec_lo, exec_lo, s20
	v_lshlrev_b32_e32 v16, 8, v16
	v_lshl_add_u32 v75, v75, 10, 0x2000
	v_lshlrev_b32_e32 v12, 23, v12
	s_delay_alu instid0(VALU_DEP_2) | instskip(NEXT) | instid1(VALU_DEP_1)
	v_and_or_b32 v16, 0x8000, v16, v75
	v_lshl_or_b32 v75, v16, 16, v12
.LBB279_680:                            ;   in Loop: Header=BB279_10 Depth=1
	s_wait_alu 0xfffe
	s_or_b32 exec_lo, exec_lo, s19
.LBB279_681:                            ;   in Loop: Header=BB279_10 Depth=1
	s_wait_alu 0xfffe
	s_or_b32 exec_lo, exec_lo, s18
.LBB279_682:                            ;   in Loop: Header=BB279_10 Depth=1
	s_wait_alu 0xfffe
	s_or_b32 exec_lo, exec_lo, s3
	flat_load_b32 v12, v[20:21] offset:2568
	v_mov_b32_e32 v78, 0
	s_mov_b32 s3, exec_lo
	s_wait_loadcnt_dscnt 0x0
	v_dual_mov_b32 v77, 0 :: v_dual_and_b32 v16, 0xff, v12
	s_delay_alu instid0(VALU_DEP_1)
	v_cmpx_ne_u16_e32 0, v16
	s_cbranch_execz .LBB279_690
; %bb.683:                              ;   in Loop: Header=BB279_10 Depth=1
	v_mov_b32_e32 v78, 0x8000
	s_mov_b32 s18, exec_lo
	v_cmpx_ne_u16_e32 0x80, v16
	s_cbranch_execz .LBB279_689
; %bb.684:                              ;   in Loop: Header=BB279_10 Depth=1
	v_and_b32_e32 v79, 0x7f, v12
	v_mov_b32_e32 v78, 0x7c01
	s_mov_b32 s19, exec_lo
	s_delay_alu instid0(VALU_DEP_2)
	v_cmpx_ne_u32_e32 0x7f, v79
	s_cbranch_execz .LBB279_688
; %bb.685:                              ;   in Loop: Header=BB279_10 Depth=1
	v_and_b32_e32 v16, 7, v12
	v_lshrrev_b32_e32 v78, 3, v79
	s_mov_b32 s20, exec_lo
	v_cmpx_gt_u32_e32 8, v79
; %bb.686:                              ;   in Loop: Header=BB279_10 Depth=1
	s_delay_alu instid0(VALU_DEP_3) | instskip(NEXT) | instid1(VALU_DEP_1)
	v_clz_i32_u32_e32 v16, v16
	v_min_u32_e32 v16, 32, v16
	s_delay_alu instid0(VALU_DEP_1) | instskip(NEXT) | instid1(VALU_DEP_1)
	v_subrev_nc_u32_e32 v78, 28, v16
	v_lshlrev_b64_e32 v[88:89], v78, v[12:13]
	v_sub_nc_u32_e32 v78, 29, v16
	s_delay_alu instid0(VALU_DEP_2)
	v_and_b32_e32 v16, 7, v88
; %bb.687:                              ;   in Loop: Header=BB279_10 Depth=1
	s_wait_alu 0xfffe
	s_or_b32 exec_lo, exec_lo, s20
	v_lshlrev_b32_e32 v79, 8, v12
	v_lshl_add_u32 v78, v78, 10, 0x2000
	v_lshlrev_b32_e32 v16, 7, v16
	s_delay_alu instid0(VALU_DEP_3) | instskip(NEXT) | instid1(VALU_DEP_3)
	v_and_b32_e32 v79, 0x8000, v79
	v_and_b32_e32 v78, 0xfc00, v78
	s_delay_alu instid0(VALU_DEP_1)
	v_or3_b32 v78, v79, v78, v16
.LBB279_688:                            ;   in Loop: Header=BB279_10 Depth=1
	s_wait_alu 0xfffe
	s_or_b32 exec_lo, exec_lo, s19
.LBB279_689:                            ;   in Loop: Header=BB279_10 Depth=1
	s_wait_alu 0xfffe
	s_or_b32 exec_lo, exec_lo, s18
.LBB279_690:                            ;   in Loop: Header=BB279_10 Depth=1
	s_wait_alu 0xfffe
	s_or_b32 exec_lo, exec_lo, s3
	v_lshrrev_b16 v16, 8, v12
	s_mov_b32 s3, exec_lo
	s_delay_alu instid0(VALU_DEP_1)
	v_cmpx_ne_u16_e32 0, v16
	s_cbranch_execz .LBB279_698
; %bb.691:                              ;   in Loop: Header=BB279_10 Depth=1
	v_bfrev_b32_e32 v77, 1
	s_mov_b32 s18, exec_lo
	v_cmpx_ne_u16_e32 0x80, v16
	s_cbranch_execz .LBB279_697
; %bb.692:                              ;   in Loop: Header=BB279_10 Depth=1
	v_and_b32_e32 v79, 0xffff, v16
	v_mov_b32_e32 v77, 0x7c010000
	s_mov_b32 s19, exec_lo
	s_delay_alu instid0(VALU_DEP_2) | instskip(NEXT) | instid1(VALU_DEP_1)
	v_and_b32_e32 v89, 0x7f, v79
	v_cmpx_ne_u32_e32 0x7f, v89
	s_cbranch_execz .LBB279_696
; %bb.693:                              ;   in Loop: Header=BB279_10 Depth=1
	v_and_b32_e32 v77, 7, v79
	v_lshrrev_b32_e32 v88, 3, v89
	s_mov_b32 s20, exec_lo
	v_cmpx_gt_u32_e32 8, v89
; %bb.694:                              ;   in Loop: Header=BB279_10 Depth=1
	s_delay_alu instid0(VALU_DEP_3) | instskip(NEXT) | instid1(VALU_DEP_1)
	v_clz_i32_u32_e32 v77, v77
	v_min_u32_e32 v77, 32, v77
	s_delay_alu instid0(VALU_DEP_1) | instskip(NEXT) | instid1(VALU_DEP_1)
	v_subrev_nc_u32_e32 v88, 28, v77
	v_lshlrev_b64_e32 v[89:90], v88, v[16:17]
	v_sub_nc_u32_e32 v88, 29, v77
	s_delay_alu instid0(VALU_DEP_2)
	v_and_b32_e32 v77, 7, v89
; %bb.695:                              ;   in Loop: Header=BB279_10 Depth=1
	s_wait_alu 0xfffe
	s_or_b32 exec_lo, exec_lo, s20
	v_lshlrev_b32_e32 v16, 8, v79
	v_lshl_add_u32 v79, v88, 10, 0x2000
	v_lshlrev_b32_e32 v77, 23, v77
	s_delay_alu instid0(VALU_DEP_2) | instskip(NEXT) | instid1(VALU_DEP_1)
	v_and_or_b32 v16, 0x8000, v16, v79
	v_lshl_or_b32 v77, v16, 16, v77
.LBB279_696:                            ;   in Loop: Header=BB279_10 Depth=1
	s_wait_alu 0xfffe
	s_or_b32 exec_lo, exec_lo, s19
.LBB279_697:                            ;   in Loop: Header=BB279_10 Depth=1
	s_wait_alu 0xfffe
	s_or_b32 exec_lo, exec_lo, s18
.LBB279_698:                            ;   in Loop: Header=BB279_10 Depth=1
	s_wait_alu 0xfffe
	s_or_b32 exec_lo, exec_lo, s3
	v_lshrrev_b32_e32 v16, 16, v12
	v_mov_b32_e32 v79, 0
	s_mov_b32 s3, exec_lo
	s_delay_alu instid0(VALU_DEP_2) | instskip(NEXT) | instid1(VALU_DEP_1)
	v_dual_mov_b32 v88, 0 :: v_dual_and_b32 v89, 0xff, v16
	v_cmpx_ne_u16_e32 0, v89
	s_cbranch_execz .LBB279_706
; %bb.699:                              ;   in Loop: Header=BB279_10 Depth=1
	v_mov_b32_e32 v88, 0x8000
	s_mov_b32 s18, exec_lo
	v_cmpx_ne_u16_e32 0x80, v89
	s_cbranch_execz .LBB279_705
; %bb.700:                              ;   in Loop: Header=BB279_10 Depth=1
	v_bfe_u32 v90, v12, 16, 7
	v_mov_b32_e32 v88, 0x7c01
	s_mov_b32 s19, exec_lo
	s_delay_alu instid0(VALU_DEP_2)
	v_cmpx_ne_u32_e32 0x7f, v90
	s_cbranch_execz .LBB279_704
; %bb.701:                              ;   in Loop: Header=BB279_10 Depth=1
	v_and_b32_e32 v88, 7, v16
	v_lshrrev_b32_e32 v89, 3, v90
	s_mov_b32 s20, exec_lo
	v_cmpx_gt_u32_e32 8, v90
; %bb.702:                              ;   in Loop: Header=BB279_10 Depth=1
	s_delay_alu instid0(VALU_DEP_3) | instskip(NEXT) | instid1(VALU_DEP_1)
	v_clz_i32_u32_e32 v88, v88
	v_min_u32_e32 v90, 32, v88
	s_delay_alu instid0(VALU_DEP_1) | instskip(NEXT) | instid1(VALU_DEP_1)
	v_subrev_nc_u32_e32 v88, 28, v90
	v_lshlrev_b64_e32 v[88:89], v88, v[16:17]
	v_sub_nc_u32_e32 v89, 29, v90
	s_delay_alu instid0(VALU_DEP_2)
	v_and_b32_e32 v88, 7, v88
; %bb.703:                              ;   in Loop: Header=BB279_10 Depth=1
	s_wait_alu 0xfffe
	s_or_b32 exec_lo, exec_lo, s20
	v_lshlrev_b32_e32 v16, 8, v16
	v_lshl_add_u32 v89, v89, 10, 0x2000
	v_lshlrev_b32_e32 v88, 7, v88
	s_delay_alu instid0(VALU_DEP_3) | instskip(NEXT) | instid1(VALU_DEP_3)
	v_and_b32_e32 v16, 0x8000, v16
	v_and_b32_e32 v89, 0xfc00, v89
	s_delay_alu instid0(VALU_DEP_1)
	v_or3_b32 v88, v16, v89, v88
.LBB279_704:                            ;   in Loop: Header=BB279_10 Depth=1
	s_wait_alu 0xfffe
	s_or_b32 exec_lo, exec_lo, s19
.LBB279_705:                            ;   in Loop: Header=BB279_10 Depth=1
	s_wait_alu 0xfffe
	s_or_b32 exec_lo, exec_lo, s18
.LBB279_706:                            ;   in Loop: Header=BB279_10 Depth=1
	s_wait_alu 0xfffe
	s_or_b32 exec_lo, exec_lo, s3
	s_delay_alu instid0(SALU_CYCLE_1)
	s_mov_b32 s3, exec_lo
	v_cmpx_lt_u32_e32 0xffffff, v12
	s_cbranch_execz .LBB279_714
; %bb.707:                              ;   in Loop: Header=BB279_10 Depth=1
	v_lshrrev_b32_e32 v16, 24, v12
	v_bfrev_b32_e32 v79, 1
	s_mov_b32 s18, exec_lo
	s_delay_alu instid0(VALU_DEP_2)
	v_cmpx_ne_u32_e32 0x80, v16
	s_cbranch_execz .LBB279_713
; %bb.708:                              ;   in Loop: Header=BB279_10 Depth=1
	v_and_b32_e32 v89, 0x7f, v16
	v_mov_b32_e32 v79, 0x7c010000
	s_mov_b32 s19, exec_lo
	s_delay_alu instid0(VALU_DEP_2)
	v_cmpx_ne_u32_e32 0x7f, v89
	s_cbranch_execz .LBB279_712
; %bb.709:                              ;   in Loop: Header=BB279_10 Depth=1
	v_and_b32_e32 v12, 7, v16
	v_lshrrev_b32_e32 v79, 3, v89
	s_mov_b32 s20, exec_lo
	v_cmpx_gt_u32_e32 8, v89
; %bb.710:                              ;   in Loop: Header=BB279_10 Depth=1
	s_delay_alu instid0(VALU_DEP_3) | instskip(NEXT) | instid1(VALU_DEP_1)
	v_clz_i32_u32_e32 v12, v12
	v_min_u32_e32 v12, 32, v12
	s_delay_alu instid0(VALU_DEP_1) | instskip(NEXT) | instid1(VALU_DEP_1)
	v_subrev_nc_u32_e32 v79, 28, v12
	v_lshlrev_b64_e32 v[89:90], v79, v[16:17]
	v_sub_nc_u32_e32 v79, 29, v12
	s_delay_alu instid0(VALU_DEP_2)
	v_and_b32_e32 v12, 7, v89
; %bb.711:                              ;   in Loop: Header=BB279_10 Depth=1
	s_wait_alu 0xfffe
	s_or_b32 exec_lo, exec_lo, s20
	v_lshlrev_b32_e32 v16, 8, v16
	v_lshl_add_u32 v79, v79, 10, 0x2000
	v_lshlrev_b32_e32 v12, 23, v12
	s_delay_alu instid0(VALU_DEP_2) | instskip(NEXT) | instid1(VALU_DEP_1)
	v_and_or_b32 v16, 0x8000, v16, v79
	v_lshl_or_b32 v79, v16, 16, v12
.LBB279_712:                            ;   in Loop: Header=BB279_10 Depth=1
	s_wait_alu 0xfffe
	s_or_b32 exec_lo, exec_lo, s19
.LBB279_713:                            ;   in Loop: Header=BB279_10 Depth=1
	s_wait_alu 0xfffe
	s_or_b32 exec_lo, exec_lo, s18
.LBB279_714:                            ;   in Loop: Header=BB279_10 Depth=1
	s_wait_alu 0xfffe
	s_or_b32 exec_lo, exec_lo, s3
	flat_load_b32 v12, v[20:21] offset:2816
	v_mov_b32_e32 v90, 0
	s_mov_b32 s3, exec_lo
	s_wait_loadcnt_dscnt 0x0
	v_dual_mov_b32 v89, 0 :: v_dual_and_b32 v16, 0xff, v12
	s_delay_alu instid0(VALU_DEP_1)
	v_cmpx_ne_u16_e32 0, v16
	s_cbranch_execz .LBB279_722
; %bb.715:                              ;   in Loop: Header=BB279_10 Depth=1
	v_mov_b32_e32 v90, 0x8000
	s_mov_b32 s18, exec_lo
	v_cmpx_ne_u16_e32 0x80, v16
	s_cbranch_execz .LBB279_721
; %bb.716:                              ;   in Loop: Header=BB279_10 Depth=1
	v_and_b32_e32 v91, 0x7f, v12
	v_mov_b32_e32 v90, 0x7c01
	s_mov_b32 s19, exec_lo
	s_delay_alu instid0(VALU_DEP_2)
	v_cmpx_ne_u32_e32 0x7f, v91
	s_cbranch_execz .LBB279_720
; %bb.717:                              ;   in Loop: Header=BB279_10 Depth=1
	v_and_b32_e32 v16, 7, v12
	v_lshrrev_b32_e32 v90, 3, v91
	s_mov_b32 s20, exec_lo
	v_cmpx_gt_u32_e32 8, v91
; %bb.718:                              ;   in Loop: Header=BB279_10 Depth=1
	s_delay_alu instid0(VALU_DEP_3) | instskip(NEXT) | instid1(VALU_DEP_1)
	v_clz_i32_u32_e32 v16, v16
	v_min_u32_e32 v16, 32, v16
	s_delay_alu instid0(VALU_DEP_1) | instskip(NEXT) | instid1(VALU_DEP_1)
	v_subrev_nc_u32_e32 v90, 28, v16
	v_lshlrev_b64_e32 v[91:92], v90, v[12:13]
	v_sub_nc_u32_e32 v90, 29, v16
	s_delay_alu instid0(VALU_DEP_2)
	v_and_b32_e32 v16, 7, v91
; %bb.719:                              ;   in Loop: Header=BB279_10 Depth=1
	s_wait_alu 0xfffe
	s_or_b32 exec_lo, exec_lo, s20
	v_lshlrev_b32_e32 v91, 8, v12
	v_lshl_add_u32 v90, v90, 10, 0x2000
	v_lshlrev_b32_e32 v16, 7, v16
	s_delay_alu instid0(VALU_DEP_3) | instskip(NEXT) | instid1(VALU_DEP_3)
	v_and_b32_e32 v91, 0x8000, v91
	v_and_b32_e32 v90, 0xfc00, v90
	s_delay_alu instid0(VALU_DEP_1)
	v_or3_b32 v90, v91, v90, v16
.LBB279_720:                            ;   in Loop: Header=BB279_10 Depth=1
	s_wait_alu 0xfffe
	s_or_b32 exec_lo, exec_lo, s19
.LBB279_721:                            ;   in Loop: Header=BB279_10 Depth=1
	s_wait_alu 0xfffe
	s_or_b32 exec_lo, exec_lo, s18
.LBB279_722:                            ;   in Loop: Header=BB279_10 Depth=1
	s_wait_alu 0xfffe
	s_or_b32 exec_lo, exec_lo, s3
	v_lshrrev_b16 v16, 8, v12
	s_mov_b32 s3, exec_lo
	s_delay_alu instid0(VALU_DEP_1)
	v_cmpx_ne_u16_e32 0, v16
	s_cbranch_execz .LBB279_730
; %bb.723:                              ;   in Loop: Header=BB279_10 Depth=1
	v_bfrev_b32_e32 v89, 1
	s_mov_b32 s18, exec_lo
	v_cmpx_ne_u16_e32 0x80, v16
	s_cbranch_execz .LBB279_729
; %bb.724:                              ;   in Loop: Header=BB279_10 Depth=1
	v_and_b32_e32 v91, 0xffff, v16
	v_mov_b32_e32 v89, 0x7c010000
	s_mov_b32 s19, exec_lo
	s_delay_alu instid0(VALU_DEP_2) | instskip(NEXT) | instid1(VALU_DEP_1)
	v_and_b32_e32 v93, 0x7f, v91
	v_cmpx_ne_u32_e32 0x7f, v93
	s_cbranch_execz .LBB279_728
; %bb.725:                              ;   in Loop: Header=BB279_10 Depth=1
	v_and_b32_e32 v89, 7, v91
	v_lshrrev_b32_e32 v92, 3, v93
	s_mov_b32 s20, exec_lo
	v_cmpx_gt_u32_e32 8, v93
; %bb.726:                              ;   in Loop: Header=BB279_10 Depth=1
	s_delay_alu instid0(VALU_DEP_3) | instskip(NEXT) | instid1(VALU_DEP_1)
	v_clz_i32_u32_e32 v89, v89
	v_min_u32_e32 v89, 32, v89
	s_delay_alu instid0(VALU_DEP_1) | instskip(NEXT) | instid1(VALU_DEP_1)
	v_subrev_nc_u32_e32 v92, 28, v89
	v_lshlrev_b64_e32 v[93:94], v92, v[16:17]
	v_sub_nc_u32_e32 v92, 29, v89
	s_delay_alu instid0(VALU_DEP_2)
	v_and_b32_e32 v89, 7, v93
; %bb.727:                              ;   in Loop: Header=BB279_10 Depth=1
	s_wait_alu 0xfffe
	s_or_b32 exec_lo, exec_lo, s20
	v_lshlrev_b32_e32 v16, 8, v91
	v_lshl_add_u32 v91, v92, 10, 0x2000
	v_lshlrev_b32_e32 v89, 23, v89
	s_delay_alu instid0(VALU_DEP_2) | instskip(NEXT) | instid1(VALU_DEP_1)
	v_and_or_b32 v16, 0x8000, v16, v91
	v_lshl_or_b32 v89, v16, 16, v89
.LBB279_728:                            ;   in Loop: Header=BB279_10 Depth=1
	s_wait_alu 0xfffe
	s_or_b32 exec_lo, exec_lo, s19
.LBB279_729:                            ;   in Loop: Header=BB279_10 Depth=1
	s_wait_alu 0xfffe
	s_or_b32 exec_lo, exec_lo, s18
.LBB279_730:                            ;   in Loop: Header=BB279_10 Depth=1
	s_wait_alu 0xfffe
	s_or_b32 exec_lo, exec_lo, s3
	v_lshrrev_b32_e32 v16, 16, v12
	v_mov_b32_e32 v91, 0
	s_mov_b32 s3, exec_lo
	s_delay_alu instid0(VALU_DEP_2) | instskip(NEXT) | instid1(VALU_DEP_1)
	v_dual_mov_b32 v92, 0 :: v_dual_and_b32 v93, 0xff, v16
	v_cmpx_ne_u16_e32 0, v93
	s_cbranch_execz .LBB279_738
; %bb.731:                              ;   in Loop: Header=BB279_10 Depth=1
	v_mov_b32_e32 v92, 0x8000
	s_mov_b32 s18, exec_lo
	v_cmpx_ne_u16_e32 0x80, v93
	s_cbranch_execz .LBB279_737
; %bb.732:                              ;   in Loop: Header=BB279_10 Depth=1
	v_bfe_u32 v94, v12, 16, 7
	v_mov_b32_e32 v92, 0x7c01
	s_mov_b32 s19, exec_lo
	s_delay_alu instid0(VALU_DEP_2)
	v_cmpx_ne_u32_e32 0x7f, v94
	s_cbranch_execz .LBB279_736
; %bb.733:                              ;   in Loop: Header=BB279_10 Depth=1
	v_and_b32_e32 v92, 7, v16
	v_lshrrev_b32_e32 v93, 3, v94
	s_mov_b32 s20, exec_lo
	v_cmpx_gt_u32_e32 8, v94
; %bb.734:                              ;   in Loop: Header=BB279_10 Depth=1
	s_delay_alu instid0(VALU_DEP_3) | instskip(NEXT) | instid1(VALU_DEP_1)
	v_clz_i32_u32_e32 v92, v92
	v_min_u32_e32 v94, 32, v92
	s_delay_alu instid0(VALU_DEP_1) | instskip(NEXT) | instid1(VALU_DEP_1)
	v_subrev_nc_u32_e32 v92, 28, v94
	v_lshlrev_b64_e32 v[92:93], v92, v[16:17]
	v_sub_nc_u32_e32 v93, 29, v94
	s_delay_alu instid0(VALU_DEP_2)
	v_and_b32_e32 v92, 7, v92
; %bb.735:                              ;   in Loop: Header=BB279_10 Depth=1
	s_wait_alu 0xfffe
	s_or_b32 exec_lo, exec_lo, s20
	v_lshlrev_b32_e32 v16, 8, v16
	v_lshl_add_u32 v93, v93, 10, 0x2000
	v_lshlrev_b32_e32 v92, 7, v92
	s_delay_alu instid0(VALU_DEP_3) | instskip(NEXT) | instid1(VALU_DEP_3)
	v_and_b32_e32 v16, 0x8000, v16
	v_and_b32_e32 v93, 0xfc00, v93
	s_delay_alu instid0(VALU_DEP_1)
	v_or3_b32 v92, v16, v93, v92
.LBB279_736:                            ;   in Loop: Header=BB279_10 Depth=1
	s_wait_alu 0xfffe
	s_or_b32 exec_lo, exec_lo, s19
.LBB279_737:                            ;   in Loop: Header=BB279_10 Depth=1
	s_wait_alu 0xfffe
	s_or_b32 exec_lo, exec_lo, s18
.LBB279_738:                            ;   in Loop: Header=BB279_10 Depth=1
	s_wait_alu 0xfffe
	s_or_b32 exec_lo, exec_lo, s3
	s_delay_alu instid0(SALU_CYCLE_1)
	s_mov_b32 s3, exec_lo
	v_cmpx_lt_u32_e32 0xffffff, v12
	s_cbranch_execz .LBB279_746
; %bb.739:                              ;   in Loop: Header=BB279_10 Depth=1
	v_lshrrev_b32_e32 v16, 24, v12
	v_bfrev_b32_e32 v91, 1
	s_mov_b32 s18, exec_lo
	s_delay_alu instid0(VALU_DEP_2)
	v_cmpx_ne_u32_e32 0x80, v16
	s_cbranch_execz .LBB279_745
; %bb.740:                              ;   in Loop: Header=BB279_10 Depth=1
	v_and_b32_e32 v93, 0x7f, v16
	v_mov_b32_e32 v91, 0x7c010000
	s_mov_b32 s19, exec_lo
	s_delay_alu instid0(VALU_DEP_2)
	v_cmpx_ne_u32_e32 0x7f, v93
	s_cbranch_execz .LBB279_744
; %bb.741:                              ;   in Loop: Header=BB279_10 Depth=1
	v_and_b32_e32 v12, 7, v16
	v_lshrrev_b32_e32 v91, 3, v93
	s_mov_b32 s20, exec_lo
	v_cmpx_gt_u32_e32 8, v93
; %bb.742:                              ;   in Loop: Header=BB279_10 Depth=1
	s_delay_alu instid0(VALU_DEP_3) | instskip(NEXT) | instid1(VALU_DEP_1)
	v_clz_i32_u32_e32 v12, v12
	v_min_u32_e32 v12, 32, v12
	s_delay_alu instid0(VALU_DEP_1) | instskip(NEXT) | instid1(VALU_DEP_1)
	v_subrev_nc_u32_e32 v91, 28, v12
	v_lshlrev_b64_e32 v[93:94], v91, v[16:17]
	v_sub_nc_u32_e32 v91, 29, v12
	s_delay_alu instid0(VALU_DEP_2)
	v_and_b32_e32 v12, 7, v93
; %bb.743:                              ;   in Loop: Header=BB279_10 Depth=1
	s_wait_alu 0xfffe
	s_or_b32 exec_lo, exec_lo, s20
	v_lshlrev_b32_e32 v16, 8, v16
	v_lshl_add_u32 v91, v91, 10, 0x2000
	v_lshlrev_b32_e32 v12, 23, v12
	s_delay_alu instid0(VALU_DEP_2) | instskip(NEXT) | instid1(VALU_DEP_1)
	v_and_or_b32 v16, 0x8000, v16, v91
	v_lshl_or_b32 v91, v16, 16, v12
.LBB279_744:                            ;   in Loop: Header=BB279_10 Depth=1
	s_wait_alu 0xfffe
	s_or_b32 exec_lo, exec_lo, s19
.LBB279_745:                            ;   in Loop: Header=BB279_10 Depth=1
	s_wait_alu 0xfffe
	s_or_b32 exec_lo, exec_lo, s18
.LBB279_746:                            ;   in Loop: Header=BB279_10 Depth=1
	s_wait_alu 0xfffe
	s_or_b32 exec_lo, exec_lo, s3
	flat_load_b32 v12, v[20:21] offset:2824
	v_mov_b32_e32 v20, 0
	s_mov_b32 s3, exec_lo
	s_wait_loadcnt_dscnt 0x0
	v_dual_mov_b32 v21, 0 :: v_dual_and_b32 v16, 0xff, v12
	s_delay_alu instid0(VALU_DEP_1)
	v_cmpx_ne_u16_e32 0, v16
	s_cbranch_execz .LBB279_754
; %bb.747:                              ;   in Loop: Header=BB279_10 Depth=1
	v_mov_b32_e32 v21, 0x8000
	s_mov_b32 s18, exec_lo
	v_cmpx_ne_u16_e32 0x80, v16
	s_cbranch_execz .LBB279_753
; %bb.748:                              ;   in Loop: Header=BB279_10 Depth=1
	v_and_b32_e32 v93, 0x7f, v12
	v_mov_b32_e32 v21, 0x7c01
	s_mov_b32 s19, exec_lo
	s_delay_alu instid0(VALU_DEP_2)
	v_cmpx_ne_u32_e32 0x7f, v93
	s_cbranch_execz .LBB279_752
; %bb.749:                              ;   in Loop: Header=BB279_10 Depth=1
	v_and_b32_e32 v16, 7, v12
	v_lshrrev_b32_e32 v21, 3, v93
	s_mov_b32 s20, exec_lo
	v_cmpx_gt_u32_e32 8, v93
; %bb.750:                              ;   in Loop: Header=BB279_10 Depth=1
	s_delay_alu instid0(VALU_DEP_3) | instskip(NEXT) | instid1(VALU_DEP_1)
	v_clz_i32_u32_e32 v16, v16
	v_min_u32_e32 v16, 32, v16
	s_delay_alu instid0(VALU_DEP_1) | instskip(NEXT) | instid1(VALU_DEP_1)
	v_subrev_nc_u32_e32 v21, 28, v16
	v_lshlrev_b64_e32 v[93:94], v21, v[12:13]
	v_sub_nc_u32_e32 v21, 29, v16
	s_delay_alu instid0(VALU_DEP_2)
	v_and_b32_e32 v16, 7, v93
; %bb.751:                              ;   in Loop: Header=BB279_10 Depth=1
	s_wait_alu 0xfffe
	s_or_b32 exec_lo, exec_lo, s20
	v_lshlrev_b32_e32 v93, 8, v12
	v_lshl_add_u32 v21, v21, 10, 0x2000
	v_lshlrev_b32_e32 v16, 7, v16
	s_delay_alu instid0(VALU_DEP_3) | instskip(NEXT) | instid1(VALU_DEP_3)
	v_and_b32_e32 v93, 0x8000, v93
	v_and_b32_e32 v21, 0xfc00, v21
	s_delay_alu instid0(VALU_DEP_1)
	v_or3_b32 v21, v93, v21, v16
.LBB279_752:                            ;   in Loop: Header=BB279_10 Depth=1
	s_wait_alu 0xfffe
	s_or_b32 exec_lo, exec_lo, s19
.LBB279_753:                            ;   in Loop: Header=BB279_10 Depth=1
	s_wait_alu 0xfffe
	s_or_b32 exec_lo, exec_lo, s18
.LBB279_754:                            ;   in Loop: Header=BB279_10 Depth=1
	s_wait_alu 0xfffe
	s_or_b32 exec_lo, exec_lo, s3
	v_lshrrev_b16 v16, 8, v12
	s_mov_b32 s3, exec_lo
	s_delay_alu instid0(VALU_DEP_1)
	v_cmpx_ne_u16_e32 0, v16
	s_cbranch_execz .LBB279_762
; %bb.755:                              ;   in Loop: Header=BB279_10 Depth=1
	v_bfrev_b32_e32 v20, 1
	s_mov_b32 s18, exec_lo
	v_cmpx_ne_u16_e32 0x80, v16
	s_cbranch_execz .LBB279_761
; %bb.756:                              ;   in Loop: Header=BB279_10 Depth=1
	v_and_b32_e32 v93, 0xffff, v16
	v_mov_b32_e32 v20, 0x7c010000
	s_mov_b32 s19, exec_lo
	s_delay_alu instid0(VALU_DEP_2) | instskip(NEXT) | instid1(VALU_DEP_1)
	v_and_b32_e32 v95, 0x7f, v93
	v_cmpx_ne_u32_e32 0x7f, v95
	s_cbranch_execz .LBB279_760
; %bb.757:                              ;   in Loop: Header=BB279_10 Depth=1
	v_and_b32_e32 v20, 7, v93
	v_lshrrev_b32_e32 v94, 3, v95
	s_mov_b32 s20, exec_lo
	v_cmpx_gt_u32_e32 8, v95
; %bb.758:                              ;   in Loop: Header=BB279_10 Depth=1
	s_delay_alu instid0(VALU_DEP_3) | instskip(NEXT) | instid1(VALU_DEP_1)
	v_clz_i32_u32_e32 v20, v20
	v_min_u32_e32 v20, 32, v20
	s_delay_alu instid0(VALU_DEP_1) | instskip(NEXT) | instid1(VALU_DEP_1)
	v_subrev_nc_u32_e32 v94, 28, v20
	v_lshlrev_b64_e32 v[104:105], v94, v[16:17]
	v_sub_nc_u32_e32 v94, 29, v20
	s_delay_alu instid0(VALU_DEP_2)
	v_and_b32_e32 v20, 7, v104
; %bb.759:                              ;   in Loop: Header=BB279_10 Depth=1
	s_wait_alu 0xfffe
	s_or_b32 exec_lo, exec_lo, s20
	v_lshlrev_b32_e32 v16, 8, v93
	v_lshl_add_u32 v93, v94, 10, 0x2000
	v_lshlrev_b32_e32 v20, 23, v20
	s_delay_alu instid0(VALU_DEP_2) | instskip(NEXT) | instid1(VALU_DEP_1)
	v_and_or_b32 v16, 0x8000, v16, v93
	v_lshl_or_b32 v20, v16, 16, v20
.LBB279_760:                            ;   in Loop: Header=BB279_10 Depth=1
	s_wait_alu 0xfffe
	s_or_b32 exec_lo, exec_lo, s19
.LBB279_761:                            ;   in Loop: Header=BB279_10 Depth=1
	s_wait_alu 0xfffe
	s_or_b32 exec_lo, exec_lo, s18
.LBB279_762:                            ;   in Loop: Header=BB279_10 Depth=1
	s_wait_alu 0xfffe
	s_or_b32 exec_lo, exec_lo, s3
	v_lshrrev_b32_e32 v16, 16, v12
	v_mov_b32_e32 v93, 0
	s_mov_b32 s3, exec_lo
	s_delay_alu instid0(VALU_DEP_2) | instskip(NEXT) | instid1(VALU_DEP_1)
	v_dual_mov_b32 v94, 0 :: v_dual_and_b32 v95, 0xff, v16
	v_cmpx_ne_u16_e32 0, v95
	s_cbranch_execz .LBB279_770
; %bb.763:                              ;   in Loop: Header=BB279_10 Depth=1
	v_mov_b32_e32 v94, 0x8000
	s_mov_b32 s18, exec_lo
	v_cmpx_ne_u16_e32 0x80, v95
	s_cbranch_execz .LBB279_769
; %bb.764:                              ;   in Loop: Header=BB279_10 Depth=1
	v_bfe_u32 v104, v12, 16, 7
	v_mov_b32_e32 v94, 0x7c01
	s_mov_b32 s19, exec_lo
	s_delay_alu instid0(VALU_DEP_2)
	v_cmpx_ne_u32_e32 0x7f, v104
	s_cbranch_execz .LBB279_768
; %bb.765:                              ;   in Loop: Header=BB279_10 Depth=1
	v_and_b32_e32 v94, 7, v16
	v_lshrrev_b32_e32 v95, 3, v104
	s_mov_b32 s20, exec_lo
	v_cmpx_gt_u32_e32 8, v104
; %bb.766:                              ;   in Loop: Header=BB279_10 Depth=1
	s_delay_alu instid0(VALU_DEP_3) | instskip(NEXT) | instid1(VALU_DEP_1)
	v_clz_i32_u32_e32 v94, v94
	v_min_u32_e32 v104, 32, v94
	s_delay_alu instid0(VALU_DEP_1) | instskip(NEXT) | instid1(VALU_DEP_1)
	v_subrev_nc_u32_e32 v94, 28, v104
	v_lshlrev_b64_e32 v[94:95], v94, v[16:17]
	v_sub_nc_u32_e32 v95, 29, v104
	s_delay_alu instid0(VALU_DEP_2)
	v_and_b32_e32 v94, 7, v94
; %bb.767:                              ;   in Loop: Header=BB279_10 Depth=1
	s_wait_alu 0xfffe
	s_or_b32 exec_lo, exec_lo, s20
	v_lshlrev_b32_e32 v16, 8, v16
	v_lshl_add_u32 v95, v95, 10, 0x2000
	v_lshlrev_b32_e32 v94, 7, v94
	s_delay_alu instid0(VALU_DEP_3) | instskip(NEXT) | instid1(VALU_DEP_3)
	v_and_b32_e32 v16, 0x8000, v16
	v_and_b32_e32 v95, 0xfc00, v95
	s_delay_alu instid0(VALU_DEP_1)
	v_or3_b32 v94, v16, v95, v94
.LBB279_768:                            ;   in Loop: Header=BB279_10 Depth=1
	s_wait_alu 0xfffe
	s_or_b32 exec_lo, exec_lo, s19
.LBB279_769:                            ;   in Loop: Header=BB279_10 Depth=1
	s_wait_alu 0xfffe
	s_or_b32 exec_lo, exec_lo, s18
.LBB279_770:                            ;   in Loop: Header=BB279_10 Depth=1
	s_wait_alu 0xfffe
	s_or_b32 exec_lo, exec_lo, s3
	s_delay_alu instid0(SALU_CYCLE_1)
	s_mov_b32 s3, exec_lo
	v_cmpx_lt_u32_e32 0xffffff, v12
	s_cbranch_execz .LBB279_778
; %bb.771:                              ;   in Loop: Header=BB279_10 Depth=1
	v_lshrrev_b32_e32 v16, 24, v12
	v_bfrev_b32_e32 v93, 1
	s_mov_b32 s18, exec_lo
	s_delay_alu instid0(VALU_DEP_2)
	v_cmpx_ne_u32_e32 0x80, v16
	s_cbranch_execz .LBB279_777
; %bb.772:                              ;   in Loop: Header=BB279_10 Depth=1
	v_and_b32_e32 v95, 0x7f, v16
	v_mov_b32_e32 v93, 0x7c010000
	s_mov_b32 s19, exec_lo
	s_delay_alu instid0(VALU_DEP_2)
	v_cmpx_ne_u32_e32 0x7f, v95
	s_cbranch_execz .LBB279_776
; %bb.773:                              ;   in Loop: Header=BB279_10 Depth=1
	v_and_b32_e32 v12, 7, v16
	v_lshrrev_b32_e32 v93, 3, v95
	s_mov_b32 s20, exec_lo
	v_cmpx_gt_u32_e32 8, v95
; %bb.774:                              ;   in Loop: Header=BB279_10 Depth=1
	s_delay_alu instid0(VALU_DEP_3) | instskip(NEXT) | instid1(VALU_DEP_1)
	v_clz_i32_u32_e32 v12, v12
	v_min_u32_e32 v12, 32, v12
	s_delay_alu instid0(VALU_DEP_1) | instskip(NEXT) | instid1(VALU_DEP_1)
	v_subrev_nc_u32_e32 v93, 28, v12
	v_lshlrev_b64_e32 v[104:105], v93, v[16:17]
	v_sub_nc_u32_e32 v93, 29, v12
	s_delay_alu instid0(VALU_DEP_2)
	v_and_b32_e32 v12, 7, v104
; %bb.775:                              ;   in Loop: Header=BB279_10 Depth=1
	s_wait_alu 0xfffe
	s_or_b32 exec_lo, exec_lo, s20
	v_lshlrev_b32_e32 v16, 8, v16
	v_lshl_add_u32 v93, v93, 10, 0x2000
	v_lshlrev_b32_e32 v12, 23, v12
	s_delay_alu instid0(VALU_DEP_2) | instskip(NEXT) | instid1(VALU_DEP_1)
	v_and_or_b32 v16, 0x8000, v16, v93
	v_lshl_or_b32 v93, v16, 16, v12
.LBB279_776:                            ;   in Loop: Header=BB279_10 Depth=1
	s_wait_alu 0xfffe
	s_or_b32 exec_lo, exec_lo, s19
.LBB279_777:                            ;   in Loop: Header=BB279_10 Depth=1
	s_wait_alu 0xfffe
	s_or_b32 exec_lo, exec_lo, s18
.LBB279_778:                            ;   in Loop: Header=BB279_10 Depth=1
	s_wait_alu 0xfffe
	s_or_b32 exec_lo, exec_lo, s3
	ds_load_b64 v[104:105], v51
	v_or_b32_e32 v12, v65, v66
	v_or_b32_e32 v16, v67, v68
	;; [unrolled: 1-line block ×3, first 2 shown]
	v_fma_mixlo_f16 v65, v64, v65, 0 op_sel:[0,1,0] op_sel_hi:[0,1,0]
	v_fma_mixlo_f16 v67, v64, v67, 0 op_sel:[0,1,0] op_sel_hi:[0,1,0]
	v_fma_mixlo_f16 v12, v64, v12, 0 op_sel_hi:[0,1,0]
	v_fma_mixlo_f16 v16, v64, v16, 0 op_sel_hi:[0,1,0]
	;; [unrolled: 1-line block ×3, first 2 shown]
	v_or_b32_e32 v21, v20, v21
	v_and_b32_e32 v107, 0xffff, v67
	v_and_b32_e32 v12, 0xffff, v12
	v_and_b32_e32 v108, 0xffff, v16
	v_and_b32_e32 v109, 0xffff, v66
	v_fma_mixlo_f16 v20, v64, v20, 0 op_sel:[0,1,0] op_sel_hi:[0,1,0]
	v_fma_mixlo_f16 v21, v64, v21, 0 op_sel_hi:[0,1,0]
	s_wait_dscnt 0x0
	v_lshrrev_b32_e32 v95, 16, v104
	v_and_b32_e32 v104, 0xffff, v104
	v_lshrrev_b32_e32 v106, 16, v105
	v_and_b32_e32 v105, 0xffff, v105
	;;#ASMSTART
	v_cvt_f32_f16 v16, v104;
	;;#ASMEND
	;;#ASMSTART
	v_cvt_f32_f16 v67, v95;
	;;#ASMEND
	;; [unrolled: 3-line block ×3, first 2 shown]
	v_and_b32_e32 v65, 0xffff, v65
	;;#ASMSTART
	v_cvt_f32_f16 v70, v65;
	;;#ASMEND
	;;#ASMSTART
	v_cvt_f32_f16 v95, v105;
	;;#ASMEND
	;; [unrolled: 3-line block ×5, first 2 shown]
	ds_load_b64 v[65:66], v51 offset:8
	s_wait_dscnt 0x0
	v_and_b32_e32 v12, 0xffff, v65
	;;#ASMSTART
	v_cvt_f32_f16 v12, v12;
	;;#ASMEND
	v_lshrrev_b32_e32 v65, 16, v65
	;;#ASMSTART
	v_cvt_f32_f16 v65, v65;
	;;#ASMEND
	;;#ASMSTART
	v_cvt_f32_f16 v107, v109;
	;;#ASMEND
	v_mul_f32_e32 v12, v12, v107
	s_delay_alu instid0(VALU_DEP_1) | instskip(SKIP_1) | instid1(VALU_DEP_1)
	v_fmac_f32_e32 v12, v16, v68
	v_fma_mixlo_f16 v16, v64, v69, 0 op_sel:[0,1,0] op_sel_hi:[0,1,0]
	v_and_b32_e32 v16, 0xffff, v16
	;;#ASMSTART
	v_cvt_f32_f16 v16, v16;
	;;#ASMEND
	s_delay_alu instid0(VALU_DEP_1) | instskip(SKIP_1) | instid1(VALU_DEP_2)
	v_mul_f32_e32 v16, v65, v16
	v_or_b32_e32 v65, v71, v80
	v_fmac_f32_e32 v16, v67, v70
	s_delay_alu instid0(VALU_DEP_2) | instskip(SKIP_2) | instid1(VALU_DEP_3)
	v_fma_mixlo_f16 v65, v64, v65, 0 op_sel_hi:[0,1,0]
	v_lshrrev_b32_e32 v67, 16, v66
	v_and_b32_e32 v66, 0xffff, v66
	v_and_b32_e32 v68, 0xffff, v65
	;;#ASMSTART
	v_cvt_f32_f16 v65, v66;
	;;#ASMEND
	;;#ASMSTART
	v_cvt_f32_f16 v66, v67;
	;;#ASMEND
	;; [unrolled: 3-line block ×3, first 2 shown]
	v_mul_f32_e32 v65, v65, v67
	v_fma_mixlo_f16 v67, v64, v71, 0 op_sel:[0,1,0] op_sel_hi:[0,1,0]
	s_delay_alu instid0(VALU_DEP_2) | instskip(NEXT) | instid1(VALU_DEP_2)
	v_fmac_f32_e32 v65, v95, v105
	v_and_b32_e32 v67, 0xffff, v67
	;;#ASMSTART
	v_cvt_f32_f16 v67, v67;
	;;#ASMEND
	s_delay_alu instid0(VALU_DEP_1) | instskip(SKIP_1) | instid1(VALU_DEP_1)
	v_mul_f32_e32 v66, v66, v67
	v_or_b32_e32 v67, v81, v82
	v_fma_mixlo_f16 v67, v64, v67, 0 op_sel_hi:[0,1,0]
	s_delay_alu instid0(VALU_DEP_1)
	v_and_b32_e32 v70, 0xffff, v67
	ds_load_b64 v[67:68], v51 offset:16
	s_wait_dscnt 0x0
	v_dual_fmac_f32 v66, v104, v106 :: v_dual_and_b32 v69, 0xffff, v67
	;;#ASMSTART
	v_cvt_f32_f16 v69, v69;
	;;#ASMEND
	v_lshrrev_b32_e32 v67, 16, v67
	;;#ASMSTART
	v_cvt_f32_f16 v67, v67;
	;;#ASMEND
	;;#ASMSTART
	v_cvt_f32_f16 v70, v70;
	;;#ASMEND
	v_fmac_f32_e32 v12, v69, v70
	v_fma_mixlo_f16 v69, v64, v81, 0 op_sel:[0,1,0] op_sel_hi:[0,1,0]
	s_delay_alu instid0(VALU_DEP_1) | instskip(SKIP_1) | instid1(VALU_DEP_1)
	v_and_b32_e32 v69, 0xffff, v69
	;;#ASMSTART
	v_cvt_f32_f16 v69, v69;
	;;#ASMEND
	v_fmac_f32_e32 v16, v67, v69
	v_or_b32_e32 v67, v83, v84
	v_lshrrev_b32_e32 v69, 16, v68
	v_and_b32_e32 v68, 0xffff, v68
	s_delay_alu instid0(VALU_DEP_3) | instskip(NEXT) | instid1(VALU_DEP_1)
	v_fma_mixlo_f16 v67, v64, v67, 0 op_sel_hi:[0,1,0]
	v_and_b32_e32 v70, 0xffff, v67
	;;#ASMSTART
	v_cvt_f32_f16 v67, v68;
	;;#ASMEND
	;;#ASMSTART
	v_cvt_f32_f16 v68, v69;
	;;#ASMEND
	;;#ASMSTART
	v_cvt_f32_f16 v69, v70;
	;;#ASMEND
	v_fmac_f32_e32 v65, v67, v69
	v_fma_mixlo_f16 v67, v64, v83, 0 op_sel:[0,1,0] op_sel_hi:[0,1,0]
	s_delay_alu instid0(VALU_DEP_1) | instskip(SKIP_1) | instid1(VALU_DEP_1)
	v_and_b32_e32 v67, 0xffff, v67
	;;#ASMSTART
	v_cvt_f32_f16 v67, v67;
	;;#ASMEND
	v_fmac_f32_e32 v66, v68, v67
	v_or_b32_e32 v67, v85, v86
	s_delay_alu instid0(VALU_DEP_1) | instskip(NEXT) | instid1(VALU_DEP_1)
	v_fma_mixlo_f16 v67, v64, v67, 0 op_sel_hi:[0,1,0]
	v_and_b32_e32 v70, 0xffff, v67
	ds_load_b64 v[67:68], v51 offset:24
	s_wait_dscnt 0x0
	v_and_b32_e32 v69, 0xffff, v67
	;;#ASMSTART
	v_cvt_f32_f16 v69, v69;
	;;#ASMEND
	v_lshrrev_b32_e32 v67, 16, v67
	;;#ASMSTART
	v_cvt_f32_f16 v67, v67;
	;;#ASMEND
	;;#ASMSTART
	v_cvt_f32_f16 v70, v70;
	;;#ASMEND
	v_fmac_f32_e32 v12, v69, v70
	v_fma_mixlo_f16 v69, v64, v85, 0 op_sel:[0,1,0] op_sel_hi:[0,1,0]
	s_delay_alu instid0(VALU_DEP_1) | instskip(SKIP_1) | instid1(VALU_DEP_1)
	v_and_b32_e32 v69, 0xffff, v69
	;;#ASMSTART
	v_cvt_f32_f16 v69, v69;
	;;#ASMEND
	v_fmac_f32_e32 v16, v67, v69
	v_or_b32_e32 v67, v87, v96
	v_lshrrev_b32_e32 v69, 16, v68
	v_and_b32_e32 v68, 0xffff, v68
	s_delay_alu instid0(VALU_DEP_3) | instskip(NEXT) | instid1(VALU_DEP_1)
	v_fma_mixlo_f16 v67, v64, v67, 0 op_sel_hi:[0,1,0]
	v_and_b32_e32 v70, 0xffff, v67
	;;#ASMSTART
	v_cvt_f32_f16 v67, v68;
	;;#ASMEND
	;;#ASMSTART
	v_cvt_f32_f16 v68, v69;
	;;#ASMEND
	;;#ASMSTART
	v_cvt_f32_f16 v69, v70;
	;;#ASMEND
	v_fmac_f32_e32 v65, v67, v69
	v_fma_mixlo_f16 v67, v64, v87, 0 op_sel:[0,1,0] op_sel_hi:[0,1,0]
	s_delay_alu instid0(VALU_DEP_1) | instskip(SKIP_1) | instid1(VALU_DEP_1)
	v_and_b32_e32 v67, 0xffff, v67
	;;#ASMSTART
	v_cvt_f32_f16 v67, v67;
	;;#ASMEND
	v_fmac_f32_e32 v66, v68, v67
	v_or_b32_e32 v67, v97, v98
	s_delay_alu instid0(VALU_DEP_1) | instskip(NEXT) | instid1(VALU_DEP_1)
	v_fma_mixlo_f16 v67, v64, v67, 0 op_sel_hi:[0,1,0]
	v_and_b32_e32 v70, 0xffff, v67
	ds_load_b64 v[67:68], v51 offset:32
	s_wait_dscnt 0x0
	v_and_b32_e32 v69, 0xffff, v67
	;; [unrolled: 48-line block ×8, first 2 shown]
	;;#ASMSTART
	v_cvt_f32_f16 v69, v69;
	;;#ASMEND
	v_lshrrev_b32_e32 v67, 16, v67
	;;#ASMSTART
	v_cvt_f32_f16 v67, v67;
	;;#ASMEND
	;;#ASMSTART
	v_cvt_f32_f16 v70, v70;
	;;#ASMEND
	v_fmac_f32_e32 v12, v69, v70
	v_fma_mixlo_f16 v69, v64, v145, 0 op_sel:[0,1,0] op_sel_hi:[0,1,0]
	s_delay_alu instid0(VALU_DEP_1) | instskip(SKIP_1) | instid1(VALU_DEP_1)
	v_and_b32_e32 v69, 0xffff, v69
	;;#ASMSTART
	v_cvt_f32_f16 v69, v69;
	;;#ASMEND
	v_fmac_f32_e32 v16, v67, v69
	v_or_b32_e32 v67, v147, v148
	v_lshrrev_b32_e32 v69, 16, v68
	v_and_b32_e32 v68, 0xffff, v68
	s_delay_alu instid0(VALU_DEP_3) | instskip(NEXT) | instid1(VALU_DEP_1)
	v_fma_mixlo_f16 v67, v64, v67, 0 op_sel_hi:[0,1,0]
	v_and_b32_e32 v70, 0xffff, v67
	;;#ASMSTART
	v_cvt_f32_f16 v67, v68;
	;;#ASMEND
	;;#ASMSTART
	v_cvt_f32_f16 v68, v69;
	;;#ASMEND
	;;#ASMSTART
	v_cvt_f32_f16 v69, v70;
	;;#ASMEND
	v_fmac_f32_e32 v65, v67, v69
	v_fma_mixlo_f16 v67, v64, v147, 0 op_sel:[0,1,0] op_sel_hi:[0,1,0]
	s_delay_alu instid0(VALU_DEP_1) | instskip(SKIP_1) | instid1(VALU_DEP_1)
	v_and_b32_e32 v67, 0xffff, v67
	;;#ASMSTART
	v_cvt_f32_f16 v67, v67;
	;;#ASMEND
	v_fmac_f32_e32 v66, v68, v67
	v_or_b32_e32 v67, v149, v150
	s_delay_alu instid0(VALU_DEP_1)
	v_fma_mixlo_f16 v69, v64, v67, 0 op_sel_hi:[0,1,0]
	ds_load_b64 v[67:68], v51 offset:88
	v_and_b32_e32 v69, 0xffff, v69
	s_wait_dscnt 0x0
	v_and_b32_e32 v70, 0xffff, v67
	v_lshrrev_b32_e32 v67, 16, v67
	;;#ASMSTART
	v_cvt_f32_f16 v70, v70;
	;;#ASMEND
	;;#ASMSTART
	v_cvt_f32_f16 v67, v67;
	;;#ASMEND
	;;#ASMSTART
	v_cvt_f32_f16 v69, v69;
	;;#ASMEND
	v_fmac_f32_e32 v12, v70, v69
	v_fma_mixlo_f16 v69, v64, v149, 0 op_sel:[0,1,0] op_sel_hi:[0,1,0]
	s_delay_alu instid0(VALU_DEP_1) | instskip(SKIP_1) | instid1(VALU_DEP_1)
	v_and_b32_e32 v69, 0xffff, v69
	;;#ASMSTART
	v_cvt_f32_f16 v69, v69;
	;;#ASMEND
	v_fmac_f32_e32 v16, v67, v69
	v_or_b32_e32 v67, v151, v160
	v_lshrrev_b32_e32 v69, 16, v68
	v_and_b32_e32 v68, 0xffff, v68
	s_delay_alu instid0(VALU_DEP_3) | instskip(NEXT) | instid1(VALU_DEP_1)
	v_fma_mixlo_f16 v67, v64, v67, 0 op_sel_hi:[0,1,0]
	v_and_b32_e32 v70, 0xffff, v67
	;;#ASMSTART
	v_cvt_f32_f16 v67, v68;
	;;#ASMEND
	;;#ASMSTART
	v_cvt_f32_f16 v68, v69;
	;;#ASMEND
	;;#ASMSTART
	v_cvt_f32_f16 v69, v70;
	;;#ASMEND
	v_fmac_f32_e32 v65, v67, v69
	v_fma_mixlo_f16 v67, v64, v151, 0 op_sel:[0,1,0] op_sel_hi:[0,1,0]
	s_delay_alu instid0(VALU_DEP_1) | instskip(SKIP_1) | instid1(VALU_DEP_1)
	v_and_b32_e32 v67, 0xffff, v67
	;;#ASMSTART
	v_cvt_f32_f16 v67, v67;
	;;#ASMEND
	v_fmac_f32_e32 v66, v68, v67
	v_or_b32_e32 v67, v161, v162
	s_delay_alu instid0(VALU_DEP_1)
	v_fma_mixlo_f16 v69, v64, v67, 0 op_sel_hi:[0,1,0]
	ds_load_b64 v[67:68], v51 offset:96
	v_and_b32_e32 v69, 0xffff, v69
	s_wait_dscnt 0x0
	v_and_b32_e32 v70, 0xffff, v67
	v_lshrrev_b32_e32 v67, 16, v67
	;;#ASMSTART
	v_cvt_f32_f16 v70, v70;
	;;#ASMEND
	;;#ASMSTART
	v_cvt_f32_f16 v67, v67;
	;;#ASMEND
	;;#ASMSTART
	v_cvt_f32_f16 v69, v69;
	;;#ASMEND
	v_fmac_f32_e32 v12, v70, v69
	v_fma_mixlo_f16 v69, v64, v161, 0 op_sel:[0,1,0] op_sel_hi:[0,1,0]
	s_delay_alu instid0(VALU_DEP_1) | instskip(SKIP_1) | instid1(VALU_DEP_1)
	v_and_b32_e32 v69, 0xffff, v69
	;;#ASMSTART
	v_cvt_f32_f16 v69, v69;
	;;#ASMEND
	v_fmac_f32_e32 v16, v67, v69
	v_or_b32_e32 v67, v163, v164
	v_lshrrev_b32_e32 v69, 16, v68
	v_and_b32_e32 v68, 0xffff, v68
	s_delay_alu instid0(VALU_DEP_3) | instskip(NEXT) | instid1(VALU_DEP_1)
	v_fma_mixlo_f16 v67, v64, v67, 0 op_sel_hi:[0,1,0]
	v_and_b32_e32 v70, 0xffff, v67
	;;#ASMSTART
	v_cvt_f32_f16 v67, v68;
	;;#ASMEND
	;;#ASMSTART
	v_cvt_f32_f16 v68, v69;
	;;#ASMEND
	;;#ASMSTART
	v_cvt_f32_f16 v69, v70;
	;;#ASMEND
	v_fmac_f32_e32 v65, v67, v69
	v_fma_mixlo_f16 v67, v64, v163, 0 op_sel:[0,1,0] op_sel_hi:[0,1,0]
	s_delay_alu instid0(VALU_DEP_1) | instskip(SKIP_1) | instid1(VALU_DEP_1)
	v_and_b32_e32 v67, 0xffff, v67
	;;#ASMSTART
	v_cvt_f32_f16 v67, v67;
	;;#ASMEND
	v_fmac_f32_e32 v66, v68, v67
	v_or_b32_e32 v67, v165, v166
	s_delay_alu instid0(VALU_DEP_1)
	v_fma_mixlo_f16 v69, v64, v67, 0 op_sel_hi:[0,1,0]
	ds_load_b64 v[67:68], v51 offset:104
	v_and_b32_e32 v69, 0xffff, v69
	s_wait_dscnt 0x0
	v_and_b32_e32 v70, 0xffff, v67
	v_lshrrev_b32_e32 v67, 16, v67
	;;#ASMSTART
	v_cvt_f32_f16 v70, v70;
	;;#ASMEND
	;;#ASMSTART
	v_cvt_f32_f16 v67, v67;
	;;#ASMEND
	;;#ASMSTART
	v_cvt_f32_f16 v69, v69;
	;;#ASMEND
	v_fmac_f32_e32 v12, v70, v69
	v_fma_mixlo_f16 v69, v64, v165, 0 op_sel:[0,1,0] op_sel_hi:[0,1,0]
	s_delay_alu instid0(VALU_DEP_1) | instskip(SKIP_1) | instid1(VALU_DEP_1)
	v_and_b32_e32 v69, 0xffff, v69
	;;#ASMSTART
	v_cvt_f32_f16 v69, v69;
	;;#ASMEND
	v_fmac_f32_e32 v16, v67, v69
	v_or_b32_e32 v67, v167, v176
	v_lshrrev_b32_e32 v69, 16, v68
	v_and_b32_e32 v68, 0xffff, v68
	s_delay_alu instid0(VALU_DEP_3) | instskip(NEXT) | instid1(VALU_DEP_1)
	v_fma_mixlo_f16 v67, v64, v67, 0 op_sel_hi:[0,1,0]
	v_and_b32_e32 v70, 0xffff, v67
	;;#ASMSTART
	v_cvt_f32_f16 v67, v68;
	;;#ASMEND
	;;#ASMSTART
	v_cvt_f32_f16 v68, v69;
	;;#ASMEND
	;;#ASMSTART
	v_cvt_f32_f16 v69, v70;
	;;#ASMEND
	v_fmac_f32_e32 v65, v67, v69
	v_fma_mixlo_f16 v67, v64, v167, 0 op_sel:[0,1,0] op_sel_hi:[0,1,0]
	s_delay_alu instid0(VALU_DEP_1) | instskip(SKIP_1) | instid1(VALU_DEP_1)
	v_and_b32_e32 v67, 0xffff, v67
	;;#ASMSTART
	v_cvt_f32_f16 v67, v67;
	;;#ASMEND
	v_fmac_f32_e32 v66, v68, v67
	v_or_b32_e32 v67, v177, v178
	s_delay_alu instid0(VALU_DEP_1)
	v_fma_mixlo_f16 v69, v64, v67, 0 op_sel_hi:[0,1,0]
	ds_load_b64 v[67:68], v51 offset:112
	v_and_b32_e32 v69, 0xffff, v69
	s_wait_dscnt 0x0
	v_and_b32_e32 v70, 0xffff, v67
	v_lshrrev_b32_e32 v67, 16, v67
	;;#ASMSTART
	v_cvt_f32_f16 v70, v70;
	;;#ASMEND
	;;#ASMSTART
	v_cvt_f32_f16 v67, v67;
	;;#ASMEND
	;;#ASMSTART
	v_cvt_f32_f16 v69, v69;
	;;#ASMEND
	v_fmac_f32_e32 v12, v70, v69
	v_fma_mixlo_f16 v69, v64, v177, 0 op_sel:[0,1,0] op_sel_hi:[0,1,0]
	s_delay_alu instid0(VALU_DEP_1) | instskip(SKIP_1) | instid1(VALU_DEP_1)
	v_and_b32_e32 v69, 0xffff, v69
	;;#ASMSTART
	v_cvt_f32_f16 v69, v69;
	;;#ASMEND
	v_fmac_f32_e32 v16, v67, v69
	v_or_b32_e32 v67, v179, v180
	v_lshrrev_b32_e32 v69, 16, v68
	v_and_b32_e32 v68, 0xffff, v68
	s_delay_alu instid0(VALU_DEP_3) | instskip(NEXT) | instid1(VALU_DEP_1)
	v_fma_mixlo_f16 v67, v64, v67, 0 op_sel_hi:[0,1,0]
	v_and_b32_e32 v70, 0xffff, v67
	;;#ASMSTART
	v_cvt_f32_f16 v67, v68;
	;;#ASMEND
	;;#ASMSTART
	v_cvt_f32_f16 v68, v69;
	;;#ASMEND
	;;#ASMSTART
	v_cvt_f32_f16 v69, v70;
	;;#ASMEND
	v_fmac_f32_e32 v65, v67, v69
	v_fma_mixlo_f16 v67, v64, v179, 0 op_sel:[0,1,0] op_sel_hi:[0,1,0]
	s_delay_alu instid0(VALU_DEP_1) | instskip(SKIP_1) | instid1(VALU_DEP_1)
	v_and_b32_e32 v67, 0xffff, v67
	;;#ASMSTART
	v_cvt_f32_f16 v67, v67;
	;;#ASMEND
	v_fmac_f32_e32 v66, v68, v67
	v_or_b32_e32 v67, v181, v182
	s_delay_alu instid0(VALU_DEP_1)
	v_fma_mixlo_f16 v69, v64, v67, 0 op_sel_hi:[0,1,0]
	ds_load_b64 v[67:68], v51 offset:120
	v_and_b32_e32 v69, 0xffff, v69
	s_wait_dscnt 0x0
	v_and_b32_e32 v70, 0xffff, v67
	v_lshrrev_b32_e32 v67, 16, v67
	;;#ASMSTART
	v_cvt_f32_f16 v70, v70;
	;;#ASMEND
	;;#ASMSTART
	v_cvt_f32_f16 v67, v67;
	;;#ASMEND
	;;#ASMSTART
	v_cvt_f32_f16 v69, v69;
	;;#ASMEND
	v_fmac_f32_e32 v12, v70, v69
	v_fma_mixlo_f16 v69, v64, v181, 0 op_sel:[0,1,0] op_sel_hi:[0,1,0]
	s_delay_alu instid0(VALU_DEP_1) | instskip(SKIP_1) | instid1(VALU_DEP_1)
	v_and_b32_e32 v69, 0xffff, v69
	;;#ASMSTART
	v_cvt_f32_f16 v69, v69;
	;;#ASMEND
	v_fmac_f32_e32 v16, v67, v69
	v_or_b32_e32 v67, v183, v40
	v_lshrrev_b32_e32 v69, 16, v68
	v_and_b32_e32 v68, 0xffff, v68
	s_delay_alu instid0(VALU_DEP_3) | instskip(NEXT) | instid1(VALU_DEP_1)
	v_fma_mixlo_f16 v67, v64, v67, 0 op_sel_hi:[0,1,0]
	v_and_b32_e32 v70, 0xffff, v67
	;;#ASMSTART
	v_cvt_f32_f16 v67, v68;
	;;#ASMEND
	;;#ASMSTART
	v_cvt_f32_f16 v68, v69;
	;;#ASMEND
	;;#ASMSTART
	v_cvt_f32_f16 v69, v70;
	;;#ASMEND
	v_fmac_f32_e32 v65, v67, v69
	v_fma_mixlo_f16 v67, v64, v183, 0 op_sel:[0,1,0] op_sel_hi:[0,1,0]
	s_delay_alu instid0(VALU_DEP_1) | instskip(SKIP_1) | instid1(VALU_DEP_1)
	v_and_b32_e32 v67, 0xffff, v67
	;;#ASMSTART
	v_cvt_f32_f16 v67, v67;
	;;#ASMEND
	v_fmac_f32_e32 v66, v68, v67
	v_or_b32_e32 v67, v41, v42
	s_delay_alu instid0(VALU_DEP_1)
	v_fma_mixlo_f16 v69, v64, v67, 0 op_sel_hi:[0,1,0]
	ds_load_b64 v[67:68], v51 offset:128
	v_and_b32_e32 v69, 0xffff, v69
	s_wait_dscnt 0x0
	v_and_b32_e32 v70, 0xffff, v67
	v_lshrrev_b32_e32 v67, 16, v67
	;;#ASMSTART
	v_cvt_f32_f16 v70, v70;
	;;#ASMEND
	;;#ASMSTART
	v_cvt_f32_f16 v67, v67;
	;;#ASMEND
	;;#ASMSTART
	v_cvt_f32_f16 v69, v69;
	;;#ASMEND
	v_fmac_f32_e32 v12, v70, v69
	v_fma_mixlo_f16 v69, v64, v41, 0 op_sel:[0,1,0] op_sel_hi:[0,1,0]
	s_delay_alu instid0(VALU_DEP_1) | instskip(SKIP_1) | instid1(VALU_DEP_1)
	v_and_b32_e32 v69, 0xffff, v69
	;;#ASMSTART
	v_cvt_f32_f16 v69, v69;
	;;#ASMEND
	v_fmac_f32_e32 v16, v67, v69
	v_or_b32_e32 v67, v43, v44
	v_lshrrev_b32_e32 v69, 16, v68
	v_and_b32_e32 v68, 0xffff, v68
	s_delay_alu instid0(VALU_DEP_3) | instskip(NEXT) | instid1(VALU_DEP_1)
	v_fma_mixlo_f16 v67, v64, v67, 0 op_sel_hi:[0,1,0]
	v_and_b32_e32 v70, 0xffff, v67
	;;#ASMSTART
	v_cvt_f32_f16 v67, v68;
	;;#ASMEND
	;;#ASMSTART
	v_cvt_f32_f16 v68, v69;
	;;#ASMEND
	;;#ASMSTART
	v_cvt_f32_f16 v69, v70;
	;;#ASMEND
	v_fmac_f32_e32 v65, v67, v69
	v_fma_mixlo_f16 v67, v64, v43, 0 op_sel:[0,1,0] op_sel_hi:[0,1,0]
	s_delay_alu instid0(VALU_DEP_1) | instskip(SKIP_1) | instid1(VALU_DEP_1)
	v_and_b32_e32 v67, 0xffff, v67
	;;#ASMSTART
	v_cvt_f32_f16 v67, v67;
	;;#ASMEND
	v_fmac_f32_e32 v66, v68, v67
	v_or_b32_e32 v67, v45, v46
	s_delay_alu instid0(VALU_DEP_1)
	v_fma_mixlo_f16 v69, v64, v67, 0 op_sel_hi:[0,1,0]
	ds_load_b64 v[67:68], v51 offset:136
	v_and_b32_e32 v69, 0xffff, v69
	s_wait_dscnt 0x0
	v_and_b32_e32 v70, 0xffff, v67
	v_lshrrev_b32_e32 v67, 16, v67
	;;#ASMSTART
	v_cvt_f32_f16 v70, v70;
	;;#ASMEND
	;;#ASMSTART
	v_cvt_f32_f16 v67, v67;
	;;#ASMEND
	;;#ASMSTART
	v_cvt_f32_f16 v69, v69;
	;;#ASMEND
	v_fmac_f32_e32 v12, v70, v69
	v_fma_mixlo_f16 v69, v64, v45, 0 op_sel:[0,1,0] op_sel_hi:[0,1,0]
	s_delay_alu instid0(VALU_DEP_1) | instskip(SKIP_1) | instid1(VALU_DEP_1)
	v_and_b32_e32 v69, 0xffff, v69
	;;#ASMSTART
	v_cvt_f32_f16 v69, v69;
	;;#ASMEND
	v_fmac_f32_e32 v16, v67, v69
	v_or_b32_e32 v67, v47, v56
	v_lshrrev_b32_e32 v69, 16, v68
	v_and_b32_e32 v68, 0xffff, v68
	s_delay_alu instid0(VALU_DEP_3) | instskip(NEXT) | instid1(VALU_DEP_1)
	v_fma_mixlo_f16 v67, v64, v67, 0 op_sel_hi:[0,1,0]
	v_and_b32_e32 v70, 0xffff, v67
	;;#ASMSTART
	v_cvt_f32_f16 v67, v68;
	;;#ASMEND
	;;#ASMSTART
	v_cvt_f32_f16 v68, v69;
	;;#ASMEND
	;;#ASMSTART
	v_cvt_f32_f16 v69, v70;
	;;#ASMEND
	v_fmac_f32_e32 v65, v67, v69
	v_fma_mixlo_f16 v67, v64, v47, 0 op_sel:[0,1,0] op_sel_hi:[0,1,0]
	s_delay_alu instid0(VALU_DEP_1) | instskip(SKIP_1) | instid1(VALU_DEP_1)
	v_and_b32_e32 v67, 0xffff, v67
	;;#ASMSTART
	v_cvt_f32_f16 v67, v67;
	;;#ASMEND
	v_fmac_f32_e32 v66, v68, v67
	v_or_b32_e32 v67, v57, v58
	s_delay_alu instid0(VALU_DEP_1)
	v_fma_mixlo_f16 v69, v64, v67, 0 op_sel_hi:[0,1,0]
	ds_load_b64 v[67:68], v51 offset:144
	v_and_b32_e32 v69, 0xffff, v69
	s_wait_dscnt 0x0
	v_and_b32_e32 v70, 0xffff, v67
	v_lshrrev_b32_e32 v67, 16, v67
	;;#ASMSTART
	v_cvt_f32_f16 v70, v70;
	;;#ASMEND
	;;#ASMSTART
	v_cvt_f32_f16 v67, v67;
	;;#ASMEND
	;;#ASMSTART
	v_cvt_f32_f16 v69, v69;
	;;#ASMEND
	v_fmac_f32_e32 v12, v70, v69
	v_fma_mixlo_f16 v69, v64, v57, 0 op_sel:[0,1,0] op_sel_hi:[0,1,0]
	s_delay_alu instid0(VALU_DEP_1) | instskip(SKIP_1) | instid1(VALU_DEP_1)
	v_and_b32_e32 v69, 0xffff, v69
	;;#ASMSTART
	v_cvt_f32_f16 v69, v69;
	;;#ASMEND
	v_fmac_f32_e32 v16, v67, v69
	v_or_b32_e32 v67, v59, v60
	v_lshrrev_b32_e32 v69, 16, v68
	v_and_b32_e32 v68, 0xffff, v68
	s_delay_alu instid0(VALU_DEP_3) | instskip(NEXT) | instid1(VALU_DEP_1)
	v_fma_mixlo_f16 v67, v64, v67, 0 op_sel_hi:[0,1,0]
	v_and_b32_e32 v70, 0xffff, v67
	;;#ASMSTART
	v_cvt_f32_f16 v67, v68;
	;;#ASMEND
	;;#ASMSTART
	v_cvt_f32_f16 v68, v69;
	;;#ASMEND
	;;#ASMSTART
	v_cvt_f32_f16 v69, v70;
	;;#ASMEND
	v_fmac_f32_e32 v65, v67, v69
	v_fma_mixlo_f16 v67, v64, v59, 0 op_sel:[0,1,0] op_sel_hi:[0,1,0]
	s_delay_alu instid0(VALU_DEP_1) | instskip(SKIP_1) | instid1(VALU_DEP_1)
	v_and_b32_e32 v67, 0xffff, v67
	;;#ASMSTART
	v_cvt_f32_f16 v67, v67;
	;;#ASMEND
	v_fmac_f32_e32 v66, v68, v67
	v_or_b32_e32 v67, v61, v62
	s_delay_alu instid0(VALU_DEP_1)
	v_fma_mixlo_f16 v69, v64, v67, 0 op_sel_hi:[0,1,0]
	ds_load_b64 v[67:68], v51 offset:152
	v_and_b32_e32 v69, 0xffff, v69
	s_wait_dscnt 0x0
	v_and_b32_e32 v70, 0xffff, v67
	v_lshrrev_b32_e32 v67, 16, v67
	;;#ASMSTART
	v_cvt_f32_f16 v70, v70;
	;;#ASMEND
	;;#ASMSTART
	v_cvt_f32_f16 v67, v67;
	;;#ASMEND
	;;#ASMSTART
	v_cvt_f32_f16 v69, v69;
	;;#ASMEND
	v_fmac_f32_e32 v12, v70, v69
	v_fma_mixlo_f16 v69, v64, v61, 0 op_sel:[0,1,0] op_sel_hi:[0,1,0]
	s_delay_alu instid0(VALU_DEP_1) | instskip(SKIP_1) | instid1(VALU_DEP_1)
	v_and_b32_e32 v69, 0xffff, v69
	;;#ASMSTART
	v_cvt_f32_f16 v69, v69;
	;;#ASMEND
	v_fmac_f32_e32 v16, v67, v69
	v_or_b32_e32 v67, v63, v72
	v_lshrrev_b32_e32 v69, 16, v68
	v_and_b32_e32 v68, 0xffff, v68
	s_delay_alu instid0(VALU_DEP_3) | instskip(NEXT) | instid1(VALU_DEP_1)
	v_fma_mixlo_f16 v67, v64, v67, 0 op_sel_hi:[0,1,0]
	v_and_b32_e32 v70, 0xffff, v67
	;;#ASMSTART
	v_cvt_f32_f16 v67, v68;
	;;#ASMEND
	;;#ASMSTART
	v_cvt_f32_f16 v68, v69;
	;;#ASMEND
	;;#ASMSTART
	v_cvt_f32_f16 v69, v70;
	;;#ASMEND
	v_fmac_f32_e32 v65, v67, v69
	v_fma_mixlo_f16 v67, v64, v63, 0 op_sel:[0,1,0] op_sel_hi:[0,1,0]
	s_delay_alu instid0(VALU_DEP_1) | instskip(SKIP_1) | instid1(VALU_DEP_1)
	v_and_b32_e32 v67, 0xffff, v67
	;;#ASMSTART
	v_cvt_f32_f16 v67, v67;
	;;#ASMEND
	v_fmac_f32_e32 v66, v68, v67
	v_or_b32_e32 v67, v73, v74
	s_delay_alu instid0(VALU_DEP_1)
	v_fma_mixlo_f16 v69, v64, v67, 0 op_sel_hi:[0,1,0]
	ds_load_b64 v[67:68], v51 offset:160
	v_and_b32_e32 v69, 0xffff, v69
	s_wait_dscnt 0x0
	v_and_b32_e32 v70, 0xffff, v67
	v_lshrrev_b32_e32 v67, 16, v67
	;;#ASMSTART
	v_cvt_f32_f16 v70, v70;
	;;#ASMEND
	;;#ASMSTART
	v_cvt_f32_f16 v67, v67;
	;;#ASMEND
	;;#ASMSTART
	v_cvt_f32_f16 v69, v69;
	;;#ASMEND
	v_fmac_f32_e32 v12, v70, v69
	v_fma_mixlo_f16 v69, v64, v73, 0 op_sel:[0,1,0] op_sel_hi:[0,1,0]
	s_delay_alu instid0(VALU_DEP_1) | instskip(SKIP_1) | instid1(VALU_DEP_1)
	v_and_b32_e32 v69, 0xffff, v69
	;;#ASMSTART
	v_cvt_f32_f16 v69, v69;
	;;#ASMEND
	v_fmac_f32_e32 v16, v67, v69
	v_or_b32_e32 v67, v75, v76
	v_lshrrev_b32_e32 v69, 16, v68
	v_and_b32_e32 v68, 0xffff, v68
	s_delay_alu instid0(VALU_DEP_3) | instskip(NEXT) | instid1(VALU_DEP_1)
	v_fma_mixlo_f16 v67, v64, v67, 0 op_sel_hi:[0,1,0]
	v_and_b32_e32 v70, 0xffff, v67
	;;#ASMSTART
	v_cvt_f32_f16 v67, v68;
	;;#ASMEND
	;;#ASMSTART
	v_cvt_f32_f16 v68, v69;
	;;#ASMEND
	;;#ASMSTART
	v_cvt_f32_f16 v69, v70;
	;;#ASMEND
	v_fmac_f32_e32 v65, v67, v69
	v_fma_mixlo_f16 v67, v64, v75, 0 op_sel:[0,1,0] op_sel_hi:[0,1,0]
	s_delay_alu instid0(VALU_DEP_1) | instskip(SKIP_1) | instid1(VALU_DEP_1)
	v_and_b32_e32 v67, 0xffff, v67
	;;#ASMSTART
	v_cvt_f32_f16 v67, v67;
	;;#ASMEND
	v_fmac_f32_e32 v66, v68, v67
	v_or_b32_e32 v67, v77, v78
	s_delay_alu instid0(VALU_DEP_1)
	v_fma_mixlo_f16 v69, v64, v67, 0 op_sel_hi:[0,1,0]
	ds_load_b64 v[67:68], v51 offset:168
	v_and_b32_e32 v69, 0xffff, v69
	s_wait_dscnt 0x0
	v_and_b32_e32 v70, 0xffff, v67
	v_lshrrev_b32_e32 v67, 16, v67
	;;#ASMSTART
	v_cvt_f32_f16 v70, v70;
	;;#ASMEND
	;;#ASMSTART
	v_cvt_f32_f16 v67, v67;
	;;#ASMEND
	;;#ASMSTART
	v_cvt_f32_f16 v69, v69;
	;;#ASMEND
	v_fmac_f32_e32 v12, v70, v69
	v_fma_mixlo_f16 v69, v64, v77, 0 op_sel:[0,1,0] op_sel_hi:[0,1,0]
	v_and_b32_e32 v70, 0xffff, v68
	v_lshrrev_b32_e32 v68, 16, v68
	s_delay_alu instid0(VALU_DEP_3) | instskip(SKIP_1) | instid1(VALU_DEP_1)
	v_and_b32_e32 v69, 0xffff, v69
	;;#ASMSTART
	v_cvt_f32_f16 v69, v69;
	;;#ASMEND
	v_fmac_f32_e32 v16, v67, v69
	v_or_b32_e32 v67, v79, v88
	v_fma_mixlo_f16 v69, v64, v79, 0 op_sel:[0,1,0] op_sel_hi:[0,1,0]
	s_delay_alu instid0(VALU_DEP_2) | instskip(NEXT) | instid1(VALU_DEP_2)
	v_fma_mixlo_f16 v67, v64, v67, 0 op_sel_hi:[0,1,0]
	v_and_b32_e32 v80, 0xffff, v69
	s_delay_alu instid0(VALU_DEP_2)
	v_and_b32_e32 v71, 0xffff, v67
	;;#ASMSTART
	v_cvt_f32_f16 v67, v70;
	;;#ASMEND
	;;#ASMSTART
	v_cvt_f32_f16 v69, v68;
	;;#ASMEND
	;; [unrolled: 3-line block ×3, first 2 shown]
	v_fmac_f32_e32 v65, v67, v68
	;;#ASMSTART
	v_cvt_f32_f16 v70, v80;
	;;#ASMEND
	ds_load_b64 v[67:68], v51 offset:176
	v_or_b32_e32 v71, v89, v90
	v_fmac_f32_e32 v66, v69, v70
	v_or_b32_e32 v69, v91, v92
	s_delay_alu instid0(VALU_DEP_3) | instskip(NEXT) | instid1(VALU_DEP_1)
	v_fma_mixlo_f16 v71, v64, v71, 0 op_sel_hi:[0,1,0]
	v_and_b32_e32 v81, 0xffff, v71
	v_fma_mixlo_f16 v71, v64, v89, 0 op_sel:[0,1,0] op_sel_hi:[0,1,0]
	s_delay_alu instid0(VALU_DEP_1)
	v_and_b32_e32 v71, 0xffff, v71
	s_wait_dscnt 0x0
	v_and_b32_e32 v80, 0xffff, v67
	v_lshrrev_b32_e32 v70, 16, v67
	;;#ASMSTART
	v_cvt_f32_f16 v67, v80;
	;;#ASMEND
	;;#ASMSTART
	v_cvt_f32_f16 v70, v70;
	;;#ASMEND
	;; [unrolled: 3-line block ×3, first 2 shown]
	v_fmac_f32_e32 v12, v67, v80
	v_fma_mixlo_f16 v67, v64, v69, 0 op_sel_hi:[0,1,0]
	v_fma_mixlo_f16 v69, v64, v91, 0 op_sel:[0,1,0] op_sel_hi:[0,1,0]
	v_and_b32_e32 v80, 0xffff, v68
	v_lshrrev_b32_e32 v68, 16, v68
	s_delay_alu instid0(VALU_DEP_4) | instskip(NEXT) | instid1(VALU_DEP_4)
	v_and_b32_e32 v67, 0xffff, v67
	v_and_b32_e32 v82, 0xffff, v69
	;;#ASMSTART
	v_cvt_f32_f16 v69, v71;
	;;#ASMEND
	;;#ASMSTART
	v_cvt_f32_f16 v71, v80;
	;;#ASMEND
	;;#ASMSTART
	v_cvt_f32_f16 v80, v68;
	;;#ASMEND
	;;#ASMSTART
	v_cvt_f32_f16 v81, v67;
	;;#ASMEND
	;;#ASMSTART
	v_cvt_f32_f16 v82, v82;
	;;#ASMEND
	ds_load_b64 v[67:68], v51 offset:184
	v_fmac_f32_e32 v16, v70, v69
	v_fmac_f32_e32 v65, v71, v81
	v_dual_fmac_f32 v66, v80, v82 :: v_dual_and_b32 v71, 0xffff, v21
	s_wait_dscnt 0x0
	v_and_b32_e32 v69, 0xffff, v67
	v_lshrrev_b32_e32 v70, 16, v67
	v_or_b32_e32 v67, v93, v94
	;;#ASMSTART
	v_cvt_f32_f16 v21, v69;
	;;#ASMEND
	;;#ASMSTART
	v_cvt_f32_f16 v69, v70;
	;;#ASMEND
	;; [unrolled: 3-line block ×3, first 2 shown]
	v_fmac_f32_e32 v12, v21, v70
	v_fma_mixlo_f16 v21, v64, v67, 0 op_sel_hi:[0,1,0]
	v_and_b32_e32 v67, 0xffff, v20
	v_fma_mixlo_f16 v20, v64, v93, 0 op_sel:[0,1,0] op_sel_hi:[0,1,0]
	v_and_b32_e32 v64, 0xffff, v68
	v_lshrrev_b32_e32 v68, 16, v68
	v_and_b32_e32 v70, 0xffff, v21
	;;#ASMSTART
	v_cvt_f32_f16 v21, v67;
	;;#ASMEND
	v_fmac_f32_e32 v16, v69, v21
	;;#ASMSTART
	v_cvt_f32_f16 v21, v64;
	;;#ASMEND
	;;#ASMSTART
	v_cvt_f32_f16 v64, v68;
	;;#ASMEND
	;; [unrolled: 3-line block ×3, first 2 shown]
	s_delay_alu instid0(VALU_DEP_1) | instskip(SKIP_3) | instid1(VALU_DEP_1)
	v_dual_fmac_f32 v65, v21, v67 :: v_dual_add_f32 v12, v12, v16
	v_xor_b32_e32 v16, 1, v39
	v_and_b32_e32 v20, 0xffff, v20
	;;#ASMSTART
	v_cvt_f32_f16 v20, v20;
	;;#ASMEND
	v_fmac_f32_e32 v66, v64, v20
	v_add_f32_e32 v12, v12, v65
	v_cmp_gt_i32_e64 s2, 32, v16
	s_delay_alu instid0(VALU_DEP_2) | instskip(SKIP_1) | instid1(VALU_DEP_2)
	v_add_f32_e32 v12, v66, v12
	s_wait_alu 0xf1ff
	v_cndmask_b32_e64 v16, v39, v16, s2
	s_delay_alu instid0(VALU_DEP_1)
	v_lshlrev_b32_e32 v16, 2, v16
	ds_bpermute_b32 v16, v16, v12
	s_and_saveexec_b32 s3, vcc_lo
	s_cbranch_execz .LBB279_9
; %bb.779:                              ;   in Loop: Header=BB279_10 Depth=1
	v_add_nc_u32_e32 v20, v52, v53
	s_load_b32 s18, s[8:9], 0x0
	s_wait_dscnt 0x0
	v_add_f32_e32 v12, v12, v16
	v_cmp_lt_i32_e64 s2, v53, v32
	v_cvt_f32_i32_e32 v20, v20
	s_delay_alu instid0(VALU_DEP_1) | instskip(NEXT) | instid1(VALU_DEP_1)
	v_mul_f32_e32 v20, v48, v20
	v_cndmask_b32_e64 v16, 0, v20, s1
	s_delay_alu instid0(VALU_DEP_1) | instskip(SKIP_3) | instid1(VALU_DEP_2)
	v_fmac_f32_e32 v16, v13, v12
	v_max_num_f32_e32 v12, v50, v50
	s_wait_kmcnt 0x0
	v_add_nc_u32_e32 v20, s18, v54
	v_max_num_f32_e32 v12, v12, v16
	s_wait_alu 0xf1ff
	v_cndmask_b32_e64 v16, 0, v16, s2
	s_delay_alu instid0(VALU_DEP_2)
	v_cndmask_b32_e64 v50, v50, v12, s2
	ds_store_b32 v20, v16
	s_branch .LBB279_9
.LBB279_780:
	s_or_b32 exec_lo, exec_lo, s7
.LBB279_781:
	s_delay_alu instid0(SALU_CYCLE_1) | instskip(SKIP_3) | instid1(VALU_DEP_3)
	s_or_b32 exec_lo, exec_lo, s17
	v_xor_b32_e32 v8, 16, v39
	v_xor_b32_e32 v9, 8, v39
	v_lshlrev_b32_e32 v21, 2, v31
	v_cmp_lt_i32_e32 vcc_lo, v8, v49
	s_wait_alu 0xfffd
	v_cndmask_b32_e32 v8, v39, v8, vcc_lo
	v_cmp_lt_i32_e32 vcc_lo, v9, v49
	s_wait_alu 0xfffd
	v_dual_max_num_f32 v12, v50, v50 :: v_dual_cndmask_b32 v9, v39, v9
	s_delay_alu instid0(VALU_DEP_1) | instskip(SKIP_4) | instid1(VALU_DEP_1)
	v_lshlrev_b32_e32 v19, 2, v9
	v_lshlrev_b32_e32 v18, 2, v8
	ds_bpermute_b32 v8, v18, v50
	s_wait_dscnt 0x0
	v_max_num_f32_e32 v8, v8, v8
	v_max_num_f32_e32 v8, v12, v8
	v_xor_b32_e32 v12, 4, v39
	ds_bpermute_b32 v9, v19, v8
	v_cmp_lt_i32_e32 vcc_lo, v12, v49
	s_wait_alu 0xfffd
	v_cndmask_b32_e32 v12, v39, v12, vcc_lo
	s_delay_alu instid0(VALU_DEP_1) | instskip(SKIP_1) | instid1(VALU_DEP_1)
	v_lshlrev_b32_e32 v20, 2, v12
	v_xor_b32_e32 v12, 2, v39
	v_cmp_lt_i32_e32 vcc_lo, v12, v49
	s_wait_dscnt 0x0
	s_wait_alu 0xfffd
	v_dual_max_num_f32 v9, v9, v9 :: v_dual_cndmask_b32 v12, v39, v12
	s_delay_alu instid0(VALU_DEP_1) | instskip(NEXT) | instid1(VALU_DEP_2)
	v_max_num_f32_e32 v8, v8, v9
	v_lshlrev_b32_e32 v16, 2, v12
	v_and_b32_e32 v12, 31, v29
	ds_bpermute_b32 v9, v20, v8
	v_cmp_eq_u32_e32 vcc_lo, 0, v12
	s_wait_dscnt 0x0
	v_max_num_f32_e32 v9, v9, v9
	s_delay_alu instid0(VALU_DEP_1)
	v_max_num_f32_e32 v8, v8, v9
	ds_bpermute_b32 v9, v16, v8
	s_and_saveexec_b32 s1, vcc_lo
	s_cbranch_execz .LBB279_783
; %bb.782:
	s_wait_dscnt 0x0
	v_dual_max_num_f32 v9, v9, v9 :: v_dual_max_num_f32 v8, v8, v8
	s_delay_alu instid0(VALU_DEP_1)
	v_max_num_f32_e32 v8, v8, v9
	ds_store_b32 v21, v8 offset:384
.LBB279_783:
	s_wait_alu 0xfffe
	s_or_b32 exec_lo, exec_lo, s1
	v_cmp_gt_u32_e64 s1, 4, v12
	v_mov_b32_e32 v8, 0xff7fffff
	v_lshlrev_b32_e32 v24, 2, v12
	s_wait_loadcnt_dscnt 0x0
	s_barrier_signal -1
	s_barrier_wait -1
	global_inv scope:SCOPE_SE
	s_and_saveexec_b32 s2, s1
; %bb.784:
	ds_load_b32 v8, v24 offset:384
; %bb.785:
	s_wait_alu 0xfffe
	s_or_b32 exec_lo, exec_lo, s2
	s_wait_dscnt 0x0
	ds_bpermute_b32 v9, v16, v8
	v_xor_b32_e32 v13, 1, v39
	v_max_num_f32_e32 v8, v8, v8
	v_subrev_nc_u32_e32 v25, s16, v33
	s_delay_alu instid0(VALU_DEP_3) | instskip(SKIP_1) | instid1(VALU_DEP_1)
	v_cmp_lt_i32_e64 s2, v13, v49
	s_wait_alu 0xf1ff
	v_cndmask_b32_e64 v13, v39, v13, s2
	s_delay_alu instid0(VALU_DEP_1) | instskip(SKIP_2) | instid1(VALU_DEP_1)
	v_lshlrev_b32_e32 v13, 2, v13
	s_wait_dscnt 0x0
	v_max_num_f32_e32 v9, v9, v9
	v_max_num_f32_e32 v8, v8, v9
	ds_bpermute_b32 v9, v13, v8
	s_wait_dscnt 0x0
	v_max_num_f32_e32 v9, v9, v9
	s_delay_alu instid0(VALU_DEP_1)
	v_max_num_f32_e32 v8, v8, v9
	v_lshlrev_b32_e32 v9, 2, v17
	v_lshl_add_u32 v17, v25, 4, s12
	ds_bpermute_b32 v8, v9, v8
	v_min_i32_e32 v9, v17, v32
	v_mov_b32_e32 v17, 0
	s_delay_alu instid0(VALU_DEP_2) | instskip(NEXT) | instid1(VALU_DEP_1)
	v_subrev_nc_u32_e32 v9, s12, v9
	v_cmp_lt_i32_e64 s2, v29, v9
	s_and_saveexec_b32 s8, s2
	s_cbranch_execz .LBB279_789
; %bb.786:
	s_getpc_b64 s[16:17]
	s_wait_alu 0xfffe
	s_sext_i32_i16 s17, s17
	s_add_co_u32 s16, s16, llvm.amdgcn.dynlds.offset.table@rel32@lo+12
	s_wait_alu 0xfffe
	s_add_co_ci_u32 s17, s17, llvm.amdgcn.dynlds.offset.table@rel32@hi+24
	s_ashr_i32 s7, s6, 31
	v_dual_mov_b32 v17, 0 :: v_dual_mov_b32 v48, v29
	s_wait_alu 0xfffe
	s_lshl_b64 s[18:19], s[6:7], 2
	s_mov_b32 s7, 0
	s_wait_alu 0xfffe
	s_add_nc_u64 s[16:17], s[16:17], s[18:19]
	s_load_b32 s3, s[16:17], 0x0
	s_wait_kmcnt 0x0
	v_lshl_add_u32 v25, v29, 2, s3
.LBB279_787:                            ; =>This Inner Loop Header: Depth=1
	ds_load_b32 v49, v25
	s_wait_dscnt 0x0
	v_sub_f32_e32 v49, v49, v8
	s_delay_alu instid0(VALU_DEP_1) | instskip(NEXT) | instid1(VALU_DEP_1)
	v_mul_f32_e32 v49, 0x3fb8aa3b, v49
	v_exp_f32_e32 v49, v49
	s_delay_alu instid0(TRANS32_DEP_1) | instskip(NEXT) | instid1(VALU_DEP_1)
	v_dual_add_f32 v17, v17, v49 :: v_dual_add_nc_u32 v48, 0x80, v48
	v_cmp_ge_i32_e64 s3, v48, v9
	ds_store_b32 v25, v49
	v_add_nc_u32_e32 v25, 0x200, v25
	s_or_b32 s7, s3, s7
	s_wait_alu 0xfffe
	s_and_not1_b32 exec_lo, exec_lo, s7
	s_cbranch_execnz .LBB279_787
; %bb.788:
	s_or_b32 exec_lo, exec_lo, s7
.LBB279_789:
	s_wait_alu 0xfffe
	s_or_b32 exec_lo, exec_lo, s8
	ds_bpermute_b32 v18, v18, v17
	s_wait_dscnt 0x0
	v_add_f32_e32 v17, v17, v18
	ds_bpermute_b32 v18, v19, v17
	s_wait_dscnt 0x0
	v_add_f32_e32 v17, v17, v18
	;; [unrolled: 3-line block ×5, first 2 shown]
	s_and_saveexec_b32 s3, vcc_lo
; %bb.790:
	ds_store_b32 v21, v17 offset:400
; %bb.791:
	s_wait_alu 0xfffe
	s_or_b32 exec_lo, exec_lo, s3
	s_wait_loadcnt_dscnt 0x0
	s_barrier_signal -1
	s_barrier_wait -1
	global_inv scope:SCOPE_SE
	s_and_saveexec_b32 s3, s1
; %bb.792:
	ds_load_b32 v17, v24 offset:400
; %bb.793:
	s_wait_alu 0xfffe
	s_or_b32 exec_lo, exec_lo, s3
	s_wait_dscnt 0x0
	ds_bpermute_b32 v16, v16, v17
	v_lshlrev_b32_e32 v18, 2, v39
	s_wait_dscnt 0x0
	v_add_f32_e32 v16, v17, v16
	ds_bpermute_b32 v17, v13, v16
	s_wait_dscnt 0x0
	v_dual_add_f32 v16, v16, v17 :: v_dual_and_b32 v17, 0xffffff80, v18
	ds_bpermute_b32 v16, v17, v16
	s_and_saveexec_b32 s1, s2
	s_cbranch_execz .LBB279_796
; %bb.794:
	s_wait_dscnt 0x0
	v_add_f32_e32 v18, 0x358637bd, v16
	s_ashr_i32 s7, s6, 31
	s_getpc_b64 s[2:3]
	s_wait_alu 0xfffe
	s_sext_i32_i16 s3, s3
	s_add_co_u32 s2, s2, llvm.amdgcn.dynlds.offset.table@rel32@lo+12
	s_wait_alu 0xfffe
	s_add_co_ci_u32 s3, s3, llvm.amdgcn.dynlds.offset.table@rel32@hi+24
	s_lshl_b64 s[8:9], s[6:7], 2
	s_wait_alu 0xfffe
	s_add_nc_u64 s[2:3], s[2:3], s[8:9]
	v_div_scale_f32 v17, null, v18, v18, 1.0
	s_load_b32 s2, s[2:3], 0x0
	v_rcp_f32_e32 v19, v17
	s_delay_alu instid0(TRANS32_DEP_1) | instskip(NEXT) | instid1(VALU_DEP_1)
	v_fma_f32 v20, -v17, v19, 1.0
	v_fmac_f32_e32 v19, v20, v19
	v_div_scale_f32 v21, vcc_lo, 1.0, v18, 1.0
	s_delay_alu instid0(VALU_DEP_1) | instskip(NEXT) | instid1(VALU_DEP_1)
	v_mul_f32_e32 v20, v21, v19
	v_fma_f32 v24, -v17, v20, v21
	s_delay_alu instid0(VALU_DEP_1) | instskip(NEXT) | instid1(VALU_DEP_1)
	v_fmac_f32_e32 v20, v24, v19
	v_fma_f32 v17, -v17, v20, v21
	s_wait_alu 0xfffd
	s_delay_alu instid0(VALU_DEP_1) | instskip(SKIP_3) | instid1(VALU_DEP_2)
	v_div_fmas_f32 v19, v17, v19, v20
	s_wait_kmcnt 0x0
	v_lshl_add_u32 v17, v29, 2, s2
	s_mov_b32 s2, 0
	v_div_fixup_f32 v18, v19, v18, 1.0
	v_mov_b32_e32 v19, v29
.LBB279_795:                            ; =>This Inner Loop Header: Depth=1
	ds_load_b32 v20, v17
	s_wait_dscnt 0x0
	v_dual_mul_f32 v20, v18, v20 :: v_dual_add_nc_u32 v19, 0x80, v19
	s_delay_alu instid0(VALU_DEP_1)
	v_cmp_ge_i32_e32 vcc_lo, v19, v9
	ds_store_b32 v17, v20
	v_add_nc_u32_e32 v17, 0x200, v17
	s_wait_alu 0xfffe
	s_or_b32 s2, vcc_lo, s2
	s_wait_alu 0xfffe
	s_and_not1_b32 exec_lo, exec_lo, s2
	s_cbranch_execnz .LBB279_795
.LBB279_796:
	s_wait_alu 0xfffe
	s_or_b32 exec_lo, exec_lo, s1
	s_and_b32 s1, 0xffff, s15
	s_wait_loadcnt_dscnt 0x0
	s_wait_alu 0xfffe
	s_cmp_lg_u32 s1, 0
	s_barrier_signal -1
	s_cselect_b32 s1, -1, 0
	s_barrier_wait -1
	s_wait_alu 0xfffe
	s_cmp_lg_u32 s1, 0
	global_inv scope:SCOPE_SE
	s_wait_kmcnt 0x0
	s_add_co_ci_u32 s1, s5, 0
	s_mov_b32 s5, exec_lo
	s_wait_alu 0xfffe
	s_mul_i32 s2, s1, s13
	s_wait_alu 0xfffe
	s_mul_i32 s2, s2, s14
	v_cmpx_eq_u32_e32 0, v29
	s_cbranch_execz .LBB279_798
; %bb.797:
	s_wait_alu 0xfffe
	s_ashr_i32 s3, s2, 31
	s_mul_i32 s8, s1, ttmp9
	s_wait_alu 0xfffe
	s_lshl_b64 s[14:15], s[2:3], 2
	s_ashr_i32 s9, s8, 31
	s_wait_alu 0xfffe
	v_add_co_u32 v2, vcc_lo, v2, s14
	s_wait_alu 0xfffd
	v_add_co_ci_u32_e64 v3, null, s15, v3, vcc_lo
	s_lshl_b64 s[8:9], s[8:9], 2
	s_lshl_b32 s3, s11, 2
	s_wait_alu 0xfffe
	v_add_co_u32 v2, vcc_lo, v2, s8
	s_wait_alu 0xfffd
	v_add_co_ci_u32_e64 v3, null, s9, v3, vcc_lo
	v_add_co_u32 v0, vcc_lo, v0, s14
	s_wait_alu 0xfffd
	v_add_co_ci_u32_e64 v1, null, s15, v1, vcc_lo
	s_delay_alu instid0(VALU_DEP_2) | instskip(SKIP_1) | instid1(VALU_DEP_2)
	v_add_co_u32 v9, vcc_lo, v0, s8
	s_wait_alu 0xfffd
	v_add_co_ci_u32_e64 v17, null, s9, v1, vcc_lo
	v_add_co_u32 v0, vcc_lo, v2, s3
	s_wait_alu 0xfffd
	v_add_co_ci_u32_e64 v1, null, 0, v3, vcc_lo
	;; [unrolled: 3-line block ×3, first 2 shown]
	flat_store_b32 v[0:1], v8
	flat_store_b32 v[2:3], v16
.LBB279_798:
	s_or_b32 exec_lo, exec_lo, s5
	s_and_saveexec_b32 s3, s0
	s_wait_alu 0xfffe
	s_xor_b32 s0, exec_lo, s3
; %bb.799:
	s_ashr_i32 s7, s6, 31
                                        ; implicit-def: $vgpr32
                                        ; implicit-def: $vgpr36
                                        ; implicit-def: $vgpr33
                                        ; implicit-def: $vgpr34
                                        ; implicit-def: $vgpr10
                                        ; implicit-def: $vgpr11
                                        ; implicit-def: $vgpr14
                                        ; implicit-def: $vgpr15
                                        ; implicit-def: $vgpr22
                                        ; implicit-def: $vgpr26_vgpr27
                                        ; implicit-def: $vgpr37
                                        ; implicit-def: $vgpr38
                                        ; implicit-def: $vgpr6_vgpr7
                                        ; implicit-def: $vgpr23
                                        ; implicit-def: $vgpr35
; %bb.800:
	s_wait_alu 0xfffe
	s_or_saveexec_b32 s3, s0
	v_dual_mov_b32 v0, s6 :: v_dual_mov_b32 v49, 0
	v_dual_mov_b32 v48, 0 :: v_dual_mov_b32 v1, s7
	;; [unrolled: 1-line block ×7, first 2 shown]
	s_wait_alu 0xfffe
	s_xor_b32 exec_lo, exec_lo, s3
	s_cbranch_execz .LBB279_1596
; %bb.801:
	s_getpc_b64 s[8:9]
	s_wait_alu 0xfffe
	s_sext_i32_i16 s9, s9
	s_add_co_u32 s8, s8, llvm.amdgcn.dynlds.offset.table@rel32@lo+12
	s_wait_alu 0xfffe
	s_add_co_ci_u32 s9, s9, llvm.amdgcn.dynlds.offset.table@rel32@hi+24
	s_ashr_i32 s7, s6, 31
	v_add_co_u32 v2, vcc_lo, v10, v37
	s_wait_alu 0xfffe
	s_lshl_b64 s[14:15], s[6:7], 2
	v_dual_mov_b32 v17, 0 :: v_dual_and_b32 v8, 0xf8, v35
	s_wait_alu 0xfffe
	s_add_nc_u64 s[8:9], s[8:9], s[14:15]
	v_dual_mov_b32 v18, 0 :: v_dual_and_b32 v9, 1, v29
	s_load_b32 s0, s[8:9], 0x0
	v_add_co_ci_u32_e64 v3, null, v11, v38, vcc_lo
	v_add_co_u32 v2, vcc_lo, v2, v8
	s_delay_alu instid0(VALU_DEP_3) | instskip(SKIP_1) | instid1(VALU_DEP_3)
	v_dual_mov_b32 v19, 0 :: v_dual_lshlrev_b32 v8, 5, v9
	s_wait_alu 0xfffd
	v_add_co_ci_u32_e64 v3, null, 0, v3, vcc_lo
	v_add_co_u32 v6, vcc_lo, v6, v23
	v_dual_mov_b32 v1, 0 :: v_dual_and_b32 v0, 8, v35
	s_wait_alu 0xfffd
	v_add_co_ci_u32_e64 v7, null, 0, v7, vcc_lo
	v_lshl_add_u32 v9, v31, 4, s12
	v_lshl_or_b32 v8, v31, 6, v8
	v_add_co_u32 v6, vcc_lo, v14, v6
	v_dual_mov_b32 v16, 0 :: v_dual_add_nc_u32 v35, -1, v36
	s_wait_alu 0xfffd
	v_add_co_ci_u32_e64 v7, null, v15, v7, vcc_lo
	v_add3_u32 v14, v9, v0, 7
	s_wait_kmcnt 0x0
	v_dual_mov_b32 v20, 0 :: v_dual_add_nc_u32 v15, s0, v8
	v_dual_mov_b32 v21, 0 :: v_dual_mov_b32 v24, 0
	v_dual_mov_b32 v25, 0 :: v_dual_mov_b32 v50, 0
	v_dual_mov_b32 v39, 0 :: v_dual_mov_b32 v48, 0
	v_mov_b32_e32 v49, 0
	s_mov_b32 s8, -1
	s_mov_b32 s9, 0xffffff
	s_mov_b32 s5, 0
	s_branch .LBB279_803
.LBB279_802:                            ;   in Loop: Header=BB279_803 Depth=1
	s_wait_alu 0xfffe
	s_or_b32 exec_lo, exec_lo, s0
	v_dual_add_f32 v10, v10, v11 :: v_dual_add_f32 v11, v100, v101
	v_add_f32_e32 v23, v98, v99
	v_add_f32_e32 v51, v80, v81
	v_add_co_u32 v6, s0, v6, 16
	s_delay_alu instid0(VALU_DEP_4) | instskip(NEXT) | instid1(VALU_DEP_4)
	v_dual_add_f32 v17, v17, v10 :: v_dual_add_f32 v18, v18, v11
	v_dual_add_f32 v10, v96, v97 :: v_dual_add_f32 v19, v19, v23
	;; [unrolled: 1-line block ×3, first 2 shown]
	s_wait_alu 0xf1ff
	v_add_co_ci_u32_e64 v7, null, 0, v7, s0
	s_delay_alu instid0(VALU_DEP_3)
	v_add_f32_e32 v20, v20, v10
	;;#ASMSTART
	v_pk_mul_f16 v10, v55, v102;

	;;#ASMEND
	;;#ASMSTART
	v_pk_mul_f16 v0, v52, v0;

	;;#ASMEND
	;; [unrolled: 4-line block ×4, first 2 shown]
	;;#ASMSTART
	v_pk_add_f16 v0, v10, v0;

	;;#ASMEND
	;;#ASMSTART
	v_pk_add_f16 v0, v0, v9;

	;;#ASMEND
	;; [unrolled: 4-line block ×3, first 2 shown]
	v_dual_add_f32 v11, v86, v87 :: v_dual_and_b32 v10, 0xffff, v0
	v_add_nc_u32_e32 v34, 4, v34
	;;#ASMSTART
	v_cvt_f32_f16 v10, v10;
	;;#ASMEND
	s_delay_alu instid0(VALU_DEP_2) | instskip(SKIP_4) | instid1(VALU_DEP_3)
	v_dual_add_f32 v8, v68, v69 :: v_dual_add_f32 v21, v21, v11
	v_lshrrev_b32_e32 v11, 16, v0
	v_add_f32_e32 v0, v70, v71
	v_add_f32_e32 v39, v39, v51
	;;#ASMSTART
	v_cvt_f32_f16 v11, v11;
	;;#ASMEND
	v_add_f32_e32 v10, v10, v11
	v_cmp_ge_i32_e32 vcc_lo, v34, v33
	v_add_f32_e32 v49, v49, v0
	v_dual_add_f32 v9, v54, v65 :: v_dual_add_f32 v24, v24, v23
	v_add_f32_e32 v25, v25, v36
	v_dual_add_f32 v50, v50, v8 :: v_dual_add_nc_u32 v15, 0x100, v15
	v_add_f32_e32 v16, v16, v10
	s_delay_alu instid0(VALU_DEP_4)
	v_add_f32_e32 v48, v48, v9
	v_add_nc_u32_e32 v14, 64, v14
	s_or_b32 s5, vcc_lo, s5
	s_wait_alu 0xfffe
	s_and_not1_b32 exec_lo, exec_lo, s5
	s_cbranch_execz .LBB279_1595
.LBB279_803:                            ; =>This Inner Loop Header: Depth=1
	flat_load_b32 v0, v[6:7]
	ds_load_2addr_b64 v[51:54], v15 offset1:1
	ds_load_2addr_b64 v[64:67], v15 offset0:2 offset1:3
	s_mov_b32 s0, exec_lo
	s_wait_dscnt 0x1
	;;#ASMSTART
	v_cvt_f16_f32 v37, v51;

	;;#ASMEND
	;;#ASMSTART
	v_cvt_f16_f32 v38, v52;

	;;#ASMEND
	;; [unrolled: 4-line block ×4, first 2 shown]
	s_wait_dscnt 0x0
	;;#ASMSTART
	v_cvt_f16_f32 v68, v64;

	;;#ASMEND
	;;#ASMSTART
	v_cvt_f16_f32 v54, v65;

	;;#ASMEND
	;; [unrolled: 4-line block ×4, first 2 shown]
	v_mov_b32_e32 v51, 0
	s_wait_loadcnt 0x0
	v_mad_co_i64_i32 v[8:9], null, v0, v22, v[2:3]
	flat_load_b64 v[10:11], v[8:9]
	flat_load_b32 v36, v[26:27]
	s_wait_loadcnt_dscnt 0x101
	v_and_b32_e32 v0, 0xff, v10
	s_delay_alu instid0(VALU_DEP_1)
	v_cmpx_ne_u16_e32 0, v0
	s_cbranch_execz .LBB279_811
; %bb.804:                              ;   in Loop: Header=BB279_803 Depth=1
	v_mov_b32_e32 v51, 0x8000
	s_mov_b32 s12, exec_lo
	v_cmpx_ne_u16_e32 0x80, v0
	s_cbranch_execz .LBB279_810
; %bb.805:                              ;   in Loop: Header=BB279_803 Depth=1
	v_and_b32_e32 v53, 0x7f, v10
	v_mov_b32_e32 v51, 0x7c01
	s_mov_b32 s13, exec_lo
	s_delay_alu instid0(VALU_DEP_2)
	v_cmpx_ne_u32_e32 0x7f, v53
	s_cbranch_execz .LBB279_809
; %bb.806:                              ;   in Loop: Header=BB279_803 Depth=1
	v_and_b32_e32 v0, 7, v10
	v_lshrrev_b32_e32 v23, 3, v53
	s_mov_b32 s14, exec_lo
	v_cmpx_gt_u32_e32 8, v53
; %bb.807:                              ;   in Loop: Header=BB279_803 Depth=1
	s_delay_alu instid0(VALU_DEP_3) | instskip(NEXT) | instid1(VALU_DEP_1)
	v_clz_i32_u32_e32 v0, v0
	v_min_u32_e32 v0, 32, v0
	s_delay_alu instid0(VALU_DEP_1) | instskip(NEXT) | instid1(VALU_DEP_1)
	v_subrev_nc_u32_e32 v23, 28, v0
	v_lshlrev_b64_e32 v[66:67], v23, v[10:11]
	v_sub_nc_u32_e32 v23, 29, v0
	s_delay_alu instid0(VALU_DEP_2)
	v_and_b32_e32 v0, 7, v66
; %bb.808:                              ;   in Loop: Header=BB279_803 Depth=1
	s_wait_alu 0xfffe
	s_or_b32 exec_lo, exec_lo, s14
	v_lshlrev_b32_e32 v51, 8, v10
	v_lshl_add_u32 v23, v23, 10, 0x2000
	v_lshlrev_b32_e32 v0, 7, v0
	s_delay_alu instid0(VALU_DEP_3) | instskip(NEXT) | instid1(VALU_DEP_3)
	v_and_b32_e32 v51, 0x8000, v51
	v_and_b32_e32 v23, 0xfc00, v23
	s_delay_alu instid0(VALU_DEP_1)
	v_or3_b32 v51, v51, v23, v0
.LBB279_809:                            ;   in Loop: Header=BB279_803 Depth=1
	s_wait_alu 0xfffe
	s_or_b32 exec_lo, exec_lo, s13
.LBB279_810:                            ;   in Loop: Header=BB279_803 Depth=1
	s_wait_alu 0xfffe
	s_or_b32 exec_lo, exec_lo, s12
.LBB279_811:                            ;   in Loop: Header=BB279_803 Depth=1
	s_wait_alu 0xfffe
	s_or_b32 exec_lo, exec_lo, s0
	v_lshrrev_b16 v0, 8, v10
	v_mov_b32_e32 v23, 0
	v_mov_b32_e32 v53, 0
	s_mov_b32 s0, exec_lo
	s_delay_alu instid0(VALU_DEP_3)
	v_cmpx_ne_u16_e32 0, v0
	s_cbranch_execz .LBB279_819
; %bb.812:                              ;   in Loop: Header=BB279_803 Depth=1
	v_bfrev_b32_e32 v53, 1
	s_mov_b32 s12, exec_lo
	v_cmpx_ne_u16_e32 0x80, v0
	s_cbranch_execz .LBB279_818
; %bb.813:                              ;   in Loop: Header=BB279_803 Depth=1
	v_and_b32_e32 v64, 0xffff, v0
	v_mov_b32_e32 v53, 0x7c010000
	s_mov_b32 s13, exec_lo
	s_delay_alu instid0(VALU_DEP_2) | instskip(NEXT) | instid1(VALU_DEP_1)
	v_and_b32_e32 v67, 0x7f, v64
	v_cmpx_ne_u32_e32 0x7f, v67
	s_cbranch_execz .LBB279_817
; %bb.814:                              ;   in Loop: Header=BB279_803 Depth=1
	v_and_b32_e32 v53, 7, v64
	v_lshrrev_b32_e32 v66, 3, v67
	s_mov_b32 s14, exec_lo
	v_cmpx_gt_u32_e32 8, v67
; %bb.815:                              ;   in Loop: Header=BB279_803 Depth=1
	s_delay_alu instid0(VALU_DEP_3) | instskip(NEXT) | instid1(VALU_DEP_1)
	v_clz_i32_u32_e32 v53, v53
	v_min_u32_e32 v53, 32, v53
	s_delay_alu instid0(VALU_DEP_1) | instskip(NEXT) | instid1(VALU_DEP_1)
	v_subrev_nc_u32_e32 v66, 28, v53
	v_lshlrev_b64_e32 v[70:71], v66, v[0:1]
	v_sub_nc_u32_e32 v66, 29, v53
	s_delay_alu instid0(VALU_DEP_2)
	v_and_b32_e32 v53, 7, v70
; %bb.816:                              ;   in Loop: Header=BB279_803 Depth=1
	s_wait_alu 0xfffe
	s_or_b32 exec_lo, exec_lo, s14
	v_lshlrev_b32_e32 v0, 8, v64
	v_lshl_add_u32 v64, v66, 10, 0x2000
	v_lshlrev_b32_e32 v53, 23, v53
	s_delay_alu instid0(VALU_DEP_2) | instskip(NEXT) | instid1(VALU_DEP_1)
	v_and_or_b32 v0, 0x8000, v0, v64
	v_lshl_or_b32 v53, v0, 16, v53
.LBB279_817:                            ;   in Loop: Header=BB279_803 Depth=1
	s_wait_alu 0xfffe
	s_or_b32 exec_lo, exec_lo, s13
.LBB279_818:                            ;   in Loop: Header=BB279_803 Depth=1
	s_wait_alu 0xfffe
	s_or_b32 exec_lo, exec_lo, s12
.LBB279_819:                            ;   in Loop: Header=BB279_803 Depth=1
	s_wait_alu 0xfffe
	s_or_b32 exec_lo, exec_lo, s0
	v_lshrrev_b32_e32 v0, 16, v10
	s_mov_b32 s0, exec_lo
	s_delay_alu instid0(VALU_DEP_1) | instskip(NEXT) | instid1(VALU_DEP_1)
	v_and_b32_e32 v64, 0xff, v0
	v_cmpx_ne_u16_e32 0, v64
	s_cbranch_execz .LBB279_827
; %bb.820:                              ;   in Loop: Header=BB279_803 Depth=1
	v_mov_b32_e32 v23, 0x8000
	s_mov_b32 s12, exec_lo
	v_cmpx_ne_u16_e32 0x80, v64
	s_cbranch_execz .LBB279_826
; %bb.821:                              ;   in Loop: Header=BB279_803 Depth=1
	v_bfe_u32 v66, v10, 16, 7
	v_mov_b32_e32 v23, 0x7c01
	s_mov_b32 s13, exec_lo
	s_delay_alu instid0(VALU_DEP_2)
	v_cmpx_ne_u32_e32 0x7f, v66
	s_cbranch_execz .LBB279_825
; %bb.822:                              ;   in Loop: Header=BB279_803 Depth=1
	v_and_b32_e32 v23, 7, v0
	v_lshrrev_b32_e32 v64, 3, v66
	s_mov_b32 s14, exec_lo
	v_cmpx_gt_u32_e32 8, v66
; %bb.823:                              ;   in Loop: Header=BB279_803 Depth=1
	s_delay_alu instid0(VALU_DEP_3) | instskip(NEXT) | instid1(VALU_DEP_1)
	v_clz_i32_u32_e32 v23, v23
	v_min_u32_e32 v23, 32, v23
	s_delay_alu instid0(VALU_DEP_1) | instskip(NEXT) | instid1(VALU_DEP_1)
	v_subrev_nc_u32_e32 v64, 28, v23
	v_lshlrev_b64_e32 v[66:67], v64, v[0:1]
	v_sub_nc_u32_e32 v64, 29, v23
	s_delay_alu instid0(VALU_DEP_2)
	v_and_b32_e32 v23, 7, v66
; %bb.824:                              ;   in Loop: Header=BB279_803 Depth=1
	s_wait_alu 0xfffe
	s_or_b32 exec_lo, exec_lo, s14
	v_lshlrev_b32_e32 v0, 8, v0
	v_lshl_add_u32 v64, v64, 10, 0x2000
	v_lshlrev_b32_e32 v23, 7, v23
	s_delay_alu instid0(VALU_DEP_3) | instskip(NEXT) | instid1(VALU_DEP_3)
	v_and_b32_e32 v0, 0x8000, v0
	v_and_b32_e32 v64, 0xfc00, v64
	s_delay_alu instid0(VALU_DEP_1)
	v_or3_b32 v23, v0, v64, v23
.LBB279_825:                            ;   in Loop: Header=BB279_803 Depth=1
	s_wait_alu 0xfffe
	s_or_b32 exec_lo, exec_lo, s13
.LBB279_826:                            ;   in Loop: Header=BB279_803 Depth=1
	s_wait_alu 0xfffe
	s_or_b32 exec_lo, exec_lo, s12
.LBB279_827:                            ;   in Loop: Header=BB279_803 Depth=1
	s_wait_alu 0xfffe
	s_or_b32 exec_lo, exec_lo, s0
	v_mov_b32_e32 v64, 0
	v_mov_b32_e32 v66, 0
	s_mov_b32 s0, exec_lo
	v_cmpx_lt_u32_e32 0xffffff, v10
	s_cbranch_execz .LBB279_835
; %bb.828:                              ;   in Loop: Header=BB279_803 Depth=1
	v_lshrrev_b32_e32 v0, 24, v10
	v_bfrev_b32_e32 v66, 1
	s_mov_b32 s12, exec_lo
	s_delay_alu instid0(VALU_DEP_2)
	v_cmpx_ne_u32_e32 0x80, v0
	s_cbranch_execz .LBB279_834
; %bb.829:                              ;   in Loop: Header=BB279_803 Depth=1
	v_and_b32_e32 v70, 0x7f, v0
	v_mov_b32_e32 v66, 0x7c010000
	s_mov_b32 s13, exec_lo
	s_delay_alu instid0(VALU_DEP_2)
	v_cmpx_ne_u32_e32 0x7f, v70
	s_cbranch_execz .LBB279_833
; %bb.830:                              ;   in Loop: Header=BB279_803 Depth=1
	v_and_b32_e32 v66, 7, v0
	v_lshrrev_b32_e32 v67, 3, v70
	s_mov_b32 s14, exec_lo
	v_cmpx_gt_u32_e32 8, v70
; %bb.831:                              ;   in Loop: Header=BB279_803 Depth=1
	s_delay_alu instid0(VALU_DEP_3) | instskip(NEXT) | instid1(VALU_DEP_1)
	v_clz_i32_u32_e32 v66, v66
	v_min_u32_e32 v70, 32, v66
	s_delay_alu instid0(VALU_DEP_1) | instskip(NEXT) | instid1(VALU_DEP_1)
	v_subrev_nc_u32_e32 v66, 28, v70
	v_lshlrev_b64_e32 v[66:67], v66, v[0:1]
	v_sub_nc_u32_e32 v67, 29, v70
	s_delay_alu instid0(VALU_DEP_2)
	v_and_b32_e32 v66, 7, v66
; %bb.832:                              ;   in Loop: Header=BB279_803 Depth=1
	s_wait_alu 0xfffe
	s_or_b32 exec_lo, exec_lo, s14
	v_lshlrev_b32_e32 v0, 8, v0
	v_lshl_add_u32 v67, v67, 10, 0x2000
	v_lshlrev_b32_e32 v66, 23, v66
	s_delay_alu instid0(VALU_DEP_2) | instskip(NEXT) | instid1(VALU_DEP_1)
	v_and_or_b32 v0, 0x8000, v0, v67
	v_lshl_or_b32 v66, v0, 16, v66
.LBB279_833:                            ;   in Loop: Header=BB279_803 Depth=1
	s_wait_alu 0xfffe
	s_or_b32 exec_lo, exec_lo, s13
.LBB279_834:                            ;   in Loop: Header=BB279_803 Depth=1
	s_wait_alu 0xfffe
	s_or_b32 exec_lo, exec_lo, s12
.LBB279_835:                            ;   in Loop: Header=BB279_803 Depth=1
	s_wait_alu 0xfffe
	s_or_b32 exec_lo, exec_lo, s0
	v_dual_mov_b32 v0, v11 :: v_dual_and_b32 v67, 0xff, v11
	s_mov_b32 s0, exec_lo
	s_delay_alu instid0(VALU_DEP_1)
	v_cmpx_ne_u16_e32 0, v67
	s_cbranch_execz .LBB279_843
; %bb.836:                              ;   in Loop: Header=BB279_803 Depth=1
	v_mov_b32_e32 v64, 0x8000
	s_mov_b32 s12, exec_lo
	v_cmpx_ne_u16_e32 0x80, v67
	s_cbranch_execz .LBB279_842
; %bb.837:                              ;   in Loop: Header=BB279_803 Depth=1
	v_and_b32_e32 v70, 0x7f, v11
	v_mov_b32_e32 v64, 0x7c01
	s_mov_b32 s13, exec_lo
	s_delay_alu instid0(VALU_DEP_2)
	v_cmpx_ne_u32_e32 0x7f, v70
	s_cbranch_execz .LBB279_841
; %bb.838:                              ;   in Loop: Header=BB279_803 Depth=1
	v_and_b32_e32 v64, 7, v11
	v_lshrrev_b32_e32 v67, 3, v70
	s_mov_b32 s14, exec_lo
	v_cmpx_gt_u32_e32 8, v70
; %bb.839:                              ;   in Loop: Header=BB279_803 Depth=1
	s_delay_alu instid0(VALU_DEP_3) | instskip(NEXT) | instid1(VALU_DEP_1)
	v_clz_i32_u32_e32 v64, v64
	v_min_u32_e32 v64, 32, v64
	s_delay_alu instid0(VALU_DEP_1) | instskip(NEXT) | instid1(VALU_DEP_1)
	v_subrev_nc_u32_e32 v67, 28, v64
	v_lshlrev_b64_e32 v[70:71], v67, v[0:1]
	v_sub_nc_u32_e32 v67, 29, v64
	s_delay_alu instid0(VALU_DEP_2)
	v_and_b32_e32 v64, 7, v70
; %bb.840:                              ;   in Loop: Header=BB279_803 Depth=1
	s_wait_alu 0xfffe
	s_or_b32 exec_lo, exec_lo, s14
	v_lshlrev_b32_e32 v70, 8, v11
	v_lshl_add_u32 v67, v67, 10, 0x2000
	v_lshlrev_b32_e32 v64, 7, v64
	s_delay_alu instid0(VALU_DEP_3) | instskip(NEXT) | instid1(VALU_DEP_3)
	v_and_b32_e32 v70, 0x8000, v70
	v_and_b32_e32 v67, 0xfc00, v67
	s_delay_alu instid0(VALU_DEP_1)
	v_or3_b32 v64, v70, v67, v64
.LBB279_841:                            ;   in Loop: Header=BB279_803 Depth=1
	s_wait_alu 0xfffe
	s_or_b32 exec_lo, exec_lo, s13
.LBB279_842:                            ;   in Loop: Header=BB279_803 Depth=1
	s_wait_alu 0xfffe
	s_or_b32 exec_lo, exec_lo, s12
.LBB279_843:                            ;   in Loop: Header=BB279_803 Depth=1
	s_wait_alu 0xfffe
	s_or_b32 exec_lo, exec_lo, s0
	v_lshrrev_b16 v0, 8, v0
	v_dual_mov_b32 v70, 0 :: v_dual_mov_b32 v67, 0
	s_mov_b32 s0, exec_lo
	s_delay_alu instid0(VALU_DEP_2)
	v_cmpx_ne_u16_e32 0, v0
	s_cbranch_execz .LBB279_851
; %bb.844:                              ;   in Loop: Header=BB279_803 Depth=1
	v_bfrev_b32_e32 v67, 1
	s_mov_b32 s12, exec_lo
	v_cmpx_ne_u16_e32 0x80, v0
	s_cbranch_execz .LBB279_850
; %bb.845:                              ;   in Loop: Header=BB279_803 Depth=1
	v_and_b32_e32 v71, 0xffff, v0
	v_mov_b32_e32 v67, 0x7c010000
	s_mov_b32 s13, exec_lo
	s_delay_alu instid0(VALU_DEP_2) | instskip(NEXT) | instid1(VALU_DEP_1)
	v_and_b32_e32 v81, 0x7f, v71
	v_cmpx_ne_u32_e32 0x7f, v81
	s_cbranch_execz .LBB279_849
; %bb.846:                              ;   in Loop: Header=BB279_803 Depth=1
	v_and_b32_e32 v67, 7, v71
	v_lshrrev_b32_e32 v80, 3, v81
	s_mov_b32 s14, exec_lo
	v_cmpx_gt_u32_e32 8, v81
; %bb.847:                              ;   in Loop: Header=BB279_803 Depth=1
	s_delay_alu instid0(VALU_DEP_3) | instskip(NEXT) | instid1(VALU_DEP_1)
	v_clz_i32_u32_e32 v67, v67
	v_min_u32_e32 v67, 32, v67
	s_delay_alu instid0(VALU_DEP_1) | instskip(NEXT) | instid1(VALU_DEP_1)
	v_subrev_nc_u32_e32 v80, 28, v67
	v_lshlrev_b64_e32 v[81:82], v80, v[0:1]
	v_sub_nc_u32_e32 v80, 29, v67
	s_delay_alu instid0(VALU_DEP_2)
	v_and_b32_e32 v67, 7, v81
; %bb.848:                              ;   in Loop: Header=BB279_803 Depth=1
	s_wait_alu 0xfffe
	s_or_b32 exec_lo, exec_lo, s14
	v_lshlrev_b32_e32 v0, 8, v71
	v_lshl_add_u32 v71, v80, 10, 0x2000
	v_lshlrev_b32_e32 v67, 23, v67
	s_delay_alu instid0(VALU_DEP_2) | instskip(NEXT) | instid1(VALU_DEP_1)
	v_and_or_b32 v0, 0x8000, v0, v71
	v_lshl_or_b32 v67, v0, 16, v67
.LBB279_849:                            ;   in Loop: Header=BB279_803 Depth=1
	s_wait_alu 0xfffe
	s_or_b32 exec_lo, exec_lo, s13
.LBB279_850:                            ;   in Loop: Header=BB279_803 Depth=1
	s_wait_alu 0xfffe
	s_or_b32 exec_lo, exec_lo, s12
.LBB279_851:                            ;   in Loop: Header=BB279_803 Depth=1
	s_wait_alu 0xfffe
	s_or_b32 exec_lo, exec_lo, s0
	v_lshrrev_b32_e32 v0, 16, v11
	s_mov_b32 s0, exec_lo
	s_delay_alu instid0(VALU_DEP_1) | instskip(NEXT) | instid1(VALU_DEP_1)
	v_and_b32_e32 v71, 0xff, v0
	v_cmpx_ne_u16_e32 0, v71
	s_cbranch_execz .LBB279_859
; %bb.852:                              ;   in Loop: Header=BB279_803 Depth=1
	v_mov_b32_e32 v70, 0x8000
	s_mov_b32 s12, exec_lo
	v_cmpx_ne_u16_e32 0x80, v71
	s_cbranch_execz .LBB279_858
; %bb.853:                              ;   in Loop: Header=BB279_803 Depth=1
	v_bfe_u32 v80, v11, 16, 7
	v_mov_b32_e32 v70, 0x7c01
	s_mov_b32 s13, exec_lo
	s_delay_alu instid0(VALU_DEP_2)
	v_cmpx_ne_u32_e32 0x7f, v80
	s_cbranch_execz .LBB279_857
; %bb.854:                              ;   in Loop: Header=BB279_803 Depth=1
	v_and_b32_e32 v70, 7, v0
	v_lshrrev_b32_e32 v71, 3, v80
	s_mov_b32 s14, exec_lo
	v_cmpx_gt_u32_e32 8, v80
; %bb.855:                              ;   in Loop: Header=BB279_803 Depth=1
	s_delay_alu instid0(VALU_DEP_3) | instskip(NEXT) | instid1(VALU_DEP_1)
	v_clz_i32_u32_e32 v70, v70
	v_min_u32_e32 v80, 32, v70
	s_delay_alu instid0(VALU_DEP_1) | instskip(NEXT) | instid1(VALU_DEP_1)
	v_subrev_nc_u32_e32 v70, 28, v80
	v_lshlrev_b64_e32 v[70:71], v70, v[0:1]
	v_sub_nc_u32_e32 v71, 29, v80
	s_delay_alu instid0(VALU_DEP_2)
	v_and_b32_e32 v70, 7, v70
; %bb.856:                              ;   in Loop: Header=BB279_803 Depth=1
	s_wait_alu 0xfffe
	s_or_b32 exec_lo, exec_lo, s14
	v_lshlrev_b32_e32 v0, 8, v0
	v_lshl_add_u32 v71, v71, 10, 0x2000
	v_lshlrev_b32_e32 v70, 7, v70
	s_delay_alu instid0(VALU_DEP_3) | instskip(NEXT) | instid1(VALU_DEP_3)
	v_and_b32_e32 v0, 0x8000, v0
	v_and_b32_e32 v71, 0xfc00, v71
	s_delay_alu instid0(VALU_DEP_1)
	v_or3_b32 v70, v0, v71, v70
.LBB279_857:                            ;   in Loop: Header=BB279_803 Depth=1
	s_wait_alu 0xfffe
	s_or_b32 exec_lo, exec_lo, s13
.LBB279_858:                            ;   in Loop: Header=BB279_803 Depth=1
	s_wait_alu 0xfffe
	s_or_b32 exec_lo, exec_lo, s12
.LBB279_859:                            ;   in Loop: Header=BB279_803 Depth=1
	s_wait_alu 0xfffe
	s_or_b32 exec_lo, exec_lo, s0
	v_cmp_lt_u64_e32 vcc_lo, s[8:9], v[10:11]
	v_mov_b32_e32 v10, 0
	s_and_saveexec_b32 s0, vcc_lo
	s_cbranch_execz .LBB279_867
; %bb.860:                              ;   in Loop: Header=BB279_803 Depth=1
	v_lshrrev_b32_e32 v0, 24, v11
	v_bfrev_b32_e32 v10, 1
	s_mov_b32 s12, exec_lo
	s_delay_alu instid0(VALU_DEP_2)
	v_cmpx_ne_u32_e32 0x80, v0
	s_cbranch_execz .LBB279_866
; %bb.861:                              ;   in Loop: Header=BB279_803 Depth=1
	v_and_b32_e32 v71, 0x7f, v0
	v_mov_b32_e32 v10, 0x7c010000
	s_mov_b32 s13, exec_lo
	s_delay_alu instid0(VALU_DEP_2)
	v_cmpx_ne_u32_e32 0x7f, v71
	s_cbranch_execz .LBB279_865
; %bb.862:                              ;   in Loop: Header=BB279_803 Depth=1
	v_and_b32_e32 v10, 7, v0
	v_lshrrev_b32_e32 v11, 3, v71
	s_mov_b32 s14, exec_lo
	v_cmpx_gt_u32_e32 8, v71
; %bb.863:                              ;   in Loop: Header=BB279_803 Depth=1
	s_delay_alu instid0(VALU_DEP_3) | instskip(NEXT) | instid1(VALU_DEP_1)
	v_clz_i32_u32_e32 v10, v10
	v_min_u32_e32 v71, 32, v10
	s_delay_alu instid0(VALU_DEP_1) | instskip(NEXT) | instid1(VALU_DEP_1)
	v_subrev_nc_u32_e32 v10, 28, v71
	v_lshlrev_b64_e32 v[10:11], v10, v[0:1]
	v_sub_nc_u32_e32 v11, 29, v71
	s_delay_alu instid0(VALU_DEP_2)
	v_and_b32_e32 v10, 7, v10
; %bb.864:                              ;   in Loop: Header=BB279_803 Depth=1
	s_wait_alu 0xfffe
	s_or_b32 exec_lo, exec_lo, s14
	v_lshlrev_b32_e32 v0, 8, v0
	v_lshl_add_u32 v11, v11, 10, 0x2000
	v_lshlrev_b32_e32 v10, 23, v10
	s_delay_alu instid0(VALU_DEP_2) | instskip(NEXT) | instid1(VALU_DEP_1)
	v_and_or_b32 v0, 0x8000, v0, v11
	v_lshl_or_b32 v10, v0, 16, v10
.LBB279_865:                            ;   in Loop: Header=BB279_803 Depth=1
	s_wait_alu 0xfffe
	s_or_b32 exec_lo, exec_lo, s13
.LBB279_866:                            ;   in Loop: Header=BB279_803 Depth=1
	s_wait_alu 0xfffe
	s_or_b32 exec_lo, exec_lo, s12
.LBB279_867:                            ;   in Loop: Header=BB279_803 Depth=1
	s_wait_alu 0xfffe
	s_or_b32 exec_lo, exec_lo, s0
	v_or_b32_e32 v0, v66, v23
	s_wait_loadcnt_dscnt 0x0
	v_fma_mixlo_f16 v11, v36, v66, 0 op_sel:[0,1,0] op_sel_hi:[0,1,0]
	v_or_b32_e32 v51, v53, v51
	v_fma_mixlo_f16 v53, v36, v53, 0 op_sel:[0,1,0] op_sel_hi:[0,1,0]
	v_or_b32_e32 v64, v67, v64
	v_fma_mixlo_f16 v0, v36, v0, 0 op_sel_hi:[0,1,0]
	v_or_b32_e32 v66, v10, v70
	v_fma_mixlo_f16 v10, v36, v10, 0 op_sel:[0,1,0] op_sel_hi:[0,1,0]
	v_lshlrev_b32_e32 v84, 16, v53
	v_fma_mixlo_f16 v53, v36, v64, 0 op_sel_hi:[0,1,0]
	v_and_b32_e32 v81, 0xffff, v0
	v_fma_mixlo_f16 v0, v36, v51, 0 op_sel_hi:[0,1,0]
	v_fma_mixlo_f16 v51, v36, v67, 0 op_sel:[0,1,0] op_sel_hi:[0,1,0]
	v_fma_mixlo_f16 v36, v36, v66, 0 op_sel_hi:[0,1,0]
	v_lshlrev_b32_e32 v11, 16, v11
	v_and_b32_e32 v85, 0xffff, v53
	v_and_b32_e32 v86, 0xffff, v0
	v_lshlrev_b32_e32 v82, 16, v51
	v_lshlrev_b32_e32 v71, 16, v10
	v_and_b32_e32 v83, 0xffff, v36
	v_add_nc_u32_e32 v23, -7, v14
	v_cmp_eq_u32_e32 vcc_lo, v35, v34
	v_or_b32_e32 v0, v11, v81
	v_or_b32_e32 v10, v84, v86
	;; [unrolled: 1-line block ×4, first 2 shown]
	v_add_nc_u32_e32 v67, -6, v14
	v_add_nc_u32_e32 v66, -5, v14
	v_add_nc_u32_e32 v64, -4, v14
	v_add_nc_u32_e32 v53, -3, v14
	v_add_nc_u32_e32 v51, -2, v14
	v_add_nc_u32_e32 v36, -1, v14
	s_and_saveexec_b32 s12, vcc_lo
	s_cbranch_execz .LBB279_869
; %bb.868:                              ;   in Loop: Header=BB279_803 Depth=1
	v_cmp_lt_i32_e64 s0, v23, v32
	s_wait_alu 0xf1ff
	s_delay_alu instid0(VALU_DEP_1) | instskip(SKIP_2) | instid1(VALU_DEP_1)
	v_cndmask_b32_e64 v0, 0, v86, s0
	v_cmp_lt_i32_e64 s0, v67, v32
	s_wait_alu 0xf1ff
	v_cndmask_b32_e64 v10, 0, v84, s0
	v_cmp_lt_i32_e64 s0, v66, v32
	s_delay_alu instid0(VALU_DEP_2) | instskip(SKIP_1) | instid1(VALU_DEP_2)
	v_or_b32_e32 v10, v0, v10
	s_wait_alu 0xf1ff
	v_cndmask_b32_e64 v70, 0, v81, s0
	v_cmp_lt_i32_e64 s0, v64, v32
	s_wait_alu 0xf1ff
	s_delay_alu instid0(VALU_DEP_1) | instskip(SKIP_1) | instid1(VALU_DEP_2)
	v_cndmask_b32_e64 v11, 0, v11, s0
	v_cmp_lt_i32_e64 s0, v53, v32
	v_or_b32_e32 v0, v70, v11
	s_wait_alu 0xf1ff
	s_delay_alu instid0(VALU_DEP_2) | instskip(SKIP_2) | instid1(VALU_DEP_1)
	v_cndmask_b32_e64 v80, 0, v85, s0
	v_cmp_lt_i32_e64 s0, v51, v32
	s_wait_alu 0xf1ff
	v_cndmask_b32_e64 v81, 0, v82, s0
	v_cmp_lt_i32_e64 s0, v36, v32
	s_delay_alu instid0(VALU_DEP_2) | instskip(SKIP_1) | instid1(VALU_DEP_2)
	v_or_b32_e32 v70, v80, v81
	s_wait_alu 0xf1ff
	v_cndmask_b32_e64 v82, 0, v83, s0
	v_cmp_lt_i32_e64 s0, v14, v32
	s_wait_alu 0xf1ff
	s_delay_alu instid0(VALU_DEP_1) | instskip(NEXT) | instid1(VALU_DEP_1)
	v_cndmask_b32_e64 v71, 0, v71, s0
	v_or_b32_e32 v80, v82, v71
.LBB279_869:                            ;   in Loop: Header=BB279_803 Depth=1
	s_wait_alu 0xfffe
	s_or_b32 exec_lo, exec_lo, s12
	v_and_b32_e32 v11, 0xffff, v37
	v_and_b32_e32 v37, 0xffff, v55
	;; [unrolled: 1-line block ×4, first 2 shown]
	s_mov_b32 s12, exec_lo
	v_lshl_or_b32 v55, v38, 16, v11
	v_lshl_or_b32 v52, v52, 16, v37
	;;#ASMSTART
	v_pk_mul_f16 v10, v55, v10;

	;;#ASMEND
	;;#ASMSTART
	v_pk_mul_f16 v0, v52, v0;

	;;#ASMEND
	v_lshl_or_b32 v37, v65, 16, v69
	v_mov_b32_e32 v69, 0
	v_lshl_or_b32 v38, v54, 16, v68
	;;#ASMSTART
	v_pk_mul_f16 v11, v38, v70;

	;;#ASMEND
	;;#ASMSTART
	v_pk_mul_f16 v54, v37, v80;

	;;#ASMEND
	;;#ASMSTART
	v_pk_add_f16 v0, v10, v0;

	;;#ASMEND
	;;#ASMSTART
	v_pk_add_f16 v0, v0, v11;

	;;#ASMEND
	;;#ASMSTART
	v_pk_add_f16 v0, v0, v54;

	;;#ASMEND
	v_and_b32_e32 v10, 0xffff, v0
	v_lshrrev_b32_e32 v0, 16, v0
	;;#ASMSTART
	v_cvt_f32_f16 v54, v10;
	;;#ASMEND
	;;#ASMSTART
	v_cvt_f32_f16 v65, v0;
	;;#ASMEND
	flat_load_b64 v[10:11], v[8:9] offset:256
	flat_load_b32 v68, v[26:27]
	v_mov_b32_e32 v70, 0
	s_wait_loadcnt_dscnt 0x101
	v_and_b32_e32 v0, 0xff, v10
	s_delay_alu instid0(VALU_DEP_1)
	v_cmpx_ne_u16_e32 0, v0
	s_cbranch_execz .LBB279_877
; %bb.870:                              ;   in Loop: Header=BB279_803 Depth=1
	v_mov_b32_e32 v70, 0x8000
	s_mov_b32 s13, exec_lo
	v_cmpx_ne_u16_e32 0x80, v0
	s_cbranch_execz .LBB279_876
; %bb.871:                              ;   in Loop: Header=BB279_803 Depth=1
	v_and_b32_e32 v71, 0x7f, v10
	v_mov_b32_e32 v70, 0x7c01
	s_mov_b32 s14, exec_lo
	s_delay_alu instid0(VALU_DEP_2)
	v_cmpx_ne_u32_e32 0x7f, v71
	s_cbranch_execz .LBB279_875
; %bb.872:                              ;   in Loop: Header=BB279_803 Depth=1
	v_and_b32_e32 v0, 7, v10
	v_lshrrev_b32_e32 v70, 3, v71
	s_mov_b32 s15, exec_lo
	v_cmpx_gt_u32_e32 8, v71
; %bb.873:                              ;   in Loop: Header=BB279_803 Depth=1
	s_delay_alu instid0(VALU_DEP_3) | instskip(NEXT) | instid1(VALU_DEP_1)
	v_clz_i32_u32_e32 v0, v0
	v_min_u32_e32 v0, 32, v0
	s_delay_alu instid0(VALU_DEP_1) | instskip(NEXT) | instid1(VALU_DEP_1)
	v_subrev_nc_u32_e32 v70, 28, v0
	v_lshlrev_b64_e32 v[80:81], v70, v[10:11]
	v_sub_nc_u32_e32 v70, 29, v0
	s_delay_alu instid0(VALU_DEP_2)
	v_and_b32_e32 v0, 7, v80
; %bb.874:                              ;   in Loop: Header=BB279_803 Depth=1
	s_wait_alu 0xfffe
	s_or_b32 exec_lo, exec_lo, s15
	v_lshlrev_b32_e32 v71, 8, v10
	v_lshl_add_u32 v70, v70, 10, 0x2000
	v_lshlrev_b32_e32 v0, 7, v0
	s_delay_alu instid0(VALU_DEP_3) | instskip(NEXT) | instid1(VALU_DEP_3)
	v_and_b32_e32 v71, 0x8000, v71
	v_and_b32_e32 v70, 0xfc00, v70
	s_delay_alu instid0(VALU_DEP_1)
	v_or3_b32 v70, v71, v70, v0
.LBB279_875:                            ;   in Loop: Header=BB279_803 Depth=1
	s_wait_alu 0xfffe
	s_or_b32 exec_lo, exec_lo, s14
.LBB279_876:                            ;   in Loop: Header=BB279_803 Depth=1
	s_wait_alu 0xfffe
	s_or_b32 exec_lo, exec_lo, s13
.LBB279_877:                            ;   in Loop: Header=BB279_803 Depth=1
	s_wait_alu 0xfffe
	s_or_b32 exec_lo, exec_lo, s12
	v_lshrrev_b16 v0, 8, v10
	s_mov_b32 s12, exec_lo
	s_delay_alu instid0(VALU_DEP_1)
	v_cmpx_ne_u16_e32 0, v0
	s_cbranch_execz .LBB279_885
; %bb.878:                              ;   in Loop: Header=BB279_803 Depth=1
	v_bfrev_b32_e32 v69, 1
	s_mov_b32 s13, exec_lo
	v_cmpx_ne_u16_e32 0x80, v0
	s_cbranch_execz .LBB279_884
; %bb.879:                              ;   in Loop: Header=BB279_803 Depth=1
	v_and_b32_e32 v71, 0xffff, v0
	v_mov_b32_e32 v69, 0x7c010000
	s_mov_b32 s14, exec_lo
	s_delay_alu instid0(VALU_DEP_2) | instskip(NEXT) | instid1(VALU_DEP_1)
	v_and_b32_e32 v81, 0x7f, v71
	v_cmpx_ne_u32_e32 0x7f, v81
	s_cbranch_execz .LBB279_883
; %bb.880:                              ;   in Loop: Header=BB279_803 Depth=1
	v_and_b32_e32 v69, 7, v71
	v_lshrrev_b32_e32 v80, 3, v81
	s_mov_b32 s15, exec_lo
	v_cmpx_gt_u32_e32 8, v81
; %bb.881:                              ;   in Loop: Header=BB279_803 Depth=1
	s_delay_alu instid0(VALU_DEP_3) | instskip(NEXT) | instid1(VALU_DEP_1)
	v_clz_i32_u32_e32 v69, v69
	v_min_u32_e32 v69, 32, v69
	s_delay_alu instid0(VALU_DEP_1) | instskip(NEXT) | instid1(VALU_DEP_1)
	v_subrev_nc_u32_e32 v80, 28, v69
	v_lshlrev_b64_e32 v[81:82], v80, v[0:1]
	v_sub_nc_u32_e32 v80, 29, v69
	s_delay_alu instid0(VALU_DEP_2)
	v_and_b32_e32 v69, 7, v81
; %bb.882:                              ;   in Loop: Header=BB279_803 Depth=1
	s_wait_alu 0xfffe
	s_or_b32 exec_lo, exec_lo, s15
	v_lshlrev_b32_e32 v0, 8, v71
	v_lshl_add_u32 v71, v80, 10, 0x2000
	v_lshlrev_b32_e32 v69, 23, v69
	s_delay_alu instid0(VALU_DEP_2) | instskip(NEXT) | instid1(VALU_DEP_1)
	v_and_or_b32 v0, 0x8000, v0, v71
	v_lshl_or_b32 v69, v0, 16, v69
.LBB279_883:                            ;   in Loop: Header=BB279_803 Depth=1
	s_wait_alu 0xfffe
	s_or_b32 exec_lo, exec_lo, s14
.LBB279_884:                            ;   in Loop: Header=BB279_803 Depth=1
	s_wait_alu 0xfffe
	s_or_b32 exec_lo, exec_lo, s13
.LBB279_885:                            ;   in Loop: Header=BB279_803 Depth=1
	s_wait_alu 0xfffe
	s_or_b32 exec_lo, exec_lo, s12
	v_lshrrev_b32_e32 v0, 16, v10
	v_mov_b32_e32 v71, 0
	s_mov_b32 s12, exec_lo
	s_delay_alu instid0(VALU_DEP_2) | instskip(NEXT) | instid1(VALU_DEP_1)
	v_dual_mov_b32 v80, 0 :: v_dual_and_b32 v81, 0xff, v0
	v_cmpx_ne_u16_e32 0, v81
	s_cbranch_execz .LBB279_893
; %bb.886:                              ;   in Loop: Header=BB279_803 Depth=1
	v_mov_b32_e32 v80, 0x8000
	s_mov_b32 s13, exec_lo
	v_cmpx_ne_u16_e32 0x80, v81
	s_cbranch_execz .LBB279_892
; %bb.887:                              ;   in Loop: Header=BB279_803 Depth=1
	v_bfe_u32 v82, v10, 16, 7
	v_mov_b32_e32 v80, 0x7c01
	s_mov_b32 s14, exec_lo
	s_delay_alu instid0(VALU_DEP_2)
	v_cmpx_ne_u32_e32 0x7f, v82
	s_cbranch_execz .LBB279_891
; %bb.888:                              ;   in Loop: Header=BB279_803 Depth=1
	v_and_b32_e32 v80, 7, v0
	v_lshrrev_b32_e32 v81, 3, v82
	s_mov_b32 s15, exec_lo
	v_cmpx_gt_u32_e32 8, v82
; %bb.889:                              ;   in Loop: Header=BB279_803 Depth=1
	s_delay_alu instid0(VALU_DEP_3) | instskip(NEXT) | instid1(VALU_DEP_1)
	v_clz_i32_u32_e32 v80, v80
	v_min_u32_e32 v82, 32, v80
	s_delay_alu instid0(VALU_DEP_1) | instskip(NEXT) | instid1(VALU_DEP_1)
	v_subrev_nc_u32_e32 v80, 28, v82
	v_lshlrev_b64_e32 v[80:81], v80, v[0:1]
	v_sub_nc_u32_e32 v81, 29, v82
	s_delay_alu instid0(VALU_DEP_2)
	v_and_b32_e32 v80, 7, v80
; %bb.890:                              ;   in Loop: Header=BB279_803 Depth=1
	s_wait_alu 0xfffe
	s_or_b32 exec_lo, exec_lo, s15
	v_lshlrev_b32_e32 v0, 8, v0
	v_lshl_add_u32 v81, v81, 10, 0x2000
	v_lshlrev_b32_e32 v80, 7, v80
	s_delay_alu instid0(VALU_DEP_3) | instskip(NEXT) | instid1(VALU_DEP_3)
	v_and_b32_e32 v0, 0x8000, v0
	v_and_b32_e32 v81, 0xfc00, v81
	s_delay_alu instid0(VALU_DEP_1)
	v_or3_b32 v80, v0, v81, v80
.LBB279_891:                            ;   in Loop: Header=BB279_803 Depth=1
	s_wait_alu 0xfffe
	s_or_b32 exec_lo, exec_lo, s14
.LBB279_892:                            ;   in Loop: Header=BB279_803 Depth=1
	s_wait_alu 0xfffe
	s_or_b32 exec_lo, exec_lo, s13
.LBB279_893:                            ;   in Loop: Header=BB279_803 Depth=1
	s_wait_alu 0xfffe
	s_or_b32 exec_lo, exec_lo, s12
	s_delay_alu instid0(SALU_CYCLE_1)
	s_mov_b32 s12, exec_lo
	v_cmpx_lt_u32_e32 0xffffff, v10
	s_cbranch_execz .LBB279_901
; %bb.894:                              ;   in Loop: Header=BB279_803 Depth=1
	v_lshrrev_b32_e32 v0, 24, v10
	v_bfrev_b32_e32 v71, 1
	s_mov_b32 s13, exec_lo
	s_delay_alu instid0(VALU_DEP_2)
	v_cmpx_ne_u32_e32 0x80, v0
	s_cbranch_execz .LBB279_900
; %bb.895:                              ;   in Loop: Header=BB279_803 Depth=1
	v_and_b32_e32 v82, 0x7f, v0
	v_mov_b32_e32 v71, 0x7c010000
	s_mov_b32 s14, exec_lo
	s_delay_alu instid0(VALU_DEP_2)
	v_cmpx_ne_u32_e32 0x7f, v82
	s_cbranch_execz .LBB279_899
; %bb.896:                              ;   in Loop: Header=BB279_803 Depth=1
	v_and_b32_e32 v71, 7, v0
	v_lshrrev_b32_e32 v81, 3, v82
	s_mov_b32 s15, exec_lo
	v_cmpx_gt_u32_e32 8, v82
; %bb.897:                              ;   in Loop: Header=BB279_803 Depth=1
	s_delay_alu instid0(VALU_DEP_3) | instskip(NEXT) | instid1(VALU_DEP_1)
	v_clz_i32_u32_e32 v71, v71
	v_min_u32_e32 v71, 32, v71
	s_delay_alu instid0(VALU_DEP_1) | instskip(NEXT) | instid1(VALU_DEP_1)
	v_subrev_nc_u32_e32 v81, 28, v71
	v_lshlrev_b64_e32 v[82:83], v81, v[0:1]
	v_sub_nc_u32_e32 v81, 29, v71
	s_delay_alu instid0(VALU_DEP_2)
	v_and_b32_e32 v71, 7, v82
; %bb.898:                              ;   in Loop: Header=BB279_803 Depth=1
	s_wait_alu 0xfffe
	s_or_b32 exec_lo, exec_lo, s15
	v_lshlrev_b32_e32 v0, 8, v0
	v_lshl_add_u32 v81, v81, 10, 0x2000
	v_lshlrev_b32_e32 v71, 23, v71
	s_delay_alu instid0(VALU_DEP_2) | instskip(NEXT) | instid1(VALU_DEP_1)
	v_and_or_b32 v0, 0x8000, v0, v81
	v_lshl_or_b32 v71, v0, 16, v71
.LBB279_899:                            ;   in Loop: Header=BB279_803 Depth=1
	s_wait_alu 0xfffe
	s_or_b32 exec_lo, exec_lo, s14
.LBB279_900:                            ;   in Loop: Header=BB279_803 Depth=1
	s_wait_alu 0xfffe
	s_or_b32 exec_lo, exec_lo, s13
.LBB279_901:                            ;   in Loop: Header=BB279_803 Depth=1
	s_wait_alu 0xfffe
	s_or_b32 exec_lo, exec_lo, s12
	v_dual_mov_b32 v0, v11 :: v_dual_and_b32 v83, 0xff, v11
	v_dual_mov_b32 v81, 0 :: v_dual_mov_b32 v82, 0
	s_mov_b32 s12, exec_lo
	s_delay_alu instid0(VALU_DEP_2)
	v_cmpx_ne_u16_e32 0, v83
	s_cbranch_execz .LBB279_909
; %bb.902:                              ;   in Loop: Header=BB279_803 Depth=1
	v_mov_b32_e32 v82, 0x8000
	s_mov_b32 s13, exec_lo
	v_cmpx_ne_u16_e32 0x80, v83
	s_cbranch_execz .LBB279_908
; %bb.903:                              ;   in Loop: Header=BB279_803 Depth=1
	v_and_b32_e32 v84, 0x7f, v11
	v_mov_b32_e32 v82, 0x7c01
	s_mov_b32 s14, exec_lo
	s_delay_alu instid0(VALU_DEP_2)
	v_cmpx_ne_u32_e32 0x7f, v84
	s_cbranch_execz .LBB279_907
; %bb.904:                              ;   in Loop: Header=BB279_803 Depth=1
	v_and_b32_e32 v82, 7, v11
	v_lshrrev_b32_e32 v83, 3, v84
	s_mov_b32 s15, exec_lo
	v_cmpx_gt_u32_e32 8, v84
; %bb.905:                              ;   in Loop: Header=BB279_803 Depth=1
	s_delay_alu instid0(VALU_DEP_3) | instskip(NEXT) | instid1(VALU_DEP_1)
	v_clz_i32_u32_e32 v82, v82
	v_min_u32_e32 v84, 32, v82
	s_delay_alu instid0(VALU_DEP_1) | instskip(NEXT) | instid1(VALU_DEP_1)
	v_subrev_nc_u32_e32 v82, 28, v84
	v_lshlrev_b64_e32 v[82:83], v82, v[0:1]
	v_sub_nc_u32_e32 v83, 29, v84
	s_delay_alu instid0(VALU_DEP_2)
	v_and_b32_e32 v82, 7, v82
; %bb.906:                              ;   in Loop: Header=BB279_803 Depth=1
	s_wait_alu 0xfffe
	s_or_b32 exec_lo, exec_lo, s15
	v_lshlrev_b32_e32 v84, 8, v11
	v_lshl_add_u32 v83, v83, 10, 0x2000
	v_lshlrev_b32_e32 v82, 7, v82
	s_delay_alu instid0(VALU_DEP_3) | instskip(NEXT) | instid1(VALU_DEP_3)
	v_and_b32_e32 v84, 0x8000, v84
	v_and_b32_e32 v83, 0xfc00, v83
	s_delay_alu instid0(VALU_DEP_1)
	v_or3_b32 v82, v84, v83, v82
.LBB279_907:                            ;   in Loop: Header=BB279_803 Depth=1
	s_wait_alu 0xfffe
	s_or_b32 exec_lo, exec_lo, s14
.LBB279_908:                            ;   in Loop: Header=BB279_803 Depth=1
	s_wait_alu 0xfffe
	s_or_b32 exec_lo, exec_lo, s13
.LBB279_909:                            ;   in Loop: Header=BB279_803 Depth=1
	s_wait_alu 0xfffe
	s_or_b32 exec_lo, exec_lo, s12
	v_lshrrev_b16 v0, 8, v0
	v_mov_b32_e32 v83, 0
	s_mov_b32 s12, exec_lo
	s_delay_alu instid0(VALU_DEP_2)
	v_cmpx_ne_u16_e32 0, v0
	s_cbranch_execz .LBB279_917
; %bb.910:                              ;   in Loop: Header=BB279_803 Depth=1
	v_bfrev_b32_e32 v83, 1
	s_mov_b32 s13, exec_lo
	v_cmpx_ne_u16_e32 0x80, v0
	s_cbranch_execz .LBB279_916
; %bb.911:                              ;   in Loop: Header=BB279_803 Depth=1
	v_and_b32_e32 v84, 0xffff, v0
	v_mov_b32_e32 v83, 0x7c010000
	s_mov_b32 s14, exec_lo
	s_delay_alu instid0(VALU_DEP_2) | instskip(NEXT) | instid1(VALU_DEP_1)
	v_and_b32_e32 v86, 0x7f, v84
	v_cmpx_ne_u32_e32 0x7f, v86
	s_cbranch_execz .LBB279_915
; %bb.912:                              ;   in Loop: Header=BB279_803 Depth=1
	v_and_b32_e32 v83, 7, v84
	v_lshrrev_b32_e32 v85, 3, v86
	s_mov_b32 s15, exec_lo
	v_cmpx_gt_u32_e32 8, v86
; %bb.913:                              ;   in Loop: Header=BB279_803 Depth=1
	s_delay_alu instid0(VALU_DEP_3) | instskip(NEXT) | instid1(VALU_DEP_1)
	v_clz_i32_u32_e32 v83, v83
	v_min_u32_e32 v83, 32, v83
	s_delay_alu instid0(VALU_DEP_1) | instskip(NEXT) | instid1(VALU_DEP_1)
	v_subrev_nc_u32_e32 v85, 28, v83
	v_lshlrev_b64_e32 v[86:87], v85, v[0:1]
	v_sub_nc_u32_e32 v85, 29, v83
	s_delay_alu instid0(VALU_DEP_2)
	v_and_b32_e32 v83, 7, v86
; %bb.914:                              ;   in Loop: Header=BB279_803 Depth=1
	s_wait_alu 0xfffe
	s_or_b32 exec_lo, exec_lo, s15
	v_lshlrev_b32_e32 v0, 8, v84
	v_lshl_add_u32 v84, v85, 10, 0x2000
	v_lshlrev_b32_e32 v83, 23, v83
	s_delay_alu instid0(VALU_DEP_2) | instskip(NEXT) | instid1(VALU_DEP_1)
	v_and_or_b32 v0, 0x8000, v0, v84
	v_lshl_or_b32 v83, v0, 16, v83
.LBB279_915:                            ;   in Loop: Header=BB279_803 Depth=1
	s_wait_alu 0xfffe
	s_or_b32 exec_lo, exec_lo, s14
.LBB279_916:                            ;   in Loop: Header=BB279_803 Depth=1
	s_wait_alu 0xfffe
	s_or_b32 exec_lo, exec_lo, s13
.LBB279_917:                            ;   in Loop: Header=BB279_803 Depth=1
	s_wait_alu 0xfffe
	s_or_b32 exec_lo, exec_lo, s12
	v_lshrrev_b32_e32 v0, 16, v11
	s_mov_b32 s12, exec_lo
	s_delay_alu instid0(VALU_DEP_1) | instskip(NEXT) | instid1(VALU_DEP_1)
	v_and_b32_e32 v84, 0xff, v0
	v_cmpx_ne_u16_e32 0, v84
	s_cbranch_execz .LBB279_925
; %bb.918:                              ;   in Loop: Header=BB279_803 Depth=1
	v_mov_b32_e32 v81, 0x8000
	s_mov_b32 s13, exec_lo
	v_cmpx_ne_u16_e32 0x80, v84
	s_cbranch_execz .LBB279_924
; %bb.919:                              ;   in Loop: Header=BB279_803 Depth=1
	v_bfe_u32 v85, v11, 16, 7
	v_mov_b32_e32 v81, 0x7c01
	s_mov_b32 s14, exec_lo
	s_delay_alu instid0(VALU_DEP_2)
	v_cmpx_ne_u32_e32 0x7f, v85
	s_cbranch_execz .LBB279_923
; %bb.920:                              ;   in Loop: Header=BB279_803 Depth=1
	v_and_b32_e32 v81, 7, v0
	v_lshrrev_b32_e32 v84, 3, v85
	s_mov_b32 s15, exec_lo
	v_cmpx_gt_u32_e32 8, v85
; %bb.921:                              ;   in Loop: Header=BB279_803 Depth=1
	s_delay_alu instid0(VALU_DEP_3) | instskip(NEXT) | instid1(VALU_DEP_1)
	v_clz_i32_u32_e32 v81, v81
	v_min_u32_e32 v81, 32, v81
	s_delay_alu instid0(VALU_DEP_1) | instskip(NEXT) | instid1(VALU_DEP_1)
	v_subrev_nc_u32_e32 v84, 28, v81
	v_lshlrev_b64_e32 v[85:86], v84, v[0:1]
	v_sub_nc_u32_e32 v84, 29, v81
	s_delay_alu instid0(VALU_DEP_2)
	v_and_b32_e32 v81, 7, v85
; %bb.922:                              ;   in Loop: Header=BB279_803 Depth=1
	s_wait_alu 0xfffe
	s_or_b32 exec_lo, exec_lo, s15
	v_lshlrev_b32_e32 v0, 8, v0
	v_lshl_add_u32 v84, v84, 10, 0x2000
	v_lshlrev_b32_e32 v81, 7, v81
	s_delay_alu instid0(VALU_DEP_3) | instskip(NEXT) | instid1(VALU_DEP_3)
	v_and_b32_e32 v0, 0x8000, v0
	v_and_b32_e32 v84, 0xfc00, v84
	s_delay_alu instid0(VALU_DEP_1)
	v_or3_b32 v81, v0, v84, v81
.LBB279_923:                            ;   in Loop: Header=BB279_803 Depth=1
	s_wait_alu 0xfffe
	s_or_b32 exec_lo, exec_lo, s14
.LBB279_924:                            ;   in Loop: Header=BB279_803 Depth=1
	s_wait_alu 0xfffe
	s_or_b32 exec_lo, exec_lo, s13
.LBB279_925:                            ;   in Loop: Header=BB279_803 Depth=1
	s_wait_alu 0xfffe
	s_or_b32 exec_lo, exec_lo, s12
	v_cmp_lt_u64_e64 s0, s[8:9], v[10:11]
	v_mov_b32_e32 v10, 0
	s_and_saveexec_b32 s12, s0
	s_cbranch_execz .LBB279_933
; %bb.926:                              ;   in Loop: Header=BB279_803 Depth=1
	v_lshrrev_b32_e32 v0, 24, v11
	v_bfrev_b32_e32 v10, 1
	s_mov_b32 s13, exec_lo
	s_delay_alu instid0(VALU_DEP_2)
	v_cmpx_ne_u32_e32 0x80, v0
	s_cbranch_execz .LBB279_932
; %bb.927:                              ;   in Loop: Header=BB279_803 Depth=1
	v_and_b32_e32 v84, 0x7f, v0
	v_mov_b32_e32 v10, 0x7c010000
	s_mov_b32 s14, exec_lo
	s_delay_alu instid0(VALU_DEP_2)
	v_cmpx_ne_u32_e32 0x7f, v84
	s_cbranch_execz .LBB279_931
; %bb.928:                              ;   in Loop: Header=BB279_803 Depth=1
	v_and_b32_e32 v10, 7, v0
	v_lshrrev_b32_e32 v11, 3, v84
	s_mov_b32 s15, exec_lo
	v_cmpx_gt_u32_e32 8, v84
; %bb.929:                              ;   in Loop: Header=BB279_803 Depth=1
	s_delay_alu instid0(VALU_DEP_3) | instskip(NEXT) | instid1(VALU_DEP_1)
	v_clz_i32_u32_e32 v10, v10
	v_min_u32_e32 v84, 32, v10
	s_delay_alu instid0(VALU_DEP_1) | instskip(NEXT) | instid1(VALU_DEP_1)
	v_subrev_nc_u32_e32 v10, 28, v84
	v_lshlrev_b64_e32 v[10:11], v10, v[0:1]
	v_sub_nc_u32_e32 v11, 29, v84
	s_delay_alu instid0(VALU_DEP_2)
	v_and_b32_e32 v10, 7, v10
; %bb.930:                              ;   in Loop: Header=BB279_803 Depth=1
	s_wait_alu 0xfffe
	s_or_b32 exec_lo, exec_lo, s15
	v_lshlrev_b32_e32 v0, 8, v0
	v_lshl_add_u32 v11, v11, 10, 0x2000
	v_lshlrev_b32_e32 v10, 23, v10
	s_delay_alu instid0(VALU_DEP_2) | instskip(NEXT) | instid1(VALU_DEP_1)
	v_and_or_b32 v0, 0x8000, v0, v11
	v_lshl_or_b32 v10, v0, 16, v10
.LBB279_931:                            ;   in Loop: Header=BB279_803 Depth=1
	s_wait_alu 0xfffe
	s_or_b32 exec_lo, exec_lo, s14
.LBB279_932:                            ;   in Loop: Header=BB279_803 Depth=1
	s_wait_alu 0xfffe
	s_or_b32 exec_lo, exec_lo, s13
.LBB279_933:                            ;   in Loop: Header=BB279_803 Depth=1
	s_wait_alu 0xfffe
	s_or_b32 exec_lo, exec_lo, s12
	v_or_b32_e32 v0, v71, v80
	s_wait_loadcnt_dscnt 0x0
	v_fma_mixlo_f16 v11, v68, v71, 0 op_sel:[0,1,0] op_sel_hi:[0,1,0]
	v_or_b32_e32 v71, v69, v70
	v_fma_mixlo_f16 v69, v68, v69, 0 op_sel:[0,1,0] op_sel_hi:[0,1,0]
	v_or_b32_e32 v80, v83, v82
	v_or_b32_e32 v81, v10, v81
	v_fma_mixlo_f16 v82, v68, v0, 0 op_sel_hi:[0,1,0]
	v_fma_mixlo_f16 v10, v68, v10, 0 op_sel:[0,1,0] op_sel_hi:[0,1,0]
	v_lshlrev_b32_e32 v70, 16, v69
	v_fma_mixlo_f16 v69, v68, v71, 0 op_sel_hi:[0,1,0]
	v_fma_mixlo_f16 v71, v68, v83, 0 op_sel:[0,1,0] op_sel_hi:[0,1,0]
	v_fma_mixlo_f16 v80, v68, v80, 0 op_sel_hi:[0,1,0]
	v_fma_mixlo_f16 v81, v68, v81, 0 op_sel_hi:[0,1,0]
	v_lshlrev_b32_e32 v0, 16, v11
	v_and_b32_e32 v11, 0xffff, v82
	v_and_b32_e32 v84, 0xffff, v69
	v_lshlrev_b32_e32 v68, 16, v71
	v_and_b32_e32 v80, 0xffff, v80
	v_lshlrev_b32_e32 v10, 16, v10
	v_and_b32_e32 v69, 0xffff, v81
	v_or_b32_e32 v71, v0, v11
	v_or_b32_e32 v83, v70, v84
	;; [unrolled: 1-line block ×3, first 2 shown]
	s_delay_alu instid0(VALU_DEP_4)
	v_or_b32_e32 v81, v10, v69
	s_and_saveexec_b32 s12, vcc_lo
	s_cbranch_execz .LBB279_935
; %bb.934:                              ;   in Loop: Header=BB279_803 Depth=1
	v_cmp_lt_i32_e64 s0, v23, v32
	s_wait_alu 0xf1ff
	s_delay_alu instid0(VALU_DEP_1) | instskip(SKIP_2) | instid1(VALU_DEP_1)
	v_cndmask_b32_e64 v71, 0, v84, s0
	v_cmp_lt_i32_e64 s0, v67, v32
	s_wait_alu 0xf1ff
	v_cndmask_b32_e64 v70, 0, v70, s0
	v_cmp_lt_i32_e64 s0, v66, v32
	s_delay_alu instid0(VALU_DEP_2) | instskip(SKIP_1) | instid1(VALU_DEP_2)
	v_or_b32_e32 v83, v71, v70
	s_wait_alu 0xf1ff
	v_cndmask_b32_e64 v11, 0, v11, s0
	v_cmp_lt_i32_e64 s0, v64, v32
	s_wait_alu 0xf1ff
	s_delay_alu instid0(VALU_DEP_1) | instskip(SKIP_1) | instid1(VALU_DEP_2)
	v_cndmask_b32_e64 v0, 0, v0, s0
	v_cmp_lt_i32_e64 s0, v53, v32
	v_or_b32_e32 v71, v11, v0
	s_wait_alu 0xf1ff
	s_delay_alu instid0(VALU_DEP_2) | instskip(SKIP_2) | instid1(VALU_DEP_1)
	v_cndmask_b32_e64 v80, 0, v80, s0
	v_cmp_lt_i32_e64 s0, v51, v32
	s_wait_alu 0xf1ff
	v_cndmask_b32_e64 v68, 0, v68, s0
	v_cmp_lt_i32_e64 s0, v36, v32
	s_delay_alu instid0(VALU_DEP_2) | instskip(SKIP_1) | instid1(VALU_DEP_2)
	v_or_b32_e32 v82, v80, v68
	s_wait_alu 0xf1ff
	v_cndmask_b32_e64 v69, 0, v69, s0
	v_cmp_lt_i32_e64 s0, v14, v32
	s_wait_alu 0xf1ff
	s_delay_alu instid0(VALU_DEP_1) | instskip(NEXT) | instid1(VALU_DEP_1)
	v_cndmask_b32_e64 v10, 0, v10, s0
	v_or_b32_e32 v81, v69, v10
.LBB279_935:                            ;   in Loop: Header=BB279_803 Depth=1
	s_wait_alu 0xfffe
	s_or_b32 exec_lo, exec_lo, s12
	;;#ASMSTART
	v_pk_mul_f16 v0, v55, v83;

	;;#ASMEND
	;;#ASMSTART
	v_pk_mul_f16 v10, v52, v71;

	;;#ASMEND
	;; [unrolled: 4-line block ×4, first 2 shown]
	;;#ASMSTART
	v_pk_add_f16 v0, v0, v10;

	;;#ASMEND
	;;#ASMSTART
	v_pk_add_f16 v0, v0, v11;

	;;#ASMEND
	;; [unrolled: 4-line block ×3, first 2 shown]
	v_dual_mov_b32 v71, 0 :: v_dual_and_b32 v10, 0xffff, v0
	v_lshrrev_b32_e32 v0, 16, v0
	;;#ASMSTART
	v_cvt_f32_f16 v68, v10;
	;;#ASMEND
	;;#ASMSTART
	v_cvt_f32_f16 v69, v0;
	;;#ASMEND
	flat_load_b64 v[10:11], v[8:9] offset:512
	flat_load_b32 v70, v[26:27]
	v_mov_b32_e32 v80, 0
	s_mov_b32 s12, exec_lo
	s_wait_loadcnt_dscnt 0x101
	v_and_b32_e32 v0, 0xff, v10
	s_delay_alu instid0(VALU_DEP_1)
	v_cmpx_ne_u16_e32 0, v0
	s_cbranch_execz .LBB279_943
; %bb.936:                              ;   in Loop: Header=BB279_803 Depth=1
	v_mov_b32_e32 v80, 0x8000
	s_mov_b32 s13, exec_lo
	v_cmpx_ne_u16_e32 0x80, v0
	s_cbranch_execz .LBB279_942
; %bb.937:                              ;   in Loop: Header=BB279_803 Depth=1
	v_and_b32_e32 v81, 0x7f, v10
	v_mov_b32_e32 v80, 0x7c01
	s_mov_b32 s14, exec_lo
	s_delay_alu instid0(VALU_DEP_2)
	v_cmpx_ne_u32_e32 0x7f, v81
	s_cbranch_execz .LBB279_941
; %bb.938:                              ;   in Loop: Header=BB279_803 Depth=1
	v_and_b32_e32 v0, 7, v10
	v_lshrrev_b32_e32 v80, 3, v81
	s_mov_b32 s15, exec_lo
	v_cmpx_gt_u32_e32 8, v81
; %bb.939:                              ;   in Loop: Header=BB279_803 Depth=1
	s_delay_alu instid0(VALU_DEP_3) | instskip(NEXT) | instid1(VALU_DEP_1)
	v_clz_i32_u32_e32 v0, v0
	v_min_u32_e32 v0, 32, v0
	s_delay_alu instid0(VALU_DEP_1) | instskip(NEXT) | instid1(VALU_DEP_1)
	v_subrev_nc_u32_e32 v80, 28, v0
	v_lshlrev_b64_e32 v[81:82], v80, v[10:11]
	v_sub_nc_u32_e32 v80, 29, v0
	s_delay_alu instid0(VALU_DEP_2)
	v_and_b32_e32 v0, 7, v81
; %bb.940:                              ;   in Loop: Header=BB279_803 Depth=1
	s_wait_alu 0xfffe
	s_or_b32 exec_lo, exec_lo, s15
	v_lshlrev_b32_e32 v81, 8, v10
	v_lshl_add_u32 v80, v80, 10, 0x2000
	v_lshlrev_b32_e32 v0, 7, v0
	s_delay_alu instid0(VALU_DEP_3) | instskip(NEXT) | instid1(VALU_DEP_3)
	v_and_b32_e32 v81, 0x8000, v81
	v_and_b32_e32 v80, 0xfc00, v80
	s_delay_alu instid0(VALU_DEP_1)
	v_or3_b32 v80, v81, v80, v0
.LBB279_941:                            ;   in Loop: Header=BB279_803 Depth=1
	s_wait_alu 0xfffe
	s_or_b32 exec_lo, exec_lo, s14
.LBB279_942:                            ;   in Loop: Header=BB279_803 Depth=1
	s_wait_alu 0xfffe
	s_or_b32 exec_lo, exec_lo, s13
.LBB279_943:                            ;   in Loop: Header=BB279_803 Depth=1
	s_wait_alu 0xfffe
	s_or_b32 exec_lo, exec_lo, s12
	v_lshrrev_b16 v0, 8, v10
	s_mov_b32 s12, exec_lo
	s_delay_alu instid0(VALU_DEP_1)
	v_cmpx_ne_u16_e32 0, v0
	s_cbranch_execz .LBB279_951
; %bb.944:                              ;   in Loop: Header=BB279_803 Depth=1
	v_bfrev_b32_e32 v71, 1
	s_mov_b32 s13, exec_lo
	v_cmpx_ne_u16_e32 0x80, v0
	s_cbranch_execz .LBB279_950
; %bb.945:                              ;   in Loop: Header=BB279_803 Depth=1
	v_and_b32_e32 v81, 0xffff, v0
	v_mov_b32_e32 v71, 0x7c010000
	s_mov_b32 s14, exec_lo
	s_delay_alu instid0(VALU_DEP_2) | instskip(NEXT) | instid1(VALU_DEP_1)
	v_and_b32_e32 v83, 0x7f, v81
	v_cmpx_ne_u32_e32 0x7f, v83
	s_cbranch_execz .LBB279_949
; %bb.946:                              ;   in Loop: Header=BB279_803 Depth=1
	v_and_b32_e32 v71, 7, v81
	v_lshrrev_b32_e32 v82, 3, v83
	s_mov_b32 s15, exec_lo
	v_cmpx_gt_u32_e32 8, v83
; %bb.947:                              ;   in Loop: Header=BB279_803 Depth=1
	s_delay_alu instid0(VALU_DEP_3) | instskip(NEXT) | instid1(VALU_DEP_1)
	v_clz_i32_u32_e32 v71, v71
	v_min_u32_e32 v71, 32, v71
	s_delay_alu instid0(VALU_DEP_1) | instskip(NEXT) | instid1(VALU_DEP_1)
	v_subrev_nc_u32_e32 v82, 28, v71
	v_lshlrev_b64_e32 v[83:84], v82, v[0:1]
	v_sub_nc_u32_e32 v82, 29, v71
	s_delay_alu instid0(VALU_DEP_2)
	v_and_b32_e32 v71, 7, v83
; %bb.948:                              ;   in Loop: Header=BB279_803 Depth=1
	s_wait_alu 0xfffe
	s_or_b32 exec_lo, exec_lo, s15
	v_lshlrev_b32_e32 v0, 8, v81
	v_lshl_add_u32 v81, v82, 10, 0x2000
	v_lshlrev_b32_e32 v71, 23, v71
	s_delay_alu instid0(VALU_DEP_2) | instskip(NEXT) | instid1(VALU_DEP_1)
	v_and_or_b32 v0, 0x8000, v0, v81
	v_lshl_or_b32 v71, v0, 16, v71
.LBB279_949:                            ;   in Loop: Header=BB279_803 Depth=1
	s_wait_alu 0xfffe
	s_or_b32 exec_lo, exec_lo, s14
.LBB279_950:                            ;   in Loop: Header=BB279_803 Depth=1
	s_wait_alu 0xfffe
	s_or_b32 exec_lo, exec_lo, s13
.LBB279_951:                            ;   in Loop: Header=BB279_803 Depth=1
	s_wait_alu 0xfffe
	s_or_b32 exec_lo, exec_lo, s12
	v_lshrrev_b32_e32 v0, 16, v10
	v_mov_b32_e32 v81, 0
	s_mov_b32 s12, exec_lo
	s_delay_alu instid0(VALU_DEP_2) | instskip(NEXT) | instid1(VALU_DEP_1)
	v_dual_mov_b32 v82, 0 :: v_dual_and_b32 v83, 0xff, v0
	v_cmpx_ne_u16_e32 0, v83
	s_cbranch_execz .LBB279_959
; %bb.952:                              ;   in Loop: Header=BB279_803 Depth=1
	v_mov_b32_e32 v82, 0x8000
	s_mov_b32 s13, exec_lo
	v_cmpx_ne_u16_e32 0x80, v83
	s_cbranch_execz .LBB279_958
; %bb.953:                              ;   in Loop: Header=BB279_803 Depth=1
	v_bfe_u32 v84, v10, 16, 7
	v_mov_b32_e32 v82, 0x7c01
	s_mov_b32 s14, exec_lo
	s_delay_alu instid0(VALU_DEP_2)
	v_cmpx_ne_u32_e32 0x7f, v84
	s_cbranch_execz .LBB279_957
; %bb.954:                              ;   in Loop: Header=BB279_803 Depth=1
	v_and_b32_e32 v82, 7, v0
	v_lshrrev_b32_e32 v83, 3, v84
	s_mov_b32 s15, exec_lo
	v_cmpx_gt_u32_e32 8, v84
; %bb.955:                              ;   in Loop: Header=BB279_803 Depth=1
	s_delay_alu instid0(VALU_DEP_3) | instskip(NEXT) | instid1(VALU_DEP_1)
	v_clz_i32_u32_e32 v82, v82
	v_min_u32_e32 v84, 32, v82
	s_delay_alu instid0(VALU_DEP_1) | instskip(NEXT) | instid1(VALU_DEP_1)
	v_subrev_nc_u32_e32 v82, 28, v84
	v_lshlrev_b64_e32 v[82:83], v82, v[0:1]
	v_sub_nc_u32_e32 v83, 29, v84
	s_delay_alu instid0(VALU_DEP_2)
	v_and_b32_e32 v82, 7, v82
; %bb.956:                              ;   in Loop: Header=BB279_803 Depth=1
	s_wait_alu 0xfffe
	s_or_b32 exec_lo, exec_lo, s15
	v_lshlrev_b32_e32 v0, 8, v0
	v_lshl_add_u32 v83, v83, 10, 0x2000
	v_lshlrev_b32_e32 v82, 7, v82
	s_delay_alu instid0(VALU_DEP_3) | instskip(NEXT) | instid1(VALU_DEP_3)
	v_and_b32_e32 v0, 0x8000, v0
	v_and_b32_e32 v83, 0xfc00, v83
	s_delay_alu instid0(VALU_DEP_1)
	v_or3_b32 v82, v0, v83, v82
.LBB279_957:                            ;   in Loop: Header=BB279_803 Depth=1
	s_wait_alu 0xfffe
	s_or_b32 exec_lo, exec_lo, s14
.LBB279_958:                            ;   in Loop: Header=BB279_803 Depth=1
	s_wait_alu 0xfffe
	s_or_b32 exec_lo, exec_lo, s13
.LBB279_959:                            ;   in Loop: Header=BB279_803 Depth=1
	s_wait_alu 0xfffe
	s_or_b32 exec_lo, exec_lo, s12
	s_delay_alu instid0(SALU_CYCLE_1)
	s_mov_b32 s12, exec_lo
	v_cmpx_lt_u32_e32 0xffffff, v10
	s_cbranch_execz .LBB279_967
; %bb.960:                              ;   in Loop: Header=BB279_803 Depth=1
	v_lshrrev_b32_e32 v0, 24, v10
	v_bfrev_b32_e32 v81, 1
	s_mov_b32 s13, exec_lo
	s_delay_alu instid0(VALU_DEP_2)
	v_cmpx_ne_u32_e32 0x80, v0
	s_cbranch_execz .LBB279_966
; %bb.961:                              ;   in Loop: Header=BB279_803 Depth=1
	v_and_b32_e32 v84, 0x7f, v0
	v_mov_b32_e32 v81, 0x7c010000
	s_mov_b32 s14, exec_lo
	s_delay_alu instid0(VALU_DEP_2)
	v_cmpx_ne_u32_e32 0x7f, v84
	s_cbranch_execz .LBB279_965
; %bb.962:                              ;   in Loop: Header=BB279_803 Depth=1
	v_and_b32_e32 v81, 7, v0
	v_lshrrev_b32_e32 v83, 3, v84
	s_mov_b32 s15, exec_lo
	v_cmpx_gt_u32_e32 8, v84
; %bb.963:                              ;   in Loop: Header=BB279_803 Depth=1
	s_delay_alu instid0(VALU_DEP_3) | instskip(NEXT) | instid1(VALU_DEP_1)
	v_clz_i32_u32_e32 v81, v81
	v_min_u32_e32 v81, 32, v81
	s_delay_alu instid0(VALU_DEP_1) | instskip(NEXT) | instid1(VALU_DEP_1)
	v_subrev_nc_u32_e32 v83, 28, v81
	v_lshlrev_b64_e32 v[84:85], v83, v[0:1]
	v_sub_nc_u32_e32 v83, 29, v81
	s_delay_alu instid0(VALU_DEP_2)
	v_and_b32_e32 v81, 7, v84
; %bb.964:                              ;   in Loop: Header=BB279_803 Depth=1
	s_wait_alu 0xfffe
	s_or_b32 exec_lo, exec_lo, s15
	v_lshlrev_b32_e32 v0, 8, v0
	v_lshl_add_u32 v83, v83, 10, 0x2000
	v_lshlrev_b32_e32 v81, 23, v81
	s_delay_alu instid0(VALU_DEP_2) | instskip(NEXT) | instid1(VALU_DEP_1)
	v_and_or_b32 v0, 0x8000, v0, v83
	v_lshl_or_b32 v81, v0, 16, v81
.LBB279_965:                            ;   in Loop: Header=BB279_803 Depth=1
	s_wait_alu 0xfffe
	s_or_b32 exec_lo, exec_lo, s14
.LBB279_966:                            ;   in Loop: Header=BB279_803 Depth=1
	s_wait_alu 0xfffe
	s_or_b32 exec_lo, exec_lo, s13
.LBB279_967:                            ;   in Loop: Header=BB279_803 Depth=1
	s_wait_alu 0xfffe
	s_or_b32 exec_lo, exec_lo, s12
	v_dual_mov_b32 v0, v11 :: v_dual_and_b32 v85, 0xff, v11
	v_dual_mov_b32 v83, 0 :: v_dual_mov_b32 v84, 0
	s_mov_b32 s12, exec_lo
	s_delay_alu instid0(VALU_DEP_2)
	v_cmpx_ne_u16_e32 0, v85
	s_cbranch_execz .LBB279_975
; %bb.968:                              ;   in Loop: Header=BB279_803 Depth=1
	v_mov_b32_e32 v84, 0x8000
	s_mov_b32 s13, exec_lo
	v_cmpx_ne_u16_e32 0x80, v85
	s_cbranch_execz .LBB279_974
; %bb.969:                              ;   in Loop: Header=BB279_803 Depth=1
	v_and_b32_e32 v86, 0x7f, v11
	v_mov_b32_e32 v84, 0x7c01
	s_mov_b32 s14, exec_lo
	s_delay_alu instid0(VALU_DEP_2)
	v_cmpx_ne_u32_e32 0x7f, v86
	s_cbranch_execz .LBB279_973
; %bb.970:                              ;   in Loop: Header=BB279_803 Depth=1
	v_and_b32_e32 v84, 7, v11
	v_lshrrev_b32_e32 v85, 3, v86
	s_mov_b32 s15, exec_lo
	v_cmpx_gt_u32_e32 8, v86
; %bb.971:                              ;   in Loop: Header=BB279_803 Depth=1
	s_delay_alu instid0(VALU_DEP_3) | instskip(NEXT) | instid1(VALU_DEP_1)
	v_clz_i32_u32_e32 v84, v84
	v_min_u32_e32 v86, 32, v84
	s_delay_alu instid0(VALU_DEP_1) | instskip(NEXT) | instid1(VALU_DEP_1)
	v_subrev_nc_u32_e32 v84, 28, v86
	v_lshlrev_b64_e32 v[84:85], v84, v[0:1]
	v_sub_nc_u32_e32 v85, 29, v86
	s_delay_alu instid0(VALU_DEP_2)
	v_and_b32_e32 v84, 7, v84
; %bb.972:                              ;   in Loop: Header=BB279_803 Depth=1
	s_wait_alu 0xfffe
	s_or_b32 exec_lo, exec_lo, s15
	v_lshlrev_b32_e32 v86, 8, v11
	v_lshl_add_u32 v85, v85, 10, 0x2000
	v_lshlrev_b32_e32 v84, 7, v84
	s_delay_alu instid0(VALU_DEP_3) | instskip(NEXT) | instid1(VALU_DEP_3)
	v_and_b32_e32 v86, 0x8000, v86
	v_and_b32_e32 v85, 0xfc00, v85
	s_delay_alu instid0(VALU_DEP_1)
	v_or3_b32 v84, v86, v85, v84
.LBB279_973:                            ;   in Loop: Header=BB279_803 Depth=1
	s_wait_alu 0xfffe
	s_or_b32 exec_lo, exec_lo, s14
.LBB279_974:                            ;   in Loop: Header=BB279_803 Depth=1
	s_wait_alu 0xfffe
	s_or_b32 exec_lo, exec_lo, s13
.LBB279_975:                            ;   in Loop: Header=BB279_803 Depth=1
	s_wait_alu 0xfffe
	s_or_b32 exec_lo, exec_lo, s12
	v_lshrrev_b16 v0, 8, v0
	v_mov_b32_e32 v85, 0
	s_mov_b32 s12, exec_lo
	s_delay_alu instid0(VALU_DEP_2)
	v_cmpx_ne_u16_e32 0, v0
	s_cbranch_execz .LBB279_983
; %bb.976:                              ;   in Loop: Header=BB279_803 Depth=1
	v_bfrev_b32_e32 v85, 1
	s_mov_b32 s13, exec_lo
	v_cmpx_ne_u16_e32 0x80, v0
	s_cbranch_execz .LBB279_982
; %bb.977:                              ;   in Loop: Header=BB279_803 Depth=1
	v_and_b32_e32 v86, 0xffff, v0
	v_mov_b32_e32 v85, 0x7c010000
	s_mov_b32 s14, exec_lo
	s_delay_alu instid0(VALU_DEP_2) | instskip(NEXT) | instid1(VALU_DEP_1)
	v_and_b32_e32 v96, 0x7f, v86
	v_cmpx_ne_u32_e32 0x7f, v96
	s_cbranch_execz .LBB279_981
; %bb.978:                              ;   in Loop: Header=BB279_803 Depth=1
	v_and_b32_e32 v85, 7, v86
	v_lshrrev_b32_e32 v87, 3, v96
	s_mov_b32 s15, exec_lo
	v_cmpx_gt_u32_e32 8, v96
; %bb.979:                              ;   in Loop: Header=BB279_803 Depth=1
	s_delay_alu instid0(VALU_DEP_3) | instskip(NEXT) | instid1(VALU_DEP_1)
	v_clz_i32_u32_e32 v85, v85
	v_min_u32_e32 v85, 32, v85
	s_delay_alu instid0(VALU_DEP_1) | instskip(NEXT) | instid1(VALU_DEP_1)
	v_subrev_nc_u32_e32 v87, 28, v85
	v_lshlrev_b64_e32 v[96:97], v87, v[0:1]
	v_sub_nc_u32_e32 v87, 29, v85
	s_delay_alu instid0(VALU_DEP_2)
	v_and_b32_e32 v85, 7, v96
; %bb.980:                              ;   in Loop: Header=BB279_803 Depth=1
	s_wait_alu 0xfffe
	s_or_b32 exec_lo, exec_lo, s15
	v_lshlrev_b32_e32 v0, 8, v86
	v_lshl_add_u32 v86, v87, 10, 0x2000
	v_lshlrev_b32_e32 v85, 23, v85
	s_delay_alu instid0(VALU_DEP_2) | instskip(NEXT) | instid1(VALU_DEP_1)
	v_and_or_b32 v0, 0x8000, v0, v86
	v_lshl_or_b32 v85, v0, 16, v85
.LBB279_981:                            ;   in Loop: Header=BB279_803 Depth=1
	s_wait_alu 0xfffe
	s_or_b32 exec_lo, exec_lo, s14
.LBB279_982:                            ;   in Loop: Header=BB279_803 Depth=1
	s_wait_alu 0xfffe
	s_or_b32 exec_lo, exec_lo, s13
.LBB279_983:                            ;   in Loop: Header=BB279_803 Depth=1
	s_wait_alu 0xfffe
	s_or_b32 exec_lo, exec_lo, s12
	v_lshrrev_b32_e32 v0, 16, v11
	s_mov_b32 s12, exec_lo
	s_delay_alu instid0(VALU_DEP_1) | instskip(NEXT) | instid1(VALU_DEP_1)
	v_and_b32_e32 v86, 0xff, v0
	v_cmpx_ne_u16_e32 0, v86
	s_cbranch_execz .LBB279_991
; %bb.984:                              ;   in Loop: Header=BB279_803 Depth=1
	v_mov_b32_e32 v83, 0x8000
	s_mov_b32 s13, exec_lo
	v_cmpx_ne_u16_e32 0x80, v86
	s_cbranch_execz .LBB279_990
; %bb.985:                              ;   in Loop: Header=BB279_803 Depth=1
	v_bfe_u32 v87, v11, 16, 7
	v_mov_b32_e32 v83, 0x7c01
	s_mov_b32 s14, exec_lo
	s_delay_alu instid0(VALU_DEP_2)
	v_cmpx_ne_u32_e32 0x7f, v87
	s_cbranch_execz .LBB279_989
; %bb.986:                              ;   in Loop: Header=BB279_803 Depth=1
	v_and_b32_e32 v83, 7, v0
	v_lshrrev_b32_e32 v86, 3, v87
	s_mov_b32 s15, exec_lo
	v_cmpx_gt_u32_e32 8, v87
; %bb.987:                              ;   in Loop: Header=BB279_803 Depth=1
	s_delay_alu instid0(VALU_DEP_3) | instskip(NEXT) | instid1(VALU_DEP_1)
	v_clz_i32_u32_e32 v83, v83
	v_min_u32_e32 v83, 32, v83
	s_delay_alu instid0(VALU_DEP_1) | instskip(NEXT) | instid1(VALU_DEP_1)
	v_subrev_nc_u32_e32 v86, 28, v83
	v_lshlrev_b64_e32 v[96:97], v86, v[0:1]
	v_sub_nc_u32_e32 v86, 29, v83
	s_delay_alu instid0(VALU_DEP_2)
	v_and_b32_e32 v83, 7, v96
; %bb.988:                              ;   in Loop: Header=BB279_803 Depth=1
	s_wait_alu 0xfffe
	s_or_b32 exec_lo, exec_lo, s15
	v_lshlrev_b32_e32 v0, 8, v0
	v_lshl_add_u32 v86, v86, 10, 0x2000
	v_lshlrev_b32_e32 v83, 7, v83
	s_delay_alu instid0(VALU_DEP_3) | instskip(NEXT) | instid1(VALU_DEP_3)
	v_and_b32_e32 v0, 0x8000, v0
	v_and_b32_e32 v86, 0xfc00, v86
	s_delay_alu instid0(VALU_DEP_1)
	v_or3_b32 v83, v0, v86, v83
.LBB279_989:                            ;   in Loop: Header=BB279_803 Depth=1
	s_wait_alu 0xfffe
	s_or_b32 exec_lo, exec_lo, s14
.LBB279_990:                            ;   in Loop: Header=BB279_803 Depth=1
	s_wait_alu 0xfffe
	s_or_b32 exec_lo, exec_lo, s13
.LBB279_991:                            ;   in Loop: Header=BB279_803 Depth=1
	s_wait_alu 0xfffe
	s_or_b32 exec_lo, exec_lo, s12
	v_cmp_lt_u64_e64 s0, s[8:9], v[10:11]
	v_mov_b32_e32 v10, 0
	s_and_saveexec_b32 s12, s0
	s_cbranch_execz .LBB279_999
; %bb.992:                              ;   in Loop: Header=BB279_803 Depth=1
	v_lshrrev_b32_e32 v0, 24, v11
	v_bfrev_b32_e32 v10, 1
	s_mov_b32 s13, exec_lo
	s_delay_alu instid0(VALU_DEP_2)
	v_cmpx_ne_u32_e32 0x80, v0
	s_cbranch_execz .LBB279_998
; %bb.993:                              ;   in Loop: Header=BB279_803 Depth=1
	v_and_b32_e32 v86, 0x7f, v0
	v_mov_b32_e32 v10, 0x7c010000
	s_mov_b32 s14, exec_lo
	s_delay_alu instid0(VALU_DEP_2)
	v_cmpx_ne_u32_e32 0x7f, v86
	s_cbranch_execz .LBB279_997
; %bb.994:                              ;   in Loop: Header=BB279_803 Depth=1
	v_and_b32_e32 v10, 7, v0
	v_lshrrev_b32_e32 v11, 3, v86
	s_mov_b32 s15, exec_lo
	v_cmpx_gt_u32_e32 8, v86
; %bb.995:                              ;   in Loop: Header=BB279_803 Depth=1
	s_delay_alu instid0(VALU_DEP_3) | instskip(NEXT) | instid1(VALU_DEP_1)
	v_clz_i32_u32_e32 v10, v10
	v_min_u32_e32 v86, 32, v10
	s_delay_alu instid0(VALU_DEP_1) | instskip(NEXT) | instid1(VALU_DEP_1)
	v_subrev_nc_u32_e32 v10, 28, v86
	v_lshlrev_b64_e32 v[10:11], v10, v[0:1]
	v_sub_nc_u32_e32 v11, 29, v86
	s_delay_alu instid0(VALU_DEP_2)
	v_and_b32_e32 v10, 7, v10
; %bb.996:                              ;   in Loop: Header=BB279_803 Depth=1
	s_wait_alu 0xfffe
	s_or_b32 exec_lo, exec_lo, s15
	v_lshlrev_b32_e32 v0, 8, v0
	v_lshl_add_u32 v11, v11, 10, 0x2000
	v_lshlrev_b32_e32 v10, 23, v10
	s_delay_alu instid0(VALU_DEP_2) | instskip(NEXT) | instid1(VALU_DEP_1)
	v_and_or_b32 v0, 0x8000, v0, v11
	v_lshl_or_b32 v10, v0, 16, v10
.LBB279_997:                            ;   in Loop: Header=BB279_803 Depth=1
	s_wait_alu 0xfffe
	s_or_b32 exec_lo, exec_lo, s14
.LBB279_998:                            ;   in Loop: Header=BB279_803 Depth=1
	s_wait_alu 0xfffe
	s_or_b32 exec_lo, exec_lo, s13
.LBB279_999:                            ;   in Loop: Header=BB279_803 Depth=1
	s_wait_alu 0xfffe
	s_or_b32 exec_lo, exec_lo, s12
	v_or_b32_e32 v0, v81, v82
	s_wait_loadcnt_dscnt 0x0
	v_fma_mixlo_f16 v11, v70, v81, 0 op_sel:[0,1,0] op_sel_hi:[0,1,0]
	v_or_b32_e32 v81, v71, v80
	v_fma_mixlo_f16 v71, v70, v71, 0 op_sel:[0,1,0] op_sel_hi:[0,1,0]
	v_or_b32_e32 v82, v85, v84
	v_or_b32_e32 v83, v10, v83
	v_fma_mixlo_f16 v84, v70, v0, 0 op_sel_hi:[0,1,0]
	v_fma_mixlo_f16 v10, v70, v10, 0 op_sel:[0,1,0] op_sel_hi:[0,1,0]
	v_lshlrev_b32_e32 v80, 16, v71
	v_fma_mixlo_f16 v71, v70, v81, 0 op_sel_hi:[0,1,0]
	v_fma_mixlo_f16 v81, v70, v85, 0 op_sel:[0,1,0] op_sel_hi:[0,1,0]
	v_fma_mixlo_f16 v82, v70, v82, 0 op_sel_hi:[0,1,0]
	v_fma_mixlo_f16 v83, v70, v83, 0 op_sel_hi:[0,1,0]
	v_lshlrev_b32_e32 v0, 16, v11
	v_and_b32_e32 v11, 0xffff, v84
	v_and_b32_e32 v86, 0xffff, v71
	v_lshlrev_b32_e32 v70, 16, v81
	v_and_b32_e32 v82, 0xffff, v82
	v_lshlrev_b32_e32 v10, 16, v10
	v_and_b32_e32 v71, 0xffff, v83
	v_or_b32_e32 v81, v0, v11
	v_or_b32_e32 v85, v80, v86
	;; [unrolled: 1-line block ×3, first 2 shown]
	s_delay_alu instid0(VALU_DEP_4)
	v_or_b32_e32 v83, v10, v71
	s_and_saveexec_b32 s12, vcc_lo
	s_cbranch_execz .LBB279_1001
; %bb.1000:                             ;   in Loop: Header=BB279_803 Depth=1
	v_cmp_lt_i32_e64 s0, v23, v32
	s_wait_alu 0xf1ff
	s_delay_alu instid0(VALU_DEP_1) | instskip(SKIP_2) | instid1(VALU_DEP_1)
	v_cndmask_b32_e64 v81, 0, v86, s0
	v_cmp_lt_i32_e64 s0, v67, v32
	s_wait_alu 0xf1ff
	v_cndmask_b32_e64 v80, 0, v80, s0
	v_cmp_lt_i32_e64 s0, v66, v32
	s_delay_alu instid0(VALU_DEP_2) | instskip(SKIP_1) | instid1(VALU_DEP_2)
	v_or_b32_e32 v85, v81, v80
	s_wait_alu 0xf1ff
	v_cndmask_b32_e64 v11, 0, v11, s0
	v_cmp_lt_i32_e64 s0, v64, v32
	s_wait_alu 0xf1ff
	s_delay_alu instid0(VALU_DEP_1) | instskip(SKIP_1) | instid1(VALU_DEP_2)
	v_cndmask_b32_e64 v0, 0, v0, s0
	v_cmp_lt_i32_e64 s0, v53, v32
	v_or_b32_e32 v81, v11, v0
	s_wait_alu 0xf1ff
	s_delay_alu instid0(VALU_DEP_2) | instskip(SKIP_2) | instid1(VALU_DEP_1)
	v_cndmask_b32_e64 v82, 0, v82, s0
	v_cmp_lt_i32_e64 s0, v51, v32
	s_wait_alu 0xf1ff
	v_cndmask_b32_e64 v70, 0, v70, s0
	v_cmp_lt_i32_e64 s0, v36, v32
	s_delay_alu instid0(VALU_DEP_2) | instskip(SKIP_1) | instid1(VALU_DEP_2)
	v_or_b32_e32 v84, v82, v70
	s_wait_alu 0xf1ff
	v_cndmask_b32_e64 v71, 0, v71, s0
	v_cmp_lt_i32_e64 s0, v14, v32
	s_wait_alu 0xf1ff
	s_delay_alu instid0(VALU_DEP_1) | instskip(NEXT) | instid1(VALU_DEP_1)
	v_cndmask_b32_e64 v10, 0, v10, s0
	v_or_b32_e32 v83, v71, v10
.LBB279_1001:                           ;   in Loop: Header=BB279_803 Depth=1
	s_wait_alu 0xfffe
	s_or_b32 exec_lo, exec_lo, s12
	;;#ASMSTART
	v_pk_mul_f16 v0, v55, v85;

	;;#ASMEND
	;;#ASMSTART
	v_pk_mul_f16 v10, v52, v81;

	;;#ASMEND
	;; [unrolled: 4-line block ×4, first 2 shown]
	;;#ASMSTART
	v_pk_add_f16 v0, v0, v10;

	;;#ASMEND
	;;#ASMSTART
	v_pk_add_f16 v0, v0, v11;

	;;#ASMEND
	;; [unrolled: 4-line block ×3, first 2 shown]
	v_dual_mov_b32 v81, 0 :: v_dual_and_b32 v10, 0xffff, v0
	v_lshrrev_b32_e32 v0, 16, v0
	;;#ASMSTART
	v_cvt_f32_f16 v70, v10;
	;;#ASMEND
	;;#ASMSTART
	v_cvt_f32_f16 v71, v0;
	;;#ASMEND
	flat_load_b64 v[10:11], v[8:9] offset:768
	flat_load_b32 v80, v[26:27]
	v_mov_b32_e32 v82, 0
	s_mov_b32 s12, exec_lo
	s_wait_loadcnt_dscnt 0x101
	v_and_b32_e32 v0, 0xff, v10
	s_delay_alu instid0(VALU_DEP_1)
	v_cmpx_ne_u16_e32 0, v0
	s_cbranch_execz .LBB279_1009
; %bb.1002:                             ;   in Loop: Header=BB279_803 Depth=1
	v_mov_b32_e32 v82, 0x8000
	s_mov_b32 s13, exec_lo
	v_cmpx_ne_u16_e32 0x80, v0
	s_cbranch_execz .LBB279_1008
; %bb.1003:                             ;   in Loop: Header=BB279_803 Depth=1
	v_and_b32_e32 v83, 0x7f, v10
	v_mov_b32_e32 v82, 0x7c01
	s_mov_b32 s14, exec_lo
	s_delay_alu instid0(VALU_DEP_2)
	v_cmpx_ne_u32_e32 0x7f, v83
	s_cbranch_execz .LBB279_1007
; %bb.1004:                             ;   in Loop: Header=BB279_803 Depth=1
	v_and_b32_e32 v0, 7, v10
	v_lshrrev_b32_e32 v82, 3, v83
	s_mov_b32 s15, exec_lo
	v_cmpx_gt_u32_e32 8, v83
; %bb.1005:                             ;   in Loop: Header=BB279_803 Depth=1
	s_delay_alu instid0(VALU_DEP_3) | instskip(NEXT) | instid1(VALU_DEP_1)
	v_clz_i32_u32_e32 v0, v0
	v_min_u32_e32 v0, 32, v0
	s_delay_alu instid0(VALU_DEP_1) | instskip(NEXT) | instid1(VALU_DEP_1)
	v_subrev_nc_u32_e32 v82, 28, v0
	v_lshlrev_b64_e32 v[83:84], v82, v[10:11]
	v_sub_nc_u32_e32 v82, 29, v0
	s_delay_alu instid0(VALU_DEP_2)
	v_and_b32_e32 v0, 7, v83
; %bb.1006:                             ;   in Loop: Header=BB279_803 Depth=1
	s_wait_alu 0xfffe
	s_or_b32 exec_lo, exec_lo, s15
	v_lshlrev_b32_e32 v83, 8, v10
	v_lshl_add_u32 v82, v82, 10, 0x2000
	v_lshlrev_b32_e32 v0, 7, v0
	s_delay_alu instid0(VALU_DEP_3) | instskip(NEXT) | instid1(VALU_DEP_3)
	v_and_b32_e32 v83, 0x8000, v83
	v_and_b32_e32 v82, 0xfc00, v82
	s_delay_alu instid0(VALU_DEP_1)
	v_or3_b32 v82, v83, v82, v0
.LBB279_1007:                           ;   in Loop: Header=BB279_803 Depth=1
	s_wait_alu 0xfffe
	s_or_b32 exec_lo, exec_lo, s14
.LBB279_1008:                           ;   in Loop: Header=BB279_803 Depth=1
	s_wait_alu 0xfffe
	s_or_b32 exec_lo, exec_lo, s13
.LBB279_1009:                           ;   in Loop: Header=BB279_803 Depth=1
	s_wait_alu 0xfffe
	s_or_b32 exec_lo, exec_lo, s12
	v_lshrrev_b16 v0, 8, v10
	s_mov_b32 s12, exec_lo
	s_delay_alu instid0(VALU_DEP_1)
	v_cmpx_ne_u16_e32 0, v0
	s_cbranch_execz .LBB279_1017
; %bb.1010:                             ;   in Loop: Header=BB279_803 Depth=1
	v_bfrev_b32_e32 v81, 1
	s_mov_b32 s13, exec_lo
	v_cmpx_ne_u16_e32 0x80, v0
	s_cbranch_execz .LBB279_1016
; %bb.1011:                             ;   in Loop: Header=BB279_803 Depth=1
	v_and_b32_e32 v83, 0xffff, v0
	v_mov_b32_e32 v81, 0x7c010000
	s_mov_b32 s14, exec_lo
	s_delay_alu instid0(VALU_DEP_2) | instskip(NEXT) | instid1(VALU_DEP_1)
	v_and_b32_e32 v85, 0x7f, v83
	v_cmpx_ne_u32_e32 0x7f, v85
	s_cbranch_execz .LBB279_1015
; %bb.1012:                             ;   in Loop: Header=BB279_803 Depth=1
	v_and_b32_e32 v81, 7, v83
	v_lshrrev_b32_e32 v84, 3, v85
	s_mov_b32 s15, exec_lo
	v_cmpx_gt_u32_e32 8, v85
; %bb.1013:                             ;   in Loop: Header=BB279_803 Depth=1
	s_delay_alu instid0(VALU_DEP_3) | instskip(NEXT) | instid1(VALU_DEP_1)
	v_clz_i32_u32_e32 v81, v81
	v_min_u32_e32 v81, 32, v81
	s_delay_alu instid0(VALU_DEP_1) | instskip(NEXT) | instid1(VALU_DEP_1)
	v_subrev_nc_u32_e32 v84, 28, v81
	v_lshlrev_b64_e32 v[85:86], v84, v[0:1]
	v_sub_nc_u32_e32 v84, 29, v81
	s_delay_alu instid0(VALU_DEP_2)
	v_and_b32_e32 v81, 7, v85
; %bb.1014:                             ;   in Loop: Header=BB279_803 Depth=1
	s_wait_alu 0xfffe
	s_or_b32 exec_lo, exec_lo, s15
	v_lshlrev_b32_e32 v0, 8, v83
	v_lshl_add_u32 v83, v84, 10, 0x2000
	v_lshlrev_b32_e32 v81, 23, v81
	s_delay_alu instid0(VALU_DEP_2) | instskip(NEXT) | instid1(VALU_DEP_1)
	v_and_or_b32 v0, 0x8000, v0, v83
	v_lshl_or_b32 v81, v0, 16, v81
.LBB279_1015:                           ;   in Loop: Header=BB279_803 Depth=1
	s_wait_alu 0xfffe
	s_or_b32 exec_lo, exec_lo, s14
.LBB279_1016:                           ;   in Loop: Header=BB279_803 Depth=1
	s_wait_alu 0xfffe
	s_or_b32 exec_lo, exec_lo, s13
.LBB279_1017:                           ;   in Loop: Header=BB279_803 Depth=1
	s_wait_alu 0xfffe
	s_or_b32 exec_lo, exec_lo, s12
	v_lshrrev_b32_e32 v0, 16, v10
	v_mov_b32_e32 v83, 0
	s_mov_b32 s12, exec_lo
	s_delay_alu instid0(VALU_DEP_2) | instskip(NEXT) | instid1(VALU_DEP_1)
	v_dual_mov_b32 v84, 0 :: v_dual_and_b32 v85, 0xff, v0
	v_cmpx_ne_u16_e32 0, v85
	s_cbranch_execz .LBB279_1025
; %bb.1018:                             ;   in Loop: Header=BB279_803 Depth=1
	v_mov_b32_e32 v84, 0x8000
	s_mov_b32 s13, exec_lo
	v_cmpx_ne_u16_e32 0x80, v85
	s_cbranch_execz .LBB279_1024
; %bb.1019:                             ;   in Loop: Header=BB279_803 Depth=1
	v_bfe_u32 v86, v10, 16, 7
	v_mov_b32_e32 v84, 0x7c01
	s_mov_b32 s14, exec_lo
	s_delay_alu instid0(VALU_DEP_2)
	v_cmpx_ne_u32_e32 0x7f, v86
	s_cbranch_execz .LBB279_1023
; %bb.1020:                             ;   in Loop: Header=BB279_803 Depth=1
	v_and_b32_e32 v84, 7, v0
	v_lshrrev_b32_e32 v85, 3, v86
	s_mov_b32 s15, exec_lo
	v_cmpx_gt_u32_e32 8, v86
; %bb.1021:                             ;   in Loop: Header=BB279_803 Depth=1
	s_delay_alu instid0(VALU_DEP_3) | instskip(NEXT) | instid1(VALU_DEP_1)
	v_clz_i32_u32_e32 v84, v84
	v_min_u32_e32 v86, 32, v84
	s_delay_alu instid0(VALU_DEP_1) | instskip(NEXT) | instid1(VALU_DEP_1)
	v_subrev_nc_u32_e32 v84, 28, v86
	v_lshlrev_b64_e32 v[84:85], v84, v[0:1]
	v_sub_nc_u32_e32 v85, 29, v86
	s_delay_alu instid0(VALU_DEP_2)
	v_and_b32_e32 v84, 7, v84
; %bb.1022:                             ;   in Loop: Header=BB279_803 Depth=1
	s_wait_alu 0xfffe
	s_or_b32 exec_lo, exec_lo, s15
	v_lshlrev_b32_e32 v0, 8, v0
	v_lshl_add_u32 v85, v85, 10, 0x2000
	v_lshlrev_b32_e32 v84, 7, v84
	s_delay_alu instid0(VALU_DEP_3) | instskip(NEXT) | instid1(VALU_DEP_3)
	v_and_b32_e32 v0, 0x8000, v0
	v_and_b32_e32 v85, 0xfc00, v85
	s_delay_alu instid0(VALU_DEP_1)
	v_or3_b32 v84, v0, v85, v84
.LBB279_1023:                           ;   in Loop: Header=BB279_803 Depth=1
	s_wait_alu 0xfffe
	s_or_b32 exec_lo, exec_lo, s14
.LBB279_1024:                           ;   in Loop: Header=BB279_803 Depth=1
	s_wait_alu 0xfffe
	s_or_b32 exec_lo, exec_lo, s13
.LBB279_1025:                           ;   in Loop: Header=BB279_803 Depth=1
	s_wait_alu 0xfffe
	s_or_b32 exec_lo, exec_lo, s12
	s_delay_alu instid0(SALU_CYCLE_1)
	s_mov_b32 s12, exec_lo
	v_cmpx_lt_u32_e32 0xffffff, v10
	s_cbranch_execz .LBB279_1033
; %bb.1026:                             ;   in Loop: Header=BB279_803 Depth=1
	v_lshrrev_b32_e32 v0, 24, v10
	v_bfrev_b32_e32 v83, 1
	s_mov_b32 s13, exec_lo
	s_delay_alu instid0(VALU_DEP_2)
	v_cmpx_ne_u32_e32 0x80, v0
	s_cbranch_execz .LBB279_1032
; %bb.1027:                             ;   in Loop: Header=BB279_803 Depth=1
	v_and_b32_e32 v86, 0x7f, v0
	v_mov_b32_e32 v83, 0x7c010000
	s_mov_b32 s14, exec_lo
	s_delay_alu instid0(VALU_DEP_2)
	v_cmpx_ne_u32_e32 0x7f, v86
	s_cbranch_execz .LBB279_1031
; %bb.1028:                             ;   in Loop: Header=BB279_803 Depth=1
	v_and_b32_e32 v83, 7, v0
	v_lshrrev_b32_e32 v85, 3, v86
	s_mov_b32 s15, exec_lo
	v_cmpx_gt_u32_e32 8, v86
; %bb.1029:                             ;   in Loop: Header=BB279_803 Depth=1
	s_delay_alu instid0(VALU_DEP_3) | instskip(NEXT) | instid1(VALU_DEP_1)
	v_clz_i32_u32_e32 v83, v83
	v_min_u32_e32 v83, 32, v83
	s_delay_alu instid0(VALU_DEP_1) | instskip(NEXT) | instid1(VALU_DEP_1)
	v_subrev_nc_u32_e32 v85, 28, v83
	v_lshlrev_b64_e32 v[86:87], v85, v[0:1]
	v_sub_nc_u32_e32 v85, 29, v83
	s_delay_alu instid0(VALU_DEP_2)
	v_and_b32_e32 v83, 7, v86
; %bb.1030:                             ;   in Loop: Header=BB279_803 Depth=1
	s_wait_alu 0xfffe
	s_or_b32 exec_lo, exec_lo, s15
	v_lshlrev_b32_e32 v0, 8, v0
	v_lshl_add_u32 v85, v85, 10, 0x2000
	v_lshlrev_b32_e32 v83, 23, v83
	s_delay_alu instid0(VALU_DEP_2) | instskip(NEXT) | instid1(VALU_DEP_1)
	v_and_or_b32 v0, 0x8000, v0, v85
	v_lshl_or_b32 v83, v0, 16, v83
.LBB279_1031:                           ;   in Loop: Header=BB279_803 Depth=1
	s_wait_alu 0xfffe
	s_or_b32 exec_lo, exec_lo, s14
.LBB279_1032:                           ;   in Loop: Header=BB279_803 Depth=1
	s_wait_alu 0xfffe
	s_or_b32 exec_lo, exec_lo, s13
.LBB279_1033:                           ;   in Loop: Header=BB279_803 Depth=1
	s_wait_alu 0xfffe
	s_or_b32 exec_lo, exec_lo, s12
	v_dual_mov_b32 v0, v11 :: v_dual_and_b32 v87, 0xff, v11
	v_dual_mov_b32 v85, 0 :: v_dual_mov_b32 v86, 0
	s_mov_b32 s12, exec_lo
	s_delay_alu instid0(VALU_DEP_2)
	v_cmpx_ne_u16_e32 0, v87
	s_cbranch_execz .LBB279_1041
; %bb.1034:                             ;   in Loop: Header=BB279_803 Depth=1
	v_mov_b32_e32 v86, 0x8000
	s_mov_b32 s13, exec_lo
	v_cmpx_ne_u16_e32 0x80, v87
	s_cbranch_execz .LBB279_1040
; %bb.1035:                             ;   in Loop: Header=BB279_803 Depth=1
	v_and_b32_e32 v96, 0x7f, v11
	v_mov_b32_e32 v86, 0x7c01
	s_mov_b32 s14, exec_lo
	s_delay_alu instid0(VALU_DEP_2)
	v_cmpx_ne_u32_e32 0x7f, v96
	s_cbranch_execz .LBB279_1039
; %bb.1036:                             ;   in Loop: Header=BB279_803 Depth=1
	v_and_b32_e32 v86, 7, v11
	v_lshrrev_b32_e32 v87, 3, v96
	s_mov_b32 s15, exec_lo
	v_cmpx_gt_u32_e32 8, v96
; %bb.1037:                             ;   in Loop: Header=BB279_803 Depth=1
	s_delay_alu instid0(VALU_DEP_3) | instskip(NEXT) | instid1(VALU_DEP_1)
	v_clz_i32_u32_e32 v86, v86
	v_min_u32_e32 v96, 32, v86
	s_delay_alu instid0(VALU_DEP_1) | instskip(NEXT) | instid1(VALU_DEP_1)
	v_subrev_nc_u32_e32 v86, 28, v96
	v_lshlrev_b64_e32 v[86:87], v86, v[0:1]
	v_sub_nc_u32_e32 v87, 29, v96
	s_delay_alu instid0(VALU_DEP_2)
	v_and_b32_e32 v86, 7, v86
; %bb.1038:                             ;   in Loop: Header=BB279_803 Depth=1
	s_wait_alu 0xfffe
	s_or_b32 exec_lo, exec_lo, s15
	v_lshlrev_b32_e32 v96, 8, v11
	v_lshl_add_u32 v87, v87, 10, 0x2000
	v_lshlrev_b32_e32 v86, 7, v86
	s_delay_alu instid0(VALU_DEP_3) | instskip(NEXT) | instid1(VALU_DEP_3)
	v_and_b32_e32 v96, 0x8000, v96
	v_and_b32_e32 v87, 0xfc00, v87
	s_delay_alu instid0(VALU_DEP_1)
	v_or3_b32 v86, v96, v87, v86
.LBB279_1039:                           ;   in Loop: Header=BB279_803 Depth=1
	s_wait_alu 0xfffe
	s_or_b32 exec_lo, exec_lo, s14
.LBB279_1040:                           ;   in Loop: Header=BB279_803 Depth=1
	s_wait_alu 0xfffe
	s_or_b32 exec_lo, exec_lo, s13
.LBB279_1041:                           ;   in Loop: Header=BB279_803 Depth=1
	s_wait_alu 0xfffe
	s_or_b32 exec_lo, exec_lo, s12
	v_lshrrev_b16 v0, 8, v0
	v_mov_b32_e32 v87, 0
	s_mov_b32 s12, exec_lo
	s_delay_alu instid0(VALU_DEP_2)
	v_cmpx_ne_u16_e32 0, v0
	s_cbranch_execz .LBB279_1049
; %bb.1042:                             ;   in Loop: Header=BB279_803 Depth=1
	v_bfrev_b32_e32 v87, 1
	s_mov_b32 s13, exec_lo
	v_cmpx_ne_u16_e32 0x80, v0
	s_cbranch_execz .LBB279_1048
; %bb.1043:                             ;   in Loop: Header=BB279_803 Depth=1
	v_and_b32_e32 v96, 0xffff, v0
	v_mov_b32_e32 v87, 0x7c010000
	s_mov_b32 s14, exec_lo
	s_delay_alu instid0(VALU_DEP_2) | instskip(NEXT) | instid1(VALU_DEP_1)
	v_and_b32_e32 v98, 0x7f, v96
	v_cmpx_ne_u32_e32 0x7f, v98
	s_cbranch_execz .LBB279_1047
; %bb.1044:                             ;   in Loop: Header=BB279_803 Depth=1
	v_and_b32_e32 v87, 7, v96
	v_lshrrev_b32_e32 v97, 3, v98
	s_mov_b32 s15, exec_lo
	v_cmpx_gt_u32_e32 8, v98
; %bb.1045:                             ;   in Loop: Header=BB279_803 Depth=1
	s_delay_alu instid0(VALU_DEP_3) | instskip(NEXT) | instid1(VALU_DEP_1)
	v_clz_i32_u32_e32 v87, v87
	v_min_u32_e32 v87, 32, v87
	s_delay_alu instid0(VALU_DEP_1) | instskip(NEXT) | instid1(VALU_DEP_1)
	v_subrev_nc_u32_e32 v97, 28, v87
	v_lshlrev_b64_e32 v[98:99], v97, v[0:1]
	v_sub_nc_u32_e32 v97, 29, v87
	s_delay_alu instid0(VALU_DEP_2)
	v_and_b32_e32 v87, 7, v98
; %bb.1046:                             ;   in Loop: Header=BB279_803 Depth=1
	s_wait_alu 0xfffe
	s_or_b32 exec_lo, exec_lo, s15
	v_lshlrev_b32_e32 v0, 8, v96
	v_lshl_add_u32 v96, v97, 10, 0x2000
	v_lshlrev_b32_e32 v87, 23, v87
	s_delay_alu instid0(VALU_DEP_2) | instskip(NEXT) | instid1(VALU_DEP_1)
	v_and_or_b32 v0, 0x8000, v0, v96
	v_lshl_or_b32 v87, v0, 16, v87
.LBB279_1047:                           ;   in Loop: Header=BB279_803 Depth=1
	s_wait_alu 0xfffe
	s_or_b32 exec_lo, exec_lo, s14
.LBB279_1048:                           ;   in Loop: Header=BB279_803 Depth=1
	s_wait_alu 0xfffe
	s_or_b32 exec_lo, exec_lo, s13
.LBB279_1049:                           ;   in Loop: Header=BB279_803 Depth=1
	s_wait_alu 0xfffe
	s_or_b32 exec_lo, exec_lo, s12
	v_lshrrev_b32_e32 v0, 16, v11
	s_mov_b32 s12, exec_lo
	s_delay_alu instid0(VALU_DEP_1) | instskip(NEXT) | instid1(VALU_DEP_1)
	v_and_b32_e32 v96, 0xff, v0
	v_cmpx_ne_u16_e32 0, v96
	s_cbranch_execz .LBB279_1057
; %bb.1050:                             ;   in Loop: Header=BB279_803 Depth=1
	v_mov_b32_e32 v85, 0x8000
	s_mov_b32 s13, exec_lo
	v_cmpx_ne_u16_e32 0x80, v96
	s_cbranch_execz .LBB279_1056
; %bb.1051:                             ;   in Loop: Header=BB279_803 Depth=1
	v_bfe_u32 v97, v11, 16, 7
	v_mov_b32_e32 v85, 0x7c01
	s_mov_b32 s14, exec_lo
	s_delay_alu instid0(VALU_DEP_2)
	v_cmpx_ne_u32_e32 0x7f, v97
	s_cbranch_execz .LBB279_1055
; %bb.1052:                             ;   in Loop: Header=BB279_803 Depth=1
	v_and_b32_e32 v85, 7, v0
	v_lshrrev_b32_e32 v96, 3, v97
	s_mov_b32 s15, exec_lo
	v_cmpx_gt_u32_e32 8, v97
; %bb.1053:                             ;   in Loop: Header=BB279_803 Depth=1
	s_delay_alu instid0(VALU_DEP_3) | instskip(NEXT) | instid1(VALU_DEP_1)
	v_clz_i32_u32_e32 v85, v85
	v_min_u32_e32 v85, 32, v85
	s_delay_alu instid0(VALU_DEP_1) | instskip(NEXT) | instid1(VALU_DEP_1)
	v_subrev_nc_u32_e32 v96, 28, v85
	v_lshlrev_b64_e32 v[97:98], v96, v[0:1]
	v_sub_nc_u32_e32 v96, 29, v85
	s_delay_alu instid0(VALU_DEP_2)
	v_and_b32_e32 v85, 7, v97
; %bb.1054:                             ;   in Loop: Header=BB279_803 Depth=1
	s_wait_alu 0xfffe
	s_or_b32 exec_lo, exec_lo, s15
	v_lshlrev_b32_e32 v0, 8, v0
	v_lshl_add_u32 v96, v96, 10, 0x2000
	v_lshlrev_b32_e32 v85, 7, v85
	s_delay_alu instid0(VALU_DEP_3) | instskip(NEXT) | instid1(VALU_DEP_3)
	v_and_b32_e32 v0, 0x8000, v0
	v_and_b32_e32 v96, 0xfc00, v96
	s_delay_alu instid0(VALU_DEP_1)
	v_or3_b32 v85, v0, v96, v85
.LBB279_1055:                           ;   in Loop: Header=BB279_803 Depth=1
	s_wait_alu 0xfffe
	s_or_b32 exec_lo, exec_lo, s14
.LBB279_1056:                           ;   in Loop: Header=BB279_803 Depth=1
	s_wait_alu 0xfffe
	s_or_b32 exec_lo, exec_lo, s13
.LBB279_1057:                           ;   in Loop: Header=BB279_803 Depth=1
	s_wait_alu 0xfffe
	s_or_b32 exec_lo, exec_lo, s12
	v_cmp_lt_u64_e64 s0, s[8:9], v[10:11]
	v_mov_b32_e32 v10, 0
	s_and_saveexec_b32 s12, s0
	s_cbranch_execz .LBB279_1065
; %bb.1058:                             ;   in Loop: Header=BB279_803 Depth=1
	v_lshrrev_b32_e32 v0, 24, v11
	v_bfrev_b32_e32 v10, 1
	s_mov_b32 s13, exec_lo
	s_delay_alu instid0(VALU_DEP_2)
	v_cmpx_ne_u32_e32 0x80, v0
	s_cbranch_execz .LBB279_1064
; %bb.1059:                             ;   in Loop: Header=BB279_803 Depth=1
	v_and_b32_e32 v96, 0x7f, v0
	v_mov_b32_e32 v10, 0x7c010000
	s_mov_b32 s14, exec_lo
	s_delay_alu instid0(VALU_DEP_2)
	v_cmpx_ne_u32_e32 0x7f, v96
	s_cbranch_execz .LBB279_1063
; %bb.1060:                             ;   in Loop: Header=BB279_803 Depth=1
	v_and_b32_e32 v10, 7, v0
	v_lshrrev_b32_e32 v11, 3, v96
	s_mov_b32 s15, exec_lo
	v_cmpx_gt_u32_e32 8, v96
; %bb.1061:                             ;   in Loop: Header=BB279_803 Depth=1
	s_delay_alu instid0(VALU_DEP_3) | instskip(NEXT) | instid1(VALU_DEP_1)
	v_clz_i32_u32_e32 v10, v10
	v_min_u32_e32 v96, 32, v10
	s_delay_alu instid0(VALU_DEP_1) | instskip(NEXT) | instid1(VALU_DEP_1)
	v_subrev_nc_u32_e32 v10, 28, v96
	v_lshlrev_b64_e32 v[10:11], v10, v[0:1]
	v_sub_nc_u32_e32 v11, 29, v96
	s_delay_alu instid0(VALU_DEP_2)
	v_and_b32_e32 v10, 7, v10
; %bb.1062:                             ;   in Loop: Header=BB279_803 Depth=1
	s_wait_alu 0xfffe
	s_or_b32 exec_lo, exec_lo, s15
	v_lshlrev_b32_e32 v0, 8, v0
	v_lshl_add_u32 v11, v11, 10, 0x2000
	v_lshlrev_b32_e32 v10, 23, v10
	s_delay_alu instid0(VALU_DEP_2) | instskip(NEXT) | instid1(VALU_DEP_1)
	v_and_or_b32 v0, 0x8000, v0, v11
	v_lshl_or_b32 v10, v0, 16, v10
.LBB279_1063:                           ;   in Loop: Header=BB279_803 Depth=1
	s_wait_alu 0xfffe
	s_or_b32 exec_lo, exec_lo, s14
.LBB279_1064:                           ;   in Loop: Header=BB279_803 Depth=1
	s_wait_alu 0xfffe
	s_or_b32 exec_lo, exec_lo, s13
.LBB279_1065:                           ;   in Loop: Header=BB279_803 Depth=1
	s_wait_alu 0xfffe
	s_or_b32 exec_lo, exec_lo, s12
	v_or_b32_e32 v0, v83, v84
	s_wait_loadcnt_dscnt 0x0
	v_fma_mixlo_f16 v11, v80, v83, 0 op_sel:[0,1,0] op_sel_hi:[0,1,0]
	v_or_b32_e32 v83, v81, v82
	v_fma_mixlo_f16 v81, v80, v81, 0 op_sel:[0,1,0] op_sel_hi:[0,1,0]
	v_or_b32_e32 v84, v87, v86
	v_or_b32_e32 v85, v10, v85
	v_fma_mixlo_f16 v86, v80, v0, 0 op_sel_hi:[0,1,0]
	v_fma_mixlo_f16 v10, v80, v10, 0 op_sel:[0,1,0] op_sel_hi:[0,1,0]
	v_lshlrev_b32_e32 v82, 16, v81
	v_fma_mixlo_f16 v81, v80, v83, 0 op_sel_hi:[0,1,0]
	v_fma_mixlo_f16 v83, v80, v87, 0 op_sel:[0,1,0] op_sel_hi:[0,1,0]
	v_fma_mixlo_f16 v84, v80, v84, 0 op_sel_hi:[0,1,0]
	v_fma_mixlo_f16 v85, v80, v85, 0 op_sel_hi:[0,1,0]
	v_lshlrev_b32_e32 v0, 16, v11
	v_and_b32_e32 v11, 0xffff, v86
	v_and_b32_e32 v96, 0xffff, v81
	v_lshlrev_b32_e32 v80, 16, v83
	v_and_b32_e32 v84, 0xffff, v84
	v_lshlrev_b32_e32 v10, 16, v10
	v_and_b32_e32 v81, 0xffff, v85
	v_or_b32_e32 v83, v0, v11
	v_or_b32_e32 v87, v82, v96
	;; [unrolled: 1-line block ×3, first 2 shown]
	s_delay_alu instid0(VALU_DEP_4)
	v_or_b32_e32 v85, v10, v81
	s_and_saveexec_b32 s12, vcc_lo
	s_cbranch_execz .LBB279_1067
; %bb.1066:                             ;   in Loop: Header=BB279_803 Depth=1
	v_cmp_lt_i32_e64 s0, v23, v32
	s_wait_alu 0xf1ff
	s_delay_alu instid0(VALU_DEP_1) | instskip(SKIP_2) | instid1(VALU_DEP_1)
	v_cndmask_b32_e64 v83, 0, v96, s0
	v_cmp_lt_i32_e64 s0, v67, v32
	s_wait_alu 0xf1ff
	v_cndmask_b32_e64 v82, 0, v82, s0
	v_cmp_lt_i32_e64 s0, v66, v32
	s_delay_alu instid0(VALU_DEP_2) | instskip(SKIP_1) | instid1(VALU_DEP_2)
	v_or_b32_e32 v87, v83, v82
	s_wait_alu 0xf1ff
	v_cndmask_b32_e64 v11, 0, v11, s0
	v_cmp_lt_i32_e64 s0, v64, v32
	s_wait_alu 0xf1ff
	s_delay_alu instid0(VALU_DEP_1) | instskip(SKIP_1) | instid1(VALU_DEP_2)
	v_cndmask_b32_e64 v0, 0, v0, s0
	v_cmp_lt_i32_e64 s0, v53, v32
	v_or_b32_e32 v83, v11, v0
	s_wait_alu 0xf1ff
	s_delay_alu instid0(VALU_DEP_2) | instskip(SKIP_2) | instid1(VALU_DEP_1)
	v_cndmask_b32_e64 v84, 0, v84, s0
	v_cmp_lt_i32_e64 s0, v51, v32
	s_wait_alu 0xf1ff
	v_cndmask_b32_e64 v80, 0, v80, s0
	v_cmp_lt_i32_e64 s0, v36, v32
	s_delay_alu instid0(VALU_DEP_2) | instskip(SKIP_1) | instid1(VALU_DEP_2)
	v_or_b32_e32 v86, v84, v80
	s_wait_alu 0xf1ff
	v_cndmask_b32_e64 v81, 0, v81, s0
	v_cmp_lt_i32_e64 s0, v14, v32
	s_wait_alu 0xf1ff
	s_delay_alu instid0(VALU_DEP_1) | instskip(NEXT) | instid1(VALU_DEP_1)
	v_cndmask_b32_e64 v10, 0, v10, s0
	v_or_b32_e32 v85, v81, v10
.LBB279_1067:                           ;   in Loop: Header=BB279_803 Depth=1
	s_wait_alu 0xfffe
	s_or_b32 exec_lo, exec_lo, s12
	;;#ASMSTART
	v_pk_mul_f16 v0, v55, v87;

	;;#ASMEND
	;;#ASMSTART
	v_pk_mul_f16 v10, v52, v83;

	;;#ASMEND
	;; [unrolled: 4-line block ×4, first 2 shown]
	;;#ASMSTART
	v_pk_add_f16 v0, v0, v10;

	;;#ASMEND
	;;#ASMSTART
	v_pk_add_f16 v0, v0, v11;

	;;#ASMEND
	;; [unrolled: 4-line block ×3, first 2 shown]
	v_dual_mov_b32 v83, 0 :: v_dual_and_b32 v10, 0xffff, v0
	v_lshrrev_b32_e32 v0, 16, v0
	;;#ASMSTART
	v_cvt_f32_f16 v80, v10;
	;;#ASMEND
	;;#ASMSTART
	v_cvt_f32_f16 v81, v0;
	;;#ASMEND
	flat_load_b64 v[10:11], v[8:9] offset:1024
	flat_load_b32 v82, v[26:27]
	v_mov_b32_e32 v84, 0
	s_mov_b32 s12, exec_lo
	s_wait_loadcnt_dscnt 0x101
	v_and_b32_e32 v0, 0xff, v10
	s_delay_alu instid0(VALU_DEP_1)
	v_cmpx_ne_u16_e32 0, v0
	s_cbranch_execz .LBB279_1075
; %bb.1068:                             ;   in Loop: Header=BB279_803 Depth=1
	v_mov_b32_e32 v84, 0x8000
	s_mov_b32 s13, exec_lo
	v_cmpx_ne_u16_e32 0x80, v0
	s_cbranch_execz .LBB279_1074
; %bb.1069:                             ;   in Loop: Header=BB279_803 Depth=1
	v_and_b32_e32 v85, 0x7f, v10
	v_mov_b32_e32 v84, 0x7c01
	s_mov_b32 s14, exec_lo
	s_delay_alu instid0(VALU_DEP_2)
	v_cmpx_ne_u32_e32 0x7f, v85
	s_cbranch_execz .LBB279_1073
; %bb.1070:                             ;   in Loop: Header=BB279_803 Depth=1
	v_and_b32_e32 v0, 7, v10
	v_lshrrev_b32_e32 v84, 3, v85
	s_mov_b32 s15, exec_lo
	v_cmpx_gt_u32_e32 8, v85
; %bb.1071:                             ;   in Loop: Header=BB279_803 Depth=1
	s_delay_alu instid0(VALU_DEP_3) | instskip(NEXT) | instid1(VALU_DEP_1)
	v_clz_i32_u32_e32 v0, v0
	v_min_u32_e32 v0, 32, v0
	s_delay_alu instid0(VALU_DEP_1) | instskip(NEXT) | instid1(VALU_DEP_1)
	v_subrev_nc_u32_e32 v84, 28, v0
	v_lshlrev_b64_e32 v[85:86], v84, v[10:11]
	v_sub_nc_u32_e32 v84, 29, v0
	s_delay_alu instid0(VALU_DEP_2)
	v_and_b32_e32 v0, 7, v85
; %bb.1072:                             ;   in Loop: Header=BB279_803 Depth=1
	s_wait_alu 0xfffe
	s_or_b32 exec_lo, exec_lo, s15
	v_lshlrev_b32_e32 v85, 8, v10
	v_lshl_add_u32 v84, v84, 10, 0x2000
	v_lshlrev_b32_e32 v0, 7, v0
	s_delay_alu instid0(VALU_DEP_3) | instskip(NEXT) | instid1(VALU_DEP_3)
	v_and_b32_e32 v85, 0x8000, v85
	v_and_b32_e32 v84, 0xfc00, v84
	s_delay_alu instid0(VALU_DEP_1)
	v_or3_b32 v84, v85, v84, v0
.LBB279_1073:                           ;   in Loop: Header=BB279_803 Depth=1
	s_wait_alu 0xfffe
	s_or_b32 exec_lo, exec_lo, s14
.LBB279_1074:                           ;   in Loop: Header=BB279_803 Depth=1
	s_wait_alu 0xfffe
	s_or_b32 exec_lo, exec_lo, s13
.LBB279_1075:                           ;   in Loop: Header=BB279_803 Depth=1
	s_wait_alu 0xfffe
	s_or_b32 exec_lo, exec_lo, s12
	v_lshrrev_b16 v0, 8, v10
	s_mov_b32 s12, exec_lo
	s_delay_alu instid0(VALU_DEP_1)
	v_cmpx_ne_u16_e32 0, v0
	s_cbranch_execz .LBB279_1083
; %bb.1076:                             ;   in Loop: Header=BB279_803 Depth=1
	v_bfrev_b32_e32 v83, 1
	s_mov_b32 s13, exec_lo
	v_cmpx_ne_u16_e32 0x80, v0
	s_cbranch_execz .LBB279_1082
; %bb.1077:                             ;   in Loop: Header=BB279_803 Depth=1
	v_and_b32_e32 v85, 0xffff, v0
	v_mov_b32_e32 v83, 0x7c010000
	s_mov_b32 s14, exec_lo
	s_delay_alu instid0(VALU_DEP_2) | instskip(NEXT) | instid1(VALU_DEP_1)
	v_and_b32_e32 v87, 0x7f, v85
	v_cmpx_ne_u32_e32 0x7f, v87
	s_cbranch_execz .LBB279_1081
; %bb.1078:                             ;   in Loop: Header=BB279_803 Depth=1
	v_and_b32_e32 v83, 7, v85
	v_lshrrev_b32_e32 v86, 3, v87
	s_mov_b32 s15, exec_lo
	v_cmpx_gt_u32_e32 8, v87
; %bb.1079:                             ;   in Loop: Header=BB279_803 Depth=1
	s_delay_alu instid0(VALU_DEP_3) | instskip(NEXT) | instid1(VALU_DEP_1)
	v_clz_i32_u32_e32 v83, v83
	v_min_u32_e32 v83, 32, v83
	s_delay_alu instid0(VALU_DEP_1) | instskip(NEXT) | instid1(VALU_DEP_1)
	v_subrev_nc_u32_e32 v86, 28, v83
	v_lshlrev_b64_e32 v[96:97], v86, v[0:1]
	v_sub_nc_u32_e32 v86, 29, v83
	s_delay_alu instid0(VALU_DEP_2)
	v_and_b32_e32 v83, 7, v96
; %bb.1080:                             ;   in Loop: Header=BB279_803 Depth=1
	s_wait_alu 0xfffe
	s_or_b32 exec_lo, exec_lo, s15
	v_lshlrev_b32_e32 v0, 8, v85
	v_lshl_add_u32 v85, v86, 10, 0x2000
	v_lshlrev_b32_e32 v83, 23, v83
	s_delay_alu instid0(VALU_DEP_2) | instskip(NEXT) | instid1(VALU_DEP_1)
	v_and_or_b32 v0, 0x8000, v0, v85
	v_lshl_or_b32 v83, v0, 16, v83
.LBB279_1081:                           ;   in Loop: Header=BB279_803 Depth=1
	s_wait_alu 0xfffe
	s_or_b32 exec_lo, exec_lo, s14
.LBB279_1082:                           ;   in Loop: Header=BB279_803 Depth=1
	s_wait_alu 0xfffe
	s_or_b32 exec_lo, exec_lo, s13
.LBB279_1083:                           ;   in Loop: Header=BB279_803 Depth=1
	s_wait_alu 0xfffe
	s_or_b32 exec_lo, exec_lo, s12
	v_lshrrev_b32_e32 v0, 16, v10
	v_mov_b32_e32 v85, 0
	s_mov_b32 s12, exec_lo
	s_delay_alu instid0(VALU_DEP_2) | instskip(NEXT) | instid1(VALU_DEP_1)
	v_dual_mov_b32 v86, 0 :: v_dual_and_b32 v87, 0xff, v0
	v_cmpx_ne_u16_e32 0, v87
	s_cbranch_execz .LBB279_1091
; %bb.1084:                             ;   in Loop: Header=BB279_803 Depth=1
	v_mov_b32_e32 v86, 0x8000
	s_mov_b32 s13, exec_lo
	v_cmpx_ne_u16_e32 0x80, v87
	s_cbranch_execz .LBB279_1090
; %bb.1085:                             ;   in Loop: Header=BB279_803 Depth=1
	v_bfe_u32 v96, v10, 16, 7
	v_mov_b32_e32 v86, 0x7c01
	s_mov_b32 s14, exec_lo
	s_delay_alu instid0(VALU_DEP_2)
	v_cmpx_ne_u32_e32 0x7f, v96
	s_cbranch_execz .LBB279_1089
; %bb.1086:                             ;   in Loop: Header=BB279_803 Depth=1
	v_and_b32_e32 v86, 7, v0
	v_lshrrev_b32_e32 v87, 3, v96
	s_mov_b32 s15, exec_lo
	v_cmpx_gt_u32_e32 8, v96
; %bb.1087:                             ;   in Loop: Header=BB279_803 Depth=1
	s_delay_alu instid0(VALU_DEP_3) | instskip(NEXT) | instid1(VALU_DEP_1)
	v_clz_i32_u32_e32 v86, v86
	v_min_u32_e32 v96, 32, v86
	s_delay_alu instid0(VALU_DEP_1) | instskip(NEXT) | instid1(VALU_DEP_1)
	v_subrev_nc_u32_e32 v86, 28, v96
	v_lshlrev_b64_e32 v[86:87], v86, v[0:1]
	v_sub_nc_u32_e32 v87, 29, v96
	s_delay_alu instid0(VALU_DEP_2)
	v_and_b32_e32 v86, 7, v86
; %bb.1088:                             ;   in Loop: Header=BB279_803 Depth=1
	s_wait_alu 0xfffe
	s_or_b32 exec_lo, exec_lo, s15
	v_lshlrev_b32_e32 v0, 8, v0
	v_lshl_add_u32 v87, v87, 10, 0x2000
	v_lshlrev_b32_e32 v86, 7, v86
	s_delay_alu instid0(VALU_DEP_3) | instskip(NEXT) | instid1(VALU_DEP_3)
	v_and_b32_e32 v0, 0x8000, v0
	v_and_b32_e32 v87, 0xfc00, v87
	s_delay_alu instid0(VALU_DEP_1)
	v_or3_b32 v86, v0, v87, v86
.LBB279_1089:                           ;   in Loop: Header=BB279_803 Depth=1
	s_wait_alu 0xfffe
	s_or_b32 exec_lo, exec_lo, s14
.LBB279_1090:                           ;   in Loop: Header=BB279_803 Depth=1
	s_wait_alu 0xfffe
	s_or_b32 exec_lo, exec_lo, s13
.LBB279_1091:                           ;   in Loop: Header=BB279_803 Depth=1
	s_wait_alu 0xfffe
	s_or_b32 exec_lo, exec_lo, s12
	s_delay_alu instid0(SALU_CYCLE_1)
	s_mov_b32 s12, exec_lo
	v_cmpx_lt_u32_e32 0xffffff, v10
	s_cbranch_execz .LBB279_1099
; %bb.1092:                             ;   in Loop: Header=BB279_803 Depth=1
	v_lshrrev_b32_e32 v0, 24, v10
	v_bfrev_b32_e32 v85, 1
	s_mov_b32 s13, exec_lo
	s_delay_alu instid0(VALU_DEP_2)
	v_cmpx_ne_u32_e32 0x80, v0
	s_cbranch_execz .LBB279_1098
; %bb.1093:                             ;   in Loop: Header=BB279_803 Depth=1
	v_and_b32_e32 v96, 0x7f, v0
	v_mov_b32_e32 v85, 0x7c010000
	s_mov_b32 s14, exec_lo
	s_delay_alu instid0(VALU_DEP_2)
	v_cmpx_ne_u32_e32 0x7f, v96
	s_cbranch_execz .LBB279_1097
; %bb.1094:                             ;   in Loop: Header=BB279_803 Depth=1
	v_and_b32_e32 v85, 7, v0
	v_lshrrev_b32_e32 v87, 3, v96
	s_mov_b32 s15, exec_lo
	v_cmpx_gt_u32_e32 8, v96
; %bb.1095:                             ;   in Loop: Header=BB279_803 Depth=1
	s_delay_alu instid0(VALU_DEP_3) | instskip(NEXT) | instid1(VALU_DEP_1)
	v_clz_i32_u32_e32 v85, v85
	v_min_u32_e32 v85, 32, v85
	s_delay_alu instid0(VALU_DEP_1) | instskip(NEXT) | instid1(VALU_DEP_1)
	v_subrev_nc_u32_e32 v87, 28, v85
	v_lshlrev_b64_e32 v[96:97], v87, v[0:1]
	v_sub_nc_u32_e32 v87, 29, v85
	s_delay_alu instid0(VALU_DEP_2)
	v_and_b32_e32 v85, 7, v96
; %bb.1096:                             ;   in Loop: Header=BB279_803 Depth=1
	s_wait_alu 0xfffe
	s_or_b32 exec_lo, exec_lo, s15
	v_lshlrev_b32_e32 v0, 8, v0
	v_lshl_add_u32 v87, v87, 10, 0x2000
	v_lshlrev_b32_e32 v85, 23, v85
	s_delay_alu instid0(VALU_DEP_2) | instskip(NEXT) | instid1(VALU_DEP_1)
	v_and_or_b32 v0, 0x8000, v0, v87
	v_lshl_or_b32 v85, v0, 16, v85
.LBB279_1097:                           ;   in Loop: Header=BB279_803 Depth=1
	s_wait_alu 0xfffe
	s_or_b32 exec_lo, exec_lo, s14
.LBB279_1098:                           ;   in Loop: Header=BB279_803 Depth=1
	s_wait_alu 0xfffe
	s_or_b32 exec_lo, exec_lo, s13
.LBB279_1099:                           ;   in Loop: Header=BB279_803 Depth=1
	s_wait_alu 0xfffe
	s_or_b32 exec_lo, exec_lo, s12
	v_dual_mov_b32 v0, v11 :: v_dual_and_b32 v97, 0xff, v11
	v_dual_mov_b32 v87, 0 :: v_dual_mov_b32 v96, 0
	s_mov_b32 s12, exec_lo
	s_delay_alu instid0(VALU_DEP_2)
	v_cmpx_ne_u16_e32 0, v97
	s_cbranch_execz .LBB279_1107
; %bb.1100:                             ;   in Loop: Header=BB279_803 Depth=1
	v_mov_b32_e32 v96, 0x8000
	s_mov_b32 s13, exec_lo
	v_cmpx_ne_u16_e32 0x80, v97
	s_cbranch_execz .LBB279_1106
; %bb.1101:                             ;   in Loop: Header=BB279_803 Depth=1
	v_and_b32_e32 v98, 0x7f, v11
	v_mov_b32_e32 v96, 0x7c01
	s_mov_b32 s14, exec_lo
	s_delay_alu instid0(VALU_DEP_2)
	v_cmpx_ne_u32_e32 0x7f, v98
	s_cbranch_execz .LBB279_1105
; %bb.1102:                             ;   in Loop: Header=BB279_803 Depth=1
	v_and_b32_e32 v96, 7, v11
	v_lshrrev_b32_e32 v97, 3, v98
	s_mov_b32 s15, exec_lo
	v_cmpx_gt_u32_e32 8, v98
; %bb.1103:                             ;   in Loop: Header=BB279_803 Depth=1
	s_delay_alu instid0(VALU_DEP_3) | instskip(NEXT) | instid1(VALU_DEP_1)
	v_clz_i32_u32_e32 v96, v96
	v_min_u32_e32 v98, 32, v96
	s_delay_alu instid0(VALU_DEP_1) | instskip(NEXT) | instid1(VALU_DEP_1)
	v_subrev_nc_u32_e32 v96, 28, v98
	v_lshlrev_b64_e32 v[96:97], v96, v[0:1]
	v_sub_nc_u32_e32 v97, 29, v98
	s_delay_alu instid0(VALU_DEP_2)
	v_and_b32_e32 v96, 7, v96
; %bb.1104:                             ;   in Loop: Header=BB279_803 Depth=1
	s_wait_alu 0xfffe
	s_or_b32 exec_lo, exec_lo, s15
	v_lshlrev_b32_e32 v98, 8, v11
	v_lshl_add_u32 v97, v97, 10, 0x2000
	v_lshlrev_b32_e32 v96, 7, v96
	s_delay_alu instid0(VALU_DEP_3) | instskip(NEXT) | instid1(VALU_DEP_3)
	v_and_b32_e32 v98, 0x8000, v98
	v_and_b32_e32 v97, 0xfc00, v97
	s_delay_alu instid0(VALU_DEP_1)
	v_or3_b32 v96, v98, v97, v96
.LBB279_1105:                           ;   in Loop: Header=BB279_803 Depth=1
	s_wait_alu 0xfffe
	s_or_b32 exec_lo, exec_lo, s14
.LBB279_1106:                           ;   in Loop: Header=BB279_803 Depth=1
	s_wait_alu 0xfffe
	s_or_b32 exec_lo, exec_lo, s13
.LBB279_1107:                           ;   in Loop: Header=BB279_803 Depth=1
	s_wait_alu 0xfffe
	s_or_b32 exec_lo, exec_lo, s12
	v_lshrrev_b16 v0, 8, v0
	v_mov_b32_e32 v97, 0
	s_mov_b32 s12, exec_lo
	s_delay_alu instid0(VALU_DEP_2)
	v_cmpx_ne_u16_e32 0, v0
	s_cbranch_execz .LBB279_1115
; %bb.1108:                             ;   in Loop: Header=BB279_803 Depth=1
	v_bfrev_b32_e32 v97, 1
	s_mov_b32 s13, exec_lo
	v_cmpx_ne_u16_e32 0x80, v0
	s_cbranch_execz .LBB279_1114
; %bb.1109:                             ;   in Loop: Header=BB279_803 Depth=1
	v_and_b32_e32 v98, 0xffff, v0
	v_mov_b32_e32 v97, 0x7c010000
	s_mov_b32 s14, exec_lo
	s_delay_alu instid0(VALU_DEP_2) | instskip(NEXT) | instid1(VALU_DEP_1)
	v_and_b32_e32 v100, 0x7f, v98
	v_cmpx_ne_u32_e32 0x7f, v100
	s_cbranch_execz .LBB279_1113
; %bb.1110:                             ;   in Loop: Header=BB279_803 Depth=1
	v_and_b32_e32 v97, 7, v98
	v_lshrrev_b32_e32 v99, 3, v100
	s_mov_b32 s15, exec_lo
	v_cmpx_gt_u32_e32 8, v100
; %bb.1111:                             ;   in Loop: Header=BB279_803 Depth=1
	s_delay_alu instid0(VALU_DEP_3) | instskip(NEXT) | instid1(VALU_DEP_1)
	v_clz_i32_u32_e32 v97, v97
	v_min_u32_e32 v97, 32, v97
	s_delay_alu instid0(VALU_DEP_1) | instskip(NEXT) | instid1(VALU_DEP_1)
	v_subrev_nc_u32_e32 v99, 28, v97
	v_lshlrev_b64_e32 v[100:101], v99, v[0:1]
	v_sub_nc_u32_e32 v99, 29, v97
	s_delay_alu instid0(VALU_DEP_2)
	v_and_b32_e32 v97, 7, v100
; %bb.1112:                             ;   in Loop: Header=BB279_803 Depth=1
	s_wait_alu 0xfffe
	s_or_b32 exec_lo, exec_lo, s15
	v_lshlrev_b32_e32 v0, 8, v98
	v_lshl_add_u32 v98, v99, 10, 0x2000
	v_lshlrev_b32_e32 v97, 23, v97
	s_delay_alu instid0(VALU_DEP_2) | instskip(NEXT) | instid1(VALU_DEP_1)
	v_and_or_b32 v0, 0x8000, v0, v98
	v_lshl_or_b32 v97, v0, 16, v97
.LBB279_1113:                           ;   in Loop: Header=BB279_803 Depth=1
	s_wait_alu 0xfffe
	s_or_b32 exec_lo, exec_lo, s14
.LBB279_1114:                           ;   in Loop: Header=BB279_803 Depth=1
	s_wait_alu 0xfffe
	s_or_b32 exec_lo, exec_lo, s13
.LBB279_1115:                           ;   in Loop: Header=BB279_803 Depth=1
	s_wait_alu 0xfffe
	s_or_b32 exec_lo, exec_lo, s12
	v_lshrrev_b32_e32 v0, 16, v11
	s_mov_b32 s12, exec_lo
	s_delay_alu instid0(VALU_DEP_1) | instskip(NEXT) | instid1(VALU_DEP_1)
	v_and_b32_e32 v98, 0xff, v0
	v_cmpx_ne_u16_e32 0, v98
	s_cbranch_execz .LBB279_1123
; %bb.1116:                             ;   in Loop: Header=BB279_803 Depth=1
	v_mov_b32_e32 v87, 0x8000
	s_mov_b32 s13, exec_lo
	v_cmpx_ne_u16_e32 0x80, v98
	s_cbranch_execz .LBB279_1122
; %bb.1117:                             ;   in Loop: Header=BB279_803 Depth=1
	v_bfe_u32 v99, v11, 16, 7
	v_mov_b32_e32 v87, 0x7c01
	s_mov_b32 s14, exec_lo
	s_delay_alu instid0(VALU_DEP_2)
	v_cmpx_ne_u32_e32 0x7f, v99
	s_cbranch_execz .LBB279_1121
; %bb.1118:                             ;   in Loop: Header=BB279_803 Depth=1
	v_and_b32_e32 v87, 7, v0
	v_lshrrev_b32_e32 v98, 3, v99
	s_mov_b32 s15, exec_lo
	v_cmpx_gt_u32_e32 8, v99
; %bb.1119:                             ;   in Loop: Header=BB279_803 Depth=1
	s_delay_alu instid0(VALU_DEP_3) | instskip(NEXT) | instid1(VALU_DEP_1)
	v_clz_i32_u32_e32 v87, v87
	v_min_u32_e32 v87, 32, v87
	s_delay_alu instid0(VALU_DEP_1) | instskip(NEXT) | instid1(VALU_DEP_1)
	v_subrev_nc_u32_e32 v98, 28, v87
	v_lshlrev_b64_e32 v[99:100], v98, v[0:1]
	v_sub_nc_u32_e32 v98, 29, v87
	s_delay_alu instid0(VALU_DEP_2)
	v_and_b32_e32 v87, 7, v99
; %bb.1120:                             ;   in Loop: Header=BB279_803 Depth=1
	s_wait_alu 0xfffe
	s_or_b32 exec_lo, exec_lo, s15
	v_lshlrev_b32_e32 v0, 8, v0
	v_lshl_add_u32 v98, v98, 10, 0x2000
	v_lshlrev_b32_e32 v87, 7, v87
	s_delay_alu instid0(VALU_DEP_3) | instskip(NEXT) | instid1(VALU_DEP_3)
	v_and_b32_e32 v0, 0x8000, v0
	v_and_b32_e32 v98, 0xfc00, v98
	s_delay_alu instid0(VALU_DEP_1)
	v_or3_b32 v87, v0, v98, v87
.LBB279_1121:                           ;   in Loop: Header=BB279_803 Depth=1
	s_wait_alu 0xfffe
	s_or_b32 exec_lo, exec_lo, s14
.LBB279_1122:                           ;   in Loop: Header=BB279_803 Depth=1
	s_wait_alu 0xfffe
	s_or_b32 exec_lo, exec_lo, s13
.LBB279_1123:                           ;   in Loop: Header=BB279_803 Depth=1
	s_wait_alu 0xfffe
	s_or_b32 exec_lo, exec_lo, s12
	v_cmp_lt_u64_e64 s0, s[8:9], v[10:11]
	v_mov_b32_e32 v10, 0
	s_and_saveexec_b32 s12, s0
	s_cbranch_execz .LBB279_1131
; %bb.1124:                             ;   in Loop: Header=BB279_803 Depth=1
	v_lshrrev_b32_e32 v0, 24, v11
	v_bfrev_b32_e32 v10, 1
	s_mov_b32 s13, exec_lo
	s_delay_alu instid0(VALU_DEP_2)
	v_cmpx_ne_u32_e32 0x80, v0
	s_cbranch_execz .LBB279_1130
; %bb.1125:                             ;   in Loop: Header=BB279_803 Depth=1
	v_and_b32_e32 v98, 0x7f, v0
	v_mov_b32_e32 v10, 0x7c010000
	s_mov_b32 s14, exec_lo
	s_delay_alu instid0(VALU_DEP_2)
	v_cmpx_ne_u32_e32 0x7f, v98
	s_cbranch_execz .LBB279_1129
; %bb.1126:                             ;   in Loop: Header=BB279_803 Depth=1
	v_and_b32_e32 v10, 7, v0
	v_lshrrev_b32_e32 v11, 3, v98
	s_mov_b32 s15, exec_lo
	v_cmpx_gt_u32_e32 8, v98
; %bb.1127:                             ;   in Loop: Header=BB279_803 Depth=1
	s_delay_alu instid0(VALU_DEP_3) | instskip(NEXT) | instid1(VALU_DEP_1)
	v_clz_i32_u32_e32 v10, v10
	v_min_u32_e32 v98, 32, v10
	s_delay_alu instid0(VALU_DEP_1) | instskip(NEXT) | instid1(VALU_DEP_1)
	v_subrev_nc_u32_e32 v10, 28, v98
	v_lshlrev_b64_e32 v[10:11], v10, v[0:1]
	v_sub_nc_u32_e32 v11, 29, v98
	s_delay_alu instid0(VALU_DEP_2)
	v_and_b32_e32 v10, 7, v10
; %bb.1128:                             ;   in Loop: Header=BB279_803 Depth=1
	s_wait_alu 0xfffe
	s_or_b32 exec_lo, exec_lo, s15
	v_lshlrev_b32_e32 v0, 8, v0
	v_lshl_add_u32 v11, v11, 10, 0x2000
	v_lshlrev_b32_e32 v10, 23, v10
	s_delay_alu instid0(VALU_DEP_2) | instskip(NEXT) | instid1(VALU_DEP_1)
	v_and_or_b32 v0, 0x8000, v0, v11
	v_lshl_or_b32 v10, v0, 16, v10
.LBB279_1129:                           ;   in Loop: Header=BB279_803 Depth=1
	s_wait_alu 0xfffe
	s_or_b32 exec_lo, exec_lo, s14
.LBB279_1130:                           ;   in Loop: Header=BB279_803 Depth=1
	s_wait_alu 0xfffe
	s_or_b32 exec_lo, exec_lo, s13
.LBB279_1131:                           ;   in Loop: Header=BB279_803 Depth=1
	s_wait_alu 0xfffe
	s_or_b32 exec_lo, exec_lo, s12
	v_or_b32_e32 v0, v85, v86
	s_wait_loadcnt_dscnt 0x0
	v_fma_mixlo_f16 v11, v82, v85, 0 op_sel:[0,1,0] op_sel_hi:[0,1,0]
	v_or_b32_e32 v85, v83, v84
	v_fma_mixlo_f16 v83, v82, v83, 0 op_sel:[0,1,0] op_sel_hi:[0,1,0]
	v_or_b32_e32 v86, v97, v96
	v_or_b32_e32 v87, v10, v87
	v_fma_mixlo_f16 v96, v82, v0, 0 op_sel_hi:[0,1,0]
	v_fma_mixlo_f16 v10, v82, v10, 0 op_sel:[0,1,0] op_sel_hi:[0,1,0]
	v_lshlrev_b32_e32 v84, 16, v83
	v_fma_mixlo_f16 v83, v82, v85, 0 op_sel_hi:[0,1,0]
	v_fma_mixlo_f16 v85, v82, v97, 0 op_sel:[0,1,0] op_sel_hi:[0,1,0]
	v_fma_mixlo_f16 v86, v82, v86, 0 op_sel_hi:[0,1,0]
	v_fma_mixlo_f16 v87, v82, v87, 0 op_sel_hi:[0,1,0]
	v_lshlrev_b32_e32 v0, 16, v11
	v_and_b32_e32 v11, 0xffff, v96
	v_and_b32_e32 v98, 0xffff, v83
	v_lshlrev_b32_e32 v82, 16, v85
	v_and_b32_e32 v86, 0xffff, v86
	v_lshlrev_b32_e32 v10, 16, v10
	v_and_b32_e32 v83, 0xffff, v87
	v_or_b32_e32 v85, v0, v11
	v_or_b32_e32 v97, v84, v98
	;; [unrolled: 1-line block ×3, first 2 shown]
	s_delay_alu instid0(VALU_DEP_4)
	v_or_b32_e32 v87, v10, v83
	s_and_saveexec_b32 s12, vcc_lo
	s_cbranch_execz .LBB279_1133
; %bb.1132:                             ;   in Loop: Header=BB279_803 Depth=1
	v_cmp_lt_i32_e64 s0, v23, v32
	s_wait_alu 0xf1ff
	s_delay_alu instid0(VALU_DEP_1) | instskip(SKIP_2) | instid1(VALU_DEP_1)
	v_cndmask_b32_e64 v85, 0, v98, s0
	v_cmp_lt_i32_e64 s0, v67, v32
	s_wait_alu 0xf1ff
	v_cndmask_b32_e64 v84, 0, v84, s0
	v_cmp_lt_i32_e64 s0, v66, v32
	s_delay_alu instid0(VALU_DEP_2) | instskip(SKIP_1) | instid1(VALU_DEP_2)
	v_or_b32_e32 v97, v85, v84
	s_wait_alu 0xf1ff
	v_cndmask_b32_e64 v11, 0, v11, s0
	v_cmp_lt_i32_e64 s0, v64, v32
	s_wait_alu 0xf1ff
	s_delay_alu instid0(VALU_DEP_1) | instskip(SKIP_1) | instid1(VALU_DEP_2)
	v_cndmask_b32_e64 v0, 0, v0, s0
	v_cmp_lt_i32_e64 s0, v53, v32
	v_or_b32_e32 v85, v11, v0
	s_wait_alu 0xf1ff
	s_delay_alu instid0(VALU_DEP_2) | instskip(SKIP_2) | instid1(VALU_DEP_1)
	v_cndmask_b32_e64 v86, 0, v86, s0
	v_cmp_lt_i32_e64 s0, v51, v32
	s_wait_alu 0xf1ff
	v_cndmask_b32_e64 v82, 0, v82, s0
	v_cmp_lt_i32_e64 s0, v36, v32
	s_delay_alu instid0(VALU_DEP_2) | instskip(SKIP_1) | instid1(VALU_DEP_2)
	v_or_b32_e32 v96, v86, v82
	s_wait_alu 0xf1ff
	v_cndmask_b32_e64 v83, 0, v83, s0
	v_cmp_lt_i32_e64 s0, v14, v32
	s_wait_alu 0xf1ff
	s_delay_alu instid0(VALU_DEP_1) | instskip(NEXT) | instid1(VALU_DEP_1)
	v_cndmask_b32_e64 v10, 0, v10, s0
	v_or_b32_e32 v87, v83, v10
.LBB279_1133:                           ;   in Loop: Header=BB279_803 Depth=1
	s_wait_alu 0xfffe
	s_or_b32 exec_lo, exec_lo, s12
	;;#ASMSTART
	v_pk_mul_f16 v0, v55, v97;

	;;#ASMEND
	;;#ASMSTART
	v_pk_mul_f16 v10, v52, v85;

	;;#ASMEND
	;; [unrolled: 4-line block ×4, first 2 shown]
	;;#ASMSTART
	v_pk_add_f16 v0, v0, v10;

	;;#ASMEND
	;;#ASMSTART
	v_pk_add_f16 v0, v0, v11;

	;;#ASMEND
	;;#ASMSTART
	v_pk_add_f16 v0, v0, v82;

	;;#ASMEND
	v_dual_mov_b32 v85, 0 :: v_dual_and_b32 v10, 0xffff, v0
	v_lshrrev_b32_e32 v0, 16, v0
	;;#ASMSTART
	v_cvt_f32_f16 v82, v10;
	;;#ASMEND
	;;#ASMSTART
	v_cvt_f32_f16 v83, v0;
	;;#ASMEND
	flat_load_b64 v[10:11], v[8:9] offset:1280
	flat_load_b32 v84, v[26:27]
	v_mov_b32_e32 v86, 0
	s_mov_b32 s12, exec_lo
	s_wait_loadcnt_dscnt 0x101
	v_and_b32_e32 v0, 0xff, v10
	s_delay_alu instid0(VALU_DEP_1)
	v_cmpx_ne_u16_e32 0, v0
	s_cbranch_execz .LBB279_1141
; %bb.1134:                             ;   in Loop: Header=BB279_803 Depth=1
	v_mov_b32_e32 v86, 0x8000
	s_mov_b32 s13, exec_lo
	v_cmpx_ne_u16_e32 0x80, v0
	s_cbranch_execz .LBB279_1140
; %bb.1135:                             ;   in Loop: Header=BB279_803 Depth=1
	v_and_b32_e32 v87, 0x7f, v10
	v_mov_b32_e32 v86, 0x7c01
	s_mov_b32 s14, exec_lo
	s_delay_alu instid0(VALU_DEP_2)
	v_cmpx_ne_u32_e32 0x7f, v87
	s_cbranch_execz .LBB279_1139
; %bb.1136:                             ;   in Loop: Header=BB279_803 Depth=1
	v_and_b32_e32 v0, 7, v10
	v_lshrrev_b32_e32 v86, 3, v87
	s_mov_b32 s15, exec_lo
	v_cmpx_gt_u32_e32 8, v87
; %bb.1137:                             ;   in Loop: Header=BB279_803 Depth=1
	s_delay_alu instid0(VALU_DEP_3) | instskip(NEXT) | instid1(VALU_DEP_1)
	v_clz_i32_u32_e32 v0, v0
	v_min_u32_e32 v0, 32, v0
	s_delay_alu instid0(VALU_DEP_1) | instskip(NEXT) | instid1(VALU_DEP_1)
	v_subrev_nc_u32_e32 v86, 28, v0
	v_lshlrev_b64_e32 v[96:97], v86, v[10:11]
	v_sub_nc_u32_e32 v86, 29, v0
	s_delay_alu instid0(VALU_DEP_2)
	v_and_b32_e32 v0, 7, v96
; %bb.1138:                             ;   in Loop: Header=BB279_803 Depth=1
	s_wait_alu 0xfffe
	s_or_b32 exec_lo, exec_lo, s15
	v_lshlrev_b32_e32 v87, 8, v10
	v_lshl_add_u32 v86, v86, 10, 0x2000
	v_lshlrev_b32_e32 v0, 7, v0
	s_delay_alu instid0(VALU_DEP_3) | instskip(NEXT) | instid1(VALU_DEP_3)
	v_and_b32_e32 v87, 0x8000, v87
	v_and_b32_e32 v86, 0xfc00, v86
	s_delay_alu instid0(VALU_DEP_1)
	v_or3_b32 v86, v87, v86, v0
.LBB279_1139:                           ;   in Loop: Header=BB279_803 Depth=1
	s_wait_alu 0xfffe
	s_or_b32 exec_lo, exec_lo, s14
.LBB279_1140:                           ;   in Loop: Header=BB279_803 Depth=1
	s_wait_alu 0xfffe
	s_or_b32 exec_lo, exec_lo, s13
.LBB279_1141:                           ;   in Loop: Header=BB279_803 Depth=1
	s_wait_alu 0xfffe
	s_or_b32 exec_lo, exec_lo, s12
	v_lshrrev_b16 v0, 8, v10
	s_mov_b32 s12, exec_lo
	s_delay_alu instid0(VALU_DEP_1)
	v_cmpx_ne_u16_e32 0, v0
	s_cbranch_execz .LBB279_1149
; %bb.1142:                             ;   in Loop: Header=BB279_803 Depth=1
	v_bfrev_b32_e32 v85, 1
	s_mov_b32 s13, exec_lo
	v_cmpx_ne_u16_e32 0x80, v0
	s_cbranch_execz .LBB279_1148
; %bb.1143:                             ;   in Loop: Header=BB279_803 Depth=1
	v_and_b32_e32 v87, 0xffff, v0
	v_mov_b32_e32 v85, 0x7c010000
	s_mov_b32 s14, exec_lo
	s_delay_alu instid0(VALU_DEP_2) | instskip(NEXT) | instid1(VALU_DEP_1)
	v_and_b32_e32 v97, 0x7f, v87
	v_cmpx_ne_u32_e32 0x7f, v97
	s_cbranch_execz .LBB279_1147
; %bb.1144:                             ;   in Loop: Header=BB279_803 Depth=1
	v_and_b32_e32 v85, 7, v87
	v_lshrrev_b32_e32 v96, 3, v97
	s_mov_b32 s15, exec_lo
	v_cmpx_gt_u32_e32 8, v97
; %bb.1145:                             ;   in Loop: Header=BB279_803 Depth=1
	s_delay_alu instid0(VALU_DEP_3) | instskip(NEXT) | instid1(VALU_DEP_1)
	v_clz_i32_u32_e32 v85, v85
	v_min_u32_e32 v85, 32, v85
	s_delay_alu instid0(VALU_DEP_1) | instskip(NEXT) | instid1(VALU_DEP_1)
	v_subrev_nc_u32_e32 v96, 28, v85
	v_lshlrev_b64_e32 v[97:98], v96, v[0:1]
	v_sub_nc_u32_e32 v96, 29, v85
	s_delay_alu instid0(VALU_DEP_2)
	v_and_b32_e32 v85, 7, v97
; %bb.1146:                             ;   in Loop: Header=BB279_803 Depth=1
	s_wait_alu 0xfffe
	s_or_b32 exec_lo, exec_lo, s15
	v_lshlrev_b32_e32 v0, 8, v87
	v_lshl_add_u32 v87, v96, 10, 0x2000
	v_lshlrev_b32_e32 v85, 23, v85
	s_delay_alu instid0(VALU_DEP_2) | instskip(NEXT) | instid1(VALU_DEP_1)
	v_and_or_b32 v0, 0x8000, v0, v87
	v_lshl_or_b32 v85, v0, 16, v85
.LBB279_1147:                           ;   in Loop: Header=BB279_803 Depth=1
	s_wait_alu 0xfffe
	s_or_b32 exec_lo, exec_lo, s14
.LBB279_1148:                           ;   in Loop: Header=BB279_803 Depth=1
	s_wait_alu 0xfffe
	s_or_b32 exec_lo, exec_lo, s13
.LBB279_1149:                           ;   in Loop: Header=BB279_803 Depth=1
	s_wait_alu 0xfffe
	s_or_b32 exec_lo, exec_lo, s12
	v_lshrrev_b32_e32 v0, 16, v10
	v_mov_b32_e32 v87, 0
	s_mov_b32 s12, exec_lo
	s_delay_alu instid0(VALU_DEP_2) | instskip(NEXT) | instid1(VALU_DEP_1)
	v_dual_mov_b32 v96, 0 :: v_dual_and_b32 v97, 0xff, v0
	v_cmpx_ne_u16_e32 0, v97
	s_cbranch_execz .LBB279_1157
; %bb.1150:                             ;   in Loop: Header=BB279_803 Depth=1
	v_mov_b32_e32 v96, 0x8000
	s_mov_b32 s13, exec_lo
	v_cmpx_ne_u16_e32 0x80, v97
	s_cbranch_execz .LBB279_1156
; %bb.1151:                             ;   in Loop: Header=BB279_803 Depth=1
	v_bfe_u32 v98, v10, 16, 7
	v_mov_b32_e32 v96, 0x7c01
	s_mov_b32 s14, exec_lo
	s_delay_alu instid0(VALU_DEP_2)
	v_cmpx_ne_u32_e32 0x7f, v98
	s_cbranch_execz .LBB279_1155
; %bb.1152:                             ;   in Loop: Header=BB279_803 Depth=1
	v_and_b32_e32 v96, 7, v0
	v_lshrrev_b32_e32 v97, 3, v98
	s_mov_b32 s15, exec_lo
	v_cmpx_gt_u32_e32 8, v98
; %bb.1153:                             ;   in Loop: Header=BB279_803 Depth=1
	s_delay_alu instid0(VALU_DEP_3) | instskip(NEXT) | instid1(VALU_DEP_1)
	v_clz_i32_u32_e32 v96, v96
	v_min_u32_e32 v98, 32, v96
	s_delay_alu instid0(VALU_DEP_1) | instskip(NEXT) | instid1(VALU_DEP_1)
	v_subrev_nc_u32_e32 v96, 28, v98
	v_lshlrev_b64_e32 v[96:97], v96, v[0:1]
	v_sub_nc_u32_e32 v97, 29, v98
	s_delay_alu instid0(VALU_DEP_2)
	v_and_b32_e32 v96, 7, v96
; %bb.1154:                             ;   in Loop: Header=BB279_803 Depth=1
	s_wait_alu 0xfffe
	s_or_b32 exec_lo, exec_lo, s15
	v_lshlrev_b32_e32 v0, 8, v0
	v_lshl_add_u32 v97, v97, 10, 0x2000
	v_lshlrev_b32_e32 v96, 7, v96
	s_delay_alu instid0(VALU_DEP_3) | instskip(NEXT) | instid1(VALU_DEP_3)
	v_and_b32_e32 v0, 0x8000, v0
	v_and_b32_e32 v97, 0xfc00, v97
	s_delay_alu instid0(VALU_DEP_1)
	v_or3_b32 v96, v0, v97, v96
.LBB279_1155:                           ;   in Loop: Header=BB279_803 Depth=1
	s_wait_alu 0xfffe
	s_or_b32 exec_lo, exec_lo, s14
.LBB279_1156:                           ;   in Loop: Header=BB279_803 Depth=1
	s_wait_alu 0xfffe
	s_or_b32 exec_lo, exec_lo, s13
.LBB279_1157:                           ;   in Loop: Header=BB279_803 Depth=1
	s_wait_alu 0xfffe
	s_or_b32 exec_lo, exec_lo, s12
	s_delay_alu instid0(SALU_CYCLE_1)
	s_mov_b32 s12, exec_lo
	v_cmpx_lt_u32_e32 0xffffff, v10
	s_cbranch_execz .LBB279_1165
; %bb.1158:                             ;   in Loop: Header=BB279_803 Depth=1
	v_lshrrev_b32_e32 v0, 24, v10
	v_bfrev_b32_e32 v87, 1
	s_mov_b32 s13, exec_lo
	s_delay_alu instid0(VALU_DEP_2)
	v_cmpx_ne_u32_e32 0x80, v0
	s_cbranch_execz .LBB279_1164
; %bb.1159:                             ;   in Loop: Header=BB279_803 Depth=1
	v_and_b32_e32 v98, 0x7f, v0
	v_mov_b32_e32 v87, 0x7c010000
	s_mov_b32 s14, exec_lo
	s_delay_alu instid0(VALU_DEP_2)
	v_cmpx_ne_u32_e32 0x7f, v98
	s_cbranch_execz .LBB279_1163
; %bb.1160:                             ;   in Loop: Header=BB279_803 Depth=1
	v_and_b32_e32 v87, 7, v0
	v_lshrrev_b32_e32 v97, 3, v98
	s_mov_b32 s15, exec_lo
	v_cmpx_gt_u32_e32 8, v98
; %bb.1161:                             ;   in Loop: Header=BB279_803 Depth=1
	s_delay_alu instid0(VALU_DEP_3) | instskip(NEXT) | instid1(VALU_DEP_1)
	v_clz_i32_u32_e32 v87, v87
	v_min_u32_e32 v87, 32, v87
	s_delay_alu instid0(VALU_DEP_1) | instskip(NEXT) | instid1(VALU_DEP_1)
	v_subrev_nc_u32_e32 v97, 28, v87
	v_lshlrev_b64_e32 v[98:99], v97, v[0:1]
	v_sub_nc_u32_e32 v97, 29, v87
	s_delay_alu instid0(VALU_DEP_2)
	v_and_b32_e32 v87, 7, v98
; %bb.1162:                             ;   in Loop: Header=BB279_803 Depth=1
	s_wait_alu 0xfffe
	s_or_b32 exec_lo, exec_lo, s15
	v_lshlrev_b32_e32 v0, 8, v0
	v_lshl_add_u32 v97, v97, 10, 0x2000
	v_lshlrev_b32_e32 v87, 23, v87
	s_delay_alu instid0(VALU_DEP_2) | instskip(NEXT) | instid1(VALU_DEP_1)
	v_and_or_b32 v0, 0x8000, v0, v97
	v_lshl_or_b32 v87, v0, 16, v87
.LBB279_1163:                           ;   in Loop: Header=BB279_803 Depth=1
	s_wait_alu 0xfffe
	s_or_b32 exec_lo, exec_lo, s14
.LBB279_1164:                           ;   in Loop: Header=BB279_803 Depth=1
	s_wait_alu 0xfffe
	s_or_b32 exec_lo, exec_lo, s13
.LBB279_1165:                           ;   in Loop: Header=BB279_803 Depth=1
	s_wait_alu 0xfffe
	s_or_b32 exec_lo, exec_lo, s12
	v_dual_mov_b32 v0, v11 :: v_dual_and_b32 v99, 0xff, v11
	v_dual_mov_b32 v97, 0 :: v_dual_mov_b32 v98, 0
	s_mov_b32 s12, exec_lo
	s_delay_alu instid0(VALU_DEP_2)
	v_cmpx_ne_u16_e32 0, v99
	s_cbranch_execz .LBB279_1173
; %bb.1166:                             ;   in Loop: Header=BB279_803 Depth=1
	v_mov_b32_e32 v98, 0x8000
	s_mov_b32 s13, exec_lo
	v_cmpx_ne_u16_e32 0x80, v99
	s_cbranch_execz .LBB279_1172
; %bb.1167:                             ;   in Loop: Header=BB279_803 Depth=1
	v_and_b32_e32 v100, 0x7f, v11
	v_mov_b32_e32 v98, 0x7c01
	s_mov_b32 s14, exec_lo
	s_delay_alu instid0(VALU_DEP_2)
	v_cmpx_ne_u32_e32 0x7f, v100
	s_cbranch_execz .LBB279_1171
; %bb.1168:                             ;   in Loop: Header=BB279_803 Depth=1
	v_and_b32_e32 v98, 7, v11
	v_lshrrev_b32_e32 v99, 3, v100
	s_mov_b32 s15, exec_lo
	v_cmpx_gt_u32_e32 8, v100
; %bb.1169:                             ;   in Loop: Header=BB279_803 Depth=1
	s_delay_alu instid0(VALU_DEP_3) | instskip(NEXT) | instid1(VALU_DEP_1)
	v_clz_i32_u32_e32 v98, v98
	v_min_u32_e32 v100, 32, v98
	s_delay_alu instid0(VALU_DEP_1) | instskip(NEXT) | instid1(VALU_DEP_1)
	v_subrev_nc_u32_e32 v98, 28, v100
	v_lshlrev_b64_e32 v[98:99], v98, v[0:1]
	v_sub_nc_u32_e32 v99, 29, v100
	s_delay_alu instid0(VALU_DEP_2)
	v_and_b32_e32 v98, 7, v98
; %bb.1170:                             ;   in Loop: Header=BB279_803 Depth=1
	s_wait_alu 0xfffe
	s_or_b32 exec_lo, exec_lo, s15
	v_lshlrev_b32_e32 v100, 8, v11
	v_lshl_add_u32 v99, v99, 10, 0x2000
	v_lshlrev_b32_e32 v98, 7, v98
	s_delay_alu instid0(VALU_DEP_3) | instskip(NEXT) | instid1(VALU_DEP_3)
	v_and_b32_e32 v100, 0x8000, v100
	v_and_b32_e32 v99, 0xfc00, v99
	s_delay_alu instid0(VALU_DEP_1)
	v_or3_b32 v98, v100, v99, v98
.LBB279_1171:                           ;   in Loop: Header=BB279_803 Depth=1
	s_wait_alu 0xfffe
	s_or_b32 exec_lo, exec_lo, s14
.LBB279_1172:                           ;   in Loop: Header=BB279_803 Depth=1
	s_wait_alu 0xfffe
	s_or_b32 exec_lo, exec_lo, s13
.LBB279_1173:                           ;   in Loop: Header=BB279_803 Depth=1
	s_wait_alu 0xfffe
	s_or_b32 exec_lo, exec_lo, s12
	v_lshrrev_b16 v0, 8, v0
	v_mov_b32_e32 v99, 0
	s_mov_b32 s12, exec_lo
	s_delay_alu instid0(VALU_DEP_2)
	v_cmpx_ne_u16_e32 0, v0
	s_cbranch_execz .LBB279_1181
; %bb.1174:                             ;   in Loop: Header=BB279_803 Depth=1
	v_bfrev_b32_e32 v99, 1
	s_mov_b32 s13, exec_lo
	v_cmpx_ne_u16_e32 0x80, v0
	s_cbranch_execz .LBB279_1180
; %bb.1175:                             ;   in Loop: Header=BB279_803 Depth=1
	v_and_b32_e32 v100, 0xffff, v0
	v_mov_b32_e32 v99, 0x7c010000
	s_mov_b32 s14, exec_lo
	s_delay_alu instid0(VALU_DEP_2) | instskip(NEXT) | instid1(VALU_DEP_1)
	v_and_b32_e32 v102, 0x7f, v100
	v_cmpx_ne_u32_e32 0x7f, v102
	s_cbranch_execz .LBB279_1179
; %bb.1176:                             ;   in Loop: Header=BB279_803 Depth=1
	v_and_b32_e32 v99, 7, v100
	v_lshrrev_b32_e32 v101, 3, v102
	s_mov_b32 s15, exec_lo
	v_cmpx_gt_u32_e32 8, v102
; %bb.1177:                             ;   in Loop: Header=BB279_803 Depth=1
	s_delay_alu instid0(VALU_DEP_3) | instskip(NEXT) | instid1(VALU_DEP_1)
	v_clz_i32_u32_e32 v99, v99
	v_min_u32_e32 v99, 32, v99
	s_delay_alu instid0(VALU_DEP_1) | instskip(NEXT) | instid1(VALU_DEP_1)
	v_subrev_nc_u32_e32 v101, 28, v99
	v_lshlrev_b64_e32 v[102:103], v101, v[0:1]
	v_sub_nc_u32_e32 v101, 29, v99
	s_delay_alu instid0(VALU_DEP_2)
	v_and_b32_e32 v99, 7, v102
; %bb.1178:                             ;   in Loop: Header=BB279_803 Depth=1
	s_wait_alu 0xfffe
	s_or_b32 exec_lo, exec_lo, s15
	v_lshlrev_b32_e32 v0, 8, v100
	v_lshl_add_u32 v100, v101, 10, 0x2000
	v_lshlrev_b32_e32 v99, 23, v99
	s_delay_alu instid0(VALU_DEP_2) | instskip(NEXT) | instid1(VALU_DEP_1)
	v_and_or_b32 v0, 0x8000, v0, v100
	v_lshl_or_b32 v99, v0, 16, v99
.LBB279_1179:                           ;   in Loop: Header=BB279_803 Depth=1
	s_wait_alu 0xfffe
	s_or_b32 exec_lo, exec_lo, s14
.LBB279_1180:                           ;   in Loop: Header=BB279_803 Depth=1
	s_wait_alu 0xfffe
	s_or_b32 exec_lo, exec_lo, s13
.LBB279_1181:                           ;   in Loop: Header=BB279_803 Depth=1
	s_wait_alu 0xfffe
	s_or_b32 exec_lo, exec_lo, s12
	v_lshrrev_b32_e32 v0, 16, v11
	s_mov_b32 s12, exec_lo
	s_delay_alu instid0(VALU_DEP_1) | instskip(NEXT) | instid1(VALU_DEP_1)
	v_and_b32_e32 v100, 0xff, v0
	v_cmpx_ne_u16_e32 0, v100
	s_cbranch_execz .LBB279_1189
; %bb.1182:                             ;   in Loop: Header=BB279_803 Depth=1
	v_mov_b32_e32 v97, 0x8000
	s_mov_b32 s13, exec_lo
	v_cmpx_ne_u16_e32 0x80, v100
	s_cbranch_execz .LBB279_1188
; %bb.1183:                             ;   in Loop: Header=BB279_803 Depth=1
	v_bfe_u32 v101, v11, 16, 7
	v_mov_b32_e32 v97, 0x7c01
	s_mov_b32 s14, exec_lo
	s_delay_alu instid0(VALU_DEP_2)
	v_cmpx_ne_u32_e32 0x7f, v101
	s_cbranch_execz .LBB279_1187
; %bb.1184:                             ;   in Loop: Header=BB279_803 Depth=1
	v_and_b32_e32 v97, 7, v0
	v_lshrrev_b32_e32 v100, 3, v101
	s_mov_b32 s15, exec_lo
	v_cmpx_gt_u32_e32 8, v101
; %bb.1185:                             ;   in Loop: Header=BB279_803 Depth=1
	s_delay_alu instid0(VALU_DEP_3) | instskip(NEXT) | instid1(VALU_DEP_1)
	v_clz_i32_u32_e32 v97, v97
	v_min_u32_e32 v97, 32, v97
	s_delay_alu instid0(VALU_DEP_1) | instskip(NEXT) | instid1(VALU_DEP_1)
	v_subrev_nc_u32_e32 v100, 28, v97
	v_lshlrev_b64_e32 v[101:102], v100, v[0:1]
	v_sub_nc_u32_e32 v100, 29, v97
	s_delay_alu instid0(VALU_DEP_2)
	v_and_b32_e32 v97, 7, v101
; %bb.1186:                             ;   in Loop: Header=BB279_803 Depth=1
	s_wait_alu 0xfffe
	s_or_b32 exec_lo, exec_lo, s15
	v_lshlrev_b32_e32 v0, 8, v0
	v_lshl_add_u32 v100, v100, 10, 0x2000
	v_lshlrev_b32_e32 v97, 7, v97
	s_delay_alu instid0(VALU_DEP_3) | instskip(NEXT) | instid1(VALU_DEP_3)
	v_and_b32_e32 v0, 0x8000, v0
	v_and_b32_e32 v100, 0xfc00, v100
	s_delay_alu instid0(VALU_DEP_1)
	v_or3_b32 v97, v0, v100, v97
.LBB279_1187:                           ;   in Loop: Header=BB279_803 Depth=1
	s_wait_alu 0xfffe
	s_or_b32 exec_lo, exec_lo, s14
.LBB279_1188:                           ;   in Loop: Header=BB279_803 Depth=1
	s_wait_alu 0xfffe
	s_or_b32 exec_lo, exec_lo, s13
.LBB279_1189:                           ;   in Loop: Header=BB279_803 Depth=1
	s_wait_alu 0xfffe
	s_or_b32 exec_lo, exec_lo, s12
	v_cmp_lt_u64_e64 s0, s[8:9], v[10:11]
	v_mov_b32_e32 v10, 0
	s_and_saveexec_b32 s12, s0
	s_cbranch_execz .LBB279_1197
; %bb.1190:                             ;   in Loop: Header=BB279_803 Depth=1
	v_lshrrev_b32_e32 v0, 24, v11
	v_bfrev_b32_e32 v10, 1
	s_mov_b32 s13, exec_lo
	s_delay_alu instid0(VALU_DEP_2)
	v_cmpx_ne_u32_e32 0x80, v0
	s_cbranch_execz .LBB279_1196
; %bb.1191:                             ;   in Loop: Header=BB279_803 Depth=1
	v_and_b32_e32 v100, 0x7f, v0
	v_mov_b32_e32 v10, 0x7c010000
	s_mov_b32 s14, exec_lo
	s_delay_alu instid0(VALU_DEP_2)
	v_cmpx_ne_u32_e32 0x7f, v100
	s_cbranch_execz .LBB279_1195
; %bb.1192:                             ;   in Loop: Header=BB279_803 Depth=1
	v_and_b32_e32 v10, 7, v0
	v_lshrrev_b32_e32 v11, 3, v100
	s_mov_b32 s15, exec_lo
	v_cmpx_gt_u32_e32 8, v100
; %bb.1193:                             ;   in Loop: Header=BB279_803 Depth=1
	s_delay_alu instid0(VALU_DEP_3) | instskip(NEXT) | instid1(VALU_DEP_1)
	v_clz_i32_u32_e32 v10, v10
	v_min_u32_e32 v100, 32, v10
	s_delay_alu instid0(VALU_DEP_1) | instskip(NEXT) | instid1(VALU_DEP_1)
	v_subrev_nc_u32_e32 v10, 28, v100
	v_lshlrev_b64_e32 v[10:11], v10, v[0:1]
	v_sub_nc_u32_e32 v11, 29, v100
	s_delay_alu instid0(VALU_DEP_2)
	v_and_b32_e32 v10, 7, v10
; %bb.1194:                             ;   in Loop: Header=BB279_803 Depth=1
	s_wait_alu 0xfffe
	s_or_b32 exec_lo, exec_lo, s15
	v_lshlrev_b32_e32 v0, 8, v0
	v_lshl_add_u32 v11, v11, 10, 0x2000
	v_lshlrev_b32_e32 v10, 23, v10
	s_delay_alu instid0(VALU_DEP_2) | instskip(NEXT) | instid1(VALU_DEP_1)
	v_and_or_b32 v0, 0x8000, v0, v11
	v_lshl_or_b32 v10, v0, 16, v10
.LBB279_1195:                           ;   in Loop: Header=BB279_803 Depth=1
	s_wait_alu 0xfffe
	s_or_b32 exec_lo, exec_lo, s14
.LBB279_1196:                           ;   in Loop: Header=BB279_803 Depth=1
	s_wait_alu 0xfffe
	s_or_b32 exec_lo, exec_lo, s13
.LBB279_1197:                           ;   in Loop: Header=BB279_803 Depth=1
	s_wait_alu 0xfffe
	s_or_b32 exec_lo, exec_lo, s12
	v_or_b32_e32 v0, v87, v96
	s_wait_loadcnt_dscnt 0x0
	v_fma_mixlo_f16 v11, v84, v87, 0 op_sel:[0,1,0] op_sel_hi:[0,1,0]
	v_or_b32_e32 v87, v85, v86
	v_fma_mixlo_f16 v85, v84, v85, 0 op_sel:[0,1,0] op_sel_hi:[0,1,0]
	v_or_b32_e32 v96, v99, v98
	v_or_b32_e32 v97, v10, v97
	v_fma_mixlo_f16 v98, v84, v0, 0 op_sel_hi:[0,1,0]
	v_fma_mixlo_f16 v10, v84, v10, 0 op_sel:[0,1,0] op_sel_hi:[0,1,0]
	v_lshlrev_b32_e32 v86, 16, v85
	v_fma_mixlo_f16 v85, v84, v87, 0 op_sel_hi:[0,1,0]
	v_fma_mixlo_f16 v87, v84, v99, 0 op_sel:[0,1,0] op_sel_hi:[0,1,0]
	v_fma_mixlo_f16 v96, v84, v96, 0 op_sel_hi:[0,1,0]
	v_fma_mixlo_f16 v97, v84, v97, 0 op_sel_hi:[0,1,0]
	v_lshlrev_b32_e32 v0, 16, v11
	v_and_b32_e32 v11, 0xffff, v98
	v_and_b32_e32 v100, 0xffff, v85
	v_lshlrev_b32_e32 v84, 16, v87
	v_and_b32_e32 v96, 0xffff, v96
	v_lshlrev_b32_e32 v10, 16, v10
	v_and_b32_e32 v85, 0xffff, v97
	v_or_b32_e32 v87, v0, v11
	v_or_b32_e32 v99, v86, v100
	;; [unrolled: 1-line block ×3, first 2 shown]
	s_delay_alu instid0(VALU_DEP_4)
	v_or_b32_e32 v97, v10, v85
	s_and_saveexec_b32 s12, vcc_lo
	s_cbranch_execz .LBB279_1199
; %bb.1198:                             ;   in Loop: Header=BB279_803 Depth=1
	v_cmp_lt_i32_e64 s0, v23, v32
	s_wait_alu 0xf1ff
	s_delay_alu instid0(VALU_DEP_1) | instskip(SKIP_2) | instid1(VALU_DEP_1)
	v_cndmask_b32_e64 v87, 0, v100, s0
	v_cmp_lt_i32_e64 s0, v67, v32
	s_wait_alu 0xf1ff
	v_cndmask_b32_e64 v86, 0, v86, s0
	v_cmp_lt_i32_e64 s0, v66, v32
	s_delay_alu instid0(VALU_DEP_2) | instskip(SKIP_1) | instid1(VALU_DEP_2)
	v_or_b32_e32 v99, v87, v86
	s_wait_alu 0xf1ff
	v_cndmask_b32_e64 v11, 0, v11, s0
	v_cmp_lt_i32_e64 s0, v64, v32
	s_wait_alu 0xf1ff
	s_delay_alu instid0(VALU_DEP_1) | instskip(SKIP_1) | instid1(VALU_DEP_2)
	v_cndmask_b32_e64 v0, 0, v0, s0
	v_cmp_lt_i32_e64 s0, v53, v32
	v_or_b32_e32 v87, v11, v0
	s_wait_alu 0xf1ff
	s_delay_alu instid0(VALU_DEP_2) | instskip(SKIP_2) | instid1(VALU_DEP_1)
	v_cndmask_b32_e64 v96, 0, v96, s0
	v_cmp_lt_i32_e64 s0, v51, v32
	s_wait_alu 0xf1ff
	v_cndmask_b32_e64 v84, 0, v84, s0
	v_cmp_lt_i32_e64 s0, v36, v32
	s_delay_alu instid0(VALU_DEP_2) | instskip(SKIP_1) | instid1(VALU_DEP_2)
	v_or_b32_e32 v98, v96, v84
	s_wait_alu 0xf1ff
	v_cndmask_b32_e64 v85, 0, v85, s0
	v_cmp_lt_i32_e64 s0, v14, v32
	s_wait_alu 0xf1ff
	s_delay_alu instid0(VALU_DEP_1) | instskip(NEXT) | instid1(VALU_DEP_1)
	v_cndmask_b32_e64 v10, 0, v10, s0
	v_or_b32_e32 v97, v85, v10
.LBB279_1199:                           ;   in Loop: Header=BB279_803 Depth=1
	s_wait_alu 0xfffe
	s_or_b32 exec_lo, exec_lo, s12
	;;#ASMSTART
	v_pk_mul_f16 v0, v55, v99;

	;;#ASMEND
	;;#ASMSTART
	v_pk_mul_f16 v10, v52, v87;

	;;#ASMEND
	;; [unrolled: 4-line block ×4, first 2 shown]
	;;#ASMSTART
	v_pk_add_f16 v0, v0, v10;

	;;#ASMEND
	;;#ASMSTART
	v_pk_add_f16 v0, v0, v11;

	;;#ASMEND
	;; [unrolled: 4-line block ×3, first 2 shown]
	v_dual_mov_b32 v87, 0 :: v_dual_and_b32 v10, 0xffff, v0
	v_lshrrev_b32_e32 v0, 16, v0
	;;#ASMSTART
	v_cvt_f32_f16 v84, v10;
	;;#ASMEND
	;;#ASMSTART
	v_cvt_f32_f16 v85, v0;
	;;#ASMEND
	flat_load_b64 v[10:11], v[8:9] offset:1536
	flat_load_b32 v86, v[26:27]
	v_mov_b32_e32 v96, 0
	s_mov_b32 s12, exec_lo
	s_wait_loadcnt_dscnt 0x101
	v_and_b32_e32 v0, 0xff, v10
	s_delay_alu instid0(VALU_DEP_1)
	v_cmpx_ne_u16_e32 0, v0
	s_cbranch_execz .LBB279_1207
; %bb.1200:                             ;   in Loop: Header=BB279_803 Depth=1
	v_mov_b32_e32 v96, 0x8000
	s_mov_b32 s13, exec_lo
	v_cmpx_ne_u16_e32 0x80, v0
	s_cbranch_execz .LBB279_1206
; %bb.1201:                             ;   in Loop: Header=BB279_803 Depth=1
	v_and_b32_e32 v97, 0x7f, v10
	v_mov_b32_e32 v96, 0x7c01
	s_mov_b32 s14, exec_lo
	s_delay_alu instid0(VALU_DEP_2)
	v_cmpx_ne_u32_e32 0x7f, v97
	s_cbranch_execz .LBB279_1205
; %bb.1202:                             ;   in Loop: Header=BB279_803 Depth=1
	v_and_b32_e32 v0, 7, v10
	v_lshrrev_b32_e32 v96, 3, v97
	s_mov_b32 s15, exec_lo
	v_cmpx_gt_u32_e32 8, v97
; %bb.1203:                             ;   in Loop: Header=BB279_803 Depth=1
	s_delay_alu instid0(VALU_DEP_3) | instskip(NEXT) | instid1(VALU_DEP_1)
	v_clz_i32_u32_e32 v0, v0
	v_min_u32_e32 v0, 32, v0
	s_delay_alu instid0(VALU_DEP_1) | instskip(NEXT) | instid1(VALU_DEP_1)
	v_subrev_nc_u32_e32 v96, 28, v0
	v_lshlrev_b64_e32 v[97:98], v96, v[10:11]
	v_sub_nc_u32_e32 v96, 29, v0
	s_delay_alu instid0(VALU_DEP_2)
	v_and_b32_e32 v0, 7, v97
; %bb.1204:                             ;   in Loop: Header=BB279_803 Depth=1
	s_wait_alu 0xfffe
	s_or_b32 exec_lo, exec_lo, s15
	v_lshlrev_b32_e32 v97, 8, v10
	v_lshl_add_u32 v96, v96, 10, 0x2000
	v_lshlrev_b32_e32 v0, 7, v0
	s_delay_alu instid0(VALU_DEP_3) | instskip(NEXT) | instid1(VALU_DEP_3)
	v_and_b32_e32 v97, 0x8000, v97
	v_and_b32_e32 v96, 0xfc00, v96
	s_delay_alu instid0(VALU_DEP_1)
	v_or3_b32 v96, v97, v96, v0
.LBB279_1205:                           ;   in Loop: Header=BB279_803 Depth=1
	s_wait_alu 0xfffe
	s_or_b32 exec_lo, exec_lo, s14
.LBB279_1206:                           ;   in Loop: Header=BB279_803 Depth=1
	s_wait_alu 0xfffe
	s_or_b32 exec_lo, exec_lo, s13
.LBB279_1207:                           ;   in Loop: Header=BB279_803 Depth=1
	s_wait_alu 0xfffe
	s_or_b32 exec_lo, exec_lo, s12
	v_lshrrev_b16 v0, 8, v10
	s_mov_b32 s12, exec_lo
	s_delay_alu instid0(VALU_DEP_1)
	v_cmpx_ne_u16_e32 0, v0
	s_cbranch_execz .LBB279_1215
; %bb.1208:                             ;   in Loop: Header=BB279_803 Depth=1
	v_bfrev_b32_e32 v87, 1
	s_mov_b32 s13, exec_lo
	v_cmpx_ne_u16_e32 0x80, v0
	s_cbranch_execz .LBB279_1214
; %bb.1209:                             ;   in Loop: Header=BB279_803 Depth=1
	v_and_b32_e32 v97, 0xffff, v0
	v_mov_b32_e32 v87, 0x7c010000
	s_mov_b32 s14, exec_lo
	s_delay_alu instid0(VALU_DEP_2) | instskip(NEXT) | instid1(VALU_DEP_1)
	v_and_b32_e32 v99, 0x7f, v97
	v_cmpx_ne_u32_e32 0x7f, v99
	s_cbranch_execz .LBB279_1213
; %bb.1210:                             ;   in Loop: Header=BB279_803 Depth=1
	v_and_b32_e32 v87, 7, v97
	v_lshrrev_b32_e32 v98, 3, v99
	s_mov_b32 s15, exec_lo
	v_cmpx_gt_u32_e32 8, v99
; %bb.1211:                             ;   in Loop: Header=BB279_803 Depth=1
	s_delay_alu instid0(VALU_DEP_3) | instskip(NEXT) | instid1(VALU_DEP_1)
	v_clz_i32_u32_e32 v87, v87
	v_min_u32_e32 v87, 32, v87
	s_delay_alu instid0(VALU_DEP_1) | instskip(NEXT) | instid1(VALU_DEP_1)
	v_subrev_nc_u32_e32 v98, 28, v87
	v_lshlrev_b64_e32 v[99:100], v98, v[0:1]
	v_sub_nc_u32_e32 v98, 29, v87
	s_delay_alu instid0(VALU_DEP_2)
	v_and_b32_e32 v87, 7, v99
; %bb.1212:                             ;   in Loop: Header=BB279_803 Depth=1
	s_wait_alu 0xfffe
	s_or_b32 exec_lo, exec_lo, s15
	v_lshlrev_b32_e32 v0, 8, v97
	v_lshl_add_u32 v97, v98, 10, 0x2000
	v_lshlrev_b32_e32 v87, 23, v87
	s_delay_alu instid0(VALU_DEP_2) | instskip(NEXT) | instid1(VALU_DEP_1)
	v_and_or_b32 v0, 0x8000, v0, v97
	v_lshl_or_b32 v87, v0, 16, v87
.LBB279_1213:                           ;   in Loop: Header=BB279_803 Depth=1
	s_wait_alu 0xfffe
	s_or_b32 exec_lo, exec_lo, s14
.LBB279_1214:                           ;   in Loop: Header=BB279_803 Depth=1
	s_wait_alu 0xfffe
	s_or_b32 exec_lo, exec_lo, s13
.LBB279_1215:                           ;   in Loop: Header=BB279_803 Depth=1
	s_wait_alu 0xfffe
	s_or_b32 exec_lo, exec_lo, s12
	v_lshrrev_b32_e32 v0, 16, v10
	v_mov_b32_e32 v97, 0
	s_mov_b32 s12, exec_lo
	s_delay_alu instid0(VALU_DEP_2) | instskip(NEXT) | instid1(VALU_DEP_1)
	v_dual_mov_b32 v98, 0 :: v_dual_and_b32 v99, 0xff, v0
	v_cmpx_ne_u16_e32 0, v99
	s_cbranch_execz .LBB279_1223
; %bb.1216:                             ;   in Loop: Header=BB279_803 Depth=1
	v_mov_b32_e32 v98, 0x8000
	s_mov_b32 s13, exec_lo
	v_cmpx_ne_u16_e32 0x80, v99
	s_cbranch_execz .LBB279_1222
; %bb.1217:                             ;   in Loop: Header=BB279_803 Depth=1
	v_bfe_u32 v100, v10, 16, 7
	v_mov_b32_e32 v98, 0x7c01
	s_mov_b32 s14, exec_lo
	s_delay_alu instid0(VALU_DEP_2)
	v_cmpx_ne_u32_e32 0x7f, v100
	s_cbranch_execz .LBB279_1221
; %bb.1218:                             ;   in Loop: Header=BB279_803 Depth=1
	v_and_b32_e32 v98, 7, v0
	v_lshrrev_b32_e32 v99, 3, v100
	s_mov_b32 s15, exec_lo
	v_cmpx_gt_u32_e32 8, v100
; %bb.1219:                             ;   in Loop: Header=BB279_803 Depth=1
	s_delay_alu instid0(VALU_DEP_3) | instskip(NEXT) | instid1(VALU_DEP_1)
	v_clz_i32_u32_e32 v98, v98
	v_min_u32_e32 v100, 32, v98
	s_delay_alu instid0(VALU_DEP_1) | instskip(NEXT) | instid1(VALU_DEP_1)
	v_subrev_nc_u32_e32 v98, 28, v100
	v_lshlrev_b64_e32 v[98:99], v98, v[0:1]
	v_sub_nc_u32_e32 v99, 29, v100
	s_delay_alu instid0(VALU_DEP_2)
	v_and_b32_e32 v98, 7, v98
; %bb.1220:                             ;   in Loop: Header=BB279_803 Depth=1
	s_wait_alu 0xfffe
	s_or_b32 exec_lo, exec_lo, s15
	v_lshlrev_b32_e32 v0, 8, v0
	v_lshl_add_u32 v99, v99, 10, 0x2000
	v_lshlrev_b32_e32 v98, 7, v98
	s_delay_alu instid0(VALU_DEP_3) | instskip(NEXT) | instid1(VALU_DEP_3)
	v_and_b32_e32 v0, 0x8000, v0
	v_and_b32_e32 v99, 0xfc00, v99
	s_delay_alu instid0(VALU_DEP_1)
	v_or3_b32 v98, v0, v99, v98
.LBB279_1221:                           ;   in Loop: Header=BB279_803 Depth=1
	s_wait_alu 0xfffe
	s_or_b32 exec_lo, exec_lo, s14
.LBB279_1222:                           ;   in Loop: Header=BB279_803 Depth=1
	s_wait_alu 0xfffe
	s_or_b32 exec_lo, exec_lo, s13
.LBB279_1223:                           ;   in Loop: Header=BB279_803 Depth=1
	s_wait_alu 0xfffe
	s_or_b32 exec_lo, exec_lo, s12
	s_delay_alu instid0(SALU_CYCLE_1)
	s_mov_b32 s12, exec_lo
	v_cmpx_lt_u32_e32 0xffffff, v10
	s_cbranch_execz .LBB279_1231
; %bb.1224:                             ;   in Loop: Header=BB279_803 Depth=1
	v_lshrrev_b32_e32 v0, 24, v10
	v_bfrev_b32_e32 v97, 1
	s_mov_b32 s13, exec_lo
	s_delay_alu instid0(VALU_DEP_2)
	v_cmpx_ne_u32_e32 0x80, v0
	s_cbranch_execz .LBB279_1230
; %bb.1225:                             ;   in Loop: Header=BB279_803 Depth=1
	v_and_b32_e32 v100, 0x7f, v0
	v_mov_b32_e32 v97, 0x7c010000
	s_mov_b32 s14, exec_lo
	s_delay_alu instid0(VALU_DEP_2)
	v_cmpx_ne_u32_e32 0x7f, v100
	s_cbranch_execz .LBB279_1229
; %bb.1226:                             ;   in Loop: Header=BB279_803 Depth=1
	v_and_b32_e32 v97, 7, v0
	v_lshrrev_b32_e32 v99, 3, v100
	s_mov_b32 s15, exec_lo
	v_cmpx_gt_u32_e32 8, v100
; %bb.1227:                             ;   in Loop: Header=BB279_803 Depth=1
	s_delay_alu instid0(VALU_DEP_3) | instskip(NEXT) | instid1(VALU_DEP_1)
	v_clz_i32_u32_e32 v97, v97
	v_min_u32_e32 v97, 32, v97
	s_delay_alu instid0(VALU_DEP_1) | instskip(NEXT) | instid1(VALU_DEP_1)
	v_subrev_nc_u32_e32 v99, 28, v97
	v_lshlrev_b64_e32 v[100:101], v99, v[0:1]
	v_sub_nc_u32_e32 v99, 29, v97
	s_delay_alu instid0(VALU_DEP_2)
	v_and_b32_e32 v97, 7, v100
; %bb.1228:                             ;   in Loop: Header=BB279_803 Depth=1
	s_wait_alu 0xfffe
	s_or_b32 exec_lo, exec_lo, s15
	v_lshlrev_b32_e32 v0, 8, v0
	v_lshl_add_u32 v99, v99, 10, 0x2000
	v_lshlrev_b32_e32 v97, 23, v97
	s_delay_alu instid0(VALU_DEP_2) | instskip(NEXT) | instid1(VALU_DEP_1)
	v_and_or_b32 v0, 0x8000, v0, v99
	v_lshl_or_b32 v97, v0, 16, v97
.LBB279_1229:                           ;   in Loop: Header=BB279_803 Depth=1
	s_wait_alu 0xfffe
	s_or_b32 exec_lo, exec_lo, s14
.LBB279_1230:                           ;   in Loop: Header=BB279_803 Depth=1
	s_wait_alu 0xfffe
	s_or_b32 exec_lo, exec_lo, s13
.LBB279_1231:                           ;   in Loop: Header=BB279_803 Depth=1
	s_wait_alu 0xfffe
	s_or_b32 exec_lo, exec_lo, s12
	v_dual_mov_b32 v0, v11 :: v_dual_and_b32 v101, 0xff, v11
	v_dual_mov_b32 v99, 0 :: v_dual_mov_b32 v100, 0
	s_mov_b32 s12, exec_lo
	s_delay_alu instid0(VALU_DEP_2)
	v_cmpx_ne_u16_e32 0, v101
	s_cbranch_execz .LBB279_1239
; %bb.1232:                             ;   in Loop: Header=BB279_803 Depth=1
	v_mov_b32_e32 v100, 0x8000
	s_mov_b32 s13, exec_lo
	v_cmpx_ne_u16_e32 0x80, v101
	s_cbranch_execz .LBB279_1238
; %bb.1233:                             ;   in Loop: Header=BB279_803 Depth=1
	v_and_b32_e32 v102, 0x7f, v11
	v_mov_b32_e32 v100, 0x7c01
	s_mov_b32 s14, exec_lo
	s_delay_alu instid0(VALU_DEP_2)
	v_cmpx_ne_u32_e32 0x7f, v102
	s_cbranch_execz .LBB279_1237
; %bb.1234:                             ;   in Loop: Header=BB279_803 Depth=1
	v_and_b32_e32 v100, 7, v11
	v_lshrrev_b32_e32 v101, 3, v102
	s_mov_b32 s15, exec_lo
	v_cmpx_gt_u32_e32 8, v102
; %bb.1235:                             ;   in Loop: Header=BB279_803 Depth=1
	s_delay_alu instid0(VALU_DEP_3) | instskip(NEXT) | instid1(VALU_DEP_1)
	v_clz_i32_u32_e32 v100, v100
	v_min_u32_e32 v102, 32, v100
	s_delay_alu instid0(VALU_DEP_1) | instskip(NEXT) | instid1(VALU_DEP_1)
	v_subrev_nc_u32_e32 v100, 28, v102
	v_lshlrev_b64_e32 v[100:101], v100, v[0:1]
	v_sub_nc_u32_e32 v101, 29, v102
	s_delay_alu instid0(VALU_DEP_2)
	v_and_b32_e32 v100, 7, v100
; %bb.1236:                             ;   in Loop: Header=BB279_803 Depth=1
	s_wait_alu 0xfffe
	s_or_b32 exec_lo, exec_lo, s15
	v_lshlrev_b32_e32 v102, 8, v11
	v_lshl_add_u32 v101, v101, 10, 0x2000
	v_lshlrev_b32_e32 v100, 7, v100
	s_delay_alu instid0(VALU_DEP_3) | instskip(NEXT) | instid1(VALU_DEP_3)
	v_and_b32_e32 v102, 0x8000, v102
	v_and_b32_e32 v101, 0xfc00, v101
	s_delay_alu instid0(VALU_DEP_1)
	v_or3_b32 v100, v102, v101, v100
.LBB279_1237:                           ;   in Loop: Header=BB279_803 Depth=1
	s_wait_alu 0xfffe
	s_or_b32 exec_lo, exec_lo, s14
.LBB279_1238:                           ;   in Loop: Header=BB279_803 Depth=1
	s_wait_alu 0xfffe
	s_or_b32 exec_lo, exec_lo, s13
.LBB279_1239:                           ;   in Loop: Header=BB279_803 Depth=1
	s_wait_alu 0xfffe
	s_or_b32 exec_lo, exec_lo, s12
	v_lshrrev_b16 v0, 8, v0
	v_mov_b32_e32 v101, 0
	s_mov_b32 s12, exec_lo
	s_delay_alu instid0(VALU_DEP_2)
	v_cmpx_ne_u16_e32 0, v0
	s_cbranch_execz .LBB279_1247
; %bb.1240:                             ;   in Loop: Header=BB279_803 Depth=1
	v_bfrev_b32_e32 v101, 1
	s_mov_b32 s13, exec_lo
	v_cmpx_ne_u16_e32 0x80, v0
	s_cbranch_execz .LBB279_1246
; %bb.1241:                             ;   in Loop: Header=BB279_803 Depth=1
	v_and_b32_e32 v102, 0xffff, v0
	v_mov_b32_e32 v101, 0x7c010000
	s_mov_b32 s14, exec_lo
	s_delay_alu instid0(VALU_DEP_2) | instskip(NEXT) | instid1(VALU_DEP_1)
	v_and_b32_e32 v112, 0x7f, v102
	v_cmpx_ne_u32_e32 0x7f, v112
	s_cbranch_execz .LBB279_1245
; %bb.1242:                             ;   in Loop: Header=BB279_803 Depth=1
	v_and_b32_e32 v101, 7, v102
	v_lshrrev_b32_e32 v103, 3, v112
	s_mov_b32 s15, exec_lo
	v_cmpx_gt_u32_e32 8, v112
; %bb.1243:                             ;   in Loop: Header=BB279_803 Depth=1
	s_delay_alu instid0(VALU_DEP_3) | instskip(NEXT) | instid1(VALU_DEP_1)
	v_clz_i32_u32_e32 v101, v101
	v_min_u32_e32 v101, 32, v101
	s_delay_alu instid0(VALU_DEP_1) | instskip(NEXT) | instid1(VALU_DEP_1)
	v_subrev_nc_u32_e32 v103, 28, v101
	v_lshlrev_b64_e32 v[112:113], v103, v[0:1]
	v_sub_nc_u32_e32 v103, 29, v101
	s_delay_alu instid0(VALU_DEP_2)
	v_and_b32_e32 v101, 7, v112
; %bb.1244:                             ;   in Loop: Header=BB279_803 Depth=1
	s_wait_alu 0xfffe
	s_or_b32 exec_lo, exec_lo, s15
	v_lshlrev_b32_e32 v0, 8, v102
	v_lshl_add_u32 v102, v103, 10, 0x2000
	v_lshlrev_b32_e32 v101, 23, v101
	s_delay_alu instid0(VALU_DEP_2) | instskip(NEXT) | instid1(VALU_DEP_1)
	v_and_or_b32 v0, 0x8000, v0, v102
	v_lshl_or_b32 v101, v0, 16, v101
.LBB279_1245:                           ;   in Loop: Header=BB279_803 Depth=1
	s_wait_alu 0xfffe
	s_or_b32 exec_lo, exec_lo, s14
.LBB279_1246:                           ;   in Loop: Header=BB279_803 Depth=1
	s_wait_alu 0xfffe
	s_or_b32 exec_lo, exec_lo, s13
.LBB279_1247:                           ;   in Loop: Header=BB279_803 Depth=1
	s_wait_alu 0xfffe
	s_or_b32 exec_lo, exec_lo, s12
	v_lshrrev_b32_e32 v0, 16, v11
	s_mov_b32 s12, exec_lo
	s_delay_alu instid0(VALU_DEP_1) | instskip(NEXT) | instid1(VALU_DEP_1)
	v_and_b32_e32 v102, 0xff, v0
	v_cmpx_ne_u16_e32 0, v102
	s_cbranch_execz .LBB279_1255
; %bb.1248:                             ;   in Loop: Header=BB279_803 Depth=1
	v_mov_b32_e32 v99, 0x8000
	s_mov_b32 s13, exec_lo
	v_cmpx_ne_u16_e32 0x80, v102
	s_cbranch_execz .LBB279_1254
; %bb.1249:                             ;   in Loop: Header=BB279_803 Depth=1
	v_bfe_u32 v103, v11, 16, 7
	v_mov_b32_e32 v99, 0x7c01
	s_mov_b32 s14, exec_lo
	s_delay_alu instid0(VALU_DEP_2)
	v_cmpx_ne_u32_e32 0x7f, v103
	s_cbranch_execz .LBB279_1253
; %bb.1250:                             ;   in Loop: Header=BB279_803 Depth=1
	v_and_b32_e32 v99, 7, v0
	v_lshrrev_b32_e32 v102, 3, v103
	s_mov_b32 s15, exec_lo
	v_cmpx_gt_u32_e32 8, v103
; %bb.1251:                             ;   in Loop: Header=BB279_803 Depth=1
	s_delay_alu instid0(VALU_DEP_3) | instskip(NEXT) | instid1(VALU_DEP_1)
	v_clz_i32_u32_e32 v99, v99
	v_min_u32_e32 v99, 32, v99
	s_delay_alu instid0(VALU_DEP_1) | instskip(NEXT) | instid1(VALU_DEP_1)
	v_subrev_nc_u32_e32 v102, 28, v99
	v_lshlrev_b64_e32 v[112:113], v102, v[0:1]
	v_sub_nc_u32_e32 v102, 29, v99
	s_delay_alu instid0(VALU_DEP_2)
	v_and_b32_e32 v99, 7, v112
; %bb.1252:                             ;   in Loop: Header=BB279_803 Depth=1
	s_wait_alu 0xfffe
	s_or_b32 exec_lo, exec_lo, s15
	v_lshlrev_b32_e32 v0, 8, v0
	v_lshl_add_u32 v102, v102, 10, 0x2000
	v_lshlrev_b32_e32 v99, 7, v99
	s_delay_alu instid0(VALU_DEP_3) | instskip(NEXT) | instid1(VALU_DEP_3)
	v_and_b32_e32 v0, 0x8000, v0
	v_and_b32_e32 v102, 0xfc00, v102
	s_delay_alu instid0(VALU_DEP_1)
	v_or3_b32 v99, v0, v102, v99
.LBB279_1253:                           ;   in Loop: Header=BB279_803 Depth=1
	s_wait_alu 0xfffe
	s_or_b32 exec_lo, exec_lo, s14
.LBB279_1254:                           ;   in Loop: Header=BB279_803 Depth=1
	s_wait_alu 0xfffe
	s_or_b32 exec_lo, exec_lo, s13
.LBB279_1255:                           ;   in Loop: Header=BB279_803 Depth=1
	s_wait_alu 0xfffe
	s_or_b32 exec_lo, exec_lo, s12
	v_cmp_lt_u64_e64 s0, s[8:9], v[10:11]
	v_mov_b32_e32 v10, 0
	s_and_saveexec_b32 s12, s0
	s_cbranch_execz .LBB279_1263
; %bb.1256:                             ;   in Loop: Header=BB279_803 Depth=1
	v_lshrrev_b32_e32 v0, 24, v11
	v_bfrev_b32_e32 v10, 1
	s_mov_b32 s13, exec_lo
	s_delay_alu instid0(VALU_DEP_2)
	v_cmpx_ne_u32_e32 0x80, v0
	s_cbranch_execz .LBB279_1262
; %bb.1257:                             ;   in Loop: Header=BB279_803 Depth=1
	v_and_b32_e32 v102, 0x7f, v0
	v_mov_b32_e32 v10, 0x7c010000
	s_mov_b32 s14, exec_lo
	s_delay_alu instid0(VALU_DEP_2)
	v_cmpx_ne_u32_e32 0x7f, v102
	s_cbranch_execz .LBB279_1261
; %bb.1258:                             ;   in Loop: Header=BB279_803 Depth=1
	v_and_b32_e32 v10, 7, v0
	v_lshrrev_b32_e32 v11, 3, v102
	s_mov_b32 s15, exec_lo
	v_cmpx_gt_u32_e32 8, v102
; %bb.1259:                             ;   in Loop: Header=BB279_803 Depth=1
	s_delay_alu instid0(VALU_DEP_3) | instskip(NEXT) | instid1(VALU_DEP_1)
	v_clz_i32_u32_e32 v10, v10
	v_min_u32_e32 v102, 32, v10
	s_delay_alu instid0(VALU_DEP_1) | instskip(NEXT) | instid1(VALU_DEP_1)
	v_subrev_nc_u32_e32 v10, 28, v102
	v_lshlrev_b64_e32 v[10:11], v10, v[0:1]
	v_sub_nc_u32_e32 v11, 29, v102
	s_delay_alu instid0(VALU_DEP_2)
	v_and_b32_e32 v10, 7, v10
; %bb.1260:                             ;   in Loop: Header=BB279_803 Depth=1
	s_wait_alu 0xfffe
	s_or_b32 exec_lo, exec_lo, s15
	v_lshlrev_b32_e32 v0, 8, v0
	v_lshl_add_u32 v11, v11, 10, 0x2000
	v_lshlrev_b32_e32 v10, 23, v10
	s_delay_alu instid0(VALU_DEP_2) | instskip(NEXT) | instid1(VALU_DEP_1)
	v_and_or_b32 v0, 0x8000, v0, v11
	v_lshl_or_b32 v10, v0, 16, v10
.LBB279_1261:                           ;   in Loop: Header=BB279_803 Depth=1
	s_wait_alu 0xfffe
	s_or_b32 exec_lo, exec_lo, s14
.LBB279_1262:                           ;   in Loop: Header=BB279_803 Depth=1
	s_wait_alu 0xfffe
	s_or_b32 exec_lo, exec_lo, s13
.LBB279_1263:                           ;   in Loop: Header=BB279_803 Depth=1
	s_wait_alu 0xfffe
	s_or_b32 exec_lo, exec_lo, s12
	v_or_b32_e32 v0, v97, v98
	s_wait_loadcnt_dscnt 0x0
	v_fma_mixlo_f16 v11, v86, v97, 0 op_sel:[0,1,0] op_sel_hi:[0,1,0]
	v_or_b32_e32 v97, v87, v96
	v_fma_mixlo_f16 v87, v86, v87, 0 op_sel:[0,1,0] op_sel_hi:[0,1,0]
	v_or_b32_e32 v98, v101, v100
	v_or_b32_e32 v99, v10, v99
	v_fma_mixlo_f16 v100, v86, v0, 0 op_sel_hi:[0,1,0]
	v_fma_mixlo_f16 v10, v86, v10, 0 op_sel:[0,1,0] op_sel_hi:[0,1,0]
	v_lshlrev_b32_e32 v96, 16, v87
	v_fma_mixlo_f16 v87, v86, v97, 0 op_sel_hi:[0,1,0]
	v_fma_mixlo_f16 v97, v86, v101, 0 op_sel:[0,1,0] op_sel_hi:[0,1,0]
	v_fma_mixlo_f16 v98, v86, v98, 0 op_sel_hi:[0,1,0]
	v_fma_mixlo_f16 v99, v86, v99, 0 op_sel_hi:[0,1,0]
	v_lshlrev_b32_e32 v0, 16, v11
	v_and_b32_e32 v11, 0xffff, v100
	v_and_b32_e32 v102, 0xffff, v87
	v_lshlrev_b32_e32 v86, 16, v97
	v_and_b32_e32 v98, 0xffff, v98
	v_lshlrev_b32_e32 v10, 16, v10
	v_and_b32_e32 v87, 0xffff, v99
	v_or_b32_e32 v97, v0, v11
	v_or_b32_e32 v101, v96, v102
	v_or_b32_e32 v100, v86, v98
	s_delay_alu instid0(VALU_DEP_4)
	v_or_b32_e32 v99, v10, v87
	s_and_saveexec_b32 s12, vcc_lo
	s_cbranch_execz .LBB279_1265
; %bb.1264:                             ;   in Loop: Header=BB279_803 Depth=1
	v_cmp_lt_i32_e64 s0, v23, v32
	s_wait_alu 0xf1ff
	s_delay_alu instid0(VALU_DEP_1) | instskip(SKIP_2) | instid1(VALU_DEP_1)
	v_cndmask_b32_e64 v97, 0, v102, s0
	v_cmp_lt_i32_e64 s0, v67, v32
	s_wait_alu 0xf1ff
	v_cndmask_b32_e64 v96, 0, v96, s0
	v_cmp_lt_i32_e64 s0, v66, v32
	s_delay_alu instid0(VALU_DEP_2) | instskip(SKIP_1) | instid1(VALU_DEP_2)
	v_or_b32_e32 v101, v97, v96
	s_wait_alu 0xf1ff
	v_cndmask_b32_e64 v11, 0, v11, s0
	v_cmp_lt_i32_e64 s0, v64, v32
	s_wait_alu 0xf1ff
	s_delay_alu instid0(VALU_DEP_1) | instskip(SKIP_1) | instid1(VALU_DEP_2)
	v_cndmask_b32_e64 v0, 0, v0, s0
	v_cmp_lt_i32_e64 s0, v53, v32
	v_or_b32_e32 v97, v11, v0
	s_wait_alu 0xf1ff
	s_delay_alu instid0(VALU_DEP_2) | instskip(SKIP_2) | instid1(VALU_DEP_1)
	v_cndmask_b32_e64 v98, 0, v98, s0
	v_cmp_lt_i32_e64 s0, v51, v32
	s_wait_alu 0xf1ff
	v_cndmask_b32_e64 v86, 0, v86, s0
	v_cmp_lt_i32_e64 s0, v36, v32
	s_delay_alu instid0(VALU_DEP_2) | instskip(SKIP_1) | instid1(VALU_DEP_2)
	v_or_b32_e32 v100, v98, v86
	s_wait_alu 0xf1ff
	v_cndmask_b32_e64 v87, 0, v87, s0
	v_cmp_lt_i32_e64 s0, v14, v32
	s_wait_alu 0xf1ff
	s_delay_alu instid0(VALU_DEP_1) | instskip(NEXT) | instid1(VALU_DEP_1)
	v_cndmask_b32_e64 v10, 0, v10, s0
	v_or_b32_e32 v99, v87, v10
.LBB279_1265:                           ;   in Loop: Header=BB279_803 Depth=1
	s_wait_alu 0xfffe
	s_or_b32 exec_lo, exec_lo, s12
	;;#ASMSTART
	v_pk_mul_f16 v0, v55, v101;

	;;#ASMEND
	;;#ASMSTART
	v_pk_mul_f16 v10, v52, v97;

	;;#ASMEND
	;; [unrolled: 4-line block ×4, first 2 shown]
	;;#ASMSTART
	v_pk_add_f16 v0, v0, v10;

	;;#ASMEND
	;;#ASMSTART
	v_pk_add_f16 v0, v0, v11;

	;;#ASMEND
	;;#ASMSTART
	v_pk_add_f16 v0, v0, v86;

	;;#ASMEND
	v_dual_mov_b32 v97, 0 :: v_dual_and_b32 v10, 0xffff, v0
	v_lshrrev_b32_e32 v0, 16, v0
	;;#ASMSTART
	v_cvt_f32_f16 v86, v10;
	;;#ASMEND
	;;#ASMSTART
	v_cvt_f32_f16 v87, v0;
	;;#ASMEND
	flat_load_b64 v[10:11], v[8:9] offset:1792
	flat_load_b32 v96, v[26:27]
	v_mov_b32_e32 v98, 0
	s_mov_b32 s12, exec_lo
	s_wait_loadcnt_dscnt 0x101
	v_and_b32_e32 v0, 0xff, v10
	s_delay_alu instid0(VALU_DEP_1)
	v_cmpx_ne_u16_e32 0, v0
	s_cbranch_execz .LBB279_1273
; %bb.1266:                             ;   in Loop: Header=BB279_803 Depth=1
	v_mov_b32_e32 v98, 0x8000
	s_mov_b32 s13, exec_lo
	v_cmpx_ne_u16_e32 0x80, v0
	s_cbranch_execz .LBB279_1272
; %bb.1267:                             ;   in Loop: Header=BB279_803 Depth=1
	v_and_b32_e32 v99, 0x7f, v10
	v_mov_b32_e32 v98, 0x7c01
	s_mov_b32 s14, exec_lo
	s_delay_alu instid0(VALU_DEP_2)
	v_cmpx_ne_u32_e32 0x7f, v99
	s_cbranch_execz .LBB279_1271
; %bb.1268:                             ;   in Loop: Header=BB279_803 Depth=1
	v_and_b32_e32 v0, 7, v10
	v_lshrrev_b32_e32 v98, 3, v99
	s_mov_b32 s15, exec_lo
	v_cmpx_gt_u32_e32 8, v99
; %bb.1269:                             ;   in Loop: Header=BB279_803 Depth=1
	s_delay_alu instid0(VALU_DEP_3) | instskip(NEXT) | instid1(VALU_DEP_1)
	v_clz_i32_u32_e32 v0, v0
	v_min_u32_e32 v0, 32, v0
	s_delay_alu instid0(VALU_DEP_1) | instskip(NEXT) | instid1(VALU_DEP_1)
	v_subrev_nc_u32_e32 v98, 28, v0
	v_lshlrev_b64_e32 v[99:100], v98, v[10:11]
	v_sub_nc_u32_e32 v98, 29, v0
	s_delay_alu instid0(VALU_DEP_2)
	v_and_b32_e32 v0, 7, v99
; %bb.1270:                             ;   in Loop: Header=BB279_803 Depth=1
	s_wait_alu 0xfffe
	s_or_b32 exec_lo, exec_lo, s15
	v_lshlrev_b32_e32 v99, 8, v10
	v_lshl_add_u32 v98, v98, 10, 0x2000
	v_lshlrev_b32_e32 v0, 7, v0
	s_delay_alu instid0(VALU_DEP_3) | instskip(NEXT) | instid1(VALU_DEP_3)
	v_and_b32_e32 v99, 0x8000, v99
	v_and_b32_e32 v98, 0xfc00, v98
	s_delay_alu instid0(VALU_DEP_1)
	v_or3_b32 v98, v99, v98, v0
.LBB279_1271:                           ;   in Loop: Header=BB279_803 Depth=1
	s_wait_alu 0xfffe
	s_or_b32 exec_lo, exec_lo, s14
.LBB279_1272:                           ;   in Loop: Header=BB279_803 Depth=1
	s_wait_alu 0xfffe
	s_or_b32 exec_lo, exec_lo, s13
.LBB279_1273:                           ;   in Loop: Header=BB279_803 Depth=1
	s_wait_alu 0xfffe
	s_or_b32 exec_lo, exec_lo, s12
	v_lshrrev_b16 v0, 8, v10
	s_mov_b32 s12, exec_lo
	s_delay_alu instid0(VALU_DEP_1)
	v_cmpx_ne_u16_e32 0, v0
	s_cbranch_execz .LBB279_1281
; %bb.1274:                             ;   in Loop: Header=BB279_803 Depth=1
	v_bfrev_b32_e32 v97, 1
	s_mov_b32 s13, exec_lo
	v_cmpx_ne_u16_e32 0x80, v0
	s_cbranch_execz .LBB279_1280
; %bb.1275:                             ;   in Loop: Header=BB279_803 Depth=1
	v_and_b32_e32 v99, 0xffff, v0
	v_mov_b32_e32 v97, 0x7c010000
	s_mov_b32 s14, exec_lo
	s_delay_alu instid0(VALU_DEP_2) | instskip(NEXT) | instid1(VALU_DEP_1)
	v_and_b32_e32 v101, 0x7f, v99
	v_cmpx_ne_u32_e32 0x7f, v101
	s_cbranch_execz .LBB279_1279
; %bb.1276:                             ;   in Loop: Header=BB279_803 Depth=1
	v_and_b32_e32 v97, 7, v99
	v_lshrrev_b32_e32 v100, 3, v101
	s_mov_b32 s15, exec_lo
	v_cmpx_gt_u32_e32 8, v101
; %bb.1277:                             ;   in Loop: Header=BB279_803 Depth=1
	s_delay_alu instid0(VALU_DEP_3) | instskip(NEXT) | instid1(VALU_DEP_1)
	v_clz_i32_u32_e32 v97, v97
	v_min_u32_e32 v97, 32, v97
	s_delay_alu instid0(VALU_DEP_1) | instskip(NEXT) | instid1(VALU_DEP_1)
	v_subrev_nc_u32_e32 v100, 28, v97
	v_lshlrev_b64_e32 v[101:102], v100, v[0:1]
	v_sub_nc_u32_e32 v100, 29, v97
	s_delay_alu instid0(VALU_DEP_2)
	v_and_b32_e32 v97, 7, v101
; %bb.1278:                             ;   in Loop: Header=BB279_803 Depth=1
	s_wait_alu 0xfffe
	s_or_b32 exec_lo, exec_lo, s15
	v_lshlrev_b32_e32 v0, 8, v99
	v_lshl_add_u32 v99, v100, 10, 0x2000
	v_lshlrev_b32_e32 v97, 23, v97
	s_delay_alu instid0(VALU_DEP_2) | instskip(NEXT) | instid1(VALU_DEP_1)
	v_and_or_b32 v0, 0x8000, v0, v99
	v_lshl_or_b32 v97, v0, 16, v97
.LBB279_1279:                           ;   in Loop: Header=BB279_803 Depth=1
	s_wait_alu 0xfffe
	s_or_b32 exec_lo, exec_lo, s14
.LBB279_1280:                           ;   in Loop: Header=BB279_803 Depth=1
	s_wait_alu 0xfffe
	s_or_b32 exec_lo, exec_lo, s13
.LBB279_1281:                           ;   in Loop: Header=BB279_803 Depth=1
	s_wait_alu 0xfffe
	s_or_b32 exec_lo, exec_lo, s12
	v_lshrrev_b32_e32 v0, 16, v10
	v_mov_b32_e32 v99, 0
	s_mov_b32 s12, exec_lo
	s_delay_alu instid0(VALU_DEP_2) | instskip(NEXT) | instid1(VALU_DEP_1)
	v_dual_mov_b32 v100, 0 :: v_dual_and_b32 v101, 0xff, v0
	v_cmpx_ne_u16_e32 0, v101
	s_cbranch_execz .LBB279_1289
; %bb.1282:                             ;   in Loop: Header=BB279_803 Depth=1
	v_mov_b32_e32 v100, 0x8000
	s_mov_b32 s13, exec_lo
	v_cmpx_ne_u16_e32 0x80, v101
	s_cbranch_execz .LBB279_1288
; %bb.1283:                             ;   in Loop: Header=BB279_803 Depth=1
	v_bfe_u32 v102, v10, 16, 7
	v_mov_b32_e32 v100, 0x7c01
	s_mov_b32 s14, exec_lo
	s_delay_alu instid0(VALU_DEP_2)
	v_cmpx_ne_u32_e32 0x7f, v102
	s_cbranch_execz .LBB279_1287
; %bb.1284:                             ;   in Loop: Header=BB279_803 Depth=1
	v_and_b32_e32 v100, 7, v0
	v_lshrrev_b32_e32 v101, 3, v102
	s_mov_b32 s15, exec_lo
	v_cmpx_gt_u32_e32 8, v102
; %bb.1285:                             ;   in Loop: Header=BB279_803 Depth=1
	s_delay_alu instid0(VALU_DEP_3) | instskip(NEXT) | instid1(VALU_DEP_1)
	v_clz_i32_u32_e32 v100, v100
	v_min_u32_e32 v102, 32, v100
	s_delay_alu instid0(VALU_DEP_1) | instskip(NEXT) | instid1(VALU_DEP_1)
	v_subrev_nc_u32_e32 v100, 28, v102
	v_lshlrev_b64_e32 v[100:101], v100, v[0:1]
	v_sub_nc_u32_e32 v101, 29, v102
	s_delay_alu instid0(VALU_DEP_2)
	v_and_b32_e32 v100, 7, v100
; %bb.1286:                             ;   in Loop: Header=BB279_803 Depth=1
	s_wait_alu 0xfffe
	s_or_b32 exec_lo, exec_lo, s15
	v_lshlrev_b32_e32 v0, 8, v0
	v_lshl_add_u32 v101, v101, 10, 0x2000
	v_lshlrev_b32_e32 v100, 7, v100
	s_delay_alu instid0(VALU_DEP_3) | instskip(NEXT) | instid1(VALU_DEP_3)
	v_and_b32_e32 v0, 0x8000, v0
	v_and_b32_e32 v101, 0xfc00, v101
	s_delay_alu instid0(VALU_DEP_1)
	v_or3_b32 v100, v0, v101, v100
.LBB279_1287:                           ;   in Loop: Header=BB279_803 Depth=1
	s_wait_alu 0xfffe
	s_or_b32 exec_lo, exec_lo, s14
.LBB279_1288:                           ;   in Loop: Header=BB279_803 Depth=1
	s_wait_alu 0xfffe
	s_or_b32 exec_lo, exec_lo, s13
.LBB279_1289:                           ;   in Loop: Header=BB279_803 Depth=1
	s_wait_alu 0xfffe
	s_or_b32 exec_lo, exec_lo, s12
	s_delay_alu instid0(SALU_CYCLE_1)
	s_mov_b32 s12, exec_lo
	v_cmpx_lt_u32_e32 0xffffff, v10
	s_cbranch_execz .LBB279_1297
; %bb.1290:                             ;   in Loop: Header=BB279_803 Depth=1
	v_lshrrev_b32_e32 v0, 24, v10
	v_bfrev_b32_e32 v99, 1
	s_mov_b32 s13, exec_lo
	s_delay_alu instid0(VALU_DEP_2)
	v_cmpx_ne_u32_e32 0x80, v0
	s_cbranch_execz .LBB279_1296
; %bb.1291:                             ;   in Loop: Header=BB279_803 Depth=1
	v_and_b32_e32 v102, 0x7f, v0
	v_mov_b32_e32 v99, 0x7c010000
	s_mov_b32 s14, exec_lo
	s_delay_alu instid0(VALU_DEP_2)
	v_cmpx_ne_u32_e32 0x7f, v102
	s_cbranch_execz .LBB279_1295
; %bb.1292:                             ;   in Loop: Header=BB279_803 Depth=1
	v_and_b32_e32 v99, 7, v0
	v_lshrrev_b32_e32 v101, 3, v102
	s_mov_b32 s15, exec_lo
	v_cmpx_gt_u32_e32 8, v102
; %bb.1293:                             ;   in Loop: Header=BB279_803 Depth=1
	s_delay_alu instid0(VALU_DEP_3) | instskip(NEXT) | instid1(VALU_DEP_1)
	v_clz_i32_u32_e32 v99, v99
	v_min_u32_e32 v99, 32, v99
	s_delay_alu instid0(VALU_DEP_1) | instskip(NEXT) | instid1(VALU_DEP_1)
	v_subrev_nc_u32_e32 v101, 28, v99
	v_lshlrev_b64_e32 v[102:103], v101, v[0:1]
	v_sub_nc_u32_e32 v101, 29, v99
	s_delay_alu instid0(VALU_DEP_2)
	v_and_b32_e32 v99, 7, v102
; %bb.1294:                             ;   in Loop: Header=BB279_803 Depth=1
	s_wait_alu 0xfffe
	s_or_b32 exec_lo, exec_lo, s15
	v_lshlrev_b32_e32 v0, 8, v0
	v_lshl_add_u32 v101, v101, 10, 0x2000
	v_lshlrev_b32_e32 v99, 23, v99
	s_delay_alu instid0(VALU_DEP_2) | instskip(NEXT) | instid1(VALU_DEP_1)
	v_and_or_b32 v0, 0x8000, v0, v101
	v_lshl_or_b32 v99, v0, 16, v99
.LBB279_1295:                           ;   in Loop: Header=BB279_803 Depth=1
	s_wait_alu 0xfffe
	s_or_b32 exec_lo, exec_lo, s14
.LBB279_1296:                           ;   in Loop: Header=BB279_803 Depth=1
	s_wait_alu 0xfffe
	s_or_b32 exec_lo, exec_lo, s13
.LBB279_1297:                           ;   in Loop: Header=BB279_803 Depth=1
	s_wait_alu 0xfffe
	s_or_b32 exec_lo, exec_lo, s12
	v_dual_mov_b32 v0, v11 :: v_dual_and_b32 v103, 0xff, v11
	v_dual_mov_b32 v101, 0 :: v_dual_mov_b32 v102, 0
	s_mov_b32 s12, exec_lo
	s_delay_alu instid0(VALU_DEP_2)
	v_cmpx_ne_u16_e32 0, v103
	s_cbranch_execz .LBB279_1305
; %bb.1298:                             ;   in Loop: Header=BB279_803 Depth=1
	v_mov_b32_e32 v102, 0x8000
	s_mov_b32 s13, exec_lo
	v_cmpx_ne_u16_e32 0x80, v103
	s_cbranch_execz .LBB279_1304
; %bb.1299:                             ;   in Loop: Header=BB279_803 Depth=1
	v_and_b32_e32 v112, 0x7f, v11
	v_mov_b32_e32 v102, 0x7c01
	s_mov_b32 s14, exec_lo
	s_delay_alu instid0(VALU_DEP_2)
	v_cmpx_ne_u32_e32 0x7f, v112
	s_cbranch_execz .LBB279_1303
; %bb.1300:                             ;   in Loop: Header=BB279_803 Depth=1
	v_and_b32_e32 v102, 7, v11
	v_lshrrev_b32_e32 v103, 3, v112
	s_mov_b32 s15, exec_lo
	v_cmpx_gt_u32_e32 8, v112
; %bb.1301:                             ;   in Loop: Header=BB279_803 Depth=1
	s_delay_alu instid0(VALU_DEP_3) | instskip(NEXT) | instid1(VALU_DEP_1)
	v_clz_i32_u32_e32 v102, v102
	v_min_u32_e32 v112, 32, v102
	s_delay_alu instid0(VALU_DEP_1) | instskip(NEXT) | instid1(VALU_DEP_1)
	v_subrev_nc_u32_e32 v102, 28, v112
	v_lshlrev_b64_e32 v[102:103], v102, v[0:1]
	v_sub_nc_u32_e32 v103, 29, v112
	s_delay_alu instid0(VALU_DEP_2)
	v_and_b32_e32 v102, 7, v102
; %bb.1302:                             ;   in Loop: Header=BB279_803 Depth=1
	s_wait_alu 0xfffe
	s_or_b32 exec_lo, exec_lo, s15
	v_lshlrev_b32_e32 v112, 8, v11
	v_lshl_add_u32 v103, v103, 10, 0x2000
	v_lshlrev_b32_e32 v102, 7, v102
	s_delay_alu instid0(VALU_DEP_3) | instskip(NEXT) | instid1(VALU_DEP_3)
	v_and_b32_e32 v112, 0x8000, v112
	v_and_b32_e32 v103, 0xfc00, v103
	s_delay_alu instid0(VALU_DEP_1)
	v_or3_b32 v102, v112, v103, v102
.LBB279_1303:                           ;   in Loop: Header=BB279_803 Depth=1
	s_wait_alu 0xfffe
	s_or_b32 exec_lo, exec_lo, s14
.LBB279_1304:                           ;   in Loop: Header=BB279_803 Depth=1
	s_wait_alu 0xfffe
	s_or_b32 exec_lo, exec_lo, s13
.LBB279_1305:                           ;   in Loop: Header=BB279_803 Depth=1
	s_wait_alu 0xfffe
	s_or_b32 exec_lo, exec_lo, s12
	v_lshrrev_b16 v0, 8, v0
	v_mov_b32_e32 v103, 0
	s_mov_b32 s12, exec_lo
	s_delay_alu instid0(VALU_DEP_2)
	v_cmpx_ne_u16_e32 0, v0
	s_cbranch_execz .LBB279_1313
; %bb.1306:                             ;   in Loop: Header=BB279_803 Depth=1
	v_bfrev_b32_e32 v103, 1
	s_mov_b32 s13, exec_lo
	v_cmpx_ne_u16_e32 0x80, v0
	s_cbranch_execz .LBB279_1312
; %bb.1307:                             ;   in Loop: Header=BB279_803 Depth=1
	v_and_b32_e32 v112, 0xffff, v0
	v_mov_b32_e32 v103, 0x7c010000
	s_mov_b32 s14, exec_lo
	s_delay_alu instid0(VALU_DEP_2) | instskip(NEXT) | instid1(VALU_DEP_1)
	v_and_b32_e32 v114, 0x7f, v112
	v_cmpx_ne_u32_e32 0x7f, v114
	s_cbranch_execz .LBB279_1311
; %bb.1308:                             ;   in Loop: Header=BB279_803 Depth=1
	v_and_b32_e32 v103, 7, v112
	v_lshrrev_b32_e32 v113, 3, v114
	s_mov_b32 s15, exec_lo
	v_cmpx_gt_u32_e32 8, v114
; %bb.1309:                             ;   in Loop: Header=BB279_803 Depth=1
	s_delay_alu instid0(VALU_DEP_3) | instskip(NEXT) | instid1(VALU_DEP_1)
	v_clz_i32_u32_e32 v103, v103
	v_min_u32_e32 v103, 32, v103
	s_delay_alu instid0(VALU_DEP_1) | instskip(NEXT) | instid1(VALU_DEP_1)
	v_subrev_nc_u32_e32 v113, 28, v103
	v_lshlrev_b64_e32 v[114:115], v113, v[0:1]
	v_sub_nc_u32_e32 v113, 29, v103
	s_delay_alu instid0(VALU_DEP_2)
	v_and_b32_e32 v103, 7, v114
; %bb.1310:                             ;   in Loop: Header=BB279_803 Depth=1
	s_wait_alu 0xfffe
	s_or_b32 exec_lo, exec_lo, s15
	v_lshlrev_b32_e32 v0, 8, v112
	v_lshl_add_u32 v112, v113, 10, 0x2000
	v_lshlrev_b32_e32 v103, 23, v103
	s_delay_alu instid0(VALU_DEP_2) | instskip(NEXT) | instid1(VALU_DEP_1)
	v_and_or_b32 v0, 0x8000, v0, v112
	v_lshl_or_b32 v103, v0, 16, v103
.LBB279_1311:                           ;   in Loop: Header=BB279_803 Depth=1
	s_wait_alu 0xfffe
	s_or_b32 exec_lo, exec_lo, s14
.LBB279_1312:                           ;   in Loop: Header=BB279_803 Depth=1
	s_wait_alu 0xfffe
	s_or_b32 exec_lo, exec_lo, s13
.LBB279_1313:                           ;   in Loop: Header=BB279_803 Depth=1
	s_wait_alu 0xfffe
	s_or_b32 exec_lo, exec_lo, s12
	v_lshrrev_b32_e32 v0, 16, v11
	s_mov_b32 s12, exec_lo
	s_delay_alu instid0(VALU_DEP_1) | instskip(NEXT) | instid1(VALU_DEP_1)
	v_and_b32_e32 v112, 0xff, v0
	v_cmpx_ne_u16_e32 0, v112
	s_cbranch_execz .LBB279_1321
; %bb.1314:                             ;   in Loop: Header=BB279_803 Depth=1
	v_mov_b32_e32 v101, 0x8000
	s_mov_b32 s13, exec_lo
	v_cmpx_ne_u16_e32 0x80, v112
	s_cbranch_execz .LBB279_1320
; %bb.1315:                             ;   in Loop: Header=BB279_803 Depth=1
	v_bfe_u32 v113, v11, 16, 7
	v_mov_b32_e32 v101, 0x7c01
	s_mov_b32 s14, exec_lo
	s_delay_alu instid0(VALU_DEP_2)
	v_cmpx_ne_u32_e32 0x7f, v113
	s_cbranch_execz .LBB279_1319
; %bb.1316:                             ;   in Loop: Header=BB279_803 Depth=1
	v_and_b32_e32 v101, 7, v0
	v_lshrrev_b32_e32 v112, 3, v113
	s_mov_b32 s15, exec_lo
	v_cmpx_gt_u32_e32 8, v113
; %bb.1317:                             ;   in Loop: Header=BB279_803 Depth=1
	s_delay_alu instid0(VALU_DEP_3) | instskip(NEXT) | instid1(VALU_DEP_1)
	v_clz_i32_u32_e32 v101, v101
	v_min_u32_e32 v101, 32, v101
	s_delay_alu instid0(VALU_DEP_1) | instskip(NEXT) | instid1(VALU_DEP_1)
	v_subrev_nc_u32_e32 v112, 28, v101
	v_lshlrev_b64_e32 v[113:114], v112, v[0:1]
	v_sub_nc_u32_e32 v112, 29, v101
	s_delay_alu instid0(VALU_DEP_2)
	v_and_b32_e32 v101, 7, v113
; %bb.1318:                             ;   in Loop: Header=BB279_803 Depth=1
	s_wait_alu 0xfffe
	s_or_b32 exec_lo, exec_lo, s15
	v_lshlrev_b32_e32 v0, 8, v0
	v_lshl_add_u32 v112, v112, 10, 0x2000
	v_lshlrev_b32_e32 v101, 7, v101
	s_delay_alu instid0(VALU_DEP_3) | instskip(NEXT) | instid1(VALU_DEP_3)
	v_and_b32_e32 v0, 0x8000, v0
	v_and_b32_e32 v112, 0xfc00, v112
	s_delay_alu instid0(VALU_DEP_1)
	v_or3_b32 v101, v0, v112, v101
.LBB279_1319:                           ;   in Loop: Header=BB279_803 Depth=1
	s_wait_alu 0xfffe
	s_or_b32 exec_lo, exec_lo, s14
.LBB279_1320:                           ;   in Loop: Header=BB279_803 Depth=1
	s_wait_alu 0xfffe
	s_or_b32 exec_lo, exec_lo, s13
.LBB279_1321:                           ;   in Loop: Header=BB279_803 Depth=1
	s_wait_alu 0xfffe
	s_or_b32 exec_lo, exec_lo, s12
	v_cmp_lt_u64_e64 s0, s[8:9], v[10:11]
	v_mov_b32_e32 v10, 0
	s_and_saveexec_b32 s12, s0
	s_cbranch_execz .LBB279_1329
; %bb.1322:                             ;   in Loop: Header=BB279_803 Depth=1
	v_lshrrev_b32_e32 v0, 24, v11
	v_bfrev_b32_e32 v10, 1
	s_mov_b32 s13, exec_lo
	s_delay_alu instid0(VALU_DEP_2)
	v_cmpx_ne_u32_e32 0x80, v0
	s_cbranch_execz .LBB279_1328
; %bb.1323:                             ;   in Loop: Header=BB279_803 Depth=1
	v_and_b32_e32 v112, 0x7f, v0
	v_mov_b32_e32 v10, 0x7c010000
	s_mov_b32 s14, exec_lo
	s_delay_alu instid0(VALU_DEP_2)
	v_cmpx_ne_u32_e32 0x7f, v112
	s_cbranch_execz .LBB279_1327
; %bb.1324:                             ;   in Loop: Header=BB279_803 Depth=1
	v_and_b32_e32 v10, 7, v0
	v_lshrrev_b32_e32 v11, 3, v112
	s_mov_b32 s15, exec_lo
	v_cmpx_gt_u32_e32 8, v112
; %bb.1325:                             ;   in Loop: Header=BB279_803 Depth=1
	s_delay_alu instid0(VALU_DEP_3) | instskip(NEXT) | instid1(VALU_DEP_1)
	v_clz_i32_u32_e32 v10, v10
	v_min_u32_e32 v112, 32, v10
	s_delay_alu instid0(VALU_DEP_1) | instskip(NEXT) | instid1(VALU_DEP_1)
	v_subrev_nc_u32_e32 v10, 28, v112
	v_lshlrev_b64_e32 v[10:11], v10, v[0:1]
	v_sub_nc_u32_e32 v11, 29, v112
	s_delay_alu instid0(VALU_DEP_2)
	v_and_b32_e32 v10, 7, v10
; %bb.1326:                             ;   in Loop: Header=BB279_803 Depth=1
	s_wait_alu 0xfffe
	s_or_b32 exec_lo, exec_lo, s15
	v_lshlrev_b32_e32 v0, 8, v0
	v_lshl_add_u32 v11, v11, 10, 0x2000
	v_lshlrev_b32_e32 v10, 23, v10
	s_delay_alu instid0(VALU_DEP_2) | instskip(NEXT) | instid1(VALU_DEP_1)
	v_and_or_b32 v0, 0x8000, v0, v11
	v_lshl_or_b32 v10, v0, 16, v10
.LBB279_1327:                           ;   in Loop: Header=BB279_803 Depth=1
	s_wait_alu 0xfffe
	s_or_b32 exec_lo, exec_lo, s14
.LBB279_1328:                           ;   in Loop: Header=BB279_803 Depth=1
	s_wait_alu 0xfffe
	s_or_b32 exec_lo, exec_lo, s13
.LBB279_1329:                           ;   in Loop: Header=BB279_803 Depth=1
	s_wait_alu 0xfffe
	s_or_b32 exec_lo, exec_lo, s12
	v_or_b32_e32 v0, v99, v100
	s_wait_loadcnt_dscnt 0x0
	v_fma_mixlo_f16 v11, v96, v99, 0 op_sel:[0,1,0] op_sel_hi:[0,1,0]
	v_or_b32_e32 v99, v97, v98
	v_fma_mixlo_f16 v97, v96, v97, 0 op_sel:[0,1,0] op_sel_hi:[0,1,0]
	v_or_b32_e32 v100, v103, v102
	v_or_b32_e32 v101, v10, v101
	v_fma_mixlo_f16 v102, v96, v0, 0 op_sel_hi:[0,1,0]
	v_fma_mixlo_f16 v10, v96, v10, 0 op_sel:[0,1,0] op_sel_hi:[0,1,0]
	v_lshlrev_b32_e32 v98, 16, v97
	v_fma_mixlo_f16 v97, v96, v99, 0 op_sel_hi:[0,1,0]
	v_fma_mixlo_f16 v99, v96, v103, 0 op_sel:[0,1,0] op_sel_hi:[0,1,0]
	v_fma_mixlo_f16 v100, v96, v100, 0 op_sel_hi:[0,1,0]
	v_fma_mixlo_f16 v101, v96, v101, 0 op_sel_hi:[0,1,0]
	v_lshlrev_b32_e32 v0, 16, v11
	v_and_b32_e32 v11, 0xffff, v102
	v_and_b32_e32 v112, 0xffff, v97
	v_lshlrev_b32_e32 v96, 16, v99
	v_and_b32_e32 v100, 0xffff, v100
	v_lshlrev_b32_e32 v10, 16, v10
	v_and_b32_e32 v97, 0xffff, v101
	v_or_b32_e32 v99, v0, v11
	v_or_b32_e32 v103, v98, v112
	;; [unrolled: 1-line block ×3, first 2 shown]
	s_delay_alu instid0(VALU_DEP_4)
	v_or_b32_e32 v101, v10, v97
	s_and_saveexec_b32 s12, vcc_lo
	s_cbranch_execz .LBB279_1331
; %bb.1330:                             ;   in Loop: Header=BB279_803 Depth=1
	v_cmp_lt_i32_e64 s0, v23, v32
	s_wait_alu 0xf1ff
	s_delay_alu instid0(VALU_DEP_1) | instskip(SKIP_2) | instid1(VALU_DEP_1)
	v_cndmask_b32_e64 v99, 0, v112, s0
	v_cmp_lt_i32_e64 s0, v67, v32
	s_wait_alu 0xf1ff
	v_cndmask_b32_e64 v98, 0, v98, s0
	v_cmp_lt_i32_e64 s0, v66, v32
	s_delay_alu instid0(VALU_DEP_2) | instskip(SKIP_1) | instid1(VALU_DEP_2)
	v_or_b32_e32 v103, v99, v98
	s_wait_alu 0xf1ff
	v_cndmask_b32_e64 v11, 0, v11, s0
	v_cmp_lt_i32_e64 s0, v64, v32
	s_wait_alu 0xf1ff
	s_delay_alu instid0(VALU_DEP_1) | instskip(SKIP_1) | instid1(VALU_DEP_2)
	v_cndmask_b32_e64 v0, 0, v0, s0
	v_cmp_lt_i32_e64 s0, v53, v32
	v_or_b32_e32 v99, v11, v0
	s_wait_alu 0xf1ff
	s_delay_alu instid0(VALU_DEP_2) | instskip(SKIP_2) | instid1(VALU_DEP_1)
	v_cndmask_b32_e64 v100, 0, v100, s0
	v_cmp_lt_i32_e64 s0, v51, v32
	s_wait_alu 0xf1ff
	v_cndmask_b32_e64 v96, 0, v96, s0
	v_cmp_lt_i32_e64 s0, v36, v32
	s_delay_alu instid0(VALU_DEP_2) | instskip(SKIP_1) | instid1(VALU_DEP_2)
	v_or_b32_e32 v102, v100, v96
	s_wait_alu 0xf1ff
	v_cndmask_b32_e64 v97, 0, v97, s0
	v_cmp_lt_i32_e64 s0, v14, v32
	s_wait_alu 0xf1ff
	s_delay_alu instid0(VALU_DEP_1) | instskip(NEXT) | instid1(VALU_DEP_1)
	v_cndmask_b32_e64 v10, 0, v10, s0
	v_or_b32_e32 v101, v97, v10
.LBB279_1331:                           ;   in Loop: Header=BB279_803 Depth=1
	s_wait_alu 0xfffe
	s_or_b32 exec_lo, exec_lo, s12
	;;#ASMSTART
	v_pk_mul_f16 v0, v55, v103;

	;;#ASMEND
	;;#ASMSTART
	v_pk_mul_f16 v10, v52, v99;

	;;#ASMEND
	;; [unrolled: 4-line block ×4, first 2 shown]
	;;#ASMSTART
	v_pk_add_f16 v0, v0, v10;

	;;#ASMEND
	;;#ASMSTART
	v_pk_add_f16 v0, v0, v11;

	;;#ASMEND
	;; [unrolled: 4-line block ×3, first 2 shown]
	v_dual_mov_b32 v99, 0 :: v_dual_and_b32 v10, 0xffff, v0
	v_lshrrev_b32_e32 v0, 16, v0
	;;#ASMSTART
	v_cvt_f32_f16 v96, v10;
	;;#ASMEND
	;;#ASMSTART
	v_cvt_f32_f16 v97, v0;
	;;#ASMEND
	flat_load_b64 v[10:11], v[8:9] offset:2048
	flat_load_b32 v98, v[26:27]
	v_mov_b32_e32 v100, 0
	s_mov_b32 s12, exec_lo
	s_wait_loadcnt_dscnt 0x101
	v_and_b32_e32 v0, 0xff, v10
	s_delay_alu instid0(VALU_DEP_1)
	v_cmpx_ne_u16_e32 0, v0
	s_cbranch_execz .LBB279_1339
; %bb.1332:                             ;   in Loop: Header=BB279_803 Depth=1
	v_mov_b32_e32 v100, 0x8000
	s_mov_b32 s13, exec_lo
	v_cmpx_ne_u16_e32 0x80, v0
	s_cbranch_execz .LBB279_1338
; %bb.1333:                             ;   in Loop: Header=BB279_803 Depth=1
	v_and_b32_e32 v101, 0x7f, v10
	v_mov_b32_e32 v100, 0x7c01
	s_mov_b32 s14, exec_lo
	s_delay_alu instid0(VALU_DEP_2)
	v_cmpx_ne_u32_e32 0x7f, v101
	s_cbranch_execz .LBB279_1337
; %bb.1334:                             ;   in Loop: Header=BB279_803 Depth=1
	v_and_b32_e32 v0, 7, v10
	v_lshrrev_b32_e32 v100, 3, v101
	s_mov_b32 s15, exec_lo
	v_cmpx_gt_u32_e32 8, v101
; %bb.1335:                             ;   in Loop: Header=BB279_803 Depth=1
	s_delay_alu instid0(VALU_DEP_3) | instskip(NEXT) | instid1(VALU_DEP_1)
	v_clz_i32_u32_e32 v0, v0
	v_min_u32_e32 v0, 32, v0
	s_delay_alu instid0(VALU_DEP_1) | instskip(NEXT) | instid1(VALU_DEP_1)
	v_subrev_nc_u32_e32 v100, 28, v0
	v_lshlrev_b64_e32 v[101:102], v100, v[10:11]
	v_sub_nc_u32_e32 v100, 29, v0
	s_delay_alu instid0(VALU_DEP_2)
	v_and_b32_e32 v0, 7, v101
; %bb.1336:                             ;   in Loop: Header=BB279_803 Depth=1
	s_wait_alu 0xfffe
	s_or_b32 exec_lo, exec_lo, s15
	v_lshlrev_b32_e32 v101, 8, v10
	v_lshl_add_u32 v100, v100, 10, 0x2000
	v_lshlrev_b32_e32 v0, 7, v0
	s_delay_alu instid0(VALU_DEP_3) | instskip(NEXT) | instid1(VALU_DEP_3)
	v_and_b32_e32 v101, 0x8000, v101
	v_and_b32_e32 v100, 0xfc00, v100
	s_delay_alu instid0(VALU_DEP_1)
	v_or3_b32 v100, v101, v100, v0
.LBB279_1337:                           ;   in Loop: Header=BB279_803 Depth=1
	s_wait_alu 0xfffe
	s_or_b32 exec_lo, exec_lo, s14
.LBB279_1338:                           ;   in Loop: Header=BB279_803 Depth=1
	s_wait_alu 0xfffe
	s_or_b32 exec_lo, exec_lo, s13
.LBB279_1339:                           ;   in Loop: Header=BB279_803 Depth=1
	s_wait_alu 0xfffe
	s_or_b32 exec_lo, exec_lo, s12
	v_lshrrev_b16 v0, 8, v10
	s_mov_b32 s12, exec_lo
	s_delay_alu instid0(VALU_DEP_1)
	v_cmpx_ne_u16_e32 0, v0
	s_cbranch_execz .LBB279_1347
; %bb.1340:                             ;   in Loop: Header=BB279_803 Depth=1
	v_bfrev_b32_e32 v99, 1
	s_mov_b32 s13, exec_lo
	v_cmpx_ne_u16_e32 0x80, v0
	s_cbranch_execz .LBB279_1346
; %bb.1341:                             ;   in Loop: Header=BB279_803 Depth=1
	v_and_b32_e32 v101, 0xffff, v0
	v_mov_b32_e32 v99, 0x7c010000
	s_mov_b32 s14, exec_lo
	s_delay_alu instid0(VALU_DEP_2) | instskip(NEXT) | instid1(VALU_DEP_1)
	v_and_b32_e32 v103, 0x7f, v101
	v_cmpx_ne_u32_e32 0x7f, v103
	s_cbranch_execz .LBB279_1345
; %bb.1342:                             ;   in Loop: Header=BB279_803 Depth=1
	v_and_b32_e32 v99, 7, v101
	v_lshrrev_b32_e32 v102, 3, v103
	s_mov_b32 s15, exec_lo
	v_cmpx_gt_u32_e32 8, v103
; %bb.1343:                             ;   in Loop: Header=BB279_803 Depth=1
	s_delay_alu instid0(VALU_DEP_3) | instskip(NEXT) | instid1(VALU_DEP_1)
	v_clz_i32_u32_e32 v99, v99
	v_min_u32_e32 v99, 32, v99
	s_delay_alu instid0(VALU_DEP_1) | instskip(NEXT) | instid1(VALU_DEP_1)
	v_subrev_nc_u32_e32 v102, 28, v99
	v_lshlrev_b64_e32 v[112:113], v102, v[0:1]
	v_sub_nc_u32_e32 v102, 29, v99
	s_delay_alu instid0(VALU_DEP_2)
	v_and_b32_e32 v99, 7, v112
; %bb.1344:                             ;   in Loop: Header=BB279_803 Depth=1
	s_wait_alu 0xfffe
	s_or_b32 exec_lo, exec_lo, s15
	v_lshlrev_b32_e32 v0, 8, v101
	v_lshl_add_u32 v101, v102, 10, 0x2000
	v_lshlrev_b32_e32 v99, 23, v99
	s_delay_alu instid0(VALU_DEP_2) | instskip(NEXT) | instid1(VALU_DEP_1)
	v_and_or_b32 v0, 0x8000, v0, v101
	v_lshl_or_b32 v99, v0, 16, v99
.LBB279_1345:                           ;   in Loop: Header=BB279_803 Depth=1
	s_wait_alu 0xfffe
	s_or_b32 exec_lo, exec_lo, s14
.LBB279_1346:                           ;   in Loop: Header=BB279_803 Depth=1
	s_wait_alu 0xfffe
	s_or_b32 exec_lo, exec_lo, s13
.LBB279_1347:                           ;   in Loop: Header=BB279_803 Depth=1
	s_wait_alu 0xfffe
	s_or_b32 exec_lo, exec_lo, s12
	v_lshrrev_b32_e32 v0, 16, v10
	v_mov_b32_e32 v101, 0
	s_mov_b32 s12, exec_lo
	s_delay_alu instid0(VALU_DEP_2) | instskip(NEXT) | instid1(VALU_DEP_1)
	v_dual_mov_b32 v102, 0 :: v_dual_and_b32 v103, 0xff, v0
	v_cmpx_ne_u16_e32 0, v103
	s_cbranch_execz .LBB279_1355
; %bb.1348:                             ;   in Loop: Header=BB279_803 Depth=1
	v_mov_b32_e32 v102, 0x8000
	s_mov_b32 s13, exec_lo
	v_cmpx_ne_u16_e32 0x80, v103
	s_cbranch_execz .LBB279_1354
; %bb.1349:                             ;   in Loop: Header=BB279_803 Depth=1
	v_bfe_u32 v112, v10, 16, 7
	v_mov_b32_e32 v102, 0x7c01
	s_mov_b32 s14, exec_lo
	s_delay_alu instid0(VALU_DEP_2)
	v_cmpx_ne_u32_e32 0x7f, v112
	s_cbranch_execz .LBB279_1353
; %bb.1350:                             ;   in Loop: Header=BB279_803 Depth=1
	v_and_b32_e32 v102, 7, v0
	v_lshrrev_b32_e32 v103, 3, v112
	s_mov_b32 s15, exec_lo
	v_cmpx_gt_u32_e32 8, v112
; %bb.1351:                             ;   in Loop: Header=BB279_803 Depth=1
	s_delay_alu instid0(VALU_DEP_3) | instskip(NEXT) | instid1(VALU_DEP_1)
	v_clz_i32_u32_e32 v102, v102
	v_min_u32_e32 v112, 32, v102
	s_delay_alu instid0(VALU_DEP_1) | instskip(NEXT) | instid1(VALU_DEP_1)
	v_subrev_nc_u32_e32 v102, 28, v112
	v_lshlrev_b64_e32 v[102:103], v102, v[0:1]
	v_sub_nc_u32_e32 v103, 29, v112
	s_delay_alu instid0(VALU_DEP_2)
	v_and_b32_e32 v102, 7, v102
; %bb.1352:                             ;   in Loop: Header=BB279_803 Depth=1
	s_wait_alu 0xfffe
	s_or_b32 exec_lo, exec_lo, s15
	v_lshlrev_b32_e32 v0, 8, v0
	v_lshl_add_u32 v103, v103, 10, 0x2000
	v_lshlrev_b32_e32 v102, 7, v102
	s_delay_alu instid0(VALU_DEP_3) | instskip(NEXT) | instid1(VALU_DEP_3)
	v_and_b32_e32 v0, 0x8000, v0
	v_and_b32_e32 v103, 0xfc00, v103
	s_delay_alu instid0(VALU_DEP_1)
	v_or3_b32 v102, v0, v103, v102
.LBB279_1353:                           ;   in Loop: Header=BB279_803 Depth=1
	s_wait_alu 0xfffe
	s_or_b32 exec_lo, exec_lo, s14
.LBB279_1354:                           ;   in Loop: Header=BB279_803 Depth=1
	s_wait_alu 0xfffe
	s_or_b32 exec_lo, exec_lo, s13
.LBB279_1355:                           ;   in Loop: Header=BB279_803 Depth=1
	s_wait_alu 0xfffe
	s_or_b32 exec_lo, exec_lo, s12
	s_delay_alu instid0(SALU_CYCLE_1)
	s_mov_b32 s12, exec_lo
	v_cmpx_lt_u32_e32 0xffffff, v10
	s_cbranch_execz .LBB279_1363
; %bb.1356:                             ;   in Loop: Header=BB279_803 Depth=1
	v_lshrrev_b32_e32 v0, 24, v10
	v_bfrev_b32_e32 v101, 1
	s_mov_b32 s13, exec_lo
	s_delay_alu instid0(VALU_DEP_2)
	v_cmpx_ne_u32_e32 0x80, v0
	s_cbranch_execz .LBB279_1362
; %bb.1357:                             ;   in Loop: Header=BB279_803 Depth=1
	v_and_b32_e32 v112, 0x7f, v0
	v_mov_b32_e32 v101, 0x7c010000
	s_mov_b32 s14, exec_lo
	s_delay_alu instid0(VALU_DEP_2)
	v_cmpx_ne_u32_e32 0x7f, v112
	s_cbranch_execz .LBB279_1361
; %bb.1358:                             ;   in Loop: Header=BB279_803 Depth=1
	v_and_b32_e32 v101, 7, v0
	v_lshrrev_b32_e32 v103, 3, v112
	s_mov_b32 s15, exec_lo
	v_cmpx_gt_u32_e32 8, v112
; %bb.1359:                             ;   in Loop: Header=BB279_803 Depth=1
	s_delay_alu instid0(VALU_DEP_3) | instskip(NEXT) | instid1(VALU_DEP_1)
	v_clz_i32_u32_e32 v101, v101
	v_min_u32_e32 v101, 32, v101
	s_delay_alu instid0(VALU_DEP_1) | instskip(NEXT) | instid1(VALU_DEP_1)
	v_subrev_nc_u32_e32 v103, 28, v101
	v_lshlrev_b64_e32 v[112:113], v103, v[0:1]
	v_sub_nc_u32_e32 v103, 29, v101
	s_delay_alu instid0(VALU_DEP_2)
	v_and_b32_e32 v101, 7, v112
; %bb.1360:                             ;   in Loop: Header=BB279_803 Depth=1
	s_wait_alu 0xfffe
	s_or_b32 exec_lo, exec_lo, s15
	v_lshlrev_b32_e32 v0, 8, v0
	v_lshl_add_u32 v103, v103, 10, 0x2000
	v_lshlrev_b32_e32 v101, 23, v101
	s_delay_alu instid0(VALU_DEP_2) | instskip(NEXT) | instid1(VALU_DEP_1)
	v_and_or_b32 v0, 0x8000, v0, v103
	v_lshl_or_b32 v101, v0, 16, v101
.LBB279_1361:                           ;   in Loop: Header=BB279_803 Depth=1
	s_wait_alu 0xfffe
	s_or_b32 exec_lo, exec_lo, s14
.LBB279_1362:                           ;   in Loop: Header=BB279_803 Depth=1
	s_wait_alu 0xfffe
	s_or_b32 exec_lo, exec_lo, s13
.LBB279_1363:                           ;   in Loop: Header=BB279_803 Depth=1
	s_wait_alu 0xfffe
	s_or_b32 exec_lo, exec_lo, s12
	v_dual_mov_b32 v0, v11 :: v_dual_and_b32 v113, 0xff, v11
	v_dual_mov_b32 v103, 0 :: v_dual_mov_b32 v112, 0
	s_mov_b32 s12, exec_lo
	s_delay_alu instid0(VALU_DEP_2)
	v_cmpx_ne_u16_e32 0, v113
	s_cbranch_execz .LBB279_1371
; %bb.1364:                             ;   in Loop: Header=BB279_803 Depth=1
	v_mov_b32_e32 v112, 0x8000
	s_mov_b32 s13, exec_lo
	v_cmpx_ne_u16_e32 0x80, v113
	s_cbranch_execz .LBB279_1370
; %bb.1365:                             ;   in Loop: Header=BB279_803 Depth=1
	v_and_b32_e32 v114, 0x7f, v11
	v_mov_b32_e32 v112, 0x7c01
	s_mov_b32 s14, exec_lo
	s_delay_alu instid0(VALU_DEP_2)
	v_cmpx_ne_u32_e32 0x7f, v114
	s_cbranch_execz .LBB279_1369
; %bb.1366:                             ;   in Loop: Header=BB279_803 Depth=1
	v_and_b32_e32 v112, 7, v11
	v_lshrrev_b32_e32 v113, 3, v114
	s_mov_b32 s15, exec_lo
	v_cmpx_gt_u32_e32 8, v114
; %bb.1367:                             ;   in Loop: Header=BB279_803 Depth=1
	s_delay_alu instid0(VALU_DEP_3) | instskip(NEXT) | instid1(VALU_DEP_1)
	v_clz_i32_u32_e32 v112, v112
	v_min_u32_e32 v114, 32, v112
	s_delay_alu instid0(VALU_DEP_1) | instskip(NEXT) | instid1(VALU_DEP_1)
	v_subrev_nc_u32_e32 v112, 28, v114
	v_lshlrev_b64_e32 v[112:113], v112, v[0:1]
	v_sub_nc_u32_e32 v113, 29, v114
	s_delay_alu instid0(VALU_DEP_2)
	v_and_b32_e32 v112, 7, v112
; %bb.1368:                             ;   in Loop: Header=BB279_803 Depth=1
	s_wait_alu 0xfffe
	s_or_b32 exec_lo, exec_lo, s15
	v_lshlrev_b32_e32 v114, 8, v11
	v_lshl_add_u32 v113, v113, 10, 0x2000
	v_lshlrev_b32_e32 v112, 7, v112
	s_delay_alu instid0(VALU_DEP_3) | instskip(NEXT) | instid1(VALU_DEP_3)
	v_and_b32_e32 v114, 0x8000, v114
	v_and_b32_e32 v113, 0xfc00, v113
	s_delay_alu instid0(VALU_DEP_1)
	v_or3_b32 v112, v114, v113, v112
.LBB279_1369:                           ;   in Loop: Header=BB279_803 Depth=1
	s_wait_alu 0xfffe
	s_or_b32 exec_lo, exec_lo, s14
.LBB279_1370:                           ;   in Loop: Header=BB279_803 Depth=1
	s_wait_alu 0xfffe
	s_or_b32 exec_lo, exec_lo, s13
.LBB279_1371:                           ;   in Loop: Header=BB279_803 Depth=1
	s_wait_alu 0xfffe
	s_or_b32 exec_lo, exec_lo, s12
	v_lshrrev_b16 v0, 8, v0
	v_mov_b32_e32 v113, 0
	s_mov_b32 s12, exec_lo
	s_delay_alu instid0(VALU_DEP_2)
	v_cmpx_ne_u16_e32 0, v0
	s_cbranch_execz .LBB279_1379
; %bb.1372:                             ;   in Loop: Header=BB279_803 Depth=1
	v_bfrev_b32_e32 v113, 1
	s_mov_b32 s13, exec_lo
	v_cmpx_ne_u16_e32 0x80, v0
	s_cbranch_execz .LBB279_1378
; %bb.1373:                             ;   in Loop: Header=BB279_803 Depth=1
	v_and_b32_e32 v114, 0xffff, v0
	v_mov_b32_e32 v113, 0x7c010000
	s_mov_b32 s14, exec_lo
	s_delay_alu instid0(VALU_DEP_2) | instskip(NEXT) | instid1(VALU_DEP_1)
	v_and_b32_e32 v116, 0x7f, v114
	v_cmpx_ne_u32_e32 0x7f, v116
	s_cbranch_execz .LBB279_1377
; %bb.1374:                             ;   in Loop: Header=BB279_803 Depth=1
	v_and_b32_e32 v113, 7, v114
	v_lshrrev_b32_e32 v115, 3, v116
	s_mov_b32 s15, exec_lo
	v_cmpx_gt_u32_e32 8, v116
; %bb.1375:                             ;   in Loop: Header=BB279_803 Depth=1
	s_delay_alu instid0(VALU_DEP_3) | instskip(NEXT) | instid1(VALU_DEP_1)
	v_clz_i32_u32_e32 v113, v113
	v_min_u32_e32 v113, 32, v113
	s_delay_alu instid0(VALU_DEP_1) | instskip(NEXT) | instid1(VALU_DEP_1)
	v_subrev_nc_u32_e32 v115, 28, v113
	v_lshlrev_b64_e32 v[116:117], v115, v[0:1]
	v_sub_nc_u32_e32 v115, 29, v113
	s_delay_alu instid0(VALU_DEP_2)
	v_and_b32_e32 v113, 7, v116
; %bb.1376:                             ;   in Loop: Header=BB279_803 Depth=1
	s_wait_alu 0xfffe
	s_or_b32 exec_lo, exec_lo, s15
	v_lshlrev_b32_e32 v0, 8, v114
	v_lshl_add_u32 v114, v115, 10, 0x2000
	v_lshlrev_b32_e32 v113, 23, v113
	s_delay_alu instid0(VALU_DEP_2) | instskip(NEXT) | instid1(VALU_DEP_1)
	v_and_or_b32 v0, 0x8000, v0, v114
	v_lshl_or_b32 v113, v0, 16, v113
.LBB279_1377:                           ;   in Loop: Header=BB279_803 Depth=1
	s_wait_alu 0xfffe
	s_or_b32 exec_lo, exec_lo, s14
.LBB279_1378:                           ;   in Loop: Header=BB279_803 Depth=1
	s_wait_alu 0xfffe
	s_or_b32 exec_lo, exec_lo, s13
.LBB279_1379:                           ;   in Loop: Header=BB279_803 Depth=1
	s_wait_alu 0xfffe
	s_or_b32 exec_lo, exec_lo, s12
	v_lshrrev_b32_e32 v0, 16, v11
	s_mov_b32 s12, exec_lo
	s_delay_alu instid0(VALU_DEP_1) | instskip(NEXT) | instid1(VALU_DEP_1)
	v_and_b32_e32 v114, 0xff, v0
	v_cmpx_ne_u16_e32 0, v114
	s_cbranch_execz .LBB279_1387
; %bb.1380:                             ;   in Loop: Header=BB279_803 Depth=1
	v_mov_b32_e32 v103, 0x8000
	s_mov_b32 s13, exec_lo
	v_cmpx_ne_u16_e32 0x80, v114
	s_cbranch_execz .LBB279_1386
; %bb.1381:                             ;   in Loop: Header=BB279_803 Depth=1
	v_bfe_u32 v115, v11, 16, 7
	v_mov_b32_e32 v103, 0x7c01
	s_mov_b32 s14, exec_lo
	s_delay_alu instid0(VALU_DEP_2)
	v_cmpx_ne_u32_e32 0x7f, v115
	s_cbranch_execz .LBB279_1385
; %bb.1382:                             ;   in Loop: Header=BB279_803 Depth=1
	v_and_b32_e32 v103, 7, v0
	v_lshrrev_b32_e32 v114, 3, v115
	s_mov_b32 s15, exec_lo
	v_cmpx_gt_u32_e32 8, v115
; %bb.1383:                             ;   in Loop: Header=BB279_803 Depth=1
	s_delay_alu instid0(VALU_DEP_3) | instskip(NEXT) | instid1(VALU_DEP_1)
	v_clz_i32_u32_e32 v103, v103
	v_min_u32_e32 v103, 32, v103
	s_delay_alu instid0(VALU_DEP_1) | instskip(NEXT) | instid1(VALU_DEP_1)
	v_subrev_nc_u32_e32 v114, 28, v103
	v_lshlrev_b64_e32 v[115:116], v114, v[0:1]
	v_sub_nc_u32_e32 v114, 29, v103
	s_delay_alu instid0(VALU_DEP_2)
	v_and_b32_e32 v103, 7, v115
; %bb.1384:                             ;   in Loop: Header=BB279_803 Depth=1
	s_wait_alu 0xfffe
	s_or_b32 exec_lo, exec_lo, s15
	v_lshlrev_b32_e32 v0, 8, v0
	v_lshl_add_u32 v114, v114, 10, 0x2000
	v_lshlrev_b32_e32 v103, 7, v103
	s_delay_alu instid0(VALU_DEP_3) | instskip(NEXT) | instid1(VALU_DEP_3)
	v_and_b32_e32 v0, 0x8000, v0
	v_and_b32_e32 v114, 0xfc00, v114
	s_delay_alu instid0(VALU_DEP_1)
	v_or3_b32 v103, v0, v114, v103
.LBB279_1385:                           ;   in Loop: Header=BB279_803 Depth=1
	s_wait_alu 0xfffe
	s_or_b32 exec_lo, exec_lo, s14
.LBB279_1386:                           ;   in Loop: Header=BB279_803 Depth=1
	s_wait_alu 0xfffe
	s_or_b32 exec_lo, exec_lo, s13
.LBB279_1387:                           ;   in Loop: Header=BB279_803 Depth=1
	s_wait_alu 0xfffe
	s_or_b32 exec_lo, exec_lo, s12
	v_cmp_lt_u64_e64 s0, s[8:9], v[10:11]
	v_mov_b32_e32 v10, 0
	s_and_saveexec_b32 s12, s0
	s_cbranch_execz .LBB279_1395
; %bb.1388:                             ;   in Loop: Header=BB279_803 Depth=1
	v_lshrrev_b32_e32 v0, 24, v11
	v_bfrev_b32_e32 v10, 1
	s_mov_b32 s13, exec_lo
	s_delay_alu instid0(VALU_DEP_2)
	v_cmpx_ne_u32_e32 0x80, v0
	s_cbranch_execz .LBB279_1394
; %bb.1389:                             ;   in Loop: Header=BB279_803 Depth=1
	v_and_b32_e32 v114, 0x7f, v0
	v_mov_b32_e32 v10, 0x7c010000
	s_mov_b32 s14, exec_lo
	s_delay_alu instid0(VALU_DEP_2)
	v_cmpx_ne_u32_e32 0x7f, v114
	s_cbranch_execz .LBB279_1393
; %bb.1390:                             ;   in Loop: Header=BB279_803 Depth=1
	v_and_b32_e32 v10, 7, v0
	v_lshrrev_b32_e32 v11, 3, v114
	s_mov_b32 s15, exec_lo
	v_cmpx_gt_u32_e32 8, v114
; %bb.1391:                             ;   in Loop: Header=BB279_803 Depth=1
	s_delay_alu instid0(VALU_DEP_3) | instskip(NEXT) | instid1(VALU_DEP_1)
	v_clz_i32_u32_e32 v10, v10
	v_min_u32_e32 v114, 32, v10
	s_delay_alu instid0(VALU_DEP_1) | instskip(NEXT) | instid1(VALU_DEP_1)
	v_subrev_nc_u32_e32 v10, 28, v114
	v_lshlrev_b64_e32 v[10:11], v10, v[0:1]
	v_sub_nc_u32_e32 v11, 29, v114
	s_delay_alu instid0(VALU_DEP_2)
	v_and_b32_e32 v10, 7, v10
; %bb.1392:                             ;   in Loop: Header=BB279_803 Depth=1
	s_wait_alu 0xfffe
	s_or_b32 exec_lo, exec_lo, s15
	v_lshlrev_b32_e32 v0, 8, v0
	v_lshl_add_u32 v11, v11, 10, 0x2000
	v_lshlrev_b32_e32 v10, 23, v10
	s_delay_alu instid0(VALU_DEP_2) | instskip(NEXT) | instid1(VALU_DEP_1)
	v_and_or_b32 v0, 0x8000, v0, v11
	v_lshl_or_b32 v10, v0, 16, v10
.LBB279_1393:                           ;   in Loop: Header=BB279_803 Depth=1
	s_wait_alu 0xfffe
	s_or_b32 exec_lo, exec_lo, s14
.LBB279_1394:                           ;   in Loop: Header=BB279_803 Depth=1
	s_wait_alu 0xfffe
	s_or_b32 exec_lo, exec_lo, s13
.LBB279_1395:                           ;   in Loop: Header=BB279_803 Depth=1
	s_wait_alu 0xfffe
	s_or_b32 exec_lo, exec_lo, s12
	v_or_b32_e32 v0, v101, v102
	s_wait_loadcnt_dscnt 0x0
	v_fma_mixlo_f16 v11, v98, v101, 0 op_sel:[0,1,0] op_sel_hi:[0,1,0]
	v_or_b32_e32 v101, v99, v100
	v_fma_mixlo_f16 v99, v98, v99, 0 op_sel:[0,1,0] op_sel_hi:[0,1,0]
	v_or_b32_e32 v102, v113, v112
	v_or_b32_e32 v103, v10, v103
	v_fma_mixlo_f16 v112, v98, v0, 0 op_sel_hi:[0,1,0]
	v_fma_mixlo_f16 v10, v98, v10, 0 op_sel:[0,1,0] op_sel_hi:[0,1,0]
	v_lshlrev_b32_e32 v100, 16, v99
	v_fma_mixlo_f16 v99, v98, v101, 0 op_sel_hi:[0,1,0]
	v_fma_mixlo_f16 v101, v98, v113, 0 op_sel:[0,1,0] op_sel_hi:[0,1,0]
	v_fma_mixlo_f16 v102, v98, v102, 0 op_sel_hi:[0,1,0]
	v_fma_mixlo_f16 v103, v98, v103, 0 op_sel_hi:[0,1,0]
	v_lshlrev_b32_e32 v0, 16, v11
	v_and_b32_e32 v11, 0xffff, v112
	v_and_b32_e32 v114, 0xffff, v99
	v_lshlrev_b32_e32 v98, 16, v101
	v_and_b32_e32 v102, 0xffff, v102
	v_lshlrev_b32_e32 v10, 16, v10
	v_and_b32_e32 v99, 0xffff, v103
	v_or_b32_e32 v101, v0, v11
	v_or_b32_e32 v113, v100, v114
	;; [unrolled: 1-line block ×3, first 2 shown]
	s_delay_alu instid0(VALU_DEP_4)
	v_or_b32_e32 v103, v10, v99
	s_and_saveexec_b32 s12, vcc_lo
	s_cbranch_execz .LBB279_1397
; %bb.1396:                             ;   in Loop: Header=BB279_803 Depth=1
	v_cmp_lt_i32_e64 s0, v23, v32
	s_wait_alu 0xf1ff
	s_delay_alu instid0(VALU_DEP_1) | instskip(SKIP_2) | instid1(VALU_DEP_1)
	v_cndmask_b32_e64 v101, 0, v114, s0
	v_cmp_lt_i32_e64 s0, v67, v32
	s_wait_alu 0xf1ff
	v_cndmask_b32_e64 v100, 0, v100, s0
	v_cmp_lt_i32_e64 s0, v66, v32
	s_delay_alu instid0(VALU_DEP_2) | instskip(SKIP_1) | instid1(VALU_DEP_2)
	v_or_b32_e32 v113, v101, v100
	s_wait_alu 0xf1ff
	v_cndmask_b32_e64 v11, 0, v11, s0
	v_cmp_lt_i32_e64 s0, v64, v32
	s_wait_alu 0xf1ff
	s_delay_alu instid0(VALU_DEP_1) | instskip(SKIP_1) | instid1(VALU_DEP_2)
	v_cndmask_b32_e64 v0, 0, v0, s0
	v_cmp_lt_i32_e64 s0, v53, v32
	v_or_b32_e32 v101, v11, v0
	s_wait_alu 0xf1ff
	s_delay_alu instid0(VALU_DEP_2) | instskip(SKIP_2) | instid1(VALU_DEP_1)
	v_cndmask_b32_e64 v102, 0, v102, s0
	v_cmp_lt_i32_e64 s0, v51, v32
	s_wait_alu 0xf1ff
	v_cndmask_b32_e64 v98, 0, v98, s0
	v_cmp_lt_i32_e64 s0, v36, v32
	s_delay_alu instid0(VALU_DEP_2) | instskip(SKIP_1) | instid1(VALU_DEP_2)
	v_or_b32_e32 v112, v102, v98
	s_wait_alu 0xf1ff
	v_cndmask_b32_e64 v99, 0, v99, s0
	v_cmp_lt_i32_e64 s0, v14, v32
	s_wait_alu 0xf1ff
	s_delay_alu instid0(VALU_DEP_1) | instskip(NEXT) | instid1(VALU_DEP_1)
	v_cndmask_b32_e64 v10, 0, v10, s0
	v_or_b32_e32 v103, v99, v10
.LBB279_1397:                           ;   in Loop: Header=BB279_803 Depth=1
	s_wait_alu 0xfffe
	s_or_b32 exec_lo, exec_lo, s12
	;;#ASMSTART
	v_pk_mul_f16 v0, v55, v113;

	;;#ASMEND
	;;#ASMSTART
	v_pk_mul_f16 v10, v52, v101;

	;;#ASMEND
	;; [unrolled: 4-line block ×4, first 2 shown]
	;;#ASMSTART
	v_pk_add_f16 v0, v0, v10;

	;;#ASMEND
	;;#ASMSTART
	v_pk_add_f16 v0, v0, v11;

	;;#ASMEND
	;; [unrolled: 4-line block ×3, first 2 shown]
	v_dual_mov_b32 v101, 0 :: v_dual_and_b32 v10, 0xffff, v0
	v_lshrrev_b32_e32 v0, 16, v0
	;;#ASMSTART
	v_cvt_f32_f16 v98, v10;
	;;#ASMEND
	;;#ASMSTART
	v_cvt_f32_f16 v99, v0;
	;;#ASMEND
	flat_load_b64 v[10:11], v[8:9] offset:2304
	flat_load_b32 v100, v[26:27]
	v_mov_b32_e32 v102, 0
	s_mov_b32 s12, exec_lo
	s_wait_loadcnt_dscnt 0x101
	v_and_b32_e32 v0, 0xff, v10
	s_delay_alu instid0(VALU_DEP_1)
	v_cmpx_ne_u16_e32 0, v0
	s_cbranch_execz .LBB279_1405
; %bb.1398:                             ;   in Loop: Header=BB279_803 Depth=1
	v_mov_b32_e32 v102, 0x8000
	s_mov_b32 s13, exec_lo
	v_cmpx_ne_u16_e32 0x80, v0
	s_cbranch_execz .LBB279_1404
; %bb.1399:                             ;   in Loop: Header=BB279_803 Depth=1
	v_and_b32_e32 v103, 0x7f, v10
	v_mov_b32_e32 v102, 0x7c01
	s_mov_b32 s14, exec_lo
	s_delay_alu instid0(VALU_DEP_2)
	v_cmpx_ne_u32_e32 0x7f, v103
	s_cbranch_execz .LBB279_1403
; %bb.1400:                             ;   in Loop: Header=BB279_803 Depth=1
	v_and_b32_e32 v0, 7, v10
	v_lshrrev_b32_e32 v102, 3, v103
	s_mov_b32 s15, exec_lo
	v_cmpx_gt_u32_e32 8, v103
; %bb.1401:                             ;   in Loop: Header=BB279_803 Depth=1
	s_delay_alu instid0(VALU_DEP_3) | instskip(NEXT) | instid1(VALU_DEP_1)
	v_clz_i32_u32_e32 v0, v0
	v_min_u32_e32 v0, 32, v0
	s_delay_alu instid0(VALU_DEP_1) | instskip(NEXT) | instid1(VALU_DEP_1)
	v_subrev_nc_u32_e32 v102, 28, v0
	v_lshlrev_b64_e32 v[112:113], v102, v[10:11]
	v_sub_nc_u32_e32 v102, 29, v0
	s_delay_alu instid0(VALU_DEP_2)
	v_and_b32_e32 v0, 7, v112
; %bb.1402:                             ;   in Loop: Header=BB279_803 Depth=1
	s_wait_alu 0xfffe
	s_or_b32 exec_lo, exec_lo, s15
	v_lshlrev_b32_e32 v103, 8, v10
	v_lshl_add_u32 v102, v102, 10, 0x2000
	v_lshlrev_b32_e32 v0, 7, v0
	s_delay_alu instid0(VALU_DEP_3) | instskip(NEXT) | instid1(VALU_DEP_3)
	v_and_b32_e32 v103, 0x8000, v103
	v_and_b32_e32 v102, 0xfc00, v102
	s_delay_alu instid0(VALU_DEP_1)
	v_or3_b32 v102, v103, v102, v0
.LBB279_1403:                           ;   in Loop: Header=BB279_803 Depth=1
	s_wait_alu 0xfffe
	s_or_b32 exec_lo, exec_lo, s14
.LBB279_1404:                           ;   in Loop: Header=BB279_803 Depth=1
	s_wait_alu 0xfffe
	s_or_b32 exec_lo, exec_lo, s13
.LBB279_1405:                           ;   in Loop: Header=BB279_803 Depth=1
	s_wait_alu 0xfffe
	s_or_b32 exec_lo, exec_lo, s12
	v_lshrrev_b16 v0, 8, v10
	s_mov_b32 s12, exec_lo
	s_delay_alu instid0(VALU_DEP_1)
	v_cmpx_ne_u16_e32 0, v0
	s_cbranch_execz .LBB279_1413
; %bb.1406:                             ;   in Loop: Header=BB279_803 Depth=1
	v_bfrev_b32_e32 v101, 1
	s_mov_b32 s13, exec_lo
	v_cmpx_ne_u16_e32 0x80, v0
	s_cbranch_execz .LBB279_1412
; %bb.1407:                             ;   in Loop: Header=BB279_803 Depth=1
	v_and_b32_e32 v103, 0xffff, v0
	v_mov_b32_e32 v101, 0x7c010000
	s_mov_b32 s14, exec_lo
	s_delay_alu instid0(VALU_DEP_2) | instskip(NEXT) | instid1(VALU_DEP_1)
	v_and_b32_e32 v113, 0x7f, v103
	v_cmpx_ne_u32_e32 0x7f, v113
	s_cbranch_execz .LBB279_1411
; %bb.1408:                             ;   in Loop: Header=BB279_803 Depth=1
	v_and_b32_e32 v101, 7, v103
	v_lshrrev_b32_e32 v112, 3, v113
	s_mov_b32 s15, exec_lo
	v_cmpx_gt_u32_e32 8, v113
; %bb.1409:                             ;   in Loop: Header=BB279_803 Depth=1
	s_delay_alu instid0(VALU_DEP_3) | instskip(NEXT) | instid1(VALU_DEP_1)
	v_clz_i32_u32_e32 v101, v101
	v_min_u32_e32 v101, 32, v101
	s_delay_alu instid0(VALU_DEP_1) | instskip(NEXT) | instid1(VALU_DEP_1)
	v_subrev_nc_u32_e32 v112, 28, v101
	v_lshlrev_b64_e32 v[113:114], v112, v[0:1]
	v_sub_nc_u32_e32 v112, 29, v101
	s_delay_alu instid0(VALU_DEP_2)
	v_and_b32_e32 v101, 7, v113
; %bb.1410:                             ;   in Loop: Header=BB279_803 Depth=1
	s_wait_alu 0xfffe
	s_or_b32 exec_lo, exec_lo, s15
	v_lshlrev_b32_e32 v0, 8, v103
	v_lshl_add_u32 v103, v112, 10, 0x2000
	v_lshlrev_b32_e32 v101, 23, v101
	s_delay_alu instid0(VALU_DEP_2) | instskip(NEXT) | instid1(VALU_DEP_1)
	v_and_or_b32 v0, 0x8000, v0, v103
	v_lshl_or_b32 v101, v0, 16, v101
.LBB279_1411:                           ;   in Loop: Header=BB279_803 Depth=1
	s_wait_alu 0xfffe
	s_or_b32 exec_lo, exec_lo, s14
.LBB279_1412:                           ;   in Loop: Header=BB279_803 Depth=1
	s_wait_alu 0xfffe
	s_or_b32 exec_lo, exec_lo, s13
.LBB279_1413:                           ;   in Loop: Header=BB279_803 Depth=1
	s_wait_alu 0xfffe
	s_or_b32 exec_lo, exec_lo, s12
	v_lshrrev_b32_e32 v0, 16, v10
	v_mov_b32_e32 v103, 0
	s_mov_b32 s12, exec_lo
	s_delay_alu instid0(VALU_DEP_2) | instskip(NEXT) | instid1(VALU_DEP_1)
	v_dual_mov_b32 v112, 0 :: v_dual_and_b32 v113, 0xff, v0
	v_cmpx_ne_u16_e32 0, v113
	s_cbranch_execz .LBB279_1421
; %bb.1414:                             ;   in Loop: Header=BB279_803 Depth=1
	v_mov_b32_e32 v112, 0x8000
	s_mov_b32 s13, exec_lo
	v_cmpx_ne_u16_e32 0x80, v113
	s_cbranch_execz .LBB279_1420
; %bb.1415:                             ;   in Loop: Header=BB279_803 Depth=1
	v_bfe_u32 v114, v10, 16, 7
	v_mov_b32_e32 v112, 0x7c01
	s_mov_b32 s14, exec_lo
	s_delay_alu instid0(VALU_DEP_2)
	v_cmpx_ne_u32_e32 0x7f, v114
	s_cbranch_execz .LBB279_1419
; %bb.1416:                             ;   in Loop: Header=BB279_803 Depth=1
	v_and_b32_e32 v112, 7, v0
	v_lshrrev_b32_e32 v113, 3, v114
	s_mov_b32 s15, exec_lo
	v_cmpx_gt_u32_e32 8, v114
; %bb.1417:                             ;   in Loop: Header=BB279_803 Depth=1
	s_delay_alu instid0(VALU_DEP_3) | instskip(NEXT) | instid1(VALU_DEP_1)
	v_clz_i32_u32_e32 v112, v112
	v_min_u32_e32 v114, 32, v112
	s_delay_alu instid0(VALU_DEP_1) | instskip(NEXT) | instid1(VALU_DEP_1)
	v_subrev_nc_u32_e32 v112, 28, v114
	v_lshlrev_b64_e32 v[112:113], v112, v[0:1]
	v_sub_nc_u32_e32 v113, 29, v114
	s_delay_alu instid0(VALU_DEP_2)
	v_and_b32_e32 v112, 7, v112
; %bb.1418:                             ;   in Loop: Header=BB279_803 Depth=1
	s_wait_alu 0xfffe
	s_or_b32 exec_lo, exec_lo, s15
	v_lshlrev_b32_e32 v0, 8, v0
	v_lshl_add_u32 v113, v113, 10, 0x2000
	v_lshlrev_b32_e32 v112, 7, v112
	s_delay_alu instid0(VALU_DEP_3) | instskip(NEXT) | instid1(VALU_DEP_3)
	v_and_b32_e32 v0, 0x8000, v0
	v_and_b32_e32 v113, 0xfc00, v113
	s_delay_alu instid0(VALU_DEP_1)
	v_or3_b32 v112, v0, v113, v112
.LBB279_1419:                           ;   in Loop: Header=BB279_803 Depth=1
	s_wait_alu 0xfffe
	s_or_b32 exec_lo, exec_lo, s14
.LBB279_1420:                           ;   in Loop: Header=BB279_803 Depth=1
	s_wait_alu 0xfffe
	s_or_b32 exec_lo, exec_lo, s13
.LBB279_1421:                           ;   in Loop: Header=BB279_803 Depth=1
	s_wait_alu 0xfffe
	s_or_b32 exec_lo, exec_lo, s12
	s_delay_alu instid0(SALU_CYCLE_1)
	s_mov_b32 s12, exec_lo
	v_cmpx_lt_u32_e32 0xffffff, v10
	s_cbranch_execz .LBB279_1429
; %bb.1422:                             ;   in Loop: Header=BB279_803 Depth=1
	v_lshrrev_b32_e32 v0, 24, v10
	v_bfrev_b32_e32 v103, 1
	s_mov_b32 s13, exec_lo
	s_delay_alu instid0(VALU_DEP_2)
	v_cmpx_ne_u32_e32 0x80, v0
	s_cbranch_execz .LBB279_1428
; %bb.1423:                             ;   in Loop: Header=BB279_803 Depth=1
	v_and_b32_e32 v114, 0x7f, v0
	v_mov_b32_e32 v103, 0x7c010000
	s_mov_b32 s14, exec_lo
	s_delay_alu instid0(VALU_DEP_2)
	v_cmpx_ne_u32_e32 0x7f, v114
	s_cbranch_execz .LBB279_1427
; %bb.1424:                             ;   in Loop: Header=BB279_803 Depth=1
	v_and_b32_e32 v103, 7, v0
	v_lshrrev_b32_e32 v113, 3, v114
	s_mov_b32 s15, exec_lo
	v_cmpx_gt_u32_e32 8, v114
; %bb.1425:                             ;   in Loop: Header=BB279_803 Depth=1
	s_delay_alu instid0(VALU_DEP_3) | instskip(NEXT) | instid1(VALU_DEP_1)
	v_clz_i32_u32_e32 v103, v103
	v_min_u32_e32 v103, 32, v103
	s_delay_alu instid0(VALU_DEP_1) | instskip(NEXT) | instid1(VALU_DEP_1)
	v_subrev_nc_u32_e32 v113, 28, v103
	v_lshlrev_b64_e32 v[114:115], v113, v[0:1]
	v_sub_nc_u32_e32 v113, 29, v103
	s_delay_alu instid0(VALU_DEP_2)
	v_and_b32_e32 v103, 7, v114
; %bb.1426:                             ;   in Loop: Header=BB279_803 Depth=1
	s_wait_alu 0xfffe
	s_or_b32 exec_lo, exec_lo, s15
	v_lshlrev_b32_e32 v0, 8, v0
	v_lshl_add_u32 v113, v113, 10, 0x2000
	v_lshlrev_b32_e32 v103, 23, v103
	s_delay_alu instid0(VALU_DEP_2) | instskip(NEXT) | instid1(VALU_DEP_1)
	v_and_or_b32 v0, 0x8000, v0, v113
	v_lshl_or_b32 v103, v0, 16, v103
.LBB279_1427:                           ;   in Loop: Header=BB279_803 Depth=1
	s_wait_alu 0xfffe
	s_or_b32 exec_lo, exec_lo, s14
.LBB279_1428:                           ;   in Loop: Header=BB279_803 Depth=1
	s_wait_alu 0xfffe
	s_or_b32 exec_lo, exec_lo, s13
.LBB279_1429:                           ;   in Loop: Header=BB279_803 Depth=1
	s_wait_alu 0xfffe
	s_or_b32 exec_lo, exec_lo, s12
	v_dual_mov_b32 v0, v11 :: v_dual_and_b32 v115, 0xff, v11
	v_dual_mov_b32 v113, 0 :: v_dual_mov_b32 v114, 0
	s_mov_b32 s12, exec_lo
	s_delay_alu instid0(VALU_DEP_2)
	v_cmpx_ne_u16_e32 0, v115
	s_cbranch_execz .LBB279_1437
; %bb.1430:                             ;   in Loop: Header=BB279_803 Depth=1
	v_mov_b32_e32 v114, 0x8000
	s_mov_b32 s13, exec_lo
	v_cmpx_ne_u16_e32 0x80, v115
	s_cbranch_execz .LBB279_1436
; %bb.1431:                             ;   in Loop: Header=BB279_803 Depth=1
	v_and_b32_e32 v116, 0x7f, v11
	v_mov_b32_e32 v114, 0x7c01
	s_mov_b32 s14, exec_lo
	s_delay_alu instid0(VALU_DEP_2)
	v_cmpx_ne_u32_e32 0x7f, v116
	s_cbranch_execz .LBB279_1435
; %bb.1432:                             ;   in Loop: Header=BB279_803 Depth=1
	v_and_b32_e32 v114, 7, v11
	v_lshrrev_b32_e32 v115, 3, v116
	s_mov_b32 s15, exec_lo
	v_cmpx_gt_u32_e32 8, v116
; %bb.1433:                             ;   in Loop: Header=BB279_803 Depth=1
	s_delay_alu instid0(VALU_DEP_3) | instskip(NEXT) | instid1(VALU_DEP_1)
	v_clz_i32_u32_e32 v114, v114
	v_min_u32_e32 v116, 32, v114
	s_delay_alu instid0(VALU_DEP_1) | instskip(NEXT) | instid1(VALU_DEP_1)
	v_subrev_nc_u32_e32 v114, 28, v116
	v_lshlrev_b64_e32 v[114:115], v114, v[0:1]
	v_sub_nc_u32_e32 v115, 29, v116
	s_delay_alu instid0(VALU_DEP_2)
	v_and_b32_e32 v114, 7, v114
; %bb.1434:                             ;   in Loop: Header=BB279_803 Depth=1
	s_wait_alu 0xfffe
	s_or_b32 exec_lo, exec_lo, s15
	v_lshlrev_b32_e32 v116, 8, v11
	v_lshl_add_u32 v115, v115, 10, 0x2000
	v_lshlrev_b32_e32 v114, 7, v114
	s_delay_alu instid0(VALU_DEP_3) | instskip(NEXT) | instid1(VALU_DEP_3)
	v_and_b32_e32 v116, 0x8000, v116
	v_and_b32_e32 v115, 0xfc00, v115
	s_delay_alu instid0(VALU_DEP_1)
	v_or3_b32 v114, v116, v115, v114
.LBB279_1435:                           ;   in Loop: Header=BB279_803 Depth=1
	s_wait_alu 0xfffe
	s_or_b32 exec_lo, exec_lo, s14
.LBB279_1436:                           ;   in Loop: Header=BB279_803 Depth=1
	s_wait_alu 0xfffe
	s_or_b32 exec_lo, exec_lo, s13
.LBB279_1437:                           ;   in Loop: Header=BB279_803 Depth=1
	s_wait_alu 0xfffe
	s_or_b32 exec_lo, exec_lo, s12
	v_lshrrev_b16 v0, 8, v0
	v_mov_b32_e32 v115, 0
	s_mov_b32 s12, exec_lo
	s_delay_alu instid0(VALU_DEP_2)
	v_cmpx_ne_u16_e32 0, v0
	s_cbranch_execz .LBB279_1445
; %bb.1438:                             ;   in Loop: Header=BB279_803 Depth=1
	v_bfrev_b32_e32 v115, 1
	s_mov_b32 s13, exec_lo
	v_cmpx_ne_u16_e32 0x80, v0
	s_cbranch_execz .LBB279_1444
; %bb.1439:                             ;   in Loop: Header=BB279_803 Depth=1
	v_and_b32_e32 v116, 0xffff, v0
	v_mov_b32_e32 v115, 0x7c010000
	s_mov_b32 s14, exec_lo
	s_delay_alu instid0(VALU_DEP_2) | instskip(NEXT) | instid1(VALU_DEP_1)
	v_and_b32_e32 v118, 0x7f, v116
	v_cmpx_ne_u32_e32 0x7f, v118
	s_cbranch_execz .LBB279_1443
; %bb.1440:                             ;   in Loop: Header=BB279_803 Depth=1
	v_and_b32_e32 v115, 7, v116
	v_lshrrev_b32_e32 v117, 3, v118
	s_mov_b32 s15, exec_lo
	v_cmpx_gt_u32_e32 8, v118
; %bb.1441:                             ;   in Loop: Header=BB279_803 Depth=1
	s_delay_alu instid0(VALU_DEP_3) | instskip(NEXT) | instid1(VALU_DEP_1)
	v_clz_i32_u32_e32 v115, v115
	v_min_u32_e32 v115, 32, v115
	s_delay_alu instid0(VALU_DEP_1) | instskip(NEXT) | instid1(VALU_DEP_1)
	v_subrev_nc_u32_e32 v117, 28, v115
	v_lshlrev_b64_e32 v[118:119], v117, v[0:1]
	v_sub_nc_u32_e32 v117, 29, v115
	s_delay_alu instid0(VALU_DEP_2)
	v_and_b32_e32 v115, 7, v118
; %bb.1442:                             ;   in Loop: Header=BB279_803 Depth=1
	s_wait_alu 0xfffe
	s_or_b32 exec_lo, exec_lo, s15
	v_lshlrev_b32_e32 v0, 8, v116
	v_lshl_add_u32 v116, v117, 10, 0x2000
	v_lshlrev_b32_e32 v115, 23, v115
	s_delay_alu instid0(VALU_DEP_2) | instskip(NEXT) | instid1(VALU_DEP_1)
	v_and_or_b32 v0, 0x8000, v0, v116
	v_lshl_or_b32 v115, v0, 16, v115
.LBB279_1443:                           ;   in Loop: Header=BB279_803 Depth=1
	s_wait_alu 0xfffe
	s_or_b32 exec_lo, exec_lo, s14
.LBB279_1444:                           ;   in Loop: Header=BB279_803 Depth=1
	s_wait_alu 0xfffe
	s_or_b32 exec_lo, exec_lo, s13
.LBB279_1445:                           ;   in Loop: Header=BB279_803 Depth=1
	s_wait_alu 0xfffe
	s_or_b32 exec_lo, exec_lo, s12
	v_lshrrev_b32_e32 v0, 16, v11
	s_mov_b32 s12, exec_lo
	s_delay_alu instid0(VALU_DEP_1) | instskip(NEXT) | instid1(VALU_DEP_1)
	v_and_b32_e32 v116, 0xff, v0
	v_cmpx_ne_u16_e32 0, v116
	s_cbranch_execz .LBB279_1453
; %bb.1446:                             ;   in Loop: Header=BB279_803 Depth=1
	v_mov_b32_e32 v113, 0x8000
	s_mov_b32 s13, exec_lo
	v_cmpx_ne_u16_e32 0x80, v116
	s_cbranch_execz .LBB279_1452
; %bb.1447:                             ;   in Loop: Header=BB279_803 Depth=1
	v_bfe_u32 v117, v11, 16, 7
	v_mov_b32_e32 v113, 0x7c01
	s_mov_b32 s14, exec_lo
	s_delay_alu instid0(VALU_DEP_2)
	v_cmpx_ne_u32_e32 0x7f, v117
	s_cbranch_execz .LBB279_1451
; %bb.1448:                             ;   in Loop: Header=BB279_803 Depth=1
	v_and_b32_e32 v113, 7, v0
	v_lshrrev_b32_e32 v116, 3, v117
	s_mov_b32 s15, exec_lo
	v_cmpx_gt_u32_e32 8, v117
; %bb.1449:                             ;   in Loop: Header=BB279_803 Depth=1
	s_delay_alu instid0(VALU_DEP_3) | instskip(NEXT) | instid1(VALU_DEP_1)
	v_clz_i32_u32_e32 v113, v113
	v_min_u32_e32 v113, 32, v113
	s_delay_alu instid0(VALU_DEP_1) | instskip(NEXT) | instid1(VALU_DEP_1)
	v_subrev_nc_u32_e32 v116, 28, v113
	v_lshlrev_b64_e32 v[117:118], v116, v[0:1]
	v_sub_nc_u32_e32 v116, 29, v113
	s_delay_alu instid0(VALU_DEP_2)
	v_and_b32_e32 v113, 7, v117
; %bb.1450:                             ;   in Loop: Header=BB279_803 Depth=1
	s_wait_alu 0xfffe
	s_or_b32 exec_lo, exec_lo, s15
	v_lshlrev_b32_e32 v0, 8, v0
	v_lshl_add_u32 v116, v116, 10, 0x2000
	v_lshlrev_b32_e32 v113, 7, v113
	s_delay_alu instid0(VALU_DEP_3) | instskip(NEXT) | instid1(VALU_DEP_3)
	v_and_b32_e32 v0, 0x8000, v0
	v_and_b32_e32 v116, 0xfc00, v116
	s_delay_alu instid0(VALU_DEP_1)
	v_or3_b32 v113, v0, v116, v113
.LBB279_1451:                           ;   in Loop: Header=BB279_803 Depth=1
	s_wait_alu 0xfffe
	s_or_b32 exec_lo, exec_lo, s14
.LBB279_1452:                           ;   in Loop: Header=BB279_803 Depth=1
	s_wait_alu 0xfffe
	s_or_b32 exec_lo, exec_lo, s13
.LBB279_1453:                           ;   in Loop: Header=BB279_803 Depth=1
	s_wait_alu 0xfffe
	s_or_b32 exec_lo, exec_lo, s12
	v_cmp_lt_u64_e64 s0, s[8:9], v[10:11]
	v_mov_b32_e32 v10, 0
	s_and_saveexec_b32 s12, s0
	s_cbranch_execz .LBB279_1461
; %bb.1454:                             ;   in Loop: Header=BB279_803 Depth=1
	v_lshrrev_b32_e32 v0, 24, v11
	v_bfrev_b32_e32 v10, 1
	s_mov_b32 s13, exec_lo
	s_delay_alu instid0(VALU_DEP_2)
	v_cmpx_ne_u32_e32 0x80, v0
	s_cbranch_execz .LBB279_1460
; %bb.1455:                             ;   in Loop: Header=BB279_803 Depth=1
	v_and_b32_e32 v116, 0x7f, v0
	v_mov_b32_e32 v10, 0x7c010000
	s_mov_b32 s14, exec_lo
	s_delay_alu instid0(VALU_DEP_2)
	v_cmpx_ne_u32_e32 0x7f, v116
	s_cbranch_execz .LBB279_1459
; %bb.1456:                             ;   in Loop: Header=BB279_803 Depth=1
	v_and_b32_e32 v10, 7, v0
	v_lshrrev_b32_e32 v11, 3, v116
	s_mov_b32 s15, exec_lo
	v_cmpx_gt_u32_e32 8, v116
; %bb.1457:                             ;   in Loop: Header=BB279_803 Depth=1
	s_delay_alu instid0(VALU_DEP_3) | instskip(NEXT) | instid1(VALU_DEP_1)
	v_clz_i32_u32_e32 v10, v10
	v_min_u32_e32 v116, 32, v10
	s_delay_alu instid0(VALU_DEP_1) | instskip(NEXT) | instid1(VALU_DEP_1)
	v_subrev_nc_u32_e32 v10, 28, v116
	v_lshlrev_b64_e32 v[10:11], v10, v[0:1]
	v_sub_nc_u32_e32 v11, 29, v116
	s_delay_alu instid0(VALU_DEP_2)
	v_and_b32_e32 v10, 7, v10
; %bb.1458:                             ;   in Loop: Header=BB279_803 Depth=1
	s_wait_alu 0xfffe
	s_or_b32 exec_lo, exec_lo, s15
	v_lshlrev_b32_e32 v0, 8, v0
	v_lshl_add_u32 v11, v11, 10, 0x2000
	v_lshlrev_b32_e32 v10, 23, v10
	s_delay_alu instid0(VALU_DEP_2) | instskip(NEXT) | instid1(VALU_DEP_1)
	v_and_or_b32 v0, 0x8000, v0, v11
	v_lshl_or_b32 v10, v0, 16, v10
.LBB279_1459:                           ;   in Loop: Header=BB279_803 Depth=1
	s_wait_alu 0xfffe
	s_or_b32 exec_lo, exec_lo, s14
.LBB279_1460:                           ;   in Loop: Header=BB279_803 Depth=1
	s_wait_alu 0xfffe
	s_or_b32 exec_lo, exec_lo, s13
.LBB279_1461:                           ;   in Loop: Header=BB279_803 Depth=1
	s_wait_alu 0xfffe
	s_or_b32 exec_lo, exec_lo, s12
	v_or_b32_e32 v0, v103, v112
	s_wait_loadcnt_dscnt 0x0
	v_fma_mixlo_f16 v11, v100, v103, 0 op_sel:[0,1,0] op_sel_hi:[0,1,0]
	v_or_b32_e32 v103, v101, v102
	v_fma_mixlo_f16 v101, v100, v101, 0 op_sel:[0,1,0] op_sel_hi:[0,1,0]
	v_or_b32_e32 v112, v115, v114
	v_or_b32_e32 v113, v10, v113
	v_fma_mixlo_f16 v114, v100, v0, 0 op_sel_hi:[0,1,0]
	v_fma_mixlo_f16 v10, v100, v10, 0 op_sel:[0,1,0] op_sel_hi:[0,1,0]
	v_lshlrev_b32_e32 v102, 16, v101
	v_fma_mixlo_f16 v101, v100, v103, 0 op_sel_hi:[0,1,0]
	v_fma_mixlo_f16 v103, v100, v115, 0 op_sel:[0,1,0] op_sel_hi:[0,1,0]
	v_fma_mixlo_f16 v112, v100, v112, 0 op_sel_hi:[0,1,0]
	v_fma_mixlo_f16 v113, v100, v113, 0 op_sel_hi:[0,1,0]
	v_lshlrev_b32_e32 v0, 16, v11
	v_and_b32_e32 v11, 0xffff, v114
	v_and_b32_e32 v116, 0xffff, v101
	v_lshlrev_b32_e32 v100, 16, v103
	v_and_b32_e32 v112, 0xffff, v112
	v_lshlrev_b32_e32 v10, 16, v10
	v_and_b32_e32 v101, 0xffff, v113
	v_or_b32_e32 v103, v0, v11
	v_or_b32_e32 v115, v102, v116
	;; [unrolled: 1-line block ×3, first 2 shown]
	s_delay_alu instid0(VALU_DEP_4)
	v_or_b32_e32 v113, v10, v101
	s_and_saveexec_b32 s12, vcc_lo
	s_cbranch_execz .LBB279_1463
; %bb.1462:                             ;   in Loop: Header=BB279_803 Depth=1
	v_cmp_lt_i32_e64 s0, v23, v32
	s_wait_alu 0xf1ff
	s_delay_alu instid0(VALU_DEP_1) | instskip(SKIP_2) | instid1(VALU_DEP_1)
	v_cndmask_b32_e64 v103, 0, v116, s0
	v_cmp_lt_i32_e64 s0, v67, v32
	s_wait_alu 0xf1ff
	v_cndmask_b32_e64 v102, 0, v102, s0
	v_cmp_lt_i32_e64 s0, v66, v32
	s_delay_alu instid0(VALU_DEP_2) | instskip(SKIP_1) | instid1(VALU_DEP_2)
	v_or_b32_e32 v115, v103, v102
	s_wait_alu 0xf1ff
	v_cndmask_b32_e64 v11, 0, v11, s0
	v_cmp_lt_i32_e64 s0, v64, v32
	s_wait_alu 0xf1ff
	s_delay_alu instid0(VALU_DEP_1) | instskip(SKIP_1) | instid1(VALU_DEP_2)
	v_cndmask_b32_e64 v0, 0, v0, s0
	v_cmp_lt_i32_e64 s0, v53, v32
	v_or_b32_e32 v103, v11, v0
	s_wait_alu 0xf1ff
	s_delay_alu instid0(VALU_DEP_2) | instskip(SKIP_2) | instid1(VALU_DEP_1)
	v_cndmask_b32_e64 v112, 0, v112, s0
	v_cmp_lt_i32_e64 s0, v51, v32
	s_wait_alu 0xf1ff
	v_cndmask_b32_e64 v100, 0, v100, s0
	v_cmp_lt_i32_e64 s0, v36, v32
	s_delay_alu instid0(VALU_DEP_2) | instskip(SKIP_1) | instid1(VALU_DEP_2)
	v_or_b32_e32 v114, v112, v100
	s_wait_alu 0xf1ff
	v_cndmask_b32_e64 v101, 0, v101, s0
	v_cmp_lt_i32_e64 s0, v14, v32
	s_wait_alu 0xf1ff
	s_delay_alu instid0(VALU_DEP_1) | instskip(NEXT) | instid1(VALU_DEP_1)
	v_cndmask_b32_e64 v10, 0, v10, s0
	v_or_b32_e32 v113, v101, v10
.LBB279_1463:                           ;   in Loop: Header=BB279_803 Depth=1
	s_wait_alu 0xfffe
	s_or_b32 exec_lo, exec_lo, s12
	;;#ASMSTART
	v_pk_mul_f16 v0, v55, v115;

	;;#ASMEND
	;;#ASMSTART
	v_pk_mul_f16 v10, v52, v103;

	;;#ASMEND
	;; [unrolled: 4-line block ×4, first 2 shown]
	;;#ASMSTART
	v_pk_add_f16 v0, v0, v10;

	;;#ASMEND
	;;#ASMSTART
	v_pk_add_f16 v0, v0, v11;

	;;#ASMEND
	;; [unrolled: 4-line block ×3, first 2 shown]
	v_dual_mov_b32 v103, 0 :: v_dual_and_b32 v10, 0xffff, v0
	v_lshrrev_b32_e32 v0, 16, v0
	;;#ASMSTART
	v_cvt_f32_f16 v100, v10;
	;;#ASMEND
	;;#ASMSTART
	v_cvt_f32_f16 v101, v0;
	;;#ASMEND
	flat_load_b64 v[10:11], v[8:9] offset:2560
	flat_load_b32 v102, v[26:27]
	v_mov_b32_e32 v112, 0
	s_mov_b32 s12, exec_lo
	s_wait_loadcnt_dscnt 0x101
	v_and_b32_e32 v0, 0xff, v10
	s_delay_alu instid0(VALU_DEP_1)
	v_cmpx_ne_u16_e32 0, v0
	s_cbranch_execz .LBB279_1471
; %bb.1464:                             ;   in Loop: Header=BB279_803 Depth=1
	v_mov_b32_e32 v112, 0x8000
	s_mov_b32 s13, exec_lo
	v_cmpx_ne_u16_e32 0x80, v0
	s_cbranch_execz .LBB279_1470
; %bb.1465:                             ;   in Loop: Header=BB279_803 Depth=1
	v_and_b32_e32 v113, 0x7f, v10
	v_mov_b32_e32 v112, 0x7c01
	s_mov_b32 s14, exec_lo
	s_delay_alu instid0(VALU_DEP_2)
	v_cmpx_ne_u32_e32 0x7f, v113
	s_cbranch_execz .LBB279_1469
; %bb.1466:                             ;   in Loop: Header=BB279_803 Depth=1
	v_and_b32_e32 v0, 7, v10
	v_lshrrev_b32_e32 v112, 3, v113
	s_mov_b32 s15, exec_lo
	v_cmpx_gt_u32_e32 8, v113
; %bb.1467:                             ;   in Loop: Header=BB279_803 Depth=1
	s_delay_alu instid0(VALU_DEP_3) | instskip(NEXT) | instid1(VALU_DEP_1)
	v_clz_i32_u32_e32 v0, v0
	v_min_u32_e32 v0, 32, v0
	s_delay_alu instid0(VALU_DEP_1) | instskip(NEXT) | instid1(VALU_DEP_1)
	v_subrev_nc_u32_e32 v112, 28, v0
	v_lshlrev_b64_e32 v[113:114], v112, v[10:11]
	v_sub_nc_u32_e32 v112, 29, v0
	s_delay_alu instid0(VALU_DEP_2)
	v_and_b32_e32 v0, 7, v113
; %bb.1468:                             ;   in Loop: Header=BB279_803 Depth=1
	s_wait_alu 0xfffe
	s_or_b32 exec_lo, exec_lo, s15
	v_lshlrev_b32_e32 v113, 8, v10
	v_lshl_add_u32 v112, v112, 10, 0x2000
	v_lshlrev_b32_e32 v0, 7, v0
	s_delay_alu instid0(VALU_DEP_3) | instskip(NEXT) | instid1(VALU_DEP_3)
	v_and_b32_e32 v113, 0x8000, v113
	v_and_b32_e32 v112, 0xfc00, v112
	s_delay_alu instid0(VALU_DEP_1)
	v_or3_b32 v112, v113, v112, v0
.LBB279_1469:                           ;   in Loop: Header=BB279_803 Depth=1
	s_wait_alu 0xfffe
	s_or_b32 exec_lo, exec_lo, s14
.LBB279_1470:                           ;   in Loop: Header=BB279_803 Depth=1
	s_wait_alu 0xfffe
	s_or_b32 exec_lo, exec_lo, s13
.LBB279_1471:                           ;   in Loop: Header=BB279_803 Depth=1
	s_wait_alu 0xfffe
	s_or_b32 exec_lo, exec_lo, s12
	v_lshrrev_b16 v0, 8, v10
	s_mov_b32 s12, exec_lo
	s_delay_alu instid0(VALU_DEP_1)
	v_cmpx_ne_u16_e32 0, v0
	s_cbranch_execz .LBB279_1479
; %bb.1472:                             ;   in Loop: Header=BB279_803 Depth=1
	v_bfrev_b32_e32 v103, 1
	s_mov_b32 s13, exec_lo
	v_cmpx_ne_u16_e32 0x80, v0
	s_cbranch_execz .LBB279_1478
; %bb.1473:                             ;   in Loop: Header=BB279_803 Depth=1
	v_and_b32_e32 v113, 0xffff, v0
	v_mov_b32_e32 v103, 0x7c010000
	s_mov_b32 s14, exec_lo
	s_delay_alu instid0(VALU_DEP_2) | instskip(NEXT) | instid1(VALU_DEP_1)
	v_and_b32_e32 v115, 0x7f, v113
	v_cmpx_ne_u32_e32 0x7f, v115
	s_cbranch_execz .LBB279_1477
; %bb.1474:                             ;   in Loop: Header=BB279_803 Depth=1
	v_and_b32_e32 v103, 7, v113
	v_lshrrev_b32_e32 v114, 3, v115
	s_mov_b32 s15, exec_lo
	v_cmpx_gt_u32_e32 8, v115
; %bb.1475:                             ;   in Loop: Header=BB279_803 Depth=1
	s_delay_alu instid0(VALU_DEP_3) | instskip(NEXT) | instid1(VALU_DEP_1)
	v_clz_i32_u32_e32 v103, v103
	v_min_u32_e32 v103, 32, v103
	s_delay_alu instid0(VALU_DEP_1) | instskip(NEXT) | instid1(VALU_DEP_1)
	v_subrev_nc_u32_e32 v114, 28, v103
	v_lshlrev_b64_e32 v[115:116], v114, v[0:1]
	v_sub_nc_u32_e32 v114, 29, v103
	s_delay_alu instid0(VALU_DEP_2)
	v_and_b32_e32 v103, 7, v115
; %bb.1476:                             ;   in Loop: Header=BB279_803 Depth=1
	s_wait_alu 0xfffe
	s_or_b32 exec_lo, exec_lo, s15
	v_lshlrev_b32_e32 v0, 8, v113
	v_lshl_add_u32 v113, v114, 10, 0x2000
	v_lshlrev_b32_e32 v103, 23, v103
	s_delay_alu instid0(VALU_DEP_2) | instskip(NEXT) | instid1(VALU_DEP_1)
	v_and_or_b32 v0, 0x8000, v0, v113
	v_lshl_or_b32 v103, v0, 16, v103
.LBB279_1477:                           ;   in Loop: Header=BB279_803 Depth=1
	s_wait_alu 0xfffe
	s_or_b32 exec_lo, exec_lo, s14
.LBB279_1478:                           ;   in Loop: Header=BB279_803 Depth=1
	s_wait_alu 0xfffe
	s_or_b32 exec_lo, exec_lo, s13
.LBB279_1479:                           ;   in Loop: Header=BB279_803 Depth=1
	s_wait_alu 0xfffe
	s_or_b32 exec_lo, exec_lo, s12
	v_lshrrev_b32_e32 v0, 16, v10
	v_mov_b32_e32 v113, 0
	s_mov_b32 s12, exec_lo
	s_delay_alu instid0(VALU_DEP_2) | instskip(NEXT) | instid1(VALU_DEP_1)
	v_dual_mov_b32 v114, 0 :: v_dual_and_b32 v115, 0xff, v0
	v_cmpx_ne_u16_e32 0, v115
	s_cbranch_execz .LBB279_1487
; %bb.1480:                             ;   in Loop: Header=BB279_803 Depth=1
	v_mov_b32_e32 v114, 0x8000
	s_mov_b32 s13, exec_lo
	v_cmpx_ne_u16_e32 0x80, v115
	s_cbranch_execz .LBB279_1486
; %bb.1481:                             ;   in Loop: Header=BB279_803 Depth=1
	v_bfe_u32 v116, v10, 16, 7
	v_mov_b32_e32 v114, 0x7c01
	s_mov_b32 s14, exec_lo
	s_delay_alu instid0(VALU_DEP_2)
	v_cmpx_ne_u32_e32 0x7f, v116
	s_cbranch_execz .LBB279_1485
; %bb.1482:                             ;   in Loop: Header=BB279_803 Depth=1
	v_and_b32_e32 v114, 7, v0
	v_lshrrev_b32_e32 v115, 3, v116
	s_mov_b32 s15, exec_lo
	v_cmpx_gt_u32_e32 8, v116
; %bb.1483:                             ;   in Loop: Header=BB279_803 Depth=1
	s_delay_alu instid0(VALU_DEP_3) | instskip(NEXT) | instid1(VALU_DEP_1)
	v_clz_i32_u32_e32 v114, v114
	v_min_u32_e32 v116, 32, v114
	s_delay_alu instid0(VALU_DEP_1) | instskip(NEXT) | instid1(VALU_DEP_1)
	v_subrev_nc_u32_e32 v114, 28, v116
	v_lshlrev_b64_e32 v[114:115], v114, v[0:1]
	v_sub_nc_u32_e32 v115, 29, v116
	s_delay_alu instid0(VALU_DEP_2)
	v_and_b32_e32 v114, 7, v114
; %bb.1484:                             ;   in Loop: Header=BB279_803 Depth=1
	s_wait_alu 0xfffe
	s_or_b32 exec_lo, exec_lo, s15
	v_lshlrev_b32_e32 v0, 8, v0
	v_lshl_add_u32 v115, v115, 10, 0x2000
	v_lshlrev_b32_e32 v114, 7, v114
	s_delay_alu instid0(VALU_DEP_3) | instskip(NEXT) | instid1(VALU_DEP_3)
	v_and_b32_e32 v0, 0x8000, v0
	v_and_b32_e32 v115, 0xfc00, v115
	s_delay_alu instid0(VALU_DEP_1)
	v_or3_b32 v114, v0, v115, v114
.LBB279_1485:                           ;   in Loop: Header=BB279_803 Depth=1
	s_wait_alu 0xfffe
	s_or_b32 exec_lo, exec_lo, s14
.LBB279_1486:                           ;   in Loop: Header=BB279_803 Depth=1
	s_wait_alu 0xfffe
	s_or_b32 exec_lo, exec_lo, s13
.LBB279_1487:                           ;   in Loop: Header=BB279_803 Depth=1
	s_wait_alu 0xfffe
	s_or_b32 exec_lo, exec_lo, s12
	s_delay_alu instid0(SALU_CYCLE_1)
	s_mov_b32 s12, exec_lo
	v_cmpx_lt_u32_e32 0xffffff, v10
	s_cbranch_execz .LBB279_1495
; %bb.1488:                             ;   in Loop: Header=BB279_803 Depth=1
	v_lshrrev_b32_e32 v0, 24, v10
	v_bfrev_b32_e32 v113, 1
	s_mov_b32 s13, exec_lo
	s_delay_alu instid0(VALU_DEP_2)
	v_cmpx_ne_u32_e32 0x80, v0
	s_cbranch_execz .LBB279_1494
; %bb.1489:                             ;   in Loop: Header=BB279_803 Depth=1
	v_and_b32_e32 v116, 0x7f, v0
	v_mov_b32_e32 v113, 0x7c010000
	s_mov_b32 s14, exec_lo
	s_delay_alu instid0(VALU_DEP_2)
	v_cmpx_ne_u32_e32 0x7f, v116
	s_cbranch_execz .LBB279_1493
; %bb.1490:                             ;   in Loop: Header=BB279_803 Depth=1
	v_and_b32_e32 v113, 7, v0
	v_lshrrev_b32_e32 v115, 3, v116
	s_mov_b32 s15, exec_lo
	v_cmpx_gt_u32_e32 8, v116
; %bb.1491:                             ;   in Loop: Header=BB279_803 Depth=1
	s_delay_alu instid0(VALU_DEP_3) | instskip(NEXT) | instid1(VALU_DEP_1)
	v_clz_i32_u32_e32 v113, v113
	v_min_u32_e32 v113, 32, v113
	s_delay_alu instid0(VALU_DEP_1) | instskip(NEXT) | instid1(VALU_DEP_1)
	v_subrev_nc_u32_e32 v115, 28, v113
	v_lshlrev_b64_e32 v[116:117], v115, v[0:1]
	v_sub_nc_u32_e32 v115, 29, v113
	s_delay_alu instid0(VALU_DEP_2)
	v_and_b32_e32 v113, 7, v116
; %bb.1492:                             ;   in Loop: Header=BB279_803 Depth=1
	s_wait_alu 0xfffe
	s_or_b32 exec_lo, exec_lo, s15
	v_lshlrev_b32_e32 v0, 8, v0
	v_lshl_add_u32 v115, v115, 10, 0x2000
	v_lshlrev_b32_e32 v113, 23, v113
	s_delay_alu instid0(VALU_DEP_2) | instskip(NEXT) | instid1(VALU_DEP_1)
	v_and_or_b32 v0, 0x8000, v0, v115
	v_lshl_or_b32 v113, v0, 16, v113
.LBB279_1493:                           ;   in Loop: Header=BB279_803 Depth=1
	s_wait_alu 0xfffe
	s_or_b32 exec_lo, exec_lo, s14
.LBB279_1494:                           ;   in Loop: Header=BB279_803 Depth=1
	s_wait_alu 0xfffe
	s_or_b32 exec_lo, exec_lo, s13
.LBB279_1495:                           ;   in Loop: Header=BB279_803 Depth=1
	s_wait_alu 0xfffe
	s_or_b32 exec_lo, exec_lo, s12
	v_dual_mov_b32 v0, v11 :: v_dual_and_b32 v117, 0xff, v11
	v_dual_mov_b32 v115, 0 :: v_dual_mov_b32 v116, 0
	s_mov_b32 s12, exec_lo
	s_delay_alu instid0(VALU_DEP_2)
	v_cmpx_ne_u16_e32 0, v117
	s_cbranch_execz .LBB279_1503
; %bb.1496:                             ;   in Loop: Header=BB279_803 Depth=1
	v_mov_b32_e32 v116, 0x8000
	s_mov_b32 s13, exec_lo
	v_cmpx_ne_u16_e32 0x80, v117
	s_cbranch_execz .LBB279_1502
; %bb.1497:                             ;   in Loop: Header=BB279_803 Depth=1
	v_and_b32_e32 v118, 0x7f, v11
	v_mov_b32_e32 v116, 0x7c01
	s_mov_b32 s14, exec_lo
	s_delay_alu instid0(VALU_DEP_2)
	v_cmpx_ne_u32_e32 0x7f, v118
	s_cbranch_execz .LBB279_1501
; %bb.1498:                             ;   in Loop: Header=BB279_803 Depth=1
	v_and_b32_e32 v116, 7, v11
	v_lshrrev_b32_e32 v117, 3, v118
	s_mov_b32 s15, exec_lo
	v_cmpx_gt_u32_e32 8, v118
; %bb.1499:                             ;   in Loop: Header=BB279_803 Depth=1
	s_delay_alu instid0(VALU_DEP_3) | instskip(NEXT) | instid1(VALU_DEP_1)
	v_clz_i32_u32_e32 v116, v116
	v_min_u32_e32 v118, 32, v116
	s_delay_alu instid0(VALU_DEP_1) | instskip(NEXT) | instid1(VALU_DEP_1)
	v_subrev_nc_u32_e32 v116, 28, v118
	v_lshlrev_b64_e32 v[116:117], v116, v[0:1]
	v_sub_nc_u32_e32 v117, 29, v118
	s_delay_alu instid0(VALU_DEP_2)
	v_and_b32_e32 v116, 7, v116
; %bb.1500:                             ;   in Loop: Header=BB279_803 Depth=1
	s_wait_alu 0xfffe
	s_or_b32 exec_lo, exec_lo, s15
	v_lshlrev_b32_e32 v118, 8, v11
	v_lshl_add_u32 v117, v117, 10, 0x2000
	v_lshlrev_b32_e32 v116, 7, v116
	s_delay_alu instid0(VALU_DEP_3) | instskip(NEXT) | instid1(VALU_DEP_3)
	v_and_b32_e32 v118, 0x8000, v118
	v_and_b32_e32 v117, 0xfc00, v117
	s_delay_alu instid0(VALU_DEP_1)
	v_or3_b32 v116, v118, v117, v116
.LBB279_1501:                           ;   in Loop: Header=BB279_803 Depth=1
	s_wait_alu 0xfffe
	s_or_b32 exec_lo, exec_lo, s14
.LBB279_1502:                           ;   in Loop: Header=BB279_803 Depth=1
	s_wait_alu 0xfffe
	s_or_b32 exec_lo, exec_lo, s13
.LBB279_1503:                           ;   in Loop: Header=BB279_803 Depth=1
	s_wait_alu 0xfffe
	s_or_b32 exec_lo, exec_lo, s12
	v_lshrrev_b16 v0, 8, v0
	v_mov_b32_e32 v117, 0
	s_mov_b32 s12, exec_lo
	s_delay_alu instid0(VALU_DEP_2)
	v_cmpx_ne_u16_e32 0, v0
	s_cbranch_execz .LBB279_1511
; %bb.1504:                             ;   in Loop: Header=BB279_803 Depth=1
	v_bfrev_b32_e32 v117, 1
	s_mov_b32 s13, exec_lo
	v_cmpx_ne_u16_e32 0x80, v0
	s_cbranch_execz .LBB279_1510
; %bb.1505:                             ;   in Loop: Header=BB279_803 Depth=1
	v_and_b32_e32 v118, 0xffff, v0
	v_mov_b32_e32 v117, 0x7c010000
	s_mov_b32 s14, exec_lo
	s_delay_alu instid0(VALU_DEP_2) | instskip(NEXT) | instid1(VALU_DEP_1)
	v_and_b32_e32 v128, 0x7f, v118
	v_cmpx_ne_u32_e32 0x7f, v128
	s_cbranch_execz .LBB279_1509
; %bb.1506:                             ;   in Loop: Header=BB279_803 Depth=1
	v_and_b32_e32 v117, 7, v118
	v_lshrrev_b32_e32 v119, 3, v128
	s_mov_b32 s15, exec_lo
	v_cmpx_gt_u32_e32 8, v128
; %bb.1507:                             ;   in Loop: Header=BB279_803 Depth=1
	s_delay_alu instid0(VALU_DEP_3) | instskip(NEXT) | instid1(VALU_DEP_1)
	v_clz_i32_u32_e32 v117, v117
	v_min_u32_e32 v117, 32, v117
	s_delay_alu instid0(VALU_DEP_1) | instskip(NEXT) | instid1(VALU_DEP_1)
	v_subrev_nc_u32_e32 v119, 28, v117
	v_lshlrev_b64_e32 v[128:129], v119, v[0:1]
	v_sub_nc_u32_e32 v119, 29, v117
	s_delay_alu instid0(VALU_DEP_2)
	v_and_b32_e32 v117, 7, v128
; %bb.1508:                             ;   in Loop: Header=BB279_803 Depth=1
	s_wait_alu 0xfffe
	s_or_b32 exec_lo, exec_lo, s15
	v_lshlrev_b32_e32 v0, 8, v118
	v_lshl_add_u32 v118, v119, 10, 0x2000
	v_lshlrev_b32_e32 v117, 23, v117
	s_delay_alu instid0(VALU_DEP_2) | instskip(NEXT) | instid1(VALU_DEP_1)
	v_and_or_b32 v0, 0x8000, v0, v118
	v_lshl_or_b32 v117, v0, 16, v117
.LBB279_1509:                           ;   in Loop: Header=BB279_803 Depth=1
	s_wait_alu 0xfffe
	s_or_b32 exec_lo, exec_lo, s14
.LBB279_1510:                           ;   in Loop: Header=BB279_803 Depth=1
	s_wait_alu 0xfffe
	s_or_b32 exec_lo, exec_lo, s13
.LBB279_1511:                           ;   in Loop: Header=BB279_803 Depth=1
	s_wait_alu 0xfffe
	s_or_b32 exec_lo, exec_lo, s12
	v_lshrrev_b32_e32 v0, 16, v11
	s_mov_b32 s12, exec_lo
	s_delay_alu instid0(VALU_DEP_1) | instskip(NEXT) | instid1(VALU_DEP_1)
	v_and_b32_e32 v118, 0xff, v0
	v_cmpx_ne_u16_e32 0, v118
	s_cbranch_execz .LBB279_1519
; %bb.1512:                             ;   in Loop: Header=BB279_803 Depth=1
	v_mov_b32_e32 v115, 0x8000
	s_mov_b32 s13, exec_lo
	v_cmpx_ne_u16_e32 0x80, v118
	s_cbranch_execz .LBB279_1518
; %bb.1513:                             ;   in Loop: Header=BB279_803 Depth=1
	v_bfe_u32 v119, v11, 16, 7
	v_mov_b32_e32 v115, 0x7c01
	s_mov_b32 s14, exec_lo
	s_delay_alu instid0(VALU_DEP_2)
	v_cmpx_ne_u32_e32 0x7f, v119
	s_cbranch_execz .LBB279_1517
; %bb.1514:                             ;   in Loop: Header=BB279_803 Depth=1
	v_and_b32_e32 v115, 7, v0
	v_lshrrev_b32_e32 v118, 3, v119
	s_mov_b32 s15, exec_lo
	v_cmpx_gt_u32_e32 8, v119
; %bb.1515:                             ;   in Loop: Header=BB279_803 Depth=1
	s_delay_alu instid0(VALU_DEP_3) | instskip(NEXT) | instid1(VALU_DEP_1)
	v_clz_i32_u32_e32 v115, v115
	v_min_u32_e32 v115, 32, v115
	s_delay_alu instid0(VALU_DEP_1) | instskip(NEXT) | instid1(VALU_DEP_1)
	v_subrev_nc_u32_e32 v118, 28, v115
	v_lshlrev_b64_e32 v[128:129], v118, v[0:1]
	v_sub_nc_u32_e32 v118, 29, v115
	s_delay_alu instid0(VALU_DEP_2)
	v_and_b32_e32 v115, 7, v128
; %bb.1516:                             ;   in Loop: Header=BB279_803 Depth=1
	s_wait_alu 0xfffe
	s_or_b32 exec_lo, exec_lo, s15
	v_lshlrev_b32_e32 v0, 8, v0
	v_lshl_add_u32 v118, v118, 10, 0x2000
	v_lshlrev_b32_e32 v115, 7, v115
	s_delay_alu instid0(VALU_DEP_3) | instskip(NEXT) | instid1(VALU_DEP_3)
	v_and_b32_e32 v0, 0x8000, v0
	v_and_b32_e32 v118, 0xfc00, v118
	s_delay_alu instid0(VALU_DEP_1)
	v_or3_b32 v115, v0, v118, v115
.LBB279_1517:                           ;   in Loop: Header=BB279_803 Depth=1
	s_wait_alu 0xfffe
	s_or_b32 exec_lo, exec_lo, s14
.LBB279_1518:                           ;   in Loop: Header=BB279_803 Depth=1
	s_wait_alu 0xfffe
	s_or_b32 exec_lo, exec_lo, s13
.LBB279_1519:                           ;   in Loop: Header=BB279_803 Depth=1
	s_wait_alu 0xfffe
	s_or_b32 exec_lo, exec_lo, s12
	v_cmp_lt_u64_e64 s0, s[8:9], v[10:11]
	v_mov_b32_e32 v10, 0
	s_and_saveexec_b32 s12, s0
	s_cbranch_execz .LBB279_1527
; %bb.1520:                             ;   in Loop: Header=BB279_803 Depth=1
	v_lshrrev_b32_e32 v0, 24, v11
	v_bfrev_b32_e32 v10, 1
	s_mov_b32 s13, exec_lo
	s_delay_alu instid0(VALU_DEP_2)
	v_cmpx_ne_u32_e32 0x80, v0
	s_cbranch_execz .LBB279_1526
; %bb.1521:                             ;   in Loop: Header=BB279_803 Depth=1
	v_and_b32_e32 v118, 0x7f, v0
	v_mov_b32_e32 v10, 0x7c010000
	s_mov_b32 s14, exec_lo
	s_delay_alu instid0(VALU_DEP_2)
	v_cmpx_ne_u32_e32 0x7f, v118
	s_cbranch_execz .LBB279_1525
; %bb.1522:                             ;   in Loop: Header=BB279_803 Depth=1
	v_and_b32_e32 v10, 7, v0
	v_lshrrev_b32_e32 v11, 3, v118
	s_mov_b32 s15, exec_lo
	v_cmpx_gt_u32_e32 8, v118
; %bb.1523:                             ;   in Loop: Header=BB279_803 Depth=1
	s_delay_alu instid0(VALU_DEP_3) | instskip(NEXT) | instid1(VALU_DEP_1)
	v_clz_i32_u32_e32 v10, v10
	v_min_u32_e32 v118, 32, v10
	s_delay_alu instid0(VALU_DEP_1) | instskip(NEXT) | instid1(VALU_DEP_1)
	v_subrev_nc_u32_e32 v10, 28, v118
	v_lshlrev_b64_e32 v[10:11], v10, v[0:1]
	v_sub_nc_u32_e32 v11, 29, v118
	s_delay_alu instid0(VALU_DEP_2)
	v_and_b32_e32 v10, 7, v10
; %bb.1524:                             ;   in Loop: Header=BB279_803 Depth=1
	s_wait_alu 0xfffe
	s_or_b32 exec_lo, exec_lo, s15
	v_lshlrev_b32_e32 v0, 8, v0
	v_lshl_add_u32 v11, v11, 10, 0x2000
	v_lshlrev_b32_e32 v10, 23, v10
	s_delay_alu instid0(VALU_DEP_2) | instskip(NEXT) | instid1(VALU_DEP_1)
	v_and_or_b32 v0, 0x8000, v0, v11
	v_lshl_or_b32 v10, v0, 16, v10
.LBB279_1525:                           ;   in Loop: Header=BB279_803 Depth=1
	s_wait_alu 0xfffe
	s_or_b32 exec_lo, exec_lo, s14
.LBB279_1526:                           ;   in Loop: Header=BB279_803 Depth=1
	s_wait_alu 0xfffe
	s_or_b32 exec_lo, exec_lo, s13
.LBB279_1527:                           ;   in Loop: Header=BB279_803 Depth=1
	s_wait_alu 0xfffe
	s_or_b32 exec_lo, exec_lo, s12
	v_or_b32_e32 v0, v113, v114
	s_wait_loadcnt_dscnt 0x0
	v_fma_mixlo_f16 v11, v102, v113, 0 op_sel:[0,1,0] op_sel_hi:[0,1,0]
	v_or_b32_e32 v113, v103, v112
	v_fma_mixlo_f16 v103, v102, v103, 0 op_sel:[0,1,0] op_sel_hi:[0,1,0]
	v_or_b32_e32 v114, v117, v116
	v_or_b32_e32 v115, v10, v115
	v_fma_mixlo_f16 v116, v102, v0, 0 op_sel_hi:[0,1,0]
	v_fma_mixlo_f16 v10, v102, v10, 0 op_sel:[0,1,0] op_sel_hi:[0,1,0]
	v_lshlrev_b32_e32 v112, 16, v103
	v_fma_mixlo_f16 v103, v102, v113, 0 op_sel_hi:[0,1,0]
	v_fma_mixlo_f16 v113, v102, v117, 0 op_sel:[0,1,0] op_sel_hi:[0,1,0]
	v_fma_mixlo_f16 v114, v102, v114, 0 op_sel_hi:[0,1,0]
	v_fma_mixlo_f16 v115, v102, v115, 0 op_sel_hi:[0,1,0]
	v_lshlrev_b32_e32 v0, 16, v11
	v_and_b32_e32 v11, 0xffff, v116
	v_and_b32_e32 v118, 0xffff, v103
	v_lshlrev_b32_e32 v102, 16, v113
	v_and_b32_e32 v114, 0xffff, v114
	v_lshlrev_b32_e32 v10, 16, v10
	v_and_b32_e32 v103, 0xffff, v115
	v_or_b32_e32 v113, v0, v11
	v_or_b32_e32 v117, v112, v118
	;; [unrolled: 1-line block ×3, first 2 shown]
	s_delay_alu instid0(VALU_DEP_4)
	v_or_b32_e32 v115, v10, v103
	s_and_saveexec_b32 s12, vcc_lo
	s_cbranch_execz .LBB279_1529
; %bb.1528:                             ;   in Loop: Header=BB279_803 Depth=1
	v_cmp_lt_i32_e64 s0, v23, v32
	s_wait_alu 0xf1ff
	s_delay_alu instid0(VALU_DEP_1) | instskip(SKIP_2) | instid1(VALU_DEP_1)
	v_cndmask_b32_e64 v113, 0, v118, s0
	v_cmp_lt_i32_e64 s0, v67, v32
	s_wait_alu 0xf1ff
	v_cndmask_b32_e64 v112, 0, v112, s0
	v_cmp_lt_i32_e64 s0, v66, v32
	s_delay_alu instid0(VALU_DEP_2) | instskip(SKIP_1) | instid1(VALU_DEP_2)
	v_or_b32_e32 v117, v113, v112
	s_wait_alu 0xf1ff
	v_cndmask_b32_e64 v11, 0, v11, s0
	v_cmp_lt_i32_e64 s0, v64, v32
	s_wait_alu 0xf1ff
	s_delay_alu instid0(VALU_DEP_1) | instskip(SKIP_1) | instid1(VALU_DEP_2)
	v_cndmask_b32_e64 v0, 0, v0, s0
	v_cmp_lt_i32_e64 s0, v53, v32
	v_or_b32_e32 v113, v11, v0
	s_wait_alu 0xf1ff
	s_delay_alu instid0(VALU_DEP_2) | instskip(SKIP_2) | instid1(VALU_DEP_1)
	v_cndmask_b32_e64 v114, 0, v114, s0
	v_cmp_lt_i32_e64 s0, v51, v32
	s_wait_alu 0xf1ff
	v_cndmask_b32_e64 v102, 0, v102, s0
	v_cmp_lt_i32_e64 s0, v36, v32
	s_delay_alu instid0(VALU_DEP_2) | instskip(SKIP_1) | instid1(VALU_DEP_2)
	v_or_b32_e32 v116, v114, v102
	s_wait_alu 0xf1ff
	v_cndmask_b32_e64 v103, 0, v103, s0
	v_cmp_lt_i32_e64 s0, v14, v32
	s_wait_alu 0xf1ff
	s_delay_alu instid0(VALU_DEP_1) | instskip(NEXT) | instid1(VALU_DEP_1)
	v_cndmask_b32_e64 v10, 0, v10, s0
	v_or_b32_e32 v115, v103, v10
.LBB279_1529:                           ;   in Loop: Header=BB279_803 Depth=1
	s_wait_alu 0xfffe
	s_or_b32 exec_lo, exec_lo, s12
	;;#ASMSTART
	v_pk_mul_f16 v0, v55, v117;

	;;#ASMEND
	;;#ASMSTART
	v_pk_mul_f16 v10, v52, v113;

	;;#ASMEND
	;; [unrolled: 4-line block ×4, first 2 shown]
	;;#ASMSTART
	v_pk_add_f16 v0, v0, v10;

	;;#ASMEND
	;;#ASMSTART
	v_pk_add_f16 v0, v0, v11;

	;;#ASMEND
	;; [unrolled: 4-line block ×3, first 2 shown]
	v_dual_mov_b32 v103, 0 :: v_dual_and_b32 v10, 0xffff, v0
	v_lshrrev_b32_e32 v0, 16, v0
	;;#ASMSTART
	v_cvt_f32_f16 v10, v10;
	;;#ASMEND
	;;#ASMSTART
	v_cvt_f32_f16 v11, v0;
	;;#ASMEND
	flat_load_b64 v[8:9], v[8:9] offset:2816
	flat_load_b32 v102, v[26:27]
	v_mov_b32_e32 v112, 0
	s_mov_b32 s12, exec_lo
	s_wait_loadcnt_dscnt 0x101
	v_and_b32_e32 v0, 0xff, v8
	s_delay_alu instid0(VALU_DEP_1)
	v_cmpx_ne_u16_e32 0, v0
	s_cbranch_execz .LBB279_1537
; %bb.1530:                             ;   in Loop: Header=BB279_803 Depth=1
	v_mov_b32_e32 v112, 0x8000
	s_mov_b32 s13, exec_lo
	v_cmpx_ne_u16_e32 0x80, v0
	s_cbranch_execz .LBB279_1536
; %bb.1531:                             ;   in Loop: Header=BB279_803 Depth=1
	v_and_b32_e32 v113, 0x7f, v8
	v_mov_b32_e32 v112, 0x7c01
	s_mov_b32 s14, exec_lo
	s_delay_alu instid0(VALU_DEP_2)
	v_cmpx_ne_u32_e32 0x7f, v113
	s_cbranch_execz .LBB279_1535
; %bb.1532:                             ;   in Loop: Header=BB279_803 Depth=1
	v_and_b32_e32 v0, 7, v8
	v_lshrrev_b32_e32 v112, 3, v113
	s_mov_b32 s15, exec_lo
	v_cmpx_gt_u32_e32 8, v113
; %bb.1533:                             ;   in Loop: Header=BB279_803 Depth=1
	s_delay_alu instid0(VALU_DEP_3) | instskip(NEXT) | instid1(VALU_DEP_1)
	v_clz_i32_u32_e32 v0, v0
	v_min_u32_e32 v0, 32, v0
	s_delay_alu instid0(VALU_DEP_1) | instskip(NEXT) | instid1(VALU_DEP_1)
	v_subrev_nc_u32_e32 v112, 28, v0
	v_lshlrev_b64_e32 v[113:114], v112, v[8:9]
	v_sub_nc_u32_e32 v112, 29, v0
	s_delay_alu instid0(VALU_DEP_2)
	v_and_b32_e32 v0, 7, v113
; %bb.1534:                             ;   in Loop: Header=BB279_803 Depth=1
	s_wait_alu 0xfffe
	s_or_b32 exec_lo, exec_lo, s15
	v_lshlrev_b32_e32 v113, 8, v8
	v_lshl_add_u32 v112, v112, 10, 0x2000
	v_lshlrev_b32_e32 v0, 7, v0
	s_delay_alu instid0(VALU_DEP_3) | instskip(NEXT) | instid1(VALU_DEP_3)
	v_and_b32_e32 v113, 0x8000, v113
	v_and_b32_e32 v112, 0xfc00, v112
	s_delay_alu instid0(VALU_DEP_1)
	v_or3_b32 v112, v113, v112, v0
.LBB279_1535:                           ;   in Loop: Header=BB279_803 Depth=1
	s_wait_alu 0xfffe
	s_or_b32 exec_lo, exec_lo, s14
.LBB279_1536:                           ;   in Loop: Header=BB279_803 Depth=1
	s_wait_alu 0xfffe
	s_or_b32 exec_lo, exec_lo, s13
.LBB279_1537:                           ;   in Loop: Header=BB279_803 Depth=1
	s_wait_alu 0xfffe
	s_or_b32 exec_lo, exec_lo, s12
	v_lshrrev_b16 v0, 8, v8
	s_mov_b32 s12, exec_lo
	s_delay_alu instid0(VALU_DEP_1)
	v_cmpx_ne_u16_e32 0, v0
	s_cbranch_execz .LBB279_1545
; %bb.1538:                             ;   in Loop: Header=BB279_803 Depth=1
	v_bfrev_b32_e32 v103, 1
	s_mov_b32 s13, exec_lo
	v_cmpx_ne_u16_e32 0x80, v0
	s_cbranch_execz .LBB279_1544
; %bb.1539:                             ;   in Loop: Header=BB279_803 Depth=1
	v_and_b32_e32 v113, 0xffff, v0
	v_mov_b32_e32 v103, 0x7c010000
	s_mov_b32 s14, exec_lo
	s_delay_alu instid0(VALU_DEP_2) | instskip(NEXT) | instid1(VALU_DEP_1)
	v_and_b32_e32 v115, 0x7f, v113
	v_cmpx_ne_u32_e32 0x7f, v115
	s_cbranch_execz .LBB279_1543
; %bb.1540:                             ;   in Loop: Header=BB279_803 Depth=1
	v_and_b32_e32 v103, 7, v113
	v_lshrrev_b32_e32 v114, 3, v115
	s_mov_b32 s15, exec_lo
	v_cmpx_gt_u32_e32 8, v115
; %bb.1541:                             ;   in Loop: Header=BB279_803 Depth=1
	s_delay_alu instid0(VALU_DEP_3) | instskip(NEXT) | instid1(VALU_DEP_1)
	v_clz_i32_u32_e32 v103, v103
	v_min_u32_e32 v103, 32, v103
	s_delay_alu instid0(VALU_DEP_1) | instskip(NEXT) | instid1(VALU_DEP_1)
	v_subrev_nc_u32_e32 v114, 28, v103
	v_lshlrev_b64_e32 v[115:116], v114, v[0:1]
	v_sub_nc_u32_e32 v114, 29, v103
	s_delay_alu instid0(VALU_DEP_2)
	v_and_b32_e32 v103, 7, v115
; %bb.1542:                             ;   in Loop: Header=BB279_803 Depth=1
	s_wait_alu 0xfffe
	s_or_b32 exec_lo, exec_lo, s15
	v_lshlrev_b32_e32 v0, 8, v113
	v_lshl_add_u32 v113, v114, 10, 0x2000
	v_lshlrev_b32_e32 v103, 23, v103
	s_delay_alu instid0(VALU_DEP_2) | instskip(NEXT) | instid1(VALU_DEP_1)
	v_and_or_b32 v0, 0x8000, v0, v113
	v_lshl_or_b32 v103, v0, 16, v103
.LBB279_1543:                           ;   in Loop: Header=BB279_803 Depth=1
	s_wait_alu 0xfffe
	s_or_b32 exec_lo, exec_lo, s14
.LBB279_1544:                           ;   in Loop: Header=BB279_803 Depth=1
	s_wait_alu 0xfffe
	s_or_b32 exec_lo, exec_lo, s13
.LBB279_1545:                           ;   in Loop: Header=BB279_803 Depth=1
	s_wait_alu 0xfffe
	s_or_b32 exec_lo, exec_lo, s12
	v_lshrrev_b32_e32 v0, 16, v8
	v_mov_b32_e32 v113, 0
	s_mov_b32 s12, exec_lo
	s_delay_alu instid0(VALU_DEP_2) | instskip(NEXT) | instid1(VALU_DEP_1)
	v_dual_mov_b32 v114, 0 :: v_dual_and_b32 v115, 0xff, v0
	v_cmpx_ne_u16_e32 0, v115
	s_cbranch_execz .LBB279_1553
; %bb.1546:                             ;   in Loop: Header=BB279_803 Depth=1
	v_mov_b32_e32 v114, 0x8000
	s_mov_b32 s13, exec_lo
	v_cmpx_ne_u16_e32 0x80, v115
	s_cbranch_execz .LBB279_1552
; %bb.1547:                             ;   in Loop: Header=BB279_803 Depth=1
	v_bfe_u32 v116, v8, 16, 7
	v_mov_b32_e32 v114, 0x7c01
	s_mov_b32 s14, exec_lo
	s_delay_alu instid0(VALU_DEP_2)
	v_cmpx_ne_u32_e32 0x7f, v116
	s_cbranch_execz .LBB279_1551
; %bb.1548:                             ;   in Loop: Header=BB279_803 Depth=1
	v_and_b32_e32 v114, 7, v0
	v_lshrrev_b32_e32 v115, 3, v116
	s_mov_b32 s15, exec_lo
	v_cmpx_gt_u32_e32 8, v116
; %bb.1549:                             ;   in Loop: Header=BB279_803 Depth=1
	s_delay_alu instid0(VALU_DEP_3) | instskip(NEXT) | instid1(VALU_DEP_1)
	v_clz_i32_u32_e32 v114, v114
	v_min_u32_e32 v116, 32, v114
	s_delay_alu instid0(VALU_DEP_1) | instskip(NEXT) | instid1(VALU_DEP_1)
	v_subrev_nc_u32_e32 v114, 28, v116
	v_lshlrev_b64_e32 v[114:115], v114, v[0:1]
	v_sub_nc_u32_e32 v115, 29, v116
	s_delay_alu instid0(VALU_DEP_2)
	v_and_b32_e32 v114, 7, v114
; %bb.1550:                             ;   in Loop: Header=BB279_803 Depth=1
	s_wait_alu 0xfffe
	s_or_b32 exec_lo, exec_lo, s15
	v_lshlrev_b32_e32 v0, 8, v0
	v_lshl_add_u32 v115, v115, 10, 0x2000
	v_lshlrev_b32_e32 v114, 7, v114
	s_delay_alu instid0(VALU_DEP_3) | instskip(NEXT) | instid1(VALU_DEP_3)
	v_and_b32_e32 v0, 0x8000, v0
	v_and_b32_e32 v115, 0xfc00, v115
	s_delay_alu instid0(VALU_DEP_1)
	v_or3_b32 v114, v0, v115, v114
.LBB279_1551:                           ;   in Loop: Header=BB279_803 Depth=1
	s_wait_alu 0xfffe
	s_or_b32 exec_lo, exec_lo, s14
.LBB279_1552:                           ;   in Loop: Header=BB279_803 Depth=1
	s_wait_alu 0xfffe
	s_or_b32 exec_lo, exec_lo, s13
.LBB279_1553:                           ;   in Loop: Header=BB279_803 Depth=1
	s_wait_alu 0xfffe
	s_or_b32 exec_lo, exec_lo, s12
	s_delay_alu instid0(SALU_CYCLE_1)
	s_mov_b32 s12, exec_lo
	v_cmpx_lt_u32_e32 0xffffff, v8
	s_cbranch_execz .LBB279_1561
; %bb.1554:                             ;   in Loop: Header=BB279_803 Depth=1
	v_lshrrev_b32_e32 v0, 24, v8
	v_bfrev_b32_e32 v113, 1
	s_mov_b32 s13, exec_lo
	s_delay_alu instid0(VALU_DEP_2)
	v_cmpx_ne_u32_e32 0x80, v0
	s_cbranch_execz .LBB279_1560
; %bb.1555:                             ;   in Loop: Header=BB279_803 Depth=1
	v_and_b32_e32 v116, 0x7f, v0
	v_mov_b32_e32 v113, 0x7c010000
	s_mov_b32 s14, exec_lo
	s_delay_alu instid0(VALU_DEP_2)
	v_cmpx_ne_u32_e32 0x7f, v116
	s_cbranch_execz .LBB279_1559
; %bb.1556:                             ;   in Loop: Header=BB279_803 Depth=1
	v_and_b32_e32 v113, 7, v0
	v_lshrrev_b32_e32 v115, 3, v116
	s_mov_b32 s15, exec_lo
	v_cmpx_gt_u32_e32 8, v116
; %bb.1557:                             ;   in Loop: Header=BB279_803 Depth=1
	s_delay_alu instid0(VALU_DEP_3) | instskip(NEXT) | instid1(VALU_DEP_1)
	v_clz_i32_u32_e32 v113, v113
	v_min_u32_e32 v113, 32, v113
	s_delay_alu instid0(VALU_DEP_1) | instskip(NEXT) | instid1(VALU_DEP_1)
	v_subrev_nc_u32_e32 v115, 28, v113
	v_lshlrev_b64_e32 v[116:117], v115, v[0:1]
	v_sub_nc_u32_e32 v115, 29, v113
	s_delay_alu instid0(VALU_DEP_2)
	v_and_b32_e32 v113, 7, v116
; %bb.1558:                             ;   in Loop: Header=BB279_803 Depth=1
	s_wait_alu 0xfffe
	s_or_b32 exec_lo, exec_lo, s15
	v_lshlrev_b32_e32 v0, 8, v0
	v_lshl_add_u32 v115, v115, 10, 0x2000
	v_lshlrev_b32_e32 v113, 23, v113
	s_delay_alu instid0(VALU_DEP_2) | instskip(NEXT) | instid1(VALU_DEP_1)
	v_and_or_b32 v0, 0x8000, v0, v115
	v_lshl_or_b32 v113, v0, 16, v113
.LBB279_1559:                           ;   in Loop: Header=BB279_803 Depth=1
	s_wait_alu 0xfffe
	s_or_b32 exec_lo, exec_lo, s14
.LBB279_1560:                           ;   in Loop: Header=BB279_803 Depth=1
	s_wait_alu 0xfffe
	s_or_b32 exec_lo, exec_lo, s13
.LBB279_1561:                           ;   in Loop: Header=BB279_803 Depth=1
	s_wait_alu 0xfffe
	s_or_b32 exec_lo, exec_lo, s12
	v_dual_mov_b32 v0, v9 :: v_dual_and_b32 v117, 0xff, v9
	v_dual_mov_b32 v115, 0 :: v_dual_mov_b32 v116, 0
	s_mov_b32 s12, exec_lo
	s_delay_alu instid0(VALU_DEP_2)
	v_cmpx_ne_u16_e32 0, v117
	s_cbranch_execz .LBB279_1569
; %bb.1562:                             ;   in Loop: Header=BB279_803 Depth=1
	v_mov_b32_e32 v116, 0x8000
	s_mov_b32 s13, exec_lo
	v_cmpx_ne_u16_e32 0x80, v117
	s_cbranch_execz .LBB279_1568
; %bb.1563:                             ;   in Loop: Header=BB279_803 Depth=1
	v_and_b32_e32 v118, 0x7f, v9
	v_mov_b32_e32 v116, 0x7c01
	s_mov_b32 s14, exec_lo
	s_delay_alu instid0(VALU_DEP_2)
	v_cmpx_ne_u32_e32 0x7f, v118
	s_cbranch_execz .LBB279_1567
; %bb.1564:                             ;   in Loop: Header=BB279_803 Depth=1
	v_and_b32_e32 v116, 7, v9
	v_lshrrev_b32_e32 v117, 3, v118
	s_mov_b32 s15, exec_lo
	v_cmpx_gt_u32_e32 8, v118
; %bb.1565:                             ;   in Loop: Header=BB279_803 Depth=1
	s_delay_alu instid0(VALU_DEP_3) | instskip(NEXT) | instid1(VALU_DEP_1)
	v_clz_i32_u32_e32 v116, v116
	v_min_u32_e32 v118, 32, v116
	s_delay_alu instid0(VALU_DEP_1) | instskip(NEXT) | instid1(VALU_DEP_1)
	v_subrev_nc_u32_e32 v116, 28, v118
	v_lshlrev_b64_e32 v[116:117], v116, v[0:1]
	v_sub_nc_u32_e32 v117, 29, v118
	s_delay_alu instid0(VALU_DEP_2)
	v_and_b32_e32 v116, 7, v116
; %bb.1566:                             ;   in Loop: Header=BB279_803 Depth=1
	s_wait_alu 0xfffe
	s_or_b32 exec_lo, exec_lo, s15
	v_lshlrev_b32_e32 v118, 8, v9
	v_lshl_add_u32 v117, v117, 10, 0x2000
	v_lshlrev_b32_e32 v116, 7, v116
	s_delay_alu instid0(VALU_DEP_3) | instskip(NEXT) | instid1(VALU_DEP_3)
	v_and_b32_e32 v118, 0x8000, v118
	v_and_b32_e32 v117, 0xfc00, v117
	s_delay_alu instid0(VALU_DEP_1)
	v_or3_b32 v116, v118, v117, v116
.LBB279_1567:                           ;   in Loop: Header=BB279_803 Depth=1
	s_wait_alu 0xfffe
	s_or_b32 exec_lo, exec_lo, s14
.LBB279_1568:                           ;   in Loop: Header=BB279_803 Depth=1
	s_wait_alu 0xfffe
	s_or_b32 exec_lo, exec_lo, s13
.LBB279_1569:                           ;   in Loop: Header=BB279_803 Depth=1
	s_wait_alu 0xfffe
	s_or_b32 exec_lo, exec_lo, s12
	v_lshrrev_b16 v0, 8, v0
	v_mov_b32_e32 v117, 0
	s_mov_b32 s12, exec_lo
	s_delay_alu instid0(VALU_DEP_2)
	v_cmpx_ne_u16_e32 0, v0
	s_cbranch_execz .LBB279_1577
; %bb.1570:                             ;   in Loop: Header=BB279_803 Depth=1
	v_bfrev_b32_e32 v117, 1
	s_mov_b32 s13, exec_lo
	v_cmpx_ne_u16_e32 0x80, v0
	s_cbranch_execz .LBB279_1576
; %bb.1571:                             ;   in Loop: Header=BB279_803 Depth=1
	v_and_b32_e32 v118, 0xffff, v0
	v_mov_b32_e32 v117, 0x7c010000
	s_mov_b32 s14, exec_lo
	s_delay_alu instid0(VALU_DEP_2) | instskip(NEXT) | instid1(VALU_DEP_1)
	v_and_b32_e32 v128, 0x7f, v118
	v_cmpx_ne_u32_e32 0x7f, v128
	s_cbranch_execz .LBB279_1575
; %bb.1572:                             ;   in Loop: Header=BB279_803 Depth=1
	v_and_b32_e32 v117, 7, v118
	v_lshrrev_b32_e32 v119, 3, v128
	s_mov_b32 s15, exec_lo
	v_cmpx_gt_u32_e32 8, v128
; %bb.1573:                             ;   in Loop: Header=BB279_803 Depth=1
	s_delay_alu instid0(VALU_DEP_3) | instskip(NEXT) | instid1(VALU_DEP_1)
	v_clz_i32_u32_e32 v117, v117
	v_min_u32_e32 v117, 32, v117
	s_delay_alu instid0(VALU_DEP_1) | instskip(NEXT) | instid1(VALU_DEP_1)
	v_subrev_nc_u32_e32 v119, 28, v117
	v_lshlrev_b64_e32 v[128:129], v119, v[0:1]
	v_sub_nc_u32_e32 v119, 29, v117
	s_delay_alu instid0(VALU_DEP_2)
	v_and_b32_e32 v117, 7, v128
; %bb.1574:                             ;   in Loop: Header=BB279_803 Depth=1
	s_wait_alu 0xfffe
	s_or_b32 exec_lo, exec_lo, s15
	v_lshlrev_b32_e32 v0, 8, v118
	v_lshl_add_u32 v118, v119, 10, 0x2000
	v_lshlrev_b32_e32 v117, 23, v117
	s_delay_alu instid0(VALU_DEP_2) | instskip(NEXT) | instid1(VALU_DEP_1)
	v_and_or_b32 v0, 0x8000, v0, v118
	v_lshl_or_b32 v117, v0, 16, v117
.LBB279_1575:                           ;   in Loop: Header=BB279_803 Depth=1
	s_wait_alu 0xfffe
	s_or_b32 exec_lo, exec_lo, s14
.LBB279_1576:                           ;   in Loop: Header=BB279_803 Depth=1
	s_wait_alu 0xfffe
	s_or_b32 exec_lo, exec_lo, s13
.LBB279_1577:                           ;   in Loop: Header=BB279_803 Depth=1
	s_wait_alu 0xfffe
	s_or_b32 exec_lo, exec_lo, s12
	v_lshrrev_b32_e32 v0, 16, v9
	s_mov_b32 s12, exec_lo
	s_delay_alu instid0(VALU_DEP_1) | instskip(NEXT) | instid1(VALU_DEP_1)
	v_and_b32_e32 v118, 0xff, v0
	v_cmpx_ne_u16_e32 0, v118
	s_cbranch_execz .LBB279_1585
; %bb.1578:                             ;   in Loop: Header=BB279_803 Depth=1
	v_mov_b32_e32 v115, 0x8000
	s_mov_b32 s13, exec_lo
	v_cmpx_ne_u16_e32 0x80, v118
	s_cbranch_execz .LBB279_1584
; %bb.1579:                             ;   in Loop: Header=BB279_803 Depth=1
	v_bfe_u32 v119, v9, 16, 7
	v_mov_b32_e32 v115, 0x7c01
	s_mov_b32 s14, exec_lo
	s_delay_alu instid0(VALU_DEP_2)
	v_cmpx_ne_u32_e32 0x7f, v119
	s_cbranch_execz .LBB279_1583
; %bb.1580:                             ;   in Loop: Header=BB279_803 Depth=1
	v_and_b32_e32 v115, 7, v0
	v_lshrrev_b32_e32 v118, 3, v119
	s_mov_b32 s15, exec_lo
	v_cmpx_gt_u32_e32 8, v119
; %bb.1581:                             ;   in Loop: Header=BB279_803 Depth=1
	s_delay_alu instid0(VALU_DEP_3) | instskip(NEXT) | instid1(VALU_DEP_1)
	v_clz_i32_u32_e32 v115, v115
	v_min_u32_e32 v115, 32, v115
	s_delay_alu instid0(VALU_DEP_1) | instskip(NEXT) | instid1(VALU_DEP_1)
	v_subrev_nc_u32_e32 v118, 28, v115
	v_lshlrev_b64_e32 v[128:129], v118, v[0:1]
	v_sub_nc_u32_e32 v118, 29, v115
	s_delay_alu instid0(VALU_DEP_2)
	v_and_b32_e32 v115, 7, v128
; %bb.1582:                             ;   in Loop: Header=BB279_803 Depth=1
	s_wait_alu 0xfffe
	s_or_b32 exec_lo, exec_lo, s15
	v_lshlrev_b32_e32 v0, 8, v0
	v_lshl_add_u32 v118, v118, 10, 0x2000
	v_lshlrev_b32_e32 v115, 7, v115
	s_delay_alu instid0(VALU_DEP_3) | instskip(NEXT) | instid1(VALU_DEP_3)
	v_and_b32_e32 v0, 0x8000, v0
	v_and_b32_e32 v118, 0xfc00, v118
	s_delay_alu instid0(VALU_DEP_1)
	v_or3_b32 v115, v0, v118, v115
.LBB279_1583:                           ;   in Loop: Header=BB279_803 Depth=1
	s_wait_alu 0xfffe
	s_or_b32 exec_lo, exec_lo, s14
.LBB279_1584:                           ;   in Loop: Header=BB279_803 Depth=1
	s_wait_alu 0xfffe
	s_or_b32 exec_lo, exec_lo, s13
.LBB279_1585:                           ;   in Loop: Header=BB279_803 Depth=1
	s_wait_alu 0xfffe
	s_or_b32 exec_lo, exec_lo, s12
	v_cmp_lt_u64_e64 s0, s[8:9], v[8:9]
	v_mov_b32_e32 v8, 0
	s_and_saveexec_b32 s12, s0
	s_cbranch_execz .LBB279_1593
; %bb.1586:                             ;   in Loop: Header=BB279_803 Depth=1
	v_lshrrev_b32_e32 v0, 24, v9
	v_bfrev_b32_e32 v8, 1
	s_mov_b32 s13, exec_lo
	s_delay_alu instid0(VALU_DEP_2)
	v_cmpx_ne_u32_e32 0x80, v0
	s_cbranch_execz .LBB279_1592
; %bb.1587:                             ;   in Loop: Header=BB279_803 Depth=1
	v_and_b32_e32 v118, 0x7f, v0
	v_mov_b32_e32 v8, 0x7c010000
	s_mov_b32 s14, exec_lo
	s_delay_alu instid0(VALU_DEP_2)
	v_cmpx_ne_u32_e32 0x7f, v118
	s_cbranch_execz .LBB279_1591
; %bb.1588:                             ;   in Loop: Header=BB279_803 Depth=1
	v_and_b32_e32 v8, 7, v0
	v_lshrrev_b32_e32 v9, 3, v118
	s_mov_b32 s15, exec_lo
	v_cmpx_gt_u32_e32 8, v118
; %bb.1589:                             ;   in Loop: Header=BB279_803 Depth=1
	s_delay_alu instid0(VALU_DEP_3) | instskip(NEXT) | instid1(VALU_DEP_1)
	v_clz_i32_u32_e32 v8, v8
	v_min_u32_e32 v118, 32, v8
	s_delay_alu instid0(VALU_DEP_1) | instskip(NEXT) | instid1(VALU_DEP_1)
	v_subrev_nc_u32_e32 v8, 28, v118
	v_lshlrev_b64_e32 v[8:9], v8, v[0:1]
	v_sub_nc_u32_e32 v9, 29, v118
	s_delay_alu instid0(VALU_DEP_2)
	v_and_b32_e32 v8, 7, v8
; %bb.1590:                             ;   in Loop: Header=BB279_803 Depth=1
	s_wait_alu 0xfffe
	s_or_b32 exec_lo, exec_lo, s15
	v_lshlrev_b32_e32 v0, 8, v0
	v_lshl_add_u32 v9, v9, 10, 0x2000
	v_lshlrev_b32_e32 v8, 23, v8
	s_delay_alu instid0(VALU_DEP_2) | instskip(NEXT) | instid1(VALU_DEP_1)
	v_and_or_b32 v0, 0x8000, v0, v9
	v_lshl_or_b32 v8, v0, 16, v8
.LBB279_1591:                           ;   in Loop: Header=BB279_803 Depth=1
	s_wait_alu 0xfffe
	s_or_b32 exec_lo, exec_lo, s14
.LBB279_1592:                           ;   in Loop: Header=BB279_803 Depth=1
	s_wait_alu 0xfffe
	s_or_b32 exec_lo, exec_lo, s13
.LBB279_1593:                           ;   in Loop: Header=BB279_803 Depth=1
	s_wait_alu 0xfffe
	s_or_b32 exec_lo, exec_lo, s12
	v_or_b32_e32 v0, v113, v114
	s_wait_loadcnt_dscnt 0x0
	v_fma_mixlo_f16 v9, v102, v113, 0 op_sel:[0,1,0] op_sel_hi:[0,1,0]
	v_or_b32_e32 v112, v103, v112
	v_fma_mixlo_f16 v113, v102, v103, 0 op_sel:[0,1,0] op_sel_hi:[0,1,0]
	v_or_b32_e32 v114, v117, v116
	v_fma_mixlo_f16 v0, v102, v0, 0 op_sel_hi:[0,1,0]
	v_or_b32_e32 v115, v8, v115
	v_lshlrev_b32_e32 v103, 16, v9
	v_lshlrev_b32_e32 v116, 16, v113
	v_fma_mixlo_f16 v9, v102, v112, 0 op_sel_hi:[0,1,0]
	v_and_b32_e32 v113, 0xffff, v0
	v_fma_mixlo_f16 v0, v102, v117, 0 op_sel:[0,1,0] op_sel_hi:[0,1,0]
	v_fma_mixlo_f16 v112, v102, v114, 0 op_sel_hi:[0,1,0]
	v_fma_mixlo_f16 v8, v102, v8, 0 op_sel:[0,1,0] op_sel_hi:[0,1,0]
	v_fma_mixlo_f16 v102, v102, v115, 0 op_sel_hi:[0,1,0]
	v_and_b32_e32 v118, 0xffff, v9
	v_lshlrev_b32_e32 v114, 16, v0
	v_and_b32_e32 v117, 0xffff, v112
	v_lshlrev_b32_e32 v112, 16, v8
	v_and_b32_e32 v115, 0xffff, v102
	v_or_b32_e32 v0, v103, v113
	v_or_b32_e32 v102, v116, v118
	;; [unrolled: 1-line block ×3, first 2 shown]
	s_delay_alu instid0(VALU_DEP_4)
	v_or_b32_e32 v8, v112, v115
	s_and_saveexec_b32 s0, vcc_lo
	s_cbranch_execz .LBB279_802
; %bb.1594:                             ;   in Loop: Header=BB279_803 Depth=1
	v_cmp_lt_i32_e32 vcc_lo, v23, v32
	s_wait_alu 0xfffd
	v_cndmask_b32_e32 v0, 0, v118, vcc_lo
	v_cmp_lt_i32_e32 vcc_lo, v67, v32
	s_wait_alu 0xfffd
	v_cndmask_b32_e32 v8, 0, v116, vcc_lo
	;; [unrolled: 3-line block ×4, first 2 shown]
	v_cmp_lt_i32_e32 vcc_lo, v53, v32
	v_or_b32_e32 v102, v0, v8
	s_delay_alu instid0(VALU_DEP_3)
	v_or_b32_e32 v0, v9, v23
	s_wait_alu 0xfffd
	v_cndmask_b32_e32 v53, 0, v117, vcc_lo
	v_cmp_lt_i32_e32 vcc_lo, v51, v32
	s_wait_alu 0xfffd
	v_cndmask_b32_e32 v51, 0, v114, vcc_lo
	v_cmp_lt_i32_e32 vcc_lo, v36, v32
	;; [unrolled: 3-line block ×3, first 2 shown]
	s_wait_alu 0xfffd
	v_cndmask_b32_e32 v64, 0, v112, vcc_lo
	v_or_b32_e32 v9, v53, v51
	s_delay_alu instid0(VALU_DEP_2)
	v_or_b32_e32 v8, v36, v64
	s_branch .LBB279_802
.LBB279_1595:
	s_or_b32 exec_lo, exec_lo, s5
	v_dual_mov_b32 v0, s6 :: v_dual_mov_b32 v1, s7
.LBB279_1596:
	s_or_b32 exec_lo, exec_lo, s3
	s_delay_alu instid0(VALU_DEP_1)
	v_lshlrev_b64_e32 v[0:1], 2, v[0:1]
	s_getpc_b64 s[6:7]
	s_wait_alu 0xfffe
	s_sext_i32_i16 s7, s7
	s_add_co_u32 s6, s6, llvm.amdgcn.dynlds.offset.table@rel32@lo+12
	s_wait_alu 0xfffe
	s_add_co_ci_u32 s7, s7, llvm.amdgcn.dynlds.offset.table@rel32@hi+24
	s_wait_storecnt 0x0
	s_wait_loadcnt_dscnt 0x0
	s_barrier_signal -1
	s_barrier_wait -1
	global_inv scope:SCOPE_SE
	v_add_co_u32 v0, vcc_lo, s6, v0
	s_wait_alu 0xfffc
	v_add_co_ci_u32_e64 v1, null, s7, v1, vcc_lo
	ds_bpermute_b32 v2, v13, v49
	ds_bpermute_b32 v3, v13, v39
	;; [unrolled: 1-line block ×3, first 2 shown]
	global_load_b32 v14, v[0:1], off
	ds_bpermute_b32 v0, v13, v48
	ds_bpermute_b32 v1, v13, v50
	;; [unrolled: 1-line block ×9, first 2 shown]
	v_lshrrev_b32_e32 v22, 1, v12
	v_mul_u32_u24_e32 v23, 0x300, v31
	v_and_b32_e32 v31, 0x3c1, v29
	s_mov_b32 s0, exec_lo
	s_wait_dscnt 0xa
	v_dual_add_f32 v11, v49, v2 :: v_dual_add_f32 v10, v39, v3
	s_wait_dscnt 0x9
	v_add_f32_e32 v9, v25, v6
	s_wait_dscnt 0x7
	v_dual_add_f32 v13, v48, v0 :: v_dual_add_f32 v12, v50, v1
	s_wait_dscnt 0x6
	v_add_f32_e32 v8, v24, v7
	s_wait_dscnt 0x4
	v_dual_add_f32 v7, v21, v15 :: v_dual_add_f32 v6, v20, v26
	s_wait_dscnt 0x2
	v_dual_add_f32 v3, v19, v27 :: v_dual_add_f32 v2, v18, v32
	s_wait_dscnt 0x0
	v_dual_add_f32 v1, v17, v33 :: v_dual_add_f32 v0, v16, v34
	s_wait_loadcnt 0x0
	v_lshl_add_u32 v15, v22, 2, v14
	v_cmpx_eq_u32_e32 64, v31
	s_cbranch_execz .LBB279_1598
; %bb.1597:
	s_delay_alu instid0(VALU_DEP_2) | instskip(NEXT) | instid1(VALU_DEP_1)
	v_add_nc_u32_e32 v16, v15, v23
	v_add_nc_u32_e32 v17, 0xfffffa00, v16
	;; [unrolled: 1-line block ×13, first 2 shown]
	ds_store_b32 v17, v13
	ds_store_b32 v18, v12
	;; [unrolled: 1-line block ×12, first 2 shown]
.LBB279_1598:
	s_wait_alu 0xfffe
	s_or_b32 exec_lo, exec_lo, s0
	v_lshlrev_b32_e32 v16, 2, v22
	s_mov_b32 s3, exec_lo
	v_cmp_eq_u32_e32 vcc_lo, 0, v30
	s_wait_dscnt 0x0
	s_barrier_signal -1
	v_add3_u32 v14, v14, v23, v16
	s_barrier_wait -1
	global_inv scope:SCOPE_SE
	v_cmpx_gt_u32_e32 64, v29
	s_cbranch_execz .LBB279_1613
; %bb.1599:
	s_and_saveexec_b32 s0, vcc_lo
	s_cbranch_execnz .LBB279_1633
; %bb.1600:
	s_wait_alu 0xfffe
	s_or_b32 exec_lo, exec_lo, s0
	s_and_saveexec_b32 s0, vcc_lo
	s_cbranch_execnz .LBB279_1634
.LBB279_1601:
	s_wait_alu 0xfffe
	s_or_b32 exec_lo, exec_lo, s0
	s_and_saveexec_b32 s0, vcc_lo
	s_cbranch_execnz .LBB279_1635
.LBB279_1602:
	s_wait_alu 0xfffe
	s_or_b32 exec_lo, exec_lo, s0
	s_and_saveexec_b32 s0, vcc_lo
	s_cbranch_execnz .LBB279_1636
.LBB279_1603:
	s_wait_alu 0xfffe
	s_or_b32 exec_lo, exec_lo, s0
	s_and_saveexec_b32 s0, vcc_lo
	s_cbranch_execnz .LBB279_1637
.LBB279_1604:
	s_wait_alu 0xfffe
	s_or_b32 exec_lo, exec_lo, s0
	s_and_saveexec_b32 s0, vcc_lo
	s_cbranch_execnz .LBB279_1638
.LBB279_1605:
	s_wait_alu 0xfffe
	s_or_b32 exec_lo, exec_lo, s0
	s_and_saveexec_b32 s0, vcc_lo
	s_cbranch_execnz .LBB279_1639
.LBB279_1606:
	s_wait_alu 0xfffe
	s_or_b32 exec_lo, exec_lo, s0
	s_and_saveexec_b32 s0, vcc_lo
	s_cbranch_execnz .LBB279_1640
.LBB279_1607:
	s_wait_alu 0xfffe
	s_or_b32 exec_lo, exec_lo, s0
	s_and_saveexec_b32 s0, vcc_lo
	s_cbranch_execnz .LBB279_1641
.LBB279_1608:
	s_wait_alu 0xfffe
	s_or_b32 exec_lo, exec_lo, s0
	s_and_saveexec_b32 s0, vcc_lo
	s_cbranch_execnz .LBB279_1642
.LBB279_1609:
	s_wait_alu 0xfffe
	s_or_b32 exec_lo, exec_lo, s0
	s_and_saveexec_b32 s0, vcc_lo
	s_cbranch_execnz .LBB279_1643
.LBB279_1610:
	s_wait_alu 0xfffe
	s_or_b32 exec_lo, exec_lo, s0
	s_and_saveexec_b32 s0, vcc_lo
	s_cbranch_execz .LBB279_1612
.LBB279_1611:
	ds_load_b32 v16, v14 offset:704
	s_wait_dscnt 0x0
	v_add_f32_e32 v0, v16, v0
.LBB279_1612:
	s_wait_alu 0xfffe
	s_or_b32 exec_lo, exec_lo, s0
.LBB279_1613:
	s_wait_alu 0xfffe
	s_or_b32 exec_lo, exec_lo, s3
	v_and_b32_e32 v16, 0x3e1, v29
	s_mov_b32 s3, exec_lo
	s_wait_loadcnt 0x0
	s_barrier_signal -1
	s_barrier_wait -1
	global_inv scope:SCOPE_SE
	v_cmpx_eq_u32_e32 32, v16
	s_cbranch_execz .LBB279_1615
; %bb.1614:
	ds_store_2addr_b32 v15, v13, v12 offset1:16
	ds_store_2addr_b32 v15, v11, v10 offset0:32 offset1:48
	ds_store_2addr_b32 v15, v9, v8 offset0:64 offset1:80
	;; [unrolled: 1-line block ×5, first 2 shown]
.LBB279_1615:
	s_wait_alu 0xfffe
	s_or_b32 exec_lo, exec_lo, s3
	s_delay_alu instid0(SALU_CYCLE_1)
	s_mov_b32 s3, exec_lo
	s_wait_loadcnt_dscnt 0x0
	s_barrier_signal -1
	s_barrier_wait -1
	global_inv scope:SCOPE_SE
	v_cmpx_gt_u32_e32 32, v29
	s_cbranch_execz .LBB279_1630
; %bb.1616:
	s_and_saveexec_b32 s0, vcc_lo
	s_cbranch_execnz .LBB279_1644
; %bb.1617:
	s_wait_alu 0xfffe
	s_or_b32 exec_lo, exec_lo, s0
	s_and_saveexec_b32 s0, vcc_lo
	s_cbranch_execnz .LBB279_1645
.LBB279_1618:
	s_wait_alu 0xfffe
	s_or_b32 exec_lo, exec_lo, s0
	s_and_saveexec_b32 s0, vcc_lo
	s_cbranch_execnz .LBB279_1646
.LBB279_1619:
	s_wait_alu 0xfffe
	s_or_b32 exec_lo, exec_lo, s0
	s_and_saveexec_b32 s0, vcc_lo
	s_cbranch_execnz .LBB279_1647
.LBB279_1620:
	s_wait_alu 0xfffe
	s_or_b32 exec_lo, exec_lo, s0
	s_and_saveexec_b32 s0, vcc_lo
	s_cbranch_execnz .LBB279_1648
.LBB279_1621:
	s_wait_alu 0xfffe
	s_or_b32 exec_lo, exec_lo, s0
	s_and_saveexec_b32 s0, vcc_lo
	s_cbranch_execnz .LBB279_1649
.LBB279_1622:
	s_wait_alu 0xfffe
	s_or_b32 exec_lo, exec_lo, s0
	s_and_saveexec_b32 s0, vcc_lo
	s_cbranch_execnz .LBB279_1650
.LBB279_1623:
	s_wait_alu 0xfffe
	s_or_b32 exec_lo, exec_lo, s0
	s_and_saveexec_b32 s0, vcc_lo
	s_cbranch_execnz .LBB279_1651
.LBB279_1624:
	s_wait_alu 0xfffe
	s_or_b32 exec_lo, exec_lo, s0
	s_and_saveexec_b32 s0, vcc_lo
	s_cbranch_execnz .LBB279_1652
.LBB279_1625:
	s_wait_alu 0xfffe
	s_or_b32 exec_lo, exec_lo, s0
	s_and_saveexec_b32 s0, vcc_lo
	s_cbranch_execnz .LBB279_1653
.LBB279_1626:
	s_wait_alu 0xfffe
	s_or_b32 exec_lo, exec_lo, s0
	s_and_saveexec_b32 s0, vcc_lo
	s_cbranch_execnz .LBB279_1654
.LBB279_1627:
	s_wait_alu 0xfffe
	s_or_b32 exec_lo, exec_lo, s0
	s_and_saveexec_b32 s0, vcc_lo
	s_cbranch_execz .LBB279_1629
.LBB279_1628:
	ds_load_b32 v14, v14 offset:704
	s_wait_dscnt 0x0
	v_add_f32_e32 v0, v14, v0
.LBB279_1629:
	s_wait_alu 0xfffe
	s_or_b32 exec_lo, exec_lo, s0
.LBB279_1630:
	s_wait_alu 0xfffe
	s_or_b32 exec_lo, exec_lo, s3
	v_cmp_eq_u32_e32 vcc_lo, 0, v16
	s_wait_loadcnt 0x0
	s_barrier_signal -1
	s_barrier_wait -1
	global_inv scope:SCOPE_SE
	s_and_b32 exec_lo, exec_lo, vcc_lo
	s_cbranch_execz .LBB279_1632
; %bb.1631:
	s_mul_i32 s0, s2, 0xc0
	s_mul_i32 s2, s4, s1
	s_wait_alu 0xfffe
	s_ashr_i32 s1, s0, 31
	s_ashr_i32 s3, s2, 31
	s_wait_alu 0xfffe
	s_lshl_b64 s[0:1], s[0:1], 1
	s_mulk_i32 s11, 0x180
	s_wait_alu 0xfffe
	v_add_co_u32 v4, vcc_lo, v4, s0
	s_wait_alu 0xfffd
	v_add_co_ci_u32_e64 v5, null, s1, v5, vcc_lo
	s_lshl_b64 s[0:1], s[2:3], 1
	v_lshlrev_b32_e32 v14, 1, v28
	s_wait_alu 0xfffe
	v_add_co_u32 v4, vcc_lo, v4, s0
	s_wait_alu 0xfffd
	v_add_co_ci_u32_e64 v5, null, s1, v5, vcc_lo
	;;#ASMSTART
	v_cvt_f16_f32 v13, v13;

	;;#ASMEND
	s_delay_alu instid0(VALU_DEP_2) | instskip(SKIP_1) | instid1(VALU_DEP_2)
	v_add_co_u32 v4, vcc_lo, v4, s11
	s_wait_alu 0xfffd
	v_add_co_ci_u32_e64 v5, null, 0, v5, vcc_lo
	s_delay_alu instid0(VALU_DEP_2) | instskip(SKIP_1) | instid1(VALU_DEP_2)
	v_add_co_u32 v4, vcc_lo, v4, v14
	s_wait_alu 0xfffd
	v_add_co_ci_u32_e64 v5, null, 0, v5, vcc_lo
	flat_store_b16 v[4:5], v13
	;;#ASMSTART
	v_cvt_f16_f32 v12, v12;

	;;#ASMEND
	flat_store_b16 v[4:5], v12 offset:32
	;;#ASMSTART
	v_cvt_f16_f32 v11, v11;

	;;#ASMEND
	flat_store_b16 v[4:5], v11 offset:64
	;; [unrolled: 5-line block ×11, first 2 shown]
.LBB279_1632:
	s_wait_alu 0xfffe
	s_or_b32 exec_lo, exec_lo, s10
	s_clause 0x1f
	scratch_load_b32 v109, off, s32
	scratch_load_b32 v108, off, s32 offset:4
	scratch_load_b32 v107, off, s32 offset:8
	;; [unrolled: 1-line block ×31, first 2 shown]
	s_clause 0x5
	scratch_load_b32 v45, off, s32 offset:128
	scratch_load_b32 v44, off, s32 offset:132
	;; [unrolled: 1-line block ×6, first 2 shown]
	s_wait_loadcnt_dscnt 0x0
	s_setpc_b64 s[30:31]
.LBB279_1633:
	ds_load_b32 v16, v14
	s_wait_dscnt 0x0
	v_add_f32_e32 v13, v16, v13
	s_wait_alu 0xfffe
	s_or_b32 exec_lo, exec_lo, s0
	s_and_saveexec_b32 s0, vcc_lo
	s_cbranch_execz .LBB279_1601
.LBB279_1634:
	ds_load_b32 v16, v14 offset:64
	s_wait_dscnt 0x0
	v_add_f32_e32 v12, v16, v12
	s_wait_alu 0xfffe
	s_or_b32 exec_lo, exec_lo, s0
	s_and_saveexec_b32 s0, vcc_lo
	s_cbranch_execz .LBB279_1602
.LBB279_1635:
	ds_load_b32 v16, v14 offset:128
	s_wait_dscnt 0x0
	v_add_f32_e32 v11, v16, v11
	s_wait_alu 0xfffe
	s_or_b32 exec_lo, exec_lo, s0
	s_and_saveexec_b32 s0, vcc_lo
	s_cbranch_execz .LBB279_1603
.LBB279_1636:
	ds_load_b32 v16, v14 offset:192
	s_wait_dscnt 0x0
	v_add_f32_e32 v10, v16, v10
	s_wait_alu 0xfffe
	s_or_b32 exec_lo, exec_lo, s0
	s_and_saveexec_b32 s0, vcc_lo
	s_cbranch_execz .LBB279_1604
.LBB279_1637:
	ds_load_b32 v16, v14 offset:256
	s_wait_dscnt 0x0
	v_add_f32_e32 v9, v16, v9
	s_wait_alu 0xfffe
	s_or_b32 exec_lo, exec_lo, s0
	s_and_saveexec_b32 s0, vcc_lo
	s_cbranch_execz .LBB279_1605
.LBB279_1638:
	ds_load_b32 v16, v14 offset:320
	s_wait_dscnt 0x0
	v_add_f32_e32 v8, v16, v8
	s_wait_alu 0xfffe
	s_or_b32 exec_lo, exec_lo, s0
	s_and_saveexec_b32 s0, vcc_lo
	s_cbranch_execz .LBB279_1606
.LBB279_1639:
	ds_load_b32 v16, v14 offset:384
	s_wait_dscnt 0x0
	v_add_f32_e32 v7, v16, v7
	s_wait_alu 0xfffe
	s_or_b32 exec_lo, exec_lo, s0
	s_and_saveexec_b32 s0, vcc_lo
	s_cbranch_execz .LBB279_1607
.LBB279_1640:
	ds_load_b32 v16, v14 offset:448
	s_wait_dscnt 0x0
	v_add_f32_e32 v6, v16, v6
	s_wait_alu 0xfffe
	s_or_b32 exec_lo, exec_lo, s0
	s_and_saveexec_b32 s0, vcc_lo
	s_cbranch_execz .LBB279_1608
.LBB279_1641:
	ds_load_b32 v16, v14 offset:512
	s_wait_dscnt 0x0
	v_add_f32_e32 v3, v16, v3
	s_wait_alu 0xfffe
	s_or_b32 exec_lo, exec_lo, s0
	s_and_saveexec_b32 s0, vcc_lo
	s_cbranch_execz .LBB279_1609
.LBB279_1642:
	ds_load_b32 v16, v14 offset:576
	s_wait_dscnt 0x0
	v_add_f32_e32 v2, v16, v2
	s_wait_alu 0xfffe
	s_or_b32 exec_lo, exec_lo, s0
	s_and_saveexec_b32 s0, vcc_lo
	s_cbranch_execz .LBB279_1610
.LBB279_1643:
	ds_load_b32 v16, v14 offset:640
	s_wait_dscnt 0x0
	v_add_f32_e32 v1, v16, v1
	s_wait_alu 0xfffe
	s_or_b32 exec_lo, exec_lo, s0
	s_and_saveexec_b32 s0, vcc_lo
	s_cbranch_execnz .LBB279_1611
	s_branch .LBB279_1612
.LBB279_1644:
	ds_load_b32 v15, v14
	s_wait_dscnt 0x0
	v_add_f32_e32 v13, v15, v13
	s_wait_alu 0xfffe
	s_or_b32 exec_lo, exec_lo, s0
	s_and_saveexec_b32 s0, vcc_lo
	s_cbranch_execz .LBB279_1618
.LBB279_1645:
	ds_load_b32 v15, v14 offset:64
	s_wait_dscnt 0x0
	v_add_f32_e32 v12, v15, v12
	s_wait_alu 0xfffe
	s_or_b32 exec_lo, exec_lo, s0
	s_and_saveexec_b32 s0, vcc_lo
	s_cbranch_execz .LBB279_1619
.LBB279_1646:
	ds_load_b32 v15, v14 offset:128
	s_wait_dscnt 0x0
	v_add_f32_e32 v11, v15, v11
	s_wait_alu 0xfffe
	s_or_b32 exec_lo, exec_lo, s0
	s_and_saveexec_b32 s0, vcc_lo
	s_cbranch_execz .LBB279_1620
.LBB279_1647:
	ds_load_b32 v15, v14 offset:192
	s_wait_dscnt 0x0
	v_add_f32_e32 v10, v15, v10
	s_wait_alu 0xfffe
	s_or_b32 exec_lo, exec_lo, s0
	s_and_saveexec_b32 s0, vcc_lo
	s_cbranch_execz .LBB279_1621
.LBB279_1648:
	ds_load_b32 v15, v14 offset:256
	s_wait_dscnt 0x0
	v_add_f32_e32 v9, v15, v9
	s_wait_alu 0xfffe
	s_or_b32 exec_lo, exec_lo, s0
	s_and_saveexec_b32 s0, vcc_lo
	s_cbranch_execz .LBB279_1622
.LBB279_1649:
	ds_load_b32 v15, v14 offset:320
	s_wait_dscnt 0x0
	v_add_f32_e32 v8, v15, v8
	s_wait_alu 0xfffe
	s_or_b32 exec_lo, exec_lo, s0
	s_and_saveexec_b32 s0, vcc_lo
	s_cbranch_execz .LBB279_1623
.LBB279_1650:
	ds_load_b32 v15, v14 offset:384
	s_wait_dscnt 0x0
	v_add_f32_e32 v7, v15, v7
	s_wait_alu 0xfffe
	s_or_b32 exec_lo, exec_lo, s0
	s_and_saveexec_b32 s0, vcc_lo
	s_cbranch_execz .LBB279_1624
.LBB279_1651:
	ds_load_b32 v15, v14 offset:448
	s_wait_dscnt 0x0
	v_add_f32_e32 v6, v15, v6
	s_wait_alu 0xfffe
	s_or_b32 exec_lo, exec_lo, s0
	s_and_saveexec_b32 s0, vcc_lo
	s_cbranch_execz .LBB279_1625
.LBB279_1652:
	ds_load_b32 v15, v14 offset:512
	s_wait_dscnt 0x0
	v_add_f32_e32 v3, v15, v3
	s_wait_alu 0xfffe
	s_or_b32 exec_lo, exec_lo, s0
	s_and_saveexec_b32 s0, vcc_lo
	s_cbranch_execz .LBB279_1626
.LBB279_1653:
	ds_load_b32 v15, v14 offset:576
	s_wait_dscnt 0x0
	v_add_f32_e32 v2, v15, v2
	s_wait_alu 0xfffe
	s_or_b32 exec_lo, exec_lo, s0
	s_and_saveexec_b32 s0, vcc_lo
	s_cbranch_execz .LBB279_1627
.LBB279_1654:
	ds_load_b32 v15, v14 offset:640
	s_wait_dscnt 0x0
	v_add_f32_e32 v1, v15, v1
	s_wait_alu 0xfffe
	s_or_b32 exec_lo, exec_lo, s0
	s_and_saveexec_b32 s0, vcc_lo
	s_cbranch_execnz .LBB279_1628
	s_branch .LBB279_1629
.Lfunc_end279:
	.size	_ZN4vllm22paged_attention_kernelIthLi192ELi16ELi128ELNS_18Fp8KVCacheDataTypeE1ELb0ELi512EEEvPfS2_PT_PKS3_PKT0_S9_ifPKiSB_iPKfiiiSD_SD_iiiii, .Lfunc_end279-_ZN4vllm22paged_attention_kernelIthLi192ELi16ELi128ELNS_18Fp8KVCacheDataTypeE1ELb0ELi512EEEvPfS2_PT_PKS3_PKT0_S9_ifPKiSB_iPKfiiiSD_SD_iiiii
                                        ; -- End function
	.set .L_ZN4vllm22paged_attention_kernelIthLi192ELi16ELi128ELNS_18Fp8KVCacheDataTypeE1ELb0ELi512EEEvPfS2_PT_PKS3_PKT0_S9_ifPKiSB_iPKfiiiSD_SD_iiiii.num_vgpr, 184
	.set .L_ZN4vllm22paged_attention_kernelIthLi192ELi16ELi128ELNS_18Fp8KVCacheDataTypeE1ELb0ELi512EEEvPfS2_PT_PKS3_PKT0_S9_ifPKiSB_iPKfiiiSD_SD_iiiii.num_agpr, 0
	.set .L_ZN4vllm22paged_attention_kernelIthLi192ELi16ELi128ELNS_18Fp8KVCacheDataTypeE1ELb0ELi512EEEvPfS2_PT_PKS3_PKT0_S9_ifPKiSB_iPKfiiiSD_SD_iiiii.numbered_sgpr, 33
	.set .L_ZN4vllm22paged_attention_kernelIthLi192ELi16ELi128ELNS_18Fp8KVCacheDataTypeE1ELb0ELi512EEEvPfS2_PT_PKS3_PKT0_S9_ifPKiSB_iPKfiiiSD_SD_iiiii.num_named_barrier, 0
	.set .L_ZN4vllm22paged_attention_kernelIthLi192ELi16ELi128ELNS_18Fp8KVCacheDataTypeE1ELb0ELi512EEEvPfS2_PT_PKS3_PKT0_S9_ifPKiSB_iPKfiiiSD_SD_iiiii.private_seg_size, 156
	.set .L_ZN4vllm22paged_attention_kernelIthLi192ELi16ELi128ELNS_18Fp8KVCacheDataTypeE1ELb0ELi512EEEvPfS2_PT_PKS3_PKT0_S9_ifPKiSB_iPKfiiiSD_SD_iiiii.uses_vcc, 1
	.set .L_ZN4vllm22paged_attention_kernelIthLi192ELi16ELi128ELNS_18Fp8KVCacheDataTypeE1ELb0ELi512EEEvPfS2_PT_PKS3_PKT0_S9_ifPKiSB_iPKfiiiSD_SD_iiiii.uses_flat_scratch, 1
	.set .L_ZN4vllm22paged_attention_kernelIthLi192ELi16ELi128ELNS_18Fp8KVCacheDataTypeE1ELb0ELi512EEEvPfS2_PT_PKS3_PKT0_S9_ifPKiSB_iPKfiiiSD_SD_iiiii.has_dyn_sized_stack, 0
	.set .L_ZN4vllm22paged_attention_kernelIthLi192ELi16ELi128ELNS_18Fp8KVCacheDataTypeE1ELb0ELi512EEEvPfS2_PT_PKS3_PKT0_S9_ifPKiSB_iPKfiiiSD_SD_iiiii.has_recursion, 0
	.set .L_ZN4vllm22paged_attention_kernelIthLi192ELi16ELi128ELNS_18Fp8KVCacheDataTypeE1ELb0ELi512EEEvPfS2_PT_PKS3_PKT0_S9_ifPKiSB_iPKfiiiSD_SD_iiiii.has_indirect_call, 0
	.section	.AMDGPU.csdata,"",@progbits
; Function info:
; codeLenInByte = 64296
; TotalNumSgprs: 35
; NumVgprs: 184
; ScratchSize: 156
; MemoryBound: 0
	.section	.text._ZN4vllm25paged_attention_v2_kernelIthLi192ELi16ELi128ELNS_18Fp8KVCacheDataTypeE1ELb0ELi512EEEvPfS2_PT_PKS3_PKT0_S9_ifPKiSB_iPKfiiiSD_SD_iiiii,"axG",@progbits,_ZN4vllm25paged_attention_v2_kernelIthLi192ELi16ELi128ELNS_18Fp8KVCacheDataTypeE1ELb0ELi512EEEvPfS2_PT_PKS3_PKT0_S9_ifPKiSB_iPKfiiiSD_SD_iiiii,comdat
	.protected	_ZN4vllm25paged_attention_v2_kernelIthLi192ELi16ELi128ELNS_18Fp8KVCacheDataTypeE1ELb0ELi512EEEvPfS2_PT_PKS3_PKT0_S9_ifPKiSB_iPKfiiiSD_SD_iiiii ; -- Begin function _ZN4vllm25paged_attention_v2_kernelIthLi192ELi16ELi128ELNS_18Fp8KVCacheDataTypeE1ELb0ELi512EEEvPfS2_PT_PKS3_PKT0_S9_ifPKiSB_iPKfiiiSD_SD_iiiii
	.globl	_ZN4vllm25paged_attention_v2_kernelIthLi192ELi16ELi128ELNS_18Fp8KVCacheDataTypeE1ELb0ELi512EEEvPfS2_PT_PKS3_PKT0_S9_ifPKiSB_iPKfiiiSD_SD_iiiii
	.p2align	8
	.type	_ZN4vllm25paged_attention_v2_kernelIthLi192ELi16ELi128ELNS_18Fp8KVCacheDataTypeE1ELb0ELi512EEEvPfS2_PT_PKS3_PKT0_S9_ifPKiSB_iPKfiiiSD_SD_iiiii,@function
_ZN4vllm25paged_attention_v2_kernelIthLi192ELi16ELi128ELNS_18Fp8KVCacheDataTypeE1ELb0ELi512EEEvPfS2_PT_PKS3_PKT0_S9_ifPKiSB_iPKfiiiSD_SD_iiiii: ; @_ZN4vllm25paged_attention_v2_kernelIthLi192ELi16ELi128ELNS_18Fp8KVCacheDataTypeE1ELb0ELi512EEEvPfS2_PT_PKS3_PKT0_S9_ifPKiSB_iPKfiiiSD_SD_iiiii
; %bb.0:
	s_clause 0x5
	s_load_b256 s[20:27], s[0:1], 0x0
	s_load_b256 s[12:19], s[0:1], 0x20
	s_load_b96 s[28:30], s[0:1], 0x40
	s_load_b64 s[10:11], s[0:1], 0x50
	s_load_b96 s[36:38], s[0:1], 0x58
	s_load_b128 s[4:7], s[0:1], 0x68
	v_mov_b32_e32 v31, v0
	s_getpc_b64 s[2:3]
	s_sext_i32_i16 s3, s3
	s_add_co_u32 s2, s2, _ZN4vllm22paged_attention_kernelIthLi192ELi16ELi128ELNS_18Fp8KVCacheDataTypeE1ELb0ELi512EEEvPfS2_PT_PKS3_PKT0_S9_ifPKiSB_iPKfiiiSD_SD_iiiii@rel32@lo+8
	s_add_co_ci_u32 s3, s3, _ZN4vllm22paged_attention_kernelIthLi192ELi16ELi128ELNS_18Fp8KVCacheDataTypeE1ELb0ELi512EEEvPfS2_PT_PKS3_PKT0_S9_ifPKiSB_iPKfiiiSD_SD_iiiii@rel32@hi+16
	s_add_nc_u64 s[8:9], s[0:1], 0x90
	s_mov_b32 s32, 0
	s_wait_kmcnt 0x0
	v_dual_mov_b32 v17, s29 :: v_dual_mov_b32 v18, s30
	v_dual_mov_b32 v0, s20 :: v_dual_mov_b32 v1, s21
	;; [unrolled: 1-line block ×14, first 2 shown]
	s_mov_b32 s15, 6
	s_wait_alu 0xfffe
	s_swappc_b64 s[30:31], s[2:3]
	s_endpgm
	.section	.rodata,"a",@progbits
	.p2align	6, 0x0
	.amdhsa_kernel _ZN4vllm25paged_attention_v2_kernelIthLi192ELi16ELi128ELNS_18Fp8KVCacheDataTypeE1ELb0ELi512EEEvPfS2_PT_PKS3_PKT0_S9_ifPKiSB_iPKfiiiSD_SD_iiiii
		.amdhsa_group_segment_fixed_size 416
		.amdhsa_private_segment_fixed_size 156
		.amdhsa_kernarg_size 400
		.amdhsa_user_sgpr_count 2
		.amdhsa_user_sgpr_dispatch_ptr 0
		.amdhsa_user_sgpr_queue_ptr 0
		.amdhsa_user_sgpr_kernarg_segment_ptr 1
		.amdhsa_user_sgpr_dispatch_id 0
		.amdhsa_user_sgpr_private_segment_size 0
		.amdhsa_wavefront_size32 1
		.amdhsa_uses_dynamic_stack 0
		.amdhsa_enable_private_segment 1
		.amdhsa_system_sgpr_workgroup_id_x 1
		.amdhsa_system_sgpr_workgroup_id_y 1
		.amdhsa_system_sgpr_workgroup_id_z 1
		.amdhsa_system_sgpr_workgroup_info 0
		.amdhsa_system_vgpr_workitem_id 0
		.amdhsa_next_free_vgpr 184
		.amdhsa_next_free_sgpr 39
		.amdhsa_reserve_vcc 1
		.amdhsa_float_round_mode_32 0
		.amdhsa_float_round_mode_16_64 0
		.amdhsa_float_denorm_mode_32 3
		.amdhsa_float_denorm_mode_16_64 3
		.amdhsa_fp16_overflow 0
		.amdhsa_workgroup_processor_mode 1
		.amdhsa_memory_ordered 1
		.amdhsa_forward_progress 1
		.amdhsa_inst_pref_size 2
		.amdhsa_round_robin_scheduling 0
		.amdhsa_exception_fp_ieee_invalid_op 0
		.amdhsa_exception_fp_denorm_src 0
		.amdhsa_exception_fp_ieee_div_zero 0
		.amdhsa_exception_fp_ieee_overflow 0
		.amdhsa_exception_fp_ieee_underflow 0
		.amdhsa_exception_fp_ieee_inexact 0
		.amdhsa_exception_int_div_zero 0
	.end_amdhsa_kernel
	.section	.text._ZN4vllm25paged_attention_v2_kernelIthLi192ELi16ELi128ELNS_18Fp8KVCacheDataTypeE1ELb0ELi512EEEvPfS2_PT_PKS3_PKT0_S9_ifPKiSB_iPKfiiiSD_SD_iiiii,"axG",@progbits,_ZN4vllm25paged_attention_v2_kernelIthLi192ELi16ELi128ELNS_18Fp8KVCacheDataTypeE1ELb0ELi512EEEvPfS2_PT_PKS3_PKT0_S9_ifPKiSB_iPKfiiiSD_SD_iiiii,comdat
.Lfunc_end280:
	.size	_ZN4vllm25paged_attention_v2_kernelIthLi192ELi16ELi128ELNS_18Fp8KVCacheDataTypeE1ELb0ELi512EEEvPfS2_PT_PKS3_PKT0_S9_ifPKiSB_iPKfiiiSD_SD_iiiii, .Lfunc_end280-_ZN4vllm25paged_attention_v2_kernelIthLi192ELi16ELi128ELNS_18Fp8KVCacheDataTypeE1ELb0ELi512EEEvPfS2_PT_PKS3_PKT0_S9_ifPKiSB_iPKfiiiSD_SD_iiiii
                                        ; -- End function
	.set _ZN4vllm25paged_attention_v2_kernelIthLi192ELi16ELi128ELNS_18Fp8KVCacheDataTypeE1ELb0ELi512EEEvPfS2_PT_PKS3_PKT0_S9_ifPKiSB_iPKfiiiSD_SD_iiiii.num_vgpr, max(32, .L_ZN4vllm22paged_attention_kernelIthLi192ELi16ELi128ELNS_18Fp8KVCacheDataTypeE1ELb0ELi512EEEvPfS2_PT_PKS3_PKT0_S9_ifPKiSB_iPKfiiiSD_SD_iiiii.num_vgpr)
	.set _ZN4vllm25paged_attention_v2_kernelIthLi192ELi16ELi128ELNS_18Fp8KVCacheDataTypeE1ELb0ELi512EEEvPfS2_PT_PKS3_PKT0_S9_ifPKiSB_iPKfiiiSD_SD_iiiii.num_agpr, max(0, .L_ZN4vllm22paged_attention_kernelIthLi192ELi16ELi128ELNS_18Fp8KVCacheDataTypeE1ELb0ELi512EEEvPfS2_PT_PKS3_PKT0_S9_ifPKiSB_iPKfiiiSD_SD_iiiii.num_agpr)
	.set _ZN4vllm25paged_attention_v2_kernelIthLi192ELi16ELi128ELNS_18Fp8KVCacheDataTypeE1ELb0ELi512EEEvPfS2_PT_PKS3_PKT0_S9_ifPKiSB_iPKfiiiSD_SD_iiiii.numbered_sgpr, max(39, .L_ZN4vllm22paged_attention_kernelIthLi192ELi16ELi128ELNS_18Fp8KVCacheDataTypeE1ELb0ELi512EEEvPfS2_PT_PKS3_PKT0_S9_ifPKiSB_iPKfiiiSD_SD_iiiii.numbered_sgpr)
	.set _ZN4vllm25paged_attention_v2_kernelIthLi192ELi16ELi128ELNS_18Fp8KVCacheDataTypeE1ELb0ELi512EEEvPfS2_PT_PKS3_PKT0_S9_ifPKiSB_iPKfiiiSD_SD_iiiii.num_named_barrier, max(0, .L_ZN4vllm22paged_attention_kernelIthLi192ELi16ELi128ELNS_18Fp8KVCacheDataTypeE1ELb0ELi512EEEvPfS2_PT_PKS3_PKT0_S9_ifPKiSB_iPKfiiiSD_SD_iiiii.num_named_barrier)
	.set _ZN4vllm25paged_attention_v2_kernelIthLi192ELi16ELi128ELNS_18Fp8KVCacheDataTypeE1ELb0ELi512EEEvPfS2_PT_PKS3_PKT0_S9_ifPKiSB_iPKfiiiSD_SD_iiiii.private_seg_size, 0+max(.L_ZN4vllm22paged_attention_kernelIthLi192ELi16ELi128ELNS_18Fp8KVCacheDataTypeE1ELb0ELi512EEEvPfS2_PT_PKS3_PKT0_S9_ifPKiSB_iPKfiiiSD_SD_iiiii.private_seg_size)
	.set _ZN4vllm25paged_attention_v2_kernelIthLi192ELi16ELi128ELNS_18Fp8KVCacheDataTypeE1ELb0ELi512EEEvPfS2_PT_PKS3_PKT0_S9_ifPKiSB_iPKfiiiSD_SD_iiiii.uses_vcc, or(1, .L_ZN4vllm22paged_attention_kernelIthLi192ELi16ELi128ELNS_18Fp8KVCacheDataTypeE1ELb0ELi512EEEvPfS2_PT_PKS3_PKT0_S9_ifPKiSB_iPKfiiiSD_SD_iiiii.uses_vcc)
	.set _ZN4vllm25paged_attention_v2_kernelIthLi192ELi16ELi128ELNS_18Fp8KVCacheDataTypeE1ELb0ELi512EEEvPfS2_PT_PKS3_PKT0_S9_ifPKiSB_iPKfiiiSD_SD_iiiii.uses_flat_scratch, or(0, .L_ZN4vllm22paged_attention_kernelIthLi192ELi16ELi128ELNS_18Fp8KVCacheDataTypeE1ELb0ELi512EEEvPfS2_PT_PKS3_PKT0_S9_ifPKiSB_iPKfiiiSD_SD_iiiii.uses_flat_scratch)
	.set _ZN4vllm25paged_attention_v2_kernelIthLi192ELi16ELi128ELNS_18Fp8KVCacheDataTypeE1ELb0ELi512EEEvPfS2_PT_PKS3_PKT0_S9_ifPKiSB_iPKfiiiSD_SD_iiiii.has_dyn_sized_stack, or(0, .L_ZN4vllm22paged_attention_kernelIthLi192ELi16ELi128ELNS_18Fp8KVCacheDataTypeE1ELb0ELi512EEEvPfS2_PT_PKS3_PKT0_S9_ifPKiSB_iPKfiiiSD_SD_iiiii.has_dyn_sized_stack)
	.set _ZN4vllm25paged_attention_v2_kernelIthLi192ELi16ELi128ELNS_18Fp8KVCacheDataTypeE1ELb0ELi512EEEvPfS2_PT_PKS3_PKT0_S9_ifPKiSB_iPKfiiiSD_SD_iiiii.has_recursion, or(0, .L_ZN4vllm22paged_attention_kernelIthLi192ELi16ELi128ELNS_18Fp8KVCacheDataTypeE1ELb0ELi512EEEvPfS2_PT_PKS3_PKT0_S9_ifPKiSB_iPKfiiiSD_SD_iiiii.has_recursion)
	.set _ZN4vllm25paged_attention_v2_kernelIthLi192ELi16ELi128ELNS_18Fp8KVCacheDataTypeE1ELb0ELi512EEEvPfS2_PT_PKS3_PKT0_S9_ifPKiSB_iPKfiiiSD_SD_iiiii.has_indirect_call, or(0, .L_ZN4vllm22paged_attention_kernelIthLi192ELi16ELi128ELNS_18Fp8KVCacheDataTypeE1ELb0ELi512EEEvPfS2_PT_PKS3_PKT0_S9_ifPKiSB_iPKfiiiSD_SD_iiiii.has_indirect_call)
	.section	.AMDGPU.csdata,"",@progbits
; Kernel info:
; codeLenInByte = 224
; TotalNumSgprs: 41
; NumVgprs: 184
; ScratchSize: 156
; MemoryBound: 0
; FloatMode: 240
; IeeeMode: 1
; LDSByteSize: 416 bytes/workgroup (compile time only)
; SGPRBlocks: 0
; VGPRBlocks: 22
; NumSGPRsForWavesPerEU: 41
; NumVGPRsForWavesPerEU: 184
; Occupancy: 8
; WaveLimiterHint : 1
; COMPUTE_PGM_RSRC2:SCRATCH_EN: 1
; COMPUTE_PGM_RSRC2:USER_SGPR: 2
; COMPUTE_PGM_RSRC2:TRAP_HANDLER: 0
; COMPUTE_PGM_RSRC2:TGID_X_EN: 1
; COMPUTE_PGM_RSRC2:TGID_Y_EN: 1
; COMPUTE_PGM_RSRC2:TGID_Z_EN: 1
; COMPUTE_PGM_RSRC2:TIDIG_COMP_CNT: 0
	.text
	.p2align	2                               ; -- Begin function _ZN4vllm22paged_attention_kernelIthLi256ELi16ELi128ELNS_18Fp8KVCacheDataTypeE1ELb0ELi512EEEvPfS2_PT_PKS3_PKT0_S9_ifPKiSB_iPKfiiiSD_SD_iiiii
	.type	_ZN4vllm22paged_attention_kernelIthLi256ELi16ELi128ELNS_18Fp8KVCacheDataTypeE1ELb0ELi512EEEvPfS2_PT_PKS3_PKT0_S9_ifPKiSB_iPKfiiiSD_SD_iiiii,@function
_ZN4vllm22paged_attention_kernelIthLi256ELi16ELi128ELNS_18Fp8KVCacheDataTypeE1ELb0ELi512EEEvPfS2_PT_PKS3_PKT0_S9_ifPKiSB_iPKfiiiSD_SD_iiiii: ; @_ZN4vllm22paged_attention_kernelIthLi256ELi16ELi128ELNS_18Fp8KVCacheDataTypeE1ELb0ELi512EEEvPfS2_PT_PKS3_PKT0_S9_ifPKiSB_iPKfiiiSD_SD_iiiii
; %bb.0:
	s_wait_loadcnt_dscnt 0x0
	s_wait_expcnt 0x0
	s_wait_samplecnt 0x0
	s_wait_bvhcnt 0x0
	s_wait_kmcnt 0x0
	s_clause 0x1f
	scratch_store_b32 off, v40, s32 offset:268
	; meta instruction
	scratch_store_b32 off, v41, s32 offset:264
	; meta instruction
	scratch_store_b32 off, v42, s32 offset:260
	; meta instruction
	scratch_store_b32 off, v43, s32 offset:256
	; meta instruction
	scratch_store_b32 off, v44, s32 offset:252
	; meta instruction
	scratch_store_b32 off, v45, s32 offset:248
	; meta instruction
	scratch_store_b32 off, v46, s32 offset:244
	; meta instruction
	scratch_store_b32 off, v47, s32 offset:240
	; meta instruction
	scratch_store_b32 off, v56, s32 offset:236
	; meta instruction
	scratch_store_b32 off, v57, s32 offset:232
	; meta instruction
	scratch_store_b32 off, v58, s32 offset:228
	; meta instruction
	scratch_store_b32 off, v59, s32 offset:224
	; meta instruction
	scratch_store_b32 off, v60, s32 offset:220
	; meta instruction
	scratch_store_b32 off, v61, s32 offset:216
	; meta instruction
	scratch_store_b32 off, v62, s32 offset:212
	; meta instruction
	scratch_store_b32 off, v63, s32 offset:208
	; meta instruction
	scratch_store_b32 off, v72, s32 offset:204
	; meta instruction
	scratch_store_b32 off, v73, s32 offset:200
	; meta instruction
	scratch_store_b32 off, v74, s32 offset:196
	; meta instruction
	scratch_store_b32 off, v75, s32 offset:192
	; meta instruction
	scratch_store_b32 off, v76, s32 offset:188
	; meta instruction
	scratch_store_b32 off, v77, s32 offset:184
	; meta instruction
	scratch_store_b32 off, v78, s32 offset:180
	; meta instruction
	scratch_store_b32 off, v79, s32 offset:176
	; meta instruction
	scratch_store_b32 off, v88, s32 offset:172
	; meta instruction
	scratch_store_b32 off, v89, s32 offset:168
	; meta instruction
	scratch_store_b32 off, v90, s32 offset:164
	; meta instruction
	scratch_store_b32 off, v91, s32 offset:160
	; meta instruction
	scratch_store_b32 off, v92, s32 offset:156
	; meta instruction
	scratch_store_b32 off, v93, s32 offset:152
	; meta instruction
	scratch_store_b32 off, v94, s32 offset:148
	; meta instruction
	scratch_store_b32 off, v95, s32 offset:144
	s_clause 0x1f
	scratch_store_b32 off, v104, s32 offset:140
	; meta instruction
	scratch_store_b32 off, v105, s32 offset:136
	; meta instruction
	;; [unrolled: 2-line block ×31, first 2 shown]
	scratch_store_b32 off, v159, s32 offset:16
	s_clause 0x3
	scratch_store_b32 off, v168, s32 offset:12
	; meta instruction
	scratch_store_b32 off, v169, s32 offset:8
	; meta instruction
	;; [unrolled: 2-line block ×3, first 2 shown]
	scratch_store_b32 off, v171, s32
	s_and_b32 s14, ttmp7, 0xffff
	s_lshr_b32 s5, ttmp7, 16
	s_wait_alu 0xfffe
	s_lshl_b32 s0, s14, 2
	s_lshl_b32 s13, s5, 9
	s_wait_alu 0xfffe
	v_add_co_u32 v16, vcc_lo, v16, s0
	s_wait_alu 0xfffd
	v_add_co_ci_u32_e64 v17, null, 0, v17, vcc_lo
	s_mov_b32 s12, exec_lo
	flat_load_b32 v32, v[16:17]
	s_wait_loadcnt_dscnt 0x0
	v_cmpx_lt_i32_e64 s13, v32
	s_cbranch_execz .LBB281_2160
; %bb.1:
	v_sub_nc_u32_e32 v16, 0, v12
	s_clause 0x1
	s_load_u16 s0, s[8:9], 0x12
	s_load_b32 s1, s[8:9], 0x0
	s_mov_b32 s10, s15
	v_max_i32_e32 v16, v12, v16
	s_delay_alu instid0(VALU_DEP_1) | instskip(SKIP_1) | instid1(VALU_DEP_2)
	v_cvt_f32_u32_e32 v17, v16
	v_sub_nc_u32_e32 v28, 0, v16
	v_rcp_iflag_f32_e32 v17, v17
	v_mov_b32_e32 v48, 0
	s_wait_kmcnt 0x0
	s_cmp_lg_u32 s0, 0
	s_cselect_b32 s0, -1, 0
	s_delay_alu instid0(TRANS32_DEP_1)
	v_mul_f32_e32 v17, 0x4f7ffffe, v17
	global_load_u16 v29, v48, s[8:9] offset:22
	s_wait_alu 0xfffe
	s_cmp_lg_u32 s0, 0
	s_add_co_ci_u32 s15, s1, 0
	v_cvt_u32_f32_e32 v17, v17
	s_abs_i32 s1, ttmp9
	s_wait_alu 0xfffe
	s_abs_i32 s0, s15
	v_xor_b32_e32 v12, s15, v12
	v_mul_lo_u32 v28, v28, v17
	s_delay_alu instid0(VALU_DEP_2) | instskip(NEXT) | instid1(VALU_DEP_2)
	v_ashrrev_i32_e32 v12, 31, v12
	v_mul_hi_u32 v28, v17, v28
	s_delay_alu instid0(VALU_DEP_1) | instskip(SKIP_1) | instid1(VALU_DEP_1)
	v_add_nc_u32_e32 v17, v17, v28
	s_wait_alu 0xfffe
	v_mul_hi_u32 v17, s0, v17
	s_delay_alu instid0(VALU_DEP_1) | instskip(SKIP_1) | instid1(VALU_DEP_2)
	v_mul_lo_u32 v28, v17, v16
	v_add_nc_u32_e32 v30, 1, v17
	v_sub_nc_u32_e32 v28, s0, v28
	s_mov_b32 s0, exec_lo
	s_delay_alu instid0(VALU_DEP_1) | instskip(SKIP_2) | instid1(VALU_DEP_2)
	v_sub_nc_u32_e32 v33, v28, v16
	v_cmp_ge_u32_e32 vcc_lo, v28, v16
	s_wait_alu 0xfffd
	v_dual_cndmask_b32 v17, v17, v30 :: v_dual_cndmask_b32 v28, v28, v33
	s_delay_alu instid0(VALU_DEP_1) | instskip(NEXT) | instid1(VALU_DEP_2)
	v_add_nc_u32_e32 v30, 1, v17
	v_cmp_ge_u32_e32 vcc_lo, v28, v16
	s_wait_alu 0xfffd
	s_delay_alu instid0(VALU_DEP_2) | instskip(NEXT) | instid1(VALU_DEP_1)
	v_cndmask_b32_e32 v16, v17, v30, vcc_lo
	v_xor_b32_e32 v16, v16, v12
	s_delay_alu instid0(VALU_DEP_1) | instskip(NEXT) | instid1(VALU_DEP_1)
	v_sub_nc_u32_e32 v28, v16, v12
	v_sub_nc_u32_e32 v12, 0, v28
	s_delay_alu instid0(VALU_DEP_1) | instskip(NEXT) | instid1(VALU_DEP_1)
	v_max_i32_e32 v12, v28, v12
	v_cvt_f32_u32_e32 v16, v12
	v_sub_nc_u32_e32 v17, 0, v12
	s_delay_alu instid0(VALU_DEP_2) | instskip(NEXT) | instid1(TRANS32_DEP_1)
	v_rcp_iflag_f32_e32 v16, v16
	v_mul_f32_e32 v16, 0x4f7ffffe, v16
	s_delay_alu instid0(VALU_DEP_1) | instskip(NEXT) | instid1(VALU_DEP_1)
	v_cvt_u32_f32_e32 v16, v16
	v_mul_lo_u32 v17, v17, v16
	s_delay_alu instid0(VALU_DEP_1) | instskip(NEXT) | instid1(VALU_DEP_1)
	v_mul_hi_u32 v17, v16, v17
	v_add_nc_u32_e32 v16, v16, v17
	s_delay_alu instid0(VALU_DEP_1)
	v_mad_co_u64_u32 v[16:17], null, s1, v16, 0
	s_wait_loadcnt 0x0
	v_readfirstlane_b32 s16, v29
	v_cmpx_ne_u64_e32 0, v[19:20]
	s_cbranch_execz .LBB281_3
; %bb.2:
	s_wait_alu 0xfffe
	s_mov_b32 s2, ttmp9
	s_ashr_i32 s3, ttmp9, 31
	s_wait_alu 0xfffe
	s_lshl_b64 s[2:3], s[2:3], 2
	s_wait_alu 0xfffe
	v_add_co_u32 v19, vcc_lo, v19, s2
	s_wait_alu 0xfffd
	v_add_co_ci_u32_e64 v20, null, s3, v20, vcc_lo
	flat_load_b32 v48, v[19:20]
.LBB281_3:
	s_wait_alu 0xfffe
	s_or_b32 exec_lo, exec_lo, s0
	v_and_b32_e32 v29, 0x3ff, v31
	v_ashrrev_i32_e32 v16, 31, v28
	v_bfe_u32 v28, v31, 1, 9
	v_and_b32_e32 v30, 1, v31
	s_ashr_i32 s2, ttmp9, 31
	v_cmp_gt_u32_e64 s0, 64, v29
	v_lshlrev_b32_e32 v35, 3, v29
	s_lshl_b32 s6, ttmp9, 8
	s_and_saveexec_b32 s3, s0
	s_cbranch_execz .LBB281_5
; %bb.4:
	v_mul_lo_u32 v19, v21, s14
	s_wait_alu 0xfffe
	s_ashr_i32 s7, s6, 31
	s_wait_alu 0xfffe
	s_lshl_b64 s[18:19], s[6:7], 1
	s_delay_alu instid0(VALU_DEP_1) | instskip(NEXT) | instid1(VALU_DEP_1)
	v_ashrrev_i32_e32 v20, 31, v19
	v_lshlrev_b64_e32 v[19:20], 1, v[19:20]
	s_delay_alu instid0(VALU_DEP_1) | instskip(SKIP_1) | instid1(VALU_DEP_2)
	v_add_co_u32 v6, vcc_lo, v6, v19
	s_wait_alu 0xfffd
	v_add_co_ci_u32_e64 v7, null, v7, v20, vcc_lo
	v_lshlrev_b32_e32 v19, 3, v28
	s_wait_alu 0xfffe
	v_add_co_u32 v6, vcc_lo, v6, s18
	s_wait_alu 0xfffd
	v_add_co_ci_u32_e64 v7, null, s19, v7, vcc_lo
	v_lshl_add_u32 v19, v30, 8, v19
	s_delay_alu instid0(VALU_DEP_3) | instskip(SKIP_1) | instid1(VALU_DEP_3)
	v_add_co_u32 v6, vcc_lo, v6, v35
	s_wait_alu 0xfffd
	v_add_co_ci_u32_e64 v7, null, 0, v7, vcc_lo
	flat_load_b64 v[6:7], v[6:7]
	s_wait_loadcnt_dscnt 0x0
	ds_store_b64 v19, v[6:7]
.LBB281_5:
	s_wait_alu 0xfffe
	s_or_b32 exec_lo, exec_lo, s3
	v_mul_lo_u32 v6, v17, v12
	v_add_nc_u32_e32 v7, 15, v32
	v_add_nc_u32_e32 v20, 1, v17
	v_lshrrev_b32_e32 v31, 5, v29
	v_xor_b32_e32 v16, s2, v16
	s_lshl_b32 s17, s5, 5
	v_ashrrev_i32_e32 v19, 31, v7
	v_mbcnt_lo_u32_b32 v39, -1, 0
	v_sub_nc_u32_e32 v6, s1, v6
	s_wait_alu 0xfffe
	s_add_co_i32 s1, s17, 32
	v_or_b32_e32 v34, s17, v31
	v_lshrrev_b32_e32 v19, 28, v19
	s_wait_storecnt 0x0
	s_wait_loadcnt_dscnt 0x0
	v_sub_nc_u32_e32 v21, v6, v12
	v_cmp_ge_u32_e32 vcc_lo, v6, v12
	s_barrier_signal -1
	v_add_nc_u32_e32 v7, v7, v19
	s_barrier_wait -1
	global_inv scope:SCOPE_SE
	s_wait_alu 0xfffd
	v_cndmask_b32_e32 v17, v17, v20, vcc_lo
	v_cndmask_b32_e32 v19, v6, v21, vcc_lo
	v_ashrrev_i32_e32 v36, 4, v7
	v_mul_lo_u32 v6, v18, s14
                                        ; implicit-def: $vgpr49
	s_delay_alu instid0(VALU_DEP_4) | instskip(NEXT) | instid1(VALU_DEP_4)
	v_add_nc_u32_e32 v20, 1, v17
	v_cmp_ge_u32_e32 vcc_lo, v19, v12
	s_wait_alu 0xfffe
	v_min_i32_e32 v33, s1, v36
	s_wait_alu 0xfffd
	v_cndmask_b32_e32 v7, v17, v20, vcc_lo
	s_delay_alu instid0(VALU_DEP_2) | instskip(NEXT) | instid1(VALU_DEP_2)
	v_cmp_ge_i32_e64 s1, v34, v33
                                        ; implicit-def: $vgpr17
	v_xor_b32_e32 v12, v7, v16
	v_ashrrev_i32_e32 v7, 31, v6
	s_delay_alu instid0(VALU_DEP_2)
	v_sub_nc_u32_e32 v12, v12, v16
	s_and_saveexec_b32 s2, s1
	s_wait_alu 0xfffe
	s_xor_b32 s2, exec_lo, s2
; %bb.6:
	v_mov_b32_e32 v17, 0
	v_mbcnt_lo_u32_b32 v39, -1, 0
	v_mov_b32_e32 v49, 32
                                        ; implicit-def: $vgpr48
                                        ; implicit-def: $vgpr13
                                        ; implicit-def: $vgpr24
                                        ; implicit-def: $vgpr8
                                        ; implicit-def: $vgpr9
; %bb.7:
	s_wait_alu 0xfffe
	s_or_saveexec_b32 s18, s2
	s_load_b32 s7, s[8:9], 0x8
	v_mul_lo_u32 v37, v12, v23
	v_lshlrev_b64_e32 v[6:7], 2, v[6:7]
	v_dual_mov_b32 v50, 0xff7fffff :: v_dual_lshlrev_b32 v23, 2, v34
	s_delay_alu instid0(VALU_DEP_3)
	v_ashrrev_i32_e32 v38, 31, v37
	s_xor_b32 exec_lo, exec_lo, s18
	s_cbranch_execz .LBB281_1037
; %bb.8:
	v_bfe_u32 v12, v29, 1, 4
	v_add_co_u32 v8, vcc_lo, v8, v37
	s_wait_alu 0xfffd
	v_add_co_ci_u32_e64 v9, null, v9, v38, vcc_lo
	s_delay_alu instid0(VALU_DEP_3) | instskip(SKIP_2) | instid1(VALU_DEP_3)
	v_dual_mov_b32 v17, 0 :: v_dual_lshlrev_b32 v16, 4, v12
	v_dual_mov_b32 v55, v34 :: v_dual_lshlrev_b32 v20, 4, v31
	v_lshlrev_b32_e32 v21, 2, v12
	v_add_co_u32 v8, vcc_lo, v8, v16
	v_dual_mov_b32 v49, 32 :: v_dual_lshlrev_b32 v16, 2, v30
	s_wait_alu 0xfffd
	v_add_co_ci_u32_e64 v9, null, 0, v9, vcc_lo
	s_ashr_i32 s11, s10, 31
	v_add_co_u32 v8, s3, v8, v16
	s_wait_alu 0xf1ff
	v_add_co_ci_u32_e64 v9, null, 0, v9, s3
	v_add_co_u32 v16, s3, v6, v23
	s_wait_alu 0xf1ff
	v_add_co_ci_u32_e64 v19, null, 0, v7, s3
	v_dual_mov_b32 v50, 0xff7fffff :: v_dual_lshlrev_b32 v51, 8, v30
	s_delay_alu instid0(VALU_DEP_3)
	v_add_co_u32 v18, s3, v14, v16
	v_cmp_neq_f32_e64 s2, 0, v48
	s_getpc_b64 s[8:9]
	s_wait_alu 0xfffe
	s_sext_i32_i16 s9, s9
	s_add_co_u32 s8, s8, llvm.amdgcn.dynlds.offset.table@rel32@lo+12
	s_wait_alu 0xfffe
	s_add_co_ci_u32 s9, s9, llvm.amdgcn.dynlds.offset.table@rel32@hi+24
	v_add_co_ci_u32_e64 v19, null, v15, v19, s3
	v_sub_nc_u32_e32 v52, 1, v32
	v_add3_u32 v53, s13, v20, v12
	v_lshl_or_b32 v54, v31, 6, v21
	s_lshl_b64 s[20:21], s[10:11], 2
	s_mov_b32 s11, 0
	s_wait_alu 0xfffe
	s_add_nc_u64 s[8:9], s[8:9], s[20:21]
	v_cmp_eq_u32_e32 vcc_lo, 0, v30
	s_branch .LBB281_10
.LBB281_9:                              ;   in Loop: Header=BB281_10 Depth=1
	s_wait_alu 0xfffe
	s_or_b32 exec_lo, exec_lo, s4
	v_add_nc_u32_e32 v55, 4, v55
	v_add_co_u32 v18, s4, v18, 16
	s_wait_alu 0xf1ff
	v_add_co_ci_u32_e64 v19, null, 0, v19, s4
	s_delay_alu instid0(VALU_DEP_3)
	v_cmp_ge_i32_e64 s3, v55, v33
	v_add_nc_u32_e32 v53, 64, v53
	v_add_nc_u32_e32 v54, 0x100, v54
	s_or_b32 s11, s3, s11
	s_wait_alu 0xfffe
	s_and_not1_b32 exec_lo, exec_lo, s11
	s_cbranch_execz .LBB281_1036
.LBB281_10:                             ; =>This Inner Loop Header: Depth=1
	flat_load_b32 v12, v[18:19]
	v_mov_b32_e32 v66, 0
	s_mov_b32 s4, exec_lo
	v_mov_b32_e32 v65, 0
	s_wait_loadcnt_dscnt 0x0
	v_mad_co_i64_i32 v[20:21], null, v12, v22, v[8:9]
	flat_load_b32 v12, v[20:21]
	flat_load_b32 v64, v[24:25]
	s_wait_loadcnt_dscnt 0x101
	v_and_b32_e32 v16, 0xff, v12
	s_delay_alu instid0(VALU_DEP_1)
	v_cmpx_ne_u16_e32 0, v16
	s_cbranch_execz .LBB281_18
; %bb.11:                               ;   in Loop: Header=BB281_10 Depth=1
	v_mov_b32_e32 v66, 0x8000
	s_mov_b32 s19, exec_lo
	v_cmpx_ne_u16_e32 0x80, v16
	s_cbranch_execz .LBB281_17
; %bb.12:                               ;   in Loop: Header=BB281_10 Depth=1
	v_and_b32_e32 v67, 0x7f, v12
	v_mov_b32_e32 v66, 0x7c01
	s_mov_b32 s20, exec_lo
	s_delay_alu instid0(VALU_DEP_2)
	v_cmpx_ne_u32_e32 0x7f, v67
	s_cbranch_execz .LBB281_16
; %bb.13:                               ;   in Loop: Header=BB281_10 Depth=1
	v_and_b32_e32 v16, 7, v12
	v_lshrrev_b32_e32 v66, 3, v67
	s_mov_b32 s21, exec_lo
	v_cmpx_gt_u32_e32 8, v67
; %bb.14:                               ;   in Loop: Header=BB281_10 Depth=1
	s_delay_alu instid0(VALU_DEP_3) | instskip(NEXT) | instid1(VALU_DEP_1)
	v_clz_i32_u32_e32 v16, v16
	v_min_u32_e32 v16, 32, v16
	s_delay_alu instid0(VALU_DEP_1) | instskip(NEXT) | instid1(VALU_DEP_1)
	v_subrev_nc_u32_e32 v66, 28, v16
	v_lshlrev_b64_e32 v[67:68], v66, v[12:13]
	v_sub_nc_u32_e32 v66, 29, v16
	s_delay_alu instid0(VALU_DEP_2)
	v_and_b32_e32 v16, 7, v67
; %bb.15:                               ;   in Loop: Header=BB281_10 Depth=1
	s_wait_alu 0xfffe
	s_or_b32 exec_lo, exec_lo, s21
	v_lshlrev_b32_e32 v67, 8, v12
	v_lshl_add_u32 v66, v66, 10, 0x2000
	v_lshlrev_b32_e32 v16, 7, v16
	s_delay_alu instid0(VALU_DEP_3) | instskip(NEXT) | instid1(VALU_DEP_3)
	v_and_b32_e32 v67, 0x8000, v67
	v_and_b32_e32 v66, 0xfc00, v66
	s_delay_alu instid0(VALU_DEP_1)
	v_or3_b32 v66, v67, v66, v16
.LBB281_16:                             ;   in Loop: Header=BB281_10 Depth=1
	s_wait_alu 0xfffe
	s_or_b32 exec_lo, exec_lo, s20
.LBB281_17:                             ;   in Loop: Header=BB281_10 Depth=1
	s_wait_alu 0xfffe
	s_or_b32 exec_lo, exec_lo, s19
.LBB281_18:                             ;   in Loop: Header=BB281_10 Depth=1
	s_wait_alu 0xfffe
	s_or_b32 exec_lo, exec_lo, s4
	v_lshrrev_b16 v16, 8, v12
	s_mov_b32 s4, exec_lo
	s_delay_alu instid0(VALU_DEP_1)
	v_cmpx_ne_u16_e32 0, v16
	s_cbranch_execz .LBB281_26
; %bb.19:                               ;   in Loop: Header=BB281_10 Depth=1
	v_bfrev_b32_e32 v65, 1
	s_mov_b32 s19, exec_lo
	v_cmpx_ne_u16_e32 0x80, v16
	s_cbranch_execz .LBB281_25
; %bb.20:                               ;   in Loop: Header=BB281_10 Depth=1
	v_and_b32_e32 v67, 0xffff, v16
	v_mov_b32_e32 v65, 0x7c010000
	s_mov_b32 s20, exec_lo
	s_delay_alu instid0(VALU_DEP_2) | instskip(NEXT) | instid1(VALU_DEP_1)
	v_and_b32_e32 v69, 0x7f, v67
	v_cmpx_ne_u32_e32 0x7f, v69
	s_cbranch_execz .LBB281_24
; %bb.21:                               ;   in Loop: Header=BB281_10 Depth=1
	v_and_b32_e32 v65, 7, v67
	v_lshrrev_b32_e32 v68, 3, v69
	s_mov_b32 s21, exec_lo
	v_cmpx_gt_u32_e32 8, v69
; %bb.22:                               ;   in Loop: Header=BB281_10 Depth=1
	s_delay_alu instid0(VALU_DEP_3) | instskip(NEXT) | instid1(VALU_DEP_1)
	v_clz_i32_u32_e32 v65, v65
	v_min_u32_e32 v65, 32, v65
	s_delay_alu instid0(VALU_DEP_1) | instskip(NEXT) | instid1(VALU_DEP_1)
	v_subrev_nc_u32_e32 v68, 28, v65
	v_lshlrev_b64_e32 v[69:70], v68, v[16:17]
	v_sub_nc_u32_e32 v68, 29, v65
	s_delay_alu instid0(VALU_DEP_2)
	v_and_b32_e32 v65, 7, v69
; %bb.23:                               ;   in Loop: Header=BB281_10 Depth=1
	s_wait_alu 0xfffe
	s_or_b32 exec_lo, exec_lo, s21
	v_lshlrev_b32_e32 v16, 8, v67
	v_lshl_add_u32 v67, v68, 10, 0x2000
	v_lshlrev_b32_e32 v65, 23, v65
	s_delay_alu instid0(VALU_DEP_2) | instskip(NEXT) | instid1(VALU_DEP_1)
	v_and_or_b32 v16, 0x8000, v16, v67
	v_lshl_or_b32 v65, v16, 16, v65
.LBB281_24:                             ;   in Loop: Header=BB281_10 Depth=1
	s_wait_alu 0xfffe
	s_or_b32 exec_lo, exec_lo, s20
.LBB281_25:                             ;   in Loop: Header=BB281_10 Depth=1
	s_wait_alu 0xfffe
	s_or_b32 exec_lo, exec_lo, s19
.LBB281_26:                             ;   in Loop: Header=BB281_10 Depth=1
	s_wait_alu 0xfffe
	s_or_b32 exec_lo, exec_lo, s4
	v_lshrrev_b32_e32 v16, 16, v12
	v_mov_b32_e32 v67, 0
	s_mov_b32 s4, exec_lo
	s_delay_alu instid0(VALU_DEP_2) | instskip(NEXT) | instid1(VALU_DEP_1)
	v_dual_mov_b32 v68, 0 :: v_dual_and_b32 v69, 0xff, v16
	v_cmpx_ne_u16_e32 0, v69
	s_cbranch_execz .LBB281_34
; %bb.27:                               ;   in Loop: Header=BB281_10 Depth=1
	v_mov_b32_e32 v68, 0x8000
	s_mov_b32 s19, exec_lo
	v_cmpx_ne_u16_e32 0x80, v69
	s_cbranch_execz .LBB281_33
; %bb.28:                               ;   in Loop: Header=BB281_10 Depth=1
	v_bfe_u32 v70, v12, 16, 7
	v_mov_b32_e32 v68, 0x7c01
	s_mov_b32 s20, exec_lo
	s_delay_alu instid0(VALU_DEP_2)
	v_cmpx_ne_u32_e32 0x7f, v70
	s_cbranch_execz .LBB281_32
; %bb.29:                               ;   in Loop: Header=BB281_10 Depth=1
	v_and_b32_e32 v68, 7, v16
	v_lshrrev_b32_e32 v69, 3, v70
	s_mov_b32 s21, exec_lo
	v_cmpx_gt_u32_e32 8, v70
; %bb.30:                               ;   in Loop: Header=BB281_10 Depth=1
	s_delay_alu instid0(VALU_DEP_3) | instskip(NEXT) | instid1(VALU_DEP_1)
	v_clz_i32_u32_e32 v68, v68
	v_min_u32_e32 v70, 32, v68
	s_delay_alu instid0(VALU_DEP_1) | instskip(NEXT) | instid1(VALU_DEP_1)
	v_subrev_nc_u32_e32 v68, 28, v70
	v_lshlrev_b64_e32 v[68:69], v68, v[16:17]
	v_sub_nc_u32_e32 v69, 29, v70
	s_delay_alu instid0(VALU_DEP_2)
	v_and_b32_e32 v68, 7, v68
; %bb.31:                               ;   in Loop: Header=BB281_10 Depth=1
	s_wait_alu 0xfffe
	s_or_b32 exec_lo, exec_lo, s21
	v_lshlrev_b32_e32 v16, 8, v16
	v_lshl_add_u32 v69, v69, 10, 0x2000
	v_lshlrev_b32_e32 v68, 7, v68
	s_delay_alu instid0(VALU_DEP_3) | instskip(NEXT) | instid1(VALU_DEP_3)
	v_and_b32_e32 v16, 0x8000, v16
	v_and_b32_e32 v69, 0xfc00, v69
	s_delay_alu instid0(VALU_DEP_1)
	v_or3_b32 v68, v16, v69, v68
.LBB281_32:                             ;   in Loop: Header=BB281_10 Depth=1
	s_wait_alu 0xfffe
	s_or_b32 exec_lo, exec_lo, s20
.LBB281_33:                             ;   in Loop: Header=BB281_10 Depth=1
	s_wait_alu 0xfffe
	s_or_b32 exec_lo, exec_lo, s19
.LBB281_34:                             ;   in Loop: Header=BB281_10 Depth=1
	s_wait_alu 0xfffe
	s_or_b32 exec_lo, exec_lo, s4
	s_delay_alu instid0(SALU_CYCLE_1)
	s_mov_b32 s4, exec_lo
	v_cmpx_lt_u32_e32 0xffffff, v12
	s_cbranch_execz .LBB281_42
; %bb.35:                               ;   in Loop: Header=BB281_10 Depth=1
	v_lshrrev_b32_e32 v16, 24, v12
	v_bfrev_b32_e32 v67, 1
	s_mov_b32 s19, exec_lo
	s_delay_alu instid0(VALU_DEP_2)
	v_cmpx_ne_u32_e32 0x80, v16
	s_cbranch_execz .LBB281_41
; %bb.36:                               ;   in Loop: Header=BB281_10 Depth=1
	v_and_b32_e32 v69, 0x7f, v16
	v_mov_b32_e32 v67, 0x7c010000
	s_mov_b32 s20, exec_lo
	s_delay_alu instid0(VALU_DEP_2)
	v_cmpx_ne_u32_e32 0x7f, v69
	s_cbranch_execz .LBB281_40
; %bb.37:                               ;   in Loop: Header=BB281_10 Depth=1
	v_and_b32_e32 v12, 7, v16
	v_lshrrev_b32_e32 v67, 3, v69
	s_mov_b32 s21, exec_lo
	v_cmpx_gt_u32_e32 8, v69
; %bb.38:                               ;   in Loop: Header=BB281_10 Depth=1
	s_delay_alu instid0(VALU_DEP_3) | instskip(NEXT) | instid1(VALU_DEP_1)
	v_clz_i32_u32_e32 v12, v12
	v_min_u32_e32 v12, 32, v12
	s_delay_alu instid0(VALU_DEP_1) | instskip(NEXT) | instid1(VALU_DEP_1)
	v_subrev_nc_u32_e32 v67, 28, v12
	v_lshlrev_b64_e32 v[69:70], v67, v[16:17]
	v_sub_nc_u32_e32 v67, 29, v12
	s_delay_alu instid0(VALU_DEP_2)
	v_and_b32_e32 v12, 7, v69
; %bb.39:                               ;   in Loop: Header=BB281_10 Depth=1
	s_wait_alu 0xfffe
	s_or_b32 exec_lo, exec_lo, s21
	v_lshlrev_b32_e32 v16, 8, v16
	v_lshl_add_u32 v67, v67, 10, 0x2000
	v_lshlrev_b32_e32 v12, 23, v12
	s_delay_alu instid0(VALU_DEP_2) | instskip(NEXT) | instid1(VALU_DEP_1)
	v_and_or_b32 v16, 0x8000, v16, v67
	v_lshl_or_b32 v67, v16, 16, v12
.LBB281_40:                             ;   in Loop: Header=BB281_10 Depth=1
	s_wait_alu 0xfffe
	s_or_b32 exec_lo, exec_lo, s20
.LBB281_41:                             ;   in Loop: Header=BB281_10 Depth=1
	s_wait_alu 0xfffe
	s_or_b32 exec_lo, exec_lo, s19
.LBB281_42:                             ;   in Loop: Header=BB281_10 Depth=1
	s_wait_alu 0xfffe
	s_or_b32 exec_lo, exec_lo, s4
	flat_load_b32 v12, v[20:21] offset:8
	v_mov_b32_e32 v70, 0
	s_mov_b32 s4, exec_lo
	s_wait_loadcnt_dscnt 0x0
	v_dual_mov_b32 v69, 0 :: v_dual_and_b32 v16, 0xff, v12
	s_delay_alu instid0(VALU_DEP_1)
	v_cmpx_ne_u16_e32 0, v16
	s_cbranch_execz .LBB281_50
; %bb.43:                               ;   in Loop: Header=BB281_10 Depth=1
	v_mov_b32_e32 v70, 0x8000
	s_mov_b32 s19, exec_lo
	v_cmpx_ne_u16_e32 0x80, v16
	s_cbranch_execz .LBB281_49
; %bb.44:                               ;   in Loop: Header=BB281_10 Depth=1
	v_and_b32_e32 v71, 0x7f, v12
	v_mov_b32_e32 v70, 0x7c01
	s_mov_b32 s20, exec_lo
	s_delay_alu instid0(VALU_DEP_2)
	v_cmpx_ne_u32_e32 0x7f, v71
	s_cbranch_execz .LBB281_48
; %bb.45:                               ;   in Loop: Header=BB281_10 Depth=1
	v_and_b32_e32 v16, 7, v12
	v_lshrrev_b32_e32 v70, 3, v71
	s_mov_b32 s21, exec_lo
	v_cmpx_gt_u32_e32 8, v71
; %bb.46:                               ;   in Loop: Header=BB281_10 Depth=1
	s_delay_alu instid0(VALU_DEP_3) | instskip(NEXT) | instid1(VALU_DEP_1)
	v_clz_i32_u32_e32 v16, v16
	v_min_u32_e32 v16, 32, v16
	s_delay_alu instid0(VALU_DEP_1) | instskip(NEXT) | instid1(VALU_DEP_1)
	v_subrev_nc_u32_e32 v70, 28, v16
	v_lshlrev_b64_e32 v[80:81], v70, v[12:13]
	v_sub_nc_u32_e32 v70, 29, v16
	s_delay_alu instid0(VALU_DEP_2)
	v_and_b32_e32 v16, 7, v80
; %bb.47:                               ;   in Loop: Header=BB281_10 Depth=1
	s_wait_alu 0xfffe
	s_or_b32 exec_lo, exec_lo, s21
	v_lshlrev_b32_e32 v71, 8, v12
	v_lshl_add_u32 v70, v70, 10, 0x2000
	v_lshlrev_b32_e32 v16, 7, v16
	s_delay_alu instid0(VALU_DEP_3) | instskip(NEXT) | instid1(VALU_DEP_3)
	v_and_b32_e32 v71, 0x8000, v71
	v_and_b32_e32 v70, 0xfc00, v70
	s_delay_alu instid0(VALU_DEP_1)
	v_or3_b32 v70, v71, v70, v16
.LBB281_48:                             ;   in Loop: Header=BB281_10 Depth=1
	s_wait_alu 0xfffe
	s_or_b32 exec_lo, exec_lo, s20
.LBB281_49:                             ;   in Loop: Header=BB281_10 Depth=1
	s_wait_alu 0xfffe
	s_or_b32 exec_lo, exec_lo, s19
.LBB281_50:                             ;   in Loop: Header=BB281_10 Depth=1
	s_wait_alu 0xfffe
	s_or_b32 exec_lo, exec_lo, s4
	v_lshrrev_b16 v16, 8, v12
	s_mov_b32 s4, exec_lo
	s_delay_alu instid0(VALU_DEP_1)
	v_cmpx_ne_u16_e32 0, v16
	s_cbranch_execz .LBB281_58
; %bb.51:                               ;   in Loop: Header=BB281_10 Depth=1
	v_bfrev_b32_e32 v69, 1
	s_mov_b32 s19, exec_lo
	v_cmpx_ne_u16_e32 0x80, v16
	s_cbranch_execz .LBB281_57
; %bb.52:                               ;   in Loop: Header=BB281_10 Depth=1
	v_and_b32_e32 v71, 0xffff, v16
	v_mov_b32_e32 v69, 0x7c010000
	s_mov_b32 s20, exec_lo
	s_delay_alu instid0(VALU_DEP_2) | instskip(NEXT) | instid1(VALU_DEP_1)
	v_and_b32_e32 v81, 0x7f, v71
	v_cmpx_ne_u32_e32 0x7f, v81
	s_cbranch_execz .LBB281_56
; %bb.53:                               ;   in Loop: Header=BB281_10 Depth=1
	v_and_b32_e32 v69, 7, v71
	v_lshrrev_b32_e32 v80, 3, v81
	s_mov_b32 s21, exec_lo
	v_cmpx_gt_u32_e32 8, v81
; %bb.54:                               ;   in Loop: Header=BB281_10 Depth=1
	s_delay_alu instid0(VALU_DEP_3) | instskip(NEXT) | instid1(VALU_DEP_1)
	v_clz_i32_u32_e32 v69, v69
	v_min_u32_e32 v69, 32, v69
	s_delay_alu instid0(VALU_DEP_1) | instskip(NEXT) | instid1(VALU_DEP_1)
	v_subrev_nc_u32_e32 v80, 28, v69
	v_lshlrev_b64_e32 v[81:82], v80, v[16:17]
	v_sub_nc_u32_e32 v80, 29, v69
	s_delay_alu instid0(VALU_DEP_2)
	v_and_b32_e32 v69, 7, v81
; %bb.55:                               ;   in Loop: Header=BB281_10 Depth=1
	s_wait_alu 0xfffe
	s_or_b32 exec_lo, exec_lo, s21
	v_lshlrev_b32_e32 v16, 8, v71
	v_lshl_add_u32 v71, v80, 10, 0x2000
	v_lshlrev_b32_e32 v69, 23, v69
	s_delay_alu instid0(VALU_DEP_2) | instskip(NEXT) | instid1(VALU_DEP_1)
	v_and_or_b32 v16, 0x8000, v16, v71
	v_lshl_or_b32 v69, v16, 16, v69
.LBB281_56:                             ;   in Loop: Header=BB281_10 Depth=1
	s_wait_alu 0xfffe
	s_or_b32 exec_lo, exec_lo, s20
.LBB281_57:                             ;   in Loop: Header=BB281_10 Depth=1
	s_wait_alu 0xfffe
	s_or_b32 exec_lo, exec_lo, s19
.LBB281_58:                             ;   in Loop: Header=BB281_10 Depth=1
	s_wait_alu 0xfffe
	s_or_b32 exec_lo, exec_lo, s4
	v_lshrrev_b32_e32 v16, 16, v12
	v_mov_b32_e32 v71, 0
	s_mov_b32 s4, exec_lo
	s_delay_alu instid0(VALU_DEP_2) | instskip(NEXT) | instid1(VALU_DEP_1)
	v_dual_mov_b32 v80, 0 :: v_dual_and_b32 v81, 0xff, v16
	v_cmpx_ne_u16_e32 0, v81
	s_cbranch_execz .LBB281_66
; %bb.59:                               ;   in Loop: Header=BB281_10 Depth=1
	v_mov_b32_e32 v80, 0x8000
	s_mov_b32 s19, exec_lo
	v_cmpx_ne_u16_e32 0x80, v81
	s_cbranch_execz .LBB281_65
; %bb.60:                               ;   in Loop: Header=BB281_10 Depth=1
	v_bfe_u32 v82, v12, 16, 7
	v_mov_b32_e32 v80, 0x7c01
	s_mov_b32 s20, exec_lo
	s_delay_alu instid0(VALU_DEP_2)
	v_cmpx_ne_u32_e32 0x7f, v82
	s_cbranch_execz .LBB281_64
; %bb.61:                               ;   in Loop: Header=BB281_10 Depth=1
	v_and_b32_e32 v80, 7, v16
	v_lshrrev_b32_e32 v81, 3, v82
	s_mov_b32 s21, exec_lo
	v_cmpx_gt_u32_e32 8, v82
; %bb.62:                               ;   in Loop: Header=BB281_10 Depth=1
	s_delay_alu instid0(VALU_DEP_3) | instskip(NEXT) | instid1(VALU_DEP_1)
	v_clz_i32_u32_e32 v80, v80
	v_min_u32_e32 v82, 32, v80
	s_delay_alu instid0(VALU_DEP_1) | instskip(NEXT) | instid1(VALU_DEP_1)
	v_subrev_nc_u32_e32 v80, 28, v82
	v_lshlrev_b64_e32 v[80:81], v80, v[16:17]
	v_sub_nc_u32_e32 v81, 29, v82
	s_delay_alu instid0(VALU_DEP_2)
	v_and_b32_e32 v80, 7, v80
; %bb.63:                               ;   in Loop: Header=BB281_10 Depth=1
	s_wait_alu 0xfffe
	s_or_b32 exec_lo, exec_lo, s21
	v_lshlrev_b32_e32 v16, 8, v16
	v_lshl_add_u32 v81, v81, 10, 0x2000
	v_lshlrev_b32_e32 v80, 7, v80
	s_delay_alu instid0(VALU_DEP_3) | instskip(NEXT) | instid1(VALU_DEP_3)
	v_and_b32_e32 v16, 0x8000, v16
	v_and_b32_e32 v81, 0xfc00, v81
	s_delay_alu instid0(VALU_DEP_1)
	v_or3_b32 v80, v16, v81, v80
.LBB281_64:                             ;   in Loop: Header=BB281_10 Depth=1
	s_wait_alu 0xfffe
	s_or_b32 exec_lo, exec_lo, s20
.LBB281_65:                             ;   in Loop: Header=BB281_10 Depth=1
	s_wait_alu 0xfffe
	s_or_b32 exec_lo, exec_lo, s19
.LBB281_66:                             ;   in Loop: Header=BB281_10 Depth=1
	s_wait_alu 0xfffe
	s_or_b32 exec_lo, exec_lo, s4
	s_delay_alu instid0(SALU_CYCLE_1)
	s_mov_b32 s4, exec_lo
	v_cmpx_lt_u32_e32 0xffffff, v12
	s_cbranch_execz .LBB281_74
; %bb.67:                               ;   in Loop: Header=BB281_10 Depth=1
	v_lshrrev_b32_e32 v16, 24, v12
	v_bfrev_b32_e32 v71, 1
	s_mov_b32 s19, exec_lo
	s_delay_alu instid0(VALU_DEP_2)
	v_cmpx_ne_u32_e32 0x80, v16
	s_cbranch_execz .LBB281_73
; %bb.68:                               ;   in Loop: Header=BB281_10 Depth=1
	v_and_b32_e32 v81, 0x7f, v16
	v_mov_b32_e32 v71, 0x7c010000
	s_mov_b32 s20, exec_lo
	s_delay_alu instid0(VALU_DEP_2)
	v_cmpx_ne_u32_e32 0x7f, v81
	s_cbranch_execz .LBB281_72
; %bb.69:                               ;   in Loop: Header=BB281_10 Depth=1
	v_and_b32_e32 v12, 7, v16
	v_lshrrev_b32_e32 v71, 3, v81
	s_mov_b32 s21, exec_lo
	v_cmpx_gt_u32_e32 8, v81
; %bb.70:                               ;   in Loop: Header=BB281_10 Depth=1
	s_delay_alu instid0(VALU_DEP_3) | instskip(NEXT) | instid1(VALU_DEP_1)
	v_clz_i32_u32_e32 v12, v12
	v_min_u32_e32 v12, 32, v12
	s_delay_alu instid0(VALU_DEP_1) | instskip(NEXT) | instid1(VALU_DEP_1)
	v_subrev_nc_u32_e32 v71, 28, v12
	v_lshlrev_b64_e32 v[81:82], v71, v[16:17]
	v_sub_nc_u32_e32 v71, 29, v12
	s_delay_alu instid0(VALU_DEP_2)
	v_and_b32_e32 v12, 7, v81
; %bb.71:                               ;   in Loop: Header=BB281_10 Depth=1
	s_wait_alu 0xfffe
	s_or_b32 exec_lo, exec_lo, s21
	v_lshlrev_b32_e32 v16, 8, v16
	v_lshl_add_u32 v71, v71, 10, 0x2000
	v_lshlrev_b32_e32 v12, 23, v12
	s_delay_alu instid0(VALU_DEP_2) | instskip(NEXT) | instid1(VALU_DEP_1)
	v_and_or_b32 v16, 0x8000, v16, v71
	v_lshl_or_b32 v71, v16, 16, v12
.LBB281_72:                             ;   in Loop: Header=BB281_10 Depth=1
	s_wait_alu 0xfffe
	s_or_b32 exec_lo, exec_lo, s20
.LBB281_73:                             ;   in Loop: Header=BB281_10 Depth=1
	s_wait_alu 0xfffe
	s_or_b32 exec_lo, exec_lo, s19
.LBB281_74:                             ;   in Loop: Header=BB281_10 Depth=1
	s_wait_alu 0xfffe
	s_or_b32 exec_lo, exec_lo, s4
	flat_load_b32 v12, v[20:21] offset:256
	v_mov_b32_e32 v82, 0
	s_mov_b32 s4, exec_lo
	s_wait_loadcnt_dscnt 0x0
	v_dual_mov_b32 v81, 0 :: v_dual_and_b32 v16, 0xff, v12
	s_delay_alu instid0(VALU_DEP_1)
	v_cmpx_ne_u16_e32 0, v16
	s_cbranch_execz .LBB281_82
; %bb.75:                               ;   in Loop: Header=BB281_10 Depth=1
	v_mov_b32_e32 v82, 0x8000
	s_mov_b32 s19, exec_lo
	v_cmpx_ne_u16_e32 0x80, v16
	s_cbranch_execz .LBB281_81
; %bb.76:                               ;   in Loop: Header=BB281_10 Depth=1
	v_and_b32_e32 v83, 0x7f, v12
	v_mov_b32_e32 v82, 0x7c01
	s_mov_b32 s20, exec_lo
	s_delay_alu instid0(VALU_DEP_2)
	v_cmpx_ne_u32_e32 0x7f, v83
	s_cbranch_execz .LBB281_80
; %bb.77:                               ;   in Loop: Header=BB281_10 Depth=1
	v_and_b32_e32 v16, 7, v12
	v_lshrrev_b32_e32 v82, 3, v83
	s_mov_b32 s21, exec_lo
	v_cmpx_gt_u32_e32 8, v83
; %bb.78:                               ;   in Loop: Header=BB281_10 Depth=1
	s_delay_alu instid0(VALU_DEP_3) | instskip(NEXT) | instid1(VALU_DEP_1)
	v_clz_i32_u32_e32 v16, v16
	v_min_u32_e32 v16, 32, v16
	s_delay_alu instid0(VALU_DEP_1) | instskip(NEXT) | instid1(VALU_DEP_1)
	v_subrev_nc_u32_e32 v82, 28, v16
	v_lshlrev_b64_e32 v[83:84], v82, v[12:13]
	v_sub_nc_u32_e32 v82, 29, v16
	s_delay_alu instid0(VALU_DEP_2)
	v_and_b32_e32 v16, 7, v83
; %bb.79:                               ;   in Loop: Header=BB281_10 Depth=1
	s_wait_alu 0xfffe
	s_or_b32 exec_lo, exec_lo, s21
	v_lshlrev_b32_e32 v83, 8, v12
	v_lshl_add_u32 v82, v82, 10, 0x2000
	v_lshlrev_b32_e32 v16, 7, v16
	s_delay_alu instid0(VALU_DEP_3) | instskip(NEXT) | instid1(VALU_DEP_3)
	v_and_b32_e32 v83, 0x8000, v83
	v_and_b32_e32 v82, 0xfc00, v82
	s_delay_alu instid0(VALU_DEP_1)
	v_or3_b32 v82, v83, v82, v16
.LBB281_80:                             ;   in Loop: Header=BB281_10 Depth=1
	s_wait_alu 0xfffe
	s_or_b32 exec_lo, exec_lo, s20
.LBB281_81:                             ;   in Loop: Header=BB281_10 Depth=1
	s_wait_alu 0xfffe
	s_or_b32 exec_lo, exec_lo, s19
.LBB281_82:                             ;   in Loop: Header=BB281_10 Depth=1
	s_wait_alu 0xfffe
	s_or_b32 exec_lo, exec_lo, s4
	v_lshrrev_b16 v16, 8, v12
	s_mov_b32 s4, exec_lo
	s_delay_alu instid0(VALU_DEP_1)
	v_cmpx_ne_u16_e32 0, v16
	s_cbranch_execz .LBB281_90
; %bb.83:                               ;   in Loop: Header=BB281_10 Depth=1
	v_bfrev_b32_e32 v81, 1
	s_mov_b32 s19, exec_lo
	v_cmpx_ne_u16_e32 0x80, v16
	s_cbranch_execz .LBB281_89
; %bb.84:                               ;   in Loop: Header=BB281_10 Depth=1
	v_and_b32_e32 v83, 0xffff, v16
	v_mov_b32_e32 v81, 0x7c010000
	s_mov_b32 s20, exec_lo
	s_delay_alu instid0(VALU_DEP_2) | instskip(NEXT) | instid1(VALU_DEP_1)
	v_and_b32_e32 v85, 0x7f, v83
	v_cmpx_ne_u32_e32 0x7f, v85
	s_cbranch_execz .LBB281_88
; %bb.85:                               ;   in Loop: Header=BB281_10 Depth=1
	v_and_b32_e32 v81, 7, v83
	v_lshrrev_b32_e32 v84, 3, v85
	s_mov_b32 s21, exec_lo
	v_cmpx_gt_u32_e32 8, v85
; %bb.86:                               ;   in Loop: Header=BB281_10 Depth=1
	s_delay_alu instid0(VALU_DEP_3) | instskip(NEXT) | instid1(VALU_DEP_1)
	v_clz_i32_u32_e32 v81, v81
	v_min_u32_e32 v81, 32, v81
	s_delay_alu instid0(VALU_DEP_1) | instskip(NEXT) | instid1(VALU_DEP_1)
	v_subrev_nc_u32_e32 v84, 28, v81
	v_lshlrev_b64_e32 v[85:86], v84, v[16:17]
	v_sub_nc_u32_e32 v84, 29, v81
	s_delay_alu instid0(VALU_DEP_2)
	v_and_b32_e32 v81, 7, v85
; %bb.87:                               ;   in Loop: Header=BB281_10 Depth=1
	s_wait_alu 0xfffe
	s_or_b32 exec_lo, exec_lo, s21
	v_lshlrev_b32_e32 v16, 8, v83
	v_lshl_add_u32 v83, v84, 10, 0x2000
	v_lshlrev_b32_e32 v81, 23, v81
	s_delay_alu instid0(VALU_DEP_2) | instskip(NEXT) | instid1(VALU_DEP_1)
	v_and_or_b32 v16, 0x8000, v16, v83
	v_lshl_or_b32 v81, v16, 16, v81
.LBB281_88:                             ;   in Loop: Header=BB281_10 Depth=1
	s_wait_alu 0xfffe
	s_or_b32 exec_lo, exec_lo, s20
.LBB281_89:                             ;   in Loop: Header=BB281_10 Depth=1
	s_wait_alu 0xfffe
	s_or_b32 exec_lo, exec_lo, s19
.LBB281_90:                             ;   in Loop: Header=BB281_10 Depth=1
	s_wait_alu 0xfffe
	s_or_b32 exec_lo, exec_lo, s4
	v_lshrrev_b32_e32 v16, 16, v12
	v_mov_b32_e32 v83, 0
	s_mov_b32 s4, exec_lo
	s_delay_alu instid0(VALU_DEP_2) | instskip(NEXT) | instid1(VALU_DEP_1)
	v_dual_mov_b32 v84, 0 :: v_dual_and_b32 v85, 0xff, v16
	v_cmpx_ne_u16_e32 0, v85
	s_cbranch_execz .LBB281_98
; %bb.91:                               ;   in Loop: Header=BB281_10 Depth=1
	v_mov_b32_e32 v84, 0x8000
	s_mov_b32 s19, exec_lo
	v_cmpx_ne_u16_e32 0x80, v85
	s_cbranch_execz .LBB281_97
; %bb.92:                               ;   in Loop: Header=BB281_10 Depth=1
	v_bfe_u32 v86, v12, 16, 7
	v_mov_b32_e32 v84, 0x7c01
	s_mov_b32 s20, exec_lo
	s_delay_alu instid0(VALU_DEP_2)
	v_cmpx_ne_u32_e32 0x7f, v86
	s_cbranch_execz .LBB281_96
; %bb.93:                               ;   in Loop: Header=BB281_10 Depth=1
	v_and_b32_e32 v84, 7, v16
	v_lshrrev_b32_e32 v85, 3, v86
	s_mov_b32 s21, exec_lo
	v_cmpx_gt_u32_e32 8, v86
; %bb.94:                               ;   in Loop: Header=BB281_10 Depth=1
	s_delay_alu instid0(VALU_DEP_3) | instskip(NEXT) | instid1(VALU_DEP_1)
	v_clz_i32_u32_e32 v84, v84
	v_min_u32_e32 v86, 32, v84
	s_delay_alu instid0(VALU_DEP_1) | instskip(NEXT) | instid1(VALU_DEP_1)
	v_subrev_nc_u32_e32 v84, 28, v86
	v_lshlrev_b64_e32 v[84:85], v84, v[16:17]
	v_sub_nc_u32_e32 v85, 29, v86
	s_delay_alu instid0(VALU_DEP_2)
	v_and_b32_e32 v84, 7, v84
; %bb.95:                               ;   in Loop: Header=BB281_10 Depth=1
	s_wait_alu 0xfffe
	s_or_b32 exec_lo, exec_lo, s21
	v_lshlrev_b32_e32 v16, 8, v16
	v_lshl_add_u32 v85, v85, 10, 0x2000
	v_lshlrev_b32_e32 v84, 7, v84
	s_delay_alu instid0(VALU_DEP_3) | instskip(NEXT) | instid1(VALU_DEP_3)
	v_and_b32_e32 v16, 0x8000, v16
	v_and_b32_e32 v85, 0xfc00, v85
	s_delay_alu instid0(VALU_DEP_1)
	v_or3_b32 v84, v16, v85, v84
.LBB281_96:                             ;   in Loop: Header=BB281_10 Depth=1
	s_wait_alu 0xfffe
	s_or_b32 exec_lo, exec_lo, s20
.LBB281_97:                             ;   in Loop: Header=BB281_10 Depth=1
	s_wait_alu 0xfffe
	s_or_b32 exec_lo, exec_lo, s19
.LBB281_98:                             ;   in Loop: Header=BB281_10 Depth=1
	s_wait_alu 0xfffe
	s_or_b32 exec_lo, exec_lo, s4
	s_delay_alu instid0(SALU_CYCLE_1)
	s_mov_b32 s4, exec_lo
	v_cmpx_lt_u32_e32 0xffffff, v12
	s_cbranch_execz .LBB281_106
; %bb.99:                               ;   in Loop: Header=BB281_10 Depth=1
	v_lshrrev_b32_e32 v16, 24, v12
	v_bfrev_b32_e32 v83, 1
	s_mov_b32 s19, exec_lo
	s_delay_alu instid0(VALU_DEP_2)
	v_cmpx_ne_u32_e32 0x80, v16
	s_cbranch_execz .LBB281_105
; %bb.100:                              ;   in Loop: Header=BB281_10 Depth=1
	v_and_b32_e32 v85, 0x7f, v16
	v_mov_b32_e32 v83, 0x7c010000
	s_mov_b32 s20, exec_lo
	s_delay_alu instid0(VALU_DEP_2)
	v_cmpx_ne_u32_e32 0x7f, v85
	s_cbranch_execz .LBB281_104
; %bb.101:                              ;   in Loop: Header=BB281_10 Depth=1
	v_and_b32_e32 v12, 7, v16
	v_lshrrev_b32_e32 v83, 3, v85
	s_mov_b32 s21, exec_lo
	v_cmpx_gt_u32_e32 8, v85
; %bb.102:                              ;   in Loop: Header=BB281_10 Depth=1
	s_delay_alu instid0(VALU_DEP_3) | instskip(NEXT) | instid1(VALU_DEP_1)
	v_clz_i32_u32_e32 v12, v12
	v_min_u32_e32 v12, 32, v12
	s_delay_alu instid0(VALU_DEP_1) | instskip(NEXT) | instid1(VALU_DEP_1)
	v_subrev_nc_u32_e32 v83, 28, v12
	v_lshlrev_b64_e32 v[85:86], v83, v[16:17]
	v_sub_nc_u32_e32 v83, 29, v12
	s_delay_alu instid0(VALU_DEP_2)
	v_and_b32_e32 v12, 7, v85
; %bb.103:                              ;   in Loop: Header=BB281_10 Depth=1
	s_wait_alu 0xfffe
	s_or_b32 exec_lo, exec_lo, s21
	v_lshlrev_b32_e32 v16, 8, v16
	v_lshl_add_u32 v83, v83, 10, 0x2000
	v_lshlrev_b32_e32 v12, 23, v12
	s_delay_alu instid0(VALU_DEP_2) | instskip(NEXT) | instid1(VALU_DEP_1)
	v_and_or_b32 v16, 0x8000, v16, v83
	v_lshl_or_b32 v83, v16, 16, v12
.LBB281_104:                            ;   in Loop: Header=BB281_10 Depth=1
	s_wait_alu 0xfffe
	s_or_b32 exec_lo, exec_lo, s20
.LBB281_105:                            ;   in Loop: Header=BB281_10 Depth=1
	s_wait_alu 0xfffe
	s_or_b32 exec_lo, exec_lo, s19
.LBB281_106:                            ;   in Loop: Header=BB281_10 Depth=1
	s_wait_alu 0xfffe
	s_or_b32 exec_lo, exec_lo, s4
	flat_load_b32 v12, v[20:21] offset:264
	v_mov_b32_e32 v86, 0
	s_mov_b32 s4, exec_lo
	s_wait_loadcnt_dscnt 0x0
	v_dual_mov_b32 v85, 0 :: v_dual_and_b32 v16, 0xff, v12
	s_delay_alu instid0(VALU_DEP_1)
	v_cmpx_ne_u16_e32 0, v16
	s_cbranch_execz .LBB281_114
; %bb.107:                              ;   in Loop: Header=BB281_10 Depth=1
	v_mov_b32_e32 v86, 0x8000
	s_mov_b32 s19, exec_lo
	v_cmpx_ne_u16_e32 0x80, v16
	s_cbranch_execz .LBB281_113
; %bb.108:                              ;   in Loop: Header=BB281_10 Depth=1
	v_and_b32_e32 v87, 0x7f, v12
	v_mov_b32_e32 v86, 0x7c01
	s_mov_b32 s20, exec_lo
	s_delay_alu instid0(VALU_DEP_2)
	v_cmpx_ne_u32_e32 0x7f, v87
	s_cbranch_execz .LBB281_112
; %bb.109:                              ;   in Loop: Header=BB281_10 Depth=1
	v_and_b32_e32 v16, 7, v12
	v_lshrrev_b32_e32 v86, 3, v87
	s_mov_b32 s21, exec_lo
	v_cmpx_gt_u32_e32 8, v87
; %bb.110:                              ;   in Loop: Header=BB281_10 Depth=1
	s_delay_alu instid0(VALU_DEP_3) | instskip(NEXT) | instid1(VALU_DEP_1)
	v_clz_i32_u32_e32 v16, v16
	v_min_u32_e32 v16, 32, v16
	s_delay_alu instid0(VALU_DEP_1) | instskip(NEXT) | instid1(VALU_DEP_1)
	v_subrev_nc_u32_e32 v86, 28, v16
	v_lshlrev_b64_e32 v[96:97], v86, v[12:13]
	v_sub_nc_u32_e32 v86, 29, v16
	s_delay_alu instid0(VALU_DEP_2)
	v_and_b32_e32 v16, 7, v96
; %bb.111:                              ;   in Loop: Header=BB281_10 Depth=1
	s_wait_alu 0xfffe
	s_or_b32 exec_lo, exec_lo, s21
	v_lshlrev_b32_e32 v87, 8, v12
	v_lshl_add_u32 v86, v86, 10, 0x2000
	v_lshlrev_b32_e32 v16, 7, v16
	s_delay_alu instid0(VALU_DEP_3) | instskip(NEXT) | instid1(VALU_DEP_3)
	v_and_b32_e32 v87, 0x8000, v87
	v_and_b32_e32 v86, 0xfc00, v86
	s_delay_alu instid0(VALU_DEP_1)
	v_or3_b32 v86, v87, v86, v16
.LBB281_112:                            ;   in Loop: Header=BB281_10 Depth=1
	s_wait_alu 0xfffe
	s_or_b32 exec_lo, exec_lo, s20
.LBB281_113:                            ;   in Loop: Header=BB281_10 Depth=1
	s_wait_alu 0xfffe
	s_or_b32 exec_lo, exec_lo, s19
.LBB281_114:                            ;   in Loop: Header=BB281_10 Depth=1
	s_wait_alu 0xfffe
	s_or_b32 exec_lo, exec_lo, s4
	v_lshrrev_b16 v16, 8, v12
	s_mov_b32 s4, exec_lo
	s_delay_alu instid0(VALU_DEP_1)
	v_cmpx_ne_u16_e32 0, v16
	s_cbranch_execz .LBB281_122
; %bb.115:                              ;   in Loop: Header=BB281_10 Depth=1
	v_bfrev_b32_e32 v85, 1
	s_mov_b32 s19, exec_lo
	v_cmpx_ne_u16_e32 0x80, v16
	s_cbranch_execz .LBB281_121
; %bb.116:                              ;   in Loop: Header=BB281_10 Depth=1
	v_and_b32_e32 v87, 0xffff, v16
	v_mov_b32_e32 v85, 0x7c010000
	s_mov_b32 s20, exec_lo
	s_delay_alu instid0(VALU_DEP_2) | instskip(NEXT) | instid1(VALU_DEP_1)
	v_and_b32_e32 v97, 0x7f, v87
	v_cmpx_ne_u32_e32 0x7f, v97
	s_cbranch_execz .LBB281_120
; %bb.117:                              ;   in Loop: Header=BB281_10 Depth=1
	v_and_b32_e32 v85, 7, v87
	v_lshrrev_b32_e32 v96, 3, v97
	s_mov_b32 s21, exec_lo
	v_cmpx_gt_u32_e32 8, v97
; %bb.118:                              ;   in Loop: Header=BB281_10 Depth=1
	s_delay_alu instid0(VALU_DEP_3) | instskip(NEXT) | instid1(VALU_DEP_1)
	v_clz_i32_u32_e32 v85, v85
	v_min_u32_e32 v85, 32, v85
	s_delay_alu instid0(VALU_DEP_1) | instskip(NEXT) | instid1(VALU_DEP_1)
	v_subrev_nc_u32_e32 v96, 28, v85
	v_lshlrev_b64_e32 v[97:98], v96, v[16:17]
	v_sub_nc_u32_e32 v96, 29, v85
	s_delay_alu instid0(VALU_DEP_2)
	v_and_b32_e32 v85, 7, v97
; %bb.119:                              ;   in Loop: Header=BB281_10 Depth=1
	s_wait_alu 0xfffe
	s_or_b32 exec_lo, exec_lo, s21
	v_lshlrev_b32_e32 v16, 8, v87
	v_lshl_add_u32 v87, v96, 10, 0x2000
	v_lshlrev_b32_e32 v85, 23, v85
	s_delay_alu instid0(VALU_DEP_2) | instskip(NEXT) | instid1(VALU_DEP_1)
	v_and_or_b32 v16, 0x8000, v16, v87
	v_lshl_or_b32 v85, v16, 16, v85
.LBB281_120:                            ;   in Loop: Header=BB281_10 Depth=1
	s_wait_alu 0xfffe
	s_or_b32 exec_lo, exec_lo, s20
.LBB281_121:                            ;   in Loop: Header=BB281_10 Depth=1
	s_wait_alu 0xfffe
	s_or_b32 exec_lo, exec_lo, s19
.LBB281_122:                            ;   in Loop: Header=BB281_10 Depth=1
	s_wait_alu 0xfffe
	s_or_b32 exec_lo, exec_lo, s4
	v_lshrrev_b32_e32 v16, 16, v12
	v_mov_b32_e32 v87, 0
	s_mov_b32 s4, exec_lo
	s_delay_alu instid0(VALU_DEP_2) | instskip(NEXT) | instid1(VALU_DEP_1)
	v_dual_mov_b32 v96, 0 :: v_dual_and_b32 v97, 0xff, v16
	v_cmpx_ne_u16_e32 0, v97
	s_cbranch_execz .LBB281_130
; %bb.123:                              ;   in Loop: Header=BB281_10 Depth=1
	v_mov_b32_e32 v96, 0x8000
	s_mov_b32 s19, exec_lo
	v_cmpx_ne_u16_e32 0x80, v97
	s_cbranch_execz .LBB281_129
; %bb.124:                              ;   in Loop: Header=BB281_10 Depth=1
	v_bfe_u32 v98, v12, 16, 7
	v_mov_b32_e32 v96, 0x7c01
	s_mov_b32 s20, exec_lo
	s_delay_alu instid0(VALU_DEP_2)
	v_cmpx_ne_u32_e32 0x7f, v98
	s_cbranch_execz .LBB281_128
; %bb.125:                              ;   in Loop: Header=BB281_10 Depth=1
	v_and_b32_e32 v96, 7, v16
	v_lshrrev_b32_e32 v97, 3, v98
	s_mov_b32 s21, exec_lo
	v_cmpx_gt_u32_e32 8, v98
; %bb.126:                              ;   in Loop: Header=BB281_10 Depth=1
	s_delay_alu instid0(VALU_DEP_3) | instskip(NEXT) | instid1(VALU_DEP_1)
	v_clz_i32_u32_e32 v96, v96
	v_min_u32_e32 v98, 32, v96
	s_delay_alu instid0(VALU_DEP_1) | instskip(NEXT) | instid1(VALU_DEP_1)
	v_subrev_nc_u32_e32 v96, 28, v98
	v_lshlrev_b64_e32 v[96:97], v96, v[16:17]
	v_sub_nc_u32_e32 v97, 29, v98
	s_delay_alu instid0(VALU_DEP_2)
	v_and_b32_e32 v96, 7, v96
; %bb.127:                              ;   in Loop: Header=BB281_10 Depth=1
	s_wait_alu 0xfffe
	s_or_b32 exec_lo, exec_lo, s21
	v_lshlrev_b32_e32 v16, 8, v16
	v_lshl_add_u32 v97, v97, 10, 0x2000
	v_lshlrev_b32_e32 v96, 7, v96
	s_delay_alu instid0(VALU_DEP_3) | instskip(NEXT) | instid1(VALU_DEP_3)
	v_and_b32_e32 v16, 0x8000, v16
	v_and_b32_e32 v97, 0xfc00, v97
	s_delay_alu instid0(VALU_DEP_1)
	v_or3_b32 v96, v16, v97, v96
.LBB281_128:                            ;   in Loop: Header=BB281_10 Depth=1
	s_wait_alu 0xfffe
	s_or_b32 exec_lo, exec_lo, s20
.LBB281_129:                            ;   in Loop: Header=BB281_10 Depth=1
	s_wait_alu 0xfffe
	s_or_b32 exec_lo, exec_lo, s19
.LBB281_130:                            ;   in Loop: Header=BB281_10 Depth=1
	s_wait_alu 0xfffe
	s_or_b32 exec_lo, exec_lo, s4
	s_delay_alu instid0(SALU_CYCLE_1)
	s_mov_b32 s4, exec_lo
	v_cmpx_lt_u32_e32 0xffffff, v12
	s_cbranch_execz .LBB281_138
; %bb.131:                              ;   in Loop: Header=BB281_10 Depth=1
	v_lshrrev_b32_e32 v16, 24, v12
	v_bfrev_b32_e32 v87, 1
	s_mov_b32 s19, exec_lo
	s_delay_alu instid0(VALU_DEP_2)
	v_cmpx_ne_u32_e32 0x80, v16
	s_cbranch_execz .LBB281_137
; %bb.132:                              ;   in Loop: Header=BB281_10 Depth=1
	v_and_b32_e32 v97, 0x7f, v16
	v_mov_b32_e32 v87, 0x7c010000
	s_mov_b32 s20, exec_lo
	s_delay_alu instid0(VALU_DEP_2)
	v_cmpx_ne_u32_e32 0x7f, v97
	s_cbranch_execz .LBB281_136
; %bb.133:                              ;   in Loop: Header=BB281_10 Depth=1
	v_and_b32_e32 v12, 7, v16
	v_lshrrev_b32_e32 v87, 3, v97
	s_mov_b32 s21, exec_lo
	v_cmpx_gt_u32_e32 8, v97
; %bb.134:                              ;   in Loop: Header=BB281_10 Depth=1
	s_delay_alu instid0(VALU_DEP_3) | instskip(NEXT) | instid1(VALU_DEP_1)
	v_clz_i32_u32_e32 v12, v12
	v_min_u32_e32 v12, 32, v12
	s_delay_alu instid0(VALU_DEP_1) | instskip(NEXT) | instid1(VALU_DEP_1)
	v_subrev_nc_u32_e32 v87, 28, v12
	v_lshlrev_b64_e32 v[97:98], v87, v[16:17]
	v_sub_nc_u32_e32 v87, 29, v12
	s_delay_alu instid0(VALU_DEP_2)
	v_and_b32_e32 v12, 7, v97
; %bb.135:                              ;   in Loop: Header=BB281_10 Depth=1
	s_wait_alu 0xfffe
	s_or_b32 exec_lo, exec_lo, s21
	v_lshlrev_b32_e32 v16, 8, v16
	v_lshl_add_u32 v87, v87, 10, 0x2000
	v_lshlrev_b32_e32 v12, 23, v12
	s_delay_alu instid0(VALU_DEP_2) | instskip(NEXT) | instid1(VALU_DEP_1)
	v_and_or_b32 v16, 0x8000, v16, v87
	v_lshl_or_b32 v87, v16, 16, v12
.LBB281_136:                            ;   in Loop: Header=BB281_10 Depth=1
	s_wait_alu 0xfffe
	s_or_b32 exec_lo, exec_lo, s20
.LBB281_137:                            ;   in Loop: Header=BB281_10 Depth=1
	s_wait_alu 0xfffe
	s_or_b32 exec_lo, exec_lo, s19
.LBB281_138:                            ;   in Loop: Header=BB281_10 Depth=1
	s_wait_alu 0xfffe
	s_or_b32 exec_lo, exec_lo, s4
	flat_load_b32 v12, v[20:21] offset:512
	v_mov_b32_e32 v98, 0
	s_mov_b32 s4, exec_lo
	s_wait_loadcnt_dscnt 0x0
	v_dual_mov_b32 v97, 0 :: v_dual_and_b32 v16, 0xff, v12
	s_delay_alu instid0(VALU_DEP_1)
	v_cmpx_ne_u16_e32 0, v16
	s_cbranch_execz .LBB281_146
; %bb.139:                              ;   in Loop: Header=BB281_10 Depth=1
	v_mov_b32_e32 v98, 0x8000
	s_mov_b32 s19, exec_lo
	v_cmpx_ne_u16_e32 0x80, v16
	s_cbranch_execz .LBB281_145
; %bb.140:                              ;   in Loop: Header=BB281_10 Depth=1
	v_and_b32_e32 v99, 0x7f, v12
	v_mov_b32_e32 v98, 0x7c01
	s_mov_b32 s20, exec_lo
	s_delay_alu instid0(VALU_DEP_2)
	v_cmpx_ne_u32_e32 0x7f, v99
	s_cbranch_execz .LBB281_144
; %bb.141:                              ;   in Loop: Header=BB281_10 Depth=1
	v_and_b32_e32 v16, 7, v12
	v_lshrrev_b32_e32 v98, 3, v99
	s_mov_b32 s21, exec_lo
	v_cmpx_gt_u32_e32 8, v99
; %bb.142:                              ;   in Loop: Header=BB281_10 Depth=1
	s_delay_alu instid0(VALU_DEP_3) | instskip(NEXT) | instid1(VALU_DEP_1)
	v_clz_i32_u32_e32 v16, v16
	v_min_u32_e32 v16, 32, v16
	s_delay_alu instid0(VALU_DEP_1) | instskip(NEXT) | instid1(VALU_DEP_1)
	v_subrev_nc_u32_e32 v98, 28, v16
	v_lshlrev_b64_e32 v[99:100], v98, v[12:13]
	v_sub_nc_u32_e32 v98, 29, v16
	s_delay_alu instid0(VALU_DEP_2)
	v_and_b32_e32 v16, 7, v99
; %bb.143:                              ;   in Loop: Header=BB281_10 Depth=1
	s_wait_alu 0xfffe
	s_or_b32 exec_lo, exec_lo, s21
	v_lshlrev_b32_e32 v99, 8, v12
	v_lshl_add_u32 v98, v98, 10, 0x2000
	v_lshlrev_b32_e32 v16, 7, v16
	s_delay_alu instid0(VALU_DEP_3) | instskip(NEXT) | instid1(VALU_DEP_3)
	v_and_b32_e32 v99, 0x8000, v99
	v_and_b32_e32 v98, 0xfc00, v98
	s_delay_alu instid0(VALU_DEP_1)
	v_or3_b32 v98, v99, v98, v16
.LBB281_144:                            ;   in Loop: Header=BB281_10 Depth=1
	s_wait_alu 0xfffe
	s_or_b32 exec_lo, exec_lo, s20
.LBB281_145:                            ;   in Loop: Header=BB281_10 Depth=1
	s_wait_alu 0xfffe
	s_or_b32 exec_lo, exec_lo, s19
.LBB281_146:                            ;   in Loop: Header=BB281_10 Depth=1
	s_wait_alu 0xfffe
	s_or_b32 exec_lo, exec_lo, s4
	v_lshrrev_b16 v16, 8, v12
	s_mov_b32 s4, exec_lo
	s_delay_alu instid0(VALU_DEP_1)
	v_cmpx_ne_u16_e32 0, v16
	s_cbranch_execz .LBB281_154
; %bb.147:                              ;   in Loop: Header=BB281_10 Depth=1
	v_bfrev_b32_e32 v97, 1
	s_mov_b32 s19, exec_lo
	v_cmpx_ne_u16_e32 0x80, v16
	s_cbranch_execz .LBB281_153
; %bb.148:                              ;   in Loop: Header=BB281_10 Depth=1
	v_and_b32_e32 v99, 0xffff, v16
	v_mov_b32_e32 v97, 0x7c010000
	s_mov_b32 s20, exec_lo
	s_delay_alu instid0(VALU_DEP_2) | instskip(NEXT) | instid1(VALU_DEP_1)
	v_and_b32_e32 v101, 0x7f, v99
	v_cmpx_ne_u32_e32 0x7f, v101
	s_cbranch_execz .LBB281_152
; %bb.149:                              ;   in Loop: Header=BB281_10 Depth=1
	v_and_b32_e32 v97, 7, v99
	v_lshrrev_b32_e32 v100, 3, v101
	s_mov_b32 s21, exec_lo
	v_cmpx_gt_u32_e32 8, v101
; %bb.150:                              ;   in Loop: Header=BB281_10 Depth=1
	s_delay_alu instid0(VALU_DEP_3) | instskip(NEXT) | instid1(VALU_DEP_1)
	v_clz_i32_u32_e32 v97, v97
	v_min_u32_e32 v97, 32, v97
	s_delay_alu instid0(VALU_DEP_1) | instskip(NEXT) | instid1(VALU_DEP_1)
	v_subrev_nc_u32_e32 v100, 28, v97
	v_lshlrev_b64_e32 v[101:102], v100, v[16:17]
	v_sub_nc_u32_e32 v100, 29, v97
	s_delay_alu instid0(VALU_DEP_2)
	v_and_b32_e32 v97, 7, v101
; %bb.151:                              ;   in Loop: Header=BB281_10 Depth=1
	s_wait_alu 0xfffe
	s_or_b32 exec_lo, exec_lo, s21
	v_lshlrev_b32_e32 v16, 8, v99
	v_lshl_add_u32 v99, v100, 10, 0x2000
	v_lshlrev_b32_e32 v97, 23, v97
	s_delay_alu instid0(VALU_DEP_2) | instskip(NEXT) | instid1(VALU_DEP_1)
	v_and_or_b32 v16, 0x8000, v16, v99
	v_lshl_or_b32 v97, v16, 16, v97
.LBB281_152:                            ;   in Loop: Header=BB281_10 Depth=1
	s_wait_alu 0xfffe
	s_or_b32 exec_lo, exec_lo, s20
.LBB281_153:                            ;   in Loop: Header=BB281_10 Depth=1
	s_wait_alu 0xfffe
	s_or_b32 exec_lo, exec_lo, s19
.LBB281_154:                            ;   in Loop: Header=BB281_10 Depth=1
	s_wait_alu 0xfffe
	s_or_b32 exec_lo, exec_lo, s4
	v_lshrrev_b32_e32 v16, 16, v12
	v_mov_b32_e32 v99, 0
	s_mov_b32 s4, exec_lo
	s_delay_alu instid0(VALU_DEP_2) | instskip(NEXT) | instid1(VALU_DEP_1)
	v_dual_mov_b32 v100, 0 :: v_dual_and_b32 v101, 0xff, v16
	v_cmpx_ne_u16_e32 0, v101
	s_cbranch_execz .LBB281_162
; %bb.155:                              ;   in Loop: Header=BB281_10 Depth=1
	v_mov_b32_e32 v100, 0x8000
	s_mov_b32 s19, exec_lo
	v_cmpx_ne_u16_e32 0x80, v101
	s_cbranch_execz .LBB281_161
; %bb.156:                              ;   in Loop: Header=BB281_10 Depth=1
	v_bfe_u32 v102, v12, 16, 7
	v_mov_b32_e32 v100, 0x7c01
	s_mov_b32 s20, exec_lo
	s_delay_alu instid0(VALU_DEP_2)
	v_cmpx_ne_u32_e32 0x7f, v102
	s_cbranch_execz .LBB281_160
; %bb.157:                              ;   in Loop: Header=BB281_10 Depth=1
	v_and_b32_e32 v100, 7, v16
	v_lshrrev_b32_e32 v101, 3, v102
	s_mov_b32 s21, exec_lo
	v_cmpx_gt_u32_e32 8, v102
; %bb.158:                              ;   in Loop: Header=BB281_10 Depth=1
	s_delay_alu instid0(VALU_DEP_3) | instskip(NEXT) | instid1(VALU_DEP_1)
	v_clz_i32_u32_e32 v100, v100
	v_min_u32_e32 v102, 32, v100
	s_delay_alu instid0(VALU_DEP_1) | instskip(NEXT) | instid1(VALU_DEP_1)
	v_subrev_nc_u32_e32 v100, 28, v102
	v_lshlrev_b64_e32 v[100:101], v100, v[16:17]
	v_sub_nc_u32_e32 v101, 29, v102
	s_delay_alu instid0(VALU_DEP_2)
	v_and_b32_e32 v100, 7, v100
; %bb.159:                              ;   in Loop: Header=BB281_10 Depth=1
	s_wait_alu 0xfffe
	s_or_b32 exec_lo, exec_lo, s21
	v_lshlrev_b32_e32 v16, 8, v16
	v_lshl_add_u32 v101, v101, 10, 0x2000
	v_lshlrev_b32_e32 v100, 7, v100
	s_delay_alu instid0(VALU_DEP_3) | instskip(NEXT) | instid1(VALU_DEP_3)
	v_and_b32_e32 v16, 0x8000, v16
	v_and_b32_e32 v101, 0xfc00, v101
	s_delay_alu instid0(VALU_DEP_1)
	v_or3_b32 v100, v16, v101, v100
.LBB281_160:                            ;   in Loop: Header=BB281_10 Depth=1
	s_wait_alu 0xfffe
	s_or_b32 exec_lo, exec_lo, s20
.LBB281_161:                            ;   in Loop: Header=BB281_10 Depth=1
	s_wait_alu 0xfffe
	s_or_b32 exec_lo, exec_lo, s19
.LBB281_162:                            ;   in Loop: Header=BB281_10 Depth=1
	s_wait_alu 0xfffe
	s_or_b32 exec_lo, exec_lo, s4
	s_delay_alu instid0(SALU_CYCLE_1)
	s_mov_b32 s4, exec_lo
	v_cmpx_lt_u32_e32 0xffffff, v12
	s_cbranch_execz .LBB281_170
; %bb.163:                              ;   in Loop: Header=BB281_10 Depth=1
	v_lshrrev_b32_e32 v16, 24, v12
	v_bfrev_b32_e32 v99, 1
	s_mov_b32 s19, exec_lo
	s_delay_alu instid0(VALU_DEP_2)
	v_cmpx_ne_u32_e32 0x80, v16
	s_cbranch_execz .LBB281_169
; %bb.164:                              ;   in Loop: Header=BB281_10 Depth=1
	v_and_b32_e32 v101, 0x7f, v16
	v_mov_b32_e32 v99, 0x7c010000
	s_mov_b32 s20, exec_lo
	s_delay_alu instid0(VALU_DEP_2)
	v_cmpx_ne_u32_e32 0x7f, v101
	s_cbranch_execz .LBB281_168
; %bb.165:                              ;   in Loop: Header=BB281_10 Depth=1
	v_and_b32_e32 v12, 7, v16
	v_lshrrev_b32_e32 v99, 3, v101
	s_mov_b32 s21, exec_lo
	v_cmpx_gt_u32_e32 8, v101
; %bb.166:                              ;   in Loop: Header=BB281_10 Depth=1
	s_delay_alu instid0(VALU_DEP_3) | instskip(NEXT) | instid1(VALU_DEP_1)
	v_clz_i32_u32_e32 v12, v12
	v_min_u32_e32 v12, 32, v12
	s_delay_alu instid0(VALU_DEP_1) | instskip(NEXT) | instid1(VALU_DEP_1)
	v_subrev_nc_u32_e32 v99, 28, v12
	v_lshlrev_b64_e32 v[101:102], v99, v[16:17]
	v_sub_nc_u32_e32 v99, 29, v12
	s_delay_alu instid0(VALU_DEP_2)
	v_and_b32_e32 v12, 7, v101
; %bb.167:                              ;   in Loop: Header=BB281_10 Depth=1
	s_wait_alu 0xfffe
	s_or_b32 exec_lo, exec_lo, s21
	v_lshlrev_b32_e32 v16, 8, v16
	v_lshl_add_u32 v99, v99, 10, 0x2000
	v_lshlrev_b32_e32 v12, 23, v12
	s_delay_alu instid0(VALU_DEP_2) | instskip(NEXT) | instid1(VALU_DEP_1)
	v_and_or_b32 v16, 0x8000, v16, v99
	v_lshl_or_b32 v99, v16, 16, v12
.LBB281_168:                            ;   in Loop: Header=BB281_10 Depth=1
	s_wait_alu 0xfffe
	s_or_b32 exec_lo, exec_lo, s20
.LBB281_169:                            ;   in Loop: Header=BB281_10 Depth=1
	s_wait_alu 0xfffe
	s_or_b32 exec_lo, exec_lo, s19
.LBB281_170:                            ;   in Loop: Header=BB281_10 Depth=1
	s_wait_alu 0xfffe
	s_or_b32 exec_lo, exec_lo, s4
	flat_load_b32 v12, v[20:21] offset:520
	v_mov_b32_e32 v102, 0
	s_mov_b32 s4, exec_lo
	s_wait_loadcnt_dscnt 0x0
	v_dual_mov_b32 v101, 0 :: v_dual_and_b32 v16, 0xff, v12
	s_delay_alu instid0(VALU_DEP_1)
	v_cmpx_ne_u16_e32 0, v16
	s_cbranch_execz .LBB281_178
; %bb.171:                              ;   in Loop: Header=BB281_10 Depth=1
	v_mov_b32_e32 v102, 0x8000
	s_mov_b32 s19, exec_lo
	v_cmpx_ne_u16_e32 0x80, v16
	s_cbranch_execz .LBB281_177
; %bb.172:                              ;   in Loop: Header=BB281_10 Depth=1
	v_and_b32_e32 v103, 0x7f, v12
	v_mov_b32_e32 v102, 0x7c01
	s_mov_b32 s20, exec_lo
	s_delay_alu instid0(VALU_DEP_2)
	v_cmpx_ne_u32_e32 0x7f, v103
	s_cbranch_execz .LBB281_176
; %bb.173:                              ;   in Loop: Header=BB281_10 Depth=1
	v_and_b32_e32 v16, 7, v12
	v_lshrrev_b32_e32 v102, 3, v103
	s_mov_b32 s21, exec_lo
	v_cmpx_gt_u32_e32 8, v103
; %bb.174:                              ;   in Loop: Header=BB281_10 Depth=1
	s_delay_alu instid0(VALU_DEP_3) | instskip(NEXT) | instid1(VALU_DEP_1)
	v_clz_i32_u32_e32 v16, v16
	v_min_u32_e32 v16, 32, v16
	s_delay_alu instid0(VALU_DEP_1) | instskip(NEXT) | instid1(VALU_DEP_1)
	v_subrev_nc_u32_e32 v102, 28, v16
	v_lshlrev_b64_e32 v[112:113], v102, v[12:13]
	v_sub_nc_u32_e32 v102, 29, v16
	s_delay_alu instid0(VALU_DEP_2)
	v_and_b32_e32 v16, 7, v112
; %bb.175:                              ;   in Loop: Header=BB281_10 Depth=1
	s_wait_alu 0xfffe
	s_or_b32 exec_lo, exec_lo, s21
	v_lshlrev_b32_e32 v103, 8, v12
	v_lshl_add_u32 v102, v102, 10, 0x2000
	v_lshlrev_b32_e32 v16, 7, v16
	s_delay_alu instid0(VALU_DEP_3) | instskip(NEXT) | instid1(VALU_DEP_3)
	v_and_b32_e32 v103, 0x8000, v103
	v_and_b32_e32 v102, 0xfc00, v102
	s_delay_alu instid0(VALU_DEP_1)
	v_or3_b32 v102, v103, v102, v16
.LBB281_176:                            ;   in Loop: Header=BB281_10 Depth=1
	s_wait_alu 0xfffe
	s_or_b32 exec_lo, exec_lo, s20
.LBB281_177:                            ;   in Loop: Header=BB281_10 Depth=1
	s_wait_alu 0xfffe
	s_or_b32 exec_lo, exec_lo, s19
.LBB281_178:                            ;   in Loop: Header=BB281_10 Depth=1
	s_wait_alu 0xfffe
	s_or_b32 exec_lo, exec_lo, s4
	v_lshrrev_b16 v16, 8, v12
	s_mov_b32 s4, exec_lo
	s_delay_alu instid0(VALU_DEP_1)
	v_cmpx_ne_u16_e32 0, v16
	s_cbranch_execz .LBB281_186
; %bb.179:                              ;   in Loop: Header=BB281_10 Depth=1
	v_bfrev_b32_e32 v101, 1
	s_mov_b32 s19, exec_lo
	v_cmpx_ne_u16_e32 0x80, v16
	s_cbranch_execz .LBB281_185
; %bb.180:                              ;   in Loop: Header=BB281_10 Depth=1
	v_and_b32_e32 v103, 0xffff, v16
	v_mov_b32_e32 v101, 0x7c010000
	s_mov_b32 s20, exec_lo
	s_delay_alu instid0(VALU_DEP_2) | instskip(NEXT) | instid1(VALU_DEP_1)
	v_and_b32_e32 v113, 0x7f, v103
	v_cmpx_ne_u32_e32 0x7f, v113
	s_cbranch_execz .LBB281_184
; %bb.181:                              ;   in Loop: Header=BB281_10 Depth=1
	v_and_b32_e32 v101, 7, v103
	v_lshrrev_b32_e32 v112, 3, v113
	s_mov_b32 s21, exec_lo
	v_cmpx_gt_u32_e32 8, v113
; %bb.182:                              ;   in Loop: Header=BB281_10 Depth=1
	s_delay_alu instid0(VALU_DEP_3) | instskip(NEXT) | instid1(VALU_DEP_1)
	v_clz_i32_u32_e32 v101, v101
	v_min_u32_e32 v101, 32, v101
	s_delay_alu instid0(VALU_DEP_1) | instskip(NEXT) | instid1(VALU_DEP_1)
	v_subrev_nc_u32_e32 v112, 28, v101
	v_lshlrev_b64_e32 v[113:114], v112, v[16:17]
	v_sub_nc_u32_e32 v112, 29, v101
	s_delay_alu instid0(VALU_DEP_2)
	v_and_b32_e32 v101, 7, v113
; %bb.183:                              ;   in Loop: Header=BB281_10 Depth=1
	s_wait_alu 0xfffe
	s_or_b32 exec_lo, exec_lo, s21
	v_lshlrev_b32_e32 v16, 8, v103
	v_lshl_add_u32 v103, v112, 10, 0x2000
	v_lshlrev_b32_e32 v101, 23, v101
	s_delay_alu instid0(VALU_DEP_2) | instskip(NEXT) | instid1(VALU_DEP_1)
	v_and_or_b32 v16, 0x8000, v16, v103
	v_lshl_or_b32 v101, v16, 16, v101
.LBB281_184:                            ;   in Loop: Header=BB281_10 Depth=1
	s_wait_alu 0xfffe
	s_or_b32 exec_lo, exec_lo, s20
.LBB281_185:                            ;   in Loop: Header=BB281_10 Depth=1
	s_wait_alu 0xfffe
	s_or_b32 exec_lo, exec_lo, s19
.LBB281_186:                            ;   in Loop: Header=BB281_10 Depth=1
	s_wait_alu 0xfffe
	s_or_b32 exec_lo, exec_lo, s4
	v_lshrrev_b32_e32 v16, 16, v12
	v_mov_b32_e32 v103, 0
	s_mov_b32 s4, exec_lo
	s_delay_alu instid0(VALU_DEP_2) | instskip(NEXT) | instid1(VALU_DEP_1)
	v_dual_mov_b32 v112, 0 :: v_dual_and_b32 v113, 0xff, v16
	v_cmpx_ne_u16_e32 0, v113
	s_cbranch_execz .LBB281_194
; %bb.187:                              ;   in Loop: Header=BB281_10 Depth=1
	v_mov_b32_e32 v112, 0x8000
	s_mov_b32 s19, exec_lo
	v_cmpx_ne_u16_e32 0x80, v113
	s_cbranch_execz .LBB281_193
; %bb.188:                              ;   in Loop: Header=BB281_10 Depth=1
	v_bfe_u32 v114, v12, 16, 7
	v_mov_b32_e32 v112, 0x7c01
	s_mov_b32 s20, exec_lo
	s_delay_alu instid0(VALU_DEP_2)
	v_cmpx_ne_u32_e32 0x7f, v114
	s_cbranch_execz .LBB281_192
; %bb.189:                              ;   in Loop: Header=BB281_10 Depth=1
	v_and_b32_e32 v112, 7, v16
	v_lshrrev_b32_e32 v113, 3, v114
	s_mov_b32 s21, exec_lo
	v_cmpx_gt_u32_e32 8, v114
; %bb.190:                              ;   in Loop: Header=BB281_10 Depth=1
	s_delay_alu instid0(VALU_DEP_3) | instskip(NEXT) | instid1(VALU_DEP_1)
	v_clz_i32_u32_e32 v112, v112
	v_min_u32_e32 v114, 32, v112
	s_delay_alu instid0(VALU_DEP_1) | instskip(NEXT) | instid1(VALU_DEP_1)
	v_subrev_nc_u32_e32 v112, 28, v114
	v_lshlrev_b64_e32 v[112:113], v112, v[16:17]
	v_sub_nc_u32_e32 v113, 29, v114
	s_delay_alu instid0(VALU_DEP_2)
	v_and_b32_e32 v112, 7, v112
; %bb.191:                              ;   in Loop: Header=BB281_10 Depth=1
	s_wait_alu 0xfffe
	s_or_b32 exec_lo, exec_lo, s21
	v_lshlrev_b32_e32 v16, 8, v16
	v_lshl_add_u32 v113, v113, 10, 0x2000
	v_lshlrev_b32_e32 v112, 7, v112
	s_delay_alu instid0(VALU_DEP_3) | instskip(NEXT) | instid1(VALU_DEP_3)
	v_and_b32_e32 v16, 0x8000, v16
	v_and_b32_e32 v113, 0xfc00, v113
	s_delay_alu instid0(VALU_DEP_1)
	v_or3_b32 v112, v16, v113, v112
.LBB281_192:                            ;   in Loop: Header=BB281_10 Depth=1
	s_wait_alu 0xfffe
	s_or_b32 exec_lo, exec_lo, s20
.LBB281_193:                            ;   in Loop: Header=BB281_10 Depth=1
	s_wait_alu 0xfffe
	s_or_b32 exec_lo, exec_lo, s19
.LBB281_194:                            ;   in Loop: Header=BB281_10 Depth=1
	s_wait_alu 0xfffe
	s_or_b32 exec_lo, exec_lo, s4
	s_delay_alu instid0(SALU_CYCLE_1)
	s_mov_b32 s4, exec_lo
	v_cmpx_lt_u32_e32 0xffffff, v12
	s_cbranch_execz .LBB281_202
; %bb.195:                              ;   in Loop: Header=BB281_10 Depth=1
	v_lshrrev_b32_e32 v16, 24, v12
	v_bfrev_b32_e32 v103, 1
	s_mov_b32 s19, exec_lo
	s_delay_alu instid0(VALU_DEP_2)
	v_cmpx_ne_u32_e32 0x80, v16
	s_cbranch_execz .LBB281_201
; %bb.196:                              ;   in Loop: Header=BB281_10 Depth=1
	v_and_b32_e32 v113, 0x7f, v16
	v_mov_b32_e32 v103, 0x7c010000
	s_mov_b32 s20, exec_lo
	s_delay_alu instid0(VALU_DEP_2)
	v_cmpx_ne_u32_e32 0x7f, v113
	s_cbranch_execz .LBB281_200
; %bb.197:                              ;   in Loop: Header=BB281_10 Depth=1
	v_and_b32_e32 v12, 7, v16
	v_lshrrev_b32_e32 v103, 3, v113
	s_mov_b32 s21, exec_lo
	v_cmpx_gt_u32_e32 8, v113
; %bb.198:                              ;   in Loop: Header=BB281_10 Depth=1
	s_delay_alu instid0(VALU_DEP_3) | instskip(NEXT) | instid1(VALU_DEP_1)
	v_clz_i32_u32_e32 v12, v12
	v_min_u32_e32 v12, 32, v12
	s_delay_alu instid0(VALU_DEP_1) | instskip(NEXT) | instid1(VALU_DEP_1)
	v_subrev_nc_u32_e32 v103, 28, v12
	v_lshlrev_b64_e32 v[113:114], v103, v[16:17]
	v_sub_nc_u32_e32 v103, 29, v12
	s_delay_alu instid0(VALU_DEP_2)
	v_and_b32_e32 v12, 7, v113
; %bb.199:                              ;   in Loop: Header=BB281_10 Depth=1
	s_wait_alu 0xfffe
	s_or_b32 exec_lo, exec_lo, s21
	v_lshlrev_b32_e32 v16, 8, v16
	v_lshl_add_u32 v103, v103, 10, 0x2000
	v_lshlrev_b32_e32 v12, 23, v12
	s_delay_alu instid0(VALU_DEP_2) | instskip(NEXT) | instid1(VALU_DEP_1)
	v_and_or_b32 v16, 0x8000, v16, v103
	v_lshl_or_b32 v103, v16, 16, v12
.LBB281_200:                            ;   in Loop: Header=BB281_10 Depth=1
	s_wait_alu 0xfffe
	s_or_b32 exec_lo, exec_lo, s20
.LBB281_201:                            ;   in Loop: Header=BB281_10 Depth=1
	s_wait_alu 0xfffe
	s_or_b32 exec_lo, exec_lo, s19
.LBB281_202:                            ;   in Loop: Header=BB281_10 Depth=1
	s_wait_alu 0xfffe
	s_or_b32 exec_lo, exec_lo, s4
	flat_load_b32 v12, v[20:21] offset:768
	v_mov_b32_e32 v114, 0
	s_mov_b32 s4, exec_lo
	s_wait_loadcnt_dscnt 0x0
	v_dual_mov_b32 v113, 0 :: v_dual_and_b32 v16, 0xff, v12
	s_delay_alu instid0(VALU_DEP_1)
	v_cmpx_ne_u16_e32 0, v16
	s_cbranch_execz .LBB281_210
; %bb.203:                              ;   in Loop: Header=BB281_10 Depth=1
	v_mov_b32_e32 v114, 0x8000
	s_mov_b32 s19, exec_lo
	v_cmpx_ne_u16_e32 0x80, v16
	s_cbranch_execz .LBB281_209
; %bb.204:                              ;   in Loop: Header=BB281_10 Depth=1
	v_and_b32_e32 v115, 0x7f, v12
	v_mov_b32_e32 v114, 0x7c01
	s_mov_b32 s20, exec_lo
	s_delay_alu instid0(VALU_DEP_2)
	v_cmpx_ne_u32_e32 0x7f, v115
	s_cbranch_execz .LBB281_208
; %bb.205:                              ;   in Loop: Header=BB281_10 Depth=1
	v_and_b32_e32 v16, 7, v12
	v_lshrrev_b32_e32 v114, 3, v115
	s_mov_b32 s21, exec_lo
	v_cmpx_gt_u32_e32 8, v115
; %bb.206:                              ;   in Loop: Header=BB281_10 Depth=1
	s_delay_alu instid0(VALU_DEP_3) | instskip(NEXT) | instid1(VALU_DEP_1)
	v_clz_i32_u32_e32 v16, v16
	v_min_u32_e32 v16, 32, v16
	s_delay_alu instid0(VALU_DEP_1) | instskip(NEXT) | instid1(VALU_DEP_1)
	v_subrev_nc_u32_e32 v114, 28, v16
	v_lshlrev_b64_e32 v[115:116], v114, v[12:13]
	v_sub_nc_u32_e32 v114, 29, v16
	s_delay_alu instid0(VALU_DEP_2)
	v_and_b32_e32 v16, 7, v115
; %bb.207:                              ;   in Loop: Header=BB281_10 Depth=1
	s_wait_alu 0xfffe
	s_or_b32 exec_lo, exec_lo, s21
	v_lshlrev_b32_e32 v115, 8, v12
	v_lshl_add_u32 v114, v114, 10, 0x2000
	v_lshlrev_b32_e32 v16, 7, v16
	s_delay_alu instid0(VALU_DEP_3) | instskip(NEXT) | instid1(VALU_DEP_3)
	v_and_b32_e32 v115, 0x8000, v115
	v_and_b32_e32 v114, 0xfc00, v114
	s_delay_alu instid0(VALU_DEP_1)
	v_or3_b32 v114, v115, v114, v16
.LBB281_208:                            ;   in Loop: Header=BB281_10 Depth=1
	s_wait_alu 0xfffe
	s_or_b32 exec_lo, exec_lo, s20
.LBB281_209:                            ;   in Loop: Header=BB281_10 Depth=1
	s_wait_alu 0xfffe
	s_or_b32 exec_lo, exec_lo, s19
.LBB281_210:                            ;   in Loop: Header=BB281_10 Depth=1
	s_wait_alu 0xfffe
	s_or_b32 exec_lo, exec_lo, s4
	v_lshrrev_b16 v16, 8, v12
	s_mov_b32 s4, exec_lo
	s_delay_alu instid0(VALU_DEP_1)
	v_cmpx_ne_u16_e32 0, v16
	s_cbranch_execz .LBB281_218
; %bb.211:                              ;   in Loop: Header=BB281_10 Depth=1
	v_bfrev_b32_e32 v113, 1
	s_mov_b32 s19, exec_lo
	v_cmpx_ne_u16_e32 0x80, v16
	s_cbranch_execz .LBB281_217
; %bb.212:                              ;   in Loop: Header=BB281_10 Depth=1
	v_and_b32_e32 v115, 0xffff, v16
	v_mov_b32_e32 v113, 0x7c010000
	s_mov_b32 s20, exec_lo
	s_delay_alu instid0(VALU_DEP_2) | instskip(NEXT) | instid1(VALU_DEP_1)
	v_and_b32_e32 v117, 0x7f, v115
	v_cmpx_ne_u32_e32 0x7f, v117
	s_cbranch_execz .LBB281_216
; %bb.213:                              ;   in Loop: Header=BB281_10 Depth=1
	v_and_b32_e32 v113, 7, v115
	v_lshrrev_b32_e32 v116, 3, v117
	s_mov_b32 s21, exec_lo
	v_cmpx_gt_u32_e32 8, v117
; %bb.214:                              ;   in Loop: Header=BB281_10 Depth=1
	s_delay_alu instid0(VALU_DEP_3) | instskip(NEXT) | instid1(VALU_DEP_1)
	v_clz_i32_u32_e32 v113, v113
	v_min_u32_e32 v113, 32, v113
	s_delay_alu instid0(VALU_DEP_1) | instskip(NEXT) | instid1(VALU_DEP_1)
	v_subrev_nc_u32_e32 v116, 28, v113
	v_lshlrev_b64_e32 v[117:118], v116, v[16:17]
	v_sub_nc_u32_e32 v116, 29, v113
	s_delay_alu instid0(VALU_DEP_2)
	v_and_b32_e32 v113, 7, v117
; %bb.215:                              ;   in Loop: Header=BB281_10 Depth=1
	s_wait_alu 0xfffe
	s_or_b32 exec_lo, exec_lo, s21
	v_lshlrev_b32_e32 v16, 8, v115
	v_lshl_add_u32 v115, v116, 10, 0x2000
	v_lshlrev_b32_e32 v113, 23, v113
	s_delay_alu instid0(VALU_DEP_2) | instskip(NEXT) | instid1(VALU_DEP_1)
	v_and_or_b32 v16, 0x8000, v16, v115
	v_lshl_or_b32 v113, v16, 16, v113
.LBB281_216:                            ;   in Loop: Header=BB281_10 Depth=1
	s_wait_alu 0xfffe
	s_or_b32 exec_lo, exec_lo, s20
.LBB281_217:                            ;   in Loop: Header=BB281_10 Depth=1
	s_wait_alu 0xfffe
	s_or_b32 exec_lo, exec_lo, s19
.LBB281_218:                            ;   in Loop: Header=BB281_10 Depth=1
	s_wait_alu 0xfffe
	s_or_b32 exec_lo, exec_lo, s4
	v_lshrrev_b32_e32 v16, 16, v12
	v_mov_b32_e32 v115, 0
	s_mov_b32 s4, exec_lo
	s_delay_alu instid0(VALU_DEP_2) | instskip(NEXT) | instid1(VALU_DEP_1)
	v_dual_mov_b32 v116, 0 :: v_dual_and_b32 v117, 0xff, v16
	v_cmpx_ne_u16_e32 0, v117
	s_cbranch_execz .LBB281_226
; %bb.219:                              ;   in Loop: Header=BB281_10 Depth=1
	v_mov_b32_e32 v116, 0x8000
	s_mov_b32 s19, exec_lo
	v_cmpx_ne_u16_e32 0x80, v117
	s_cbranch_execz .LBB281_225
; %bb.220:                              ;   in Loop: Header=BB281_10 Depth=1
	v_bfe_u32 v118, v12, 16, 7
	v_mov_b32_e32 v116, 0x7c01
	s_mov_b32 s20, exec_lo
	s_delay_alu instid0(VALU_DEP_2)
	v_cmpx_ne_u32_e32 0x7f, v118
	s_cbranch_execz .LBB281_224
; %bb.221:                              ;   in Loop: Header=BB281_10 Depth=1
	v_and_b32_e32 v116, 7, v16
	v_lshrrev_b32_e32 v117, 3, v118
	s_mov_b32 s21, exec_lo
	v_cmpx_gt_u32_e32 8, v118
; %bb.222:                              ;   in Loop: Header=BB281_10 Depth=1
	s_delay_alu instid0(VALU_DEP_3) | instskip(NEXT) | instid1(VALU_DEP_1)
	v_clz_i32_u32_e32 v116, v116
	v_min_u32_e32 v118, 32, v116
	s_delay_alu instid0(VALU_DEP_1) | instskip(NEXT) | instid1(VALU_DEP_1)
	v_subrev_nc_u32_e32 v116, 28, v118
	v_lshlrev_b64_e32 v[116:117], v116, v[16:17]
	v_sub_nc_u32_e32 v117, 29, v118
	s_delay_alu instid0(VALU_DEP_2)
	v_and_b32_e32 v116, 7, v116
; %bb.223:                              ;   in Loop: Header=BB281_10 Depth=1
	s_wait_alu 0xfffe
	s_or_b32 exec_lo, exec_lo, s21
	v_lshlrev_b32_e32 v16, 8, v16
	v_lshl_add_u32 v117, v117, 10, 0x2000
	v_lshlrev_b32_e32 v116, 7, v116
	s_delay_alu instid0(VALU_DEP_3) | instskip(NEXT) | instid1(VALU_DEP_3)
	v_and_b32_e32 v16, 0x8000, v16
	v_and_b32_e32 v117, 0xfc00, v117
	s_delay_alu instid0(VALU_DEP_1)
	v_or3_b32 v116, v16, v117, v116
.LBB281_224:                            ;   in Loop: Header=BB281_10 Depth=1
	s_wait_alu 0xfffe
	s_or_b32 exec_lo, exec_lo, s20
.LBB281_225:                            ;   in Loop: Header=BB281_10 Depth=1
	s_wait_alu 0xfffe
	s_or_b32 exec_lo, exec_lo, s19
.LBB281_226:                            ;   in Loop: Header=BB281_10 Depth=1
	s_wait_alu 0xfffe
	s_or_b32 exec_lo, exec_lo, s4
	s_delay_alu instid0(SALU_CYCLE_1)
	s_mov_b32 s4, exec_lo
	v_cmpx_lt_u32_e32 0xffffff, v12
	s_cbranch_execz .LBB281_234
; %bb.227:                              ;   in Loop: Header=BB281_10 Depth=1
	v_lshrrev_b32_e32 v16, 24, v12
	v_bfrev_b32_e32 v115, 1
	s_mov_b32 s19, exec_lo
	s_delay_alu instid0(VALU_DEP_2)
	v_cmpx_ne_u32_e32 0x80, v16
	s_cbranch_execz .LBB281_233
; %bb.228:                              ;   in Loop: Header=BB281_10 Depth=1
	v_and_b32_e32 v117, 0x7f, v16
	v_mov_b32_e32 v115, 0x7c010000
	s_mov_b32 s20, exec_lo
	s_delay_alu instid0(VALU_DEP_2)
	v_cmpx_ne_u32_e32 0x7f, v117
	s_cbranch_execz .LBB281_232
; %bb.229:                              ;   in Loop: Header=BB281_10 Depth=1
	v_and_b32_e32 v12, 7, v16
	v_lshrrev_b32_e32 v115, 3, v117
	s_mov_b32 s21, exec_lo
	v_cmpx_gt_u32_e32 8, v117
; %bb.230:                              ;   in Loop: Header=BB281_10 Depth=1
	s_delay_alu instid0(VALU_DEP_3) | instskip(NEXT) | instid1(VALU_DEP_1)
	v_clz_i32_u32_e32 v12, v12
	v_min_u32_e32 v12, 32, v12
	s_delay_alu instid0(VALU_DEP_1) | instskip(NEXT) | instid1(VALU_DEP_1)
	v_subrev_nc_u32_e32 v115, 28, v12
	v_lshlrev_b64_e32 v[117:118], v115, v[16:17]
	v_sub_nc_u32_e32 v115, 29, v12
	s_delay_alu instid0(VALU_DEP_2)
	v_and_b32_e32 v12, 7, v117
; %bb.231:                              ;   in Loop: Header=BB281_10 Depth=1
	s_wait_alu 0xfffe
	s_or_b32 exec_lo, exec_lo, s21
	v_lshlrev_b32_e32 v16, 8, v16
	v_lshl_add_u32 v115, v115, 10, 0x2000
	v_lshlrev_b32_e32 v12, 23, v12
	s_delay_alu instid0(VALU_DEP_2) | instskip(NEXT) | instid1(VALU_DEP_1)
	v_and_or_b32 v16, 0x8000, v16, v115
	v_lshl_or_b32 v115, v16, 16, v12
.LBB281_232:                            ;   in Loop: Header=BB281_10 Depth=1
	s_wait_alu 0xfffe
	s_or_b32 exec_lo, exec_lo, s20
.LBB281_233:                            ;   in Loop: Header=BB281_10 Depth=1
	s_wait_alu 0xfffe
	s_or_b32 exec_lo, exec_lo, s19
.LBB281_234:                            ;   in Loop: Header=BB281_10 Depth=1
	s_wait_alu 0xfffe
	s_or_b32 exec_lo, exec_lo, s4
	flat_load_b32 v12, v[20:21] offset:776
	v_mov_b32_e32 v118, 0
	s_mov_b32 s4, exec_lo
	s_wait_loadcnt_dscnt 0x0
	v_dual_mov_b32 v117, 0 :: v_dual_and_b32 v16, 0xff, v12
	s_delay_alu instid0(VALU_DEP_1)
	v_cmpx_ne_u16_e32 0, v16
	s_cbranch_execz .LBB281_242
; %bb.235:                              ;   in Loop: Header=BB281_10 Depth=1
	v_mov_b32_e32 v118, 0x8000
	s_mov_b32 s19, exec_lo
	v_cmpx_ne_u16_e32 0x80, v16
	s_cbranch_execz .LBB281_241
; %bb.236:                              ;   in Loop: Header=BB281_10 Depth=1
	v_and_b32_e32 v119, 0x7f, v12
	v_mov_b32_e32 v118, 0x7c01
	s_mov_b32 s20, exec_lo
	s_delay_alu instid0(VALU_DEP_2)
	v_cmpx_ne_u32_e32 0x7f, v119
	s_cbranch_execz .LBB281_240
; %bb.237:                              ;   in Loop: Header=BB281_10 Depth=1
	v_and_b32_e32 v16, 7, v12
	v_lshrrev_b32_e32 v118, 3, v119
	s_mov_b32 s21, exec_lo
	v_cmpx_gt_u32_e32 8, v119
; %bb.238:                              ;   in Loop: Header=BB281_10 Depth=1
	s_delay_alu instid0(VALU_DEP_3) | instskip(NEXT) | instid1(VALU_DEP_1)
	v_clz_i32_u32_e32 v16, v16
	v_min_u32_e32 v16, 32, v16
	s_delay_alu instid0(VALU_DEP_1) | instskip(NEXT) | instid1(VALU_DEP_1)
	v_subrev_nc_u32_e32 v118, 28, v16
	v_lshlrev_b64_e32 v[128:129], v118, v[12:13]
	v_sub_nc_u32_e32 v118, 29, v16
	s_delay_alu instid0(VALU_DEP_2)
	v_and_b32_e32 v16, 7, v128
; %bb.239:                              ;   in Loop: Header=BB281_10 Depth=1
	s_wait_alu 0xfffe
	s_or_b32 exec_lo, exec_lo, s21
	v_lshlrev_b32_e32 v119, 8, v12
	v_lshl_add_u32 v118, v118, 10, 0x2000
	v_lshlrev_b32_e32 v16, 7, v16
	s_delay_alu instid0(VALU_DEP_3) | instskip(NEXT) | instid1(VALU_DEP_3)
	v_and_b32_e32 v119, 0x8000, v119
	v_and_b32_e32 v118, 0xfc00, v118
	s_delay_alu instid0(VALU_DEP_1)
	v_or3_b32 v118, v119, v118, v16
.LBB281_240:                            ;   in Loop: Header=BB281_10 Depth=1
	s_wait_alu 0xfffe
	s_or_b32 exec_lo, exec_lo, s20
.LBB281_241:                            ;   in Loop: Header=BB281_10 Depth=1
	s_wait_alu 0xfffe
	s_or_b32 exec_lo, exec_lo, s19
.LBB281_242:                            ;   in Loop: Header=BB281_10 Depth=1
	s_wait_alu 0xfffe
	s_or_b32 exec_lo, exec_lo, s4
	v_lshrrev_b16 v16, 8, v12
	s_mov_b32 s4, exec_lo
	s_delay_alu instid0(VALU_DEP_1)
	v_cmpx_ne_u16_e32 0, v16
	s_cbranch_execz .LBB281_250
; %bb.243:                              ;   in Loop: Header=BB281_10 Depth=1
	v_bfrev_b32_e32 v117, 1
	s_mov_b32 s19, exec_lo
	v_cmpx_ne_u16_e32 0x80, v16
	s_cbranch_execz .LBB281_249
; %bb.244:                              ;   in Loop: Header=BB281_10 Depth=1
	v_and_b32_e32 v119, 0xffff, v16
	v_mov_b32_e32 v117, 0x7c010000
	s_mov_b32 s20, exec_lo
	s_delay_alu instid0(VALU_DEP_2) | instskip(NEXT) | instid1(VALU_DEP_1)
	v_and_b32_e32 v129, 0x7f, v119
	v_cmpx_ne_u32_e32 0x7f, v129
	s_cbranch_execz .LBB281_248
; %bb.245:                              ;   in Loop: Header=BB281_10 Depth=1
	v_and_b32_e32 v117, 7, v119
	v_lshrrev_b32_e32 v128, 3, v129
	s_mov_b32 s21, exec_lo
	v_cmpx_gt_u32_e32 8, v129
; %bb.246:                              ;   in Loop: Header=BB281_10 Depth=1
	s_delay_alu instid0(VALU_DEP_3) | instskip(NEXT) | instid1(VALU_DEP_1)
	v_clz_i32_u32_e32 v117, v117
	v_min_u32_e32 v117, 32, v117
	s_delay_alu instid0(VALU_DEP_1) | instskip(NEXT) | instid1(VALU_DEP_1)
	v_subrev_nc_u32_e32 v128, 28, v117
	v_lshlrev_b64_e32 v[129:130], v128, v[16:17]
	v_sub_nc_u32_e32 v128, 29, v117
	s_delay_alu instid0(VALU_DEP_2)
	v_and_b32_e32 v117, 7, v129
; %bb.247:                              ;   in Loop: Header=BB281_10 Depth=1
	s_wait_alu 0xfffe
	s_or_b32 exec_lo, exec_lo, s21
	v_lshlrev_b32_e32 v16, 8, v119
	v_lshl_add_u32 v119, v128, 10, 0x2000
	v_lshlrev_b32_e32 v117, 23, v117
	s_delay_alu instid0(VALU_DEP_2) | instskip(NEXT) | instid1(VALU_DEP_1)
	v_and_or_b32 v16, 0x8000, v16, v119
	v_lshl_or_b32 v117, v16, 16, v117
.LBB281_248:                            ;   in Loop: Header=BB281_10 Depth=1
	s_wait_alu 0xfffe
	s_or_b32 exec_lo, exec_lo, s20
.LBB281_249:                            ;   in Loop: Header=BB281_10 Depth=1
	s_wait_alu 0xfffe
	s_or_b32 exec_lo, exec_lo, s19
.LBB281_250:                            ;   in Loop: Header=BB281_10 Depth=1
	s_wait_alu 0xfffe
	s_or_b32 exec_lo, exec_lo, s4
	v_lshrrev_b32_e32 v16, 16, v12
	v_mov_b32_e32 v119, 0
	s_mov_b32 s4, exec_lo
	s_delay_alu instid0(VALU_DEP_2) | instskip(NEXT) | instid1(VALU_DEP_1)
	v_dual_mov_b32 v128, 0 :: v_dual_and_b32 v129, 0xff, v16
	v_cmpx_ne_u16_e64 0, v129
	s_cbranch_execz .LBB281_258
; %bb.251:                              ;   in Loop: Header=BB281_10 Depth=1
	v_mov_b32_e32 v128, 0x8000
	s_mov_b32 s19, exec_lo
	v_cmpx_ne_u16_e64 0x80, v129
	s_cbranch_execz .LBB281_257
; %bb.252:                              ;   in Loop: Header=BB281_10 Depth=1
	v_bfe_u32 v130, v12, 16, 7
	v_mov_b32_e32 v128, 0x7c01
	s_mov_b32 s20, exec_lo
	s_delay_alu instid0(VALU_DEP_2)
	v_cmpx_ne_u32_e32 0x7f, v130
	s_cbranch_execz .LBB281_256
; %bb.253:                              ;   in Loop: Header=BB281_10 Depth=1
	v_and_b32_e32 v128, 7, v16
	v_lshrrev_b32_e32 v129, 3, v130
	s_mov_b32 s21, exec_lo
	v_cmpx_gt_u32_e32 8, v130
; %bb.254:                              ;   in Loop: Header=BB281_10 Depth=1
	s_delay_alu instid0(VALU_DEP_3) | instskip(NEXT) | instid1(VALU_DEP_1)
	v_clz_i32_u32_e32 v128, v128
	v_min_u32_e32 v130, 32, v128
	s_delay_alu instid0(VALU_DEP_1) | instskip(NEXT) | instid1(VALU_DEP_1)
	v_subrev_nc_u32_e32 v128, 28, v130
	v_lshlrev_b64_e32 v[128:129], v128, v[16:17]
	v_sub_nc_u32_e32 v129, 29, v130
	s_delay_alu instid0(VALU_DEP_2)
	v_and_b32_e32 v128, 7, v128
; %bb.255:                              ;   in Loop: Header=BB281_10 Depth=1
	s_wait_alu 0xfffe
	s_or_b32 exec_lo, exec_lo, s21
	v_lshlrev_b32_e32 v16, 8, v16
	v_lshl_add_u32 v129, v129, 10, 0x2000
	v_lshlrev_b32_e32 v128, 7, v128
	s_delay_alu instid0(VALU_DEP_3) | instskip(NEXT) | instid1(VALU_DEP_3)
	v_and_b32_e32 v16, 0x8000, v16
	v_and_b32_e32 v129, 0xfc00, v129
	s_delay_alu instid0(VALU_DEP_1)
	v_or3_b32 v128, v16, v129, v128
.LBB281_256:                            ;   in Loop: Header=BB281_10 Depth=1
	s_wait_alu 0xfffe
	s_or_b32 exec_lo, exec_lo, s20
.LBB281_257:                            ;   in Loop: Header=BB281_10 Depth=1
	s_wait_alu 0xfffe
	s_or_b32 exec_lo, exec_lo, s19
.LBB281_258:                            ;   in Loop: Header=BB281_10 Depth=1
	s_wait_alu 0xfffe
	s_or_b32 exec_lo, exec_lo, s4
	s_delay_alu instid0(SALU_CYCLE_1)
	s_mov_b32 s4, exec_lo
	v_cmpx_lt_u32_e32 0xffffff, v12
	s_cbranch_execz .LBB281_266
; %bb.259:                              ;   in Loop: Header=BB281_10 Depth=1
	v_lshrrev_b32_e32 v16, 24, v12
	v_bfrev_b32_e32 v119, 1
	s_mov_b32 s19, exec_lo
	s_delay_alu instid0(VALU_DEP_2)
	v_cmpx_ne_u32_e32 0x80, v16
	s_cbranch_execz .LBB281_265
; %bb.260:                              ;   in Loop: Header=BB281_10 Depth=1
	v_and_b32_e32 v129, 0x7f, v16
	v_mov_b32_e32 v119, 0x7c010000
	s_mov_b32 s20, exec_lo
	s_delay_alu instid0(VALU_DEP_2)
	v_cmpx_ne_u32_e32 0x7f, v129
	s_cbranch_execz .LBB281_264
; %bb.261:                              ;   in Loop: Header=BB281_10 Depth=1
	v_and_b32_e32 v12, 7, v16
	v_lshrrev_b32_e32 v119, 3, v129
	s_mov_b32 s21, exec_lo
	v_cmpx_gt_u32_e32 8, v129
; %bb.262:                              ;   in Loop: Header=BB281_10 Depth=1
	s_delay_alu instid0(VALU_DEP_3) | instskip(NEXT) | instid1(VALU_DEP_1)
	v_clz_i32_u32_e32 v12, v12
	v_min_u32_e32 v12, 32, v12
	s_delay_alu instid0(VALU_DEP_1) | instskip(NEXT) | instid1(VALU_DEP_1)
	v_subrev_nc_u32_e32 v119, 28, v12
	v_lshlrev_b64_e32 v[129:130], v119, v[16:17]
	v_sub_nc_u32_e32 v119, 29, v12
	s_delay_alu instid0(VALU_DEP_2)
	v_and_b32_e32 v12, 7, v129
; %bb.263:                              ;   in Loop: Header=BB281_10 Depth=1
	s_wait_alu 0xfffe
	s_or_b32 exec_lo, exec_lo, s21
	v_lshlrev_b32_e32 v16, 8, v16
	v_lshl_add_u32 v119, v119, 10, 0x2000
	v_lshlrev_b32_e32 v12, 23, v12
	s_delay_alu instid0(VALU_DEP_2) | instskip(NEXT) | instid1(VALU_DEP_1)
	v_and_or_b32 v16, 0x8000, v16, v119
	v_lshl_or_b32 v119, v16, 16, v12
.LBB281_264:                            ;   in Loop: Header=BB281_10 Depth=1
	s_wait_alu 0xfffe
	s_or_b32 exec_lo, exec_lo, s20
.LBB281_265:                            ;   in Loop: Header=BB281_10 Depth=1
	s_wait_alu 0xfffe
	s_or_b32 exec_lo, exec_lo, s19
.LBB281_266:                            ;   in Loop: Header=BB281_10 Depth=1
	s_wait_alu 0xfffe
	s_or_b32 exec_lo, exec_lo, s4
	flat_load_b32 v12, v[20:21] offset:1024
	v_mov_b32_e32 v130, 0
	s_mov_b32 s4, exec_lo
	s_wait_loadcnt_dscnt 0x0
	v_dual_mov_b32 v129, 0 :: v_dual_and_b32 v16, 0xff, v12
	s_delay_alu instid0(VALU_DEP_1)
	v_cmpx_ne_u16_e32 0, v16
	s_cbranch_execz .LBB281_274
; %bb.267:                              ;   in Loop: Header=BB281_10 Depth=1
	v_mov_b32_e32 v130, 0x8000
	s_mov_b32 s19, exec_lo
	v_cmpx_ne_u16_e32 0x80, v16
	s_cbranch_execz .LBB281_273
; %bb.268:                              ;   in Loop: Header=BB281_10 Depth=1
	v_and_b32_e32 v131, 0x7f, v12
	v_mov_b32_e32 v130, 0x7c01
	s_mov_b32 s20, exec_lo
	s_delay_alu instid0(VALU_DEP_2)
	v_cmpx_ne_u32_e32 0x7f, v131
	s_cbranch_execz .LBB281_272
; %bb.269:                              ;   in Loop: Header=BB281_10 Depth=1
	v_and_b32_e32 v16, 7, v12
	v_lshrrev_b32_e32 v130, 3, v131
	s_mov_b32 s21, exec_lo
	v_cmpx_gt_u32_e32 8, v131
; %bb.270:                              ;   in Loop: Header=BB281_10 Depth=1
	s_delay_alu instid0(VALU_DEP_3) | instskip(NEXT) | instid1(VALU_DEP_1)
	v_clz_i32_u32_e32 v16, v16
	v_min_u32_e32 v16, 32, v16
	s_delay_alu instid0(VALU_DEP_1) | instskip(NEXT) | instid1(VALU_DEP_1)
	v_subrev_nc_u32_e32 v130, 28, v16
	v_lshlrev_b64_e32 v[131:132], v130, v[12:13]
	v_sub_nc_u32_e32 v130, 29, v16
	s_delay_alu instid0(VALU_DEP_2)
	v_and_b32_e32 v16, 7, v131
; %bb.271:                              ;   in Loop: Header=BB281_10 Depth=1
	s_wait_alu 0xfffe
	s_or_b32 exec_lo, exec_lo, s21
	v_lshlrev_b32_e32 v131, 8, v12
	v_lshl_add_u32 v130, v130, 10, 0x2000
	v_lshlrev_b32_e32 v16, 7, v16
	s_delay_alu instid0(VALU_DEP_3) | instskip(NEXT) | instid1(VALU_DEP_3)
	v_and_b32_e32 v131, 0x8000, v131
	v_and_b32_e32 v130, 0xfc00, v130
	s_delay_alu instid0(VALU_DEP_1)
	v_or3_b32 v130, v131, v130, v16
.LBB281_272:                            ;   in Loop: Header=BB281_10 Depth=1
	s_wait_alu 0xfffe
	s_or_b32 exec_lo, exec_lo, s20
.LBB281_273:                            ;   in Loop: Header=BB281_10 Depth=1
	s_wait_alu 0xfffe
	s_or_b32 exec_lo, exec_lo, s19
.LBB281_274:                            ;   in Loop: Header=BB281_10 Depth=1
	s_wait_alu 0xfffe
	s_or_b32 exec_lo, exec_lo, s4
	v_lshrrev_b16 v16, 8, v12
	s_mov_b32 s4, exec_lo
	s_delay_alu instid0(VALU_DEP_1)
	v_cmpx_ne_u16_e32 0, v16
	s_cbranch_execz .LBB281_282
; %bb.275:                              ;   in Loop: Header=BB281_10 Depth=1
	v_bfrev_b32_e32 v129, 1
	s_mov_b32 s19, exec_lo
	v_cmpx_ne_u16_e32 0x80, v16
	s_cbranch_execz .LBB281_281
; %bb.276:                              ;   in Loop: Header=BB281_10 Depth=1
	v_and_b32_e32 v131, 0xffff, v16
	v_mov_b32_e32 v129, 0x7c010000
	s_mov_b32 s20, exec_lo
	s_delay_alu instid0(VALU_DEP_2) | instskip(NEXT) | instid1(VALU_DEP_1)
	v_and_b32_e32 v133, 0x7f, v131
	v_cmpx_ne_u32_e32 0x7f, v133
	s_cbranch_execz .LBB281_280
; %bb.277:                              ;   in Loop: Header=BB281_10 Depth=1
	v_and_b32_e32 v129, 7, v131
	v_lshrrev_b32_e32 v132, 3, v133
	s_mov_b32 s21, exec_lo
	v_cmpx_gt_u32_e32 8, v133
; %bb.278:                              ;   in Loop: Header=BB281_10 Depth=1
	s_delay_alu instid0(VALU_DEP_3) | instskip(NEXT) | instid1(VALU_DEP_1)
	v_clz_i32_u32_e32 v129, v129
	v_min_u32_e32 v129, 32, v129
	s_delay_alu instid0(VALU_DEP_1) | instskip(NEXT) | instid1(VALU_DEP_1)
	v_subrev_nc_u32_e32 v132, 28, v129
	v_lshlrev_b64_e32 v[133:134], v132, v[16:17]
	v_sub_nc_u32_e32 v132, 29, v129
	s_delay_alu instid0(VALU_DEP_2)
	v_and_b32_e32 v129, 7, v133
; %bb.279:                              ;   in Loop: Header=BB281_10 Depth=1
	s_wait_alu 0xfffe
	s_or_b32 exec_lo, exec_lo, s21
	v_lshlrev_b32_e32 v16, 8, v131
	v_lshl_add_u32 v131, v132, 10, 0x2000
	v_lshlrev_b32_e32 v129, 23, v129
	s_delay_alu instid0(VALU_DEP_2) | instskip(NEXT) | instid1(VALU_DEP_1)
	v_and_or_b32 v16, 0x8000, v16, v131
	v_lshl_or_b32 v129, v16, 16, v129
.LBB281_280:                            ;   in Loop: Header=BB281_10 Depth=1
	s_wait_alu 0xfffe
	s_or_b32 exec_lo, exec_lo, s20
.LBB281_281:                            ;   in Loop: Header=BB281_10 Depth=1
	s_wait_alu 0xfffe
	s_or_b32 exec_lo, exec_lo, s19
.LBB281_282:                            ;   in Loop: Header=BB281_10 Depth=1
	s_wait_alu 0xfffe
	s_or_b32 exec_lo, exec_lo, s4
	v_lshrrev_b32_e32 v16, 16, v12
	v_mov_b32_e32 v131, 0
	s_mov_b32 s4, exec_lo
	s_delay_alu instid0(VALU_DEP_2) | instskip(NEXT) | instid1(VALU_DEP_1)
	v_dual_mov_b32 v132, 0 :: v_dual_and_b32 v133, 0xff, v16
	v_cmpx_ne_u16_e64 0, v133
	s_cbranch_execz .LBB281_290
; %bb.283:                              ;   in Loop: Header=BB281_10 Depth=1
	v_mov_b32_e32 v132, 0x8000
	s_mov_b32 s19, exec_lo
	v_cmpx_ne_u16_e64 0x80, v133
	s_cbranch_execz .LBB281_289
; %bb.284:                              ;   in Loop: Header=BB281_10 Depth=1
	v_bfe_u32 v134, v12, 16, 7
	v_mov_b32_e32 v132, 0x7c01
	s_mov_b32 s20, exec_lo
	s_delay_alu instid0(VALU_DEP_2)
	v_cmpx_ne_u32_e32 0x7f, v134
	s_cbranch_execz .LBB281_288
; %bb.285:                              ;   in Loop: Header=BB281_10 Depth=1
	v_and_b32_e32 v132, 7, v16
	v_lshrrev_b32_e32 v133, 3, v134
	s_mov_b32 s21, exec_lo
	v_cmpx_gt_u32_e32 8, v134
; %bb.286:                              ;   in Loop: Header=BB281_10 Depth=1
	s_delay_alu instid0(VALU_DEP_3) | instskip(NEXT) | instid1(VALU_DEP_1)
	v_clz_i32_u32_e32 v132, v132
	v_min_u32_e32 v134, 32, v132
	s_delay_alu instid0(VALU_DEP_1) | instskip(NEXT) | instid1(VALU_DEP_1)
	v_subrev_nc_u32_e32 v132, 28, v134
	v_lshlrev_b64_e32 v[132:133], v132, v[16:17]
	v_sub_nc_u32_e32 v133, 29, v134
	s_delay_alu instid0(VALU_DEP_2)
	v_and_b32_e32 v132, 7, v132
; %bb.287:                              ;   in Loop: Header=BB281_10 Depth=1
	s_wait_alu 0xfffe
	s_or_b32 exec_lo, exec_lo, s21
	v_lshlrev_b32_e32 v16, 8, v16
	v_lshl_add_u32 v133, v133, 10, 0x2000
	v_lshlrev_b32_e32 v132, 7, v132
	s_delay_alu instid0(VALU_DEP_3) | instskip(NEXT) | instid1(VALU_DEP_3)
	v_and_b32_e32 v16, 0x8000, v16
	v_and_b32_e32 v133, 0xfc00, v133
	s_delay_alu instid0(VALU_DEP_1)
	v_or3_b32 v132, v16, v133, v132
.LBB281_288:                            ;   in Loop: Header=BB281_10 Depth=1
	s_wait_alu 0xfffe
	s_or_b32 exec_lo, exec_lo, s20
.LBB281_289:                            ;   in Loop: Header=BB281_10 Depth=1
	s_wait_alu 0xfffe
	s_or_b32 exec_lo, exec_lo, s19
.LBB281_290:                            ;   in Loop: Header=BB281_10 Depth=1
	s_wait_alu 0xfffe
	s_or_b32 exec_lo, exec_lo, s4
	s_delay_alu instid0(SALU_CYCLE_1)
	s_mov_b32 s4, exec_lo
	v_cmpx_lt_u32_e32 0xffffff, v12
	s_cbranch_execz .LBB281_298
; %bb.291:                              ;   in Loop: Header=BB281_10 Depth=1
	v_lshrrev_b32_e32 v16, 24, v12
	v_bfrev_b32_e32 v131, 1
	s_mov_b32 s19, exec_lo
	s_delay_alu instid0(VALU_DEP_2)
	v_cmpx_ne_u32_e32 0x80, v16
	s_cbranch_execz .LBB281_297
; %bb.292:                              ;   in Loop: Header=BB281_10 Depth=1
	v_and_b32_e32 v133, 0x7f, v16
	v_mov_b32_e32 v131, 0x7c010000
	s_mov_b32 s20, exec_lo
	s_delay_alu instid0(VALU_DEP_2)
	v_cmpx_ne_u32_e32 0x7f, v133
	s_cbranch_execz .LBB281_296
; %bb.293:                              ;   in Loop: Header=BB281_10 Depth=1
	v_and_b32_e32 v12, 7, v16
	v_lshrrev_b32_e32 v131, 3, v133
	s_mov_b32 s21, exec_lo
	v_cmpx_gt_u32_e32 8, v133
; %bb.294:                              ;   in Loop: Header=BB281_10 Depth=1
	s_delay_alu instid0(VALU_DEP_3) | instskip(NEXT) | instid1(VALU_DEP_1)
	v_clz_i32_u32_e32 v12, v12
	v_min_u32_e32 v12, 32, v12
	s_delay_alu instid0(VALU_DEP_1) | instskip(NEXT) | instid1(VALU_DEP_1)
	v_subrev_nc_u32_e32 v131, 28, v12
	v_lshlrev_b64_e32 v[133:134], v131, v[16:17]
	v_sub_nc_u32_e32 v131, 29, v12
	s_delay_alu instid0(VALU_DEP_2)
	v_and_b32_e32 v12, 7, v133
; %bb.295:                              ;   in Loop: Header=BB281_10 Depth=1
	s_wait_alu 0xfffe
	s_or_b32 exec_lo, exec_lo, s21
	v_lshlrev_b32_e32 v16, 8, v16
	v_lshl_add_u32 v131, v131, 10, 0x2000
	v_lshlrev_b32_e32 v12, 23, v12
	s_delay_alu instid0(VALU_DEP_2) | instskip(NEXT) | instid1(VALU_DEP_1)
	v_and_or_b32 v16, 0x8000, v16, v131
	v_lshl_or_b32 v131, v16, 16, v12
.LBB281_296:                            ;   in Loop: Header=BB281_10 Depth=1
	s_wait_alu 0xfffe
	s_or_b32 exec_lo, exec_lo, s20
.LBB281_297:                            ;   in Loop: Header=BB281_10 Depth=1
	s_wait_alu 0xfffe
	s_or_b32 exec_lo, exec_lo, s19
.LBB281_298:                            ;   in Loop: Header=BB281_10 Depth=1
	s_wait_alu 0xfffe
	s_or_b32 exec_lo, exec_lo, s4
	flat_load_b32 v12, v[20:21] offset:1032
	v_mov_b32_e32 v134, 0
	s_mov_b32 s4, exec_lo
	s_wait_loadcnt_dscnt 0x0
	v_dual_mov_b32 v133, 0 :: v_dual_and_b32 v16, 0xff, v12
	s_delay_alu instid0(VALU_DEP_1)
	v_cmpx_ne_u16_e32 0, v16
	s_cbranch_execz .LBB281_306
; %bb.299:                              ;   in Loop: Header=BB281_10 Depth=1
	v_mov_b32_e32 v134, 0x8000
	s_mov_b32 s19, exec_lo
	v_cmpx_ne_u16_e32 0x80, v16
	s_cbranch_execz .LBB281_305
; %bb.300:                              ;   in Loop: Header=BB281_10 Depth=1
	v_and_b32_e32 v135, 0x7f, v12
	v_mov_b32_e32 v134, 0x7c01
	s_mov_b32 s20, exec_lo
	s_delay_alu instid0(VALU_DEP_2)
	v_cmpx_ne_u32_e32 0x7f, v135
	s_cbranch_execz .LBB281_304
; %bb.301:                              ;   in Loop: Header=BB281_10 Depth=1
	v_and_b32_e32 v16, 7, v12
	v_lshrrev_b32_e32 v134, 3, v135
	s_mov_b32 s21, exec_lo
	v_cmpx_gt_u32_e32 8, v135
; %bb.302:                              ;   in Loop: Header=BB281_10 Depth=1
	s_delay_alu instid0(VALU_DEP_3) | instskip(NEXT) | instid1(VALU_DEP_1)
	v_clz_i32_u32_e32 v16, v16
	v_min_u32_e32 v16, 32, v16
	s_delay_alu instid0(VALU_DEP_1) | instskip(NEXT) | instid1(VALU_DEP_1)
	v_subrev_nc_u32_e32 v134, 28, v16
	v_lshlrev_b64_e32 v[144:145], v134, v[12:13]
	v_sub_nc_u32_e32 v134, 29, v16
	s_delay_alu instid0(VALU_DEP_2)
	v_and_b32_e32 v16, 7, v144
; %bb.303:                              ;   in Loop: Header=BB281_10 Depth=1
	s_wait_alu 0xfffe
	s_or_b32 exec_lo, exec_lo, s21
	v_lshlrev_b32_e32 v135, 8, v12
	v_lshl_add_u32 v134, v134, 10, 0x2000
	v_lshlrev_b32_e32 v16, 7, v16
	s_delay_alu instid0(VALU_DEP_3) | instskip(NEXT) | instid1(VALU_DEP_3)
	v_and_b32_e32 v135, 0x8000, v135
	v_and_b32_e32 v134, 0xfc00, v134
	s_delay_alu instid0(VALU_DEP_1)
	v_or3_b32 v134, v135, v134, v16
.LBB281_304:                            ;   in Loop: Header=BB281_10 Depth=1
	s_wait_alu 0xfffe
	s_or_b32 exec_lo, exec_lo, s20
.LBB281_305:                            ;   in Loop: Header=BB281_10 Depth=1
	s_wait_alu 0xfffe
	s_or_b32 exec_lo, exec_lo, s19
.LBB281_306:                            ;   in Loop: Header=BB281_10 Depth=1
	s_wait_alu 0xfffe
	s_or_b32 exec_lo, exec_lo, s4
	v_lshrrev_b16 v16, 8, v12
	s_mov_b32 s4, exec_lo
	s_delay_alu instid0(VALU_DEP_1)
	v_cmpx_ne_u16_e32 0, v16
	s_cbranch_execz .LBB281_314
; %bb.307:                              ;   in Loop: Header=BB281_10 Depth=1
	v_bfrev_b32_e32 v133, 1
	s_mov_b32 s19, exec_lo
	v_cmpx_ne_u16_e32 0x80, v16
	s_cbranch_execz .LBB281_313
; %bb.308:                              ;   in Loop: Header=BB281_10 Depth=1
	v_and_b32_e32 v135, 0xffff, v16
	v_mov_b32_e32 v133, 0x7c010000
	s_mov_b32 s20, exec_lo
	s_delay_alu instid0(VALU_DEP_2) | instskip(NEXT) | instid1(VALU_DEP_1)
	v_and_b32_e32 v145, 0x7f, v135
	v_cmpx_ne_u32_e32 0x7f, v145
	s_cbranch_execz .LBB281_312
; %bb.309:                              ;   in Loop: Header=BB281_10 Depth=1
	v_and_b32_e32 v133, 7, v135
	v_lshrrev_b32_e32 v144, 3, v145
	s_mov_b32 s21, exec_lo
	v_cmpx_gt_u32_e32 8, v145
; %bb.310:                              ;   in Loop: Header=BB281_10 Depth=1
	s_delay_alu instid0(VALU_DEP_3) | instskip(NEXT) | instid1(VALU_DEP_1)
	v_clz_i32_u32_e32 v133, v133
	v_min_u32_e32 v133, 32, v133
	s_delay_alu instid0(VALU_DEP_1) | instskip(NEXT) | instid1(VALU_DEP_1)
	v_subrev_nc_u32_e32 v144, 28, v133
	v_lshlrev_b64_e32 v[145:146], v144, v[16:17]
	v_sub_nc_u32_e32 v144, 29, v133
	s_delay_alu instid0(VALU_DEP_2)
	v_and_b32_e32 v133, 7, v145
; %bb.311:                              ;   in Loop: Header=BB281_10 Depth=1
	s_wait_alu 0xfffe
	s_or_b32 exec_lo, exec_lo, s21
	v_lshlrev_b32_e32 v16, 8, v135
	v_lshl_add_u32 v135, v144, 10, 0x2000
	v_lshlrev_b32_e32 v133, 23, v133
	s_delay_alu instid0(VALU_DEP_2) | instskip(NEXT) | instid1(VALU_DEP_1)
	v_and_or_b32 v16, 0x8000, v16, v135
	v_lshl_or_b32 v133, v16, 16, v133
.LBB281_312:                            ;   in Loop: Header=BB281_10 Depth=1
	s_wait_alu 0xfffe
	s_or_b32 exec_lo, exec_lo, s20
.LBB281_313:                            ;   in Loop: Header=BB281_10 Depth=1
	s_wait_alu 0xfffe
	s_or_b32 exec_lo, exec_lo, s19
.LBB281_314:                            ;   in Loop: Header=BB281_10 Depth=1
	s_wait_alu 0xfffe
	s_or_b32 exec_lo, exec_lo, s4
	v_lshrrev_b32_e32 v16, 16, v12
	v_mov_b32_e32 v135, 0
	s_mov_b32 s4, exec_lo
	s_delay_alu instid0(VALU_DEP_2) | instskip(NEXT) | instid1(VALU_DEP_1)
	v_dual_mov_b32 v144, 0 :: v_dual_and_b32 v145, 0xff, v16
	v_cmpx_ne_u16_e64 0, v145
	s_cbranch_execz .LBB281_322
; %bb.315:                              ;   in Loop: Header=BB281_10 Depth=1
	v_mov_b32_e32 v144, 0x8000
	s_mov_b32 s19, exec_lo
	v_cmpx_ne_u16_e64 0x80, v145
	s_cbranch_execz .LBB281_321
; %bb.316:                              ;   in Loop: Header=BB281_10 Depth=1
	v_bfe_u32 v146, v12, 16, 7
	v_mov_b32_e32 v144, 0x7c01
	s_mov_b32 s20, exec_lo
	s_delay_alu instid0(VALU_DEP_2)
	v_cmpx_ne_u32_e32 0x7f, v146
	s_cbranch_execz .LBB281_320
; %bb.317:                              ;   in Loop: Header=BB281_10 Depth=1
	v_and_b32_e32 v144, 7, v16
	v_lshrrev_b32_e32 v145, 3, v146
	s_mov_b32 s21, exec_lo
	v_cmpx_gt_u32_e32 8, v146
; %bb.318:                              ;   in Loop: Header=BB281_10 Depth=1
	s_delay_alu instid0(VALU_DEP_3) | instskip(NEXT) | instid1(VALU_DEP_1)
	v_clz_i32_u32_e32 v144, v144
	v_min_u32_e32 v146, 32, v144
	s_delay_alu instid0(VALU_DEP_1) | instskip(NEXT) | instid1(VALU_DEP_1)
	v_subrev_nc_u32_e32 v144, 28, v146
	v_lshlrev_b64_e32 v[144:145], v144, v[16:17]
	v_sub_nc_u32_e32 v145, 29, v146
	s_delay_alu instid0(VALU_DEP_2)
	v_and_b32_e32 v144, 7, v144
; %bb.319:                              ;   in Loop: Header=BB281_10 Depth=1
	s_wait_alu 0xfffe
	s_or_b32 exec_lo, exec_lo, s21
	v_lshlrev_b32_e32 v16, 8, v16
	v_lshl_add_u32 v145, v145, 10, 0x2000
	v_lshlrev_b32_e32 v144, 7, v144
	s_delay_alu instid0(VALU_DEP_3) | instskip(NEXT) | instid1(VALU_DEP_3)
	v_and_b32_e32 v16, 0x8000, v16
	v_and_b32_e32 v145, 0xfc00, v145
	s_delay_alu instid0(VALU_DEP_1)
	v_or3_b32 v144, v16, v145, v144
.LBB281_320:                            ;   in Loop: Header=BB281_10 Depth=1
	s_wait_alu 0xfffe
	s_or_b32 exec_lo, exec_lo, s20
.LBB281_321:                            ;   in Loop: Header=BB281_10 Depth=1
	s_wait_alu 0xfffe
	s_or_b32 exec_lo, exec_lo, s19
.LBB281_322:                            ;   in Loop: Header=BB281_10 Depth=1
	s_wait_alu 0xfffe
	s_or_b32 exec_lo, exec_lo, s4
	s_delay_alu instid0(SALU_CYCLE_1)
	s_mov_b32 s4, exec_lo
	v_cmpx_lt_u32_e32 0xffffff, v12
	s_cbranch_execz .LBB281_330
; %bb.323:                              ;   in Loop: Header=BB281_10 Depth=1
	v_lshrrev_b32_e32 v16, 24, v12
	v_bfrev_b32_e32 v135, 1
	s_mov_b32 s19, exec_lo
	s_delay_alu instid0(VALU_DEP_2)
	v_cmpx_ne_u32_e32 0x80, v16
	s_cbranch_execz .LBB281_329
; %bb.324:                              ;   in Loop: Header=BB281_10 Depth=1
	v_and_b32_e32 v145, 0x7f, v16
	v_mov_b32_e32 v135, 0x7c010000
	s_mov_b32 s20, exec_lo
	s_delay_alu instid0(VALU_DEP_2)
	v_cmpx_ne_u32_e32 0x7f, v145
	s_cbranch_execz .LBB281_328
; %bb.325:                              ;   in Loop: Header=BB281_10 Depth=1
	v_and_b32_e32 v12, 7, v16
	v_lshrrev_b32_e32 v135, 3, v145
	s_mov_b32 s21, exec_lo
	v_cmpx_gt_u32_e32 8, v145
; %bb.326:                              ;   in Loop: Header=BB281_10 Depth=1
	s_delay_alu instid0(VALU_DEP_3) | instskip(NEXT) | instid1(VALU_DEP_1)
	v_clz_i32_u32_e32 v12, v12
	v_min_u32_e32 v12, 32, v12
	s_delay_alu instid0(VALU_DEP_1) | instskip(NEXT) | instid1(VALU_DEP_1)
	v_subrev_nc_u32_e32 v135, 28, v12
	v_lshlrev_b64_e32 v[145:146], v135, v[16:17]
	v_sub_nc_u32_e32 v135, 29, v12
	s_delay_alu instid0(VALU_DEP_2)
	v_and_b32_e32 v12, 7, v145
; %bb.327:                              ;   in Loop: Header=BB281_10 Depth=1
	s_wait_alu 0xfffe
	s_or_b32 exec_lo, exec_lo, s21
	v_lshlrev_b32_e32 v16, 8, v16
	v_lshl_add_u32 v135, v135, 10, 0x2000
	v_lshlrev_b32_e32 v12, 23, v12
	s_delay_alu instid0(VALU_DEP_2) | instskip(NEXT) | instid1(VALU_DEP_1)
	v_and_or_b32 v16, 0x8000, v16, v135
	v_lshl_or_b32 v135, v16, 16, v12
.LBB281_328:                            ;   in Loop: Header=BB281_10 Depth=1
	s_wait_alu 0xfffe
	s_or_b32 exec_lo, exec_lo, s20
.LBB281_329:                            ;   in Loop: Header=BB281_10 Depth=1
	s_wait_alu 0xfffe
	s_or_b32 exec_lo, exec_lo, s19
.LBB281_330:                            ;   in Loop: Header=BB281_10 Depth=1
	s_wait_alu 0xfffe
	s_or_b32 exec_lo, exec_lo, s4
	flat_load_b32 v12, v[20:21] offset:1280
	v_mov_b32_e32 v146, 0
	s_mov_b32 s4, exec_lo
	s_wait_loadcnt_dscnt 0x0
	v_dual_mov_b32 v145, 0 :: v_dual_and_b32 v16, 0xff, v12
	s_delay_alu instid0(VALU_DEP_1)
	v_cmpx_ne_u16_e32 0, v16
	s_cbranch_execz .LBB281_338
; %bb.331:                              ;   in Loop: Header=BB281_10 Depth=1
	v_mov_b32_e32 v146, 0x8000
	s_mov_b32 s19, exec_lo
	v_cmpx_ne_u16_e32 0x80, v16
	s_cbranch_execz .LBB281_337
; %bb.332:                              ;   in Loop: Header=BB281_10 Depth=1
	v_and_b32_e32 v147, 0x7f, v12
	v_mov_b32_e32 v146, 0x7c01
	s_mov_b32 s20, exec_lo
	s_delay_alu instid0(VALU_DEP_2)
	v_cmpx_ne_u32_e32 0x7f, v147
	s_cbranch_execz .LBB281_336
; %bb.333:                              ;   in Loop: Header=BB281_10 Depth=1
	v_and_b32_e32 v16, 7, v12
	v_lshrrev_b32_e32 v146, 3, v147
	s_mov_b32 s21, exec_lo
	v_cmpx_gt_u32_e32 8, v147
; %bb.334:                              ;   in Loop: Header=BB281_10 Depth=1
	s_delay_alu instid0(VALU_DEP_3) | instskip(NEXT) | instid1(VALU_DEP_1)
	v_clz_i32_u32_e32 v16, v16
	v_min_u32_e32 v16, 32, v16
	s_delay_alu instid0(VALU_DEP_1) | instskip(NEXT) | instid1(VALU_DEP_1)
	v_subrev_nc_u32_e32 v146, 28, v16
	v_lshlrev_b64_e32 v[147:148], v146, v[12:13]
	v_sub_nc_u32_e32 v146, 29, v16
	s_delay_alu instid0(VALU_DEP_2)
	v_and_b32_e32 v16, 7, v147
; %bb.335:                              ;   in Loop: Header=BB281_10 Depth=1
	s_wait_alu 0xfffe
	s_or_b32 exec_lo, exec_lo, s21
	v_lshlrev_b32_e32 v147, 8, v12
	v_lshl_add_u32 v146, v146, 10, 0x2000
	v_lshlrev_b32_e32 v16, 7, v16
	s_delay_alu instid0(VALU_DEP_3) | instskip(NEXT) | instid1(VALU_DEP_3)
	v_and_b32_e32 v147, 0x8000, v147
	v_and_b32_e32 v146, 0xfc00, v146
	s_delay_alu instid0(VALU_DEP_1)
	v_or3_b32 v146, v147, v146, v16
.LBB281_336:                            ;   in Loop: Header=BB281_10 Depth=1
	s_wait_alu 0xfffe
	s_or_b32 exec_lo, exec_lo, s20
.LBB281_337:                            ;   in Loop: Header=BB281_10 Depth=1
	s_wait_alu 0xfffe
	s_or_b32 exec_lo, exec_lo, s19
.LBB281_338:                            ;   in Loop: Header=BB281_10 Depth=1
	s_wait_alu 0xfffe
	s_or_b32 exec_lo, exec_lo, s4
	v_lshrrev_b16 v16, 8, v12
	s_mov_b32 s4, exec_lo
	s_delay_alu instid0(VALU_DEP_1)
	v_cmpx_ne_u16_e32 0, v16
	s_cbranch_execz .LBB281_346
; %bb.339:                              ;   in Loop: Header=BB281_10 Depth=1
	v_bfrev_b32_e32 v145, 1
	s_mov_b32 s19, exec_lo
	v_cmpx_ne_u16_e32 0x80, v16
	s_cbranch_execz .LBB281_345
; %bb.340:                              ;   in Loop: Header=BB281_10 Depth=1
	v_and_b32_e32 v147, 0xffff, v16
	v_mov_b32_e32 v145, 0x7c010000
	s_mov_b32 s20, exec_lo
	s_delay_alu instid0(VALU_DEP_2) | instskip(NEXT) | instid1(VALU_DEP_1)
	v_and_b32_e32 v149, 0x7f, v147
	v_cmpx_ne_u32_e32 0x7f, v149
	s_cbranch_execz .LBB281_344
; %bb.341:                              ;   in Loop: Header=BB281_10 Depth=1
	v_and_b32_e32 v145, 7, v147
	v_lshrrev_b32_e32 v148, 3, v149
	s_mov_b32 s21, exec_lo
	v_cmpx_gt_u32_e32 8, v149
; %bb.342:                              ;   in Loop: Header=BB281_10 Depth=1
	s_delay_alu instid0(VALU_DEP_3) | instskip(NEXT) | instid1(VALU_DEP_1)
	v_clz_i32_u32_e32 v145, v145
	v_min_u32_e32 v145, 32, v145
	s_delay_alu instid0(VALU_DEP_1) | instskip(NEXT) | instid1(VALU_DEP_1)
	v_subrev_nc_u32_e32 v148, 28, v145
	v_lshlrev_b64_e32 v[149:150], v148, v[16:17]
	v_sub_nc_u32_e32 v148, 29, v145
	s_delay_alu instid0(VALU_DEP_2)
	v_and_b32_e32 v145, 7, v149
; %bb.343:                              ;   in Loop: Header=BB281_10 Depth=1
	s_wait_alu 0xfffe
	s_or_b32 exec_lo, exec_lo, s21
	v_lshlrev_b32_e32 v16, 8, v147
	v_lshl_add_u32 v147, v148, 10, 0x2000
	v_lshlrev_b32_e32 v145, 23, v145
	s_delay_alu instid0(VALU_DEP_2) | instskip(NEXT) | instid1(VALU_DEP_1)
	v_and_or_b32 v16, 0x8000, v16, v147
	v_lshl_or_b32 v145, v16, 16, v145
.LBB281_344:                            ;   in Loop: Header=BB281_10 Depth=1
	s_wait_alu 0xfffe
	s_or_b32 exec_lo, exec_lo, s20
.LBB281_345:                            ;   in Loop: Header=BB281_10 Depth=1
	s_wait_alu 0xfffe
	s_or_b32 exec_lo, exec_lo, s19
.LBB281_346:                            ;   in Loop: Header=BB281_10 Depth=1
	s_wait_alu 0xfffe
	s_or_b32 exec_lo, exec_lo, s4
	v_lshrrev_b32_e32 v16, 16, v12
	v_mov_b32_e32 v147, 0
	s_mov_b32 s4, exec_lo
	s_delay_alu instid0(VALU_DEP_2) | instskip(NEXT) | instid1(VALU_DEP_1)
	v_dual_mov_b32 v148, 0 :: v_dual_and_b32 v149, 0xff, v16
	v_cmpx_ne_u16_e64 0, v149
	s_cbranch_execz .LBB281_354
; %bb.347:                              ;   in Loop: Header=BB281_10 Depth=1
	v_mov_b32_e32 v148, 0x8000
	s_mov_b32 s19, exec_lo
	v_cmpx_ne_u16_e64 0x80, v149
	s_cbranch_execz .LBB281_353
; %bb.348:                              ;   in Loop: Header=BB281_10 Depth=1
	v_bfe_u32 v150, v12, 16, 7
	v_mov_b32_e32 v148, 0x7c01
	s_mov_b32 s20, exec_lo
	s_delay_alu instid0(VALU_DEP_2)
	v_cmpx_ne_u32_e32 0x7f, v150
	s_cbranch_execz .LBB281_352
; %bb.349:                              ;   in Loop: Header=BB281_10 Depth=1
	v_and_b32_e32 v148, 7, v16
	v_lshrrev_b32_e32 v149, 3, v150
	s_mov_b32 s21, exec_lo
	v_cmpx_gt_u32_e32 8, v150
; %bb.350:                              ;   in Loop: Header=BB281_10 Depth=1
	s_delay_alu instid0(VALU_DEP_3) | instskip(NEXT) | instid1(VALU_DEP_1)
	v_clz_i32_u32_e32 v148, v148
	v_min_u32_e32 v150, 32, v148
	s_delay_alu instid0(VALU_DEP_1) | instskip(NEXT) | instid1(VALU_DEP_1)
	v_subrev_nc_u32_e32 v148, 28, v150
	v_lshlrev_b64_e32 v[148:149], v148, v[16:17]
	v_sub_nc_u32_e32 v149, 29, v150
	s_delay_alu instid0(VALU_DEP_2)
	v_and_b32_e32 v148, 7, v148
; %bb.351:                              ;   in Loop: Header=BB281_10 Depth=1
	s_wait_alu 0xfffe
	s_or_b32 exec_lo, exec_lo, s21
	v_lshlrev_b32_e32 v16, 8, v16
	v_lshl_add_u32 v149, v149, 10, 0x2000
	v_lshlrev_b32_e32 v148, 7, v148
	s_delay_alu instid0(VALU_DEP_3) | instskip(NEXT) | instid1(VALU_DEP_3)
	v_and_b32_e32 v16, 0x8000, v16
	v_and_b32_e32 v149, 0xfc00, v149
	s_delay_alu instid0(VALU_DEP_1)
	v_or3_b32 v148, v16, v149, v148
.LBB281_352:                            ;   in Loop: Header=BB281_10 Depth=1
	s_wait_alu 0xfffe
	s_or_b32 exec_lo, exec_lo, s20
.LBB281_353:                            ;   in Loop: Header=BB281_10 Depth=1
	s_wait_alu 0xfffe
	s_or_b32 exec_lo, exec_lo, s19
.LBB281_354:                            ;   in Loop: Header=BB281_10 Depth=1
	s_wait_alu 0xfffe
	s_or_b32 exec_lo, exec_lo, s4
	s_delay_alu instid0(SALU_CYCLE_1)
	s_mov_b32 s4, exec_lo
	v_cmpx_lt_u32_e32 0xffffff, v12
	s_cbranch_execz .LBB281_362
; %bb.355:                              ;   in Loop: Header=BB281_10 Depth=1
	v_lshrrev_b32_e32 v16, 24, v12
	v_bfrev_b32_e32 v147, 1
	s_mov_b32 s19, exec_lo
	s_delay_alu instid0(VALU_DEP_2)
	v_cmpx_ne_u32_e32 0x80, v16
	s_cbranch_execz .LBB281_361
; %bb.356:                              ;   in Loop: Header=BB281_10 Depth=1
	v_and_b32_e32 v149, 0x7f, v16
	v_mov_b32_e32 v147, 0x7c010000
	s_mov_b32 s20, exec_lo
	s_delay_alu instid0(VALU_DEP_2)
	v_cmpx_ne_u32_e32 0x7f, v149
	s_cbranch_execz .LBB281_360
; %bb.357:                              ;   in Loop: Header=BB281_10 Depth=1
	v_and_b32_e32 v12, 7, v16
	v_lshrrev_b32_e32 v147, 3, v149
	s_mov_b32 s21, exec_lo
	v_cmpx_gt_u32_e32 8, v149
; %bb.358:                              ;   in Loop: Header=BB281_10 Depth=1
	s_delay_alu instid0(VALU_DEP_3) | instskip(NEXT) | instid1(VALU_DEP_1)
	v_clz_i32_u32_e32 v12, v12
	v_min_u32_e32 v12, 32, v12
	s_delay_alu instid0(VALU_DEP_1) | instskip(NEXT) | instid1(VALU_DEP_1)
	v_subrev_nc_u32_e32 v147, 28, v12
	v_lshlrev_b64_e32 v[149:150], v147, v[16:17]
	v_sub_nc_u32_e32 v147, 29, v12
	s_delay_alu instid0(VALU_DEP_2)
	v_and_b32_e32 v12, 7, v149
; %bb.359:                              ;   in Loop: Header=BB281_10 Depth=1
	s_wait_alu 0xfffe
	s_or_b32 exec_lo, exec_lo, s21
	v_lshlrev_b32_e32 v16, 8, v16
	v_lshl_add_u32 v147, v147, 10, 0x2000
	v_lshlrev_b32_e32 v12, 23, v12
	s_delay_alu instid0(VALU_DEP_2) | instskip(NEXT) | instid1(VALU_DEP_1)
	v_and_or_b32 v16, 0x8000, v16, v147
	v_lshl_or_b32 v147, v16, 16, v12
.LBB281_360:                            ;   in Loop: Header=BB281_10 Depth=1
	s_wait_alu 0xfffe
	s_or_b32 exec_lo, exec_lo, s20
.LBB281_361:                            ;   in Loop: Header=BB281_10 Depth=1
	s_wait_alu 0xfffe
	s_or_b32 exec_lo, exec_lo, s19
.LBB281_362:                            ;   in Loop: Header=BB281_10 Depth=1
	s_wait_alu 0xfffe
	s_or_b32 exec_lo, exec_lo, s4
	flat_load_b32 v12, v[20:21] offset:1288
	v_mov_b32_e32 v150, 0
	s_mov_b32 s4, exec_lo
	s_wait_loadcnt_dscnt 0x0
	v_dual_mov_b32 v149, 0 :: v_dual_and_b32 v16, 0xff, v12
	s_delay_alu instid0(VALU_DEP_1)
	v_cmpx_ne_u16_e32 0, v16
	s_cbranch_execz .LBB281_370
; %bb.363:                              ;   in Loop: Header=BB281_10 Depth=1
	v_mov_b32_e32 v150, 0x8000
	s_mov_b32 s19, exec_lo
	v_cmpx_ne_u16_e32 0x80, v16
	s_cbranch_execz .LBB281_369
; %bb.364:                              ;   in Loop: Header=BB281_10 Depth=1
	v_and_b32_e32 v151, 0x7f, v12
	v_mov_b32_e32 v150, 0x7c01
	s_mov_b32 s20, exec_lo
	s_delay_alu instid0(VALU_DEP_2)
	v_cmpx_ne_u32_e32 0x7f, v151
	s_cbranch_execz .LBB281_368
; %bb.365:                              ;   in Loop: Header=BB281_10 Depth=1
	v_and_b32_e32 v16, 7, v12
	v_lshrrev_b32_e32 v150, 3, v151
	s_mov_b32 s21, exec_lo
	v_cmpx_gt_u32_e32 8, v151
; %bb.366:                              ;   in Loop: Header=BB281_10 Depth=1
	s_delay_alu instid0(VALU_DEP_3) | instskip(NEXT) | instid1(VALU_DEP_1)
	v_clz_i32_u32_e32 v16, v16
	v_min_u32_e32 v16, 32, v16
	s_delay_alu instid0(VALU_DEP_1) | instskip(NEXT) | instid1(VALU_DEP_1)
	v_subrev_nc_u32_e32 v150, 28, v16
	v_lshlrev_b64_e32 v[160:161], v150, v[12:13]
	v_sub_nc_u32_e32 v150, 29, v16
	s_delay_alu instid0(VALU_DEP_2)
	v_and_b32_e32 v16, 7, v160
; %bb.367:                              ;   in Loop: Header=BB281_10 Depth=1
	s_wait_alu 0xfffe
	s_or_b32 exec_lo, exec_lo, s21
	v_lshlrev_b32_e32 v151, 8, v12
	v_lshl_add_u32 v150, v150, 10, 0x2000
	v_lshlrev_b32_e32 v16, 7, v16
	s_delay_alu instid0(VALU_DEP_3) | instskip(NEXT) | instid1(VALU_DEP_3)
	v_and_b32_e32 v151, 0x8000, v151
	v_and_b32_e32 v150, 0xfc00, v150
	s_delay_alu instid0(VALU_DEP_1)
	v_or3_b32 v150, v151, v150, v16
.LBB281_368:                            ;   in Loop: Header=BB281_10 Depth=1
	s_wait_alu 0xfffe
	s_or_b32 exec_lo, exec_lo, s20
.LBB281_369:                            ;   in Loop: Header=BB281_10 Depth=1
	s_wait_alu 0xfffe
	s_or_b32 exec_lo, exec_lo, s19
.LBB281_370:                            ;   in Loop: Header=BB281_10 Depth=1
	s_wait_alu 0xfffe
	s_or_b32 exec_lo, exec_lo, s4
	v_lshrrev_b16 v16, 8, v12
	s_mov_b32 s4, exec_lo
	s_delay_alu instid0(VALU_DEP_1)
	v_cmpx_ne_u16_e32 0, v16
	s_cbranch_execz .LBB281_378
; %bb.371:                              ;   in Loop: Header=BB281_10 Depth=1
	v_bfrev_b32_e32 v149, 1
	s_mov_b32 s19, exec_lo
	v_cmpx_ne_u16_e32 0x80, v16
	s_cbranch_execz .LBB281_377
; %bb.372:                              ;   in Loop: Header=BB281_10 Depth=1
	v_and_b32_e32 v151, 0xffff, v16
	v_mov_b32_e32 v149, 0x7c010000
	s_mov_b32 s20, exec_lo
	s_delay_alu instid0(VALU_DEP_2) | instskip(NEXT) | instid1(VALU_DEP_1)
	v_and_b32_e32 v161, 0x7f, v151
	v_cmpx_ne_u32_e32 0x7f, v161
	s_cbranch_execz .LBB281_376
; %bb.373:                              ;   in Loop: Header=BB281_10 Depth=1
	v_and_b32_e32 v149, 7, v151
	v_lshrrev_b32_e32 v160, 3, v161
	s_mov_b32 s21, exec_lo
	v_cmpx_gt_u32_e32 8, v161
; %bb.374:                              ;   in Loop: Header=BB281_10 Depth=1
	s_delay_alu instid0(VALU_DEP_3) | instskip(NEXT) | instid1(VALU_DEP_1)
	v_clz_i32_u32_e32 v149, v149
	v_min_u32_e32 v149, 32, v149
	s_delay_alu instid0(VALU_DEP_1) | instskip(NEXT) | instid1(VALU_DEP_1)
	v_subrev_nc_u32_e32 v160, 28, v149
	v_lshlrev_b64_e32 v[161:162], v160, v[16:17]
	v_sub_nc_u32_e32 v160, 29, v149
	s_delay_alu instid0(VALU_DEP_2)
	v_and_b32_e32 v149, 7, v161
; %bb.375:                              ;   in Loop: Header=BB281_10 Depth=1
	s_wait_alu 0xfffe
	s_or_b32 exec_lo, exec_lo, s21
	v_lshlrev_b32_e32 v16, 8, v151
	v_lshl_add_u32 v151, v160, 10, 0x2000
	v_lshlrev_b32_e32 v149, 23, v149
	s_delay_alu instid0(VALU_DEP_2) | instskip(NEXT) | instid1(VALU_DEP_1)
	v_and_or_b32 v16, 0x8000, v16, v151
	v_lshl_or_b32 v149, v16, 16, v149
.LBB281_376:                            ;   in Loop: Header=BB281_10 Depth=1
	s_wait_alu 0xfffe
	s_or_b32 exec_lo, exec_lo, s20
.LBB281_377:                            ;   in Loop: Header=BB281_10 Depth=1
	s_wait_alu 0xfffe
	s_or_b32 exec_lo, exec_lo, s19
.LBB281_378:                            ;   in Loop: Header=BB281_10 Depth=1
	s_wait_alu 0xfffe
	s_or_b32 exec_lo, exec_lo, s4
	v_lshrrev_b32_e32 v16, 16, v12
	v_mov_b32_e32 v151, 0
	s_mov_b32 s4, exec_lo
	s_delay_alu instid0(VALU_DEP_2) | instskip(NEXT) | instid1(VALU_DEP_1)
	v_dual_mov_b32 v160, 0 :: v_dual_and_b32 v161, 0xff, v16
	v_cmpx_ne_u16_e64 0, v161
	s_cbranch_execz .LBB281_386
; %bb.379:                              ;   in Loop: Header=BB281_10 Depth=1
	v_mov_b32_e32 v160, 0x8000
	s_mov_b32 s19, exec_lo
	v_cmpx_ne_u16_e64 0x80, v161
	s_cbranch_execz .LBB281_385
; %bb.380:                              ;   in Loop: Header=BB281_10 Depth=1
	v_bfe_u32 v162, v12, 16, 7
	v_mov_b32_e32 v160, 0x7c01
	s_mov_b32 s20, exec_lo
	s_delay_alu instid0(VALU_DEP_2)
	v_cmpx_ne_u32_e32 0x7f, v162
	s_cbranch_execz .LBB281_384
; %bb.381:                              ;   in Loop: Header=BB281_10 Depth=1
	v_and_b32_e32 v160, 7, v16
	v_lshrrev_b32_e32 v161, 3, v162
	s_mov_b32 s21, exec_lo
	v_cmpx_gt_u32_e32 8, v162
; %bb.382:                              ;   in Loop: Header=BB281_10 Depth=1
	s_delay_alu instid0(VALU_DEP_3) | instskip(NEXT) | instid1(VALU_DEP_1)
	v_clz_i32_u32_e32 v160, v160
	v_min_u32_e32 v162, 32, v160
	s_delay_alu instid0(VALU_DEP_1) | instskip(NEXT) | instid1(VALU_DEP_1)
	v_subrev_nc_u32_e32 v160, 28, v162
	v_lshlrev_b64_e32 v[160:161], v160, v[16:17]
	v_sub_nc_u32_e32 v161, 29, v162
	s_delay_alu instid0(VALU_DEP_2)
	v_and_b32_e32 v160, 7, v160
; %bb.383:                              ;   in Loop: Header=BB281_10 Depth=1
	s_wait_alu 0xfffe
	s_or_b32 exec_lo, exec_lo, s21
	v_lshlrev_b32_e32 v16, 8, v16
	v_lshl_add_u32 v161, v161, 10, 0x2000
	v_lshlrev_b32_e32 v160, 7, v160
	s_delay_alu instid0(VALU_DEP_3) | instskip(NEXT) | instid1(VALU_DEP_3)
	v_and_b32_e32 v16, 0x8000, v16
	v_and_b32_e32 v161, 0xfc00, v161
	s_delay_alu instid0(VALU_DEP_1)
	v_or3_b32 v160, v16, v161, v160
.LBB281_384:                            ;   in Loop: Header=BB281_10 Depth=1
	s_wait_alu 0xfffe
	s_or_b32 exec_lo, exec_lo, s20
.LBB281_385:                            ;   in Loop: Header=BB281_10 Depth=1
	s_wait_alu 0xfffe
	s_or_b32 exec_lo, exec_lo, s19
.LBB281_386:                            ;   in Loop: Header=BB281_10 Depth=1
	s_wait_alu 0xfffe
	s_or_b32 exec_lo, exec_lo, s4
	s_delay_alu instid0(SALU_CYCLE_1)
	s_mov_b32 s4, exec_lo
	v_cmpx_lt_u32_e32 0xffffff, v12
	s_cbranch_execz .LBB281_394
; %bb.387:                              ;   in Loop: Header=BB281_10 Depth=1
	v_lshrrev_b32_e32 v16, 24, v12
	v_bfrev_b32_e32 v151, 1
	s_mov_b32 s19, exec_lo
	s_delay_alu instid0(VALU_DEP_2)
	v_cmpx_ne_u32_e32 0x80, v16
	s_cbranch_execz .LBB281_393
; %bb.388:                              ;   in Loop: Header=BB281_10 Depth=1
	v_and_b32_e32 v161, 0x7f, v16
	v_mov_b32_e32 v151, 0x7c010000
	s_mov_b32 s20, exec_lo
	s_delay_alu instid0(VALU_DEP_2)
	v_cmpx_ne_u32_e32 0x7f, v161
	s_cbranch_execz .LBB281_392
; %bb.389:                              ;   in Loop: Header=BB281_10 Depth=1
	v_and_b32_e32 v12, 7, v16
	v_lshrrev_b32_e32 v151, 3, v161
	s_mov_b32 s21, exec_lo
	v_cmpx_gt_u32_e32 8, v161
; %bb.390:                              ;   in Loop: Header=BB281_10 Depth=1
	s_delay_alu instid0(VALU_DEP_3) | instskip(NEXT) | instid1(VALU_DEP_1)
	v_clz_i32_u32_e32 v12, v12
	v_min_u32_e32 v12, 32, v12
	s_delay_alu instid0(VALU_DEP_1) | instskip(NEXT) | instid1(VALU_DEP_1)
	v_subrev_nc_u32_e32 v151, 28, v12
	v_lshlrev_b64_e32 v[161:162], v151, v[16:17]
	v_sub_nc_u32_e32 v151, 29, v12
	s_delay_alu instid0(VALU_DEP_2)
	v_and_b32_e32 v12, 7, v161
; %bb.391:                              ;   in Loop: Header=BB281_10 Depth=1
	s_wait_alu 0xfffe
	s_or_b32 exec_lo, exec_lo, s21
	v_lshlrev_b32_e32 v16, 8, v16
	v_lshl_add_u32 v151, v151, 10, 0x2000
	v_lshlrev_b32_e32 v12, 23, v12
	s_delay_alu instid0(VALU_DEP_2) | instskip(NEXT) | instid1(VALU_DEP_1)
	v_and_or_b32 v16, 0x8000, v16, v151
	v_lshl_or_b32 v151, v16, 16, v12
.LBB281_392:                            ;   in Loop: Header=BB281_10 Depth=1
	s_wait_alu 0xfffe
	s_or_b32 exec_lo, exec_lo, s20
.LBB281_393:                            ;   in Loop: Header=BB281_10 Depth=1
	s_wait_alu 0xfffe
	s_or_b32 exec_lo, exec_lo, s19
.LBB281_394:                            ;   in Loop: Header=BB281_10 Depth=1
	s_wait_alu 0xfffe
	s_or_b32 exec_lo, exec_lo, s4
	flat_load_b32 v12, v[20:21] offset:1536
	v_mov_b32_e32 v162, 0
	s_mov_b32 s4, exec_lo
	s_wait_loadcnt_dscnt 0x0
	v_dual_mov_b32 v161, 0 :: v_dual_and_b32 v16, 0xff, v12
	s_delay_alu instid0(VALU_DEP_1)
	v_cmpx_ne_u16_e32 0, v16
	s_cbranch_execz .LBB281_402
; %bb.395:                              ;   in Loop: Header=BB281_10 Depth=1
	v_mov_b32_e32 v162, 0x8000
	s_mov_b32 s19, exec_lo
	v_cmpx_ne_u16_e32 0x80, v16
	s_cbranch_execz .LBB281_401
; %bb.396:                              ;   in Loop: Header=BB281_10 Depth=1
	v_and_b32_e32 v163, 0x7f, v12
	v_mov_b32_e32 v162, 0x7c01
	s_mov_b32 s20, exec_lo
	s_delay_alu instid0(VALU_DEP_2)
	v_cmpx_ne_u32_e32 0x7f, v163
	s_cbranch_execz .LBB281_400
; %bb.397:                              ;   in Loop: Header=BB281_10 Depth=1
	v_and_b32_e32 v16, 7, v12
	v_lshrrev_b32_e32 v162, 3, v163
	s_mov_b32 s21, exec_lo
	v_cmpx_gt_u32_e32 8, v163
; %bb.398:                              ;   in Loop: Header=BB281_10 Depth=1
	s_delay_alu instid0(VALU_DEP_3) | instskip(NEXT) | instid1(VALU_DEP_1)
	v_clz_i32_u32_e32 v16, v16
	v_min_u32_e32 v16, 32, v16
	s_delay_alu instid0(VALU_DEP_1) | instskip(NEXT) | instid1(VALU_DEP_1)
	v_subrev_nc_u32_e32 v162, 28, v16
	v_lshlrev_b64_e32 v[163:164], v162, v[12:13]
	v_sub_nc_u32_e32 v162, 29, v16
	s_delay_alu instid0(VALU_DEP_2)
	v_and_b32_e32 v16, 7, v163
; %bb.399:                              ;   in Loop: Header=BB281_10 Depth=1
	s_wait_alu 0xfffe
	s_or_b32 exec_lo, exec_lo, s21
	v_lshlrev_b32_e32 v163, 8, v12
	v_lshl_add_u32 v162, v162, 10, 0x2000
	v_lshlrev_b32_e32 v16, 7, v16
	s_delay_alu instid0(VALU_DEP_3) | instskip(NEXT) | instid1(VALU_DEP_3)
	v_and_b32_e32 v163, 0x8000, v163
	v_and_b32_e32 v162, 0xfc00, v162
	s_delay_alu instid0(VALU_DEP_1)
	v_or3_b32 v162, v163, v162, v16
.LBB281_400:                            ;   in Loop: Header=BB281_10 Depth=1
	s_wait_alu 0xfffe
	s_or_b32 exec_lo, exec_lo, s20
.LBB281_401:                            ;   in Loop: Header=BB281_10 Depth=1
	s_wait_alu 0xfffe
	s_or_b32 exec_lo, exec_lo, s19
.LBB281_402:                            ;   in Loop: Header=BB281_10 Depth=1
	s_wait_alu 0xfffe
	s_or_b32 exec_lo, exec_lo, s4
	v_lshrrev_b16 v16, 8, v12
	s_mov_b32 s4, exec_lo
	s_delay_alu instid0(VALU_DEP_1)
	v_cmpx_ne_u16_e32 0, v16
	s_cbranch_execz .LBB281_410
; %bb.403:                              ;   in Loop: Header=BB281_10 Depth=1
	v_bfrev_b32_e32 v161, 1
	s_mov_b32 s19, exec_lo
	v_cmpx_ne_u16_e32 0x80, v16
	s_cbranch_execz .LBB281_409
; %bb.404:                              ;   in Loop: Header=BB281_10 Depth=1
	v_and_b32_e32 v163, 0xffff, v16
	v_mov_b32_e32 v161, 0x7c010000
	s_mov_b32 s20, exec_lo
	s_delay_alu instid0(VALU_DEP_2) | instskip(NEXT) | instid1(VALU_DEP_1)
	v_and_b32_e32 v165, 0x7f, v163
	v_cmpx_ne_u32_e32 0x7f, v165
	s_cbranch_execz .LBB281_408
; %bb.405:                              ;   in Loop: Header=BB281_10 Depth=1
	v_and_b32_e32 v161, 7, v163
	v_lshrrev_b32_e32 v164, 3, v165
	s_mov_b32 s21, exec_lo
	v_cmpx_gt_u32_e32 8, v165
; %bb.406:                              ;   in Loop: Header=BB281_10 Depth=1
	s_delay_alu instid0(VALU_DEP_3) | instskip(NEXT) | instid1(VALU_DEP_1)
	v_clz_i32_u32_e32 v161, v161
	v_min_u32_e32 v161, 32, v161
	s_delay_alu instid0(VALU_DEP_1) | instskip(NEXT) | instid1(VALU_DEP_1)
	v_subrev_nc_u32_e32 v164, 28, v161
	v_lshlrev_b64_e32 v[165:166], v164, v[16:17]
	v_sub_nc_u32_e32 v164, 29, v161
	s_delay_alu instid0(VALU_DEP_2)
	v_and_b32_e32 v161, 7, v165
; %bb.407:                              ;   in Loop: Header=BB281_10 Depth=1
	s_wait_alu 0xfffe
	s_or_b32 exec_lo, exec_lo, s21
	v_lshlrev_b32_e32 v16, 8, v163
	v_lshl_add_u32 v163, v164, 10, 0x2000
	v_lshlrev_b32_e32 v161, 23, v161
	s_delay_alu instid0(VALU_DEP_2) | instskip(NEXT) | instid1(VALU_DEP_1)
	v_and_or_b32 v16, 0x8000, v16, v163
	v_lshl_or_b32 v161, v16, 16, v161
.LBB281_408:                            ;   in Loop: Header=BB281_10 Depth=1
	s_wait_alu 0xfffe
	s_or_b32 exec_lo, exec_lo, s20
.LBB281_409:                            ;   in Loop: Header=BB281_10 Depth=1
	s_wait_alu 0xfffe
	s_or_b32 exec_lo, exec_lo, s19
.LBB281_410:                            ;   in Loop: Header=BB281_10 Depth=1
	s_wait_alu 0xfffe
	s_or_b32 exec_lo, exec_lo, s4
	v_lshrrev_b32_e32 v16, 16, v12
	v_mov_b32_e32 v163, 0
	s_mov_b32 s4, exec_lo
	s_delay_alu instid0(VALU_DEP_2) | instskip(NEXT) | instid1(VALU_DEP_1)
	v_dual_mov_b32 v164, 0 :: v_dual_and_b32 v165, 0xff, v16
	v_cmpx_ne_u16_e64 0, v165
	s_cbranch_execz .LBB281_418
; %bb.411:                              ;   in Loop: Header=BB281_10 Depth=1
	v_mov_b32_e32 v164, 0x8000
	s_mov_b32 s19, exec_lo
	v_cmpx_ne_u16_e64 0x80, v165
	s_cbranch_execz .LBB281_417
; %bb.412:                              ;   in Loop: Header=BB281_10 Depth=1
	v_bfe_u32 v166, v12, 16, 7
	v_mov_b32_e32 v164, 0x7c01
	s_mov_b32 s20, exec_lo
	s_delay_alu instid0(VALU_DEP_2)
	v_cmpx_ne_u32_e32 0x7f, v166
	s_cbranch_execz .LBB281_416
; %bb.413:                              ;   in Loop: Header=BB281_10 Depth=1
	v_and_b32_e32 v164, 7, v16
	v_lshrrev_b32_e32 v165, 3, v166
	s_mov_b32 s21, exec_lo
	v_cmpx_gt_u32_e32 8, v166
; %bb.414:                              ;   in Loop: Header=BB281_10 Depth=1
	s_delay_alu instid0(VALU_DEP_3) | instskip(NEXT) | instid1(VALU_DEP_1)
	v_clz_i32_u32_e32 v164, v164
	v_min_u32_e32 v166, 32, v164
	s_delay_alu instid0(VALU_DEP_1) | instskip(NEXT) | instid1(VALU_DEP_1)
	v_subrev_nc_u32_e32 v164, 28, v166
	v_lshlrev_b64_e32 v[164:165], v164, v[16:17]
	v_sub_nc_u32_e32 v165, 29, v166
	s_delay_alu instid0(VALU_DEP_2)
	v_and_b32_e32 v164, 7, v164
; %bb.415:                              ;   in Loop: Header=BB281_10 Depth=1
	s_wait_alu 0xfffe
	s_or_b32 exec_lo, exec_lo, s21
	v_lshlrev_b32_e32 v16, 8, v16
	v_lshl_add_u32 v165, v165, 10, 0x2000
	v_lshlrev_b32_e32 v164, 7, v164
	s_delay_alu instid0(VALU_DEP_3) | instskip(NEXT) | instid1(VALU_DEP_3)
	v_and_b32_e32 v16, 0x8000, v16
	v_and_b32_e32 v165, 0xfc00, v165
	s_delay_alu instid0(VALU_DEP_1)
	v_or3_b32 v164, v16, v165, v164
.LBB281_416:                            ;   in Loop: Header=BB281_10 Depth=1
	s_wait_alu 0xfffe
	s_or_b32 exec_lo, exec_lo, s20
.LBB281_417:                            ;   in Loop: Header=BB281_10 Depth=1
	s_wait_alu 0xfffe
	s_or_b32 exec_lo, exec_lo, s19
.LBB281_418:                            ;   in Loop: Header=BB281_10 Depth=1
	s_wait_alu 0xfffe
	s_or_b32 exec_lo, exec_lo, s4
	s_delay_alu instid0(SALU_CYCLE_1)
	s_mov_b32 s4, exec_lo
	v_cmpx_lt_u32_e32 0xffffff, v12
	s_cbranch_execz .LBB281_426
; %bb.419:                              ;   in Loop: Header=BB281_10 Depth=1
	v_lshrrev_b32_e32 v16, 24, v12
	v_bfrev_b32_e32 v163, 1
	s_mov_b32 s19, exec_lo
	s_delay_alu instid0(VALU_DEP_2)
	v_cmpx_ne_u32_e32 0x80, v16
	s_cbranch_execz .LBB281_425
; %bb.420:                              ;   in Loop: Header=BB281_10 Depth=1
	v_and_b32_e32 v165, 0x7f, v16
	v_mov_b32_e32 v163, 0x7c010000
	s_mov_b32 s20, exec_lo
	s_delay_alu instid0(VALU_DEP_2)
	v_cmpx_ne_u32_e32 0x7f, v165
	s_cbranch_execz .LBB281_424
; %bb.421:                              ;   in Loop: Header=BB281_10 Depth=1
	v_and_b32_e32 v12, 7, v16
	v_lshrrev_b32_e32 v163, 3, v165
	s_mov_b32 s21, exec_lo
	v_cmpx_gt_u32_e32 8, v165
; %bb.422:                              ;   in Loop: Header=BB281_10 Depth=1
	s_delay_alu instid0(VALU_DEP_3) | instskip(NEXT) | instid1(VALU_DEP_1)
	v_clz_i32_u32_e32 v12, v12
	v_min_u32_e32 v12, 32, v12
	s_delay_alu instid0(VALU_DEP_1) | instskip(NEXT) | instid1(VALU_DEP_1)
	v_subrev_nc_u32_e32 v163, 28, v12
	v_lshlrev_b64_e32 v[165:166], v163, v[16:17]
	v_sub_nc_u32_e32 v163, 29, v12
	s_delay_alu instid0(VALU_DEP_2)
	v_and_b32_e32 v12, 7, v165
; %bb.423:                              ;   in Loop: Header=BB281_10 Depth=1
	s_wait_alu 0xfffe
	s_or_b32 exec_lo, exec_lo, s21
	v_lshlrev_b32_e32 v16, 8, v16
	v_lshl_add_u32 v163, v163, 10, 0x2000
	v_lshlrev_b32_e32 v12, 23, v12
	s_delay_alu instid0(VALU_DEP_2) | instskip(NEXT) | instid1(VALU_DEP_1)
	v_and_or_b32 v16, 0x8000, v16, v163
	v_lshl_or_b32 v163, v16, 16, v12
.LBB281_424:                            ;   in Loop: Header=BB281_10 Depth=1
	s_wait_alu 0xfffe
	s_or_b32 exec_lo, exec_lo, s20
.LBB281_425:                            ;   in Loop: Header=BB281_10 Depth=1
	s_wait_alu 0xfffe
	s_or_b32 exec_lo, exec_lo, s19
.LBB281_426:                            ;   in Loop: Header=BB281_10 Depth=1
	s_wait_alu 0xfffe
	s_or_b32 exec_lo, exec_lo, s4
	flat_load_b32 v12, v[20:21] offset:1544
	v_mov_b32_e32 v166, 0
	s_mov_b32 s4, exec_lo
	s_wait_loadcnt_dscnt 0x0
	v_dual_mov_b32 v165, 0 :: v_dual_and_b32 v16, 0xff, v12
	s_delay_alu instid0(VALU_DEP_1)
	v_cmpx_ne_u16_e32 0, v16
	s_cbranch_execz .LBB281_434
; %bb.427:                              ;   in Loop: Header=BB281_10 Depth=1
	v_mov_b32_e32 v166, 0x8000
	s_mov_b32 s19, exec_lo
	v_cmpx_ne_u16_e32 0x80, v16
	s_cbranch_execz .LBB281_433
; %bb.428:                              ;   in Loop: Header=BB281_10 Depth=1
	v_and_b32_e32 v167, 0x7f, v12
	v_mov_b32_e32 v166, 0x7c01
	s_mov_b32 s20, exec_lo
	s_delay_alu instid0(VALU_DEP_2)
	v_cmpx_ne_u32_e32 0x7f, v167
	s_cbranch_execz .LBB281_432
; %bb.429:                              ;   in Loop: Header=BB281_10 Depth=1
	v_and_b32_e32 v16, 7, v12
	v_lshrrev_b32_e32 v166, 3, v167
	s_mov_b32 s21, exec_lo
	v_cmpx_gt_u32_e32 8, v167
; %bb.430:                              ;   in Loop: Header=BB281_10 Depth=1
	s_delay_alu instid0(VALU_DEP_3) | instskip(NEXT) | instid1(VALU_DEP_1)
	v_clz_i32_u32_e32 v16, v16
	v_min_u32_e32 v16, 32, v16
	s_delay_alu instid0(VALU_DEP_1) | instskip(NEXT) | instid1(VALU_DEP_1)
	v_subrev_nc_u32_e32 v166, 28, v16
	v_lshlrev_b64_e32 v[176:177], v166, v[12:13]
	v_sub_nc_u32_e32 v166, 29, v16
	s_delay_alu instid0(VALU_DEP_2)
	v_and_b32_e32 v16, 7, v176
; %bb.431:                              ;   in Loop: Header=BB281_10 Depth=1
	s_wait_alu 0xfffe
	s_or_b32 exec_lo, exec_lo, s21
	v_lshlrev_b32_e32 v167, 8, v12
	v_lshl_add_u32 v166, v166, 10, 0x2000
	v_lshlrev_b32_e32 v16, 7, v16
	s_delay_alu instid0(VALU_DEP_3) | instskip(NEXT) | instid1(VALU_DEP_3)
	v_and_b32_e32 v167, 0x8000, v167
	v_and_b32_e32 v166, 0xfc00, v166
	s_delay_alu instid0(VALU_DEP_1)
	v_or3_b32 v166, v167, v166, v16
.LBB281_432:                            ;   in Loop: Header=BB281_10 Depth=1
	s_wait_alu 0xfffe
	s_or_b32 exec_lo, exec_lo, s20
.LBB281_433:                            ;   in Loop: Header=BB281_10 Depth=1
	s_wait_alu 0xfffe
	s_or_b32 exec_lo, exec_lo, s19
.LBB281_434:                            ;   in Loop: Header=BB281_10 Depth=1
	s_wait_alu 0xfffe
	s_or_b32 exec_lo, exec_lo, s4
	v_lshrrev_b16 v16, 8, v12
	s_mov_b32 s4, exec_lo
	s_delay_alu instid0(VALU_DEP_1)
	v_cmpx_ne_u16_e32 0, v16
	s_cbranch_execz .LBB281_442
; %bb.435:                              ;   in Loop: Header=BB281_10 Depth=1
	v_bfrev_b32_e32 v165, 1
	s_mov_b32 s19, exec_lo
	v_cmpx_ne_u16_e32 0x80, v16
	s_cbranch_execz .LBB281_441
; %bb.436:                              ;   in Loop: Header=BB281_10 Depth=1
	v_and_b32_e32 v167, 0xffff, v16
	v_mov_b32_e32 v165, 0x7c010000
	s_mov_b32 s20, exec_lo
	s_delay_alu instid0(VALU_DEP_2) | instskip(NEXT) | instid1(VALU_DEP_1)
	v_and_b32_e32 v177, 0x7f, v167
	v_cmpx_ne_u32_e32 0x7f, v177
	s_cbranch_execz .LBB281_440
; %bb.437:                              ;   in Loop: Header=BB281_10 Depth=1
	v_and_b32_e32 v165, 7, v167
	v_lshrrev_b32_e32 v176, 3, v177
	s_mov_b32 s21, exec_lo
	v_cmpx_gt_u32_e32 8, v177
; %bb.438:                              ;   in Loop: Header=BB281_10 Depth=1
	s_delay_alu instid0(VALU_DEP_3) | instskip(NEXT) | instid1(VALU_DEP_1)
	v_clz_i32_u32_e32 v165, v165
	v_min_u32_e32 v165, 32, v165
	s_delay_alu instid0(VALU_DEP_1) | instskip(NEXT) | instid1(VALU_DEP_1)
	v_subrev_nc_u32_e32 v176, 28, v165
	v_lshlrev_b64_e32 v[177:178], v176, v[16:17]
	v_sub_nc_u32_e32 v176, 29, v165
	s_delay_alu instid0(VALU_DEP_2)
	v_and_b32_e32 v165, 7, v177
; %bb.439:                              ;   in Loop: Header=BB281_10 Depth=1
	s_wait_alu 0xfffe
	s_or_b32 exec_lo, exec_lo, s21
	v_lshlrev_b32_e32 v16, 8, v167
	v_lshl_add_u32 v167, v176, 10, 0x2000
	v_lshlrev_b32_e32 v165, 23, v165
	s_delay_alu instid0(VALU_DEP_2) | instskip(NEXT) | instid1(VALU_DEP_1)
	v_and_or_b32 v16, 0x8000, v16, v167
	v_lshl_or_b32 v165, v16, 16, v165
.LBB281_440:                            ;   in Loop: Header=BB281_10 Depth=1
	s_wait_alu 0xfffe
	s_or_b32 exec_lo, exec_lo, s20
.LBB281_441:                            ;   in Loop: Header=BB281_10 Depth=1
	s_wait_alu 0xfffe
	s_or_b32 exec_lo, exec_lo, s19
.LBB281_442:                            ;   in Loop: Header=BB281_10 Depth=1
	s_wait_alu 0xfffe
	s_or_b32 exec_lo, exec_lo, s4
	v_lshrrev_b32_e32 v16, 16, v12
	v_mov_b32_e32 v167, 0
	s_mov_b32 s4, exec_lo
	s_delay_alu instid0(VALU_DEP_2) | instskip(NEXT) | instid1(VALU_DEP_1)
	v_dual_mov_b32 v176, 0 :: v_dual_and_b32 v177, 0xff, v16
	v_cmpx_ne_u16_e64 0, v177
	s_cbranch_execz .LBB281_450
; %bb.443:                              ;   in Loop: Header=BB281_10 Depth=1
	v_mov_b32_e32 v176, 0x8000
	s_mov_b32 s19, exec_lo
	v_cmpx_ne_u16_e64 0x80, v177
	s_cbranch_execz .LBB281_449
; %bb.444:                              ;   in Loop: Header=BB281_10 Depth=1
	v_bfe_u32 v178, v12, 16, 7
	v_mov_b32_e32 v176, 0x7c01
	s_mov_b32 s20, exec_lo
	s_delay_alu instid0(VALU_DEP_2)
	v_cmpx_ne_u32_e32 0x7f, v178
	s_cbranch_execz .LBB281_448
; %bb.445:                              ;   in Loop: Header=BB281_10 Depth=1
	v_and_b32_e32 v176, 7, v16
	v_lshrrev_b32_e32 v177, 3, v178
	s_mov_b32 s21, exec_lo
	v_cmpx_gt_u32_e32 8, v178
; %bb.446:                              ;   in Loop: Header=BB281_10 Depth=1
	s_delay_alu instid0(VALU_DEP_3) | instskip(NEXT) | instid1(VALU_DEP_1)
	v_clz_i32_u32_e32 v176, v176
	v_min_u32_e32 v178, 32, v176
	s_delay_alu instid0(VALU_DEP_1) | instskip(NEXT) | instid1(VALU_DEP_1)
	v_subrev_nc_u32_e32 v176, 28, v178
	v_lshlrev_b64_e32 v[176:177], v176, v[16:17]
	v_sub_nc_u32_e32 v177, 29, v178
	s_delay_alu instid0(VALU_DEP_2)
	v_and_b32_e32 v176, 7, v176
; %bb.447:                              ;   in Loop: Header=BB281_10 Depth=1
	s_wait_alu 0xfffe
	s_or_b32 exec_lo, exec_lo, s21
	v_lshlrev_b32_e32 v16, 8, v16
	v_lshl_add_u32 v177, v177, 10, 0x2000
	v_lshlrev_b32_e32 v176, 7, v176
	s_delay_alu instid0(VALU_DEP_3) | instskip(NEXT) | instid1(VALU_DEP_3)
	v_and_b32_e32 v16, 0x8000, v16
	v_and_b32_e32 v177, 0xfc00, v177
	s_delay_alu instid0(VALU_DEP_1)
	v_or3_b32 v176, v16, v177, v176
.LBB281_448:                            ;   in Loop: Header=BB281_10 Depth=1
	s_wait_alu 0xfffe
	s_or_b32 exec_lo, exec_lo, s20
.LBB281_449:                            ;   in Loop: Header=BB281_10 Depth=1
	s_wait_alu 0xfffe
	s_or_b32 exec_lo, exec_lo, s19
.LBB281_450:                            ;   in Loop: Header=BB281_10 Depth=1
	s_wait_alu 0xfffe
	s_or_b32 exec_lo, exec_lo, s4
	s_delay_alu instid0(SALU_CYCLE_1)
	s_mov_b32 s4, exec_lo
	v_cmpx_lt_u32_e32 0xffffff, v12
	s_cbranch_execz .LBB281_458
; %bb.451:                              ;   in Loop: Header=BB281_10 Depth=1
	v_lshrrev_b32_e32 v16, 24, v12
	v_bfrev_b32_e32 v167, 1
	s_mov_b32 s19, exec_lo
	s_delay_alu instid0(VALU_DEP_2)
	v_cmpx_ne_u32_e32 0x80, v16
	s_cbranch_execz .LBB281_457
; %bb.452:                              ;   in Loop: Header=BB281_10 Depth=1
	v_and_b32_e32 v177, 0x7f, v16
	v_mov_b32_e32 v167, 0x7c010000
	s_mov_b32 s20, exec_lo
	s_delay_alu instid0(VALU_DEP_2)
	v_cmpx_ne_u32_e32 0x7f, v177
	s_cbranch_execz .LBB281_456
; %bb.453:                              ;   in Loop: Header=BB281_10 Depth=1
	v_and_b32_e32 v12, 7, v16
	v_lshrrev_b32_e32 v167, 3, v177
	s_mov_b32 s21, exec_lo
	v_cmpx_gt_u32_e32 8, v177
; %bb.454:                              ;   in Loop: Header=BB281_10 Depth=1
	s_delay_alu instid0(VALU_DEP_3) | instskip(NEXT) | instid1(VALU_DEP_1)
	v_clz_i32_u32_e32 v12, v12
	v_min_u32_e32 v12, 32, v12
	s_delay_alu instid0(VALU_DEP_1) | instskip(NEXT) | instid1(VALU_DEP_1)
	v_subrev_nc_u32_e32 v167, 28, v12
	v_lshlrev_b64_e32 v[177:178], v167, v[16:17]
	v_sub_nc_u32_e32 v167, 29, v12
	s_delay_alu instid0(VALU_DEP_2)
	v_and_b32_e32 v12, 7, v177
; %bb.455:                              ;   in Loop: Header=BB281_10 Depth=1
	s_wait_alu 0xfffe
	s_or_b32 exec_lo, exec_lo, s21
	v_lshlrev_b32_e32 v16, 8, v16
	v_lshl_add_u32 v167, v167, 10, 0x2000
	v_lshlrev_b32_e32 v12, 23, v12
	s_delay_alu instid0(VALU_DEP_2) | instskip(NEXT) | instid1(VALU_DEP_1)
	v_and_or_b32 v16, 0x8000, v16, v167
	v_lshl_or_b32 v167, v16, 16, v12
.LBB281_456:                            ;   in Loop: Header=BB281_10 Depth=1
	s_wait_alu 0xfffe
	s_or_b32 exec_lo, exec_lo, s20
.LBB281_457:                            ;   in Loop: Header=BB281_10 Depth=1
	s_wait_alu 0xfffe
	s_or_b32 exec_lo, exec_lo, s19
.LBB281_458:                            ;   in Loop: Header=BB281_10 Depth=1
	s_wait_alu 0xfffe
	s_or_b32 exec_lo, exec_lo, s4
	flat_load_b32 v12, v[20:21] offset:1792
	v_mov_b32_e32 v178, 0
	s_mov_b32 s4, exec_lo
	s_wait_loadcnt_dscnt 0x0
	v_dual_mov_b32 v177, 0 :: v_dual_and_b32 v16, 0xff, v12
	s_delay_alu instid0(VALU_DEP_1)
	v_cmpx_ne_u16_e32 0, v16
	s_cbranch_execz .LBB281_466
; %bb.459:                              ;   in Loop: Header=BB281_10 Depth=1
	v_mov_b32_e32 v178, 0x8000
	s_mov_b32 s19, exec_lo
	v_cmpx_ne_u16_e32 0x80, v16
	s_cbranch_execz .LBB281_465
; %bb.460:                              ;   in Loop: Header=BB281_10 Depth=1
	v_and_b32_e32 v179, 0x7f, v12
	v_mov_b32_e32 v178, 0x7c01
	s_mov_b32 s20, exec_lo
	s_delay_alu instid0(VALU_DEP_2)
	v_cmpx_ne_u32_e32 0x7f, v179
	s_cbranch_execz .LBB281_464
; %bb.461:                              ;   in Loop: Header=BB281_10 Depth=1
	v_and_b32_e32 v16, 7, v12
	v_lshrrev_b32_e32 v178, 3, v179
	s_mov_b32 s21, exec_lo
	v_cmpx_gt_u32_e32 8, v179
; %bb.462:                              ;   in Loop: Header=BB281_10 Depth=1
	s_delay_alu instid0(VALU_DEP_3) | instskip(NEXT) | instid1(VALU_DEP_1)
	v_clz_i32_u32_e32 v16, v16
	v_min_u32_e32 v16, 32, v16
	s_delay_alu instid0(VALU_DEP_1) | instskip(NEXT) | instid1(VALU_DEP_1)
	v_subrev_nc_u32_e32 v178, 28, v16
	v_lshlrev_b64_e32 v[179:180], v178, v[12:13]
	v_sub_nc_u32_e32 v178, 29, v16
	s_delay_alu instid0(VALU_DEP_2)
	v_and_b32_e32 v16, 7, v179
; %bb.463:                              ;   in Loop: Header=BB281_10 Depth=1
	s_wait_alu 0xfffe
	s_or_b32 exec_lo, exec_lo, s21
	v_lshlrev_b32_e32 v179, 8, v12
	v_lshl_add_u32 v178, v178, 10, 0x2000
	v_lshlrev_b32_e32 v16, 7, v16
	s_delay_alu instid0(VALU_DEP_3) | instskip(NEXT) | instid1(VALU_DEP_3)
	v_and_b32_e32 v179, 0x8000, v179
	v_and_b32_e32 v178, 0xfc00, v178
	s_delay_alu instid0(VALU_DEP_1)
	v_or3_b32 v178, v179, v178, v16
.LBB281_464:                            ;   in Loop: Header=BB281_10 Depth=1
	s_wait_alu 0xfffe
	s_or_b32 exec_lo, exec_lo, s20
.LBB281_465:                            ;   in Loop: Header=BB281_10 Depth=1
	s_wait_alu 0xfffe
	s_or_b32 exec_lo, exec_lo, s19
.LBB281_466:                            ;   in Loop: Header=BB281_10 Depth=1
	s_wait_alu 0xfffe
	s_or_b32 exec_lo, exec_lo, s4
	v_lshrrev_b16 v16, 8, v12
	s_mov_b32 s4, exec_lo
	s_delay_alu instid0(VALU_DEP_1)
	v_cmpx_ne_u16_e32 0, v16
	s_cbranch_execz .LBB281_474
; %bb.467:                              ;   in Loop: Header=BB281_10 Depth=1
	v_bfrev_b32_e32 v177, 1
	s_mov_b32 s19, exec_lo
	v_cmpx_ne_u16_e32 0x80, v16
	s_cbranch_execz .LBB281_473
; %bb.468:                              ;   in Loop: Header=BB281_10 Depth=1
	v_and_b32_e32 v179, 0xffff, v16
	v_mov_b32_e32 v177, 0x7c010000
	s_mov_b32 s20, exec_lo
	s_delay_alu instid0(VALU_DEP_2) | instskip(NEXT) | instid1(VALU_DEP_1)
	v_and_b32_e32 v181, 0x7f, v179
	v_cmpx_ne_u32_e32 0x7f, v181
	s_cbranch_execz .LBB281_472
; %bb.469:                              ;   in Loop: Header=BB281_10 Depth=1
	v_and_b32_e32 v177, 7, v179
	v_lshrrev_b32_e32 v180, 3, v181
	s_mov_b32 s21, exec_lo
	v_cmpx_gt_u32_e32 8, v181
; %bb.470:                              ;   in Loop: Header=BB281_10 Depth=1
	s_delay_alu instid0(VALU_DEP_3) | instskip(NEXT) | instid1(VALU_DEP_1)
	v_clz_i32_u32_e32 v177, v177
	v_min_u32_e32 v177, 32, v177
	s_delay_alu instid0(VALU_DEP_1) | instskip(NEXT) | instid1(VALU_DEP_1)
	v_subrev_nc_u32_e32 v180, 28, v177
	v_lshlrev_b64_e32 v[181:182], v180, v[16:17]
	v_sub_nc_u32_e32 v180, 29, v177
	s_delay_alu instid0(VALU_DEP_2)
	v_and_b32_e32 v177, 7, v181
; %bb.471:                              ;   in Loop: Header=BB281_10 Depth=1
	s_wait_alu 0xfffe
	s_or_b32 exec_lo, exec_lo, s21
	v_lshlrev_b32_e32 v16, 8, v179
	v_lshl_add_u32 v179, v180, 10, 0x2000
	v_lshlrev_b32_e32 v177, 23, v177
	s_delay_alu instid0(VALU_DEP_2) | instskip(NEXT) | instid1(VALU_DEP_1)
	v_and_or_b32 v16, 0x8000, v16, v179
	v_lshl_or_b32 v177, v16, 16, v177
.LBB281_472:                            ;   in Loop: Header=BB281_10 Depth=1
	s_wait_alu 0xfffe
	s_or_b32 exec_lo, exec_lo, s20
.LBB281_473:                            ;   in Loop: Header=BB281_10 Depth=1
	s_wait_alu 0xfffe
	s_or_b32 exec_lo, exec_lo, s19
.LBB281_474:                            ;   in Loop: Header=BB281_10 Depth=1
	s_wait_alu 0xfffe
	s_or_b32 exec_lo, exec_lo, s4
	v_lshrrev_b32_e32 v16, 16, v12
	v_mov_b32_e32 v179, 0
	s_mov_b32 s4, exec_lo
	s_delay_alu instid0(VALU_DEP_2) | instskip(NEXT) | instid1(VALU_DEP_1)
	v_dual_mov_b32 v180, 0 :: v_dual_and_b32 v181, 0xff, v16
	v_cmpx_ne_u16_e64 0, v181
	s_cbranch_execz .LBB281_482
; %bb.475:                              ;   in Loop: Header=BB281_10 Depth=1
	v_mov_b32_e32 v180, 0x8000
	s_mov_b32 s19, exec_lo
	v_cmpx_ne_u16_e64 0x80, v181
	s_cbranch_execz .LBB281_481
; %bb.476:                              ;   in Loop: Header=BB281_10 Depth=1
	v_bfe_u32 v182, v12, 16, 7
	v_mov_b32_e32 v180, 0x7c01
	s_mov_b32 s20, exec_lo
	s_delay_alu instid0(VALU_DEP_2)
	v_cmpx_ne_u32_e32 0x7f, v182
	s_cbranch_execz .LBB281_480
; %bb.477:                              ;   in Loop: Header=BB281_10 Depth=1
	v_and_b32_e32 v180, 7, v16
	v_lshrrev_b32_e32 v181, 3, v182
	s_mov_b32 s21, exec_lo
	v_cmpx_gt_u32_e32 8, v182
; %bb.478:                              ;   in Loop: Header=BB281_10 Depth=1
	s_delay_alu instid0(VALU_DEP_3) | instskip(NEXT) | instid1(VALU_DEP_1)
	v_clz_i32_u32_e32 v180, v180
	v_min_u32_e32 v182, 32, v180
	s_delay_alu instid0(VALU_DEP_1) | instskip(NEXT) | instid1(VALU_DEP_1)
	v_subrev_nc_u32_e32 v180, 28, v182
	v_lshlrev_b64_e32 v[180:181], v180, v[16:17]
	v_sub_nc_u32_e32 v181, 29, v182
	s_delay_alu instid0(VALU_DEP_2)
	v_and_b32_e32 v180, 7, v180
; %bb.479:                              ;   in Loop: Header=BB281_10 Depth=1
	s_wait_alu 0xfffe
	s_or_b32 exec_lo, exec_lo, s21
	v_lshlrev_b32_e32 v16, 8, v16
	v_lshl_add_u32 v181, v181, 10, 0x2000
	v_lshlrev_b32_e32 v180, 7, v180
	s_delay_alu instid0(VALU_DEP_3) | instskip(NEXT) | instid1(VALU_DEP_3)
	v_and_b32_e32 v16, 0x8000, v16
	v_and_b32_e32 v181, 0xfc00, v181
	s_delay_alu instid0(VALU_DEP_1)
	v_or3_b32 v180, v16, v181, v180
.LBB281_480:                            ;   in Loop: Header=BB281_10 Depth=1
	s_wait_alu 0xfffe
	s_or_b32 exec_lo, exec_lo, s20
.LBB281_481:                            ;   in Loop: Header=BB281_10 Depth=1
	s_wait_alu 0xfffe
	s_or_b32 exec_lo, exec_lo, s19
.LBB281_482:                            ;   in Loop: Header=BB281_10 Depth=1
	s_wait_alu 0xfffe
	s_or_b32 exec_lo, exec_lo, s4
	s_delay_alu instid0(SALU_CYCLE_1)
	s_mov_b32 s4, exec_lo
	v_cmpx_lt_u32_e32 0xffffff, v12
	s_cbranch_execz .LBB281_490
; %bb.483:                              ;   in Loop: Header=BB281_10 Depth=1
	v_lshrrev_b32_e32 v16, 24, v12
	v_bfrev_b32_e32 v179, 1
	s_mov_b32 s19, exec_lo
	s_delay_alu instid0(VALU_DEP_2)
	v_cmpx_ne_u32_e32 0x80, v16
	s_cbranch_execz .LBB281_489
; %bb.484:                              ;   in Loop: Header=BB281_10 Depth=1
	v_and_b32_e32 v181, 0x7f, v16
	v_mov_b32_e32 v179, 0x7c010000
	s_mov_b32 s20, exec_lo
	s_delay_alu instid0(VALU_DEP_2)
	v_cmpx_ne_u32_e32 0x7f, v181
	s_cbranch_execz .LBB281_488
; %bb.485:                              ;   in Loop: Header=BB281_10 Depth=1
	v_and_b32_e32 v12, 7, v16
	v_lshrrev_b32_e32 v179, 3, v181
	s_mov_b32 s21, exec_lo
	v_cmpx_gt_u32_e32 8, v181
; %bb.486:                              ;   in Loop: Header=BB281_10 Depth=1
	s_delay_alu instid0(VALU_DEP_3) | instskip(NEXT) | instid1(VALU_DEP_1)
	v_clz_i32_u32_e32 v12, v12
	v_min_u32_e32 v12, 32, v12
	s_delay_alu instid0(VALU_DEP_1) | instskip(NEXT) | instid1(VALU_DEP_1)
	v_subrev_nc_u32_e32 v179, 28, v12
	v_lshlrev_b64_e32 v[181:182], v179, v[16:17]
	v_sub_nc_u32_e32 v179, 29, v12
	s_delay_alu instid0(VALU_DEP_2)
	v_and_b32_e32 v12, 7, v181
; %bb.487:                              ;   in Loop: Header=BB281_10 Depth=1
	s_wait_alu 0xfffe
	s_or_b32 exec_lo, exec_lo, s21
	v_lshlrev_b32_e32 v16, 8, v16
	v_lshl_add_u32 v179, v179, 10, 0x2000
	v_lshlrev_b32_e32 v12, 23, v12
	s_delay_alu instid0(VALU_DEP_2) | instskip(NEXT) | instid1(VALU_DEP_1)
	v_and_or_b32 v16, 0x8000, v16, v179
	v_lshl_or_b32 v179, v16, 16, v12
.LBB281_488:                            ;   in Loop: Header=BB281_10 Depth=1
	s_wait_alu 0xfffe
	s_or_b32 exec_lo, exec_lo, s20
.LBB281_489:                            ;   in Loop: Header=BB281_10 Depth=1
	s_wait_alu 0xfffe
	s_or_b32 exec_lo, exec_lo, s19
.LBB281_490:                            ;   in Loop: Header=BB281_10 Depth=1
	s_wait_alu 0xfffe
	s_or_b32 exec_lo, exec_lo, s4
	flat_load_b32 v12, v[20:21] offset:1800
	v_mov_b32_e32 v182, 0
	s_mov_b32 s4, exec_lo
	s_wait_loadcnt_dscnt 0x0
	v_dual_mov_b32 v181, 0 :: v_dual_and_b32 v16, 0xff, v12
	s_delay_alu instid0(VALU_DEP_1)
	v_cmpx_ne_u16_e32 0, v16
	s_cbranch_execz .LBB281_498
; %bb.491:                              ;   in Loop: Header=BB281_10 Depth=1
	v_mov_b32_e32 v182, 0x8000
	s_mov_b32 s19, exec_lo
	v_cmpx_ne_u16_e32 0x80, v16
	s_cbranch_execz .LBB281_497
; %bb.492:                              ;   in Loop: Header=BB281_10 Depth=1
	v_and_b32_e32 v183, 0x7f, v12
	v_mov_b32_e32 v182, 0x7c01
	s_mov_b32 s20, exec_lo
	s_delay_alu instid0(VALU_DEP_2)
	v_cmpx_ne_u32_e32 0x7f, v183
	s_cbranch_execz .LBB281_496
; %bb.493:                              ;   in Loop: Header=BB281_10 Depth=1
	v_and_b32_e32 v16, 7, v12
	v_lshrrev_b32_e32 v182, 3, v183
	s_mov_b32 s21, exec_lo
	v_cmpx_gt_u32_e32 8, v183
; %bb.494:                              ;   in Loop: Header=BB281_10 Depth=1
	s_delay_alu instid0(VALU_DEP_3) | instskip(NEXT) | instid1(VALU_DEP_1)
	v_clz_i32_u32_e32 v16, v16
	v_min_u32_e32 v16, 32, v16
	s_delay_alu instid0(VALU_DEP_1) | instskip(NEXT) | instid1(VALU_DEP_1)
	v_subrev_nc_u32_e32 v182, 28, v16
	v_lshlrev_b64_e32 v[40:41], v182, v[12:13]
	v_sub_nc_u32_e32 v182, 29, v16
	s_delay_alu instid0(VALU_DEP_2)
	v_and_b32_e32 v16, 7, v40
; %bb.495:                              ;   in Loop: Header=BB281_10 Depth=1
	s_wait_alu 0xfffe
	s_or_b32 exec_lo, exec_lo, s21
	v_lshlrev_b32_e32 v183, 8, v12
	v_lshl_add_u32 v182, v182, 10, 0x2000
	v_lshlrev_b32_e32 v16, 7, v16
	s_delay_alu instid0(VALU_DEP_3) | instskip(NEXT) | instid1(VALU_DEP_3)
	v_and_b32_e32 v183, 0x8000, v183
	v_and_b32_e32 v182, 0xfc00, v182
	s_delay_alu instid0(VALU_DEP_1)
	v_or3_b32 v182, v183, v182, v16
.LBB281_496:                            ;   in Loop: Header=BB281_10 Depth=1
	s_wait_alu 0xfffe
	s_or_b32 exec_lo, exec_lo, s20
.LBB281_497:                            ;   in Loop: Header=BB281_10 Depth=1
	s_wait_alu 0xfffe
	s_or_b32 exec_lo, exec_lo, s19
.LBB281_498:                            ;   in Loop: Header=BB281_10 Depth=1
	s_wait_alu 0xfffe
	s_or_b32 exec_lo, exec_lo, s4
	v_lshrrev_b16 v16, 8, v12
	s_mov_b32 s4, exec_lo
	s_delay_alu instid0(VALU_DEP_1)
	v_cmpx_ne_u16_e32 0, v16
	s_cbranch_execz .LBB281_506
; %bb.499:                              ;   in Loop: Header=BB281_10 Depth=1
	v_bfrev_b32_e32 v181, 1
	s_mov_b32 s19, exec_lo
	v_cmpx_ne_u16_e32 0x80, v16
	s_cbranch_execz .LBB281_505
; %bb.500:                              ;   in Loop: Header=BB281_10 Depth=1
	v_and_b32_e32 v183, 0xffff, v16
	v_mov_b32_e32 v181, 0x7c010000
	s_mov_b32 s20, exec_lo
	s_delay_alu instid0(VALU_DEP_2) | instskip(NEXT) | instid1(VALU_DEP_1)
	v_and_b32_e32 v41, 0x7f, v183
	v_cmpx_ne_u32_e32 0x7f, v41
	s_cbranch_execz .LBB281_504
; %bb.501:                              ;   in Loop: Header=BB281_10 Depth=1
	v_and_b32_e32 v181, 7, v183
	v_lshrrev_b32_e32 v40, 3, v41
	s_mov_b32 s21, exec_lo
	v_cmpx_gt_u32_e32 8, v41
; %bb.502:                              ;   in Loop: Header=BB281_10 Depth=1
	s_delay_alu instid0(VALU_DEP_3) | instskip(NEXT) | instid1(VALU_DEP_1)
	v_clz_i32_u32_e32 v181, v181
	v_min_u32_e32 v181, 32, v181
	s_delay_alu instid0(VALU_DEP_1) | instskip(NEXT) | instid1(VALU_DEP_1)
	v_subrev_nc_u32_e32 v40, 28, v181
	v_lshlrev_b64_e32 v[41:42], v40, v[16:17]
	v_sub_nc_u32_e32 v40, 29, v181
	s_delay_alu instid0(VALU_DEP_2)
	v_and_b32_e32 v181, 7, v41
; %bb.503:                              ;   in Loop: Header=BB281_10 Depth=1
	s_wait_alu 0xfffe
	s_or_b32 exec_lo, exec_lo, s21
	v_lshlrev_b32_e32 v16, 8, v183
	v_lshl_add_u32 v183, v40, 10, 0x2000
	v_lshlrev_b32_e32 v181, 23, v181
	s_delay_alu instid0(VALU_DEP_2) | instskip(NEXT) | instid1(VALU_DEP_1)
	v_and_or_b32 v16, 0x8000, v16, v183
	v_lshl_or_b32 v181, v16, 16, v181
.LBB281_504:                            ;   in Loop: Header=BB281_10 Depth=1
	s_wait_alu 0xfffe
	s_or_b32 exec_lo, exec_lo, s20
.LBB281_505:                            ;   in Loop: Header=BB281_10 Depth=1
	s_wait_alu 0xfffe
	s_or_b32 exec_lo, exec_lo, s19
.LBB281_506:                            ;   in Loop: Header=BB281_10 Depth=1
	s_wait_alu 0xfffe
	s_or_b32 exec_lo, exec_lo, s4
	v_lshrrev_b32_e32 v16, 16, v12
	v_mov_b32_e32 v183, 0
	s_mov_b32 s4, exec_lo
	s_delay_alu instid0(VALU_DEP_2) | instskip(NEXT) | instid1(VALU_DEP_1)
	v_dual_mov_b32 v40, 0 :: v_dual_and_b32 v41, 0xff, v16
	v_cmpx_ne_u16_e32 0, v41
	s_cbranch_execz .LBB281_514
; %bb.507:                              ;   in Loop: Header=BB281_10 Depth=1
	v_mov_b32_e32 v40, 0x8000
	s_mov_b32 s19, exec_lo
	v_cmpx_ne_u16_e32 0x80, v41
	s_cbranch_execz .LBB281_513
; %bb.508:                              ;   in Loop: Header=BB281_10 Depth=1
	v_bfe_u32 v42, v12, 16, 7
	v_mov_b32_e32 v40, 0x7c01
	s_mov_b32 s20, exec_lo
	s_delay_alu instid0(VALU_DEP_2)
	v_cmpx_ne_u32_e32 0x7f, v42
	s_cbranch_execz .LBB281_512
; %bb.509:                              ;   in Loop: Header=BB281_10 Depth=1
	v_and_b32_e32 v40, 7, v16
	v_lshrrev_b32_e32 v41, 3, v42
	s_mov_b32 s21, exec_lo
	v_cmpx_gt_u32_e32 8, v42
; %bb.510:                              ;   in Loop: Header=BB281_10 Depth=1
	s_delay_alu instid0(VALU_DEP_3) | instskip(NEXT) | instid1(VALU_DEP_1)
	v_clz_i32_u32_e32 v40, v40
	v_min_u32_e32 v42, 32, v40
	s_delay_alu instid0(VALU_DEP_1) | instskip(NEXT) | instid1(VALU_DEP_1)
	v_subrev_nc_u32_e32 v40, 28, v42
	v_lshlrev_b64_e32 v[40:41], v40, v[16:17]
	v_sub_nc_u32_e32 v41, 29, v42
	s_delay_alu instid0(VALU_DEP_2)
	v_and_b32_e32 v40, 7, v40
; %bb.511:                              ;   in Loop: Header=BB281_10 Depth=1
	s_wait_alu 0xfffe
	s_or_b32 exec_lo, exec_lo, s21
	v_lshlrev_b32_e32 v16, 8, v16
	v_lshl_add_u32 v41, v41, 10, 0x2000
	v_lshlrev_b32_e32 v40, 7, v40
	s_delay_alu instid0(VALU_DEP_3) | instskip(NEXT) | instid1(VALU_DEP_3)
	v_and_b32_e32 v16, 0x8000, v16
	v_and_b32_e32 v41, 0xfc00, v41
	s_delay_alu instid0(VALU_DEP_1)
	v_or3_b32 v40, v16, v41, v40
.LBB281_512:                            ;   in Loop: Header=BB281_10 Depth=1
	s_wait_alu 0xfffe
	s_or_b32 exec_lo, exec_lo, s20
.LBB281_513:                            ;   in Loop: Header=BB281_10 Depth=1
	s_wait_alu 0xfffe
	s_or_b32 exec_lo, exec_lo, s19
.LBB281_514:                            ;   in Loop: Header=BB281_10 Depth=1
	s_wait_alu 0xfffe
	s_or_b32 exec_lo, exec_lo, s4
	s_delay_alu instid0(SALU_CYCLE_1)
	s_mov_b32 s4, exec_lo
	v_cmpx_lt_u32_e32 0xffffff, v12
	s_cbranch_execz .LBB281_522
; %bb.515:                              ;   in Loop: Header=BB281_10 Depth=1
	v_lshrrev_b32_e32 v16, 24, v12
	v_bfrev_b32_e32 v183, 1
	s_mov_b32 s19, exec_lo
	s_delay_alu instid0(VALU_DEP_2)
	v_cmpx_ne_u32_e32 0x80, v16
	s_cbranch_execz .LBB281_521
; %bb.516:                              ;   in Loop: Header=BB281_10 Depth=1
	v_and_b32_e32 v41, 0x7f, v16
	v_mov_b32_e32 v183, 0x7c010000
	s_mov_b32 s20, exec_lo
	s_delay_alu instid0(VALU_DEP_2)
	v_cmpx_ne_u32_e32 0x7f, v41
	s_cbranch_execz .LBB281_520
; %bb.517:                              ;   in Loop: Header=BB281_10 Depth=1
	v_and_b32_e32 v12, 7, v16
	v_lshrrev_b32_e32 v183, 3, v41
	s_mov_b32 s21, exec_lo
	v_cmpx_gt_u32_e32 8, v41
; %bb.518:                              ;   in Loop: Header=BB281_10 Depth=1
	s_delay_alu instid0(VALU_DEP_3) | instskip(NEXT) | instid1(VALU_DEP_1)
	v_clz_i32_u32_e32 v12, v12
	v_min_u32_e32 v12, 32, v12
	s_delay_alu instid0(VALU_DEP_1) | instskip(NEXT) | instid1(VALU_DEP_1)
	v_subrev_nc_u32_e32 v183, 28, v12
	v_lshlrev_b64_e32 v[41:42], v183, v[16:17]
	v_sub_nc_u32_e32 v183, 29, v12
	s_delay_alu instid0(VALU_DEP_2)
	v_and_b32_e32 v12, 7, v41
; %bb.519:                              ;   in Loop: Header=BB281_10 Depth=1
	s_wait_alu 0xfffe
	s_or_b32 exec_lo, exec_lo, s21
	v_lshlrev_b32_e32 v16, 8, v16
	v_lshl_add_u32 v183, v183, 10, 0x2000
	v_lshlrev_b32_e32 v12, 23, v12
	s_delay_alu instid0(VALU_DEP_2) | instskip(NEXT) | instid1(VALU_DEP_1)
	v_and_or_b32 v16, 0x8000, v16, v183
	v_lshl_or_b32 v183, v16, 16, v12
.LBB281_520:                            ;   in Loop: Header=BB281_10 Depth=1
	s_wait_alu 0xfffe
	s_or_b32 exec_lo, exec_lo, s20
.LBB281_521:                            ;   in Loop: Header=BB281_10 Depth=1
	s_wait_alu 0xfffe
	s_or_b32 exec_lo, exec_lo, s19
.LBB281_522:                            ;   in Loop: Header=BB281_10 Depth=1
	s_wait_alu 0xfffe
	s_or_b32 exec_lo, exec_lo, s4
	flat_load_b32 v12, v[20:21] offset:2048
	v_mov_b32_e32 v42, 0
	s_mov_b32 s4, exec_lo
	s_wait_loadcnt_dscnt 0x0
	v_dual_mov_b32 v41, 0 :: v_dual_and_b32 v16, 0xff, v12
	s_delay_alu instid0(VALU_DEP_1)
	v_cmpx_ne_u16_e32 0, v16
	s_cbranch_execz .LBB281_530
; %bb.523:                              ;   in Loop: Header=BB281_10 Depth=1
	v_mov_b32_e32 v42, 0x8000
	s_mov_b32 s19, exec_lo
	v_cmpx_ne_u16_e32 0x80, v16
	s_cbranch_execz .LBB281_529
; %bb.524:                              ;   in Loop: Header=BB281_10 Depth=1
	v_and_b32_e32 v43, 0x7f, v12
	v_mov_b32_e32 v42, 0x7c01
	s_mov_b32 s20, exec_lo
	s_delay_alu instid0(VALU_DEP_2)
	v_cmpx_ne_u32_e32 0x7f, v43
	s_cbranch_execz .LBB281_528
; %bb.525:                              ;   in Loop: Header=BB281_10 Depth=1
	v_and_b32_e32 v16, 7, v12
	v_lshrrev_b32_e32 v42, 3, v43
	s_mov_b32 s21, exec_lo
	v_cmpx_gt_u32_e32 8, v43
; %bb.526:                              ;   in Loop: Header=BB281_10 Depth=1
	s_delay_alu instid0(VALU_DEP_3) | instskip(NEXT) | instid1(VALU_DEP_1)
	v_clz_i32_u32_e32 v16, v16
	v_min_u32_e32 v16, 32, v16
	s_delay_alu instid0(VALU_DEP_1) | instskip(NEXT) | instid1(VALU_DEP_1)
	v_subrev_nc_u32_e32 v42, 28, v16
	v_lshlrev_b64_e32 v[43:44], v42, v[12:13]
	v_sub_nc_u32_e32 v42, 29, v16
	s_delay_alu instid0(VALU_DEP_2)
	v_and_b32_e32 v16, 7, v43
; %bb.527:                              ;   in Loop: Header=BB281_10 Depth=1
	s_wait_alu 0xfffe
	s_or_b32 exec_lo, exec_lo, s21
	v_lshlrev_b32_e32 v43, 8, v12
	v_lshl_add_u32 v42, v42, 10, 0x2000
	v_lshlrev_b32_e32 v16, 7, v16
	s_delay_alu instid0(VALU_DEP_3) | instskip(NEXT) | instid1(VALU_DEP_3)
	v_and_b32_e32 v43, 0x8000, v43
	v_and_b32_e32 v42, 0xfc00, v42
	s_delay_alu instid0(VALU_DEP_1)
	v_or3_b32 v42, v43, v42, v16
.LBB281_528:                            ;   in Loop: Header=BB281_10 Depth=1
	s_wait_alu 0xfffe
	s_or_b32 exec_lo, exec_lo, s20
.LBB281_529:                            ;   in Loop: Header=BB281_10 Depth=1
	s_wait_alu 0xfffe
	s_or_b32 exec_lo, exec_lo, s19
.LBB281_530:                            ;   in Loop: Header=BB281_10 Depth=1
	s_wait_alu 0xfffe
	s_or_b32 exec_lo, exec_lo, s4
	v_lshrrev_b16 v16, 8, v12
	s_mov_b32 s4, exec_lo
	s_delay_alu instid0(VALU_DEP_1)
	v_cmpx_ne_u16_e32 0, v16
	s_cbranch_execz .LBB281_538
; %bb.531:                              ;   in Loop: Header=BB281_10 Depth=1
	v_bfrev_b32_e32 v41, 1
	s_mov_b32 s19, exec_lo
	v_cmpx_ne_u16_e32 0x80, v16
	s_cbranch_execz .LBB281_537
; %bb.532:                              ;   in Loop: Header=BB281_10 Depth=1
	v_and_b32_e32 v43, 0xffff, v16
	v_mov_b32_e32 v41, 0x7c010000
	s_mov_b32 s20, exec_lo
	s_delay_alu instid0(VALU_DEP_2) | instskip(NEXT) | instid1(VALU_DEP_1)
	v_and_b32_e32 v45, 0x7f, v43
	v_cmpx_ne_u32_e32 0x7f, v45
	s_cbranch_execz .LBB281_536
; %bb.533:                              ;   in Loop: Header=BB281_10 Depth=1
	v_and_b32_e32 v41, 7, v43
	v_lshrrev_b32_e32 v44, 3, v45
	s_mov_b32 s21, exec_lo
	v_cmpx_gt_u32_e32 8, v45
; %bb.534:                              ;   in Loop: Header=BB281_10 Depth=1
	s_delay_alu instid0(VALU_DEP_3) | instskip(NEXT) | instid1(VALU_DEP_1)
	v_clz_i32_u32_e32 v41, v41
	v_min_u32_e32 v41, 32, v41
	s_delay_alu instid0(VALU_DEP_1) | instskip(NEXT) | instid1(VALU_DEP_1)
	v_subrev_nc_u32_e32 v44, 28, v41
	v_lshlrev_b64_e32 v[45:46], v44, v[16:17]
	v_sub_nc_u32_e32 v44, 29, v41
	s_delay_alu instid0(VALU_DEP_2)
	v_and_b32_e32 v41, 7, v45
; %bb.535:                              ;   in Loop: Header=BB281_10 Depth=1
	s_wait_alu 0xfffe
	s_or_b32 exec_lo, exec_lo, s21
	v_lshlrev_b32_e32 v16, 8, v43
	v_lshl_add_u32 v43, v44, 10, 0x2000
	v_lshlrev_b32_e32 v41, 23, v41
	s_delay_alu instid0(VALU_DEP_2) | instskip(NEXT) | instid1(VALU_DEP_1)
	v_and_or_b32 v16, 0x8000, v16, v43
	v_lshl_or_b32 v41, v16, 16, v41
.LBB281_536:                            ;   in Loop: Header=BB281_10 Depth=1
	s_wait_alu 0xfffe
	s_or_b32 exec_lo, exec_lo, s20
.LBB281_537:                            ;   in Loop: Header=BB281_10 Depth=1
	s_wait_alu 0xfffe
	s_or_b32 exec_lo, exec_lo, s19
.LBB281_538:                            ;   in Loop: Header=BB281_10 Depth=1
	s_wait_alu 0xfffe
	s_or_b32 exec_lo, exec_lo, s4
	v_lshrrev_b32_e32 v16, 16, v12
	v_mov_b32_e32 v43, 0
	s_mov_b32 s4, exec_lo
	s_delay_alu instid0(VALU_DEP_2) | instskip(NEXT) | instid1(VALU_DEP_1)
	v_dual_mov_b32 v44, 0 :: v_dual_and_b32 v45, 0xff, v16
	v_cmpx_ne_u16_e32 0, v45
	s_cbranch_execz .LBB281_546
; %bb.539:                              ;   in Loop: Header=BB281_10 Depth=1
	v_mov_b32_e32 v44, 0x8000
	s_mov_b32 s19, exec_lo
	v_cmpx_ne_u16_e32 0x80, v45
	s_cbranch_execz .LBB281_545
; %bb.540:                              ;   in Loop: Header=BB281_10 Depth=1
	v_bfe_u32 v46, v12, 16, 7
	v_mov_b32_e32 v44, 0x7c01
	s_mov_b32 s20, exec_lo
	s_delay_alu instid0(VALU_DEP_2)
	v_cmpx_ne_u32_e32 0x7f, v46
	s_cbranch_execz .LBB281_544
; %bb.541:                              ;   in Loop: Header=BB281_10 Depth=1
	v_and_b32_e32 v44, 7, v16
	v_lshrrev_b32_e32 v45, 3, v46
	s_mov_b32 s21, exec_lo
	v_cmpx_gt_u32_e32 8, v46
; %bb.542:                              ;   in Loop: Header=BB281_10 Depth=1
	s_delay_alu instid0(VALU_DEP_3) | instskip(NEXT) | instid1(VALU_DEP_1)
	v_clz_i32_u32_e32 v44, v44
	v_min_u32_e32 v46, 32, v44
	s_delay_alu instid0(VALU_DEP_1) | instskip(NEXT) | instid1(VALU_DEP_1)
	v_subrev_nc_u32_e32 v44, 28, v46
	v_lshlrev_b64_e32 v[44:45], v44, v[16:17]
	v_sub_nc_u32_e32 v45, 29, v46
	s_delay_alu instid0(VALU_DEP_2)
	v_and_b32_e32 v44, 7, v44
; %bb.543:                              ;   in Loop: Header=BB281_10 Depth=1
	s_wait_alu 0xfffe
	s_or_b32 exec_lo, exec_lo, s21
	v_lshlrev_b32_e32 v16, 8, v16
	v_lshl_add_u32 v45, v45, 10, 0x2000
	v_lshlrev_b32_e32 v44, 7, v44
	s_delay_alu instid0(VALU_DEP_3) | instskip(NEXT) | instid1(VALU_DEP_3)
	v_and_b32_e32 v16, 0x8000, v16
	v_and_b32_e32 v45, 0xfc00, v45
	s_delay_alu instid0(VALU_DEP_1)
	v_or3_b32 v44, v16, v45, v44
.LBB281_544:                            ;   in Loop: Header=BB281_10 Depth=1
	s_wait_alu 0xfffe
	s_or_b32 exec_lo, exec_lo, s20
.LBB281_545:                            ;   in Loop: Header=BB281_10 Depth=1
	s_wait_alu 0xfffe
	s_or_b32 exec_lo, exec_lo, s19
.LBB281_546:                            ;   in Loop: Header=BB281_10 Depth=1
	s_wait_alu 0xfffe
	s_or_b32 exec_lo, exec_lo, s4
	s_delay_alu instid0(SALU_CYCLE_1)
	s_mov_b32 s4, exec_lo
	v_cmpx_lt_u32_e32 0xffffff, v12
	s_cbranch_execz .LBB281_554
; %bb.547:                              ;   in Loop: Header=BB281_10 Depth=1
	v_lshrrev_b32_e32 v16, 24, v12
	v_bfrev_b32_e32 v43, 1
	s_mov_b32 s19, exec_lo
	s_delay_alu instid0(VALU_DEP_2)
	v_cmpx_ne_u32_e32 0x80, v16
	s_cbranch_execz .LBB281_553
; %bb.548:                              ;   in Loop: Header=BB281_10 Depth=1
	v_and_b32_e32 v45, 0x7f, v16
	v_mov_b32_e32 v43, 0x7c010000
	s_mov_b32 s20, exec_lo
	s_delay_alu instid0(VALU_DEP_2)
	v_cmpx_ne_u32_e32 0x7f, v45
	s_cbranch_execz .LBB281_552
; %bb.549:                              ;   in Loop: Header=BB281_10 Depth=1
	v_and_b32_e32 v12, 7, v16
	v_lshrrev_b32_e32 v43, 3, v45
	s_mov_b32 s21, exec_lo
	v_cmpx_gt_u32_e32 8, v45
; %bb.550:                              ;   in Loop: Header=BB281_10 Depth=1
	s_delay_alu instid0(VALU_DEP_3) | instskip(NEXT) | instid1(VALU_DEP_1)
	v_clz_i32_u32_e32 v12, v12
	v_min_u32_e32 v12, 32, v12
	s_delay_alu instid0(VALU_DEP_1) | instskip(NEXT) | instid1(VALU_DEP_1)
	v_subrev_nc_u32_e32 v43, 28, v12
	v_lshlrev_b64_e32 v[45:46], v43, v[16:17]
	v_sub_nc_u32_e32 v43, 29, v12
	s_delay_alu instid0(VALU_DEP_2)
	v_and_b32_e32 v12, 7, v45
; %bb.551:                              ;   in Loop: Header=BB281_10 Depth=1
	s_wait_alu 0xfffe
	s_or_b32 exec_lo, exec_lo, s21
	v_lshlrev_b32_e32 v16, 8, v16
	v_lshl_add_u32 v43, v43, 10, 0x2000
	v_lshlrev_b32_e32 v12, 23, v12
	s_delay_alu instid0(VALU_DEP_2) | instskip(NEXT) | instid1(VALU_DEP_1)
	v_and_or_b32 v16, 0x8000, v16, v43
	v_lshl_or_b32 v43, v16, 16, v12
.LBB281_552:                            ;   in Loop: Header=BB281_10 Depth=1
	s_wait_alu 0xfffe
	s_or_b32 exec_lo, exec_lo, s20
.LBB281_553:                            ;   in Loop: Header=BB281_10 Depth=1
	s_wait_alu 0xfffe
	s_or_b32 exec_lo, exec_lo, s19
.LBB281_554:                            ;   in Loop: Header=BB281_10 Depth=1
	s_wait_alu 0xfffe
	s_or_b32 exec_lo, exec_lo, s4
	flat_load_b32 v12, v[20:21] offset:2056
	v_mov_b32_e32 v46, 0
	s_mov_b32 s4, exec_lo
	s_wait_loadcnt_dscnt 0x0
	v_dual_mov_b32 v45, 0 :: v_dual_and_b32 v16, 0xff, v12
	s_delay_alu instid0(VALU_DEP_1)
	v_cmpx_ne_u16_e32 0, v16
	s_cbranch_execz .LBB281_562
; %bb.555:                              ;   in Loop: Header=BB281_10 Depth=1
	v_mov_b32_e32 v46, 0x8000
	s_mov_b32 s19, exec_lo
	v_cmpx_ne_u16_e32 0x80, v16
	s_cbranch_execz .LBB281_561
; %bb.556:                              ;   in Loop: Header=BB281_10 Depth=1
	v_and_b32_e32 v47, 0x7f, v12
	v_mov_b32_e32 v46, 0x7c01
	s_mov_b32 s20, exec_lo
	s_delay_alu instid0(VALU_DEP_2)
	v_cmpx_ne_u32_e32 0x7f, v47
	s_cbranch_execz .LBB281_560
; %bb.557:                              ;   in Loop: Header=BB281_10 Depth=1
	v_and_b32_e32 v16, 7, v12
	v_lshrrev_b32_e32 v46, 3, v47
	s_mov_b32 s21, exec_lo
	v_cmpx_gt_u32_e32 8, v47
; %bb.558:                              ;   in Loop: Header=BB281_10 Depth=1
	s_delay_alu instid0(VALU_DEP_3) | instskip(NEXT) | instid1(VALU_DEP_1)
	v_clz_i32_u32_e32 v16, v16
	v_min_u32_e32 v16, 32, v16
	s_delay_alu instid0(VALU_DEP_1) | instskip(NEXT) | instid1(VALU_DEP_1)
	v_subrev_nc_u32_e32 v46, 28, v16
	v_lshlrev_b64_e32 v[56:57], v46, v[12:13]
	v_sub_nc_u32_e32 v46, 29, v16
	s_delay_alu instid0(VALU_DEP_2)
	v_and_b32_e32 v16, 7, v56
; %bb.559:                              ;   in Loop: Header=BB281_10 Depth=1
	s_wait_alu 0xfffe
	s_or_b32 exec_lo, exec_lo, s21
	v_lshlrev_b32_e32 v47, 8, v12
	v_lshl_add_u32 v46, v46, 10, 0x2000
	v_lshlrev_b32_e32 v16, 7, v16
	s_delay_alu instid0(VALU_DEP_3) | instskip(NEXT) | instid1(VALU_DEP_3)
	v_and_b32_e32 v47, 0x8000, v47
	v_and_b32_e32 v46, 0xfc00, v46
	s_delay_alu instid0(VALU_DEP_1)
	v_or3_b32 v46, v47, v46, v16
.LBB281_560:                            ;   in Loop: Header=BB281_10 Depth=1
	s_wait_alu 0xfffe
	s_or_b32 exec_lo, exec_lo, s20
.LBB281_561:                            ;   in Loop: Header=BB281_10 Depth=1
	s_wait_alu 0xfffe
	s_or_b32 exec_lo, exec_lo, s19
.LBB281_562:                            ;   in Loop: Header=BB281_10 Depth=1
	s_wait_alu 0xfffe
	s_or_b32 exec_lo, exec_lo, s4
	v_lshrrev_b16 v16, 8, v12
	s_mov_b32 s4, exec_lo
	s_delay_alu instid0(VALU_DEP_1)
	v_cmpx_ne_u16_e32 0, v16
	s_cbranch_execz .LBB281_570
; %bb.563:                              ;   in Loop: Header=BB281_10 Depth=1
	v_bfrev_b32_e32 v45, 1
	s_mov_b32 s19, exec_lo
	v_cmpx_ne_u16_e32 0x80, v16
	s_cbranch_execz .LBB281_569
; %bb.564:                              ;   in Loop: Header=BB281_10 Depth=1
	v_and_b32_e32 v47, 0xffff, v16
	v_mov_b32_e32 v45, 0x7c010000
	s_mov_b32 s20, exec_lo
	s_delay_alu instid0(VALU_DEP_2) | instskip(NEXT) | instid1(VALU_DEP_1)
	v_and_b32_e32 v57, 0x7f, v47
	v_cmpx_ne_u32_e32 0x7f, v57
	s_cbranch_execz .LBB281_568
; %bb.565:                              ;   in Loop: Header=BB281_10 Depth=1
	v_and_b32_e32 v45, 7, v47
	v_lshrrev_b32_e32 v56, 3, v57
	s_mov_b32 s21, exec_lo
	v_cmpx_gt_u32_e32 8, v57
; %bb.566:                              ;   in Loop: Header=BB281_10 Depth=1
	s_delay_alu instid0(VALU_DEP_3) | instskip(NEXT) | instid1(VALU_DEP_1)
	v_clz_i32_u32_e32 v45, v45
	v_min_u32_e32 v45, 32, v45
	s_delay_alu instid0(VALU_DEP_1) | instskip(NEXT) | instid1(VALU_DEP_1)
	v_subrev_nc_u32_e32 v56, 28, v45
	v_lshlrev_b64_e32 v[57:58], v56, v[16:17]
	v_sub_nc_u32_e32 v56, 29, v45
	s_delay_alu instid0(VALU_DEP_2)
	v_and_b32_e32 v45, 7, v57
; %bb.567:                              ;   in Loop: Header=BB281_10 Depth=1
	s_wait_alu 0xfffe
	s_or_b32 exec_lo, exec_lo, s21
	v_lshlrev_b32_e32 v16, 8, v47
	v_lshl_add_u32 v47, v56, 10, 0x2000
	v_lshlrev_b32_e32 v45, 23, v45
	s_delay_alu instid0(VALU_DEP_2) | instskip(NEXT) | instid1(VALU_DEP_1)
	v_and_or_b32 v16, 0x8000, v16, v47
	v_lshl_or_b32 v45, v16, 16, v45
.LBB281_568:                            ;   in Loop: Header=BB281_10 Depth=1
	s_wait_alu 0xfffe
	s_or_b32 exec_lo, exec_lo, s20
.LBB281_569:                            ;   in Loop: Header=BB281_10 Depth=1
	s_wait_alu 0xfffe
	s_or_b32 exec_lo, exec_lo, s19
.LBB281_570:                            ;   in Loop: Header=BB281_10 Depth=1
	s_wait_alu 0xfffe
	s_or_b32 exec_lo, exec_lo, s4
	v_lshrrev_b32_e32 v16, 16, v12
	v_mov_b32_e32 v47, 0
	s_mov_b32 s4, exec_lo
	s_delay_alu instid0(VALU_DEP_2) | instskip(NEXT) | instid1(VALU_DEP_1)
	v_dual_mov_b32 v56, 0 :: v_dual_and_b32 v57, 0xff, v16
	v_cmpx_ne_u16_e32 0, v57
	s_cbranch_execz .LBB281_578
; %bb.571:                              ;   in Loop: Header=BB281_10 Depth=1
	v_mov_b32_e32 v56, 0x8000
	s_mov_b32 s19, exec_lo
	v_cmpx_ne_u16_e32 0x80, v57
	s_cbranch_execz .LBB281_577
; %bb.572:                              ;   in Loop: Header=BB281_10 Depth=1
	v_bfe_u32 v58, v12, 16, 7
	v_mov_b32_e32 v56, 0x7c01
	s_mov_b32 s20, exec_lo
	s_delay_alu instid0(VALU_DEP_2)
	v_cmpx_ne_u32_e32 0x7f, v58
	s_cbranch_execz .LBB281_576
; %bb.573:                              ;   in Loop: Header=BB281_10 Depth=1
	v_and_b32_e32 v56, 7, v16
	v_lshrrev_b32_e32 v57, 3, v58
	s_mov_b32 s21, exec_lo
	v_cmpx_gt_u32_e32 8, v58
; %bb.574:                              ;   in Loop: Header=BB281_10 Depth=1
	s_delay_alu instid0(VALU_DEP_3) | instskip(NEXT) | instid1(VALU_DEP_1)
	v_clz_i32_u32_e32 v56, v56
	v_min_u32_e32 v58, 32, v56
	s_delay_alu instid0(VALU_DEP_1) | instskip(NEXT) | instid1(VALU_DEP_1)
	v_subrev_nc_u32_e32 v56, 28, v58
	v_lshlrev_b64_e32 v[56:57], v56, v[16:17]
	v_sub_nc_u32_e32 v57, 29, v58
	s_delay_alu instid0(VALU_DEP_2)
	v_and_b32_e32 v56, 7, v56
; %bb.575:                              ;   in Loop: Header=BB281_10 Depth=1
	s_wait_alu 0xfffe
	s_or_b32 exec_lo, exec_lo, s21
	v_lshlrev_b32_e32 v16, 8, v16
	v_lshl_add_u32 v57, v57, 10, 0x2000
	v_lshlrev_b32_e32 v56, 7, v56
	s_delay_alu instid0(VALU_DEP_3) | instskip(NEXT) | instid1(VALU_DEP_3)
	v_and_b32_e32 v16, 0x8000, v16
	v_and_b32_e32 v57, 0xfc00, v57
	s_delay_alu instid0(VALU_DEP_1)
	v_or3_b32 v56, v16, v57, v56
.LBB281_576:                            ;   in Loop: Header=BB281_10 Depth=1
	s_wait_alu 0xfffe
	s_or_b32 exec_lo, exec_lo, s20
.LBB281_577:                            ;   in Loop: Header=BB281_10 Depth=1
	s_wait_alu 0xfffe
	s_or_b32 exec_lo, exec_lo, s19
.LBB281_578:                            ;   in Loop: Header=BB281_10 Depth=1
	s_wait_alu 0xfffe
	s_or_b32 exec_lo, exec_lo, s4
	s_delay_alu instid0(SALU_CYCLE_1)
	s_mov_b32 s4, exec_lo
	v_cmpx_lt_u32_e32 0xffffff, v12
	s_cbranch_execz .LBB281_586
; %bb.579:                              ;   in Loop: Header=BB281_10 Depth=1
	v_lshrrev_b32_e32 v16, 24, v12
	v_bfrev_b32_e32 v47, 1
	s_mov_b32 s19, exec_lo
	s_delay_alu instid0(VALU_DEP_2)
	v_cmpx_ne_u32_e32 0x80, v16
	s_cbranch_execz .LBB281_585
; %bb.580:                              ;   in Loop: Header=BB281_10 Depth=1
	v_and_b32_e32 v57, 0x7f, v16
	v_mov_b32_e32 v47, 0x7c010000
	s_mov_b32 s20, exec_lo
	s_delay_alu instid0(VALU_DEP_2)
	v_cmpx_ne_u32_e32 0x7f, v57
	s_cbranch_execz .LBB281_584
; %bb.581:                              ;   in Loop: Header=BB281_10 Depth=1
	v_and_b32_e32 v12, 7, v16
	v_lshrrev_b32_e32 v47, 3, v57
	s_mov_b32 s21, exec_lo
	v_cmpx_gt_u32_e32 8, v57
; %bb.582:                              ;   in Loop: Header=BB281_10 Depth=1
	s_delay_alu instid0(VALU_DEP_3) | instskip(NEXT) | instid1(VALU_DEP_1)
	v_clz_i32_u32_e32 v12, v12
	v_min_u32_e32 v12, 32, v12
	s_delay_alu instid0(VALU_DEP_1) | instskip(NEXT) | instid1(VALU_DEP_1)
	v_subrev_nc_u32_e32 v47, 28, v12
	v_lshlrev_b64_e32 v[57:58], v47, v[16:17]
	v_sub_nc_u32_e32 v47, 29, v12
	s_delay_alu instid0(VALU_DEP_2)
	v_and_b32_e32 v12, 7, v57
; %bb.583:                              ;   in Loop: Header=BB281_10 Depth=1
	s_wait_alu 0xfffe
	s_or_b32 exec_lo, exec_lo, s21
	v_lshlrev_b32_e32 v16, 8, v16
	v_lshl_add_u32 v47, v47, 10, 0x2000
	v_lshlrev_b32_e32 v12, 23, v12
	s_delay_alu instid0(VALU_DEP_2) | instskip(NEXT) | instid1(VALU_DEP_1)
	v_and_or_b32 v16, 0x8000, v16, v47
	v_lshl_or_b32 v47, v16, 16, v12
.LBB281_584:                            ;   in Loop: Header=BB281_10 Depth=1
	s_wait_alu 0xfffe
	s_or_b32 exec_lo, exec_lo, s20
.LBB281_585:                            ;   in Loop: Header=BB281_10 Depth=1
	s_wait_alu 0xfffe
	s_or_b32 exec_lo, exec_lo, s19
.LBB281_586:                            ;   in Loop: Header=BB281_10 Depth=1
	s_wait_alu 0xfffe
	s_or_b32 exec_lo, exec_lo, s4
	flat_load_b32 v12, v[20:21] offset:2304
	v_mov_b32_e32 v62, 0
	s_mov_b32 s4, exec_lo
	s_wait_loadcnt_dscnt 0x0
	v_dual_mov_b32 v61, 0 :: v_dual_and_b32 v16, 0xff, v12
	s_delay_alu instid0(VALU_DEP_1)
	v_cmpx_ne_u16_e32 0, v16
	s_cbranch_execz .LBB281_594
; %bb.587:                              ;   in Loop: Header=BB281_10 Depth=1
	v_mov_b32_e32 v62, 0x8000
	s_mov_b32 s19, exec_lo
	v_cmpx_ne_u16_e32 0x80, v16
	s_cbranch_execz .LBB281_593
; %bb.588:                              ;   in Loop: Header=BB281_10 Depth=1
	v_and_b32_e32 v58, 0x7f, v12
	v_mov_b32_e32 v62, 0x7c01
	s_mov_b32 s20, exec_lo
	s_delay_alu instid0(VALU_DEP_2)
	v_cmpx_ne_u32_e32 0x7f, v58
	s_cbranch_execz .LBB281_592
; %bb.589:                              ;   in Loop: Header=BB281_10 Depth=1
	v_and_b32_e32 v16, 7, v12
	v_lshrrev_b32_e32 v57, 3, v58
	s_mov_b32 s21, exec_lo
	v_cmpx_gt_u32_e32 8, v58
; %bb.590:                              ;   in Loop: Header=BB281_10 Depth=1
	s_delay_alu instid0(VALU_DEP_3) | instskip(NEXT) | instid1(VALU_DEP_1)
	v_clz_i32_u32_e32 v16, v16
	v_min_u32_e32 v16, 32, v16
	s_delay_alu instid0(VALU_DEP_1) | instskip(NEXT) | instid1(VALU_DEP_1)
	v_subrev_nc_u32_e32 v57, 28, v16
	v_lshlrev_b64_e32 v[58:59], v57, v[12:13]
	v_sub_nc_u32_e32 v57, 29, v16
	s_delay_alu instid0(VALU_DEP_2)
	v_and_b32_e32 v16, 7, v58
; %bb.591:                              ;   in Loop: Header=BB281_10 Depth=1
	s_wait_alu 0xfffe
	s_or_b32 exec_lo, exec_lo, s21
	v_lshlrev_b32_e32 v58, 8, v12
	v_lshl_add_u32 v57, v57, 10, 0x2000
	v_lshlrev_b32_e32 v16, 7, v16
	s_delay_alu instid0(VALU_DEP_3) | instskip(NEXT) | instid1(VALU_DEP_3)
	v_and_b32_e32 v58, 0x8000, v58
	v_and_b32_e32 v57, 0xfc00, v57
	s_delay_alu instid0(VALU_DEP_1)
	v_or3_b32 v62, v58, v57, v16
.LBB281_592:                            ;   in Loop: Header=BB281_10 Depth=1
	s_wait_alu 0xfffe
	s_or_b32 exec_lo, exec_lo, s20
.LBB281_593:                            ;   in Loop: Header=BB281_10 Depth=1
	s_wait_alu 0xfffe
	s_or_b32 exec_lo, exec_lo, s19
.LBB281_594:                            ;   in Loop: Header=BB281_10 Depth=1
	s_wait_alu 0xfffe
	s_or_b32 exec_lo, exec_lo, s4
	v_lshrrev_b16 v16, 8, v12
	s_mov_b32 s4, exec_lo
	s_delay_alu instid0(VALU_DEP_1)
	v_cmpx_ne_u16_e32 0, v16
	s_cbranch_execz .LBB281_602
; %bb.595:                              ;   in Loop: Header=BB281_10 Depth=1
	v_bfrev_b32_e32 v61, 1
	s_mov_b32 s19, exec_lo
	v_cmpx_ne_u16_e32 0x80, v16
	s_cbranch_execz .LBB281_601
; %bb.596:                              ;   in Loop: Header=BB281_10 Depth=1
	v_and_b32_e32 v57, 0xffff, v16
	v_mov_b32_e32 v61, 0x7c010000
	s_mov_b32 s20, exec_lo
	s_delay_alu instid0(VALU_DEP_2) | instskip(NEXT) | instid1(VALU_DEP_1)
	v_and_b32_e32 v60, 0x7f, v57
	v_cmpx_ne_u32_e32 0x7f, v60
	s_cbranch_execz .LBB281_600
; %bb.597:                              ;   in Loop: Header=BB281_10 Depth=1
	v_and_b32_e32 v58, 7, v57
	v_lshrrev_b32_e32 v59, 3, v60
	s_mov_b32 s21, exec_lo
	v_cmpx_gt_u32_e32 8, v60
; %bb.598:                              ;   in Loop: Header=BB281_10 Depth=1
	s_delay_alu instid0(VALU_DEP_3) | instskip(NEXT) | instid1(VALU_DEP_1)
	v_clz_i32_u32_e32 v58, v58
	v_min_u32_e32 v60, 32, v58
	s_delay_alu instid0(VALU_DEP_1) | instskip(NEXT) | instid1(VALU_DEP_1)
	v_subrev_nc_u32_e32 v58, 28, v60
	v_lshlrev_b64_e32 v[58:59], v58, v[16:17]
	v_sub_nc_u32_e32 v59, 29, v60
	s_delay_alu instid0(VALU_DEP_2)
	v_and_b32_e32 v58, 7, v58
; %bb.599:                              ;   in Loop: Header=BB281_10 Depth=1
	s_wait_alu 0xfffe
	s_or_b32 exec_lo, exec_lo, s21
	v_lshlrev_b32_e32 v16, 8, v57
	v_lshl_add_u32 v57, v59, 10, 0x2000
	s_delay_alu instid0(VALU_DEP_1) | instskip(SKIP_1) | instid1(VALU_DEP_1)
	v_and_or_b32 v16, 0x8000, v16, v57
	v_lshlrev_b32_e32 v57, 23, v58
	v_lshl_or_b32 v61, v16, 16, v57
.LBB281_600:                            ;   in Loop: Header=BB281_10 Depth=1
	s_wait_alu 0xfffe
	s_or_b32 exec_lo, exec_lo, s20
.LBB281_601:                            ;   in Loop: Header=BB281_10 Depth=1
	s_wait_alu 0xfffe
	s_or_b32 exec_lo, exec_lo, s19
.LBB281_602:                            ;   in Loop: Header=BB281_10 Depth=1
	s_wait_alu 0xfffe
	s_or_b32 exec_lo, exec_lo, s4
	v_lshrrev_b32_e32 v16, 16, v12
	v_mov_b32_e32 v75, 0
	s_mov_b32 s4, exec_lo
	s_delay_alu instid0(VALU_DEP_2) | instskip(NEXT) | instid1(VALU_DEP_1)
	v_dual_mov_b32 v76, 0 :: v_dual_and_b32 v57, 0xff, v16
	v_cmpx_ne_u16_e32 0, v57
	s_cbranch_execz .LBB281_610
; %bb.603:                              ;   in Loop: Header=BB281_10 Depth=1
	v_mov_b32_e32 v76, 0x8000
	s_mov_b32 s19, exec_lo
	v_cmpx_ne_u16_e32 0x80, v57
	s_cbranch_execz .LBB281_609
; %bb.604:                              ;   in Loop: Header=BB281_10 Depth=1
	v_bfe_u32 v59, v12, 16, 7
	v_mov_b32_e32 v76, 0x7c01
	s_mov_b32 s20, exec_lo
	s_delay_alu instid0(VALU_DEP_2)
	v_cmpx_ne_u32_e32 0x7f, v59
	s_cbranch_execz .LBB281_608
; %bb.605:                              ;   in Loop: Header=BB281_10 Depth=1
	v_and_b32_e32 v57, 7, v16
	v_lshrrev_b32_e32 v58, 3, v59
	s_mov_b32 s21, exec_lo
	v_cmpx_gt_u32_e32 8, v59
; %bb.606:                              ;   in Loop: Header=BB281_10 Depth=1
	s_delay_alu instid0(VALU_DEP_3) | instskip(NEXT) | instid1(VALU_DEP_1)
	v_clz_i32_u32_e32 v57, v57
	v_min_u32_e32 v59, 32, v57
	s_delay_alu instid0(VALU_DEP_1) | instskip(NEXT) | instid1(VALU_DEP_1)
	v_subrev_nc_u32_e32 v57, 28, v59
	v_lshlrev_b64_e32 v[57:58], v57, v[16:17]
	v_sub_nc_u32_e32 v58, 29, v59
	s_delay_alu instid0(VALU_DEP_2)
	v_and_b32_e32 v57, 7, v57
; %bb.607:                              ;   in Loop: Header=BB281_10 Depth=1
	s_wait_alu 0xfffe
	s_or_b32 exec_lo, exec_lo, s21
	v_lshlrev_b32_e32 v16, 8, v16
	v_lshl_add_u32 v58, v58, 10, 0x2000
	v_lshlrev_b32_e32 v57, 7, v57
	s_delay_alu instid0(VALU_DEP_3) | instskip(NEXT) | instid1(VALU_DEP_3)
	v_and_b32_e32 v16, 0x8000, v16
	v_and_b32_e32 v58, 0xfc00, v58
	s_delay_alu instid0(VALU_DEP_1)
	v_or3_b32 v76, v16, v58, v57
.LBB281_608:                            ;   in Loop: Header=BB281_10 Depth=1
	s_wait_alu 0xfffe
	s_or_b32 exec_lo, exec_lo, s20
.LBB281_609:                            ;   in Loop: Header=BB281_10 Depth=1
	s_wait_alu 0xfffe
	s_or_b32 exec_lo, exec_lo, s19
.LBB281_610:                            ;   in Loop: Header=BB281_10 Depth=1
	s_wait_alu 0xfffe
	s_or_b32 exec_lo, exec_lo, s4
	s_delay_alu instid0(SALU_CYCLE_1)
	s_mov_b32 s4, exec_lo
	v_cmpx_lt_u32_e32 0xffffff, v12
	s_cbranch_execz .LBB281_618
; %bb.611:                              ;   in Loop: Header=BB281_10 Depth=1
	v_lshrrev_b32_e32 v16, 24, v12
	v_bfrev_b32_e32 v75, 1
	s_mov_b32 s19, exec_lo
	s_delay_alu instid0(VALU_DEP_2)
	v_cmpx_ne_u32_e32 0x80, v16
	s_cbranch_execz .LBB281_617
; %bb.612:                              ;   in Loop: Header=BB281_10 Depth=1
	v_and_b32_e32 v58, 0x7f, v16
	v_mov_b32_e32 v75, 0x7c010000
	s_mov_b32 s20, exec_lo
	s_delay_alu instid0(VALU_DEP_2)
	v_cmpx_ne_u32_e32 0x7f, v58
	s_cbranch_execz .LBB281_616
; %bb.613:                              ;   in Loop: Header=BB281_10 Depth=1
	v_and_b32_e32 v12, 7, v16
	v_lshrrev_b32_e32 v57, 3, v58
	s_mov_b32 s21, exec_lo
	v_cmpx_gt_u32_e32 8, v58
; %bb.614:                              ;   in Loop: Header=BB281_10 Depth=1
	s_delay_alu instid0(VALU_DEP_3) | instskip(NEXT) | instid1(VALU_DEP_1)
	v_clz_i32_u32_e32 v12, v12
	v_min_u32_e32 v12, 32, v12
	s_delay_alu instid0(VALU_DEP_1) | instskip(NEXT) | instid1(VALU_DEP_1)
	v_subrev_nc_u32_e32 v57, 28, v12
	v_lshlrev_b64_e32 v[58:59], v57, v[16:17]
	v_sub_nc_u32_e32 v57, 29, v12
	s_delay_alu instid0(VALU_DEP_2)
	v_and_b32_e32 v12, 7, v58
; %bb.615:                              ;   in Loop: Header=BB281_10 Depth=1
	s_wait_alu 0xfffe
	s_or_b32 exec_lo, exec_lo, s21
	v_lshlrev_b32_e32 v16, 8, v16
	v_lshl_add_u32 v57, v57, 10, 0x2000
	v_lshlrev_b32_e32 v12, 23, v12
	s_delay_alu instid0(VALU_DEP_2) | instskip(NEXT) | instid1(VALU_DEP_1)
	v_and_or_b32 v16, 0x8000, v16, v57
	v_lshl_or_b32 v75, v16, 16, v12
.LBB281_616:                            ;   in Loop: Header=BB281_10 Depth=1
	s_wait_alu 0xfffe
	s_or_b32 exec_lo, exec_lo, s20
.LBB281_617:                            ;   in Loop: Header=BB281_10 Depth=1
	s_wait_alu 0xfffe
	s_or_b32 exec_lo, exec_lo, s19
.LBB281_618:                            ;   in Loop: Header=BB281_10 Depth=1
	s_wait_alu 0xfffe
	s_or_b32 exec_lo, exec_lo, s4
	flat_load_b32 v12, v[20:21] offset:2312
	v_mov_b32_e32 v90, 0
	s_mov_b32 s4, exec_lo
	s_wait_loadcnt_dscnt 0x0
	v_dual_mov_b32 v89, 0 :: v_dual_and_b32 v16, 0xff, v12
	s_delay_alu instid0(VALU_DEP_1)
	v_cmpx_ne_u16_e32 0, v16
	s_cbranch_execz .LBB281_626
; %bb.619:                              ;   in Loop: Header=BB281_10 Depth=1
	v_mov_b32_e32 v90, 0x8000
	s_mov_b32 s19, exec_lo
	v_cmpx_ne_u16_e32 0x80, v16
	s_cbranch_execz .LBB281_625
; %bb.620:                              ;   in Loop: Header=BB281_10 Depth=1
	v_and_b32_e32 v58, 0x7f, v12
	v_mov_b32_e32 v90, 0x7c01
	s_mov_b32 s20, exec_lo
	s_delay_alu instid0(VALU_DEP_2)
	v_cmpx_ne_u32_e32 0x7f, v58
	s_cbranch_execz .LBB281_624
; %bb.621:                              ;   in Loop: Header=BB281_10 Depth=1
	v_and_b32_e32 v16, 7, v12
	v_lshrrev_b32_e32 v57, 3, v58
	s_mov_b32 s21, exec_lo
	v_cmpx_gt_u32_e32 8, v58
; %bb.622:                              ;   in Loop: Header=BB281_10 Depth=1
	s_delay_alu instid0(VALU_DEP_3) | instskip(NEXT) | instid1(VALU_DEP_1)
	v_clz_i32_u32_e32 v16, v16
	v_min_u32_e32 v16, 32, v16
	s_delay_alu instid0(VALU_DEP_1) | instskip(NEXT) | instid1(VALU_DEP_1)
	v_subrev_nc_u32_e32 v57, 28, v16
	v_lshlrev_b64_e32 v[58:59], v57, v[12:13]
	v_sub_nc_u32_e32 v57, 29, v16
	s_delay_alu instid0(VALU_DEP_2)
	v_and_b32_e32 v16, 7, v58
; %bb.623:                              ;   in Loop: Header=BB281_10 Depth=1
	s_wait_alu 0xfffe
	s_or_b32 exec_lo, exec_lo, s21
	v_lshlrev_b32_e32 v58, 8, v12
	v_lshl_add_u32 v57, v57, 10, 0x2000
	v_lshlrev_b32_e32 v16, 7, v16
	s_delay_alu instid0(VALU_DEP_3) | instskip(NEXT) | instid1(VALU_DEP_3)
	v_and_b32_e32 v58, 0x8000, v58
	v_and_b32_e32 v57, 0xfc00, v57
	s_delay_alu instid0(VALU_DEP_1)
	v_or3_b32 v90, v58, v57, v16
.LBB281_624:                            ;   in Loop: Header=BB281_10 Depth=1
	s_wait_alu 0xfffe
	s_or_b32 exec_lo, exec_lo, s20
.LBB281_625:                            ;   in Loop: Header=BB281_10 Depth=1
	s_wait_alu 0xfffe
	s_or_b32 exec_lo, exec_lo, s19
.LBB281_626:                            ;   in Loop: Header=BB281_10 Depth=1
	s_wait_alu 0xfffe
	s_or_b32 exec_lo, exec_lo, s4
	v_lshrrev_b16 v16, 8, v12
	s_mov_b32 s4, exec_lo
	s_delay_alu instid0(VALU_DEP_1)
	v_cmpx_ne_u16_e32 0, v16
	s_cbranch_execz .LBB281_634
; %bb.627:                              ;   in Loop: Header=BB281_10 Depth=1
	v_bfrev_b32_e32 v89, 1
	s_mov_b32 s19, exec_lo
	v_cmpx_ne_u16_e32 0x80, v16
	s_cbranch_execz .LBB281_633
; %bb.628:                              ;   in Loop: Header=BB281_10 Depth=1
	v_and_b32_e32 v57, 0xffff, v16
	v_mov_b32_e32 v89, 0x7c010000
	s_mov_b32 s20, exec_lo
	s_delay_alu instid0(VALU_DEP_2) | instskip(NEXT) | instid1(VALU_DEP_1)
	v_and_b32_e32 v60, 0x7f, v57
	v_cmpx_ne_u32_e32 0x7f, v60
	s_cbranch_execz .LBB281_632
; %bb.629:                              ;   in Loop: Header=BB281_10 Depth=1
	v_and_b32_e32 v58, 7, v57
	v_lshrrev_b32_e32 v59, 3, v60
	s_mov_b32 s21, exec_lo
	v_cmpx_gt_u32_e32 8, v60
; %bb.630:                              ;   in Loop: Header=BB281_10 Depth=1
	s_delay_alu instid0(VALU_DEP_3) | instskip(NEXT) | instid1(VALU_DEP_1)
	v_clz_i32_u32_e32 v58, v58
	v_min_u32_e32 v60, 32, v58
	s_delay_alu instid0(VALU_DEP_1) | instskip(NEXT) | instid1(VALU_DEP_1)
	v_subrev_nc_u32_e32 v58, 28, v60
	v_lshlrev_b64_e32 v[58:59], v58, v[16:17]
	v_sub_nc_u32_e32 v59, 29, v60
	s_delay_alu instid0(VALU_DEP_2)
	v_and_b32_e32 v58, 7, v58
; %bb.631:                              ;   in Loop: Header=BB281_10 Depth=1
	s_wait_alu 0xfffe
	s_or_b32 exec_lo, exec_lo, s21
	v_lshlrev_b32_e32 v16, 8, v57
	v_lshl_add_u32 v57, v59, 10, 0x2000
	s_delay_alu instid0(VALU_DEP_1) | instskip(SKIP_1) | instid1(VALU_DEP_1)
	v_and_or_b32 v16, 0x8000, v16, v57
	v_lshlrev_b32_e32 v57, 23, v58
	v_lshl_or_b32 v89, v16, 16, v57
.LBB281_632:                            ;   in Loop: Header=BB281_10 Depth=1
	s_wait_alu 0xfffe
	s_or_b32 exec_lo, exec_lo, s20
.LBB281_633:                            ;   in Loop: Header=BB281_10 Depth=1
	s_wait_alu 0xfffe
	s_or_b32 exec_lo, exec_lo, s19
.LBB281_634:                            ;   in Loop: Header=BB281_10 Depth=1
	s_wait_alu 0xfffe
	s_or_b32 exec_lo, exec_lo, s4
	v_lshrrev_b32_e32 v16, 16, v12
	v_mov_b32_e32 v106, 0
	s_mov_b32 s4, exec_lo
	s_delay_alu instid0(VALU_DEP_2) | instskip(NEXT) | instid1(VALU_DEP_1)
	v_dual_mov_b32 v104, 0 :: v_dual_and_b32 v57, 0xff, v16
	v_cmpx_ne_u16_e32 0, v57
	s_cbranch_execz .LBB281_642
; %bb.635:                              ;   in Loop: Header=BB281_10 Depth=1
	v_mov_b32_e32 v106, 0x8000
	s_mov_b32 s19, exec_lo
	v_cmpx_ne_u16_e32 0x80, v57
	s_cbranch_execz .LBB281_641
; %bb.636:                              ;   in Loop: Header=BB281_10 Depth=1
	v_bfe_u32 v59, v12, 16, 7
	v_mov_b32_e32 v106, 0x7c01
	s_mov_b32 s20, exec_lo
	s_delay_alu instid0(VALU_DEP_2)
	v_cmpx_ne_u32_e32 0x7f, v59
	s_cbranch_execz .LBB281_640
; %bb.637:                              ;   in Loop: Header=BB281_10 Depth=1
	v_and_b32_e32 v57, 7, v16
	v_lshrrev_b32_e32 v58, 3, v59
	s_mov_b32 s21, exec_lo
	v_cmpx_gt_u32_e32 8, v59
; %bb.638:                              ;   in Loop: Header=BB281_10 Depth=1
	s_delay_alu instid0(VALU_DEP_3) | instskip(NEXT) | instid1(VALU_DEP_1)
	v_clz_i32_u32_e32 v57, v57
	v_min_u32_e32 v59, 32, v57
	s_delay_alu instid0(VALU_DEP_1) | instskip(NEXT) | instid1(VALU_DEP_1)
	v_subrev_nc_u32_e32 v57, 28, v59
	v_lshlrev_b64_e32 v[57:58], v57, v[16:17]
	v_sub_nc_u32_e32 v58, 29, v59
	s_delay_alu instid0(VALU_DEP_2)
	v_and_b32_e32 v57, 7, v57
; %bb.639:                              ;   in Loop: Header=BB281_10 Depth=1
	s_wait_alu 0xfffe
	s_or_b32 exec_lo, exec_lo, s21
	v_lshlrev_b32_e32 v16, 8, v16
	v_lshl_add_u32 v58, v58, 10, 0x2000
	v_lshlrev_b32_e32 v57, 7, v57
	s_delay_alu instid0(VALU_DEP_3) | instskip(NEXT) | instid1(VALU_DEP_3)
	v_and_b32_e32 v16, 0x8000, v16
	v_and_b32_e32 v58, 0xfc00, v58
	s_delay_alu instid0(VALU_DEP_1)
	v_or3_b32 v106, v16, v58, v57
.LBB281_640:                            ;   in Loop: Header=BB281_10 Depth=1
	s_wait_alu 0xfffe
	s_or_b32 exec_lo, exec_lo, s20
.LBB281_641:                            ;   in Loop: Header=BB281_10 Depth=1
	s_wait_alu 0xfffe
	s_or_b32 exec_lo, exec_lo, s19
.LBB281_642:                            ;   in Loop: Header=BB281_10 Depth=1
	s_wait_alu 0xfffe
	s_or_b32 exec_lo, exec_lo, s4
	s_delay_alu instid0(SALU_CYCLE_1)
	s_mov_b32 s4, exec_lo
	v_cmpx_lt_u32_e32 0xffffff, v12
	s_cbranch_execz .LBB281_650
; %bb.643:                              ;   in Loop: Header=BB281_10 Depth=1
	v_lshrrev_b32_e32 v16, 24, v12
	v_bfrev_b32_e32 v104, 1
	s_mov_b32 s19, exec_lo
	s_delay_alu instid0(VALU_DEP_2)
	v_cmpx_ne_u32_e32 0x80, v16
	s_cbranch_execz .LBB281_649
; %bb.644:                              ;   in Loop: Header=BB281_10 Depth=1
	v_and_b32_e32 v58, 0x7f, v16
	v_mov_b32_e32 v104, 0x7c010000
	s_mov_b32 s20, exec_lo
	s_delay_alu instid0(VALU_DEP_2)
	v_cmpx_ne_u32_e32 0x7f, v58
	s_cbranch_execz .LBB281_648
; %bb.645:                              ;   in Loop: Header=BB281_10 Depth=1
	v_and_b32_e32 v12, 7, v16
	v_lshrrev_b32_e32 v57, 3, v58
	s_mov_b32 s21, exec_lo
	v_cmpx_gt_u32_e32 8, v58
; %bb.646:                              ;   in Loop: Header=BB281_10 Depth=1
	s_delay_alu instid0(VALU_DEP_3) | instskip(NEXT) | instid1(VALU_DEP_1)
	v_clz_i32_u32_e32 v12, v12
	v_min_u32_e32 v12, 32, v12
	s_delay_alu instid0(VALU_DEP_1) | instskip(NEXT) | instid1(VALU_DEP_1)
	v_subrev_nc_u32_e32 v57, 28, v12
	v_lshlrev_b64_e32 v[58:59], v57, v[16:17]
	v_sub_nc_u32_e32 v57, 29, v12
	s_delay_alu instid0(VALU_DEP_2)
	v_and_b32_e32 v12, 7, v58
; %bb.647:                              ;   in Loop: Header=BB281_10 Depth=1
	s_wait_alu 0xfffe
	s_or_b32 exec_lo, exec_lo, s21
	v_lshlrev_b32_e32 v16, 8, v16
	v_lshl_add_u32 v57, v57, 10, 0x2000
	v_lshlrev_b32_e32 v12, 23, v12
	s_delay_alu instid0(VALU_DEP_2) | instskip(NEXT) | instid1(VALU_DEP_1)
	v_and_or_b32 v16, 0x8000, v16, v57
	v_lshl_or_b32 v104, v16, 16, v12
.LBB281_648:                            ;   in Loop: Header=BB281_10 Depth=1
	s_wait_alu 0xfffe
	s_or_b32 exec_lo, exec_lo, s20
.LBB281_649:                            ;   in Loop: Header=BB281_10 Depth=1
	s_wait_alu 0xfffe
	s_or_b32 exec_lo, exec_lo, s19
.LBB281_650:                            ;   in Loop: Header=BB281_10 Depth=1
	s_wait_alu 0xfffe
	s_or_b32 exec_lo, exec_lo, s4
	flat_load_b32 v12, v[20:21] offset:2560
	v_mov_b32_e32 v120, 0
	s_mov_b32 s4, exec_lo
	s_wait_loadcnt_dscnt 0x0
	v_dual_mov_b32 v111, 0 :: v_dual_and_b32 v16, 0xff, v12
	s_delay_alu instid0(VALU_DEP_1)
	v_cmpx_ne_u16_e32 0, v16
	s_cbranch_execz .LBB281_658
; %bb.651:                              ;   in Loop: Header=BB281_10 Depth=1
	v_mov_b32_e32 v120, 0x8000
	s_mov_b32 s19, exec_lo
	v_cmpx_ne_u16_e32 0x80, v16
	s_cbranch_execz .LBB281_657
; %bb.652:                              ;   in Loop: Header=BB281_10 Depth=1
	v_and_b32_e32 v58, 0x7f, v12
	v_mov_b32_e32 v120, 0x7c01
	s_mov_b32 s20, exec_lo
	s_delay_alu instid0(VALU_DEP_2)
	v_cmpx_ne_u32_e32 0x7f, v58
	s_cbranch_execz .LBB281_656
; %bb.653:                              ;   in Loop: Header=BB281_10 Depth=1
	v_and_b32_e32 v16, 7, v12
	v_lshrrev_b32_e32 v57, 3, v58
	s_mov_b32 s21, exec_lo
	v_cmpx_gt_u32_e32 8, v58
; %bb.654:                              ;   in Loop: Header=BB281_10 Depth=1
	s_delay_alu instid0(VALU_DEP_3) | instskip(NEXT) | instid1(VALU_DEP_1)
	v_clz_i32_u32_e32 v16, v16
	v_min_u32_e32 v16, 32, v16
	s_delay_alu instid0(VALU_DEP_1) | instskip(NEXT) | instid1(VALU_DEP_1)
	v_subrev_nc_u32_e32 v57, 28, v16
	v_lshlrev_b64_e32 v[58:59], v57, v[12:13]
	v_sub_nc_u32_e32 v57, 29, v16
	s_delay_alu instid0(VALU_DEP_2)
	v_and_b32_e32 v16, 7, v58
; %bb.655:                              ;   in Loop: Header=BB281_10 Depth=1
	s_wait_alu 0xfffe
	s_or_b32 exec_lo, exec_lo, s21
	v_lshlrev_b32_e32 v58, 8, v12
	v_lshl_add_u32 v57, v57, 10, 0x2000
	v_lshlrev_b32_e32 v16, 7, v16
	s_delay_alu instid0(VALU_DEP_3) | instskip(NEXT) | instid1(VALU_DEP_3)
	v_and_b32_e32 v58, 0x8000, v58
	v_and_b32_e32 v57, 0xfc00, v57
	s_delay_alu instid0(VALU_DEP_1)
	v_or3_b32 v120, v58, v57, v16
.LBB281_656:                            ;   in Loop: Header=BB281_10 Depth=1
	s_wait_alu 0xfffe
	s_or_b32 exec_lo, exec_lo, s20
.LBB281_657:                            ;   in Loop: Header=BB281_10 Depth=1
	s_wait_alu 0xfffe
	s_or_b32 exec_lo, exec_lo, s19
.LBB281_658:                            ;   in Loop: Header=BB281_10 Depth=1
	s_wait_alu 0xfffe
	s_or_b32 exec_lo, exec_lo, s4
	v_lshrrev_b16 v16, 8, v12
	s_mov_b32 s4, exec_lo
	s_delay_alu instid0(VALU_DEP_1)
	v_cmpx_ne_u16_e32 0, v16
	s_cbranch_execz .LBB281_666
; %bb.659:                              ;   in Loop: Header=BB281_10 Depth=1
	v_bfrev_b32_e32 v111, 1
	s_mov_b32 s19, exec_lo
	v_cmpx_ne_u16_e32 0x80, v16
	s_cbranch_execz .LBB281_665
; %bb.660:                              ;   in Loop: Header=BB281_10 Depth=1
	v_and_b32_e32 v57, 0xffff, v16
	v_mov_b32_e32 v111, 0x7c010000
	s_mov_b32 s20, exec_lo
	s_delay_alu instid0(VALU_DEP_2) | instskip(NEXT) | instid1(VALU_DEP_1)
	v_and_b32_e32 v60, 0x7f, v57
	v_cmpx_ne_u32_e32 0x7f, v60
	s_cbranch_execz .LBB281_664
; %bb.661:                              ;   in Loop: Header=BB281_10 Depth=1
	v_and_b32_e32 v58, 7, v57
	v_lshrrev_b32_e32 v59, 3, v60
	s_mov_b32 s21, exec_lo
	v_cmpx_gt_u32_e32 8, v60
; %bb.662:                              ;   in Loop: Header=BB281_10 Depth=1
	s_delay_alu instid0(VALU_DEP_3) | instskip(NEXT) | instid1(VALU_DEP_1)
	v_clz_i32_u32_e32 v58, v58
	v_min_u32_e32 v60, 32, v58
	s_delay_alu instid0(VALU_DEP_1) | instskip(NEXT) | instid1(VALU_DEP_1)
	v_subrev_nc_u32_e32 v58, 28, v60
	v_lshlrev_b64_e32 v[58:59], v58, v[16:17]
	v_sub_nc_u32_e32 v59, 29, v60
	s_delay_alu instid0(VALU_DEP_2)
	v_and_b32_e32 v58, 7, v58
; %bb.663:                              ;   in Loop: Header=BB281_10 Depth=1
	s_wait_alu 0xfffe
	s_or_b32 exec_lo, exec_lo, s21
	v_lshlrev_b32_e32 v16, 8, v57
	v_lshl_add_u32 v57, v59, 10, 0x2000
	s_delay_alu instid0(VALU_DEP_1) | instskip(SKIP_1) | instid1(VALU_DEP_1)
	v_and_or_b32 v16, 0x8000, v16, v57
	v_lshlrev_b32_e32 v57, 23, v58
	v_lshl_or_b32 v111, v16, 16, v57
.LBB281_664:                            ;   in Loop: Header=BB281_10 Depth=1
	s_wait_alu 0xfffe
	s_or_b32 exec_lo, exec_lo, s20
.LBB281_665:                            ;   in Loop: Header=BB281_10 Depth=1
	s_wait_alu 0xfffe
	s_or_b32 exec_lo, exec_lo, s19
.LBB281_666:                            ;   in Loop: Header=BB281_10 Depth=1
	s_wait_alu 0xfffe
	s_or_b32 exec_lo, exec_lo, s4
	v_lshrrev_b32_e32 v16, 16, v12
	v_mov_b32_e32 v127, 0
	s_mov_b32 s4, exec_lo
	s_delay_alu instid0(VALU_DEP_2) | instskip(NEXT) | instid1(VALU_DEP_1)
	v_dual_mov_b32 v136, 0 :: v_dual_and_b32 v57, 0xff, v16
	v_cmpx_ne_u16_e32 0, v57
	s_cbranch_execz .LBB281_674
; %bb.667:                              ;   in Loop: Header=BB281_10 Depth=1
	v_mov_b32_e32 v136, 0x8000
	s_mov_b32 s19, exec_lo
	v_cmpx_ne_u16_e32 0x80, v57
	s_cbranch_execz .LBB281_673
; %bb.668:                              ;   in Loop: Header=BB281_10 Depth=1
	v_bfe_u32 v59, v12, 16, 7
	v_mov_b32_e32 v136, 0x7c01
	s_mov_b32 s20, exec_lo
	s_delay_alu instid0(VALU_DEP_2)
	v_cmpx_ne_u32_e32 0x7f, v59
	s_cbranch_execz .LBB281_672
; %bb.669:                              ;   in Loop: Header=BB281_10 Depth=1
	v_and_b32_e32 v57, 7, v16
	v_lshrrev_b32_e32 v58, 3, v59
	s_mov_b32 s21, exec_lo
	v_cmpx_gt_u32_e32 8, v59
; %bb.670:                              ;   in Loop: Header=BB281_10 Depth=1
	s_delay_alu instid0(VALU_DEP_3) | instskip(NEXT) | instid1(VALU_DEP_1)
	v_clz_i32_u32_e32 v57, v57
	v_min_u32_e32 v59, 32, v57
	s_delay_alu instid0(VALU_DEP_1) | instskip(NEXT) | instid1(VALU_DEP_1)
	v_subrev_nc_u32_e32 v57, 28, v59
	v_lshlrev_b64_e32 v[57:58], v57, v[16:17]
	v_sub_nc_u32_e32 v58, 29, v59
	s_delay_alu instid0(VALU_DEP_2)
	v_and_b32_e32 v57, 7, v57
; %bb.671:                              ;   in Loop: Header=BB281_10 Depth=1
	s_wait_alu 0xfffe
	s_or_b32 exec_lo, exec_lo, s21
	v_lshlrev_b32_e32 v16, 8, v16
	v_lshl_add_u32 v58, v58, 10, 0x2000
	v_lshlrev_b32_e32 v57, 7, v57
	s_delay_alu instid0(VALU_DEP_3) | instskip(NEXT) | instid1(VALU_DEP_3)
	v_and_b32_e32 v16, 0x8000, v16
	v_and_b32_e32 v58, 0xfc00, v58
	s_delay_alu instid0(VALU_DEP_1)
	v_or3_b32 v136, v16, v58, v57
.LBB281_672:                            ;   in Loop: Header=BB281_10 Depth=1
	s_wait_alu 0xfffe
	s_or_b32 exec_lo, exec_lo, s20
.LBB281_673:                            ;   in Loop: Header=BB281_10 Depth=1
	s_wait_alu 0xfffe
	s_or_b32 exec_lo, exec_lo, s19
.LBB281_674:                            ;   in Loop: Header=BB281_10 Depth=1
	s_wait_alu 0xfffe
	s_or_b32 exec_lo, exec_lo, s4
	s_delay_alu instid0(SALU_CYCLE_1)
	s_mov_b32 s4, exec_lo
	v_cmpx_lt_u32_e32 0xffffff, v12
	s_cbranch_execz .LBB281_682
; %bb.675:                              ;   in Loop: Header=BB281_10 Depth=1
	v_lshrrev_b32_e32 v16, 24, v12
	v_bfrev_b32_e32 v127, 1
	s_mov_b32 s19, exec_lo
	s_delay_alu instid0(VALU_DEP_2)
	v_cmpx_ne_u32_e32 0x80, v16
	s_cbranch_execz .LBB281_681
; %bb.676:                              ;   in Loop: Header=BB281_10 Depth=1
	v_and_b32_e32 v58, 0x7f, v16
	v_mov_b32_e32 v127, 0x7c010000
	s_mov_b32 s20, exec_lo
	s_delay_alu instid0(VALU_DEP_2)
	v_cmpx_ne_u32_e32 0x7f, v58
	s_cbranch_execz .LBB281_680
; %bb.677:                              ;   in Loop: Header=BB281_10 Depth=1
	v_and_b32_e32 v12, 7, v16
	v_lshrrev_b32_e32 v57, 3, v58
	s_mov_b32 s21, exec_lo
	v_cmpx_gt_u32_e32 8, v58
; %bb.678:                              ;   in Loop: Header=BB281_10 Depth=1
	s_delay_alu instid0(VALU_DEP_3) | instskip(NEXT) | instid1(VALU_DEP_1)
	v_clz_i32_u32_e32 v12, v12
	v_min_u32_e32 v12, 32, v12
	s_delay_alu instid0(VALU_DEP_1) | instskip(NEXT) | instid1(VALU_DEP_1)
	v_subrev_nc_u32_e32 v57, 28, v12
	v_lshlrev_b64_e32 v[58:59], v57, v[16:17]
	v_sub_nc_u32_e32 v57, 29, v12
	s_delay_alu instid0(VALU_DEP_2)
	v_and_b32_e32 v12, 7, v58
; %bb.679:                              ;   in Loop: Header=BB281_10 Depth=1
	s_wait_alu 0xfffe
	s_or_b32 exec_lo, exec_lo, s21
	v_lshlrev_b32_e32 v16, 8, v16
	v_lshl_add_u32 v57, v57, 10, 0x2000
	v_lshlrev_b32_e32 v12, 23, v12
	s_delay_alu instid0(VALU_DEP_2) | instskip(NEXT) | instid1(VALU_DEP_1)
	v_and_or_b32 v16, 0x8000, v16, v57
	v_lshl_or_b32 v127, v16, 16, v12
.LBB281_680:                            ;   in Loop: Header=BB281_10 Depth=1
	s_wait_alu 0xfffe
	s_or_b32 exec_lo, exec_lo, s20
.LBB281_681:                            ;   in Loop: Header=BB281_10 Depth=1
	s_wait_alu 0xfffe
	s_or_b32 exec_lo, exec_lo, s19
.LBB281_682:                            ;   in Loop: Header=BB281_10 Depth=1
	s_wait_alu 0xfffe
	s_or_b32 exec_lo, exec_lo, s4
	flat_load_b32 v12, v[20:21] offset:2568
	v_mov_b32_e32 v142, 0
	s_mov_b32 s4, exec_lo
	s_wait_loadcnt_dscnt 0x0
	v_dual_mov_b32 v141, 0 :: v_dual_and_b32 v16, 0xff, v12
	s_delay_alu instid0(VALU_DEP_1)
	v_cmpx_ne_u16_e32 0, v16
	s_cbranch_execz .LBB281_690
; %bb.683:                              ;   in Loop: Header=BB281_10 Depth=1
	v_mov_b32_e32 v142, 0x8000
	s_mov_b32 s19, exec_lo
	v_cmpx_ne_u16_e32 0x80, v16
	s_cbranch_execz .LBB281_689
; %bb.684:                              ;   in Loop: Header=BB281_10 Depth=1
	v_and_b32_e32 v58, 0x7f, v12
	v_mov_b32_e32 v142, 0x7c01
	s_mov_b32 s20, exec_lo
	s_delay_alu instid0(VALU_DEP_2)
	v_cmpx_ne_u32_e32 0x7f, v58
	s_cbranch_execz .LBB281_688
; %bb.685:                              ;   in Loop: Header=BB281_10 Depth=1
	v_and_b32_e32 v16, 7, v12
	v_lshrrev_b32_e32 v57, 3, v58
	s_mov_b32 s21, exec_lo
	v_cmpx_gt_u32_e32 8, v58
; %bb.686:                              ;   in Loop: Header=BB281_10 Depth=1
	s_delay_alu instid0(VALU_DEP_3) | instskip(NEXT) | instid1(VALU_DEP_1)
	v_clz_i32_u32_e32 v16, v16
	v_min_u32_e32 v16, 32, v16
	s_delay_alu instid0(VALU_DEP_1) | instskip(NEXT) | instid1(VALU_DEP_1)
	v_subrev_nc_u32_e32 v57, 28, v16
	v_lshlrev_b64_e32 v[58:59], v57, v[12:13]
	v_sub_nc_u32_e32 v57, 29, v16
	s_delay_alu instid0(VALU_DEP_2)
	v_and_b32_e32 v16, 7, v58
; %bb.687:                              ;   in Loop: Header=BB281_10 Depth=1
	s_wait_alu 0xfffe
	s_or_b32 exec_lo, exec_lo, s21
	v_lshlrev_b32_e32 v58, 8, v12
	v_lshl_add_u32 v57, v57, 10, 0x2000
	v_lshlrev_b32_e32 v16, 7, v16
	s_delay_alu instid0(VALU_DEP_3) | instskip(NEXT) | instid1(VALU_DEP_3)
	v_and_b32_e32 v58, 0x8000, v58
	v_and_b32_e32 v57, 0xfc00, v57
	s_delay_alu instid0(VALU_DEP_1)
	v_or3_b32 v142, v58, v57, v16
.LBB281_688:                            ;   in Loop: Header=BB281_10 Depth=1
	s_wait_alu 0xfffe
	s_or_b32 exec_lo, exec_lo, s20
.LBB281_689:                            ;   in Loop: Header=BB281_10 Depth=1
	s_wait_alu 0xfffe
	s_or_b32 exec_lo, exec_lo, s19
.LBB281_690:                            ;   in Loop: Header=BB281_10 Depth=1
	s_wait_alu 0xfffe
	s_or_b32 exec_lo, exec_lo, s4
	v_lshrrev_b16 v16, 8, v12
	s_mov_b32 s4, exec_lo
	s_delay_alu instid0(VALU_DEP_1)
	v_cmpx_ne_u16_e32 0, v16
	s_cbranch_execz .LBB281_698
; %bb.691:                              ;   in Loop: Header=BB281_10 Depth=1
	v_bfrev_b32_e32 v141, 1
	s_mov_b32 s19, exec_lo
	v_cmpx_ne_u16_e32 0x80, v16
	s_cbranch_execz .LBB281_697
; %bb.692:                              ;   in Loop: Header=BB281_10 Depth=1
	v_and_b32_e32 v57, 0xffff, v16
	v_mov_b32_e32 v141, 0x7c010000
	s_mov_b32 s20, exec_lo
	s_delay_alu instid0(VALU_DEP_2) | instskip(NEXT) | instid1(VALU_DEP_1)
	v_and_b32_e32 v60, 0x7f, v57
	v_cmpx_ne_u32_e32 0x7f, v60
	s_cbranch_execz .LBB281_696
; %bb.693:                              ;   in Loop: Header=BB281_10 Depth=1
	v_and_b32_e32 v58, 7, v57
	v_lshrrev_b32_e32 v59, 3, v60
	s_mov_b32 s21, exec_lo
	v_cmpx_gt_u32_e32 8, v60
; %bb.694:                              ;   in Loop: Header=BB281_10 Depth=1
	s_delay_alu instid0(VALU_DEP_3) | instskip(NEXT) | instid1(VALU_DEP_1)
	v_clz_i32_u32_e32 v58, v58
	v_min_u32_e32 v60, 32, v58
	s_delay_alu instid0(VALU_DEP_1) | instskip(NEXT) | instid1(VALU_DEP_1)
	v_subrev_nc_u32_e32 v58, 28, v60
	v_lshlrev_b64_e32 v[58:59], v58, v[16:17]
	v_sub_nc_u32_e32 v59, 29, v60
	s_delay_alu instid0(VALU_DEP_2)
	v_and_b32_e32 v58, 7, v58
; %bb.695:                              ;   in Loop: Header=BB281_10 Depth=1
	s_wait_alu 0xfffe
	s_or_b32 exec_lo, exec_lo, s21
	v_lshlrev_b32_e32 v16, 8, v57
	v_lshl_add_u32 v57, v59, 10, 0x2000
	s_delay_alu instid0(VALU_DEP_1) | instskip(SKIP_1) | instid1(VALU_DEP_1)
	v_and_or_b32 v16, 0x8000, v16, v57
	v_lshlrev_b32_e32 v57, 23, v58
	v_lshl_or_b32 v141, v16, 16, v57
.LBB281_696:                            ;   in Loop: Header=BB281_10 Depth=1
	s_wait_alu 0xfffe
	s_or_b32 exec_lo, exec_lo, s20
.LBB281_697:                            ;   in Loop: Header=BB281_10 Depth=1
	s_wait_alu 0xfffe
	s_or_b32 exec_lo, exec_lo, s19
.LBB281_698:                            ;   in Loop: Header=BB281_10 Depth=1
	s_wait_alu 0xfffe
	s_or_b32 exec_lo, exec_lo, s4
	v_lshrrev_b32_e32 v16, 16, v12
	v_mov_b32_e32 v153, 0
	s_mov_b32 s4, exec_lo
	s_delay_alu instid0(VALU_DEP_2) | instskip(NEXT) | instid1(VALU_DEP_1)
	v_dual_mov_b32 v154, 0 :: v_dual_and_b32 v57, 0xff, v16
	v_cmpx_ne_u16_e32 0, v57
	s_cbranch_execz .LBB281_706
; %bb.699:                              ;   in Loop: Header=BB281_10 Depth=1
	v_mov_b32_e32 v154, 0x8000
	s_mov_b32 s19, exec_lo
	v_cmpx_ne_u16_e32 0x80, v57
	s_cbranch_execz .LBB281_705
; %bb.700:                              ;   in Loop: Header=BB281_10 Depth=1
	v_bfe_u32 v59, v12, 16, 7
	v_mov_b32_e32 v154, 0x7c01
	s_mov_b32 s20, exec_lo
	s_delay_alu instid0(VALU_DEP_2)
	v_cmpx_ne_u32_e32 0x7f, v59
	s_cbranch_execz .LBB281_704
; %bb.701:                              ;   in Loop: Header=BB281_10 Depth=1
	v_and_b32_e32 v57, 7, v16
	v_lshrrev_b32_e32 v58, 3, v59
	s_mov_b32 s21, exec_lo
	v_cmpx_gt_u32_e32 8, v59
; %bb.702:                              ;   in Loop: Header=BB281_10 Depth=1
	s_delay_alu instid0(VALU_DEP_3) | instskip(NEXT) | instid1(VALU_DEP_1)
	v_clz_i32_u32_e32 v57, v57
	v_min_u32_e32 v59, 32, v57
	s_delay_alu instid0(VALU_DEP_1) | instskip(NEXT) | instid1(VALU_DEP_1)
	v_subrev_nc_u32_e32 v57, 28, v59
	v_lshlrev_b64_e32 v[57:58], v57, v[16:17]
	v_sub_nc_u32_e32 v58, 29, v59
	s_delay_alu instid0(VALU_DEP_2)
	v_and_b32_e32 v57, 7, v57
; %bb.703:                              ;   in Loop: Header=BB281_10 Depth=1
	s_wait_alu 0xfffe
	s_or_b32 exec_lo, exec_lo, s21
	v_lshlrev_b32_e32 v16, 8, v16
	v_lshl_add_u32 v58, v58, 10, 0x2000
	v_lshlrev_b32_e32 v57, 7, v57
	s_delay_alu instid0(VALU_DEP_3) | instskip(NEXT) | instid1(VALU_DEP_3)
	v_and_b32_e32 v16, 0x8000, v16
	v_and_b32_e32 v58, 0xfc00, v58
	s_delay_alu instid0(VALU_DEP_1)
	v_or3_b32 v154, v16, v58, v57
.LBB281_704:                            ;   in Loop: Header=BB281_10 Depth=1
	s_wait_alu 0xfffe
	s_or_b32 exec_lo, exec_lo, s20
.LBB281_705:                            ;   in Loop: Header=BB281_10 Depth=1
	s_wait_alu 0xfffe
	s_or_b32 exec_lo, exec_lo, s19
.LBB281_706:                            ;   in Loop: Header=BB281_10 Depth=1
	s_wait_alu 0xfffe
	s_or_b32 exec_lo, exec_lo, s4
	s_delay_alu instid0(SALU_CYCLE_1)
	s_mov_b32 s4, exec_lo
	v_cmpx_lt_u32_e32 0xffffff, v12
	s_cbranch_execz .LBB281_714
; %bb.707:                              ;   in Loop: Header=BB281_10 Depth=1
	v_lshrrev_b32_e32 v16, 24, v12
	v_bfrev_b32_e32 v153, 1
	s_mov_b32 s19, exec_lo
	s_delay_alu instid0(VALU_DEP_2)
	v_cmpx_ne_u32_e32 0x80, v16
	s_cbranch_execz .LBB281_713
; %bb.708:                              ;   in Loop: Header=BB281_10 Depth=1
	v_and_b32_e32 v58, 0x7f, v16
	v_mov_b32_e32 v153, 0x7c010000
	s_mov_b32 s20, exec_lo
	s_delay_alu instid0(VALU_DEP_2)
	v_cmpx_ne_u32_e32 0x7f, v58
	s_cbranch_execz .LBB281_712
; %bb.709:                              ;   in Loop: Header=BB281_10 Depth=1
	v_and_b32_e32 v12, 7, v16
	v_lshrrev_b32_e32 v57, 3, v58
	s_mov_b32 s21, exec_lo
	v_cmpx_gt_u32_e32 8, v58
; %bb.710:                              ;   in Loop: Header=BB281_10 Depth=1
	s_delay_alu instid0(VALU_DEP_3) | instskip(NEXT) | instid1(VALU_DEP_1)
	v_clz_i32_u32_e32 v12, v12
	v_min_u32_e32 v12, 32, v12
	s_delay_alu instid0(VALU_DEP_1) | instskip(NEXT) | instid1(VALU_DEP_1)
	v_subrev_nc_u32_e32 v57, 28, v12
	v_lshlrev_b64_e32 v[58:59], v57, v[16:17]
	v_sub_nc_u32_e32 v57, 29, v12
	s_delay_alu instid0(VALU_DEP_2)
	v_and_b32_e32 v12, 7, v58
; %bb.711:                              ;   in Loop: Header=BB281_10 Depth=1
	s_wait_alu 0xfffe
	s_or_b32 exec_lo, exec_lo, s21
	v_lshlrev_b32_e32 v16, 8, v16
	v_lshl_add_u32 v57, v57, 10, 0x2000
	v_lshlrev_b32_e32 v12, 23, v12
	s_delay_alu instid0(VALU_DEP_2) | instskip(NEXT) | instid1(VALU_DEP_1)
	v_and_or_b32 v16, 0x8000, v16, v57
	v_lshl_or_b32 v153, v16, 16, v12
.LBB281_712:                            ;   in Loop: Header=BB281_10 Depth=1
	s_wait_alu 0xfffe
	s_or_b32 exec_lo, exec_lo, s20
.LBB281_713:                            ;   in Loop: Header=BB281_10 Depth=1
	s_wait_alu 0xfffe
	s_or_b32 exec_lo, exec_lo, s19
.LBB281_714:                            ;   in Loop: Header=BB281_10 Depth=1
	s_wait_alu 0xfffe
	s_or_b32 exec_lo, exec_lo, s4
	flat_load_b32 v12, v[20:21] offset:2816
	v_mov_b32_e32 v138, 0
	s_mov_b32 s4, exec_lo
	s_wait_loadcnt_dscnt 0x0
	v_dual_mov_b32 v137, 0 :: v_dual_and_b32 v16, 0xff, v12
	s_delay_alu instid0(VALU_DEP_1)
	v_cmpx_ne_u16_e32 0, v16
	s_cbranch_execz .LBB281_722
; %bb.715:                              ;   in Loop: Header=BB281_10 Depth=1
	v_mov_b32_e32 v138, 0x8000
	s_mov_b32 s19, exec_lo
	v_cmpx_ne_u16_e32 0x80, v16
	s_cbranch_execz .LBB281_721
; %bb.716:                              ;   in Loop: Header=BB281_10 Depth=1
	v_and_b32_e32 v58, 0x7f, v12
	v_mov_b32_e32 v138, 0x7c01
	s_mov_b32 s20, exec_lo
	s_delay_alu instid0(VALU_DEP_2)
	v_cmpx_ne_u32_e32 0x7f, v58
	s_cbranch_execz .LBB281_720
; %bb.717:                              ;   in Loop: Header=BB281_10 Depth=1
	v_and_b32_e32 v16, 7, v12
	v_lshrrev_b32_e32 v57, 3, v58
	s_mov_b32 s21, exec_lo
	v_cmpx_gt_u32_e32 8, v58
; %bb.718:                              ;   in Loop: Header=BB281_10 Depth=1
	s_delay_alu instid0(VALU_DEP_3) | instskip(NEXT) | instid1(VALU_DEP_1)
	v_clz_i32_u32_e32 v16, v16
	v_min_u32_e32 v16, 32, v16
	s_delay_alu instid0(VALU_DEP_1) | instskip(NEXT) | instid1(VALU_DEP_1)
	v_subrev_nc_u32_e32 v57, 28, v16
	v_lshlrev_b64_e32 v[58:59], v57, v[12:13]
	v_sub_nc_u32_e32 v57, 29, v16
	s_delay_alu instid0(VALU_DEP_2)
	v_and_b32_e32 v16, 7, v58
; %bb.719:                              ;   in Loop: Header=BB281_10 Depth=1
	s_wait_alu 0xfffe
	s_or_b32 exec_lo, exec_lo, s21
	v_lshlrev_b32_e32 v58, 8, v12
	v_lshl_add_u32 v57, v57, 10, 0x2000
	v_lshlrev_b32_e32 v16, 7, v16
	s_delay_alu instid0(VALU_DEP_3) | instskip(NEXT) | instid1(VALU_DEP_3)
	v_and_b32_e32 v58, 0x8000, v58
	v_and_b32_e32 v57, 0xfc00, v57
	s_delay_alu instid0(VALU_DEP_1)
	v_or3_b32 v138, v58, v57, v16
.LBB281_720:                            ;   in Loop: Header=BB281_10 Depth=1
	s_wait_alu 0xfffe
	s_or_b32 exec_lo, exec_lo, s20
.LBB281_721:                            ;   in Loop: Header=BB281_10 Depth=1
	s_wait_alu 0xfffe
	s_or_b32 exec_lo, exec_lo, s19
.LBB281_722:                            ;   in Loop: Header=BB281_10 Depth=1
	s_wait_alu 0xfffe
	s_or_b32 exec_lo, exec_lo, s4
	v_lshrrev_b16 v16, 8, v12
	s_mov_b32 s4, exec_lo
	s_delay_alu instid0(VALU_DEP_1)
	v_cmpx_ne_u16_e32 0, v16
	s_cbranch_execz .LBB281_730
; %bb.723:                              ;   in Loop: Header=BB281_10 Depth=1
	v_bfrev_b32_e32 v137, 1
	s_mov_b32 s19, exec_lo
	v_cmpx_ne_u16_e32 0x80, v16
	s_cbranch_execz .LBB281_729
; %bb.724:                              ;   in Loop: Header=BB281_10 Depth=1
	v_and_b32_e32 v57, 0xffff, v16
	v_mov_b32_e32 v137, 0x7c010000
	s_mov_b32 s20, exec_lo
	s_delay_alu instid0(VALU_DEP_2) | instskip(NEXT) | instid1(VALU_DEP_1)
	v_and_b32_e32 v60, 0x7f, v57
	v_cmpx_ne_u32_e32 0x7f, v60
	s_cbranch_execz .LBB281_728
; %bb.725:                              ;   in Loop: Header=BB281_10 Depth=1
	v_and_b32_e32 v58, 7, v57
	v_lshrrev_b32_e32 v59, 3, v60
	s_mov_b32 s21, exec_lo
	v_cmpx_gt_u32_e32 8, v60
; %bb.726:                              ;   in Loop: Header=BB281_10 Depth=1
	s_delay_alu instid0(VALU_DEP_3) | instskip(NEXT) | instid1(VALU_DEP_1)
	v_clz_i32_u32_e32 v58, v58
	v_min_u32_e32 v60, 32, v58
	s_delay_alu instid0(VALU_DEP_1) | instskip(NEXT) | instid1(VALU_DEP_1)
	v_subrev_nc_u32_e32 v58, 28, v60
	v_lshlrev_b64_e32 v[58:59], v58, v[16:17]
	v_sub_nc_u32_e32 v59, 29, v60
	s_delay_alu instid0(VALU_DEP_2)
	v_and_b32_e32 v58, 7, v58
; %bb.727:                              ;   in Loop: Header=BB281_10 Depth=1
	s_wait_alu 0xfffe
	s_or_b32 exec_lo, exec_lo, s21
	v_lshlrev_b32_e32 v16, 8, v57
	v_lshl_add_u32 v57, v59, 10, 0x2000
	s_delay_alu instid0(VALU_DEP_1) | instskip(SKIP_1) | instid1(VALU_DEP_1)
	v_and_or_b32 v16, 0x8000, v16, v57
	v_lshlrev_b32_e32 v57, 23, v58
	v_lshl_or_b32 v137, v16, 16, v57
.LBB281_728:                            ;   in Loop: Header=BB281_10 Depth=1
	s_wait_alu 0xfffe
	s_or_b32 exec_lo, exec_lo, s20
.LBB281_729:                            ;   in Loop: Header=BB281_10 Depth=1
	s_wait_alu 0xfffe
	s_or_b32 exec_lo, exec_lo, s19
.LBB281_730:                            ;   in Loop: Header=BB281_10 Depth=1
	s_wait_alu 0xfffe
	s_or_b32 exec_lo, exec_lo, s4
	v_lshrrev_b32_e32 v16, 16, v12
	v_mov_b32_e32 v143, 0
	s_mov_b32 s4, exec_lo
	s_delay_alu instid0(VALU_DEP_2) | instskip(NEXT) | instid1(VALU_DEP_1)
	v_dual_mov_b32 v152, 0 :: v_dual_and_b32 v57, 0xff, v16
	v_cmpx_ne_u16_e32 0, v57
	s_cbranch_execz .LBB281_738
; %bb.731:                              ;   in Loop: Header=BB281_10 Depth=1
	v_mov_b32_e32 v152, 0x8000
	s_mov_b32 s19, exec_lo
	v_cmpx_ne_u16_e32 0x80, v57
	s_cbranch_execz .LBB281_737
; %bb.732:                              ;   in Loop: Header=BB281_10 Depth=1
	v_bfe_u32 v59, v12, 16, 7
	v_mov_b32_e32 v152, 0x7c01
	s_mov_b32 s20, exec_lo
	s_delay_alu instid0(VALU_DEP_2)
	v_cmpx_ne_u32_e32 0x7f, v59
	s_cbranch_execz .LBB281_736
; %bb.733:                              ;   in Loop: Header=BB281_10 Depth=1
	v_and_b32_e32 v57, 7, v16
	v_lshrrev_b32_e32 v58, 3, v59
	s_mov_b32 s21, exec_lo
	v_cmpx_gt_u32_e32 8, v59
; %bb.734:                              ;   in Loop: Header=BB281_10 Depth=1
	s_delay_alu instid0(VALU_DEP_3) | instskip(NEXT) | instid1(VALU_DEP_1)
	v_clz_i32_u32_e32 v57, v57
	v_min_u32_e32 v59, 32, v57
	s_delay_alu instid0(VALU_DEP_1) | instskip(NEXT) | instid1(VALU_DEP_1)
	v_subrev_nc_u32_e32 v57, 28, v59
	v_lshlrev_b64_e32 v[57:58], v57, v[16:17]
	v_sub_nc_u32_e32 v58, 29, v59
	s_delay_alu instid0(VALU_DEP_2)
	v_and_b32_e32 v57, 7, v57
; %bb.735:                              ;   in Loop: Header=BB281_10 Depth=1
	s_wait_alu 0xfffe
	s_or_b32 exec_lo, exec_lo, s21
	v_lshlrev_b32_e32 v16, 8, v16
	v_lshl_add_u32 v58, v58, 10, 0x2000
	v_lshlrev_b32_e32 v57, 7, v57
	s_delay_alu instid0(VALU_DEP_3) | instskip(NEXT) | instid1(VALU_DEP_3)
	v_and_b32_e32 v16, 0x8000, v16
	v_and_b32_e32 v58, 0xfc00, v58
	s_delay_alu instid0(VALU_DEP_1)
	v_or3_b32 v152, v16, v58, v57
.LBB281_736:                            ;   in Loop: Header=BB281_10 Depth=1
	s_wait_alu 0xfffe
	s_or_b32 exec_lo, exec_lo, s20
.LBB281_737:                            ;   in Loop: Header=BB281_10 Depth=1
	s_wait_alu 0xfffe
	s_or_b32 exec_lo, exec_lo, s19
.LBB281_738:                            ;   in Loop: Header=BB281_10 Depth=1
	s_wait_alu 0xfffe
	s_or_b32 exec_lo, exec_lo, s4
	s_delay_alu instid0(SALU_CYCLE_1)
	s_mov_b32 s4, exec_lo
	v_cmpx_lt_u32_e32 0xffffff, v12
	s_cbranch_execz .LBB281_746
; %bb.739:                              ;   in Loop: Header=BB281_10 Depth=1
	v_lshrrev_b32_e32 v16, 24, v12
	v_bfrev_b32_e32 v143, 1
	s_mov_b32 s19, exec_lo
	s_delay_alu instid0(VALU_DEP_2)
	v_cmpx_ne_u32_e32 0x80, v16
	s_cbranch_execz .LBB281_745
; %bb.740:                              ;   in Loop: Header=BB281_10 Depth=1
	v_and_b32_e32 v58, 0x7f, v16
	v_mov_b32_e32 v143, 0x7c010000
	s_mov_b32 s20, exec_lo
	s_delay_alu instid0(VALU_DEP_2)
	v_cmpx_ne_u32_e32 0x7f, v58
	s_cbranch_execz .LBB281_744
; %bb.741:                              ;   in Loop: Header=BB281_10 Depth=1
	v_and_b32_e32 v12, 7, v16
	v_lshrrev_b32_e32 v57, 3, v58
	s_mov_b32 s21, exec_lo
	v_cmpx_gt_u32_e32 8, v58
; %bb.742:                              ;   in Loop: Header=BB281_10 Depth=1
	s_delay_alu instid0(VALU_DEP_3) | instskip(NEXT) | instid1(VALU_DEP_1)
	v_clz_i32_u32_e32 v12, v12
	v_min_u32_e32 v12, 32, v12
	s_delay_alu instid0(VALU_DEP_1) | instskip(NEXT) | instid1(VALU_DEP_1)
	v_subrev_nc_u32_e32 v57, 28, v12
	v_lshlrev_b64_e32 v[58:59], v57, v[16:17]
	v_sub_nc_u32_e32 v57, 29, v12
	s_delay_alu instid0(VALU_DEP_2)
	v_and_b32_e32 v12, 7, v58
; %bb.743:                              ;   in Loop: Header=BB281_10 Depth=1
	s_wait_alu 0xfffe
	s_or_b32 exec_lo, exec_lo, s21
	v_lshlrev_b32_e32 v16, 8, v16
	v_lshl_add_u32 v57, v57, 10, 0x2000
	v_lshlrev_b32_e32 v12, 23, v12
	s_delay_alu instid0(VALU_DEP_2) | instskip(NEXT) | instid1(VALU_DEP_1)
	v_and_or_b32 v16, 0x8000, v16, v57
	v_lshl_or_b32 v143, v16, 16, v12
.LBB281_744:                            ;   in Loop: Header=BB281_10 Depth=1
	s_wait_alu 0xfffe
	s_or_b32 exec_lo, exec_lo, s20
.LBB281_745:                            ;   in Loop: Header=BB281_10 Depth=1
	s_wait_alu 0xfffe
	s_or_b32 exec_lo, exec_lo, s19
.LBB281_746:                            ;   in Loop: Header=BB281_10 Depth=1
	s_wait_alu 0xfffe
	s_or_b32 exec_lo, exec_lo, s4
	flat_load_b32 v12, v[20:21] offset:2824
	v_mov_b32_e32 v124, 0
	s_mov_b32 s4, exec_lo
	s_wait_loadcnt_dscnt 0x0
	v_dual_mov_b32 v123, 0 :: v_dual_and_b32 v16, 0xff, v12
	s_delay_alu instid0(VALU_DEP_1)
	v_cmpx_ne_u16_e32 0, v16
	s_cbranch_execz .LBB281_754
; %bb.747:                              ;   in Loop: Header=BB281_10 Depth=1
	v_mov_b32_e32 v124, 0x8000
	s_mov_b32 s19, exec_lo
	v_cmpx_ne_u16_e32 0x80, v16
	s_cbranch_execz .LBB281_753
; %bb.748:                              ;   in Loop: Header=BB281_10 Depth=1
	v_and_b32_e32 v58, 0x7f, v12
	v_mov_b32_e32 v124, 0x7c01
	s_mov_b32 s20, exec_lo
	s_delay_alu instid0(VALU_DEP_2)
	v_cmpx_ne_u32_e32 0x7f, v58
	s_cbranch_execz .LBB281_752
; %bb.749:                              ;   in Loop: Header=BB281_10 Depth=1
	v_and_b32_e32 v16, 7, v12
	v_lshrrev_b32_e32 v57, 3, v58
	s_mov_b32 s21, exec_lo
	v_cmpx_gt_u32_e32 8, v58
; %bb.750:                              ;   in Loop: Header=BB281_10 Depth=1
	s_delay_alu instid0(VALU_DEP_3) | instskip(NEXT) | instid1(VALU_DEP_1)
	v_clz_i32_u32_e32 v16, v16
	v_min_u32_e32 v16, 32, v16
	s_delay_alu instid0(VALU_DEP_1) | instskip(NEXT) | instid1(VALU_DEP_1)
	v_subrev_nc_u32_e32 v57, 28, v16
	v_lshlrev_b64_e32 v[58:59], v57, v[12:13]
	v_sub_nc_u32_e32 v57, 29, v16
	s_delay_alu instid0(VALU_DEP_2)
	v_and_b32_e32 v16, 7, v58
; %bb.751:                              ;   in Loop: Header=BB281_10 Depth=1
	s_wait_alu 0xfffe
	s_or_b32 exec_lo, exec_lo, s21
	v_lshlrev_b32_e32 v58, 8, v12
	v_lshl_add_u32 v57, v57, 10, 0x2000
	v_lshlrev_b32_e32 v16, 7, v16
	s_delay_alu instid0(VALU_DEP_3) | instskip(NEXT) | instid1(VALU_DEP_3)
	v_and_b32_e32 v58, 0x8000, v58
	v_and_b32_e32 v57, 0xfc00, v57
	s_delay_alu instid0(VALU_DEP_1)
	v_or3_b32 v124, v58, v57, v16
.LBB281_752:                            ;   in Loop: Header=BB281_10 Depth=1
	s_wait_alu 0xfffe
	s_or_b32 exec_lo, exec_lo, s20
.LBB281_753:                            ;   in Loop: Header=BB281_10 Depth=1
	s_wait_alu 0xfffe
	s_or_b32 exec_lo, exec_lo, s19
.LBB281_754:                            ;   in Loop: Header=BB281_10 Depth=1
	s_wait_alu 0xfffe
	s_or_b32 exec_lo, exec_lo, s4
	v_lshrrev_b16 v16, 8, v12
	s_mov_b32 s4, exec_lo
	s_delay_alu instid0(VALU_DEP_1)
	v_cmpx_ne_u16_e32 0, v16
	s_cbranch_execz .LBB281_762
; %bb.755:                              ;   in Loop: Header=BB281_10 Depth=1
	v_bfrev_b32_e32 v123, 1
	s_mov_b32 s19, exec_lo
	v_cmpx_ne_u16_e32 0x80, v16
	s_cbranch_execz .LBB281_761
; %bb.756:                              ;   in Loop: Header=BB281_10 Depth=1
	v_and_b32_e32 v57, 0xffff, v16
	v_mov_b32_e32 v123, 0x7c010000
	s_mov_b32 s20, exec_lo
	s_delay_alu instid0(VALU_DEP_2) | instskip(NEXT) | instid1(VALU_DEP_1)
	v_and_b32_e32 v60, 0x7f, v57
	v_cmpx_ne_u32_e32 0x7f, v60
	s_cbranch_execz .LBB281_760
; %bb.757:                              ;   in Loop: Header=BB281_10 Depth=1
	v_and_b32_e32 v58, 7, v57
	v_lshrrev_b32_e32 v59, 3, v60
	s_mov_b32 s21, exec_lo
	v_cmpx_gt_u32_e32 8, v60
; %bb.758:                              ;   in Loop: Header=BB281_10 Depth=1
	s_delay_alu instid0(VALU_DEP_3) | instskip(NEXT) | instid1(VALU_DEP_1)
	v_clz_i32_u32_e32 v58, v58
	v_min_u32_e32 v60, 32, v58
	s_delay_alu instid0(VALU_DEP_1) | instskip(NEXT) | instid1(VALU_DEP_1)
	v_subrev_nc_u32_e32 v58, 28, v60
	v_lshlrev_b64_e32 v[58:59], v58, v[16:17]
	v_sub_nc_u32_e32 v59, 29, v60
	s_delay_alu instid0(VALU_DEP_2)
	v_and_b32_e32 v58, 7, v58
; %bb.759:                              ;   in Loop: Header=BB281_10 Depth=1
	s_wait_alu 0xfffe
	s_or_b32 exec_lo, exec_lo, s21
	v_lshlrev_b32_e32 v16, 8, v57
	v_lshl_add_u32 v57, v59, 10, 0x2000
	s_delay_alu instid0(VALU_DEP_1) | instskip(SKIP_1) | instid1(VALU_DEP_1)
	v_and_or_b32 v16, 0x8000, v16, v57
	v_lshlrev_b32_e32 v57, 23, v58
	v_lshl_or_b32 v123, v16, 16, v57
.LBB281_760:                            ;   in Loop: Header=BB281_10 Depth=1
	s_wait_alu 0xfffe
	s_or_b32 exec_lo, exec_lo, s20
.LBB281_761:                            ;   in Loop: Header=BB281_10 Depth=1
	s_wait_alu 0xfffe
	s_or_b32 exec_lo, exec_lo, s19
.LBB281_762:                            ;   in Loop: Header=BB281_10 Depth=1
	s_wait_alu 0xfffe
	s_or_b32 exec_lo, exec_lo, s4
	v_lshrrev_b32_e32 v16, 16, v12
	v_mov_b32_e32 v139, 0
	s_mov_b32 s4, exec_lo
	s_delay_alu instid0(VALU_DEP_2) | instskip(NEXT) | instid1(VALU_DEP_1)
	v_dual_mov_b32 v140, 0 :: v_dual_and_b32 v57, 0xff, v16
	v_cmpx_ne_u16_e32 0, v57
	s_cbranch_execz .LBB281_770
; %bb.763:                              ;   in Loop: Header=BB281_10 Depth=1
	v_mov_b32_e32 v140, 0x8000
	s_mov_b32 s19, exec_lo
	v_cmpx_ne_u16_e32 0x80, v57
	s_cbranch_execz .LBB281_769
; %bb.764:                              ;   in Loop: Header=BB281_10 Depth=1
	v_bfe_u32 v59, v12, 16, 7
	v_mov_b32_e32 v140, 0x7c01
	s_mov_b32 s20, exec_lo
	s_delay_alu instid0(VALU_DEP_2)
	v_cmpx_ne_u32_e32 0x7f, v59
	s_cbranch_execz .LBB281_768
; %bb.765:                              ;   in Loop: Header=BB281_10 Depth=1
	v_and_b32_e32 v57, 7, v16
	v_lshrrev_b32_e32 v58, 3, v59
	s_mov_b32 s21, exec_lo
	v_cmpx_gt_u32_e32 8, v59
; %bb.766:                              ;   in Loop: Header=BB281_10 Depth=1
	s_delay_alu instid0(VALU_DEP_3) | instskip(NEXT) | instid1(VALU_DEP_1)
	v_clz_i32_u32_e32 v57, v57
	v_min_u32_e32 v59, 32, v57
	s_delay_alu instid0(VALU_DEP_1) | instskip(NEXT) | instid1(VALU_DEP_1)
	v_subrev_nc_u32_e32 v57, 28, v59
	v_lshlrev_b64_e32 v[57:58], v57, v[16:17]
	v_sub_nc_u32_e32 v58, 29, v59
	s_delay_alu instid0(VALU_DEP_2)
	v_and_b32_e32 v57, 7, v57
; %bb.767:                              ;   in Loop: Header=BB281_10 Depth=1
	s_wait_alu 0xfffe
	s_or_b32 exec_lo, exec_lo, s21
	v_lshlrev_b32_e32 v16, 8, v16
	v_lshl_add_u32 v58, v58, 10, 0x2000
	v_lshlrev_b32_e32 v57, 7, v57
	s_delay_alu instid0(VALU_DEP_3) | instskip(NEXT) | instid1(VALU_DEP_3)
	v_and_b32_e32 v16, 0x8000, v16
	v_and_b32_e32 v58, 0xfc00, v58
	s_delay_alu instid0(VALU_DEP_1)
	v_or3_b32 v140, v16, v58, v57
.LBB281_768:                            ;   in Loop: Header=BB281_10 Depth=1
	s_wait_alu 0xfffe
	s_or_b32 exec_lo, exec_lo, s20
.LBB281_769:                            ;   in Loop: Header=BB281_10 Depth=1
	s_wait_alu 0xfffe
	s_or_b32 exec_lo, exec_lo, s19
.LBB281_770:                            ;   in Loop: Header=BB281_10 Depth=1
	s_wait_alu 0xfffe
	s_or_b32 exec_lo, exec_lo, s4
	s_delay_alu instid0(SALU_CYCLE_1)
	s_mov_b32 s4, exec_lo
	v_cmpx_lt_u32_e32 0xffffff, v12
	s_cbranch_execz .LBB281_778
; %bb.771:                              ;   in Loop: Header=BB281_10 Depth=1
	v_lshrrev_b32_e32 v16, 24, v12
	v_bfrev_b32_e32 v139, 1
	s_mov_b32 s19, exec_lo
	s_delay_alu instid0(VALU_DEP_2)
	v_cmpx_ne_u32_e32 0x80, v16
	s_cbranch_execz .LBB281_777
; %bb.772:                              ;   in Loop: Header=BB281_10 Depth=1
	v_and_b32_e32 v58, 0x7f, v16
	v_mov_b32_e32 v139, 0x7c010000
	s_mov_b32 s20, exec_lo
	s_delay_alu instid0(VALU_DEP_2)
	v_cmpx_ne_u32_e32 0x7f, v58
	s_cbranch_execz .LBB281_776
; %bb.773:                              ;   in Loop: Header=BB281_10 Depth=1
	v_and_b32_e32 v12, 7, v16
	v_lshrrev_b32_e32 v57, 3, v58
	s_mov_b32 s21, exec_lo
	v_cmpx_gt_u32_e32 8, v58
; %bb.774:                              ;   in Loop: Header=BB281_10 Depth=1
	s_delay_alu instid0(VALU_DEP_3) | instskip(NEXT) | instid1(VALU_DEP_1)
	v_clz_i32_u32_e32 v12, v12
	v_min_u32_e32 v12, 32, v12
	s_delay_alu instid0(VALU_DEP_1) | instskip(NEXT) | instid1(VALU_DEP_1)
	v_subrev_nc_u32_e32 v57, 28, v12
	v_lshlrev_b64_e32 v[58:59], v57, v[16:17]
	v_sub_nc_u32_e32 v57, 29, v12
	s_delay_alu instid0(VALU_DEP_2)
	v_and_b32_e32 v12, 7, v58
; %bb.775:                              ;   in Loop: Header=BB281_10 Depth=1
	s_wait_alu 0xfffe
	s_or_b32 exec_lo, exec_lo, s21
	v_lshlrev_b32_e32 v16, 8, v16
	v_lshl_add_u32 v57, v57, 10, 0x2000
	v_lshlrev_b32_e32 v12, 23, v12
	s_delay_alu instid0(VALU_DEP_2) | instskip(NEXT) | instid1(VALU_DEP_1)
	v_and_or_b32 v16, 0x8000, v16, v57
	v_lshl_or_b32 v139, v16, 16, v12
.LBB281_776:                            ;   in Loop: Header=BB281_10 Depth=1
	s_wait_alu 0xfffe
	s_or_b32 exec_lo, exec_lo, s20
.LBB281_777:                            ;   in Loop: Header=BB281_10 Depth=1
	s_wait_alu 0xfffe
	s_or_b32 exec_lo, exec_lo, s19
.LBB281_778:                            ;   in Loop: Header=BB281_10 Depth=1
	s_wait_alu 0xfffe
	s_or_b32 exec_lo, exec_lo, s4
	flat_load_b32 v12, v[20:21] offset:3072
	v_mov_b32_e32 v110, 0
	s_mov_b32 s4, exec_lo
	s_wait_loadcnt_dscnt 0x0
	v_dual_mov_b32 v109, 0 :: v_dual_and_b32 v16, 0xff, v12
	s_delay_alu instid0(VALU_DEP_1)
	v_cmpx_ne_u16_e32 0, v16
	s_cbranch_execz .LBB281_786
; %bb.779:                              ;   in Loop: Header=BB281_10 Depth=1
	v_mov_b32_e32 v110, 0x8000
	s_mov_b32 s19, exec_lo
	v_cmpx_ne_u16_e32 0x80, v16
	s_cbranch_execz .LBB281_785
; %bb.780:                              ;   in Loop: Header=BB281_10 Depth=1
	v_and_b32_e32 v58, 0x7f, v12
	v_mov_b32_e32 v110, 0x7c01
	s_mov_b32 s20, exec_lo
	s_delay_alu instid0(VALU_DEP_2)
	v_cmpx_ne_u32_e32 0x7f, v58
	s_cbranch_execz .LBB281_784
; %bb.781:                              ;   in Loop: Header=BB281_10 Depth=1
	v_and_b32_e32 v16, 7, v12
	v_lshrrev_b32_e32 v57, 3, v58
	s_mov_b32 s21, exec_lo
	v_cmpx_gt_u32_e32 8, v58
; %bb.782:                              ;   in Loop: Header=BB281_10 Depth=1
	s_delay_alu instid0(VALU_DEP_3) | instskip(NEXT) | instid1(VALU_DEP_1)
	v_clz_i32_u32_e32 v16, v16
	v_min_u32_e32 v16, 32, v16
	s_delay_alu instid0(VALU_DEP_1) | instskip(NEXT) | instid1(VALU_DEP_1)
	v_subrev_nc_u32_e32 v57, 28, v16
	v_lshlrev_b64_e32 v[58:59], v57, v[12:13]
	v_sub_nc_u32_e32 v57, 29, v16
	s_delay_alu instid0(VALU_DEP_2)
	v_and_b32_e32 v16, 7, v58
; %bb.783:                              ;   in Loop: Header=BB281_10 Depth=1
	s_wait_alu 0xfffe
	s_or_b32 exec_lo, exec_lo, s21
	v_lshlrev_b32_e32 v58, 8, v12
	v_lshl_add_u32 v57, v57, 10, 0x2000
	v_lshlrev_b32_e32 v16, 7, v16
	s_delay_alu instid0(VALU_DEP_3) | instskip(NEXT) | instid1(VALU_DEP_3)
	v_and_b32_e32 v58, 0x8000, v58
	v_and_b32_e32 v57, 0xfc00, v57
	s_delay_alu instid0(VALU_DEP_1)
	v_or3_b32 v110, v58, v57, v16
.LBB281_784:                            ;   in Loop: Header=BB281_10 Depth=1
	s_wait_alu 0xfffe
	s_or_b32 exec_lo, exec_lo, s20
.LBB281_785:                            ;   in Loop: Header=BB281_10 Depth=1
	s_wait_alu 0xfffe
	s_or_b32 exec_lo, exec_lo, s19
.LBB281_786:                            ;   in Loop: Header=BB281_10 Depth=1
	s_wait_alu 0xfffe
	s_or_b32 exec_lo, exec_lo, s4
	v_lshrrev_b16 v16, 8, v12
	s_mov_b32 s4, exec_lo
	s_delay_alu instid0(VALU_DEP_1)
	v_cmpx_ne_u16_e32 0, v16
	s_cbranch_execz .LBB281_794
; %bb.787:                              ;   in Loop: Header=BB281_10 Depth=1
	v_bfrev_b32_e32 v109, 1
	s_mov_b32 s19, exec_lo
	v_cmpx_ne_u16_e32 0x80, v16
	s_cbranch_execz .LBB281_793
; %bb.788:                              ;   in Loop: Header=BB281_10 Depth=1
	v_and_b32_e32 v57, 0xffff, v16
	v_mov_b32_e32 v109, 0x7c010000
	s_mov_b32 s20, exec_lo
	s_delay_alu instid0(VALU_DEP_2) | instskip(NEXT) | instid1(VALU_DEP_1)
	v_and_b32_e32 v60, 0x7f, v57
	v_cmpx_ne_u32_e32 0x7f, v60
	s_cbranch_execz .LBB281_792
; %bb.789:                              ;   in Loop: Header=BB281_10 Depth=1
	v_and_b32_e32 v58, 7, v57
	v_lshrrev_b32_e32 v59, 3, v60
	s_mov_b32 s21, exec_lo
	v_cmpx_gt_u32_e32 8, v60
; %bb.790:                              ;   in Loop: Header=BB281_10 Depth=1
	s_delay_alu instid0(VALU_DEP_3) | instskip(NEXT) | instid1(VALU_DEP_1)
	v_clz_i32_u32_e32 v58, v58
	v_min_u32_e32 v60, 32, v58
	s_delay_alu instid0(VALU_DEP_1) | instskip(NEXT) | instid1(VALU_DEP_1)
	v_subrev_nc_u32_e32 v58, 28, v60
	v_lshlrev_b64_e32 v[58:59], v58, v[16:17]
	v_sub_nc_u32_e32 v59, 29, v60
	s_delay_alu instid0(VALU_DEP_2)
	v_and_b32_e32 v58, 7, v58
; %bb.791:                              ;   in Loop: Header=BB281_10 Depth=1
	s_wait_alu 0xfffe
	s_or_b32 exec_lo, exec_lo, s21
	v_lshlrev_b32_e32 v16, 8, v57
	v_lshl_add_u32 v57, v59, 10, 0x2000
	s_delay_alu instid0(VALU_DEP_1) | instskip(SKIP_1) | instid1(VALU_DEP_1)
	v_and_or_b32 v16, 0x8000, v16, v57
	v_lshlrev_b32_e32 v57, 23, v58
	v_lshl_or_b32 v109, v16, 16, v57
.LBB281_792:                            ;   in Loop: Header=BB281_10 Depth=1
	s_wait_alu 0xfffe
	s_or_b32 exec_lo, exec_lo, s20
.LBB281_793:                            ;   in Loop: Header=BB281_10 Depth=1
	s_wait_alu 0xfffe
	s_or_b32 exec_lo, exec_lo, s19
.LBB281_794:                            ;   in Loop: Header=BB281_10 Depth=1
	s_wait_alu 0xfffe
	s_or_b32 exec_lo, exec_lo, s4
	v_lshrrev_b32_e32 v16, 16, v12
	v_mov_b32_e32 v125, 0
	s_mov_b32 s4, exec_lo
	s_delay_alu instid0(VALU_DEP_2) | instskip(NEXT) | instid1(VALU_DEP_1)
	v_dual_mov_b32 v126, 0 :: v_dual_and_b32 v57, 0xff, v16
	v_cmpx_ne_u16_e32 0, v57
	s_cbranch_execz .LBB281_802
; %bb.795:                              ;   in Loop: Header=BB281_10 Depth=1
	v_mov_b32_e32 v126, 0x8000
	s_mov_b32 s19, exec_lo
	v_cmpx_ne_u16_e32 0x80, v57
	s_cbranch_execz .LBB281_801
; %bb.796:                              ;   in Loop: Header=BB281_10 Depth=1
	v_bfe_u32 v59, v12, 16, 7
	v_mov_b32_e32 v126, 0x7c01
	s_mov_b32 s20, exec_lo
	s_delay_alu instid0(VALU_DEP_2)
	v_cmpx_ne_u32_e32 0x7f, v59
	s_cbranch_execz .LBB281_800
; %bb.797:                              ;   in Loop: Header=BB281_10 Depth=1
	v_and_b32_e32 v57, 7, v16
	v_lshrrev_b32_e32 v58, 3, v59
	s_mov_b32 s21, exec_lo
	v_cmpx_gt_u32_e32 8, v59
; %bb.798:                              ;   in Loop: Header=BB281_10 Depth=1
	s_delay_alu instid0(VALU_DEP_3) | instskip(NEXT) | instid1(VALU_DEP_1)
	v_clz_i32_u32_e32 v57, v57
	v_min_u32_e32 v59, 32, v57
	s_delay_alu instid0(VALU_DEP_1) | instskip(NEXT) | instid1(VALU_DEP_1)
	v_subrev_nc_u32_e32 v57, 28, v59
	v_lshlrev_b64_e32 v[57:58], v57, v[16:17]
	v_sub_nc_u32_e32 v58, 29, v59
	s_delay_alu instid0(VALU_DEP_2)
	v_and_b32_e32 v57, 7, v57
; %bb.799:                              ;   in Loop: Header=BB281_10 Depth=1
	s_wait_alu 0xfffe
	s_or_b32 exec_lo, exec_lo, s21
	v_lshlrev_b32_e32 v16, 8, v16
	v_lshl_add_u32 v58, v58, 10, 0x2000
	v_lshlrev_b32_e32 v57, 7, v57
	s_delay_alu instid0(VALU_DEP_3) | instskip(NEXT) | instid1(VALU_DEP_3)
	v_and_b32_e32 v16, 0x8000, v16
	v_and_b32_e32 v58, 0xfc00, v58
	s_delay_alu instid0(VALU_DEP_1)
	v_or3_b32 v126, v16, v58, v57
.LBB281_800:                            ;   in Loop: Header=BB281_10 Depth=1
	s_wait_alu 0xfffe
	s_or_b32 exec_lo, exec_lo, s20
.LBB281_801:                            ;   in Loop: Header=BB281_10 Depth=1
	s_wait_alu 0xfffe
	s_or_b32 exec_lo, exec_lo, s19
.LBB281_802:                            ;   in Loop: Header=BB281_10 Depth=1
	s_wait_alu 0xfffe
	s_or_b32 exec_lo, exec_lo, s4
	s_delay_alu instid0(SALU_CYCLE_1)
	s_mov_b32 s4, exec_lo
	v_cmpx_lt_u32_e32 0xffffff, v12
	s_cbranch_execz .LBB281_810
; %bb.803:                              ;   in Loop: Header=BB281_10 Depth=1
	v_lshrrev_b32_e32 v16, 24, v12
	v_bfrev_b32_e32 v125, 1
	s_mov_b32 s19, exec_lo
	s_delay_alu instid0(VALU_DEP_2)
	v_cmpx_ne_u32_e32 0x80, v16
	s_cbranch_execz .LBB281_809
; %bb.804:                              ;   in Loop: Header=BB281_10 Depth=1
	v_and_b32_e32 v58, 0x7f, v16
	v_mov_b32_e32 v125, 0x7c010000
	s_mov_b32 s20, exec_lo
	s_delay_alu instid0(VALU_DEP_2)
	v_cmpx_ne_u32_e32 0x7f, v58
	s_cbranch_execz .LBB281_808
; %bb.805:                              ;   in Loop: Header=BB281_10 Depth=1
	v_and_b32_e32 v12, 7, v16
	v_lshrrev_b32_e32 v57, 3, v58
	s_mov_b32 s21, exec_lo
	v_cmpx_gt_u32_e32 8, v58
; %bb.806:                              ;   in Loop: Header=BB281_10 Depth=1
	s_delay_alu instid0(VALU_DEP_3) | instskip(NEXT) | instid1(VALU_DEP_1)
	v_clz_i32_u32_e32 v12, v12
	v_min_u32_e32 v12, 32, v12
	s_delay_alu instid0(VALU_DEP_1) | instskip(NEXT) | instid1(VALU_DEP_1)
	v_subrev_nc_u32_e32 v57, 28, v12
	v_lshlrev_b64_e32 v[58:59], v57, v[16:17]
	v_sub_nc_u32_e32 v57, 29, v12
	s_delay_alu instid0(VALU_DEP_2)
	v_and_b32_e32 v12, 7, v58
; %bb.807:                              ;   in Loop: Header=BB281_10 Depth=1
	s_wait_alu 0xfffe
	s_or_b32 exec_lo, exec_lo, s21
	v_lshlrev_b32_e32 v16, 8, v16
	v_lshl_add_u32 v57, v57, 10, 0x2000
	v_lshlrev_b32_e32 v12, 23, v12
	s_delay_alu instid0(VALU_DEP_2) | instskip(NEXT) | instid1(VALU_DEP_1)
	v_and_or_b32 v16, 0x8000, v16, v57
	v_lshl_or_b32 v125, v16, 16, v12
.LBB281_808:                            ;   in Loop: Header=BB281_10 Depth=1
	s_wait_alu 0xfffe
	s_or_b32 exec_lo, exec_lo, s20
.LBB281_809:                            ;   in Loop: Header=BB281_10 Depth=1
	s_wait_alu 0xfffe
	s_or_b32 exec_lo, exec_lo, s19
.LBB281_810:                            ;   in Loop: Header=BB281_10 Depth=1
	s_wait_alu 0xfffe
	s_or_b32 exec_lo, exec_lo, s4
	flat_load_b32 v12, v[20:21] offset:3080
	v_mov_b32_e32 v105, 0
	s_mov_b32 s4, exec_lo
	s_wait_loadcnt_dscnt 0x0
	v_dual_mov_b32 v95, 0 :: v_dual_and_b32 v16, 0xff, v12
	s_delay_alu instid0(VALU_DEP_1)
	v_cmpx_ne_u16_e32 0, v16
	s_cbranch_execz .LBB281_818
; %bb.811:                              ;   in Loop: Header=BB281_10 Depth=1
	v_mov_b32_e32 v105, 0x8000
	s_mov_b32 s19, exec_lo
	v_cmpx_ne_u16_e32 0x80, v16
	s_cbranch_execz .LBB281_817
; %bb.812:                              ;   in Loop: Header=BB281_10 Depth=1
	v_and_b32_e32 v58, 0x7f, v12
	v_mov_b32_e32 v105, 0x7c01
	s_mov_b32 s20, exec_lo
	s_delay_alu instid0(VALU_DEP_2)
	v_cmpx_ne_u32_e32 0x7f, v58
	s_cbranch_execz .LBB281_816
; %bb.813:                              ;   in Loop: Header=BB281_10 Depth=1
	v_and_b32_e32 v16, 7, v12
	v_lshrrev_b32_e32 v57, 3, v58
	s_mov_b32 s21, exec_lo
	v_cmpx_gt_u32_e32 8, v58
; %bb.814:                              ;   in Loop: Header=BB281_10 Depth=1
	s_delay_alu instid0(VALU_DEP_3) | instskip(NEXT) | instid1(VALU_DEP_1)
	v_clz_i32_u32_e32 v16, v16
	v_min_u32_e32 v16, 32, v16
	s_delay_alu instid0(VALU_DEP_1) | instskip(NEXT) | instid1(VALU_DEP_1)
	v_subrev_nc_u32_e32 v57, 28, v16
	v_lshlrev_b64_e32 v[58:59], v57, v[12:13]
	v_sub_nc_u32_e32 v57, 29, v16
	s_delay_alu instid0(VALU_DEP_2)
	v_and_b32_e32 v16, 7, v58
; %bb.815:                              ;   in Loop: Header=BB281_10 Depth=1
	s_wait_alu 0xfffe
	s_or_b32 exec_lo, exec_lo, s21
	v_lshlrev_b32_e32 v58, 8, v12
	v_lshl_add_u32 v57, v57, 10, 0x2000
	v_lshlrev_b32_e32 v16, 7, v16
	s_delay_alu instid0(VALU_DEP_3) | instskip(NEXT) | instid1(VALU_DEP_3)
	v_and_b32_e32 v58, 0x8000, v58
	v_and_b32_e32 v57, 0xfc00, v57
	s_delay_alu instid0(VALU_DEP_1)
	v_or3_b32 v105, v58, v57, v16
.LBB281_816:                            ;   in Loop: Header=BB281_10 Depth=1
	s_wait_alu 0xfffe
	s_or_b32 exec_lo, exec_lo, s20
.LBB281_817:                            ;   in Loop: Header=BB281_10 Depth=1
	s_wait_alu 0xfffe
	s_or_b32 exec_lo, exec_lo, s19
.LBB281_818:                            ;   in Loop: Header=BB281_10 Depth=1
	s_wait_alu 0xfffe
	s_or_b32 exec_lo, exec_lo, s4
	v_lshrrev_b16 v16, 8, v12
	s_mov_b32 s4, exec_lo
	s_delay_alu instid0(VALU_DEP_1)
	v_cmpx_ne_u16_e32 0, v16
	s_cbranch_execz .LBB281_826
; %bb.819:                              ;   in Loop: Header=BB281_10 Depth=1
	v_bfrev_b32_e32 v95, 1
	s_mov_b32 s19, exec_lo
	v_cmpx_ne_u16_e32 0x80, v16
	s_cbranch_execz .LBB281_825
; %bb.820:                              ;   in Loop: Header=BB281_10 Depth=1
	v_and_b32_e32 v57, 0xffff, v16
	v_mov_b32_e32 v95, 0x7c010000
	s_mov_b32 s20, exec_lo
	s_delay_alu instid0(VALU_DEP_2) | instskip(NEXT) | instid1(VALU_DEP_1)
	v_and_b32_e32 v60, 0x7f, v57
	v_cmpx_ne_u32_e32 0x7f, v60
	s_cbranch_execz .LBB281_824
; %bb.821:                              ;   in Loop: Header=BB281_10 Depth=1
	v_and_b32_e32 v58, 7, v57
	v_lshrrev_b32_e32 v59, 3, v60
	s_mov_b32 s21, exec_lo
	v_cmpx_gt_u32_e32 8, v60
; %bb.822:                              ;   in Loop: Header=BB281_10 Depth=1
	s_delay_alu instid0(VALU_DEP_3) | instskip(NEXT) | instid1(VALU_DEP_1)
	v_clz_i32_u32_e32 v58, v58
	v_min_u32_e32 v60, 32, v58
	s_delay_alu instid0(VALU_DEP_1) | instskip(NEXT) | instid1(VALU_DEP_1)
	v_subrev_nc_u32_e32 v58, 28, v60
	v_lshlrev_b64_e32 v[58:59], v58, v[16:17]
	v_sub_nc_u32_e32 v59, 29, v60
	s_delay_alu instid0(VALU_DEP_2)
	v_and_b32_e32 v58, 7, v58
; %bb.823:                              ;   in Loop: Header=BB281_10 Depth=1
	s_wait_alu 0xfffe
	s_or_b32 exec_lo, exec_lo, s21
	v_lshlrev_b32_e32 v16, 8, v57
	v_lshl_add_u32 v57, v59, 10, 0x2000
	s_delay_alu instid0(VALU_DEP_1) | instskip(SKIP_1) | instid1(VALU_DEP_1)
	v_and_or_b32 v16, 0x8000, v16, v57
	v_lshlrev_b32_e32 v57, 23, v58
	v_lshl_or_b32 v95, v16, 16, v57
.LBB281_824:                            ;   in Loop: Header=BB281_10 Depth=1
	s_wait_alu 0xfffe
	s_or_b32 exec_lo, exec_lo, s20
.LBB281_825:                            ;   in Loop: Header=BB281_10 Depth=1
	s_wait_alu 0xfffe
	s_or_b32 exec_lo, exec_lo, s19
.LBB281_826:                            ;   in Loop: Header=BB281_10 Depth=1
	s_wait_alu 0xfffe
	s_or_b32 exec_lo, exec_lo, s4
	v_lshrrev_b32_e32 v16, 16, v12
	v_mov_b32_e32 v121, 0
	s_mov_b32 s4, exec_lo
	s_delay_alu instid0(VALU_DEP_2) | instskip(NEXT) | instid1(VALU_DEP_1)
	v_dual_mov_b32 v122, 0 :: v_dual_and_b32 v57, 0xff, v16
	v_cmpx_ne_u16_e32 0, v57
	s_cbranch_execz .LBB281_834
; %bb.827:                              ;   in Loop: Header=BB281_10 Depth=1
	v_mov_b32_e32 v122, 0x8000
	s_mov_b32 s19, exec_lo
	v_cmpx_ne_u16_e32 0x80, v57
	s_cbranch_execz .LBB281_833
; %bb.828:                              ;   in Loop: Header=BB281_10 Depth=1
	v_bfe_u32 v59, v12, 16, 7
	v_mov_b32_e32 v122, 0x7c01
	s_mov_b32 s20, exec_lo
	s_delay_alu instid0(VALU_DEP_2)
	v_cmpx_ne_u32_e32 0x7f, v59
	s_cbranch_execz .LBB281_832
; %bb.829:                              ;   in Loop: Header=BB281_10 Depth=1
	v_and_b32_e32 v57, 7, v16
	v_lshrrev_b32_e32 v58, 3, v59
	s_mov_b32 s21, exec_lo
	v_cmpx_gt_u32_e32 8, v59
; %bb.830:                              ;   in Loop: Header=BB281_10 Depth=1
	s_delay_alu instid0(VALU_DEP_3) | instskip(NEXT) | instid1(VALU_DEP_1)
	v_clz_i32_u32_e32 v57, v57
	v_min_u32_e32 v59, 32, v57
	s_delay_alu instid0(VALU_DEP_1) | instskip(NEXT) | instid1(VALU_DEP_1)
	v_subrev_nc_u32_e32 v57, 28, v59
	v_lshlrev_b64_e32 v[57:58], v57, v[16:17]
	v_sub_nc_u32_e32 v58, 29, v59
	s_delay_alu instid0(VALU_DEP_2)
	v_and_b32_e32 v57, 7, v57
; %bb.831:                              ;   in Loop: Header=BB281_10 Depth=1
	s_wait_alu 0xfffe
	s_or_b32 exec_lo, exec_lo, s21
	v_lshlrev_b32_e32 v16, 8, v16
	v_lshl_add_u32 v58, v58, 10, 0x2000
	v_lshlrev_b32_e32 v57, 7, v57
	s_delay_alu instid0(VALU_DEP_3) | instskip(NEXT) | instid1(VALU_DEP_3)
	v_and_b32_e32 v16, 0x8000, v16
	v_and_b32_e32 v58, 0xfc00, v58
	s_delay_alu instid0(VALU_DEP_1)
	v_or3_b32 v122, v16, v58, v57
.LBB281_832:                            ;   in Loop: Header=BB281_10 Depth=1
	s_wait_alu 0xfffe
	s_or_b32 exec_lo, exec_lo, s20
.LBB281_833:                            ;   in Loop: Header=BB281_10 Depth=1
	s_wait_alu 0xfffe
	s_or_b32 exec_lo, exec_lo, s19
.LBB281_834:                            ;   in Loop: Header=BB281_10 Depth=1
	s_wait_alu 0xfffe
	s_or_b32 exec_lo, exec_lo, s4
	s_delay_alu instid0(SALU_CYCLE_1)
	s_mov_b32 s4, exec_lo
	v_cmpx_lt_u32_e32 0xffffff, v12
	s_cbranch_execz .LBB281_842
; %bb.835:                              ;   in Loop: Header=BB281_10 Depth=1
	v_lshrrev_b32_e32 v16, 24, v12
	v_bfrev_b32_e32 v121, 1
	s_mov_b32 s19, exec_lo
	s_delay_alu instid0(VALU_DEP_2)
	v_cmpx_ne_u32_e32 0x80, v16
	s_cbranch_execz .LBB281_841
; %bb.836:                              ;   in Loop: Header=BB281_10 Depth=1
	v_and_b32_e32 v58, 0x7f, v16
	v_mov_b32_e32 v121, 0x7c010000
	s_mov_b32 s20, exec_lo
	s_delay_alu instid0(VALU_DEP_2)
	v_cmpx_ne_u32_e32 0x7f, v58
	s_cbranch_execz .LBB281_840
; %bb.837:                              ;   in Loop: Header=BB281_10 Depth=1
	v_and_b32_e32 v12, 7, v16
	v_lshrrev_b32_e32 v57, 3, v58
	s_mov_b32 s21, exec_lo
	v_cmpx_gt_u32_e32 8, v58
; %bb.838:                              ;   in Loop: Header=BB281_10 Depth=1
	s_delay_alu instid0(VALU_DEP_3) | instskip(NEXT) | instid1(VALU_DEP_1)
	v_clz_i32_u32_e32 v12, v12
	v_min_u32_e32 v12, 32, v12
	s_delay_alu instid0(VALU_DEP_1) | instskip(NEXT) | instid1(VALU_DEP_1)
	v_subrev_nc_u32_e32 v57, 28, v12
	v_lshlrev_b64_e32 v[58:59], v57, v[16:17]
	v_sub_nc_u32_e32 v57, 29, v12
	s_delay_alu instid0(VALU_DEP_2)
	v_and_b32_e32 v12, 7, v58
; %bb.839:                              ;   in Loop: Header=BB281_10 Depth=1
	s_wait_alu 0xfffe
	s_or_b32 exec_lo, exec_lo, s21
	v_lshlrev_b32_e32 v16, 8, v16
	v_lshl_add_u32 v57, v57, 10, 0x2000
	v_lshlrev_b32_e32 v12, 23, v12
	s_delay_alu instid0(VALU_DEP_2) | instskip(NEXT) | instid1(VALU_DEP_1)
	v_and_or_b32 v16, 0x8000, v16, v57
	v_lshl_or_b32 v121, v16, 16, v12
.LBB281_840:                            ;   in Loop: Header=BB281_10 Depth=1
	s_wait_alu 0xfffe
	s_or_b32 exec_lo, exec_lo, s20
.LBB281_841:                            ;   in Loop: Header=BB281_10 Depth=1
	s_wait_alu 0xfffe
	s_or_b32 exec_lo, exec_lo, s19
.LBB281_842:                            ;   in Loop: Header=BB281_10 Depth=1
	s_wait_alu 0xfffe
	s_or_b32 exec_lo, exec_lo, s4
	flat_load_b32 v12, v[20:21] offset:3328
	v_mov_b32_e32 v92, 0
	s_mov_b32 s4, exec_lo
	s_wait_loadcnt_dscnt 0x0
	v_dual_mov_b32 v91, 0 :: v_dual_and_b32 v16, 0xff, v12
	s_delay_alu instid0(VALU_DEP_1)
	v_cmpx_ne_u16_e32 0, v16
	s_cbranch_execz .LBB281_850
; %bb.843:                              ;   in Loop: Header=BB281_10 Depth=1
	v_mov_b32_e32 v92, 0x8000
	s_mov_b32 s19, exec_lo
	v_cmpx_ne_u16_e32 0x80, v16
	s_cbranch_execz .LBB281_849
; %bb.844:                              ;   in Loop: Header=BB281_10 Depth=1
	v_and_b32_e32 v58, 0x7f, v12
	v_mov_b32_e32 v92, 0x7c01
	s_mov_b32 s20, exec_lo
	s_delay_alu instid0(VALU_DEP_2)
	v_cmpx_ne_u32_e32 0x7f, v58
	s_cbranch_execz .LBB281_848
; %bb.845:                              ;   in Loop: Header=BB281_10 Depth=1
	v_and_b32_e32 v16, 7, v12
	v_lshrrev_b32_e32 v57, 3, v58
	s_mov_b32 s21, exec_lo
	v_cmpx_gt_u32_e32 8, v58
; %bb.846:                              ;   in Loop: Header=BB281_10 Depth=1
	s_delay_alu instid0(VALU_DEP_3) | instskip(NEXT) | instid1(VALU_DEP_1)
	v_clz_i32_u32_e32 v16, v16
	v_min_u32_e32 v16, 32, v16
	s_delay_alu instid0(VALU_DEP_1) | instskip(NEXT) | instid1(VALU_DEP_1)
	v_subrev_nc_u32_e32 v57, 28, v16
	v_lshlrev_b64_e32 v[58:59], v57, v[12:13]
	v_sub_nc_u32_e32 v57, 29, v16
	s_delay_alu instid0(VALU_DEP_2)
	v_and_b32_e32 v16, 7, v58
; %bb.847:                              ;   in Loop: Header=BB281_10 Depth=1
	s_wait_alu 0xfffe
	s_or_b32 exec_lo, exec_lo, s21
	v_lshlrev_b32_e32 v58, 8, v12
	v_lshl_add_u32 v57, v57, 10, 0x2000
	v_lshlrev_b32_e32 v16, 7, v16
	s_delay_alu instid0(VALU_DEP_3) | instskip(NEXT) | instid1(VALU_DEP_3)
	v_and_b32_e32 v58, 0x8000, v58
	v_and_b32_e32 v57, 0xfc00, v57
	s_delay_alu instid0(VALU_DEP_1)
	v_or3_b32 v92, v58, v57, v16
.LBB281_848:                            ;   in Loop: Header=BB281_10 Depth=1
	s_wait_alu 0xfffe
	s_or_b32 exec_lo, exec_lo, s20
.LBB281_849:                            ;   in Loop: Header=BB281_10 Depth=1
	s_wait_alu 0xfffe
	s_or_b32 exec_lo, exec_lo, s19
.LBB281_850:                            ;   in Loop: Header=BB281_10 Depth=1
	s_wait_alu 0xfffe
	s_or_b32 exec_lo, exec_lo, s4
	v_lshrrev_b16 v16, 8, v12
	s_mov_b32 s4, exec_lo
	s_delay_alu instid0(VALU_DEP_1)
	v_cmpx_ne_u16_e32 0, v16
	s_cbranch_execz .LBB281_858
; %bb.851:                              ;   in Loop: Header=BB281_10 Depth=1
	v_bfrev_b32_e32 v91, 1
	s_mov_b32 s19, exec_lo
	v_cmpx_ne_u16_e32 0x80, v16
	s_cbranch_execz .LBB281_857
; %bb.852:                              ;   in Loop: Header=BB281_10 Depth=1
	v_and_b32_e32 v57, 0xffff, v16
	v_mov_b32_e32 v91, 0x7c010000
	s_mov_b32 s20, exec_lo
	s_delay_alu instid0(VALU_DEP_2) | instskip(NEXT) | instid1(VALU_DEP_1)
	v_and_b32_e32 v60, 0x7f, v57
	v_cmpx_ne_u32_e32 0x7f, v60
	s_cbranch_execz .LBB281_856
; %bb.853:                              ;   in Loop: Header=BB281_10 Depth=1
	v_and_b32_e32 v58, 7, v57
	v_lshrrev_b32_e32 v59, 3, v60
	s_mov_b32 s21, exec_lo
	v_cmpx_gt_u32_e32 8, v60
; %bb.854:                              ;   in Loop: Header=BB281_10 Depth=1
	s_delay_alu instid0(VALU_DEP_3) | instskip(NEXT) | instid1(VALU_DEP_1)
	v_clz_i32_u32_e32 v58, v58
	v_min_u32_e32 v60, 32, v58
	s_delay_alu instid0(VALU_DEP_1) | instskip(NEXT) | instid1(VALU_DEP_1)
	v_subrev_nc_u32_e32 v58, 28, v60
	v_lshlrev_b64_e32 v[58:59], v58, v[16:17]
	v_sub_nc_u32_e32 v59, 29, v60
	s_delay_alu instid0(VALU_DEP_2)
	v_and_b32_e32 v58, 7, v58
; %bb.855:                              ;   in Loop: Header=BB281_10 Depth=1
	s_wait_alu 0xfffe
	s_or_b32 exec_lo, exec_lo, s21
	v_lshlrev_b32_e32 v16, 8, v57
	v_lshl_add_u32 v57, v59, 10, 0x2000
	s_delay_alu instid0(VALU_DEP_1) | instskip(SKIP_1) | instid1(VALU_DEP_1)
	v_and_or_b32 v16, 0x8000, v16, v57
	v_lshlrev_b32_e32 v57, 23, v58
	v_lshl_or_b32 v91, v16, 16, v57
.LBB281_856:                            ;   in Loop: Header=BB281_10 Depth=1
	s_wait_alu 0xfffe
	s_or_b32 exec_lo, exec_lo, s20
.LBB281_857:                            ;   in Loop: Header=BB281_10 Depth=1
	s_wait_alu 0xfffe
	s_or_b32 exec_lo, exec_lo, s19
.LBB281_858:                            ;   in Loop: Header=BB281_10 Depth=1
	s_wait_alu 0xfffe
	s_or_b32 exec_lo, exec_lo, s4
	v_lshrrev_b32_e32 v16, 16, v12
	v_mov_b32_e32 v107, 0
	s_mov_b32 s4, exec_lo
	s_delay_alu instid0(VALU_DEP_2) | instskip(NEXT) | instid1(VALU_DEP_1)
	v_dual_mov_b32 v108, 0 :: v_dual_and_b32 v57, 0xff, v16
	v_cmpx_ne_u16_e32 0, v57
	s_cbranch_execz .LBB281_866
; %bb.859:                              ;   in Loop: Header=BB281_10 Depth=1
	v_mov_b32_e32 v108, 0x8000
	s_mov_b32 s19, exec_lo
	v_cmpx_ne_u16_e32 0x80, v57
	s_cbranch_execz .LBB281_865
; %bb.860:                              ;   in Loop: Header=BB281_10 Depth=1
	v_bfe_u32 v59, v12, 16, 7
	v_mov_b32_e32 v108, 0x7c01
	s_mov_b32 s20, exec_lo
	s_delay_alu instid0(VALU_DEP_2)
	v_cmpx_ne_u32_e32 0x7f, v59
	s_cbranch_execz .LBB281_864
; %bb.861:                              ;   in Loop: Header=BB281_10 Depth=1
	v_and_b32_e32 v57, 7, v16
	v_lshrrev_b32_e32 v58, 3, v59
	s_mov_b32 s21, exec_lo
	v_cmpx_gt_u32_e32 8, v59
; %bb.862:                              ;   in Loop: Header=BB281_10 Depth=1
	s_delay_alu instid0(VALU_DEP_3) | instskip(NEXT) | instid1(VALU_DEP_1)
	v_clz_i32_u32_e32 v57, v57
	v_min_u32_e32 v59, 32, v57
	s_delay_alu instid0(VALU_DEP_1) | instskip(NEXT) | instid1(VALU_DEP_1)
	v_subrev_nc_u32_e32 v57, 28, v59
	v_lshlrev_b64_e32 v[57:58], v57, v[16:17]
	v_sub_nc_u32_e32 v58, 29, v59
	s_delay_alu instid0(VALU_DEP_2)
	v_and_b32_e32 v57, 7, v57
; %bb.863:                              ;   in Loop: Header=BB281_10 Depth=1
	s_wait_alu 0xfffe
	s_or_b32 exec_lo, exec_lo, s21
	v_lshlrev_b32_e32 v16, 8, v16
	v_lshl_add_u32 v58, v58, 10, 0x2000
	v_lshlrev_b32_e32 v57, 7, v57
	s_delay_alu instid0(VALU_DEP_3) | instskip(NEXT) | instid1(VALU_DEP_3)
	v_and_b32_e32 v16, 0x8000, v16
	v_and_b32_e32 v58, 0xfc00, v58
	s_delay_alu instid0(VALU_DEP_1)
	v_or3_b32 v108, v16, v58, v57
.LBB281_864:                            ;   in Loop: Header=BB281_10 Depth=1
	s_wait_alu 0xfffe
	s_or_b32 exec_lo, exec_lo, s20
.LBB281_865:                            ;   in Loop: Header=BB281_10 Depth=1
	s_wait_alu 0xfffe
	s_or_b32 exec_lo, exec_lo, s19
.LBB281_866:                            ;   in Loop: Header=BB281_10 Depth=1
	s_wait_alu 0xfffe
	s_or_b32 exec_lo, exec_lo, s4
	s_delay_alu instid0(SALU_CYCLE_1)
	s_mov_b32 s4, exec_lo
	v_cmpx_lt_u32_e32 0xffffff, v12
	s_cbranch_execz .LBB281_874
; %bb.867:                              ;   in Loop: Header=BB281_10 Depth=1
	v_lshrrev_b32_e32 v16, 24, v12
	v_bfrev_b32_e32 v107, 1
	s_mov_b32 s19, exec_lo
	s_delay_alu instid0(VALU_DEP_2)
	v_cmpx_ne_u32_e32 0x80, v16
	s_cbranch_execz .LBB281_873
; %bb.868:                              ;   in Loop: Header=BB281_10 Depth=1
	v_and_b32_e32 v58, 0x7f, v16
	v_mov_b32_e32 v107, 0x7c010000
	s_mov_b32 s20, exec_lo
	s_delay_alu instid0(VALU_DEP_2)
	v_cmpx_ne_u32_e32 0x7f, v58
	s_cbranch_execz .LBB281_872
; %bb.869:                              ;   in Loop: Header=BB281_10 Depth=1
	v_and_b32_e32 v12, 7, v16
	v_lshrrev_b32_e32 v57, 3, v58
	s_mov_b32 s21, exec_lo
	v_cmpx_gt_u32_e32 8, v58
; %bb.870:                              ;   in Loop: Header=BB281_10 Depth=1
	s_delay_alu instid0(VALU_DEP_3) | instskip(NEXT) | instid1(VALU_DEP_1)
	v_clz_i32_u32_e32 v12, v12
	v_min_u32_e32 v12, 32, v12
	s_delay_alu instid0(VALU_DEP_1) | instskip(NEXT) | instid1(VALU_DEP_1)
	v_subrev_nc_u32_e32 v57, 28, v12
	v_lshlrev_b64_e32 v[58:59], v57, v[16:17]
	v_sub_nc_u32_e32 v57, 29, v12
	s_delay_alu instid0(VALU_DEP_2)
	v_and_b32_e32 v12, 7, v58
; %bb.871:                              ;   in Loop: Header=BB281_10 Depth=1
	s_wait_alu 0xfffe
	s_or_b32 exec_lo, exec_lo, s21
	v_lshlrev_b32_e32 v16, 8, v16
	v_lshl_add_u32 v57, v57, 10, 0x2000
	v_lshlrev_b32_e32 v12, 23, v12
	s_delay_alu instid0(VALU_DEP_2) | instskip(NEXT) | instid1(VALU_DEP_1)
	v_and_or_b32 v16, 0x8000, v16, v57
	v_lshl_or_b32 v107, v16, 16, v12
.LBB281_872:                            ;   in Loop: Header=BB281_10 Depth=1
	s_wait_alu 0xfffe
	s_or_b32 exec_lo, exec_lo, s20
.LBB281_873:                            ;   in Loop: Header=BB281_10 Depth=1
	s_wait_alu 0xfffe
	s_or_b32 exec_lo, exec_lo, s19
.LBB281_874:                            ;   in Loop: Header=BB281_10 Depth=1
	s_wait_alu 0xfffe
	s_or_b32 exec_lo, exec_lo, s4
	flat_load_b32 v12, v[20:21] offset:3336
	v_mov_b32_e32 v78, 0
	s_mov_b32 s4, exec_lo
	s_wait_loadcnt_dscnt 0x0
	v_dual_mov_b32 v77, 0 :: v_dual_and_b32 v16, 0xff, v12
	s_delay_alu instid0(VALU_DEP_1)
	v_cmpx_ne_u16_e32 0, v16
	s_cbranch_execz .LBB281_882
; %bb.875:                              ;   in Loop: Header=BB281_10 Depth=1
	v_mov_b32_e32 v78, 0x8000
	s_mov_b32 s19, exec_lo
	v_cmpx_ne_u16_e32 0x80, v16
	s_cbranch_execz .LBB281_881
; %bb.876:                              ;   in Loop: Header=BB281_10 Depth=1
	v_and_b32_e32 v58, 0x7f, v12
	v_mov_b32_e32 v78, 0x7c01
	s_mov_b32 s20, exec_lo
	s_delay_alu instid0(VALU_DEP_2)
	v_cmpx_ne_u32_e32 0x7f, v58
	s_cbranch_execz .LBB281_880
; %bb.877:                              ;   in Loop: Header=BB281_10 Depth=1
	v_and_b32_e32 v16, 7, v12
	v_lshrrev_b32_e32 v57, 3, v58
	s_mov_b32 s21, exec_lo
	v_cmpx_gt_u32_e32 8, v58
; %bb.878:                              ;   in Loop: Header=BB281_10 Depth=1
	s_delay_alu instid0(VALU_DEP_3) | instskip(NEXT) | instid1(VALU_DEP_1)
	v_clz_i32_u32_e32 v16, v16
	v_min_u32_e32 v16, 32, v16
	s_delay_alu instid0(VALU_DEP_1) | instskip(NEXT) | instid1(VALU_DEP_1)
	v_subrev_nc_u32_e32 v57, 28, v16
	v_lshlrev_b64_e32 v[58:59], v57, v[12:13]
	v_sub_nc_u32_e32 v57, 29, v16
	s_delay_alu instid0(VALU_DEP_2)
	v_and_b32_e32 v16, 7, v58
; %bb.879:                              ;   in Loop: Header=BB281_10 Depth=1
	s_wait_alu 0xfffe
	s_or_b32 exec_lo, exec_lo, s21
	v_lshlrev_b32_e32 v58, 8, v12
	v_lshl_add_u32 v57, v57, 10, 0x2000
	v_lshlrev_b32_e32 v16, 7, v16
	s_delay_alu instid0(VALU_DEP_3) | instskip(NEXT) | instid1(VALU_DEP_3)
	v_and_b32_e32 v58, 0x8000, v58
	v_and_b32_e32 v57, 0xfc00, v57
	s_delay_alu instid0(VALU_DEP_1)
	v_or3_b32 v78, v58, v57, v16
.LBB281_880:                            ;   in Loop: Header=BB281_10 Depth=1
	s_wait_alu 0xfffe
	s_or_b32 exec_lo, exec_lo, s20
.LBB281_881:                            ;   in Loop: Header=BB281_10 Depth=1
	s_wait_alu 0xfffe
	s_or_b32 exec_lo, exec_lo, s19
.LBB281_882:                            ;   in Loop: Header=BB281_10 Depth=1
	s_wait_alu 0xfffe
	s_or_b32 exec_lo, exec_lo, s4
	v_lshrrev_b16 v16, 8, v12
	s_mov_b32 s4, exec_lo
	s_delay_alu instid0(VALU_DEP_1)
	v_cmpx_ne_u16_e32 0, v16
	s_cbranch_execz .LBB281_890
; %bb.883:                              ;   in Loop: Header=BB281_10 Depth=1
	v_bfrev_b32_e32 v77, 1
	s_mov_b32 s19, exec_lo
	v_cmpx_ne_u16_e32 0x80, v16
	s_cbranch_execz .LBB281_889
; %bb.884:                              ;   in Loop: Header=BB281_10 Depth=1
	v_and_b32_e32 v57, 0xffff, v16
	v_mov_b32_e32 v77, 0x7c010000
	s_mov_b32 s20, exec_lo
	s_delay_alu instid0(VALU_DEP_2) | instskip(NEXT) | instid1(VALU_DEP_1)
	v_and_b32_e32 v60, 0x7f, v57
	v_cmpx_ne_u32_e32 0x7f, v60
	s_cbranch_execz .LBB281_888
; %bb.885:                              ;   in Loop: Header=BB281_10 Depth=1
	v_and_b32_e32 v58, 7, v57
	v_lshrrev_b32_e32 v59, 3, v60
	s_mov_b32 s21, exec_lo
	v_cmpx_gt_u32_e32 8, v60
; %bb.886:                              ;   in Loop: Header=BB281_10 Depth=1
	s_delay_alu instid0(VALU_DEP_3) | instskip(NEXT) | instid1(VALU_DEP_1)
	v_clz_i32_u32_e32 v58, v58
	v_min_u32_e32 v60, 32, v58
	s_delay_alu instid0(VALU_DEP_1) | instskip(NEXT) | instid1(VALU_DEP_1)
	v_subrev_nc_u32_e32 v58, 28, v60
	v_lshlrev_b64_e32 v[58:59], v58, v[16:17]
	v_sub_nc_u32_e32 v59, 29, v60
	s_delay_alu instid0(VALU_DEP_2)
	v_and_b32_e32 v58, 7, v58
; %bb.887:                              ;   in Loop: Header=BB281_10 Depth=1
	s_wait_alu 0xfffe
	s_or_b32 exec_lo, exec_lo, s21
	v_lshlrev_b32_e32 v16, 8, v57
	v_lshl_add_u32 v57, v59, 10, 0x2000
	s_delay_alu instid0(VALU_DEP_1) | instskip(SKIP_1) | instid1(VALU_DEP_1)
	v_and_or_b32 v16, 0x8000, v16, v57
	v_lshlrev_b32_e32 v57, 23, v58
	v_lshl_or_b32 v77, v16, 16, v57
.LBB281_888:                            ;   in Loop: Header=BB281_10 Depth=1
	s_wait_alu 0xfffe
	s_or_b32 exec_lo, exec_lo, s20
.LBB281_889:                            ;   in Loop: Header=BB281_10 Depth=1
	s_wait_alu 0xfffe
	s_or_b32 exec_lo, exec_lo, s19
.LBB281_890:                            ;   in Loop: Header=BB281_10 Depth=1
	s_wait_alu 0xfffe
	s_or_b32 exec_lo, exec_lo, s4
	v_lshrrev_b32_e32 v16, 16, v12
	v_mov_b32_e32 v93, 0
	s_mov_b32 s4, exec_lo
	s_delay_alu instid0(VALU_DEP_2) | instskip(NEXT) | instid1(VALU_DEP_1)
	v_dual_mov_b32 v94, 0 :: v_dual_and_b32 v57, 0xff, v16
	v_cmpx_ne_u16_e32 0, v57
	s_cbranch_execz .LBB281_898
; %bb.891:                              ;   in Loop: Header=BB281_10 Depth=1
	v_mov_b32_e32 v94, 0x8000
	s_mov_b32 s19, exec_lo
	v_cmpx_ne_u16_e32 0x80, v57
	s_cbranch_execz .LBB281_897
; %bb.892:                              ;   in Loop: Header=BB281_10 Depth=1
	v_bfe_u32 v59, v12, 16, 7
	v_mov_b32_e32 v94, 0x7c01
	s_mov_b32 s20, exec_lo
	s_delay_alu instid0(VALU_DEP_2)
	v_cmpx_ne_u32_e32 0x7f, v59
	s_cbranch_execz .LBB281_896
; %bb.893:                              ;   in Loop: Header=BB281_10 Depth=1
	v_and_b32_e32 v57, 7, v16
	v_lshrrev_b32_e32 v58, 3, v59
	s_mov_b32 s21, exec_lo
	v_cmpx_gt_u32_e32 8, v59
; %bb.894:                              ;   in Loop: Header=BB281_10 Depth=1
	s_delay_alu instid0(VALU_DEP_3) | instskip(NEXT) | instid1(VALU_DEP_1)
	v_clz_i32_u32_e32 v57, v57
	v_min_u32_e32 v59, 32, v57
	s_delay_alu instid0(VALU_DEP_1) | instskip(NEXT) | instid1(VALU_DEP_1)
	v_subrev_nc_u32_e32 v57, 28, v59
	v_lshlrev_b64_e32 v[57:58], v57, v[16:17]
	v_sub_nc_u32_e32 v58, 29, v59
	s_delay_alu instid0(VALU_DEP_2)
	v_and_b32_e32 v57, 7, v57
; %bb.895:                              ;   in Loop: Header=BB281_10 Depth=1
	s_wait_alu 0xfffe
	s_or_b32 exec_lo, exec_lo, s21
	v_lshlrev_b32_e32 v16, 8, v16
	v_lshl_add_u32 v58, v58, 10, 0x2000
	v_lshlrev_b32_e32 v57, 7, v57
	s_delay_alu instid0(VALU_DEP_3) | instskip(NEXT) | instid1(VALU_DEP_3)
	v_and_b32_e32 v16, 0x8000, v16
	v_and_b32_e32 v58, 0xfc00, v58
	s_delay_alu instid0(VALU_DEP_1)
	v_or3_b32 v94, v16, v58, v57
.LBB281_896:                            ;   in Loop: Header=BB281_10 Depth=1
	s_wait_alu 0xfffe
	s_or_b32 exec_lo, exec_lo, s20
.LBB281_897:                            ;   in Loop: Header=BB281_10 Depth=1
	s_wait_alu 0xfffe
	s_or_b32 exec_lo, exec_lo, s19
.LBB281_898:                            ;   in Loop: Header=BB281_10 Depth=1
	s_wait_alu 0xfffe
	s_or_b32 exec_lo, exec_lo, s4
	s_delay_alu instid0(SALU_CYCLE_1)
	s_mov_b32 s4, exec_lo
	v_cmpx_lt_u32_e32 0xffffff, v12
	s_cbranch_execz .LBB281_906
; %bb.899:                              ;   in Loop: Header=BB281_10 Depth=1
	v_lshrrev_b32_e32 v16, 24, v12
	v_bfrev_b32_e32 v93, 1
	s_mov_b32 s19, exec_lo
	s_delay_alu instid0(VALU_DEP_2)
	v_cmpx_ne_u32_e32 0x80, v16
	s_cbranch_execz .LBB281_905
; %bb.900:                              ;   in Loop: Header=BB281_10 Depth=1
	v_and_b32_e32 v58, 0x7f, v16
	v_mov_b32_e32 v93, 0x7c010000
	s_mov_b32 s20, exec_lo
	s_delay_alu instid0(VALU_DEP_2)
	v_cmpx_ne_u32_e32 0x7f, v58
	s_cbranch_execz .LBB281_904
; %bb.901:                              ;   in Loop: Header=BB281_10 Depth=1
	v_and_b32_e32 v12, 7, v16
	v_lshrrev_b32_e32 v57, 3, v58
	s_mov_b32 s21, exec_lo
	v_cmpx_gt_u32_e32 8, v58
; %bb.902:                              ;   in Loop: Header=BB281_10 Depth=1
	s_delay_alu instid0(VALU_DEP_3) | instskip(NEXT) | instid1(VALU_DEP_1)
	v_clz_i32_u32_e32 v12, v12
	v_min_u32_e32 v12, 32, v12
	s_delay_alu instid0(VALU_DEP_1) | instskip(NEXT) | instid1(VALU_DEP_1)
	v_subrev_nc_u32_e32 v57, 28, v12
	v_lshlrev_b64_e32 v[58:59], v57, v[16:17]
	v_sub_nc_u32_e32 v57, 29, v12
	s_delay_alu instid0(VALU_DEP_2)
	v_and_b32_e32 v12, 7, v58
; %bb.903:                              ;   in Loop: Header=BB281_10 Depth=1
	s_wait_alu 0xfffe
	s_or_b32 exec_lo, exec_lo, s21
	v_lshlrev_b32_e32 v16, 8, v16
	v_lshl_add_u32 v57, v57, 10, 0x2000
	v_lshlrev_b32_e32 v12, 23, v12
	s_delay_alu instid0(VALU_DEP_2) | instskip(NEXT) | instid1(VALU_DEP_1)
	v_and_or_b32 v16, 0x8000, v16, v57
	v_lshl_or_b32 v93, v16, 16, v12
.LBB281_904:                            ;   in Loop: Header=BB281_10 Depth=1
	s_wait_alu 0xfffe
	s_or_b32 exec_lo, exec_lo, s20
.LBB281_905:                            ;   in Loop: Header=BB281_10 Depth=1
	s_wait_alu 0xfffe
	s_or_b32 exec_lo, exec_lo, s19
.LBB281_906:                            ;   in Loop: Header=BB281_10 Depth=1
	s_wait_alu 0xfffe
	s_or_b32 exec_lo, exec_lo, s4
	flat_load_b32 v12, v[20:21] offset:3584
	v_mov_b32_e32 v72, 0
	s_mov_b32 s4, exec_lo
	s_wait_loadcnt_dscnt 0x0
	v_dual_mov_b32 v63, 0 :: v_dual_and_b32 v16, 0xff, v12
	s_delay_alu instid0(VALU_DEP_1)
	v_cmpx_ne_u16_e32 0, v16
	s_cbranch_execz .LBB281_914
; %bb.907:                              ;   in Loop: Header=BB281_10 Depth=1
	v_mov_b32_e32 v72, 0x8000
	s_mov_b32 s19, exec_lo
	v_cmpx_ne_u16_e32 0x80, v16
	s_cbranch_execz .LBB281_913
; %bb.908:                              ;   in Loop: Header=BB281_10 Depth=1
	v_and_b32_e32 v58, 0x7f, v12
	v_mov_b32_e32 v72, 0x7c01
	s_mov_b32 s20, exec_lo
	s_delay_alu instid0(VALU_DEP_2)
	v_cmpx_ne_u32_e32 0x7f, v58
	s_cbranch_execz .LBB281_912
; %bb.909:                              ;   in Loop: Header=BB281_10 Depth=1
	v_and_b32_e32 v16, 7, v12
	v_lshrrev_b32_e32 v57, 3, v58
	s_mov_b32 s21, exec_lo
	v_cmpx_gt_u32_e32 8, v58
; %bb.910:                              ;   in Loop: Header=BB281_10 Depth=1
	s_delay_alu instid0(VALU_DEP_3) | instskip(NEXT) | instid1(VALU_DEP_1)
	v_clz_i32_u32_e32 v16, v16
	v_min_u32_e32 v16, 32, v16
	s_delay_alu instid0(VALU_DEP_1) | instskip(NEXT) | instid1(VALU_DEP_1)
	v_subrev_nc_u32_e32 v57, 28, v16
	v_lshlrev_b64_e32 v[58:59], v57, v[12:13]
	v_sub_nc_u32_e32 v57, 29, v16
	s_delay_alu instid0(VALU_DEP_2)
	v_and_b32_e32 v16, 7, v58
; %bb.911:                              ;   in Loop: Header=BB281_10 Depth=1
	s_wait_alu 0xfffe
	s_or_b32 exec_lo, exec_lo, s21
	v_lshlrev_b32_e32 v58, 8, v12
	v_lshl_add_u32 v57, v57, 10, 0x2000
	v_lshlrev_b32_e32 v16, 7, v16
	s_delay_alu instid0(VALU_DEP_3) | instskip(NEXT) | instid1(VALU_DEP_3)
	v_and_b32_e32 v58, 0x8000, v58
	v_and_b32_e32 v57, 0xfc00, v57
	s_delay_alu instid0(VALU_DEP_1)
	v_or3_b32 v72, v58, v57, v16
.LBB281_912:                            ;   in Loop: Header=BB281_10 Depth=1
	s_wait_alu 0xfffe
	s_or_b32 exec_lo, exec_lo, s20
.LBB281_913:                            ;   in Loop: Header=BB281_10 Depth=1
	s_wait_alu 0xfffe
	s_or_b32 exec_lo, exec_lo, s19
.LBB281_914:                            ;   in Loop: Header=BB281_10 Depth=1
	s_wait_alu 0xfffe
	s_or_b32 exec_lo, exec_lo, s4
	v_lshrrev_b16 v16, 8, v12
	s_mov_b32 s4, exec_lo
	s_delay_alu instid0(VALU_DEP_1)
	v_cmpx_ne_u16_e32 0, v16
	s_cbranch_execz .LBB281_922
; %bb.915:                              ;   in Loop: Header=BB281_10 Depth=1
	v_bfrev_b32_e32 v63, 1
	s_mov_b32 s19, exec_lo
	v_cmpx_ne_u16_e32 0x80, v16
	s_cbranch_execz .LBB281_921
; %bb.916:                              ;   in Loop: Header=BB281_10 Depth=1
	v_and_b32_e32 v57, 0xffff, v16
	v_mov_b32_e32 v63, 0x7c010000
	s_mov_b32 s20, exec_lo
	s_delay_alu instid0(VALU_DEP_2) | instskip(NEXT) | instid1(VALU_DEP_1)
	v_and_b32_e32 v60, 0x7f, v57
	v_cmpx_ne_u32_e32 0x7f, v60
	s_cbranch_execz .LBB281_920
; %bb.917:                              ;   in Loop: Header=BB281_10 Depth=1
	v_and_b32_e32 v58, 7, v57
	v_lshrrev_b32_e32 v59, 3, v60
	s_mov_b32 s21, exec_lo
	v_cmpx_gt_u32_e32 8, v60
; %bb.918:                              ;   in Loop: Header=BB281_10 Depth=1
	s_delay_alu instid0(VALU_DEP_3) | instskip(NEXT) | instid1(VALU_DEP_1)
	v_clz_i32_u32_e32 v58, v58
	v_min_u32_e32 v60, 32, v58
	s_delay_alu instid0(VALU_DEP_1) | instskip(NEXT) | instid1(VALU_DEP_1)
	v_subrev_nc_u32_e32 v58, 28, v60
	v_lshlrev_b64_e32 v[58:59], v58, v[16:17]
	v_sub_nc_u32_e32 v59, 29, v60
	s_delay_alu instid0(VALU_DEP_2)
	v_and_b32_e32 v58, 7, v58
; %bb.919:                              ;   in Loop: Header=BB281_10 Depth=1
	s_wait_alu 0xfffe
	s_or_b32 exec_lo, exec_lo, s21
	v_lshlrev_b32_e32 v16, 8, v57
	v_lshl_add_u32 v57, v59, 10, 0x2000
	s_delay_alu instid0(VALU_DEP_1) | instskip(SKIP_1) | instid1(VALU_DEP_1)
	v_and_or_b32 v16, 0x8000, v16, v57
	v_lshlrev_b32_e32 v57, 23, v58
	v_lshl_or_b32 v63, v16, 16, v57
.LBB281_920:                            ;   in Loop: Header=BB281_10 Depth=1
	s_wait_alu 0xfffe
	s_or_b32 exec_lo, exec_lo, s20
.LBB281_921:                            ;   in Loop: Header=BB281_10 Depth=1
	s_wait_alu 0xfffe
	s_or_b32 exec_lo, exec_lo, s19
.LBB281_922:                            ;   in Loop: Header=BB281_10 Depth=1
	s_wait_alu 0xfffe
	s_or_b32 exec_lo, exec_lo, s4
	v_lshrrev_b32_e32 v16, 16, v12
	v_mov_b32_e32 v79, 0
	s_mov_b32 s4, exec_lo
	s_delay_alu instid0(VALU_DEP_2) | instskip(NEXT) | instid1(VALU_DEP_1)
	v_dual_mov_b32 v88, 0 :: v_dual_and_b32 v57, 0xff, v16
	v_cmpx_ne_u16_e32 0, v57
	s_cbranch_execz .LBB281_930
; %bb.923:                              ;   in Loop: Header=BB281_10 Depth=1
	v_mov_b32_e32 v88, 0x8000
	s_mov_b32 s19, exec_lo
	v_cmpx_ne_u16_e32 0x80, v57
	s_cbranch_execz .LBB281_929
; %bb.924:                              ;   in Loop: Header=BB281_10 Depth=1
	v_bfe_u32 v59, v12, 16, 7
	v_mov_b32_e32 v88, 0x7c01
	s_mov_b32 s20, exec_lo
	s_delay_alu instid0(VALU_DEP_2)
	v_cmpx_ne_u32_e32 0x7f, v59
	s_cbranch_execz .LBB281_928
; %bb.925:                              ;   in Loop: Header=BB281_10 Depth=1
	v_and_b32_e32 v57, 7, v16
	v_lshrrev_b32_e32 v58, 3, v59
	s_mov_b32 s21, exec_lo
	v_cmpx_gt_u32_e32 8, v59
; %bb.926:                              ;   in Loop: Header=BB281_10 Depth=1
	s_delay_alu instid0(VALU_DEP_3) | instskip(NEXT) | instid1(VALU_DEP_1)
	v_clz_i32_u32_e32 v57, v57
	v_min_u32_e32 v59, 32, v57
	s_delay_alu instid0(VALU_DEP_1) | instskip(NEXT) | instid1(VALU_DEP_1)
	v_subrev_nc_u32_e32 v57, 28, v59
	v_lshlrev_b64_e32 v[57:58], v57, v[16:17]
	v_sub_nc_u32_e32 v58, 29, v59
	s_delay_alu instid0(VALU_DEP_2)
	v_and_b32_e32 v57, 7, v57
; %bb.927:                              ;   in Loop: Header=BB281_10 Depth=1
	s_wait_alu 0xfffe
	s_or_b32 exec_lo, exec_lo, s21
	v_lshlrev_b32_e32 v16, 8, v16
	v_lshl_add_u32 v58, v58, 10, 0x2000
	v_lshlrev_b32_e32 v57, 7, v57
	s_delay_alu instid0(VALU_DEP_3) | instskip(NEXT) | instid1(VALU_DEP_3)
	v_and_b32_e32 v16, 0x8000, v16
	v_and_b32_e32 v58, 0xfc00, v58
	s_delay_alu instid0(VALU_DEP_1)
	v_or3_b32 v88, v16, v58, v57
.LBB281_928:                            ;   in Loop: Header=BB281_10 Depth=1
	s_wait_alu 0xfffe
	s_or_b32 exec_lo, exec_lo, s20
.LBB281_929:                            ;   in Loop: Header=BB281_10 Depth=1
	s_wait_alu 0xfffe
	s_or_b32 exec_lo, exec_lo, s19
.LBB281_930:                            ;   in Loop: Header=BB281_10 Depth=1
	s_wait_alu 0xfffe
	s_or_b32 exec_lo, exec_lo, s4
	s_delay_alu instid0(SALU_CYCLE_1)
	s_mov_b32 s4, exec_lo
	v_cmpx_lt_u32_e32 0xffffff, v12
	s_cbranch_execz .LBB281_938
; %bb.931:                              ;   in Loop: Header=BB281_10 Depth=1
	v_lshrrev_b32_e32 v16, 24, v12
	v_bfrev_b32_e32 v79, 1
	s_mov_b32 s19, exec_lo
	s_delay_alu instid0(VALU_DEP_2)
	v_cmpx_ne_u32_e32 0x80, v16
	s_cbranch_execz .LBB281_937
; %bb.932:                              ;   in Loop: Header=BB281_10 Depth=1
	v_and_b32_e32 v58, 0x7f, v16
	v_mov_b32_e32 v79, 0x7c010000
	s_mov_b32 s20, exec_lo
	s_delay_alu instid0(VALU_DEP_2)
	v_cmpx_ne_u32_e32 0x7f, v58
	s_cbranch_execz .LBB281_936
; %bb.933:                              ;   in Loop: Header=BB281_10 Depth=1
	v_and_b32_e32 v12, 7, v16
	v_lshrrev_b32_e32 v57, 3, v58
	s_mov_b32 s21, exec_lo
	v_cmpx_gt_u32_e32 8, v58
; %bb.934:                              ;   in Loop: Header=BB281_10 Depth=1
	s_delay_alu instid0(VALU_DEP_3) | instskip(NEXT) | instid1(VALU_DEP_1)
	v_clz_i32_u32_e32 v12, v12
	v_min_u32_e32 v12, 32, v12
	s_delay_alu instid0(VALU_DEP_1) | instskip(NEXT) | instid1(VALU_DEP_1)
	v_subrev_nc_u32_e32 v57, 28, v12
	v_lshlrev_b64_e32 v[58:59], v57, v[16:17]
	v_sub_nc_u32_e32 v57, 29, v12
	s_delay_alu instid0(VALU_DEP_2)
	v_and_b32_e32 v12, 7, v58
; %bb.935:                              ;   in Loop: Header=BB281_10 Depth=1
	s_wait_alu 0xfffe
	s_or_b32 exec_lo, exec_lo, s21
	v_lshlrev_b32_e32 v16, 8, v16
	v_lshl_add_u32 v57, v57, 10, 0x2000
	v_lshlrev_b32_e32 v12, 23, v12
	s_delay_alu instid0(VALU_DEP_2) | instskip(NEXT) | instid1(VALU_DEP_1)
	v_and_or_b32 v16, 0x8000, v16, v57
	v_lshl_or_b32 v79, v16, 16, v12
.LBB281_936:                            ;   in Loop: Header=BB281_10 Depth=1
	s_wait_alu 0xfffe
	s_or_b32 exec_lo, exec_lo, s20
.LBB281_937:                            ;   in Loop: Header=BB281_10 Depth=1
	s_wait_alu 0xfffe
	s_or_b32 exec_lo, exec_lo, s19
.LBB281_938:                            ;   in Loop: Header=BB281_10 Depth=1
	s_wait_alu 0xfffe
	s_or_b32 exec_lo, exec_lo, s4
	flat_load_b32 v12, v[20:21] offset:3592
	v_mov_b32_e32 v58, 0
	s_mov_b32 s4, exec_lo
	s_wait_loadcnt_dscnt 0x0
	v_dual_mov_b32 v57, 0 :: v_dual_and_b32 v16, 0xff, v12
	s_delay_alu instid0(VALU_DEP_1)
	v_cmpx_ne_u16_e32 0, v16
	s_cbranch_execz .LBB281_946
; %bb.939:                              ;   in Loop: Header=BB281_10 Depth=1
	v_mov_b32_e32 v58, 0x8000
	s_mov_b32 s19, exec_lo
	v_cmpx_ne_u16_e32 0x80, v16
	s_cbranch_execz .LBB281_945
; %bb.940:                              ;   in Loop: Header=BB281_10 Depth=1
	v_and_b32_e32 v59, 0x7f, v12
	v_mov_b32_e32 v58, 0x7c01
	s_mov_b32 s20, exec_lo
	s_delay_alu instid0(VALU_DEP_2)
	v_cmpx_ne_u32_e32 0x7f, v59
	s_cbranch_execz .LBB281_944
; %bb.941:                              ;   in Loop: Header=BB281_10 Depth=1
	v_and_b32_e32 v16, 7, v12
	v_lshrrev_b32_e32 v58, 3, v59
	s_mov_b32 s21, exec_lo
	v_cmpx_gt_u32_e32 8, v59
; %bb.942:                              ;   in Loop: Header=BB281_10 Depth=1
	s_delay_alu instid0(VALU_DEP_3) | instskip(NEXT) | instid1(VALU_DEP_1)
	v_clz_i32_u32_e32 v16, v16
	v_min_u32_e32 v16, 32, v16
	s_delay_alu instid0(VALU_DEP_1) | instskip(NEXT) | instid1(VALU_DEP_1)
	v_subrev_nc_u32_e32 v58, 28, v16
	v_lshlrev_b64_e32 v[59:60], v58, v[12:13]
	v_sub_nc_u32_e32 v58, 29, v16
	s_delay_alu instid0(VALU_DEP_2)
	v_and_b32_e32 v16, 7, v59
; %bb.943:                              ;   in Loop: Header=BB281_10 Depth=1
	s_wait_alu 0xfffe
	s_or_b32 exec_lo, exec_lo, s21
	v_lshlrev_b32_e32 v59, 8, v12
	v_lshl_add_u32 v58, v58, 10, 0x2000
	v_lshlrev_b32_e32 v16, 7, v16
	s_delay_alu instid0(VALU_DEP_3) | instskip(NEXT) | instid1(VALU_DEP_3)
	v_and_b32_e32 v59, 0x8000, v59
	v_and_b32_e32 v58, 0xfc00, v58
	s_delay_alu instid0(VALU_DEP_1)
	v_or3_b32 v58, v59, v58, v16
.LBB281_944:                            ;   in Loop: Header=BB281_10 Depth=1
	s_wait_alu 0xfffe
	s_or_b32 exec_lo, exec_lo, s20
.LBB281_945:                            ;   in Loop: Header=BB281_10 Depth=1
	s_wait_alu 0xfffe
	s_or_b32 exec_lo, exec_lo, s19
.LBB281_946:                            ;   in Loop: Header=BB281_10 Depth=1
	s_wait_alu 0xfffe
	s_or_b32 exec_lo, exec_lo, s4
	v_lshrrev_b16 v16, 8, v12
	s_mov_b32 s4, exec_lo
	s_delay_alu instid0(VALU_DEP_1)
	v_cmpx_ne_u16_e32 0, v16
	s_cbranch_execz .LBB281_954
; %bb.947:                              ;   in Loop: Header=BB281_10 Depth=1
	v_bfrev_b32_e32 v57, 1
	s_mov_b32 s19, exec_lo
	v_cmpx_ne_u16_e32 0x80, v16
	s_cbranch_execz .LBB281_953
; %bb.948:                              ;   in Loop: Header=BB281_10 Depth=1
	v_and_b32_e32 v59, 0xffff, v16
	v_mov_b32_e32 v57, 0x7c010000
	s_mov_b32 s20, exec_lo
	s_delay_alu instid0(VALU_DEP_2) | instskip(NEXT) | instid1(VALU_DEP_1)
	v_and_b32_e32 v73, 0x7f, v59
	v_cmpx_ne_u32_e32 0x7f, v73
	s_cbranch_execz .LBB281_952
; %bb.949:                              ;   in Loop: Header=BB281_10 Depth=1
	v_and_b32_e32 v57, 7, v59
	v_lshrrev_b32_e32 v60, 3, v73
	s_mov_b32 s21, exec_lo
	v_cmpx_gt_u32_e32 8, v73
; %bb.950:                              ;   in Loop: Header=BB281_10 Depth=1
	s_delay_alu instid0(VALU_DEP_3) | instskip(NEXT) | instid1(VALU_DEP_1)
	v_clz_i32_u32_e32 v57, v57
	v_min_u32_e32 v57, 32, v57
	s_delay_alu instid0(VALU_DEP_1) | instskip(NEXT) | instid1(VALU_DEP_1)
	v_subrev_nc_u32_e32 v60, 28, v57
	v_lshlrev_b64_e32 v[73:74], v60, v[16:17]
	v_sub_nc_u32_e32 v60, 29, v57
	s_delay_alu instid0(VALU_DEP_2)
	v_and_b32_e32 v57, 7, v73
; %bb.951:                              ;   in Loop: Header=BB281_10 Depth=1
	s_wait_alu 0xfffe
	s_or_b32 exec_lo, exec_lo, s21
	v_lshlrev_b32_e32 v16, 8, v59
	v_lshl_add_u32 v59, v60, 10, 0x2000
	v_lshlrev_b32_e32 v57, 23, v57
	s_delay_alu instid0(VALU_DEP_2) | instskip(NEXT) | instid1(VALU_DEP_1)
	v_and_or_b32 v16, 0x8000, v16, v59
	v_lshl_or_b32 v57, v16, 16, v57
.LBB281_952:                            ;   in Loop: Header=BB281_10 Depth=1
	s_wait_alu 0xfffe
	s_or_b32 exec_lo, exec_lo, s20
.LBB281_953:                            ;   in Loop: Header=BB281_10 Depth=1
	s_wait_alu 0xfffe
	s_or_b32 exec_lo, exec_lo, s19
.LBB281_954:                            ;   in Loop: Header=BB281_10 Depth=1
	s_wait_alu 0xfffe
	s_or_b32 exec_lo, exec_lo, s4
	v_lshrrev_b32_e32 v16, 16, v12
	v_mov_b32_e32 v73, 0
	s_mov_b32 s4, exec_lo
	s_delay_alu instid0(VALU_DEP_2) | instskip(NEXT) | instid1(VALU_DEP_1)
	v_dual_mov_b32 v74, 0 :: v_dual_and_b32 v59, 0xff, v16
	v_cmpx_ne_u16_e32 0, v59
	s_cbranch_execz .LBB281_962
; %bb.955:                              ;   in Loop: Header=BB281_10 Depth=1
	v_mov_b32_e32 v74, 0x8000
	s_mov_b32 s19, exec_lo
	v_cmpx_ne_u16_e32 0x80, v59
	s_cbranch_execz .LBB281_961
; %bb.956:                              ;   in Loop: Header=BB281_10 Depth=1
	v_bfe_u32 v155, v12, 16, 7
	v_mov_b32_e32 v74, 0x7c01
	s_mov_b32 s20, exec_lo
	s_delay_alu instid0(VALU_DEP_2)
	v_cmpx_ne_u32_e32 0x7f, v155
	s_cbranch_execz .LBB281_960
; %bb.957:                              ;   in Loop: Header=BB281_10 Depth=1
	v_and_b32_e32 v59, 7, v16
	v_lshrrev_b32_e32 v60, 3, v155
	s_mov_b32 s21, exec_lo
	v_cmpx_gt_u32_e32 8, v155
; %bb.958:                              ;   in Loop: Header=BB281_10 Depth=1
	s_delay_alu instid0(VALU_DEP_3) | instskip(NEXT) | instid1(VALU_DEP_1)
	v_clz_i32_u32_e32 v59, v59
	v_min_u32_e32 v74, 32, v59
	s_delay_alu instid0(VALU_DEP_1) | instskip(NEXT) | instid1(VALU_DEP_1)
	v_subrev_nc_u32_e32 v59, 28, v74
	v_lshlrev_b64_e32 v[59:60], v59, v[16:17]
	v_sub_nc_u32_e32 v60, 29, v74
	s_delay_alu instid0(VALU_DEP_2)
	v_and_b32_e32 v59, 7, v59
; %bb.959:                              ;   in Loop: Header=BB281_10 Depth=1
	s_wait_alu 0xfffe
	s_or_b32 exec_lo, exec_lo, s21
	v_lshlrev_b32_e32 v16, 8, v16
	v_lshl_add_u32 v60, v60, 10, 0x2000
	v_lshlrev_b32_e32 v59, 7, v59
	s_delay_alu instid0(VALU_DEP_3) | instskip(NEXT) | instid1(VALU_DEP_3)
	v_and_b32_e32 v16, 0x8000, v16
	v_and_b32_e32 v60, 0xfc00, v60
	s_delay_alu instid0(VALU_DEP_1)
	v_or3_b32 v74, v16, v60, v59
.LBB281_960:                            ;   in Loop: Header=BB281_10 Depth=1
	s_wait_alu 0xfffe
	s_or_b32 exec_lo, exec_lo, s20
.LBB281_961:                            ;   in Loop: Header=BB281_10 Depth=1
	s_wait_alu 0xfffe
	s_or_b32 exec_lo, exec_lo, s19
.LBB281_962:                            ;   in Loop: Header=BB281_10 Depth=1
	s_wait_alu 0xfffe
	s_or_b32 exec_lo, exec_lo, s4
	s_delay_alu instid0(SALU_CYCLE_1)
	s_mov_b32 s4, exec_lo
	v_cmpx_lt_u32_e32 0xffffff, v12
	s_cbranch_execz .LBB281_970
; %bb.963:                              ;   in Loop: Header=BB281_10 Depth=1
	v_lshrrev_b32_e32 v16, 24, v12
	v_bfrev_b32_e32 v73, 1
	s_mov_b32 s19, exec_lo
	s_delay_alu instid0(VALU_DEP_2)
	v_cmpx_ne_u32_e32 0x80, v16
	s_cbranch_execz .LBB281_969
; %bb.964:                              ;   in Loop: Header=BB281_10 Depth=1
	v_and_b32_e32 v60, 0x7f, v16
	v_mov_b32_e32 v73, 0x7c010000
	s_mov_b32 s20, exec_lo
	s_delay_alu instid0(VALU_DEP_2)
	v_cmpx_ne_u32_e32 0x7f, v60
	s_cbranch_execz .LBB281_968
; %bb.965:                              ;   in Loop: Header=BB281_10 Depth=1
	v_and_b32_e32 v12, 7, v16
	v_lshrrev_b32_e32 v59, 3, v60
	s_mov_b32 s21, exec_lo
	v_cmpx_gt_u32_e32 8, v60
; %bb.966:                              ;   in Loop: Header=BB281_10 Depth=1
	s_delay_alu instid0(VALU_DEP_3) | instskip(NEXT) | instid1(VALU_DEP_1)
	v_clz_i32_u32_e32 v12, v12
	v_min_u32_e32 v12, 32, v12
	s_delay_alu instid0(VALU_DEP_1) | instskip(NEXT) | instid1(VALU_DEP_1)
	v_subrev_nc_u32_e32 v59, 28, v12
	v_lshlrev_b64_e32 v[155:156], v59, v[16:17]
	v_sub_nc_u32_e32 v59, 29, v12
	s_delay_alu instid0(VALU_DEP_2)
	v_and_b32_e32 v12, 7, v155
; %bb.967:                              ;   in Loop: Header=BB281_10 Depth=1
	s_wait_alu 0xfffe
	s_or_b32 exec_lo, exec_lo, s21
	v_lshlrev_b32_e32 v16, 8, v16
	v_lshl_add_u32 v59, v59, 10, 0x2000
	v_lshlrev_b32_e32 v12, 23, v12
	s_delay_alu instid0(VALU_DEP_2) | instskip(NEXT) | instid1(VALU_DEP_1)
	v_and_or_b32 v16, 0x8000, v16, v59
	v_lshl_or_b32 v73, v16, 16, v12
.LBB281_968:                            ;   in Loop: Header=BB281_10 Depth=1
	s_wait_alu 0xfffe
	s_or_b32 exec_lo, exec_lo, s20
.LBB281_969:                            ;   in Loop: Header=BB281_10 Depth=1
	s_wait_alu 0xfffe
	s_or_b32 exec_lo, exec_lo, s19
.LBB281_970:                            ;   in Loop: Header=BB281_10 Depth=1
	s_wait_alu 0xfffe
	s_or_b32 exec_lo, exec_lo, s4
	flat_load_b32 v12, v[20:21] offset:3840
	v_mov_b32_e32 v60, 0
	s_mov_b32 s4, exec_lo
	s_wait_loadcnt_dscnt 0x0
	v_dual_mov_b32 v59, 0 :: v_dual_and_b32 v16, 0xff, v12
	s_delay_alu instid0(VALU_DEP_1)
	v_cmpx_ne_u16_e32 0, v16
	s_cbranch_execz .LBB281_978
; %bb.971:                              ;   in Loop: Header=BB281_10 Depth=1
	v_mov_b32_e32 v60, 0x8000
	s_mov_b32 s19, exec_lo
	v_cmpx_ne_u16_e32 0x80, v16
	s_cbranch_execz .LBB281_977
; %bb.972:                              ;   in Loop: Header=BB281_10 Depth=1
	v_and_b32_e32 v155, 0x7f, v12
	v_mov_b32_e32 v60, 0x7c01
	s_mov_b32 s20, exec_lo
	s_delay_alu instid0(VALU_DEP_2)
	v_cmpx_ne_u32_e32 0x7f, v155
	s_cbranch_execz .LBB281_976
; %bb.973:                              ;   in Loop: Header=BB281_10 Depth=1
	v_and_b32_e32 v16, 7, v12
	v_lshrrev_b32_e32 v60, 3, v155
	s_mov_b32 s21, exec_lo
	v_cmpx_gt_u32_e32 8, v155
; %bb.974:                              ;   in Loop: Header=BB281_10 Depth=1
	s_delay_alu instid0(VALU_DEP_3) | instskip(NEXT) | instid1(VALU_DEP_1)
	v_clz_i32_u32_e32 v16, v16
	v_min_u32_e32 v16, 32, v16
	s_delay_alu instid0(VALU_DEP_1) | instskip(NEXT) | instid1(VALU_DEP_1)
	v_subrev_nc_u32_e32 v60, 28, v16
	v_lshlrev_b64_e32 v[155:156], v60, v[12:13]
	v_sub_nc_u32_e32 v60, 29, v16
	s_delay_alu instid0(VALU_DEP_2)
	v_and_b32_e32 v16, 7, v155
; %bb.975:                              ;   in Loop: Header=BB281_10 Depth=1
	s_wait_alu 0xfffe
	s_or_b32 exec_lo, exec_lo, s21
	v_lshlrev_b32_e32 v155, 8, v12
	v_lshl_add_u32 v60, v60, 10, 0x2000
	v_lshlrev_b32_e32 v16, 7, v16
	s_delay_alu instid0(VALU_DEP_3) | instskip(NEXT) | instid1(VALU_DEP_3)
	v_and_b32_e32 v155, 0x8000, v155
	v_and_b32_e32 v60, 0xfc00, v60
	s_delay_alu instid0(VALU_DEP_1)
	v_or3_b32 v60, v155, v60, v16
.LBB281_976:                            ;   in Loop: Header=BB281_10 Depth=1
	s_wait_alu 0xfffe
	s_or_b32 exec_lo, exec_lo, s20
.LBB281_977:                            ;   in Loop: Header=BB281_10 Depth=1
	s_wait_alu 0xfffe
	s_or_b32 exec_lo, exec_lo, s19
.LBB281_978:                            ;   in Loop: Header=BB281_10 Depth=1
	s_wait_alu 0xfffe
	s_or_b32 exec_lo, exec_lo, s4
	v_lshrrev_b16 v16, 8, v12
	s_mov_b32 s4, exec_lo
	s_delay_alu instid0(VALU_DEP_1)
	v_cmpx_ne_u16_e32 0, v16
	s_cbranch_execz .LBB281_986
; %bb.979:                              ;   in Loop: Header=BB281_10 Depth=1
	v_bfrev_b32_e32 v59, 1
	s_mov_b32 s19, exec_lo
	v_cmpx_ne_u16_e32 0x80, v16
	s_cbranch_execz .LBB281_985
; %bb.980:                              ;   in Loop: Header=BB281_10 Depth=1
	v_and_b32_e32 v155, 0xffff, v16
	v_mov_b32_e32 v59, 0x7c010000
	s_mov_b32 s20, exec_lo
	s_delay_alu instid0(VALU_DEP_2) | instskip(NEXT) | instid1(VALU_DEP_1)
	v_and_b32_e32 v157, 0x7f, v155
	v_cmpx_ne_u32_e32 0x7f, v157
	s_cbranch_execz .LBB281_984
; %bb.981:                              ;   in Loop: Header=BB281_10 Depth=1
	v_and_b32_e32 v59, 7, v155
	v_lshrrev_b32_e32 v156, 3, v157
	s_mov_b32 s21, exec_lo
	v_cmpx_gt_u32_e32 8, v157
; %bb.982:                              ;   in Loop: Header=BB281_10 Depth=1
	s_delay_alu instid0(VALU_DEP_3) | instskip(NEXT) | instid1(VALU_DEP_1)
	v_clz_i32_u32_e32 v59, v59
	v_min_u32_e32 v59, 32, v59
	s_delay_alu instid0(VALU_DEP_1) | instskip(NEXT) | instid1(VALU_DEP_1)
	v_subrev_nc_u32_e32 v156, 28, v59
	v_lshlrev_b64_e32 v[157:158], v156, v[16:17]
	v_sub_nc_u32_e32 v156, 29, v59
	s_delay_alu instid0(VALU_DEP_2)
	v_and_b32_e32 v59, 7, v157
; %bb.983:                              ;   in Loop: Header=BB281_10 Depth=1
	s_wait_alu 0xfffe
	s_or_b32 exec_lo, exec_lo, s21
	v_lshlrev_b32_e32 v16, 8, v155
	v_lshl_add_u32 v155, v156, 10, 0x2000
	v_lshlrev_b32_e32 v59, 23, v59
	s_delay_alu instid0(VALU_DEP_2) | instskip(NEXT) | instid1(VALU_DEP_1)
	v_and_or_b32 v16, 0x8000, v16, v155
	v_lshl_or_b32 v59, v16, 16, v59
.LBB281_984:                            ;   in Loop: Header=BB281_10 Depth=1
	s_wait_alu 0xfffe
	s_or_b32 exec_lo, exec_lo, s20
.LBB281_985:                            ;   in Loop: Header=BB281_10 Depth=1
	s_wait_alu 0xfffe
	s_or_b32 exec_lo, exec_lo, s19
.LBB281_986:                            ;   in Loop: Header=BB281_10 Depth=1
	s_wait_alu 0xfffe
	s_or_b32 exec_lo, exec_lo, s4
	v_lshrrev_b32_e32 v16, 16, v12
	v_mov_b32_e32 v158, 0
	s_mov_b32 s4, exec_lo
	s_delay_alu instid0(VALU_DEP_2) | instskip(NEXT) | instid1(VALU_DEP_1)
	v_dual_mov_b32 v155, 0 :: v_dual_and_b32 v156, 0xff, v16
	v_cmpx_ne_u16_e64 0, v156
	s_cbranch_execz .LBB281_994
; %bb.987:                              ;   in Loop: Header=BB281_10 Depth=1
	v_mov_b32_e32 v158, 0x8000
	s_mov_b32 s19, exec_lo
	v_cmpx_ne_u16_e64 0x80, v156
	s_cbranch_execz .LBB281_993
; %bb.988:                              ;   in Loop: Header=BB281_10 Depth=1
	v_bfe_u32 v159, v12, 16, 7
	v_mov_b32_e32 v158, 0x7c01
	s_mov_b32 s20, exec_lo
	s_delay_alu instid0(VALU_DEP_2)
	v_cmpx_ne_u32_e32 0x7f, v159
	s_cbranch_execz .LBB281_992
; %bb.989:                              ;   in Loop: Header=BB281_10 Depth=1
	v_and_b32_e32 v156, 7, v16
	v_lshrrev_b32_e32 v157, 3, v159
	s_mov_b32 s21, exec_lo
	v_cmpx_gt_u32_e32 8, v159
; %bb.990:                              ;   in Loop: Header=BB281_10 Depth=1
	s_delay_alu instid0(VALU_DEP_3) | instskip(NEXT) | instid1(VALU_DEP_1)
	v_clz_i32_u32_e32 v156, v156
	v_min_u32_e32 v158, 32, v156
	s_delay_alu instid0(VALU_DEP_1) | instskip(NEXT) | instid1(VALU_DEP_1)
	v_subrev_nc_u32_e32 v156, 28, v158
	v_lshlrev_b64_e32 v[156:157], v156, v[16:17]
	v_sub_nc_u32_e32 v157, 29, v158
	s_delay_alu instid0(VALU_DEP_2)
	v_and_b32_e32 v156, 7, v156
; %bb.991:                              ;   in Loop: Header=BB281_10 Depth=1
	s_wait_alu 0xfffe
	s_or_b32 exec_lo, exec_lo, s21
	v_lshlrev_b32_e32 v16, 8, v16
	v_lshl_add_u32 v157, v157, 10, 0x2000
	v_lshlrev_b32_e32 v156, 7, v156
	s_delay_alu instid0(VALU_DEP_3) | instskip(NEXT) | instid1(VALU_DEP_3)
	v_and_b32_e32 v16, 0x8000, v16
	v_and_b32_e32 v157, 0xfc00, v157
	s_delay_alu instid0(VALU_DEP_1)
	v_or3_b32 v158, v16, v157, v156
.LBB281_992:                            ;   in Loop: Header=BB281_10 Depth=1
	s_wait_alu 0xfffe
	s_or_b32 exec_lo, exec_lo, s20
.LBB281_993:                            ;   in Loop: Header=BB281_10 Depth=1
	s_wait_alu 0xfffe
	s_or_b32 exec_lo, exec_lo, s19
.LBB281_994:                            ;   in Loop: Header=BB281_10 Depth=1
	s_wait_alu 0xfffe
	s_or_b32 exec_lo, exec_lo, s4
	s_delay_alu instid0(SALU_CYCLE_1)
	s_mov_b32 s4, exec_lo
	v_cmpx_lt_u32_e32 0xffffff, v12
	s_cbranch_execz .LBB281_1002
; %bb.995:                              ;   in Loop: Header=BB281_10 Depth=1
	v_lshrrev_b32_e32 v16, 24, v12
	v_bfrev_b32_e32 v155, 1
	s_mov_b32 s19, exec_lo
	s_delay_alu instid0(VALU_DEP_2)
	v_cmpx_ne_u32_e32 0x80, v16
	s_cbranch_execz .LBB281_1001
; %bb.996:                              ;   in Loop: Header=BB281_10 Depth=1
	v_and_b32_e32 v156, 0x7f, v16
	v_mov_b32_e32 v155, 0x7c010000
	s_mov_b32 s20, exec_lo
	s_delay_alu instid0(VALU_DEP_2)
	v_cmpx_ne_u32_e32 0x7f, v156
	s_cbranch_execz .LBB281_1000
; %bb.997:                              ;   in Loop: Header=BB281_10 Depth=1
	v_and_b32_e32 v12, 7, v16
	v_lshrrev_b32_e32 v155, 3, v156
	s_mov_b32 s21, exec_lo
	v_cmpx_gt_u32_e32 8, v156
; %bb.998:                              ;   in Loop: Header=BB281_10 Depth=1
	s_delay_alu instid0(VALU_DEP_3) | instskip(NEXT) | instid1(VALU_DEP_1)
	v_clz_i32_u32_e32 v12, v12
	v_min_u32_e32 v12, 32, v12
	s_delay_alu instid0(VALU_DEP_1) | instskip(NEXT) | instid1(VALU_DEP_1)
	v_subrev_nc_u32_e32 v155, 28, v12
	v_lshlrev_b64_e32 v[156:157], v155, v[16:17]
	v_sub_nc_u32_e32 v155, 29, v12
	s_delay_alu instid0(VALU_DEP_2)
	v_and_b32_e32 v12, 7, v156
; %bb.999:                              ;   in Loop: Header=BB281_10 Depth=1
	s_wait_alu 0xfffe
	s_or_b32 exec_lo, exec_lo, s21
	v_lshlrev_b32_e32 v16, 8, v16
	v_lshl_add_u32 v155, v155, 10, 0x2000
	v_lshlrev_b32_e32 v12, 23, v12
	s_delay_alu instid0(VALU_DEP_2) | instskip(NEXT) | instid1(VALU_DEP_1)
	v_and_or_b32 v16, 0x8000, v16, v155
	v_lshl_or_b32 v155, v16, 16, v12
.LBB281_1000:                           ;   in Loop: Header=BB281_10 Depth=1
	s_wait_alu 0xfffe
	s_or_b32 exec_lo, exec_lo, s20
.LBB281_1001:                           ;   in Loop: Header=BB281_10 Depth=1
	s_wait_alu 0xfffe
	s_or_b32 exec_lo, exec_lo, s19
.LBB281_1002:                           ;   in Loop: Header=BB281_10 Depth=1
	s_wait_alu 0xfffe
	s_or_b32 exec_lo, exec_lo, s4
	flat_load_b32 v12, v[20:21] offset:3848
	v_mov_b32_e32 v156, 0
	s_mov_b32 s4, exec_lo
	s_wait_loadcnt_dscnt 0x0
	v_dual_mov_b32 v157, 0 :: v_dual_and_b32 v16, 0xff, v12
	s_delay_alu instid0(VALU_DEP_1)
	v_cmpx_ne_u16_e32 0, v16
	s_cbranch_execz .LBB281_1010
; %bb.1003:                             ;   in Loop: Header=BB281_10 Depth=1
	v_mov_b32_e32 v157, 0x8000
	s_mov_b32 s19, exec_lo
	v_cmpx_ne_u16_e32 0x80, v16
	s_cbranch_execz .LBB281_1009
; %bb.1004:                             ;   in Loop: Header=BB281_10 Depth=1
	v_and_b32_e32 v21, 0x7f, v12
	v_mov_b32_e32 v157, 0x7c01
	s_mov_b32 s20, exec_lo
	s_delay_alu instid0(VALU_DEP_2)
	v_cmpx_ne_u32_e32 0x7f, v21
	s_cbranch_execz .LBB281_1008
; %bb.1005:                             ;   in Loop: Header=BB281_10 Depth=1
	v_and_b32_e32 v16, 7, v12
	v_lshrrev_b32_e32 v20, 3, v21
	s_mov_b32 s21, exec_lo
	v_cmpx_gt_u32_e32 8, v21
; %bb.1006:                             ;   in Loop: Header=BB281_10 Depth=1
	s_delay_alu instid0(VALU_DEP_3) | instskip(NEXT) | instid1(VALU_DEP_1)
	v_clz_i32_u32_e32 v16, v16
	v_min_u32_e32 v16, 32, v16
	s_delay_alu instid0(VALU_DEP_1) | instskip(NEXT) | instid1(VALU_DEP_1)
	v_subrev_nc_u32_e32 v20, 28, v16
	v_lshlrev_b64_e32 v[168:169], v20, v[12:13]
	v_sub_nc_u32_e32 v20, 29, v16
	s_delay_alu instid0(VALU_DEP_2)
	v_and_b32_e32 v16, 7, v168
; %bb.1007:                             ;   in Loop: Header=BB281_10 Depth=1
	s_wait_alu 0xfffe
	s_or_b32 exec_lo, exec_lo, s21
	v_lshlrev_b32_e32 v21, 8, v12
	v_lshl_add_u32 v20, v20, 10, 0x2000
	v_lshlrev_b32_e32 v16, 7, v16
	s_delay_alu instid0(VALU_DEP_3) | instskip(NEXT) | instid1(VALU_DEP_3)
	v_and_b32_e32 v21, 0x8000, v21
	v_and_b32_e32 v20, 0xfc00, v20
	s_delay_alu instid0(VALU_DEP_1)
	v_or3_b32 v157, v21, v20, v16
.LBB281_1008:                           ;   in Loop: Header=BB281_10 Depth=1
	s_wait_alu 0xfffe
	s_or_b32 exec_lo, exec_lo, s20
.LBB281_1009:                           ;   in Loop: Header=BB281_10 Depth=1
	s_wait_alu 0xfffe
	s_or_b32 exec_lo, exec_lo, s19
.LBB281_1010:                           ;   in Loop: Header=BB281_10 Depth=1
	s_wait_alu 0xfffe
	s_or_b32 exec_lo, exec_lo, s4
	v_lshrrev_b16 v16, 8, v12
	s_mov_b32 s4, exec_lo
	s_delay_alu instid0(VALU_DEP_1)
	v_cmpx_ne_u16_e32 0, v16
	s_cbranch_execz .LBB281_1018
; %bb.1011:                             ;   in Loop: Header=BB281_10 Depth=1
	v_bfrev_b32_e32 v156, 1
	s_mov_b32 s19, exec_lo
	v_cmpx_ne_u16_e32 0x80, v16
	s_cbranch_execz .LBB281_1017
; %bb.1012:                             ;   in Loop: Header=BB281_10 Depth=1
	v_and_b32_e32 v20, 0xffff, v16
	v_mov_b32_e32 v156, 0x7c010000
	s_mov_b32 s20, exec_lo
	s_delay_alu instid0(VALU_DEP_2) | instskip(NEXT) | instid1(VALU_DEP_1)
	v_and_b32_e32 v159, 0x7f, v20
	v_cmpx_ne_u32_e32 0x7f, v159
	s_cbranch_execz .LBB281_1016
; %bb.1013:                             ;   in Loop: Header=BB281_10 Depth=1
	v_and_b32_e32 v21, 7, v20
	v_lshrrev_b32_e32 v156, 3, v159
	s_mov_b32 s21, exec_lo
	v_cmpx_gt_u32_e32 8, v159
; %bb.1014:                             ;   in Loop: Header=BB281_10 Depth=1
	s_delay_alu instid0(VALU_DEP_3) | instskip(NEXT) | instid1(VALU_DEP_1)
	v_clz_i32_u32_e32 v21, v21
	v_min_u32_e32 v21, 32, v21
	s_delay_alu instid0(VALU_DEP_1) | instskip(NEXT) | instid1(VALU_DEP_1)
	v_subrev_nc_u32_e32 v156, 28, v21
	v_lshlrev_b64_e32 v[168:169], v156, v[16:17]
	v_sub_nc_u32_e32 v156, 29, v21
	s_delay_alu instid0(VALU_DEP_2)
	v_and_b32_e32 v21, 7, v168
; %bb.1015:                             ;   in Loop: Header=BB281_10 Depth=1
	s_wait_alu 0xfffe
	s_or_b32 exec_lo, exec_lo, s21
	v_lshlrev_b32_e32 v16, 8, v20
	v_lshl_add_u32 v20, v156, 10, 0x2000
	s_delay_alu instid0(VALU_DEP_1) | instskip(SKIP_1) | instid1(VALU_DEP_1)
	v_and_or_b32 v16, 0x8000, v16, v20
	v_lshlrev_b32_e32 v20, 23, v21
	v_lshl_or_b32 v156, v16, 16, v20
.LBB281_1016:                           ;   in Loop: Header=BB281_10 Depth=1
	s_wait_alu 0xfffe
	s_or_b32 exec_lo, exec_lo, s20
.LBB281_1017:                           ;   in Loop: Header=BB281_10 Depth=1
	s_wait_alu 0xfffe
	s_or_b32 exec_lo, exec_lo, s19
.LBB281_1018:                           ;   in Loop: Header=BB281_10 Depth=1
	s_wait_alu 0xfffe
	s_or_b32 exec_lo, exec_lo, s4
	v_lshrrev_b32_e32 v16, 16, v12
	v_mov_b32_e32 v168, 0
	s_mov_b32 s4, exec_lo
	s_delay_alu instid0(VALU_DEP_2) | instskip(NEXT) | instid1(VALU_DEP_1)
	v_dual_mov_b32 v159, 0 :: v_dual_and_b32 v20, 0xff, v16
	v_cmpx_ne_u16_e32 0, v20
	s_cbranch_execz .LBB281_1026
; %bb.1019:                             ;   in Loop: Header=BB281_10 Depth=1
	v_mov_b32_e32 v168, 0x8000
	s_mov_b32 s19, exec_lo
	v_cmpx_ne_u16_e32 0x80, v20
	s_cbranch_execz .LBB281_1025
; %bb.1020:                             ;   in Loop: Header=BB281_10 Depth=1
	v_bfe_u32 v169, v12, 16, 7
	v_mov_b32_e32 v168, 0x7c01
	s_mov_b32 s20, exec_lo
	s_delay_alu instid0(VALU_DEP_2)
	v_cmpx_ne_u32_e32 0x7f, v169
	s_cbranch_execz .LBB281_1024
; %bb.1021:                             ;   in Loop: Header=BB281_10 Depth=1
	v_and_b32_e32 v20, 7, v16
	v_lshrrev_b32_e32 v21, 3, v169
	s_mov_b32 s21, exec_lo
	v_cmpx_gt_u32_e32 8, v169
; %bb.1022:                             ;   in Loop: Header=BB281_10 Depth=1
	s_delay_alu instid0(VALU_DEP_3) | instskip(NEXT) | instid1(VALU_DEP_1)
	v_clz_i32_u32_e32 v20, v20
	v_min_u32_e32 v168, 32, v20
	s_delay_alu instid0(VALU_DEP_1) | instskip(NEXT) | instid1(VALU_DEP_1)
	v_subrev_nc_u32_e32 v20, 28, v168
	v_lshlrev_b64_e32 v[20:21], v20, v[16:17]
	v_sub_nc_u32_e32 v21, 29, v168
	s_delay_alu instid0(VALU_DEP_2)
	v_and_b32_e32 v20, 7, v20
; %bb.1023:                             ;   in Loop: Header=BB281_10 Depth=1
	s_wait_alu 0xfffe
	s_or_b32 exec_lo, exec_lo, s21
	v_lshlrev_b32_e32 v16, 8, v16
	v_lshl_add_u32 v21, v21, 10, 0x2000
	v_lshlrev_b32_e32 v20, 7, v20
	s_delay_alu instid0(VALU_DEP_3) | instskip(NEXT) | instid1(VALU_DEP_3)
	v_and_b32_e32 v16, 0x8000, v16
	v_and_b32_e32 v21, 0xfc00, v21
	s_delay_alu instid0(VALU_DEP_1)
	v_or3_b32 v168, v16, v21, v20
.LBB281_1024:                           ;   in Loop: Header=BB281_10 Depth=1
	s_wait_alu 0xfffe
	s_or_b32 exec_lo, exec_lo, s20
.LBB281_1025:                           ;   in Loop: Header=BB281_10 Depth=1
	s_wait_alu 0xfffe
	s_or_b32 exec_lo, exec_lo, s19
.LBB281_1026:                           ;   in Loop: Header=BB281_10 Depth=1
	s_wait_alu 0xfffe
	s_or_b32 exec_lo, exec_lo, s4
	s_delay_alu instid0(SALU_CYCLE_1)
	s_mov_b32 s4, exec_lo
	v_cmpx_lt_u32_e32 0xffffff, v12
	s_cbranch_execz .LBB281_1034
; %bb.1027:                             ;   in Loop: Header=BB281_10 Depth=1
	v_lshrrev_b32_e32 v16, 24, v12
	v_bfrev_b32_e32 v159, 1
	s_mov_b32 s19, exec_lo
	s_delay_alu instid0(VALU_DEP_2)
	v_cmpx_ne_u32_e32 0x80, v16
	s_cbranch_execz .LBB281_1033
; %bb.1028:                             ;   in Loop: Header=BB281_10 Depth=1
	v_and_b32_e32 v21, 0x7f, v16
	v_mov_b32_e32 v159, 0x7c010000
	s_mov_b32 s20, exec_lo
	s_delay_alu instid0(VALU_DEP_2)
	v_cmpx_ne_u32_e32 0x7f, v21
	s_cbranch_execz .LBB281_1032
; %bb.1029:                             ;   in Loop: Header=BB281_10 Depth=1
	v_and_b32_e32 v12, 7, v16
	v_lshrrev_b32_e32 v20, 3, v21
	s_mov_b32 s21, exec_lo
	v_cmpx_gt_u32_e32 8, v21
; %bb.1030:                             ;   in Loop: Header=BB281_10 Depth=1
	s_delay_alu instid0(VALU_DEP_3) | instskip(NEXT) | instid1(VALU_DEP_1)
	v_clz_i32_u32_e32 v12, v12
	v_min_u32_e32 v12, 32, v12
	s_delay_alu instid0(VALU_DEP_1) | instskip(NEXT) | instid1(VALU_DEP_1)
	v_subrev_nc_u32_e32 v20, 28, v12
	v_lshlrev_b64_e32 v[169:170], v20, v[16:17]
	v_sub_nc_u32_e32 v20, 29, v12
	s_delay_alu instid0(VALU_DEP_2)
	v_and_b32_e32 v12, 7, v169
; %bb.1031:                             ;   in Loop: Header=BB281_10 Depth=1
	s_wait_alu 0xfffe
	s_or_b32 exec_lo, exec_lo, s21
	v_lshlrev_b32_e32 v16, 8, v16
	v_lshl_add_u32 v20, v20, 10, 0x2000
	v_lshlrev_b32_e32 v12, 23, v12
	s_delay_alu instid0(VALU_DEP_2) | instskip(NEXT) | instid1(VALU_DEP_1)
	v_and_or_b32 v16, 0x8000, v16, v20
	v_lshl_or_b32 v159, v16, 16, v12
.LBB281_1032:                           ;   in Loop: Header=BB281_10 Depth=1
	s_wait_alu 0xfffe
	s_or_b32 exec_lo, exec_lo, s20
.LBB281_1033:                           ;   in Loop: Header=BB281_10 Depth=1
	s_wait_alu 0xfffe
	s_or_b32 exec_lo, exec_lo, s19
.LBB281_1034:                           ;   in Loop: Header=BB281_10 Depth=1
	s_wait_alu 0xfffe
	s_or_b32 exec_lo, exec_lo, s4
	v_or_b32_e32 v12, v59, v60
	v_fma_mixlo_f16 v20, v64, v59, 0 op_sel:[0,1,0] op_sel_hi:[0,1,0]
	v_or_b32_e32 v58, v57, v58
	v_fma_mixlo_f16 v59, v64, v57, 0 op_sel:[0,1,0] op_sel_hi:[0,1,0]
	v_or_b32_e32 v57, v73, v74
	v_or_b32_e32 v72, v63, v72
	;; [unrolled: 1-line block ×3, first 2 shown]
	v_fma_mixlo_f16 v60, v64, v58, 0 op_sel_hi:[0,1,0]
	v_or_b32_e32 v92, v91, v92
	v_fma_mixlo_f16 v58, v64, v57, 0 op_sel_hi:[0,1,0]
	v_fma_mixlo_f16 v57, v64, v73, 0 op_sel:[0,1,0] op_sel_hi:[0,1,0]
	v_fma_mixlo_f16 v73, v64, v63, 0 op_sel:[0,1,0] op_sel_hi:[0,1,0]
	v_or_b32_e32 v63, v79, v88
	v_fma_mixlo_f16 v74, v64, v72, 0 op_sel_hi:[0,1,0]
	v_fma_mixlo_f16 v88, v64, v78, 0 op_sel_hi:[0,1,0]
	v_or_b32_e32 v105, v95, v105
	v_or_b32_e32 v110, v109, v110
	v_fma_mixlo_f16 v72, v64, v63, 0 op_sel_hi:[0,1,0]
	v_fma_mixlo_f16 v63, v64, v79, 0 op_sel:[0,1,0] op_sel_hi:[0,1,0]
	v_fma_mixlo_f16 v79, v64, v77, 0 op_sel:[0,1,0] op_sel_hi:[0,1,0]
	v_or_b32_e32 v77, v93, v94
	v_fma_mixlo_f16 v94, v64, v92, 0 op_sel_hi:[0,1,0]
	v_or_b32_e32 v124, v123, v124
	v_or_b32_e32 v138, v137, v138
	v_or_b32_e32 v142, v141, v142
	v_fma_mixlo_f16 v78, v64, v77, 0 op_sel_hi:[0,1,0]
	v_fma_mixlo_f16 v77, v64, v93, 0 op_sel:[0,1,0] op_sel_hi:[0,1,0]
	v_fma_mixlo_f16 v93, v64, v91, 0 op_sel:[0,1,0] op_sel_hi:[0,1,0]
	v_or_b32_e32 v91, v107, v108
	v_fma_mixlo_f16 v108, v64, v105, 0 op_sel_hi:[0,1,0]
	v_or_b32_e32 v120, v111, v120
	;; [unrolled: 8-line block ×8, first 2 shown]
	v_or_b32_e32 v70, v69, v70
	v_fma_mixlo_f16 v21, v64, v12, 0 op_sel_hi:[0,1,0]
	v_fma_mixlo_f16 v120, v64, v111, 0 op_sel_hi:[0,1,0]
	v_fma_mixlo_f16 v111, v64, v127, 0 op_sel:[0,1,0] op_sel_hi:[0,1,0]
	v_fma_mixlo_f16 v127, v64, v89, 0 op_sel:[0,1,0] op_sel_hi:[0,1,0]
	v_or_b32_e32 v89, v104, v106
	v_fma_mixlo_f16 v106, v64, v62, 0 op_sel_hi:[0,1,0]
	v_or_b32_e32 v12, v155, v158
	v_or_b32_e32 v66, v65, v66
	v_fma_mixlo_f16 v69, v64, v69, 0 op_sel:[0,1,0] op_sel_hi:[0,1,0]
	v_fma_mixlo_f16 v90, v64, v89, 0 op_sel_hi:[0,1,0]
	v_fma_mixlo_f16 v89, v64, v104, 0 op_sel:[0,1,0] op_sel_hi:[0,1,0]
	v_fma_mixlo_f16 v104, v64, v61, 0 op_sel:[0,1,0] op_sel_hi:[0,1,0]
	v_or_b32_e32 v61, v75, v76
	v_fma_mixlo_f16 v76, v64, v46, 0 op_sel_hi:[0,1,0]
	v_fma_mixlo_f16 v16, v64, v12, 0 op_sel_hi:[0,1,0]
	v_fma_mixlo_f16 v12, v64, v155, 0 op_sel:[0,1,0] op_sel_hi:[0,1,0]
	v_fma_mixlo_f16 v155, v64, v66, 0 op_sel_hi:[0,1,0]
	v_fma_mixlo_f16 v62, v64, v61, 0 op_sel_hi:[0,1,0]
	v_fma_mixlo_f16 v61, v64, v75, 0 op_sel:[0,1,0] op_sel_hi:[0,1,0]
	v_fma_mixlo_f16 v75, v64, v45, 0 op_sel:[0,1,0] op_sel_hi:[0,1,0]
	v_or_b32_e32 v45, v47, v56
	v_fma_mixlo_f16 v56, v64, v42, 0 op_sel_hi:[0,1,0]
	v_fma_mixlo_f16 v66, v64, v156, 0 op_sel:[0,1,0] op_sel_hi:[0,1,0]
	v_and_b32_e32 v20, 0xffff, v20
	v_and_b32_e32 v16, 0xffff, v16
	v_fma_mixlo_f16 v46, v64, v45, 0 op_sel_hi:[0,1,0]
	v_fma_mixlo_f16 v45, v64, v47, 0 op_sel:[0,1,0] op_sel_hi:[0,1,0]
	v_fma_mixlo_f16 v47, v64, v41, 0 op_sel:[0,1,0] op_sel_hi:[0,1,0]
	v_or_b32_e32 v41, v43, v44
	v_fma_mixlo_f16 v44, v64, v182, 0 op_sel_hi:[0,1,0]
	v_and_b32_e32 v12, 0xffff, v12
	v_and_b32_e32 v66, 0xffff, v66
	;; [unrolled: 1-line block ×3, first 2 shown]
	v_fma_mixlo_f16 v42, v64, v41, 0 op_sel_hi:[0,1,0]
	v_fma_mixlo_f16 v41, v64, v43, 0 op_sel:[0,1,0] op_sel_hi:[0,1,0]
	v_fma_mixlo_f16 v43, v64, v181, 0 op_sel:[0,1,0] op_sel_hi:[0,1,0]
	v_or_b32_e32 v181, v183, v40
	v_fma_mixlo_f16 v40, v64, v178, 0 op_sel_hi:[0,1,0]
	s_delay_alu instid0(VALU_DEP_2) | instskip(SKIP_4) | instid1(VALU_DEP_2)
	v_fma_mixlo_f16 v182, v64, v181, 0 op_sel_hi:[0,1,0]
	v_fma_mixlo_f16 v181, v64, v183, 0 op_sel:[0,1,0] op_sel_hi:[0,1,0]
	v_fma_mixlo_f16 v183, v64, v177, 0 op_sel:[0,1,0] op_sel_hi:[0,1,0]
	v_or_b32_e32 v177, v179, v180
	v_fma_mixlo_f16 v180, v64, v166, 0 op_sel_hi:[0,1,0]
	v_fma_mixlo_f16 v178, v64, v177, 0 op_sel_hi:[0,1,0]
	v_fma_mixlo_f16 v177, v64, v179, 0 op_sel:[0,1,0] op_sel_hi:[0,1,0]
	v_fma_mixlo_f16 v179, v64, v165, 0 op_sel:[0,1,0] op_sel_hi:[0,1,0]
	v_or_b32_e32 v165, v167, v176
	v_fma_mixlo_f16 v176, v64, v162, 0 op_sel_hi:[0,1,0]
	s_delay_alu instid0(VALU_DEP_2) | instskip(SKIP_4) | instid1(VALU_DEP_2)
	v_fma_mixlo_f16 v166, v64, v165, 0 op_sel_hi:[0,1,0]
	v_fma_mixlo_f16 v165, v64, v167, 0 op_sel:[0,1,0] op_sel_hi:[0,1,0]
	v_fma_mixlo_f16 v167, v64, v161, 0 op_sel:[0,1,0] op_sel_hi:[0,1,0]
	v_or_b32_e32 v161, v163, v164
	v_fma_mixlo_f16 v164, v64, v150, 0 op_sel_hi:[0,1,0]
	;; [unrolled: 11-line block ×6, first 2 shown]
	v_fma_mixlo_f16 v98, v64, v97, 0 op_sel_hi:[0,1,0]
	v_fma_mixlo_f16 v97, v64, v99, 0 op_sel:[0,1,0] op_sel_hi:[0,1,0]
	v_fma_mixlo_f16 v99, v64, v85, 0 op_sel:[0,1,0] op_sel_hi:[0,1,0]
	v_or_b32_e32 v85, v87, v96
	v_fma_mixlo_f16 v96, v64, v82, 0 op_sel_hi:[0,1,0]
	s_delay_alu instid0(VALU_DEP_2)
	v_fma_mixlo_f16 v86, v64, v85, 0 op_sel_hi:[0,1,0]
	v_fma_mixlo_f16 v85, v64, v87, 0 op_sel:[0,1,0] op_sel_hi:[0,1,0]
	v_fma_mixlo_f16 v87, v64, v81, 0 op_sel:[0,1,0] op_sel_hi:[0,1,0]
	v_or_b32_e32 v81, v83, v84
	v_fma_mixlo_f16 v84, v64, v65, 0 op_sel:[0,1,0] op_sel_hi:[0,1,0]
	v_or_b32_e32 v65, v67, v68
	v_fma_mixlo_f16 v68, v64, v67, 0 op_sel:[0,1,0] op_sel_hi:[0,1,0]
	v_and_b32_e32 v96, 0xffff, v96
	v_fma_mixlo_f16 v82, v64, v81, 0 op_sel_hi:[0,1,0]
	v_fma_mixlo_f16 v81, v64, v83, 0 op_sel:[0,1,0] op_sel_hi:[0,1,0]
	v_fma_mixlo_f16 v83, v64, v70, 0 op_sel_hi:[0,1,0]
	v_or_b32_e32 v70, v71, v80
	v_and_b32_e32 v84, 0xffff, v84
	v_and_b32_e32 v68, 0xffff, v68
	;; [unrolled: 1-line block ×4, first 2 shown]
	v_fma_mixlo_f16 v80, v64, v70, 0 op_sel_hi:[0,1,0]
	v_fma_mixlo_f16 v70, v64, v71, 0 op_sel:[0,1,0] op_sel_hi:[0,1,0]
	v_fma_mixlo_f16 v71, v64, v65, 0 op_sel_hi:[0,1,0]
	v_or_b32_e32 v65, v156, v157
	ds_load_b64 v[156:157], v51
	v_and_b32_e32 v70, 0xffff, v70
	v_and_b32_e32 v71, 0xffff, v71
	v_fma_mixlo_f16 v67, v64, v65, 0 op_sel_hi:[0,1,0]
	v_or_b32_e32 v65, v159, v168
	s_delay_alu instid0(VALU_DEP_1)
	v_fma_mixlo_f16 v65, v64, v65, 0 op_sel_hi:[0,1,0]
	v_fma_mixlo_f16 v64, v64, v159, 0 op_sel:[0,1,0] op_sel_hi:[0,1,0]
	s_wait_dscnt 0x0
	v_lshrrev_b32_e32 v159, 16, v156
	v_and_b32_e32 v156, 0xffff, v156
	;;#ASMSTART
	v_cvt_f32_f16 v158, v156;
	;;#ASMEND
	v_and_b32_e32 v155, 0xffff, v155
	;;#ASMSTART
	v_cvt_f32_f16 v159, v159;
	;;#ASMEND
	;;#ASMSTART
	v_cvt_f32_f16 v168, v155;
	;;#ASMEND
	;; [unrolled: 3-line block ×3, first 2 shown]
	v_lshrrev_b32_e32 v155, 16, v157
	v_and_b32_e32 v156, 0xffff, v157
	;;#ASMSTART
	v_cvt_f32_f16 v157, v156;
	;;#ASMEND
	;;#ASMSTART
	v_cvt_f32_f16 v169, v155;
	;;#ASMEND
	;;#ASMSTART
	v_cvt_f32_f16 v71, v71;
	;;#ASMEND
	;;#ASMSTART
	v_cvt_f32_f16 v170, v68;
	;;#ASMEND
	ds_load_b64 v[155:156], v51 offset:8
	s_wait_dscnt 0x0
	v_and_b32_e32 v68, 0xffff, v155
	v_lshrrev_b32_e32 v171, 16, v155
	;;#ASMSTART
	v_cvt_f32_f16 v68, v68;
	;;#ASMEND
	;;#ASMSTART
	v_cvt_f32_f16 v155, v171;
	;;#ASMEND
	;; [unrolled: 3-line block ×3, first 2 shown]
	v_dual_mul_f32 v68, v68, v83 :: v_dual_and_b32 v69, 0xffff, v69
	;;#ASMSTART
	v_cvt_f32_f16 v69, v69;
	;;#ASMEND
	s_delay_alu instid0(VALU_DEP_1) | instskip(SKIP_3) | instid1(VALU_DEP_3)
	v_mul_f32_e32 v69, v155, v69
	v_and_b32_e32 v83, 0xffff, v156
	;;#ASMSTART
	v_cvt_f32_f16 v83, v83;
	;;#ASMEND
	v_fmac_f32_e32 v68, v158, v168
	v_fmac_f32_e32 v69, v159, v84
	v_lshrrev_b32_e32 v84, 16, v156
	v_and_b32_e32 v80, 0xffff, v80
	;;#ASMSTART
	v_cvt_f32_f16 v84, v84;
	;;#ASMEND
	;;#ASMSTART
	v_cvt_f32_f16 v80, v80;
	;;#ASMEND
	;;#ASMSTART
	v_cvt_f32_f16 v155, v70;
	;;#ASMEND
	s_delay_alu instid0(VALU_DEP_1) | instskip(NEXT) | instid1(VALU_DEP_1)
	v_mul_f32_e32 v70, v83, v80
	v_fmac_f32_e32 v70, v157, v71
	v_mul_f32_e32 v71, v84, v155
	ds_load_b64 v[83:84], v51 offset:16
	v_and_b32_e32 v87, 0xffff, v87
	s_wait_dscnt 0x0
	v_dual_fmac_f32 v71, v169, v170 :: v_dual_and_b32 v80, 0xffff, v83
	v_lshrrev_b32_e32 v155, 16, v83
	;;#ASMSTART
	v_cvt_f32_f16 v80, v80;
	;;#ASMEND
	;;#ASMSTART
	v_cvt_f32_f16 v83, v155;
	;;#ASMEND
	;; [unrolled: 3-line block ×4, first 2 shown]
	v_dual_fmac_f32 v68, v80, v96 :: v_dual_fmac_f32 v69, v83, v87
	v_lshrrev_b32_e32 v83, 16, v84
	v_and_b32_e32 v80, 0xffff, v84
	v_and_b32_e32 v81, 0xffff, v81
	;;#ASMSTART
	v_cvt_f32_f16 v80, v80;
	;;#ASMEND
	;;#ASMSTART
	v_cvt_f32_f16 v83, v83;
	;;#ASMEND
	;; [unrolled: 3-line block ×4, first 2 shown]
	v_dual_fmac_f32 v70, v80, v82 :: v_dual_fmac_f32 v71, v83, v81
	ds_load_b64 v[80:81], v51 offset:24
	v_and_b32_e32 v83, 0xffff, v100
	v_and_b32_e32 v84, 0xffff, v99
	s_wait_dscnt 0x0
	v_lshrrev_b32_e32 v82, 16, v80
	v_and_b32_e32 v80, 0xffff, v80
	;;#ASMSTART
	v_cvt_f32_f16 v80, v80;
	;;#ASMEND
	;;#ASMSTART
	v_cvt_f32_f16 v82, v82;
	;;#ASMEND
	;; [unrolled: 3-line block ×4, first 2 shown]
	v_dual_fmac_f32 v68, v80, v83 :: v_dual_fmac_f32 v69, v82, v84
	v_lshrrev_b32_e32 v82, 16, v81
	v_and_b32_e32 v80, 0xffff, v81
	;;#ASMSTART
	v_cvt_f32_f16 v80, v80;
	;;#ASMEND
	;;#ASMSTART
	v_cvt_f32_f16 v81, v82;
	;;#ASMEND
	v_and_b32_e32 v82, 0xffff, v86
	;;#ASMSTART
	v_cvt_f32_f16 v82, v82;
	;;#ASMEND
	s_delay_alu instid0(VALU_DEP_1) | instskip(SKIP_1) | instid1(VALU_DEP_1)
	v_dual_fmac_f32 v70, v80, v82 :: v_dual_and_b32 v83, 0xffff, v85
	;;#ASMSTART
	v_cvt_f32_f16 v83, v83;
	;;#ASMEND
	v_fmac_f32_e32 v71, v81, v83
	ds_load_b64 v[80:81], v51 offset:32
	v_and_b32_e32 v83, 0xffff, v112
	v_and_b32_e32 v84, 0xffff, v103
	s_wait_dscnt 0x0
	v_lshrrev_b32_e32 v82, 16, v80
	v_and_b32_e32 v80, 0xffff, v80
	;;#ASMSTART
	v_cvt_f32_f16 v80, v80;
	;;#ASMEND
	;;#ASMSTART
	v_cvt_f32_f16 v82, v82;
	;;#ASMEND
	;;#ASMSTART
	v_cvt_f32_f16 v83, v83;
	;;#ASMEND
	;;#ASMSTART
	v_cvt_f32_f16 v84, v84;
	;;#ASMEND
	v_dual_fmac_f32 v68, v80, v83 :: v_dual_and_b32 v83, 0xffff, v97
	v_fmac_f32_e32 v69, v82, v84
	v_lshrrev_b32_e32 v82, 16, v81
	v_and_b32_e32 v80, 0xffff, v81
	;;#ASMSTART
	v_cvt_f32_f16 v80, v80;
	;;#ASMEND
	;;#ASMSTART
	v_cvt_f32_f16 v81, v82;
	;;#ASMEND
	v_and_b32_e32 v82, 0xffff, v98
	;;#ASMSTART
	v_cvt_f32_f16 v82, v82;
	;;#ASMEND
	;;#ASMSTART
	v_cvt_f32_f16 v83, v83;
	;;#ASMEND
	s_delay_alu instid0(VALU_DEP_1)
	v_dual_fmac_f32 v70, v80, v82 :: v_dual_fmac_f32 v71, v81, v83
	ds_load_b64 v[80:81], v51 offset:40
	v_and_b32_e32 v83, 0xffff, v116
	v_and_b32_e32 v84, 0xffff, v115
	s_wait_dscnt 0x0
	v_lshrrev_b32_e32 v82, 16, v80
	v_and_b32_e32 v80, 0xffff, v80
	;;#ASMSTART
	v_cvt_f32_f16 v80, v80;
	;;#ASMEND
	;;#ASMSTART
	v_cvt_f32_f16 v82, v82;
	;;#ASMEND
	;;#ASMSTART
	v_cvt_f32_f16 v83, v83;
	;;#ASMEND
	;;#ASMSTART
	v_cvt_f32_f16 v84, v84;
	;;#ASMEND
	v_dual_fmac_f32 v68, v80, v83 :: v_dual_and_b32 v83, 0xffff, v101
	v_fmac_f32_e32 v69, v82, v84
	v_lshrrev_b32_e32 v82, 16, v81
	v_and_b32_e32 v80, 0xffff, v81
	;;#ASMSTART
	v_cvt_f32_f16 v80, v80;
	;;#ASMEND
	;;#ASMSTART
	v_cvt_f32_f16 v81, v82;
	;;#ASMEND
	v_and_b32_e32 v82, 0xffff, v102
	;;#ASMSTART
	v_cvt_f32_f16 v82, v82;
	;;#ASMEND
	;;#ASMSTART
	v_cvt_f32_f16 v83, v83;
	;;#ASMEND
	s_delay_alu instid0(VALU_DEP_1)
	v_dual_fmac_f32 v70, v80, v82 :: v_dual_fmac_f32 v71, v81, v83
	;; [unrolled: 37-line block ×16, first 2 shown]
	ds_load_b64 v[80:81], v51 offset:160
	v_and_b32_e32 v83, 0xffff, v154
	v_and_b32_e32 v84, 0xffff, v153
	s_wait_dscnt 0x0
	v_lshrrev_b32_e32 v82, 16, v80
	v_and_b32_e32 v80, 0xffff, v80
	;;#ASMSTART
	v_cvt_f32_f16 v80, v80;
	;;#ASMEND
	;;#ASMSTART
	v_cvt_f32_f16 v82, v82;
	;;#ASMEND
	;; [unrolled: 3-line block ×4, first 2 shown]
	v_dual_fmac_f32 v68, v80, v83 :: v_dual_fmac_f32 v69, v82, v84
	v_lshrrev_b32_e32 v82, 16, v81
	v_and_b32_e32 v80, 0xffff, v81
	;;#ASMSTART
	v_cvt_f32_f16 v80, v80;
	;;#ASMEND
	;;#ASMSTART
	v_cvt_f32_f16 v81, v82;
	;;#ASMEND
	v_and_b32_e32 v82, 0xffff, v120
	;;#ASMSTART
	v_cvt_f32_f16 v82, v82;
	;;#ASMEND
	s_delay_alu instid0(VALU_DEP_1) | instskip(SKIP_1) | instid1(VALU_DEP_1)
	v_dual_fmac_f32 v70, v80, v82 :: v_dual_and_b32 v83, 0xffff, v111
	;;#ASMSTART
	v_cvt_f32_f16 v83, v83;
	;;#ASMEND
	v_fmac_f32_e32 v71, v81, v83
	ds_load_b64 v[80:81], v51 offset:168
	v_and_b32_e32 v83, 0xffff, v152
	v_and_b32_e32 v84, 0xffff, v143
	s_wait_dscnt 0x0
	v_lshrrev_b32_e32 v82, 16, v80
	v_and_b32_e32 v80, 0xffff, v80
	;;#ASMSTART
	v_cvt_f32_f16 v80, v80;
	;;#ASMEND
	;;#ASMSTART
	v_cvt_f32_f16 v82, v82;
	;;#ASMEND
	;; [unrolled: 3-line block ×4, first 2 shown]
	v_dual_fmac_f32 v68, v80, v83 :: v_dual_and_b32 v83, 0xffff, v141
	v_fmac_f32_e32 v69, v82, v84
	v_lshrrev_b32_e32 v82, 16, v81
	v_and_b32_e32 v80, 0xffff, v81
	;;#ASMSTART
	v_cvt_f32_f16 v80, v80;
	;;#ASMEND
	;;#ASMSTART
	v_cvt_f32_f16 v81, v82;
	;;#ASMEND
	v_and_b32_e32 v82, 0xffff, v142
	;;#ASMSTART
	v_cvt_f32_f16 v82, v82;
	;;#ASMEND
	;;#ASMSTART
	v_cvt_f32_f16 v83, v83;
	;;#ASMEND
	s_delay_alu instid0(VALU_DEP_1)
	v_dual_fmac_f32 v70, v80, v82 :: v_dual_fmac_f32 v71, v81, v83
	ds_load_b64 v[80:81], v51 offset:176
	v_and_b32_e32 v83, 0xffff, v140
	v_and_b32_e32 v84, 0xffff, v139
	s_wait_dscnt 0x0
	v_lshrrev_b32_e32 v82, 16, v80
	v_and_b32_e32 v80, 0xffff, v80
	;;#ASMSTART
	v_cvt_f32_f16 v80, v80;
	;;#ASMEND
	;;#ASMSTART
	v_cvt_f32_f16 v82, v82;
	;;#ASMEND
	;; [unrolled: 3-line block ×4, first 2 shown]
	v_dual_fmac_f32 v68, v80, v83 :: v_dual_and_b32 v83, 0xffff, v137
	v_fmac_f32_e32 v69, v82, v84
	v_lshrrev_b32_e32 v82, 16, v81
	v_and_b32_e32 v80, 0xffff, v81
	;;#ASMSTART
	v_cvt_f32_f16 v80, v80;
	;;#ASMEND
	;;#ASMSTART
	v_cvt_f32_f16 v81, v82;
	;;#ASMEND
	v_and_b32_e32 v82, 0xffff, v138
	;;#ASMSTART
	v_cvt_f32_f16 v82, v82;
	;;#ASMEND
	;;#ASMSTART
	v_cvt_f32_f16 v83, v83;
	;;#ASMEND
	s_delay_alu instid0(VALU_DEP_1)
	v_dual_fmac_f32 v70, v80, v82 :: v_dual_fmac_f32 v71, v81, v83
	ds_load_b64 v[80:81], v51 offset:184
	v_and_b32_e32 v83, 0xffff, v126
	v_and_b32_e32 v84, 0xffff, v125
	s_wait_dscnt 0x0
	v_lshrrev_b32_e32 v82, 16, v80
	v_and_b32_e32 v80, 0xffff, v80
	;;#ASMSTART
	v_cvt_f32_f16 v80, v80;
	;;#ASMEND
	;;#ASMSTART
	v_cvt_f32_f16 v82, v82;
	;;#ASMEND
	;;#ASMSTART
	v_cvt_f32_f16 v83, v83;
	;;#ASMEND
	;;#ASMSTART
	v_cvt_f32_f16 v84, v84;
	;;#ASMEND
	v_dual_fmac_f32 v68, v80, v83 :: v_dual_fmac_f32 v69, v82, v84
	v_lshrrev_b32_e32 v82, 16, v81
	v_and_b32_e32 v80, 0xffff, v81
	;;#ASMSTART
	v_cvt_f32_f16 v80, v80;
	;;#ASMEND
	;;#ASMSTART
	v_cvt_f32_f16 v81, v82;
	;;#ASMEND
	v_and_b32_e32 v82, 0xffff, v124
	v_and_b32_e32 v83, 0xffff, v123
	;;#ASMSTART
	v_cvt_f32_f16 v82, v82;
	;;#ASMEND
	;;#ASMSTART
	v_cvt_f32_f16 v83, v83;
	;;#ASMEND
	s_delay_alu instid0(VALU_DEP_1)
	v_dual_fmac_f32 v70, v80, v82 :: v_dual_fmac_f32 v71, v81, v83
	ds_load_b64 v[80:81], v51 offset:192
	v_and_b32_e32 v83, 0xffff, v122
	v_and_b32_e32 v84, 0xffff, v121
	s_wait_dscnt 0x0
	v_lshrrev_b32_e32 v82, 16, v80
	v_and_b32_e32 v80, 0xffff, v80
	;;#ASMSTART
	v_cvt_f32_f16 v80, v80;
	;;#ASMEND
	;;#ASMSTART
	v_cvt_f32_f16 v82, v82;
	;;#ASMEND
	;;#ASMSTART
	v_cvt_f32_f16 v83, v83;
	;;#ASMEND
	;;#ASMSTART
	v_cvt_f32_f16 v84, v84;
	;;#ASMEND
	v_dual_fmac_f32 v68, v80, v83 :: v_dual_fmac_f32 v69, v82, v84
	v_lshrrev_b32_e32 v82, 16, v81
	v_and_b32_e32 v80, 0xffff, v81
	;;#ASMSTART
	v_cvt_f32_f16 v80, v80;
	;;#ASMEND
	;;#ASMSTART
	v_cvt_f32_f16 v81, v82;
	;;#ASMEND
	v_and_b32_e32 v82, 0xffff, v110
	;; [unrolled: 37-line block ×7, first 2 shown]
	v_and_b32_e32 v83, 0xffff, v57
	;;#ASMSTART
	v_cvt_f32_f16 v82, v82;
	;;#ASMEND
	;;#ASMSTART
	v_cvt_f32_f16 v83, v83;
	;;#ASMEND
	s_delay_alu instid0(VALU_DEP_1)
	v_dual_fmac_f32 v70, v80, v82 :: v_dual_fmac_f32 v71, v81, v83
	ds_load_b64 v[80:81], v51 offset:240
	s_wait_dscnt 0x0
	v_lshrrev_b32_e32 v82, 16, v80
	v_and_b32_e32 v80, 0xffff, v80
	;;#ASMSTART
	v_cvt_f32_f16 v80, v80;
	;;#ASMEND
	;;#ASMSTART
	v_cvt_f32_f16 v82, v82;
	;;#ASMEND
	;; [unrolled: 3-line block ×4, first 2 shown]
	v_dual_fmac_f32 v68, v80, v21 :: v_dual_fmac_f32 v69, v82, v20
	v_lshrrev_b32_e32 v21, 16, v81
	v_and_b32_e32 v20, 0xffff, v81
	;;#ASMSTART
	v_cvt_f32_f16 v20, v20;
	;;#ASMEND
	;;#ASMSTART
	v_cvt_f32_f16 v21, v21;
	;;#ASMEND
	;; [unrolled: 3-line block ×4, first 2 shown]
	v_fmac_f32_e32 v70, v20, v16
	v_fmac_f32_e32 v71, v21, v12
	ds_load_b64 v[20:21], v51 offset:248
	s_wait_dscnt 0x0
	v_lshrrev_b32_e32 v16, 16, v20
	v_and_b32_e32 v12, 0xffff, v20
	;;#ASMSTART
	v_cvt_f32_f16 v12, v12;
	;;#ASMEND
	;;#ASMSTART
	v_cvt_f32_f16 v16, v16;
	;;#ASMEND
	v_and_b32_e32 v20, 0xffff, v67
	;;#ASMSTART
	v_cvt_f32_f16 v20, v20;
	;;#ASMEND
	;;#ASMSTART
	v_cvt_f32_f16 v66, v66;
	;;#ASMEND
	s_delay_alu instid0(VALU_DEP_1)
	v_fmac_f32_e32 v68, v12, v20
	v_fmac_f32_e32 v69, v16, v66
	v_lshrrev_b32_e32 v16, 16, v21
	v_and_b32_e32 v12, 0xffff, v21
	;;#ASMSTART
	v_cvt_f32_f16 v12, v12;
	;;#ASMEND
	;;#ASMSTART
	v_cvt_f32_f16 v16, v16;
	;;#ASMEND
	v_and_b32_e32 v20, 0xffff, v65
	v_and_b32_e32 v21, 0xffff, v64
	;;#ASMSTART
	v_cvt_f32_f16 v20, v20;
	;;#ASMEND
	;;#ASMSTART
	v_cvt_f32_f16 v21, v21;
	;;#ASMEND
	s_delay_alu instid0(VALU_DEP_1) | instskip(SKIP_3) | instid1(VALU_DEP_3)
	v_fmac_f32_e32 v71, v16, v21
	v_xor_b32_e32 v16, 1, v39
	v_fmac_f32_e32 v70, v12, v20
	v_add_f32_e32 v12, v68, v69
	v_cmp_gt_i32_e64 s3, 32, v16
	s_delay_alu instid0(VALU_DEP_2) | instskip(SKIP_1) | instid1(VALU_DEP_2)
	v_add_f32_e32 v12, v12, v70
	s_wait_alu 0xf1ff
	v_cndmask_b32_e64 v16, v39, v16, s3
	s_delay_alu instid0(VALU_DEP_2) | instskip(NEXT) | instid1(VALU_DEP_2)
	v_add_f32_e32 v12, v71, v12
	v_lshlrev_b32_e32 v16, 2, v16
	ds_bpermute_b32 v16, v16, v12
	s_and_saveexec_b32 s4, vcc_lo
	s_cbranch_execz .LBB281_9
; %bb.1035:                             ;   in Loop: Header=BB281_10 Depth=1
	v_add_nc_u32_e32 v20, v52, v53
	s_load_b32 s19, s[8:9], 0x0
	s_wait_dscnt 0x0
	v_add_f32_e32 v12, v12, v16
	v_cmp_lt_i32_e64 s3, v53, v32
	v_cvt_f32_i32_e32 v20, v20
	s_delay_alu instid0(VALU_DEP_1) | instskip(NEXT) | instid1(VALU_DEP_1)
	v_mul_f32_e32 v20, v48, v20
	v_cndmask_b32_e64 v16, 0, v20, s2
	s_delay_alu instid0(VALU_DEP_1) | instskip(SKIP_3) | instid1(VALU_DEP_2)
	v_fmac_f32_e32 v16, v13, v12
	v_max_num_f32_e32 v12, v50, v50
	s_wait_kmcnt 0x0
	v_add_nc_u32_e32 v20, s19, v54
	v_max_num_f32_e32 v12, v12, v16
	s_wait_alu 0xf1ff
	v_cndmask_b32_e64 v16, 0, v16, s3
	s_delay_alu instid0(VALU_DEP_2)
	v_cndmask_b32_e64 v50, v50, v12, s3
	ds_store_b32 v20, v16
	s_branch .LBB281_9
.LBB281_1036:
	s_or_b32 exec_lo, exec_lo, s11
.LBB281_1037:
	s_delay_alu instid0(SALU_CYCLE_1) | instskip(SKIP_3) | instid1(VALU_DEP_3)
	s_or_b32 exec_lo, exec_lo, s18
	v_xor_b32_e32 v8, 16, v39
	v_xor_b32_e32 v9, 8, v39
	v_lshlrev_b32_e32 v21, 2, v31
	v_cmp_lt_i32_e32 vcc_lo, v8, v49
	s_wait_alu 0xfffd
	v_cndmask_b32_e32 v8, v39, v8, vcc_lo
	v_cmp_lt_i32_e32 vcc_lo, v9, v49
	s_wait_alu 0xfffd
	v_dual_max_num_f32 v12, v50, v50 :: v_dual_cndmask_b32 v9, v39, v9
	s_delay_alu instid0(VALU_DEP_1) | instskip(SKIP_4) | instid1(VALU_DEP_1)
	v_lshlrev_b32_e32 v19, 2, v9
	v_lshlrev_b32_e32 v18, 2, v8
	ds_bpermute_b32 v8, v18, v50
	s_wait_dscnt 0x0
	v_max_num_f32_e32 v8, v8, v8
	v_max_num_f32_e32 v8, v12, v8
	v_xor_b32_e32 v12, 4, v39
	ds_bpermute_b32 v9, v19, v8
	v_cmp_lt_i32_e32 vcc_lo, v12, v49
	s_wait_alu 0xfffd
	v_cndmask_b32_e32 v12, v39, v12, vcc_lo
	s_delay_alu instid0(VALU_DEP_1) | instskip(SKIP_1) | instid1(VALU_DEP_1)
	v_lshlrev_b32_e32 v20, 2, v12
	v_xor_b32_e32 v12, 2, v39
	v_cmp_lt_i32_e32 vcc_lo, v12, v49
	s_wait_dscnt 0x0
	s_wait_alu 0xfffd
	v_dual_max_num_f32 v9, v9, v9 :: v_dual_cndmask_b32 v12, v39, v12
	s_delay_alu instid0(VALU_DEP_1) | instskip(NEXT) | instid1(VALU_DEP_2)
	v_max_num_f32_e32 v8, v8, v9
	v_lshlrev_b32_e32 v16, 2, v12
	v_and_b32_e32 v12, 31, v29
	ds_bpermute_b32 v9, v20, v8
	v_cmp_eq_u32_e32 vcc_lo, 0, v12
	s_wait_dscnt 0x0
	v_max_num_f32_e32 v9, v9, v9
	s_delay_alu instid0(VALU_DEP_1)
	v_max_num_f32_e32 v8, v8, v9
	ds_bpermute_b32 v9, v16, v8
	s_and_saveexec_b32 s2, vcc_lo
	s_cbranch_execz .LBB281_1039
; %bb.1038:
	s_wait_dscnt 0x0
	v_dual_max_num_f32 v9, v9, v9 :: v_dual_max_num_f32 v8, v8, v8
	s_delay_alu instid0(VALU_DEP_1)
	v_max_num_f32_e32 v8, v8, v9
	ds_store_b32 v21, v8 offset:512
.LBB281_1039:
	s_wait_alu 0xfffe
	s_or_b32 exec_lo, exec_lo, s2
	v_cmp_gt_u32_e64 s2, 4, v12
	v_mov_b32_e32 v8, 0xff7fffff
	v_lshlrev_b32_e32 v24, 2, v12
	s_wait_loadcnt_dscnt 0x0
	s_barrier_signal -1
	s_barrier_wait -1
	global_inv scope:SCOPE_SE
	s_and_saveexec_b32 s3, s2
; %bb.1040:
	ds_load_b32 v8, v24 offset:512
; %bb.1041:
	s_wait_alu 0xfffe
	s_or_b32 exec_lo, exec_lo, s3
	s_wait_dscnt 0x0
	ds_bpermute_b32 v9, v16, v8
	v_xor_b32_e32 v13, 1, v39
	v_max_num_f32_e32 v8, v8, v8
	v_subrev_nc_u32_e32 v25, s17, v33
	s_delay_alu instid0(VALU_DEP_3) | instskip(SKIP_1) | instid1(VALU_DEP_1)
	v_cmp_lt_i32_e64 s3, v13, v49
	s_wait_alu 0xf1ff
	v_cndmask_b32_e64 v13, v39, v13, s3
	s_delay_alu instid0(VALU_DEP_1) | instskip(SKIP_2) | instid1(VALU_DEP_1)
	v_lshlrev_b32_e32 v13, 2, v13
	s_wait_dscnt 0x0
	v_max_num_f32_e32 v9, v9, v9
	v_max_num_f32_e32 v8, v8, v9
	ds_bpermute_b32 v9, v13, v8
	s_wait_dscnt 0x0
	v_max_num_f32_e32 v9, v9, v9
	s_delay_alu instid0(VALU_DEP_1)
	v_max_num_f32_e32 v8, v8, v9
	v_lshlrev_b32_e32 v9, 2, v17
	v_lshl_add_u32 v17, v25, 4, s13
	ds_bpermute_b32 v8, v9, v8
	v_min_i32_e32 v9, v17, v32
	v_mov_b32_e32 v17, 0
	s_delay_alu instid0(VALU_DEP_2) | instskip(NEXT) | instid1(VALU_DEP_1)
	v_subrev_nc_u32_e32 v9, s13, v9
	v_cmp_lt_i32_e64 s3, v29, v9
	s_and_saveexec_b32 s8, s3
	s_cbranch_execz .LBB281_1045
; %bb.1042:
	s_getpc_b64 s[18:19]
	s_wait_alu 0xfffe
	s_sext_i32_i16 s19, s19
	s_add_co_u32 s18, s18, llvm.amdgcn.dynlds.offset.table@rel32@lo+12
	s_wait_alu 0xfffe
	s_add_co_ci_u32 s19, s19, llvm.amdgcn.dynlds.offset.table@rel32@hi+24
	s_ashr_i32 s11, s10, 31
	v_dual_mov_b32 v17, 0 :: v_dual_mov_b32 v48, v29
	s_wait_alu 0xfffe
	s_lshl_b64 s[20:21], s[10:11], 2
	s_mov_b32 s9, 0
	s_wait_alu 0xfffe
	s_add_nc_u64 s[18:19], s[18:19], s[20:21]
	s_load_b32 s4, s[18:19], 0x0
	s_wait_kmcnt 0x0
	v_lshl_add_u32 v25, v29, 2, s4
.LBB281_1043:                           ; =>This Inner Loop Header: Depth=1
	ds_load_b32 v49, v25
	s_wait_dscnt 0x0
	v_sub_f32_e32 v49, v49, v8
	s_delay_alu instid0(VALU_DEP_1) | instskip(NEXT) | instid1(VALU_DEP_1)
	v_mul_f32_e32 v49, 0x3fb8aa3b, v49
	v_exp_f32_e32 v49, v49
	s_delay_alu instid0(TRANS32_DEP_1) | instskip(NEXT) | instid1(VALU_DEP_1)
	v_dual_add_f32 v17, v17, v49 :: v_dual_add_nc_u32 v48, 0x80, v48
	v_cmp_ge_i32_e64 s4, v48, v9
	ds_store_b32 v25, v49
	v_add_nc_u32_e32 v25, 0x200, v25
	s_or_b32 s9, s4, s9
	s_wait_alu 0xfffe
	s_and_not1_b32 exec_lo, exec_lo, s9
	s_cbranch_execnz .LBB281_1043
; %bb.1044:
	s_or_b32 exec_lo, exec_lo, s9
.LBB281_1045:
	s_wait_alu 0xfffe
	s_or_b32 exec_lo, exec_lo, s8
	ds_bpermute_b32 v18, v18, v17
	s_wait_dscnt 0x0
	v_add_f32_e32 v17, v17, v18
	ds_bpermute_b32 v18, v19, v17
	s_wait_dscnt 0x0
	v_add_f32_e32 v17, v17, v18
	;; [unrolled: 3-line block ×5, first 2 shown]
	s_and_saveexec_b32 s4, vcc_lo
; %bb.1046:
	ds_store_b32 v21, v17 offset:528
; %bb.1047:
	s_wait_alu 0xfffe
	s_or_b32 exec_lo, exec_lo, s4
	s_wait_loadcnt_dscnt 0x0
	s_barrier_signal -1
	s_barrier_wait -1
	global_inv scope:SCOPE_SE
	s_and_saveexec_b32 s4, s2
; %bb.1048:
	ds_load_b32 v17, v24 offset:528
; %bb.1049:
	s_wait_alu 0xfffe
	s_or_b32 exec_lo, exec_lo, s4
	s_wait_dscnt 0x0
	ds_bpermute_b32 v16, v16, v17
	v_lshlrev_b32_e32 v18, 2, v39
	s_wait_dscnt 0x0
	v_add_f32_e32 v16, v17, v16
	ds_bpermute_b32 v17, v13, v16
	s_wait_dscnt 0x0
	v_dual_add_f32 v16, v16, v17 :: v_dual_and_b32 v17, 0xffffff80, v18
	ds_bpermute_b32 v16, v17, v16
	s_and_saveexec_b32 s2, s3
	s_cbranch_execz .LBB281_1052
; %bb.1050:
	s_wait_dscnt 0x0
	v_add_f32_e32 v18, 0x358637bd, v16
	s_ashr_i32 s11, s10, 31
	s_getpc_b64 s[8:9]
	s_wait_alu 0xfffe
	s_sext_i32_i16 s9, s9
	s_add_co_u32 s8, s8, llvm.amdgcn.dynlds.offset.table@rel32@lo+12
	s_wait_alu 0xfffe
	s_add_co_ci_u32 s9, s9, llvm.amdgcn.dynlds.offset.table@rel32@hi+24
	s_lshl_b64 s[18:19], s[10:11], 2
	s_wait_alu 0xfffe
	s_add_nc_u64 s[8:9], s[8:9], s[18:19]
	v_div_scale_f32 v17, null, v18, v18, 1.0
	s_load_b32 s3, s[8:9], 0x0
	v_rcp_f32_e32 v19, v17
	s_delay_alu instid0(TRANS32_DEP_1) | instskip(NEXT) | instid1(VALU_DEP_1)
	v_fma_f32 v20, -v17, v19, 1.0
	v_fmac_f32_e32 v19, v20, v19
	v_div_scale_f32 v21, vcc_lo, 1.0, v18, 1.0
	s_delay_alu instid0(VALU_DEP_1) | instskip(NEXT) | instid1(VALU_DEP_1)
	v_mul_f32_e32 v20, v21, v19
	v_fma_f32 v24, -v17, v20, v21
	s_delay_alu instid0(VALU_DEP_1) | instskip(NEXT) | instid1(VALU_DEP_1)
	v_fmac_f32_e32 v20, v24, v19
	v_fma_f32 v17, -v17, v20, v21
	s_wait_alu 0xfffd
	s_delay_alu instid0(VALU_DEP_1) | instskip(SKIP_3) | instid1(VALU_DEP_2)
	v_div_fmas_f32 v19, v17, v19, v20
	s_wait_kmcnt 0x0
	v_lshl_add_u32 v17, v29, 2, s3
	s_mov_b32 s3, 0
	v_div_fixup_f32 v18, v19, v18, 1.0
	v_mov_b32_e32 v19, v29
.LBB281_1051:                           ; =>This Inner Loop Header: Depth=1
	ds_load_b32 v20, v17
	s_wait_dscnt 0x0
	v_dual_mul_f32 v20, v18, v20 :: v_dual_add_nc_u32 v19, 0x80, v19
	s_delay_alu instid0(VALU_DEP_1)
	v_cmp_ge_i32_e32 vcc_lo, v19, v9
	ds_store_b32 v17, v20
	v_add_nc_u32_e32 v17, 0x200, v17
	s_wait_alu 0xfffe
	s_or_b32 s3, vcc_lo, s3
	s_wait_alu 0xfffe
	s_and_not1_b32 exec_lo, exec_lo, s3
	s_cbranch_execnz .LBB281_1051
.LBB281_1052:
	s_wait_alu 0xfffe
	s_or_b32 exec_lo, exec_lo, s2
	s_and_b32 s2, 0xffff, s16
	s_mov_b32 s4, exec_lo
	s_wait_alu 0xfffe
	s_cmp_lg_u32 s2, 0
	s_wait_loadcnt_dscnt 0x0
	s_cselect_b32 s2, -1, 0
	s_barrier_signal -1
	s_wait_alu 0xfffe
	s_cmp_lg_u32 s2, 0
	s_barrier_wait -1
	s_wait_kmcnt 0x0
	s_add_co_ci_u32 s7, s7, 0
	global_inv scope:SCOPE_SE
	s_wait_alu 0xfffe
	s_mul_i32 s2, s7, s14
	s_wait_alu 0xfffe
	s_mul_i32 s2, s2, s15
	v_cmpx_eq_u32_e32 0, v29
	s_cbranch_execz .LBB281_1054
; %bb.1053:
	s_wait_alu 0xfffe
	s_ashr_i32 s3, s2, 31
	s_mul_i32 s8, s7, ttmp9
	s_wait_alu 0xfffe
	s_lshl_b64 s[14:15], s[2:3], 2
	s_ashr_i32 s9, s8, 31
	s_wait_alu 0xfffe
	v_add_co_u32 v2, vcc_lo, v2, s14
	s_wait_alu 0xfffd
	v_add_co_ci_u32_e64 v3, null, s15, v3, vcc_lo
	s_lshl_b64 s[8:9], s[8:9], 2
	s_lshl_b32 s3, s5, 2
	s_wait_alu 0xfffe
	v_add_co_u32 v2, vcc_lo, v2, s8
	s_wait_alu 0xfffd
	v_add_co_ci_u32_e64 v3, null, s9, v3, vcc_lo
	v_add_co_u32 v0, vcc_lo, v0, s14
	s_wait_alu 0xfffd
	v_add_co_ci_u32_e64 v1, null, s15, v1, vcc_lo
	s_delay_alu instid0(VALU_DEP_2) | instskip(SKIP_1) | instid1(VALU_DEP_2)
	v_add_co_u32 v9, vcc_lo, v0, s8
	s_wait_alu 0xfffd
	v_add_co_ci_u32_e64 v17, null, s9, v1, vcc_lo
	v_add_co_u32 v0, vcc_lo, v2, s3
	s_wait_alu 0xfffd
	v_add_co_ci_u32_e64 v1, null, 0, v3, vcc_lo
	;; [unrolled: 3-line block ×3, first 2 shown]
	flat_store_b32 v[0:1], v8
	flat_store_b32 v[2:3], v16
.LBB281_1054:
	s_or_b32 exec_lo, exec_lo, s4
	s_and_saveexec_b32 s3, s1
	s_wait_alu 0xfffe
	s_xor_b32 s1, exec_lo, s3
; %bb.1055:
	s_ashr_i32 s11, s10, 31
                                        ; implicit-def: $vgpr32
                                        ; implicit-def: $vgpr36
                                        ; implicit-def: $vgpr33
                                        ; implicit-def: $vgpr34
                                        ; implicit-def: $vgpr10
                                        ; implicit-def: $vgpr11
                                        ; implicit-def: $vgpr14
                                        ; implicit-def: $vgpr15
                                        ; implicit-def: $vgpr22
                                        ; implicit-def: $vgpr26_vgpr27
                                        ; implicit-def: $vgpr37
                                        ; implicit-def: $vgpr38
                                        ; implicit-def: $vgpr6_vgpr7
                                        ; implicit-def: $vgpr23
                                        ; implicit-def: $vgpr35
; %bb.1056:
	s_wait_alu 0xfffe
	s_or_saveexec_b32 s3, s1
	v_dual_mov_b32 v0, s10 :: v_dual_mov_b32 v53, 0
	v_dual_mov_b32 v52, 0 :: v_dual_mov_b32 v1, s11
	;; [unrolled: 1-line block ×9, first 2 shown]
	s_wait_alu 0xfffe
	s_xor_b32 exec_lo, exec_lo, s3
	s_cbranch_execz .LBB281_2116
; %bb.1057:
	s_getpc_b64 s[4:5]
	s_wait_alu 0xfffe
	s_sext_i32_i16 s5, s5
	s_add_co_u32 s4, s4, llvm.amdgcn.dynlds.offset.table@rel32@lo+12
	s_wait_alu 0xfffe
	s_add_co_ci_u32 s5, s5, llvm.amdgcn.dynlds.offset.table@rel32@hi+24
	s_ashr_i32 s11, s10, 31
	v_add_co_u32 v2, vcc_lo, v10, v37
	s_wait_alu 0xfffe
	s_lshl_b64 s[8:9], s[10:11], 2
	v_dual_mov_b32 v17, 0 :: v_dual_and_b32 v8, 0xf8, v35
	s_wait_alu 0xfffe
	s_add_nc_u64 s[4:5], s[4:5], s[8:9]
	v_dual_mov_b32 v18, 0 :: v_dual_and_b32 v9, 1, v29
	s_load_b32 s1, s[4:5], 0x0
	v_add_co_ci_u32_e64 v3, null, v11, v38, vcc_lo
	v_add_co_u32 v2, vcc_lo, v2, v8
	s_delay_alu instid0(VALU_DEP_3) | instskip(SKIP_1) | instid1(VALU_DEP_3)
	v_dual_mov_b32 v19, 0 :: v_dual_lshlrev_b32 v8, 5, v9
	s_wait_alu 0xfffd
	v_add_co_ci_u32_e64 v3, null, 0, v3, vcc_lo
	v_add_co_u32 v6, vcc_lo, v6, v23
	v_dual_mov_b32 v1, 0 :: v_dual_and_b32 v0, 8, v35
	s_wait_alu 0xfffd
	v_add_co_ci_u32_e64 v7, null, 0, v7, vcc_lo
	v_lshl_add_u32 v9, v31, 4, s13
	v_lshl_or_b32 v8, v31, 6, v8
	v_add_co_u32 v6, vcc_lo, v14, v6
	v_dual_mov_b32 v16, 0 :: v_dual_add_nc_u32 v35, -1, v36
	s_wait_alu 0xfffd
	v_add_co_ci_u32_e64 v7, null, v15, v7, vcc_lo
	v_add3_u32 v14, v9, v0, 7
	s_wait_kmcnt 0x0
	v_dual_mov_b32 v20, 0 :: v_dual_add_nc_u32 v15, s1, v8
	v_dual_mov_b32 v21, 0 :: v_dual_mov_b32 v24, 0
	v_dual_mov_b32 v25, 0 :: v_dual_mov_b32 v48, 0
	;; [unrolled: 1-line block ×5, first 2 shown]
	v_mov_b32_e32 v53, 0
	s_mov_b32 s4, -1
	s_mov_b32 s5, 0xffffff
	s_mov_b32 s8, 0
	s_branch .LBB281_1059
.LBB281_1058:                           ;   in Loop: Header=BB281_1059 Depth=1
	s_wait_alu 0xfffe
	s_or_b32 exec_lo, exec_lo, s1
	v_dual_add_f32 v10, v10, v11 :: v_dual_add_f32 v11, v128, v129
	v_dual_add_f32 v23, v118, v119 :: v_dual_add_f32 v66, v116, v117
	v_add_f32_e32 v67, v102, v103
	s_delay_alu instid0(VALU_DEP_3) | instskip(SKIP_1) | instid1(VALU_DEP_4)
	v_dual_add_f32 v17, v17, v10 :: v_dual_add_f32 v18, v18, v11
	v_dual_add_f32 v10, v114, v115 :: v_dual_add_f32 v11, v112, v113
	;; [unrolled: 1-line block ×4, first 2 shown]
	s_delay_alu instid0(VALU_DEP_3) | instskip(SKIP_1) | instid1(VALU_DEP_3)
	v_dual_add_f32 v21, v21, v10 :: v_dual_add_f32 v24, v24, v11
	v_dual_add_f32 v10, v100, v101 :: v_dual_add_f32 v25, v25, v67
	;; [unrolled: 1-line block ×3, first 2 shown]
	s_delay_alu instid0(VALU_DEP_4) | instskip(NEXT) | instid1(VALU_DEP_3)
	v_add_f32_e32 v49, v49, v23
	v_add_f32_e32 v39, v39, v10
	;;#ASMSTART
	v_pk_mul_f16 v10, v64, v130;

	;;#ASMEND
	;;#ASMSTART
	v_pk_mul_f16 v0, v38, v0;

	;;#ASMEND
	;; [unrolled: 4-line block ×4, first 2 shown]
	;;#ASMSTART
	v_pk_add_f16 v0, v10, v0;

	;;#ASMEND
	;;#ASMSTART
	v_pk_add_f16 v0, v0, v9;

	;;#ASMEND
	;; [unrolled: 4-line block ×3, first 2 shown]
	v_dual_add_f32 v11, v98, v99 :: v_dual_and_b32 v10, 0xffff, v0
	v_add_nc_u32_e32 v34, 4, v34
	;;#ASMSTART
	v_cvt_f32_f16 v10, v10;
	;;#ASMEND
	v_add_f32_e32 v8, v80, v81
	s_delay_alu instid0(VALU_DEP_3) | instskip(SKIP_4) | instid1(VALU_DEP_3)
	v_add_f32_e32 v48, v48, v11
	v_lshrrev_b32_e32 v11, 16, v0
	v_add_f32_e32 v0, v82, v83
	v_add_f32_e32 v51, v51, v67
	;;#ASMSTART
	v_cvt_f32_f16 v11, v11;
	;;#ASMEND
	v_dual_add_f32 v9, v55, v65 :: v_dual_add_f32 v10, v10, v11
	v_cmp_ge_i32_e32 vcc_lo, v34, v33
	v_add_co_u32 v6, s1, v6, 16
	s_delay_alu instid0(VALU_DEP_3)
	v_dual_add_f32 v53, v53, v0 :: v_dual_add_f32 v52, v52, v9
	v_dual_add_f32 v54, v54, v8 :: v_dual_add_nc_u32 v15, 0x100, v15
	v_add_f32_e32 v16, v16, v10
	s_wait_alu 0xf1ff
	v_add_co_ci_u32_e64 v7, null, 0, v7, s1
	v_add_nc_u32_e32 v14, 64, v14
	s_or_b32 s8, vcc_lo, s8
	s_wait_alu 0xfffe
	s_and_not1_b32 exec_lo, exec_lo, s8
	s_cbranch_execz .LBB281_2115
.LBB281_1059:                           ; =>This Inner Loop Header: Depth=1
	flat_load_b32 v0, v[6:7]
	ds_load_2addr_b64 v[64:67], v15 offset1:1
	ds_load_2addr_b64 v[68:71], v15 offset0:2 offset1:3
	s_mov_b32 s1, exec_lo
	s_wait_dscnt 0x1
	;;#ASMSTART
	v_cvt_f16_f32 v36, v64;

	;;#ASMEND
	;;#ASMSTART
	v_cvt_f16_f32 v37, v65;

	;;#ASMEND
	;; [unrolled: 4-line block ×4, first 2 shown]
	s_wait_dscnt 0x0
	;;#ASMSTART
	v_cvt_f16_f32 v80, v68;

	;;#ASMEND
	;;#ASMSTART
	v_cvt_f16_f32 v55, v69;

	;;#ASMEND
	;; [unrolled: 4-line block ×4, first 2 shown]
	v_mov_b32_e32 v67, 0
	s_wait_loadcnt 0x0
	v_mad_co_i64_i32 v[8:9], null, v0, v22, v[2:3]
	flat_load_b64 v[10:11], v[8:9]
	flat_load_b32 v66, v[26:27]
	s_wait_loadcnt_dscnt 0x101
	v_and_b32_e32 v0, 0xff, v10
	s_delay_alu instid0(VALU_DEP_1)
	v_cmpx_ne_u16_e32 0, v0
	s_cbranch_execz .LBB281_1067
; %bb.1060:                             ;   in Loop: Header=BB281_1059 Depth=1
	v_mov_b32_e32 v67, 0x8000
	s_mov_b32 s9, exec_lo
	v_cmpx_ne_u16_e32 0x80, v0
	s_cbranch_execz .LBB281_1066
; %bb.1061:                             ;   in Loop: Header=BB281_1059 Depth=1
	v_and_b32_e32 v68, 0x7f, v10
	v_mov_b32_e32 v67, 0x7c01
	s_mov_b32 s14, exec_lo
	s_delay_alu instid0(VALU_DEP_2)
	v_cmpx_ne_u32_e32 0x7f, v68
	s_cbranch_execz .LBB281_1065
; %bb.1062:                             ;   in Loop: Header=BB281_1059 Depth=1
	v_and_b32_e32 v0, 7, v10
	v_lshrrev_b32_e32 v23, 3, v68
	s_mov_b32 s15, exec_lo
	v_cmpx_gt_u32_e32 8, v68
; %bb.1063:                             ;   in Loop: Header=BB281_1059 Depth=1
	s_delay_alu instid0(VALU_DEP_3) | instskip(NEXT) | instid1(VALU_DEP_1)
	v_clz_i32_u32_e32 v0, v0
	v_min_u32_e32 v0, 32, v0
	s_delay_alu instid0(VALU_DEP_1) | instskip(NEXT) | instid1(VALU_DEP_1)
	v_subrev_nc_u32_e32 v23, 28, v0
	v_lshlrev_b64_e32 v[67:68], v23, v[10:11]
	v_sub_nc_u32_e32 v23, 29, v0
	s_delay_alu instid0(VALU_DEP_2)
	v_and_b32_e32 v0, 7, v67
; %bb.1064:                             ;   in Loop: Header=BB281_1059 Depth=1
	s_wait_alu 0xfffe
	s_or_b32 exec_lo, exec_lo, s15
	v_lshlrev_b32_e32 v67, 8, v10
	v_lshl_add_u32 v23, v23, 10, 0x2000
	v_lshlrev_b32_e32 v0, 7, v0
	s_delay_alu instid0(VALU_DEP_3) | instskip(NEXT) | instid1(VALU_DEP_3)
	v_and_b32_e32 v67, 0x8000, v67
	v_and_b32_e32 v23, 0xfc00, v23
	s_delay_alu instid0(VALU_DEP_1)
	v_or3_b32 v67, v67, v23, v0
.LBB281_1065:                           ;   in Loop: Header=BB281_1059 Depth=1
	s_wait_alu 0xfffe
	s_or_b32 exec_lo, exec_lo, s14
.LBB281_1066:                           ;   in Loop: Header=BB281_1059 Depth=1
	s_wait_alu 0xfffe
	s_or_b32 exec_lo, exec_lo, s9
.LBB281_1067:                           ;   in Loop: Header=BB281_1059 Depth=1
	s_wait_alu 0xfffe
	s_or_b32 exec_lo, exec_lo, s1
	v_lshrrev_b16 v0, 8, v10
	v_dual_mov_b32 v23, 0 :: v_dual_mov_b32 v68, 0
	s_mov_b32 s1, exec_lo
	s_delay_alu instid0(VALU_DEP_2)
	v_cmpx_ne_u16_e32 0, v0
	s_cbranch_execz .LBB281_1075
; %bb.1068:                             ;   in Loop: Header=BB281_1059 Depth=1
	v_bfrev_b32_e32 v68, 1
	s_mov_b32 s9, exec_lo
	v_cmpx_ne_u16_e32 0x80, v0
	s_cbranch_execz .LBB281_1074
; %bb.1069:                             ;   in Loop: Header=BB281_1059 Depth=1
	v_and_b32_e32 v69, 0xffff, v0
	v_mov_b32_e32 v68, 0x7c010000
	s_mov_b32 s14, exec_lo
	s_delay_alu instid0(VALU_DEP_2) | instskip(NEXT) | instid1(VALU_DEP_1)
	v_and_b32_e32 v71, 0x7f, v69
	v_cmpx_ne_u32_e32 0x7f, v71
	s_cbranch_execz .LBB281_1073
; %bb.1070:                             ;   in Loop: Header=BB281_1059 Depth=1
	v_and_b32_e32 v68, 7, v69
	v_lshrrev_b32_e32 v70, 3, v71
	s_mov_b32 s15, exec_lo
	v_cmpx_gt_u32_e32 8, v71
; %bb.1071:                             ;   in Loop: Header=BB281_1059 Depth=1
	s_delay_alu instid0(VALU_DEP_3) | instskip(NEXT) | instid1(VALU_DEP_1)
	v_clz_i32_u32_e32 v68, v68
	v_min_u32_e32 v68, 32, v68
	s_delay_alu instid0(VALU_DEP_1) | instskip(NEXT) | instid1(VALU_DEP_1)
	v_subrev_nc_u32_e32 v70, 28, v68
	v_lshlrev_b64_e32 v[82:83], v70, v[0:1]
	v_sub_nc_u32_e32 v70, 29, v68
	s_delay_alu instid0(VALU_DEP_2)
	v_and_b32_e32 v68, 7, v82
; %bb.1072:                             ;   in Loop: Header=BB281_1059 Depth=1
	s_wait_alu 0xfffe
	s_or_b32 exec_lo, exec_lo, s15
	v_lshlrev_b32_e32 v0, 8, v69
	v_lshl_add_u32 v69, v70, 10, 0x2000
	v_lshlrev_b32_e32 v68, 23, v68
	s_delay_alu instid0(VALU_DEP_2) | instskip(NEXT) | instid1(VALU_DEP_1)
	v_and_or_b32 v0, 0x8000, v0, v69
	v_lshl_or_b32 v68, v0, 16, v68
.LBB281_1073:                           ;   in Loop: Header=BB281_1059 Depth=1
	s_wait_alu 0xfffe
	s_or_b32 exec_lo, exec_lo, s14
.LBB281_1074:                           ;   in Loop: Header=BB281_1059 Depth=1
	s_wait_alu 0xfffe
	s_or_b32 exec_lo, exec_lo, s9
.LBB281_1075:                           ;   in Loop: Header=BB281_1059 Depth=1
	s_wait_alu 0xfffe
	s_or_b32 exec_lo, exec_lo, s1
	v_lshrrev_b32_e32 v0, 16, v10
	s_mov_b32 s1, exec_lo
	s_delay_alu instid0(VALU_DEP_1) | instskip(NEXT) | instid1(VALU_DEP_1)
	v_and_b32_e32 v69, 0xff, v0
	v_cmpx_ne_u16_e32 0, v69
	s_cbranch_execz .LBB281_1083
; %bb.1076:                             ;   in Loop: Header=BB281_1059 Depth=1
	v_mov_b32_e32 v23, 0x8000
	s_mov_b32 s9, exec_lo
	v_cmpx_ne_u16_e32 0x80, v69
	s_cbranch_execz .LBB281_1082
; %bb.1077:                             ;   in Loop: Header=BB281_1059 Depth=1
	v_bfe_u32 v70, v10, 16, 7
	v_mov_b32_e32 v23, 0x7c01
	s_mov_b32 s14, exec_lo
	s_delay_alu instid0(VALU_DEP_2)
	v_cmpx_ne_u32_e32 0x7f, v70
	s_cbranch_execz .LBB281_1081
; %bb.1078:                             ;   in Loop: Header=BB281_1059 Depth=1
	v_and_b32_e32 v23, 7, v0
	v_lshrrev_b32_e32 v69, 3, v70
	s_mov_b32 s15, exec_lo
	v_cmpx_gt_u32_e32 8, v70
; %bb.1079:                             ;   in Loop: Header=BB281_1059 Depth=1
	s_delay_alu instid0(VALU_DEP_3) | instskip(NEXT) | instid1(VALU_DEP_1)
	v_clz_i32_u32_e32 v23, v23
	v_min_u32_e32 v23, 32, v23
	s_delay_alu instid0(VALU_DEP_1) | instskip(NEXT) | instid1(VALU_DEP_1)
	v_subrev_nc_u32_e32 v69, 28, v23
	v_lshlrev_b64_e32 v[70:71], v69, v[0:1]
	v_sub_nc_u32_e32 v69, 29, v23
	s_delay_alu instid0(VALU_DEP_2)
	v_and_b32_e32 v23, 7, v70
; %bb.1080:                             ;   in Loop: Header=BB281_1059 Depth=1
	s_wait_alu 0xfffe
	s_or_b32 exec_lo, exec_lo, s15
	v_lshlrev_b32_e32 v0, 8, v0
	v_lshl_add_u32 v69, v69, 10, 0x2000
	v_lshlrev_b32_e32 v23, 7, v23
	s_delay_alu instid0(VALU_DEP_3) | instskip(NEXT) | instid1(VALU_DEP_3)
	v_and_b32_e32 v0, 0x8000, v0
	v_and_b32_e32 v69, 0xfc00, v69
	s_delay_alu instid0(VALU_DEP_1)
	v_or3_b32 v23, v0, v69, v23
.LBB281_1081:                           ;   in Loop: Header=BB281_1059 Depth=1
	s_wait_alu 0xfffe
	s_or_b32 exec_lo, exec_lo, s14
.LBB281_1082:                           ;   in Loop: Header=BB281_1059 Depth=1
	s_wait_alu 0xfffe
	s_or_b32 exec_lo, exec_lo, s9
.LBB281_1083:                           ;   in Loop: Header=BB281_1059 Depth=1
	s_wait_alu 0xfffe
	s_or_b32 exec_lo, exec_lo, s1
	v_dual_mov_b32 v69, 0 :: v_dual_mov_b32 v70, 0
	s_mov_b32 s1, exec_lo
	v_cmpx_lt_u32_e32 0xffffff, v10
	s_cbranch_execz .LBB281_1091
; %bb.1084:                             ;   in Loop: Header=BB281_1059 Depth=1
	v_lshrrev_b32_e32 v0, 24, v10
	v_bfrev_b32_e32 v70, 1
	s_mov_b32 s9, exec_lo
	s_delay_alu instid0(VALU_DEP_2)
	v_cmpx_ne_u32_e32 0x80, v0
	s_cbranch_execz .LBB281_1090
; %bb.1085:                             ;   in Loop: Header=BB281_1059 Depth=1
	v_and_b32_e32 v82, 0x7f, v0
	v_mov_b32_e32 v70, 0x7c010000
	s_mov_b32 s14, exec_lo
	s_delay_alu instid0(VALU_DEP_2)
	v_cmpx_ne_u32_e32 0x7f, v82
	s_cbranch_execz .LBB281_1089
; %bb.1086:                             ;   in Loop: Header=BB281_1059 Depth=1
	v_and_b32_e32 v70, 7, v0
	v_lshrrev_b32_e32 v71, 3, v82
	s_mov_b32 s15, exec_lo
	v_cmpx_gt_u32_e32 8, v82
; %bb.1087:                             ;   in Loop: Header=BB281_1059 Depth=1
	s_delay_alu instid0(VALU_DEP_3) | instskip(NEXT) | instid1(VALU_DEP_1)
	v_clz_i32_u32_e32 v70, v70
	v_min_u32_e32 v82, 32, v70
	s_delay_alu instid0(VALU_DEP_1) | instskip(NEXT) | instid1(VALU_DEP_1)
	v_subrev_nc_u32_e32 v70, 28, v82
	v_lshlrev_b64_e32 v[70:71], v70, v[0:1]
	v_sub_nc_u32_e32 v71, 29, v82
	s_delay_alu instid0(VALU_DEP_2)
	v_and_b32_e32 v70, 7, v70
; %bb.1088:                             ;   in Loop: Header=BB281_1059 Depth=1
	s_wait_alu 0xfffe
	s_or_b32 exec_lo, exec_lo, s15
	v_lshlrev_b32_e32 v0, 8, v0
	v_lshl_add_u32 v71, v71, 10, 0x2000
	v_lshlrev_b32_e32 v70, 23, v70
	s_delay_alu instid0(VALU_DEP_2) | instskip(NEXT) | instid1(VALU_DEP_1)
	v_and_or_b32 v0, 0x8000, v0, v71
	v_lshl_or_b32 v70, v0, 16, v70
.LBB281_1089:                           ;   in Loop: Header=BB281_1059 Depth=1
	s_wait_alu 0xfffe
	s_or_b32 exec_lo, exec_lo, s14
.LBB281_1090:                           ;   in Loop: Header=BB281_1059 Depth=1
	s_wait_alu 0xfffe
	s_or_b32 exec_lo, exec_lo, s9
.LBB281_1091:                           ;   in Loop: Header=BB281_1059 Depth=1
	s_wait_alu 0xfffe
	s_or_b32 exec_lo, exec_lo, s1
	v_dual_mov_b32 v0, v11 :: v_dual_and_b32 v71, 0xff, v11
	s_mov_b32 s1, exec_lo
	s_delay_alu instid0(VALU_DEP_1)
	v_cmpx_ne_u16_e32 0, v71
	s_cbranch_execz .LBB281_1099
; %bb.1092:                             ;   in Loop: Header=BB281_1059 Depth=1
	v_mov_b32_e32 v69, 0x8000
	s_mov_b32 s9, exec_lo
	v_cmpx_ne_u16_e32 0x80, v71
	s_cbranch_execz .LBB281_1098
; %bb.1093:                             ;   in Loop: Header=BB281_1059 Depth=1
	v_and_b32_e32 v82, 0x7f, v11
	v_mov_b32_e32 v69, 0x7c01
	s_mov_b32 s14, exec_lo
	s_delay_alu instid0(VALU_DEP_2)
	v_cmpx_ne_u32_e32 0x7f, v82
	s_cbranch_execz .LBB281_1097
; %bb.1094:                             ;   in Loop: Header=BB281_1059 Depth=1
	v_and_b32_e32 v69, 7, v11
	v_lshrrev_b32_e32 v71, 3, v82
	s_mov_b32 s15, exec_lo
	v_cmpx_gt_u32_e32 8, v82
; %bb.1095:                             ;   in Loop: Header=BB281_1059 Depth=1
	s_delay_alu instid0(VALU_DEP_3) | instskip(NEXT) | instid1(VALU_DEP_1)
	v_clz_i32_u32_e32 v69, v69
	v_min_u32_e32 v69, 32, v69
	s_delay_alu instid0(VALU_DEP_1) | instskip(NEXT) | instid1(VALU_DEP_1)
	v_subrev_nc_u32_e32 v71, 28, v69
	v_lshlrev_b64_e32 v[82:83], v71, v[0:1]
	v_sub_nc_u32_e32 v71, 29, v69
	s_delay_alu instid0(VALU_DEP_2)
	v_and_b32_e32 v69, 7, v82
; %bb.1096:                             ;   in Loop: Header=BB281_1059 Depth=1
	s_wait_alu 0xfffe
	s_or_b32 exec_lo, exec_lo, s15
	v_lshlrev_b32_e32 v82, 8, v11
	v_lshl_add_u32 v71, v71, 10, 0x2000
	v_lshlrev_b32_e32 v69, 7, v69
	s_delay_alu instid0(VALU_DEP_3) | instskip(NEXT) | instid1(VALU_DEP_3)
	v_and_b32_e32 v82, 0x8000, v82
	v_and_b32_e32 v71, 0xfc00, v71
	s_delay_alu instid0(VALU_DEP_1)
	v_or3_b32 v69, v82, v71, v69
.LBB281_1097:                           ;   in Loop: Header=BB281_1059 Depth=1
	s_wait_alu 0xfffe
	s_or_b32 exec_lo, exec_lo, s14
.LBB281_1098:                           ;   in Loop: Header=BB281_1059 Depth=1
	s_wait_alu 0xfffe
	s_or_b32 exec_lo, exec_lo, s9
.LBB281_1099:                           ;   in Loop: Header=BB281_1059 Depth=1
	s_wait_alu 0xfffe
	s_or_b32 exec_lo, exec_lo, s1
	v_lshrrev_b16 v0, 8, v0
	v_dual_mov_b32 v82, 0 :: v_dual_mov_b32 v71, 0
	s_mov_b32 s1, exec_lo
	s_delay_alu instid0(VALU_DEP_2)
	v_cmpx_ne_u16_e32 0, v0
	s_cbranch_execz .LBB281_1107
; %bb.1100:                             ;   in Loop: Header=BB281_1059 Depth=1
	v_bfrev_b32_e32 v71, 1
	s_mov_b32 s9, exec_lo
	v_cmpx_ne_u16_e32 0x80, v0
	s_cbranch_execz .LBB281_1106
; %bb.1101:                             ;   in Loop: Header=BB281_1059 Depth=1
	v_and_b32_e32 v83, 0xffff, v0
	v_mov_b32_e32 v71, 0x7c010000
	s_mov_b32 s14, exec_lo
	s_delay_alu instid0(VALU_DEP_2) | instskip(NEXT) | instid1(VALU_DEP_1)
	v_and_b32_e32 v85, 0x7f, v83
	v_cmpx_ne_u32_e32 0x7f, v85
	s_cbranch_execz .LBB281_1105
; %bb.1102:                             ;   in Loop: Header=BB281_1059 Depth=1
	v_and_b32_e32 v71, 7, v83
	v_lshrrev_b32_e32 v84, 3, v85
	s_mov_b32 s15, exec_lo
	v_cmpx_gt_u32_e32 8, v85
; %bb.1103:                             ;   in Loop: Header=BB281_1059 Depth=1
	s_delay_alu instid0(VALU_DEP_3) | instskip(NEXT) | instid1(VALU_DEP_1)
	v_clz_i32_u32_e32 v71, v71
	v_min_u32_e32 v71, 32, v71
	s_delay_alu instid0(VALU_DEP_1) | instskip(NEXT) | instid1(VALU_DEP_1)
	v_subrev_nc_u32_e32 v84, 28, v71
	v_lshlrev_b64_e32 v[85:86], v84, v[0:1]
	v_sub_nc_u32_e32 v84, 29, v71
	s_delay_alu instid0(VALU_DEP_2)
	v_and_b32_e32 v71, 7, v85
; %bb.1104:                             ;   in Loop: Header=BB281_1059 Depth=1
	s_wait_alu 0xfffe
	s_or_b32 exec_lo, exec_lo, s15
	v_lshlrev_b32_e32 v0, 8, v83
	v_lshl_add_u32 v83, v84, 10, 0x2000
	v_lshlrev_b32_e32 v71, 23, v71
	s_delay_alu instid0(VALU_DEP_2) | instskip(NEXT) | instid1(VALU_DEP_1)
	v_and_or_b32 v0, 0x8000, v0, v83
	v_lshl_or_b32 v71, v0, 16, v71
.LBB281_1105:                           ;   in Loop: Header=BB281_1059 Depth=1
	s_wait_alu 0xfffe
	s_or_b32 exec_lo, exec_lo, s14
.LBB281_1106:                           ;   in Loop: Header=BB281_1059 Depth=1
	s_wait_alu 0xfffe
	s_or_b32 exec_lo, exec_lo, s9
.LBB281_1107:                           ;   in Loop: Header=BB281_1059 Depth=1
	s_wait_alu 0xfffe
	s_or_b32 exec_lo, exec_lo, s1
	v_lshrrev_b32_e32 v0, 16, v11
	s_mov_b32 s1, exec_lo
	s_delay_alu instid0(VALU_DEP_1) | instskip(NEXT) | instid1(VALU_DEP_1)
	v_and_b32_e32 v83, 0xff, v0
	v_cmpx_ne_u16_e32 0, v83
	s_cbranch_execz .LBB281_1115
; %bb.1108:                             ;   in Loop: Header=BB281_1059 Depth=1
	v_mov_b32_e32 v82, 0x8000
	s_mov_b32 s9, exec_lo
	v_cmpx_ne_u16_e32 0x80, v83
	s_cbranch_execz .LBB281_1114
; %bb.1109:                             ;   in Loop: Header=BB281_1059 Depth=1
	v_bfe_u32 v84, v11, 16, 7
	v_mov_b32_e32 v82, 0x7c01
	s_mov_b32 s14, exec_lo
	s_delay_alu instid0(VALU_DEP_2)
	v_cmpx_ne_u32_e32 0x7f, v84
	s_cbranch_execz .LBB281_1113
; %bb.1110:                             ;   in Loop: Header=BB281_1059 Depth=1
	v_and_b32_e32 v82, 7, v0
	v_lshrrev_b32_e32 v83, 3, v84
	s_mov_b32 s15, exec_lo
	v_cmpx_gt_u32_e32 8, v84
; %bb.1111:                             ;   in Loop: Header=BB281_1059 Depth=1
	s_delay_alu instid0(VALU_DEP_3) | instskip(NEXT) | instid1(VALU_DEP_1)
	v_clz_i32_u32_e32 v82, v82
	v_min_u32_e32 v84, 32, v82
	s_delay_alu instid0(VALU_DEP_1) | instskip(NEXT) | instid1(VALU_DEP_1)
	v_subrev_nc_u32_e32 v82, 28, v84
	v_lshlrev_b64_e32 v[82:83], v82, v[0:1]
	v_sub_nc_u32_e32 v83, 29, v84
	s_delay_alu instid0(VALU_DEP_2)
	v_and_b32_e32 v82, 7, v82
; %bb.1112:                             ;   in Loop: Header=BB281_1059 Depth=1
	s_wait_alu 0xfffe
	s_or_b32 exec_lo, exec_lo, s15
	v_lshlrev_b32_e32 v0, 8, v0
	v_lshl_add_u32 v83, v83, 10, 0x2000
	v_lshlrev_b32_e32 v82, 7, v82
	s_delay_alu instid0(VALU_DEP_3) | instskip(NEXT) | instid1(VALU_DEP_3)
	v_and_b32_e32 v0, 0x8000, v0
	v_and_b32_e32 v83, 0xfc00, v83
	s_delay_alu instid0(VALU_DEP_1)
	v_or3_b32 v82, v0, v83, v82
.LBB281_1113:                           ;   in Loop: Header=BB281_1059 Depth=1
	s_wait_alu 0xfffe
	s_or_b32 exec_lo, exec_lo, s14
.LBB281_1114:                           ;   in Loop: Header=BB281_1059 Depth=1
	s_wait_alu 0xfffe
	s_or_b32 exec_lo, exec_lo, s9
.LBB281_1115:                           ;   in Loop: Header=BB281_1059 Depth=1
	s_wait_alu 0xfffe
	s_or_b32 exec_lo, exec_lo, s1
	v_cmp_lt_u64_e32 vcc_lo, s[4:5], v[10:11]
	v_mov_b32_e32 v10, 0
	s_and_saveexec_b32 s1, vcc_lo
	s_cbranch_execz .LBB281_1123
; %bb.1116:                             ;   in Loop: Header=BB281_1059 Depth=1
	v_lshrrev_b32_e32 v0, 24, v11
	v_bfrev_b32_e32 v10, 1
	s_mov_b32 s9, exec_lo
	s_delay_alu instid0(VALU_DEP_2)
	v_cmpx_ne_u32_e32 0x80, v0
	s_cbranch_execz .LBB281_1122
; %bb.1117:                             ;   in Loop: Header=BB281_1059 Depth=1
	v_and_b32_e32 v83, 0x7f, v0
	v_mov_b32_e32 v10, 0x7c010000
	s_mov_b32 s14, exec_lo
	s_delay_alu instid0(VALU_DEP_2)
	v_cmpx_ne_u32_e32 0x7f, v83
	s_cbranch_execz .LBB281_1121
; %bb.1118:                             ;   in Loop: Header=BB281_1059 Depth=1
	v_and_b32_e32 v10, 7, v0
	v_lshrrev_b32_e32 v11, 3, v83
	s_mov_b32 s15, exec_lo
	v_cmpx_gt_u32_e32 8, v83
; %bb.1119:                             ;   in Loop: Header=BB281_1059 Depth=1
	s_delay_alu instid0(VALU_DEP_3) | instskip(NEXT) | instid1(VALU_DEP_1)
	v_clz_i32_u32_e32 v10, v10
	v_min_u32_e32 v83, 32, v10
	s_delay_alu instid0(VALU_DEP_1) | instskip(NEXT) | instid1(VALU_DEP_1)
	v_subrev_nc_u32_e32 v10, 28, v83
	v_lshlrev_b64_e32 v[10:11], v10, v[0:1]
	v_sub_nc_u32_e32 v11, 29, v83
	s_delay_alu instid0(VALU_DEP_2)
	v_and_b32_e32 v10, 7, v10
; %bb.1120:                             ;   in Loop: Header=BB281_1059 Depth=1
	s_wait_alu 0xfffe
	s_or_b32 exec_lo, exec_lo, s15
	v_lshlrev_b32_e32 v0, 8, v0
	v_lshl_add_u32 v11, v11, 10, 0x2000
	v_lshlrev_b32_e32 v10, 23, v10
	s_delay_alu instid0(VALU_DEP_2) | instskip(NEXT) | instid1(VALU_DEP_1)
	v_and_or_b32 v0, 0x8000, v0, v11
	v_lshl_or_b32 v10, v0, 16, v10
.LBB281_1121:                           ;   in Loop: Header=BB281_1059 Depth=1
	s_wait_alu 0xfffe
	s_or_b32 exec_lo, exec_lo, s14
.LBB281_1122:                           ;   in Loop: Header=BB281_1059 Depth=1
	s_wait_alu 0xfffe
	s_or_b32 exec_lo, exec_lo, s9
.LBB281_1123:                           ;   in Loop: Header=BB281_1059 Depth=1
	s_wait_alu 0xfffe
	s_or_b32 exec_lo, exec_lo, s1
	v_or_b32_e32 v0, v70, v23
	s_wait_loadcnt_dscnt 0x0
	v_fma_mixlo_f16 v11, v66, v70, 0 op_sel:[0,1,0] op_sel_hi:[0,1,0]
	v_or_b32_e32 v67, v68, v67
	v_fma_mixlo_f16 v68, v66, v68, 0 op_sel:[0,1,0] op_sel_hi:[0,1,0]
	v_or_b32_e32 v69, v71, v69
	v_fma_mixlo_f16 v0, v66, v0, 0 op_sel_hi:[0,1,0]
	v_or_b32_e32 v70, v10, v82
	v_fma_mixlo_f16 v10, v66, v10, 0 op_sel:[0,1,0] op_sel_hi:[0,1,0]
	v_lshlrev_b32_e32 v96, 16, v68
	v_fma_mixlo_f16 v68, v66, v69, 0 op_sel_hi:[0,1,0]
	v_and_b32_e32 v85, 0xffff, v0
	v_fma_mixlo_f16 v0, v66, v67, 0 op_sel_hi:[0,1,0]
	v_fma_mixlo_f16 v67, v66, v71, 0 op_sel:[0,1,0] op_sel_hi:[0,1,0]
	v_fma_mixlo_f16 v66, v66, v70, 0 op_sel_hi:[0,1,0]
	v_lshlrev_b32_e32 v11, 16, v11
	v_and_b32_e32 v97, 0xffff, v68
	v_and_b32_e32 v98, 0xffff, v0
	v_lshlrev_b32_e32 v86, 16, v67
	v_lshlrev_b32_e32 v83, 16, v10
	v_and_b32_e32 v87, 0xffff, v66
	v_add_nc_u32_e32 v23, -7, v14
	v_cmp_eq_u32_e32 vcc_lo, v35, v34
	v_or_b32_e32 v0, v11, v85
	v_or_b32_e32 v10, v96, v98
	;; [unrolled: 1-line block ×4, first 2 shown]
	v_add_nc_u32_e32 v71, -6, v14
	v_add_nc_u32_e32 v70, -5, v14
	;; [unrolled: 1-line block ×6, first 2 shown]
	s_and_saveexec_b32 s9, vcc_lo
	s_cbranch_execz .LBB281_1125
; %bb.1124:                             ;   in Loop: Header=BB281_1059 Depth=1
	v_cmp_lt_i32_e64 s1, v23, v32
	s_wait_alu 0xf1ff
	s_delay_alu instid0(VALU_DEP_1) | instskip(SKIP_2) | instid1(VALU_DEP_1)
	v_cndmask_b32_e64 v0, 0, v98, s1
	v_cmp_lt_i32_e64 s1, v71, v32
	s_wait_alu 0xf1ff
	v_cndmask_b32_e64 v10, 0, v96, s1
	v_cmp_lt_i32_e64 s1, v70, v32
	s_delay_alu instid0(VALU_DEP_2) | instskip(SKIP_1) | instid1(VALU_DEP_2)
	v_or_b32_e32 v10, v0, v10
	s_wait_alu 0xf1ff
	v_cndmask_b32_e64 v82, 0, v85, s1
	v_cmp_lt_i32_e64 s1, v69, v32
	s_wait_alu 0xf1ff
	s_delay_alu instid0(VALU_DEP_1) | instskip(SKIP_1) | instid1(VALU_DEP_2)
	v_cndmask_b32_e64 v11, 0, v11, s1
	v_cmp_lt_i32_e64 s1, v68, v32
	v_or_b32_e32 v0, v82, v11
	s_wait_alu 0xf1ff
	s_delay_alu instid0(VALU_DEP_2) | instskip(SKIP_2) | instid1(VALU_DEP_1)
	v_cndmask_b32_e64 v84, 0, v97, s1
	v_cmp_lt_i32_e64 s1, v67, v32
	s_wait_alu 0xf1ff
	v_cndmask_b32_e64 v85, 0, v86, s1
	v_cmp_lt_i32_e64 s1, v66, v32
	s_delay_alu instid0(VALU_DEP_2) | instskip(SKIP_1) | instid1(VALU_DEP_2)
	v_or_b32_e32 v82, v84, v85
	s_wait_alu 0xf1ff
	v_cndmask_b32_e64 v86, 0, v87, s1
	v_cmp_lt_i32_e64 s1, v14, v32
	s_wait_alu 0xf1ff
	s_delay_alu instid0(VALU_DEP_1) | instskip(NEXT) | instid1(VALU_DEP_1)
	v_cndmask_b32_e64 v83, 0, v83, s1
	v_or_b32_e32 v84, v86, v83
.LBB281_1125:                           ;   in Loop: Header=BB281_1059 Depth=1
	s_wait_alu 0xfffe
	s_or_b32 exec_lo, exec_lo, s9
	v_and_b32_e32 v11, 0xffff, v36
	v_and_b32_e32 v36, 0xffff, v64
	;; [unrolled: 1-line block ×4, first 2 shown]
	s_mov_b32 s9, exec_lo
	v_lshl_or_b32 v64, v37, 16, v11
	v_lshl_or_b32 v38, v38, 16, v36
	;;#ASMSTART
	v_pk_mul_f16 v10, v64, v10;

	;;#ASMEND
	;;#ASMSTART
	v_pk_mul_f16 v0, v38, v0;

	;;#ASMEND
	v_lshl_or_b32 v37, v55, 16, v80
	v_lshl_or_b32 v36, v65, 16, v81
	;;#ASMSTART
	v_pk_mul_f16 v11, v37, v82;

	;;#ASMEND
	;;#ASMSTART
	v_pk_mul_f16 v55, v36, v84;

	;;#ASMEND
	;;#ASMSTART
	v_pk_add_f16 v0, v10, v0;

	;;#ASMEND
	;;#ASMSTART
	v_pk_add_f16 v0, v0, v11;
	;; [unrolled: 4-line block ×3, first 2 shown]

	;;#ASMEND
	v_and_b32_e32 v10, 0xffff, v0
	v_lshrrev_b32_e32 v0, 16, v0
	;;#ASMSTART
	v_cvt_f32_f16 v55, v10;
	;;#ASMEND
	;;#ASMSTART
	v_cvt_f32_f16 v65, v0;
	;;#ASMEND
	flat_load_b64 v[10:11], v[8:9] offset:256
	flat_load_b32 v80, v[26:27]
	v_dual_mov_b32 v81, 0 :: v_dual_mov_b32 v82, 0
	s_wait_loadcnt_dscnt 0x101
	v_and_b32_e32 v0, 0xff, v10
	s_delay_alu instid0(VALU_DEP_1)
	v_cmpx_ne_u16_e32 0, v0
	s_cbranch_execz .LBB281_1133
; %bb.1126:                             ;   in Loop: Header=BB281_1059 Depth=1
	v_mov_b32_e32 v82, 0x8000
	s_mov_b32 s14, exec_lo
	v_cmpx_ne_u16_e32 0x80, v0
	s_cbranch_execz .LBB281_1132
; %bb.1127:                             ;   in Loop: Header=BB281_1059 Depth=1
	v_and_b32_e32 v83, 0x7f, v10
	v_mov_b32_e32 v82, 0x7c01
	s_mov_b32 s15, exec_lo
	s_delay_alu instid0(VALU_DEP_2)
	v_cmpx_ne_u32_e32 0x7f, v83
	s_cbranch_execz .LBB281_1131
; %bb.1128:                             ;   in Loop: Header=BB281_1059 Depth=1
	v_and_b32_e32 v0, 7, v10
	v_lshrrev_b32_e32 v82, 3, v83
	s_mov_b32 s16, exec_lo
	v_cmpx_gt_u32_e32 8, v83
; %bb.1129:                             ;   in Loop: Header=BB281_1059 Depth=1
	s_delay_alu instid0(VALU_DEP_3) | instskip(NEXT) | instid1(VALU_DEP_1)
	v_clz_i32_u32_e32 v0, v0
	v_min_u32_e32 v0, 32, v0
	s_delay_alu instid0(VALU_DEP_1) | instskip(NEXT) | instid1(VALU_DEP_1)
	v_subrev_nc_u32_e32 v82, 28, v0
	v_lshlrev_b64_e32 v[83:84], v82, v[10:11]
	v_sub_nc_u32_e32 v82, 29, v0
	s_delay_alu instid0(VALU_DEP_2)
	v_and_b32_e32 v0, 7, v83
; %bb.1130:                             ;   in Loop: Header=BB281_1059 Depth=1
	s_wait_alu 0xfffe
	s_or_b32 exec_lo, exec_lo, s16
	v_lshlrev_b32_e32 v83, 8, v10
	v_lshl_add_u32 v82, v82, 10, 0x2000
	v_lshlrev_b32_e32 v0, 7, v0
	s_delay_alu instid0(VALU_DEP_3) | instskip(NEXT) | instid1(VALU_DEP_3)
	v_and_b32_e32 v83, 0x8000, v83
	v_and_b32_e32 v82, 0xfc00, v82
	s_delay_alu instid0(VALU_DEP_1)
	v_or3_b32 v82, v83, v82, v0
.LBB281_1131:                           ;   in Loop: Header=BB281_1059 Depth=1
	s_wait_alu 0xfffe
	s_or_b32 exec_lo, exec_lo, s15
.LBB281_1132:                           ;   in Loop: Header=BB281_1059 Depth=1
	s_wait_alu 0xfffe
	s_or_b32 exec_lo, exec_lo, s14
.LBB281_1133:                           ;   in Loop: Header=BB281_1059 Depth=1
	s_wait_alu 0xfffe
	s_or_b32 exec_lo, exec_lo, s9
	v_lshrrev_b16 v0, 8, v10
	s_mov_b32 s9, exec_lo
	s_delay_alu instid0(VALU_DEP_1)
	v_cmpx_ne_u16_e32 0, v0
	s_cbranch_execz .LBB281_1141
; %bb.1134:                             ;   in Loop: Header=BB281_1059 Depth=1
	v_bfrev_b32_e32 v81, 1
	s_mov_b32 s14, exec_lo
	v_cmpx_ne_u16_e32 0x80, v0
	s_cbranch_execz .LBB281_1140
; %bb.1135:                             ;   in Loop: Header=BB281_1059 Depth=1
	v_and_b32_e32 v83, 0xffff, v0
	v_mov_b32_e32 v81, 0x7c010000
	s_mov_b32 s15, exec_lo
	s_delay_alu instid0(VALU_DEP_2) | instskip(NEXT) | instid1(VALU_DEP_1)
	v_and_b32_e32 v85, 0x7f, v83
	v_cmpx_ne_u32_e32 0x7f, v85
	s_cbranch_execz .LBB281_1139
; %bb.1136:                             ;   in Loop: Header=BB281_1059 Depth=1
	v_and_b32_e32 v81, 7, v83
	v_lshrrev_b32_e32 v84, 3, v85
	s_mov_b32 s16, exec_lo
	v_cmpx_gt_u32_e32 8, v85
; %bb.1137:                             ;   in Loop: Header=BB281_1059 Depth=1
	s_delay_alu instid0(VALU_DEP_3) | instskip(NEXT) | instid1(VALU_DEP_1)
	v_clz_i32_u32_e32 v81, v81
	v_min_u32_e32 v81, 32, v81
	s_delay_alu instid0(VALU_DEP_1) | instskip(NEXT) | instid1(VALU_DEP_1)
	v_subrev_nc_u32_e32 v84, 28, v81
	v_lshlrev_b64_e32 v[85:86], v84, v[0:1]
	v_sub_nc_u32_e32 v84, 29, v81
	s_delay_alu instid0(VALU_DEP_2)
	v_and_b32_e32 v81, 7, v85
; %bb.1138:                             ;   in Loop: Header=BB281_1059 Depth=1
	s_wait_alu 0xfffe
	s_or_b32 exec_lo, exec_lo, s16
	v_lshlrev_b32_e32 v0, 8, v83
	v_lshl_add_u32 v83, v84, 10, 0x2000
	v_lshlrev_b32_e32 v81, 23, v81
	s_delay_alu instid0(VALU_DEP_2) | instskip(NEXT) | instid1(VALU_DEP_1)
	v_and_or_b32 v0, 0x8000, v0, v83
	v_lshl_or_b32 v81, v0, 16, v81
.LBB281_1139:                           ;   in Loop: Header=BB281_1059 Depth=1
	s_wait_alu 0xfffe
	s_or_b32 exec_lo, exec_lo, s15
.LBB281_1140:                           ;   in Loop: Header=BB281_1059 Depth=1
	s_wait_alu 0xfffe
	s_or_b32 exec_lo, exec_lo, s14
.LBB281_1141:                           ;   in Loop: Header=BB281_1059 Depth=1
	s_wait_alu 0xfffe
	s_or_b32 exec_lo, exec_lo, s9
	v_lshrrev_b32_e32 v0, 16, v10
	v_mov_b32_e32 v83, 0
	s_mov_b32 s9, exec_lo
	s_delay_alu instid0(VALU_DEP_2) | instskip(NEXT) | instid1(VALU_DEP_1)
	v_dual_mov_b32 v84, 0 :: v_dual_and_b32 v85, 0xff, v0
	v_cmpx_ne_u16_e32 0, v85
	s_cbranch_execz .LBB281_1149
; %bb.1142:                             ;   in Loop: Header=BB281_1059 Depth=1
	v_mov_b32_e32 v84, 0x8000
	s_mov_b32 s14, exec_lo
	v_cmpx_ne_u16_e32 0x80, v85
	s_cbranch_execz .LBB281_1148
; %bb.1143:                             ;   in Loop: Header=BB281_1059 Depth=1
	v_bfe_u32 v86, v10, 16, 7
	v_mov_b32_e32 v84, 0x7c01
	s_mov_b32 s15, exec_lo
	s_delay_alu instid0(VALU_DEP_2)
	v_cmpx_ne_u32_e32 0x7f, v86
	s_cbranch_execz .LBB281_1147
; %bb.1144:                             ;   in Loop: Header=BB281_1059 Depth=1
	v_and_b32_e32 v84, 7, v0
	v_lshrrev_b32_e32 v85, 3, v86
	s_mov_b32 s16, exec_lo
	v_cmpx_gt_u32_e32 8, v86
; %bb.1145:                             ;   in Loop: Header=BB281_1059 Depth=1
	s_delay_alu instid0(VALU_DEP_3) | instskip(NEXT) | instid1(VALU_DEP_1)
	v_clz_i32_u32_e32 v84, v84
	v_min_u32_e32 v86, 32, v84
	s_delay_alu instid0(VALU_DEP_1) | instskip(NEXT) | instid1(VALU_DEP_1)
	v_subrev_nc_u32_e32 v84, 28, v86
	v_lshlrev_b64_e32 v[84:85], v84, v[0:1]
	v_sub_nc_u32_e32 v85, 29, v86
	s_delay_alu instid0(VALU_DEP_2)
	v_and_b32_e32 v84, 7, v84
; %bb.1146:                             ;   in Loop: Header=BB281_1059 Depth=1
	s_wait_alu 0xfffe
	s_or_b32 exec_lo, exec_lo, s16
	v_lshlrev_b32_e32 v0, 8, v0
	v_lshl_add_u32 v85, v85, 10, 0x2000
	v_lshlrev_b32_e32 v84, 7, v84
	s_delay_alu instid0(VALU_DEP_3) | instskip(NEXT) | instid1(VALU_DEP_3)
	v_and_b32_e32 v0, 0x8000, v0
	v_and_b32_e32 v85, 0xfc00, v85
	s_delay_alu instid0(VALU_DEP_1)
	v_or3_b32 v84, v0, v85, v84
.LBB281_1147:                           ;   in Loop: Header=BB281_1059 Depth=1
	s_wait_alu 0xfffe
	s_or_b32 exec_lo, exec_lo, s15
.LBB281_1148:                           ;   in Loop: Header=BB281_1059 Depth=1
	s_wait_alu 0xfffe
	s_or_b32 exec_lo, exec_lo, s14
.LBB281_1149:                           ;   in Loop: Header=BB281_1059 Depth=1
	s_wait_alu 0xfffe
	s_or_b32 exec_lo, exec_lo, s9
	s_delay_alu instid0(SALU_CYCLE_1)
	s_mov_b32 s9, exec_lo
	v_cmpx_lt_u32_e32 0xffffff, v10
	s_cbranch_execz .LBB281_1157
; %bb.1150:                             ;   in Loop: Header=BB281_1059 Depth=1
	v_lshrrev_b32_e32 v0, 24, v10
	v_bfrev_b32_e32 v83, 1
	s_mov_b32 s14, exec_lo
	s_delay_alu instid0(VALU_DEP_2)
	v_cmpx_ne_u32_e32 0x80, v0
	s_cbranch_execz .LBB281_1156
; %bb.1151:                             ;   in Loop: Header=BB281_1059 Depth=1
	v_and_b32_e32 v86, 0x7f, v0
	v_mov_b32_e32 v83, 0x7c010000
	s_mov_b32 s15, exec_lo
	s_delay_alu instid0(VALU_DEP_2)
	v_cmpx_ne_u32_e32 0x7f, v86
	s_cbranch_execz .LBB281_1155
; %bb.1152:                             ;   in Loop: Header=BB281_1059 Depth=1
	v_and_b32_e32 v83, 7, v0
	v_lshrrev_b32_e32 v85, 3, v86
	s_mov_b32 s16, exec_lo
	v_cmpx_gt_u32_e32 8, v86
; %bb.1153:                             ;   in Loop: Header=BB281_1059 Depth=1
	s_delay_alu instid0(VALU_DEP_3) | instskip(NEXT) | instid1(VALU_DEP_1)
	v_clz_i32_u32_e32 v83, v83
	v_min_u32_e32 v83, 32, v83
	s_delay_alu instid0(VALU_DEP_1) | instskip(NEXT) | instid1(VALU_DEP_1)
	v_subrev_nc_u32_e32 v85, 28, v83
	v_lshlrev_b64_e32 v[86:87], v85, v[0:1]
	v_sub_nc_u32_e32 v85, 29, v83
	s_delay_alu instid0(VALU_DEP_2)
	v_and_b32_e32 v83, 7, v86
; %bb.1154:                             ;   in Loop: Header=BB281_1059 Depth=1
	s_wait_alu 0xfffe
	s_or_b32 exec_lo, exec_lo, s16
	v_lshlrev_b32_e32 v0, 8, v0
	v_lshl_add_u32 v85, v85, 10, 0x2000
	v_lshlrev_b32_e32 v83, 23, v83
	s_delay_alu instid0(VALU_DEP_2) | instskip(NEXT) | instid1(VALU_DEP_1)
	v_and_or_b32 v0, 0x8000, v0, v85
	v_lshl_or_b32 v83, v0, 16, v83
.LBB281_1155:                           ;   in Loop: Header=BB281_1059 Depth=1
	s_wait_alu 0xfffe
	s_or_b32 exec_lo, exec_lo, s15
.LBB281_1156:                           ;   in Loop: Header=BB281_1059 Depth=1
	s_wait_alu 0xfffe
	s_or_b32 exec_lo, exec_lo, s14
.LBB281_1157:                           ;   in Loop: Header=BB281_1059 Depth=1
	s_wait_alu 0xfffe
	s_or_b32 exec_lo, exec_lo, s9
	v_dual_mov_b32 v0, v11 :: v_dual_and_b32 v87, 0xff, v11
	v_dual_mov_b32 v85, 0 :: v_dual_mov_b32 v86, 0
	s_mov_b32 s9, exec_lo
	s_delay_alu instid0(VALU_DEP_2)
	v_cmpx_ne_u16_e32 0, v87
	s_cbranch_execz .LBB281_1165
; %bb.1158:                             ;   in Loop: Header=BB281_1059 Depth=1
	v_mov_b32_e32 v86, 0x8000
	s_mov_b32 s14, exec_lo
	v_cmpx_ne_u16_e32 0x80, v87
	s_cbranch_execz .LBB281_1164
; %bb.1159:                             ;   in Loop: Header=BB281_1059 Depth=1
	v_and_b32_e32 v96, 0x7f, v11
	v_mov_b32_e32 v86, 0x7c01
	s_mov_b32 s15, exec_lo
	s_delay_alu instid0(VALU_DEP_2)
	v_cmpx_ne_u32_e32 0x7f, v96
	s_cbranch_execz .LBB281_1163
; %bb.1160:                             ;   in Loop: Header=BB281_1059 Depth=1
	v_and_b32_e32 v86, 7, v11
	v_lshrrev_b32_e32 v87, 3, v96
	s_mov_b32 s16, exec_lo
	v_cmpx_gt_u32_e32 8, v96
; %bb.1161:                             ;   in Loop: Header=BB281_1059 Depth=1
	s_delay_alu instid0(VALU_DEP_3) | instskip(NEXT) | instid1(VALU_DEP_1)
	v_clz_i32_u32_e32 v86, v86
	v_min_u32_e32 v96, 32, v86
	s_delay_alu instid0(VALU_DEP_1) | instskip(NEXT) | instid1(VALU_DEP_1)
	v_subrev_nc_u32_e32 v86, 28, v96
	v_lshlrev_b64_e32 v[86:87], v86, v[0:1]
	v_sub_nc_u32_e32 v87, 29, v96
	s_delay_alu instid0(VALU_DEP_2)
	v_and_b32_e32 v86, 7, v86
; %bb.1162:                             ;   in Loop: Header=BB281_1059 Depth=1
	s_wait_alu 0xfffe
	s_or_b32 exec_lo, exec_lo, s16
	v_lshlrev_b32_e32 v96, 8, v11
	v_lshl_add_u32 v87, v87, 10, 0x2000
	v_lshlrev_b32_e32 v86, 7, v86
	s_delay_alu instid0(VALU_DEP_3) | instskip(NEXT) | instid1(VALU_DEP_3)
	v_and_b32_e32 v96, 0x8000, v96
	v_and_b32_e32 v87, 0xfc00, v87
	s_delay_alu instid0(VALU_DEP_1)
	v_or3_b32 v86, v96, v87, v86
.LBB281_1163:                           ;   in Loop: Header=BB281_1059 Depth=1
	s_wait_alu 0xfffe
	s_or_b32 exec_lo, exec_lo, s15
.LBB281_1164:                           ;   in Loop: Header=BB281_1059 Depth=1
	s_wait_alu 0xfffe
	s_or_b32 exec_lo, exec_lo, s14
.LBB281_1165:                           ;   in Loop: Header=BB281_1059 Depth=1
	s_wait_alu 0xfffe
	s_or_b32 exec_lo, exec_lo, s9
	v_lshrrev_b16 v0, 8, v0
	v_mov_b32_e32 v87, 0
	s_mov_b32 s9, exec_lo
	s_delay_alu instid0(VALU_DEP_2)
	v_cmpx_ne_u16_e32 0, v0
	s_cbranch_execz .LBB281_1173
; %bb.1166:                             ;   in Loop: Header=BB281_1059 Depth=1
	v_bfrev_b32_e32 v87, 1
	s_mov_b32 s14, exec_lo
	v_cmpx_ne_u16_e32 0x80, v0
	s_cbranch_execz .LBB281_1172
; %bb.1167:                             ;   in Loop: Header=BB281_1059 Depth=1
	v_and_b32_e32 v96, 0xffff, v0
	v_mov_b32_e32 v87, 0x7c010000
	s_mov_b32 s15, exec_lo
	s_delay_alu instid0(VALU_DEP_2) | instskip(NEXT) | instid1(VALU_DEP_1)
	v_and_b32_e32 v98, 0x7f, v96
	v_cmpx_ne_u32_e32 0x7f, v98
	s_cbranch_execz .LBB281_1171
; %bb.1168:                             ;   in Loop: Header=BB281_1059 Depth=1
	v_and_b32_e32 v87, 7, v96
	v_lshrrev_b32_e32 v97, 3, v98
	s_mov_b32 s16, exec_lo
	v_cmpx_gt_u32_e32 8, v98
; %bb.1169:                             ;   in Loop: Header=BB281_1059 Depth=1
	s_delay_alu instid0(VALU_DEP_3) | instskip(NEXT) | instid1(VALU_DEP_1)
	v_clz_i32_u32_e32 v87, v87
	v_min_u32_e32 v87, 32, v87
	s_delay_alu instid0(VALU_DEP_1) | instskip(NEXT) | instid1(VALU_DEP_1)
	v_subrev_nc_u32_e32 v97, 28, v87
	v_lshlrev_b64_e32 v[98:99], v97, v[0:1]
	v_sub_nc_u32_e32 v97, 29, v87
	s_delay_alu instid0(VALU_DEP_2)
	v_and_b32_e32 v87, 7, v98
; %bb.1170:                             ;   in Loop: Header=BB281_1059 Depth=1
	s_wait_alu 0xfffe
	s_or_b32 exec_lo, exec_lo, s16
	v_lshlrev_b32_e32 v0, 8, v96
	v_lshl_add_u32 v96, v97, 10, 0x2000
	v_lshlrev_b32_e32 v87, 23, v87
	s_delay_alu instid0(VALU_DEP_2) | instskip(NEXT) | instid1(VALU_DEP_1)
	v_and_or_b32 v0, 0x8000, v0, v96
	v_lshl_or_b32 v87, v0, 16, v87
.LBB281_1171:                           ;   in Loop: Header=BB281_1059 Depth=1
	s_wait_alu 0xfffe
	s_or_b32 exec_lo, exec_lo, s15
.LBB281_1172:                           ;   in Loop: Header=BB281_1059 Depth=1
	s_wait_alu 0xfffe
	s_or_b32 exec_lo, exec_lo, s14
.LBB281_1173:                           ;   in Loop: Header=BB281_1059 Depth=1
	s_wait_alu 0xfffe
	s_or_b32 exec_lo, exec_lo, s9
	v_lshrrev_b32_e32 v0, 16, v11
	s_mov_b32 s9, exec_lo
	s_delay_alu instid0(VALU_DEP_1) | instskip(NEXT) | instid1(VALU_DEP_1)
	v_and_b32_e32 v96, 0xff, v0
	v_cmpx_ne_u16_e32 0, v96
	s_cbranch_execz .LBB281_1181
; %bb.1174:                             ;   in Loop: Header=BB281_1059 Depth=1
	v_mov_b32_e32 v85, 0x8000
	s_mov_b32 s14, exec_lo
	v_cmpx_ne_u16_e32 0x80, v96
	s_cbranch_execz .LBB281_1180
; %bb.1175:                             ;   in Loop: Header=BB281_1059 Depth=1
	v_bfe_u32 v97, v11, 16, 7
	v_mov_b32_e32 v85, 0x7c01
	s_mov_b32 s15, exec_lo
	s_delay_alu instid0(VALU_DEP_2)
	v_cmpx_ne_u32_e32 0x7f, v97
	s_cbranch_execz .LBB281_1179
; %bb.1176:                             ;   in Loop: Header=BB281_1059 Depth=1
	v_and_b32_e32 v85, 7, v0
	v_lshrrev_b32_e32 v96, 3, v97
	s_mov_b32 s16, exec_lo
	v_cmpx_gt_u32_e32 8, v97
; %bb.1177:                             ;   in Loop: Header=BB281_1059 Depth=1
	s_delay_alu instid0(VALU_DEP_3) | instskip(NEXT) | instid1(VALU_DEP_1)
	v_clz_i32_u32_e32 v85, v85
	v_min_u32_e32 v85, 32, v85
	s_delay_alu instid0(VALU_DEP_1) | instskip(NEXT) | instid1(VALU_DEP_1)
	v_subrev_nc_u32_e32 v96, 28, v85
	v_lshlrev_b64_e32 v[97:98], v96, v[0:1]
	v_sub_nc_u32_e32 v96, 29, v85
	s_delay_alu instid0(VALU_DEP_2)
	v_and_b32_e32 v85, 7, v97
; %bb.1178:                             ;   in Loop: Header=BB281_1059 Depth=1
	s_wait_alu 0xfffe
	s_or_b32 exec_lo, exec_lo, s16
	v_lshlrev_b32_e32 v0, 8, v0
	v_lshl_add_u32 v96, v96, 10, 0x2000
	v_lshlrev_b32_e32 v85, 7, v85
	s_delay_alu instid0(VALU_DEP_3) | instskip(NEXT) | instid1(VALU_DEP_3)
	v_and_b32_e32 v0, 0x8000, v0
	v_and_b32_e32 v96, 0xfc00, v96
	s_delay_alu instid0(VALU_DEP_1)
	v_or3_b32 v85, v0, v96, v85
.LBB281_1179:                           ;   in Loop: Header=BB281_1059 Depth=1
	s_wait_alu 0xfffe
	s_or_b32 exec_lo, exec_lo, s15
.LBB281_1180:                           ;   in Loop: Header=BB281_1059 Depth=1
	s_wait_alu 0xfffe
	s_or_b32 exec_lo, exec_lo, s14
.LBB281_1181:                           ;   in Loop: Header=BB281_1059 Depth=1
	s_wait_alu 0xfffe
	s_or_b32 exec_lo, exec_lo, s9
	v_cmp_lt_u64_e64 s1, s[4:5], v[10:11]
	v_mov_b32_e32 v10, 0
	s_and_saveexec_b32 s9, s1
	s_cbranch_execz .LBB281_1189
; %bb.1182:                             ;   in Loop: Header=BB281_1059 Depth=1
	v_lshrrev_b32_e32 v0, 24, v11
	v_bfrev_b32_e32 v10, 1
	s_mov_b32 s14, exec_lo
	s_delay_alu instid0(VALU_DEP_2)
	v_cmpx_ne_u32_e32 0x80, v0
	s_cbranch_execz .LBB281_1188
; %bb.1183:                             ;   in Loop: Header=BB281_1059 Depth=1
	v_and_b32_e32 v96, 0x7f, v0
	v_mov_b32_e32 v10, 0x7c010000
	s_mov_b32 s15, exec_lo
	s_delay_alu instid0(VALU_DEP_2)
	v_cmpx_ne_u32_e32 0x7f, v96
	s_cbranch_execz .LBB281_1187
; %bb.1184:                             ;   in Loop: Header=BB281_1059 Depth=1
	v_and_b32_e32 v10, 7, v0
	v_lshrrev_b32_e32 v11, 3, v96
	s_mov_b32 s16, exec_lo
	v_cmpx_gt_u32_e32 8, v96
; %bb.1185:                             ;   in Loop: Header=BB281_1059 Depth=1
	s_delay_alu instid0(VALU_DEP_3) | instskip(NEXT) | instid1(VALU_DEP_1)
	v_clz_i32_u32_e32 v10, v10
	v_min_u32_e32 v96, 32, v10
	s_delay_alu instid0(VALU_DEP_1) | instskip(NEXT) | instid1(VALU_DEP_1)
	v_subrev_nc_u32_e32 v10, 28, v96
	v_lshlrev_b64_e32 v[10:11], v10, v[0:1]
	v_sub_nc_u32_e32 v11, 29, v96
	s_delay_alu instid0(VALU_DEP_2)
	v_and_b32_e32 v10, 7, v10
; %bb.1186:                             ;   in Loop: Header=BB281_1059 Depth=1
	s_wait_alu 0xfffe
	s_or_b32 exec_lo, exec_lo, s16
	v_lshlrev_b32_e32 v0, 8, v0
	v_lshl_add_u32 v11, v11, 10, 0x2000
	v_lshlrev_b32_e32 v10, 23, v10
	s_delay_alu instid0(VALU_DEP_2) | instskip(NEXT) | instid1(VALU_DEP_1)
	v_and_or_b32 v0, 0x8000, v0, v11
	v_lshl_or_b32 v10, v0, 16, v10
.LBB281_1187:                           ;   in Loop: Header=BB281_1059 Depth=1
	s_wait_alu 0xfffe
	s_or_b32 exec_lo, exec_lo, s15
.LBB281_1188:                           ;   in Loop: Header=BB281_1059 Depth=1
	s_wait_alu 0xfffe
	s_or_b32 exec_lo, exec_lo, s14
.LBB281_1189:                           ;   in Loop: Header=BB281_1059 Depth=1
	s_wait_alu 0xfffe
	s_or_b32 exec_lo, exec_lo, s9
	v_or_b32_e32 v0, v83, v84
	s_wait_loadcnt_dscnt 0x0
	v_fma_mixlo_f16 v11, v80, v83, 0 op_sel:[0,1,0] op_sel_hi:[0,1,0]
	v_or_b32_e32 v83, v81, v82
	v_fma_mixlo_f16 v81, v80, v81, 0 op_sel:[0,1,0] op_sel_hi:[0,1,0]
	v_or_b32_e32 v84, v87, v86
	v_or_b32_e32 v85, v10, v85
	v_fma_mixlo_f16 v86, v80, v0, 0 op_sel_hi:[0,1,0]
	v_fma_mixlo_f16 v10, v80, v10, 0 op_sel:[0,1,0] op_sel_hi:[0,1,0]
	v_lshlrev_b32_e32 v82, 16, v81
	v_fma_mixlo_f16 v81, v80, v83, 0 op_sel_hi:[0,1,0]
	v_fma_mixlo_f16 v83, v80, v87, 0 op_sel:[0,1,0] op_sel_hi:[0,1,0]
	v_fma_mixlo_f16 v84, v80, v84, 0 op_sel_hi:[0,1,0]
	v_fma_mixlo_f16 v85, v80, v85, 0 op_sel_hi:[0,1,0]
	v_lshlrev_b32_e32 v0, 16, v11
	v_and_b32_e32 v11, 0xffff, v86
	v_and_b32_e32 v96, 0xffff, v81
	v_lshlrev_b32_e32 v80, 16, v83
	v_and_b32_e32 v84, 0xffff, v84
	v_lshlrev_b32_e32 v10, 16, v10
	v_and_b32_e32 v81, 0xffff, v85
	v_or_b32_e32 v83, v0, v11
	v_or_b32_e32 v87, v82, v96
	;; [unrolled: 1-line block ×3, first 2 shown]
	s_delay_alu instid0(VALU_DEP_4)
	v_or_b32_e32 v85, v10, v81
	s_and_saveexec_b32 s9, vcc_lo
	s_cbranch_execz .LBB281_1191
; %bb.1190:                             ;   in Loop: Header=BB281_1059 Depth=1
	v_cmp_lt_i32_e64 s1, v23, v32
	s_wait_alu 0xf1ff
	s_delay_alu instid0(VALU_DEP_1) | instskip(SKIP_2) | instid1(VALU_DEP_1)
	v_cndmask_b32_e64 v83, 0, v96, s1
	v_cmp_lt_i32_e64 s1, v71, v32
	s_wait_alu 0xf1ff
	v_cndmask_b32_e64 v82, 0, v82, s1
	v_cmp_lt_i32_e64 s1, v70, v32
	s_delay_alu instid0(VALU_DEP_2) | instskip(SKIP_1) | instid1(VALU_DEP_2)
	v_or_b32_e32 v87, v83, v82
	s_wait_alu 0xf1ff
	v_cndmask_b32_e64 v11, 0, v11, s1
	v_cmp_lt_i32_e64 s1, v69, v32
	s_wait_alu 0xf1ff
	s_delay_alu instid0(VALU_DEP_1) | instskip(SKIP_1) | instid1(VALU_DEP_2)
	v_cndmask_b32_e64 v0, 0, v0, s1
	v_cmp_lt_i32_e64 s1, v68, v32
	v_or_b32_e32 v83, v11, v0
	s_wait_alu 0xf1ff
	s_delay_alu instid0(VALU_DEP_2) | instskip(SKIP_2) | instid1(VALU_DEP_1)
	v_cndmask_b32_e64 v84, 0, v84, s1
	v_cmp_lt_i32_e64 s1, v67, v32
	s_wait_alu 0xf1ff
	v_cndmask_b32_e64 v80, 0, v80, s1
	v_cmp_lt_i32_e64 s1, v66, v32
	s_delay_alu instid0(VALU_DEP_2) | instskip(SKIP_1) | instid1(VALU_DEP_2)
	v_or_b32_e32 v86, v84, v80
	s_wait_alu 0xf1ff
	v_cndmask_b32_e64 v81, 0, v81, s1
	v_cmp_lt_i32_e64 s1, v14, v32
	s_wait_alu 0xf1ff
	s_delay_alu instid0(VALU_DEP_1) | instskip(NEXT) | instid1(VALU_DEP_1)
	v_cndmask_b32_e64 v10, 0, v10, s1
	v_or_b32_e32 v85, v81, v10
.LBB281_1191:                           ;   in Loop: Header=BB281_1059 Depth=1
	s_wait_alu 0xfffe
	s_or_b32 exec_lo, exec_lo, s9
	;;#ASMSTART
	v_pk_mul_f16 v0, v64, v87;

	;;#ASMEND
	;;#ASMSTART
	v_pk_mul_f16 v10, v38, v83;

	;;#ASMEND
	;; [unrolled: 4-line block ×4, first 2 shown]
	;;#ASMSTART
	v_pk_add_f16 v0, v0, v10;

	;;#ASMEND
	;;#ASMSTART
	v_pk_add_f16 v0, v0, v11;

	;;#ASMEND
	;; [unrolled: 4-line block ×3, first 2 shown]
	v_dual_mov_b32 v83, 0 :: v_dual_and_b32 v10, 0xffff, v0
	v_lshrrev_b32_e32 v0, 16, v0
	;;#ASMSTART
	v_cvt_f32_f16 v80, v10;
	;;#ASMEND
	;;#ASMSTART
	v_cvt_f32_f16 v81, v0;
	;;#ASMEND
	flat_load_b64 v[10:11], v[8:9] offset:512
	flat_load_b32 v82, v[26:27]
	v_mov_b32_e32 v84, 0
	s_mov_b32 s9, exec_lo
	s_wait_loadcnt_dscnt 0x101
	v_and_b32_e32 v0, 0xff, v10
	s_delay_alu instid0(VALU_DEP_1)
	v_cmpx_ne_u16_e32 0, v0
	s_cbranch_execz .LBB281_1199
; %bb.1192:                             ;   in Loop: Header=BB281_1059 Depth=1
	v_mov_b32_e32 v84, 0x8000
	s_mov_b32 s14, exec_lo
	v_cmpx_ne_u16_e32 0x80, v0
	s_cbranch_execz .LBB281_1198
; %bb.1193:                             ;   in Loop: Header=BB281_1059 Depth=1
	v_and_b32_e32 v85, 0x7f, v10
	v_mov_b32_e32 v84, 0x7c01
	s_mov_b32 s15, exec_lo
	s_delay_alu instid0(VALU_DEP_2)
	v_cmpx_ne_u32_e32 0x7f, v85
	s_cbranch_execz .LBB281_1197
; %bb.1194:                             ;   in Loop: Header=BB281_1059 Depth=1
	v_and_b32_e32 v0, 7, v10
	v_lshrrev_b32_e32 v84, 3, v85
	s_mov_b32 s16, exec_lo
	v_cmpx_gt_u32_e32 8, v85
; %bb.1195:                             ;   in Loop: Header=BB281_1059 Depth=1
	s_delay_alu instid0(VALU_DEP_3) | instskip(NEXT) | instid1(VALU_DEP_1)
	v_clz_i32_u32_e32 v0, v0
	v_min_u32_e32 v0, 32, v0
	s_delay_alu instid0(VALU_DEP_1) | instskip(NEXT) | instid1(VALU_DEP_1)
	v_subrev_nc_u32_e32 v84, 28, v0
	v_lshlrev_b64_e32 v[85:86], v84, v[10:11]
	v_sub_nc_u32_e32 v84, 29, v0
	s_delay_alu instid0(VALU_DEP_2)
	v_and_b32_e32 v0, 7, v85
; %bb.1196:                             ;   in Loop: Header=BB281_1059 Depth=1
	s_wait_alu 0xfffe
	s_or_b32 exec_lo, exec_lo, s16
	v_lshlrev_b32_e32 v85, 8, v10
	v_lshl_add_u32 v84, v84, 10, 0x2000
	v_lshlrev_b32_e32 v0, 7, v0
	s_delay_alu instid0(VALU_DEP_3) | instskip(NEXT) | instid1(VALU_DEP_3)
	v_and_b32_e32 v85, 0x8000, v85
	v_and_b32_e32 v84, 0xfc00, v84
	s_delay_alu instid0(VALU_DEP_1)
	v_or3_b32 v84, v85, v84, v0
.LBB281_1197:                           ;   in Loop: Header=BB281_1059 Depth=1
	s_wait_alu 0xfffe
	s_or_b32 exec_lo, exec_lo, s15
.LBB281_1198:                           ;   in Loop: Header=BB281_1059 Depth=1
	s_wait_alu 0xfffe
	s_or_b32 exec_lo, exec_lo, s14
.LBB281_1199:                           ;   in Loop: Header=BB281_1059 Depth=1
	s_wait_alu 0xfffe
	s_or_b32 exec_lo, exec_lo, s9
	v_lshrrev_b16 v0, 8, v10
	s_mov_b32 s9, exec_lo
	s_delay_alu instid0(VALU_DEP_1)
	v_cmpx_ne_u16_e32 0, v0
	s_cbranch_execz .LBB281_1207
; %bb.1200:                             ;   in Loop: Header=BB281_1059 Depth=1
	v_bfrev_b32_e32 v83, 1
	s_mov_b32 s14, exec_lo
	v_cmpx_ne_u16_e32 0x80, v0
	s_cbranch_execz .LBB281_1206
; %bb.1201:                             ;   in Loop: Header=BB281_1059 Depth=1
	v_and_b32_e32 v85, 0xffff, v0
	v_mov_b32_e32 v83, 0x7c010000
	s_mov_b32 s15, exec_lo
	s_delay_alu instid0(VALU_DEP_2) | instskip(NEXT) | instid1(VALU_DEP_1)
	v_and_b32_e32 v87, 0x7f, v85
	v_cmpx_ne_u32_e32 0x7f, v87
	s_cbranch_execz .LBB281_1205
; %bb.1202:                             ;   in Loop: Header=BB281_1059 Depth=1
	v_and_b32_e32 v83, 7, v85
	v_lshrrev_b32_e32 v86, 3, v87
	s_mov_b32 s16, exec_lo
	v_cmpx_gt_u32_e32 8, v87
; %bb.1203:                             ;   in Loop: Header=BB281_1059 Depth=1
	s_delay_alu instid0(VALU_DEP_3) | instskip(NEXT) | instid1(VALU_DEP_1)
	v_clz_i32_u32_e32 v83, v83
	v_min_u32_e32 v83, 32, v83
	s_delay_alu instid0(VALU_DEP_1) | instskip(NEXT) | instid1(VALU_DEP_1)
	v_subrev_nc_u32_e32 v86, 28, v83
	v_lshlrev_b64_e32 v[96:97], v86, v[0:1]
	v_sub_nc_u32_e32 v86, 29, v83
	s_delay_alu instid0(VALU_DEP_2)
	v_and_b32_e32 v83, 7, v96
; %bb.1204:                             ;   in Loop: Header=BB281_1059 Depth=1
	s_wait_alu 0xfffe
	s_or_b32 exec_lo, exec_lo, s16
	v_lshlrev_b32_e32 v0, 8, v85
	v_lshl_add_u32 v85, v86, 10, 0x2000
	v_lshlrev_b32_e32 v83, 23, v83
	s_delay_alu instid0(VALU_DEP_2) | instskip(NEXT) | instid1(VALU_DEP_1)
	v_and_or_b32 v0, 0x8000, v0, v85
	v_lshl_or_b32 v83, v0, 16, v83
.LBB281_1205:                           ;   in Loop: Header=BB281_1059 Depth=1
	s_wait_alu 0xfffe
	s_or_b32 exec_lo, exec_lo, s15
.LBB281_1206:                           ;   in Loop: Header=BB281_1059 Depth=1
	s_wait_alu 0xfffe
	s_or_b32 exec_lo, exec_lo, s14
.LBB281_1207:                           ;   in Loop: Header=BB281_1059 Depth=1
	s_wait_alu 0xfffe
	s_or_b32 exec_lo, exec_lo, s9
	v_lshrrev_b32_e32 v0, 16, v10
	v_mov_b32_e32 v85, 0
	s_mov_b32 s9, exec_lo
	s_delay_alu instid0(VALU_DEP_2) | instskip(NEXT) | instid1(VALU_DEP_1)
	v_dual_mov_b32 v86, 0 :: v_dual_and_b32 v87, 0xff, v0
	v_cmpx_ne_u16_e32 0, v87
	s_cbranch_execz .LBB281_1215
; %bb.1208:                             ;   in Loop: Header=BB281_1059 Depth=1
	v_mov_b32_e32 v86, 0x8000
	s_mov_b32 s14, exec_lo
	v_cmpx_ne_u16_e32 0x80, v87
	s_cbranch_execz .LBB281_1214
; %bb.1209:                             ;   in Loop: Header=BB281_1059 Depth=1
	v_bfe_u32 v96, v10, 16, 7
	v_mov_b32_e32 v86, 0x7c01
	s_mov_b32 s15, exec_lo
	s_delay_alu instid0(VALU_DEP_2)
	v_cmpx_ne_u32_e32 0x7f, v96
	s_cbranch_execz .LBB281_1213
; %bb.1210:                             ;   in Loop: Header=BB281_1059 Depth=1
	v_and_b32_e32 v86, 7, v0
	v_lshrrev_b32_e32 v87, 3, v96
	s_mov_b32 s16, exec_lo
	v_cmpx_gt_u32_e32 8, v96
; %bb.1211:                             ;   in Loop: Header=BB281_1059 Depth=1
	s_delay_alu instid0(VALU_DEP_3) | instskip(NEXT) | instid1(VALU_DEP_1)
	v_clz_i32_u32_e32 v86, v86
	v_min_u32_e32 v96, 32, v86
	s_delay_alu instid0(VALU_DEP_1) | instskip(NEXT) | instid1(VALU_DEP_1)
	v_subrev_nc_u32_e32 v86, 28, v96
	v_lshlrev_b64_e32 v[86:87], v86, v[0:1]
	v_sub_nc_u32_e32 v87, 29, v96
	s_delay_alu instid0(VALU_DEP_2)
	v_and_b32_e32 v86, 7, v86
; %bb.1212:                             ;   in Loop: Header=BB281_1059 Depth=1
	s_wait_alu 0xfffe
	s_or_b32 exec_lo, exec_lo, s16
	v_lshlrev_b32_e32 v0, 8, v0
	v_lshl_add_u32 v87, v87, 10, 0x2000
	v_lshlrev_b32_e32 v86, 7, v86
	s_delay_alu instid0(VALU_DEP_3) | instskip(NEXT) | instid1(VALU_DEP_3)
	v_and_b32_e32 v0, 0x8000, v0
	v_and_b32_e32 v87, 0xfc00, v87
	s_delay_alu instid0(VALU_DEP_1)
	v_or3_b32 v86, v0, v87, v86
.LBB281_1213:                           ;   in Loop: Header=BB281_1059 Depth=1
	s_wait_alu 0xfffe
	s_or_b32 exec_lo, exec_lo, s15
.LBB281_1214:                           ;   in Loop: Header=BB281_1059 Depth=1
	s_wait_alu 0xfffe
	s_or_b32 exec_lo, exec_lo, s14
.LBB281_1215:                           ;   in Loop: Header=BB281_1059 Depth=1
	s_wait_alu 0xfffe
	s_or_b32 exec_lo, exec_lo, s9
	s_delay_alu instid0(SALU_CYCLE_1)
	s_mov_b32 s9, exec_lo
	v_cmpx_lt_u32_e32 0xffffff, v10
	s_cbranch_execz .LBB281_1223
; %bb.1216:                             ;   in Loop: Header=BB281_1059 Depth=1
	v_lshrrev_b32_e32 v0, 24, v10
	v_bfrev_b32_e32 v85, 1
	s_mov_b32 s14, exec_lo
	s_delay_alu instid0(VALU_DEP_2)
	v_cmpx_ne_u32_e32 0x80, v0
	s_cbranch_execz .LBB281_1222
; %bb.1217:                             ;   in Loop: Header=BB281_1059 Depth=1
	v_and_b32_e32 v96, 0x7f, v0
	v_mov_b32_e32 v85, 0x7c010000
	s_mov_b32 s15, exec_lo
	s_delay_alu instid0(VALU_DEP_2)
	v_cmpx_ne_u32_e32 0x7f, v96
	s_cbranch_execz .LBB281_1221
; %bb.1218:                             ;   in Loop: Header=BB281_1059 Depth=1
	v_and_b32_e32 v85, 7, v0
	v_lshrrev_b32_e32 v87, 3, v96
	s_mov_b32 s16, exec_lo
	v_cmpx_gt_u32_e32 8, v96
; %bb.1219:                             ;   in Loop: Header=BB281_1059 Depth=1
	s_delay_alu instid0(VALU_DEP_3) | instskip(NEXT) | instid1(VALU_DEP_1)
	v_clz_i32_u32_e32 v85, v85
	v_min_u32_e32 v85, 32, v85
	s_delay_alu instid0(VALU_DEP_1) | instskip(NEXT) | instid1(VALU_DEP_1)
	v_subrev_nc_u32_e32 v87, 28, v85
	v_lshlrev_b64_e32 v[96:97], v87, v[0:1]
	v_sub_nc_u32_e32 v87, 29, v85
	s_delay_alu instid0(VALU_DEP_2)
	v_and_b32_e32 v85, 7, v96
; %bb.1220:                             ;   in Loop: Header=BB281_1059 Depth=1
	s_wait_alu 0xfffe
	s_or_b32 exec_lo, exec_lo, s16
	v_lshlrev_b32_e32 v0, 8, v0
	v_lshl_add_u32 v87, v87, 10, 0x2000
	v_lshlrev_b32_e32 v85, 23, v85
	s_delay_alu instid0(VALU_DEP_2) | instskip(NEXT) | instid1(VALU_DEP_1)
	v_and_or_b32 v0, 0x8000, v0, v87
	v_lshl_or_b32 v85, v0, 16, v85
.LBB281_1221:                           ;   in Loop: Header=BB281_1059 Depth=1
	s_wait_alu 0xfffe
	s_or_b32 exec_lo, exec_lo, s15
.LBB281_1222:                           ;   in Loop: Header=BB281_1059 Depth=1
	s_wait_alu 0xfffe
	s_or_b32 exec_lo, exec_lo, s14
.LBB281_1223:                           ;   in Loop: Header=BB281_1059 Depth=1
	s_wait_alu 0xfffe
	s_or_b32 exec_lo, exec_lo, s9
	v_dual_mov_b32 v0, v11 :: v_dual_and_b32 v97, 0xff, v11
	v_dual_mov_b32 v87, 0 :: v_dual_mov_b32 v96, 0
	s_mov_b32 s9, exec_lo
	s_delay_alu instid0(VALU_DEP_2)
	v_cmpx_ne_u16_e32 0, v97
	s_cbranch_execz .LBB281_1231
; %bb.1224:                             ;   in Loop: Header=BB281_1059 Depth=1
	v_mov_b32_e32 v96, 0x8000
	s_mov_b32 s14, exec_lo
	v_cmpx_ne_u16_e32 0x80, v97
	s_cbranch_execz .LBB281_1230
; %bb.1225:                             ;   in Loop: Header=BB281_1059 Depth=1
	v_and_b32_e32 v98, 0x7f, v11
	v_mov_b32_e32 v96, 0x7c01
	s_mov_b32 s15, exec_lo
	s_delay_alu instid0(VALU_DEP_2)
	v_cmpx_ne_u32_e32 0x7f, v98
	s_cbranch_execz .LBB281_1229
; %bb.1226:                             ;   in Loop: Header=BB281_1059 Depth=1
	v_and_b32_e32 v96, 7, v11
	v_lshrrev_b32_e32 v97, 3, v98
	s_mov_b32 s16, exec_lo
	v_cmpx_gt_u32_e32 8, v98
; %bb.1227:                             ;   in Loop: Header=BB281_1059 Depth=1
	s_delay_alu instid0(VALU_DEP_3) | instskip(NEXT) | instid1(VALU_DEP_1)
	v_clz_i32_u32_e32 v96, v96
	v_min_u32_e32 v98, 32, v96
	s_delay_alu instid0(VALU_DEP_1) | instskip(NEXT) | instid1(VALU_DEP_1)
	v_subrev_nc_u32_e32 v96, 28, v98
	v_lshlrev_b64_e32 v[96:97], v96, v[0:1]
	v_sub_nc_u32_e32 v97, 29, v98
	s_delay_alu instid0(VALU_DEP_2)
	v_and_b32_e32 v96, 7, v96
; %bb.1228:                             ;   in Loop: Header=BB281_1059 Depth=1
	s_wait_alu 0xfffe
	s_or_b32 exec_lo, exec_lo, s16
	v_lshlrev_b32_e32 v98, 8, v11
	v_lshl_add_u32 v97, v97, 10, 0x2000
	v_lshlrev_b32_e32 v96, 7, v96
	s_delay_alu instid0(VALU_DEP_3) | instskip(NEXT) | instid1(VALU_DEP_3)
	v_and_b32_e32 v98, 0x8000, v98
	v_and_b32_e32 v97, 0xfc00, v97
	s_delay_alu instid0(VALU_DEP_1)
	v_or3_b32 v96, v98, v97, v96
.LBB281_1229:                           ;   in Loop: Header=BB281_1059 Depth=1
	s_wait_alu 0xfffe
	s_or_b32 exec_lo, exec_lo, s15
.LBB281_1230:                           ;   in Loop: Header=BB281_1059 Depth=1
	s_wait_alu 0xfffe
	s_or_b32 exec_lo, exec_lo, s14
.LBB281_1231:                           ;   in Loop: Header=BB281_1059 Depth=1
	s_wait_alu 0xfffe
	s_or_b32 exec_lo, exec_lo, s9
	v_lshrrev_b16 v0, 8, v0
	v_mov_b32_e32 v97, 0
	s_mov_b32 s9, exec_lo
	s_delay_alu instid0(VALU_DEP_2)
	v_cmpx_ne_u16_e32 0, v0
	s_cbranch_execz .LBB281_1239
; %bb.1232:                             ;   in Loop: Header=BB281_1059 Depth=1
	v_bfrev_b32_e32 v97, 1
	s_mov_b32 s14, exec_lo
	v_cmpx_ne_u16_e32 0x80, v0
	s_cbranch_execz .LBB281_1238
; %bb.1233:                             ;   in Loop: Header=BB281_1059 Depth=1
	v_and_b32_e32 v98, 0xffff, v0
	v_mov_b32_e32 v97, 0x7c010000
	s_mov_b32 s15, exec_lo
	s_delay_alu instid0(VALU_DEP_2) | instskip(NEXT) | instid1(VALU_DEP_1)
	v_and_b32_e32 v100, 0x7f, v98
	v_cmpx_ne_u32_e32 0x7f, v100
	s_cbranch_execz .LBB281_1237
; %bb.1234:                             ;   in Loop: Header=BB281_1059 Depth=1
	v_and_b32_e32 v97, 7, v98
	v_lshrrev_b32_e32 v99, 3, v100
	s_mov_b32 s16, exec_lo
	v_cmpx_gt_u32_e32 8, v100
; %bb.1235:                             ;   in Loop: Header=BB281_1059 Depth=1
	s_delay_alu instid0(VALU_DEP_3) | instskip(NEXT) | instid1(VALU_DEP_1)
	v_clz_i32_u32_e32 v97, v97
	v_min_u32_e32 v97, 32, v97
	s_delay_alu instid0(VALU_DEP_1) | instskip(NEXT) | instid1(VALU_DEP_1)
	v_subrev_nc_u32_e32 v99, 28, v97
	v_lshlrev_b64_e32 v[100:101], v99, v[0:1]
	v_sub_nc_u32_e32 v99, 29, v97
	s_delay_alu instid0(VALU_DEP_2)
	v_and_b32_e32 v97, 7, v100
; %bb.1236:                             ;   in Loop: Header=BB281_1059 Depth=1
	s_wait_alu 0xfffe
	s_or_b32 exec_lo, exec_lo, s16
	v_lshlrev_b32_e32 v0, 8, v98
	v_lshl_add_u32 v98, v99, 10, 0x2000
	v_lshlrev_b32_e32 v97, 23, v97
	s_delay_alu instid0(VALU_DEP_2) | instskip(NEXT) | instid1(VALU_DEP_1)
	v_and_or_b32 v0, 0x8000, v0, v98
	v_lshl_or_b32 v97, v0, 16, v97
.LBB281_1237:                           ;   in Loop: Header=BB281_1059 Depth=1
	s_wait_alu 0xfffe
	s_or_b32 exec_lo, exec_lo, s15
.LBB281_1238:                           ;   in Loop: Header=BB281_1059 Depth=1
	s_wait_alu 0xfffe
	s_or_b32 exec_lo, exec_lo, s14
.LBB281_1239:                           ;   in Loop: Header=BB281_1059 Depth=1
	s_wait_alu 0xfffe
	s_or_b32 exec_lo, exec_lo, s9
	v_lshrrev_b32_e32 v0, 16, v11
	s_mov_b32 s9, exec_lo
	s_delay_alu instid0(VALU_DEP_1) | instskip(NEXT) | instid1(VALU_DEP_1)
	v_and_b32_e32 v98, 0xff, v0
	v_cmpx_ne_u16_e32 0, v98
	s_cbranch_execz .LBB281_1247
; %bb.1240:                             ;   in Loop: Header=BB281_1059 Depth=1
	v_mov_b32_e32 v87, 0x8000
	s_mov_b32 s14, exec_lo
	v_cmpx_ne_u16_e32 0x80, v98
	s_cbranch_execz .LBB281_1246
; %bb.1241:                             ;   in Loop: Header=BB281_1059 Depth=1
	v_bfe_u32 v99, v11, 16, 7
	v_mov_b32_e32 v87, 0x7c01
	s_mov_b32 s15, exec_lo
	s_delay_alu instid0(VALU_DEP_2)
	v_cmpx_ne_u32_e32 0x7f, v99
	s_cbranch_execz .LBB281_1245
; %bb.1242:                             ;   in Loop: Header=BB281_1059 Depth=1
	v_and_b32_e32 v87, 7, v0
	v_lshrrev_b32_e32 v98, 3, v99
	s_mov_b32 s16, exec_lo
	v_cmpx_gt_u32_e32 8, v99
; %bb.1243:                             ;   in Loop: Header=BB281_1059 Depth=1
	s_delay_alu instid0(VALU_DEP_3) | instskip(NEXT) | instid1(VALU_DEP_1)
	v_clz_i32_u32_e32 v87, v87
	v_min_u32_e32 v87, 32, v87
	s_delay_alu instid0(VALU_DEP_1) | instskip(NEXT) | instid1(VALU_DEP_1)
	v_subrev_nc_u32_e32 v98, 28, v87
	v_lshlrev_b64_e32 v[99:100], v98, v[0:1]
	v_sub_nc_u32_e32 v98, 29, v87
	s_delay_alu instid0(VALU_DEP_2)
	v_and_b32_e32 v87, 7, v99
; %bb.1244:                             ;   in Loop: Header=BB281_1059 Depth=1
	s_wait_alu 0xfffe
	s_or_b32 exec_lo, exec_lo, s16
	v_lshlrev_b32_e32 v0, 8, v0
	v_lshl_add_u32 v98, v98, 10, 0x2000
	v_lshlrev_b32_e32 v87, 7, v87
	s_delay_alu instid0(VALU_DEP_3) | instskip(NEXT) | instid1(VALU_DEP_3)
	v_and_b32_e32 v0, 0x8000, v0
	v_and_b32_e32 v98, 0xfc00, v98
	s_delay_alu instid0(VALU_DEP_1)
	v_or3_b32 v87, v0, v98, v87
.LBB281_1245:                           ;   in Loop: Header=BB281_1059 Depth=1
	s_wait_alu 0xfffe
	s_or_b32 exec_lo, exec_lo, s15
.LBB281_1246:                           ;   in Loop: Header=BB281_1059 Depth=1
	s_wait_alu 0xfffe
	s_or_b32 exec_lo, exec_lo, s14
.LBB281_1247:                           ;   in Loop: Header=BB281_1059 Depth=1
	s_wait_alu 0xfffe
	s_or_b32 exec_lo, exec_lo, s9
	v_cmp_lt_u64_e64 s1, s[4:5], v[10:11]
	v_mov_b32_e32 v10, 0
	s_and_saveexec_b32 s9, s1
	s_cbranch_execz .LBB281_1255
; %bb.1248:                             ;   in Loop: Header=BB281_1059 Depth=1
	v_lshrrev_b32_e32 v0, 24, v11
	v_bfrev_b32_e32 v10, 1
	s_mov_b32 s14, exec_lo
	s_delay_alu instid0(VALU_DEP_2)
	v_cmpx_ne_u32_e32 0x80, v0
	s_cbranch_execz .LBB281_1254
; %bb.1249:                             ;   in Loop: Header=BB281_1059 Depth=1
	v_and_b32_e32 v98, 0x7f, v0
	v_mov_b32_e32 v10, 0x7c010000
	s_mov_b32 s15, exec_lo
	s_delay_alu instid0(VALU_DEP_2)
	v_cmpx_ne_u32_e32 0x7f, v98
	s_cbranch_execz .LBB281_1253
; %bb.1250:                             ;   in Loop: Header=BB281_1059 Depth=1
	v_and_b32_e32 v10, 7, v0
	v_lshrrev_b32_e32 v11, 3, v98
	s_mov_b32 s16, exec_lo
	v_cmpx_gt_u32_e32 8, v98
; %bb.1251:                             ;   in Loop: Header=BB281_1059 Depth=1
	s_delay_alu instid0(VALU_DEP_3) | instskip(NEXT) | instid1(VALU_DEP_1)
	v_clz_i32_u32_e32 v10, v10
	v_min_u32_e32 v98, 32, v10
	s_delay_alu instid0(VALU_DEP_1) | instskip(NEXT) | instid1(VALU_DEP_1)
	v_subrev_nc_u32_e32 v10, 28, v98
	v_lshlrev_b64_e32 v[10:11], v10, v[0:1]
	v_sub_nc_u32_e32 v11, 29, v98
	s_delay_alu instid0(VALU_DEP_2)
	v_and_b32_e32 v10, 7, v10
; %bb.1252:                             ;   in Loop: Header=BB281_1059 Depth=1
	s_wait_alu 0xfffe
	s_or_b32 exec_lo, exec_lo, s16
	v_lshlrev_b32_e32 v0, 8, v0
	v_lshl_add_u32 v11, v11, 10, 0x2000
	v_lshlrev_b32_e32 v10, 23, v10
	s_delay_alu instid0(VALU_DEP_2) | instskip(NEXT) | instid1(VALU_DEP_1)
	v_and_or_b32 v0, 0x8000, v0, v11
	v_lshl_or_b32 v10, v0, 16, v10
.LBB281_1253:                           ;   in Loop: Header=BB281_1059 Depth=1
	s_wait_alu 0xfffe
	s_or_b32 exec_lo, exec_lo, s15
.LBB281_1254:                           ;   in Loop: Header=BB281_1059 Depth=1
	s_wait_alu 0xfffe
	s_or_b32 exec_lo, exec_lo, s14
.LBB281_1255:                           ;   in Loop: Header=BB281_1059 Depth=1
	s_wait_alu 0xfffe
	s_or_b32 exec_lo, exec_lo, s9
	v_or_b32_e32 v0, v85, v86
	s_wait_loadcnt_dscnt 0x0
	v_fma_mixlo_f16 v11, v82, v85, 0 op_sel:[0,1,0] op_sel_hi:[0,1,0]
	v_or_b32_e32 v85, v83, v84
	v_fma_mixlo_f16 v83, v82, v83, 0 op_sel:[0,1,0] op_sel_hi:[0,1,0]
	v_or_b32_e32 v86, v97, v96
	v_or_b32_e32 v87, v10, v87
	v_fma_mixlo_f16 v96, v82, v0, 0 op_sel_hi:[0,1,0]
	v_fma_mixlo_f16 v10, v82, v10, 0 op_sel:[0,1,0] op_sel_hi:[0,1,0]
	v_lshlrev_b32_e32 v84, 16, v83
	v_fma_mixlo_f16 v83, v82, v85, 0 op_sel_hi:[0,1,0]
	v_fma_mixlo_f16 v85, v82, v97, 0 op_sel:[0,1,0] op_sel_hi:[0,1,0]
	v_fma_mixlo_f16 v86, v82, v86, 0 op_sel_hi:[0,1,0]
	v_fma_mixlo_f16 v87, v82, v87, 0 op_sel_hi:[0,1,0]
	v_lshlrev_b32_e32 v0, 16, v11
	v_and_b32_e32 v11, 0xffff, v96
	v_and_b32_e32 v98, 0xffff, v83
	v_lshlrev_b32_e32 v82, 16, v85
	v_and_b32_e32 v86, 0xffff, v86
	v_lshlrev_b32_e32 v10, 16, v10
	v_and_b32_e32 v83, 0xffff, v87
	v_or_b32_e32 v85, v0, v11
	v_or_b32_e32 v97, v84, v98
	;; [unrolled: 1-line block ×3, first 2 shown]
	s_delay_alu instid0(VALU_DEP_4)
	v_or_b32_e32 v87, v10, v83
	s_and_saveexec_b32 s9, vcc_lo
	s_cbranch_execz .LBB281_1257
; %bb.1256:                             ;   in Loop: Header=BB281_1059 Depth=1
	v_cmp_lt_i32_e64 s1, v23, v32
	s_wait_alu 0xf1ff
	s_delay_alu instid0(VALU_DEP_1) | instskip(SKIP_2) | instid1(VALU_DEP_1)
	v_cndmask_b32_e64 v85, 0, v98, s1
	v_cmp_lt_i32_e64 s1, v71, v32
	s_wait_alu 0xf1ff
	v_cndmask_b32_e64 v84, 0, v84, s1
	v_cmp_lt_i32_e64 s1, v70, v32
	s_delay_alu instid0(VALU_DEP_2) | instskip(SKIP_1) | instid1(VALU_DEP_2)
	v_or_b32_e32 v97, v85, v84
	s_wait_alu 0xf1ff
	v_cndmask_b32_e64 v11, 0, v11, s1
	v_cmp_lt_i32_e64 s1, v69, v32
	s_wait_alu 0xf1ff
	s_delay_alu instid0(VALU_DEP_1) | instskip(SKIP_1) | instid1(VALU_DEP_2)
	v_cndmask_b32_e64 v0, 0, v0, s1
	v_cmp_lt_i32_e64 s1, v68, v32
	v_or_b32_e32 v85, v11, v0
	s_wait_alu 0xf1ff
	s_delay_alu instid0(VALU_DEP_2) | instskip(SKIP_2) | instid1(VALU_DEP_1)
	v_cndmask_b32_e64 v86, 0, v86, s1
	v_cmp_lt_i32_e64 s1, v67, v32
	s_wait_alu 0xf1ff
	v_cndmask_b32_e64 v82, 0, v82, s1
	v_cmp_lt_i32_e64 s1, v66, v32
	s_delay_alu instid0(VALU_DEP_2) | instskip(SKIP_1) | instid1(VALU_DEP_2)
	v_or_b32_e32 v96, v86, v82
	s_wait_alu 0xf1ff
	v_cndmask_b32_e64 v83, 0, v83, s1
	v_cmp_lt_i32_e64 s1, v14, v32
	s_wait_alu 0xf1ff
	s_delay_alu instid0(VALU_DEP_1) | instskip(NEXT) | instid1(VALU_DEP_1)
	v_cndmask_b32_e64 v10, 0, v10, s1
	v_or_b32_e32 v87, v83, v10
.LBB281_1257:                           ;   in Loop: Header=BB281_1059 Depth=1
	s_wait_alu 0xfffe
	s_or_b32 exec_lo, exec_lo, s9
	;;#ASMSTART
	v_pk_mul_f16 v0, v64, v97;

	;;#ASMEND
	;;#ASMSTART
	v_pk_mul_f16 v10, v38, v85;

	;;#ASMEND
	;; [unrolled: 4-line block ×4, first 2 shown]
	;;#ASMSTART
	v_pk_add_f16 v0, v0, v10;

	;;#ASMEND
	;;#ASMSTART
	v_pk_add_f16 v0, v0, v11;

	;;#ASMEND
	;; [unrolled: 4-line block ×3, first 2 shown]
	v_dual_mov_b32 v85, 0 :: v_dual_and_b32 v10, 0xffff, v0
	v_lshrrev_b32_e32 v0, 16, v0
	;;#ASMSTART
	v_cvt_f32_f16 v82, v10;
	;;#ASMEND
	;;#ASMSTART
	v_cvt_f32_f16 v83, v0;
	;;#ASMEND
	flat_load_b64 v[10:11], v[8:9] offset:768
	flat_load_b32 v84, v[26:27]
	v_mov_b32_e32 v86, 0
	s_mov_b32 s9, exec_lo
	s_wait_loadcnt_dscnt 0x101
	v_and_b32_e32 v0, 0xff, v10
	s_delay_alu instid0(VALU_DEP_1)
	v_cmpx_ne_u16_e32 0, v0
	s_cbranch_execz .LBB281_1265
; %bb.1258:                             ;   in Loop: Header=BB281_1059 Depth=1
	v_mov_b32_e32 v86, 0x8000
	s_mov_b32 s14, exec_lo
	v_cmpx_ne_u16_e32 0x80, v0
	s_cbranch_execz .LBB281_1264
; %bb.1259:                             ;   in Loop: Header=BB281_1059 Depth=1
	v_and_b32_e32 v87, 0x7f, v10
	v_mov_b32_e32 v86, 0x7c01
	s_mov_b32 s15, exec_lo
	s_delay_alu instid0(VALU_DEP_2)
	v_cmpx_ne_u32_e32 0x7f, v87
	s_cbranch_execz .LBB281_1263
; %bb.1260:                             ;   in Loop: Header=BB281_1059 Depth=1
	v_and_b32_e32 v0, 7, v10
	v_lshrrev_b32_e32 v86, 3, v87
	s_mov_b32 s16, exec_lo
	v_cmpx_gt_u32_e32 8, v87
; %bb.1261:                             ;   in Loop: Header=BB281_1059 Depth=1
	s_delay_alu instid0(VALU_DEP_3) | instskip(NEXT) | instid1(VALU_DEP_1)
	v_clz_i32_u32_e32 v0, v0
	v_min_u32_e32 v0, 32, v0
	s_delay_alu instid0(VALU_DEP_1) | instskip(NEXT) | instid1(VALU_DEP_1)
	v_subrev_nc_u32_e32 v86, 28, v0
	v_lshlrev_b64_e32 v[96:97], v86, v[10:11]
	v_sub_nc_u32_e32 v86, 29, v0
	s_delay_alu instid0(VALU_DEP_2)
	v_and_b32_e32 v0, 7, v96
; %bb.1262:                             ;   in Loop: Header=BB281_1059 Depth=1
	s_wait_alu 0xfffe
	s_or_b32 exec_lo, exec_lo, s16
	v_lshlrev_b32_e32 v87, 8, v10
	v_lshl_add_u32 v86, v86, 10, 0x2000
	v_lshlrev_b32_e32 v0, 7, v0
	s_delay_alu instid0(VALU_DEP_3) | instskip(NEXT) | instid1(VALU_DEP_3)
	v_and_b32_e32 v87, 0x8000, v87
	v_and_b32_e32 v86, 0xfc00, v86
	s_delay_alu instid0(VALU_DEP_1)
	v_or3_b32 v86, v87, v86, v0
.LBB281_1263:                           ;   in Loop: Header=BB281_1059 Depth=1
	s_wait_alu 0xfffe
	s_or_b32 exec_lo, exec_lo, s15
.LBB281_1264:                           ;   in Loop: Header=BB281_1059 Depth=1
	s_wait_alu 0xfffe
	s_or_b32 exec_lo, exec_lo, s14
.LBB281_1265:                           ;   in Loop: Header=BB281_1059 Depth=1
	s_wait_alu 0xfffe
	s_or_b32 exec_lo, exec_lo, s9
	v_lshrrev_b16 v0, 8, v10
	s_mov_b32 s9, exec_lo
	s_delay_alu instid0(VALU_DEP_1)
	v_cmpx_ne_u16_e32 0, v0
	s_cbranch_execz .LBB281_1273
; %bb.1266:                             ;   in Loop: Header=BB281_1059 Depth=1
	v_bfrev_b32_e32 v85, 1
	s_mov_b32 s14, exec_lo
	v_cmpx_ne_u16_e32 0x80, v0
	s_cbranch_execz .LBB281_1272
; %bb.1267:                             ;   in Loop: Header=BB281_1059 Depth=1
	v_and_b32_e32 v87, 0xffff, v0
	v_mov_b32_e32 v85, 0x7c010000
	s_mov_b32 s15, exec_lo
	s_delay_alu instid0(VALU_DEP_2) | instskip(NEXT) | instid1(VALU_DEP_1)
	v_and_b32_e32 v97, 0x7f, v87
	v_cmpx_ne_u32_e32 0x7f, v97
	s_cbranch_execz .LBB281_1271
; %bb.1268:                             ;   in Loop: Header=BB281_1059 Depth=1
	v_and_b32_e32 v85, 7, v87
	v_lshrrev_b32_e32 v96, 3, v97
	s_mov_b32 s16, exec_lo
	v_cmpx_gt_u32_e32 8, v97
; %bb.1269:                             ;   in Loop: Header=BB281_1059 Depth=1
	s_delay_alu instid0(VALU_DEP_3) | instskip(NEXT) | instid1(VALU_DEP_1)
	v_clz_i32_u32_e32 v85, v85
	v_min_u32_e32 v85, 32, v85
	s_delay_alu instid0(VALU_DEP_1) | instskip(NEXT) | instid1(VALU_DEP_1)
	v_subrev_nc_u32_e32 v96, 28, v85
	v_lshlrev_b64_e32 v[97:98], v96, v[0:1]
	v_sub_nc_u32_e32 v96, 29, v85
	s_delay_alu instid0(VALU_DEP_2)
	v_and_b32_e32 v85, 7, v97
; %bb.1270:                             ;   in Loop: Header=BB281_1059 Depth=1
	s_wait_alu 0xfffe
	s_or_b32 exec_lo, exec_lo, s16
	v_lshlrev_b32_e32 v0, 8, v87
	v_lshl_add_u32 v87, v96, 10, 0x2000
	v_lshlrev_b32_e32 v85, 23, v85
	s_delay_alu instid0(VALU_DEP_2) | instskip(NEXT) | instid1(VALU_DEP_1)
	v_and_or_b32 v0, 0x8000, v0, v87
	v_lshl_or_b32 v85, v0, 16, v85
.LBB281_1271:                           ;   in Loop: Header=BB281_1059 Depth=1
	s_wait_alu 0xfffe
	s_or_b32 exec_lo, exec_lo, s15
.LBB281_1272:                           ;   in Loop: Header=BB281_1059 Depth=1
	s_wait_alu 0xfffe
	s_or_b32 exec_lo, exec_lo, s14
.LBB281_1273:                           ;   in Loop: Header=BB281_1059 Depth=1
	s_wait_alu 0xfffe
	s_or_b32 exec_lo, exec_lo, s9
	v_lshrrev_b32_e32 v0, 16, v10
	v_mov_b32_e32 v87, 0
	s_mov_b32 s9, exec_lo
	s_delay_alu instid0(VALU_DEP_2) | instskip(NEXT) | instid1(VALU_DEP_1)
	v_dual_mov_b32 v96, 0 :: v_dual_and_b32 v97, 0xff, v0
	v_cmpx_ne_u16_e32 0, v97
	s_cbranch_execz .LBB281_1281
; %bb.1274:                             ;   in Loop: Header=BB281_1059 Depth=1
	v_mov_b32_e32 v96, 0x8000
	s_mov_b32 s14, exec_lo
	v_cmpx_ne_u16_e32 0x80, v97
	s_cbranch_execz .LBB281_1280
; %bb.1275:                             ;   in Loop: Header=BB281_1059 Depth=1
	v_bfe_u32 v98, v10, 16, 7
	v_mov_b32_e32 v96, 0x7c01
	s_mov_b32 s15, exec_lo
	s_delay_alu instid0(VALU_DEP_2)
	v_cmpx_ne_u32_e32 0x7f, v98
	s_cbranch_execz .LBB281_1279
; %bb.1276:                             ;   in Loop: Header=BB281_1059 Depth=1
	v_and_b32_e32 v96, 7, v0
	v_lshrrev_b32_e32 v97, 3, v98
	s_mov_b32 s16, exec_lo
	v_cmpx_gt_u32_e32 8, v98
; %bb.1277:                             ;   in Loop: Header=BB281_1059 Depth=1
	s_delay_alu instid0(VALU_DEP_3) | instskip(NEXT) | instid1(VALU_DEP_1)
	v_clz_i32_u32_e32 v96, v96
	v_min_u32_e32 v98, 32, v96
	s_delay_alu instid0(VALU_DEP_1) | instskip(NEXT) | instid1(VALU_DEP_1)
	v_subrev_nc_u32_e32 v96, 28, v98
	v_lshlrev_b64_e32 v[96:97], v96, v[0:1]
	v_sub_nc_u32_e32 v97, 29, v98
	s_delay_alu instid0(VALU_DEP_2)
	v_and_b32_e32 v96, 7, v96
; %bb.1278:                             ;   in Loop: Header=BB281_1059 Depth=1
	s_wait_alu 0xfffe
	s_or_b32 exec_lo, exec_lo, s16
	v_lshlrev_b32_e32 v0, 8, v0
	v_lshl_add_u32 v97, v97, 10, 0x2000
	v_lshlrev_b32_e32 v96, 7, v96
	s_delay_alu instid0(VALU_DEP_3) | instskip(NEXT) | instid1(VALU_DEP_3)
	v_and_b32_e32 v0, 0x8000, v0
	v_and_b32_e32 v97, 0xfc00, v97
	s_delay_alu instid0(VALU_DEP_1)
	v_or3_b32 v96, v0, v97, v96
.LBB281_1279:                           ;   in Loop: Header=BB281_1059 Depth=1
	s_wait_alu 0xfffe
	s_or_b32 exec_lo, exec_lo, s15
.LBB281_1280:                           ;   in Loop: Header=BB281_1059 Depth=1
	s_wait_alu 0xfffe
	s_or_b32 exec_lo, exec_lo, s14
.LBB281_1281:                           ;   in Loop: Header=BB281_1059 Depth=1
	s_wait_alu 0xfffe
	s_or_b32 exec_lo, exec_lo, s9
	s_delay_alu instid0(SALU_CYCLE_1)
	s_mov_b32 s9, exec_lo
	v_cmpx_lt_u32_e32 0xffffff, v10
	s_cbranch_execz .LBB281_1289
; %bb.1282:                             ;   in Loop: Header=BB281_1059 Depth=1
	v_lshrrev_b32_e32 v0, 24, v10
	v_bfrev_b32_e32 v87, 1
	s_mov_b32 s14, exec_lo
	s_delay_alu instid0(VALU_DEP_2)
	v_cmpx_ne_u32_e32 0x80, v0
	s_cbranch_execz .LBB281_1288
; %bb.1283:                             ;   in Loop: Header=BB281_1059 Depth=1
	v_and_b32_e32 v98, 0x7f, v0
	v_mov_b32_e32 v87, 0x7c010000
	s_mov_b32 s15, exec_lo
	s_delay_alu instid0(VALU_DEP_2)
	v_cmpx_ne_u32_e32 0x7f, v98
	s_cbranch_execz .LBB281_1287
; %bb.1284:                             ;   in Loop: Header=BB281_1059 Depth=1
	v_and_b32_e32 v87, 7, v0
	v_lshrrev_b32_e32 v97, 3, v98
	s_mov_b32 s16, exec_lo
	v_cmpx_gt_u32_e32 8, v98
; %bb.1285:                             ;   in Loop: Header=BB281_1059 Depth=1
	s_delay_alu instid0(VALU_DEP_3) | instskip(NEXT) | instid1(VALU_DEP_1)
	v_clz_i32_u32_e32 v87, v87
	v_min_u32_e32 v87, 32, v87
	s_delay_alu instid0(VALU_DEP_1) | instskip(NEXT) | instid1(VALU_DEP_1)
	v_subrev_nc_u32_e32 v97, 28, v87
	v_lshlrev_b64_e32 v[98:99], v97, v[0:1]
	v_sub_nc_u32_e32 v97, 29, v87
	s_delay_alu instid0(VALU_DEP_2)
	v_and_b32_e32 v87, 7, v98
; %bb.1286:                             ;   in Loop: Header=BB281_1059 Depth=1
	s_wait_alu 0xfffe
	s_or_b32 exec_lo, exec_lo, s16
	v_lshlrev_b32_e32 v0, 8, v0
	v_lshl_add_u32 v97, v97, 10, 0x2000
	v_lshlrev_b32_e32 v87, 23, v87
	s_delay_alu instid0(VALU_DEP_2) | instskip(NEXT) | instid1(VALU_DEP_1)
	v_and_or_b32 v0, 0x8000, v0, v97
	v_lshl_or_b32 v87, v0, 16, v87
.LBB281_1287:                           ;   in Loop: Header=BB281_1059 Depth=1
	s_wait_alu 0xfffe
	s_or_b32 exec_lo, exec_lo, s15
.LBB281_1288:                           ;   in Loop: Header=BB281_1059 Depth=1
	s_wait_alu 0xfffe
	s_or_b32 exec_lo, exec_lo, s14
.LBB281_1289:                           ;   in Loop: Header=BB281_1059 Depth=1
	s_wait_alu 0xfffe
	s_or_b32 exec_lo, exec_lo, s9
	v_dual_mov_b32 v0, v11 :: v_dual_and_b32 v99, 0xff, v11
	v_dual_mov_b32 v97, 0 :: v_dual_mov_b32 v98, 0
	s_mov_b32 s9, exec_lo
	s_delay_alu instid0(VALU_DEP_2)
	v_cmpx_ne_u16_e32 0, v99
	s_cbranch_execz .LBB281_1297
; %bb.1290:                             ;   in Loop: Header=BB281_1059 Depth=1
	v_mov_b32_e32 v98, 0x8000
	s_mov_b32 s14, exec_lo
	v_cmpx_ne_u16_e32 0x80, v99
	s_cbranch_execz .LBB281_1296
; %bb.1291:                             ;   in Loop: Header=BB281_1059 Depth=1
	v_and_b32_e32 v100, 0x7f, v11
	v_mov_b32_e32 v98, 0x7c01
	s_mov_b32 s15, exec_lo
	s_delay_alu instid0(VALU_DEP_2)
	v_cmpx_ne_u32_e32 0x7f, v100
	s_cbranch_execz .LBB281_1295
; %bb.1292:                             ;   in Loop: Header=BB281_1059 Depth=1
	v_and_b32_e32 v98, 7, v11
	v_lshrrev_b32_e32 v99, 3, v100
	s_mov_b32 s16, exec_lo
	v_cmpx_gt_u32_e32 8, v100
; %bb.1293:                             ;   in Loop: Header=BB281_1059 Depth=1
	s_delay_alu instid0(VALU_DEP_3) | instskip(NEXT) | instid1(VALU_DEP_1)
	v_clz_i32_u32_e32 v98, v98
	v_min_u32_e32 v100, 32, v98
	s_delay_alu instid0(VALU_DEP_1) | instskip(NEXT) | instid1(VALU_DEP_1)
	v_subrev_nc_u32_e32 v98, 28, v100
	v_lshlrev_b64_e32 v[98:99], v98, v[0:1]
	v_sub_nc_u32_e32 v99, 29, v100
	s_delay_alu instid0(VALU_DEP_2)
	v_and_b32_e32 v98, 7, v98
; %bb.1294:                             ;   in Loop: Header=BB281_1059 Depth=1
	s_wait_alu 0xfffe
	s_or_b32 exec_lo, exec_lo, s16
	v_lshlrev_b32_e32 v100, 8, v11
	v_lshl_add_u32 v99, v99, 10, 0x2000
	v_lshlrev_b32_e32 v98, 7, v98
	s_delay_alu instid0(VALU_DEP_3) | instskip(NEXT) | instid1(VALU_DEP_3)
	v_and_b32_e32 v100, 0x8000, v100
	v_and_b32_e32 v99, 0xfc00, v99
	s_delay_alu instid0(VALU_DEP_1)
	v_or3_b32 v98, v100, v99, v98
.LBB281_1295:                           ;   in Loop: Header=BB281_1059 Depth=1
	s_wait_alu 0xfffe
	s_or_b32 exec_lo, exec_lo, s15
.LBB281_1296:                           ;   in Loop: Header=BB281_1059 Depth=1
	s_wait_alu 0xfffe
	s_or_b32 exec_lo, exec_lo, s14
.LBB281_1297:                           ;   in Loop: Header=BB281_1059 Depth=1
	s_wait_alu 0xfffe
	s_or_b32 exec_lo, exec_lo, s9
	v_lshrrev_b16 v0, 8, v0
	v_mov_b32_e32 v99, 0
	s_mov_b32 s9, exec_lo
	s_delay_alu instid0(VALU_DEP_2)
	v_cmpx_ne_u16_e32 0, v0
	s_cbranch_execz .LBB281_1305
; %bb.1298:                             ;   in Loop: Header=BB281_1059 Depth=1
	v_bfrev_b32_e32 v99, 1
	s_mov_b32 s14, exec_lo
	v_cmpx_ne_u16_e32 0x80, v0
	s_cbranch_execz .LBB281_1304
; %bb.1299:                             ;   in Loop: Header=BB281_1059 Depth=1
	v_and_b32_e32 v100, 0xffff, v0
	v_mov_b32_e32 v99, 0x7c010000
	s_mov_b32 s15, exec_lo
	s_delay_alu instid0(VALU_DEP_2) | instskip(NEXT) | instid1(VALU_DEP_1)
	v_and_b32_e32 v102, 0x7f, v100
	v_cmpx_ne_u32_e32 0x7f, v102
	s_cbranch_execz .LBB281_1303
; %bb.1300:                             ;   in Loop: Header=BB281_1059 Depth=1
	v_and_b32_e32 v99, 7, v100
	v_lshrrev_b32_e32 v101, 3, v102
	s_mov_b32 s16, exec_lo
	v_cmpx_gt_u32_e32 8, v102
; %bb.1301:                             ;   in Loop: Header=BB281_1059 Depth=1
	s_delay_alu instid0(VALU_DEP_3) | instskip(NEXT) | instid1(VALU_DEP_1)
	v_clz_i32_u32_e32 v99, v99
	v_min_u32_e32 v99, 32, v99
	s_delay_alu instid0(VALU_DEP_1) | instskip(NEXT) | instid1(VALU_DEP_1)
	v_subrev_nc_u32_e32 v101, 28, v99
	v_lshlrev_b64_e32 v[102:103], v101, v[0:1]
	v_sub_nc_u32_e32 v101, 29, v99
	s_delay_alu instid0(VALU_DEP_2)
	v_and_b32_e32 v99, 7, v102
; %bb.1302:                             ;   in Loop: Header=BB281_1059 Depth=1
	s_wait_alu 0xfffe
	s_or_b32 exec_lo, exec_lo, s16
	v_lshlrev_b32_e32 v0, 8, v100
	v_lshl_add_u32 v100, v101, 10, 0x2000
	v_lshlrev_b32_e32 v99, 23, v99
	s_delay_alu instid0(VALU_DEP_2) | instskip(NEXT) | instid1(VALU_DEP_1)
	v_and_or_b32 v0, 0x8000, v0, v100
	v_lshl_or_b32 v99, v0, 16, v99
.LBB281_1303:                           ;   in Loop: Header=BB281_1059 Depth=1
	s_wait_alu 0xfffe
	s_or_b32 exec_lo, exec_lo, s15
.LBB281_1304:                           ;   in Loop: Header=BB281_1059 Depth=1
	s_wait_alu 0xfffe
	s_or_b32 exec_lo, exec_lo, s14
.LBB281_1305:                           ;   in Loop: Header=BB281_1059 Depth=1
	s_wait_alu 0xfffe
	s_or_b32 exec_lo, exec_lo, s9
	v_lshrrev_b32_e32 v0, 16, v11
	s_mov_b32 s9, exec_lo
	s_delay_alu instid0(VALU_DEP_1) | instskip(NEXT) | instid1(VALU_DEP_1)
	v_and_b32_e32 v100, 0xff, v0
	v_cmpx_ne_u16_e32 0, v100
	s_cbranch_execz .LBB281_1313
; %bb.1306:                             ;   in Loop: Header=BB281_1059 Depth=1
	v_mov_b32_e32 v97, 0x8000
	s_mov_b32 s14, exec_lo
	v_cmpx_ne_u16_e32 0x80, v100
	s_cbranch_execz .LBB281_1312
; %bb.1307:                             ;   in Loop: Header=BB281_1059 Depth=1
	v_bfe_u32 v101, v11, 16, 7
	v_mov_b32_e32 v97, 0x7c01
	s_mov_b32 s15, exec_lo
	s_delay_alu instid0(VALU_DEP_2)
	v_cmpx_ne_u32_e32 0x7f, v101
	s_cbranch_execz .LBB281_1311
; %bb.1308:                             ;   in Loop: Header=BB281_1059 Depth=1
	v_and_b32_e32 v97, 7, v0
	v_lshrrev_b32_e32 v100, 3, v101
	s_mov_b32 s16, exec_lo
	v_cmpx_gt_u32_e32 8, v101
; %bb.1309:                             ;   in Loop: Header=BB281_1059 Depth=1
	s_delay_alu instid0(VALU_DEP_3) | instskip(NEXT) | instid1(VALU_DEP_1)
	v_clz_i32_u32_e32 v97, v97
	v_min_u32_e32 v97, 32, v97
	s_delay_alu instid0(VALU_DEP_1) | instskip(NEXT) | instid1(VALU_DEP_1)
	v_subrev_nc_u32_e32 v100, 28, v97
	v_lshlrev_b64_e32 v[101:102], v100, v[0:1]
	v_sub_nc_u32_e32 v100, 29, v97
	s_delay_alu instid0(VALU_DEP_2)
	v_and_b32_e32 v97, 7, v101
; %bb.1310:                             ;   in Loop: Header=BB281_1059 Depth=1
	s_wait_alu 0xfffe
	s_or_b32 exec_lo, exec_lo, s16
	v_lshlrev_b32_e32 v0, 8, v0
	v_lshl_add_u32 v100, v100, 10, 0x2000
	v_lshlrev_b32_e32 v97, 7, v97
	s_delay_alu instid0(VALU_DEP_3) | instskip(NEXT) | instid1(VALU_DEP_3)
	v_and_b32_e32 v0, 0x8000, v0
	v_and_b32_e32 v100, 0xfc00, v100
	s_delay_alu instid0(VALU_DEP_1)
	v_or3_b32 v97, v0, v100, v97
.LBB281_1311:                           ;   in Loop: Header=BB281_1059 Depth=1
	s_wait_alu 0xfffe
	s_or_b32 exec_lo, exec_lo, s15
.LBB281_1312:                           ;   in Loop: Header=BB281_1059 Depth=1
	s_wait_alu 0xfffe
	s_or_b32 exec_lo, exec_lo, s14
.LBB281_1313:                           ;   in Loop: Header=BB281_1059 Depth=1
	s_wait_alu 0xfffe
	s_or_b32 exec_lo, exec_lo, s9
	v_cmp_lt_u64_e64 s1, s[4:5], v[10:11]
	v_mov_b32_e32 v10, 0
	s_and_saveexec_b32 s9, s1
	s_cbranch_execz .LBB281_1321
; %bb.1314:                             ;   in Loop: Header=BB281_1059 Depth=1
	v_lshrrev_b32_e32 v0, 24, v11
	v_bfrev_b32_e32 v10, 1
	s_mov_b32 s14, exec_lo
	s_delay_alu instid0(VALU_DEP_2)
	v_cmpx_ne_u32_e32 0x80, v0
	s_cbranch_execz .LBB281_1320
; %bb.1315:                             ;   in Loop: Header=BB281_1059 Depth=1
	v_and_b32_e32 v100, 0x7f, v0
	v_mov_b32_e32 v10, 0x7c010000
	s_mov_b32 s15, exec_lo
	s_delay_alu instid0(VALU_DEP_2)
	v_cmpx_ne_u32_e32 0x7f, v100
	s_cbranch_execz .LBB281_1319
; %bb.1316:                             ;   in Loop: Header=BB281_1059 Depth=1
	v_and_b32_e32 v10, 7, v0
	v_lshrrev_b32_e32 v11, 3, v100
	s_mov_b32 s16, exec_lo
	v_cmpx_gt_u32_e32 8, v100
; %bb.1317:                             ;   in Loop: Header=BB281_1059 Depth=1
	s_delay_alu instid0(VALU_DEP_3) | instskip(NEXT) | instid1(VALU_DEP_1)
	v_clz_i32_u32_e32 v10, v10
	v_min_u32_e32 v100, 32, v10
	s_delay_alu instid0(VALU_DEP_1) | instskip(NEXT) | instid1(VALU_DEP_1)
	v_subrev_nc_u32_e32 v10, 28, v100
	v_lshlrev_b64_e32 v[10:11], v10, v[0:1]
	v_sub_nc_u32_e32 v11, 29, v100
	s_delay_alu instid0(VALU_DEP_2)
	v_and_b32_e32 v10, 7, v10
; %bb.1318:                             ;   in Loop: Header=BB281_1059 Depth=1
	s_wait_alu 0xfffe
	s_or_b32 exec_lo, exec_lo, s16
	v_lshlrev_b32_e32 v0, 8, v0
	v_lshl_add_u32 v11, v11, 10, 0x2000
	v_lshlrev_b32_e32 v10, 23, v10
	s_delay_alu instid0(VALU_DEP_2) | instskip(NEXT) | instid1(VALU_DEP_1)
	v_and_or_b32 v0, 0x8000, v0, v11
	v_lshl_or_b32 v10, v0, 16, v10
.LBB281_1319:                           ;   in Loop: Header=BB281_1059 Depth=1
	s_wait_alu 0xfffe
	s_or_b32 exec_lo, exec_lo, s15
.LBB281_1320:                           ;   in Loop: Header=BB281_1059 Depth=1
	s_wait_alu 0xfffe
	s_or_b32 exec_lo, exec_lo, s14
.LBB281_1321:                           ;   in Loop: Header=BB281_1059 Depth=1
	s_wait_alu 0xfffe
	s_or_b32 exec_lo, exec_lo, s9
	v_or_b32_e32 v0, v87, v96
	s_wait_loadcnt_dscnt 0x0
	v_fma_mixlo_f16 v11, v84, v87, 0 op_sel:[0,1,0] op_sel_hi:[0,1,0]
	v_or_b32_e32 v87, v85, v86
	v_fma_mixlo_f16 v85, v84, v85, 0 op_sel:[0,1,0] op_sel_hi:[0,1,0]
	v_or_b32_e32 v96, v99, v98
	v_or_b32_e32 v97, v10, v97
	v_fma_mixlo_f16 v98, v84, v0, 0 op_sel_hi:[0,1,0]
	v_fma_mixlo_f16 v10, v84, v10, 0 op_sel:[0,1,0] op_sel_hi:[0,1,0]
	v_lshlrev_b32_e32 v86, 16, v85
	v_fma_mixlo_f16 v85, v84, v87, 0 op_sel_hi:[0,1,0]
	v_fma_mixlo_f16 v87, v84, v99, 0 op_sel:[0,1,0] op_sel_hi:[0,1,0]
	v_fma_mixlo_f16 v96, v84, v96, 0 op_sel_hi:[0,1,0]
	v_fma_mixlo_f16 v97, v84, v97, 0 op_sel_hi:[0,1,0]
	v_lshlrev_b32_e32 v0, 16, v11
	v_and_b32_e32 v11, 0xffff, v98
	v_and_b32_e32 v100, 0xffff, v85
	v_lshlrev_b32_e32 v84, 16, v87
	v_and_b32_e32 v96, 0xffff, v96
	v_lshlrev_b32_e32 v10, 16, v10
	v_and_b32_e32 v85, 0xffff, v97
	v_or_b32_e32 v87, v0, v11
	v_or_b32_e32 v99, v86, v100
	;; [unrolled: 1-line block ×3, first 2 shown]
	s_delay_alu instid0(VALU_DEP_4)
	v_or_b32_e32 v97, v10, v85
	s_and_saveexec_b32 s9, vcc_lo
	s_cbranch_execz .LBB281_1323
; %bb.1322:                             ;   in Loop: Header=BB281_1059 Depth=1
	v_cmp_lt_i32_e64 s1, v23, v32
	s_wait_alu 0xf1ff
	s_delay_alu instid0(VALU_DEP_1) | instskip(SKIP_2) | instid1(VALU_DEP_1)
	v_cndmask_b32_e64 v87, 0, v100, s1
	v_cmp_lt_i32_e64 s1, v71, v32
	s_wait_alu 0xf1ff
	v_cndmask_b32_e64 v86, 0, v86, s1
	v_cmp_lt_i32_e64 s1, v70, v32
	s_delay_alu instid0(VALU_DEP_2) | instskip(SKIP_1) | instid1(VALU_DEP_2)
	v_or_b32_e32 v99, v87, v86
	s_wait_alu 0xf1ff
	v_cndmask_b32_e64 v11, 0, v11, s1
	v_cmp_lt_i32_e64 s1, v69, v32
	s_wait_alu 0xf1ff
	s_delay_alu instid0(VALU_DEP_1) | instskip(SKIP_1) | instid1(VALU_DEP_2)
	v_cndmask_b32_e64 v0, 0, v0, s1
	v_cmp_lt_i32_e64 s1, v68, v32
	v_or_b32_e32 v87, v11, v0
	s_wait_alu 0xf1ff
	s_delay_alu instid0(VALU_DEP_2) | instskip(SKIP_2) | instid1(VALU_DEP_1)
	v_cndmask_b32_e64 v96, 0, v96, s1
	v_cmp_lt_i32_e64 s1, v67, v32
	s_wait_alu 0xf1ff
	v_cndmask_b32_e64 v84, 0, v84, s1
	v_cmp_lt_i32_e64 s1, v66, v32
	s_delay_alu instid0(VALU_DEP_2) | instskip(SKIP_1) | instid1(VALU_DEP_2)
	v_or_b32_e32 v98, v96, v84
	s_wait_alu 0xf1ff
	v_cndmask_b32_e64 v85, 0, v85, s1
	v_cmp_lt_i32_e64 s1, v14, v32
	s_wait_alu 0xf1ff
	s_delay_alu instid0(VALU_DEP_1) | instskip(NEXT) | instid1(VALU_DEP_1)
	v_cndmask_b32_e64 v10, 0, v10, s1
	v_or_b32_e32 v97, v85, v10
.LBB281_1323:                           ;   in Loop: Header=BB281_1059 Depth=1
	s_wait_alu 0xfffe
	s_or_b32 exec_lo, exec_lo, s9
	;;#ASMSTART
	v_pk_mul_f16 v0, v64, v99;

	;;#ASMEND
	;;#ASMSTART
	v_pk_mul_f16 v10, v38, v87;

	;;#ASMEND
	;; [unrolled: 4-line block ×4, first 2 shown]
	;;#ASMSTART
	v_pk_add_f16 v0, v0, v10;

	;;#ASMEND
	;;#ASMSTART
	v_pk_add_f16 v0, v0, v11;

	;;#ASMEND
	;; [unrolled: 4-line block ×3, first 2 shown]
	v_dual_mov_b32 v87, 0 :: v_dual_and_b32 v10, 0xffff, v0
	v_lshrrev_b32_e32 v0, 16, v0
	;;#ASMSTART
	v_cvt_f32_f16 v84, v10;
	;;#ASMEND
	;;#ASMSTART
	v_cvt_f32_f16 v85, v0;
	;;#ASMEND
	flat_load_b64 v[10:11], v[8:9] offset:1024
	flat_load_b32 v86, v[26:27]
	v_mov_b32_e32 v96, 0
	s_mov_b32 s9, exec_lo
	s_wait_loadcnt_dscnt 0x101
	v_and_b32_e32 v0, 0xff, v10
	s_delay_alu instid0(VALU_DEP_1)
	v_cmpx_ne_u16_e32 0, v0
	s_cbranch_execz .LBB281_1331
; %bb.1324:                             ;   in Loop: Header=BB281_1059 Depth=1
	v_mov_b32_e32 v96, 0x8000
	s_mov_b32 s14, exec_lo
	v_cmpx_ne_u16_e32 0x80, v0
	s_cbranch_execz .LBB281_1330
; %bb.1325:                             ;   in Loop: Header=BB281_1059 Depth=1
	v_and_b32_e32 v97, 0x7f, v10
	v_mov_b32_e32 v96, 0x7c01
	s_mov_b32 s15, exec_lo
	s_delay_alu instid0(VALU_DEP_2)
	v_cmpx_ne_u32_e32 0x7f, v97
	s_cbranch_execz .LBB281_1329
; %bb.1326:                             ;   in Loop: Header=BB281_1059 Depth=1
	v_and_b32_e32 v0, 7, v10
	v_lshrrev_b32_e32 v96, 3, v97
	s_mov_b32 s16, exec_lo
	v_cmpx_gt_u32_e32 8, v97
; %bb.1327:                             ;   in Loop: Header=BB281_1059 Depth=1
	s_delay_alu instid0(VALU_DEP_3) | instskip(NEXT) | instid1(VALU_DEP_1)
	v_clz_i32_u32_e32 v0, v0
	v_min_u32_e32 v0, 32, v0
	s_delay_alu instid0(VALU_DEP_1) | instskip(NEXT) | instid1(VALU_DEP_1)
	v_subrev_nc_u32_e32 v96, 28, v0
	v_lshlrev_b64_e32 v[97:98], v96, v[10:11]
	v_sub_nc_u32_e32 v96, 29, v0
	s_delay_alu instid0(VALU_DEP_2)
	v_and_b32_e32 v0, 7, v97
; %bb.1328:                             ;   in Loop: Header=BB281_1059 Depth=1
	s_wait_alu 0xfffe
	s_or_b32 exec_lo, exec_lo, s16
	v_lshlrev_b32_e32 v97, 8, v10
	v_lshl_add_u32 v96, v96, 10, 0x2000
	v_lshlrev_b32_e32 v0, 7, v0
	s_delay_alu instid0(VALU_DEP_3) | instskip(NEXT) | instid1(VALU_DEP_3)
	v_and_b32_e32 v97, 0x8000, v97
	v_and_b32_e32 v96, 0xfc00, v96
	s_delay_alu instid0(VALU_DEP_1)
	v_or3_b32 v96, v97, v96, v0
.LBB281_1329:                           ;   in Loop: Header=BB281_1059 Depth=1
	s_wait_alu 0xfffe
	s_or_b32 exec_lo, exec_lo, s15
.LBB281_1330:                           ;   in Loop: Header=BB281_1059 Depth=1
	s_wait_alu 0xfffe
	s_or_b32 exec_lo, exec_lo, s14
.LBB281_1331:                           ;   in Loop: Header=BB281_1059 Depth=1
	s_wait_alu 0xfffe
	s_or_b32 exec_lo, exec_lo, s9
	v_lshrrev_b16 v0, 8, v10
	s_mov_b32 s9, exec_lo
	s_delay_alu instid0(VALU_DEP_1)
	v_cmpx_ne_u16_e32 0, v0
	s_cbranch_execz .LBB281_1339
; %bb.1332:                             ;   in Loop: Header=BB281_1059 Depth=1
	v_bfrev_b32_e32 v87, 1
	s_mov_b32 s14, exec_lo
	v_cmpx_ne_u16_e32 0x80, v0
	s_cbranch_execz .LBB281_1338
; %bb.1333:                             ;   in Loop: Header=BB281_1059 Depth=1
	v_and_b32_e32 v97, 0xffff, v0
	v_mov_b32_e32 v87, 0x7c010000
	s_mov_b32 s15, exec_lo
	s_delay_alu instid0(VALU_DEP_2) | instskip(NEXT) | instid1(VALU_DEP_1)
	v_and_b32_e32 v99, 0x7f, v97
	v_cmpx_ne_u32_e32 0x7f, v99
	s_cbranch_execz .LBB281_1337
; %bb.1334:                             ;   in Loop: Header=BB281_1059 Depth=1
	v_and_b32_e32 v87, 7, v97
	v_lshrrev_b32_e32 v98, 3, v99
	s_mov_b32 s16, exec_lo
	v_cmpx_gt_u32_e32 8, v99
; %bb.1335:                             ;   in Loop: Header=BB281_1059 Depth=1
	s_delay_alu instid0(VALU_DEP_3) | instskip(NEXT) | instid1(VALU_DEP_1)
	v_clz_i32_u32_e32 v87, v87
	v_min_u32_e32 v87, 32, v87
	s_delay_alu instid0(VALU_DEP_1) | instskip(NEXT) | instid1(VALU_DEP_1)
	v_subrev_nc_u32_e32 v98, 28, v87
	v_lshlrev_b64_e32 v[99:100], v98, v[0:1]
	v_sub_nc_u32_e32 v98, 29, v87
	s_delay_alu instid0(VALU_DEP_2)
	v_and_b32_e32 v87, 7, v99
; %bb.1336:                             ;   in Loop: Header=BB281_1059 Depth=1
	s_wait_alu 0xfffe
	s_or_b32 exec_lo, exec_lo, s16
	v_lshlrev_b32_e32 v0, 8, v97
	v_lshl_add_u32 v97, v98, 10, 0x2000
	v_lshlrev_b32_e32 v87, 23, v87
	s_delay_alu instid0(VALU_DEP_2) | instskip(NEXT) | instid1(VALU_DEP_1)
	v_and_or_b32 v0, 0x8000, v0, v97
	v_lshl_or_b32 v87, v0, 16, v87
.LBB281_1337:                           ;   in Loop: Header=BB281_1059 Depth=1
	s_wait_alu 0xfffe
	s_or_b32 exec_lo, exec_lo, s15
.LBB281_1338:                           ;   in Loop: Header=BB281_1059 Depth=1
	s_wait_alu 0xfffe
	s_or_b32 exec_lo, exec_lo, s14
.LBB281_1339:                           ;   in Loop: Header=BB281_1059 Depth=1
	s_wait_alu 0xfffe
	s_or_b32 exec_lo, exec_lo, s9
	v_lshrrev_b32_e32 v0, 16, v10
	v_mov_b32_e32 v97, 0
	s_mov_b32 s9, exec_lo
	s_delay_alu instid0(VALU_DEP_2) | instskip(NEXT) | instid1(VALU_DEP_1)
	v_dual_mov_b32 v98, 0 :: v_dual_and_b32 v99, 0xff, v0
	v_cmpx_ne_u16_e32 0, v99
	s_cbranch_execz .LBB281_1347
; %bb.1340:                             ;   in Loop: Header=BB281_1059 Depth=1
	v_mov_b32_e32 v98, 0x8000
	s_mov_b32 s14, exec_lo
	v_cmpx_ne_u16_e32 0x80, v99
	s_cbranch_execz .LBB281_1346
; %bb.1341:                             ;   in Loop: Header=BB281_1059 Depth=1
	v_bfe_u32 v100, v10, 16, 7
	v_mov_b32_e32 v98, 0x7c01
	s_mov_b32 s15, exec_lo
	s_delay_alu instid0(VALU_DEP_2)
	v_cmpx_ne_u32_e32 0x7f, v100
	s_cbranch_execz .LBB281_1345
; %bb.1342:                             ;   in Loop: Header=BB281_1059 Depth=1
	v_and_b32_e32 v98, 7, v0
	v_lshrrev_b32_e32 v99, 3, v100
	s_mov_b32 s16, exec_lo
	v_cmpx_gt_u32_e32 8, v100
; %bb.1343:                             ;   in Loop: Header=BB281_1059 Depth=1
	s_delay_alu instid0(VALU_DEP_3) | instskip(NEXT) | instid1(VALU_DEP_1)
	v_clz_i32_u32_e32 v98, v98
	v_min_u32_e32 v100, 32, v98
	s_delay_alu instid0(VALU_DEP_1) | instskip(NEXT) | instid1(VALU_DEP_1)
	v_subrev_nc_u32_e32 v98, 28, v100
	v_lshlrev_b64_e32 v[98:99], v98, v[0:1]
	v_sub_nc_u32_e32 v99, 29, v100
	s_delay_alu instid0(VALU_DEP_2)
	v_and_b32_e32 v98, 7, v98
; %bb.1344:                             ;   in Loop: Header=BB281_1059 Depth=1
	s_wait_alu 0xfffe
	s_or_b32 exec_lo, exec_lo, s16
	v_lshlrev_b32_e32 v0, 8, v0
	v_lshl_add_u32 v99, v99, 10, 0x2000
	v_lshlrev_b32_e32 v98, 7, v98
	s_delay_alu instid0(VALU_DEP_3) | instskip(NEXT) | instid1(VALU_DEP_3)
	v_and_b32_e32 v0, 0x8000, v0
	v_and_b32_e32 v99, 0xfc00, v99
	s_delay_alu instid0(VALU_DEP_1)
	v_or3_b32 v98, v0, v99, v98
.LBB281_1345:                           ;   in Loop: Header=BB281_1059 Depth=1
	s_wait_alu 0xfffe
	s_or_b32 exec_lo, exec_lo, s15
.LBB281_1346:                           ;   in Loop: Header=BB281_1059 Depth=1
	s_wait_alu 0xfffe
	s_or_b32 exec_lo, exec_lo, s14
.LBB281_1347:                           ;   in Loop: Header=BB281_1059 Depth=1
	s_wait_alu 0xfffe
	s_or_b32 exec_lo, exec_lo, s9
	s_delay_alu instid0(SALU_CYCLE_1)
	s_mov_b32 s9, exec_lo
	v_cmpx_lt_u32_e32 0xffffff, v10
	s_cbranch_execz .LBB281_1355
; %bb.1348:                             ;   in Loop: Header=BB281_1059 Depth=1
	v_lshrrev_b32_e32 v0, 24, v10
	v_bfrev_b32_e32 v97, 1
	s_mov_b32 s14, exec_lo
	s_delay_alu instid0(VALU_DEP_2)
	v_cmpx_ne_u32_e32 0x80, v0
	s_cbranch_execz .LBB281_1354
; %bb.1349:                             ;   in Loop: Header=BB281_1059 Depth=1
	v_and_b32_e32 v100, 0x7f, v0
	v_mov_b32_e32 v97, 0x7c010000
	s_mov_b32 s15, exec_lo
	s_delay_alu instid0(VALU_DEP_2)
	v_cmpx_ne_u32_e32 0x7f, v100
	s_cbranch_execz .LBB281_1353
; %bb.1350:                             ;   in Loop: Header=BB281_1059 Depth=1
	v_and_b32_e32 v97, 7, v0
	v_lshrrev_b32_e32 v99, 3, v100
	s_mov_b32 s16, exec_lo
	v_cmpx_gt_u32_e32 8, v100
; %bb.1351:                             ;   in Loop: Header=BB281_1059 Depth=1
	s_delay_alu instid0(VALU_DEP_3) | instskip(NEXT) | instid1(VALU_DEP_1)
	v_clz_i32_u32_e32 v97, v97
	v_min_u32_e32 v97, 32, v97
	s_delay_alu instid0(VALU_DEP_1) | instskip(NEXT) | instid1(VALU_DEP_1)
	v_subrev_nc_u32_e32 v99, 28, v97
	v_lshlrev_b64_e32 v[100:101], v99, v[0:1]
	v_sub_nc_u32_e32 v99, 29, v97
	s_delay_alu instid0(VALU_DEP_2)
	v_and_b32_e32 v97, 7, v100
; %bb.1352:                             ;   in Loop: Header=BB281_1059 Depth=1
	s_wait_alu 0xfffe
	s_or_b32 exec_lo, exec_lo, s16
	v_lshlrev_b32_e32 v0, 8, v0
	v_lshl_add_u32 v99, v99, 10, 0x2000
	v_lshlrev_b32_e32 v97, 23, v97
	s_delay_alu instid0(VALU_DEP_2) | instskip(NEXT) | instid1(VALU_DEP_1)
	v_and_or_b32 v0, 0x8000, v0, v99
	v_lshl_or_b32 v97, v0, 16, v97
.LBB281_1353:                           ;   in Loop: Header=BB281_1059 Depth=1
	s_wait_alu 0xfffe
	s_or_b32 exec_lo, exec_lo, s15
.LBB281_1354:                           ;   in Loop: Header=BB281_1059 Depth=1
	s_wait_alu 0xfffe
	s_or_b32 exec_lo, exec_lo, s14
.LBB281_1355:                           ;   in Loop: Header=BB281_1059 Depth=1
	s_wait_alu 0xfffe
	s_or_b32 exec_lo, exec_lo, s9
	v_dual_mov_b32 v0, v11 :: v_dual_and_b32 v101, 0xff, v11
	v_dual_mov_b32 v99, 0 :: v_dual_mov_b32 v100, 0
	s_mov_b32 s9, exec_lo
	s_delay_alu instid0(VALU_DEP_2)
	v_cmpx_ne_u16_e32 0, v101
	s_cbranch_execz .LBB281_1363
; %bb.1356:                             ;   in Loop: Header=BB281_1059 Depth=1
	v_mov_b32_e32 v100, 0x8000
	s_mov_b32 s14, exec_lo
	v_cmpx_ne_u16_e32 0x80, v101
	s_cbranch_execz .LBB281_1362
; %bb.1357:                             ;   in Loop: Header=BB281_1059 Depth=1
	v_and_b32_e32 v102, 0x7f, v11
	v_mov_b32_e32 v100, 0x7c01
	s_mov_b32 s15, exec_lo
	s_delay_alu instid0(VALU_DEP_2)
	v_cmpx_ne_u32_e32 0x7f, v102
	s_cbranch_execz .LBB281_1361
; %bb.1358:                             ;   in Loop: Header=BB281_1059 Depth=1
	v_and_b32_e32 v100, 7, v11
	v_lshrrev_b32_e32 v101, 3, v102
	s_mov_b32 s16, exec_lo
	v_cmpx_gt_u32_e32 8, v102
; %bb.1359:                             ;   in Loop: Header=BB281_1059 Depth=1
	s_delay_alu instid0(VALU_DEP_3) | instskip(NEXT) | instid1(VALU_DEP_1)
	v_clz_i32_u32_e32 v100, v100
	v_min_u32_e32 v102, 32, v100
	s_delay_alu instid0(VALU_DEP_1) | instskip(NEXT) | instid1(VALU_DEP_1)
	v_subrev_nc_u32_e32 v100, 28, v102
	v_lshlrev_b64_e32 v[100:101], v100, v[0:1]
	v_sub_nc_u32_e32 v101, 29, v102
	s_delay_alu instid0(VALU_DEP_2)
	v_and_b32_e32 v100, 7, v100
; %bb.1360:                             ;   in Loop: Header=BB281_1059 Depth=1
	s_wait_alu 0xfffe
	s_or_b32 exec_lo, exec_lo, s16
	v_lshlrev_b32_e32 v102, 8, v11
	v_lshl_add_u32 v101, v101, 10, 0x2000
	v_lshlrev_b32_e32 v100, 7, v100
	s_delay_alu instid0(VALU_DEP_3) | instskip(NEXT) | instid1(VALU_DEP_3)
	v_and_b32_e32 v102, 0x8000, v102
	v_and_b32_e32 v101, 0xfc00, v101
	s_delay_alu instid0(VALU_DEP_1)
	v_or3_b32 v100, v102, v101, v100
.LBB281_1361:                           ;   in Loop: Header=BB281_1059 Depth=1
	s_wait_alu 0xfffe
	s_or_b32 exec_lo, exec_lo, s15
.LBB281_1362:                           ;   in Loop: Header=BB281_1059 Depth=1
	s_wait_alu 0xfffe
	s_or_b32 exec_lo, exec_lo, s14
.LBB281_1363:                           ;   in Loop: Header=BB281_1059 Depth=1
	s_wait_alu 0xfffe
	s_or_b32 exec_lo, exec_lo, s9
	v_lshrrev_b16 v0, 8, v0
	v_mov_b32_e32 v101, 0
	s_mov_b32 s9, exec_lo
	s_delay_alu instid0(VALU_DEP_2)
	v_cmpx_ne_u16_e32 0, v0
	s_cbranch_execz .LBB281_1371
; %bb.1364:                             ;   in Loop: Header=BB281_1059 Depth=1
	v_bfrev_b32_e32 v101, 1
	s_mov_b32 s14, exec_lo
	v_cmpx_ne_u16_e32 0x80, v0
	s_cbranch_execz .LBB281_1370
; %bb.1365:                             ;   in Loop: Header=BB281_1059 Depth=1
	v_and_b32_e32 v102, 0xffff, v0
	v_mov_b32_e32 v101, 0x7c010000
	s_mov_b32 s15, exec_lo
	s_delay_alu instid0(VALU_DEP_2) | instskip(NEXT) | instid1(VALU_DEP_1)
	v_and_b32_e32 v112, 0x7f, v102
	v_cmpx_ne_u32_e32 0x7f, v112
	s_cbranch_execz .LBB281_1369
; %bb.1366:                             ;   in Loop: Header=BB281_1059 Depth=1
	v_and_b32_e32 v101, 7, v102
	v_lshrrev_b32_e32 v103, 3, v112
	s_mov_b32 s16, exec_lo
	v_cmpx_gt_u32_e32 8, v112
; %bb.1367:                             ;   in Loop: Header=BB281_1059 Depth=1
	s_delay_alu instid0(VALU_DEP_3) | instskip(NEXT) | instid1(VALU_DEP_1)
	v_clz_i32_u32_e32 v101, v101
	v_min_u32_e32 v101, 32, v101
	s_delay_alu instid0(VALU_DEP_1) | instskip(NEXT) | instid1(VALU_DEP_1)
	v_subrev_nc_u32_e32 v103, 28, v101
	v_lshlrev_b64_e32 v[112:113], v103, v[0:1]
	v_sub_nc_u32_e32 v103, 29, v101
	s_delay_alu instid0(VALU_DEP_2)
	v_and_b32_e32 v101, 7, v112
; %bb.1368:                             ;   in Loop: Header=BB281_1059 Depth=1
	s_wait_alu 0xfffe
	s_or_b32 exec_lo, exec_lo, s16
	v_lshlrev_b32_e32 v0, 8, v102
	v_lshl_add_u32 v102, v103, 10, 0x2000
	v_lshlrev_b32_e32 v101, 23, v101
	s_delay_alu instid0(VALU_DEP_2) | instskip(NEXT) | instid1(VALU_DEP_1)
	v_and_or_b32 v0, 0x8000, v0, v102
	v_lshl_or_b32 v101, v0, 16, v101
.LBB281_1369:                           ;   in Loop: Header=BB281_1059 Depth=1
	s_wait_alu 0xfffe
	s_or_b32 exec_lo, exec_lo, s15
.LBB281_1370:                           ;   in Loop: Header=BB281_1059 Depth=1
	s_wait_alu 0xfffe
	s_or_b32 exec_lo, exec_lo, s14
.LBB281_1371:                           ;   in Loop: Header=BB281_1059 Depth=1
	s_wait_alu 0xfffe
	s_or_b32 exec_lo, exec_lo, s9
	v_lshrrev_b32_e32 v0, 16, v11
	s_mov_b32 s9, exec_lo
	s_delay_alu instid0(VALU_DEP_1) | instskip(NEXT) | instid1(VALU_DEP_1)
	v_and_b32_e32 v102, 0xff, v0
	v_cmpx_ne_u16_e32 0, v102
	s_cbranch_execz .LBB281_1379
; %bb.1372:                             ;   in Loop: Header=BB281_1059 Depth=1
	v_mov_b32_e32 v99, 0x8000
	s_mov_b32 s14, exec_lo
	v_cmpx_ne_u16_e32 0x80, v102
	s_cbranch_execz .LBB281_1378
; %bb.1373:                             ;   in Loop: Header=BB281_1059 Depth=1
	v_bfe_u32 v103, v11, 16, 7
	v_mov_b32_e32 v99, 0x7c01
	s_mov_b32 s15, exec_lo
	s_delay_alu instid0(VALU_DEP_2)
	v_cmpx_ne_u32_e32 0x7f, v103
	s_cbranch_execz .LBB281_1377
; %bb.1374:                             ;   in Loop: Header=BB281_1059 Depth=1
	v_and_b32_e32 v99, 7, v0
	v_lshrrev_b32_e32 v102, 3, v103
	s_mov_b32 s16, exec_lo
	v_cmpx_gt_u32_e32 8, v103
; %bb.1375:                             ;   in Loop: Header=BB281_1059 Depth=1
	s_delay_alu instid0(VALU_DEP_3) | instskip(NEXT) | instid1(VALU_DEP_1)
	v_clz_i32_u32_e32 v99, v99
	v_min_u32_e32 v99, 32, v99
	s_delay_alu instid0(VALU_DEP_1) | instskip(NEXT) | instid1(VALU_DEP_1)
	v_subrev_nc_u32_e32 v102, 28, v99
	v_lshlrev_b64_e32 v[112:113], v102, v[0:1]
	v_sub_nc_u32_e32 v102, 29, v99
	s_delay_alu instid0(VALU_DEP_2)
	v_and_b32_e32 v99, 7, v112
; %bb.1376:                             ;   in Loop: Header=BB281_1059 Depth=1
	s_wait_alu 0xfffe
	s_or_b32 exec_lo, exec_lo, s16
	v_lshlrev_b32_e32 v0, 8, v0
	v_lshl_add_u32 v102, v102, 10, 0x2000
	v_lshlrev_b32_e32 v99, 7, v99
	s_delay_alu instid0(VALU_DEP_3) | instskip(NEXT) | instid1(VALU_DEP_3)
	v_and_b32_e32 v0, 0x8000, v0
	v_and_b32_e32 v102, 0xfc00, v102
	s_delay_alu instid0(VALU_DEP_1)
	v_or3_b32 v99, v0, v102, v99
.LBB281_1377:                           ;   in Loop: Header=BB281_1059 Depth=1
	s_wait_alu 0xfffe
	s_or_b32 exec_lo, exec_lo, s15
.LBB281_1378:                           ;   in Loop: Header=BB281_1059 Depth=1
	s_wait_alu 0xfffe
	s_or_b32 exec_lo, exec_lo, s14
.LBB281_1379:                           ;   in Loop: Header=BB281_1059 Depth=1
	s_wait_alu 0xfffe
	s_or_b32 exec_lo, exec_lo, s9
	v_cmp_lt_u64_e64 s1, s[4:5], v[10:11]
	v_mov_b32_e32 v10, 0
	s_and_saveexec_b32 s9, s1
	s_cbranch_execz .LBB281_1387
; %bb.1380:                             ;   in Loop: Header=BB281_1059 Depth=1
	v_lshrrev_b32_e32 v0, 24, v11
	v_bfrev_b32_e32 v10, 1
	s_mov_b32 s14, exec_lo
	s_delay_alu instid0(VALU_DEP_2)
	v_cmpx_ne_u32_e32 0x80, v0
	s_cbranch_execz .LBB281_1386
; %bb.1381:                             ;   in Loop: Header=BB281_1059 Depth=1
	v_and_b32_e32 v102, 0x7f, v0
	v_mov_b32_e32 v10, 0x7c010000
	s_mov_b32 s15, exec_lo
	s_delay_alu instid0(VALU_DEP_2)
	v_cmpx_ne_u32_e32 0x7f, v102
	s_cbranch_execz .LBB281_1385
; %bb.1382:                             ;   in Loop: Header=BB281_1059 Depth=1
	v_and_b32_e32 v10, 7, v0
	v_lshrrev_b32_e32 v11, 3, v102
	s_mov_b32 s16, exec_lo
	v_cmpx_gt_u32_e32 8, v102
; %bb.1383:                             ;   in Loop: Header=BB281_1059 Depth=1
	s_delay_alu instid0(VALU_DEP_3) | instskip(NEXT) | instid1(VALU_DEP_1)
	v_clz_i32_u32_e32 v10, v10
	v_min_u32_e32 v102, 32, v10
	s_delay_alu instid0(VALU_DEP_1) | instskip(NEXT) | instid1(VALU_DEP_1)
	v_subrev_nc_u32_e32 v10, 28, v102
	v_lshlrev_b64_e32 v[10:11], v10, v[0:1]
	v_sub_nc_u32_e32 v11, 29, v102
	s_delay_alu instid0(VALU_DEP_2)
	v_and_b32_e32 v10, 7, v10
; %bb.1384:                             ;   in Loop: Header=BB281_1059 Depth=1
	s_wait_alu 0xfffe
	s_or_b32 exec_lo, exec_lo, s16
	v_lshlrev_b32_e32 v0, 8, v0
	v_lshl_add_u32 v11, v11, 10, 0x2000
	v_lshlrev_b32_e32 v10, 23, v10
	s_delay_alu instid0(VALU_DEP_2) | instskip(NEXT) | instid1(VALU_DEP_1)
	v_and_or_b32 v0, 0x8000, v0, v11
	v_lshl_or_b32 v10, v0, 16, v10
.LBB281_1385:                           ;   in Loop: Header=BB281_1059 Depth=1
	s_wait_alu 0xfffe
	s_or_b32 exec_lo, exec_lo, s15
.LBB281_1386:                           ;   in Loop: Header=BB281_1059 Depth=1
	s_wait_alu 0xfffe
	s_or_b32 exec_lo, exec_lo, s14
.LBB281_1387:                           ;   in Loop: Header=BB281_1059 Depth=1
	s_wait_alu 0xfffe
	s_or_b32 exec_lo, exec_lo, s9
	v_or_b32_e32 v0, v97, v98
	s_wait_loadcnt_dscnt 0x0
	v_fma_mixlo_f16 v11, v86, v97, 0 op_sel:[0,1,0] op_sel_hi:[0,1,0]
	v_or_b32_e32 v97, v87, v96
	v_fma_mixlo_f16 v87, v86, v87, 0 op_sel:[0,1,0] op_sel_hi:[0,1,0]
	v_or_b32_e32 v98, v101, v100
	v_or_b32_e32 v99, v10, v99
	v_fma_mixlo_f16 v100, v86, v0, 0 op_sel_hi:[0,1,0]
	v_fma_mixlo_f16 v10, v86, v10, 0 op_sel:[0,1,0] op_sel_hi:[0,1,0]
	v_lshlrev_b32_e32 v96, 16, v87
	v_fma_mixlo_f16 v87, v86, v97, 0 op_sel_hi:[0,1,0]
	v_fma_mixlo_f16 v97, v86, v101, 0 op_sel:[0,1,0] op_sel_hi:[0,1,0]
	v_fma_mixlo_f16 v98, v86, v98, 0 op_sel_hi:[0,1,0]
	v_fma_mixlo_f16 v99, v86, v99, 0 op_sel_hi:[0,1,0]
	v_lshlrev_b32_e32 v0, 16, v11
	v_and_b32_e32 v11, 0xffff, v100
	v_and_b32_e32 v102, 0xffff, v87
	v_lshlrev_b32_e32 v86, 16, v97
	v_and_b32_e32 v98, 0xffff, v98
	v_lshlrev_b32_e32 v10, 16, v10
	v_and_b32_e32 v87, 0xffff, v99
	v_or_b32_e32 v97, v0, v11
	v_or_b32_e32 v101, v96, v102
	;; [unrolled: 1-line block ×3, first 2 shown]
	s_delay_alu instid0(VALU_DEP_4)
	v_or_b32_e32 v99, v10, v87
	s_and_saveexec_b32 s9, vcc_lo
	s_cbranch_execz .LBB281_1389
; %bb.1388:                             ;   in Loop: Header=BB281_1059 Depth=1
	v_cmp_lt_i32_e64 s1, v23, v32
	s_wait_alu 0xf1ff
	s_delay_alu instid0(VALU_DEP_1) | instskip(SKIP_2) | instid1(VALU_DEP_1)
	v_cndmask_b32_e64 v97, 0, v102, s1
	v_cmp_lt_i32_e64 s1, v71, v32
	s_wait_alu 0xf1ff
	v_cndmask_b32_e64 v96, 0, v96, s1
	v_cmp_lt_i32_e64 s1, v70, v32
	s_delay_alu instid0(VALU_DEP_2) | instskip(SKIP_1) | instid1(VALU_DEP_2)
	v_or_b32_e32 v101, v97, v96
	s_wait_alu 0xf1ff
	v_cndmask_b32_e64 v11, 0, v11, s1
	v_cmp_lt_i32_e64 s1, v69, v32
	s_wait_alu 0xf1ff
	s_delay_alu instid0(VALU_DEP_1) | instskip(SKIP_1) | instid1(VALU_DEP_2)
	v_cndmask_b32_e64 v0, 0, v0, s1
	v_cmp_lt_i32_e64 s1, v68, v32
	v_or_b32_e32 v97, v11, v0
	s_wait_alu 0xf1ff
	s_delay_alu instid0(VALU_DEP_2) | instskip(SKIP_2) | instid1(VALU_DEP_1)
	v_cndmask_b32_e64 v98, 0, v98, s1
	v_cmp_lt_i32_e64 s1, v67, v32
	s_wait_alu 0xf1ff
	v_cndmask_b32_e64 v86, 0, v86, s1
	v_cmp_lt_i32_e64 s1, v66, v32
	s_delay_alu instid0(VALU_DEP_2) | instskip(SKIP_1) | instid1(VALU_DEP_2)
	v_or_b32_e32 v100, v98, v86
	s_wait_alu 0xf1ff
	v_cndmask_b32_e64 v87, 0, v87, s1
	v_cmp_lt_i32_e64 s1, v14, v32
	s_wait_alu 0xf1ff
	s_delay_alu instid0(VALU_DEP_1) | instskip(NEXT) | instid1(VALU_DEP_1)
	v_cndmask_b32_e64 v10, 0, v10, s1
	v_or_b32_e32 v99, v87, v10
.LBB281_1389:                           ;   in Loop: Header=BB281_1059 Depth=1
	s_wait_alu 0xfffe
	s_or_b32 exec_lo, exec_lo, s9
	;;#ASMSTART
	v_pk_mul_f16 v0, v64, v101;

	;;#ASMEND
	;;#ASMSTART
	v_pk_mul_f16 v10, v38, v97;

	;;#ASMEND
	;; [unrolled: 4-line block ×4, first 2 shown]
	;;#ASMSTART
	v_pk_add_f16 v0, v0, v10;

	;;#ASMEND
	;;#ASMSTART
	v_pk_add_f16 v0, v0, v11;

	;;#ASMEND
	;; [unrolled: 4-line block ×3, first 2 shown]
	v_dual_mov_b32 v97, 0 :: v_dual_and_b32 v10, 0xffff, v0
	v_lshrrev_b32_e32 v0, 16, v0
	;;#ASMSTART
	v_cvt_f32_f16 v86, v10;
	;;#ASMEND
	;;#ASMSTART
	v_cvt_f32_f16 v87, v0;
	;;#ASMEND
	flat_load_b64 v[10:11], v[8:9] offset:1280
	flat_load_b32 v96, v[26:27]
	v_mov_b32_e32 v98, 0
	s_mov_b32 s9, exec_lo
	s_wait_loadcnt_dscnt 0x101
	v_and_b32_e32 v0, 0xff, v10
	s_delay_alu instid0(VALU_DEP_1)
	v_cmpx_ne_u16_e32 0, v0
	s_cbranch_execz .LBB281_1397
; %bb.1390:                             ;   in Loop: Header=BB281_1059 Depth=1
	v_mov_b32_e32 v98, 0x8000
	s_mov_b32 s14, exec_lo
	v_cmpx_ne_u16_e32 0x80, v0
	s_cbranch_execz .LBB281_1396
; %bb.1391:                             ;   in Loop: Header=BB281_1059 Depth=1
	v_and_b32_e32 v99, 0x7f, v10
	v_mov_b32_e32 v98, 0x7c01
	s_mov_b32 s15, exec_lo
	s_delay_alu instid0(VALU_DEP_2)
	v_cmpx_ne_u32_e32 0x7f, v99
	s_cbranch_execz .LBB281_1395
; %bb.1392:                             ;   in Loop: Header=BB281_1059 Depth=1
	v_and_b32_e32 v0, 7, v10
	v_lshrrev_b32_e32 v98, 3, v99
	s_mov_b32 s16, exec_lo
	v_cmpx_gt_u32_e32 8, v99
; %bb.1393:                             ;   in Loop: Header=BB281_1059 Depth=1
	s_delay_alu instid0(VALU_DEP_3) | instskip(NEXT) | instid1(VALU_DEP_1)
	v_clz_i32_u32_e32 v0, v0
	v_min_u32_e32 v0, 32, v0
	s_delay_alu instid0(VALU_DEP_1) | instskip(NEXT) | instid1(VALU_DEP_1)
	v_subrev_nc_u32_e32 v98, 28, v0
	v_lshlrev_b64_e32 v[99:100], v98, v[10:11]
	v_sub_nc_u32_e32 v98, 29, v0
	s_delay_alu instid0(VALU_DEP_2)
	v_and_b32_e32 v0, 7, v99
; %bb.1394:                             ;   in Loop: Header=BB281_1059 Depth=1
	s_wait_alu 0xfffe
	s_or_b32 exec_lo, exec_lo, s16
	v_lshlrev_b32_e32 v99, 8, v10
	v_lshl_add_u32 v98, v98, 10, 0x2000
	v_lshlrev_b32_e32 v0, 7, v0
	s_delay_alu instid0(VALU_DEP_3) | instskip(NEXT) | instid1(VALU_DEP_3)
	v_and_b32_e32 v99, 0x8000, v99
	v_and_b32_e32 v98, 0xfc00, v98
	s_delay_alu instid0(VALU_DEP_1)
	v_or3_b32 v98, v99, v98, v0
.LBB281_1395:                           ;   in Loop: Header=BB281_1059 Depth=1
	s_wait_alu 0xfffe
	s_or_b32 exec_lo, exec_lo, s15
.LBB281_1396:                           ;   in Loop: Header=BB281_1059 Depth=1
	s_wait_alu 0xfffe
	s_or_b32 exec_lo, exec_lo, s14
.LBB281_1397:                           ;   in Loop: Header=BB281_1059 Depth=1
	s_wait_alu 0xfffe
	s_or_b32 exec_lo, exec_lo, s9
	v_lshrrev_b16 v0, 8, v10
	s_mov_b32 s9, exec_lo
	s_delay_alu instid0(VALU_DEP_1)
	v_cmpx_ne_u16_e32 0, v0
	s_cbranch_execz .LBB281_1405
; %bb.1398:                             ;   in Loop: Header=BB281_1059 Depth=1
	v_bfrev_b32_e32 v97, 1
	s_mov_b32 s14, exec_lo
	v_cmpx_ne_u16_e32 0x80, v0
	s_cbranch_execz .LBB281_1404
; %bb.1399:                             ;   in Loop: Header=BB281_1059 Depth=1
	v_and_b32_e32 v99, 0xffff, v0
	v_mov_b32_e32 v97, 0x7c010000
	s_mov_b32 s15, exec_lo
	s_delay_alu instid0(VALU_DEP_2) | instskip(NEXT) | instid1(VALU_DEP_1)
	v_and_b32_e32 v101, 0x7f, v99
	v_cmpx_ne_u32_e32 0x7f, v101
	s_cbranch_execz .LBB281_1403
; %bb.1400:                             ;   in Loop: Header=BB281_1059 Depth=1
	v_and_b32_e32 v97, 7, v99
	v_lshrrev_b32_e32 v100, 3, v101
	s_mov_b32 s16, exec_lo
	v_cmpx_gt_u32_e32 8, v101
; %bb.1401:                             ;   in Loop: Header=BB281_1059 Depth=1
	s_delay_alu instid0(VALU_DEP_3) | instskip(NEXT) | instid1(VALU_DEP_1)
	v_clz_i32_u32_e32 v97, v97
	v_min_u32_e32 v97, 32, v97
	s_delay_alu instid0(VALU_DEP_1) | instskip(NEXT) | instid1(VALU_DEP_1)
	v_subrev_nc_u32_e32 v100, 28, v97
	v_lshlrev_b64_e32 v[101:102], v100, v[0:1]
	v_sub_nc_u32_e32 v100, 29, v97
	s_delay_alu instid0(VALU_DEP_2)
	v_and_b32_e32 v97, 7, v101
; %bb.1402:                             ;   in Loop: Header=BB281_1059 Depth=1
	s_wait_alu 0xfffe
	s_or_b32 exec_lo, exec_lo, s16
	v_lshlrev_b32_e32 v0, 8, v99
	v_lshl_add_u32 v99, v100, 10, 0x2000
	v_lshlrev_b32_e32 v97, 23, v97
	s_delay_alu instid0(VALU_DEP_2) | instskip(NEXT) | instid1(VALU_DEP_1)
	v_and_or_b32 v0, 0x8000, v0, v99
	v_lshl_or_b32 v97, v0, 16, v97
.LBB281_1403:                           ;   in Loop: Header=BB281_1059 Depth=1
	s_wait_alu 0xfffe
	s_or_b32 exec_lo, exec_lo, s15
.LBB281_1404:                           ;   in Loop: Header=BB281_1059 Depth=1
	s_wait_alu 0xfffe
	s_or_b32 exec_lo, exec_lo, s14
.LBB281_1405:                           ;   in Loop: Header=BB281_1059 Depth=1
	s_wait_alu 0xfffe
	s_or_b32 exec_lo, exec_lo, s9
	v_lshrrev_b32_e32 v0, 16, v10
	v_mov_b32_e32 v99, 0
	s_mov_b32 s9, exec_lo
	s_delay_alu instid0(VALU_DEP_2) | instskip(NEXT) | instid1(VALU_DEP_1)
	v_dual_mov_b32 v100, 0 :: v_dual_and_b32 v101, 0xff, v0
	v_cmpx_ne_u16_e32 0, v101
	s_cbranch_execz .LBB281_1413
; %bb.1406:                             ;   in Loop: Header=BB281_1059 Depth=1
	v_mov_b32_e32 v100, 0x8000
	s_mov_b32 s14, exec_lo
	v_cmpx_ne_u16_e32 0x80, v101
	s_cbranch_execz .LBB281_1412
; %bb.1407:                             ;   in Loop: Header=BB281_1059 Depth=1
	v_bfe_u32 v102, v10, 16, 7
	v_mov_b32_e32 v100, 0x7c01
	s_mov_b32 s15, exec_lo
	s_delay_alu instid0(VALU_DEP_2)
	v_cmpx_ne_u32_e32 0x7f, v102
	s_cbranch_execz .LBB281_1411
; %bb.1408:                             ;   in Loop: Header=BB281_1059 Depth=1
	v_and_b32_e32 v100, 7, v0
	v_lshrrev_b32_e32 v101, 3, v102
	s_mov_b32 s16, exec_lo
	v_cmpx_gt_u32_e32 8, v102
; %bb.1409:                             ;   in Loop: Header=BB281_1059 Depth=1
	s_delay_alu instid0(VALU_DEP_3) | instskip(NEXT) | instid1(VALU_DEP_1)
	v_clz_i32_u32_e32 v100, v100
	v_min_u32_e32 v102, 32, v100
	s_delay_alu instid0(VALU_DEP_1) | instskip(NEXT) | instid1(VALU_DEP_1)
	v_subrev_nc_u32_e32 v100, 28, v102
	v_lshlrev_b64_e32 v[100:101], v100, v[0:1]
	v_sub_nc_u32_e32 v101, 29, v102
	s_delay_alu instid0(VALU_DEP_2)
	v_and_b32_e32 v100, 7, v100
; %bb.1410:                             ;   in Loop: Header=BB281_1059 Depth=1
	s_wait_alu 0xfffe
	s_or_b32 exec_lo, exec_lo, s16
	v_lshlrev_b32_e32 v0, 8, v0
	v_lshl_add_u32 v101, v101, 10, 0x2000
	v_lshlrev_b32_e32 v100, 7, v100
	s_delay_alu instid0(VALU_DEP_3) | instskip(NEXT) | instid1(VALU_DEP_3)
	v_and_b32_e32 v0, 0x8000, v0
	v_and_b32_e32 v101, 0xfc00, v101
	s_delay_alu instid0(VALU_DEP_1)
	v_or3_b32 v100, v0, v101, v100
.LBB281_1411:                           ;   in Loop: Header=BB281_1059 Depth=1
	s_wait_alu 0xfffe
	s_or_b32 exec_lo, exec_lo, s15
.LBB281_1412:                           ;   in Loop: Header=BB281_1059 Depth=1
	s_wait_alu 0xfffe
	s_or_b32 exec_lo, exec_lo, s14
.LBB281_1413:                           ;   in Loop: Header=BB281_1059 Depth=1
	s_wait_alu 0xfffe
	s_or_b32 exec_lo, exec_lo, s9
	s_delay_alu instid0(SALU_CYCLE_1)
	s_mov_b32 s9, exec_lo
	v_cmpx_lt_u32_e32 0xffffff, v10
	s_cbranch_execz .LBB281_1421
; %bb.1414:                             ;   in Loop: Header=BB281_1059 Depth=1
	v_lshrrev_b32_e32 v0, 24, v10
	v_bfrev_b32_e32 v99, 1
	s_mov_b32 s14, exec_lo
	s_delay_alu instid0(VALU_DEP_2)
	v_cmpx_ne_u32_e32 0x80, v0
	s_cbranch_execz .LBB281_1420
; %bb.1415:                             ;   in Loop: Header=BB281_1059 Depth=1
	v_and_b32_e32 v102, 0x7f, v0
	v_mov_b32_e32 v99, 0x7c010000
	s_mov_b32 s15, exec_lo
	s_delay_alu instid0(VALU_DEP_2)
	v_cmpx_ne_u32_e32 0x7f, v102
	s_cbranch_execz .LBB281_1419
; %bb.1416:                             ;   in Loop: Header=BB281_1059 Depth=1
	v_and_b32_e32 v99, 7, v0
	v_lshrrev_b32_e32 v101, 3, v102
	s_mov_b32 s16, exec_lo
	v_cmpx_gt_u32_e32 8, v102
; %bb.1417:                             ;   in Loop: Header=BB281_1059 Depth=1
	s_delay_alu instid0(VALU_DEP_3) | instskip(NEXT) | instid1(VALU_DEP_1)
	v_clz_i32_u32_e32 v99, v99
	v_min_u32_e32 v99, 32, v99
	s_delay_alu instid0(VALU_DEP_1) | instskip(NEXT) | instid1(VALU_DEP_1)
	v_subrev_nc_u32_e32 v101, 28, v99
	v_lshlrev_b64_e32 v[102:103], v101, v[0:1]
	v_sub_nc_u32_e32 v101, 29, v99
	s_delay_alu instid0(VALU_DEP_2)
	v_and_b32_e32 v99, 7, v102
; %bb.1418:                             ;   in Loop: Header=BB281_1059 Depth=1
	s_wait_alu 0xfffe
	s_or_b32 exec_lo, exec_lo, s16
	v_lshlrev_b32_e32 v0, 8, v0
	v_lshl_add_u32 v101, v101, 10, 0x2000
	v_lshlrev_b32_e32 v99, 23, v99
	s_delay_alu instid0(VALU_DEP_2) | instskip(NEXT) | instid1(VALU_DEP_1)
	v_and_or_b32 v0, 0x8000, v0, v101
	v_lshl_or_b32 v99, v0, 16, v99
.LBB281_1419:                           ;   in Loop: Header=BB281_1059 Depth=1
	s_wait_alu 0xfffe
	s_or_b32 exec_lo, exec_lo, s15
.LBB281_1420:                           ;   in Loop: Header=BB281_1059 Depth=1
	s_wait_alu 0xfffe
	s_or_b32 exec_lo, exec_lo, s14
.LBB281_1421:                           ;   in Loop: Header=BB281_1059 Depth=1
	s_wait_alu 0xfffe
	s_or_b32 exec_lo, exec_lo, s9
	v_dual_mov_b32 v0, v11 :: v_dual_and_b32 v103, 0xff, v11
	v_dual_mov_b32 v101, 0 :: v_dual_mov_b32 v102, 0
	s_mov_b32 s9, exec_lo
	s_delay_alu instid0(VALU_DEP_2)
	v_cmpx_ne_u16_e32 0, v103
	s_cbranch_execz .LBB281_1429
; %bb.1422:                             ;   in Loop: Header=BB281_1059 Depth=1
	v_mov_b32_e32 v102, 0x8000
	s_mov_b32 s14, exec_lo
	v_cmpx_ne_u16_e32 0x80, v103
	s_cbranch_execz .LBB281_1428
; %bb.1423:                             ;   in Loop: Header=BB281_1059 Depth=1
	v_and_b32_e32 v112, 0x7f, v11
	v_mov_b32_e32 v102, 0x7c01
	s_mov_b32 s15, exec_lo
	s_delay_alu instid0(VALU_DEP_2)
	v_cmpx_ne_u32_e32 0x7f, v112
	s_cbranch_execz .LBB281_1427
; %bb.1424:                             ;   in Loop: Header=BB281_1059 Depth=1
	v_and_b32_e32 v102, 7, v11
	v_lshrrev_b32_e32 v103, 3, v112
	s_mov_b32 s16, exec_lo
	v_cmpx_gt_u32_e32 8, v112
; %bb.1425:                             ;   in Loop: Header=BB281_1059 Depth=1
	s_delay_alu instid0(VALU_DEP_3) | instskip(NEXT) | instid1(VALU_DEP_1)
	v_clz_i32_u32_e32 v102, v102
	v_min_u32_e32 v112, 32, v102
	s_delay_alu instid0(VALU_DEP_1) | instskip(NEXT) | instid1(VALU_DEP_1)
	v_subrev_nc_u32_e32 v102, 28, v112
	v_lshlrev_b64_e32 v[102:103], v102, v[0:1]
	v_sub_nc_u32_e32 v103, 29, v112
	s_delay_alu instid0(VALU_DEP_2)
	v_and_b32_e32 v102, 7, v102
; %bb.1426:                             ;   in Loop: Header=BB281_1059 Depth=1
	s_wait_alu 0xfffe
	s_or_b32 exec_lo, exec_lo, s16
	v_lshlrev_b32_e32 v112, 8, v11
	v_lshl_add_u32 v103, v103, 10, 0x2000
	v_lshlrev_b32_e32 v102, 7, v102
	s_delay_alu instid0(VALU_DEP_3) | instskip(NEXT) | instid1(VALU_DEP_3)
	v_and_b32_e32 v112, 0x8000, v112
	v_and_b32_e32 v103, 0xfc00, v103
	s_delay_alu instid0(VALU_DEP_1)
	v_or3_b32 v102, v112, v103, v102
.LBB281_1427:                           ;   in Loop: Header=BB281_1059 Depth=1
	s_wait_alu 0xfffe
	s_or_b32 exec_lo, exec_lo, s15
.LBB281_1428:                           ;   in Loop: Header=BB281_1059 Depth=1
	s_wait_alu 0xfffe
	s_or_b32 exec_lo, exec_lo, s14
.LBB281_1429:                           ;   in Loop: Header=BB281_1059 Depth=1
	s_wait_alu 0xfffe
	s_or_b32 exec_lo, exec_lo, s9
	v_lshrrev_b16 v0, 8, v0
	v_mov_b32_e32 v103, 0
	s_mov_b32 s9, exec_lo
	s_delay_alu instid0(VALU_DEP_2)
	v_cmpx_ne_u16_e32 0, v0
	s_cbranch_execz .LBB281_1437
; %bb.1430:                             ;   in Loop: Header=BB281_1059 Depth=1
	v_bfrev_b32_e32 v103, 1
	s_mov_b32 s14, exec_lo
	v_cmpx_ne_u16_e32 0x80, v0
	s_cbranch_execz .LBB281_1436
; %bb.1431:                             ;   in Loop: Header=BB281_1059 Depth=1
	v_and_b32_e32 v112, 0xffff, v0
	v_mov_b32_e32 v103, 0x7c010000
	s_mov_b32 s15, exec_lo
	s_delay_alu instid0(VALU_DEP_2) | instskip(NEXT) | instid1(VALU_DEP_1)
	v_and_b32_e32 v114, 0x7f, v112
	v_cmpx_ne_u32_e32 0x7f, v114
	s_cbranch_execz .LBB281_1435
; %bb.1432:                             ;   in Loop: Header=BB281_1059 Depth=1
	v_and_b32_e32 v103, 7, v112
	v_lshrrev_b32_e32 v113, 3, v114
	s_mov_b32 s16, exec_lo
	v_cmpx_gt_u32_e32 8, v114
; %bb.1433:                             ;   in Loop: Header=BB281_1059 Depth=1
	s_delay_alu instid0(VALU_DEP_3) | instskip(NEXT) | instid1(VALU_DEP_1)
	v_clz_i32_u32_e32 v103, v103
	v_min_u32_e32 v103, 32, v103
	s_delay_alu instid0(VALU_DEP_1) | instskip(NEXT) | instid1(VALU_DEP_1)
	v_subrev_nc_u32_e32 v113, 28, v103
	v_lshlrev_b64_e32 v[114:115], v113, v[0:1]
	v_sub_nc_u32_e32 v113, 29, v103
	s_delay_alu instid0(VALU_DEP_2)
	v_and_b32_e32 v103, 7, v114
; %bb.1434:                             ;   in Loop: Header=BB281_1059 Depth=1
	s_wait_alu 0xfffe
	s_or_b32 exec_lo, exec_lo, s16
	v_lshlrev_b32_e32 v0, 8, v112
	v_lshl_add_u32 v112, v113, 10, 0x2000
	v_lshlrev_b32_e32 v103, 23, v103
	s_delay_alu instid0(VALU_DEP_2) | instskip(NEXT) | instid1(VALU_DEP_1)
	v_and_or_b32 v0, 0x8000, v0, v112
	v_lshl_or_b32 v103, v0, 16, v103
.LBB281_1435:                           ;   in Loop: Header=BB281_1059 Depth=1
	s_wait_alu 0xfffe
	s_or_b32 exec_lo, exec_lo, s15
.LBB281_1436:                           ;   in Loop: Header=BB281_1059 Depth=1
	s_wait_alu 0xfffe
	s_or_b32 exec_lo, exec_lo, s14
.LBB281_1437:                           ;   in Loop: Header=BB281_1059 Depth=1
	s_wait_alu 0xfffe
	s_or_b32 exec_lo, exec_lo, s9
	v_lshrrev_b32_e32 v0, 16, v11
	s_mov_b32 s9, exec_lo
	s_delay_alu instid0(VALU_DEP_1) | instskip(NEXT) | instid1(VALU_DEP_1)
	v_and_b32_e32 v112, 0xff, v0
	v_cmpx_ne_u16_e32 0, v112
	s_cbranch_execz .LBB281_1445
; %bb.1438:                             ;   in Loop: Header=BB281_1059 Depth=1
	v_mov_b32_e32 v101, 0x8000
	s_mov_b32 s14, exec_lo
	v_cmpx_ne_u16_e32 0x80, v112
	s_cbranch_execz .LBB281_1444
; %bb.1439:                             ;   in Loop: Header=BB281_1059 Depth=1
	v_bfe_u32 v113, v11, 16, 7
	v_mov_b32_e32 v101, 0x7c01
	s_mov_b32 s15, exec_lo
	s_delay_alu instid0(VALU_DEP_2)
	v_cmpx_ne_u32_e32 0x7f, v113
	s_cbranch_execz .LBB281_1443
; %bb.1440:                             ;   in Loop: Header=BB281_1059 Depth=1
	v_and_b32_e32 v101, 7, v0
	v_lshrrev_b32_e32 v112, 3, v113
	s_mov_b32 s16, exec_lo
	v_cmpx_gt_u32_e32 8, v113
; %bb.1441:                             ;   in Loop: Header=BB281_1059 Depth=1
	s_delay_alu instid0(VALU_DEP_3) | instskip(NEXT) | instid1(VALU_DEP_1)
	v_clz_i32_u32_e32 v101, v101
	v_min_u32_e32 v101, 32, v101
	s_delay_alu instid0(VALU_DEP_1) | instskip(NEXT) | instid1(VALU_DEP_1)
	v_subrev_nc_u32_e32 v112, 28, v101
	v_lshlrev_b64_e32 v[113:114], v112, v[0:1]
	v_sub_nc_u32_e32 v112, 29, v101
	s_delay_alu instid0(VALU_DEP_2)
	v_and_b32_e32 v101, 7, v113
; %bb.1442:                             ;   in Loop: Header=BB281_1059 Depth=1
	s_wait_alu 0xfffe
	s_or_b32 exec_lo, exec_lo, s16
	v_lshlrev_b32_e32 v0, 8, v0
	v_lshl_add_u32 v112, v112, 10, 0x2000
	v_lshlrev_b32_e32 v101, 7, v101
	s_delay_alu instid0(VALU_DEP_3) | instskip(NEXT) | instid1(VALU_DEP_3)
	v_and_b32_e32 v0, 0x8000, v0
	v_and_b32_e32 v112, 0xfc00, v112
	s_delay_alu instid0(VALU_DEP_1)
	v_or3_b32 v101, v0, v112, v101
.LBB281_1443:                           ;   in Loop: Header=BB281_1059 Depth=1
	s_wait_alu 0xfffe
	s_or_b32 exec_lo, exec_lo, s15
.LBB281_1444:                           ;   in Loop: Header=BB281_1059 Depth=1
	s_wait_alu 0xfffe
	s_or_b32 exec_lo, exec_lo, s14
.LBB281_1445:                           ;   in Loop: Header=BB281_1059 Depth=1
	s_wait_alu 0xfffe
	s_or_b32 exec_lo, exec_lo, s9
	v_cmp_lt_u64_e64 s1, s[4:5], v[10:11]
	v_mov_b32_e32 v10, 0
	s_and_saveexec_b32 s9, s1
	s_cbranch_execz .LBB281_1453
; %bb.1446:                             ;   in Loop: Header=BB281_1059 Depth=1
	v_lshrrev_b32_e32 v0, 24, v11
	v_bfrev_b32_e32 v10, 1
	s_mov_b32 s14, exec_lo
	s_delay_alu instid0(VALU_DEP_2)
	v_cmpx_ne_u32_e32 0x80, v0
	s_cbranch_execz .LBB281_1452
; %bb.1447:                             ;   in Loop: Header=BB281_1059 Depth=1
	v_and_b32_e32 v112, 0x7f, v0
	v_mov_b32_e32 v10, 0x7c010000
	s_mov_b32 s15, exec_lo
	s_delay_alu instid0(VALU_DEP_2)
	v_cmpx_ne_u32_e32 0x7f, v112
	s_cbranch_execz .LBB281_1451
; %bb.1448:                             ;   in Loop: Header=BB281_1059 Depth=1
	v_and_b32_e32 v10, 7, v0
	v_lshrrev_b32_e32 v11, 3, v112
	s_mov_b32 s16, exec_lo
	v_cmpx_gt_u32_e32 8, v112
; %bb.1449:                             ;   in Loop: Header=BB281_1059 Depth=1
	s_delay_alu instid0(VALU_DEP_3) | instskip(NEXT) | instid1(VALU_DEP_1)
	v_clz_i32_u32_e32 v10, v10
	v_min_u32_e32 v112, 32, v10
	s_delay_alu instid0(VALU_DEP_1) | instskip(NEXT) | instid1(VALU_DEP_1)
	v_subrev_nc_u32_e32 v10, 28, v112
	v_lshlrev_b64_e32 v[10:11], v10, v[0:1]
	v_sub_nc_u32_e32 v11, 29, v112
	s_delay_alu instid0(VALU_DEP_2)
	v_and_b32_e32 v10, 7, v10
; %bb.1450:                             ;   in Loop: Header=BB281_1059 Depth=1
	s_wait_alu 0xfffe
	s_or_b32 exec_lo, exec_lo, s16
	v_lshlrev_b32_e32 v0, 8, v0
	v_lshl_add_u32 v11, v11, 10, 0x2000
	v_lshlrev_b32_e32 v10, 23, v10
	s_delay_alu instid0(VALU_DEP_2) | instskip(NEXT) | instid1(VALU_DEP_1)
	v_and_or_b32 v0, 0x8000, v0, v11
	v_lshl_or_b32 v10, v0, 16, v10
.LBB281_1451:                           ;   in Loop: Header=BB281_1059 Depth=1
	s_wait_alu 0xfffe
	s_or_b32 exec_lo, exec_lo, s15
.LBB281_1452:                           ;   in Loop: Header=BB281_1059 Depth=1
	s_wait_alu 0xfffe
	s_or_b32 exec_lo, exec_lo, s14
.LBB281_1453:                           ;   in Loop: Header=BB281_1059 Depth=1
	s_wait_alu 0xfffe
	s_or_b32 exec_lo, exec_lo, s9
	v_or_b32_e32 v0, v99, v100
	s_wait_loadcnt_dscnt 0x0
	v_fma_mixlo_f16 v11, v96, v99, 0 op_sel:[0,1,0] op_sel_hi:[0,1,0]
	v_or_b32_e32 v99, v97, v98
	v_fma_mixlo_f16 v97, v96, v97, 0 op_sel:[0,1,0] op_sel_hi:[0,1,0]
	v_or_b32_e32 v100, v103, v102
	v_or_b32_e32 v101, v10, v101
	v_fma_mixlo_f16 v102, v96, v0, 0 op_sel_hi:[0,1,0]
	v_fma_mixlo_f16 v10, v96, v10, 0 op_sel:[0,1,0] op_sel_hi:[0,1,0]
	v_lshlrev_b32_e32 v98, 16, v97
	v_fma_mixlo_f16 v97, v96, v99, 0 op_sel_hi:[0,1,0]
	v_fma_mixlo_f16 v99, v96, v103, 0 op_sel:[0,1,0] op_sel_hi:[0,1,0]
	v_fma_mixlo_f16 v100, v96, v100, 0 op_sel_hi:[0,1,0]
	v_fma_mixlo_f16 v101, v96, v101, 0 op_sel_hi:[0,1,0]
	v_lshlrev_b32_e32 v0, 16, v11
	v_and_b32_e32 v11, 0xffff, v102
	v_and_b32_e32 v112, 0xffff, v97
	v_lshlrev_b32_e32 v96, 16, v99
	v_and_b32_e32 v100, 0xffff, v100
	v_lshlrev_b32_e32 v10, 16, v10
	v_and_b32_e32 v97, 0xffff, v101
	v_or_b32_e32 v99, v0, v11
	v_or_b32_e32 v103, v98, v112
	;; [unrolled: 1-line block ×3, first 2 shown]
	s_delay_alu instid0(VALU_DEP_4)
	v_or_b32_e32 v101, v10, v97
	s_and_saveexec_b32 s9, vcc_lo
	s_cbranch_execz .LBB281_1455
; %bb.1454:                             ;   in Loop: Header=BB281_1059 Depth=1
	v_cmp_lt_i32_e64 s1, v23, v32
	s_wait_alu 0xf1ff
	s_delay_alu instid0(VALU_DEP_1) | instskip(SKIP_2) | instid1(VALU_DEP_1)
	v_cndmask_b32_e64 v99, 0, v112, s1
	v_cmp_lt_i32_e64 s1, v71, v32
	s_wait_alu 0xf1ff
	v_cndmask_b32_e64 v98, 0, v98, s1
	v_cmp_lt_i32_e64 s1, v70, v32
	s_delay_alu instid0(VALU_DEP_2) | instskip(SKIP_1) | instid1(VALU_DEP_2)
	v_or_b32_e32 v103, v99, v98
	s_wait_alu 0xf1ff
	v_cndmask_b32_e64 v11, 0, v11, s1
	v_cmp_lt_i32_e64 s1, v69, v32
	s_wait_alu 0xf1ff
	s_delay_alu instid0(VALU_DEP_1) | instskip(SKIP_1) | instid1(VALU_DEP_2)
	v_cndmask_b32_e64 v0, 0, v0, s1
	v_cmp_lt_i32_e64 s1, v68, v32
	v_or_b32_e32 v99, v11, v0
	s_wait_alu 0xf1ff
	s_delay_alu instid0(VALU_DEP_2) | instskip(SKIP_2) | instid1(VALU_DEP_1)
	v_cndmask_b32_e64 v100, 0, v100, s1
	v_cmp_lt_i32_e64 s1, v67, v32
	s_wait_alu 0xf1ff
	v_cndmask_b32_e64 v96, 0, v96, s1
	v_cmp_lt_i32_e64 s1, v66, v32
	s_delay_alu instid0(VALU_DEP_2) | instskip(SKIP_1) | instid1(VALU_DEP_2)
	v_or_b32_e32 v102, v100, v96
	s_wait_alu 0xf1ff
	v_cndmask_b32_e64 v97, 0, v97, s1
	v_cmp_lt_i32_e64 s1, v14, v32
	s_wait_alu 0xf1ff
	s_delay_alu instid0(VALU_DEP_1) | instskip(NEXT) | instid1(VALU_DEP_1)
	v_cndmask_b32_e64 v10, 0, v10, s1
	v_or_b32_e32 v101, v97, v10
.LBB281_1455:                           ;   in Loop: Header=BB281_1059 Depth=1
	s_wait_alu 0xfffe
	s_or_b32 exec_lo, exec_lo, s9
	;;#ASMSTART
	v_pk_mul_f16 v0, v64, v103;

	;;#ASMEND
	;;#ASMSTART
	v_pk_mul_f16 v10, v38, v99;

	;;#ASMEND
	;; [unrolled: 4-line block ×4, first 2 shown]
	;;#ASMSTART
	v_pk_add_f16 v0, v0, v10;

	;;#ASMEND
	;;#ASMSTART
	v_pk_add_f16 v0, v0, v11;

	;;#ASMEND
	;; [unrolled: 4-line block ×3, first 2 shown]
	v_dual_mov_b32 v99, 0 :: v_dual_and_b32 v10, 0xffff, v0
	v_lshrrev_b32_e32 v0, 16, v0
	;;#ASMSTART
	v_cvt_f32_f16 v96, v10;
	;;#ASMEND
	;;#ASMSTART
	v_cvt_f32_f16 v97, v0;
	;;#ASMEND
	flat_load_b64 v[10:11], v[8:9] offset:1536
	flat_load_b32 v98, v[26:27]
	v_mov_b32_e32 v100, 0
	s_mov_b32 s9, exec_lo
	s_wait_loadcnt_dscnt 0x101
	v_and_b32_e32 v0, 0xff, v10
	s_delay_alu instid0(VALU_DEP_1)
	v_cmpx_ne_u16_e32 0, v0
	s_cbranch_execz .LBB281_1463
; %bb.1456:                             ;   in Loop: Header=BB281_1059 Depth=1
	v_mov_b32_e32 v100, 0x8000
	s_mov_b32 s14, exec_lo
	v_cmpx_ne_u16_e32 0x80, v0
	s_cbranch_execz .LBB281_1462
; %bb.1457:                             ;   in Loop: Header=BB281_1059 Depth=1
	v_and_b32_e32 v101, 0x7f, v10
	v_mov_b32_e32 v100, 0x7c01
	s_mov_b32 s15, exec_lo
	s_delay_alu instid0(VALU_DEP_2)
	v_cmpx_ne_u32_e32 0x7f, v101
	s_cbranch_execz .LBB281_1461
; %bb.1458:                             ;   in Loop: Header=BB281_1059 Depth=1
	v_and_b32_e32 v0, 7, v10
	v_lshrrev_b32_e32 v100, 3, v101
	s_mov_b32 s16, exec_lo
	v_cmpx_gt_u32_e32 8, v101
; %bb.1459:                             ;   in Loop: Header=BB281_1059 Depth=1
	s_delay_alu instid0(VALU_DEP_3) | instskip(NEXT) | instid1(VALU_DEP_1)
	v_clz_i32_u32_e32 v0, v0
	v_min_u32_e32 v0, 32, v0
	s_delay_alu instid0(VALU_DEP_1) | instskip(NEXT) | instid1(VALU_DEP_1)
	v_subrev_nc_u32_e32 v100, 28, v0
	v_lshlrev_b64_e32 v[101:102], v100, v[10:11]
	v_sub_nc_u32_e32 v100, 29, v0
	s_delay_alu instid0(VALU_DEP_2)
	v_and_b32_e32 v0, 7, v101
; %bb.1460:                             ;   in Loop: Header=BB281_1059 Depth=1
	s_wait_alu 0xfffe
	s_or_b32 exec_lo, exec_lo, s16
	v_lshlrev_b32_e32 v101, 8, v10
	v_lshl_add_u32 v100, v100, 10, 0x2000
	v_lshlrev_b32_e32 v0, 7, v0
	s_delay_alu instid0(VALU_DEP_3) | instskip(NEXT) | instid1(VALU_DEP_3)
	v_and_b32_e32 v101, 0x8000, v101
	v_and_b32_e32 v100, 0xfc00, v100
	s_delay_alu instid0(VALU_DEP_1)
	v_or3_b32 v100, v101, v100, v0
.LBB281_1461:                           ;   in Loop: Header=BB281_1059 Depth=1
	s_wait_alu 0xfffe
	s_or_b32 exec_lo, exec_lo, s15
.LBB281_1462:                           ;   in Loop: Header=BB281_1059 Depth=1
	s_wait_alu 0xfffe
	s_or_b32 exec_lo, exec_lo, s14
.LBB281_1463:                           ;   in Loop: Header=BB281_1059 Depth=1
	s_wait_alu 0xfffe
	s_or_b32 exec_lo, exec_lo, s9
	v_lshrrev_b16 v0, 8, v10
	s_mov_b32 s9, exec_lo
	s_delay_alu instid0(VALU_DEP_1)
	v_cmpx_ne_u16_e32 0, v0
	s_cbranch_execz .LBB281_1471
; %bb.1464:                             ;   in Loop: Header=BB281_1059 Depth=1
	v_bfrev_b32_e32 v99, 1
	s_mov_b32 s14, exec_lo
	v_cmpx_ne_u16_e32 0x80, v0
	s_cbranch_execz .LBB281_1470
; %bb.1465:                             ;   in Loop: Header=BB281_1059 Depth=1
	v_and_b32_e32 v101, 0xffff, v0
	v_mov_b32_e32 v99, 0x7c010000
	s_mov_b32 s15, exec_lo
	s_delay_alu instid0(VALU_DEP_2) | instskip(NEXT) | instid1(VALU_DEP_1)
	v_and_b32_e32 v103, 0x7f, v101
	v_cmpx_ne_u32_e32 0x7f, v103
	s_cbranch_execz .LBB281_1469
; %bb.1466:                             ;   in Loop: Header=BB281_1059 Depth=1
	v_and_b32_e32 v99, 7, v101
	v_lshrrev_b32_e32 v102, 3, v103
	s_mov_b32 s16, exec_lo
	v_cmpx_gt_u32_e32 8, v103
; %bb.1467:                             ;   in Loop: Header=BB281_1059 Depth=1
	s_delay_alu instid0(VALU_DEP_3) | instskip(NEXT) | instid1(VALU_DEP_1)
	v_clz_i32_u32_e32 v99, v99
	v_min_u32_e32 v99, 32, v99
	s_delay_alu instid0(VALU_DEP_1) | instskip(NEXT) | instid1(VALU_DEP_1)
	v_subrev_nc_u32_e32 v102, 28, v99
	v_lshlrev_b64_e32 v[112:113], v102, v[0:1]
	v_sub_nc_u32_e32 v102, 29, v99
	s_delay_alu instid0(VALU_DEP_2)
	v_and_b32_e32 v99, 7, v112
; %bb.1468:                             ;   in Loop: Header=BB281_1059 Depth=1
	s_wait_alu 0xfffe
	s_or_b32 exec_lo, exec_lo, s16
	v_lshlrev_b32_e32 v0, 8, v101
	v_lshl_add_u32 v101, v102, 10, 0x2000
	v_lshlrev_b32_e32 v99, 23, v99
	s_delay_alu instid0(VALU_DEP_2) | instskip(NEXT) | instid1(VALU_DEP_1)
	v_and_or_b32 v0, 0x8000, v0, v101
	v_lshl_or_b32 v99, v0, 16, v99
.LBB281_1469:                           ;   in Loop: Header=BB281_1059 Depth=1
	s_wait_alu 0xfffe
	s_or_b32 exec_lo, exec_lo, s15
.LBB281_1470:                           ;   in Loop: Header=BB281_1059 Depth=1
	s_wait_alu 0xfffe
	s_or_b32 exec_lo, exec_lo, s14
.LBB281_1471:                           ;   in Loop: Header=BB281_1059 Depth=1
	s_wait_alu 0xfffe
	s_or_b32 exec_lo, exec_lo, s9
	v_lshrrev_b32_e32 v0, 16, v10
	v_mov_b32_e32 v101, 0
	s_mov_b32 s9, exec_lo
	s_delay_alu instid0(VALU_DEP_2) | instskip(NEXT) | instid1(VALU_DEP_1)
	v_dual_mov_b32 v102, 0 :: v_dual_and_b32 v103, 0xff, v0
	v_cmpx_ne_u16_e32 0, v103
	s_cbranch_execz .LBB281_1479
; %bb.1472:                             ;   in Loop: Header=BB281_1059 Depth=1
	v_mov_b32_e32 v102, 0x8000
	s_mov_b32 s14, exec_lo
	v_cmpx_ne_u16_e32 0x80, v103
	s_cbranch_execz .LBB281_1478
; %bb.1473:                             ;   in Loop: Header=BB281_1059 Depth=1
	v_bfe_u32 v112, v10, 16, 7
	v_mov_b32_e32 v102, 0x7c01
	s_mov_b32 s15, exec_lo
	s_delay_alu instid0(VALU_DEP_2)
	v_cmpx_ne_u32_e32 0x7f, v112
	s_cbranch_execz .LBB281_1477
; %bb.1474:                             ;   in Loop: Header=BB281_1059 Depth=1
	v_and_b32_e32 v102, 7, v0
	v_lshrrev_b32_e32 v103, 3, v112
	s_mov_b32 s16, exec_lo
	v_cmpx_gt_u32_e32 8, v112
; %bb.1475:                             ;   in Loop: Header=BB281_1059 Depth=1
	s_delay_alu instid0(VALU_DEP_3) | instskip(NEXT) | instid1(VALU_DEP_1)
	v_clz_i32_u32_e32 v102, v102
	v_min_u32_e32 v112, 32, v102
	s_delay_alu instid0(VALU_DEP_1) | instskip(NEXT) | instid1(VALU_DEP_1)
	v_subrev_nc_u32_e32 v102, 28, v112
	v_lshlrev_b64_e32 v[102:103], v102, v[0:1]
	v_sub_nc_u32_e32 v103, 29, v112
	s_delay_alu instid0(VALU_DEP_2)
	v_and_b32_e32 v102, 7, v102
; %bb.1476:                             ;   in Loop: Header=BB281_1059 Depth=1
	s_wait_alu 0xfffe
	s_or_b32 exec_lo, exec_lo, s16
	v_lshlrev_b32_e32 v0, 8, v0
	v_lshl_add_u32 v103, v103, 10, 0x2000
	v_lshlrev_b32_e32 v102, 7, v102
	s_delay_alu instid0(VALU_DEP_3) | instskip(NEXT) | instid1(VALU_DEP_3)
	v_and_b32_e32 v0, 0x8000, v0
	v_and_b32_e32 v103, 0xfc00, v103
	s_delay_alu instid0(VALU_DEP_1)
	v_or3_b32 v102, v0, v103, v102
.LBB281_1477:                           ;   in Loop: Header=BB281_1059 Depth=1
	s_wait_alu 0xfffe
	s_or_b32 exec_lo, exec_lo, s15
.LBB281_1478:                           ;   in Loop: Header=BB281_1059 Depth=1
	s_wait_alu 0xfffe
	s_or_b32 exec_lo, exec_lo, s14
.LBB281_1479:                           ;   in Loop: Header=BB281_1059 Depth=1
	s_wait_alu 0xfffe
	s_or_b32 exec_lo, exec_lo, s9
	s_delay_alu instid0(SALU_CYCLE_1)
	s_mov_b32 s9, exec_lo
	v_cmpx_lt_u32_e32 0xffffff, v10
	s_cbranch_execz .LBB281_1487
; %bb.1480:                             ;   in Loop: Header=BB281_1059 Depth=1
	v_lshrrev_b32_e32 v0, 24, v10
	v_bfrev_b32_e32 v101, 1
	s_mov_b32 s14, exec_lo
	s_delay_alu instid0(VALU_DEP_2)
	v_cmpx_ne_u32_e32 0x80, v0
	s_cbranch_execz .LBB281_1486
; %bb.1481:                             ;   in Loop: Header=BB281_1059 Depth=1
	v_and_b32_e32 v112, 0x7f, v0
	v_mov_b32_e32 v101, 0x7c010000
	s_mov_b32 s15, exec_lo
	s_delay_alu instid0(VALU_DEP_2)
	v_cmpx_ne_u32_e32 0x7f, v112
	s_cbranch_execz .LBB281_1485
; %bb.1482:                             ;   in Loop: Header=BB281_1059 Depth=1
	v_and_b32_e32 v101, 7, v0
	v_lshrrev_b32_e32 v103, 3, v112
	s_mov_b32 s16, exec_lo
	v_cmpx_gt_u32_e32 8, v112
; %bb.1483:                             ;   in Loop: Header=BB281_1059 Depth=1
	s_delay_alu instid0(VALU_DEP_3) | instskip(NEXT) | instid1(VALU_DEP_1)
	v_clz_i32_u32_e32 v101, v101
	v_min_u32_e32 v101, 32, v101
	s_delay_alu instid0(VALU_DEP_1) | instskip(NEXT) | instid1(VALU_DEP_1)
	v_subrev_nc_u32_e32 v103, 28, v101
	v_lshlrev_b64_e32 v[112:113], v103, v[0:1]
	v_sub_nc_u32_e32 v103, 29, v101
	s_delay_alu instid0(VALU_DEP_2)
	v_and_b32_e32 v101, 7, v112
; %bb.1484:                             ;   in Loop: Header=BB281_1059 Depth=1
	s_wait_alu 0xfffe
	s_or_b32 exec_lo, exec_lo, s16
	v_lshlrev_b32_e32 v0, 8, v0
	v_lshl_add_u32 v103, v103, 10, 0x2000
	v_lshlrev_b32_e32 v101, 23, v101
	s_delay_alu instid0(VALU_DEP_2) | instskip(NEXT) | instid1(VALU_DEP_1)
	v_and_or_b32 v0, 0x8000, v0, v103
	v_lshl_or_b32 v101, v0, 16, v101
.LBB281_1485:                           ;   in Loop: Header=BB281_1059 Depth=1
	s_wait_alu 0xfffe
	s_or_b32 exec_lo, exec_lo, s15
.LBB281_1486:                           ;   in Loop: Header=BB281_1059 Depth=1
	s_wait_alu 0xfffe
	s_or_b32 exec_lo, exec_lo, s14
.LBB281_1487:                           ;   in Loop: Header=BB281_1059 Depth=1
	s_wait_alu 0xfffe
	s_or_b32 exec_lo, exec_lo, s9
	v_dual_mov_b32 v0, v11 :: v_dual_and_b32 v113, 0xff, v11
	v_dual_mov_b32 v103, 0 :: v_dual_mov_b32 v112, 0
	s_mov_b32 s9, exec_lo
	s_delay_alu instid0(VALU_DEP_2)
	v_cmpx_ne_u16_e32 0, v113
	s_cbranch_execz .LBB281_1495
; %bb.1488:                             ;   in Loop: Header=BB281_1059 Depth=1
	v_mov_b32_e32 v112, 0x8000
	s_mov_b32 s14, exec_lo
	v_cmpx_ne_u16_e32 0x80, v113
	s_cbranch_execz .LBB281_1494
; %bb.1489:                             ;   in Loop: Header=BB281_1059 Depth=1
	v_and_b32_e32 v114, 0x7f, v11
	v_mov_b32_e32 v112, 0x7c01
	s_mov_b32 s15, exec_lo
	s_delay_alu instid0(VALU_DEP_2)
	v_cmpx_ne_u32_e32 0x7f, v114
	s_cbranch_execz .LBB281_1493
; %bb.1490:                             ;   in Loop: Header=BB281_1059 Depth=1
	v_and_b32_e32 v112, 7, v11
	v_lshrrev_b32_e32 v113, 3, v114
	s_mov_b32 s16, exec_lo
	v_cmpx_gt_u32_e32 8, v114
; %bb.1491:                             ;   in Loop: Header=BB281_1059 Depth=1
	s_delay_alu instid0(VALU_DEP_3) | instskip(NEXT) | instid1(VALU_DEP_1)
	v_clz_i32_u32_e32 v112, v112
	v_min_u32_e32 v114, 32, v112
	s_delay_alu instid0(VALU_DEP_1) | instskip(NEXT) | instid1(VALU_DEP_1)
	v_subrev_nc_u32_e32 v112, 28, v114
	v_lshlrev_b64_e32 v[112:113], v112, v[0:1]
	v_sub_nc_u32_e32 v113, 29, v114
	s_delay_alu instid0(VALU_DEP_2)
	v_and_b32_e32 v112, 7, v112
; %bb.1492:                             ;   in Loop: Header=BB281_1059 Depth=1
	s_wait_alu 0xfffe
	s_or_b32 exec_lo, exec_lo, s16
	v_lshlrev_b32_e32 v114, 8, v11
	v_lshl_add_u32 v113, v113, 10, 0x2000
	v_lshlrev_b32_e32 v112, 7, v112
	s_delay_alu instid0(VALU_DEP_3) | instskip(NEXT) | instid1(VALU_DEP_3)
	v_and_b32_e32 v114, 0x8000, v114
	v_and_b32_e32 v113, 0xfc00, v113
	s_delay_alu instid0(VALU_DEP_1)
	v_or3_b32 v112, v114, v113, v112
.LBB281_1493:                           ;   in Loop: Header=BB281_1059 Depth=1
	s_wait_alu 0xfffe
	s_or_b32 exec_lo, exec_lo, s15
.LBB281_1494:                           ;   in Loop: Header=BB281_1059 Depth=1
	s_wait_alu 0xfffe
	s_or_b32 exec_lo, exec_lo, s14
.LBB281_1495:                           ;   in Loop: Header=BB281_1059 Depth=1
	s_wait_alu 0xfffe
	s_or_b32 exec_lo, exec_lo, s9
	v_lshrrev_b16 v0, 8, v0
	v_mov_b32_e32 v113, 0
	s_mov_b32 s9, exec_lo
	s_delay_alu instid0(VALU_DEP_2)
	v_cmpx_ne_u16_e32 0, v0
	s_cbranch_execz .LBB281_1503
; %bb.1496:                             ;   in Loop: Header=BB281_1059 Depth=1
	v_bfrev_b32_e32 v113, 1
	s_mov_b32 s14, exec_lo
	v_cmpx_ne_u16_e32 0x80, v0
	s_cbranch_execz .LBB281_1502
; %bb.1497:                             ;   in Loop: Header=BB281_1059 Depth=1
	v_and_b32_e32 v114, 0xffff, v0
	v_mov_b32_e32 v113, 0x7c010000
	s_mov_b32 s15, exec_lo
	s_delay_alu instid0(VALU_DEP_2) | instskip(NEXT) | instid1(VALU_DEP_1)
	v_and_b32_e32 v116, 0x7f, v114
	v_cmpx_ne_u32_e32 0x7f, v116
	s_cbranch_execz .LBB281_1501
; %bb.1498:                             ;   in Loop: Header=BB281_1059 Depth=1
	v_and_b32_e32 v113, 7, v114
	v_lshrrev_b32_e32 v115, 3, v116
	s_mov_b32 s16, exec_lo
	v_cmpx_gt_u32_e32 8, v116
; %bb.1499:                             ;   in Loop: Header=BB281_1059 Depth=1
	s_delay_alu instid0(VALU_DEP_3) | instskip(NEXT) | instid1(VALU_DEP_1)
	v_clz_i32_u32_e32 v113, v113
	v_min_u32_e32 v113, 32, v113
	s_delay_alu instid0(VALU_DEP_1) | instskip(NEXT) | instid1(VALU_DEP_1)
	v_subrev_nc_u32_e32 v115, 28, v113
	v_lshlrev_b64_e32 v[116:117], v115, v[0:1]
	v_sub_nc_u32_e32 v115, 29, v113
	s_delay_alu instid0(VALU_DEP_2)
	v_and_b32_e32 v113, 7, v116
; %bb.1500:                             ;   in Loop: Header=BB281_1059 Depth=1
	s_wait_alu 0xfffe
	s_or_b32 exec_lo, exec_lo, s16
	v_lshlrev_b32_e32 v0, 8, v114
	v_lshl_add_u32 v114, v115, 10, 0x2000
	v_lshlrev_b32_e32 v113, 23, v113
	s_delay_alu instid0(VALU_DEP_2) | instskip(NEXT) | instid1(VALU_DEP_1)
	v_and_or_b32 v0, 0x8000, v0, v114
	v_lshl_or_b32 v113, v0, 16, v113
.LBB281_1501:                           ;   in Loop: Header=BB281_1059 Depth=1
	s_wait_alu 0xfffe
	s_or_b32 exec_lo, exec_lo, s15
.LBB281_1502:                           ;   in Loop: Header=BB281_1059 Depth=1
	s_wait_alu 0xfffe
	s_or_b32 exec_lo, exec_lo, s14
.LBB281_1503:                           ;   in Loop: Header=BB281_1059 Depth=1
	s_wait_alu 0xfffe
	s_or_b32 exec_lo, exec_lo, s9
	v_lshrrev_b32_e32 v0, 16, v11
	s_mov_b32 s9, exec_lo
	s_delay_alu instid0(VALU_DEP_1) | instskip(NEXT) | instid1(VALU_DEP_1)
	v_and_b32_e32 v114, 0xff, v0
	v_cmpx_ne_u16_e32 0, v114
	s_cbranch_execz .LBB281_1511
; %bb.1504:                             ;   in Loop: Header=BB281_1059 Depth=1
	v_mov_b32_e32 v103, 0x8000
	s_mov_b32 s14, exec_lo
	v_cmpx_ne_u16_e32 0x80, v114
	s_cbranch_execz .LBB281_1510
; %bb.1505:                             ;   in Loop: Header=BB281_1059 Depth=1
	v_bfe_u32 v115, v11, 16, 7
	v_mov_b32_e32 v103, 0x7c01
	s_mov_b32 s15, exec_lo
	s_delay_alu instid0(VALU_DEP_2)
	v_cmpx_ne_u32_e32 0x7f, v115
	s_cbranch_execz .LBB281_1509
; %bb.1506:                             ;   in Loop: Header=BB281_1059 Depth=1
	v_and_b32_e32 v103, 7, v0
	v_lshrrev_b32_e32 v114, 3, v115
	s_mov_b32 s16, exec_lo
	v_cmpx_gt_u32_e32 8, v115
; %bb.1507:                             ;   in Loop: Header=BB281_1059 Depth=1
	s_delay_alu instid0(VALU_DEP_3) | instskip(NEXT) | instid1(VALU_DEP_1)
	v_clz_i32_u32_e32 v103, v103
	v_min_u32_e32 v103, 32, v103
	s_delay_alu instid0(VALU_DEP_1) | instskip(NEXT) | instid1(VALU_DEP_1)
	v_subrev_nc_u32_e32 v114, 28, v103
	v_lshlrev_b64_e32 v[115:116], v114, v[0:1]
	v_sub_nc_u32_e32 v114, 29, v103
	s_delay_alu instid0(VALU_DEP_2)
	v_and_b32_e32 v103, 7, v115
; %bb.1508:                             ;   in Loop: Header=BB281_1059 Depth=1
	s_wait_alu 0xfffe
	s_or_b32 exec_lo, exec_lo, s16
	v_lshlrev_b32_e32 v0, 8, v0
	v_lshl_add_u32 v114, v114, 10, 0x2000
	v_lshlrev_b32_e32 v103, 7, v103
	s_delay_alu instid0(VALU_DEP_3) | instskip(NEXT) | instid1(VALU_DEP_3)
	v_and_b32_e32 v0, 0x8000, v0
	v_and_b32_e32 v114, 0xfc00, v114
	s_delay_alu instid0(VALU_DEP_1)
	v_or3_b32 v103, v0, v114, v103
.LBB281_1509:                           ;   in Loop: Header=BB281_1059 Depth=1
	s_wait_alu 0xfffe
	s_or_b32 exec_lo, exec_lo, s15
.LBB281_1510:                           ;   in Loop: Header=BB281_1059 Depth=1
	s_wait_alu 0xfffe
	s_or_b32 exec_lo, exec_lo, s14
.LBB281_1511:                           ;   in Loop: Header=BB281_1059 Depth=1
	s_wait_alu 0xfffe
	s_or_b32 exec_lo, exec_lo, s9
	v_cmp_lt_u64_e64 s1, s[4:5], v[10:11]
	v_mov_b32_e32 v10, 0
	s_and_saveexec_b32 s9, s1
	s_cbranch_execz .LBB281_1519
; %bb.1512:                             ;   in Loop: Header=BB281_1059 Depth=1
	v_lshrrev_b32_e32 v0, 24, v11
	v_bfrev_b32_e32 v10, 1
	s_mov_b32 s14, exec_lo
	s_delay_alu instid0(VALU_DEP_2)
	v_cmpx_ne_u32_e32 0x80, v0
	s_cbranch_execz .LBB281_1518
; %bb.1513:                             ;   in Loop: Header=BB281_1059 Depth=1
	v_and_b32_e32 v114, 0x7f, v0
	v_mov_b32_e32 v10, 0x7c010000
	s_mov_b32 s15, exec_lo
	s_delay_alu instid0(VALU_DEP_2)
	v_cmpx_ne_u32_e32 0x7f, v114
	s_cbranch_execz .LBB281_1517
; %bb.1514:                             ;   in Loop: Header=BB281_1059 Depth=1
	v_and_b32_e32 v10, 7, v0
	v_lshrrev_b32_e32 v11, 3, v114
	s_mov_b32 s16, exec_lo
	v_cmpx_gt_u32_e32 8, v114
; %bb.1515:                             ;   in Loop: Header=BB281_1059 Depth=1
	s_delay_alu instid0(VALU_DEP_3) | instskip(NEXT) | instid1(VALU_DEP_1)
	v_clz_i32_u32_e32 v10, v10
	v_min_u32_e32 v114, 32, v10
	s_delay_alu instid0(VALU_DEP_1) | instskip(NEXT) | instid1(VALU_DEP_1)
	v_subrev_nc_u32_e32 v10, 28, v114
	v_lshlrev_b64_e32 v[10:11], v10, v[0:1]
	v_sub_nc_u32_e32 v11, 29, v114
	s_delay_alu instid0(VALU_DEP_2)
	v_and_b32_e32 v10, 7, v10
; %bb.1516:                             ;   in Loop: Header=BB281_1059 Depth=1
	s_wait_alu 0xfffe
	s_or_b32 exec_lo, exec_lo, s16
	v_lshlrev_b32_e32 v0, 8, v0
	v_lshl_add_u32 v11, v11, 10, 0x2000
	v_lshlrev_b32_e32 v10, 23, v10
	s_delay_alu instid0(VALU_DEP_2) | instskip(NEXT) | instid1(VALU_DEP_1)
	v_and_or_b32 v0, 0x8000, v0, v11
	v_lshl_or_b32 v10, v0, 16, v10
.LBB281_1517:                           ;   in Loop: Header=BB281_1059 Depth=1
	s_wait_alu 0xfffe
	s_or_b32 exec_lo, exec_lo, s15
.LBB281_1518:                           ;   in Loop: Header=BB281_1059 Depth=1
	s_wait_alu 0xfffe
	s_or_b32 exec_lo, exec_lo, s14
.LBB281_1519:                           ;   in Loop: Header=BB281_1059 Depth=1
	s_wait_alu 0xfffe
	s_or_b32 exec_lo, exec_lo, s9
	v_or_b32_e32 v0, v101, v102
	s_wait_loadcnt_dscnt 0x0
	v_fma_mixlo_f16 v11, v98, v101, 0 op_sel:[0,1,0] op_sel_hi:[0,1,0]
	v_or_b32_e32 v101, v99, v100
	v_fma_mixlo_f16 v99, v98, v99, 0 op_sel:[0,1,0] op_sel_hi:[0,1,0]
	v_or_b32_e32 v102, v113, v112
	v_or_b32_e32 v103, v10, v103
	v_fma_mixlo_f16 v112, v98, v0, 0 op_sel_hi:[0,1,0]
	v_fma_mixlo_f16 v10, v98, v10, 0 op_sel:[0,1,0] op_sel_hi:[0,1,0]
	v_lshlrev_b32_e32 v100, 16, v99
	v_fma_mixlo_f16 v99, v98, v101, 0 op_sel_hi:[0,1,0]
	v_fma_mixlo_f16 v101, v98, v113, 0 op_sel:[0,1,0] op_sel_hi:[0,1,0]
	v_fma_mixlo_f16 v102, v98, v102, 0 op_sel_hi:[0,1,0]
	v_fma_mixlo_f16 v103, v98, v103, 0 op_sel_hi:[0,1,0]
	v_lshlrev_b32_e32 v0, 16, v11
	v_and_b32_e32 v11, 0xffff, v112
	v_and_b32_e32 v114, 0xffff, v99
	v_lshlrev_b32_e32 v98, 16, v101
	v_and_b32_e32 v102, 0xffff, v102
	v_lshlrev_b32_e32 v10, 16, v10
	v_and_b32_e32 v99, 0xffff, v103
	v_or_b32_e32 v101, v0, v11
	v_or_b32_e32 v113, v100, v114
	;; [unrolled: 1-line block ×3, first 2 shown]
	s_delay_alu instid0(VALU_DEP_4)
	v_or_b32_e32 v103, v10, v99
	s_and_saveexec_b32 s9, vcc_lo
	s_cbranch_execz .LBB281_1521
; %bb.1520:                             ;   in Loop: Header=BB281_1059 Depth=1
	v_cmp_lt_i32_e64 s1, v23, v32
	s_wait_alu 0xf1ff
	s_delay_alu instid0(VALU_DEP_1) | instskip(SKIP_2) | instid1(VALU_DEP_1)
	v_cndmask_b32_e64 v101, 0, v114, s1
	v_cmp_lt_i32_e64 s1, v71, v32
	s_wait_alu 0xf1ff
	v_cndmask_b32_e64 v100, 0, v100, s1
	v_cmp_lt_i32_e64 s1, v70, v32
	s_delay_alu instid0(VALU_DEP_2) | instskip(SKIP_1) | instid1(VALU_DEP_2)
	v_or_b32_e32 v113, v101, v100
	s_wait_alu 0xf1ff
	v_cndmask_b32_e64 v11, 0, v11, s1
	v_cmp_lt_i32_e64 s1, v69, v32
	s_wait_alu 0xf1ff
	s_delay_alu instid0(VALU_DEP_1) | instskip(SKIP_1) | instid1(VALU_DEP_2)
	v_cndmask_b32_e64 v0, 0, v0, s1
	v_cmp_lt_i32_e64 s1, v68, v32
	v_or_b32_e32 v101, v11, v0
	s_wait_alu 0xf1ff
	s_delay_alu instid0(VALU_DEP_2) | instskip(SKIP_2) | instid1(VALU_DEP_1)
	v_cndmask_b32_e64 v102, 0, v102, s1
	v_cmp_lt_i32_e64 s1, v67, v32
	s_wait_alu 0xf1ff
	v_cndmask_b32_e64 v98, 0, v98, s1
	v_cmp_lt_i32_e64 s1, v66, v32
	s_delay_alu instid0(VALU_DEP_2) | instskip(SKIP_1) | instid1(VALU_DEP_2)
	v_or_b32_e32 v112, v102, v98
	s_wait_alu 0xf1ff
	v_cndmask_b32_e64 v99, 0, v99, s1
	v_cmp_lt_i32_e64 s1, v14, v32
	s_wait_alu 0xf1ff
	s_delay_alu instid0(VALU_DEP_1) | instskip(NEXT) | instid1(VALU_DEP_1)
	v_cndmask_b32_e64 v10, 0, v10, s1
	v_or_b32_e32 v103, v99, v10
.LBB281_1521:                           ;   in Loop: Header=BB281_1059 Depth=1
	s_wait_alu 0xfffe
	s_or_b32 exec_lo, exec_lo, s9
	;;#ASMSTART
	v_pk_mul_f16 v0, v64, v113;

	;;#ASMEND
	;;#ASMSTART
	v_pk_mul_f16 v10, v38, v101;

	;;#ASMEND
	;; [unrolled: 4-line block ×4, first 2 shown]
	;;#ASMSTART
	v_pk_add_f16 v0, v0, v10;

	;;#ASMEND
	;;#ASMSTART
	v_pk_add_f16 v0, v0, v11;

	;;#ASMEND
	;; [unrolled: 4-line block ×3, first 2 shown]
	v_dual_mov_b32 v101, 0 :: v_dual_and_b32 v10, 0xffff, v0
	v_lshrrev_b32_e32 v0, 16, v0
	;;#ASMSTART
	v_cvt_f32_f16 v98, v10;
	;;#ASMEND
	;;#ASMSTART
	v_cvt_f32_f16 v99, v0;
	;;#ASMEND
	flat_load_b64 v[10:11], v[8:9] offset:1792
	flat_load_b32 v100, v[26:27]
	v_mov_b32_e32 v102, 0
	s_mov_b32 s9, exec_lo
	s_wait_loadcnt_dscnt 0x101
	v_and_b32_e32 v0, 0xff, v10
	s_delay_alu instid0(VALU_DEP_1)
	v_cmpx_ne_u16_e32 0, v0
	s_cbranch_execz .LBB281_1529
; %bb.1522:                             ;   in Loop: Header=BB281_1059 Depth=1
	v_mov_b32_e32 v102, 0x8000
	s_mov_b32 s14, exec_lo
	v_cmpx_ne_u16_e32 0x80, v0
	s_cbranch_execz .LBB281_1528
; %bb.1523:                             ;   in Loop: Header=BB281_1059 Depth=1
	v_and_b32_e32 v103, 0x7f, v10
	v_mov_b32_e32 v102, 0x7c01
	s_mov_b32 s15, exec_lo
	s_delay_alu instid0(VALU_DEP_2)
	v_cmpx_ne_u32_e32 0x7f, v103
	s_cbranch_execz .LBB281_1527
; %bb.1524:                             ;   in Loop: Header=BB281_1059 Depth=1
	v_and_b32_e32 v0, 7, v10
	v_lshrrev_b32_e32 v102, 3, v103
	s_mov_b32 s16, exec_lo
	v_cmpx_gt_u32_e32 8, v103
; %bb.1525:                             ;   in Loop: Header=BB281_1059 Depth=1
	s_delay_alu instid0(VALU_DEP_3) | instskip(NEXT) | instid1(VALU_DEP_1)
	v_clz_i32_u32_e32 v0, v0
	v_min_u32_e32 v0, 32, v0
	s_delay_alu instid0(VALU_DEP_1) | instskip(NEXT) | instid1(VALU_DEP_1)
	v_subrev_nc_u32_e32 v102, 28, v0
	v_lshlrev_b64_e32 v[112:113], v102, v[10:11]
	v_sub_nc_u32_e32 v102, 29, v0
	s_delay_alu instid0(VALU_DEP_2)
	v_and_b32_e32 v0, 7, v112
; %bb.1526:                             ;   in Loop: Header=BB281_1059 Depth=1
	s_wait_alu 0xfffe
	s_or_b32 exec_lo, exec_lo, s16
	v_lshlrev_b32_e32 v103, 8, v10
	v_lshl_add_u32 v102, v102, 10, 0x2000
	v_lshlrev_b32_e32 v0, 7, v0
	s_delay_alu instid0(VALU_DEP_3) | instskip(NEXT) | instid1(VALU_DEP_3)
	v_and_b32_e32 v103, 0x8000, v103
	v_and_b32_e32 v102, 0xfc00, v102
	s_delay_alu instid0(VALU_DEP_1)
	v_or3_b32 v102, v103, v102, v0
.LBB281_1527:                           ;   in Loop: Header=BB281_1059 Depth=1
	s_wait_alu 0xfffe
	s_or_b32 exec_lo, exec_lo, s15
.LBB281_1528:                           ;   in Loop: Header=BB281_1059 Depth=1
	s_wait_alu 0xfffe
	s_or_b32 exec_lo, exec_lo, s14
.LBB281_1529:                           ;   in Loop: Header=BB281_1059 Depth=1
	s_wait_alu 0xfffe
	s_or_b32 exec_lo, exec_lo, s9
	v_lshrrev_b16 v0, 8, v10
	s_mov_b32 s9, exec_lo
	s_delay_alu instid0(VALU_DEP_1)
	v_cmpx_ne_u16_e32 0, v0
	s_cbranch_execz .LBB281_1537
; %bb.1530:                             ;   in Loop: Header=BB281_1059 Depth=1
	v_bfrev_b32_e32 v101, 1
	s_mov_b32 s14, exec_lo
	v_cmpx_ne_u16_e32 0x80, v0
	s_cbranch_execz .LBB281_1536
; %bb.1531:                             ;   in Loop: Header=BB281_1059 Depth=1
	v_and_b32_e32 v103, 0xffff, v0
	v_mov_b32_e32 v101, 0x7c010000
	s_mov_b32 s15, exec_lo
	s_delay_alu instid0(VALU_DEP_2) | instskip(NEXT) | instid1(VALU_DEP_1)
	v_and_b32_e32 v113, 0x7f, v103
	v_cmpx_ne_u32_e32 0x7f, v113
	s_cbranch_execz .LBB281_1535
; %bb.1532:                             ;   in Loop: Header=BB281_1059 Depth=1
	v_and_b32_e32 v101, 7, v103
	v_lshrrev_b32_e32 v112, 3, v113
	s_mov_b32 s16, exec_lo
	v_cmpx_gt_u32_e32 8, v113
; %bb.1533:                             ;   in Loop: Header=BB281_1059 Depth=1
	s_delay_alu instid0(VALU_DEP_3) | instskip(NEXT) | instid1(VALU_DEP_1)
	v_clz_i32_u32_e32 v101, v101
	v_min_u32_e32 v101, 32, v101
	s_delay_alu instid0(VALU_DEP_1) | instskip(NEXT) | instid1(VALU_DEP_1)
	v_subrev_nc_u32_e32 v112, 28, v101
	v_lshlrev_b64_e32 v[113:114], v112, v[0:1]
	v_sub_nc_u32_e32 v112, 29, v101
	s_delay_alu instid0(VALU_DEP_2)
	v_and_b32_e32 v101, 7, v113
; %bb.1534:                             ;   in Loop: Header=BB281_1059 Depth=1
	s_wait_alu 0xfffe
	s_or_b32 exec_lo, exec_lo, s16
	v_lshlrev_b32_e32 v0, 8, v103
	v_lshl_add_u32 v103, v112, 10, 0x2000
	v_lshlrev_b32_e32 v101, 23, v101
	s_delay_alu instid0(VALU_DEP_2) | instskip(NEXT) | instid1(VALU_DEP_1)
	v_and_or_b32 v0, 0x8000, v0, v103
	v_lshl_or_b32 v101, v0, 16, v101
.LBB281_1535:                           ;   in Loop: Header=BB281_1059 Depth=1
	s_wait_alu 0xfffe
	s_or_b32 exec_lo, exec_lo, s15
.LBB281_1536:                           ;   in Loop: Header=BB281_1059 Depth=1
	s_wait_alu 0xfffe
	s_or_b32 exec_lo, exec_lo, s14
.LBB281_1537:                           ;   in Loop: Header=BB281_1059 Depth=1
	s_wait_alu 0xfffe
	s_or_b32 exec_lo, exec_lo, s9
	v_lshrrev_b32_e32 v0, 16, v10
	v_mov_b32_e32 v103, 0
	s_mov_b32 s9, exec_lo
	s_delay_alu instid0(VALU_DEP_2) | instskip(NEXT) | instid1(VALU_DEP_1)
	v_dual_mov_b32 v112, 0 :: v_dual_and_b32 v113, 0xff, v0
	v_cmpx_ne_u16_e32 0, v113
	s_cbranch_execz .LBB281_1545
; %bb.1538:                             ;   in Loop: Header=BB281_1059 Depth=1
	v_mov_b32_e32 v112, 0x8000
	s_mov_b32 s14, exec_lo
	v_cmpx_ne_u16_e32 0x80, v113
	s_cbranch_execz .LBB281_1544
; %bb.1539:                             ;   in Loop: Header=BB281_1059 Depth=1
	v_bfe_u32 v114, v10, 16, 7
	v_mov_b32_e32 v112, 0x7c01
	s_mov_b32 s15, exec_lo
	s_delay_alu instid0(VALU_DEP_2)
	v_cmpx_ne_u32_e32 0x7f, v114
	s_cbranch_execz .LBB281_1543
; %bb.1540:                             ;   in Loop: Header=BB281_1059 Depth=1
	v_and_b32_e32 v112, 7, v0
	v_lshrrev_b32_e32 v113, 3, v114
	s_mov_b32 s16, exec_lo
	v_cmpx_gt_u32_e32 8, v114
; %bb.1541:                             ;   in Loop: Header=BB281_1059 Depth=1
	s_delay_alu instid0(VALU_DEP_3) | instskip(NEXT) | instid1(VALU_DEP_1)
	v_clz_i32_u32_e32 v112, v112
	v_min_u32_e32 v114, 32, v112
	s_delay_alu instid0(VALU_DEP_1) | instskip(NEXT) | instid1(VALU_DEP_1)
	v_subrev_nc_u32_e32 v112, 28, v114
	v_lshlrev_b64_e32 v[112:113], v112, v[0:1]
	v_sub_nc_u32_e32 v113, 29, v114
	s_delay_alu instid0(VALU_DEP_2)
	v_and_b32_e32 v112, 7, v112
; %bb.1542:                             ;   in Loop: Header=BB281_1059 Depth=1
	s_wait_alu 0xfffe
	s_or_b32 exec_lo, exec_lo, s16
	v_lshlrev_b32_e32 v0, 8, v0
	v_lshl_add_u32 v113, v113, 10, 0x2000
	v_lshlrev_b32_e32 v112, 7, v112
	s_delay_alu instid0(VALU_DEP_3) | instskip(NEXT) | instid1(VALU_DEP_3)
	v_and_b32_e32 v0, 0x8000, v0
	v_and_b32_e32 v113, 0xfc00, v113
	s_delay_alu instid0(VALU_DEP_1)
	v_or3_b32 v112, v0, v113, v112
.LBB281_1543:                           ;   in Loop: Header=BB281_1059 Depth=1
	s_wait_alu 0xfffe
	s_or_b32 exec_lo, exec_lo, s15
.LBB281_1544:                           ;   in Loop: Header=BB281_1059 Depth=1
	s_wait_alu 0xfffe
	s_or_b32 exec_lo, exec_lo, s14
.LBB281_1545:                           ;   in Loop: Header=BB281_1059 Depth=1
	s_wait_alu 0xfffe
	s_or_b32 exec_lo, exec_lo, s9
	s_delay_alu instid0(SALU_CYCLE_1)
	s_mov_b32 s9, exec_lo
	v_cmpx_lt_u32_e32 0xffffff, v10
	s_cbranch_execz .LBB281_1553
; %bb.1546:                             ;   in Loop: Header=BB281_1059 Depth=1
	v_lshrrev_b32_e32 v0, 24, v10
	v_bfrev_b32_e32 v103, 1
	s_mov_b32 s14, exec_lo
	s_delay_alu instid0(VALU_DEP_2)
	v_cmpx_ne_u32_e32 0x80, v0
	s_cbranch_execz .LBB281_1552
; %bb.1547:                             ;   in Loop: Header=BB281_1059 Depth=1
	v_and_b32_e32 v114, 0x7f, v0
	v_mov_b32_e32 v103, 0x7c010000
	s_mov_b32 s15, exec_lo
	s_delay_alu instid0(VALU_DEP_2)
	v_cmpx_ne_u32_e32 0x7f, v114
	s_cbranch_execz .LBB281_1551
; %bb.1548:                             ;   in Loop: Header=BB281_1059 Depth=1
	v_and_b32_e32 v103, 7, v0
	v_lshrrev_b32_e32 v113, 3, v114
	s_mov_b32 s16, exec_lo
	v_cmpx_gt_u32_e32 8, v114
; %bb.1549:                             ;   in Loop: Header=BB281_1059 Depth=1
	s_delay_alu instid0(VALU_DEP_3) | instskip(NEXT) | instid1(VALU_DEP_1)
	v_clz_i32_u32_e32 v103, v103
	v_min_u32_e32 v103, 32, v103
	s_delay_alu instid0(VALU_DEP_1) | instskip(NEXT) | instid1(VALU_DEP_1)
	v_subrev_nc_u32_e32 v113, 28, v103
	v_lshlrev_b64_e32 v[114:115], v113, v[0:1]
	v_sub_nc_u32_e32 v113, 29, v103
	s_delay_alu instid0(VALU_DEP_2)
	v_and_b32_e32 v103, 7, v114
; %bb.1550:                             ;   in Loop: Header=BB281_1059 Depth=1
	s_wait_alu 0xfffe
	s_or_b32 exec_lo, exec_lo, s16
	v_lshlrev_b32_e32 v0, 8, v0
	v_lshl_add_u32 v113, v113, 10, 0x2000
	v_lshlrev_b32_e32 v103, 23, v103
	s_delay_alu instid0(VALU_DEP_2) | instskip(NEXT) | instid1(VALU_DEP_1)
	v_and_or_b32 v0, 0x8000, v0, v113
	v_lshl_or_b32 v103, v0, 16, v103
.LBB281_1551:                           ;   in Loop: Header=BB281_1059 Depth=1
	s_wait_alu 0xfffe
	s_or_b32 exec_lo, exec_lo, s15
.LBB281_1552:                           ;   in Loop: Header=BB281_1059 Depth=1
	s_wait_alu 0xfffe
	s_or_b32 exec_lo, exec_lo, s14
.LBB281_1553:                           ;   in Loop: Header=BB281_1059 Depth=1
	s_wait_alu 0xfffe
	s_or_b32 exec_lo, exec_lo, s9
	v_dual_mov_b32 v0, v11 :: v_dual_and_b32 v115, 0xff, v11
	v_dual_mov_b32 v113, 0 :: v_dual_mov_b32 v114, 0
	s_mov_b32 s9, exec_lo
	s_delay_alu instid0(VALU_DEP_2)
	v_cmpx_ne_u16_e32 0, v115
	s_cbranch_execz .LBB281_1561
; %bb.1554:                             ;   in Loop: Header=BB281_1059 Depth=1
	v_mov_b32_e32 v114, 0x8000
	s_mov_b32 s14, exec_lo
	v_cmpx_ne_u16_e32 0x80, v115
	s_cbranch_execz .LBB281_1560
; %bb.1555:                             ;   in Loop: Header=BB281_1059 Depth=1
	v_and_b32_e32 v116, 0x7f, v11
	v_mov_b32_e32 v114, 0x7c01
	s_mov_b32 s15, exec_lo
	s_delay_alu instid0(VALU_DEP_2)
	v_cmpx_ne_u32_e32 0x7f, v116
	s_cbranch_execz .LBB281_1559
; %bb.1556:                             ;   in Loop: Header=BB281_1059 Depth=1
	v_and_b32_e32 v114, 7, v11
	v_lshrrev_b32_e32 v115, 3, v116
	s_mov_b32 s16, exec_lo
	v_cmpx_gt_u32_e32 8, v116
; %bb.1557:                             ;   in Loop: Header=BB281_1059 Depth=1
	s_delay_alu instid0(VALU_DEP_3) | instskip(NEXT) | instid1(VALU_DEP_1)
	v_clz_i32_u32_e32 v114, v114
	v_min_u32_e32 v116, 32, v114
	s_delay_alu instid0(VALU_DEP_1) | instskip(NEXT) | instid1(VALU_DEP_1)
	v_subrev_nc_u32_e32 v114, 28, v116
	v_lshlrev_b64_e32 v[114:115], v114, v[0:1]
	v_sub_nc_u32_e32 v115, 29, v116
	s_delay_alu instid0(VALU_DEP_2)
	v_and_b32_e32 v114, 7, v114
; %bb.1558:                             ;   in Loop: Header=BB281_1059 Depth=1
	s_wait_alu 0xfffe
	s_or_b32 exec_lo, exec_lo, s16
	v_lshlrev_b32_e32 v116, 8, v11
	v_lshl_add_u32 v115, v115, 10, 0x2000
	v_lshlrev_b32_e32 v114, 7, v114
	s_delay_alu instid0(VALU_DEP_3) | instskip(NEXT) | instid1(VALU_DEP_3)
	v_and_b32_e32 v116, 0x8000, v116
	v_and_b32_e32 v115, 0xfc00, v115
	s_delay_alu instid0(VALU_DEP_1)
	v_or3_b32 v114, v116, v115, v114
.LBB281_1559:                           ;   in Loop: Header=BB281_1059 Depth=1
	s_wait_alu 0xfffe
	s_or_b32 exec_lo, exec_lo, s15
.LBB281_1560:                           ;   in Loop: Header=BB281_1059 Depth=1
	s_wait_alu 0xfffe
	s_or_b32 exec_lo, exec_lo, s14
.LBB281_1561:                           ;   in Loop: Header=BB281_1059 Depth=1
	s_wait_alu 0xfffe
	s_or_b32 exec_lo, exec_lo, s9
	v_lshrrev_b16 v0, 8, v0
	v_mov_b32_e32 v115, 0
	s_mov_b32 s9, exec_lo
	s_delay_alu instid0(VALU_DEP_2)
	v_cmpx_ne_u16_e32 0, v0
	s_cbranch_execz .LBB281_1569
; %bb.1562:                             ;   in Loop: Header=BB281_1059 Depth=1
	v_bfrev_b32_e32 v115, 1
	s_mov_b32 s14, exec_lo
	v_cmpx_ne_u16_e32 0x80, v0
	s_cbranch_execz .LBB281_1568
; %bb.1563:                             ;   in Loop: Header=BB281_1059 Depth=1
	v_and_b32_e32 v116, 0xffff, v0
	v_mov_b32_e32 v115, 0x7c010000
	s_mov_b32 s15, exec_lo
	s_delay_alu instid0(VALU_DEP_2) | instskip(NEXT) | instid1(VALU_DEP_1)
	v_and_b32_e32 v118, 0x7f, v116
	v_cmpx_ne_u32_e32 0x7f, v118
	s_cbranch_execz .LBB281_1567
; %bb.1564:                             ;   in Loop: Header=BB281_1059 Depth=1
	v_and_b32_e32 v115, 7, v116
	v_lshrrev_b32_e32 v117, 3, v118
	s_mov_b32 s16, exec_lo
	v_cmpx_gt_u32_e32 8, v118
; %bb.1565:                             ;   in Loop: Header=BB281_1059 Depth=1
	s_delay_alu instid0(VALU_DEP_3) | instskip(NEXT) | instid1(VALU_DEP_1)
	v_clz_i32_u32_e32 v115, v115
	v_min_u32_e32 v115, 32, v115
	s_delay_alu instid0(VALU_DEP_1) | instskip(NEXT) | instid1(VALU_DEP_1)
	v_subrev_nc_u32_e32 v117, 28, v115
	v_lshlrev_b64_e32 v[118:119], v117, v[0:1]
	v_sub_nc_u32_e32 v117, 29, v115
	s_delay_alu instid0(VALU_DEP_2)
	v_and_b32_e32 v115, 7, v118
; %bb.1566:                             ;   in Loop: Header=BB281_1059 Depth=1
	s_wait_alu 0xfffe
	s_or_b32 exec_lo, exec_lo, s16
	v_lshlrev_b32_e32 v0, 8, v116
	v_lshl_add_u32 v116, v117, 10, 0x2000
	v_lshlrev_b32_e32 v115, 23, v115
	s_delay_alu instid0(VALU_DEP_2) | instskip(NEXT) | instid1(VALU_DEP_1)
	v_and_or_b32 v0, 0x8000, v0, v116
	v_lshl_or_b32 v115, v0, 16, v115
.LBB281_1567:                           ;   in Loop: Header=BB281_1059 Depth=1
	s_wait_alu 0xfffe
	s_or_b32 exec_lo, exec_lo, s15
.LBB281_1568:                           ;   in Loop: Header=BB281_1059 Depth=1
	s_wait_alu 0xfffe
	s_or_b32 exec_lo, exec_lo, s14
.LBB281_1569:                           ;   in Loop: Header=BB281_1059 Depth=1
	s_wait_alu 0xfffe
	s_or_b32 exec_lo, exec_lo, s9
	v_lshrrev_b32_e32 v0, 16, v11
	s_mov_b32 s9, exec_lo
	s_delay_alu instid0(VALU_DEP_1) | instskip(NEXT) | instid1(VALU_DEP_1)
	v_and_b32_e32 v116, 0xff, v0
	v_cmpx_ne_u16_e32 0, v116
	s_cbranch_execz .LBB281_1577
; %bb.1570:                             ;   in Loop: Header=BB281_1059 Depth=1
	v_mov_b32_e32 v113, 0x8000
	s_mov_b32 s14, exec_lo
	v_cmpx_ne_u16_e32 0x80, v116
	s_cbranch_execz .LBB281_1576
; %bb.1571:                             ;   in Loop: Header=BB281_1059 Depth=1
	v_bfe_u32 v117, v11, 16, 7
	v_mov_b32_e32 v113, 0x7c01
	s_mov_b32 s15, exec_lo
	s_delay_alu instid0(VALU_DEP_2)
	v_cmpx_ne_u32_e32 0x7f, v117
	s_cbranch_execz .LBB281_1575
; %bb.1572:                             ;   in Loop: Header=BB281_1059 Depth=1
	v_and_b32_e32 v113, 7, v0
	v_lshrrev_b32_e32 v116, 3, v117
	s_mov_b32 s16, exec_lo
	v_cmpx_gt_u32_e32 8, v117
; %bb.1573:                             ;   in Loop: Header=BB281_1059 Depth=1
	s_delay_alu instid0(VALU_DEP_3) | instskip(NEXT) | instid1(VALU_DEP_1)
	v_clz_i32_u32_e32 v113, v113
	v_min_u32_e32 v113, 32, v113
	s_delay_alu instid0(VALU_DEP_1) | instskip(NEXT) | instid1(VALU_DEP_1)
	v_subrev_nc_u32_e32 v116, 28, v113
	v_lshlrev_b64_e32 v[117:118], v116, v[0:1]
	v_sub_nc_u32_e32 v116, 29, v113
	s_delay_alu instid0(VALU_DEP_2)
	v_and_b32_e32 v113, 7, v117
; %bb.1574:                             ;   in Loop: Header=BB281_1059 Depth=1
	s_wait_alu 0xfffe
	s_or_b32 exec_lo, exec_lo, s16
	v_lshlrev_b32_e32 v0, 8, v0
	v_lshl_add_u32 v116, v116, 10, 0x2000
	v_lshlrev_b32_e32 v113, 7, v113
	s_delay_alu instid0(VALU_DEP_3) | instskip(NEXT) | instid1(VALU_DEP_3)
	v_and_b32_e32 v0, 0x8000, v0
	v_and_b32_e32 v116, 0xfc00, v116
	s_delay_alu instid0(VALU_DEP_1)
	v_or3_b32 v113, v0, v116, v113
.LBB281_1575:                           ;   in Loop: Header=BB281_1059 Depth=1
	s_wait_alu 0xfffe
	s_or_b32 exec_lo, exec_lo, s15
.LBB281_1576:                           ;   in Loop: Header=BB281_1059 Depth=1
	s_wait_alu 0xfffe
	s_or_b32 exec_lo, exec_lo, s14
.LBB281_1577:                           ;   in Loop: Header=BB281_1059 Depth=1
	s_wait_alu 0xfffe
	s_or_b32 exec_lo, exec_lo, s9
	v_cmp_lt_u64_e64 s1, s[4:5], v[10:11]
	v_mov_b32_e32 v10, 0
	s_and_saveexec_b32 s9, s1
	s_cbranch_execz .LBB281_1585
; %bb.1578:                             ;   in Loop: Header=BB281_1059 Depth=1
	v_lshrrev_b32_e32 v0, 24, v11
	v_bfrev_b32_e32 v10, 1
	s_mov_b32 s14, exec_lo
	s_delay_alu instid0(VALU_DEP_2)
	v_cmpx_ne_u32_e32 0x80, v0
	s_cbranch_execz .LBB281_1584
; %bb.1579:                             ;   in Loop: Header=BB281_1059 Depth=1
	v_and_b32_e32 v116, 0x7f, v0
	v_mov_b32_e32 v10, 0x7c010000
	s_mov_b32 s15, exec_lo
	s_delay_alu instid0(VALU_DEP_2)
	v_cmpx_ne_u32_e32 0x7f, v116
	s_cbranch_execz .LBB281_1583
; %bb.1580:                             ;   in Loop: Header=BB281_1059 Depth=1
	v_and_b32_e32 v10, 7, v0
	v_lshrrev_b32_e32 v11, 3, v116
	s_mov_b32 s16, exec_lo
	v_cmpx_gt_u32_e32 8, v116
; %bb.1581:                             ;   in Loop: Header=BB281_1059 Depth=1
	s_delay_alu instid0(VALU_DEP_3) | instskip(NEXT) | instid1(VALU_DEP_1)
	v_clz_i32_u32_e32 v10, v10
	v_min_u32_e32 v116, 32, v10
	s_delay_alu instid0(VALU_DEP_1) | instskip(NEXT) | instid1(VALU_DEP_1)
	v_subrev_nc_u32_e32 v10, 28, v116
	v_lshlrev_b64_e32 v[10:11], v10, v[0:1]
	v_sub_nc_u32_e32 v11, 29, v116
	s_delay_alu instid0(VALU_DEP_2)
	v_and_b32_e32 v10, 7, v10
; %bb.1582:                             ;   in Loop: Header=BB281_1059 Depth=1
	s_wait_alu 0xfffe
	s_or_b32 exec_lo, exec_lo, s16
	v_lshlrev_b32_e32 v0, 8, v0
	v_lshl_add_u32 v11, v11, 10, 0x2000
	v_lshlrev_b32_e32 v10, 23, v10
	s_delay_alu instid0(VALU_DEP_2) | instskip(NEXT) | instid1(VALU_DEP_1)
	v_and_or_b32 v0, 0x8000, v0, v11
	v_lshl_or_b32 v10, v0, 16, v10
.LBB281_1583:                           ;   in Loop: Header=BB281_1059 Depth=1
	s_wait_alu 0xfffe
	s_or_b32 exec_lo, exec_lo, s15
.LBB281_1584:                           ;   in Loop: Header=BB281_1059 Depth=1
	s_wait_alu 0xfffe
	s_or_b32 exec_lo, exec_lo, s14
.LBB281_1585:                           ;   in Loop: Header=BB281_1059 Depth=1
	s_wait_alu 0xfffe
	s_or_b32 exec_lo, exec_lo, s9
	v_or_b32_e32 v0, v103, v112
	s_wait_loadcnt_dscnt 0x0
	v_fma_mixlo_f16 v11, v100, v103, 0 op_sel:[0,1,0] op_sel_hi:[0,1,0]
	v_or_b32_e32 v103, v101, v102
	v_fma_mixlo_f16 v101, v100, v101, 0 op_sel:[0,1,0] op_sel_hi:[0,1,0]
	v_or_b32_e32 v112, v115, v114
	v_or_b32_e32 v113, v10, v113
	v_fma_mixlo_f16 v114, v100, v0, 0 op_sel_hi:[0,1,0]
	v_fma_mixlo_f16 v10, v100, v10, 0 op_sel:[0,1,0] op_sel_hi:[0,1,0]
	v_lshlrev_b32_e32 v102, 16, v101
	v_fma_mixlo_f16 v101, v100, v103, 0 op_sel_hi:[0,1,0]
	v_fma_mixlo_f16 v103, v100, v115, 0 op_sel:[0,1,0] op_sel_hi:[0,1,0]
	v_fma_mixlo_f16 v112, v100, v112, 0 op_sel_hi:[0,1,0]
	v_fma_mixlo_f16 v113, v100, v113, 0 op_sel_hi:[0,1,0]
	v_lshlrev_b32_e32 v0, 16, v11
	v_and_b32_e32 v11, 0xffff, v114
	v_and_b32_e32 v116, 0xffff, v101
	v_lshlrev_b32_e32 v100, 16, v103
	v_and_b32_e32 v112, 0xffff, v112
	v_lshlrev_b32_e32 v10, 16, v10
	v_and_b32_e32 v101, 0xffff, v113
	v_or_b32_e32 v103, v0, v11
	v_or_b32_e32 v115, v102, v116
	;; [unrolled: 1-line block ×3, first 2 shown]
	s_delay_alu instid0(VALU_DEP_4)
	v_or_b32_e32 v113, v10, v101
	s_and_saveexec_b32 s9, vcc_lo
	s_cbranch_execz .LBB281_1587
; %bb.1586:                             ;   in Loop: Header=BB281_1059 Depth=1
	v_cmp_lt_i32_e64 s1, v23, v32
	s_wait_alu 0xf1ff
	s_delay_alu instid0(VALU_DEP_1) | instskip(SKIP_2) | instid1(VALU_DEP_1)
	v_cndmask_b32_e64 v103, 0, v116, s1
	v_cmp_lt_i32_e64 s1, v71, v32
	s_wait_alu 0xf1ff
	v_cndmask_b32_e64 v102, 0, v102, s1
	v_cmp_lt_i32_e64 s1, v70, v32
	s_delay_alu instid0(VALU_DEP_2) | instskip(SKIP_1) | instid1(VALU_DEP_2)
	v_or_b32_e32 v115, v103, v102
	s_wait_alu 0xf1ff
	v_cndmask_b32_e64 v11, 0, v11, s1
	v_cmp_lt_i32_e64 s1, v69, v32
	s_wait_alu 0xf1ff
	s_delay_alu instid0(VALU_DEP_1) | instskip(SKIP_1) | instid1(VALU_DEP_2)
	v_cndmask_b32_e64 v0, 0, v0, s1
	v_cmp_lt_i32_e64 s1, v68, v32
	v_or_b32_e32 v103, v11, v0
	s_wait_alu 0xf1ff
	s_delay_alu instid0(VALU_DEP_2) | instskip(SKIP_2) | instid1(VALU_DEP_1)
	v_cndmask_b32_e64 v112, 0, v112, s1
	v_cmp_lt_i32_e64 s1, v67, v32
	s_wait_alu 0xf1ff
	v_cndmask_b32_e64 v100, 0, v100, s1
	v_cmp_lt_i32_e64 s1, v66, v32
	s_delay_alu instid0(VALU_DEP_2) | instskip(SKIP_1) | instid1(VALU_DEP_2)
	v_or_b32_e32 v114, v112, v100
	s_wait_alu 0xf1ff
	v_cndmask_b32_e64 v101, 0, v101, s1
	v_cmp_lt_i32_e64 s1, v14, v32
	s_wait_alu 0xf1ff
	s_delay_alu instid0(VALU_DEP_1) | instskip(NEXT) | instid1(VALU_DEP_1)
	v_cndmask_b32_e64 v10, 0, v10, s1
	v_or_b32_e32 v113, v101, v10
.LBB281_1587:                           ;   in Loop: Header=BB281_1059 Depth=1
	s_wait_alu 0xfffe
	s_or_b32 exec_lo, exec_lo, s9
	;;#ASMSTART
	v_pk_mul_f16 v0, v64, v115;

	;;#ASMEND
	;;#ASMSTART
	v_pk_mul_f16 v10, v38, v103;

	;;#ASMEND
	;; [unrolled: 4-line block ×4, first 2 shown]
	;;#ASMSTART
	v_pk_add_f16 v0, v0, v10;

	;;#ASMEND
	;;#ASMSTART
	v_pk_add_f16 v0, v0, v11;

	;;#ASMEND
	;; [unrolled: 4-line block ×3, first 2 shown]
	v_dual_mov_b32 v103, 0 :: v_dual_and_b32 v10, 0xffff, v0
	v_lshrrev_b32_e32 v0, 16, v0
	;;#ASMSTART
	v_cvt_f32_f16 v100, v10;
	;;#ASMEND
	;;#ASMSTART
	v_cvt_f32_f16 v101, v0;
	;;#ASMEND
	flat_load_b64 v[10:11], v[8:9] offset:2048
	flat_load_b32 v102, v[26:27]
	v_mov_b32_e32 v112, 0
	s_mov_b32 s9, exec_lo
	s_wait_loadcnt_dscnt 0x101
	v_and_b32_e32 v0, 0xff, v10
	s_delay_alu instid0(VALU_DEP_1)
	v_cmpx_ne_u16_e32 0, v0
	s_cbranch_execz .LBB281_1595
; %bb.1588:                             ;   in Loop: Header=BB281_1059 Depth=1
	v_mov_b32_e32 v112, 0x8000
	s_mov_b32 s14, exec_lo
	v_cmpx_ne_u16_e32 0x80, v0
	s_cbranch_execz .LBB281_1594
; %bb.1589:                             ;   in Loop: Header=BB281_1059 Depth=1
	v_and_b32_e32 v113, 0x7f, v10
	v_mov_b32_e32 v112, 0x7c01
	s_mov_b32 s15, exec_lo
	s_delay_alu instid0(VALU_DEP_2)
	v_cmpx_ne_u32_e32 0x7f, v113
	s_cbranch_execz .LBB281_1593
; %bb.1590:                             ;   in Loop: Header=BB281_1059 Depth=1
	v_and_b32_e32 v0, 7, v10
	v_lshrrev_b32_e32 v112, 3, v113
	s_mov_b32 s16, exec_lo
	v_cmpx_gt_u32_e32 8, v113
; %bb.1591:                             ;   in Loop: Header=BB281_1059 Depth=1
	s_delay_alu instid0(VALU_DEP_3) | instskip(NEXT) | instid1(VALU_DEP_1)
	v_clz_i32_u32_e32 v0, v0
	v_min_u32_e32 v0, 32, v0
	s_delay_alu instid0(VALU_DEP_1) | instskip(NEXT) | instid1(VALU_DEP_1)
	v_subrev_nc_u32_e32 v112, 28, v0
	v_lshlrev_b64_e32 v[113:114], v112, v[10:11]
	v_sub_nc_u32_e32 v112, 29, v0
	s_delay_alu instid0(VALU_DEP_2)
	v_and_b32_e32 v0, 7, v113
; %bb.1592:                             ;   in Loop: Header=BB281_1059 Depth=1
	s_wait_alu 0xfffe
	s_or_b32 exec_lo, exec_lo, s16
	v_lshlrev_b32_e32 v113, 8, v10
	v_lshl_add_u32 v112, v112, 10, 0x2000
	v_lshlrev_b32_e32 v0, 7, v0
	s_delay_alu instid0(VALU_DEP_3) | instskip(NEXT) | instid1(VALU_DEP_3)
	v_and_b32_e32 v113, 0x8000, v113
	v_and_b32_e32 v112, 0xfc00, v112
	s_delay_alu instid0(VALU_DEP_1)
	v_or3_b32 v112, v113, v112, v0
.LBB281_1593:                           ;   in Loop: Header=BB281_1059 Depth=1
	s_wait_alu 0xfffe
	s_or_b32 exec_lo, exec_lo, s15
.LBB281_1594:                           ;   in Loop: Header=BB281_1059 Depth=1
	s_wait_alu 0xfffe
	s_or_b32 exec_lo, exec_lo, s14
.LBB281_1595:                           ;   in Loop: Header=BB281_1059 Depth=1
	s_wait_alu 0xfffe
	s_or_b32 exec_lo, exec_lo, s9
	v_lshrrev_b16 v0, 8, v10
	s_mov_b32 s9, exec_lo
	s_delay_alu instid0(VALU_DEP_1)
	v_cmpx_ne_u16_e32 0, v0
	s_cbranch_execz .LBB281_1603
; %bb.1596:                             ;   in Loop: Header=BB281_1059 Depth=1
	v_bfrev_b32_e32 v103, 1
	s_mov_b32 s14, exec_lo
	v_cmpx_ne_u16_e32 0x80, v0
	s_cbranch_execz .LBB281_1602
; %bb.1597:                             ;   in Loop: Header=BB281_1059 Depth=1
	v_and_b32_e32 v113, 0xffff, v0
	v_mov_b32_e32 v103, 0x7c010000
	s_mov_b32 s15, exec_lo
	s_delay_alu instid0(VALU_DEP_2) | instskip(NEXT) | instid1(VALU_DEP_1)
	v_and_b32_e32 v115, 0x7f, v113
	v_cmpx_ne_u32_e32 0x7f, v115
	s_cbranch_execz .LBB281_1601
; %bb.1598:                             ;   in Loop: Header=BB281_1059 Depth=1
	v_and_b32_e32 v103, 7, v113
	v_lshrrev_b32_e32 v114, 3, v115
	s_mov_b32 s16, exec_lo
	v_cmpx_gt_u32_e32 8, v115
; %bb.1599:                             ;   in Loop: Header=BB281_1059 Depth=1
	s_delay_alu instid0(VALU_DEP_3) | instskip(NEXT) | instid1(VALU_DEP_1)
	v_clz_i32_u32_e32 v103, v103
	v_min_u32_e32 v103, 32, v103
	s_delay_alu instid0(VALU_DEP_1) | instskip(NEXT) | instid1(VALU_DEP_1)
	v_subrev_nc_u32_e32 v114, 28, v103
	v_lshlrev_b64_e32 v[115:116], v114, v[0:1]
	v_sub_nc_u32_e32 v114, 29, v103
	s_delay_alu instid0(VALU_DEP_2)
	v_and_b32_e32 v103, 7, v115
; %bb.1600:                             ;   in Loop: Header=BB281_1059 Depth=1
	s_wait_alu 0xfffe
	s_or_b32 exec_lo, exec_lo, s16
	v_lshlrev_b32_e32 v0, 8, v113
	v_lshl_add_u32 v113, v114, 10, 0x2000
	v_lshlrev_b32_e32 v103, 23, v103
	s_delay_alu instid0(VALU_DEP_2) | instskip(NEXT) | instid1(VALU_DEP_1)
	v_and_or_b32 v0, 0x8000, v0, v113
	v_lshl_or_b32 v103, v0, 16, v103
.LBB281_1601:                           ;   in Loop: Header=BB281_1059 Depth=1
	s_wait_alu 0xfffe
	s_or_b32 exec_lo, exec_lo, s15
.LBB281_1602:                           ;   in Loop: Header=BB281_1059 Depth=1
	s_wait_alu 0xfffe
	s_or_b32 exec_lo, exec_lo, s14
.LBB281_1603:                           ;   in Loop: Header=BB281_1059 Depth=1
	s_wait_alu 0xfffe
	s_or_b32 exec_lo, exec_lo, s9
	v_lshrrev_b32_e32 v0, 16, v10
	v_mov_b32_e32 v113, 0
	s_mov_b32 s9, exec_lo
	s_delay_alu instid0(VALU_DEP_2) | instskip(NEXT) | instid1(VALU_DEP_1)
	v_dual_mov_b32 v114, 0 :: v_dual_and_b32 v115, 0xff, v0
	v_cmpx_ne_u16_e32 0, v115
	s_cbranch_execz .LBB281_1611
; %bb.1604:                             ;   in Loop: Header=BB281_1059 Depth=1
	v_mov_b32_e32 v114, 0x8000
	s_mov_b32 s14, exec_lo
	v_cmpx_ne_u16_e32 0x80, v115
	s_cbranch_execz .LBB281_1610
; %bb.1605:                             ;   in Loop: Header=BB281_1059 Depth=1
	v_bfe_u32 v116, v10, 16, 7
	v_mov_b32_e32 v114, 0x7c01
	s_mov_b32 s15, exec_lo
	s_delay_alu instid0(VALU_DEP_2)
	v_cmpx_ne_u32_e32 0x7f, v116
	s_cbranch_execz .LBB281_1609
; %bb.1606:                             ;   in Loop: Header=BB281_1059 Depth=1
	v_and_b32_e32 v114, 7, v0
	v_lshrrev_b32_e32 v115, 3, v116
	s_mov_b32 s16, exec_lo
	v_cmpx_gt_u32_e32 8, v116
; %bb.1607:                             ;   in Loop: Header=BB281_1059 Depth=1
	s_delay_alu instid0(VALU_DEP_3) | instskip(NEXT) | instid1(VALU_DEP_1)
	v_clz_i32_u32_e32 v114, v114
	v_min_u32_e32 v116, 32, v114
	s_delay_alu instid0(VALU_DEP_1) | instskip(NEXT) | instid1(VALU_DEP_1)
	v_subrev_nc_u32_e32 v114, 28, v116
	v_lshlrev_b64_e32 v[114:115], v114, v[0:1]
	v_sub_nc_u32_e32 v115, 29, v116
	s_delay_alu instid0(VALU_DEP_2)
	v_and_b32_e32 v114, 7, v114
; %bb.1608:                             ;   in Loop: Header=BB281_1059 Depth=1
	s_wait_alu 0xfffe
	s_or_b32 exec_lo, exec_lo, s16
	v_lshlrev_b32_e32 v0, 8, v0
	v_lshl_add_u32 v115, v115, 10, 0x2000
	v_lshlrev_b32_e32 v114, 7, v114
	s_delay_alu instid0(VALU_DEP_3) | instskip(NEXT) | instid1(VALU_DEP_3)
	v_and_b32_e32 v0, 0x8000, v0
	v_and_b32_e32 v115, 0xfc00, v115
	s_delay_alu instid0(VALU_DEP_1)
	v_or3_b32 v114, v0, v115, v114
.LBB281_1609:                           ;   in Loop: Header=BB281_1059 Depth=1
	s_wait_alu 0xfffe
	s_or_b32 exec_lo, exec_lo, s15
.LBB281_1610:                           ;   in Loop: Header=BB281_1059 Depth=1
	s_wait_alu 0xfffe
	s_or_b32 exec_lo, exec_lo, s14
.LBB281_1611:                           ;   in Loop: Header=BB281_1059 Depth=1
	s_wait_alu 0xfffe
	s_or_b32 exec_lo, exec_lo, s9
	s_delay_alu instid0(SALU_CYCLE_1)
	s_mov_b32 s9, exec_lo
	v_cmpx_lt_u32_e32 0xffffff, v10
	s_cbranch_execz .LBB281_1619
; %bb.1612:                             ;   in Loop: Header=BB281_1059 Depth=1
	v_lshrrev_b32_e32 v0, 24, v10
	v_bfrev_b32_e32 v113, 1
	s_mov_b32 s14, exec_lo
	s_delay_alu instid0(VALU_DEP_2)
	v_cmpx_ne_u32_e32 0x80, v0
	s_cbranch_execz .LBB281_1618
; %bb.1613:                             ;   in Loop: Header=BB281_1059 Depth=1
	v_and_b32_e32 v116, 0x7f, v0
	v_mov_b32_e32 v113, 0x7c010000
	s_mov_b32 s15, exec_lo
	s_delay_alu instid0(VALU_DEP_2)
	v_cmpx_ne_u32_e32 0x7f, v116
	s_cbranch_execz .LBB281_1617
; %bb.1614:                             ;   in Loop: Header=BB281_1059 Depth=1
	v_and_b32_e32 v113, 7, v0
	v_lshrrev_b32_e32 v115, 3, v116
	s_mov_b32 s16, exec_lo
	v_cmpx_gt_u32_e32 8, v116
; %bb.1615:                             ;   in Loop: Header=BB281_1059 Depth=1
	s_delay_alu instid0(VALU_DEP_3) | instskip(NEXT) | instid1(VALU_DEP_1)
	v_clz_i32_u32_e32 v113, v113
	v_min_u32_e32 v113, 32, v113
	s_delay_alu instid0(VALU_DEP_1) | instskip(NEXT) | instid1(VALU_DEP_1)
	v_subrev_nc_u32_e32 v115, 28, v113
	v_lshlrev_b64_e32 v[116:117], v115, v[0:1]
	v_sub_nc_u32_e32 v115, 29, v113
	s_delay_alu instid0(VALU_DEP_2)
	v_and_b32_e32 v113, 7, v116
; %bb.1616:                             ;   in Loop: Header=BB281_1059 Depth=1
	s_wait_alu 0xfffe
	s_or_b32 exec_lo, exec_lo, s16
	v_lshlrev_b32_e32 v0, 8, v0
	v_lshl_add_u32 v115, v115, 10, 0x2000
	v_lshlrev_b32_e32 v113, 23, v113
	s_delay_alu instid0(VALU_DEP_2) | instskip(NEXT) | instid1(VALU_DEP_1)
	v_and_or_b32 v0, 0x8000, v0, v115
	v_lshl_or_b32 v113, v0, 16, v113
.LBB281_1617:                           ;   in Loop: Header=BB281_1059 Depth=1
	s_wait_alu 0xfffe
	s_or_b32 exec_lo, exec_lo, s15
.LBB281_1618:                           ;   in Loop: Header=BB281_1059 Depth=1
	s_wait_alu 0xfffe
	s_or_b32 exec_lo, exec_lo, s14
.LBB281_1619:                           ;   in Loop: Header=BB281_1059 Depth=1
	s_wait_alu 0xfffe
	s_or_b32 exec_lo, exec_lo, s9
	v_dual_mov_b32 v0, v11 :: v_dual_and_b32 v117, 0xff, v11
	v_dual_mov_b32 v115, 0 :: v_dual_mov_b32 v116, 0
	s_mov_b32 s9, exec_lo
	s_delay_alu instid0(VALU_DEP_2)
	v_cmpx_ne_u16_e32 0, v117
	s_cbranch_execz .LBB281_1627
; %bb.1620:                             ;   in Loop: Header=BB281_1059 Depth=1
	v_mov_b32_e32 v116, 0x8000
	s_mov_b32 s14, exec_lo
	v_cmpx_ne_u16_e32 0x80, v117
	s_cbranch_execz .LBB281_1626
; %bb.1621:                             ;   in Loop: Header=BB281_1059 Depth=1
	v_and_b32_e32 v118, 0x7f, v11
	v_mov_b32_e32 v116, 0x7c01
	s_mov_b32 s15, exec_lo
	s_delay_alu instid0(VALU_DEP_2)
	v_cmpx_ne_u32_e32 0x7f, v118
	s_cbranch_execz .LBB281_1625
; %bb.1622:                             ;   in Loop: Header=BB281_1059 Depth=1
	v_and_b32_e32 v116, 7, v11
	v_lshrrev_b32_e32 v117, 3, v118
	s_mov_b32 s16, exec_lo
	v_cmpx_gt_u32_e32 8, v118
; %bb.1623:                             ;   in Loop: Header=BB281_1059 Depth=1
	s_delay_alu instid0(VALU_DEP_3) | instskip(NEXT) | instid1(VALU_DEP_1)
	v_clz_i32_u32_e32 v116, v116
	v_min_u32_e32 v118, 32, v116
	s_delay_alu instid0(VALU_DEP_1) | instskip(NEXT) | instid1(VALU_DEP_1)
	v_subrev_nc_u32_e32 v116, 28, v118
	v_lshlrev_b64_e32 v[116:117], v116, v[0:1]
	v_sub_nc_u32_e32 v117, 29, v118
	s_delay_alu instid0(VALU_DEP_2)
	v_and_b32_e32 v116, 7, v116
; %bb.1624:                             ;   in Loop: Header=BB281_1059 Depth=1
	s_wait_alu 0xfffe
	s_or_b32 exec_lo, exec_lo, s16
	v_lshlrev_b32_e32 v118, 8, v11
	v_lshl_add_u32 v117, v117, 10, 0x2000
	v_lshlrev_b32_e32 v116, 7, v116
	s_delay_alu instid0(VALU_DEP_3) | instskip(NEXT) | instid1(VALU_DEP_3)
	v_and_b32_e32 v118, 0x8000, v118
	v_and_b32_e32 v117, 0xfc00, v117
	s_delay_alu instid0(VALU_DEP_1)
	v_or3_b32 v116, v118, v117, v116
.LBB281_1625:                           ;   in Loop: Header=BB281_1059 Depth=1
	s_wait_alu 0xfffe
	s_or_b32 exec_lo, exec_lo, s15
.LBB281_1626:                           ;   in Loop: Header=BB281_1059 Depth=1
	s_wait_alu 0xfffe
	s_or_b32 exec_lo, exec_lo, s14
.LBB281_1627:                           ;   in Loop: Header=BB281_1059 Depth=1
	s_wait_alu 0xfffe
	s_or_b32 exec_lo, exec_lo, s9
	v_lshrrev_b16 v0, 8, v0
	v_mov_b32_e32 v117, 0
	s_mov_b32 s9, exec_lo
	s_delay_alu instid0(VALU_DEP_2)
	v_cmpx_ne_u16_e32 0, v0
	s_cbranch_execz .LBB281_1635
; %bb.1628:                             ;   in Loop: Header=BB281_1059 Depth=1
	v_bfrev_b32_e32 v117, 1
	s_mov_b32 s14, exec_lo
	v_cmpx_ne_u16_e32 0x80, v0
	s_cbranch_execz .LBB281_1634
; %bb.1629:                             ;   in Loop: Header=BB281_1059 Depth=1
	v_and_b32_e32 v118, 0xffff, v0
	v_mov_b32_e32 v117, 0x7c010000
	s_mov_b32 s15, exec_lo
	s_delay_alu instid0(VALU_DEP_2) | instskip(NEXT) | instid1(VALU_DEP_1)
	v_and_b32_e32 v128, 0x7f, v118
	v_cmpx_ne_u32_e32 0x7f, v128
	s_cbranch_execz .LBB281_1633
; %bb.1630:                             ;   in Loop: Header=BB281_1059 Depth=1
	v_and_b32_e32 v117, 7, v118
	v_lshrrev_b32_e32 v119, 3, v128
	s_mov_b32 s16, exec_lo
	v_cmpx_gt_u32_e32 8, v128
; %bb.1631:                             ;   in Loop: Header=BB281_1059 Depth=1
	s_delay_alu instid0(VALU_DEP_3) | instskip(NEXT) | instid1(VALU_DEP_1)
	v_clz_i32_u32_e32 v117, v117
	v_min_u32_e32 v117, 32, v117
	s_delay_alu instid0(VALU_DEP_1) | instskip(NEXT) | instid1(VALU_DEP_1)
	v_subrev_nc_u32_e32 v119, 28, v117
	v_lshlrev_b64_e32 v[128:129], v119, v[0:1]
	v_sub_nc_u32_e32 v119, 29, v117
	s_delay_alu instid0(VALU_DEP_2)
	v_and_b32_e32 v117, 7, v128
; %bb.1632:                             ;   in Loop: Header=BB281_1059 Depth=1
	s_wait_alu 0xfffe
	s_or_b32 exec_lo, exec_lo, s16
	v_lshlrev_b32_e32 v0, 8, v118
	v_lshl_add_u32 v118, v119, 10, 0x2000
	v_lshlrev_b32_e32 v117, 23, v117
	s_delay_alu instid0(VALU_DEP_2) | instskip(NEXT) | instid1(VALU_DEP_1)
	v_and_or_b32 v0, 0x8000, v0, v118
	v_lshl_or_b32 v117, v0, 16, v117
.LBB281_1633:                           ;   in Loop: Header=BB281_1059 Depth=1
	s_wait_alu 0xfffe
	s_or_b32 exec_lo, exec_lo, s15
.LBB281_1634:                           ;   in Loop: Header=BB281_1059 Depth=1
	s_wait_alu 0xfffe
	s_or_b32 exec_lo, exec_lo, s14
.LBB281_1635:                           ;   in Loop: Header=BB281_1059 Depth=1
	s_wait_alu 0xfffe
	s_or_b32 exec_lo, exec_lo, s9
	v_lshrrev_b32_e32 v0, 16, v11
	s_mov_b32 s9, exec_lo
	s_delay_alu instid0(VALU_DEP_1) | instskip(NEXT) | instid1(VALU_DEP_1)
	v_and_b32_e32 v118, 0xff, v0
	v_cmpx_ne_u16_e32 0, v118
	s_cbranch_execz .LBB281_1643
; %bb.1636:                             ;   in Loop: Header=BB281_1059 Depth=1
	v_mov_b32_e32 v115, 0x8000
	s_mov_b32 s14, exec_lo
	v_cmpx_ne_u16_e32 0x80, v118
	s_cbranch_execz .LBB281_1642
; %bb.1637:                             ;   in Loop: Header=BB281_1059 Depth=1
	v_bfe_u32 v119, v11, 16, 7
	v_mov_b32_e32 v115, 0x7c01
	s_mov_b32 s15, exec_lo
	s_delay_alu instid0(VALU_DEP_2)
	v_cmpx_ne_u32_e32 0x7f, v119
	s_cbranch_execz .LBB281_1641
; %bb.1638:                             ;   in Loop: Header=BB281_1059 Depth=1
	v_and_b32_e32 v115, 7, v0
	v_lshrrev_b32_e32 v118, 3, v119
	s_mov_b32 s16, exec_lo
	v_cmpx_gt_u32_e32 8, v119
; %bb.1639:                             ;   in Loop: Header=BB281_1059 Depth=1
	s_delay_alu instid0(VALU_DEP_3) | instskip(NEXT) | instid1(VALU_DEP_1)
	v_clz_i32_u32_e32 v115, v115
	v_min_u32_e32 v115, 32, v115
	s_delay_alu instid0(VALU_DEP_1) | instskip(NEXT) | instid1(VALU_DEP_1)
	v_subrev_nc_u32_e32 v118, 28, v115
	v_lshlrev_b64_e32 v[128:129], v118, v[0:1]
	v_sub_nc_u32_e32 v118, 29, v115
	s_delay_alu instid0(VALU_DEP_2)
	v_and_b32_e32 v115, 7, v128
; %bb.1640:                             ;   in Loop: Header=BB281_1059 Depth=1
	s_wait_alu 0xfffe
	s_or_b32 exec_lo, exec_lo, s16
	v_lshlrev_b32_e32 v0, 8, v0
	v_lshl_add_u32 v118, v118, 10, 0x2000
	v_lshlrev_b32_e32 v115, 7, v115
	s_delay_alu instid0(VALU_DEP_3) | instskip(NEXT) | instid1(VALU_DEP_3)
	v_and_b32_e32 v0, 0x8000, v0
	v_and_b32_e32 v118, 0xfc00, v118
	s_delay_alu instid0(VALU_DEP_1)
	v_or3_b32 v115, v0, v118, v115
.LBB281_1641:                           ;   in Loop: Header=BB281_1059 Depth=1
	s_wait_alu 0xfffe
	s_or_b32 exec_lo, exec_lo, s15
.LBB281_1642:                           ;   in Loop: Header=BB281_1059 Depth=1
	s_wait_alu 0xfffe
	s_or_b32 exec_lo, exec_lo, s14
.LBB281_1643:                           ;   in Loop: Header=BB281_1059 Depth=1
	s_wait_alu 0xfffe
	s_or_b32 exec_lo, exec_lo, s9
	v_cmp_lt_u64_e64 s1, s[4:5], v[10:11]
	v_mov_b32_e32 v10, 0
	s_and_saveexec_b32 s9, s1
	s_cbranch_execz .LBB281_1651
; %bb.1644:                             ;   in Loop: Header=BB281_1059 Depth=1
	v_lshrrev_b32_e32 v0, 24, v11
	v_bfrev_b32_e32 v10, 1
	s_mov_b32 s14, exec_lo
	s_delay_alu instid0(VALU_DEP_2)
	v_cmpx_ne_u32_e32 0x80, v0
	s_cbranch_execz .LBB281_1650
; %bb.1645:                             ;   in Loop: Header=BB281_1059 Depth=1
	v_and_b32_e32 v118, 0x7f, v0
	v_mov_b32_e32 v10, 0x7c010000
	s_mov_b32 s15, exec_lo
	s_delay_alu instid0(VALU_DEP_2)
	v_cmpx_ne_u32_e32 0x7f, v118
	s_cbranch_execz .LBB281_1649
; %bb.1646:                             ;   in Loop: Header=BB281_1059 Depth=1
	v_and_b32_e32 v10, 7, v0
	v_lshrrev_b32_e32 v11, 3, v118
	s_mov_b32 s16, exec_lo
	v_cmpx_gt_u32_e32 8, v118
; %bb.1647:                             ;   in Loop: Header=BB281_1059 Depth=1
	s_delay_alu instid0(VALU_DEP_3) | instskip(NEXT) | instid1(VALU_DEP_1)
	v_clz_i32_u32_e32 v10, v10
	v_min_u32_e32 v118, 32, v10
	s_delay_alu instid0(VALU_DEP_1) | instskip(NEXT) | instid1(VALU_DEP_1)
	v_subrev_nc_u32_e32 v10, 28, v118
	v_lshlrev_b64_e32 v[10:11], v10, v[0:1]
	v_sub_nc_u32_e32 v11, 29, v118
	s_delay_alu instid0(VALU_DEP_2)
	v_and_b32_e32 v10, 7, v10
; %bb.1648:                             ;   in Loop: Header=BB281_1059 Depth=1
	s_wait_alu 0xfffe
	s_or_b32 exec_lo, exec_lo, s16
	v_lshlrev_b32_e32 v0, 8, v0
	v_lshl_add_u32 v11, v11, 10, 0x2000
	v_lshlrev_b32_e32 v10, 23, v10
	s_delay_alu instid0(VALU_DEP_2) | instskip(NEXT) | instid1(VALU_DEP_1)
	v_and_or_b32 v0, 0x8000, v0, v11
	v_lshl_or_b32 v10, v0, 16, v10
.LBB281_1649:                           ;   in Loop: Header=BB281_1059 Depth=1
	s_wait_alu 0xfffe
	s_or_b32 exec_lo, exec_lo, s15
.LBB281_1650:                           ;   in Loop: Header=BB281_1059 Depth=1
	s_wait_alu 0xfffe
	s_or_b32 exec_lo, exec_lo, s14
.LBB281_1651:                           ;   in Loop: Header=BB281_1059 Depth=1
	s_wait_alu 0xfffe
	s_or_b32 exec_lo, exec_lo, s9
	v_or_b32_e32 v0, v113, v114
	s_wait_loadcnt_dscnt 0x0
	v_fma_mixlo_f16 v11, v102, v113, 0 op_sel:[0,1,0] op_sel_hi:[0,1,0]
	v_or_b32_e32 v113, v103, v112
	v_fma_mixlo_f16 v103, v102, v103, 0 op_sel:[0,1,0] op_sel_hi:[0,1,0]
	v_or_b32_e32 v114, v117, v116
	v_or_b32_e32 v115, v10, v115
	v_fma_mixlo_f16 v116, v102, v0, 0 op_sel_hi:[0,1,0]
	v_fma_mixlo_f16 v10, v102, v10, 0 op_sel:[0,1,0] op_sel_hi:[0,1,0]
	v_lshlrev_b32_e32 v112, 16, v103
	v_fma_mixlo_f16 v103, v102, v113, 0 op_sel_hi:[0,1,0]
	v_fma_mixlo_f16 v113, v102, v117, 0 op_sel:[0,1,0] op_sel_hi:[0,1,0]
	v_fma_mixlo_f16 v114, v102, v114, 0 op_sel_hi:[0,1,0]
	v_fma_mixlo_f16 v115, v102, v115, 0 op_sel_hi:[0,1,0]
	v_lshlrev_b32_e32 v0, 16, v11
	v_and_b32_e32 v11, 0xffff, v116
	v_and_b32_e32 v118, 0xffff, v103
	v_lshlrev_b32_e32 v102, 16, v113
	v_and_b32_e32 v114, 0xffff, v114
	v_lshlrev_b32_e32 v10, 16, v10
	v_and_b32_e32 v103, 0xffff, v115
	v_or_b32_e32 v113, v0, v11
	v_or_b32_e32 v117, v112, v118
	;; [unrolled: 1-line block ×3, first 2 shown]
	s_delay_alu instid0(VALU_DEP_4)
	v_or_b32_e32 v115, v10, v103
	s_and_saveexec_b32 s9, vcc_lo
	s_cbranch_execz .LBB281_1653
; %bb.1652:                             ;   in Loop: Header=BB281_1059 Depth=1
	v_cmp_lt_i32_e64 s1, v23, v32
	s_wait_alu 0xf1ff
	s_delay_alu instid0(VALU_DEP_1) | instskip(SKIP_2) | instid1(VALU_DEP_1)
	v_cndmask_b32_e64 v113, 0, v118, s1
	v_cmp_lt_i32_e64 s1, v71, v32
	s_wait_alu 0xf1ff
	v_cndmask_b32_e64 v112, 0, v112, s1
	v_cmp_lt_i32_e64 s1, v70, v32
	s_delay_alu instid0(VALU_DEP_2) | instskip(SKIP_1) | instid1(VALU_DEP_2)
	v_or_b32_e32 v117, v113, v112
	s_wait_alu 0xf1ff
	v_cndmask_b32_e64 v11, 0, v11, s1
	v_cmp_lt_i32_e64 s1, v69, v32
	s_wait_alu 0xf1ff
	s_delay_alu instid0(VALU_DEP_1) | instskip(SKIP_1) | instid1(VALU_DEP_2)
	v_cndmask_b32_e64 v0, 0, v0, s1
	v_cmp_lt_i32_e64 s1, v68, v32
	v_or_b32_e32 v113, v11, v0
	s_wait_alu 0xf1ff
	s_delay_alu instid0(VALU_DEP_2) | instskip(SKIP_2) | instid1(VALU_DEP_1)
	v_cndmask_b32_e64 v114, 0, v114, s1
	v_cmp_lt_i32_e64 s1, v67, v32
	s_wait_alu 0xf1ff
	v_cndmask_b32_e64 v102, 0, v102, s1
	v_cmp_lt_i32_e64 s1, v66, v32
	s_delay_alu instid0(VALU_DEP_2) | instskip(SKIP_1) | instid1(VALU_DEP_2)
	v_or_b32_e32 v116, v114, v102
	s_wait_alu 0xf1ff
	v_cndmask_b32_e64 v103, 0, v103, s1
	v_cmp_lt_i32_e64 s1, v14, v32
	s_wait_alu 0xf1ff
	s_delay_alu instid0(VALU_DEP_1) | instskip(NEXT) | instid1(VALU_DEP_1)
	v_cndmask_b32_e64 v10, 0, v10, s1
	v_or_b32_e32 v115, v103, v10
.LBB281_1653:                           ;   in Loop: Header=BB281_1059 Depth=1
	s_wait_alu 0xfffe
	s_or_b32 exec_lo, exec_lo, s9
	;;#ASMSTART
	v_pk_mul_f16 v0, v64, v117;

	;;#ASMEND
	;;#ASMSTART
	v_pk_mul_f16 v10, v38, v113;

	;;#ASMEND
	;; [unrolled: 4-line block ×4, first 2 shown]
	;;#ASMSTART
	v_pk_add_f16 v0, v0, v10;

	;;#ASMEND
	;;#ASMSTART
	v_pk_add_f16 v0, v0, v11;

	;;#ASMEND
	;; [unrolled: 4-line block ×3, first 2 shown]
	v_dual_mov_b32 v113, 0 :: v_dual_and_b32 v10, 0xffff, v0
	v_lshrrev_b32_e32 v0, 16, v0
	;;#ASMSTART
	v_cvt_f32_f16 v102, v10;
	;;#ASMEND
	;;#ASMSTART
	v_cvt_f32_f16 v103, v0;
	;;#ASMEND
	flat_load_b64 v[10:11], v[8:9] offset:2304
	flat_load_b32 v112, v[26:27]
	v_mov_b32_e32 v114, 0
	s_mov_b32 s9, exec_lo
	s_wait_loadcnt_dscnt 0x101
	v_and_b32_e32 v0, 0xff, v10
	s_delay_alu instid0(VALU_DEP_1)
	v_cmpx_ne_u16_e32 0, v0
	s_cbranch_execz .LBB281_1661
; %bb.1654:                             ;   in Loop: Header=BB281_1059 Depth=1
	v_mov_b32_e32 v114, 0x8000
	s_mov_b32 s14, exec_lo
	v_cmpx_ne_u16_e32 0x80, v0
	s_cbranch_execz .LBB281_1660
; %bb.1655:                             ;   in Loop: Header=BB281_1059 Depth=1
	v_and_b32_e32 v115, 0x7f, v10
	v_mov_b32_e32 v114, 0x7c01
	s_mov_b32 s15, exec_lo
	s_delay_alu instid0(VALU_DEP_2)
	v_cmpx_ne_u32_e32 0x7f, v115
	s_cbranch_execz .LBB281_1659
; %bb.1656:                             ;   in Loop: Header=BB281_1059 Depth=1
	v_and_b32_e32 v0, 7, v10
	v_lshrrev_b32_e32 v114, 3, v115
	s_mov_b32 s16, exec_lo
	v_cmpx_gt_u32_e32 8, v115
; %bb.1657:                             ;   in Loop: Header=BB281_1059 Depth=1
	s_delay_alu instid0(VALU_DEP_3) | instskip(NEXT) | instid1(VALU_DEP_1)
	v_clz_i32_u32_e32 v0, v0
	v_min_u32_e32 v0, 32, v0
	s_delay_alu instid0(VALU_DEP_1) | instskip(NEXT) | instid1(VALU_DEP_1)
	v_subrev_nc_u32_e32 v114, 28, v0
	v_lshlrev_b64_e32 v[115:116], v114, v[10:11]
	v_sub_nc_u32_e32 v114, 29, v0
	s_delay_alu instid0(VALU_DEP_2)
	v_and_b32_e32 v0, 7, v115
; %bb.1658:                             ;   in Loop: Header=BB281_1059 Depth=1
	s_wait_alu 0xfffe
	s_or_b32 exec_lo, exec_lo, s16
	v_lshlrev_b32_e32 v115, 8, v10
	v_lshl_add_u32 v114, v114, 10, 0x2000
	v_lshlrev_b32_e32 v0, 7, v0
	s_delay_alu instid0(VALU_DEP_3) | instskip(NEXT) | instid1(VALU_DEP_3)
	v_and_b32_e32 v115, 0x8000, v115
	v_and_b32_e32 v114, 0xfc00, v114
	s_delay_alu instid0(VALU_DEP_1)
	v_or3_b32 v114, v115, v114, v0
.LBB281_1659:                           ;   in Loop: Header=BB281_1059 Depth=1
	s_wait_alu 0xfffe
	s_or_b32 exec_lo, exec_lo, s15
.LBB281_1660:                           ;   in Loop: Header=BB281_1059 Depth=1
	s_wait_alu 0xfffe
	s_or_b32 exec_lo, exec_lo, s14
.LBB281_1661:                           ;   in Loop: Header=BB281_1059 Depth=1
	s_wait_alu 0xfffe
	s_or_b32 exec_lo, exec_lo, s9
	v_lshrrev_b16 v0, 8, v10
	s_mov_b32 s9, exec_lo
	s_delay_alu instid0(VALU_DEP_1)
	v_cmpx_ne_u16_e32 0, v0
	s_cbranch_execz .LBB281_1669
; %bb.1662:                             ;   in Loop: Header=BB281_1059 Depth=1
	v_bfrev_b32_e32 v113, 1
	s_mov_b32 s14, exec_lo
	v_cmpx_ne_u16_e32 0x80, v0
	s_cbranch_execz .LBB281_1668
; %bb.1663:                             ;   in Loop: Header=BB281_1059 Depth=1
	v_and_b32_e32 v115, 0xffff, v0
	v_mov_b32_e32 v113, 0x7c010000
	s_mov_b32 s15, exec_lo
	s_delay_alu instid0(VALU_DEP_2) | instskip(NEXT) | instid1(VALU_DEP_1)
	v_and_b32_e32 v117, 0x7f, v115
	v_cmpx_ne_u32_e32 0x7f, v117
	s_cbranch_execz .LBB281_1667
; %bb.1664:                             ;   in Loop: Header=BB281_1059 Depth=1
	v_and_b32_e32 v113, 7, v115
	v_lshrrev_b32_e32 v116, 3, v117
	s_mov_b32 s16, exec_lo
	v_cmpx_gt_u32_e32 8, v117
; %bb.1665:                             ;   in Loop: Header=BB281_1059 Depth=1
	s_delay_alu instid0(VALU_DEP_3) | instskip(NEXT) | instid1(VALU_DEP_1)
	v_clz_i32_u32_e32 v113, v113
	v_min_u32_e32 v113, 32, v113
	s_delay_alu instid0(VALU_DEP_1) | instskip(NEXT) | instid1(VALU_DEP_1)
	v_subrev_nc_u32_e32 v116, 28, v113
	v_lshlrev_b64_e32 v[117:118], v116, v[0:1]
	v_sub_nc_u32_e32 v116, 29, v113
	s_delay_alu instid0(VALU_DEP_2)
	v_and_b32_e32 v113, 7, v117
; %bb.1666:                             ;   in Loop: Header=BB281_1059 Depth=1
	s_wait_alu 0xfffe
	s_or_b32 exec_lo, exec_lo, s16
	v_lshlrev_b32_e32 v0, 8, v115
	v_lshl_add_u32 v115, v116, 10, 0x2000
	v_lshlrev_b32_e32 v113, 23, v113
	s_delay_alu instid0(VALU_DEP_2) | instskip(NEXT) | instid1(VALU_DEP_1)
	v_and_or_b32 v0, 0x8000, v0, v115
	v_lshl_or_b32 v113, v0, 16, v113
.LBB281_1667:                           ;   in Loop: Header=BB281_1059 Depth=1
	s_wait_alu 0xfffe
	s_or_b32 exec_lo, exec_lo, s15
.LBB281_1668:                           ;   in Loop: Header=BB281_1059 Depth=1
	s_wait_alu 0xfffe
	s_or_b32 exec_lo, exec_lo, s14
.LBB281_1669:                           ;   in Loop: Header=BB281_1059 Depth=1
	s_wait_alu 0xfffe
	s_or_b32 exec_lo, exec_lo, s9
	v_lshrrev_b32_e32 v0, 16, v10
	v_mov_b32_e32 v115, 0
	s_mov_b32 s9, exec_lo
	s_delay_alu instid0(VALU_DEP_2) | instskip(NEXT) | instid1(VALU_DEP_1)
	v_dual_mov_b32 v116, 0 :: v_dual_and_b32 v117, 0xff, v0
	v_cmpx_ne_u16_e32 0, v117
	s_cbranch_execz .LBB281_1677
; %bb.1670:                             ;   in Loop: Header=BB281_1059 Depth=1
	v_mov_b32_e32 v116, 0x8000
	s_mov_b32 s14, exec_lo
	v_cmpx_ne_u16_e32 0x80, v117
	s_cbranch_execz .LBB281_1676
; %bb.1671:                             ;   in Loop: Header=BB281_1059 Depth=1
	v_bfe_u32 v118, v10, 16, 7
	v_mov_b32_e32 v116, 0x7c01
	s_mov_b32 s15, exec_lo
	s_delay_alu instid0(VALU_DEP_2)
	v_cmpx_ne_u32_e32 0x7f, v118
	s_cbranch_execz .LBB281_1675
; %bb.1672:                             ;   in Loop: Header=BB281_1059 Depth=1
	v_and_b32_e32 v116, 7, v0
	v_lshrrev_b32_e32 v117, 3, v118
	s_mov_b32 s16, exec_lo
	v_cmpx_gt_u32_e32 8, v118
; %bb.1673:                             ;   in Loop: Header=BB281_1059 Depth=1
	s_delay_alu instid0(VALU_DEP_3) | instskip(NEXT) | instid1(VALU_DEP_1)
	v_clz_i32_u32_e32 v116, v116
	v_min_u32_e32 v118, 32, v116
	s_delay_alu instid0(VALU_DEP_1) | instskip(NEXT) | instid1(VALU_DEP_1)
	v_subrev_nc_u32_e32 v116, 28, v118
	v_lshlrev_b64_e32 v[116:117], v116, v[0:1]
	v_sub_nc_u32_e32 v117, 29, v118
	s_delay_alu instid0(VALU_DEP_2)
	v_and_b32_e32 v116, 7, v116
; %bb.1674:                             ;   in Loop: Header=BB281_1059 Depth=1
	s_wait_alu 0xfffe
	s_or_b32 exec_lo, exec_lo, s16
	v_lshlrev_b32_e32 v0, 8, v0
	v_lshl_add_u32 v117, v117, 10, 0x2000
	v_lshlrev_b32_e32 v116, 7, v116
	s_delay_alu instid0(VALU_DEP_3) | instskip(NEXT) | instid1(VALU_DEP_3)
	v_and_b32_e32 v0, 0x8000, v0
	v_and_b32_e32 v117, 0xfc00, v117
	s_delay_alu instid0(VALU_DEP_1)
	v_or3_b32 v116, v0, v117, v116
.LBB281_1675:                           ;   in Loop: Header=BB281_1059 Depth=1
	s_wait_alu 0xfffe
	s_or_b32 exec_lo, exec_lo, s15
.LBB281_1676:                           ;   in Loop: Header=BB281_1059 Depth=1
	s_wait_alu 0xfffe
	s_or_b32 exec_lo, exec_lo, s14
.LBB281_1677:                           ;   in Loop: Header=BB281_1059 Depth=1
	s_wait_alu 0xfffe
	s_or_b32 exec_lo, exec_lo, s9
	s_delay_alu instid0(SALU_CYCLE_1)
	s_mov_b32 s9, exec_lo
	v_cmpx_lt_u32_e32 0xffffff, v10
	s_cbranch_execz .LBB281_1685
; %bb.1678:                             ;   in Loop: Header=BB281_1059 Depth=1
	v_lshrrev_b32_e32 v0, 24, v10
	v_bfrev_b32_e32 v115, 1
	s_mov_b32 s14, exec_lo
	s_delay_alu instid0(VALU_DEP_2)
	v_cmpx_ne_u32_e32 0x80, v0
	s_cbranch_execz .LBB281_1684
; %bb.1679:                             ;   in Loop: Header=BB281_1059 Depth=1
	v_and_b32_e32 v118, 0x7f, v0
	v_mov_b32_e32 v115, 0x7c010000
	s_mov_b32 s15, exec_lo
	s_delay_alu instid0(VALU_DEP_2)
	v_cmpx_ne_u32_e32 0x7f, v118
	s_cbranch_execz .LBB281_1683
; %bb.1680:                             ;   in Loop: Header=BB281_1059 Depth=1
	v_and_b32_e32 v115, 7, v0
	v_lshrrev_b32_e32 v117, 3, v118
	s_mov_b32 s16, exec_lo
	v_cmpx_gt_u32_e32 8, v118
; %bb.1681:                             ;   in Loop: Header=BB281_1059 Depth=1
	s_delay_alu instid0(VALU_DEP_3) | instskip(NEXT) | instid1(VALU_DEP_1)
	v_clz_i32_u32_e32 v115, v115
	v_min_u32_e32 v115, 32, v115
	s_delay_alu instid0(VALU_DEP_1) | instskip(NEXT) | instid1(VALU_DEP_1)
	v_subrev_nc_u32_e32 v117, 28, v115
	v_lshlrev_b64_e32 v[118:119], v117, v[0:1]
	v_sub_nc_u32_e32 v117, 29, v115
	s_delay_alu instid0(VALU_DEP_2)
	v_and_b32_e32 v115, 7, v118
; %bb.1682:                             ;   in Loop: Header=BB281_1059 Depth=1
	s_wait_alu 0xfffe
	s_or_b32 exec_lo, exec_lo, s16
	v_lshlrev_b32_e32 v0, 8, v0
	v_lshl_add_u32 v117, v117, 10, 0x2000
	v_lshlrev_b32_e32 v115, 23, v115
	s_delay_alu instid0(VALU_DEP_2) | instskip(NEXT) | instid1(VALU_DEP_1)
	v_and_or_b32 v0, 0x8000, v0, v117
	v_lshl_or_b32 v115, v0, 16, v115
.LBB281_1683:                           ;   in Loop: Header=BB281_1059 Depth=1
	s_wait_alu 0xfffe
	s_or_b32 exec_lo, exec_lo, s15
.LBB281_1684:                           ;   in Loop: Header=BB281_1059 Depth=1
	s_wait_alu 0xfffe
	s_or_b32 exec_lo, exec_lo, s14
.LBB281_1685:                           ;   in Loop: Header=BB281_1059 Depth=1
	s_wait_alu 0xfffe
	s_or_b32 exec_lo, exec_lo, s9
	v_dual_mov_b32 v0, v11 :: v_dual_and_b32 v119, 0xff, v11
	v_dual_mov_b32 v117, 0 :: v_dual_mov_b32 v118, 0
	s_mov_b32 s9, exec_lo
	s_delay_alu instid0(VALU_DEP_2)
	v_cmpx_ne_u16_e32 0, v119
	s_cbranch_execz .LBB281_1693
; %bb.1686:                             ;   in Loop: Header=BB281_1059 Depth=1
	v_mov_b32_e32 v118, 0x8000
	s_mov_b32 s14, exec_lo
	v_cmpx_ne_u16_e32 0x80, v119
	s_cbranch_execz .LBB281_1692
; %bb.1687:                             ;   in Loop: Header=BB281_1059 Depth=1
	v_and_b32_e32 v128, 0x7f, v11
	v_mov_b32_e32 v118, 0x7c01
	s_mov_b32 s15, exec_lo
	s_delay_alu instid0(VALU_DEP_2)
	v_cmpx_ne_u32_e32 0x7f, v128
	s_cbranch_execz .LBB281_1691
; %bb.1688:                             ;   in Loop: Header=BB281_1059 Depth=1
	v_and_b32_e32 v118, 7, v11
	v_lshrrev_b32_e32 v119, 3, v128
	s_mov_b32 s16, exec_lo
	v_cmpx_gt_u32_e32 8, v128
; %bb.1689:                             ;   in Loop: Header=BB281_1059 Depth=1
	s_delay_alu instid0(VALU_DEP_3) | instskip(NEXT) | instid1(VALU_DEP_1)
	v_clz_i32_u32_e32 v118, v118
	v_min_u32_e32 v128, 32, v118
	s_delay_alu instid0(VALU_DEP_1) | instskip(NEXT) | instid1(VALU_DEP_1)
	v_subrev_nc_u32_e32 v118, 28, v128
	v_lshlrev_b64_e32 v[118:119], v118, v[0:1]
	v_sub_nc_u32_e32 v119, 29, v128
	s_delay_alu instid0(VALU_DEP_2)
	v_and_b32_e32 v118, 7, v118
; %bb.1690:                             ;   in Loop: Header=BB281_1059 Depth=1
	s_wait_alu 0xfffe
	s_or_b32 exec_lo, exec_lo, s16
	v_lshlrev_b32_e32 v128, 8, v11
	v_lshl_add_u32 v119, v119, 10, 0x2000
	v_lshlrev_b32_e32 v118, 7, v118
	s_delay_alu instid0(VALU_DEP_3) | instskip(NEXT) | instid1(VALU_DEP_3)
	v_and_b32_e32 v128, 0x8000, v128
	v_and_b32_e32 v119, 0xfc00, v119
	s_delay_alu instid0(VALU_DEP_1)
	v_or3_b32 v118, v128, v119, v118
.LBB281_1691:                           ;   in Loop: Header=BB281_1059 Depth=1
	s_wait_alu 0xfffe
	s_or_b32 exec_lo, exec_lo, s15
.LBB281_1692:                           ;   in Loop: Header=BB281_1059 Depth=1
	s_wait_alu 0xfffe
	s_or_b32 exec_lo, exec_lo, s14
.LBB281_1693:                           ;   in Loop: Header=BB281_1059 Depth=1
	s_wait_alu 0xfffe
	s_or_b32 exec_lo, exec_lo, s9
	v_lshrrev_b16 v0, 8, v0
	v_mov_b32_e32 v119, 0
	s_mov_b32 s9, exec_lo
	s_delay_alu instid0(VALU_DEP_2)
	v_cmpx_ne_u16_e32 0, v0
	s_cbranch_execz .LBB281_1701
; %bb.1694:                             ;   in Loop: Header=BB281_1059 Depth=1
	v_bfrev_b32_e32 v119, 1
	s_mov_b32 s14, exec_lo
	v_cmpx_ne_u16_e32 0x80, v0
	s_cbranch_execz .LBB281_1700
; %bb.1695:                             ;   in Loop: Header=BB281_1059 Depth=1
	v_and_b32_e32 v128, 0xffff, v0
	v_mov_b32_e32 v119, 0x7c010000
	s_mov_b32 s15, exec_lo
	s_delay_alu instid0(VALU_DEP_2) | instskip(NEXT) | instid1(VALU_DEP_1)
	v_and_b32_e32 v130, 0x7f, v128
	v_cmpx_ne_u32_e32 0x7f, v130
	s_cbranch_execz .LBB281_1699
; %bb.1696:                             ;   in Loop: Header=BB281_1059 Depth=1
	v_and_b32_e32 v119, 7, v128
	v_lshrrev_b32_e32 v129, 3, v130
	s_mov_b32 s16, exec_lo
	v_cmpx_gt_u32_e32 8, v130
; %bb.1697:                             ;   in Loop: Header=BB281_1059 Depth=1
	s_delay_alu instid0(VALU_DEP_3) | instskip(NEXT) | instid1(VALU_DEP_1)
	v_clz_i32_u32_e32 v119, v119
	v_min_u32_e32 v119, 32, v119
	s_delay_alu instid0(VALU_DEP_1) | instskip(NEXT) | instid1(VALU_DEP_1)
	v_subrev_nc_u32_e32 v129, 28, v119
	v_lshlrev_b64_e32 v[130:131], v129, v[0:1]
	v_sub_nc_u32_e32 v129, 29, v119
	s_delay_alu instid0(VALU_DEP_2)
	v_and_b32_e32 v119, 7, v130
; %bb.1698:                             ;   in Loop: Header=BB281_1059 Depth=1
	s_wait_alu 0xfffe
	s_or_b32 exec_lo, exec_lo, s16
	v_lshlrev_b32_e32 v0, 8, v128
	v_lshl_add_u32 v128, v129, 10, 0x2000
	v_lshlrev_b32_e32 v119, 23, v119
	s_delay_alu instid0(VALU_DEP_2) | instskip(NEXT) | instid1(VALU_DEP_1)
	v_and_or_b32 v0, 0x8000, v0, v128
	v_lshl_or_b32 v119, v0, 16, v119
.LBB281_1699:                           ;   in Loop: Header=BB281_1059 Depth=1
	s_wait_alu 0xfffe
	s_or_b32 exec_lo, exec_lo, s15
.LBB281_1700:                           ;   in Loop: Header=BB281_1059 Depth=1
	s_wait_alu 0xfffe
	s_or_b32 exec_lo, exec_lo, s14
.LBB281_1701:                           ;   in Loop: Header=BB281_1059 Depth=1
	s_wait_alu 0xfffe
	s_or_b32 exec_lo, exec_lo, s9
	v_lshrrev_b32_e32 v0, 16, v11
	s_mov_b32 s9, exec_lo
	s_delay_alu instid0(VALU_DEP_1) | instskip(NEXT) | instid1(VALU_DEP_1)
	v_and_b32_e32 v128, 0xff, v0
	v_cmpx_ne_u16_e64 0, v128
	s_cbranch_execz .LBB281_1709
; %bb.1702:                             ;   in Loop: Header=BB281_1059 Depth=1
	v_mov_b32_e32 v117, 0x8000
	s_mov_b32 s14, exec_lo
	v_cmpx_ne_u16_e64 0x80, v128
	s_cbranch_execz .LBB281_1708
; %bb.1703:                             ;   in Loop: Header=BB281_1059 Depth=1
	v_bfe_u32 v129, v11, 16, 7
	v_mov_b32_e32 v117, 0x7c01
	s_mov_b32 s15, exec_lo
	s_delay_alu instid0(VALU_DEP_2)
	v_cmpx_ne_u32_e32 0x7f, v129
	s_cbranch_execz .LBB281_1707
; %bb.1704:                             ;   in Loop: Header=BB281_1059 Depth=1
	v_and_b32_e32 v117, 7, v0
	v_lshrrev_b32_e32 v128, 3, v129
	s_mov_b32 s16, exec_lo
	v_cmpx_gt_u32_e32 8, v129
; %bb.1705:                             ;   in Loop: Header=BB281_1059 Depth=1
	s_delay_alu instid0(VALU_DEP_3) | instskip(NEXT) | instid1(VALU_DEP_1)
	v_clz_i32_u32_e32 v117, v117
	v_min_u32_e32 v117, 32, v117
	s_delay_alu instid0(VALU_DEP_1) | instskip(NEXT) | instid1(VALU_DEP_1)
	v_subrev_nc_u32_e32 v128, 28, v117
	v_lshlrev_b64_e32 v[129:130], v128, v[0:1]
	v_sub_nc_u32_e32 v128, 29, v117
	s_delay_alu instid0(VALU_DEP_2)
	v_and_b32_e32 v117, 7, v129
; %bb.1706:                             ;   in Loop: Header=BB281_1059 Depth=1
	s_wait_alu 0xfffe
	s_or_b32 exec_lo, exec_lo, s16
	v_lshlrev_b32_e32 v0, 8, v0
	v_lshl_add_u32 v128, v128, 10, 0x2000
	v_lshlrev_b32_e32 v117, 7, v117
	s_delay_alu instid0(VALU_DEP_3) | instskip(NEXT) | instid1(VALU_DEP_3)
	v_and_b32_e32 v0, 0x8000, v0
	v_and_b32_e32 v128, 0xfc00, v128
	s_delay_alu instid0(VALU_DEP_1)
	v_or3_b32 v117, v0, v128, v117
.LBB281_1707:                           ;   in Loop: Header=BB281_1059 Depth=1
	s_wait_alu 0xfffe
	s_or_b32 exec_lo, exec_lo, s15
.LBB281_1708:                           ;   in Loop: Header=BB281_1059 Depth=1
	s_wait_alu 0xfffe
	s_or_b32 exec_lo, exec_lo, s14
.LBB281_1709:                           ;   in Loop: Header=BB281_1059 Depth=1
	s_wait_alu 0xfffe
	s_or_b32 exec_lo, exec_lo, s9
	v_cmp_lt_u64_e64 s1, s[4:5], v[10:11]
	v_mov_b32_e32 v10, 0
	s_and_saveexec_b32 s9, s1
	s_cbranch_execz .LBB281_1717
; %bb.1710:                             ;   in Loop: Header=BB281_1059 Depth=1
	v_lshrrev_b32_e32 v0, 24, v11
	v_bfrev_b32_e32 v10, 1
	s_mov_b32 s14, exec_lo
	s_delay_alu instid0(VALU_DEP_2)
	v_cmpx_ne_u32_e32 0x80, v0
	s_cbranch_execz .LBB281_1716
; %bb.1711:                             ;   in Loop: Header=BB281_1059 Depth=1
	v_and_b32_e32 v128, 0x7f, v0
	v_mov_b32_e32 v10, 0x7c010000
	s_mov_b32 s15, exec_lo
	s_delay_alu instid0(VALU_DEP_2)
	v_cmpx_ne_u32_e32 0x7f, v128
	s_cbranch_execz .LBB281_1715
; %bb.1712:                             ;   in Loop: Header=BB281_1059 Depth=1
	v_and_b32_e32 v10, 7, v0
	v_lshrrev_b32_e32 v11, 3, v128
	s_mov_b32 s16, exec_lo
	v_cmpx_gt_u32_e32 8, v128
; %bb.1713:                             ;   in Loop: Header=BB281_1059 Depth=1
	s_delay_alu instid0(VALU_DEP_3) | instskip(NEXT) | instid1(VALU_DEP_1)
	v_clz_i32_u32_e32 v10, v10
	v_min_u32_e32 v128, 32, v10
	s_delay_alu instid0(VALU_DEP_1) | instskip(NEXT) | instid1(VALU_DEP_1)
	v_subrev_nc_u32_e32 v10, 28, v128
	v_lshlrev_b64_e32 v[10:11], v10, v[0:1]
	v_sub_nc_u32_e32 v11, 29, v128
	s_delay_alu instid0(VALU_DEP_2)
	v_and_b32_e32 v10, 7, v10
; %bb.1714:                             ;   in Loop: Header=BB281_1059 Depth=1
	s_wait_alu 0xfffe
	s_or_b32 exec_lo, exec_lo, s16
	v_lshlrev_b32_e32 v0, 8, v0
	v_lshl_add_u32 v11, v11, 10, 0x2000
	v_lshlrev_b32_e32 v10, 23, v10
	s_delay_alu instid0(VALU_DEP_2) | instskip(NEXT) | instid1(VALU_DEP_1)
	v_and_or_b32 v0, 0x8000, v0, v11
	v_lshl_or_b32 v10, v0, 16, v10
.LBB281_1715:                           ;   in Loop: Header=BB281_1059 Depth=1
	s_wait_alu 0xfffe
	s_or_b32 exec_lo, exec_lo, s15
.LBB281_1716:                           ;   in Loop: Header=BB281_1059 Depth=1
	s_wait_alu 0xfffe
	s_or_b32 exec_lo, exec_lo, s14
.LBB281_1717:                           ;   in Loop: Header=BB281_1059 Depth=1
	s_wait_alu 0xfffe
	s_or_b32 exec_lo, exec_lo, s9
	v_or_b32_e32 v0, v115, v116
	s_wait_loadcnt_dscnt 0x0
	v_fma_mixlo_f16 v11, v112, v115, 0 op_sel:[0,1,0] op_sel_hi:[0,1,0]
	v_or_b32_e32 v115, v113, v114
	v_fma_mixlo_f16 v113, v112, v113, 0 op_sel:[0,1,0] op_sel_hi:[0,1,0]
	v_or_b32_e32 v116, v119, v118
	v_or_b32_e32 v117, v10, v117
	v_fma_mixlo_f16 v118, v112, v0, 0 op_sel_hi:[0,1,0]
	v_fma_mixlo_f16 v10, v112, v10, 0 op_sel:[0,1,0] op_sel_hi:[0,1,0]
	v_lshlrev_b32_e32 v114, 16, v113
	v_fma_mixlo_f16 v113, v112, v115, 0 op_sel_hi:[0,1,0]
	v_fma_mixlo_f16 v115, v112, v119, 0 op_sel:[0,1,0] op_sel_hi:[0,1,0]
	v_fma_mixlo_f16 v116, v112, v116, 0 op_sel_hi:[0,1,0]
	v_fma_mixlo_f16 v117, v112, v117, 0 op_sel_hi:[0,1,0]
	v_lshlrev_b32_e32 v0, 16, v11
	v_and_b32_e32 v11, 0xffff, v118
	v_and_b32_e32 v128, 0xffff, v113
	v_lshlrev_b32_e32 v112, 16, v115
	v_and_b32_e32 v116, 0xffff, v116
	v_lshlrev_b32_e32 v10, 16, v10
	v_and_b32_e32 v113, 0xffff, v117
	v_or_b32_e32 v115, v0, v11
	v_or_b32_e32 v119, v114, v128
	;; [unrolled: 1-line block ×3, first 2 shown]
	s_delay_alu instid0(VALU_DEP_4)
	v_or_b32_e32 v117, v10, v113
	s_and_saveexec_b32 s9, vcc_lo
	s_cbranch_execz .LBB281_1719
; %bb.1718:                             ;   in Loop: Header=BB281_1059 Depth=1
	v_cmp_lt_i32_e64 s1, v23, v32
	s_wait_alu 0xf1ff
	s_delay_alu instid0(VALU_DEP_1) | instskip(SKIP_2) | instid1(VALU_DEP_1)
	v_cndmask_b32_e64 v115, 0, v128, s1
	v_cmp_lt_i32_e64 s1, v71, v32
	s_wait_alu 0xf1ff
	v_cndmask_b32_e64 v114, 0, v114, s1
	v_cmp_lt_i32_e64 s1, v70, v32
	s_delay_alu instid0(VALU_DEP_2) | instskip(SKIP_1) | instid1(VALU_DEP_2)
	v_or_b32_e32 v119, v115, v114
	s_wait_alu 0xf1ff
	v_cndmask_b32_e64 v11, 0, v11, s1
	v_cmp_lt_i32_e64 s1, v69, v32
	s_wait_alu 0xf1ff
	s_delay_alu instid0(VALU_DEP_1) | instskip(SKIP_1) | instid1(VALU_DEP_2)
	v_cndmask_b32_e64 v0, 0, v0, s1
	v_cmp_lt_i32_e64 s1, v68, v32
	v_or_b32_e32 v115, v11, v0
	s_wait_alu 0xf1ff
	s_delay_alu instid0(VALU_DEP_2) | instskip(SKIP_2) | instid1(VALU_DEP_1)
	v_cndmask_b32_e64 v116, 0, v116, s1
	v_cmp_lt_i32_e64 s1, v67, v32
	s_wait_alu 0xf1ff
	v_cndmask_b32_e64 v112, 0, v112, s1
	v_cmp_lt_i32_e64 s1, v66, v32
	s_delay_alu instid0(VALU_DEP_2) | instskip(SKIP_1) | instid1(VALU_DEP_2)
	v_or_b32_e32 v118, v116, v112
	s_wait_alu 0xf1ff
	v_cndmask_b32_e64 v113, 0, v113, s1
	v_cmp_lt_i32_e64 s1, v14, v32
	s_wait_alu 0xf1ff
	s_delay_alu instid0(VALU_DEP_1) | instskip(NEXT) | instid1(VALU_DEP_1)
	v_cndmask_b32_e64 v10, 0, v10, s1
	v_or_b32_e32 v117, v113, v10
.LBB281_1719:                           ;   in Loop: Header=BB281_1059 Depth=1
	s_wait_alu 0xfffe
	s_or_b32 exec_lo, exec_lo, s9
	;;#ASMSTART
	v_pk_mul_f16 v0, v64, v119;

	;;#ASMEND
	;;#ASMSTART
	v_pk_mul_f16 v10, v38, v115;

	;;#ASMEND
	;; [unrolled: 4-line block ×4, first 2 shown]
	;;#ASMSTART
	v_pk_add_f16 v0, v0, v10;

	;;#ASMEND
	;;#ASMSTART
	v_pk_add_f16 v0, v0, v11;

	;;#ASMEND
	;; [unrolled: 4-line block ×3, first 2 shown]
	v_dual_mov_b32 v115, 0 :: v_dual_and_b32 v10, 0xffff, v0
	v_lshrrev_b32_e32 v0, 16, v0
	;;#ASMSTART
	v_cvt_f32_f16 v112, v10;
	;;#ASMEND
	;;#ASMSTART
	v_cvt_f32_f16 v113, v0;
	;;#ASMEND
	flat_load_b64 v[10:11], v[8:9] offset:2560
	flat_load_b32 v114, v[26:27]
	v_mov_b32_e32 v116, 0
	s_mov_b32 s9, exec_lo
	s_wait_loadcnt_dscnt 0x101
	v_and_b32_e32 v0, 0xff, v10
	s_delay_alu instid0(VALU_DEP_1)
	v_cmpx_ne_u16_e32 0, v0
	s_cbranch_execz .LBB281_1727
; %bb.1720:                             ;   in Loop: Header=BB281_1059 Depth=1
	v_mov_b32_e32 v116, 0x8000
	s_mov_b32 s14, exec_lo
	v_cmpx_ne_u16_e32 0x80, v0
	s_cbranch_execz .LBB281_1726
; %bb.1721:                             ;   in Loop: Header=BB281_1059 Depth=1
	v_and_b32_e32 v117, 0x7f, v10
	v_mov_b32_e32 v116, 0x7c01
	s_mov_b32 s15, exec_lo
	s_delay_alu instid0(VALU_DEP_2)
	v_cmpx_ne_u32_e32 0x7f, v117
	s_cbranch_execz .LBB281_1725
; %bb.1722:                             ;   in Loop: Header=BB281_1059 Depth=1
	v_and_b32_e32 v0, 7, v10
	v_lshrrev_b32_e32 v116, 3, v117
	s_mov_b32 s16, exec_lo
	v_cmpx_gt_u32_e32 8, v117
; %bb.1723:                             ;   in Loop: Header=BB281_1059 Depth=1
	s_delay_alu instid0(VALU_DEP_3) | instskip(NEXT) | instid1(VALU_DEP_1)
	v_clz_i32_u32_e32 v0, v0
	v_min_u32_e32 v0, 32, v0
	s_delay_alu instid0(VALU_DEP_1) | instskip(NEXT) | instid1(VALU_DEP_1)
	v_subrev_nc_u32_e32 v116, 28, v0
	v_lshlrev_b64_e32 v[117:118], v116, v[10:11]
	v_sub_nc_u32_e32 v116, 29, v0
	s_delay_alu instid0(VALU_DEP_2)
	v_and_b32_e32 v0, 7, v117
; %bb.1724:                             ;   in Loop: Header=BB281_1059 Depth=1
	s_wait_alu 0xfffe
	s_or_b32 exec_lo, exec_lo, s16
	v_lshlrev_b32_e32 v117, 8, v10
	v_lshl_add_u32 v116, v116, 10, 0x2000
	v_lshlrev_b32_e32 v0, 7, v0
	s_delay_alu instid0(VALU_DEP_3) | instskip(NEXT) | instid1(VALU_DEP_3)
	v_and_b32_e32 v117, 0x8000, v117
	v_and_b32_e32 v116, 0xfc00, v116
	s_delay_alu instid0(VALU_DEP_1)
	v_or3_b32 v116, v117, v116, v0
.LBB281_1725:                           ;   in Loop: Header=BB281_1059 Depth=1
	s_wait_alu 0xfffe
	s_or_b32 exec_lo, exec_lo, s15
.LBB281_1726:                           ;   in Loop: Header=BB281_1059 Depth=1
	s_wait_alu 0xfffe
	s_or_b32 exec_lo, exec_lo, s14
.LBB281_1727:                           ;   in Loop: Header=BB281_1059 Depth=1
	s_wait_alu 0xfffe
	s_or_b32 exec_lo, exec_lo, s9
	v_lshrrev_b16 v0, 8, v10
	s_mov_b32 s9, exec_lo
	s_delay_alu instid0(VALU_DEP_1)
	v_cmpx_ne_u16_e32 0, v0
	s_cbranch_execz .LBB281_1735
; %bb.1728:                             ;   in Loop: Header=BB281_1059 Depth=1
	v_bfrev_b32_e32 v115, 1
	s_mov_b32 s14, exec_lo
	v_cmpx_ne_u16_e32 0x80, v0
	s_cbranch_execz .LBB281_1734
; %bb.1729:                             ;   in Loop: Header=BB281_1059 Depth=1
	v_and_b32_e32 v117, 0xffff, v0
	v_mov_b32_e32 v115, 0x7c010000
	s_mov_b32 s15, exec_lo
	s_delay_alu instid0(VALU_DEP_2) | instskip(NEXT) | instid1(VALU_DEP_1)
	v_and_b32_e32 v119, 0x7f, v117
	v_cmpx_ne_u32_e32 0x7f, v119
	s_cbranch_execz .LBB281_1733
; %bb.1730:                             ;   in Loop: Header=BB281_1059 Depth=1
	v_and_b32_e32 v115, 7, v117
	v_lshrrev_b32_e32 v118, 3, v119
	s_mov_b32 s16, exec_lo
	v_cmpx_gt_u32_e32 8, v119
; %bb.1731:                             ;   in Loop: Header=BB281_1059 Depth=1
	s_delay_alu instid0(VALU_DEP_3) | instskip(NEXT) | instid1(VALU_DEP_1)
	v_clz_i32_u32_e32 v115, v115
	v_min_u32_e32 v115, 32, v115
	s_delay_alu instid0(VALU_DEP_1) | instskip(NEXT) | instid1(VALU_DEP_1)
	v_subrev_nc_u32_e32 v118, 28, v115
	v_lshlrev_b64_e32 v[128:129], v118, v[0:1]
	v_sub_nc_u32_e32 v118, 29, v115
	s_delay_alu instid0(VALU_DEP_2)
	v_and_b32_e32 v115, 7, v128
; %bb.1732:                             ;   in Loop: Header=BB281_1059 Depth=1
	s_wait_alu 0xfffe
	s_or_b32 exec_lo, exec_lo, s16
	v_lshlrev_b32_e32 v0, 8, v117
	v_lshl_add_u32 v117, v118, 10, 0x2000
	v_lshlrev_b32_e32 v115, 23, v115
	s_delay_alu instid0(VALU_DEP_2) | instskip(NEXT) | instid1(VALU_DEP_1)
	v_and_or_b32 v0, 0x8000, v0, v117
	v_lshl_or_b32 v115, v0, 16, v115
.LBB281_1733:                           ;   in Loop: Header=BB281_1059 Depth=1
	s_wait_alu 0xfffe
	s_or_b32 exec_lo, exec_lo, s15
.LBB281_1734:                           ;   in Loop: Header=BB281_1059 Depth=1
	s_wait_alu 0xfffe
	s_or_b32 exec_lo, exec_lo, s14
.LBB281_1735:                           ;   in Loop: Header=BB281_1059 Depth=1
	s_wait_alu 0xfffe
	s_or_b32 exec_lo, exec_lo, s9
	v_lshrrev_b32_e32 v0, 16, v10
	v_mov_b32_e32 v117, 0
	s_mov_b32 s9, exec_lo
	s_delay_alu instid0(VALU_DEP_2) | instskip(NEXT) | instid1(VALU_DEP_1)
	v_dual_mov_b32 v118, 0 :: v_dual_and_b32 v119, 0xff, v0
	v_cmpx_ne_u16_e32 0, v119
	s_cbranch_execz .LBB281_1743
; %bb.1736:                             ;   in Loop: Header=BB281_1059 Depth=1
	v_mov_b32_e32 v118, 0x8000
	s_mov_b32 s14, exec_lo
	v_cmpx_ne_u16_e32 0x80, v119
	s_cbranch_execz .LBB281_1742
; %bb.1737:                             ;   in Loop: Header=BB281_1059 Depth=1
	v_bfe_u32 v128, v10, 16, 7
	v_mov_b32_e32 v118, 0x7c01
	s_mov_b32 s15, exec_lo
	s_delay_alu instid0(VALU_DEP_2)
	v_cmpx_ne_u32_e32 0x7f, v128
	s_cbranch_execz .LBB281_1741
; %bb.1738:                             ;   in Loop: Header=BB281_1059 Depth=1
	v_and_b32_e32 v118, 7, v0
	v_lshrrev_b32_e32 v119, 3, v128
	s_mov_b32 s16, exec_lo
	v_cmpx_gt_u32_e32 8, v128
; %bb.1739:                             ;   in Loop: Header=BB281_1059 Depth=1
	s_delay_alu instid0(VALU_DEP_3) | instskip(NEXT) | instid1(VALU_DEP_1)
	v_clz_i32_u32_e32 v118, v118
	v_min_u32_e32 v128, 32, v118
	s_delay_alu instid0(VALU_DEP_1) | instskip(NEXT) | instid1(VALU_DEP_1)
	v_subrev_nc_u32_e32 v118, 28, v128
	v_lshlrev_b64_e32 v[118:119], v118, v[0:1]
	v_sub_nc_u32_e32 v119, 29, v128
	s_delay_alu instid0(VALU_DEP_2)
	v_and_b32_e32 v118, 7, v118
; %bb.1740:                             ;   in Loop: Header=BB281_1059 Depth=1
	s_wait_alu 0xfffe
	s_or_b32 exec_lo, exec_lo, s16
	v_lshlrev_b32_e32 v0, 8, v0
	v_lshl_add_u32 v119, v119, 10, 0x2000
	v_lshlrev_b32_e32 v118, 7, v118
	s_delay_alu instid0(VALU_DEP_3) | instskip(NEXT) | instid1(VALU_DEP_3)
	v_and_b32_e32 v0, 0x8000, v0
	v_and_b32_e32 v119, 0xfc00, v119
	s_delay_alu instid0(VALU_DEP_1)
	v_or3_b32 v118, v0, v119, v118
.LBB281_1741:                           ;   in Loop: Header=BB281_1059 Depth=1
	s_wait_alu 0xfffe
	s_or_b32 exec_lo, exec_lo, s15
.LBB281_1742:                           ;   in Loop: Header=BB281_1059 Depth=1
	s_wait_alu 0xfffe
	s_or_b32 exec_lo, exec_lo, s14
.LBB281_1743:                           ;   in Loop: Header=BB281_1059 Depth=1
	s_wait_alu 0xfffe
	s_or_b32 exec_lo, exec_lo, s9
	s_delay_alu instid0(SALU_CYCLE_1)
	s_mov_b32 s9, exec_lo
	v_cmpx_lt_u32_e32 0xffffff, v10
	s_cbranch_execz .LBB281_1751
; %bb.1744:                             ;   in Loop: Header=BB281_1059 Depth=1
	v_lshrrev_b32_e32 v0, 24, v10
	v_bfrev_b32_e32 v117, 1
	s_mov_b32 s14, exec_lo
	s_delay_alu instid0(VALU_DEP_2)
	v_cmpx_ne_u32_e32 0x80, v0
	s_cbranch_execz .LBB281_1750
; %bb.1745:                             ;   in Loop: Header=BB281_1059 Depth=1
	v_and_b32_e32 v128, 0x7f, v0
	v_mov_b32_e32 v117, 0x7c010000
	s_mov_b32 s15, exec_lo
	s_delay_alu instid0(VALU_DEP_2)
	v_cmpx_ne_u32_e32 0x7f, v128
	s_cbranch_execz .LBB281_1749
; %bb.1746:                             ;   in Loop: Header=BB281_1059 Depth=1
	v_and_b32_e32 v117, 7, v0
	v_lshrrev_b32_e32 v119, 3, v128
	s_mov_b32 s16, exec_lo
	v_cmpx_gt_u32_e32 8, v128
; %bb.1747:                             ;   in Loop: Header=BB281_1059 Depth=1
	s_delay_alu instid0(VALU_DEP_3) | instskip(NEXT) | instid1(VALU_DEP_1)
	v_clz_i32_u32_e32 v117, v117
	v_min_u32_e32 v117, 32, v117
	s_delay_alu instid0(VALU_DEP_1) | instskip(NEXT) | instid1(VALU_DEP_1)
	v_subrev_nc_u32_e32 v119, 28, v117
	v_lshlrev_b64_e32 v[128:129], v119, v[0:1]
	v_sub_nc_u32_e32 v119, 29, v117
	s_delay_alu instid0(VALU_DEP_2)
	v_and_b32_e32 v117, 7, v128
; %bb.1748:                             ;   in Loop: Header=BB281_1059 Depth=1
	s_wait_alu 0xfffe
	s_or_b32 exec_lo, exec_lo, s16
	v_lshlrev_b32_e32 v0, 8, v0
	v_lshl_add_u32 v119, v119, 10, 0x2000
	v_lshlrev_b32_e32 v117, 23, v117
	s_delay_alu instid0(VALU_DEP_2) | instskip(NEXT) | instid1(VALU_DEP_1)
	v_and_or_b32 v0, 0x8000, v0, v119
	v_lshl_or_b32 v117, v0, 16, v117
.LBB281_1749:                           ;   in Loop: Header=BB281_1059 Depth=1
	s_wait_alu 0xfffe
	s_or_b32 exec_lo, exec_lo, s15
.LBB281_1750:                           ;   in Loop: Header=BB281_1059 Depth=1
	s_wait_alu 0xfffe
	s_or_b32 exec_lo, exec_lo, s14
.LBB281_1751:                           ;   in Loop: Header=BB281_1059 Depth=1
	s_wait_alu 0xfffe
	s_or_b32 exec_lo, exec_lo, s9
	v_dual_mov_b32 v0, v11 :: v_dual_and_b32 v129, 0xff, v11
	v_dual_mov_b32 v119, 0 :: v_dual_mov_b32 v128, 0
	s_mov_b32 s9, exec_lo
	s_delay_alu instid0(VALU_DEP_2)
	v_cmpx_ne_u16_e64 0, v129
	s_cbranch_execz .LBB281_1759
; %bb.1752:                             ;   in Loop: Header=BB281_1059 Depth=1
	v_mov_b32_e32 v128, 0x8000
	s_mov_b32 s14, exec_lo
	v_cmpx_ne_u16_e64 0x80, v129
	s_cbranch_execz .LBB281_1758
; %bb.1753:                             ;   in Loop: Header=BB281_1059 Depth=1
	v_and_b32_e32 v130, 0x7f, v11
	v_mov_b32_e32 v128, 0x7c01
	s_mov_b32 s15, exec_lo
	s_delay_alu instid0(VALU_DEP_2)
	v_cmpx_ne_u32_e32 0x7f, v130
	s_cbranch_execz .LBB281_1757
; %bb.1754:                             ;   in Loop: Header=BB281_1059 Depth=1
	v_and_b32_e32 v128, 7, v11
	v_lshrrev_b32_e32 v129, 3, v130
	s_mov_b32 s16, exec_lo
	v_cmpx_gt_u32_e32 8, v130
; %bb.1755:                             ;   in Loop: Header=BB281_1059 Depth=1
	s_delay_alu instid0(VALU_DEP_3) | instskip(NEXT) | instid1(VALU_DEP_1)
	v_clz_i32_u32_e32 v128, v128
	v_min_u32_e32 v130, 32, v128
	s_delay_alu instid0(VALU_DEP_1) | instskip(NEXT) | instid1(VALU_DEP_1)
	v_subrev_nc_u32_e32 v128, 28, v130
	v_lshlrev_b64_e32 v[128:129], v128, v[0:1]
	v_sub_nc_u32_e32 v129, 29, v130
	s_delay_alu instid0(VALU_DEP_2)
	v_and_b32_e32 v128, 7, v128
; %bb.1756:                             ;   in Loop: Header=BB281_1059 Depth=1
	s_wait_alu 0xfffe
	s_or_b32 exec_lo, exec_lo, s16
	v_lshlrev_b32_e32 v130, 8, v11
	v_lshl_add_u32 v129, v129, 10, 0x2000
	v_lshlrev_b32_e32 v128, 7, v128
	s_delay_alu instid0(VALU_DEP_3) | instskip(NEXT) | instid1(VALU_DEP_3)
	v_and_b32_e32 v130, 0x8000, v130
	v_and_b32_e32 v129, 0xfc00, v129
	s_delay_alu instid0(VALU_DEP_1)
	v_or3_b32 v128, v130, v129, v128
.LBB281_1757:                           ;   in Loop: Header=BB281_1059 Depth=1
	s_wait_alu 0xfffe
	s_or_b32 exec_lo, exec_lo, s15
.LBB281_1758:                           ;   in Loop: Header=BB281_1059 Depth=1
	s_wait_alu 0xfffe
	s_or_b32 exec_lo, exec_lo, s14
.LBB281_1759:                           ;   in Loop: Header=BB281_1059 Depth=1
	s_wait_alu 0xfffe
	s_or_b32 exec_lo, exec_lo, s9
	v_lshrrev_b16 v0, 8, v0
	v_mov_b32_e32 v129, 0
	s_mov_b32 s9, exec_lo
	s_delay_alu instid0(VALU_DEP_2)
	v_cmpx_ne_u16_e32 0, v0
	s_cbranch_execz .LBB281_1767
; %bb.1760:                             ;   in Loop: Header=BB281_1059 Depth=1
	v_bfrev_b32_e32 v129, 1
	s_mov_b32 s14, exec_lo
	v_cmpx_ne_u16_e32 0x80, v0
	s_cbranch_execz .LBB281_1766
; %bb.1761:                             ;   in Loop: Header=BB281_1059 Depth=1
	v_and_b32_e32 v130, 0xffff, v0
	v_mov_b32_e32 v129, 0x7c010000
	s_mov_b32 s15, exec_lo
	s_delay_alu instid0(VALU_DEP_2) | instskip(NEXT) | instid1(VALU_DEP_1)
	v_and_b32_e32 v132, 0x7f, v130
	v_cmpx_ne_u32_e32 0x7f, v132
	s_cbranch_execz .LBB281_1765
; %bb.1762:                             ;   in Loop: Header=BB281_1059 Depth=1
	v_and_b32_e32 v129, 7, v130
	v_lshrrev_b32_e32 v131, 3, v132
	s_mov_b32 s16, exec_lo
	v_cmpx_gt_u32_e32 8, v132
; %bb.1763:                             ;   in Loop: Header=BB281_1059 Depth=1
	s_delay_alu instid0(VALU_DEP_3) | instskip(NEXT) | instid1(VALU_DEP_1)
	v_clz_i32_u32_e32 v129, v129
	v_min_u32_e32 v129, 32, v129
	s_delay_alu instid0(VALU_DEP_1) | instskip(NEXT) | instid1(VALU_DEP_1)
	v_subrev_nc_u32_e32 v131, 28, v129
	v_lshlrev_b64_e32 v[132:133], v131, v[0:1]
	v_sub_nc_u32_e32 v131, 29, v129
	s_delay_alu instid0(VALU_DEP_2)
	v_and_b32_e32 v129, 7, v132
; %bb.1764:                             ;   in Loop: Header=BB281_1059 Depth=1
	s_wait_alu 0xfffe
	s_or_b32 exec_lo, exec_lo, s16
	v_lshlrev_b32_e32 v0, 8, v130
	v_lshl_add_u32 v130, v131, 10, 0x2000
	v_lshlrev_b32_e32 v129, 23, v129
	s_delay_alu instid0(VALU_DEP_2) | instskip(NEXT) | instid1(VALU_DEP_1)
	v_and_or_b32 v0, 0x8000, v0, v130
	v_lshl_or_b32 v129, v0, 16, v129
.LBB281_1765:                           ;   in Loop: Header=BB281_1059 Depth=1
	s_wait_alu 0xfffe
	s_or_b32 exec_lo, exec_lo, s15
.LBB281_1766:                           ;   in Loop: Header=BB281_1059 Depth=1
	s_wait_alu 0xfffe
	s_or_b32 exec_lo, exec_lo, s14
.LBB281_1767:                           ;   in Loop: Header=BB281_1059 Depth=1
	s_wait_alu 0xfffe
	s_or_b32 exec_lo, exec_lo, s9
	v_lshrrev_b32_e32 v0, 16, v11
	s_mov_b32 s9, exec_lo
	s_delay_alu instid0(VALU_DEP_1) | instskip(NEXT) | instid1(VALU_DEP_1)
	v_and_b32_e32 v130, 0xff, v0
	v_cmpx_ne_u16_e64 0, v130
	s_cbranch_execz .LBB281_1775
; %bb.1768:                             ;   in Loop: Header=BB281_1059 Depth=1
	v_mov_b32_e32 v119, 0x8000
	s_mov_b32 s14, exec_lo
	v_cmpx_ne_u16_e64 0x80, v130
	s_cbranch_execz .LBB281_1774
; %bb.1769:                             ;   in Loop: Header=BB281_1059 Depth=1
	v_bfe_u32 v131, v11, 16, 7
	v_mov_b32_e32 v119, 0x7c01
	s_mov_b32 s15, exec_lo
	s_delay_alu instid0(VALU_DEP_2)
	v_cmpx_ne_u32_e32 0x7f, v131
	s_cbranch_execz .LBB281_1773
; %bb.1770:                             ;   in Loop: Header=BB281_1059 Depth=1
	v_and_b32_e32 v119, 7, v0
	v_lshrrev_b32_e32 v130, 3, v131
	s_mov_b32 s16, exec_lo
	v_cmpx_gt_u32_e32 8, v131
; %bb.1771:                             ;   in Loop: Header=BB281_1059 Depth=1
	s_delay_alu instid0(VALU_DEP_3) | instskip(NEXT) | instid1(VALU_DEP_1)
	v_clz_i32_u32_e32 v119, v119
	v_min_u32_e32 v119, 32, v119
	s_delay_alu instid0(VALU_DEP_1) | instskip(NEXT) | instid1(VALU_DEP_1)
	v_subrev_nc_u32_e32 v130, 28, v119
	v_lshlrev_b64_e32 v[131:132], v130, v[0:1]
	v_sub_nc_u32_e32 v130, 29, v119
	s_delay_alu instid0(VALU_DEP_2)
	v_and_b32_e32 v119, 7, v131
; %bb.1772:                             ;   in Loop: Header=BB281_1059 Depth=1
	s_wait_alu 0xfffe
	s_or_b32 exec_lo, exec_lo, s16
	v_lshlrev_b32_e32 v0, 8, v0
	v_lshl_add_u32 v130, v130, 10, 0x2000
	v_lshlrev_b32_e32 v119, 7, v119
	s_delay_alu instid0(VALU_DEP_3) | instskip(NEXT) | instid1(VALU_DEP_3)
	v_and_b32_e32 v0, 0x8000, v0
	v_and_b32_e32 v130, 0xfc00, v130
	s_delay_alu instid0(VALU_DEP_1)
	v_or3_b32 v119, v0, v130, v119
.LBB281_1773:                           ;   in Loop: Header=BB281_1059 Depth=1
	s_wait_alu 0xfffe
	s_or_b32 exec_lo, exec_lo, s15
.LBB281_1774:                           ;   in Loop: Header=BB281_1059 Depth=1
	s_wait_alu 0xfffe
	s_or_b32 exec_lo, exec_lo, s14
.LBB281_1775:                           ;   in Loop: Header=BB281_1059 Depth=1
	s_wait_alu 0xfffe
	s_or_b32 exec_lo, exec_lo, s9
	v_cmp_lt_u64_e64 s1, s[4:5], v[10:11]
	v_mov_b32_e32 v10, 0
	s_and_saveexec_b32 s9, s1
	s_cbranch_execz .LBB281_1783
; %bb.1776:                             ;   in Loop: Header=BB281_1059 Depth=1
	v_lshrrev_b32_e32 v0, 24, v11
	v_bfrev_b32_e32 v10, 1
	s_mov_b32 s14, exec_lo
	s_delay_alu instid0(VALU_DEP_2)
	v_cmpx_ne_u32_e32 0x80, v0
	s_cbranch_execz .LBB281_1782
; %bb.1777:                             ;   in Loop: Header=BB281_1059 Depth=1
	v_and_b32_e32 v130, 0x7f, v0
	v_mov_b32_e32 v10, 0x7c010000
	s_mov_b32 s15, exec_lo
	s_delay_alu instid0(VALU_DEP_2)
	v_cmpx_ne_u32_e32 0x7f, v130
	s_cbranch_execz .LBB281_1781
; %bb.1778:                             ;   in Loop: Header=BB281_1059 Depth=1
	v_and_b32_e32 v10, 7, v0
	v_lshrrev_b32_e32 v11, 3, v130
	s_mov_b32 s16, exec_lo
	v_cmpx_gt_u32_e32 8, v130
; %bb.1779:                             ;   in Loop: Header=BB281_1059 Depth=1
	s_delay_alu instid0(VALU_DEP_3) | instskip(NEXT) | instid1(VALU_DEP_1)
	v_clz_i32_u32_e32 v10, v10
	v_min_u32_e32 v130, 32, v10
	s_delay_alu instid0(VALU_DEP_1) | instskip(NEXT) | instid1(VALU_DEP_1)
	v_subrev_nc_u32_e32 v10, 28, v130
	v_lshlrev_b64_e32 v[10:11], v10, v[0:1]
	v_sub_nc_u32_e32 v11, 29, v130
	s_delay_alu instid0(VALU_DEP_2)
	v_and_b32_e32 v10, 7, v10
; %bb.1780:                             ;   in Loop: Header=BB281_1059 Depth=1
	s_wait_alu 0xfffe
	s_or_b32 exec_lo, exec_lo, s16
	v_lshlrev_b32_e32 v0, 8, v0
	v_lshl_add_u32 v11, v11, 10, 0x2000
	v_lshlrev_b32_e32 v10, 23, v10
	s_delay_alu instid0(VALU_DEP_2) | instskip(NEXT) | instid1(VALU_DEP_1)
	v_and_or_b32 v0, 0x8000, v0, v11
	v_lshl_or_b32 v10, v0, 16, v10
.LBB281_1781:                           ;   in Loop: Header=BB281_1059 Depth=1
	s_wait_alu 0xfffe
	s_or_b32 exec_lo, exec_lo, s15
.LBB281_1782:                           ;   in Loop: Header=BB281_1059 Depth=1
	s_wait_alu 0xfffe
	s_or_b32 exec_lo, exec_lo, s14
.LBB281_1783:                           ;   in Loop: Header=BB281_1059 Depth=1
	s_wait_alu 0xfffe
	s_or_b32 exec_lo, exec_lo, s9
	v_or_b32_e32 v0, v117, v118
	s_wait_loadcnt_dscnt 0x0
	v_fma_mixlo_f16 v11, v114, v117, 0 op_sel:[0,1,0] op_sel_hi:[0,1,0]
	v_or_b32_e32 v117, v115, v116
	v_fma_mixlo_f16 v115, v114, v115, 0 op_sel:[0,1,0] op_sel_hi:[0,1,0]
	v_or_b32_e32 v118, v129, v128
	v_or_b32_e32 v119, v10, v119
	v_fma_mixlo_f16 v128, v114, v0, 0 op_sel_hi:[0,1,0]
	v_fma_mixlo_f16 v10, v114, v10, 0 op_sel:[0,1,0] op_sel_hi:[0,1,0]
	v_lshlrev_b32_e32 v116, 16, v115
	v_fma_mixlo_f16 v115, v114, v117, 0 op_sel_hi:[0,1,0]
	v_fma_mixlo_f16 v117, v114, v129, 0 op_sel:[0,1,0] op_sel_hi:[0,1,0]
	v_fma_mixlo_f16 v118, v114, v118, 0 op_sel_hi:[0,1,0]
	v_fma_mixlo_f16 v119, v114, v119, 0 op_sel_hi:[0,1,0]
	v_lshlrev_b32_e32 v0, 16, v11
	v_and_b32_e32 v11, 0xffff, v128
	v_and_b32_e32 v130, 0xffff, v115
	v_lshlrev_b32_e32 v114, 16, v117
	v_and_b32_e32 v118, 0xffff, v118
	v_lshlrev_b32_e32 v10, 16, v10
	v_and_b32_e32 v115, 0xffff, v119
	v_or_b32_e32 v117, v0, v11
	v_or_b32_e32 v129, v116, v130
	;; [unrolled: 1-line block ×3, first 2 shown]
	s_delay_alu instid0(VALU_DEP_4)
	v_or_b32_e32 v119, v10, v115
	s_and_saveexec_b32 s9, vcc_lo
	s_cbranch_execz .LBB281_1785
; %bb.1784:                             ;   in Loop: Header=BB281_1059 Depth=1
	v_cmp_lt_i32_e64 s1, v23, v32
	s_wait_alu 0xf1ff
	s_delay_alu instid0(VALU_DEP_1) | instskip(SKIP_2) | instid1(VALU_DEP_1)
	v_cndmask_b32_e64 v117, 0, v130, s1
	v_cmp_lt_i32_e64 s1, v71, v32
	s_wait_alu 0xf1ff
	v_cndmask_b32_e64 v116, 0, v116, s1
	v_cmp_lt_i32_e64 s1, v70, v32
	s_delay_alu instid0(VALU_DEP_2) | instskip(SKIP_1) | instid1(VALU_DEP_2)
	v_or_b32_e32 v129, v117, v116
	s_wait_alu 0xf1ff
	v_cndmask_b32_e64 v11, 0, v11, s1
	v_cmp_lt_i32_e64 s1, v69, v32
	s_wait_alu 0xf1ff
	s_delay_alu instid0(VALU_DEP_1) | instskip(SKIP_1) | instid1(VALU_DEP_2)
	v_cndmask_b32_e64 v0, 0, v0, s1
	v_cmp_lt_i32_e64 s1, v68, v32
	v_or_b32_e32 v117, v11, v0
	s_wait_alu 0xf1ff
	s_delay_alu instid0(VALU_DEP_2) | instskip(SKIP_2) | instid1(VALU_DEP_1)
	v_cndmask_b32_e64 v118, 0, v118, s1
	v_cmp_lt_i32_e64 s1, v67, v32
	s_wait_alu 0xf1ff
	v_cndmask_b32_e64 v114, 0, v114, s1
	v_cmp_lt_i32_e64 s1, v66, v32
	s_delay_alu instid0(VALU_DEP_2) | instskip(SKIP_1) | instid1(VALU_DEP_2)
	v_or_b32_e32 v128, v118, v114
	s_wait_alu 0xf1ff
	v_cndmask_b32_e64 v115, 0, v115, s1
	v_cmp_lt_i32_e64 s1, v14, v32
	s_wait_alu 0xf1ff
	s_delay_alu instid0(VALU_DEP_1) | instskip(NEXT) | instid1(VALU_DEP_1)
	v_cndmask_b32_e64 v10, 0, v10, s1
	v_or_b32_e32 v119, v115, v10
.LBB281_1785:                           ;   in Loop: Header=BB281_1059 Depth=1
	s_wait_alu 0xfffe
	s_or_b32 exec_lo, exec_lo, s9
	;;#ASMSTART
	v_pk_mul_f16 v0, v64, v129;

	;;#ASMEND
	;;#ASMSTART
	v_pk_mul_f16 v10, v38, v117;

	;;#ASMEND
	;; [unrolled: 4-line block ×4, first 2 shown]
	;;#ASMSTART
	v_pk_add_f16 v0, v0, v10;

	;;#ASMEND
	;;#ASMSTART
	v_pk_add_f16 v0, v0, v11;

	;;#ASMEND
	;; [unrolled: 4-line block ×3, first 2 shown]
	v_dual_mov_b32 v117, 0 :: v_dual_and_b32 v10, 0xffff, v0
	v_lshrrev_b32_e32 v0, 16, v0
	;;#ASMSTART
	v_cvt_f32_f16 v114, v10;
	;;#ASMEND
	;;#ASMSTART
	v_cvt_f32_f16 v115, v0;
	;;#ASMEND
	flat_load_b64 v[10:11], v[8:9] offset:2816
	flat_load_b32 v116, v[26:27]
	v_mov_b32_e32 v118, 0
	s_mov_b32 s9, exec_lo
	s_wait_loadcnt_dscnt 0x101
	v_and_b32_e32 v0, 0xff, v10
	s_delay_alu instid0(VALU_DEP_1)
	v_cmpx_ne_u16_e32 0, v0
	s_cbranch_execz .LBB281_1793
; %bb.1786:                             ;   in Loop: Header=BB281_1059 Depth=1
	v_mov_b32_e32 v118, 0x8000
	s_mov_b32 s14, exec_lo
	v_cmpx_ne_u16_e32 0x80, v0
	s_cbranch_execz .LBB281_1792
; %bb.1787:                             ;   in Loop: Header=BB281_1059 Depth=1
	v_and_b32_e32 v119, 0x7f, v10
	v_mov_b32_e32 v118, 0x7c01
	s_mov_b32 s15, exec_lo
	s_delay_alu instid0(VALU_DEP_2)
	v_cmpx_ne_u32_e32 0x7f, v119
	s_cbranch_execz .LBB281_1791
; %bb.1788:                             ;   in Loop: Header=BB281_1059 Depth=1
	v_and_b32_e32 v0, 7, v10
	v_lshrrev_b32_e32 v118, 3, v119
	s_mov_b32 s16, exec_lo
	v_cmpx_gt_u32_e32 8, v119
; %bb.1789:                             ;   in Loop: Header=BB281_1059 Depth=1
	s_delay_alu instid0(VALU_DEP_3) | instskip(NEXT) | instid1(VALU_DEP_1)
	v_clz_i32_u32_e32 v0, v0
	v_min_u32_e32 v0, 32, v0
	s_delay_alu instid0(VALU_DEP_1) | instskip(NEXT) | instid1(VALU_DEP_1)
	v_subrev_nc_u32_e32 v118, 28, v0
	v_lshlrev_b64_e32 v[128:129], v118, v[10:11]
	v_sub_nc_u32_e32 v118, 29, v0
	s_delay_alu instid0(VALU_DEP_2)
	v_and_b32_e32 v0, 7, v128
; %bb.1790:                             ;   in Loop: Header=BB281_1059 Depth=1
	s_wait_alu 0xfffe
	s_or_b32 exec_lo, exec_lo, s16
	v_lshlrev_b32_e32 v119, 8, v10
	v_lshl_add_u32 v118, v118, 10, 0x2000
	v_lshlrev_b32_e32 v0, 7, v0
	s_delay_alu instid0(VALU_DEP_3) | instskip(NEXT) | instid1(VALU_DEP_3)
	v_and_b32_e32 v119, 0x8000, v119
	v_and_b32_e32 v118, 0xfc00, v118
	s_delay_alu instid0(VALU_DEP_1)
	v_or3_b32 v118, v119, v118, v0
.LBB281_1791:                           ;   in Loop: Header=BB281_1059 Depth=1
	s_wait_alu 0xfffe
	s_or_b32 exec_lo, exec_lo, s15
.LBB281_1792:                           ;   in Loop: Header=BB281_1059 Depth=1
	s_wait_alu 0xfffe
	s_or_b32 exec_lo, exec_lo, s14
.LBB281_1793:                           ;   in Loop: Header=BB281_1059 Depth=1
	s_wait_alu 0xfffe
	s_or_b32 exec_lo, exec_lo, s9
	v_lshrrev_b16 v0, 8, v10
	s_mov_b32 s9, exec_lo
	s_delay_alu instid0(VALU_DEP_1)
	v_cmpx_ne_u16_e32 0, v0
	s_cbranch_execz .LBB281_1801
; %bb.1794:                             ;   in Loop: Header=BB281_1059 Depth=1
	v_bfrev_b32_e32 v117, 1
	s_mov_b32 s14, exec_lo
	v_cmpx_ne_u16_e32 0x80, v0
	s_cbranch_execz .LBB281_1800
; %bb.1795:                             ;   in Loop: Header=BB281_1059 Depth=1
	v_and_b32_e32 v119, 0xffff, v0
	v_mov_b32_e32 v117, 0x7c010000
	s_mov_b32 s15, exec_lo
	s_delay_alu instid0(VALU_DEP_2) | instskip(NEXT) | instid1(VALU_DEP_1)
	v_and_b32_e32 v129, 0x7f, v119
	v_cmpx_ne_u32_e32 0x7f, v129
	s_cbranch_execz .LBB281_1799
; %bb.1796:                             ;   in Loop: Header=BB281_1059 Depth=1
	v_and_b32_e32 v117, 7, v119
	v_lshrrev_b32_e32 v128, 3, v129
	s_mov_b32 s16, exec_lo
	v_cmpx_gt_u32_e32 8, v129
; %bb.1797:                             ;   in Loop: Header=BB281_1059 Depth=1
	s_delay_alu instid0(VALU_DEP_3) | instskip(NEXT) | instid1(VALU_DEP_1)
	v_clz_i32_u32_e32 v117, v117
	v_min_u32_e32 v117, 32, v117
	s_delay_alu instid0(VALU_DEP_1) | instskip(NEXT) | instid1(VALU_DEP_1)
	v_subrev_nc_u32_e32 v128, 28, v117
	v_lshlrev_b64_e32 v[129:130], v128, v[0:1]
	v_sub_nc_u32_e32 v128, 29, v117
	s_delay_alu instid0(VALU_DEP_2)
	v_and_b32_e32 v117, 7, v129
; %bb.1798:                             ;   in Loop: Header=BB281_1059 Depth=1
	s_wait_alu 0xfffe
	s_or_b32 exec_lo, exec_lo, s16
	v_lshlrev_b32_e32 v0, 8, v119
	v_lshl_add_u32 v119, v128, 10, 0x2000
	v_lshlrev_b32_e32 v117, 23, v117
	s_delay_alu instid0(VALU_DEP_2) | instskip(NEXT) | instid1(VALU_DEP_1)
	v_and_or_b32 v0, 0x8000, v0, v119
	v_lshl_or_b32 v117, v0, 16, v117
.LBB281_1799:                           ;   in Loop: Header=BB281_1059 Depth=1
	s_wait_alu 0xfffe
	s_or_b32 exec_lo, exec_lo, s15
.LBB281_1800:                           ;   in Loop: Header=BB281_1059 Depth=1
	s_wait_alu 0xfffe
	s_or_b32 exec_lo, exec_lo, s14
.LBB281_1801:                           ;   in Loop: Header=BB281_1059 Depth=1
	s_wait_alu 0xfffe
	s_or_b32 exec_lo, exec_lo, s9
	v_lshrrev_b32_e32 v0, 16, v10
	v_mov_b32_e32 v119, 0
	s_mov_b32 s9, exec_lo
	s_delay_alu instid0(VALU_DEP_2) | instskip(NEXT) | instid1(VALU_DEP_1)
	v_dual_mov_b32 v128, 0 :: v_dual_and_b32 v129, 0xff, v0
	v_cmpx_ne_u16_e64 0, v129
	s_cbranch_execz .LBB281_1809
; %bb.1802:                             ;   in Loop: Header=BB281_1059 Depth=1
	v_mov_b32_e32 v128, 0x8000
	s_mov_b32 s14, exec_lo
	v_cmpx_ne_u16_e64 0x80, v129
	s_cbranch_execz .LBB281_1808
; %bb.1803:                             ;   in Loop: Header=BB281_1059 Depth=1
	v_bfe_u32 v130, v10, 16, 7
	v_mov_b32_e32 v128, 0x7c01
	s_mov_b32 s15, exec_lo
	s_delay_alu instid0(VALU_DEP_2)
	v_cmpx_ne_u32_e32 0x7f, v130
	s_cbranch_execz .LBB281_1807
; %bb.1804:                             ;   in Loop: Header=BB281_1059 Depth=1
	v_and_b32_e32 v128, 7, v0
	v_lshrrev_b32_e32 v129, 3, v130
	s_mov_b32 s16, exec_lo
	v_cmpx_gt_u32_e32 8, v130
; %bb.1805:                             ;   in Loop: Header=BB281_1059 Depth=1
	s_delay_alu instid0(VALU_DEP_3) | instskip(NEXT) | instid1(VALU_DEP_1)
	v_clz_i32_u32_e32 v128, v128
	v_min_u32_e32 v130, 32, v128
	s_delay_alu instid0(VALU_DEP_1) | instskip(NEXT) | instid1(VALU_DEP_1)
	v_subrev_nc_u32_e32 v128, 28, v130
	v_lshlrev_b64_e32 v[128:129], v128, v[0:1]
	v_sub_nc_u32_e32 v129, 29, v130
	s_delay_alu instid0(VALU_DEP_2)
	v_and_b32_e32 v128, 7, v128
; %bb.1806:                             ;   in Loop: Header=BB281_1059 Depth=1
	s_wait_alu 0xfffe
	s_or_b32 exec_lo, exec_lo, s16
	v_lshlrev_b32_e32 v0, 8, v0
	v_lshl_add_u32 v129, v129, 10, 0x2000
	v_lshlrev_b32_e32 v128, 7, v128
	s_delay_alu instid0(VALU_DEP_3) | instskip(NEXT) | instid1(VALU_DEP_3)
	v_and_b32_e32 v0, 0x8000, v0
	v_and_b32_e32 v129, 0xfc00, v129
	s_delay_alu instid0(VALU_DEP_1)
	v_or3_b32 v128, v0, v129, v128
.LBB281_1807:                           ;   in Loop: Header=BB281_1059 Depth=1
	s_wait_alu 0xfffe
	s_or_b32 exec_lo, exec_lo, s15
.LBB281_1808:                           ;   in Loop: Header=BB281_1059 Depth=1
	s_wait_alu 0xfffe
	s_or_b32 exec_lo, exec_lo, s14
.LBB281_1809:                           ;   in Loop: Header=BB281_1059 Depth=1
	s_wait_alu 0xfffe
	s_or_b32 exec_lo, exec_lo, s9
	s_delay_alu instid0(SALU_CYCLE_1)
	s_mov_b32 s9, exec_lo
	v_cmpx_lt_u32_e32 0xffffff, v10
	s_cbranch_execz .LBB281_1817
; %bb.1810:                             ;   in Loop: Header=BB281_1059 Depth=1
	v_lshrrev_b32_e32 v0, 24, v10
	v_bfrev_b32_e32 v119, 1
	s_mov_b32 s14, exec_lo
	s_delay_alu instid0(VALU_DEP_2)
	v_cmpx_ne_u32_e32 0x80, v0
	s_cbranch_execz .LBB281_1816
; %bb.1811:                             ;   in Loop: Header=BB281_1059 Depth=1
	v_and_b32_e32 v130, 0x7f, v0
	v_mov_b32_e32 v119, 0x7c010000
	s_mov_b32 s15, exec_lo
	s_delay_alu instid0(VALU_DEP_2)
	v_cmpx_ne_u32_e32 0x7f, v130
	s_cbranch_execz .LBB281_1815
; %bb.1812:                             ;   in Loop: Header=BB281_1059 Depth=1
	v_and_b32_e32 v119, 7, v0
	v_lshrrev_b32_e32 v129, 3, v130
	s_mov_b32 s16, exec_lo
	v_cmpx_gt_u32_e32 8, v130
; %bb.1813:                             ;   in Loop: Header=BB281_1059 Depth=1
	s_delay_alu instid0(VALU_DEP_3) | instskip(NEXT) | instid1(VALU_DEP_1)
	v_clz_i32_u32_e32 v119, v119
	v_min_u32_e32 v119, 32, v119
	s_delay_alu instid0(VALU_DEP_1) | instskip(NEXT) | instid1(VALU_DEP_1)
	v_subrev_nc_u32_e32 v129, 28, v119
	v_lshlrev_b64_e32 v[130:131], v129, v[0:1]
	v_sub_nc_u32_e32 v129, 29, v119
	s_delay_alu instid0(VALU_DEP_2)
	v_and_b32_e32 v119, 7, v130
; %bb.1814:                             ;   in Loop: Header=BB281_1059 Depth=1
	s_wait_alu 0xfffe
	s_or_b32 exec_lo, exec_lo, s16
	v_lshlrev_b32_e32 v0, 8, v0
	v_lshl_add_u32 v129, v129, 10, 0x2000
	v_lshlrev_b32_e32 v119, 23, v119
	s_delay_alu instid0(VALU_DEP_2) | instskip(NEXT) | instid1(VALU_DEP_1)
	v_and_or_b32 v0, 0x8000, v0, v129
	v_lshl_or_b32 v119, v0, 16, v119
.LBB281_1815:                           ;   in Loop: Header=BB281_1059 Depth=1
	s_wait_alu 0xfffe
	s_or_b32 exec_lo, exec_lo, s15
.LBB281_1816:                           ;   in Loop: Header=BB281_1059 Depth=1
	s_wait_alu 0xfffe
	s_or_b32 exec_lo, exec_lo, s14
.LBB281_1817:                           ;   in Loop: Header=BB281_1059 Depth=1
	s_wait_alu 0xfffe
	s_or_b32 exec_lo, exec_lo, s9
	v_dual_mov_b32 v0, v11 :: v_dual_and_b32 v131, 0xff, v11
	v_dual_mov_b32 v129, 0 :: v_dual_mov_b32 v130, 0
	s_mov_b32 s9, exec_lo
	s_delay_alu instid0(VALU_DEP_2)
	v_cmpx_ne_u16_e64 0, v131
	s_cbranch_execz .LBB281_1825
; %bb.1818:                             ;   in Loop: Header=BB281_1059 Depth=1
	v_mov_b32_e32 v130, 0x8000
	s_mov_b32 s14, exec_lo
	v_cmpx_ne_u16_e64 0x80, v131
	s_cbranch_execz .LBB281_1824
; %bb.1819:                             ;   in Loop: Header=BB281_1059 Depth=1
	v_and_b32_e32 v132, 0x7f, v11
	v_mov_b32_e32 v130, 0x7c01
	s_mov_b32 s15, exec_lo
	s_delay_alu instid0(VALU_DEP_2)
	v_cmpx_ne_u32_e32 0x7f, v132
	s_cbranch_execz .LBB281_1823
; %bb.1820:                             ;   in Loop: Header=BB281_1059 Depth=1
	v_and_b32_e32 v130, 7, v11
	v_lshrrev_b32_e32 v131, 3, v132
	s_mov_b32 s16, exec_lo
	v_cmpx_gt_u32_e32 8, v132
; %bb.1821:                             ;   in Loop: Header=BB281_1059 Depth=1
	s_delay_alu instid0(VALU_DEP_3) | instskip(NEXT) | instid1(VALU_DEP_1)
	v_clz_i32_u32_e32 v130, v130
	v_min_u32_e32 v132, 32, v130
	s_delay_alu instid0(VALU_DEP_1) | instskip(NEXT) | instid1(VALU_DEP_1)
	v_subrev_nc_u32_e32 v130, 28, v132
	v_lshlrev_b64_e32 v[130:131], v130, v[0:1]
	v_sub_nc_u32_e32 v131, 29, v132
	s_delay_alu instid0(VALU_DEP_2)
	v_and_b32_e32 v130, 7, v130
; %bb.1822:                             ;   in Loop: Header=BB281_1059 Depth=1
	s_wait_alu 0xfffe
	s_or_b32 exec_lo, exec_lo, s16
	v_lshlrev_b32_e32 v132, 8, v11
	v_lshl_add_u32 v131, v131, 10, 0x2000
	v_lshlrev_b32_e32 v130, 7, v130
	s_delay_alu instid0(VALU_DEP_3) | instskip(NEXT) | instid1(VALU_DEP_3)
	v_and_b32_e32 v132, 0x8000, v132
	v_and_b32_e32 v131, 0xfc00, v131
	s_delay_alu instid0(VALU_DEP_1)
	v_or3_b32 v130, v132, v131, v130
.LBB281_1823:                           ;   in Loop: Header=BB281_1059 Depth=1
	s_wait_alu 0xfffe
	s_or_b32 exec_lo, exec_lo, s15
.LBB281_1824:                           ;   in Loop: Header=BB281_1059 Depth=1
	s_wait_alu 0xfffe
	s_or_b32 exec_lo, exec_lo, s14
.LBB281_1825:                           ;   in Loop: Header=BB281_1059 Depth=1
	s_wait_alu 0xfffe
	s_or_b32 exec_lo, exec_lo, s9
	v_lshrrev_b16 v0, 8, v0
	v_mov_b32_e32 v131, 0
	s_mov_b32 s9, exec_lo
	s_delay_alu instid0(VALU_DEP_2)
	v_cmpx_ne_u16_e32 0, v0
	s_cbranch_execz .LBB281_1833
; %bb.1826:                             ;   in Loop: Header=BB281_1059 Depth=1
	v_bfrev_b32_e32 v131, 1
	s_mov_b32 s14, exec_lo
	v_cmpx_ne_u16_e32 0x80, v0
	s_cbranch_execz .LBB281_1832
; %bb.1827:                             ;   in Loop: Header=BB281_1059 Depth=1
	v_and_b32_e32 v132, 0xffff, v0
	v_mov_b32_e32 v131, 0x7c010000
	s_mov_b32 s15, exec_lo
	s_delay_alu instid0(VALU_DEP_2) | instskip(NEXT) | instid1(VALU_DEP_1)
	v_and_b32_e32 v134, 0x7f, v132
	v_cmpx_ne_u32_e32 0x7f, v134
	s_cbranch_execz .LBB281_1831
; %bb.1828:                             ;   in Loop: Header=BB281_1059 Depth=1
	v_and_b32_e32 v131, 7, v132
	v_lshrrev_b32_e32 v133, 3, v134
	s_mov_b32 s16, exec_lo
	v_cmpx_gt_u32_e32 8, v134
; %bb.1829:                             ;   in Loop: Header=BB281_1059 Depth=1
	s_delay_alu instid0(VALU_DEP_3) | instskip(NEXT) | instid1(VALU_DEP_1)
	v_clz_i32_u32_e32 v131, v131
	v_min_u32_e32 v131, 32, v131
	s_delay_alu instid0(VALU_DEP_1) | instskip(NEXT) | instid1(VALU_DEP_1)
	v_subrev_nc_u32_e32 v133, 28, v131
	v_lshlrev_b64_e32 v[134:135], v133, v[0:1]
	v_sub_nc_u32_e32 v133, 29, v131
	s_delay_alu instid0(VALU_DEP_2)
	v_and_b32_e32 v131, 7, v134
; %bb.1830:                             ;   in Loop: Header=BB281_1059 Depth=1
	s_wait_alu 0xfffe
	s_or_b32 exec_lo, exec_lo, s16
	v_lshlrev_b32_e32 v0, 8, v132
	v_lshl_add_u32 v132, v133, 10, 0x2000
	v_lshlrev_b32_e32 v131, 23, v131
	s_delay_alu instid0(VALU_DEP_2) | instskip(NEXT) | instid1(VALU_DEP_1)
	v_and_or_b32 v0, 0x8000, v0, v132
	v_lshl_or_b32 v131, v0, 16, v131
.LBB281_1831:                           ;   in Loop: Header=BB281_1059 Depth=1
	s_wait_alu 0xfffe
	s_or_b32 exec_lo, exec_lo, s15
.LBB281_1832:                           ;   in Loop: Header=BB281_1059 Depth=1
	s_wait_alu 0xfffe
	s_or_b32 exec_lo, exec_lo, s14
.LBB281_1833:                           ;   in Loop: Header=BB281_1059 Depth=1
	s_wait_alu 0xfffe
	s_or_b32 exec_lo, exec_lo, s9
	v_lshrrev_b32_e32 v0, 16, v11
	s_mov_b32 s9, exec_lo
	s_delay_alu instid0(VALU_DEP_1) | instskip(NEXT) | instid1(VALU_DEP_1)
	v_and_b32_e32 v132, 0xff, v0
	v_cmpx_ne_u16_e64 0, v132
	s_cbranch_execz .LBB281_1841
; %bb.1834:                             ;   in Loop: Header=BB281_1059 Depth=1
	v_mov_b32_e32 v129, 0x8000
	s_mov_b32 s14, exec_lo
	v_cmpx_ne_u16_e64 0x80, v132
	s_cbranch_execz .LBB281_1840
; %bb.1835:                             ;   in Loop: Header=BB281_1059 Depth=1
	v_bfe_u32 v133, v11, 16, 7
	v_mov_b32_e32 v129, 0x7c01
	s_mov_b32 s15, exec_lo
	s_delay_alu instid0(VALU_DEP_2)
	v_cmpx_ne_u32_e32 0x7f, v133
	s_cbranch_execz .LBB281_1839
; %bb.1836:                             ;   in Loop: Header=BB281_1059 Depth=1
	v_and_b32_e32 v129, 7, v0
	v_lshrrev_b32_e32 v132, 3, v133
	s_mov_b32 s16, exec_lo
	v_cmpx_gt_u32_e32 8, v133
; %bb.1837:                             ;   in Loop: Header=BB281_1059 Depth=1
	s_delay_alu instid0(VALU_DEP_3) | instskip(NEXT) | instid1(VALU_DEP_1)
	v_clz_i32_u32_e32 v129, v129
	v_min_u32_e32 v129, 32, v129
	s_delay_alu instid0(VALU_DEP_1) | instskip(NEXT) | instid1(VALU_DEP_1)
	v_subrev_nc_u32_e32 v132, 28, v129
	v_lshlrev_b64_e32 v[133:134], v132, v[0:1]
	v_sub_nc_u32_e32 v132, 29, v129
	s_delay_alu instid0(VALU_DEP_2)
	v_and_b32_e32 v129, 7, v133
; %bb.1838:                             ;   in Loop: Header=BB281_1059 Depth=1
	s_wait_alu 0xfffe
	s_or_b32 exec_lo, exec_lo, s16
	v_lshlrev_b32_e32 v0, 8, v0
	v_lshl_add_u32 v132, v132, 10, 0x2000
	v_lshlrev_b32_e32 v129, 7, v129
	s_delay_alu instid0(VALU_DEP_3) | instskip(NEXT) | instid1(VALU_DEP_3)
	v_and_b32_e32 v0, 0x8000, v0
	v_and_b32_e32 v132, 0xfc00, v132
	s_delay_alu instid0(VALU_DEP_1)
	v_or3_b32 v129, v0, v132, v129
.LBB281_1839:                           ;   in Loop: Header=BB281_1059 Depth=1
	s_wait_alu 0xfffe
	s_or_b32 exec_lo, exec_lo, s15
.LBB281_1840:                           ;   in Loop: Header=BB281_1059 Depth=1
	s_wait_alu 0xfffe
	s_or_b32 exec_lo, exec_lo, s14
.LBB281_1841:                           ;   in Loop: Header=BB281_1059 Depth=1
	s_wait_alu 0xfffe
	s_or_b32 exec_lo, exec_lo, s9
	v_cmp_lt_u64_e64 s1, s[4:5], v[10:11]
	v_mov_b32_e32 v10, 0
	s_and_saveexec_b32 s9, s1
	s_cbranch_execz .LBB281_1849
; %bb.1842:                             ;   in Loop: Header=BB281_1059 Depth=1
	v_lshrrev_b32_e32 v0, 24, v11
	v_bfrev_b32_e32 v10, 1
	s_mov_b32 s14, exec_lo
	s_delay_alu instid0(VALU_DEP_2)
	v_cmpx_ne_u32_e32 0x80, v0
	s_cbranch_execz .LBB281_1848
; %bb.1843:                             ;   in Loop: Header=BB281_1059 Depth=1
	v_and_b32_e32 v132, 0x7f, v0
	v_mov_b32_e32 v10, 0x7c010000
	s_mov_b32 s15, exec_lo
	s_delay_alu instid0(VALU_DEP_2)
	v_cmpx_ne_u32_e32 0x7f, v132
	s_cbranch_execz .LBB281_1847
; %bb.1844:                             ;   in Loop: Header=BB281_1059 Depth=1
	v_and_b32_e32 v10, 7, v0
	v_lshrrev_b32_e32 v11, 3, v132
	s_mov_b32 s16, exec_lo
	v_cmpx_gt_u32_e32 8, v132
; %bb.1845:                             ;   in Loop: Header=BB281_1059 Depth=1
	s_delay_alu instid0(VALU_DEP_3) | instskip(NEXT) | instid1(VALU_DEP_1)
	v_clz_i32_u32_e32 v10, v10
	v_min_u32_e32 v132, 32, v10
	s_delay_alu instid0(VALU_DEP_1) | instskip(NEXT) | instid1(VALU_DEP_1)
	v_subrev_nc_u32_e32 v10, 28, v132
	v_lshlrev_b64_e32 v[10:11], v10, v[0:1]
	v_sub_nc_u32_e32 v11, 29, v132
	s_delay_alu instid0(VALU_DEP_2)
	v_and_b32_e32 v10, 7, v10
; %bb.1846:                             ;   in Loop: Header=BB281_1059 Depth=1
	s_wait_alu 0xfffe
	s_or_b32 exec_lo, exec_lo, s16
	v_lshlrev_b32_e32 v0, 8, v0
	v_lshl_add_u32 v11, v11, 10, 0x2000
	v_lshlrev_b32_e32 v10, 23, v10
	s_delay_alu instid0(VALU_DEP_2) | instskip(NEXT) | instid1(VALU_DEP_1)
	v_and_or_b32 v0, 0x8000, v0, v11
	v_lshl_or_b32 v10, v0, 16, v10
.LBB281_1847:                           ;   in Loop: Header=BB281_1059 Depth=1
	s_wait_alu 0xfffe
	s_or_b32 exec_lo, exec_lo, s15
.LBB281_1848:                           ;   in Loop: Header=BB281_1059 Depth=1
	s_wait_alu 0xfffe
	s_or_b32 exec_lo, exec_lo, s14
.LBB281_1849:                           ;   in Loop: Header=BB281_1059 Depth=1
	s_wait_alu 0xfffe
	s_or_b32 exec_lo, exec_lo, s9
	v_or_b32_e32 v0, v119, v128
	s_wait_loadcnt_dscnt 0x0
	v_fma_mixlo_f16 v11, v116, v119, 0 op_sel:[0,1,0] op_sel_hi:[0,1,0]
	v_or_b32_e32 v119, v117, v118
	v_fma_mixlo_f16 v117, v116, v117, 0 op_sel:[0,1,0] op_sel_hi:[0,1,0]
	v_or_b32_e32 v128, v131, v130
	v_or_b32_e32 v129, v10, v129
	v_fma_mixlo_f16 v130, v116, v0, 0 op_sel_hi:[0,1,0]
	v_fma_mixlo_f16 v10, v116, v10, 0 op_sel:[0,1,0] op_sel_hi:[0,1,0]
	v_lshlrev_b32_e32 v118, 16, v117
	v_fma_mixlo_f16 v117, v116, v119, 0 op_sel_hi:[0,1,0]
	v_fma_mixlo_f16 v119, v116, v131, 0 op_sel:[0,1,0] op_sel_hi:[0,1,0]
	v_fma_mixlo_f16 v128, v116, v128, 0 op_sel_hi:[0,1,0]
	v_fma_mixlo_f16 v129, v116, v129, 0 op_sel_hi:[0,1,0]
	v_lshlrev_b32_e32 v0, 16, v11
	v_and_b32_e32 v11, 0xffff, v130
	v_and_b32_e32 v132, 0xffff, v117
	v_lshlrev_b32_e32 v116, 16, v119
	v_and_b32_e32 v128, 0xffff, v128
	v_lshlrev_b32_e32 v10, 16, v10
	v_and_b32_e32 v117, 0xffff, v129
	v_or_b32_e32 v119, v0, v11
	v_or_b32_e32 v131, v118, v132
	;; [unrolled: 1-line block ×3, first 2 shown]
	s_delay_alu instid0(VALU_DEP_4)
	v_or_b32_e32 v129, v10, v117
	s_and_saveexec_b32 s9, vcc_lo
	s_cbranch_execz .LBB281_1851
; %bb.1850:                             ;   in Loop: Header=BB281_1059 Depth=1
	v_cmp_lt_i32_e64 s1, v23, v32
	s_wait_alu 0xf1ff
	s_delay_alu instid0(VALU_DEP_1) | instskip(SKIP_2) | instid1(VALU_DEP_1)
	v_cndmask_b32_e64 v119, 0, v132, s1
	v_cmp_lt_i32_e64 s1, v71, v32
	s_wait_alu 0xf1ff
	v_cndmask_b32_e64 v118, 0, v118, s1
	v_cmp_lt_i32_e64 s1, v70, v32
	s_delay_alu instid0(VALU_DEP_2) | instskip(SKIP_1) | instid1(VALU_DEP_2)
	v_or_b32_e32 v131, v119, v118
	s_wait_alu 0xf1ff
	v_cndmask_b32_e64 v11, 0, v11, s1
	v_cmp_lt_i32_e64 s1, v69, v32
	s_wait_alu 0xf1ff
	s_delay_alu instid0(VALU_DEP_1) | instskip(SKIP_1) | instid1(VALU_DEP_2)
	v_cndmask_b32_e64 v0, 0, v0, s1
	v_cmp_lt_i32_e64 s1, v68, v32
	v_or_b32_e32 v119, v11, v0
	s_wait_alu 0xf1ff
	s_delay_alu instid0(VALU_DEP_2) | instskip(SKIP_2) | instid1(VALU_DEP_1)
	v_cndmask_b32_e64 v128, 0, v128, s1
	v_cmp_lt_i32_e64 s1, v67, v32
	s_wait_alu 0xf1ff
	v_cndmask_b32_e64 v116, 0, v116, s1
	v_cmp_lt_i32_e64 s1, v66, v32
	s_delay_alu instid0(VALU_DEP_2) | instskip(SKIP_1) | instid1(VALU_DEP_2)
	v_or_b32_e32 v130, v128, v116
	s_wait_alu 0xf1ff
	v_cndmask_b32_e64 v117, 0, v117, s1
	v_cmp_lt_i32_e64 s1, v14, v32
	s_wait_alu 0xf1ff
	s_delay_alu instid0(VALU_DEP_1) | instskip(NEXT) | instid1(VALU_DEP_1)
	v_cndmask_b32_e64 v10, 0, v10, s1
	v_or_b32_e32 v129, v117, v10
.LBB281_1851:                           ;   in Loop: Header=BB281_1059 Depth=1
	s_wait_alu 0xfffe
	s_or_b32 exec_lo, exec_lo, s9
	;;#ASMSTART
	v_pk_mul_f16 v0, v64, v131;

	;;#ASMEND
	;;#ASMSTART
	v_pk_mul_f16 v10, v38, v119;

	;;#ASMEND
	;; [unrolled: 4-line block ×4, first 2 shown]
	;;#ASMSTART
	v_pk_add_f16 v0, v0, v10;

	;;#ASMEND
	;;#ASMSTART
	v_pk_add_f16 v0, v0, v11;

	;;#ASMEND
	;; [unrolled: 4-line block ×3, first 2 shown]
	v_dual_mov_b32 v119, 0 :: v_dual_and_b32 v10, 0xffff, v0
	v_lshrrev_b32_e32 v0, 16, v0
	;;#ASMSTART
	v_cvt_f32_f16 v116, v10;
	;;#ASMEND
	;;#ASMSTART
	v_cvt_f32_f16 v117, v0;
	;;#ASMEND
	flat_load_b64 v[10:11], v[8:9] offset:3072
	flat_load_b32 v118, v[26:27]
	v_mov_b32_e32 v128, 0
	s_mov_b32 s9, exec_lo
	s_wait_loadcnt_dscnt 0x101
	v_and_b32_e32 v0, 0xff, v10
	s_delay_alu instid0(VALU_DEP_1)
	v_cmpx_ne_u16_e32 0, v0
	s_cbranch_execz .LBB281_1859
; %bb.1852:                             ;   in Loop: Header=BB281_1059 Depth=1
	v_mov_b32_e32 v128, 0x8000
	s_mov_b32 s14, exec_lo
	v_cmpx_ne_u16_e32 0x80, v0
	s_cbranch_execz .LBB281_1858
; %bb.1853:                             ;   in Loop: Header=BB281_1059 Depth=1
	v_and_b32_e32 v129, 0x7f, v10
	v_mov_b32_e32 v128, 0x7c01
	s_mov_b32 s15, exec_lo
	s_delay_alu instid0(VALU_DEP_2)
	v_cmpx_ne_u32_e32 0x7f, v129
	s_cbranch_execz .LBB281_1857
; %bb.1854:                             ;   in Loop: Header=BB281_1059 Depth=1
	v_and_b32_e32 v0, 7, v10
	v_lshrrev_b32_e32 v128, 3, v129
	s_mov_b32 s16, exec_lo
	v_cmpx_gt_u32_e32 8, v129
; %bb.1855:                             ;   in Loop: Header=BB281_1059 Depth=1
	s_delay_alu instid0(VALU_DEP_3) | instskip(NEXT) | instid1(VALU_DEP_1)
	v_clz_i32_u32_e32 v0, v0
	v_min_u32_e32 v0, 32, v0
	s_delay_alu instid0(VALU_DEP_1) | instskip(NEXT) | instid1(VALU_DEP_1)
	v_subrev_nc_u32_e32 v128, 28, v0
	v_lshlrev_b64_e32 v[129:130], v128, v[10:11]
	v_sub_nc_u32_e32 v128, 29, v0
	s_delay_alu instid0(VALU_DEP_2)
	v_and_b32_e32 v0, 7, v129
; %bb.1856:                             ;   in Loop: Header=BB281_1059 Depth=1
	s_wait_alu 0xfffe
	s_or_b32 exec_lo, exec_lo, s16
	v_lshlrev_b32_e32 v129, 8, v10
	v_lshl_add_u32 v128, v128, 10, 0x2000
	v_lshlrev_b32_e32 v0, 7, v0
	s_delay_alu instid0(VALU_DEP_3) | instskip(NEXT) | instid1(VALU_DEP_3)
	v_and_b32_e32 v129, 0x8000, v129
	v_and_b32_e32 v128, 0xfc00, v128
	s_delay_alu instid0(VALU_DEP_1)
	v_or3_b32 v128, v129, v128, v0
.LBB281_1857:                           ;   in Loop: Header=BB281_1059 Depth=1
	s_wait_alu 0xfffe
	s_or_b32 exec_lo, exec_lo, s15
.LBB281_1858:                           ;   in Loop: Header=BB281_1059 Depth=1
	s_wait_alu 0xfffe
	s_or_b32 exec_lo, exec_lo, s14
.LBB281_1859:                           ;   in Loop: Header=BB281_1059 Depth=1
	s_wait_alu 0xfffe
	s_or_b32 exec_lo, exec_lo, s9
	v_lshrrev_b16 v0, 8, v10
	s_mov_b32 s9, exec_lo
	s_delay_alu instid0(VALU_DEP_1)
	v_cmpx_ne_u16_e32 0, v0
	s_cbranch_execz .LBB281_1867
; %bb.1860:                             ;   in Loop: Header=BB281_1059 Depth=1
	v_bfrev_b32_e32 v119, 1
	s_mov_b32 s14, exec_lo
	v_cmpx_ne_u16_e32 0x80, v0
	s_cbranch_execz .LBB281_1866
; %bb.1861:                             ;   in Loop: Header=BB281_1059 Depth=1
	v_and_b32_e32 v129, 0xffff, v0
	v_mov_b32_e32 v119, 0x7c010000
	s_mov_b32 s15, exec_lo
	s_delay_alu instid0(VALU_DEP_2) | instskip(NEXT) | instid1(VALU_DEP_1)
	v_and_b32_e32 v131, 0x7f, v129
	v_cmpx_ne_u32_e32 0x7f, v131
	s_cbranch_execz .LBB281_1865
; %bb.1862:                             ;   in Loop: Header=BB281_1059 Depth=1
	v_and_b32_e32 v119, 7, v129
	v_lshrrev_b32_e32 v130, 3, v131
	s_mov_b32 s16, exec_lo
	v_cmpx_gt_u32_e32 8, v131
; %bb.1863:                             ;   in Loop: Header=BB281_1059 Depth=1
	s_delay_alu instid0(VALU_DEP_3) | instskip(NEXT) | instid1(VALU_DEP_1)
	v_clz_i32_u32_e32 v119, v119
	v_min_u32_e32 v119, 32, v119
	s_delay_alu instid0(VALU_DEP_1) | instskip(NEXT) | instid1(VALU_DEP_1)
	v_subrev_nc_u32_e32 v130, 28, v119
	v_lshlrev_b64_e32 v[131:132], v130, v[0:1]
	v_sub_nc_u32_e32 v130, 29, v119
	s_delay_alu instid0(VALU_DEP_2)
	v_and_b32_e32 v119, 7, v131
; %bb.1864:                             ;   in Loop: Header=BB281_1059 Depth=1
	s_wait_alu 0xfffe
	s_or_b32 exec_lo, exec_lo, s16
	v_lshlrev_b32_e32 v0, 8, v129
	v_lshl_add_u32 v129, v130, 10, 0x2000
	v_lshlrev_b32_e32 v119, 23, v119
	s_delay_alu instid0(VALU_DEP_2) | instskip(NEXT) | instid1(VALU_DEP_1)
	v_and_or_b32 v0, 0x8000, v0, v129
	v_lshl_or_b32 v119, v0, 16, v119
.LBB281_1865:                           ;   in Loop: Header=BB281_1059 Depth=1
	s_wait_alu 0xfffe
	s_or_b32 exec_lo, exec_lo, s15
.LBB281_1866:                           ;   in Loop: Header=BB281_1059 Depth=1
	s_wait_alu 0xfffe
	s_or_b32 exec_lo, exec_lo, s14
.LBB281_1867:                           ;   in Loop: Header=BB281_1059 Depth=1
	s_wait_alu 0xfffe
	s_or_b32 exec_lo, exec_lo, s9
	v_lshrrev_b32_e32 v0, 16, v10
	v_mov_b32_e32 v129, 0
	s_mov_b32 s9, exec_lo
	s_delay_alu instid0(VALU_DEP_2) | instskip(NEXT) | instid1(VALU_DEP_1)
	v_dual_mov_b32 v130, 0 :: v_dual_and_b32 v131, 0xff, v0
	v_cmpx_ne_u16_e64 0, v131
	s_cbranch_execz .LBB281_1875
; %bb.1868:                             ;   in Loop: Header=BB281_1059 Depth=1
	v_mov_b32_e32 v130, 0x8000
	s_mov_b32 s14, exec_lo
	v_cmpx_ne_u16_e64 0x80, v131
	s_cbranch_execz .LBB281_1874
; %bb.1869:                             ;   in Loop: Header=BB281_1059 Depth=1
	v_bfe_u32 v132, v10, 16, 7
	v_mov_b32_e32 v130, 0x7c01
	s_mov_b32 s15, exec_lo
	s_delay_alu instid0(VALU_DEP_2)
	v_cmpx_ne_u32_e32 0x7f, v132
	s_cbranch_execz .LBB281_1873
; %bb.1870:                             ;   in Loop: Header=BB281_1059 Depth=1
	v_and_b32_e32 v130, 7, v0
	v_lshrrev_b32_e32 v131, 3, v132
	s_mov_b32 s16, exec_lo
	v_cmpx_gt_u32_e32 8, v132
; %bb.1871:                             ;   in Loop: Header=BB281_1059 Depth=1
	s_delay_alu instid0(VALU_DEP_3) | instskip(NEXT) | instid1(VALU_DEP_1)
	v_clz_i32_u32_e32 v130, v130
	v_min_u32_e32 v132, 32, v130
	s_delay_alu instid0(VALU_DEP_1) | instskip(NEXT) | instid1(VALU_DEP_1)
	v_subrev_nc_u32_e32 v130, 28, v132
	v_lshlrev_b64_e32 v[130:131], v130, v[0:1]
	v_sub_nc_u32_e32 v131, 29, v132
	s_delay_alu instid0(VALU_DEP_2)
	v_and_b32_e32 v130, 7, v130
; %bb.1872:                             ;   in Loop: Header=BB281_1059 Depth=1
	s_wait_alu 0xfffe
	s_or_b32 exec_lo, exec_lo, s16
	v_lshlrev_b32_e32 v0, 8, v0
	v_lshl_add_u32 v131, v131, 10, 0x2000
	v_lshlrev_b32_e32 v130, 7, v130
	s_delay_alu instid0(VALU_DEP_3) | instskip(NEXT) | instid1(VALU_DEP_3)
	v_and_b32_e32 v0, 0x8000, v0
	v_and_b32_e32 v131, 0xfc00, v131
	s_delay_alu instid0(VALU_DEP_1)
	v_or3_b32 v130, v0, v131, v130
.LBB281_1873:                           ;   in Loop: Header=BB281_1059 Depth=1
	s_wait_alu 0xfffe
	s_or_b32 exec_lo, exec_lo, s15
.LBB281_1874:                           ;   in Loop: Header=BB281_1059 Depth=1
	s_wait_alu 0xfffe
	s_or_b32 exec_lo, exec_lo, s14
.LBB281_1875:                           ;   in Loop: Header=BB281_1059 Depth=1
	s_wait_alu 0xfffe
	s_or_b32 exec_lo, exec_lo, s9
	s_delay_alu instid0(SALU_CYCLE_1)
	s_mov_b32 s9, exec_lo
	v_cmpx_lt_u32_e32 0xffffff, v10
	s_cbranch_execz .LBB281_1883
; %bb.1876:                             ;   in Loop: Header=BB281_1059 Depth=1
	v_lshrrev_b32_e32 v0, 24, v10
	v_bfrev_b32_e32 v129, 1
	s_mov_b32 s14, exec_lo
	s_delay_alu instid0(VALU_DEP_2)
	v_cmpx_ne_u32_e32 0x80, v0
	s_cbranch_execz .LBB281_1882
; %bb.1877:                             ;   in Loop: Header=BB281_1059 Depth=1
	v_and_b32_e32 v132, 0x7f, v0
	v_mov_b32_e32 v129, 0x7c010000
	s_mov_b32 s15, exec_lo
	s_delay_alu instid0(VALU_DEP_2)
	v_cmpx_ne_u32_e32 0x7f, v132
	s_cbranch_execz .LBB281_1881
; %bb.1878:                             ;   in Loop: Header=BB281_1059 Depth=1
	v_and_b32_e32 v129, 7, v0
	v_lshrrev_b32_e32 v131, 3, v132
	s_mov_b32 s16, exec_lo
	v_cmpx_gt_u32_e32 8, v132
; %bb.1879:                             ;   in Loop: Header=BB281_1059 Depth=1
	s_delay_alu instid0(VALU_DEP_3) | instskip(NEXT) | instid1(VALU_DEP_1)
	v_clz_i32_u32_e32 v129, v129
	v_min_u32_e32 v129, 32, v129
	s_delay_alu instid0(VALU_DEP_1) | instskip(NEXT) | instid1(VALU_DEP_1)
	v_subrev_nc_u32_e32 v131, 28, v129
	v_lshlrev_b64_e32 v[132:133], v131, v[0:1]
	v_sub_nc_u32_e32 v131, 29, v129
	s_delay_alu instid0(VALU_DEP_2)
	v_and_b32_e32 v129, 7, v132
; %bb.1880:                             ;   in Loop: Header=BB281_1059 Depth=1
	s_wait_alu 0xfffe
	s_or_b32 exec_lo, exec_lo, s16
	v_lshlrev_b32_e32 v0, 8, v0
	v_lshl_add_u32 v131, v131, 10, 0x2000
	v_lshlrev_b32_e32 v129, 23, v129
	s_delay_alu instid0(VALU_DEP_2) | instskip(NEXT) | instid1(VALU_DEP_1)
	v_and_or_b32 v0, 0x8000, v0, v131
	v_lshl_or_b32 v129, v0, 16, v129
.LBB281_1881:                           ;   in Loop: Header=BB281_1059 Depth=1
	s_wait_alu 0xfffe
	s_or_b32 exec_lo, exec_lo, s15
.LBB281_1882:                           ;   in Loop: Header=BB281_1059 Depth=1
	s_wait_alu 0xfffe
	s_or_b32 exec_lo, exec_lo, s14
.LBB281_1883:                           ;   in Loop: Header=BB281_1059 Depth=1
	s_wait_alu 0xfffe
	s_or_b32 exec_lo, exec_lo, s9
	v_dual_mov_b32 v0, v11 :: v_dual_and_b32 v133, 0xff, v11
	v_dual_mov_b32 v131, 0 :: v_dual_mov_b32 v132, 0
	s_mov_b32 s9, exec_lo
	s_delay_alu instid0(VALU_DEP_2)
	v_cmpx_ne_u16_e64 0, v133
	s_cbranch_execz .LBB281_1891
; %bb.1884:                             ;   in Loop: Header=BB281_1059 Depth=1
	v_mov_b32_e32 v132, 0x8000
	s_mov_b32 s14, exec_lo
	v_cmpx_ne_u16_e64 0x80, v133
	s_cbranch_execz .LBB281_1890
; %bb.1885:                             ;   in Loop: Header=BB281_1059 Depth=1
	v_and_b32_e32 v134, 0x7f, v11
	v_mov_b32_e32 v132, 0x7c01
	s_mov_b32 s15, exec_lo
	s_delay_alu instid0(VALU_DEP_2)
	v_cmpx_ne_u32_e32 0x7f, v134
	s_cbranch_execz .LBB281_1889
; %bb.1886:                             ;   in Loop: Header=BB281_1059 Depth=1
	v_and_b32_e32 v132, 7, v11
	v_lshrrev_b32_e32 v133, 3, v134
	s_mov_b32 s16, exec_lo
	v_cmpx_gt_u32_e32 8, v134
; %bb.1887:                             ;   in Loop: Header=BB281_1059 Depth=1
	s_delay_alu instid0(VALU_DEP_3) | instskip(NEXT) | instid1(VALU_DEP_1)
	v_clz_i32_u32_e32 v132, v132
	v_min_u32_e32 v134, 32, v132
	s_delay_alu instid0(VALU_DEP_1) | instskip(NEXT) | instid1(VALU_DEP_1)
	v_subrev_nc_u32_e32 v132, 28, v134
	v_lshlrev_b64_e32 v[132:133], v132, v[0:1]
	v_sub_nc_u32_e32 v133, 29, v134
	s_delay_alu instid0(VALU_DEP_2)
	v_and_b32_e32 v132, 7, v132
; %bb.1888:                             ;   in Loop: Header=BB281_1059 Depth=1
	s_wait_alu 0xfffe
	s_or_b32 exec_lo, exec_lo, s16
	v_lshlrev_b32_e32 v134, 8, v11
	v_lshl_add_u32 v133, v133, 10, 0x2000
	v_lshlrev_b32_e32 v132, 7, v132
	s_delay_alu instid0(VALU_DEP_3) | instskip(NEXT) | instid1(VALU_DEP_3)
	v_and_b32_e32 v134, 0x8000, v134
	v_and_b32_e32 v133, 0xfc00, v133
	s_delay_alu instid0(VALU_DEP_1)
	v_or3_b32 v132, v134, v133, v132
.LBB281_1889:                           ;   in Loop: Header=BB281_1059 Depth=1
	s_wait_alu 0xfffe
	s_or_b32 exec_lo, exec_lo, s15
.LBB281_1890:                           ;   in Loop: Header=BB281_1059 Depth=1
	s_wait_alu 0xfffe
	s_or_b32 exec_lo, exec_lo, s14
.LBB281_1891:                           ;   in Loop: Header=BB281_1059 Depth=1
	s_wait_alu 0xfffe
	s_or_b32 exec_lo, exec_lo, s9
	v_lshrrev_b16 v0, 8, v0
	v_mov_b32_e32 v133, 0
	s_mov_b32 s9, exec_lo
	s_delay_alu instid0(VALU_DEP_2)
	v_cmpx_ne_u16_e32 0, v0
	s_cbranch_execz .LBB281_1899
; %bb.1892:                             ;   in Loop: Header=BB281_1059 Depth=1
	v_bfrev_b32_e32 v133, 1
	s_mov_b32 s14, exec_lo
	v_cmpx_ne_u16_e32 0x80, v0
	s_cbranch_execz .LBB281_1898
; %bb.1893:                             ;   in Loop: Header=BB281_1059 Depth=1
	v_and_b32_e32 v134, 0xffff, v0
	v_mov_b32_e32 v133, 0x7c010000
	s_mov_b32 s15, exec_lo
	s_delay_alu instid0(VALU_DEP_2) | instskip(NEXT) | instid1(VALU_DEP_1)
	v_and_b32_e32 v144, 0x7f, v134
	v_cmpx_ne_u32_e32 0x7f, v144
	s_cbranch_execz .LBB281_1897
; %bb.1894:                             ;   in Loop: Header=BB281_1059 Depth=1
	v_and_b32_e32 v133, 7, v134
	v_lshrrev_b32_e32 v135, 3, v144
	s_mov_b32 s16, exec_lo
	v_cmpx_gt_u32_e32 8, v144
; %bb.1895:                             ;   in Loop: Header=BB281_1059 Depth=1
	s_delay_alu instid0(VALU_DEP_3) | instskip(NEXT) | instid1(VALU_DEP_1)
	v_clz_i32_u32_e32 v133, v133
	v_min_u32_e32 v133, 32, v133
	s_delay_alu instid0(VALU_DEP_1) | instskip(NEXT) | instid1(VALU_DEP_1)
	v_subrev_nc_u32_e32 v135, 28, v133
	v_lshlrev_b64_e32 v[144:145], v135, v[0:1]
	v_sub_nc_u32_e32 v135, 29, v133
	s_delay_alu instid0(VALU_DEP_2)
	v_and_b32_e32 v133, 7, v144
; %bb.1896:                             ;   in Loop: Header=BB281_1059 Depth=1
	s_wait_alu 0xfffe
	s_or_b32 exec_lo, exec_lo, s16
	v_lshlrev_b32_e32 v0, 8, v134
	v_lshl_add_u32 v134, v135, 10, 0x2000
	v_lshlrev_b32_e32 v133, 23, v133
	s_delay_alu instid0(VALU_DEP_2) | instskip(NEXT) | instid1(VALU_DEP_1)
	v_and_or_b32 v0, 0x8000, v0, v134
	v_lshl_or_b32 v133, v0, 16, v133
.LBB281_1897:                           ;   in Loop: Header=BB281_1059 Depth=1
	s_wait_alu 0xfffe
	s_or_b32 exec_lo, exec_lo, s15
.LBB281_1898:                           ;   in Loop: Header=BB281_1059 Depth=1
	s_wait_alu 0xfffe
	s_or_b32 exec_lo, exec_lo, s14
.LBB281_1899:                           ;   in Loop: Header=BB281_1059 Depth=1
	s_wait_alu 0xfffe
	s_or_b32 exec_lo, exec_lo, s9
	v_lshrrev_b32_e32 v0, 16, v11
	s_mov_b32 s9, exec_lo
	s_delay_alu instid0(VALU_DEP_1) | instskip(NEXT) | instid1(VALU_DEP_1)
	v_and_b32_e32 v134, 0xff, v0
	v_cmpx_ne_u16_e64 0, v134
	s_cbranch_execz .LBB281_1907
; %bb.1900:                             ;   in Loop: Header=BB281_1059 Depth=1
	v_mov_b32_e32 v131, 0x8000
	s_mov_b32 s14, exec_lo
	v_cmpx_ne_u16_e64 0x80, v134
	s_cbranch_execz .LBB281_1906
; %bb.1901:                             ;   in Loop: Header=BB281_1059 Depth=1
	v_bfe_u32 v135, v11, 16, 7
	v_mov_b32_e32 v131, 0x7c01
	s_mov_b32 s15, exec_lo
	s_delay_alu instid0(VALU_DEP_2)
	v_cmpx_ne_u32_e32 0x7f, v135
	s_cbranch_execz .LBB281_1905
; %bb.1902:                             ;   in Loop: Header=BB281_1059 Depth=1
	v_and_b32_e32 v131, 7, v0
	v_lshrrev_b32_e32 v134, 3, v135
	s_mov_b32 s16, exec_lo
	v_cmpx_gt_u32_e32 8, v135
; %bb.1903:                             ;   in Loop: Header=BB281_1059 Depth=1
	s_delay_alu instid0(VALU_DEP_3) | instskip(NEXT) | instid1(VALU_DEP_1)
	v_clz_i32_u32_e32 v131, v131
	v_min_u32_e32 v131, 32, v131
	s_delay_alu instid0(VALU_DEP_1) | instskip(NEXT) | instid1(VALU_DEP_1)
	v_subrev_nc_u32_e32 v134, 28, v131
	v_lshlrev_b64_e32 v[144:145], v134, v[0:1]
	v_sub_nc_u32_e32 v134, 29, v131
	s_delay_alu instid0(VALU_DEP_2)
	v_and_b32_e32 v131, 7, v144
; %bb.1904:                             ;   in Loop: Header=BB281_1059 Depth=1
	s_wait_alu 0xfffe
	s_or_b32 exec_lo, exec_lo, s16
	v_lshlrev_b32_e32 v0, 8, v0
	v_lshl_add_u32 v134, v134, 10, 0x2000
	v_lshlrev_b32_e32 v131, 7, v131
	s_delay_alu instid0(VALU_DEP_3) | instskip(NEXT) | instid1(VALU_DEP_3)
	v_and_b32_e32 v0, 0x8000, v0
	v_and_b32_e32 v134, 0xfc00, v134
	s_delay_alu instid0(VALU_DEP_1)
	v_or3_b32 v131, v0, v134, v131
.LBB281_1905:                           ;   in Loop: Header=BB281_1059 Depth=1
	s_wait_alu 0xfffe
	s_or_b32 exec_lo, exec_lo, s15
.LBB281_1906:                           ;   in Loop: Header=BB281_1059 Depth=1
	s_wait_alu 0xfffe
	s_or_b32 exec_lo, exec_lo, s14
.LBB281_1907:                           ;   in Loop: Header=BB281_1059 Depth=1
	s_wait_alu 0xfffe
	s_or_b32 exec_lo, exec_lo, s9
	v_cmp_lt_u64_e64 s1, s[4:5], v[10:11]
	v_mov_b32_e32 v10, 0
	s_and_saveexec_b32 s9, s1
	s_cbranch_execz .LBB281_1915
; %bb.1908:                             ;   in Loop: Header=BB281_1059 Depth=1
	v_lshrrev_b32_e32 v0, 24, v11
	v_bfrev_b32_e32 v10, 1
	s_mov_b32 s14, exec_lo
	s_delay_alu instid0(VALU_DEP_2)
	v_cmpx_ne_u32_e32 0x80, v0
	s_cbranch_execz .LBB281_1914
; %bb.1909:                             ;   in Loop: Header=BB281_1059 Depth=1
	v_and_b32_e32 v134, 0x7f, v0
	v_mov_b32_e32 v10, 0x7c010000
	s_mov_b32 s15, exec_lo
	s_delay_alu instid0(VALU_DEP_2)
	v_cmpx_ne_u32_e32 0x7f, v134
	s_cbranch_execz .LBB281_1913
; %bb.1910:                             ;   in Loop: Header=BB281_1059 Depth=1
	v_and_b32_e32 v10, 7, v0
	v_lshrrev_b32_e32 v11, 3, v134
	s_mov_b32 s16, exec_lo
	v_cmpx_gt_u32_e32 8, v134
; %bb.1911:                             ;   in Loop: Header=BB281_1059 Depth=1
	s_delay_alu instid0(VALU_DEP_3) | instskip(NEXT) | instid1(VALU_DEP_1)
	v_clz_i32_u32_e32 v10, v10
	v_min_u32_e32 v134, 32, v10
	s_delay_alu instid0(VALU_DEP_1) | instskip(NEXT) | instid1(VALU_DEP_1)
	v_subrev_nc_u32_e32 v10, 28, v134
	v_lshlrev_b64_e32 v[10:11], v10, v[0:1]
	v_sub_nc_u32_e32 v11, 29, v134
	s_delay_alu instid0(VALU_DEP_2)
	v_and_b32_e32 v10, 7, v10
; %bb.1912:                             ;   in Loop: Header=BB281_1059 Depth=1
	s_wait_alu 0xfffe
	s_or_b32 exec_lo, exec_lo, s16
	v_lshlrev_b32_e32 v0, 8, v0
	v_lshl_add_u32 v11, v11, 10, 0x2000
	v_lshlrev_b32_e32 v10, 23, v10
	s_delay_alu instid0(VALU_DEP_2) | instskip(NEXT) | instid1(VALU_DEP_1)
	v_and_or_b32 v0, 0x8000, v0, v11
	v_lshl_or_b32 v10, v0, 16, v10
.LBB281_1913:                           ;   in Loop: Header=BB281_1059 Depth=1
	s_wait_alu 0xfffe
	s_or_b32 exec_lo, exec_lo, s15
.LBB281_1914:                           ;   in Loop: Header=BB281_1059 Depth=1
	s_wait_alu 0xfffe
	s_or_b32 exec_lo, exec_lo, s14
.LBB281_1915:                           ;   in Loop: Header=BB281_1059 Depth=1
	s_wait_alu 0xfffe
	s_or_b32 exec_lo, exec_lo, s9
	v_or_b32_e32 v0, v129, v130
	s_wait_loadcnt_dscnt 0x0
	v_fma_mixlo_f16 v11, v118, v129, 0 op_sel:[0,1,0] op_sel_hi:[0,1,0]
	v_or_b32_e32 v129, v119, v128
	v_fma_mixlo_f16 v119, v118, v119, 0 op_sel:[0,1,0] op_sel_hi:[0,1,0]
	v_or_b32_e32 v130, v133, v132
	v_or_b32_e32 v131, v10, v131
	v_fma_mixlo_f16 v132, v118, v0, 0 op_sel_hi:[0,1,0]
	v_fma_mixlo_f16 v10, v118, v10, 0 op_sel:[0,1,0] op_sel_hi:[0,1,0]
	v_lshlrev_b32_e32 v128, 16, v119
	v_fma_mixlo_f16 v119, v118, v129, 0 op_sel_hi:[0,1,0]
	v_fma_mixlo_f16 v129, v118, v133, 0 op_sel:[0,1,0] op_sel_hi:[0,1,0]
	v_fma_mixlo_f16 v130, v118, v130, 0 op_sel_hi:[0,1,0]
	v_fma_mixlo_f16 v131, v118, v131, 0 op_sel_hi:[0,1,0]
	v_lshlrev_b32_e32 v0, 16, v11
	v_and_b32_e32 v11, 0xffff, v132
	v_and_b32_e32 v134, 0xffff, v119
	v_lshlrev_b32_e32 v118, 16, v129
	v_and_b32_e32 v130, 0xffff, v130
	v_lshlrev_b32_e32 v10, 16, v10
	v_and_b32_e32 v119, 0xffff, v131
	v_or_b32_e32 v129, v0, v11
	v_or_b32_e32 v133, v128, v134
	v_or_b32_e32 v132, v118, v130
	s_delay_alu instid0(VALU_DEP_4)
	v_or_b32_e32 v131, v10, v119
	s_and_saveexec_b32 s9, vcc_lo
	s_cbranch_execz .LBB281_1917
; %bb.1916:                             ;   in Loop: Header=BB281_1059 Depth=1
	v_cmp_lt_i32_e64 s1, v23, v32
	s_wait_alu 0xf1ff
	s_delay_alu instid0(VALU_DEP_1) | instskip(SKIP_2) | instid1(VALU_DEP_1)
	v_cndmask_b32_e64 v129, 0, v134, s1
	v_cmp_lt_i32_e64 s1, v71, v32
	s_wait_alu 0xf1ff
	v_cndmask_b32_e64 v128, 0, v128, s1
	v_cmp_lt_i32_e64 s1, v70, v32
	s_delay_alu instid0(VALU_DEP_2) | instskip(SKIP_1) | instid1(VALU_DEP_2)
	v_or_b32_e32 v133, v129, v128
	s_wait_alu 0xf1ff
	v_cndmask_b32_e64 v11, 0, v11, s1
	v_cmp_lt_i32_e64 s1, v69, v32
	s_wait_alu 0xf1ff
	s_delay_alu instid0(VALU_DEP_1) | instskip(SKIP_1) | instid1(VALU_DEP_2)
	v_cndmask_b32_e64 v0, 0, v0, s1
	v_cmp_lt_i32_e64 s1, v68, v32
	v_or_b32_e32 v129, v11, v0
	s_wait_alu 0xf1ff
	s_delay_alu instid0(VALU_DEP_2) | instskip(SKIP_2) | instid1(VALU_DEP_1)
	v_cndmask_b32_e64 v130, 0, v130, s1
	v_cmp_lt_i32_e64 s1, v67, v32
	s_wait_alu 0xf1ff
	v_cndmask_b32_e64 v118, 0, v118, s1
	v_cmp_lt_i32_e64 s1, v66, v32
	s_delay_alu instid0(VALU_DEP_2) | instskip(SKIP_1) | instid1(VALU_DEP_2)
	v_or_b32_e32 v132, v130, v118
	s_wait_alu 0xf1ff
	v_cndmask_b32_e64 v119, 0, v119, s1
	v_cmp_lt_i32_e64 s1, v14, v32
	s_wait_alu 0xf1ff
	s_delay_alu instid0(VALU_DEP_1) | instskip(NEXT) | instid1(VALU_DEP_1)
	v_cndmask_b32_e64 v10, 0, v10, s1
	v_or_b32_e32 v131, v119, v10
.LBB281_1917:                           ;   in Loop: Header=BB281_1059 Depth=1
	s_wait_alu 0xfffe
	s_or_b32 exec_lo, exec_lo, s9
	;;#ASMSTART
	v_pk_mul_f16 v0, v64, v133;

	;;#ASMEND
	;;#ASMSTART
	v_pk_mul_f16 v10, v38, v129;

	;;#ASMEND
	;; [unrolled: 4-line block ×4, first 2 shown]
	;;#ASMSTART
	v_pk_add_f16 v0, v0, v10;

	;;#ASMEND
	;;#ASMSTART
	v_pk_add_f16 v0, v0, v11;

	;;#ASMEND
	;;#ASMSTART
	v_pk_add_f16 v0, v0, v118;

	;;#ASMEND
	v_dual_mov_b32 v129, 0 :: v_dual_and_b32 v10, 0xffff, v0
	v_lshrrev_b32_e32 v0, 16, v0
	;;#ASMSTART
	v_cvt_f32_f16 v118, v10;
	;;#ASMEND
	;;#ASMSTART
	v_cvt_f32_f16 v119, v0;
	;;#ASMEND
	flat_load_b64 v[10:11], v[8:9] offset:3328
	flat_load_b32 v128, v[26:27]
	v_mov_b32_e32 v130, 0
	s_mov_b32 s9, exec_lo
	s_wait_loadcnt_dscnt 0x101
	v_and_b32_e32 v0, 0xff, v10
	s_delay_alu instid0(VALU_DEP_1)
	v_cmpx_ne_u16_e32 0, v0
	s_cbranch_execz .LBB281_1925
; %bb.1918:                             ;   in Loop: Header=BB281_1059 Depth=1
	v_mov_b32_e32 v130, 0x8000
	s_mov_b32 s14, exec_lo
	v_cmpx_ne_u16_e32 0x80, v0
	s_cbranch_execz .LBB281_1924
; %bb.1919:                             ;   in Loop: Header=BB281_1059 Depth=1
	v_and_b32_e32 v131, 0x7f, v10
	v_mov_b32_e32 v130, 0x7c01
	s_mov_b32 s15, exec_lo
	s_delay_alu instid0(VALU_DEP_2)
	v_cmpx_ne_u32_e32 0x7f, v131
	s_cbranch_execz .LBB281_1923
; %bb.1920:                             ;   in Loop: Header=BB281_1059 Depth=1
	v_and_b32_e32 v0, 7, v10
	v_lshrrev_b32_e32 v130, 3, v131
	s_mov_b32 s16, exec_lo
	v_cmpx_gt_u32_e32 8, v131
; %bb.1921:                             ;   in Loop: Header=BB281_1059 Depth=1
	s_delay_alu instid0(VALU_DEP_3) | instskip(NEXT) | instid1(VALU_DEP_1)
	v_clz_i32_u32_e32 v0, v0
	v_min_u32_e32 v0, 32, v0
	s_delay_alu instid0(VALU_DEP_1) | instskip(NEXT) | instid1(VALU_DEP_1)
	v_subrev_nc_u32_e32 v130, 28, v0
	v_lshlrev_b64_e32 v[131:132], v130, v[10:11]
	v_sub_nc_u32_e32 v130, 29, v0
	s_delay_alu instid0(VALU_DEP_2)
	v_and_b32_e32 v0, 7, v131
; %bb.1922:                             ;   in Loop: Header=BB281_1059 Depth=1
	s_wait_alu 0xfffe
	s_or_b32 exec_lo, exec_lo, s16
	v_lshlrev_b32_e32 v131, 8, v10
	v_lshl_add_u32 v130, v130, 10, 0x2000
	v_lshlrev_b32_e32 v0, 7, v0
	s_delay_alu instid0(VALU_DEP_3) | instskip(NEXT) | instid1(VALU_DEP_3)
	v_and_b32_e32 v131, 0x8000, v131
	v_and_b32_e32 v130, 0xfc00, v130
	s_delay_alu instid0(VALU_DEP_1)
	v_or3_b32 v130, v131, v130, v0
.LBB281_1923:                           ;   in Loop: Header=BB281_1059 Depth=1
	s_wait_alu 0xfffe
	s_or_b32 exec_lo, exec_lo, s15
.LBB281_1924:                           ;   in Loop: Header=BB281_1059 Depth=1
	s_wait_alu 0xfffe
	s_or_b32 exec_lo, exec_lo, s14
.LBB281_1925:                           ;   in Loop: Header=BB281_1059 Depth=1
	s_wait_alu 0xfffe
	s_or_b32 exec_lo, exec_lo, s9
	v_lshrrev_b16 v0, 8, v10
	s_mov_b32 s9, exec_lo
	s_delay_alu instid0(VALU_DEP_1)
	v_cmpx_ne_u16_e32 0, v0
	s_cbranch_execz .LBB281_1933
; %bb.1926:                             ;   in Loop: Header=BB281_1059 Depth=1
	v_bfrev_b32_e32 v129, 1
	s_mov_b32 s14, exec_lo
	v_cmpx_ne_u16_e32 0x80, v0
	s_cbranch_execz .LBB281_1932
; %bb.1927:                             ;   in Loop: Header=BB281_1059 Depth=1
	v_and_b32_e32 v131, 0xffff, v0
	v_mov_b32_e32 v129, 0x7c010000
	s_mov_b32 s15, exec_lo
	s_delay_alu instid0(VALU_DEP_2) | instskip(NEXT) | instid1(VALU_DEP_1)
	v_and_b32_e32 v133, 0x7f, v131
	v_cmpx_ne_u32_e32 0x7f, v133
	s_cbranch_execz .LBB281_1931
; %bb.1928:                             ;   in Loop: Header=BB281_1059 Depth=1
	v_and_b32_e32 v129, 7, v131
	v_lshrrev_b32_e32 v132, 3, v133
	s_mov_b32 s16, exec_lo
	v_cmpx_gt_u32_e32 8, v133
; %bb.1929:                             ;   in Loop: Header=BB281_1059 Depth=1
	s_delay_alu instid0(VALU_DEP_3) | instskip(NEXT) | instid1(VALU_DEP_1)
	v_clz_i32_u32_e32 v129, v129
	v_min_u32_e32 v129, 32, v129
	s_delay_alu instid0(VALU_DEP_1) | instskip(NEXT) | instid1(VALU_DEP_1)
	v_subrev_nc_u32_e32 v132, 28, v129
	v_lshlrev_b64_e32 v[133:134], v132, v[0:1]
	v_sub_nc_u32_e32 v132, 29, v129
	s_delay_alu instid0(VALU_DEP_2)
	v_and_b32_e32 v129, 7, v133
; %bb.1930:                             ;   in Loop: Header=BB281_1059 Depth=1
	s_wait_alu 0xfffe
	s_or_b32 exec_lo, exec_lo, s16
	v_lshlrev_b32_e32 v0, 8, v131
	v_lshl_add_u32 v131, v132, 10, 0x2000
	v_lshlrev_b32_e32 v129, 23, v129
	s_delay_alu instid0(VALU_DEP_2) | instskip(NEXT) | instid1(VALU_DEP_1)
	v_and_or_b32 v0, 0x8000, v0, v131
	v_lshl_or_b32 v129, v0, 16, v129
.LBB281_1931:                           ;   in Loop: Header=BB281_1059 Depth=1
	s_wait_alu 0xfffe
	s_or_b32 exec_lo, exec_lo, s15
.LBB281_1932:                           ;   in Loop: Header=BB281_1059 Depth=1
	s_wait_alu 0xfffe
	s_or_b32 exec_lo, exec_lo, s14
.LBB281_1933:                           ;   in Loop: Header=BB281_1059 Depth=1
	s_wait_alu 0xfffe
	s_or_b32 exec_lo, exec_lo, s9
	v_lshrrev_b32_e32 v0, 16, v10
	v_mov_b32_e32 v131, 0
	s_mov_b32 s9, exec_lo
	s_delay_alu instid0(VALU_DEP_2) | instskip(NEXT) | instid1(VALU_DEP_1)
	v_dual_mov_b32 v132, 0 :: v_dual_and_b32 v133, 0xff, v0
	v_cmpx_ne_u16_e64 0, v133
	s_cbranch_execz .LBB281_1941
; %bb.1934:                             ;   in Loop: Header=BB281_1059 Depth=1
	v_mov_b32_e32 v132, 0x8000
	s_mov_b32 s14, exec_lo
	v_cmpx_ne_u16_e64 0x80, v133
	s_cbranch_execz .LBB281_1940
; %bb.1935:                             ;   in Loop: Header=BB281_1059 Depth=1
	v_bfe_u32 v134, v10, 16, 7
	v_mov_b32_e32 v132, 0x7c01
	s_mov_b32 s15, exec_lo
	s_delay_alu instid0(VALU_DEP_2)
	v_cmpx_ne_u32_e32 0x7f, v134
	s_cbranch_execz .LBB281_1939
; %bb.1936:                             ;   in Loop: Header=BB281_1059 Depth=1
	v_and_b32_e32 v132, 7, v0
	v_lshrrev_b32_e32 v133, 3, v134
	s_mov_b32 s16, exec_lo
	v_cmpx_gt_u32_e32 8, v134
; %bb.1937:                             ;   in Loop: Header=BB281_1059 Depth=1
	s_delay_alu instid0(VALU_DEP_3) | instskip(NEXT) | instid1(VALU_DEP_1)
	v_clz_i32_u32_e32 v132, v132
	v_min_u32_e32 v134, 32, v132
	s_delay_alu instid0(VALU_DEP_1) | instskip(NEXT) | instid1(VALU_DEP_1)
	v_subrev_nc_u32_e32 v132, 28, v134
	v_lshlrev_b64_e32 v[132:133], v132, v[0:1]
	v_sub_nc_u32_e32 v133, 29, v134
	s_delay_alu instid0(VALU_DEP_2)
	v_and_b32_e32 v132, 7, v132
; %bb.1938:                             ;   in Loop: Header=BB281_1059 Depth=1
	s_wait_alu 0xfffe
	s_or_b32 exec_lo, exec_lo, s16
	v_lshlrev_b32_e32 v0, 8, v0
	v_lshl_add_u32 v133, v133, 10, 0x2000
	v_lshlrev_b32_e32 v132, 7, v132
	s_delay_alu instid0(VALU_DEP_3) | instskip(NEXT) | instid1(VALU_DEP_3)
	v_and_b32_e32 v0, 0x8000, v0
	v_and_b32_e32 v133, 0xfc00, v133
	s_delay_alu instid0(VALU_DEP_1)
	v_or3_b32 v132, v0, v133, v132
.LBB281_1939:                           ;   in Loop: Header=BB281_1059 Depth=1
	s_wait_alu 0xfffe
	s_or_b32 exec_lo, exec_lo, s15
.LBB281_1940:                           ;   in Loop: Header=BB281_1059 Depth=1
	s_wait_alu 0xfffe
	s_or_b32 exec_lo, exec_lo, s14
.LBB281_1941:                           ;   in Loop: Header=BB281_1059 Depth=1
	s_wait_alu 0xfffe
	s_or_b32 exec_lo, exec_lo, s9
	s_delay_alu instid0(SALU_CYCLE_1)
	s_mov_b32 s9, exec_lo
	v_cmpx_lt_u32_e32 0xffffff, v10
	s_cbranch_execz .LBB281_1949
; %bb.1942:                             ;   in Loop: Header=BB281_1059 Depth=1
	v_lshrrev_b32_e32 v0, 24, v10
	v_bfrev_b32_e32 v131, 1
	s_mov_b32 s14, exec_lo
	s_delay_alu instid0(VALU_DEP_2)
	v_cmpx_ne_u32_e32 0x80, v0
	s_cbranch_execz .LBB281_1948
; %bb.1943:                             ;   in Loop: Header=BB281_1059 Depth=1
	v_and_b32_e32 v134, 0x7f, v0
	v_mov_b32_e32 v131, 0x7c010000
	s_mov_b32 s15, exec_lo
	s_delay_alu instid0(VALU_DEP_2)
	v_cmpx_ne_u32_e32 0x7f, v134
	s_cbranch_execz .LBB281_1947
; %bb.1944:                             ;   in Loop: Header=BB281_1059 Depth=1
	v_and_b32_e32 v131, 7, v0
	v_lshrrev_b32_e32 v133, 3, v134
	s_mov_b32 s16, exec_lo
	v_cmpx_gt_u32_e32 8, v134
; %bb.1945:                             ;   in Loop: Header=BB281_1059 Depth=1
	s_delay_alu instid0(VALU_DEP_3) | instskip(NEXT) | instid1(VALU_DEP_1)
	v_clz_i32_u32_e32 v131, v131
	v_min_u32_e32 v131, 32, v131
	s_delay_alu instid0(VALU_DEP_1) | instskip(NEXT) | instid1(VALU_DEP_1)
	v_subrev_nc_u32_e32 v133, 28, v131
	v_lshlrev_b64_e32 v[134:135], v133, v[0:1]
	v_sub_nc_u32_e32 v133, 29, v131
	s_delay_alu instid0(VALU_DEP_2)
	v_and_b32_e32 v131, 7, v134
; %bb.1946:                             ;   in Loop: Header=BB281_1059 Depth=1
	s_wait_alu 0xfffe
	s_or_b32 exec_lo, exec_lo, s16
	v_lshlrev_b32_e32 v0, 8, v0
	v_lshl_add_u32 v133, v133, 10, 0x2000
	v_lshlrev_b32_e32 v131, 23, v131
	s_delay_alu instid0(VALU_DEP_2) | instskip(NEXT) | instid1(VALU_DEP_1)
	v_and_or_b32 v0, 0x8000, v0, v133
	v_lshl_or_b32 v131, v0, 16, v131
.LBB281_1947:                           ;   in Loop: Header=BB281_1059 Depth=1
	s_wait_alu 0xfffe
	s_or_b32 exec_lo, exec_lo, s15
.LBB281_1948:                           ;   in Loop: Header=BB281_1059 Depth=1
	s_wait_alu 0xfffe
	s_or_b32 exec_lo, exec_lo, s14
.LBB281_1949:                           ;   in Loop: Header=BB281_1059 Depth=1
	s_wait_alu 0xfffe
	s_or_b32 exec_lo, exec_lo, s9
	v_dual_mov_b32 v0, v11 :: v_dual_and_b32 v135, 0xff, v11
	v_dual_mov_b32 v133, 0 :: v_dual_mov_b32 v134, 0
	s_mov_b32 s9, exec_lo
	s_delay_alu instid0(VALU_DEP_2)
	v_cmpx_ne_u16_e64 0, v135
	s_cbranch_execz .LBB281_1957
; %bb.1950:                             ;   in Loop: Header=BB281_1059 Depth=1
	v_mov_b32_e32 v134, 0x8000
	s_mov_b32 s14, exec_lo
	v_cmpx_ne_u16_e64 0x80, v135
	s_cbranch_execz .LBB281_1956
; %bb.1951:                             ;   in Loop: Header=BB281_1059 Depth=1
	v_and_b32_e32 v144, 0x7f, v11
	v_mov_b32_e32 v134, 0x7c01
	s_mov_b32 s15, exec_lo
	s_delay_alu instid0(VALU_DEP_2)
	v_cmpx_ne_u32_e32 0x7f, v144
	s_cbranch_execz .LBB281_1955
; %bb.1952:                             ;   in Loop: Header=BB281_1059 Depth=1
	v_and_b32_e32 v134, 7, v11
	v_lshrrev_b32_e32 v135, 3, v144
	s_mov_b32 s16, exec_lo
	v_cmpx_gt_u32_e32 8, v144
; %bb.1953:                             ;   in Loop: Header=BB281_1059 Depth=1
	s_delay_alu instid0(VALU_DEP_3) | instskip(NEXT) | instid1(VALU_DEP_1)
	v_clz_i32_u32_e32 v134, v134
	v_min_u32_e32 v144, 32, v134
	s_delay_alu instid0(VALU_DEP_1) | instskip(NEXT) | instid1(VALU_DEP_1)
	v_subrev_nc_u32_e32 v134, 28, v144
	v_lshlrev_b64_e32 v[134:135], v134, v[0:1]
	v_sub_nc_u32_e32 v135, 29, v144
	s_delay_alu instid0(VALU_DEP_2)
	v_and_b32_e32 v134, 7, v134
; %bb.1954:                             ;   in Loop: Header=BB281_1059 Depth=1
	s_wait_alu 0xfffe
	s_or_b32 exec_lo, exec_lo, s16
	v_lshlrev_b32_e32 v144, 8, v11
	v_lshl_add_u32 v135, v135, 10, 0x2000
	v_lshlrev_b32_e32 v134, 7, v134
	s_delay_alu instid0(VALU_DEP_3) | instskip(NEXT) | instid1(VALU_DEP_3)
	v_and_b32_e32 v144, 0x8000, v144
	v_and_b32_e32 v135, 0xfc00, v135
	s_delay_alu instid0(VALU_DEP_1)
	v_or3_b32 v134, v144, v135, v134
.LBB281_1955:                           ;   in Loop: Header=BB281_1059 Depth=1
	s_wait_alu 0xfffe
	s_or_b32 exec_lo, exec_lo, s15
.LBB281_1956:                           ;   in Loop: Header=BB281_1059 Depth=1
	s_wait_alu 0xfffe
	s_or_b32 exec_lo, exec_lo, s14
.LBB281_1957:                           ;   in Loop: Header=BB281_1059 Depth=1
	s_wait_alu 0xfffe
	s_or_b32 exec_lo, exec_lo, s9
	v_lshrrev_b16 v0, 8, v0
	v_mov_b32_e32 v135, 0
	s_mov_b32 s9, exec_lo
	s_delay_alu instid0(VALU_DEP_2)
	v_cmpx_ne_u16_e32 0, v0
	s_cbranch_execz .LBB281_1965
; %bb.1958:                             ;   in Loop: Header=BB281_1059 Depth=1
	v_bfrev_b32_e32 v135, 1
	s_mov_b32 s14, exec_lo
	v_cmpx_ne_u16_e32 0x80, v0
	s_cbranch_execz .LBB281_1964
; %bb.1959:                             ;   in Loop: Header=BB281_1059 Depth=1
	v_and_b32_e32 v144, 0xffff, v0
	v_mov_b32_e32 v135, 0x7c010000
	s_mov_b32 s15, exec_lo
	s_delay_alu instid0(VALU_DEP_2) | instskip(NEXT) | instid1(VALU_DEP_1)
	v_and_b32_e32 v146, 0x7f, v144
	v_cmpx_ne_u32_e32 0x7f, v146
	s_cbranch_execz .LBB281_1963
; %bb.1960:                             ;   in Loop: Header=BB281_1059 Depth=1
	v_and_b32_e32 v135, 7, v144
	v_lshrrev_b32_e32 v145, 3, v146
	s_mov_b32 s16, exec_lo
	v_cmpx_gt_u32_e32 8, v146
; %bb.1961:                             ;   in Loop: Header=BB281_1059 Depth=1
	s_delay_alu instid0(VALU_DEP_3) | instskip(NEXT) | instid1(VALU_DEP_1)
	v_clz_i32_u32_e32 v135, v135
	v_min_u32_e32 v135, 32, v135
	s_delay_alu instid0(VALU_DEP_1) | instskip(NEXT) | instid1(VALU_DEP_1)
	v_subrev_nc_u32_e32 v145, 28, v135
	v_lshlrev_b64_e32 v[146:147], v145, v[0:1]
	v_sub_nc_u32_e32 v145, 29, v135
	s_delay_alu instid0(VALU_DEP_2)
	v_and_b32_e32 v135, 7, v146
; %bb.1962:                             ;   in Loop: Header=BB281_1059 Depth=1
	s_wait_alu 0xfffe
	s_or_b32 exec_lo, exec_lo, s16
	v_lshlrev_b32_e32 v0, 8, v144
	v_lshl_add_u32 v144, v145, 10, 0x2000
	v_lshlrev_b32_e32 v135, 23, v135
	s_delay_alu instid0(VALU_DEP_2) | instskip(NEXT) | instid1(VALU_DEP_1)
	v_and_or_b32 v0, 0x8000, v0, v144
	v_lshl_or_b32 v135, v0, 16, v135
.LBB281_1963:                           ;   in Loop: Header=BB281_1059 Depth=1
	s_wait_alu 0xfffe
	s_or_b32 exec_lo, exec_lo, s15
.LBB281_1964:                           ;   in Loop: Header=BB281_1059 Depth=1
	s_wait_alu 0xfffe
	s_or_b32 exec_lo, exec_lo, s14
.LBB281_1965:                           ;   in Loop: Header=BB281_1059 Depth=1
	s_wait_alu 0xfffe
	s_or_b32 exec_lo, exec_lo, s9
	v_lshrrev_b32_e32 v0, 16, v11
	s_mov_b32 s9, exec_lo
	s_delay_alu instid0(VALU_DEP_1) | instskip(NEXT) | instid1(VALU_DEP_1)
	v_and_b32_e32 v144, 0xff, v0
	v_cmpx_ne_u16_e64 0, v144
	s_cbranch_execz .LBB281_1973
; %bb.1966:                             ;   in Loop: Header=BB281_1059 Depth=1
	v_mov_b32_e32 v133, 0x8000
	s_mov_b32 s14, exec_lo
	v_cmpx_ne_u16_e64 0x80, v144
	s_cbranch_execz .LBB281_1972
; %bb.1967:                             ;   in Loop: Header=BB281_1059 Depth=1
	v_bfe_u32 v145, v11, 16, 7
	v_mov_b32_e32 v133, 0x7c01
	s_mov_b32 s15, exec_lo
	s_delay_alu instid0(VALU_DEP_2)
	v_cmpx_ne_u32_e32 0x7f, v145
	s_cbranch_execz .LBB281_1971
; %bb.1968:                             ;   in Loop: Header=BB281_1059 Depth=1
	v_and_b32_e32 v133, 7, v0
	v_lshrrev_b32_e32 v144, 3, v145
	s_mov_b32 s16, exec_lo
	v_cmpx_gt_u32_e32 8, v145
; %bb.1969:                             ;   in Loop: Header=BB281_1059 Depth=1
	s_delay_alu instid0(VALU_DEP_3) | instskip(NEXT) | instid1(VALU_DEP_1)
	v_clz_i32_u32_e32 v133, v133
	v_min_u32_e32 v133, 32, v133
	s_delay_alu instid0(VALU_DEP_1) | instskip(NEXT) | instid1(VALU_DEP_1)
	v_subrev_nc_u32_e32 v144, 28, v133
	v_lshlrev_b64_e32 v[145:146], v144, v[0:1]
	v_sub_nc_u32_e32 v144, 29, v133
	s_delay_alu instid0(VALU_DEP_2)
	v_and_b32_e32 v133, 7, v145
; %bb.1970:                             ;   in Loop: Header=BB281_1059 Depth=1
	s_wait_alu 0xfffe
	s_or_b32 exec_lo, exec_lo, s16
	v_lshlrev_b32_e32 v0, 8, v0
	v_lshl_add_u32 v144, v144, 10, 0x2000
	v_lshlrev_b32_e32 v133, 7, v133
	s_delay_alu instid0(VALU_DEP_3) | instskip(NEXT) | instid1(VALU_DEP_3)
	v_and_b32_e32 v0, 0x8000, v0
	v_and_b32_e32 v144, 0xfc00, v144
	s_delay_alu instid0(VALU_DEP_1)
	v_or3_b32 v133, v0, v144, v133
.LBB281_1971:                           ;   in Loop: Header=BB281_1059 Depth=1
	s_wait_alu 0xfffe
	s_or_b32 exec_lo, exec_lo, s15
.LBB281_1972:                           ;   in Loop: Header=BB281_1059 Depth=1
	s_wait_alu 0xfffe
	s_or_b32 exec_lo, exec_lo, s14
.LBB281_1973:                           ;   in Loop: Header=BB281_1059 Depth=1
	s_wait_alu 0xfffe
	s_or_b32 exec_lo, exec_lo, s9
	v_cmp_lt_u64_e64 s1, s[4:5], v[10:11]
	v_mov_b32_e32 v10, 0
	s_and_saveexec_b32 s9, s1
	s_cbranch_execz .LBB281_1981
; %bb.1974:                             ;   in Loop: Header=BB281_1059 Depth=1
	v_lshrrev_b32_e32 v0, 24, v11
	v_bfrev_b32_e32 v10, 1
	s_mov_b32 s14, exec_lo
	s_delay_alu instid0(VALU_DEP_2)
	v_cmpx_ne_u32_e32 0x80, v0
	s_cbranch_execz .LBB281_1980
; %bb.1975:                             ;   in Loop: Header=BB281_1059 Depth=1
	v_and_b32_e32 v144, 0x7f, v0
	v_mov_b32_e32 v10, 0x7c010000
	s_mov_b32 s15, exec_lo
	s_delay_alu instid0(VALU_DEP_2)
	v_cmpx_ne_u32_e32 0x7f, v144
	s_cbranch_execz .LBB281_1979
; %bb.1976:                             ;   in Loop: Header=BB281_1059 Depth=1
	v_and_b32_e32 v10, 7, v0
	v_lshrrev_b32_e32 v11, 3, v144
	s_mov_b32 s16, exec_lo
	v_cmpx_gt_u32_e32 8, v144
; %bb.1977:                             ;   in Loop: Header=BB281_1059 Depth=1
	s_delay_alu instid0(VALU_DEP_3) | instskip(NEXT) | instid1(VALU_DEP_1)
	v_clz_i32_u32_e32 v10, v10
	v_min_u32_e32 v144, 32, v10
	s_delay_alu instid0(VALU_DEP_1) | instskip(NEXT) | instid1(VALU_DEP_1)
	v_subrev_nc_u32_e32 v10, 28, v144
	v_lshlrev_b64_e32 v[10:11], v10, v[0:1]
	v_sub_nc_u32_e32 v11, 29, v144
	s_delay_alu instid0(VALU_DEP_2)
	v_and_b32_e32 v10, 7, v10
; %bb.1978:                             ;   in Loop: Header=BB281_1059 Depth=1
	s_wait_alu 0xfffe
	s_or_b32 exec_lo, exec_lo, s16
	v_lshlrev_b32_e32 v0, 8, v0
	v_lshl_add_u32 v11, v11, 10, 0x2000
	v_lshlrev_b32_e32 v10, 23, v10
	s_delay_alu instid0(VALU_DEP_2) | instskip(NEXT) | instid1(VALU_DEP_1)
	v_and_or_b32 v0, 0x8000, v0, v11
	v_lshl_or_b32 v10, v0, 16, v10
.LBB281_1979:                           ;   in Loop: Header=BB281_1059 Depth=1
	s_wait_alu 0xfffe
	s_or_b32 exec_lo, exec_lo, s15
.LBB281_1980:                           ;   in Loop: Header=BB281_1059 Depth=1
	s_wait_alu 0xfffe
	s_or_b32 exec_lo, exec_lo, s14
.LBB281_1981:                           ;   in Loop: Header=BB281_1059 Depth=1
	s_wait_alu 0xfffe
	s_or_b32 exec_lo, exec_lo, s9
	v_or_b32_e32 v0, v131, v132
	s_wait_loadcnt_dscnt 0x0
	v_fma_mixlo_f16 v11, v128, v131, 0 op_sel:[0,1,0] op_sel_hi:[0,1,0]
	v_or_b32_e32 v131, v129, v130
	v_fma_mixlo_f16 v129, v128, v129, 0 op_sel:[0,1,0] op_sel_hi:[0,1,0]
	v_or_b32_e32 v132, v135, v134
	v_or_b32_e32 v133, v10, v133
	v_fma_mixlo_f16 v134, v128, v0, 0 op_sel_hi:[0,1,0]
	v_fma_mixlo_f16 v10, v128, v10, 0 op_sel:[0,1,0] op_sel_hi:[0,1,0]
	v_lshlrev_b32_e32 v130, 16, v129
	v_fma_mixlo_f16 v129, v128, v131, 0 op_sel_hi:[0,1,0]
	v_fma_mixlo_f16 v131, v128, v135, 0 op_sel:[0,1,0] op_sel_hi:[0,1,0]
	v_fma_mixlo_f16 v132, v128, v132, 0 op_sel_hi:[0,1,0]
	v_fma_mixlo_f16 v133, v128, v133, 0 op_sel_hi:[0,1,0]
	v_lshlrev_b32_e32 v0, 16, v11
	v_and_b32_e32 v11, 0xffff, v134
	v_and_b32_e32 v144, 0xffff, v129
	v_lshlrev_b32_e32 v128, 16, v131
	v_and_b32_e32 v132, 0xffff, v132
	v_lshlrev_b32_e32 v10, 16, v10
	v_and_b32_e32 v129, 0xffff, v133
	v_or_b32_e32 v131, v0, v11
	v_or_b32_e32 v135, v130, v144
	;; [unrolled: 1-line block ×3, first 2 shown]
	s_delay_alu instid0(VALU_DEP_4)
	v_or_b32_e32 v133, v10, v129
	s_and_saveexec_b32 s9, vcc_lo
	s_cbranch_execz .LBB281_1983
; %bb.1982:                             ;   in Loop: Header=BB281_1059 Depth=1
	v_cmp_lt_i32_e64 s1, v23, v32
	s_wait_alu 0xf1ff
	s_delay_alu instid0(VALU_DEP_1) | instskip(SKIP_2) | instid1(VALU_DEP_1)
	v_cndmask_b32_e64 v131, 0, v144, s1
	v_cmp_lt_i32_e64 s1, v71, v32
	s_wait_alu 0xf1ff
	v_cndmask_b32_e64 v130, 0, v130, s1
	v_cmp_lt_i32_e64 s1, v70, v32
	s_delay_alu instid0(VALU_DEP_2) | instskip(SKIP_1) | instid1(VALU_DEP_2)
	v_or_b32_e32 v135, v131, v130
	s_wait_alu 0xf1ff
	v_cndmask_b32_e64 v11, 0, v11, s1
	v_cmp_lt_i32_e64 s1, v69, v32
	s_wait_alu 0xf1ff
	s_delay_alu instid0(VALU_DEP_1) | instskip(SKIP_1) | instid1(VALU_DEP_2)
	v_cndmask_b32_e64 v0, 0, v0, s1
	v_cmp_lt_i32_e64 s1, v68, v32
	v_or_b32_e32 v131, v11, v0
	s_wait_alu 0xf1ff
	s_delay_alu instid0(VALU_DEP_2) | instskip(SKIP_2) | instid1(VALU_DEP_1)
	v_cndmask_b32_e64 v132, 0, v132, s1
	v_cmp_lt_i32_e64 s1, v67, v32
	s_wait_alu 0xf1ff
	v_cndmask_b32_e64 v128, 0, v128, s1
	v_cmp_lt_i32_e64 s1, v66, v32
	s_delay_alu instid0(VALU_DEP_2) | instskip(SKIP_1) | instid1(VALU_DEP_2)
	v_or_b32_e32 v134, v132, v128
	s_wait_alu 0xf1ff
	v_cndmask_b32_e64 v129, 0, v129, s1
	v_cmp_lt_i32_e64 s1, v14, v32
	s_wait_alu 0xf1ff
	s_delay_alu instid0(VALU_DEP_1) | instskip(NEXT) | instid1(VALU_DEP_1)
	v_cndmask_b32_e64 v10, 0, v10, s1
	v_or_b32_e32 v133, v129, v10
.LBB281_1983:                           ;   in Loop: Header=BB281_1059 Depth=1
	s_wait_alu 0xfffe
	s_or_b32 exec_lo, exec_lo, s9
	;;#ASMSTART
	v_pk_mul_f16 v0, v64, v135;

	;;#ASMEND
	;;#ASMSTART
	v_pk_mul_f16 v10, v38, v131;

	;;#ASMEND
	;; [unrolled: 4-line block ×4, first 2 shown]
	;;#ASMSTART
	v_pk_add_f16 v0, v0, v10;

	;;#ASMEND
	;;#ASMSTART
	v_pk_add_f16 v0, v0, v11;

	;;#ASMEND
	;; [unrolled: 4-line block ×3, first 2 shown]
	v_dual_mov_b32 v131, 0 :: v_dual_and_b32 v10, 0xffff, v0
	v_lshrrev_b32_e32 v0, 16, v0
	;;#ASMSTART
	v_cvt_f32_f16 v128, v10;
	;;#ASMEND
	;;#ASMSTART
	v_cvt_f32_f16 v129, v0;
	;;#ASMEND
	flat_load_b64 v[10:11], v[8:9] offset:3584
	flat_load_b32 v130, v[26:27]
	v_mov_b32_e32 v132, 0
	s_mov_b32 s9, exec_lo
	s_wait_loadcnt_dscnt 0x101
	v_and_b32_e32 v0, 0xff, v10
	s_delay_alu instid0(VALU_DEP_1)
	v_cmpx_ne_u16_e32 0, v0
	s_cbranch_execz .LBB281_1991
; %bb.1984:                             ;   in Loop: Header=BB281_1059 Depth=1
	v_mov_b32_e32 v132, 0x8000
	s_mov_b32 s14, exec_lo
	v_cmpx_ne_u16_e32 0x80, v0
	s_cbranch_execz .LBB281_1990
; %bb.1985:                             ;   in Loop: Header=BB281_1059 Depth=1
	v_and_b32_e32 v133, 0x7f, v10
	v_mov_b32_e32 v132, 0x7c01
	s_mov_b32 s15, exec_lo
	s_delay_alu instid0(VALU_DEP_2)
	v_cmpx_ne_u32_e32 0x7f, v133
	s_cbranch_execz .LBB281_1989
; %bb.1986:                             ;   in Loop: Header=BB281_1059 Depth=1
	v_and_b32_e32 v0, 7, v10
	v_lshrrev_b32_e32 v132, 3, v133
	s_mov_b32 s16, exec_lo
	v_cmpx_gt_u32_e32 8, v133
; %bb.1987:                             ;   in Loop: Header=BB281_1059 Depth=1
	s_delay_alu instid0(VALU_DEP_3) | instskip(NEXT) | instid1(VALU_DEP_1)
	v_clz_i32_u32_e32 v0, v0
	v_min_u32_e32 v0, 32, v0
	s_delay_alu instid0(VALU_DEP_1) | instskip(NEXT) | instid1(VALU_DEP_1)
	v_subrev_nc_u32_e32 v132, 28, v0
	v_lshlrev_b64_e32 v[133:134], v132, v[10:11]
	v_sub_nc_u32_e32 v132, 29, v0
	s_delay_alu instid0(VALU_DEP_2)
	v_and_b32_e32 v0, 7, v133
; %bb.1988:                             ;   in Loop: Header=BB281_1059 Depth=1
	s_wait_alu 0xfffe
	s_or_b32 exec_lo, exec_lo, s16
	v_lshlrev_b32_e32 v133, 8, v10
	v_lshl_add_u32 v132, v132, 10, 0x2000
	v_lshlrev_b32_e32 v0, 7, v0
	s_delay_alu instid0(VALU_DEP_3) | instskip(NEXT) | instid1(VALU_DEP_3)
	v_and_b32_e32 v133, 0x8000, v133
	v_and_b32_e32 v132, 0xfc00, v132
	s_delay_alu instid0(VALU_DEP_1)
	v_or3_b32 v132, v133, v132, v0
.LBB281_1989:                           ;   in Loop: Header=BB281_1059 Depth=1
	s_wait_alu 0xfffe
	s_or_b32 exec_lo, exec_lo, s15
.LBB281_1990:                           ;   in Loop: Header=BB281_1059 Depth=1
	s_wait_alu 0xfffe
	s_or_b32 exec_lo, exec_lo, s14
.LBB281_1991:                           ;   in Loop: Header=BB281_1059 Depth=1
	s_wait_alu 0xfffe
	s_or_b32 exec_lo, exec_lo, s9
	v_lshrrev_b16 v0, 8, v10
	s_mov_b32 s9, exec_lo
	s_delay_alu instid0(VALU_DEP_1)
	v_cmpx_ne_u16_e32 0, v0
	s_cbranch_execz .LBB281_1999
; %bb.1992:                             ;   in Loop: Header=BB281_1059 Depth=1
	v_bfrev_b32_e32 v131, 1
	s_mov_b32 s14, exec_lo
	v_cmpx_ne_u16_e32 0x80, v0
	s_cbranch_execz .LBB281_1998
; %bb.1993:                             ;   in Loop: Header=BB281_1059 Depth=1
	v_and_b32_e32 v133, 0xffff, v0
	v_mov_b32_e32 v131, 0x7c010000
	s_mov_b32 s15, exec_lo
	s_delay_alu instid0(VALU_DEP_2) | instskip(NEXT) | instid1(VALU_DEP_1)
	v_and_b32_e32 v135, 0x7f, v133
	v_cmpx_ne_u32_e32 0x7f, v135
	s_cbranch_execz .LBB281_1997
; %bb.1994:                             ;   in Loop: Header=BB281_1059 Depth=1
	v_and_b32_e32 v131, 7, v133
	v_lshrrev_b32_e32 v134, 3, v135
	s_mov_b32 s16, exec_lo
	v_cmpx_gt_u32_e32 8, v135
; %bb.1995:                             ;   in Loop: Header=BB281_1059 Depth=1
	s_delay_alu instid0(VALU_DEP_3) | instskip(NEXT) | instid1(VALU_DEP_1)
	v_clz_i32_u32_e32 v131, v131
	v_min_u32_e32 v131, 32, v131
	s_delay_alu instid0(VALU_DEP_1) | instskip(NEXT) | instid1(VALU_DEP_1)
	v_subrev_nc_u32_e32 v134, 28, v131
	v_lshlrev_b64_e32 v[144:145], v134, v[0:1]
	v_sub_nc_u32_e32 v134, 29, v131
	s_delay_alu instid0(VALU_DEP_2)
	v_and_b32_e32 v131, 7, v144
; %bb.1996:                             ;   in Loop: Header=BB281_1059 Depth=1
	s_wait_alu 0xfffe
	s_or_b32 exec_lo, exec_lo, s16
	v_lshlrev_b32_e32 v0, 8, v133
	v_lshl_add_u32 v133, v134, 10, 0x2000
	v_lshlrev_b32_e32 v131, 23, v131
	s_delay_alu instid0(VALU_DEP_2) | instskip(NEXT) | instid1(VALU_DEP_1)
	v_and_or_b32 v0, 0x8000, v0, v133
	v_lshl_or_b32 v131, v0, 16, v131
.LBB281_1997:                           ;   in Loop: Header=BB281_1059 Depth=1
	s_wait_alu 0xfffe
	s_or_b32 exec_lo, exec_lo, s15
.LBB281_1998:                           ;   in Loop: Header=BB281_1059 Depth=1
	s_wait_alu 0xfffe
	s_or_b32 exec_lo, exec_lo, s14
.LBB281_1999:                           ;   in Loop: Header=BB281_1059 Depth=1
	s_wait_alu 0xfffe
	s_or_b32 exec_lo, exec_lo, s9
	v_lshrrev_b32_e32 v0, 16, v10
	v_mov_b32_e32 v133, 0
	s_mov_b32 s9, exec_lo
	s_delay_alu instid0(VALU_DEP_2) | instskip(NEXT) | instid1(VALU_DEP_1)
	v_dual_mov_b32 v134, 0 :: v_dual_and_b32 v135, 0xff, v0
	v_cmpx_ne_u16_e64 0, v135
	s_cbranch_execz .LBB281_2007
; %bb.2000:                             ;   in Loop: Header=BB281_1059 Depth=1
	v_mov_b32_e32 v134, 0x8000
	s_mov_b32 s14, exec_lo
	v_cmpx_ne_u16_e64 0x80, v135
	s_cbranch_execz .LBB281_2006
; %bb.2001:                             ;   in Loop: Header=BB281_1059 Depth=1
	v_bfe_u32 v144, v10, 16, 7
	v_mov_b32_e32 v134, 0x7c01
	s_mov_b32 s15, exec_lo
	s_delay_alu instid0(VALU_DEP_2)
	v_cmpx_ne_u32_e32 0x7f, v144
	s_cbranch_execz .LBB281_2005
; %bb.2002:                             ;   in Loop: Header=BB281_1059 Depth=1
	v_and_b32_e32 v134, 7, v0
	v_lshrrev_b32_e32 v135, 3, v144
	s_mov_b32 s16, exec_lo
	v_cmpx_gt_u32_e32 8, v144
; %bb.2003:                             ;   in Loop: Header=BB281_1059 Depth=1
	s_delay_alu instid0(VALU_DEP_3) | instskip(NEXT) | instid1(VALU_DEP_1)
	v_clz_i32_u32_e32 v134, v134
	v_min_u32_e32 v144, 32, v134
	s_delay_alu instid0(VALU_DEP_1) | instskip(NEXT) | instid1(VALU_DEP_1)
	v_subrev_nc_u32_e32 v134, 28, v144
	v_lshlrev_b64_e32 v[134:135], v134, v[0:1]
	v_sub_nc_u32_e32 v135, 29, v144
	s_delay_alu instid0(VALU_DEP_2)
	v_and_b32_e32 v134, 7, v134
; %bb.2004:                             ;   in Loop: Header=BB281_1059 Depth=1
	s_wait_alu 0xfffe
	s_or_b32 exec_lo, exec_lo, s16
	v_lshlrev_b32_e32 v0, 8, v0
	v_lshl_add_u32 v135, v135, 10, 0x2000
	v_lshlrev_b32_e32 v134, 7, v134
	s_delay_alu instid0(VALU_DEP_3) | instskip(NEXT) | instid1(VALU_DEP_3)
	v_and_b32_e32 v0, 0x8000, v0
	v_and_b32_e32 v135, 0xfc00, v135
	s_delay_alu instid0(VALU_DEP_1)
	v_or3_b32 v134, v0, v135, v134
.LBB281_2005:                           ;   in Loop: Header=BB281_1059 Depth=1
	s_wait_alu 0xfffe
	s_or_b32 exec_lo, exec_lo, s15
.LBB281_2006:                           ;   in Loop: Header=BB281_1059 Depth=1
	s_wait_alu 0xfffe
	s_or_b32 exec_lo, exec_lo, s14
.LBB281_2007:                           ;   in Loop: Header=BB281_1059 Depth=1
	s_wait_alu 0xfffe
	s_or_b32 exec_lo, exec_lo, s9
	s_delay_alu instid0(SALU_CYCLE_1)
	s_mov_b32 s9, exec_lo
	v_cmpx_lt_u32_e32 0xffffff, v10
	s_cbranch_execz .LBB281_2015
; %bb.2008:                             ;   in Loop: Header=BB281_1059 Depth=1
	v_lshrrev_b32_e32 v0, 24, v10
	v_bfrev_b32_e32 v133, 1
	s_mov_b32 s14, exec_lo
	s_delay_alu instid0(VALU_DEP_2)
	v_cmpx_ne_u32_e32 0x80, v0
	s_cbranch_execz .LBB281_2014
; %bb.2009:                             ;   in Loop: Header=BB281_1059 Depth=1
	v_and_b32_e32 v144, 0x7f, v0
	v_mov_b32_e32 v133, 0x7c010000
	s_mov_b32 s15, exec_lo
	s_delay_alu instid0(VALU_DEP_2)
	v_cmpx_ne_u32_e32 0x7f, v144
	s_cbranch_execz .LBB281_2013
; %bb.2010:                             ;   in Loop: Header=BB281_1059 Depth=1
	v_and_b32_e32 v133, 7, v0
	v_lshrrev_b32_e32 v135, 3, v144
	s_mov_b32 s16, exec_lo
	v_cmpx_gt_u32_e32 8, v144
; %bb.2011:                             ;   in Loop: Header=BB281_1059 Depth=1
	s_delay_alu instid0(VALU_DEP_3) | instskip(NEXT) | instid1(VALU_DEP_1)
	v_clz_i32_u32_e32 v133, v133
	v_min_u32_e32 v133, 32, v133
	s_delay_alu instid0(VALU_DEP_1) | instskip(NEXT) | instid1(VALU_DEP_1)
	v_subrev_nc_u32_e32 v135, 28, v133
	v_lshlrev_b64_e32 v[144:145], v135, v[0:1]
	v_sub_nc_u32_e32 v135, 29, v133
	s_delay_alu instid0(VALU_DEP_2)
	v_and_b32_e32 v133, 7, v144
; %bb.2012:                             ;   in Loop: Header=BB281_1059 Depth=1
	s_wait_alu 0xfffe
	s_or_b32 exec_lo, exec_lo, s16
	v_lshlrev_b32_e32 v0, 8, v0
	v_lshl_add_u32 v135, v135, 10, 0x2000
	v_lshlrev_b32_e32 v133, 23, v133
	s_delay_alu instid0(VALU_DEP_2) | instskip(NEXT) | instid1(VALU_DEP_1)
	v_and_or_b32 v0, 0x8000, v0, v135
	v_lshl_or_b32 v133, v0, 16, v133
.LBB281_2013:                           ;   in Loop: Header=BB281_1059 Depth=1
	s_wait_alu 0xfffe
	s_or_b32 exec_lo, exec_lo, s15
.LBB281_2014:                           ;   in Loop: Header=BB281_1059 Depth=1
	s_wait_alu 0xfffe
	s_or_b32 exec_lo, exec_lo, s14
.LBB281_2015:                           ;   in Loop: Header=BB281_1059 Depth=1
	s_wait_alu 0xfffe
	s_or_b32 exec_lo, exec_lo, s9
	v_dual_mov_b32 v0, v11 :: v_dual_and_b32 v145, 0xff, v11
	v_dual_mov_b32 v135, 0 :: v_dual_mov_b32 v144, 0
	s_mov_b32 s9, exec_lo
	s_delay_alu instid0(VALU_DEP_2)
	v_cmpx_ne_u16_e64 0, v145
	s_cbranch_execz .LBB281_2023
; %bb.2016:                             ;   in Loop: Header=BB281_1059 Depth=1
	v_mov_b32_e32 v144, 0x8000
	s_mov_b32 s14, exec_lo
	v_cmpx_ne_u16_e64 0x80, v145
	s_cbranch_execz .LBB281_2022
; %bb.2017:                             ;   in Loop: Header=BB281_1059 Depth=1
	v_and_b32_e32 v146, 0x7f, v11
	v_mov_b32_e32 v144, 0x7c01
	s_mov_b32 s15, exec_lo
	s_delay_alu instid0(VALU_DEP_2)
	v_cmpx_ne_u32_e32 0x7f, v146
	s_cbranch_execz .LBB281_2021
; %bb.2018:                             ;   in Loop: Header=BB281_1059 Depth=1
	v_and_b32_e32 v144, 7, v11
	v_lshrrev_b32_e32 v145, 3, v146
	s_mov_b32 s16, exec_lo
	v_cmpx_gt_u32_e32 8, v146
; %bb.2019:                             ;   in Loop: Header=BB281_1059 Depth=1
	s_delay_alu instid0(VALU_DEP_3) | instskip(NEXT) | instid1(VALU_DEP_1)
	v_clz_i32_u32_e32 v144, v144
	v_min_u32_e32 v146, 32, v144
	s_delay_alu instid0(VALU_DEP_1) | instskip(NEXT) | instid1(VALU_DEP_1)
	v_subrev_nc_u32_e32 v144, 28, v146
	v_lshlrev_b64_e32 v[144:145], v144, v[0:1]
	v_sub_nc_u32_e32 v145, 29, v146
	s_delay_alu instid0(VALU_DEP_2)
	v_and_b32_e32 v144, 7, v144
; %bb.2020:                             ;   in Loop: Header=BB281_1059 Depth=1
	s_wait_alu 0xfffe
	s_or_b32 exec_lo, exec_lo, s16
	v_lshlrev_b32_e32 v146, 8, v11
	v_lshl_add_u32 v145, v145, 10, 0x2000
	v_lshlrev_b32_e32 v144, 7, v144
	s_delay_alu instid0(VALU_DEP_3) | instskip(NEXT) | instid1(VALU_DEP_3)
	v_and_b32_e32 v146, 0x8000, v146
	v_and_b32_e32 v145, 0xfc00, v145
	s_delay_alu instid0(VALU_DEP_1)
	v_or3_b32 v144, v146, v145, v144
.LBB281_2021:                           ;   in Loop: Header=BB281_1059 Depth=1
	s_wait_alu 0xfffe
	s_or_b32 exec_lo, exec_lo, s15
.LBB281_2022:                           ;   in Loop: Header=BB281_1059 Depth=1
	s_wait_alu 0xfffe
	s_or_b32 exec_lo, exec_lo, s14
.LBB281_2023:                           ;   in Loop: Header=BB281_1059 Depth=1
	s_wait_alu 0xfffe
	s_or_b32 exec_lo, exec_lo, s9
	v_lshrrev_b16 v0, 8, v0
	v_mov_b32_e32 v145, 0
	s_mov_b32 s9, exec_lo
	s_delay_alu instid0(VALU_DEP_2)
	v_cmpx_ne_u16_e32 0, v0
	s_cbranch_execz .LBB281_2031
; %bb.2024:                             ;   in Loop: Header=BB281_1059 Depth=1
	v_bfrev_b32_e32 v145, 1
	s_mov_b32 s14, exec_lo
	v_cmpx_ne_u16_e32 0x80, v0
	s_cbranch_execz .LBB281_2030
; %bb.2025:                             ;   in Loop: Header=BB281_1059 Depth=1
	v_and_b32_e32 v146, 0xffff, v0
	v_mov_b32_e32 v145, 0x7c010000
	s_mov_b32 s15, exec_lo
	s_delay_alu instid0(VALU_DEP_2) | instskip(NEXT) | instid1(VALU_DEP_1)
	v_and_b32_e32 v148, 0x7f, v146
	v_cmpx_ne_u32_e32 0x7f, v148
	s_cbranch_execz .LBB281_2029
; %bb.2026:                             ;   in Loop: Header=BB281_1059 Depth=1
	v_and_b32_e32 v145, 7, v146
	v_lshrrev_b32_e32 v147, 3, v148
	s_mov_b32 s16, exec_lo
	v_cmpx_gt_u32_e32 8, v148
; %bb.2027:                             ;   in Loop: Header=BB281_1059 Depth=1
	s_delay_alu instid0(VALU_DEP_3) | instskip(NEXT) | instid1(VALU_DEP_1)
	v_clz_i32_u32_e32 v145, v145
	v_min_u32_e32 v145, 32, v145
	s_delay_alu instid0(VALU_DEP_1) | instskip(NEXT) | instid1(VALU_DEP_1)
	v_subrev_nc_u32_e32 v147, 28, v145
	v_lshlrev_b64_e32 v[148:149], v147, v[0:1]
	v_sub_nc_u32_e32 v147, 29, v145
	s_delay_alu instid0(VALU_DEP_2)
	v_and_b32_e32 v145, 7, v148
; %bb.2028:                             ;   in Loop: Header=BB281_1059 Depth=1
	s_wait_alu 0xfffe
	s_or_b32 exec_lo, exec_lo, s16
	v_lshlrev_b32_e32 v0, 8, v146
	v_lshl_add_u32 v146, v147, 10, 0x2000
	v_lshlrev_b32_e32 v145, 23, v145
	s_delay_alu instid0(VALU_DEP_2) | instskip(NEXT) | instid1(VALU_DEP_1)
	v_and_or_b32 v0, 0x8000, v0, v146
	v_lshl_or_b32 v145, v0, 16, v145
.LBB281_2029:                           ;   in Loop: Header=BB281_1059 Depth=1
	s_wait_alu 0xfffe
	s_or_b32 exec_lo, exec_lo, s15
.LBB281_2030:                           ;   in Loop: Header=BB281_1059 Depth=1
	s_wait_alu 0xfffe
	s_or_b32 exec_lo, exec_lo, s14
.LBB281_2031:                           ;   in Loop: Header=BB281_1059 Depth=1
	s_wait_alu 0xfffe
	s_or_b32 exec_lo, exec_lo, s9
	v_lshrrev_b32_e32 v0, 16, v11
	s_mov_b32 s9, exec_lo
	s_delay_alu instid0(VALU_DEP_1) | instskip(NEXT) | instid1(VALU_DEP_1)
	v_and_b32_e32 v146, 0xff, v0
	v_cmpx_ne_u16_e64 0, v146
	s_cbranch_execz .LBB281_2039
; %bb.2032:                             ;   in Loop: Header=BB281_1059 Depth=1
	v_mov_b32_e32 v135, 0x8000
	s_mov_b32 s14, exec_lo
	v_cmpx_ne_u16_e64 0x80, v146
	s_cbranch_execz .LBB281_2038
; %bb.2033:                             ;   in Loop: Header=BB281_1059 Depth=1
	v_bfe_u32 v147, v11, 16, 7
	v_mov_b32_e32 v135, 0x7c01
	s_mov_b32 s15, exec_lo
	s_delay_alu instid0(VALU_DEP_2)
	v_cmpx_ne_u32_e32 0x7f, v147
	s_cbranch_execz .LBB281_2037
; %bb.2034:                             ;   in Loop: Header=BB281_1059 Depth=1
	v_and_b32_e32 v135, 7, v0
	v_lshrrev_b32_e32 v146, 3, v147
	s_mov_b32 s16, exec_lo
	v_cmpx_gt_u32_e32 8, v147
; %bb.2035:                             ;   in Loop: Header=BB281_1059 Depth=1
	s_delay_alu instid0(VALU_DEP_3) | instskip(NEXT) | instid1(VALU_DEP_1)
	v_clz_i32_u32_e32 v135, v135
	v_min_u32_e32 v135, 32, v135
	s_delay_alu instid0(VALU_DEP_1) | instskip(NEXT) | instid1(VALU_DEP_1)
	v_subrev_nc_u32_e32 v146, 28, v135
	v_lshlrev_b64_e32 v[147:148], v146, v[0:1]
	v_sub_nc_u32_e32 v146, 29, v135
	s_delay_alu instid0(VALU_DEP_2)
	v_and_b32_e32 v135, 7, v147
; %bb.2036:                             ;   in Loop: Header=BB281_1059 Depth=1
	s_wait_alu 0xfffe
	s_or_b32 exec_lo, exec_lo, s16
	v_lshlrev_b32_e32 v0, 8, v0
	v_lshl_add_u32 v146, v146, 10, 0x2000
	v_lshlrev_b32_e32 v135, 7, v135
	s_delay_alu instid0(VALU_DEP_3) | instskip(NEXT) | instid1(VALU_DEP_3)
	v_and_b32_e32 v0, 0x8000, v0
	v_and_b32_e32 v146, 0xfc00, v146
	s_delay_alu instid0(VALU_DEP_1)
	v_or3_b32 v135, v0, v146, v135
.LBB281_2037:                           ;   in Loop: Header=BB281_1059 Depth=1
	s_wait_alu 0xfffe
	s_or_b32 exec_lo, exec_lo, s15
.LBB281_2038:                           ;   in Loop: Header=BB281_1059 Depth=1
	s_wait_alu 0xfffe
	s_or_b32 exec_lo, exec_lo, s14
.LBB281_2039:                           ;   in Loop: Header=BB281_1059 Depth=1
	s_wait_alu 0xfffe
	s_or_b32 exec_lo, exec_lo, s9
	v_cmp_lt_u64_e64 s1, s[4:5], v[10:11]
	v_mov_b32_e32 v10, 0
	s_and_saveexec_b32 s9, s1
	s_cbranch_execz .LBB281_2047
; %bb.2040:                             ;   in Loop: Header=BB281_1059 Depth=1
	v_lshrrev_b32_e32 v0, 24, v11
	v_bfrev_b32_e32 v10, 1
	s_mov_b32 s14, exec_lo
	s_delay_alu instid0(VALU_DEP_2)
	v_cmpx_ne_u32_e32 0x80, v0
	s_cbranch_execz .LBB281_2046
; %bb.2041:                             ;   in Loop: Header=BB281_1059 Depth=1
	v_and_b32_e32 v146, 0x7f, v0
	v_mov_b32_e32 v10, 0x7c010000
	s_mov_b32 s15, exec_lo
	s_delay_alu instid0(VALU_DEP_2)
	v_cmpx_ne_u32_e32 0x7f, v146
	s_cbranch_execz .LBB281_2045
; %bb.2042:                             ;   in Loop: Header=BB281_1059 Depth=1
	v_and_b32_e32 v10, 7, v0
	v_lshrrev_b32_e32 v11, 3, v146
	s_mov_b32 s16, exec_lo
	v_cmpx_gt_u32_e32 8, v146
; %bb.2043:                             ;   in Loop: Header=BB281_1059 Depth=1
	s_delay_alu instid0(VALU_DEP_3) | instskip(NEXT) | instid1(VALU_DEP_1)
	v_clz_i32_u32_e32 v10, v10
	v_min_u32_e32 v146, 32, v10
	s_delay_alu instid0(VALU_DEP_1) | instskip(NEXT) | instid1(VALU_DEP_1)
	v_subrev_nc_u32_e32 v10, 28, v146
	v_lshlrev_b64_e32 v[10:11], v10, v[0:1]
	v_sub_nc_u32_e32 v11, 29, v146
	s_delay_alu instid0(VALU_DEP_2)
	v_and_b32_e32 v10, 7, v10
; %bb.2044:                             ;   in Loop: Header=BB281_1059 Depth=1
	s_wait_alu 0xfffe
	s_or_b32 exec_lo, exec_lo, s16
	v_lshlrev_b32_e32 v0, 8, v0
	v_lshl_add_u32 v11, v11, 10, 0x2000
	v_lshlrev_b32_e32 v10, 23, v10
	s_delay_alu instid0(VALU_DEP_2) | instskip(NEXT) | instid1(VALU_DEP_1)
	v_and_or_b32 v0, 0x8000, v0, v11
	v_lshl_or_b32 v10, v0, 16, v10
.LBB281_2045:                           ;   in Loop: Header=BB281_1059 Depth=1
	s_wait_alu 0xfffe
	s_or_b32 exec_lo, exec_lo, s15
.LBB281_2046:                           ;   in Loop: Header=BB281_1059 Depth=1
	s_wait_alu 0xfffe
	s_or_b32 exec_lo, exec_lo, s14
.LBB281_2047:                           ;   in Loop: Header=BB281_1059 Depth=1
	s_wait_alu 0xfffe
	s_or_b32 exec_lo, exec_lo, s9
	v_or_b32_e32 v0, v133, v134
	s_wait_loadcnt_dscnt 0x0
	v_fma_mixlo_f16 v11, v130, v133, 0 op_sel:[0,1,0] op_sel_hi:[0,1,0]
	v_or_b32_e32 v133, v131, v132
	v_fma_mixlo_f16 v131, v130, v131, 0 op_sel:[0,1,0] op_sel_hi:[0,1,0]
	v_or_b32_e32 v134, v145, v144
	v_or_b32_e32 v135, v10, v135
	v_fma_mixlo_f16 v144, v130, v0, 0 op_sel_hi:[0,1,0]
	v_fma_mixlo_f16 v10, v130, v10, 0 op_sel:[0,1,0] op_sel_hi:[0,1,0]
	v_lshlrev_b32_e32 v132, 16, v131
	v_fma_mixlo_f16 v131, v130, v133, 0 op_sel_hi:[0,1,0]
	v_fma_mixlo_f16 v133, v130, v145, 0 op_sel:[0,1,0] op_sel_hi:[0,1,0]
	v_fma_mixlo_f16 v134, v130, v134, 0 op_sel_hi:[0,1,0]
	v_fma_mixlo_f16 v135, v130, v135, 0 op_sel_hi:[0,1,0]
	v_lshlrev_b32_e32 v0, 16, v11
	v_and_b32_e32 v11, 0xffff, v144
	v_and_b32_e32 v146, 0xffff, v131
	v_lshlrev_b32_e32 v130, 16, v133
	v_and_b32_e32 v134, 0xffff, v134
	v_lshlrev_b32_e32 v10, 16, v10
	v_and_b32_e32 v131, 0xffff, v135
	v_or_b32_e32 v133, v0, v11
	v_or_b32_e32 v145, v132, v146
	;; [unrolled: 1-line block ×3, first 2 shown]
	s_delay_alu instid0(VALU_DEP_4)
	v_or_b32_e32 v135, v10, v131
	s_and_saveexec_b32 s9, vcc_lo
	s_cbranch_execz .LBB281_2049
; %bb.2048:                             ;   in Loop: Header=BB281_1059 Depth=1
	v_cmp_lt_i32_e64 s1, v23, v32
	s_wait_alu 0xf1ff
	s_delay_alu instid0(VALU_DEP_1) | instskip(SKIP_2) | instid1(VALU_DEP_1)
	v_cndmask_b32_e64 v133, 0, v146, s1
	v_cmp_lt_i32_e64 s1, v71, v32
	s_wait_alu 0xf1ff
	v_cndmask_b32_e64 v132, 0, v132, s1
	v_cmp_lt_i32_e64 s1, v70, v32
	s_delay_alu instid0(VALU_DEP_2) | instskip(SKIP_1) | instid1(VALU_DEP_2)
	v_or_b32_e32 v145, v133, v132
	s_wait_alu 0xf1ff
	v_cndmask_b32_e64 v11, 0, v11, s1
	v_cmp_lt_i32_e64 s1, v69, v32
	s_wait_alu 0xf1ff
	s_delay_alu instid0(VALU_DEP_1) | instskip(SKIP_1) | instid1(VALU_DEP_2)
	v_cndmask_b32_e64 v0, 0, v0, s1
	v_cmp_lt_i32_e64 s1, v68, v32
	v_or_b32_e32 v133, v11, v0
	s_wait_alu 0xf1ff
	s_delay_alu instid0(VALU_DEP_2) | instskip(SKIP_2) | instid1(VALU_DEP_1)
	v_cndmask_b32_e64 v134, 0, v134, s1
	v_cmp_lt_i32_e64 s1, v67, v32
	s_wait_alu 0xf1ff
	v_cndmask_b32_e64 v130, 0, v130, s1
	v_cmp_lt_i32_e64 s1, v66, v32
	s_delay_alu instid0(VALU_DEP_2) | instskip(SKIP_1) | instid1(VALU_DEP_2)
	v_or_b32_e32 v144, v134, v130
	s_wait_alu 0xf1ff
	v_cndmask_b32_e64 v131, 0, v131, s1
	v_cmp_lt_i32_e64 s1, v14, v32
	s_wait_alu 0xf1ff
	s_delay_alu instid0(VALU_DEP_1) | instskip(NEXT) | instid1(VALU_DEP_1)
	v_cndmask_b32_e64 v10, 0, v10, s1
	v_or_b32_e32 v135, v131, v10
.LBB281_2049:                           ;   in Loop: Header=BB281_1059 Depth=1
	s_wait_alu 0xfffe
	s_or_b32 exec_lo, exec_lo, s9
	;;#ASMSTART
	v_pk_mul_f16 v0, v64, v145;

	;;#ASMEND
	;;#ASMSTART
	v_pk_mul_f16 v10, v38, v133;

	;;#ASMEND
	;;#ASMSTART
	v_pk_mul_f16 v11, v37, v144;

	;;#ASMEND
	;;#ASMSTART
	v_pk_mul_f16 v130, v36, v135;

	;;#ASMEND
	;;#ASMSTART
	v_pk_add_f16 v0, v0, v10;

	;;#ASMEND
	;;#ASMSTART
	v_pk_add_f16 v0, v0, v11;

	;;#ASMEND
	;; [unrolled: 4-line block ×3, first 2 shown]
	v_dual_mov_b32 v131, 0 :: v_dual_and_b32 v10, 0xffff, v0
	v_lshrrev_b32_e32 v0, 16, v0
	;;#ASMSTART
	v_cvt_f32_f16 v10, v10;
	;;#ASMEND
	;;#ASMSTART
	v_cvt_f32_f16 v11, v0;
	;;#ASMEND
	flat_load_b64 v[8:9], v[8:9] offset:3840
	flat_load_b32 v130, v[26:27]
	v_mov_b32_e32 v132, 0
	s_mov_b32 s9, exec_lo
	s_wait_loadcnt_dscnt 0x101
	v_and_b32_e32 v0, 0xff, v8
	s_delay_alu instid0(VALU_DEP_1)
	v_cmpx_ne_u16_e32 0, v0
	s_cbranch_execz .LBB281_2057
; %bb.2050:                             ;   in Loop: Header=BB281_1059 Depth=1
	v_mov_b32_e32 v132, 0x8000
	s_mov_b32 s14, exec_lo
	v_cmpx_ne_u16_e32 0x80, v0
	s_cbranch_execz .LBB281_2056
; %bb.2051:                             ;   in Loop: Header=BB281_1059 Depth=1
	v_and_b32_e32 v133, 0x7f, v8
	v_mov_b32_e32 v132, 0x7c01
	s_mov_b32 s15, exec_lo
	s_delay_alu instid0(VALU_DEP_2)
	v_cmpx_ne_u32_e32 0x7f, v133
	s_cbranch_execz .LBB281_2055
; %bb.2052:                             ;   in Loop: Header=BB281_1059 Depth=1
	v_and_b32_e32 v0, 7, v8
	v_lshrrev_b32_e32 v132, 3, v133
	s_mov_b32 s16, exec_lo
	v_cmpx_gt_u32_e32 8, v133
; %bb.2053:                             ;   in Loop: Header=BB281_1059 Depth=1
	s_delay_alu instid0(VALU_DEP_3) | instskip(NEXT) | instid1(VALU_DEP_1)
	v_clz_i32_u32_e32 v0, v0
	v_min_u32_e32 v0, 32, v0
	s_delay_alu instid0(VALU_DEP_1) | instskip(NEXT) | instid1(VALU_DEP_1)
	v_subrev_nc_u32_e32 v132, 28, v0
	v_lshlrev_b64_e32 v[133:134], v132, v[8:9]
	v_sub_nc_u32_e32 v132, 29, v0
	s_delay_alu instid0(VALU_DEP_2)
	v_and_b32_e32 v0, 7, v133
; %bb.2054:                             ;   in Loop: Header=BB281_1059 Depth=1
	s_wait_alu 0xfffe
	s_or_b32 exec_lo, exec_lo, s16
	v_lshlrev_b32_e32 v133, 8, v8
	v_lshl_add_u32 v132, v132, 10, 0x2000
	v_lshlrev_b32_e32 v0, 7, v0
	s_delay_alu instid0(VALU_DEP_3) | instskip(NEXT) | instid1(VALU_DEP_3)
	v_and_b32_e32 v133, 0x8000, v133
	v_and_b32_e32 v132, 0xfc00, v132
	s_delay_alu instid0(VALU_DEP_1)
	v_or3_b32 v132, v133, v132, v0
.LBB281_2055:                           ;   in Loop: Header=BB281_1059 Depth=1
	s_wait_alu 0xfffe
	s_or_b32 exec_lo, exec_lo, s15
.LBB281_2056:                           ;   in Loop: Header=BB281_1059 Depth=1
	s_wait_alu 0xfffe
	s_or_b32 exec_lo, exec_lo, s14
.LBB281_2057:                           ;   in Loop: Header=BB281_1059 Depth=1
	s_wait_alu 0xfffe
	s_or_b32 exec_lo, exec_lo, s9
	v_lshrrev_b16 v0, 8, v8
	s_mov_b32 s9, exec_lo
	s_delay_alu instid0(VALU_DEP_1)
	v_cmpx_ne_u16_e32 0, v0
	s_cbranch_execz .LBB281_2065
; %bb.2058:                             ;   in Loop: Header=BB281_1059 Depth=1
	v_bfrev_b32_e32 v131, 1
	s_mov_b32 s14, exec_lo
	v_cmpx_ne_u16_e32 0x80, v0
	s_cbranch_execz .LBB281_2064
; %bb.2059:                             ;   in Loop: Header=BB281_1059 Depth=1
	v_and_b32_e32 v133, 0xffff, v0
	v_mov_b32_e32 v131, 0x7c010000
	s_mov_b32 s15, exec_lo
	s_delay_alu instid0(VALU_DEP_2) | instskip(NEXT) | instid1(VALU_DEP_1)
	v_and_b32_e32 v135, 0x7f, v133
	v_cmpx_ne_u32_e32 0x7f, v135
	s_cbranch_execz .LBB281_2063
; %bb.2060:                             ;   in Loop: Header=BB281_1059 Depth=1
	v_and_b32_e32 v131, 7, v133
	v_lshrrev_b32_e32 v134, 3, v135
	s_mov_b32 s16, exec_lo
	v_cmpx_gt_u32_e32 8, v135
; %bb.2061:                             ;   in Loop: Header=BB281_1059 Depth=1
	s_delay_alu instid0(VALU_DEP_3) | instskip(NEXT) | instid1(VALU_DEP_1)
	v_clz_i32_u32_e32 v131, v131
	v_min_u32_e32 v131, 32, v131
	s_delay_alu instid0(VALU_DEP_1) | instskip(NEXT) | instid1(VALU_DEP_1)
	v_subrev_nc_u32_e32 v134, 28, v131
	v_lshlrev_b64_e32 v[144:145], v134, v[0:1]
	v_sub_nc_u32_e32 v134, 29, v131
	s_delay_alu instid0(VALU_DEP_2)
	v_and_b32_e32 v131, 7, v144
; %bb.2062:                             ;   in Loop: Header=BB281_1059 Depth=1
	s_wait_alu 0xfffe
	s_or_b32 exec_lo, exec_lo, s16
	v_lshlrev_b32_e32 v0, 8, v133
	v_lshl_add_u32 v133, v134, 10, 0x2000
	v_lshlrev_b32_e32 v131, 23, v131
	s_delay_alu instid0(VALU_DEP_2) | instskip(NEXT) | instid1(VALU_DEP_1)
	v_and_or_b32 v0, 0x8000, v0, v133
	v_lshl_or_b32 v131, v0, 16, v131
.LBB281_2063:                           ;   in Loop: Header=BB281_1059 Depth=1
	s_wait_alu 0xfffe
	s_or_b32 exec_lo, exec_lo, s15
.LBB281_2064:                           ;   in Loop: Header=BB281_1059 Depth=1
	s_wait_alu 0xfffe
	s_or_b32 exec_lo, exec_lo, s14
.LBB281_2065:                           ;   in Loop: Header=BB281_1059 Depth=1
	s_wait_alu 0xfffe
	s_or_b32 exec_lo, exec_lo, s9
	v_lshrrev_b32_e32 v0, 16, v8
	v_mov_b32_e32 v133, 0
	s_mov_b32 s9, exec_lo
	s_delay_alu instid0(VALU_DEP_2) | instskip(NEXT) | instid1(VALU_DEP_1)
	v_dual_mov_b32 v134, 0 :: v_dual_and_b32 v135, 0xff, v0
	v_cmpx_ne_u16_e64 0, v135
	s_cbranch_execz .LBB281_2073
; %bb.2066:                             ;   in Loop: Header=BB281_1059 Depth=1
	v_mov_b32_e32 v134, 0x8000
	s_mov_b32 s14, exec_lo
	v_cmpx_ne_u16_e64 0x80, v135
	s_cbranch_execz .LBB281_2072
; %bb.2067:                             ;   in Loop: Header=BB281_1059 Depth=1
	v_bfe_u32 v144, v8, 16, 7
	v_mov_b32_e32 v134, 0x7c01
	s_mov_b32 s15, exec_lo
	s_delay_alu instid0(VALU_DEP_2)
	v_cmpx_ne_u32_e32 0x7f, v144
	s_cbranch_execz .LBB281_2071
; %bb.2068:                             ;   in Loop: Header=BB281_1059 Depth=1
	v_and_b32_e32 v134, 7, v0
	v_lshrrev_b32_e32 v135, 3, v144
	s_mov_b32 s16, exec_lo
	v_cmpx_gt_u32_e32 8, v144
; %bb.2069:                             ;   in Loop: Header=BB281_1059 Depth=1
	s_delay_alu instid0(VALU_DEP_3) | instskip(NEXT) | instid1(VALU_DEP_1)
	v_clz_i32_u32_e32 v134, v134
	v_min_u32_e32 v144, 32, v134
	s_delay_alu instid0(VALU_DEP_1) | instskip(NEXT) | instid1(VALU_DEP_1)
	v_subrev_nc_u32_e32 v134, 28, v144
	v_lshlrev_b64_e32 v[134:135], v134, v[0:1]
	v_sub_nc_u32_e32 v135, 29, v144
	s_delay_alu instid0(VALU_DEP_2)
	v_and_b32_e32 v134, 7, v134
; %bb.2070:                             ;   in Loop: Header=BB281_1059 Depth=1
	s_wait_alu 0xfffe
	s_or_b32 exec_lo, exec_lo, s16
	v_lshlrev_b32_e32 v0, 8, v0
	v_lshl_add_u32 v135, v135, 10, 0x2000
	v_lshlrev_b32_e32 v134, 7, v134
	s_delay_alu instid0(VALU_DEP_3) | instskip(NEXT) | instid1(VALU_DEP_3)
	v_and_b32_e32 v0, 0x8000, v0
	v_and_b32_e32 v135, 0xfc00, v135
	s_delay_alu instid0(VALU_DEP_1)
	v_or3_b32 v134, v0, v135, v134
.LBB281_2071:                           ;   in Loop: Header=BB281_1059 Depth=1
	s_wait_alu 0xfffe
	s_or_b32 exec_lo, exec_lo, s15
.LBB281_2072:                           ;   in Loop: Header=BB281_1059 Depth=1
	s_wait_alu 0xfffe
	s_or_b32 exec_lo, exec_lo, s14
.LBB281_2073:                           ;   in Loop: Header=BB281_1059 Depth=1
	s_wait_alu 0xfffe
	s_or_b32 exec_lo, exec_lo, s9
	s_delay_alu instid0(SALU_CYCLE_1)
	s_mov_b32 s9, exec_lo
	v_cmpx_lt_u32_e32 0xffffff, v8
	s_cbranch_execz .LBB281_2081
; %bb.2074:                             ;   in Loop: Header=BB281_1059 Depth=1
	v_lshrrev_b32_e32 v0, 24, v8
	v_bfrev_b32_e32 v133, 1
	s_mov_b32 s14, exec_lo
	s_delay_alu instid0(VALU_DEP_2)
	v_cmpx_ne_u32_e32 0x80, v0
	s_cbranch_execz .LBB281_2080
; %bb.2075:                             ;   in Loop: Header=BB281_1059 Depth=1
	v_and_b32_e32 v144, 0x7f, v0
	v_mov_b32_e32 v133, 0x7c010000
	s_mov_b32 s15, exec_lo
	s_delay_alu instid0(VALU_DEP_2)
	v_cmpx_ne_u32_e32 0x7f, v144
	s_cbranch_execz .LBB281_2079
; %bb.2076:                             ;   in Loop: Header=BB281_1059 Depth=1
	v_and_b32_e32 v133, 7, v0
	v_lshrrev_b32_e32 v135, 3, v144
	s_mov_b32 s16, exec_lo
	v_cmpx_gt_u32_e32 8, v144
; %bb.2077:                             ;   in Loop: Header=BB281_1059 Depth=1
	s_delay_alu instid0(VALU_DEP_3) | instskip(NEXT) | instid1(VALU_DEP_1)
	v_clz_i32_u32_e32 v133, v133
	v_min_u32_e32 v133, 32, v133
	s_delay_alu instid0(VALU_DEP_1) | instskip(NEXT) | instid1(VALU_DEP_1)
	v_subrev_nc_u32_e32 v135, 28, v133
	v_lshlrev_b64_e32 v[144:145], v135, v[0:1]
	v_sub_nc_u32_e32 v135, 29, v133
	s_delay_alu instid0(VALU_DEP_2)
	v_and_b32_e32 v133, 7, v144
; %bb.2078:                             ;   in Loop: Header=BB281_1059 Depth=1
	s_wait_alu 0xfffe
	s_or_b32 exec_lo, exec_lo, s16
	v_lshlrev_b32_e32 v0, 8, v0
	v_lshl_add_u32 v135, v135, 10, 0x2000
	v_lshlrev_b32_e32 v133, 23, v133
	s_delay_alu instid0(VALU_DEP_2) | instskip(NEXT) | instid1(VALU_DEP_1)
	v_and_or_b32 v0, 0x8000, v0, v135
	v_lshl_or_b32 v133, v0, 16, v133
.LBB281_2079:                           ;   in Loop: Header=BB281_1059 Depth=1
	s_wait_alu 0xfffe
	s_or_b32 exec_lo, exec_lo, s15
.LBB281_2080:                           ;   in Loop: Header=BB281_1059 Depth=1
	s_wait_alu 0xfffe
	s_or_b32 exec_lo, exec_lo, s14
.LBB281_2081:                           ;   in Loop: Header=BB281_1059 Depth=1
	s_wait_alu 0xfffe
	s_or_b32 exec_lo, exec_lo, s9
	v_dual_mov_b32 v0, v9 :: v_dual_and_b32 v145, 0xff, v9
	v_dual_mov_b32 v135, 0 :: v_dual_mov_b32 v144, 0
	s_mov_b32 s9, exec_lo
	s_delay_alu instid0(VALU_DEP_2)
	v_cmpx_ne_u16_e64 0, v145
	s_cbranch_execz .LBB281_2089
; %bb.2082:                             ;   in Loop: Header=BB281_1059 Depth=1
	v_mov_b32_e32 v144, 0x8000
	s_mov_b32 s14, exec_lo
	v_cmpx_ne_u16_e64 0x80, v145
	s_cbranch_execz .LBB281_2088
; %bb.2083:                             ;   in Loop: Header=BB281_1059 Depth=1
	v_and_b32_e32 v146, 0x7f, v9
	v_mov_b32_e32 v144, 0x7c01
	s_mov_b32 s15, exec_lo
	s_delay_alu instid0(VALU_DEP_2)
	v_cmpx_ne_u32_e32 0x7f, v146
	s_cbranch_execz .LBB281_2087
; %bb.2084:                             ;   in Loop: Header=BB281_1059 Depth=1
	v_and_b32_e32 v144, 7, v9
	v_lshrrev_b32_e32 v145, 3, v146
	s_mov_b32 s16, exec_lo
	v_cmpx_gt_u32_e32 8, v146
; %bb.2085:                             ;   in Loop: Header=BB281_1059 Depth=1
	s_delay_alu instid0(VALU_DEP_3) | instskip(NEXT) | instid1(VALU_DEP_1)
	v_clz_i32_u32_e32 v144, v144
	v_min_u32_e32 v146, 32, v144
	s_delay_alu instid0(VALU_DEP_1) | instskip(NEXT) | instid1(VALU_DEP_1)
	v_subrev_nc_u32_e32 v144, 28, v146
	v_lshlrev_b64_e32 v[144:145], v144, v[0:1]
	v_sub_nc_u32_e32 v145, 29, v146
	s_delay_alu instid0(VALU_DEP_2)
	v_and_b32_e32 v144, 7, v144
; %bb.2086:                             ;   in Loop: Header=BB281_1059 Depth=1
	s_wait_alu 0xfffe
	s_or_b32 exec_lo, exec_lo, s16
	v_lshlrev_b32_e32 v146, 8, v9
	v_lshl_add_u32 v145, v145, 10, 0x2000
	v_lshlrev_b32_e32 v144, 7, v144
	s_delay_alu instid0(VALU_DEP_3) | instskip(NEXT) | instid1(VALU_DEP_3)
	v_and_b32_e32 v146, 0x8000, v146
	v_and_b32_e32 v145, 0xfc00, v145
	s_delay_alu instid0(VALU_DEP_1)
	v_or3_b32 v144, v146, v145, v144
.LBB281_2087:                           ;   in Loop: Header=BB281_1059 Depth=1
	s_wait_alu 0xfffe
	s_or_b32 exec_lo, exec_lo, s15
.LBB281_2088:                           ;   in Loop: Header=BB281_1059 Depth=1
	s_wait_alu 0xfffe
	s_or_b32 exec_lo, exec_lo, s14
.LBB281_2089:                           ;   in Loop: Header=BB281_1059 Depth=1
	s_wait_alu 0xfffe
	s_or_b32 exec_lo, exec_lo, s9
	v_lshrrev_b16 v0, 8, v0
	v_mov_b32_e32 v145, 0
	s_mov_b32 s9, exec_lo
	s_delay_alu instid0(VALU_DEP_2)
	v_cmpx_ne_u16_e32 0, v0
	s_cbranch_execz .LBB281_2097
; %bb.2090:                             ;   in Loop: Header=BB281_1059 Depth=1
	v_bfrev_b32_e32 v145, 1
	s_mov_b32 s14, exec_lo
	v_cmpx_ne_u16_e32 0x80, v0
	s_cbranch_execz .LBB281_2096
; %bb.2091:                             ;   in Loop: Header=BB281_1059 Depth=1
	v_and_b32_e32 v146, 0xffff, v0
	v_mov_b32_e32 v145, 0x7c010000
	s_mov_b32 s15, exec_lo
	s_delay_alu instid0(VALU_DEP_2) | instskip(NEXT) | instid1(VALU_DEP_1)
	v_and_b32_e32 v148, 0x7f, v146
	v_cmpx_ne_u32_e32 0x7f, v148
	s_cbranch_execz .LBB281_2095
; %bb.2092:                             ;   in Loop: Header=BB281_1059 Depth=1
	v_and_b32_e32 v145, 7, v146
	v_lshrrev_b32_e32 v147, 3, v148
	s_mov_b32 s16, exec_lo
	v_cmpx_gt_u32_e32 8, v148
; %bb.2093:                             ;   in Loop: Header=BB281_1059 Depth=1
	s_delay_alu instid0(VALU_DEP_3) | instskip(NEXT) | instid1(VALU_DEP_1)
	v_clz_i32_u32_e32 v145, v145
	v_min_u32_e32 v145, 32, v145
	s_delay_alu instid0(VALU_DEP_1) | instskip(NEXT) | instid1(VALU_DEP_1)
	v_subrev_nc_u32_e32 v147, 28, v145
	v_lshlrev_b64_e32 v[148:149], v147, v[0:1]
	v_sub_nc_u32_e32 v147, 29, v145
	s_delay_alu instid0(VALU_DEP_2)
	v_and_b32_e32 v145, 7, v148
; %bb.2094:                             ;   in Loop: Header=BB281_1059 Depth=1
	s_wait_alu 0xfffe
	s_or_b32 exec_lo, exec_lo, s16
	v_lshlrev_b32_e32 v0, 8, v146
	v_lshl_add_u32 v146, v147, 10, 0x2000
	v_lshlrev_b32_e32 v145, 23, v145
	s_delay_alu instid0(VALU_DEP_2) | instskip(NEXT) | instid1(VALU_DEP_1)
	v_and_or_b32 v0, 0x8000, v0, v146
	v_lshl_or_b32 v145, v0, 16, v145
.LBB281_2095:                           ;   in Loop: Header=BB281_1059 Depth=1
	s_wait_alu 0xfffe
	s_or_b32 exec_lo, exec_lo, s15
.LBB281_2096:                           ;   in Loop: Header=BB281_1059 Depth=1
	s_wait_alu 0xfffe
	s_or_b32 exec_lo, exec_lo, s14
.LBB281_2097:                           ;   in Loop: Header=BB281_1059 Depth=1
	s_wait_alu 0xfffe
	s_or_b32 exec_lo, exec_lo, s9
	v_lshrrev_b32_e32 v0, 16, v9
	s_mov_b32 s9, exec_lo
	s_delay_alu instid0(VALU_DEP_1) | instskip(NEXT) | instid1(VALU_DEP_1)
	v_and_b32_e32 v146, 0xff, v0
	v_cmpx_ne_u16_e64 0, v146
	s_cbranch_execz .LBB281_2105
; %bb.2098:                             ;   in Loop: Header=BB281_1059 Depth=1
	v_mov_b32_e32 v135, 0x8000
	s_mov_b32 s14, exec_lo
	v_cmpx_ne_u16_e64 0x80, v146
	s_cbranch_execz .LBB281_2104
; %bb.2099:                             ;   in Loop: Header=BB281_1059 Depth=1
	v_bfe_u32 v147, v9, 16, 7
	v_mov_b32_e32 v135, 0x7c01
	s_mov_b32 s15, exec_lo
	s_delay_alu instid0(VALU_DEP_2)
	v_cmpx_ne_u32_e32 0x7f, v147
	s_cbranch_execz .LBB281_2103
; %bb.2100:                             ;   in Loop: Header=BB281_1059 Depth=1
	v_and_b32_e32 v135, 7, v0
	v_lshrrev_b32_e32 v146, 3, v147
	s_mov_b32 s16, exec_lo
	v_cmpx_gt_u32_e32 8, v147
; %bb.2101:                             ;   in Loop: Header=BB281_1059 Depth=1
	s_delay_alu instid0(VALU_DEP_3) | instskip(NEXT) | instid1(VALU_DEP_1)
	v_clz_i32_u32_e32 v135, v135
	v_min_u32_e32 v135, 32, v135
	s_delay_alu instid0(VALU_DEP_1) | instskip(NEXT) | instid1(VALU_DEP_1)
	v_subrev_nc_u32_e32 v146, 28, v135
	v_lshlrev_b64_e32 v[147:148], v146, v[0:1]
	v_sub_nc_u32_e32 v146, 29, v135
	s_delay_alu instid0(VALU_DEP_2)
	v_and_b32_e32 v135, 7, v147
; %bb.2102:                             ;   in Loop: Header=BB281_1059 Depth=1
	s_wait_alu 0xfffe
	s_or_b32 exec_lo, exec_lo, s16
	v_lshlrev_b32_e32 v0, 8, v0
	v_lshl_add_u32 v146, v146, 10, 0x2000
	v_lshlrev_b32_e32 v135, 7, v135
	s_delay_alu instid0(VALU_DEP_3) | instskip(NEXT) | instid1(VALU_DEP_3)
	v_and_b32_e32 v0, 0x8000, v0
	v_and_b32_e32 v146, 0xfc00, v146
	s_delay_alu instid0(VALU_DEP_1)
	v_or3_b32 v135, v0, v146, v135
.LBB281_2103:                           ;   in Loop: Header=BB281_1059 Depth=1
	s_wait_alu 0xfffe
	s_or_b32 exec_lo, exec_lo, s15
.LBB281_2104:                           ;   in Loop: Header=BB281_1059 Depth=1
	s_wait_alu 0xfffe
	s_or_b32 exec_lo, exec_lo, s14
.LBB281_2105:                           ;   in Loop: Header=BB281_1059 Depth=1
	s_wait_alu 0xfffe
	s_or_b32 exec_lo, exec_lo, s9
	v_cmp_lt_u64_e64 s1, s[4:5], v[8:9]
	v_mov_b32_e32 v8, 0
	s_and_saveexec_b32 s9, s1
	s_cbranch_execz .LBB281_2113
; %bb.2106:                             ;   in Loop: Header=BB281_1059 Depth=1
	v_lshrrev_b32_e32 v0, 24, v9
	v_bfrev_b32_e32 v8, 1
	s_mov_b32 s14, exec_lo
	s_delay_alu instid0(VALU_DEP_2)
	v_cmpx_ne_u32_e32 0x80, v0
	s_cbranch_execz .LBB281_2112
; %bb.2107:                             ;   in Loop: Header=BB281_1059 Depth=1
	v_and_b32_e32 v146, 0x7f, v0
	v_mov_b32_e32 v8, 0x7c010000
	s_mov_b32 s15, exec_lo
	s_delay_alu instid0(VALU_DEP_2)
	v_cmpx_ne_u32_e32 0x7f, v146
	s_cbranch_execz .LBB281_2111
; %bb.2108:                             ;   in Loop: Header=BB281_1059 Depth=1
	v_and_b32_e32 v8, 7, v0
	v_lshrrev_b32_e32 v9, 3, v146
	s_mov_b32 s16, exec_lo
	v_cmpx_gt_u32_e32 8, v146
; %bb.2109:                             ;   in Loop: Header=BB281_1059 Depth=1
	s_delay_alu instid0(VALU_DEP_3) | instskip(NEXT) | instid1(VALU_DEP_1)
	v_clz_i32_u32_e32 v8, v8
	v_min_u32_e32 v146, 32, v8
	s_delay_alu instid0(VALU_DEP_1) | instskip(NEXT) | instid1(VALU_DEP_1)
	v_subrev_nc_u32_e32 v8, 28, v146
	v_lshlrev_b64_e32 v[8:9], v8, v[0:1]
	v_sub_nc_u32_e32 v9, 29, v146
	s_delay_alu instid0(VALU_DEP_2)
	v_and_b32_e32 v8, 7, v8
; %bb.2110:                             ;   in Loop: Header=BB281_1059 Depth=1
	s_wait_alu 0xfffe
	s_or_b32 exec_lo, exec_lo, s16
	v_lshlrev_b32_e32 v0, 8, v0
	v_lshl_add_u32 v9, v9, 10, 0x2000
	v_lshlrev_b32_e32 v8, 23, v8
	s_delay_alu instid0(VALU_DEP_2) | instskip(NEXT) | instid1(VALU_DEP_1)
	v_and_or_b32 v0, 0x8000, v0, v9
	v_lshl_or_b32 v8, v0, 16, v8
.LBB281_2111:                           ;   in Loop: Header=BB281_1059 Depth=1
	s_wait_alu 0xfffe
	s_or_b32 exec_lo, exec_lo, s15
.LBB281_2112:                           ;   in Loop: Header=BB281_1059 Depth=1
	s_wait_alu 0xfffe
	s_or_b32 exec_lo, exec_lo, s14
.LBB281_2113:                           ;   in Loop: Header=BB281_1059 Depth=1
	s_wait_alu 0xfffe
	s_or_b32 exec_lo, exec_lo, s9
	v_or_b32_e32 v0, v133, v134
	s_wait_loadcnt_dscnt 0x0
	v_fma_mixlo_f16 v9, v130, v133, 0 op_sel:[0,1,0] op_sel_hi:[0,1,0]
	v_or_b32_e32 v132, v131, v132
	v_fma_mixlo_f16 v133, v130, v131, 0 op_sel:[0,1,0] op_sel_hi:[0,1,0]
	v_or_b32_e32 v134, v145, v144
	v_fma_mixlo_f16 v0, v130, v0, 0 op_sel_hi:[0,1,0]
	v_or_b32_e32 v135, v8, v135
	v_lshlrev_b32_e32 v131, 16, v9
	v_lshlrev_b32_e32 v144, 16, v133
	v_fma_mixlo_f16 v9, v130, v132, 0 op_sel_hi:[0,1,0]
	v_and_b32_e32 v133, 0xffff, v0
	v_fma_mixlo_f16 v0, v130, v145, 0 op_sel:[0,1,0] op_sel_hi:[0,1,0]
	v_fma_mixlo_f16 v132, v130, v134, 0 op_sel_hi:[0,1,0]
	v_fma_mixlo_f16 v8, v130, v8, 0 op_sel:[0,1,0] op_sel_hi:[0,1,0]
	v_fma_mixlo_f16 v130, v130, v135, 0 op_sel_hi:[0,1,0]
	v_and_b32_e32 v146, 0xffff, v9
	v_lshlrev_b32_e32 v134, 16, v0
	v_and_b32_e32 v145, 0xffff, v132
	v_lshlrev_b32_e32 v132, 16, v8
	v_and_b32_e32 v135, 0xffff, v130
	v_or_b32_e32 v0, v131, v133
	v_or_b32_e32 v130, v144, v146
	;; [unrolled: 1-line block ×3, first 2 shown]
	s_delay_alu instid0(VALU_DEP_4)
	v_or_b32_e32 v8, v132, v135
	s_and_saveexec_b32 s1, vcc_lo
	s_cbranch_execz .LBB281_1058
; %bb.2114:                             ;   in Loop: Header=BB281_1059 Depth=1
	v_cmp_lt_i32_e32 vcc_lo, v23, v32
	s_wait_alu 0xfffd
	v_cndmask_b32_e32 v0, 0, v146, vcc_lo
	v_cmp_lt_i32_e32 vcc_lo, v71, v32
	s_wait_alu 0xfffd
	v_cndmask_b32_e32 v8, 0, v144, vcc_lo
	;; [unrolled: 3-line block ×4, first 2 shown]
	v_cmp_lt_i32_e32 vcc_lo, v68, v32
	v_or_b32_e32 v130, v0, v8
	s_delay_alu instid0(VALU_DEP_3)
	v_or_b32_e32 v0, v9, v23
	s_wait_alu 0xfffd
	v_cndmask_b32_e32 v68, 0, v145, vcc_lo
	v_cmp_lt_i32_e32 vcc_lo, v67, v32
	s_wait_alu 0xfffd
	v_cndmask_b32_e32 v67, 0, v134, vcc_lo
	v_cmp_lt_i32_e32 vcc_lo, v66, v32
	s_delay_alu instid0(VALU_DEP_2)
	v_or_b32_e32 v9, v68, v67
	s_wait_alu 0xfffd
	v_cndmask_b32_e32 v66, 0, v135, vcc_lo
	v_cmp_lt_i32_e32 vcc_lo, v14, v32
	s_wait_alu 0xfffd
	v_cndmask_b32_e32 v69, 0, v132, vcc_lo
	s_delay_alu instid0(VALU_DEP_1)
	v_or_b32_e32 v8, v66, v69
	s_branch .LBB281_1058
.LBB281_2115:
	s_or_b32 exec_lo, exec_lo, s8
	v_dual_mov_b32 v0, s10 :: v_dual_mov_b32 v1, s11
.LBB281_2116:
	s_or_b32 exec_lo, exec_lo, s3
	s_delay_alu instid0(VALU_DEP_1)
	v_lshlrev_b64_e32 v[0:1], 2, v[0:1]
	s_getpc_b64 s[4:5]
	s_wait_alu 0xfffe
	s_sext_i32_i16 s5, s5
	s_add_co_u32 s4, s4, llvm.amdgcn.dynlds.offset.table@rel32@lo+12
	s_wait_alu 0xfffe
	s_add_co_ci_u32 s5, s5, llvm.amdgcn.dynlds.offset.table@rel32@hi+24
	s_wait_storecnt 0x0
	s_wait_loadcnt_dscnt 0x0
	s_barrier_signal -1
	s_barrier_wait -1
	global_inv scope:SCOPE_SE
	v_add_co_u32 v0, vcc_lo, s4, v0
	s_wait_alu 0xfffc
	v_add_co_ci_u32_e64 v1, null, s5, v1, vcc_lo
	ds_bpermute_b32 v2, v13, v53
	ds_bpermute_b32 v3, v13, v51
	;; [unrolled: 1-line block ×3, first 2 shown]
	global_load_b32 v26, v[0:1], off
	ds_bpermute_b32 v0, v13, v52
	ds_bpermute_b32 v1, v13, v54
	;; [unrolled: 1-line block ×13, first 2 shown]
	v_lshrrev_b32_e32 v27, 1, v12
	v_lshlrev_b32_e32 v31, 10, v31
	s_wait_dscnt 0xf
	v_dual_add_f32 v15, v53, v2 :: v_dual_and_b32 v64, 0x3c1, v29
	s_wait_dscnt 0xd
	v_dual_add_f32 v14, v51, v3 :: v_dual_add_f32 v13, v50, v6
	s_mov_b32 s1, exec_lo
	s_wait_dscnt 0xb
	v_dual_add_f32 v23, v52, v0 :: v_dual_add_f32 v22, v54, v1
	s_wait_dscnt 0x9
	v_dual_add_f32 v12, v49, v7 :: v_dual_add_f32 v11, v48, v8
	s_wait_dscnt 0x7
	v_dual_add_f32 v10, v39, v9 :: v_dual_add_f32 v9, v25, v32
	s_wait_dscnt 0x5
	v_dual_add_f32 v8, v24, v33 :: v_dual_add_f32 v7, v21, v34
	s_wait_dscnt 0x3
	v_dual_add_f32 v6, v20, v35 :: v_dual_add_f32 v3, v19, v36
	s_wait_dscnt 0x1
	v_dual_add_f32 v2, v18, v37 :: v_dual_add_f32 v1, v17, v38
	s_wait_dscnt 0x0
	v_add_f32_e32 v0, v16, v55
	s_wait_loadcnt 0x0
	v_lshl_add_u32 v17, v27, 2, v26
	v_cmpx_eq_u32_e32 64, v64
	s_cbranch_execz .LBB281_2118
; %bb.2117:
	s_delay_alu instid0(VALU_DEP_2) | instskip(NEXT) | instid1(VALU_DEP_1)
	v_add_nc_u32_e32 v16, v17, v31
	v_add_nc_u32_e32 v18, 0xfffff800, v16
	;; [unrolled: 1-line block ×9, first 2 shown]
	ds_store_b32 v18, v23
	ds_store_b32 v19, v22
	;; [unrolled: 1-line block ×8, first 2 shown]
	v_add_nc_u32_e32 v18, 0xfffffa00, v16
	v_add_nc_u32_e32 v19, 0xfffffa40, v16
	;; [unrolled: 1-line block ×8, first 2 shown]
	ds_store_b32 v18, v9
	ds_store_b32 v19, v8
	;; [unrolled: 1-line block ×8, first 2 shown]
.LBB281_2118:
	s_wait_alu 0xfffe
	s_or_b32 exec_lo, exec_lo, s1
	v_lshlrev_b32_e32 v16, 2, v27
	v_cmp_eq_u32_e32 vcc_lo, 0, v30
	s_wait_dscnt 0x0
	s_barrier_signal -1
	s_barrier_wait -1
	v_add3_u32 v16, v26, v31, v16
	global_inv scope:SCOPE_SE
	s_and_saveexec_b32 s1, s0
	s_cbranch_execz .LBB281_2137
; %bb.2119:
	s_and_saveexec_b32 s0, vcc_lo
	s_cbranch_execnz .LBB281_2161
; %bb.2120:
	s_wait_alu 0xfffe
	s_or_b32 exec_lo, exec_lo, s0
	s_and_saveexec_b32 s0, vcc_lo
	s_cbranch_execnz .LBB281_2162
.LBB281_2121:
	s_wait_alu 0xfffe
	s_or_b32 exec_lo, exec_lo, s0
	s_and_saveexec_b32 s0, vcc_lo
	s_cbranch_execnz .LBB281_2163
.LBB281_2122:
	s_wait_alu 0xfffe
	s_or_b32 exec_lo, exec_lo, s0
	s_and_saveexec_b32 s0, vcc_lo
	s_cbranch_execnz .LBB281_2164
.LBB281_2123:
	s_wait_alu 0xfffe
	s_or_b32 exec_lo, exec_lo, s0
	s_and_saveexec_b32 s0, vcc_lo
	s_cbranch_execnz .LBB281_2165
.LBB281_2124:
	s_wait_alu 0xfffe
	s_or_b32 exec_lo, exec_lo, s0
	s_and_saveexec_b32 s0, vcc_lo
	s_cbranch_execnz .LBB281_2166
.LBB281_2125:
	s_wait_alu 0xfffe
	s_or_b32 exec_lo, exec_lo, s0
	s_and_saveexec_b32 s0, vcc_lo
	s_cbranch_execnz .LBB281_2167
.LBB281_2126:
	s_wait_alu 0xfffe
	s_or_b32 exec_lo, exec_lo, s0
	s_and_saveexec_b32 s0, vcc_lo
	s_cbranch_execnz .LBB281_2168
.LBB281_2127:
	s_wait_alu 0xfffe
	s_or_b32 exec_lo, exec_lo, s0
	s_and_saveexec_b32 s0, vcc_lo
	s_cbranch_execnz .LBB281_2169
.LBB281_2128:
	s_wait_alu 0xfffe
	s_or_b32 exec_lo, exec_lo, s0
	s_and_saveexec_b32 s0, vcc_lo
	s_cbranch_execnz .LBB281_2170
.LBB281_2129:
	s_wait_alu 0xfffe
	s_or_b32 exec_lo, exec_lo, s0
	s_and_saveexec_b32 s0, vcc_lo
	s_cbranch_execnz .LBB281_2171
.LBB281_2130:
	s_wait_alu 0xfffe
	s_or_b32 exec_lo, exec_lo, s0
	s_and_saveexec_b32 s0, vcc_lo
	s_cbranch_execnz .LBB281_2172
.LBB281_2131:
	s_wait_alu 0xfffe
	s_or_b32 exec_lo, exec_lo, s0
	s_and_saveexec_b32 s0, vcc_lo
	s_cbranch_execnz .LBB281_2173
.LBB281_2132:
	s_wait_alu 0xfffe
	s_or_b32 exec_lo, exec_lo, s0
	s_and_saveexec_b32 s0, vcc_lo
	s_cbranch_execnz .LBB281_2174
.LBB281_2133:
	s_wait_alu 0xfffe
	s_or_b32 exec_lo, exec_lo, s0
	s_and_saveexec_b32 s0, vcc_lo
	s_cbranch_execnz .LBB281_2175
.LBB281_2134:
	s_wait_alu 0xfffe
	s_or_b32 exec_lo, exec_lo, s0
	s_and_saveexec_b32 s0, vcc_lo
	s_cbranch_execz .LBB281_2136
.LBB281_2135:
	ds_load_b32 v18, v16 offset:960
	s_wait_dscnt 0x0
	v_add_f32_e32 v0, v18, v0
.LBB281_2136:
	s_wait_alu 0xfffe
	s_or_b32 exec_lo, exec_lo, s0
.LBB281_2137:
	s_wait_alu 0xfffe
	s_or_b32 exec_lo, exec_lo, s1
	v_and_b32_e32 v18, 0x3e1, v29
	s_mov_b32 s1, exec_lo
	s_wait_loadcnt 0x0
	s_barrier_signal -1
	s_barrier_wait -1
	global_inv scope:SCOPE_SE
	v_cmpx_eq_u32_e32 32, v18
	s_cbranch_execz .LBB281_2139
; %bb.2138:
	ds_store_2addr_b32 v17, v23, v22 offset1:16
	ds_store_2addr_b32 v17, v15, v14 offset0:32 offset1:48
	ds_store_2addr_b32 v17, v13, v12 offset0:64 offset1:80
	;; [unrolled: 1-line block ×7, first 2 shown]
.LBB281_2139:
	s_wait_alu 0xfffe
	s_or_b32 exec_lo, exec_lo, s1
	s_delay_alu instid0(SALU_CYCLE_1)
	s_mov_b32 s1, exec_lo
	s_wait_loadcnt_dscnt 0x0
	s_barrier_signal -1
	s_barrier_wait -1
	global_inv scope:SCOPE_SE
	v_cmpx_gt_u32_e32 32, v29
	s_cbranch_execz .LBB281_2158
; %bb.2140:
	s_and_saveexec_b32 s0, vcc_lo
	s_cbranch_execnz .LBB281_2176
; %bb.2141:
	s_wait_alu 0xfffe
	s_or_b32 exec_lo, exec_lo, s0
	s_and_saveexec_b32 s0, vcc_lo
	s_cbranch_execnz .LBB281_2177
.LBB281_2142:
	s_wait_alu 0xfffe
	s_or_b32 exec_lo, exec_lo, s0
	s_and_saveexec_b32 s0, vcc_lo
	s_cbranch_execnz .LBB281_2178
.LBB281_2143:
	s_wait_alu 0xfffe
	s_or_b32 exec_lo, exec_lo, s0
	s_and_saveexec_b32 s0, vcc_lo
	s_cbranch_execnz .LBB281_2179
.LBB281_2144:
	s_wait_alu 0xfffe
	s_or_b32 exec_lo, exec_lo, s0
	s_and_saveexec_b32 s0, vcc_lo
	s_cbranch_execnz .LBB281_2180
.LBB281_2145:
	s_wait_alu 0xfffe
	s_or_b32 exec_lo, exec_lo, s0
	s_and_saveexec_b32 s0, vcc_lo
	s_cbranch_execnz .LBB281_2181
.LBB281_2146:
	s_wait_alu 0xfffe
	s_or_b32 exec_lo, exec_lo, s0
	s_and_saveexec_b32 s0, vcc_lo
	s_cbranch_execnz .LBB281_2182
.LBB281_2147:
	s_wait_alu 0xfffe
	s_or_b32 exec_lo, exec_lo, s0
	s_and_saveexec_b32 s0, vcc_lo
	s_cbranch_execnz .LBB281_2183
.LBB281_2148:
	s_wait_alu 0xfffe
	s_or_b32 exec_lo, exec_lo, s0
	s_and_saveexec_b32 s0, vcc_lo
	s_cbranch_execnz .LBB281_2184
.LBB281_2149:
	s_wait_alu 0xfffe
	s_or_b32 exec_lo, exec_lo, s0
	s_and_saveexec_b32 s0, vcc_lo
	s_cbranch_execnz .LBB281_2185
.LBB281_2150:
	s_wait_alu 0xfffe
	s_or_b32 exec_lo, exec_lo, s0
	s_and_saveexec_b32 s0, vcc_lo
	s_cbranch_execnz .LBB281_2186
.LBB281_2151:
	s_wait_alu 0xfffe
	s_or_b32 exec_lo, exec_lo, s0
	s_and_saveexec_b32 s0, vcc_lo
	s_cbranch_execnz .LBB281_2187
.LBB281_2152:
	s_wait_alu 0xfffe
	s_or_b32 exec_lo, exec_lo, s0
	s_and_saveexec_b32 s0, vcc_lo
	s_cbranch_execnz .LBB281_2188
.LBB281_2153:
	s_wait_alu 0xfffe
	s_or_b32 exec_lo, exec_lo, s0
	s_and_saveexec_b32 s0, vcc_lo
	s_cbranch_execnz .LBB281_2189
.LBB281_2154:
	s_wait_alu 0xfffe
	s_or_b32 exec_lo, exec_lo, s0
	s_and_saveexec_b32 s0, vcc_lo
	s_cbranch_execnz .LBB281_2190
.LBB281_2155:
	s_wait_alu 0xfffe
	s_or_b32 exec_lo, exec_lo, s0
	s_and_saveexec_b32 s0, vcc_lo
	s_cbranch_execz .LBB281_2157
.LBB281_2156:
	ds_load_b32 v16, v16 offset:960
	s_wait_dscnt 0x0
	v_add_f32_e32 v0, v16, v0
.LBB281_2157:
	s_wait_alu 0xfffe
	s_or_b32 exec_lo, exec_lo, s0
.LBB281_2158:
	s_wait_alu 0xfffe
	s_or_b32 exec_lo, exec_lo, s1
	v_cmp_eq_u32_e32 vcc_lo, 0, v18
	s_wait_loadcnt 0x0
	s_barrier_signal -1
	s_barrier_wait -1
	global_inv scope:SCOPE_SE
	s_and_b32 exec_lo, exec_lo, vcc_lo
	s_cbranch_execz .LBB281_2160
; %bb.2159:
	s_lshl_b32 s0, s2, 8
	s_mul_i32 s2, s6, s7
	s_wait_alu 0xfffe
	s_ashr_i32 s1, s0, 31
	s_ashr_i32 s3, s2, 31
	s_wait_alu 0xfffe
	s_lshl_b64 s[0:1], s[0:1], 1
	v_lshlrev_b32_e32 v16, 1, v28
	s_wait_alu 0xfffe
	v_add_co_u32 v4, vcc_lo, v4, s0
	s_wait_alu 0xfffd
	v_add_co_ci_u32_e64 v5, null, s1, v5, vcc_lo
	s_lshl_b64 s[0:1], s[2:3], 1
	s_wait_alu 0xfffe
	v_add_co_u32 v4, vcc_lo, v4, s0
	s_wait_alu 0xfffd
	v_add_co_ci_u32_e64 v5, null, s1, v5, vcc_lo
	s_delay_alu instid0(VALU_DEP_2) | instskip(SKIP_1) | instid1(VALU_DEP_2)
	v_add_co_u32 v4, vcc_lo, v4, s13
	s_wait_alu 0xfffd
	v_add_co_ci_u32_e64 v5, null, 0, v5, vcc_lo
	s_delay_alu instid0(VALU_DEP_2) | instskip(SKIP_1) | instid1(VALU_DEP_2)
	v_add_co_u32 v4, vcc_lo, v4, v16
	s_wait_alu 0xfffd
	v_add_co_ci_u32_e64 v5, null, 0, v5, vcc_lo
	;;#ASMSTART
	v_cvt_f16_f32 v16, v23;

	;;#ASMEND
	flat_store_b16 v[4:5], v16
	;;#ASMSTART
	v_cvt_f16_f32 v16, v22;

	;;#ASMEND
	flat_store_b16 v[4:5], v16 offset:32
	;;#ASMSTART
	v_cvt_f16_f32 v15, v15;

	;;#ASMEND
	flat_store_b16 v[4:5], v15 offset:64
	;; [unrolled: 5-line block ×15, first 2 shown]
.LBB281_2160:
	s_wait_alu 0xfffe
	s_or_b32 exec_lo, exec_lo, s12
	s_clause 0x1f
	scratch_load_b32 v171, off, s32
	scratch_load_b32 v170, off, s32 offset:4
	scratch_load_b32 v169, off, s32 offset:8
	;; [unrolled: 1-line block ×31, first 2 shown]
	s_clause 0x1f
	scratch_load_b32 v107, off, s32 offset:128
	scratch_load_b32 v106, off, s32 offset:132
	;; [unrolled: 1-line block ×32, first 2 shown]
	s_clause 0x3
	scratch_load_b32 v43, off, s32 offset:256
	scratch_load_b32 v42, off, s32 offset:260
	;; [unrolled: 1-line block ×4, first 2 shown]
	s_wait_loadcnt_dscnt 0x0
	s_setpc_b64 s[30:31]
.LBB281_2161:
	ds_load_b32 v18, v16
	s_wait_dscnt 0x0
	v_add_f32_e32 v23, v18, v23
	s_wait_alu 0xfffe
	s_or_b32 exec_lo, exec_lo, s0
	s_and_saveexec_b32 s0, vcc_lo
	s_cbranch_execz .LBB281_2121
.LBB281_2162:
	ds_load_b32 v18, v16 offset:64
	s_wait_dscnt 0x0
	v_add_f32_e32 v22, v18, v22
	s_wait_alu 0xfffe
	s_or_b32 exec_lo, exec_lo, s0
	s_and_saveexec_b32 s0, vcc_lo
	s_cbranch_execz .LBB281_2122
.LBB281_2163:
	ds_load_b32 v18, v16 offset:128
	s_wait_dscnt 0x0
	v_add_f32_e32 v15, v18, v15
	s_wait_alu 0xfffe
	s_or_b32 exec_lo, exec_lo, s0
	s_and_saveexec_b32 s0, vcc_lo
	s_cbranch_execz .LBB281_2123
.LBB281_2164:
	ds_load_b32 v18, v16 offset:192
	s_wait_dscnt 0x0
	v_add_f32_e32 v14, v18, v14
	s_wait_alu 0xfffe
	s_or_b32 exec_lo, exec_lo, s0
	s_and_saveexec_b32 s0, vcc_lo
	s_cbranch_execz .LBB281_2124
.LBB281_2165:
	ds_load_b32 v18, v16 offset:256
	s_wait_dscnt 0x0
	v_add_f32_e32 v13, v18, v13
	s_wait_alu 0xfffe
	s_or_b32 exec_lo, exec_lo, s0
	s_and_saveexec_b32 s0, vcc_lo
	s_cbranch_execz .LBB281_2125
.LBB281_2166:
	ds_load_b32 v18, v16 offset:320
	s_wait_dscnt 0x0
	v_add_f32_e32 v12, v18, v12
	s_wait_alu 0xfffe
	s_or_b32 exec_lo, exec_lo, s0
	s_and_saveexec_b32 s0, vcc_lo
	s_cbranch_execz .LBB281_2126
.LBB281_2167:
	ds_load_b32 v18, v16 offset:384
	s_wait_dscnt 0x0
	v_add_f32_e32 v11, v18, v11
	s_wait_alu 0xfffe
	s_or_b32 exec_lo, exec_lo, s0
	s_and_saveexec_b32 s0, vcc_lo
	s_cbranch_execz .LBB281_2127
.LBB281_2168:
	ds_load_b32 v18, v16 offset:448
	s_wait_dscnt 0x0
	v_add_f32_e32 v10, v18, v10
	s_wait_alu 0xfffe
	s_or_b32 exec_lo, exec_lo, s0
	s_and_saveexec_b32 s0, vcc_lo
	s_cbranch_execz .LBB281_2128
.LBB281_2169:
	ds_load_b32 v18, v16 offset:512
	s_wait_dscnt 0x0
	v_add_f32_e32 v9, v18, v9
	s_wait_alu 0xfffe
	s_or_b32 exec_lo, exec_lo, s0
	s_and_saveexec_b32 s0, vcc_lo
	s_cbranch_execz .LBB281_2129
.LBB281_2170:
	ds_load_b32 v18, v16 offset:576
	s_wait_dscnt 0x0
	v_add_f32_e32 v8, v18, v8
	s_wait_alu 0xfffe
	s_or_b32 exec_lo, exec_lo, s0
	s_and_saveexec_b32 s0, vcc_lo
	s_cbranch_execz .LBB281_2130
.LBB281_2171:
	ds_load_b32 v18, v16 offset:640
	s_wait_dscnt 0x0
	v_add_f32_e32 v7, v18, v7
	s_wait_alu 0xfffe
	s_or_b32 exec_lo, exec_lo, s0
	s_and_saveexec_b32 s0, vcc_lo
	s_cbranch_execz .LBB281_2131
.LBB281_2172:
	ds_load_b32 v18, v16 offset:704
	s_wait_dscnt 0x0
	v_add_f32_e32 v6, v18, v6
	s_wait_alu 0xfffe
	s_or_b32 exec_lo, exec_lo, s0
	s_and_saveexec_b32 s0, vcc_lo
	s_cbranch_execz .LBB281_2132
.LBB281_2173:
	ds_load_b32 v18, v16 offset:768
	s_wait_dscnt 0x0
	v_add_f32_e32 v3, v18, v3
	s_wait_alu 0xfffe
	s_or_b32 exec_lo, exec_lo, s0
	s_and_saveexec_b32 s0, vcc_lo
	s_cbranch_execz .LBB281_2133
.LBB281_2174:
	ds_load_b32 v18, v16 offset:832
	s_wait_dscnt 0x0
	v_add_f32_e32 v2, v18, v2
	s_wait_alu 0xfffe
	s_or_b32 exec_lo, exec_lo, s0
	s_and_saveexec_b32 s0, vcc_lo
	s_cbranch_execz .LBB281_2134
.LBB281_2175:
	ds_load_b32 v18, v16 offset:896
	s_wait_dscnt 0x0
	v_add_f32_e32 v1, v18, v1
	s_wait_alu 0xfffe
	s_or_b32 exec_lo, exec_lo, s0
	s_and_saveexec_b32 s0, vcc_lo
	s_cbranch_execnz .LBB281_2135
	s_branch .LBB281_2136
.LBB281_2176:
	ds_load_b32 v17, v16
	s_wait_dscnt 0x0
	v_add_f32_e32 v23, v17, v23
	s_wait_alu 0xfffe
	s_or_b32 exec_lo, exec_lo, s0
	s_and_saveexec_b32 s0, vcc_lo
	s_cbranch_execz .LBB281_2142
.LBB281_2177:
	ds_load_b32 v17, v16 offset:64
	s_wait_dscnt 0x0
	v_add_f32_e32 v22, v17, v22
	s_wait_alu 0xfffe
	s_or_b32 exec_lo, exec_lo, s0
	s_and_saveexec_b32 s0, vcc_lo
	s_cbranch_execz .LBB281_2143
.LBB281_2178:
	ds_load_b32 v17, v16 offset:128
	s_wait_dscnt 0x0
	v_add_f32_e32 v15, v17, v15
	s_wait_alu 0xfffe
	s_or_b32 exec_lo, exec_lo, s0
	s_and_saveexec_b32 s0, vcc_lo
	s_cbranch_execz .LBB281_2144
.LBB281_2179:
	ds_load_b32 v17, v16 offset:192
	s_wait_dscnt 0x0
	v_add_f32_e32 v14, v17, v14
	s_wait_alu 0xfffe
	s_or_b32 exec_lo, exec_lo, s0
	s_and_saveexec_b32 s0, vcc_lo
	s_cbranch_execz .LBB281_2145
.LBB281_2180:
	ds_load_b32 v17, v16 offset:256
	s_wait_dscnt 0x0
	v_add_f32_e32 v13, v17, v13
	s_wait_alu 0xfffe
	s_or_b32 exec_lo, exec_lo, s0
	s_and_saveexec_b32 s0, vcc_lo
	s_cbranch_execz .LBB281_2146
.LBB281_2181:
	ds_load_b32 v17, v16 offset:320
	s_wait_dscnt 0x0
	v_add_f32_e32 v12, v17, v12
	s_wait_alu 0xfffe
	s_or_b32 exec_lo, exec_lo, s0
	s_and_saveexec_b32 s0, vcc_lo
	s_cbranch_execz .LBB281_2147
.LBB281_2182:
	ds_load_b32 v17, v16 offset:384
	s_wait_dscnt 0x0
	v_add_f32_e32 v11, v17, v11
	s_wait_alu 0xfffe
	s_or_b32 exec_lo, exec_lo, s0
	s_and_saveexec_b32 s0, vcc_lo
	s_cbranch_execz .LBB281_2148
.LBB281_2183:
	ds_load_b32 v17, v16 offset:448
	s_wait_dscnt 0x0
	v_add_f32_e32 v10, v17, v10
	s_wait_alu 0xfffe
	s_or_b32 exec_lo, exec_lo, s0
	s_and_saveexec_b32 s0, vcc_lo
	s_cbranch_execz .LBB281_2149
.LBB281_2184:
	ds_load_b32 v17, v16 offset:512
	s_wait_dscnt 0x0
	v_add_f32_e32 v9, v17, v9
	s_wait_alu 0xfffe
	s_or_b32 exec_lo, exec_lo, s0
	s_and_saveexec_b32 s0, vcc_lo
	s_cbranch_execz .LBB281_2150
.LBB281_2185:
	ds_load_b32 v17, v16 offset:576
	s_wait_dscnt 0x0
	v_add_f32_e32 v8, v17, v8
	s_wait_alu 0xfffe
	s_or_b32 exec_lo, exec_lo, s0
	s_and_saveexec_b32 s0, vcc_lo
	s_cbranch_execz .LBB281_2151
.LBB281_2186:
	ds_load_b32 v17, v16 offset:640
	s_wait_dscnt 0x0
	v_add_f32_e32 v7, v17, v7
	s_wait_alu 0xfffe
	s_or_b32 exec_lo, exec_lo, s0
	s_and_saveexec_b32 s0, vcc_lo
	s_cbranch_execz .LBB281_2152
.LBB281_2187:
	ds_load_b32 v17, v16 offset:704
	s_wait_dscnt 0x0
	v_add_f32_e32 v6, v17, v6
	s_wait_alu 0xfffe
	s_or_b32 exec_lo, exec_lo, s0
	s_and_saveexec_b32 s0, vcc_lo
	s_cbranch_execz .LBB281_2153
.LBB281_2188:
	ds_load_b32 v17, v16 offset:768
	s_wait_dscnt 0x0
	v_add_f32_e32 v3, v17, v3
	s_wait_alu 0xfffe
	s_or_b32 exec_lo, exec_lo, s0
	s_and_saveexec_b32 s0, vcc_lo
	s_cbranch_execz .LBB281_2154
.LBB281_2189:
	ds_load_b32 v17, v16 offset:832
	s_wait_dscnt 0x0
	v_add_f32_e32 v2, v17, v2
	s_wait_alu 0xfffe
	s_or_b32 exec_lo, exec_lo, s0
	s_and_saveexec_b32 s0, vcc_lo
	s_cbranch_execz .LBB281_2155
.LBB281_2190:
	ds_load_b32 v17, v16 offset:896
	s_wait_dscnt 0x0
	v_add_f32_e32 v1, v17, v1
	s_wait_alu 0xfffe
	s_or_b32 exec_lo, exec_lo, s0
	s_and_saveexec_b32 s0, vcc_lo
	s_cbranch_execnz .LBB281_2156
	s_branch .LBB281_2157
.Lfunc_end281:
	.size	_ZN4vllm22paged_attention_kernelIthLi256ELi16ELi128ELNS_18Fp8KVCacheDataTypeE1ELb0ELi512EEEvPfS2_PT_PKS3_PKT0_S9_ifPKiSB_iPKfiiiSD_SD_iiiii, .Lfunc_end281-_ZN4vllm22paged_attention_kernelIthLi256ELi16ELi128ELNS_18Fp8KVCacheDataTypeE1ELb0ELi512EEEvPfS2_PT_PKS3_PKT0_S9_ifPKiSB_iPKfiiiSD_SD_iiiii
                                        ; -- End function
	.set .L_ZN4vllm22paged_attention_kernelIthLi256ELi16ELi128ELNS_18Fp8KVCacheDataTypeE1ELb0ELi512EEEvPfS2_PT_PKS3_PKT0_S9_ifPKiSB_iPKfiiiSD_SD_iiiii.num_vgpr, 184
	.set .L_ZN4vllm22paged_attention_kernelIthLi256ELi16ELi128ELNS_18Fp8KVCacheDataTypeE1ELb0ELi512EEEvPfS2_PT_PKS3_PKT0_S9_ifPKiSB_iPKfiiiSD_SD_iiiii.num_agpr, 0
	.set .L_ZN4vllm22paged_attention_kernelIthLi256ELi16ELi128ELNS_18Fp8KVCacheDataTypeE1ELb0ELi512EEEvPfS2_PT_PKS3_PKT0_S9_ifPKiSB_iPKfiiiSD_SD_iiiii.numbered_sgpr, 33
	.set .L_ZN4vllm22paged_attention_kernelIthLi256ELi16ELi128ELNS_18Fp8KVCacheDataTypeE1ELb0ELi512EEEvPfS2_PT_PKS3_PKT0_S9_ifPKiSB_iPKfiiiSD_SD_iiiii.num_named_barrier, 0
	.set .L_ZN4vllm22paged_attention_kernelIthLi256ELi16ELi128ELNS_18Fp8KVCacheDataTypeE1ELb0ELi512EEEvPfS2_PT_PKS3_PKT0_S9_ifPKiSB_iPKfiiiSD_SD_iiiii.private_seg_size, 276
	.set .L_ZN4vllm22paged_attention_kernelIthLi256ELi16ELi128ELNS_18Fp8KVCacheDataTypeE1ELb0ELi512EEEvPfS2_PT_PKS3_PKT0_S9_ifPKiSB_iPKfiiiSD_SD_iiiii.uses_vcc, 1
	.set .L_ZN4vllm22paged_attention_kernelIthLi256ELi16ELi128ELNS_18Fp8KVCacheDataTypeE1ELb0ELi512EEEvPfS2_PT_PKS3_PKT0_S9_ifPKiSB_iPKfiiiSD_SD_iiiii.uses_flat_scratch, 1
	.set .L_ZN4vllm22paged_attention_kernelIthLi256ELi16ELi128ELNS_18Fp8KVCacheDataTypeE1ELb0ELi512EEEvPfS2_PT_PKS3_PKT0_S9_ifPKiSB_iPKfiiiSD_SD_iiiii.has_dyn_sized_stack, 0
	.set .L_ZN4vllm22paged_attention_kernelIthLi256ELi16ELi128ELNS_18Fp8KVCacheDataTypeE1ELb0ELi512EEEvPfS2_PT_PKS3_PKT0_S9_ifPKiSB_iPKfiiiSD_SD_iiiii.has_recursion, 0
	.set .L_ZN4vllm22paged_attention_kernelIthLi256ELi16ELi128ELNS_18Fp8KVCacheDataTypeE1ELb0ELi512EEEvPfS2_PT_PKS3_PKT0_S9_ifPKiSB_iPKfiiiSD_SD_iiiii.has_indirect_call, 0
	.section	.AMDGPU.csdata,"",@progbits
; Function info:
; codeLenInByte = 84636
; TotalNumSgprs: 35
; NumVgprs: 184
; ScratchSize: 276
; MemoryBound: 0
	.section	.text._ZN4vllm25paged_attention_v2_kernelIthLi256ELi16ELi128ELNS_18Fp8KVCacheDataTypeE1ELb0ELi512EEEvPfS2_PT_PKS3_PKT0_S9_ifPKiSB_iPKfiiiSD_SD_iiiii,"axG",@progbits,_ZN4vllm25paged_attention_v2_kernelIthLi256ELi16ELi128ELNS_18Fp8KVCacheDataTypeE1ELb0ELi512EEEvPfS2_PT_PKS3_PKT0_S9_ifPKiSB_iPKfiiiSD_SD_iiiii,comdat
	.protected	_ZN4vllm25paged_attention_v2_kernelIthLi256ELi16ELi128ELNS_18Fp8KVCacheDataTypeE1ELb0ELi512EEEvPfS2_PT_PKS3_PKT0_S9_ifPKiSB_iPKfiiiSD_SD_iiiii ; -- Begin function _ZN4vllm25paged_attention_v2_kernelIthLi256ELi16ELi128ELNS_18Fp8KVCacheDataTypeE1ELb0ELi512EEEvPfS2_PT_PKS3_PKT0_S9_ifPKiSB_iPKfiiiSD_SD_iiiii
	.globl	_ZN4vllm25paged_attention_v2_kernelIthLi256ELi16ELi128ELNS_18Fp8KVCacheDataTypeE1ELb0ELi512EEEvPfS2_PT_PKS3_PKT0_S9_ifPKiSB_iPKfiiiSD_SD_iiiii
	.p2align	8
	.type	_ZN4vllm25paged_attention_v2_kernelIthLi256ELi16ELi128ELNS_18Fp8KVCacheDataTypeE1ELb0ELi512EEEvPfS2_PT_PKS3_PKT0_S9_ifPKiSB_iPKfiiiSD_SD_iiiii,@function
_ZN4vllm25paged_attention_v2_kernelIthLi256ELi16ELi128ELNS_18Fp8KVCacheDataTypeE1ELb0ELi512EEEvPfS2_PT_PKS3_PKT0_S9_ifPKiSB_iPKfiiiSD_SD_iiiii: ; @_ZN4vllm25paged_attention_v2_kernelIthLi256ELi16ELi128ELNS_18Fp8KVCacheDataTypeE1ELb0ELi512EEEvPfS2_PT_PKS3_PKT0_S9_ifPKiSB_iPKfiiiSD_SD_iiiii
; %bb.0:
	s_clause 0x5
	s_load_b256 s[20:27], s[0:1], 0x0
	s_load_b256 s[12:19], s[0:1], 0x20
	s_load_b96 s[28:30], s[0:1], 0x40
	s_load_b64 s[10:11], s[0:1], 0x50
	s_load_b96 s[36:38], s[0:1], 0x58
	s_load_b128 s[4:7], s[0:1], 0x68
	v_mov_b32_e32 v31, v0
	s_getpc_b64 s[2:3]
	s_sext_i32_i16 s3, s3
	s_add_co_u32 s2, s2, _ZN4vllm22paged_attention_kernelIthLi256ELi16ELi128ELNS_18Fp8KVCacheDataTypeE1ELb0ELi512EEEvPfS2_PT_PKS3_PKT0_S9_ifPKiSB_iPKfiiiSD_SD_iiiii@rel32@lo+8
	s_add_co_ci_u32 s3, s3, _ZN4vllm22paged_attention_kernelIthLi256ELi16ELi128ELNS_18Fp8KVCacheDataTypeE1ELb0ELi512EEEvPfS2_PT_PKS3_PKT0_S9_ifPKiSB_iPKfiiiSD_SD_iiiii@rel32@hi+16
	s_add_nc_u64 s[8:9], s[0:1], 0x90
	s_mov_b32 s32, 0
	s_wait_kmcnt 0x0
	v_dual_mov_b32 v17, s29 :: v_dual_mov_b32 v18, s30
	v_dual_mov_b32 v0, s20 :: v_dual_mov_b32 v1, s21
	;; [unrolled: 1-line block ×14, first 2 shown]
	s_mov_b32 s15, 10
	s_wait_alu 0xfffe
	s_swappc_b64 s[30:31], s[2:3]
	s_endpgm
	.section	.rodata,"a",@progbits
	.p2align	6, 0x0
	.amdhsa_kernel _ZN4vllm25paged_attention_v2_kernelIthLi256ELi16ELi128ELNS_18Fp8KVCacheDataTypeE1ELb0ELi512EEEvPfS2_PT_PKS3_PKT0_S9_ifPKiSB_iPKfiiiSD_SD_iiiii
		.amdhsa_group_segment_fixed_size 544
		.amdhsa_private_segment_fixed_size 276
		.amdhsa_kernarg_size 400
		.amdhsa_user_sgpr_count 2
		.amdhsa_user_sgpr_dispatch_ptr 0
		.amdhsa_user_sgpr_queue_ptr 0
		.amdhsa_user_sgpr_kernarg_segment_ptr 1
		.amdhsa_user_sgpr_dispatch_id 0
		.amdhsa_user_sgpr_private_segment_size 0
		.amdhsa_wavefront_size32 1
		.amdhsa_uses_dynamic_stack 0
		.amdhsa_enable_private_segment 1
		.amdhsa_system_sgpr_workgroup_id_x 1
		.amdhsa_system_sgpr_workgroup_id_y 1
		.amdhsa_system_sgpr_workgroup_id_z 1
		.amdhsa_system_sgpr_workgroup_info 0
		.amdhsa_system_vgpr_workitem_id 0
		.amdhsa_next_free_vgpr 184
		.amdhsa_next_free_sgpr 39
		.amdhsa_reserve_vcc 1
		.amdhsa_float_round_mode_32 0
		.amdhsa_float_round_mode_16_64 0
		.amdhsa_float_denorm_mode_32 3
		.amdhsa_float_denorm_mode_16_64 3
		.amdhsa_fp16_overflow 0
		.amdhsa_workgroup_processor_mode 1
		.amdhsa_memory_ordered 1
		.amdhsa_forward_progress 1
		.amdhsa_inst_pref_size 2
		.amdhsa_round_robin_scheduling 0
		.amdhsa_exception_fp_ieee_invalid_op 0
		.amdhsa_exception_fp_denorm_src 0
		.amdhsa_exception_fp_ieee_div_zero 0
		.amdhsa_exception_fp_ieee_overflow 0
		.amdhsa_exception_fp_ieee_underflow 0
		.amdhsa_exception_fp_ieee_inexact 0
		.amdhsa_exception_int_div_zero 0
	.end_amdhsa_kernel
	.section	.text._ZN4vllm25paged_attention_v2_kernelIthLi256ELi16ELi128ELNS_18Fp8KVCacheDataTypeE1ELb0ELi512EEEvPfS2_PT_PKS3_PKT0_S9_ifPKiSB_iPKfiiiSD_SD_iiiii,"axG",@progbits,_ZN4vllm25paged_attention_v2_kernelIthLi256ELi16ELi128ELNS_18Fp8KVCacheDataTypeE1ELb0ELi512EEEvPfS2_PT_PKS3_PKT0_S9_ifPKiSB_iPKfiiiSD_SD_iiiii,comdat
.Lfunc_end282:
	.size	_ZN4vllm25paged_attention_v2_kernelIthLi256ELi16ELi128ELNS_18Fp8KVCacheDataTypeE1ELb0ELi512EEEvPfS2_PT_PKS3_PKT0_S9_ifPKiSB_iPKfiiiSD_SD_iiiii, .Lfunc_end282-_ZN4vllm25paged_attention_v2_kernelIthLi256ELi16ELi128ELNS_18Fp8KVCacheDataTypeE1ELb0ELi512EEEvPfS2_PT_PKS3_PKT0_S9_ifPKiSB_iPKfiiiSD_SD_iiiii
                                        ; -- End function
	.set _ZN4vllm25paged_attention_v2_kernelIthLi256ELi16ELi128ELNS_18Fp8KVCacheDataTypeE1ELb0ELi512EEEvPfS2_PT_PKS3_PKT0_S9_ifPKiSB_iPKfiiiSD_SD_iiiii.num_vgpr, max(32, .L_ZN4vllm22paged_attention_kernelIthLi256ELi16ELi128ELNS_18Fp8KVCacheDataTypeE1ELb0ELi512EEEvPfS2_PT_PKS3_PKT0_S9_ifPKiSB_iPKfiiiSD_SD_iiiii.num_vgpr)
	.set _ZN4vllm25paged_attention_v2_kernelIthLi256ELi16ELi128ELNS_18Fp8KVCacheDataTypeE1ELb0ELi512EEEvPfS2_PT_PKS3_PKT0_S9_ifPKiSB_iPKfiiiSD_SD_iiiii.num_agpr, max(0, .L_ZN4vllm22paged_attention_kernelIthLi256ELi16ELi128ELNS_18Fp8KVCacheDataTypeE1ELb0ELi512EEEvPfS2_PT_PKS3_PKT0_S9_ifPKiSB_iPKfiiiSD_SD_iiiii.num_agpr)
	.set _ZN4vllm25paged_attention_v2_kernelIthLi256ELi16ELi128ELNS_18Fp8KVCacheDataTypeE1ELb0ELi512EEEvPfS2_PT_PKS3_PKT0_S9_ifPKiSB_iPKfiiiSD_SD_iiiii.numbered_sgpr, max(39, .L_ZN4vllm22paged_attention_kernelIthLi256ELi16ELi128ELNS_18Fp8KVCacheDataTypeE1ELb0ELi512EEEvPfS2_PT_PKS3_PKT0_S9_ifPKiSB_iPKfiiiSD_SD_iiiii.numbered_sgpr)
	.set _ZN4vllm25paged_attention_v2_kernelIthLi256ELi16ELi128ELNS_18Fp8KVCacheDataTypeE1ELb0ELi512EEEvPfS2_PT_PKS3_PKT0_S9_ifPKiSB_iPKfiiiSD_SD_iiiii.num_named_barrier, max(0, .L_ZN4vllm22paged_attention_kernelIthLi256ELi16ELi128ELNS_18Fp8KVCacheDataTypeE1ELb0ELi512EEEvPfS2_PT_PKS3_PKT0_S9_ifPKiSB_iPKfiiiSD_SD_iiiii.num_named_barrier)
	.set _ZN4vllm25paged_attention_v2_kernelIthLi256ELi16ELi128ELNS_18Fp8KVCacheDataTypeE1ELb0ELi512EEEvPfS2_PT_PKS3_PKT0_S9_ifPKiSB_iPKfiiiSD_SD_iiiii.private_seg_size, 0+max(.L_ZN4vllm22paged_attention_kernelIthLi256ELi16ELi128ELNS_18Fp8KVCacheDataTypeE1ELb0ELi512EEEvPfS2_PT_PKS3_PKT0_S9_ifPKiSB_iPKfiiiSD_SD_iiiii.private_seg_size)
	.set _ZN4vllm25paged_attention_v2_kernelIthLi256ELi16ELi128ELNS_18Fp8KVCacheDataTypeE1ELb0ELi512EEEvPfS2_PT_PKS3_PKT0_S9_ifPKiSB_iPKfiiiSD_SD_iiiii.uses_vcc, or(1, .L_ZN4vllm22paged_attention_kernelIthLi256ELi16ELi128ELNS_18Fp8KVCacheDataTypeE1ELb0ELi512EEEvPfS2_PT_PKS3_PKT0_S9_ifPKiSB_iPKfiiiSD_SD_iiiii.uses_vcc)
	.set _ZN4vllm25paged_attention_v2_kernelIthLi256ELi16ELi128ELNS_18Fp8KVCacheDataTypeE1ELb0ELi512EEEvPfS2_PT_PKS3_PKT0_S9_ifPKiSB_iPKfiiiSD_SD_iiiii.uses_flat_scratch, or(0, .L_ZN4vllm22paged_attention_kernelIthLi256ELi16ELi128ELNS_18Fp8KVCacheDataTypeE1ELb0ELi512EEEvPfS2_PT_PKS3_PKT0_S9_ifPKiSB_iPKfiiiSD_SD_iiiii.uses_flat_scratch)
	.set _ZN4vllm25paged_attention_v2_kernelIthLi256ELi16ELi128ELNS_18Fp8KVCacheDataTypeE1ELb0ELi512EEEvPfS2_PT_PKS3_PKT0_S9_ifPKiSB_iPKfiiiSD_SD_iiiii.has_dyn_sized_stack, or(0, .L_ZN4vllm22paged_attention_kernelIthLi256ELi16ELi128ELNS_18Fp8KVCacheDataTypeE1ELb0ELi512EEEvPfS2_PT_PKS3_PKT0_S9_ifPKiSB_iPKfiiiSD_SD_iiiii.has_dyn_sized_stack)
	.set _ZN4vllm25paged_attention_v2_kernelIthLi256ELi16ELi128ELNS_18Fp8KVCacheDataTypeE1ELb0ELi512EEEvPfS2_PT_PKS3_PKT0_S9_ifPKiSB_iPKfiiiSD_SD_iiiii.has_recursion, or(0, .L_ZN4vllm22paged_attention_kernelIthLi256ELi16ELi128ELNS_18Fp8KVCacheDataTypeE1ELb0ELi512EEEvPfS2_PT_PKS3_PKT0_S9_ifPKiSB_iPKfiiiSD_SD_iiiii.has_recursion)
	.set _ZN4vllm25paged_attention_v2_kernelIthLi256ELi16ELi128ELNS_18Fp8KVCacheDataTypeE1ELb0ELi512EEEvPfS2_PT_PKS3_PKT0_S9_ifPKiSB_iPKfiiiSD_SD_iiiii.has_indirect_call, or(0, .L_ZN4vllm22paged_attention_kernelIthLi256ELi16ELi128ELNS_18Fp8KVCacheDataTypeE1ELb0ELi512EEEvPfS2_PT_PKS3_PKT0_S9_ifPKiSB_iPKfiiiSD_SD_iiiii.has_indirect_call)
	.section	.AMDGPU.csdata,"",@progbits
; Kernel info:
; codeLenInByte = 224
; TotalNumSgprs: 41
; NumVgprs: 184
; ScratchSize: 276
; MemoryBound: 0
; FloatMode: 240
; IeeeMode: 1
; LDSByteSize: 544 bytes/workgroup (compile time only)
; SGPRBlocks: 0
; VGPRBlocks: 22
; NumSGPRsForWavesPerEU: 41
; NumVGPRsForWavesPerEU: 184
; Occupancy: 8
; WaveLimiterHint : 1
; COMPUTE_PGM_RSRC2:SCRATCH_EN: 1
; COMPUTE_PGM_RSRC2:USER_SGPR: 2
; COMPUTE_PGM_RSRC2:TRAP_HANDLER: 0
; COMPUTE_PGM_RSRC2:TGID_X_EN: 1
; COMPUTE_PGM_RSRC2:TGID_Y_EN: 1
; COMPUTE_PGM_RSRC2:TGID_Z_EN: 1
; COMPUTE_PGM_RSRC2:TIDIG_COMP_CNT: 0
	.section	.text._ZN4vllm25paged_attention_v2_kernelIthLi32ELi32ELi128ELNS_18Fp8KVCacheDataTypeE1ELb1ELi512EEEvPfS2_PT_PKS3_PKT0_S9_ifPKiSB_iPKfiiiSD_SD_iiiii,"axG",@progbits,_ZN4vllm25paged_attention_v2_kernelIthLi32ELi32ELi128ELNS_18Fp8KVCacheDataTypeE1ELb1ELi512EEEvPfS2_PT_PKS3_PKT0_S9_ifPKiSB_iPKfiiiSD_SD_iiiii,comdat
	.protected	_ZN4vllm25paged_attention_v2_kernelIthLi32ELi32ELi128ELNS_18Fp8KVCacheDataTypeE1ELb1ELi512EEEvPfS2_PT_PKS3_PKT0_S9_ifPKiSB_iPKfiiiSD_SD_iiiii ; -- Begin function _ZN4vllm25paged_attention_v2_kernelIthLi32ELi32ELi128ELNS_18Fp8KVCacheDataTypeE1ELb1ELi512EEEvPfS2_PT_PKS3_PKT0_S9_ifPKiSB_iPKfiiiSD_SD_iiiii
	.globl	_ZN4vllm25paged_attention_v2_kernelIthLi32ELi32ELi128ELNS_18Fp8KVCacheDataTypeE1ELb1ELi512EEEvPfS2_PT_PKS3_PKT0_S9_ifPKiSB_iPKfiiiSD_SD_iiiii
	.p2align	8
	.type	_ZN4vllm25paged_attention_v2_kernelIthLi32ELi32ELi128ELNS_18Fp8KVCacheDataTypeE1ELb1ELi512EEEvPfS2_PT_PKS3_PKT0_S9_ifPKiSB_iPKfiiiSD_SD_iiiii,@function
_ZN4vllm25paged_attention_v2_kernelIthLi32ELi32ELi128ELNS_18Fp8KVCacheDataTypeE1ELb1ELi512EEEvPfS2_PT_PKS3_PKT0_S9_ifPKiSB_iPKfiiiSD_SD_iiiii: ; @_ZN4vllm25paged_attention_v2_kernelIthLi32ELi32ELi128ELNS_18Fp8KVCacheDataTypeE1ELb1ELi512EEEvPfS2_PT_PKS3_PKT0_S9_ifPKiSB_iPKfiiiSD_SD_iiiii
; %bb.0:
	s_load_b64 s[2:3], s[0:1], 0x40
	s_and_b32 s28, ttmp7, 0xffff
	s_lshr_b32 s33, ttmp7, 16
	s_lshl_b32 s4, s28, 2
	s_lshl_b32 s36, s33, 9
	s_wait_kmcnt 0x0
	s_load_b32 s34, s[2:3], s4 offset:0x0
	s_wait_kmcnt 0x0
	s_cmp_ge_i32 s36, s34
	s_cbranch_scc1 .LBB283_580
; %bb.1:
	s_clause 0x1
	s_load_b32 s29, s[0:1], 0x90
	s_load_b64 s[12:13], s[0:1], 0x30
	s_wait_kmcnt 0x0
	s_abs_i32 s5, s29
	s_abs_i32 s2, s12
	s_delay_alu instid0(SALU_CYCLE_1) | instskip(SKIP_1) | instid1(SALU_CYCLE_2)
	s_cvt_f32_u32 s3, s2
	s_sub_co_i32 s4, 0, s2
	v_rcp_iflag_f32_e32 v1, s3
	s_delay_alu instid0(TRANS32_DEP_1) | instskip(SKIP_2) | instid1(SALU_CYCLE_2)
	v_readfirstlane_b32 s3, v1
	s_mul_f32 s3, s3, 0x4f7ffffe
	s_wait_alu 0xfffe
	s_cvt_u32_f32 s3, s3
	s_wait_alu 0xfffe
	s_delay_alu instid0(SALU_CYCLE_2) | instskip(NEXT) | instid1(SALU_CYCLE_1)
	s_mul_i32 s4, s4, s3
	s_mul_hi_u32 s4, s3, s4
	s_delay_alu instid0(SALU_CYCLE_1)
	s_add_co_i32 s3, s3, s4
	s_xor_b32 s4, s29, s12
	s_wait_alu 0xfffe
	s_mul_hi_u32 s3, s5, s3
	s_ashr_i32 s4, s4, 31
	s_wait_alu 0xfffe
	s_mul_i32 s6, s3, s2
	s_delay_alu instid0(SALU_CYCLE_1)
	s_sub_co_i32 s5, s5, s6
	s_add_co_i32 s6, s3, 1
	s_sub_co_i32 s7, s5, s2
	s_cmp_ge_u32 s5, s2
	s_cselect_b32 s3, s6, s3
	s_cselect_b32 s5, s7, s5
	s_wait_alu 0xfffe
	s_add_co_i32 s6, s3, 1
	s_cmp_ge_u32 s5, s2
	s_cselect_b32 s2, s6, s3
	s_load_b64 s[6:7], s[0:1], 0x50
	s_xor_b32 s2, s2, s4
	s_mov_b32 s3, 0
	s_wait_alu 0xfffe
	s_sub_co_i32 s11, s2, s4
	s_mov_b32 s30, s3
	s_abs_i32 s10, s11
	s_delay_alu instid0(SALU_CYCLE_1) | instskip(SKIP_1) | instid1(SALU_CYCLE_2)
	s_cvt_f32_u32 s2, s10
	s_wait_alu 0xfffe
	v_rcp_iflag_f32_e32 v1, s2
	s_delay_alu instid0(TRANS32_DEP_1) | instskip(SKIP_2) | instid1(SALU_CYCLE_2)
	v_readfirstlane_b32 s2, v1
	s_mul_f32 s2, s2, 0x4f7ffffe
	s_wait_alu 0xfffe
	s_cvt_u32_f32 s4, s2
	s_sub_co_i32 s2, 0, s10
	s_wait_alu 0xfffe
	s_delay_alu instid0(SALU_CYCLE_1)
	s_mul_i32 s2, s2, s4
	s_wait_alu 0xfffe
	s_mul_hi_u32 s5, s4, s2
	s_abs_i32 s2, ttmp9
	s_add_co_i32 s4, s4, s5
	s_mov_b32 s5, s3
	s_wait_kmcnt 0x0
	s_cmp_eq_u64 s[6:7], 0
	s_cbranch_scc1 .LBB283_3
; %bb.2:
	s_mov_b32 s8, ttmp9
	s_ashr_i32 s9, ttmp9, 31
	s_delay_alu instid0(SALU_CYCLE_1) | instskip(NEXT) | instid1(SALU_CYCLE_1)
	s_lshl_b64 s[8:9], s[8:9], 2
	s_add_nc_u64 s[6:7], s[6:7], s[8:9]
	s_load_b32 s30, s[6:7], 0x0
.LBB283_3:
	s_load_b96 s[16:18], s[0:1], 0x58
	s_mul_u64 s[8:9], s[2:3], s[4:5]
	s_ashr_i32 s3, ttmp9, 31
	s_ashr_i32 s8, s11, 31
	s_lshl_b32 s20, ttmp9, 5
	s_mov_b32 s4, exec_lo
	v_cmpx_gt_u32_e32 4, v0
	s_cbranch_execz .LBB283_5
; %bb.4:
	s_load_b64 s[6:7], s[0:1], 0x18
	s_wait_kmcnt 0x0
	s_mul_i32 s14, s16, s28
	s_ashr_i32 s21, s20, 31
	s_ashr_i32 s15, s14, 31
	v_lshlrev_b32_e32 v5, 4, v0
	s_lshl_b64 s[14:15], s[14:15], 1
	s_delay_alu instid0(SALU_CYCLE_1) | instskip(SKIP_1) | instid1(SALU_CYCLE_1)
	s_add_nc_u64 s[6:7], s[6:7], s[14:15]
	s_lshl_b64 s[14:15], s[20:21], 1
	s_add_nc_u64 s[6:7], s[6:7], s[14:15]
	global_load_b128 v[1:4], v5, s[6:7]
	s_wait_loadcnt 0x0
	ds_store_b128 v5, v[1:4]
.LBB283_5:
	s_or_b32 exec_lo, exec_lo, s4
	s_load_b128 s[4:7], s[0:1], 0x78
	s_mul_i32 s11, s9, s10
	s_xor_b32 s3, s3, s8
	s_sub_co_i32 s2, s2, s11
	s_add_co_i32 s8, s9, 1
	s_wait_alu 0xfffe
	s_sub_co_i32 s11, s2, s10
	s_cmp_ge_u32 s2, s10
                                        ; implicit-def: $sgpr21
	s_cselect_b32 s8, s8, s9
	s_cselect_b32 s2, s11, s2
	s_add_co_i32 s9, s8, 1
	s_wait_alu 0xfffe
	s_cmp_ge_u32 s2, s10
	s_mov_b32 s10, -1
	s_cselect_b32 s2, s9, s8
	s_load_b32 s8, s[0:1], 0x88
	s_xor_b32 s2, s2, s3
	s_wait_dscnt 0x0
	s_wait_alu 0xfffe
	s_sub_co_i32 s19, s2, s3
	s_barrier_signal -1
	s_barrier_wait -1
	s_wait_kmcnt 0x0
	s_abs_i32 s16, s7
	global_inv scope:SCOPE_SE
	s_cvt_f32_u32 s9, s16
	s_delay_alu instid0(SALU_CYCLE_3) | instskip(NEXT) | instid1(TRANS32_DEP_1)
	v_rcp_iflag_f32_e32 v1, s9
	v_readfirstlane_b32 s9, v1
	s_mul_f32 s2, s9, 0x4f7ffffe
	s_add_co_i32 s9, s34, -1
	s_wait_alu 0xfffe
	s_delay_alu instid0(SALU_CYCLE_1) | instskip(SKIP_2) | instid1(SALU_CYCLE_1)
	s_cvt_u32_f32 s11, s2
	s_sub_co_i32 s2, 0, s16
	s_wait_alu 0xfffe
	s_mul_i32 s3, s2, s11
	s_abs_i32 s2, s9
	s_wait_alu 0xfffe
	s_mul_hi_u32 s14, s11, s3
	s_mov_b32 s3, 0
	s_add_co_i32 s22, s11, s14
	s_cmp_lt_i32 s8, 0
	s_wait_alu 0xfffe
	s_mov_b32 s23, s3
	s_cbranch_scc0 .LBB283_7
; %bb.6:
	s_mul_i32 s10, s4, s12
	s_delay_alu instid0(SALU_CYCLE_1) | instskip(NEXT) | instid1(SALU_CYCLE_1)
	s_add_co_i32 s10, s19, s10
	s_mul_i32 s10, s10, s8
	s_delay_alu instid0(SALU_CYCLE_1)
	s_sub_co_i32 s21, 1, s10
	s_mov_b32 s10, s3
.LBB283_7:
	s_mul_u64 s[14:15], s[2:3], s[22:23]
	s_ashr_i32 s3, s9, 31
	s_and_not1_b32 vcc_lo, exec_lo, s10
	s_ashr_i32 s23, s7, 31
	s_cbranch_vccnz .LBB283_9
; %bb.8:
	s_mul_i32 s4, s29, s4
	s_delay_alu instid0(SALU_CYCLE_1) | instskip(NEXT) | instid1(SALU_CYCLE_1)
	s_add_co_i32 s4, s4, ttmp9
	s_mul_i32 s4, s4, s8
	s_delay_alu instid0(SALU_CYCLE_1)
	s_add_co_i32 s21, s4, 1
.LBB283_9:
	s_clause 0x3
	s_load_b32 s4, s[0:1], 0x48
	s_load_b64 s[24:25], s[0:1], 0x38
	s_load_b32 s7, s[0:1], 0x98
	s_load_b128 s[8:11], s[0:1], 0x68
	s_mul_i32 s12, s15, s16
	s_xor_b32 s3, s3, s23
	s_sub_co_i32 s2, s2, s12
	s_add_co_i32 s14, s15, 1
	v_lshrrev_b32_e32 v11, 5, v0
	v_and_b32_e32 v12, 31, v0
	s_mul_i32 s18, s19, s18
	s_delay_alu instid0(VALU_DEP_2) | instskip(NEXT) | instid1(VALU_DEP_2)
	v_lshl_add_u32 v13, v11, 5, s36
	v_lshlrev_b32_e32 v18, 2, v12
	s_wait_kmcnt 0x0
	s_mul_i32 s26, s4, s28
	s_wait_alu 0xfffe
	s_sub_co_i32 s4, s2, s16
	s_ashr_i32 s27, s26, 31
	s_cmp_ge_u32 s2, s16
	s_cselect_b32 s12, s14, s15
	s_cselect_b32 s2, s4, s2
	s_add_co_i32 s4, s12, 1
	s_wait_alu 0xfffe
	s_cmp_ge_u32 s2, s16
	s_cselect_b32 s2, s4, s12
	s_add_co_i32 s4, s34, 31
	s_lshl_b32 s39, s33, 4
	s_ashr_i32 s12, s4, 31
	v_add_nc_u32_e32 v14, s39, v11
	s_lshr_b32 s12, s12, 27
	v_mov_b32_e32 v16, 0xff7fffff
	s_add_co_i32 s4, s4, s12
	s_add_co_i32 s12, s39, 16
	s_ashr_i32 s37, s4, 5
	s_wait_alu 0xfffe
	s_xor_b32 s4, s2, s3
	s_min_i32 s35, s12, s37
	v_lshlrev_b32_e32 v15, 2, v14
	v_cmp_gt_i32_e64 s2, s35, v14
	s_sub_co_i32 s38, s4, s3
	s_and_saveexec_b32 s12, s2
	s_cbranch_execz .LBB283_273
; %bb.10:
	s_wait_alu 0xfffe
	s_sub_co_i32 s31, s38, s5
	s_ashr_i32 s19, s18, 31
	s_cmp_neq_f32 s30, 0
	s_load_b64 s[14:15], s[0:1], 0x20
	v_dual_mov_b32 v2, 0 :: v_dual_lshlrev_b32 v5, 4, v12
	s_cselect_b32 vcc_lo, -1, 0
	s_abs_i32 s40, s6
	v_subrev_nc_u32_e32 v3, s34, v12
	s_cvt_f32_u32 s3, s40
	s_lshl_b64 s[44:45], s[26:27], 2
	v_lshl_or_b32 v4, v11, 7, v18
	s_add_nc_u64 s[44:45], s[24:25], s[44:45]
	s_wait_alu 0xfffe
	v_rcp_iflag_f32_e32 v1, s3
	s_sub_co_i32 s4, 0, s40
	v_dual_mov_b32 v20, v14 :: v_dual_add_nc_u32 v21, 1, v3
	v_add_co_u32 v3, s43, s44, v15
	v_lshl_add_u32 v17, v11, 5, s36
	v_dual_mov_b32 v19, 0xff7fffff :: v_dual_mov_b32 v16, 0xff7fffff
	v_add_nc_u32_e32 v22, 0x60, v4
	s_delay_alu instid0(TRANS32_DEP_1)
	v_readfirstlane_b32 s3, v1
	s_wait_kmcnt 0x0
	s_add_nc_u64 s[14:15], s[14:15], s[18:19]
	v_add_co_ci_u32_e64 v4, null, s45, 0, s43
	v_add_co_u32 v5, s14, s14, v5
	s_mul_f32 s3, s3, 0x4f7ffffe
	v_add_co_ci_u32_e64 v6, null, s15, 0, s14
	s_mov_b32 s14, -1
	s_wait_alu 0xfffe
	s_cvt_u32_f32 s3, s3
	s_mov_b32 s41, s17
	s_mov_b32 s42, 0
	s_mov_b32 s15, 0xffffff
	s_wait_alu 0xfffe
	s_mul_i32 s4, s4, s3
	s_delay_alu instid0(SALU_CYCLE_1) | instskip(NEXT) | instid1(SALU_CYCLE_1)
	s_mul_hi_u32 s4, s3, s4
	s_add_co_i32 s19, s3, s4
	s_branch .LBB283_16
.LBB283_11:                             ;   in Loop: Header=BB283_16 Depth=1
	s_or_b32 exec_lo, exec_lo, s46
	v_lshlrev_b32_e32 v1, 8, v1
	v_lshl_add_u32 v8, v8, 10, 0x2000
	v_lshlrev_b32_e32 v7, 23, v7
	s_delay_alu instid0(VALU_DEP_2) | instskip(NEXT) | instid1(VALU_DEP_1)
	v_and_or_b32 v1, 0x8000, v1, v8
	v_lshl_or_b32 v7, v1, 16, v7
.LBB283_12:                             ;   in Loop: Header=BB283_16 Depth=1
	s_wait_alu 0xfffe
	s_or_b32 exec_lo, exec_lo, s45
.LBB283_13:                             ;   in Loop: Header=BB283_16 Depth=1
	s_wait_alu 0xfffe
	s_or_b32 exec_lo, exec_lo, s44
.LBB283_14:                             ;   in Loop: Header=BB283_16 Depth=1
	s_wait_alu 0xfffe
	s_or_b32 exec_lo, exec_lo, s43
	ds_load_b128 v[53:56], v2
	v_or_b32_e32 v1, v26, v27
	v_or_b32_e32 v25, v24, v25
	v_fma_mixlo_f16 v8, v23, v26, 0 op_sel:[0,1,0] op_sel_hi:[0,1,0]
	v_or_b32_e32 v26, v30, v29
	v_or_b32_e32 v28, v32, v28
	v_fma_mixlo_f16 v24, v23, v24, 0 op_sel:[0,1,0] op_sel_hi:[0,1,0]
	v_fma_mixlo_f16 v25, v23, v25, 0 op_sel_hi:[0,1,0]
	v_fma_mixlo_f16 v1, v23, v1, 0 op_sel_hi:[0,1,0]
	;; [unrolled: 1-line block ×3, first 2 shown]
	v_fma_mixlo_f16 v27, v23, v30, 0 op_sel:[0,1,0] op_sel_hi:[0,1,0]
	v_fma_mixlo_f16 v29, v23, v32, 0 op_sel:[0,1,0] op_sel_hi:[0,1,0]
	v_fma_mixlo_f16 v28, v23, v28, 0 op_sel_hi:[0,1,0]
	v_and_b32_e32 v24, 0xffff, v24
	v_and_b32_e32 v25, 0xffff, v25
	;; [unrolled: 1-line block ×4, first 2 shown]
	v_or_b32_e32 v31, v33, v31
	v_fma_mixlo_f16 v33, v23, v33, 0 op_sel:[0,1,0] op_sel_hi:[0,1,0]
	v_or_b32_e32 v34, v36, v34
	s_wait_dscnt 0x0
	v_and_b32_e32 v30, 0xffff, v53
	v_lshrrev_b32_e32 v32, 16, v53
	v_lshrrev_b32_e32 v57, 16, v54
	;;#ASMSTART
	v_cvt_f32_f16 v1, v30;
	;;#ASMEND
	;;#ASMSTART
	v_cvt_f32_f16 v30, v32;
	;;#ASMEND
	;; [unrolled: 3-line block ×4, first 2 shown]
	v_and_b32_e32 v54, 0xffff, v54
	;;#ASMSTART
	v_cvt_f32_f16 v54, v54;
	;;#ASMEND
	;;#ASMSTART
	v_cvt_f32_f16 v57, v57;
	;;#ASMEND
	v_and_b32_e32 v24, 0xffff, v55
	v_lshrrev_b32_e32 v25, 16, v55
	;;#ASMSTART
	v_cvt_f32_f16 v55, v58;
	;;#ASMEND
	v_and_b32_e32 v26, 0xffff, v26
	;;#ASMSTART
	v_cvt_f32_f16 v58, v8;
	;;#ASMEND
	;;#ASMSTART
	v_cvt_f32_f16 v59, v24;
	;;#ASMEND
	;; [unrolled: 3-line block ×4, first 2 shown]
	v_and_b32_e32 v8, 0xffff, v27
	v_and_b32_e32 v24, 0xffff, v56
	v_lshrrev_b32_e32 v25, 16, v56
	v_and_b32_e32 v26, 0xffff, v28
	v_and_b32_e32 v27, 0xffff, v29
	;;#ASMSTART
	v_cvt_f32_f16 v28, v8;
	;;#ASMEND
	;;#ASMSTART
	v_cvt_f32_f16 v29, v24;
	;;#ASMEND
	;; [unrolled: 3-line block ×5, first 2 shown]
	ds_load_b128 v[24:27], v2 offset:16
	v_fma_mixlo_f16 v31, v23, v31, 0 op_sel_hi:[0,1,0]
	v_or_b32_e32 v8, v44, v42
	v_fma_mixlo_f16 v42, v23, v44, 0 op_sel:[0,1,0] op_sel_hi:[0,1,0]
	v_or_b32_e32 v44, v47, v46
	v_or_b32_e32 v35, v37, v35
	v_and_b32_e32 v64, 0xffff, v31
	v_and_b32_e32 v65, 0xffff, v33
	v_fma_mixlo_f16 v36, v23, v36, 0 op_sel:[0,1,0] op_sel_hi:[0,1,0]
	v_fma_mixlo_f16 v34, v23, v34, 0 op_sel_hi:[0,1,0]
	v_or_b32_e32 v38, v39, v38
	v_fma_mixlo_f16 v35, v23, v35, 0 op_sel_hi:[0,1,0]
	v_fma_mixlo_f16 v37, v23, v37, 0 op_sel:[0,1,0] op_sel_hi:[0,1,0]
	v_fma_mixlo_f16 v39, v23, v39, 0 op_sel:[0,1,0] op_sel_hi:[0,1,0]
	v_or_b32_e32 v40, v41, v40
	v_fma_mixlo_f16 v38, v23, v38, 0 op_sel_hi:[0,1,0]
	v_and_b32_e32 v68, 0xffff, v35
	v_or_b32_e32 v43, v45, v43
	v_and_b32_e32 v70, 0xffff, v39
	v_or_b32_e32 v48, v50, v48
	s_wait_dscnt 0x0
	v_and_b32_e32 v46, 0xffff, v24
	v_lshrrev_b32_e32 v24, 16, v24
	;;#ASMSTART
	v_cvt_f32_f16 v46, v46;
	;;#ASMEND
	;;#ASMSTART
	v_cvt_f32_f16 v31, v24;
	;;#ASMEND
	;; [unrolled: 3-line block ×3, first 2 shown]
	v_mul_f32_e32 v33, v46, v33
	;;#ASMSTART
	v_cvt_f32_f16 v64, v65;
	;;#ASMEND
	v_and_b32_e32 v66, 0xffff, v25
	v_lshrrev_b32_e32 v25, 16, v25
	;;#ASMSTART
	v_cvt_f32_f16 v65, v66;
	;;#ASMEND
	v_fmac_f32_e32 v33, v1, v32
	v_mul_f32_e32 v1, v31, v64
	;;#ASMSTART
	v_cvt_f32_f16 v66, v25;
	;;#ASMEND
	v_and_b32_e32 v25, 0xffff, v36
	v_and_b32_e32 v36, 0xffff, v26
	;; [unrolled: 1-line block ×3, first 2 shown]
	;;#ASMSTART
	v_cvt_f32_f16 v34, v24;
	;;#ASMEND
	;;#ASMSTART
	v_cvt_f32_f16 v35, v25;
	;;#ASMEND
	;; [unrolled: 3-line block ×3, first 2 shown]
	v_lshrrev_b32_e32 v26, 16, v26
	;;#ASMSTART
	v_cvt_f32_f16 v67, v26;
	;;#ASMEND
	;;#ASMSTART
	v_cvt_f32_f16 v68, v68;
	;;#ASMEND
	v_and_b32_e32 v24, 0xffff, v37
	;;#ASMSTART
	v_cvt_f32_f16 v37, v24;
	;;#ASMEND
	v_fmac_f32_e32 v1, v30, v53
	v_dual_mul_f32 v30, v66, v35 :: v_dual_mul_f32 v35, v36, v68
	v_dual_mul_f32 v36, v67, v37 :: v_dual_and_b32 v25, 0xffff, v27
	v_lshrrev_b32_e32 v26, 16, v27
	v_and_b32_e32 v27, 0xffff, v38
	v_or_b32_e32 v9, v10, v9
	s_delay_alu instid0(VALU_DEP_4)
	v_fmac_f32_e32 v36, v60, v28
	;;#ASMSTART
	v_cvt_f32_f16 v38, v25;
	;;#ASMEND
	;;#ASMSTART
	v_cvt_f32_f16 v39, v26;
	;;#ASMEND
	;; [unrolled: 3-line block ×4, first 2 shown]
	ds_load_b128 v[24:27], v2 offset:32
	v_fma_mixlo_f16 v72, v23, v10, 0 op_sel:[0,1,0] op_sel_hi:[0,1,0]
	v_or_b32_e32 v10, v51, v49
	v_or_b32_e32 v49, v7, v52
	v_fma_mixlo_f16 v41, v23, v41, 0 op_sel:[0,1,0] op_sel_hi:[0,1,0]
	v_fma_mixlo_f16 v40, v23, v40, 0 op_sel_hi:[0,1,0]
	v_dual_mul_f32 v37, v38, v69 :: v_dual_mul_f32 v38, v39, v70
	v_fma_mixlo_f16 v8, v23, v8, 0 op_sel_hi:[0,1,0]
	v_fma_mixlo_f16 v43, v23, v43, 0 op_sel_hi:[0,1,0]
	v_fma_mixlo_f16 v45, v23, v45, 0 op_sel:[0,1,0] op_sel_hi:[0,1,0]
	v_fma_mixlo_f16 v44, v23, v44, 0 op_sel_hi:[0,1,0]
	v_fma_mixlo_f16 v47, v23, v47, 0 op_sel:[0,1,0] op_sel_hi:[0,1,0]
	v_fmac_f32_e32 v35, v59, v61
	v_fma_mixlo_f16 v50, v23, v50, 0 op_sel:[0,1,0] op_sel_hi:[0,1,0]
	v_fma_mixlo_f16 v48, v23, v48, 0 op_sel_hi:[0,1,0]
	v_fma_mixlo_f16 v52, v23, v9, 0 op_sel_hi:[0,1,0]
	v_fma_mixlo_f16 v51, v23, v51, 0 op_sel:[0,1,0] op_sel_hi:[0,1,0]
	v_fma_mixlo_f16 v46, v23, v10, 0 op_sel_hi:[0,1,0]
	v_fma_mixlo_f16 v49, v23, v49, 0 op_sel_hi:[0,1,0]
	v_fma_mixlo_f16 v23, v23, v7, 0 op_sel:[0,1,0] op_sel_hi:[0,1,0]
	s_wait_dscnt 0x0
	v_dual_fmac_f32 v30, v57, v58 :: v_dual_and_b32 v7, 0xffff, v24
	v_lshrrev_b32_e32 v9, 16, v24
	;;#ASMSTART
	v_cvt_f32_f16 v24, v7;
	;;#ASMEND
	v_and_b32_e32 v10, 0xffff, v41
	v_dual_fmac_f32 v38, v56, v63 :: v_dual_and_b32 v7, 0xffff, v40
	v_dual_mul_f32 v31, v65, v34 :: v_dual_and_b32 v40, 0xffff, v25
	v_lshrrev_b32_e32 v41, 16, v25
	;;#ASMSTART
	v_cvt_f32_f16 v25, v9;
	;;#ASMEND
	;;#ASMSTART
	v_cvt_f32_f16 v32, v7;
	;;#ASMEND
	;; [unrolled: 3-line block ×3, first 2 shown]
	v_and_b32_e32 v7, 0xffff, v8
	v_and_b32_e32 v8, 0xffff, v42
	;; [unrolled: 1-line block ×3, first 2 shown]
	v_lshrrev_b32_e32 v10, 16, v26
	v_and_b32_e32 v65, 0xffff, v43
	;;#ASMSTART
	v_cvt_f32_f16 v40, v40;
	;;#ASMEND
	;;#ASMSTART
	v_cvt_f32_f16 v41, v41;
	;;#ASMEND
	;; [unrolled: 3-line block ×7, first 2 shown]
	v_and_b32_e32 v7, 0xffff, v45
	v_lshrrev_b32_e32 v9, 16, v27
	v_and_b32_e32 v10, 0xffff, v44
	v_and_b32_e32 v73, 0xffff, v47
	v_dual_fmac_f32 v35, v43, v65 :: v_dual_and_b32 v8, 0xffff, v27
	;;#ASMSTART
	v_cvt_f32_f16 v27, v7;
	;;#ASMEND
	;;#ASMSTART
	v_cvt_f32_f16 v44, v8;
	;;#ASMEND
	;; [unrolled: 3-line block ×5, first 2 shown]
	ds_load_b128 v[7:10], v2 offset:48
	v_fmac_f32_e32 v31, v54, v55
	v_fmac_f32_e32 v37, v29, v62
	;; [unrolled: 1-line block ×4, first 2 shown]
	v_dual_fmac_f32 v36, v64, v27 :: v_dual_add_nc_u32 v71, v21, v17
	v_fmac_f32_e32 v31, v40, v26
	v_dual_fmac_f32 v37, v44, v47 :: v_dual_and_b32 v26, 0xffff, v52
	v_dual_fmac_f32 v30, v41, v42 :: v_dual_and_b32 v27, 0xffff, v72
	s_delay_alu instid0(VALU_DEP_4)
	v_cvt_f32_i32_e32 v71, v71
	v_fmac_f32_e32 v38, v45, v73
	s_wait_dscnt 0x0
	v_and_b32_e32 v24, 0xffff, v7
	v_lshrrev_b32_e32 v25, 16, v7
	;;#ASMSTART
	v_cvt_f32_f16 v7, v24;
	;;#ASMEND
	;;#ASMSTART
	v_cvt_f32_f16 v24, v25;
	;;#ASMEND
	;; [unrolled: 3-line block ×4, first 2 shown]
	v_fmac_f32_e32 v33, v7, v25
	v_fmac_f32_e32 v1, v24, v26
	v_and_b32_e32 v7, 0xffff, v8
	v_lshrrev_b32_e32 v8, 16, v8
	v_and_b32_e32 v25, 0xffff, v48
	;;#ASMSTART
	v_cvt_f32_f16 v7, v7;
	;;#ASMEND
	;;#ASMSTART
	v_cvt_f32_f16 v8, v8;
	;;#ASMEND
	;; [unrolled: 3-line block ×3, first 2 shown]
	v_fmac_f32_e32 v31, v7, v24
	v_add_f32_e32 v1, v33, v1
	v_and_b32_e32 v27, 0xffff, v50
	;;#ASMSTART
	v_cvt_f32_f16 v25, v27;
	;;#ASMEND
	v_fmac_f32_e32 v30, v8, v25
	v_and_b32_e32 v7, 0xffff, v9
	v_add_f32_e32 v1, v1, v31
	v_lshrrev_b32_e32 v8, 16, v9
	v_and_b32_e32 v9, 0xffff, v46
	;;#ASMSTART
	v_cvt_f32_f16 v7, v7;
	;;#ASMEND
	;;#ASMSTART
	v_cvt_f32_f16 v8, v8;
	;;#ASMEND
	;;#ASMSTART
	v_cvt_f32_f16 v9, v9;
	;;#ASMEND
	s_delay_alu instid0(VALU_DEP_1) | instskip(SKIP_2) | instid1(VALU_DEP_1)
	v_fmac_f32_e32 v35, v7, v9
	v_dual_add_f32 v1, v30, v1 :: v_dual_and_b32 v24, 0xffff, v51
	;;#ASMSTART
	v_cvt_f32_f16 v24, v24;
	;;#ASMEND
	v_dual_fmac_f32 v36, v8, v24 :: v_dual_and_b32 v7, 0xffff, v10
	s_delay_alu instid0(VALU_DEP_2)
	v_add_f32_e32 v1, v1, v35
	v_lshrrev_b32_e32 v9, 16, v10
	v_and_b32_e32 v10, 0xffff, v49
	;;#ASMSTART
	v_cvt_f32_f16 v7, v7;
	;;#ASMEND
	;;#ASMSTART
	v_cvt_f32_f16 v8, v9;
	;;#ASMEND
	;; [unrolled: 3-line block ×3, first 2 shown]
	v_fmac_f32_e32 v37, v7, v9
	v_add_f32_e32 v1, v36, v1
	v_mul_f32_e32 v7, s30, v71
	s_delay_alu instid0(VALU_DEP_2) | instskip(SKIP_1) | instid1(VALU_DEP_2)
	v_dual_add_f32 v1, v1, v37 :: v_dual_and_b32 v10, 0xffff, v23
	;;#ASMSTART
	v_cvt_f32_f16 v9, v10;
	;;#ASMEND
	v_dual_fmac_f32 v38, v8, v9 :: v_dual_cndmask_b32 v7, 0, v7
	v_add_nc_u32_e32 v8, v12, v17
	s_delay_alu instid0(VALU_DEP_2) | instskip(NEXT) | instid1(VALU_DEP_2)
	v_add_f32_e32 v1, v38, v1
	v_cmp_gt_i32_e64 s3, s34, v8
	s_delay_alu instid0(VALU_DEP_2) | instskip(SKIP_1) | instid1(VALU_DEP_1)
	v_fmac_f32_e32 v7, s13, v1
	v_max_num_f32_e32 v1, v16, v16
	v_max_num_f32_e32 v1, v1, v7
	s_wait_alu 0xf1ff
	v_cndmask_b32_e64 v7, 0, v7, s3
	s_delay_alu instid0(VALU_DEP_2)
	v_cndmask_b32_e64 v16, v16, v1, s3
	ds_store_b32 v22, v7
.LBB283_15:                             ;   in Loop: Header=BB283_16 Depth=1
	s_wait_alu 0xfffe
	s_or_b32 exec_lo, exec_lo, s4
	v_add_nc_u32_e32 v20, 4, v20
	v_add_co_u32 v3, s4, v3, 16
	s_wait_alu 0xf1ff
	v_add_co_ci_u32_e64 v4, null, 0, v4, s4
	s_delay_alu instid0(VALU_DEP_3)
	v_cmp_le_i32_e64 s3, s35, v20
	v_add_nc_u32_e32 v17, 0x80, v17
	v_add_nc_u32_e32 v22, 0x200, v22
	s_or_b32 s42, s3, s42
	s_wait_alu 0xfffe
	s_and_not1_b32 exec_lo, exec_lo, s42
	s_cbranch_execz .LBB283_272
.LBB283_16:                             ; =>This Inner Loop Header: Depth=1
	v_sub_nc_u32_e32 v1, 0, v17
	s_delay_alu instid0(VALU_DEP_1) | instskip(NEXT) | instid1(VALU_DEP_1)
	v_max_i32_e32 v1, v17, v1
	v_mul_hi_u32 v7, v1, s22
	s_delay_alu instid0(VALU_DEP_1) | instskip(NEXT) | instid1(VALU_DEP_1)
	v_mul_lo_u32 v8, v7, s16
	v_sub_nc_u32_e32 v1, v1, v8
	v_add_nc_u32_e32 v8, 1, v7
	s_delay_alu instid0(VALU_DEP_2) | instskip(SKIP_2) | instid1(VALU_DEP_1)
	v_subrev_nc_u32_e32 v9, s16, v1
	v_cmp_le_u32_e64 s3, s16, v1
	s_wait_alu 0xf1ff
	v_cndmask_b32_e64 v7, v7, v8, s3
	s_delay_alu instid0(VALU_DEP_3) | instskip(SKIP_1) | instid1(VALU_DEP_3)
	v_cndmask_b32_e64 v1, v1, v9, s3
	v_ashrrev_i32_e32 v8, 31, v17
	v_add_nc_u32_e32 v9, 1, v7
	s_delay_alu instid0(VALU_DEP_3) | instskip(NEXT) | instid1(VALU_DEP_3)
	v_cmp_le_u32_e64 s3, s16, v1
	v_xor_b32_e32 v8, s23, v8
	s_wait_alu 0xf1ff
	s_delay_alu instid0(VALU_DEP_2) | instskip(NEXT) | instid1(VALU_DEP_1)
	v_cndmask_b32_e64 v1, v7, v9, s3
	v_xor_b32_e32 v1, v1, v8
	s_delay_alu instid0(VALU_DEP_1) | instskip(NEXT) | instid1(VALU_DEP_1)
	v_sub_nc_u32_e32 v1, v1, v8
	v_add_nc_u32_e32 v7, s21, v1
	v_cmp_ge_i32_e64 s4, s31, v1
	s_delay_alu instid0(VALU_DEP_2) | instskip(NEXT) | instid1(VALU_DEP_1)
	v_sub_nc_u32_e32 v8, 0, v7
	v_max_i32_e32 v8, v7, v8
	v_ashrrev_i32_e32 v7, 31, v7
	s_delay_alu instid0(VALU_DEP_2) | instskip(NEXT) | instid1(VALU_DEP_1)
	v_mul_hi_u32 v9, v8, s19
	v_mul_lo_u32 v9, v9, s40
	s_delay_alu instid0(VALU_DEP_1) | instskip(NEXT) | instid1(VALU_DEP_1)
	v_sub_nc_u32_e32 v8, v8, v9
	v_subrev_nc_u32_e32 v9, s40, v8
	v_cmp_le_u32_e64 s3, s40, v8
	s_wait_alu 0xf1ff
	s_delay_alu instid0(VALU_DEP_1) | instskip(NEXT) | instid1(VALU_DEP_1)
	v_cndmask_b32_e64 v8, v8, v9, s3
	v_subrev_nc_u32_e32 v9, s40, v8
	v_cmp_le_u32_e64 s3, s40, v8
	s_wait_alu 0xf1ff
	s_delay_alu instid0(VALU_DEP_1) | instskip(NEXT) | instid1(VALU_DEP_1)
	v_cndmask_b32_e64 v8, v8, v9, s3
	v_xor_b32_e32 v8, v8, v7
	s_delay_alu instid0(VALU_DEP_1) | instskip(NEXT) | instid1(VALU_DEP_1)
	v_sub_nc_u32_e32 v7, v8, v7
	v_cmp_ne_u32_e64 s3, 0, v7
	s_and_b32 s3, s3, s4
	s_wait_alu 0xfffe
	s_and_saveexec_b32 s4, s3
	s_wait_alu 0xfffe
	s_xor_b32 s3, exec_lo, s4
; %bb.17:                               ;   in Loop: Header=BB283_16 Depth=1
	ds_store_b32 v22, v19
; %bb.18:                               ;   in Loop: Header=BB283_16 Depth=1
	s_wait_alu 0xfffe
	s_and_not1_saveexec_b32 s4, s3
	s_cbranch_execz .LBB283_15
; %bb.19:                               ;   in Loop: Header=BB283_16 Depth=1
	global_load_b32 v1, v[3:4], off
	v_mov_b32_e32 v25, 0
	s_mov_b32 s43, exec_lo
	s_wait_loadcnt 0x0
	v_mad_co_i64_i32 v[7:8], null, v1, s41, v[5:6]
	global_load_b64 v[9:10], v[7:8], off
	s_wait_loadcnt 0x0
	v_dual_mov_b32 v24, 0 :: v_dual_and_b32 v1, 0xff, v9
	global_load_b32 v23, v24, s[8:9]
	v_cmpx_ne_u16_e32 0, v1
	s_cbranch_execz .LBB283_27
; %bb.20:                               ;   in Loop: Header=BB283_16 Depth=1
	v_mov_b32_e32 v25, 0x8000
	s_mov_b32 s44, exec_lo
	v_cmpx_ne_u16_e32 0x80, v1
	s_cbranch_execz .LBB283_26
; %bb.21:                               ;   in Loop: Header=BB283_16 Depth=1
	v_and_b32_e32 v26, 0x7f, v9
	v_mov_b32_e32 v25, 0x7c01
	s_mov_b32 s45, exec_lo
	s_delay_alu instid0(VALU_DEP_2)
	v_cmpx_ne_u32_e32 0x7f, v26
	s_cbranch_execz .LBB283_25
; %bb.22:                               ;   in Loop: Header=BB283_16 Depth=1
	v_and_b32_e32 v1, 7, v9
	v_lshrrev_b32_e32 v25, 3, v26
	s_mov_b32 s46, exec_lo
	v_cmpx_gt_u32_e32 8, v26
; %bb.23:                               ;   in Loop: Header=BB283_16 Depth=1
	s_delay_alu instid0(VALU_DEP_3) | instskip(NEXT) | instid1(VALU_DEP_1)
	v_clz_i32_u32_e32 v1, v1
	v_min_u32_e32 v1, 32, v1
	s_delay_alu instid0(VALU_DEP_1) | instskip(NEXT) | instid1(VALU_DEP_1)
	v_subrev_nc_u32_e32 v25, 28, v1
	v_lshlrev_b64_e32 v[26:27], v25, v[9:10]
	v_sub_nc_u32_e32 v25, 29, v1
	s_delay_alu instid0(VALU_DEP_2)
	v_and_b32_e32 v1, 7, v26
; %bb.24:                               ;   in Loop: Header=BB283_16 Depth=1
	s_or_b32 exec_lo, exec_lo, s46
	v_lshlrev_b32_e32 v26, 8, v9
	s_delay_alu instid0(VALU_DEP_3) | instskip(NEXT) | instid1(VALU_DEP_3)
	v_lshl_add_u32 v25, v25, 10, 0x2000
	v_lshlrev_b32_e32 v1, 7, v1
	s_delay_alu instid0(VALU_DEP_3) | instskip(NEXT) | instid1(VALU_DEP_3)
	v_and_b32_e32 v26, 0x8000, v26
	v_and_b32_e32 v25, 0xfc00, v25
	s_delay_alu instid0(VALU_DEP_1)
	v_or3_b32 v25, v26, v25, v1
.LBB283_25:                             ;   in Loop: Header=BB283_16 Depth=1
	s_wait_alu 0xfffe
	s_or_b32 exec_lo, exec_lo, s45
.LBB283_26:                             ;   in Loop: Header=BB283_16 Depth=1
	s_wait_alu 0xfffe
	s_or_b32 exec_lo, exec_lo, s44
.LBB283_27:                             ;   in Loop: Header=BB283_16 Depth=1
	s_wait_alu 0xfffe
	s_or_b32 exec_lo, exec_lo, s43
	v_lshrrev_b16 v1, 8, v9
	s_mov_b32 s43, exec_lo
	s_delay_alu instid0(VALU_DEP_1)
	v_cmpx_ne_u16_e32 0, v1
	s_cbranch_execz .LBB283_35
; %bb.28:                               ;   in Loop: Header=BB283_16 Depth=1
	v_bfrev_b32_e32 v24, 1
	s_mov_b32 s44, exec_lo
	v_cmpx_ne_u16_e32 0x80, v1
	s_cbranch_execz .LBB283_34
; %bb.29:                               ;   in Loop: Header=BB283_16 Depth=1
	v_and_b32_e32 v26, 0xffff, v1
	v_mov_b32_e32 v24, 0x7c010000
	s_mov_b32 s45, exec_lo
	s_delay_alu instid0(VALU_DEP_2) | instskip(NEXT) | instid1(VALU_DEP_1)
	v_and_b32_e32 v28, 0x7f, v26
	v_cmpx_ne_u32_e32 0x7f, v28
	s_cbranch_execz .LBB283_33
; %bb.30:                               ;   in Loop: Header=BB283_16 Depth=1
	v_and_b32_e32 v24, 7, v26
	v_lshrrev_b32_e32 v27, 3, v28
	s_mov_b32 s46, exec_lo
	v_cmpx_gt_u32_e32 8, v28
; %bb.31:                               ;   in Loop: Header=BB283_16 Depth=1
	s_delay_alu instid0(VALU_DEP_3) | instskip(NEXT) | instid1(VALU_DEP_1)
	v_clz_i32_u32_e32 v24, v24
	v_min_u32_e32 v24, 32, v24
	s_delay_alu instid0(VALU_DEP_1) | instskip(NEXT) | instid1(VALU_DEP_1)
	v_subrev_nc_u32_e32 v27, 28, v24
	v_lshlrev_b64_e32 v[28:29], v27, v[1:2]
	v_sub_nc_u32_e32 v27, 29, v24
	s_delay_alu instid0(VALU_DEP_2)
	v_and_b32_e32 v24, 7, v28
; %bb.32:                               ;   in Loop: Header=BB283_16 Depth=1
	s_or_b32 exec_lo, exec_lo, s46
	v_lshlrev_b32_e32 v1, 8, v26
	s_delay_alu instid0(VALU_DEP_3) | instskip(NEXT) | instid1(VALU_DEP_3)
	v_lshl_add_u32 v26, v27, 10, 0x2000
	v_lshlrev_b32_e32 v24, 23, v24
	s_delay_alu instid0(VALU_DEP_2) | instskip(NEXT) | instid1(VALU_DEP_1)
	v_and_or_b32 v1, 0x8000, v1, v26
	v_lshl_or_b32 v24, v1, 16, v24
.LBB283_33:                             ;   in Loop: Header=BB283_16 Depth=1
	s_wait_alu 0xfffe
	s_or_b32 exec_lo, exec_lo, s45
.LBB283_34:                             ;   in Loop: Header=BB283_16 Depth=1
	s_wait_alu 0xfffe
	s_or_b32 exec_lo, exec_lo, s44
.LBB283_35:                             ;   in Loop: Header=BB283_16 Depth=1
	s_wait_alu 0xfffe
	s_or_b32 exec_lo, exec_lo, s43
	v_lshrrev_b32_e32 v1, 16, v9
	v_mov_b32_e32 v26, 0
	s_mov_b32 s43, exec_lo
	s_delay_alu instid0(VALU_DEP_2) | instskip(NEXT) | instid1(VALU_DEP_1)
	v_dual_mov_b32 v27, 0 :: v_dual_and_b32 v28, 0xff, v1
	v_cmpx_ne_u16_e32 0, v28
	s_cbranch_execz .LBB283_43
; %bb.36:                               ;   in Loop: Header=BB283_16 Depth=1
	v_mov_b32_e32 v27, 0x8000
	s_mov_b32 s44, exec_lo
	v_cmpx_ne_u16_e32 0x80, v28
	s_cbranch_execz .LBB283_42
; %bb.37:                               ;   in Loop: Header=BB283_16 Depth=1
	v_bfe_u32 v29, v9, 16, 7
	v_mov_b32_e32 v27, 0x7c01
	s_mov_b32 s45, exec_lo
	s_delay_alu instid0(VALU_DEP_2)
	v_cmpx_ne_u32_e32 0x7f, v29
	s_cbranch_execz .LBB283_41
; %bb.38:                               ;   in Loop: Header=BB283_16 Depth=1
	v_and_b32_e32 v27, 7, v1
	v_lshrrev_b32_e32 v28, 3, v29
	s_mov_b32 s46, exec_lo
	v_cmpx_gt_u32_e32 8, v29
; %bb.39:                               ;   in Loop: Header=BB283_16 Depth=1
	s_delay_alu instid0(VALU_DEP_3) | instskip(NEXT) | instid1(VALU_DEP_1)
	v_clz_i32_u32_e32 v27, v27
	v_min_u32_e32 v29, 32, v27
	s_delay_alu instid0(VALU_DEP_1) | instskip(NEXT) | instid1(VALU_DEP_1)
	v_subrev_nc_u32_e32 v27, 28, v29
	v_lshlrev_b64_e32 v[27:28], v27, v[1:2]
	v_sub_nc_u32_e32 v28, 29, v29
	s_delay_alu instid0(VALU_DEP_2)
	v_and_b32_e32 v27, 7, v27
; %bb.40:                               ;   in Loop: Header=BB283_16 Depth=1
	s_or_b32 exec_lo, exec_lo, s46
	v_lshlrev_b32_e32 v1, 8, v1
	s_delay_alu instid0(VALU_DEP_3) | instskip(NEXT) | instid1(VALU_DEP_3)
	v_lshl_add_u32 v28, v28, 10, 0x2000
	v_lshlrev_b32_e32 v27, 7, v27
	s_delay_alu instid0(VALU_DEP_3) | instskip(NEXT) | instid1(VALU_DEP_3)
	v_and_b32_e32 v1, 0x8000, v1
	v_and_b32_e32 v28, 0xfc00, v28
	s_delay_alu instid0(VALU_DEP_1)
	v_or3_b32 v27, v1, v28, v27
.LBB283_41:                             ;   in Loop: Header=BB283_16 Depth=1
	s_wait_alu 0xfffe
	s_or_b32 exec_lo, exec_lo, s45
.LBB283_42:                             ;   in Loop: Header=BB283_16 Depth=1
	s_wait_alu 0xfffe
	s_or_b32 exec_lo, exec_lo, s44
.LBB283_43:                             ;   in Loop: Header=BB283_16 Depth=1
	s_wait_alu 0xfffe
	s_or_b32 exec_lo, exec_lo, s43
	s_delay_alu instid0(SALU_CYCLE_1)
	s_mov_b32 s43, exec_lo
	v_cmpx_lt_u32_e32 0xffffff, v9
	s_cbranch_execz .LBB283_51
; %bb.44:                               ;   in Loop: Header=BB283_16 Depth=1
	v_lshrrev_b32_e32 v1, 24, v9
	v_bfrev_b32_e32 v26, 1
	s_mov_b32 s44, exec_lo
	s_delay_alu instid0(VALU_DEP_2)
	v_cmpx_ne_u32_e32 0x80, v1
	s_cbranch_execz .LBB283_50
; %bb.45:                               ;   in Loop: Header=BB283_16 Depth=1
	v_and_b32_e32 v29, 0x7f, v1
	v_mov_b32_e32 v26, 0x7c010000
	s_mov_b32 s45, exec_lo
	s_delay_alu instid0(VALU_DEP_2)
	v_cmpx_ne_u32_e32 0x7f, v29
	s_cbranch_execz .LBB283_49
; %bb.46:                               ;   in Loop: Header=BB283_16 Depth=1
	v_and_b32_e32 v26, 7, v1
	v_lshrrev_b32_e32 v28, 3, v29
	s_mov_b32 s46, exec_lo
	v_cmpx_gt_u32_e32 8, v29
; %bb.47:                               ;   in Loop: Header=BB283_16 Depth=1
	s_delay_alu instid0(VALU_DEP_3) | instskip(NEXT) | instid1(VALU_DEP_1)
	v_clz_i32_u32_e32 v26, v26
	v_min_u32_e32 v26, 32, v26
	s_delay_alu instid0(VALU_DEP_1) | instskip(NEXT) | instid1(VALU_DEP_1)
	v_subrev_nc_u32_e32 v28, 28, v26
	v_lshlrev_b64_e32 v[29:30], v28, v[1:2]
	v_sub_nc_u32_e32 v28, 29, v26
	s_delay_alu instid0(VALU_DEP_2)
	v_and_b32_e32 v26, 7, v29
; %bb.48:                               ;   in Loop: Header=BB283_16 Depth=1
	s_or_b32 exec_lo, exec_lo, s46
	v_lshlrev_b32_e32 v1, 8, v1
	s_delay_alu instid0(VALU_DEP_3) | instskip(NEXT) | instid1(VALU_DEP_3)
	v_lshl_add_u32 v28, v28, 10, 0x2000
	v_lshlrev_b32_e32 v26, 23, v26
	s_delay_alu instid0(VALU_DEP_2) | instskip(NEXT) | instid1(VALU_DEP_1)
	v_and_or_b32 v1, 0x8000, v1, v28
	v_lshl_or_b32 v26, v1, 16, v26
.LBB283_49:                             ;   in Loop: Header=BB283_16 Depth=1
	s_wait_alu 0xfffe
	s_or_b32 exec_lo, exec_lo, s45
.LBB283_50:                             ;   in Loop: Header=BB283_16 Depth=1
	s_wait_alu 0xfffe
	s_or_b32 exec_lo, exec_lo, s44
.LBB283_51:                             ;   in Loop: Header=BB283_16 Depth=1
	s_wait_alu 0xfffe
	s_or_b32 exec_lo, exec_lo, s43
	v_dual_mov_b32 v1, v10 :: v_dual_and_b32 v30, 0xff, v10
	v_dual_mov_b32 v28, 0 :: v_dual_mov_b32 v29, 0
	s_mov_b32 s43, exec_lo
	s_delay_alu instid0(VALU_DEP_2)
	v_cmpx_ne_u16_e32 0, v30
	s_cbranch_execz .LBB283_59
; %bb.52:                               ;   in Loop: Header=BB283_16 Depth=1
	v_mov_b32_e32 v29, 0x8000
	s_mov_b32 s44, exec_lo
	v_cmpx_ne_u16_e32 0x80, v30
	s_cbranch_execz .LBB283_58
; %bb.53:                               ;   in Loop: Header=BB283_16 Depth=1
	v_and_b32_e32 v31, 0x7f, v10
	v_mov_b32_e32 v29, 0x7c01
	s_mov_b32 s45, exec_lo
	s_delay_alu instid0(VALU_DEP_2)
	v_cmpx_ne_u32_e32 0x7f, v31
	s_cbranch_execz .LBB283_57
; %bb.54:                               ;   in Loop: Header=BB283_16 Depth=1
	v_and_b32_e32 v29, 7, v10
	v_lshrrev_b32_e32 v30, 3, v31
	s_mov_b32 s46, exec_lo
	v_cmpx_gt_u32_e32 8, v31
; %bb.55:                               ;   in Loop: Header=BB283_16 Depth=1
	s_delay_alu instid0(VALU_DEP_3) | instskip(NEXT) | instid1(VALU_DEP_1)
	v_clz_i32_u32_e32 v29, v29
	v_min_u32_e32 v31, 32, v29
	s_delay_alu instid0(VALU_DEP_1) | instskip(NEXT) | instid1(VALU_DEP_1)
	v_subrev_nc_u32_e32 v29, 28, v31
	v_lshlrev_b64_e32 v[29:30], v29, v[1:2]
	v_sub_nc_u32_e32 v30, 29, v31
	s_delay_alu instid0(VALU_DEP_2)
	v_and_b32_e32 v29, 7, v29
; %bb.56:                               ;   in Loop: Header=BB283_16 Depth=1
	s_or_b32 exec_lo, exec_lo, s46
	v_lshlrev_b32_e32 v31, 8, v10
	s_delay_alu instid0(VALU_DEP_3) | instskip(NEXT) | instid1(VALU_DEP_3)
	v_lshl_add_u32 v30, v30, 10, 0x2000
	v_lshlrev_b32_e32 v29, 7, v29
	s_delay_alu instid0(VALU_DEP_3) | instskip(NEXT) | instid1(VALU_DEP_3)
	v_and_b32_e32 v31, 0x8000, v31
	v_and_b32_e32 v30, 0xfc00, v30
	s_delay_alu instid0(VALU_DEP_1)
	v_or3_b32 v29, v31, v30, v29
.LBB283_57:                             ;   in Loop: Header=BB283_16 Depth=1
	s_wait_alu 0xfffe
	s_or_b32 exec_lo, exec_lo, s45
.LBB283_58:                             ;   in Loop: Header=BB283_16 Depth=1
	s_wait_alu 0xfffe
	s_or_b32 exec_lo, exec_lo, s44
.LBB283_59:                             ;   in Loop: Header=BB283_16 Depth=1
	s_wait_alu 0xfffe
	s_or_b32 exec_lo, exec_lo, s43
	v_lshrrev_b16 v1, 8, v1
	v_mov_b32_e32 v30, 0
	s_mov_b32 s43, exec_lo
	s_delay_alu instid0(VALU_DEP_2)
	v_cmpx_ne_u16_e32 0, v1
	s_cbranch_execz .LBB283_67
; %bb.60:                               ;   in Loop: Header=BB283_16 Depth=1
	v_bfrev_b32_e32 v30, 1
	s_mov_b32 s44, exec_lo
	v_cmpx_ne_u16_e32 0x80, v1
	s_cbranch_execz .LBB283_66
; %bb.61:                               ;   in Loop: Header=BB283_16 Depth=1
	v_and_b32_e32 v31, 0xffff, v1
	v_mov_b32_e32 v30, 0x7c010000
	s_mov_b32 s45, exec_lo
	s_delay_alu instid0(VALU_DEP_2) | instskip(NEXT) | instid1(VALU_DEP_1)
	v_and_b32_e32 v33, 0x7f, v31
	v_cmpx_ne_u32_e32 0x7f, v33
	s_cbranch_execz .LBB283_65
; %bb.62:                               ;   in Loop: Header=BB283_16 Depth=1
	v_and_b32_e32 v30, 7, v31
	v_lshrrev_b32_e32 v32, 3, v33
	s_mov_b32 s46, exec_lo
	v_cmpx_gt_u32_e32 8, v33
; %bb.63:                               ;   in Loop: Header=BB283_16 Depth=1
	s_delay_alu instid0(VALU_DEP_3) | instskip(NEXT) | instid1(VALU_DEP_1)
	v_clz_i32_u32_e32 v30, v30
	v_min_u32_e32 v30, 32, v30
	s_delay_alu instid0(VALU_DEP_1) | instskip(NEXT) | instid1(VALU_DEP_1)
	v_subrev_nc_u32_e32 v32, 28, v30
	v_lshlrev_b64_e32 v[33:34], v32, v[1:2]
	v_sub_nc_u32_e32 v32, 29, v30
	s_delay_alu instid0(VALU_DEP_2)
	v_and_b32_e32 v30, 7, v33
; %bb.64:                               ;   in Loop: Header=BB283_16 Depth=1
	s_or_b32 exec_lo, exec_lo, s46
	v_lshlrev_b32_e32 v1, 8, v31
	s_delay_alu instid0(VALU_DEP_3) | instskip(NEXT) | instid1(VALU_DEP_3)
	v_lshl_add_u32 v31, v32, 10, 0x2000
	v_lshlrev_b32_e32 v30, 23, v30
	s_delay_alu instid0(VALU_DEP_2) | instskip(NEXT) | instid1(VALU_DEP_1)
	v_and_or_b32 v1, 0x8000, v1, v31
	v_lshl_or_b32 v30, v1, 16, v30
.LBB283_65:                             ;   in Loop: Header=BB283_16 Depth=1
	s_wait_alu 0xfffe
	s_or_b32 exec_lo, exec_lo, s45
.LBB283_66:                             ;   in Loop: Header=BB283_16 Depth=1
	s_wait_alu 0xfffe
	s_or_b32 exec_lo, exec_lo, s44
.LBB283_67:                             ;   in Loop: Header=BB283_16 Depth=1
	s_wait_alu 0xfffe
	s_or_b32 exec_lo, exec_lo, s43
	v_lshrrev_b32_e32 v1, 16, v10
	s_mov_b32 s43, exec_lo
	s_delay_alu instid0(VALU_DEP_1) | instskip(NEXT) | instid1(VALU_DEP_1)
	v_and_b32_e32 v31, 0xff, v1
	v_cmpx_ne_u16_e32 0, v31
	s_cbranch_execz .LBB283_75
; %bb.68:                               ;   in Loop: Header=BB283_16 Depth=1
	v_mov_b32_e32 v28, 0x8000
	s_mov_b32 s44, exec_lo
	v_cmpx_ne_u16_e32 0x80, v31
	s_cbranch_execz .LBB283_74
; %bb.69:                               ;   in Loop: Header=BB283_16 Depth=1
	v_bfe_u32 v32, v10, 16, 7
	v_mov_b32_e32 v28, 0x7c01
	s_mov_b32 s45, exec_lo
	s_delay_alu instid0(VALU_DEP_2)
	v_cmpx_ne_u32_e32 0x7f, v32
	s_cbranch_execz .LBB283_73
; %bb.70:                               ;   in Loop: Header=BB283_16 Depth=1
	v_and_b32_e32 v28, 7, v1
	v_lshrrev_b32_e32 v31, 3, v32
	s_mov_b32 s46, exec_lo
	v_cmpx_gt_u32_e32 8, v32
; %bb.71:                               ;   in Loop: Header=BB283_16 Depth=1
	s_delay_alu instid0(VALU_DEP_3) | instskip(NEXT) | instid1(VALU_DEP_1)
	v_clz_i32_u32_e32 v28, v28
	v_min_u32_e32 v28, 32, v28
	s_delay_alu instid0(VALU_DEP_1) | instskip(NEXT) | instid1(VALU_DEP_1)
	v_subrev_nc_u32_e32 v31, 28, v28
	v_lshlrev_b64_e32 v[32:33], v31, v[1:2]
	v_sub_nc_u32_e32 v31, 29, v28
	s_delay_alu instid0(VALU_DEP_2)
	v_and_b32_e32 v28, 7, v32
; %bb.72:                               ;   in Loop: Header=BB283_16 Depth=1
	s_or_b32 exec_lo, exec_lo, s46
	v_lshlrev_b32_e32 v1, 8, v1
	s_delay_alu instid0(VALU_DEP_3) | instskip(NEXT) | instid1(VALU_DEP_3)
	v_lshl_add_u32 v31, v31, 10, 0x2000
	v_lshlrev_b32_e32 v28, 7, v28
	s_delay_alu instid0(VALU_DEP_3) | instskip(NEXT) | instid1(VALU_DEP_3)
	v_and_b32_e32 v1, 0x8000, v1
	v_and_b32_e32 v31, 0xfc00, v31
	s_delay_alu instid0(VALU_DEP_1)
	v_or3_b32 v28, v1, v31, v28
.LBB283_73:                             ;   in Loop: Header=BB283_16 Depth=1
	s_wait_alu 0xfffe
	s_or_b32 exec_lo, exec_lo, s45
.LBB283_74:                             ;   in Loop: Header=BB283_16 Depth=1
	s_wait_alu 0xfffe
	s_or_b32 exec_lo, exec_lo, s44
.LBB283_75:                             ;   in Loop: Header=BB283_16 Depth=1
	s_wait_alu 0xfffe
	s_or_b32 exec_lo, exec_lo, s43
	v_dual_mov_b32 v31, 0 :: v_dual_mov_b32 v32, 0
	s_mov_b32 s43, exec_lo
	v_cmpx_lt_u64_e64 s[14:15], v[9:10]
	s_cbranch_execz .LBB283_83
; %bb.76:                               ;   in Loop: Header=BB283_16 Depth=1
	v_lshrrev_b32_e32 v1, 24, v10
	v_bfrev_b32_e32 v32, 1
	s_mov_b32 s44, exec_lo
	s_delay_alu instid0(VALU_DEP_2)
	v_cmpx_ne_u32_e32 0x80, v1
	s_cbranch_execz .LBB283_82
; %bb.77:                               ;   in Loop: Header=BB283_16 Depth=1
	v_and_b32_e32 v33, 0x7f, v1
	v_mov_b32_e32 v32, 0x7c010000
	s_mov_b32 s45, exec_lo
	s_delay_alu instid0(VALU_DEP_2)
	v_cmpx_ne_u32_e32 0x7f, v33
	s_cbranch_execz .LBB283_81
; %bb.78:                               ;   in Loop: Header=BB283_16 Depth=1
	v_and_b32_e32 v9, 7, v1
	v_lshrrev_b32_e32 v10, 3, v33
	s_mov_b32 s46, exec_lo
	v_cmpx_gt_u32_e32 8, v33
; %bb.79:                               ;   in Loop: Header=BB283_16 Depth=1
	s_delay_alu instid0(VALU_DEP_3) | instskip(NEXT) | instid1(VALU_DEP_1)
	v_clz_i32_u32_e32 v9, v9
	v_min_u32_e32 v32, 32, v9
	s_delay_alu instid0(VALU_DEP_1) | instskip(NEXT) | instid1(VALU_DEP_1)
	v_subrev_nc_u32_e32 v9, 28, v32
	v_lshlrev_b64_e32 v[9:10], v9, v[1:2]
	v_sub_nc_u32_e32 v10, 29, v32
	s_delay_alu instid0(VALU_DEP_2)
	v_and_b32_e32 v9, 7, v9
; %bb.80:                               ;   in Loop: Header=BB283_16 Depth=1
	s_or_b32 exec_lo, exec_lo, s46
	v_lshlrev_b32_e32 v1, 8, v1
	s_delay_alu instid0(VALU_DEP_3) | instskip(NEXT) | instid1(VALU_DEP_3)
	v_lshl_add_u32 v10, v10, 10, 0x2000
	v_lshlrev_b32_e32 v9, 23, v9
	s_delay_alu instid0(VALU_DEP_2) | instskip(NEXT) | instid1(VALU_DEP_1)
	v_and_or_b32 v1, 0x8000, v1, v10
	v_lshl_or_b32 v32, v1, 16, v9
.LBB283_81:                             ;   in Loop: Header=BB283_16 Depth=1
	s_wait_alu 0xfffe
	s_or_b32 exec_lo, exec_lo, s45
.LBB283_82:                             ;   in Loop: Header=BB283_16 Depth=1
	s_wait_alu 0xfffe
	s_or_b32 exec_lo, exec_lo, s44
.LBB283_83:                             ;   in Loop: Header=BB283_16 Depth=1
	s_wait_alu 0xfffe
	s_or_b32 exec_lo, exec_lo, s43
	global_load_b64 v[9:10], v[7:8], off offset:8
	s_mov_b32 s43, exec_lo
	s_wait_loadcnt 0x0
	v_and_b32_e32 v1, 0xff, v9
	s_delay_alu instid0(VALU_DEP_1)
	v_cmpx_ne_u16_e32 0, v1
	s_cbranch_execz .LBB283_91
; %bb.84:                               ;   in Loop: Header=BB283_16 Depth=1
	v_mov_b32_e32 v31, 0x8000
	s_mov_b32 s44, exec_lo
	v_cmpx_ne_u16_e32 0x80, v1
	s_cbranch_execz .LBB283_90
; %bb.85:                               ;   in Loop: Header=BB283_16 Depth=1
	v_and_b32_e32 v33, 0x7f, v9
	v_mov_b32_e32 v31, 0x7c01
	s_mov_b32 s45, exec_lo
	s_delay_alu instid0(VALU_DEP_2)
	v_cmpx_ne_u32_e32 0x7f, v33
	s_cbranch_execz .LBB283_89
; %bb.86:                               ;   in Loop: Header=BB283_16 Depth=1
	v_and_b32_e32 v1, 7, v9
	v_lshrrev_b32_e32 v31, 3, v33
	s_mov_b32 s46, exec_lo
	v_cmpx_gt_u32_e32 8, v33
; %bb.87:                               ;   in Loop: Header=BB283_16 Depth=1
	s_delay_alu instid0(VALU_DEP_3) | instskip(NEXT) | instid1(VALU_DEP_1)
	v_clz_i32_u32_e32 v1, v1
	v_min_u32_e32 v1, 32, v1
	s_delay_alu instid0(VALU_DEP_1) | instskip(NEXT) | instid1(VALU_DEP_1)
	v_subrev_nc_u32_e32 v31, 28, v1
	v_lshlrev_b64_e32 v[33:34], v31, v[9:10]
	v_sub_nc_u32_e32 v31, 29, v1
	s_delay_alu instid0(VALU_DEP_2)
	v_and_b32_e32 v1, 7, v33
; %bb.88:                               ;   in Loop: Header=BB283_16 Depth=1
	s_or_b32 exec_lo, exec_lo, s46
	v_lshlrev_b32_e32 v33, 8, v9
	s_delay_alu instid0(VALU_DEP_3) | instskip(NEXT) | instid1(VALU_DEP_3)
	v_lshl_add_u32 v31, v31, 10, 0x2000
	v_lshlrev_b32_e32 v1, 7, v1
	s_delay_alu instid0(VALU_DEP_3) | instskip(NEXT) | instid1(VALU_DEP_3)
	v_and_b32_e32 v33, 0x8000, v33
	v_and_b32_e32 v31, 0xfc00, v31
	s_delay_alu instid0(VALU_DEP_1)
	v_or3_b32 v31, v33, v31, v1
.LBB283_89:                             ;   in Loop: Header=BB283_16 Depth=1
	s_wait_alu 0xfffe
	s_or_b32 exec_lo, exec_lo, s45
.LBB283_90:                             ;   in Loop: Header=BB283_16 Depth=1
	s_wait_alu 0xfffe
	s_or_b32 exec_lo, exec_lo, s44
.LBB283_91:                             ;   in Loop: Header=BB283_16 Depth=1
	s_wait_alu 0xfffe
	s_or_b32 exec_lo, exec_lo, s43
	v_lshrrev_b16 v1, 8, v9
	v_dual_mov_b32 v34, 0 :: v_dual_mov_b32 v33, 0
	s_mov_b32 s43, exec_lo
	s_delay_alu instid0(VALU_DEP_2)
	v_cmpx_ne_u16_e32 0, v1
	s_cbranch_execz .LBB283_99
; %bb.92:                               ;   in Loop: Header=BB283_16 Depth=1
	v_bfrev_b32_e32 v33, 1
	s_mov_b32 s44, exec_lo
	v_cmpx_ne_u16_e32 0x80, v1
	s_cbranch_execz .LBB283_98
; %bb.93:                               ;   in Loop: Header=BB283_16 Depth=1
	v_and_b32_e32 v35, 0xffff, v1
	v_mov_b32_e32 v33, 0x7c010000
	s_mov_b32 s45, exec_lo
	s_delay_alu instid0(VALU_DEP_2) | instskip(NEXT) | instid1(VALU_DEP_1)
	v_and_b32_e32 v37, 0x7f, v35
	v_cmpx_ne_u32_e32 0x7f, v37
	s_cbranch_execz .LBB283_97
; %bb.94:                               ;   in Loop: Header=BB283_16 Depth=1
	v_and_b32_e32 v33, 7, v35
	v_lshrrev_b32_e32 v36, 3, v37
	s_mov_b32 s46, exec_lo
	v_cmpx_gt_u32_e32 8, v37
; %bb.95:                               ;   in Loop: Header=BB283_16 Depth=1
	s_delay_alu instid0(VALU_DEP_3) | instskip(NEXT) | instid1(VALU_DEP_1)
	v_clz_i32_u32_e32 v33, v33
	v_min_u32_e32 v33, 32, v33
	s_delay_alu instid0(VALU_DEP_1) | instskip(NEXT) | instid1(VALU_DEP_1)
	v_subrev_nc_u32_e32 v36, 28, v33
	v_lshlrev_b64_e32 v[37:38], v36, v[1:2]
	v_sub_nc_u32_e32 v36, 29, v33
	s_delay_alu instid0(VALU_DEP_2)
	v_and_b32_e32 v33, 7, v37
; %bb.96:                               ;   in Loop: Header=BB283_16 Depth=1
	s_or_b32 exec_lo, exec_lo, s46
	v_lshlrev_b32_e32 v1, 8, v35
	s_delay_alu instid0(VALU_DEP_3) | instskip(NEXT) | instid1(VALU_DEP_3)
	v_lshl_add_u32 v35, v36, 10, 0x2000
	v_lshlrev_b32_e32 v33, 23, v33
	s_delay_alu instid0(VALU_DEP_2) | instskip(NEXT) | instid1(VALU_DEP_1)
	v_and_or_b32 v1, 0x8000, v1, v35
	v_lshl_or_b32 v33, v1, 16, v33
.LBB283_97:                             ;   in Loop: Header=BB283_16 Depth=1
	s_wait_alu 0xfffe
	s_or_b32 exec_lo, exec_lo, s45
.LBB283_98:                             ;   in Loop: Header=BB283_16 Depth=1
	s_wait_alu 0xfffe
	s_or_b32 exec_lo, exec_lo, s44
.LBB283_99:                             ;   in Loop: Header=BB283_16 Depth=1
	s_wait_alu 0xfffe
	s_or_b32 exec_lo, exec_lo, s43
	v_lshrrev_b32_e32 v1, 16, v9
	s_mov_b32 s43, exec_lo
	s_delay_alu instid0(VALU_DEP_1) | instskip(NEXT) | instid1(VALU_DEP_1)
	v_and_b32_e32 v35, 0xff, v1
	v_cmpx_ne_u16_e32 0, v35
	s_cbranch_execz .LBB283_107
; %bb.100:                              ;   in Loop: Header=BB283_16 Depth=1
	v_mov_b32_e32 v34, 0x8000
	s_mov_b32 s44, exec_lo
	v_cmpx_ne_u16_e32 0x80, v35
	s_cbranch_execz .LBB283_106
; %bb.101:                              ;   in Loop: Header=BB283_16 Depth=1
	v_bfe_u32 v36, v9, 16, 7
	v_mov_b32_e32 v34, 0x7c01
	s_mov_b32 s45, exec_lo
	s_delay_alu instid0(VALU_DEP_2)
	v_cmpx_ne_u32_e32 0x7f, v36
	s_cbranch_execz .LBB283_105
; %bb.102:                              ;   in Loop: Header=BB283_16 Depth=1
	v_and_b32_e32 v34, 7, v1
	v_lshrrev_b32_e32 v35, 3, v36
	s_mov_b32 s46, exec_lo
	v_cmpx_gt_u32_e32 8, v36
; %bb.103:                              ;   in Loop: Header=BB283_16 Depth=1
	s_delay_alu instid0(VALU_DEP_3) | instskip(NEXT) | instid1(VALU_DEP_1)
	v_clz_i32_u32_e32 v34, v34
	v_min_u32_e32 v36, 32, v34
	s_delay_alu instid0(VALU_DEP_1) | instskip(NEXT) | instid1(VALU_DEP_1)
	v_subrev_nc_u32_e32 v34, 28, v36
	v_lshlrev_b64_e32 v[34:35], v34, v[1:2]
	v_sub_nc_u32_e32 v35, 29, v36
	s_delay_alu instid0(VALU_DEP_2)
	v_and_b32_e32 v34, 7, v34
; %bb.104:                              ;   in Loop: Header=BB283_16 Depth=1
	s_or_b32 exec_lo, exec_lo, s46
	v_lshlrev_b32_e32 v1, 8, v1
	s_delay_alu instid0(VALU_DEP_3) | instskip(NEXT) | instid1(VALU_DEP_3)
	v_lshl_add_u32 v35, v35, 10, 0x2000
	v_lshlrev_b32_e32 v34, 7, v34
	s_delay_alu instid0(VALU_DEP_3) | instskip(NEXT) | instid1(VALU_DEP_3)
	v_and_b32_e32 v1, 0x8000, v1
	v_and_b32_e32 v35, 0xfc00, v35
	s_delay_alu instid0(VALU_DEP_1)
	v_or3_b32 v34, v1, v35, v34
.LBB283_105:                            ;   in Loop: Header=BB283_16 Depth=1
	s_wait_alu 0xfffe
	s_or_b32 exec_lo, exec_lo, s45
.LBB283_106:                            ;   in Loop: Header=BB283_16 Depth=1
	s_wait_alu 0xfffe
	s_or_b32 exec_lo, exec_lo, s44
.LBB283_107:                            ;   in Loop: Header=BB283_16 Depth=1
	s_wait_alu 0xfffe
	s_or_b32 exec_lo, exec_lo, s43
	v_dual_mov_b32 v35, 0 :: v_dual_mov_b32 v36, 0
	s_mov_b32 s43, exec_lo
	v_cmpx_lt_u32_e32 0xffffff, v9
	s_cbranch_execz .LBB283_115
; %bb.108:                              ;   in Loop: Header=BB283_16 Depth=1
	v_lshrrev_b32_e32 v1, 24, v9
	v_bfrev_b32_e32 v36, 1
	s_mov_b32 s44, exec_lo
	s_delay_alu instid0(VALU_DEP_2)
	v_cmpx_ne_u32_e32 0x80, v1
	s_cbranch_execz .LBB283_114
; %bb.109:                              ;   in Loop: Header=BB283_16 Depth=1
	v_and_b32_e32 v38, 0x7f, v1
	v_mov_b32_e32 v36, 0x7c010000
	s_mov_b32 s45, exec_lo
	s_delay_alu instid0(VALU_DEP_2)
	v_cmpx_ne_u32_e32 0x7f, v38
	s_cbranch_execz .LBB283_113
; %bb.110:                              ;   in Loop: Header=BB283_16 Depth=1
	v_and_b32_e32 v36, 7, v1
	v_lshrrev_b32_e32 v37, 3, v38
	s_mov_b32 s46, exec_lo
	v_cmpx_gt_u32_e32 8, v38
; %bb.111:                              ;   in Loop: Header=BB283_16 Depth=1
	s_delay_alu instid0(VALU_DEP_3) | instskip(NEXT) | instid1(VALU_DEP_1)
	v_clz_i32_u32_e32 v36, v36
	v_min_u32_e32 v38, 32, v36
	s_delay_alu instid0(VALU_DEP_1) | instskip(NEXT) | instid1(VALU_DEP_1)
	v_subrev_nc_u32_e32 v36, 28, v38
	v_lshlrev_b64_e32 v[36:37], v36, v[1:2]
	v_sub_nc_u32_e32 v37, 29, v38
	s_delay_alu instid0(VALU_DEP_2)
	v_and_b32_e32 v36, 7, v36
; %bb.112:                              ;   in Loop: Header=BB283_16 Depth=1
	s_or_b32 exec_lo, exec_lo, s46
	v_lshlrev_b32_e32 v1, 8, v1
	s_delay_alu instid0(VALU_DEP_3) | instskip(NEXT) | instid1(VALU_DEP_3)
	v_lshl_add_u32 v37, v37, 10, 0x2000
	v_lshlrev_b32_e32 v36, 23, v36
	s_delay_alu instid0(VALU_DEP_2) | instskip(NEXT) | instid1(VALU_DEP_1)
	v_and_or_b32 v1, 0x8000, v1, v37
	v_lshl_or_b32 v36, v1, 16, v36
.LBB283_113:                            ;   in Loop: Header=BB283_16 Depth=1
	s_wait_alu 0xfffe
	s_or_b32 exec_lo, exec_lo, s45
.LBB283_114:                            ;   in Loop: Header=BB283_16 Depth=1
	s_wait_alu 0xfffe
	s_or_b32 exec_lo, exec_lo, s44
.LBB283_115:                            ;   in Loop: Header=BB283_16 Depth=1
	s_wait_alu 0xfffe
	s_or_b32 exec_lo, exec_lo, s43
	v_and_b32_e32 v37, 0xff, v10
	v_mov_b32_e32 v1, v10
	s_mov_b32 s43, exec_lo
	s_delay_alu instid0(VALU_DEP_2)
	v_cmpx_ne_u16_e32 0, v37
	s_cbranch_execz .LBB283_123
; %bb.116:                              ;   in Loop: Header=BB283_16 Depth=1
	v_mov_b32_e32 v35, 0x8000
	s_mov_b32 s44, exec_lo
	v_cmpx_ne_u16_e32 0x80, v37
	s_cbranch_execz .LBB283_122
; %bb.117:                              ;   in Loop: Header=BB283_16 Depth=1
	v_and_b32_e32 v38, 0x7f, v10
	v_mov_b32_e32 v35, 0x7c01
	s_mov_b32 s45, exec_lo
	s_delay_alu instid0(VALU_DEP_2)
	v_cmpx_ne_u32_e32 0x7f, v38
	s_cbranch_execz .LBB283_121
; %bb.118:                              ;   in Loop: Header=BB283_16 Depth=1
	v_and_b32_e32 v35, 7, v10
	v_lshrrev_b32_e32 v37, 3, v38
	s_mov_b32 s46, exec_lo
	v_cmpx_gt_u32_e32 8, v38
; %bb.119:                              ;   in Loop: Header=BB283_16 Depth=1
	s_delay_alu instid0(VALU_DEP_3) | instskip(NEXT) | instid1(VALU_DEP_1)
	v_clz_i32_u32_e32 v35, v35
	v_min_u32_e32 v35, 32, v35
	s_delay_alu instid0(VALU_DEP_1) | instskip(NEXT) | instid1(VALU_DEP_1)
	v_subrev_nc_u32_e32 v37, 28, v35
	v_lshlrev_b64_e32 v[38:39], v37, v[1:2]
	v_sub_nc_u32_e32 v37, 29, v35
	s_delay_alu instid0(VALU_DEP_2)
	v_and_b32_e32 v35, 7, v38
; %bb.120:                              ;   in Loop: Header=BB283_16 Depth=1
	s_or_b32 exec_lo, exec_lo, s46
	v_lshlrev_b32_e32 v38, 8, v10
	s_delay_alu instid0(VALU_DEP_3) | instskip(NEXT) | instid1(VALU_DEP_3)
	v_lshl_add_u32 v37, v37, 10, 0x2000
	v_lshlrev_b32_e32 v35, 7, v35
	s_delay_alu instid0(VALU_DEP_3) | instskip(NEXT) | instid1(VALU_DEP_3)
	v_and_b32_e32 v38, 0x8000, v38
	v_and_b32_e32 v37, 0xfc00, v37
	s_delay_alu instid0(VALU_DEP_1)
	v_or3_b32 v35, v38, v37, v35
.LBB283_121:                            ;   in Loop: Header=BB283_16 Depth=1
	s_wait_alu 0xfffe
	s_or_b32 exec_lo, exec_lo, s45
.LBB283_122:                            ;   in Loop: Header=BB283_16 Depth=1
	s_wait_alu 0xfffe
	s_or_b32 exec_lo, exec_lo, s44
.LBB283_123:                            ;   in Loop: Header=BB283_16 Depth=1
	s_wait_alu 0xfffe
	s_or_b32 exec_lo, exec_lo, s43
	v_lshrrev_b16 v1, 8, v1
	v_dual_mov_b32 v38, 0 :: v_dual_mov_b32 v37, 0
	s_mov_b32 s43, exec_lo
	s_delay_alu instid0(VALU_DEP_2)
	v_cmpx_ne_u16_e32 0, v1
	s_cbranch_execz .LBB283_131
; %bb.124:                              ;   in Loop: Header=BB283_16 Depth=1
	v_bfrev_b32_e32 v37, 1
	s_mov_b32 s44, exec_lo
	v_cmpx_ne_u16_e32 0x80, v1
	s_cbranch_execz .LBB283_130
; %bb.125:                              ;   in Loop: Header=BB283_16 Depth=1
	v_and_b32_e32 v39, 0xffff, v1
	v_mov_b32_e32 v37, 0x7c010000
	s_mov_b32 s45, exec_lo
	s_delay_alu instid0(VALU_DEP_2) | instskip(NEXT) | instid1(VALU_DEP_1)
	v_and_b32_e32 v41, 0x7f, v39
	v_cmpx_ne_u32_e32 0x7f, v41
	s_cbranch_execz .LBB283_129
; %bb.126:                              ;   in Loop: Header=BB283_16 Depth=1
	v_and_b32_e32 v37, 7, v39
	v_lshrrev_b32_e32 v40, 3, v41
	s_mov_b32 s46, exec_lo
	v_cmpx_gt_u32_e32 8, v41
; %bb.127:                              ;   in Loop: Header=BB283_16 Depth=1
	s_delay_alu instid0(VALU_DEP_3) | instskip(NEXT) | instid1(VALU_DEP_1)
	v_clz_i32_u32_e32 v37, v37
	v_min_u32_e32 v37, 32, v37
	s_delay_alu instid0(VALU_DEP_1) | instskip(NEXT) | instid1(VALU_DEP_1)
	v_subrev_nc_u32_e32 v40, 28, v37
	v_lshlrev_b64_e32 v[41:42], v40, v[1:2]
	v_sub_nc_u32_e32 v40, 29, v37
	s_delay_alu instid0(VALU_DEP_2)
	v_and_b32_e32 v37, 7, v41
; %bb.128:                              ;   in Loop: Header=BB283_16 Depth=1
	s_or_b32 exec_lo, exec_lo, s46
	v_lshlrev_b32_e32 v1, 8, v39
	s_delay_alu instid0(VALU_DEP_3) | instskip(NEXT) | instid1(VALU_DEP_3)
	v_lshl_add_u32 v39, v40, 10, 0x2000
	v_lshlrev_b32_e32 v37, 23, v37
	s_delay_alu instid0(VALU_DEP_2) | instskip(NEXT) | instid1(VALU_DEP_1)
	v_and_or_b32 v1, 0x8000, v1, v39
	v_lshl_or_b32 v37, v1, 16, v37
.LBB283_129:                            ;   in Loop: Header=BB283_16 Depth=1
	s_wait_alu 0xfffe
	s_or_b32 exec_lo, exec_lo, s45
.LBB283_130:                            ;   in Loop: Header=BB283_16 Depth=1
	s_wait_alu 0xfffe
	s_or_b32 exec_lo, exec_lo, s44
.LBB283_131:                            ;   in Loop: Header=BB283_16 Depth=1
	s_wait_alu 0xfffe
	s_or_b32 exec_lo, exec_lo, s43
	v_lshrrev_b32_e32 v1, 16, v10
	s_mov_b32 s43, exec_lo
	s_delay_alu instid0(VALU_DEP_1) | instskip(NEXT) | instid1(VALU_DEP_1)
	v_and_b32_e32 v39, 0xff, v1
	v_cmpx_ne_u16_e32 0, v39
	s_cbranch_execz .LBB283_139
; %bb.132:                              ;   in Loop: Header=BB283_16 Depth=1
	v_mov_b32_e32 v38, 0x8000
	s_mov_b32 s44, exec_lo
	v_cmpx_ne_u16_e32 0x80, v39
	s_cbranch_execz .LBB283_138
; %bb.133:                              ;   in Loop: Header=BB283_16 Depth=1
	v_bfe_u32 v40, v10, 16, 7
	v_mov_b32_e32 v38, 0x7c01
	s_mov_b32 s45, exec_lo
	s_delay_alu instid0(VALU_DEP_2)
	v_cmpx_ne_u32_e32 0x7f, v40
	s_cbranch_execz .LBB283_137
; %bb.134:                              ;   in Loop: Header=BB283_16 Depth=1
	v_and_b32_e32 v38, 7, v1
	v_lshrrev_b32_e32 v39, 3, v40
	s_mov_b32 s46, exec_lo
	v_cmpx_gt_u32_e32 8, v40
; %bb.135:                              ;   in Loop: Header=BB283_16 Depth=1
	s_delay_alu instid0(VALU_DEP_3) | instskip(NEXT) | instid1(VALU_DEP_1)
	v_clz_i32_u32_e32 v38, v38
	v_min_u32_e32 v40, 32, v38
	s_delay_alu instid0(VALU_DEP_1) | instskip(NEXT) | instid1(VALU_DEP_1)
	v_subrev_nc_u32_e32 v38, 28, v40
	v_lshlrev_b64_e32 v[38:39], v38, v[1:2]
	v_sub_nc_u32_e32 v39, 29, v40
	s_delay_alu instid0(VALU_DEP_2)
	v_and_b32_e32 v38, 7, v38
; %bb.136:                              ;   in Loop: Header=BB283_16 Depth=1
	s_or_b32 exec_lo, exec_lo, s46
	v_lshlrev_b32_e32 v1, 8, v1
	s_delay_alu instid0(VALU_DEP_3) | instskip(NEXT) | instid1(VALU_DEP_3)
	v_lshl_add_u32 v39, v39, 10, 0x2000
	v_lshlrev_b32_e32 v38, 7, v38
	s_delay_alu instid0(VALU_DEP_3) | instskip(NEXT) | instid1(VALU_DEP_3)
	v_and_b32_e32 v1, 0x8000, v1
	v_and_b32_e32 v39, 0xfc00, v39
	s_delay_alu instid0(VALU_DEP_1)
	v_or3_b32 v38, v1, v39, v38
.LBB283_137:                            ;   in Loop: Header=BB283_16 Depth=1
	s_wait_alu 0xfffe
	s_or_b32 exec_lo, exec_lo, s45
.LBB283_138:                            ;   in Loop: Header=BB283_16 Depth=1
	s_wait_alu 0xfffe
	s_or_b32 exec_lo, exec_lo, s44
.LBB283_139:                            ;   in Loop: Header=BB283_16 Depth=1
	s_wait_alu 0xfffe
	s_or_b32 exec_lo, exec_lo, s43
	v_dual_mov_b32 v40, 0 :: v_dual_mov_b32 v39, 0
	s_mov_b32 s43, exec_lo
	v_cmpx_lt_u64_e64 s[14:15], v[9:10]
	s_cbranch_execz .LBB283_147
; %bb.140:                              ;   in Loop: Header=BB283_16 Depth=1
	v_lshrrev_b32_e32 v1, 24, v10
	v_bfrev_b32_e32 v39, 1
	s_mov_b32 s44, exec_lo
	s_delay_alu instid0(VALU_DEP_2)
	v_cmpx_ne_u32_e32 0x80, v1
	s_cbranch_execz .LBB283_146
; %bb.141:                              ;   in Loop: Header=BB283_16 Depth=1
	v_and_b32_e32 v41, 0x7f, v1
	v_mov_b32_e32 v39, 0x7c010000
	s_mov_b32 s45, exec_lo
	s_delay_alu instid0(VALU_DEP_2)
	v_cmpx_ne_u32_e32 0x7f, v41
	s_cbranch_execz .LBB283_145
; %bb.142:                              ;   in Loop: Header=BB283_16 Depth=1
	v_and_b32_e32 v9, 7, v1
	v_lshrrev_b32_e32 v10, 3, v41
	s_mov_b32 s46, exec_lo
	v_cmpx_gt_u32_e32 8, v41
; %bb.143:                              ;   in Loop: Header=BB283_16 Depth=1
	s_delay_alu instid0(VALU_DEP_3) | instskip(NEXT) | instid1(VALU_DEP_1)
	v_clz_i32_u32_e32 v9, v9
	v_min_u32_e32 v39, 32, v9
	s_delay_alu instid0(VALU_DEP_1) | instskip(NEXT) | instid1(VALU_DEP_1)
	v_subrev_nc_u32_e32 v9, 28, v39
	v_lshlrev_b64_e32 v[9:10], v9, v[1:2]
	v_sub_nc_u32_e32 v10, 29, v39
	s_delay_alu instid0(VALU_DEP_2)
	v_and_b32_e32 v9, 7, v9
; %bb.144:                              ;   in Loop: Header=BB283_16 Depth=1
	s_or_b32 exec_lo, exec_lo, s46
	v_lshlrev_b32_e32 v1, 8, v1
	s_delay_alu instid0(VALU_DEP_3) | instskip(NEXT) | instid1(VALU_DEP_3)
	v_lshl_add_u32 v10, v10, 10, 0x2000
	v_lshlrev_b32_e32 v9, 23, v9
	s_delay_alu instid0(VALU_DEP_2) | instskip(NEXT) | instid1(VALU_DEP_1)
	v_and_or_b32 v1, 0x8000, v1, v10
	v_lshl_or_b32 v39, v1, 16, v9
.LBB283_145:                            ;   in Loop: Header=BB283_16 Depth=1
	s_wait_alu 0xfffe
	s_or_b32 exec_lo, exec_lo, s45
.LBB283_146:                            ;   in Loop: Header=BB283_16 Depth=1
	s_wait_alu 0xfffe
	s_or_b32 exec_lo, exec_lo, s44
.LBB283_147:                            ;   in Loop: Header=BB283_16 Depth=1
	s_wait_alu 0xfffe
	s_or_b32 exec_lo, exec_lo, s43
	global_load_b64 v[9:10], v[7:8], off offset:512
	s_mov_b32 s43, exec_lo
	s_wait_loadcnt 0x0
	v_and_b32_e32 v1, 0xff, v9
	s_delay_alu instid0(VALU_DEP_1)
	v_cmpx_ne_u16_e32 0, v1
	s_cbranch_execz .LBB283_155
; %bb.148:                              ;   in Loop: Header=BB283_16 Depth=1
	v_mov_b32_e32 v40, 0x8000
	s_mov_b32 s44, exec_lo
	v_cmpx_ne_u16_e32 0x80, v1
	s_cbranch_execz .LBB283_154
; %bb.149:                              ;   in Loop: Header=BB283_16 Depth=1
	v_and_b32_e32 v41, 0x7f, v9
	v_mov_b32_e32 v40, 0x7c01
	s_mov_b32 s45, exec_lo
	s_delay_alu instid0(VALU_DEP_2)
	v_cmpx_ne_u32_e32 0x7f, v41
	s_cbranch_execz .LBB283_153
; %bb.150:                              ;   in Loop: Header=BB283_16 Depth=1
	v_and_b32_e32 v1, 7, v9
	v_lshrrev_b32_e32 v40, 3, v41
	s_mov_b32 s46, exec_lo
	v_cmpx_gt_u32_e32 8, v41
; %bb.151:                              ;   in Loop: Header=BB283_16 Depth=1
	s_delay_alu instid0(VALU_DEP_3) | instskip(NEXT) | instid1(VALU_DEP_1)
	v_clz_i32_u32_e32 v1, v1
	v_min_u32_e32 v1, 32, v1
	s_delay_alu instid0(VALU_DEP_1) | instskip(NEXT) | instid1(VALU_DEP_1)
	v_subrev_nc_u32_e32 v40, 28, v1
	v_lshlrev_b64_e32 v[41:42], v40, v[9:10]
	v_sub_nc_u32_e32 v40, 29, v1
	s_delay_alu instid0(VALU_DEP_2)
	v_and_b32_e32 v1, 7, v41
; %bb.152:                              ;   in Loop: Header=BB283_16 Depth=1
	s_or_b32 exec_lo, exec_lo, s46
	v_lshlrev_b32_e32 v41, 8, v9
	s_delay_alu instid0(VALU_DEP_3) | instskip(NEXT) | instid1(VALU_DEP_3)
	v_lshl_add_u32 v40, v40, 10, 0x2000
	v_lshlrev_b32_e32 v1, 7, v1
	s_delay_alu instid0(VALU_DEP_3) | instskip(NEXT) | instid1(VALU_DEP_3)
	v_and_b32_e32 v41, 0x8000, v41
	v_and_b32_e32 v40, 0xfc00, v40
	s_delay_alu instid0(VALU_DEP_1)
	v_or3_b32 v40, v41, v40, v1
.LBB283_153:                            ;   in Loop: Header=BB283_16 Depth=1
	s_wait_alu 0xfffe
	s_or_b32 exec_lo, exec_lo, s45
.LBB283_154:                            ;   in Loop: Header=BB283_16 Depth=1
	s_wait_alu 0xfffe
	s_or_b32 exec_lo, exec_lo, s44
.LBB283_155:                            ;   in Loop: Header=BB283_16 Depth=1
	s_wait_alu 0xfffe
	s_or_b32 exec_lo, exec_lo, s43
	v_lshrrev_b16 v1, 8, v9
	v_dual_mov_b32 v42, 0 :: v_dual_mov_b32 v41, 0
	s_mov_b32 s43, exec_lo
	s_delay_alu instid0(VALU_DEP_2)
	v_cmpx_ne_u16_e32 0, v1
	s_cbranch_execz .LBB283_163
; %bb.156:                              ;   in Loop: Header=BB283_16 Depth=1
	v_bfrev_b32_e32 v41, 1
	s_mov_b32 s44, exec_lo
	v_cmpx_ne_u16_e32 0x80, v1
	s_cbranch_execz .LBB283_162
; %bb.157:                              ;   in Loop: Header=BB283_16 Depth=1
	v_and_b32_e32 v43, 0xffff, v1
	v_mov_b32_e32 v41, 0x7c010000
	s_mov_b32 s45, exec_lo
	s_delay_alu instid0(VALU_DEP_2) | instskip(NEXT) | instid1(VALU_DEP_1)
	v_and_b32_e32 v45, 0x7f, v43
	v_cmpx_ne_u32_e32 0x7f, v45
	s_cbranch_execz .LBB283_161
; %bb.158:                              ;   in Loop: Header=BB283_16 Depth=1
	v_and_b32_e32 v41, 7, v43
	v_lshrrev_b32_e32 v44, 3, v45
	s_mov_b32 s46, exec_lo
	v_cmpx_gt_u32_e32 8, v45
; %bb.159:                              ;   in Loop: Header=BB283_16 Depth=1
	s_delay_alu instid0(VALU_DEP_3) | instskip(NEXT) | instid1(VALU_DEP_1)
	v_clz_i32_u32_e32 v41, v41
	v_min_u32_e32 v41, 32, v41
	s_delay_alu instid0(VALU_DEP_1) | instskip(NEXT) | instid1(VALU_DEP_1)
	v_subrev_nc_u32_e32 v44, 28, v41
	v_lshlrev_b64_e32 v[45:46], v44, v[1:2]
	v_sub_nc_u32_e32 v44, 29, v41
	s_delay_alu instid0(VALU_DEP_2)
	v_and_b32_e32 v41, 7, v45
; %bb.160:                              ;   in Loop: Header=BB283_16 Depth=1
	s_or_b32 exec_lo, exec_lo, s46
	v_lshlrev_b32_e32 v1, 8, v43
	s_delay_alu instid0(VALU_DEP_3) | instskip(NEXT) | instid1(VALU_DEP_3)
	v_lshl_add_u32 v43, v44, 10, 0x2000
	v_lshlrev_b32_e32 v41, 23, v41
	s_delay_alu instid0(VALU_DEP_2) | instskip(NEXT) | instid1(VALU_DEP_1)
	v_and_or_b32 v1, 0x8000, v1, v43
	v_lshl_or_b32 v41, v1, 16, v41
.LBB283_161:                            ;   in Loop: Header=BB283_16 Depth=1
	s_wait_alu 0xfffe
	s_or_b32 exec_lo, exec_lo, s45
.LBB283_162:                            ;   in Loop: Header=BB283_16 Depth=1
	s_wait_alu 0xfffe
	s_or_b32 exec_lo, exec_lo, s44
.LBB283_163:                            ;   in Loop: Header=BB283_16 Depth=1
	s_wait_alu 0xfffe
	s_or_b32 exec_lo, exec_lo, s43
	v_lshrrev_b32_e32 v1, 16, v9
	s_mov_b32 s43, exec_lo
	s_delay_alu instid0(VALU_DEP_1) | instskip(NEXT) | instid1(VALU_DEP_1)
	v_and_b32_e32 v43, 0xff, v1
	v_cmpx_ne_u16_e32 0, v43
	s_cbranch_execz .LBB283_171
; %bb.164:                              ;   in Loop: Header=BB283_16 Depth=1
	v_mov_b32_e32 v42, 0x8000
	s_mov_b32 s44, exec_lo
	v_cmpx_ne_u16_e32 0x80, v43
	s_cbranch_execz .LBB283_170
; %bb.165:                              ;   in Loop: Header=BB283_16 Depth=1
	v_bfe_u32 v44, v9, 16, 7
	v_mov_b32_e32 v42, 0x7c01
	s_mov_b32 s45, exec_lo
	s_delay_alu instid0(VALU_DEP_2)
	v_cmpx_ne_u32_e32 0x7f, v44
	s_cbranch_execz .LBB283_169
; %bb.166:                              ;   in Loop: Header=BB283_16 Depth=1
	v_and_b32_e32 v42, 7, v1
	v_lshrrev_b32_e32 v43, 3, v44
	s_mov_b32 s46, exec_lo
	v_cmpx_gt_u32_e32 8, v44
; %bb.167:                              ;   in Loop: Header=BB283_16 Depth=1
	s_delay_alu instid0(VALU_DEP_3) | instskip(NEXT) | instid1(VALU_DEP_1)
	v_clz_i32_u32_e32 v42, v42
	v_min_u32_e32 v44, 32, v42
	s_delay_alu instid0(VALU_DEP_1) | instskip(NEXT) | instid1(VALU_DEP_1)
	v_subrev_nc_u32_e32 v42, 28, v44
	v_lshlrev_b64_e32 v[42:43], v42, v[1:2]
	v_sub_nc_u32_e32 v43, 29, v44
	s_delay_alu instid0(VALU_DEP_2)
	v_and_b32_e32 v42, 7, v42
; %bb.168:                              ;   in Loop: Header=BB283_16 Depth=1
	s_or_b32 exec_lo, exec_lo, s46
	v_lshlrev_b32_e32 v1, 8, v1
	s_delay_alu instid0(VALU_DEP_3) | instskip(NEXT) | instid1(VALU_DEP_3)
	v_lshl_add_u32 v43, v43, 10, 0x2000
	v_lshlrev_b32_e32 v42, 7, v42
	s_delay_alu instid0(VALU_DEP_3) | instskip(NEXT) | instid1(VALU_DEP_3)
	v_and_b32_e32 v1, 0x8000, v1
	v_and_b32_e32 v43, 0xfc00, v43
	s_delay_alu instid0(VALU_DEP_1)
	v_or3_b32 v42, v1, v43, v42
.LBB283_169:                            ;   in Loop: Header=BB283_16 Depth=1
	s_wait_alu 0xfffe
	s_or_b32 exec_lo, exec_lo, s45
.LBB283_170:                            ;   in Loop: Header=BB283_16 Depth=1
	s_wait_alu 0xfffe
	s_or_b32 exec_lo, exec_lo, s44
.LBB283_171:                            ;   in Loop: Header=BB283_16 Depth=1
	s_wait_alu 0xfffe
	s_or_b32 exec_lo, exec_lo, s43
	v_dual_mov_b32 v43, 0 :: v_dual_mov_b32 v44, 0
	s_mov_b32 s43, exec_lo
	v_cmpx_lt_u32_e32 0xffffff, v9
	s_cbranch_execz .LBB283_179
; %bb.172:                              ;   in Loop: Header=BB283_16 Depth=1
	v_lshrrev_b32_e32 v1, 24, v9
	v_bfrev_b32_e32 v44, 1
	s_mov_b32 s44, exec_lo
	s_delay_alu instid0(VALU_DEP_2)
	v_cmpx_ne_u32_e32 0x80, v1
	s_cbranch_execz .LBB283_178
; %bb.173:                              ;   in Loop: Header=BB283_16 Depth=1
	v_and_b32_e32 v46, 0x7f, v1
	v_mov_b32_e32 v44, 0x7c010000
	s_mov_b32 s45, exec_lo
	s_delay_alu instid0(VALU_DEP_2)
	v_cmpx_ne_u32_e32 0x7f, v46
	s_cbranch_execz .LBB283_177
; %bb.174:                              ;   in Loop: Header=BB283_16 Depth=1
	v_and_b32_e32 v44, 7, v1
	v_lshrrev_b32_e32 v45, 3, v46
	s_mov_b32 s46, exec_lo
	v_cmpx_gt_u32_e32 8, v46
; %bb.175:                              ;   in Loop: Header=BB283_16 Depth=1
	s_delay_alu instid0(VALU_DEP_3) | instskip(NEXT) | instid1(VALU_DEP_1)
	v_clz_i32_u32_e32 v44, v44
	v_min_u32_e32 v46, 32, v44
	s_delay_alu instid0(VALU_DEP_1) | instskip(NEXT) | instid1(VALU_DEP_1)
	v_subrev_nc_u32_e32 v44, 28, v46
	v_lshlrev_b64_e32 v[44:45], v44, v[1:2]
	v_sub_nc_u32_e32 v45, 29, v46
	s_delay_alu instid0(VALU_DEP_2)
	v_and_b32_e32 v44, 7, v44
; %bb.176:                              ;   in Loop: Header=BB283_16 Depth=1
	s_or_b32 exec_lo, exec_lo, s46
	v_lshlrev_b32_e32 v1, 8, v1
	s_delay_alu instid0(VALU_DEP_3) | instskip(NEXT) | instid1(VALU_DEP_3)
	v_lshl_add_u32 v45, v45, 10, 0x2000
	v_lshlrev_b32_e32 v44, 23, v44
	s_delay_alu instid0(VALU_DEP_2) | instskip(NEXT) | instid1(VALU_DEP_1)
	v_and_or_b32 v1, 0x8000, v1, v45
	v_lshl_or_b32 v44, v1, 16, v44
.LBB283_177:                            ;   in Loop: Header=BB283_16 Depth=1
	s_wait_alu 0xfffe
	s_or_b32 exec_lo, exec_lo, s45
.LBB283_178:                            ;   in Loop: Header=BB283_16 Depth=1
	s_wait_alu 0xfffe
	s_or_b32 exec_lo, exec_lo, s44
.LBB283_179:                            ;   in Loop: Header=BB283_16 Depth=1
	s_wait_alu 0xfffe
	s_or_b32 exec_lo, exec_lo, s43
	v_and_b32_e32 v45, 0xff, v10
	v_mov_b32_e32 v1, v10
	s_mov_b32 s43, exec_lo
	s_delay_alu instid0(VALU_DEP_2)
	v_cmpx_ne_u16_e32 0, v45
	s_cbranch_execz .LBB283_187
; %bb.180:                              ;   in Loop: Header=BB283_16 Depth=1
	v_mov_b32_e32 v43, 0x8000
	s_mov_b32 s44, exec_lo
	v_cmpx_ne_u16_e32 0x80, v45
	s_cbranch_execz .LBB283_186
; %bb.181:                              ;   in Loop: Header=BB283_16 Depth=1
	v_and_b32_e32 v46, 0x7f, v10
	v_mov_b32_e32 v43, 0x7c01
	s_mov_b32 s45, exec_lo
	s_delay_alu instid0(VALU_DEP_2)
	v_cmpx_ne_u32_e32 0x7f, v46
	s_cbranch_execz .LBB283_185
; %bb.182:                              ;   in Loop: Header=BB283_16 Depth=1
	v_and_b32_e32 v43, 7, v10
	v_lshrrev_b32_e32 v45, 3, v46
	s_mov_b32 s46, exec_lo
	v_cmpx_gt_u32_e32 8, v46
; %bb.183:                              ;   in Loop: Header=BB283_16 Depth=1
	s_delay_alu instid0(VALU_DEP_3) | instskip(NEXT) | instid1(VALU_DEP_1)
	v_clz_i32_u32_e32 v43, v43
	v_min_u32_e32 v43, 32, v43
	s_delay_alu instid0(VALU_DEP_1) | instskip(NEXT) | instid1(VALU_DEP_1)
	v_subrev_nc_u32_e32 v45, 28, v43
	v_lshlrev_b64_e32 v[46:47], v45, v[1:2]
	v_sub_nc_u32_e32 v45, 29, v43
	s_delay_alu instid0(VALU_DEP_2)
	v_and_b32_e32 v43, 7, v46
; %bb.184:                              ;   in Loop: Header=BB283_16 Depth=1
	s_or_b32 exec_lo, exec_lo, s46
	v_lshlrev_b32_e32 v46, 8, v10
	s_delay_alu instid0(VALU_DEP_3) | instskip(NEXT) | instid1(VALU_DEP_3)
	v_lshl_add_u32 v45, v45, 10, 0x2000
	v_lshlrev_b32_e32 v43, 7, v43
	s_delay_alu instid0(VALU_DEP_3) | instskip(NEXT) | instid1(VALU_DEP_3)
	v_and_b32_e32 v46, 0x8000, v46
	v_and_b32_e32 v45, 0xfc00, v45
	s_delay_alu instid0(VALU_DEP_1)
	v_or3_b32 v43, v46, v45, v43
.LBB283_185:                            ;   in Loop: Header=BB283_16 Depth=1
	s_wait_alu 0xfffe
	s_or_b32 exec_lo, exec_lo, s45
.LBB283_186:                            ;   in Loop: Header=BB283_16 Depth=1
	s_wait_alu 0xfffe
	s_or_b32 exec_lo, exec_lo, s44
.LBB283_187:                            ;   in Loop: Header=BB283_16 Depth=1
	s_wait_alu 0xfffe
	s_or_b32 exec_lo, exec_lo, s43
	v_lshrrev_b16 v1, 8, v1
	v_dual_mov_b32 v46, 0 :: v_dual_mov_b32 v45, 0
	s_mov_b32 s43, exec_lo
	s_delay_alu instid0(VALU_DEP_2)
	v_cmpx_ne_u16_e32 0, v1
	s_cbranch_execz .LBB283_195
; %bb.188:                              ;   in Loop: Header=BB283_16 Depth=1
	v_bfrev_b32_e32 v45, 1
	s_mov_b32 s44, exec_lo
	v_cmpx_ne_u16_e32 0x80, v1
	s_cbranch_execz .LBB283_194
; %bb.189:                              ;   in Loop: Header=BB283_16 Depth=1
	v_and_b32_e32 v47, 0xffff, v1
	v_mov_b32_e32 v45, 0x7c010000
	s_mov_b32 s45, exec_lo
	s_delay_alu instid0(VALU_DEP_2) | instskip(NEXT) | instid1(VALU_DEP_1)
	v_and_b32_e32 v49, 0x7f, v47
	v_cmpx_ne_u32_e32 0x7f, v49
	s_cbranch_execz .LBB283_193
; %bb.190:                              ;   in Loop: Header=BB283_16 Depth=1
	v_and_b32_e32 v45, 7, v47
	v_lshrrev_b32_e32 v48, 3, v49
	s_mov_b32 s46, exec_lo
	v_cmpx_gt_u32_e32 8, v49
; %bb.191:                              ;   in Loop: Header=BB283_16 Depth=1
	s_delay_alu instid0(VALU_DEP_3) | instskip(NEXT) | instid1(VALU_DEP_1)
	v_clz_i32_u32_e32 v45, v45
	v_min_u32_e32 v45, 32, v45
	s_delay_alu instid0(VALU_DEP_1) | instskip(NEXT) | instid1(VALU_DEP_1)
	v_subrev_nc_u32_e32 v48, 28, v45
	v_lshlrev_b64_e32 v[49:50], v48, v[1:2]
	v_sub_nc_u32_e32 v48, 29, v45
	s_delay_alu instid0(VALU_DEP_2)
	v_and_b32_e32 v45, 7, v49
; %bb.192:                              ;   in Loop: Header=BB283_16 Depth=1
	s_or_b32 exec_lo, exec_lo, s46
	v_lshlrev_b32_e32 v1, 8, v47
	s_delay_alu instid0(VALU_DEP_3) | instskip(NEXT) | instid1(VALU_DEP_3)
	v_lshl_add_u32 v47, v48, 10, 0x2000
	v_lshlrev_b32_e32 v45, 23, v45
	s_delay_alu instid0(VALU_DEP_2) | instskip(NEXT) | instid1(VALU_DEP_1)
	v_and_or_b32 v1, 0x8000, v1, v47
	v_lshl_or_b32 v45, v1, 16, v45
.LBB283_193:                            ;   in Loop: Header=BB283_16 Depth=1
	s_wait_alu 0xfffe
	s_or_b32 exec_lo, exec_lo, s45
.LBB283_194:                            ;   in Loop: Header=BB283_16 Depth=1
	s_wait_alu 0xfffe
	s_or_b32 exec_lo, exec_lo, s44
.LBB283_195:                            ;   in Loop: Header=BB283_16 Depth=1
	s_wait_alu 0xfffe
	s_or_b32 exec_lo, exec_lo, s43
	v_lshrrev_b32_e32 v1, 16, v10
	s_mov_b32 s43, exec_lo
	s_delay_alu instid0(VALU_DEP_1) | instskip(NEXT) | instid1(VALU_DEP_1)
	v_and_b32_e32 v47, 0xff, v1
	v_cmpx_ne_u16_e32 0, v47
	s_cbranch_execz .LBB283_203
; %bb.196:                              ;   in Loop: Header=BB283_16 Depth=1
	v_mov_b32_e32 v46, 0x8000
	s_mov_b32 s44, exec_lo
	v_cmpx_ne_u16_e32 0x80, v47
	s_cbranch_execz .LBB283_202
; %bb.197:                              ;   in Loop: Header=BB283_16 Depth=1
	v_bfe_u32 v48, v10, 16, 7
	v_mov_b32_e32 v46, 0x7c01
	s_mov_b32 s45, exec_lo
	s_delay_alu instid0(VALU_DEP_2)
	v_cmpx_ne_u32_e32 0x7f, v48
	s_cbranch_execz .LBB283_201
; %bb.198:                              ;   in Loop: Header=BB283_16 Depth=1
	v_and_b32_e32 v46, 7, v1
	v_lshrrev_b32_e32 v47, 3, v48
	s_mov_b32 s46, exec_lo
	v_cmpx_gt_u32_e32 8, v48
; %bb.199:                              ;   in Loop: Header=BB283_16 Depth=1
	s_delay_alu instid0(VALU_DEP_3) | instskip(NEXT) | instid1(VALU_DEP_1)
	v_clz_i32_u32_e32 v46, v46
	v_min_u32_e32 v48, 32, v46
	s_delay_alu instid0(VALU_DEP_1) | instskip(NEXT) | instid1(VALU_DEP_1)
	v_subrev_nc_u32_e32 v46, 28, v48
	v_lshlrev_b64_e32 v[46:47], v46, v[1:2]
	v_sub_nc_u32_e32 v47, 29, v48
	s_delay_alu instid0(VALU_DEP_2)
	v_and_b32_e32 v46, 7, v46
; %bb.200:                              ;   in Loop: Header=BB283_16 Depth=1
	s_or_b32 exec_lo, exec_lo, s46
	v_lshlrev_b32_e32 v1, 8, v1
	s_delay_alu instid0(VALU_DEP_3) | instskip(NEXT) | instid1(VALU_DEP_3)
	v_lshl_add_u32 v47, v47, 10, 0x2000
	v_lshlrev_b32_e32 v46, 7, v46
	s_delay_alu instid0(VALU_DEP_3) | instskip(NEXT) | instid1(VALU_DEP_3)
	v_and_b32_e32 v1, 0x8000, v1
	v_and_b32_e32 v47, 0xfc00, v47
	s_delay_alu instid0(VALU_DEP_1)
	v_or3_b32 v46, v1, v47, v46
.LBB283_201:                            ;   in Loop: Header=BB283_16 Depth=1
	s_wait_alu 0xfffe
	s_or_b32 exec_lo, exec_lo, s45
.LBB283_202:                            ;   in Loop: Header=BB283_16 Depth=1
	s_wait_alu 0xfffe
	s_or_b32 exec_lo, exec_lo, s44
.LBB283_203:                            ;   in Loop: Header=BB283_16 Depth=1
	s_wait_alu 0xfffe
	s_or_b32 exec_lo, exec_lo, s43
	v_cmp_lt_u64_e64 s3, s[14:15], v[9:10]
	v_mov_b32_e32 v9, 0
	v_mov_b32_e32 v47, 0
	s_and_saveexec_b32 s43, s3
	s_cbranch_execz .LBB283_211
; %bb.204:                              ;   in Loop: Header=BB283_16 Depth=1
	v_lshrrev_b32_e32 v1, 24, v10
	v_bfrev_b32_e32 v47, 1
	s_mov_b32 s44, exec_lo
	s_delay_alu instid0(VALU_DEP_2)
	v_cmpx_ne_u32_e32 0x80, v1
	s_cbranch_execz .LBB283_210
; %bb.205:                              ;   in Loop: Header=BB283_16 Depth=1
	v_and_b32_e32 v48, 0x7f, v1
	v_mov_b32_e32 v47, 0x7c010000
	s_mov_b32 s45, exec_lo
	s_delay_alu instid0(VALU_DEP_2)
	v_cmpx_ne_u32_e32 0x7f, v48
	s_cbranch_execz .LBB283_209
; %bb.206:                              ;   in Loop: Header=BB283_16 Depth=1
	v_and_b32_e32 v10, 7, v1
	v_lshrrev_b32_e32 v47, 3, v48
	s_mov_b32 s46, exec_lo
	v_cmpx_gt_u32_e32 8, v48
; %bb.207:                              ;   in Loop: Header=BB283_16 Depth=1
	s_delay_alu instid0(VALU_DEP_3) | instskip(NEXT) | instid1(VALU_DEP_1)
	v_clz_i32_u32_e32 v10, v10
	v_min_u32_e32 v10, 32, v10
	s_delay_alu instid0(VALU_DEP_1) | instskip(NEXT) | instid1(VALU_DEP_1)
	v_subrev_nc_u32_e32 v47, 28, v10
	v_lshlrev_b64_e32 v[48:49], v47, v[1:2]
	v_sub_nc_u32_e32 v47, 29, v10
	s_delay_alu instid0(VALU_DEP_2)
	v_and_b32_e32 v10, 7, v48
; %bb.208:                              ;   in Loop: Header=BB283_16 Depth=1
	s_or_b32 exec_lo, exec_lo, s46
	v_lshlrev_b32_e32 v1, 8, v1
	s_delay_alu instid0(VALU_DEP_3) | instskip(NEXT) | instid1(VALU_DEP_3)
	v_lshl_add_u32 v47, v47, 10, 0x2000
	v_lshlrev_b32_e32 v10, 23, v10
	s_delay_alu instid0(VALU_DEP_2) | instskip(NEXT) | instid1(VALU_DEP_1)
	v_and_or_b32 v1, 0x8000, v1, v47
	v_lshl_or_b32 v47, v1, 16, v10
.LBB283_209:                            ;   in Loop: Header=BB283_16 Depth=1
	s_wait_alu 0xfffe
	s_or_b32 exec_lo, exec_lo, s45
.LBB283_210:                            ;   in Loop: Header=BB283_16 Depth=1
	s_wait_alu 0xfffe
	s_or_b32 exec_lo, exec_lo, s44
.LBB283_211:                            ;   in Loop: Header=BB283_16 Depth=1
	s_wait_alu 0xfffe
	s_or_b32 exec_lo, exec_lo, s43
	global_load_b64 v[7:8], v[7:8], off offset:520
	s_mov_b32 s43, exec_lo
	s_wait_loadcnt 0x0
	v_and_b32_e32 v1, 0xff, v7
	s_delay_alu instid0(VALU_DEP_1)
	v_cmpx_ne_u16_e32 0, v1
	s_cbranch_execz .LBB283_219
; %bb.212:                              ;   in Loop: Header=BB283_16 Depth=1
	v_mov_b32_e32 v9, 0x8000
	s_mov_b32 s44, exec_lo
	v_cmpx_ne_u16_e32 0x80, v1
	s_cbranch_execz .LBB283_218
; %bb.213:                              ;   in Loop: Header=BB283_16 Depth=1
	v_and_b32_e32 v10, 0x7f, v7
	v_mov_b32_e32 v9, 0x7c01
	s_mov_b32 s45, exec_lo
	s_delay_alu instid0(VALU_DEP_2)
	v_cmpx_ne_u32_e32 0x7f, v10
	s_cbranch_execz .LBB283_217
; %bb.214:                              ;   in Loop: Header=BB283_16 Depth=1
	v_and_b32_e32 v1, 7, v7
	v_lshrrev_b32_e32 v9, 3, v10
	s_mov_b32 s46, exec_lo
	v_cmpx_gt_u32_e32 8, v10
; %bb.215:                              ;   in Loop: Header=BB283_16 Depth=1
	s_delay_alu instid0(VALU_DEP_3) | instskip(NEXT) | instid1(VALU_DEP_1)
	v_clz_i32_u32_e32 v1, v1
	v_min_u32_e32 v1, 32, v1
	s_delay_alu instid0(VALU_DEP_1) | instskip(NEXT) | instid1(VALU_DEP_1)
	v_subrev_nc_u32_e32 v9, 28, v1
	v_lshlrev_b64_e32 v[48:49], v9, v[7:8]
	v_sub_nc_u32_e32 v9, 29, v1
	s_delay_alu instid0(VALU_DEP_2)
	v_and_b32_e32 v1, 7, v48
; %bb.216:                              ;   in Loop: Header=BB283_16 Depth=1
	s_or_b32 exec_lo, exec_lo, s46
	v_lshlrev_b32_e32 v10, 8, v7
	s_delay_alu instid0(VALU_DEP_3) | instskip(NEXT) | instid1(VALU_DEP_3)
	v_lshl_add_u32 v9, v9, 10, 0x2000
	v_lshlrev_b32_e32 v1, 7, v1
	s_delay_alu instid0(VALU_DEP_3) | instskip(NEXT) | instid1(VALU_DEP_3)
	v_and_b32_e32 v10, 0x8000, v10
	v_and_b32_e32 v9, 0xfc00, v9
	s_delay_alu instid0(VALU_DEP_1)
	v_or3_b32 v9, v10, v9, v1
.LBB283_217:                            ;   in Loop: Header=BB283_16 Depth=1
	s_wait_alu 0xfffe
	s_or_b32 exec_lo, exec_lo, s45
.LBB283_218:                            ;   in Loop: Header=BB283_16 Depth=1
	s_wait_alu 0xfffe
	s_or_b32 exec_lo, exec_lo, s44
.LBB283_219:                            ;   in Loop: Header=BB283_16 Depth=1
	s_wait_alu 0xfffe
	s_or_b32 exec_lo, exec_lo, s43
	v_lshrrev_b16 v1, 8, v7
	v_mov_b32_e32 v48, 0
	v_mov_b32_e32 v10, 0
	s_mov_b32 s43, exec_lo
	s_delay_alu instid0(VALU_DEP_3)
	v_cmpx_ne_u16_e32 0, v1
	s_cbranch_execz .LBB283_227
; %bb.220:                              ;   in Loop: Header=BB283_16 Depth=1
	v_bfrev_b32_e32 v10, 1
	s_mov_b32 s44, exec_lo
	v_cmpx_ne_u16_e32 0x80, v1
	s_cbranch_execz .LBB283_226
; %bb.221:                              ;   in Loop: Header=BB283_16 Depth=1
	v_and_b32_e32 v49, 0xffff, v1
	v_mov_b32_e32 v10, 0x7c010000
	s_mov_b32 s45, exec_lo
	s_delay_alu instid0(VALU_DEP_2) | instskip(NEXT) | instid1(VALU_DEP_1)
	v_and_b32_e32 v51, 0x7f, v49
	v_cmpx_ne_u32_e32 0x7f, v51
	s_cbranch_execz .LBB283_225
; %bb.222:                              ;   in Loop: Header=BB283_16 Depth=1
	v_and_b32_e32 v10, 7, v49
	v_lshrrev_b32_e32 v50, 3, v51
	s_mov_b32 s46, exec_lo
	v_cmpx_gt_u32_e32 8, v51
; %bb.223:                              ;   in Loop: Header=BB283_16 Depth=1
	s_delay_alu instid0(VALU_DEP_3) | instskip(NEXT) | instid1(VALU_DEP_1)
	v_clz_i32_u32_e32 v10, v10
	v_min_u32_e32 v10, 32, v10
	s_delay_alu instid0(VALU_DEP_1) | instskip(NEXT) | instid1(VALU_DEP_1)
	v_subrev_nc_u32_e32 v50, 28, v10
	v_lshlrev_b64_e32 v[51:52], v50, v[1:2]
	v_sub_nc_u32_e32 v50, 29, v10
	s_delay_alu instid0(VALU_DEP_2)
	v_and_b32_e32 v10, 7, v51
; %bb.224:                              ;   in Loop: Header=BB283_16 Depth=1
	s_or_b32 exec_lo, exec_lo, s46
	v_lshlrev_b32_e32 v1, 8, v49
	s_delay_alu instid0(VALU_DEP_3) | instskip(NEXT) | instid1(VALU_DEP_3)
	v_lshl_add_u32 v49, v50, 10, 0x2000
	v_lshlrev_b32_e32 v10, 23, v10
	s_delay_alu instid0(VALU_DEP_2) | instskip(NEXT) | instid1(VALU_DEP_1)
	v_and_or_b32 v1, 0x8000, v1, v49
	v_lshl_or_b32 v10, v1, 16, v10
.LBB283_225:                            ;   in Loop: Header=BB283_16 Depth=1
	s_wait_alu 0xfffe
	s_or_b32 exec_lo, exec_lo, s45
.LBB283_226:                            ;   in Loop: Header=BB283_16 Depth=1
	s_wait_alu 0xfffe
	s_or_b32 exec_lo, exec_lo, s44
.LBB283_227:                            ;   in Loop: Header=BB283_16 Depth=1
	s_wait_alu 0xfffe
	s_or_b32 exec_lo, exec_lo, s43
	v_lshrrev_b32_e32 v1, 16, v7
	s_mov_b32 s43, exec_lo
	s_delay_alu instid0(VALU_DEP_1) | instskip(NEXT) | instid1(VALU_DEP_1)
	v_and_b32_e32 v49, 0xff, v1
	v_cmpx_ne_u16_e32 0, v49
	s_cbranch_execz .LBB283_235
; %bb.228:                              ;   in Loop: Header=BB283_16 Depth=1
	v_mov_b32_e32 v48, 0x8000
	s_mov_b32 s44, exec_lo
	v_cmpx_ne_u16_e32 0x80, v49
	s_cbranch_execz .LBB283_234
; %bb.229:                              ;   in Loop: Header=BB283_16 Depth=1
	v_bfe_u32 v50, v7, 16, 7
	v_mov_b32_e32 v48, 0x7c01
	s_mov_b32 s45, exec_lo
	s_delay_alu instid0(VALU_DEP_2)
	v_cmpx_ne_u32_e32 0x7f, v50
	s_cbranch_execz .LBB283_233
; %bb.230:                              ;   in Loop: Header=BB283_16 Depth=1
	v_and_b32_e32 v48, 7, v1
	v_lshrrev_b32_e32 v49, 3, v50
	s_mov_b32 s46, exec_lo
	v_cmpx_gt_u32_e32 8, v50
; %bb.231:                              ;   in Loop: Header=BB283_16 Depth=1
	s_delay_alu instid0(VALU_DEP_3) | instskip(NEXT) | instid1(VALU_DEP_1)
	v_clz_i32_u32_e32 v48, v48
	v_min_u32_e32 v50, 32, v48
	s_delay_alu instid0(VALU_DEP_1) | instskip(NEXT) | instid1(VALU_DEP_1)
	v_subrev_nc_u32_e32 v48, 28, v50
	v_lshlrev_b64_e32 v[48:49], v48, v[1:2]
	v_sub_nc_u32_e32 v49, 29, v50
	s_delay_alu instid0(VALU_DEP_2)
	v_and_b32_e32 v48, 7, v48
; %bb.232:                              ;   in Loop: Header=BB283_16 Depth=1
	s_or_b32 exec_lo, exec_lo, s46
	v_lshlrev_b32_e32 v1, 8, v1
	s_delay_alu instid0(VALU_DEP_3) | instskip(NEXT) | instid1(VALU_DEP_3)
	v_lshl_add_u32 v49, v49, 10, 0x2000
	v_lshlrev_b32_e32 v48, 7, v48
	s_delay_alu instid0(VALU_DEP_3) | instskip(NEXT) | instid1(VALU_DEP_3)
	v_and_b32_e32 v1, 0x8000, v1
	v_and_b32_e32 v49, 0xfc00, v49
	s_delay_alu instid0(VALU_DEP_1)
	v_or3_b32 v48, v1, v49, v48
.LBB283_233:                            ;   in Loop: Header=BB283_16 Depth=1
	s_wait_alu 0xfffe
	s_or_b32 exec_lo, exec_lo, s45
.LBB283_234:                            ;   in Loop: Header=BB283_16 Depth=1
	s_wait_alu 0xfffe
	s_or_b32 exec_lo, exec_lo, s44
.LBB283_235:                            ;   in Loop: Header=BB283_16 Depth=1
	s_wait_alu 0xfffe
	s_or_b32 exec_lo, exec_lo, s43
	v_dual_mov_b32 v49, 0 :: v_dual_mov_b32 v50, 0
	s_mov_b32 s43, exec_lo
	v_cmpx_lt_u32_e32 0xffffff, v7
	s_cbranch_execz .LBB283_243
; %bb.236:                              ;   in Loop: Header=BB283_16 Depth=1
	v_lshrrev_b32_e32 v1, 24, v7
	v_bfrev_b32_e32 v50, 1
	s_mov_b32 s44, exec_lo
	s_delay_alu instid0(VALU_DEP_2)
	v_cmpx_ne_u32_e32 0x80, v1
	s_cbranch_execz .LBB283_242
; %bb.237:                              ;   in Loop: Header=BB283_16 Depth=1
	v_and_b32_e32 v52, 0x7f, v1
	v_mov_b32_e32 v50, 0x7c010000
	s_mov_b32 s45, exec_lo
	s_delay_alu instid0(VALU_DEP_2)
	v_cmpx_ne_u32_e32 0x7f, v52
	s_cbranch_execz .LBB283_241
; %bb.238:                              ;   in Loop: Header=BB283_16 Depth=1
	v_and_b32_e32 v50, 7, v1
	v_lshrrev_b32_e32 v51, 3, v52
	s_mov_b32 s46, exec_lo
	v_cmpx_gt_u32_e32 8, v52
; %bb.239:                              ;   in Loop: Header=BB283_16 Depth=1
	s_delay_alu instid0(VALU_DEP_3) | instskip(NEXT) | instid1(VALU_DEP_1)
	v_clz_i32_u32_e32 v50, v50
	v_min_u32_e32 v52, 32, v50
	s_delay_alu instid0(VALU_DEP_1) | instskip(NEXT) | instid1(VALU_DEP_1)
	v_subrev_nc_u32_e32 v50, 28, v52
	v_lshlrev_b64_e32 v[50:51], v50, v[1:2]
	v_sub_nc_u32_e32 v51, 29, v52
	s_delay_alu instid0(VALU_DEP_2)
	v_and_b32_e32 v50, 7, v50
; %bb.240:                              ;   in Loop: Header=BB283_16 Depth=1
	s_or_b32 exec_lo, exec_lo, s46
	v_lshlrev_b32_e32 v1, 8, v1
	s_delay_alu instid0(VALU_DEP_3) | instskip(NEXT) | instid1(VALU_DEP_3)
	v_lshl_add_u32 v51, v51, 10, 0x2000
	v_lshlrev_b32_e32 v50, 23, v50
	s_delay_alu instid0(VALU_DEP_2) | instskip(NEXT) | instid1(VALU_DEP_1)
	v_and_or_b32 v1, 0x8000, v1, v51
	v_lshl_or_b32 v50, v1, 16, v50
.LBB283_241:                            ;   in Loop: Header=BB283_16 Depth=1
	s_wait_alu 0xfffe
	s_or_b32 exec_lo, exec_lo, s45
.LBB283_242:                            ;   in Loop: Header=BB283_16 Depth=1
	s_wait_alu 0xfffe
	s_or_b32 exec_lo, exec_lo, s44
.LBB283_243:                            ;   in Loop: Header=BB283_16 Depth=1
	s_wait_alu 0xfffe
	s_or_b32 exec_lo, exec_lo, s43
	v_and_b32_e32 v51, 0xff, v8
	v_mov_b32_e32 v1, v8
	s_mov_b32 s43, exec_lo
	s_delay_alu instid0(VALU_DEP_2)
	v_cmpx_ne_u16_e32 0, v51
	s_cbranch_execz .LBB283_251
; %bb.244:                              ;   in Loop: Header=BB283_16 Depth=1
	v_mov_b32_e32 v49, 0x8000
	s_mov_b32 s44, exec_lo
	v_cmpx_ne_u16_e32 0x80, v51
	s_cbranch_execz .LBB283_250
; %bb.245:                              ;   in Loop: Header=BB283_16 Depth=1
	v_and_b32_e32 v52, 0x7f, v8
	v_mov_b32_e32 v49, 0x7c01
	s_mov_b32 s45, exec_lo
	s_delay_alu instid0(VALU_DEP_2)
	v_cmpx_ne_u32_e32 0x7f, v52
	s_cbranch_execz .LBB283_249
; %bb.246:                              ;   in Loop: Header=BB283_16 Depth=1
	v_and_b32_e32 v49, 7, v8
	v_lshrrev_b32_e32 v51, 3, v52
	s_mov_b32 s46, exec_lo
	v_cmpx_gt_u32_e32 8, v52
; %bb.247:                              ;   in Loop: Header=BB283_16 Depth=1
	s_delay_alu instid0(VALU_DEP_3) | instskip(NEXT) | instid1(VALU_DEP_1)
	v_clz_i32_u32_e32 v49, v49
	v_min_u32_e32 v49, 32, v49
	s_delay_alu instid0(VALU_DEP_1) | instskip(NEXT) | instid1(VALU_DEP_1)
	v_subrev_nc_u32_e32 v51, 28, v49
	v_lshlrev_b64_e32 v[52:53], v51, v[1:2]
	v_sub_nc_u32_e32 v51, 29, v49
	s_delay_alu instid0(VALU_DEP_2)
	v_and_b32_e32 v49, 7, v52
; %bb.248:                              ;   in Loop: Header=BB283_16 Depth=1
	s_or_b32 exec_lo, exec_lo, s46
	v_lshlrev_b32_e32 v52, 8, v8
	s_delay_alu instid0(VALU_DEP_3) | instskip(NEXT) | instid1(VALU_DEP_3)
	v_lshl_add_u32 v51, v51, 10, 0x2000
	v_lshlrev_b32_e32 v49, 7, v49
	s_delay_alu instid0(VALU_DEP_3) | instskip(NEXT) | instid1(VALU_DEP_3)
	v_and_b32_e32 v52, 0x8000, v52
	v_and_b32_e32 v51, 0xfc00, v51
	s_delay_alu instid0(VALU_DEP_1)
	v_or3_b32 v49, v52, v51, v49
.LBB283_249:                            ;   in Loop: Header=BB283_16 Depth=1
	s_wait_alu 0xfffe
	s_or_b32 exec_lo, exec_lo, s45
.LBB283_250:                            ;   in Loop: Header=BB283_16 Depth=1
	s_wait_alu 0xfffe
	s_or_b32 exec_lo, exec_lo, s44
.LBB283_251:                            ;   in Loop: Header=BB283_16 Depth=1
	s_wait_alu 0xfffe
	s_or_b32 exec_lo, exec_lo, s43
	v_lshrrev_b16 v1, 8, v1
	v_dual_mov_b32 v52, 0 :: v_dual_mov_b32 v51, 0
	s_mov_b32 s43, exec_lo
	s_delay_alu instid0(VALU_DEP_2)
	v_cmpx_ne_u16_e32 0, v1
	s_cbranch_execz .LBB283_259
; %bb.252:                              ;   in Loop: Header=BB283_16 Depth=1
	v_bfrev_b32_e32 v51, 1
	s_mov_b32 s44, exec_lo
	v_cmpx_ne_u16_e32 0x80, v1
	s_cbranch_execz .LBB283_258
; %bb.253:                              ;   in Loop: Header=BB283_16 Depth=1
	v_and_b32_e32 v53, 0xffff, v1
	v_mov_b32_e32 v51, 0x7c010000
	s_mov_b32 s45, exec_lo
	s_delay_alu instid0(VALU_DEP_2) | instskip(NEXT) | instid1(VALU_DEP_1)
	v_and_b32_e32 v55, 0x7f, v53
	v_cmpx_ne_u32_e32 0x7f, v55
	s_cbranch_execz .LBB283_257
; %bb.254:                              ;   in Loop: Header=BB283_16 Depth=1
	v_and_b32_e32 v51, 7, v53
	v_lshrrev_b32_e32 v54, 3, v55
	s_mov_b32 s46, exec_lo
	v_cmpx_gt_u32_e32 8, v55
; %bb.255:                              ;   in Loop: Header=BB283_16 Depth=1
	s_delay_alu instid0(VALU_DEP_3) | instskip(NEXT) | instid1(VALU_DEP_1)
	v_clz_i32_u32_e32 v51, v51
	v_min_u32_e32 v51, 32, v51
	s_delay_alu instid0(VALU_DEP_1) | instskip(NEXT) | instid1(VALU_DEP_1)
	v_subrev_nc_u32_e32 v54, 28, v51
	v_lshlrev_b64_e32 v[55:56], v54, v[1:2]
	v_sub_nc_u32_e32 v54, 29, v51
	s_delay_alu instid0(VALU_DEP_2)
	v_and_b32_e32 v51, 7, v55
; %bb.256:                              ;   in Loop: Header=BB283_16 Depth=1
	s_or_b32 exec_lo, exec_lo, s46
	v_lshlrev_b32_e32 v1, 8, v53
	s_delay_alu instid0(VALU_DEP_3) | instskip(NEXT) | instid1(VALU_DEP_3)
	v_lshl_add_u32 v53, v54, 10, 0x2000
	v_lshlrev_b32_e32 v51, 23, v51
	s_delay_alu instid0(VALU_DEP_2) | instskip(NEXT) | instid1(VALU_DEP_1)
	v_and_or_b32 v1, 0x8000, v1, v53
	v_lshl_or_b32 v51, v1, 16, v51
.LBB283_257:                            ;   in Loop: Header=BB283_16 Depth=1
	s_wait_alu 0xfffe
	s_or_b32 exec_lo, exec_lo, s45
.LBB283_258:                            ;   in Loop: Header=BB283_16 Depth=1
	s_wait_alu 0xfffe
	s_or_b32 exec_lo, exec_lo, s44
.LBB283_259:                            ;   in Loop: Header=BB283_16 Depth=1
	s_wait_alu 0xfffe
	s_or_b32 exec_lo, exec_lo, s43
	v_lshrrev_b32_e32 v1, 16, v8
	s_mov_b32 s43, exec_lo
	s_delay_alu instid0(VALU_DEP_1) | instskip(NEXT) | instid1(VALU_DEP_1)
	v_and_b32_e32 v53, 0xff, v1
	v_cmpx_ne_u16_e32 0, v53
	s_cbranch_execz .LBB283_267
; %bb.260:                              ;   in Loop: Header=BB283_16 Depth=1
	v_mov_b32_e32 v52, 0x8000
	s_mov_b32 s44, exec_lo
	v_cmpx_ne_u16_e32 0x80, v53
	s_cbranch_execz .LBB283_266
; %bb.261:                              ;   in Loop: Header=BB283_16 Depth=1
	v_bfe_u32 v54, v8, 16, 7
	v_mov_b32_e32 v52, 0x7c01
	s_mov_b32 s45, exec_lo
	s_delay_alu instid0(VALU_DEP_2)
	v_cmpx_ne_u32_e32 0x7f, v54
	s_cbranch_execz .LBB283_265
; %bb.262:                              ;   in Loop: Header=BB283_16 Depth=1
	v_and_b32_e32 v52, 7, v1
	v_lshrrev_b32_e32 v53, 3, v54
	s_mov_b32 s46, exec_lo
	v_cmpx_gt_u32_e32 8, v54
; %bb.263:                              ;   in Loop: Header=BB283_16 Depth=1
	s_delay_alu instid0(VALU_DEP_3) | instskip(NEXT) | instid1(VALU_DEP_1)
	v_clz_i32_u32_e32 v52, v52
	v_min_u32_e32 v54, 32, v52
	s_delay_alu instid0(VALU_DEP_1) | instskip(NEXT) | instid1(VALU_DEP_1)
	v_subrev_nc_u32_e32 v52, 28, v54
	v_lshlrev_b64_e32 v[52:53], v52, v[1:2]
	v_sub_nc_u32_e32 v53, 29, v54
	s_delay_alu instid0(VALU_DEP_2)
	v_and_b32_e32 v52, 7, v52
; %bb.264:                              ;   in Loop: Header=BB283_16 Depth=1
	s_or_b32 exec_lo, exec_lo, s46
	v_lshlrev_b32_e32 v1, 8, v1
	s_delay_alu instid0(VALU_DEP_3) | instskip(NEXT) | instid1(VALU_DEP_3)
	v_lshl_add_u32 v53, v53, 10, 0x2000
	v_lshlrev_b32_e32 v52, 7, v52
	s_delay_alu instid0(VALU_DEP_3) | instskip(NEXT) | instid1(VALU_DEP_3)
	v_and_b32_e32 v1, 0x8000, v1
	v_and_b32_e32 v53, 0xfc00, v53
	s_delay_alu instid0(VALU_DEP_1)
	v_or3_b32 v52, v1, v53, v52
.LBB283_265:                            ;   in Loop: Header=BB283_16 Depth=1
	s_wait_alu 0xfffe
	s_or_b32 exec_lo, exec_lo, s45
.LBB283_266:                            ;   in Loop: Header=BB283_16 Depth=1
	s_wait_alu 0xfffe
	s_or_b32 exec_lo, exec_lo, s44
.LBB283_267:                            ;   in Loop: Header=BB283_16 Depth=1
	s_wait_alu 0xfffe
	s_or_b32 exec_lo, exec_lo, s43
	v_cmp_lt_u64_e64 s3, s[14:15], v[7:8]
	v_mov_b32_e32 v7, 0
	s_and_saveexec_b32 s43, s3
	s_cbranch_execz .LBB283_14
; %bb.268:                              ;   in Loop: Header=BB283_16 Depth=1
	v_lshrrev_b32_e32 v1, 24, v8
	v_bfrev_b32_e32 v7, 1
	s_mov_b32 s44, exec_lo
	s_delay_alu instid0(VALU_DEP_2)
	v_cmpx_ne_u32_e32 0x80, v1
	s_cbranch_execz .LBB283_13
; %bb.269:                              ;   in Loop: Header=BB283_16 Depth=1
	v_and_b32_e32 v53, 0x7f, v1
	v_mov_b32_e32 v7, 0x7c010000
	s_mov_b32 s45, exec_lo
	s_delay_alu instid0(VALU_DEP_2)
	v_cmpx_ne_u32_e32 0x7f, v53
	s_cbranch_execz .LBB283_12
; %bb.270:                              ;   in Loop: Header=BB283_16 Depth=1
	v_and_b32_e32 v7, 7, v1
	v_lshrrev_b32_e32 v8, 3, v53
	s_mov_b32 s46, exec_lo
	v_cmpx_gt_u32_e32 8, v53
	s_cbranch_execz .LBB283_11
; %bb.271:                              ;   in Loop: Header=BB283_16 Depth=1
	v_clz_i32_u32_e32 v7, v7
	s_delay_alu instid0(VALU_DEP_1) | instskip(NEXT) | instid1(VALU_DEP_1)
	v_min_u32_e32 v53, 32, v7
	v_subrev_nc_u32_e32 v7, 28, v53
	s_delay_alu instid0(VALU_DEP_1) | instskip(SKIP_1) | instid1(VALU_DEP_2)
	v_lshlrev_b64_e32 v[7:8], v7, v[1:2]
	v_sub_nc_u32_e32 v8, 29, v53
	v_and_b32_e32 v7, 7, v7
	s_branch .LBB283_11
.LBB283_272:
	s_or_b32 exec_lo, exec_lo, s42
.LBB283_273:
	s_delay_alu instid0(SALU_CYCLE_1)
	s_or_b32 exec_lo, exec_lo, s12
	v_mbcnt_lo_u32_b32 v1, -1, 0
	s_clause 0x2
	s_load_b128 s[12:15], s[0:1], 0x0
	s_load_b64 s[8:9], s[0:1], 0x10
	s_load_b64 s[30:31], s[0:1], 0x28
	v_max_num_f32_e32 v5, v16, v16
	v_xor_b32_e32 v2, 16, v1
	v_xor_b32_e32 v4, 8, v1
	s_delay_alu instid0(VALU_DEP_2) | instskip(SKIP_2) | instid1(VALU_DEP_3)
	v_cmp_gt_i32_e32 vcc_lo, 32, v2
	s_wait_alu 0xfffd
	v_cndmask_b32_e32 v2, v1, v2, vcc_lo
	v_cmp_gt_i32_e32 vcc_lo, 32, v4
	s_delay_alu instid0(VALU_DEP_2)
	v_lshlrev_b32_e32 v2, 2, v2
	s_wait_alu 0xfffd
	v_cndmask_b32_e32 v4, v1, v4, vcc_lo
	ds_bpermute_b32 v3, v2, v16
	s_wait_dscnt 0x0
	v_dual_max_num_f32 v6, v3, v3 :: v_dual_lshlrev_b32 v3, 2, v4
	s_delay_alu instid0(VALU_DEP_1)
	v_max_num_f32_e32 v4, v5, v6
	v_xor_b32_e32 v6, 4, v1
	ds_bpermute_b32 v5, v3, v4
	v_cmp_gt_i32_e32 vcc_lo, 32, v6
	s_wait_alu 0xfffd
	v_cndmask_b32_e32 v6, v1, v6, vcc_lo
	s_wait_dscnt 0x0
	v_max_num_f32_e32 v7, v5, v5
	s_delay_alu instid0(VALU_DEP_1)
	v_dual_max_num_f32 v4, v4, v7 :: v_dual_lshlrev_b32 v5, 2, v6
	v_xor_b32_e32 v7, 2, v1
	ds_bpermute_b32 v6, v5, v4
	v_cmp_gt_i32_e32 vcc_lo, 32, v7
	s_wait_dscnt 0x0
	s_wait_alu 0xfffd
	v_dual_cndmask_b32 v7, v1, v7 :: v_dual_max_num_f32 v6, v6, v6
	s_delay_alu instid0(VALU_DEP_1) | instskip(NEXT) | instid1(VALU_DEP_2)
	v_max_num_f32_e32 v4, v4, v6
	v_lshlrev_b32_e32 v16, 2, v7
	v_xor_b32_e32 v7, 1, v1
	s_delay_alu instid0(VALU_DEP_1)
	v_cmp_gt_i32_e32 vcc_lo, 32, v7
	s_wait_alu 0xfffd
	v_cndmask_b32_e32 v7, v1, v7, vcc_lo
	ds_bpermute_b32 v6, v16, v4
	v_cmp_eq_u32_e32 vcc_lo, 0, v12
	s_wait_dscnt 0x0
	v_dual_max_num_f32 v6, v6, v6 :: v_dual_lshlrev_b32 v17, 2, v7
	s_delay_alu instid0(VALU_DEP_1)
	v_dual_max_num_f32 v1, v4, v6 :: v_dual_lshlrev_b32 v6, 2, v11
	ds_bpermute_b32 v4, v17, v1
	s_and_saveexec_b32 s0, vcc_lo
	s_cbranch_execz .LBB283_275
; %bb.274:
	s_wait_dscnt 0x0
	v_dual_max_num_f32 v4, v4, v4 :: v_dual_max_num_f32 v1, v1, v1
	s_delay_alu instid0(VALU_DEP_1)
	v_max_num_f32_e32 v1, v1, v4
	ds_store_b32 v6, v1 offset:64
.LBB283_275:
	s_or_b32 exec_lo, exec_lo, s0
	v_cmp_gt_u32_e64 s0, 4, v12
	v_mov_b32_e32 v1, 0xff7fffff
	s_wait_loadcnt_dscnt 0x0
	s_barrier_signal -1
	s_barrier_wait -1
	global_inv scope:SCOPE_SE
	s_and_saveexec_b32 s1, s0
; %bb.276:
	ds_load_b32 v1, v18 offset:64
; %bb.277:
	s_or_b32 exec_lo, exec_lo, s1
	s_wait_dscnt 0x0
	ds_bpermute_b32 v4, v16, v1
	v_max_num_f32_e32 v1, v1, v1
	s_sub_co_i32 s1, s35, s39
	v_mov_b32_e32 v7, 0
	s_lshl_b32 s1, s1, 5
	s_delay_alu instid0(SALU_CYCLE_1) | instskip(NEXT) | instid1(SALU_CYCLE_1)
	s_add_co_i32 s1, s1, s36
	s_min_i32 s1, s1, s34
	s_delay_alu instid0(SALU_CYCLE_1) | instskip(SKIP_4) | instid1(VALU_DEP_1)
	s_sub_co_i32 s4, s1, s36
	s_wait_alu 0xfffe
	v_cmp_gt_i32_e64 s1, s4, v0
	s_wait_dscnt 0x0
	v_max_num_f32_e32 v4, v4, v4
	v_max_num_f32_e32 v1, v1, v4
	ds_bpermute_b32 v4, v17, v1
	s_wait_dscnt 0x0
	v_max_num_f32_e32 v4, v4, v4
	s_delay_alu instid0(VALU_DEP_1)
	v_max_num_f32_e32 v1, v1, v4
	v_lshl_add_u32 v4, v0, 2, 0x60
	ds_bpermute_b32 v1, v7, v1
	s_and_saveexec_b32 s19, s1
	s_cbranch_execz .LBB283_281
; %bb.278:
	v_lshl_add_u32 v8, v0, 2, 0x60
	v_mov_b32_e32 v7, 0
	v_mov_b32_e32 v9, v0
	s_mov_b32 s36, 0
.LBB283_279:                            ; =>This Inner Loop Header: Depth=1
	ds_load_b32 v10, v8
	v_add_nc_u32_e32 v9, 0x80, v9
	s_delay_alu instid0(VALU_DEP_1) | instskip(SKIP_4) | instid1(VALU_DEP_1)
	v_cmp_le_i32_e64 s3, s4, v9
	s_wait_alu 0xfffe
	s_or_b32 s36, s3, s36
	s_wait_dscnt 0x0
	v_sub_f32_e32 v10, v10, v1
	v_mul_f32_e32 v10, 0x3fb8aa3b, v10
	s_delay_alu instid0(VALU_DEP_1)
	v_exp_f32_e32 v10, v10
	ds_store_b32 v8, v10
	v_dual_add_f32 v7, v7, v10 :: v_dual_add_nc_u32 v8, 0x200, v8
	s_wait_alu 0xfffe
	s_and_not1_b32 exec_lo, exec_lo, s36
	s_cbranch_execnz .LBB283_279
; %bb.280:
	s_or_b32 exec_lo, exec_lo, s36
.LBB283_281:
	s_wait_alu 0xfffe
	s_or_b32 exec_lo, exec_lo, s19
	ds_bpermute_b32 v2, v2, v7
	s_wait_dscnt 0x0
	v_add_f32_e32 v2, v7, v2
	ds_bpermute_b32 v3, v3, v2
	s_wait_dscnt 0x0
	v_add_f32_e32 v2, v2, v3
	ds_bpermute_b32 v3, v5, v2
	s_wait_dscnt 0x0
	v_add_f32_e32 v2, v2, v3
	ds_bpermute_b32 v3, v16, v2
	s_wait_dscnt 0x0
	v_add_f32_e32 v2, v2, v3
	ds_bpermute_b32 v3, v17, v2
	s_wait_dscnt 0x0
	v_add_f32_e32 v2, v2, v3
	s_and_saveexec_b32 s3, vcc_lo
; %bb.282:
	ds_store_b32 v6, v2 offset:80
; %bb.283:
	s_wait_alu 0xfffe
	s_or_b32 exec_lo, exec_lo, s3
	s_wait_loadcnt_dscnt 0x0
	s_barrier_signal -1
	s_barrier_wait -1
	global_inv scope:SCOPE_SE
	s_and_saveexec_b32 s3, s0
; %bb.284:
	ds_load_b32 v2, v18 offset:80
; %bb.285:
	s_wait_alu 0xfffe
	s_or_b32 exec_lo, exec_lo, s3
	s_wait_dscnt 0x0
	ds_bpermute_b32 v3, v16, v2
	s_wait_dscnt 0x0
	v_add_f32_e32 v2, v2, v3
	ds_bpermute_b32 v3, v17, v2
	s_wait_dscnt 0x0
	v_dual_add_f32 v2, v2, v3 :: v_dual_mov_b32 v3, 0
	ds_bpermute_b32 v2, v3, v2
	s_and_saveexec_b32 s0, s1
	s_cbranch_execz .LBB283_288
; %bb.286:
	s_wait_dscnt 0x0
	v_add_f32_e32 v3, 0x358637bd, v2
	s_mov_b32 s1, 0
	s_delay_alu instid0(VALU_DEP_1) | instskip(SKIP_1) | instid1(VALU_DEP_2)
	v_div_scale_f32 v5, null, v3, v3, 1.0
	v_div_scale_f32 v8, vcc_lo, 1.0, v3, 1.0
	v_rcp_f32_e32 v6, v5
	s_delay_alu instid0(TRANS32_DEP_1) | instskip(NEXT) | instid1(VALU_DEP_1)
	v_fma_f32 v7, -v5, v6, 1.0
	v_fmac_f32_e32 v6, v7, v6
	s_delay_alu instid0(VALU_DEP_1) | instskip(NEXT) | instid1(VALU_DEP_1)
	v_mul_f32_e32 v7, v8, v6
	v_fma_f32 v9, -v5, v7, v8
	s_delay_alu instid0(VALU_DEP_1) | instskip(NEXT) | instid1(VALU_DEP_1)
	v_fmac_f32_e32 v7, v9, v6
	v_fma_f32 v5, -v5, v7, v8
	s_wait_alu 0xfffd
	s_delay_alu instid0(VALU_DEP_1) | instskip(NEXT) | instid1(VALU_DEP_1)
	v_div_fmas_f32 v5, v5, v6, v7
	v_div_fixup_f32 v3, v5, v3, 1.0
	v_mov_b32_e32 v5, v0
.LBB283_287:                            ; =>This Inner Loop Header: Depth=1
	ds_load_b32 v6, v4
	s_wait_dscnt 0x0
	v_dual_mul_f32 v6, v3, v6 :: v_dual_add_nc_u32 v5, 0x80, v5
	s_delay_alu instid0(VALU_DEP_1) | instskip(SKIP_3) | instid1(SALU_CYCLE_1)
	v_cmp_le_i32_e32 vcc_lo, s4, v5
	ds_store_b32 v4, v6
	v_add_nc_u32_e32 v4, 0x200, v4
	s_or_b32 s1, vcc_lo, s1
	s_and_not1_b32 exec_lo, exec_lo, s1
	s_cbranch_execnz .LBB283_287
.LBB283_288:
	s_or_b32 exec_lo, exec_lo, s0
	s_mul_i32 s0, s7, s28
	s_wait_loadcnt_dscnt 0x0
	s_mul_i32 s28, s0, s29
	s_mov_b32 s0, exec_lo
	s_barrier_signal -1
	s_barrier_wait -1
	global_inv scope:SCOPE_SE
	v_cmpx_eq_u32_e32 0, v0
	s_cbranch_execz .LBB283_290
; %bb.289:
	s_ashr_i32 s29, s28, 31
	s_mul_i32 s40, s7, ttmp9
	s_lshl_b32 s1, s33, 2
	s_lshl_b64 s[42:43], s[28:29], 2
	s_wait_alu 0xfffe
	s_ashr_i32 s41, s40, 31
	v_mov_b32_e32 v3, s1
	s_wait_kmcnt 0x0
	s_add_nc_u64 s[14:15], s[14:15], s[42:43]
	s_wait_alu 0xfffe
	s_lshl_b64 s[40:41], s[40:41], 2
	s_add_nc_u64 s[12:13], s[12:13], s[42:43]
	s_wait_alu 0xfffe
	s_add_nc_u64 s[14:15], s[14:15], s[40:41]
	s_add_nc_u64 s[12:13], s[12:13], s[40:41]
	s_clause 0x1
	global_store_b32 v3, v1, s[14:15]
	global_store_b32 v3, v2, s[12:13]
.LBB283_290:
	s_or_b32 exec_lo, exec_lo, s0
	v_dual_mov_b32 v21, 0 :: v_dual_and_b32 v18, 3, v0
	v_dual_mov_b32 v22, 0 :: v_dual_mov_b32 v19, 0
	v_mov_b32_e32 v20, 0
	s_and_saveexec_b32 s1, s2
	s_cbranch_execz .LBB283_560
; %bb.291:
	s_abs_i32 s4, s6
	s_wait_kmcnt 0x0
	s_lshl_b64 s[12:13], s[26:27], 2
	s_wait_alu 0xfffe
	s_cvt_f32_u32 s0, s4
	s_mov_b32 s6, s17
	s_add_nc_u64 s[12:13], s[24:25], s[12:13]
	v_dual_mov_b32 v2, 0 :: v_dual_lshlrev_b32 v1, 3, v0
	s_wait_alu 0xfffe
	v_rcp_iflag_f32_e32 v3, s0
	v_dual_mov_b32 v20, 0 :: v_dual_lshlrev_b32 v5, 5, v18
	s_delay_alu instid0(VALU_DEP_2)
	v_dual_mov_b32 v19, 0 :: v_dual_and_b32 v6, 0xf8, v1
	s_ashr_i32 s19, s18, 31
	s_sub_co_i32 s0, 0, s4
	s_wait_alu 0xfffe
	s_add_nc_u64 s[14:15], s[30:31], s[18:19]
	v_dual_mov_b32 v21, 0 :: v_dual_mov_b32 v22, 0
	s_delay_alu instid0(TRANS32_DEP_1)
	v_readfirstlane_b32 s17, v3
	v_add_co_u32 v3, s12, s12, v15
	s_wait_alu 0xf1ff
	v_add_co_ci_u32_e64 v4, null, s13, 0, s12
	s_mul_f32 s12, s17, 0x4f7ffffe
	v_and_b32_e32 v15, 24, v1
	v_lshl_or_b32 v1, v11, 7, v5
	s_mov_b32 s2, -1
	s_wait_alu 0xfffe
	s_cvt_u32_f32 s13, s12
	v_add_co_u32 v5, s12, s14, v6
	s_wait_alu 0xf1ff
	v_add_co_ci_u32_e64 v6, null, s15, 0, s12
	s_wait_alu 0xfffe
	s_mul_i32 s0, s0, s13
	v_add_nc_u32_e32 v23, 0x60, v1
	s_wait_alu 0xfffe
	s_mul_hi_u32 s0, s13, s0
	s_sub_co_i32 s5, s38, s5
	s_mov_b32 s3, 0xffffff
	s_add_co_i32 s37, s37, -1
	s_mov_b32 s12, 0
	s_wait_alu 0xfffe
	s_add_co_i32 s13, s13, s0
	s_branch .LBB283_294
.LBB283_292:                            ;   in Loop: Header=BB283_294 Depth=1
	s_wait_alu 0xfffe
	s_or_b32 exec_lo, exec_lo, s0
	;;#ASMSTART
	v_pk_mul_f16 v24, v37, v42;

	;;#ASMEND
	;;#ASMSTART
	v_pk_mul_f16 v8, v36, v8;

	;;#ASMEND
	;; [unrolled: 4-line block ×4, first 2 shown]
	;;#ASMSTART
	v_pk_add_f16 v8, v24, v8;

	;;#ASMEND
	;;#ASMSTART
	v_pk_add_f16 v7, v8, v7;

	;;#ASMEND
	;; [unrolled: 4-line block ×3, first 2 shown]
	v_and_b32_e32 v24, 0xffff, v1
	v_lshrrev_b32_e32 v25, 16, v1
	v_add_f32_e32 v1, v9, v10
	;;#ASMSTART
	v_cvt_f32_f16 v9, v24;
	;;#ASMEND
	v_dual_add_f32 v7, v38, v39 :: v_dual_add_f32 v8, v32, v33
	;;#ASMSTART
	v_cvt_f32_f16 v10, v25;
	;;#ASMEND
	s_delay_alu instid0(VALU_DEP_2) | instskip(NEXT) | instid1(VALU_DEP_2)
	v_dual_add_f32 v9, v9, v10 :: v_dual_add_f32 v20, v20, v1
	v_dual_add_f32 v22, v22, v7 :: v_dual_add_f32 v21, v21, v8
	s_delay_alu instid0(VALU_DEP_2)
	v_add_f32_e32 v19, v19, v9
.LBB283_293:                            ;   in Loop: Header=BB283_294 Depth=1
	s_wait_alu 0xfffe
	s_or_b32 exec_lo, exec_lo, s14
	v_add_nc_u32_e32 v14, 4, v14
	v_add_co_u32 v3, s0, v3, 16
	s_wait_alu 0xf1ff
	v_add_co_ci_u32_e64 v4, null, 0, v4, s0
	s_delay_alu instid0(VALU_DEP_3)
	v_cmp_le_i32_e32 vcc_lo, s35, v14
	v_add_nc_u32_e32 v13, 0x80, v13
	v_add_nc_u32_e32 v23, 0x200, v23
	s_or_b32 s12, vcc_lo, s12
	s_wait_alu 0xfffe
	s_and_not1_b32 exec_lo, exec_lo, s12
	s_cbranch_execz .LBB283_559
.LBB283_294:                            ; =>This Inner Loop Header: Depth=1
	v_sub_nc_u32_e32 v1, 0, v13
	s_delay_alu instid0(VALU_DEP_1) | instskip(NEXT) | instid1(VALU_DEP_1)
	v_max_i32_e32 v1, v13, v1
	v_mul_hi_u32 v7, v1, s22
	s_delay_alu instid0(VALU_DEP_1) | instskip(NEXT) | instid1(VALU_DEP_1)
	v_mul_lo_u32 v8, v7, s16
	v_sub_nc_u32_e32 v1, v1, v8
	s_delay_alu instid0(VALU_DEP_1) | instskip(SKIP_2) | instid1(VALU_DEP_2)
	v_subrev_nc_u32_e32 v9, s16, v1
	v_cmp_le_u32_e32 vcc_lo, s16, v1
	s_wait_alu 0xfffd
	v_dual_cndmask_b32 v1, v1, v9 :: v_dual_add_nc_u32 v8, 1, v7
	s_delay_alu instid0(VALU_DEP_1) | instskip(SKIP_1) | instid1(VALU_DEP_3)
	v_cndmask_b32_e32 v7, v7, v8, vcc_lo
	v_ashrrev_i32_e32 v8, 31, v13
	v_cmp_le_u32_e32 vcc_lo, s16, v1
	s_delay_alu instid0(VALU_DEP_3) | instskip(NEXT) | instid1(VALU_DEP_3)
	v_add_nc_u32_e32 v9, 1, v7
	v_xor_b32_e32 v8, s23, v8
	s_wait_alu 0xfffd
	s_delay_alu instid0(VALU_DEP_2) | instskip(NEXT) | instid1(VALU_DEP_1)
	v_cndmask_b32_e32 v1, v7, v9, vcc_lo
	v_xor_b32_e32 v1, v1, v8
	s_delay_alu instid0(VALU_DEP_1) | instskip(NEXT) | instid1(VALU_DEP_1)
	v_sub_nc_u32_e32 v1, v1, v8
	v_add_nc_u32_e32 v7, s21, v1
	v_cmp_lt_i32_e64 s0, s5, v1
	s_delay_alu instid0(VALU_DEP_2) | instskip(NEXT) | instid1(VALU_DEP_1)
	v_sub_nc_u32_e32 v8, 0, v7
	v_max_i32_e32 v8, v7, v8
	v_ashrrev_i32_e32 v7, 31, v7
	s_wait_alu 0xfffe
	s_delay_alu instid0(VALU_DEP_2) | instskip(NEXT) | instid1(VALU_DEP_1)
	v_mul_hi_u32 v9, v8, s13
	v_mul_lo_u32 v9, v9, s4
	s_delay_alu instid0(VALU_DEP_1) | instskip(NEXT) | instid1(VALU_DEP_1)
	v_sub_nc_u32_e32 v8, v8, v9
	v_subrev_nc_u32_e32 v9, s4, v8
	v_cmp_le_u32_e32 vcc_lo, s4, v8
	s_wait_alu 0xfffd
	s_delay_alu instid0(VALU_DEP_2) | instskip(NEXT) | instid1(VALU_DEP_1)
	v_cndmask_b32_e32 v8, v8, v9, vcc_lo
	v_subrev_nc_u32_e32 v9, s4, v8
	v_cmp_le_u32_e32 vcc_lo, s4, v8
	s_wait_alu 0xfffd
	s_delay_alu instid0(VALU_DEP_2) | instskip(NEXT) | instid1(VALU_DEP_1)
	v_cndmask_b32_e32 v8, v8, v9, vcc_lo
	v_xor_b32_e32 v8, v8, v7
	s_delay_alu instid0(VALU_DEP_1) | instskip(NEXT) | instid1(VALU_DEP_1)
	v_sub_nc_u32_e32 v7, v8, v7
	v_cmp_eq_u32_e32 vcc_lo, 0, v7
	s_or_b32 s0, vcc_lo, s0
	s_wait_alu 0xfffe
	s_and_saveexec_b32 s14, s0
	s_cbranch_execz .LBB283_293
; %bb.295:                              ;   in Loop: Header=BB283_294 Depth=1
	global_load_b32 v1, v[3:4], off
	ds_load_2addr_b64 v[24:27], v23 offset1:1
	ds_load_2addr_b64 v[28:31], v23 offset0:2 offset1:3
	s_mov_b32 s0, exec_lo
	s_wait_dscnt 0x1
	;;#ASMSTART
	v_cvt_f16_f32 v32, v24;

	;;#ASMEND
	;;#ASMSTART
	v_cvt_f16_f32 v33, v25;

	;;#ASMEND
	;;#ASMSTART
	v_cvt_f16_f32 v36, v26;

	;;#ASMEND
	;;#ASMSTART
	v_cvt_f16_f32 v34, v27;

	;;#ASMEND
	s_wait_dscnt 0x0
	;;#ASMSTART
	v_cvt_f16_f32 v37, v28;

	;;#ASMEND
	;;#ASMSTART
	v_cvt_f16_f32 v35, v29;

	;;#ASMEND
	;; [unrolled: 4-line block ×4, first 2 shown]
	v_mov_b32_e32 v27, 0
	s_wait_loadcnt 0x0
	v_mad_co_i64_i32 v[7:8], null, v1, s6, v[5:6]
	global_load_b64 v[9:10], v[7:8], off
	s_wait_loadcnt 0x0
	v_dual_mov_b32 v26, 0 :: v_dual_and_b32 v1, 0xff, v9
	global_load_b32 v25, v26, s[10:11]
	v_cmpx_ne_u16_e32 0, v1
	s_cbranch_execz .LBB283_303
; %bb.296:                              ;   in Loop: Header=BB283_294 Depth=1
	v_mov_b32_e32 v27, 0x8000
	s_mov_b32 s15, exec_lo
	v_cmpx_ne_u16_e32 0x80, v1
	s_cbranch_execz .LBB283_302
; %bb.297:                              ;   in Loop: Header=BB283_294 Depth=1
	v_and_b32_e32 v28, 0x7f, v9
	v_mov_b32_e32 v27, 0x7c01
	s_mov_b32 s17, exec_lo
	s_delay_alu instid0(VALU_DEP_2)
	v_cmpx_ne_u32_e32 0x7f, v28
	s_cbranch_execz .LBB283_301
; %bb.298:                              ;   in Loop: Header=BB283_294 Depth=1
	v_and_b32_e32 v1, 7, v9
	v_lshrrev_b32_e32 v24, 3, v28
	s_mov_b32 s18, exec_lo
	v_cmpx_gt_u32_e32 8, v28
; %bb.299:                              ;   in Loop: Header=BB283_294 Depth=1
	s_delay_alu instid0(VALU_DEP_3) | instskip(NEXT) | instid1(VALU_DEP_1)
	v_clz_i32_u32_e32 v1, v1
	v_min_u32_e32 v1, 32, v1
	s_delay_alu instid0(VALU_DEP_1) | instskip(NEXT) | instid1(VALU_DEP_1)
	v_subrev_nc_u32_e32 v24, 28, v1
	v_lshlrev_b64_e32 v[27:28], v24, v[9:10]
	v_sub_nc_u32_e32 v24, 29, v1
	s_delay_alu instid0(VALU_DEP_2)
	v_and_b32_e32 v1, 7, v27
; %bb.300:                              ;   in Loop: Header=BB283_294 Depth=1
	s_wait_alu 0xfffe
	s_or_b32 exec_lo, exec_lo, s18
	v_lshlrev_b32_e32 v27, 8, v9
	v_lshl_add_u32 v24, v24, 10, 0x2000
	v_lshlrev_b32_e32 v1, 7, v1
	s_delay_alu instid0(VALU_DEP_3) | instskip(NEXT) | instid1(VALU_DEP_3)
	v_and_b32_e32 v27, 0x8000, v27
	v_and_b32_e32 v24, 0xfc00, v24
	s_delay_alu instid0(VALU_DEP_1)
	v_or3_b32 v27, v27, v24, v1
.LBB283_301:                            ;   in Loop: Header=BB283_294 Depth=1
	s_wait_alu 0xfffe
	s_or_b32 exec_lo, exec_lo, s17
.LBB283_302:                            ;   in Loop: Header=BB283_294 Depth=1
	s_wait_alu 0xfffe
	s_or_b32 exec_lo, exec_lo, s15
.LBB283_303:                            ;   in Loop: Header=BB283_294 Depth=1
	s_wait_alu 0xfffe
	s_or_b32 exec_lo, exec_lo, s0
	v_lshrrev_b16 v1, 8, v9
	s_mov_b32 s0, exec_lo
	s_delay_alu instid0(VALU_DEP_1)
	v_cmpx_ne_u16_e32 0, v1
	s_cbranch_execz .LBB283_311
; %bb.304:                              ;   in Loop: Header=BB283_294 Depth=1
	v_bfrev_b32_e32 v26, 1
	s_mov_b32 s15, exec_lo
	v_cmpx_ne_u16_e32 0x80, v1
	s_cbranch_execz .LBB283_310
; %bb.305:                              ;   in Loop: Header=BB283_294 Depth=1
	v_and_b32_e32 v24, 0xffff, v1
	v_mov_b32_e32 v26, 0x7c010000
	s_mov_b32 s17, exec_lo
	s_delay_alu instid0(VALU_DEP_2) | instskip(NEXT) | instid1(VALU_DEP_1)
	v_and_b32_e32 v29, 0x7f, v24
	v_cmpx_ne_u32_e32 0x7f, v29
	s_cbranch_execz .LBB283_309
; %bb.306:                              ;   in Loop: Header=BB283_294 Depth=1
	v_and_b32_e32 v26, 7, v24
	v_lshrrev_b32_e32 v28, 3, v29
	s_mov_b32 s18, exec_lo
	v_cmpx_gt_u32_e32 8, v29
; %bb.307:                              ;   in Loop: Header=BB283_294 Depth=1
	s_delay_alu instid0(VALU_DEP_3) | instskip(NEXT) | instid1(VALU_DEP_1)
	v_clz_i32_u32_e32 v26, v26
	v_min_u32_e32 v26, 32, v26
	s_delay_alu instid0(VALU_DEP_1) | instskip(NEXT) | instid1(VALU_DEP_1)
	v_subrev_nc_u32_e32 v28, 28, v26
	v_lshlrev_b64_e32 v[29:30], v28, v[1:2]
	v_sub_nc_u32_e32 v28, 29, v26
	s_delay_alu instid0(VALU_DEP_2)
	v_and_b32_e32 v26, 7, v29
; %bb.308:                              ;   in Loop: Header=BB283_294 Depth=1
	s_wait_alu 0xfffe
	s_or_b32 exec_lo, exec_lo, s18
	v_lshlrev_b32_e32 v1, 8, v24
	v_lshl_add_u32 v24, v28, 10, 0x2000
	s_delay_alu instid0(VALU_DEP_1) | instskip(SKIP_1) | instid1(VALU_DEP_1)
	v_and_or_b32 v1, 0x8000, v1, v24
	v_lshlrev_b32_e32 v24, 23, v26
	v_lshl_or_b32 v26, v1, 16, v24
.LBB283_309:                            ;   in Loop: Header=BB283_294 Depth=1
	s_wait_alu 0xfffe
	s_or_b32 exec_lo, exec_lo, s17
.LBB283_310:                            ;   in Loop: Header=BB283_294 Depth=1
	s_wait_alu 0xfffe
	s_or_b32 exec_lo, exec_lo, s15
.LBB283_311:                            ;   in Loop: Header=BB283_294 Depth=1
	s_wait_alu 0xfffe
	s_or_b32 exec_lo, exec_lo, s0
	v_lshrrev_b32_e32 v1, 16, v9
	v_mov_b32_e32 v24, 0
	s_mov_b32 s0, exec_lo
	s_delay_alu instid0(VALU_DEP_2) | instskip(NEXT) | instid1(VALU_DEP_1)
	v_dual_mov_b32 v28, 0 :: v_dual_and_b32 v29, 0xff, v1
	v_cmpx_ne_u16_e32 0, v29
	s_cbranch_execz .LBB283_319
; %bb.312:                              ;   in Loop: Header=BB283_294 Depth=1
	v_mov_b32_e32 v24, 0x8000
	s_mov_b32 s15, exec_lo
	v_cmpx_ne_u16_e32 0x80, v29
	s_cbranch_execz .LBB283_318
; %bb.313:                              ;   in Loop: Header=BB283_294 Depth=1
	v_bfe_u32 v30, v9, 16, 7
	v_mov_b32_e32 v24, 0x7c01
	s_mov_b32 s17, exec_lo
	s_delay_alu instid0(VALU_DEP_2)
	v_cmpx_ne_u32_e32 0x7f, v30
	s_cbranch_execz .LBB283_317
; %bb.314:                              ;   in Loop: Header=BB283_294 Depth=1
	v_and_b32_e32 v24, 7, v1
	v_lshrrev_b32_e32 v29, 3, v30
	s_mov_b32 s18, exec_lo
	v_cmpx_gt_u32_e32 8, v30
; %bb.315:                              ;   in Loop: Header=BB283_294 Depth=1
	s_delay_alu instid0(VALU_DEP_3) | instskip(NEXT) | instid1(VALU_DEP_1)
	v_clz_i32_u32_e32 v24, v24
	v_min_u32_e32 v24, 32, v24
	s_delay_alu instid0(VALU_DEP_1) | instskip(NEXT) | instid1(VALU_DEP_1)
	v_subrev_nc_u32_e32 v29, 28, v24
	v_lshlrev_b64_e32 v[30:31], v29, v[1:2]
	v_sub_nc_u32_e32 v29, 29, v24
	s_delay_alu instid0(VALU_DEP_2)
	v_and_b32_e32 v24, 7, v30
; %bb.316:                              ;   in Loop: Header=BB283_294 Depth=1
	s_wait_alu 0xfffe
	s_or_b32 exec_lo, exec_lo, s18
	v_lshlrev_b32_e32 v1, 8, v1
	v_lshl_add_u32 v29, v29, 10, 0x2000
	v_lshlrev_b32_e32 v24, 7, v24
	s_delay_alu instid0(VALU_DEP_3) | instskip(NEXT) | instid1(VALU_DEP_3)
	v_and_b32_e32 v1, 0x8000, v1
	v_and_b32_e32 v29, 0xfc00, v29
	s_delay_alu instid0(VALU_DEP_1)
	v_or3_b32 v24, v1, v29, v24
.LBB283_317:                            ;   in Loop: Header=BB283_294 Depth=1
	s_wait_alu 0xfffe
	s_or_b32 exec_lo, exec_lo, s17
.LBB283_318:                            ;   in Loop: Header=BB283_294 Depth=1
	s_wait_alu 0xfffe
	s_or_b32 exec_lo, exec_lo, s15
.LBB283_319:                            ;   in Loop: Header=BB283_294 Depth=1
	s_wait_alu 0xfffe
	s_or_b32 exec_lo, exec_lo, s0
	s_delay_alu instid0(SALU_CYCLE_1)
	s_mov_b32 s0, exec_lo
	v_cmpx_lt_u32_e32 0xffffff, v9
	s_cbranch_execz .LBB283_327
; %bb.320:                              ;   in Loop: Header=BB283_294 Depth=1
	v_lshrrev_b32_e32 v1, 24, v9
	v_bfrev_b32_e32 v28, 1
	s_mov_b32 s15, exec_lo
	s_delay_alu instid0(VALU_DEP_2)
	v_cmpx_ne_u32_e32 0x80, v1
	s_cbranch_execz .LBB283_326
; %bb.321:                              ;   in Loop: Header=BB283_294 Depth=1
	v_and_b32_e32 v30, 0x7f, v1
	v_mov_b32_e32 v28, 0x7c010000
	s_mov_b32 s17, exec_lo
	s_delay_alu instid0(VALU_DEP_2)
	v_cmpx_ne_u32_e32 0x7f, v30
	s_cbranch_execz .LBB283_325
; %bb.322:                              ;   in Loop: Header=BB283_294 Depth=1
	v_and_b32_e32 v28, 7, v1
	v_lshrrev_b32_e32 v29, 3, v30
	s_mov_b32 s18, exec_lo
	v_cmpx_gt_u32_e32 8, v30
; %bb.323:                              ;   in Loop: Header=BB283_294 Depth=1
	s_delay_alu instid0(VALU_DEP_3) | instskip(NEXT) | instid1(VALU_DEP_1)
	v_clz_i32_u32_e32 v28, v28
	v_min_u32_e32 v30, 32, v28
	s_delay_alu instid0(VALU_DEP_1) | instskip(NEXT) | instid1(VALU_DEP_1)
	v_subrev_nc_u32_e32 v28, 28, v30
	v_lshlrev_b64_e32 v[28:29], v28, v[1:2]
	v_sub_nc_u32_e32 v29, 29, v30
	s_delay_alu instid0(VALU_DEP_2)
	v_and_b32_e32 v28, 7, v28
; %bb.324:                              ;   in Loop: Header=BB283_294 Depth=1
	s_wait_alu 0xfffe
	s_or_b32 exec_lo, exec_lo, s18
	v_lshlrev_b32_e32 v1, 8, v1
	v_lshl_add_u32 v29, v29, 10, 0x2000
	v_lshlrev_b32_e32 v28, 23, v28
	s_delay_alu instid0(VALU_DEP_2) | instskip(NEXT) | instid1(VALU_DEP_1)
	v_and_or_b32 v1, 0x8000, v1, v29
	v_lshl_or_b32 v28, v1, 16, v28
.LBB283_325:                            ;   in Loop: Header=BB283_294 Depth=1
	s_wait_alu 0xfffe
	s_or_b32 exec_lo, exec_lo, s17
.LBB283_326:                            ;   in Loop: Header=BB283_294 Depth=1
	s_wait_alu 0xfffe
	s_or_b32 exec_lo, exec_lo, s15
.LBB283_327:                            ;   in Loop: Header=BB283_294 Depth=1
	s_wait_alu 0xfffe
	s_or_b32 exec_lo, exec_lo, s0
	v_dual_mov_b32 v30, 0 :: v_dual_and_b32 v31, 0xff, v10
	v_mov_b32_e32 v1, v10
	v_mov_b32_e32 v29, 0
	s_mov_b32 s0, exec_lo
	s_delay_alu instid0(VALU_DEP_3)
	v_cmpx_ne_u16_e32 0, v31
	s_cbranch_execz .LBB283_335
; %bb.328:                              ;   in Loop: Header=BB283_294 Depth=1
	v_mov_b32_e32 v30, 0x8000
	s_mov_b32 s15, exec_lo
	v_cmpx_ne_u16_e32 0x80, v31
	s_cbranch_execz .LBB283_334
; %bb.329:                              ;   in Loop: Header=BB283_294 Depth=1
	v_and_b32_e32 v40, 0x7f, v10
	v_mov_b32_e32 v30, 0x7c01
	s_mov_b32 s17, exec_lo
	s_delay_alu instid0(VALU_DEP_2)
	v_cmpx_ne_u32_e32 0x7f, v40
	s_cbranch_execz .LBB283_333
; %bb.330:                              ;   in Loop: Header=BB283_294 Depth=1
	v_and_b32_e32 v30, 7, v10
	v_lshrrev_b32_e32 v31, 3, v40
	s_mov_b32 s18, exec_lo
	v_cmpx_gt_u32_e32 8, v40
; %bb.331:                              ;   in Loop: Header=BB283_294 Depth=1
	s_delay_alu instid0(VALU_DEP_3) | instskip(NEXT) | instid1(VALU_DEP_1)
	v_clz_i32_u32_e32 v30, v30
	v_min_u32_e32 v40, 32, v30
	s_delay_alu instid0(VALU_DEP_1) | instskip(NEXT) | instid1(VALU_DEP_1)
	v_subrev_nc_u32_e32 v30, 28, v40
	v_lshlrev_b64_e32 v[30:31], v30, v[1:2]
	v_sub_nc_u32_e32 v31, 29, v40
	s_delay_alu instid0(VALU_DEP_2)
	v_and_b32_e32 v30, 7, v30
; %bb.332:                              ;   in Loop: Header=BB283_294 Depth=1
	s_wait_alu 0xfffe
	s_or_b32 exec_lo, exec_lo, s18
	v_lshlrev_b32_e32 v40, 8, v10
	v_lshl_add_u32 v31, v31, 10, 0x2000
	v_lshlrev_b32_e32 v30, 7, v30
	s_delay_alu instid0(VALU_DEP_3) | instskip(NEXT) | instid1(VALU_DEP_3)
	v_and_b32_e32 v40, 0x8000, v40
	v_and_b32_e32 v31, 0xfc00, v31
	s_delay_alu instid0(VALU_DEP_1)
	v_or3_b32 v30, v40, v31, v30
.LBB283_333:                            ;   in Loop: Header=BB283_294 Depth=1
	s_wait_alu 0xfffe
	s_or_b32 exec_lo, exec_lo, s17
.LBB283_334:                            ;   in Loop: Header=BB283_294 Depth=1
	s_wait_alu 0xfffe
	s_or_b32 exec_lo, exec_lo, s15
.LBB283_335:                            ;   in Loop: Header=BB283_294 Depth=1
	s_wait_alu 0xfffe
	s_or_b32 exec_lo, exec_lo, s0
	v_lshrrev_b16 v1, 8, v1
	v_mov_b32_e32 v31, 0
	s_mov_b32 s0, exec_lo
	s_delay_alu instid0(VALU_DEP_2)
	v_cmpx_ne_u16_e32 0, v1
	s_cbranch_execz .LBB283_343
; %bb.336:                              ;   in Loop: Header=BB283_294 Depth=1
	v_bfrev_b32_e32 v31, 1
	s_mov_b32 s15, exec_lo
	v_cmpx_ne_u16_e32 0x80, v1
	s_cbranch_execz .LBB283_342
; %bb.337:                              ;   in Loop: Header=BB283_294 Depth=1
	v_and_b32_e32 v40, 0xffff, v1
	v_mov_b32_e32 v31, 0x7c010000
	s_mov_b32 s17, exec_lo
	s_delay_alu instid0(VALU_DEP_2) | instskip(NEXT) | instid1(VALU_DEP_1)
	v_and_b32_e32 v42, 0x7f, v40
	v_cmpx_ne_u32_e32 0x7f, v42
	s_cbranch_execz .LBB283_341
; %bb.338:                              ;   in Loop: Header=BB283_294 Depth=1
	v_and_b32_e32 v31, 7, v40
	v_lshrrev_b32_e32 v41, 3, v42
	s_mov_b32 s18, exec_lo
	v_cmpx_gt_u32_e32 8, v42
; %bb.339:                              ;   in Loop: Header=BB283_294 Depth=1
	s_delay_alu instid0(VALU_DEP_3) | instskip(NEXT) | instid1(VALU_DEP_1)
	v_clz_i32_u32_e32 v31, v31
	v_min_u32_e32 v31, 32, v31
	s_delay_alu instid0(VALU_DEP_1) | instskip(NEXT) | instid1(VALU_DEP_1)
	v_subrev_nc_u32_e32 v41, 28, v31
	v_lshlrev_b64_e32 v[42:43], v41, v[1:2]
	v_sub_nc_u32_e32 v41, 29, v31
	s_delay_alu instid0(VALU_DEP_2)
	v_and_b32_e32 v31, 7, v42
; %bb.340:                              ;   in Loop: Header=BB283_294 Depth=1
	s_wait_alu 0xfffe
	s_or_b32 exec_lo, exec_lo, s18
	v_lshlrev_b32_e32 v1, 8, v40
	v_lshl_add_u32 v40, v41, 10, 0x2000
	v_lshlrev_b32_e32 v31, 23, v31
	s_delay_alu instid0(VALU_DEP_2) | instskip(NEXT) | instid1(VALU_DEP_1)
	v_and_or_b32 v1, 0x8000, v1, v40
	v_lshl_or_b32 v31, v1, 16, v31
.LBB283_341:                            ;   in Loop: Header=BB283_294 Depth=1
	s_wait_alu 0xfffe
	s_or_b32 exec_lo, exec_lo, s17
.LBB283_342:                            ;   in Loop: Header=BB283_294 Depth=1
	s_wait_alu 0xfffe
	s_or_b32 exec_lo, exec_lo, s15
.LBB283_343:                            ;   in Loop: Header=BB283_294 Depth=1
	s_wait_alu 0xfffe
	s_or_b32 exec_lo, exec_lo, s0
	v_lshrrev_b32_e32 v1, 16, v10
	s_mov_b32 s0, exec_lo
	s_delay_alu instid0(VALU_DEP_1) | instskip(NEXT) | instid1(VALU_DEP_1)
	v_and_b32_e32 v40, 0xff, v1
	v_cmpx_ne_u16_e32 0, v40
	s_cbranch_execz .LBB283_351
; %bb.344:                              ;   in Loop: Header=BB283_294 Depth=1
	v_mov_b32_e32 v29, 0x8000
	s_mov_b32 s15, exec_lo
	v_cmpx_ne_u16_e32 0x80, v40
	s_cbranch_execz .LBB283_350
; %bb.345:                              ;   in Loop: Header=BB283_294 Depth=1
	v_bfe_u32 v41, v10, 16, 7
	v_mov_b32_e32 v29, 0x7c01
	s_mov_b32 s17, exec_lo
	s_delay_alu instid0(VALU_DEP_2)
	v_cmpx_ne_u32_e32 0x7f, v41
	s_cbranch_execz .LBB283_349
; %bb.346:                              ;   in Loop: Header=BB283_294 Depth=1
	v_and_b32_e32 v29, 7, v1
	v_lshrrev_b32_e32 v40, 3, v41
	s_mov_b32 s18, exec_lo
	v_cmpx_gt_u32_e32 8, v41
; %bb.347:                              ;   in Loop: Header=BB283_294 Depth=1
	s_delay_alu instid0(VALU_DEP_3) | instskip(NEXT) | instid1(VALU_DEP_1)
	v_clz_i32_u32_e32 v29, v29
	v_min_u32_e32 v29, 32, v29
	s_delay_alu instid0(VALU_DEP_1) | instskip(NEXT) | instid1(VALU_DEP_1)
	v_subrev_nc_u32_e32 v40, 28, v29
	v_lshlrev_b64_e32 v[41:42], v40, v[1:2]
	v_sub_nc_u32_e32 v40, 29, v29
	s_delay_alu instid0(VALU_DEP_2)
	v_and_b32_e32 v29, 7, v41
; %bb.348:                              ;   in Loop: Header=BB283_294 Depth=1
	s_wait_alu 0xfffe
	s_or_b32 exec_lo, exec_lo, s18
	v_lshlrev_b32_e32 v1, 8, v1
	v_lshl_add_u32 v40, v40, 10, 0x2000
	v_lshlrev_b32_e32 v29, 7, v29
	s_delay_alu instid0(VALU_DEP_3) | instskip(NEXT) | instid1(VALU_DEP_3)
	v_and_b32_e32 v1, 0x8000, v1
	v_and_b32_e32 v40, 0xfc00, v40
	s_delay_alu instid0(VALU_DEP_1)
	v_or3_b32 v29, v1, v40, v29
.LBB283_349:                            ;   in Loop: Header=BB283_294 Depth=1
	s_wait_alu 0xfffe
	s_or_b32 exec_lo, exec_lo, s17
.LBB283_350:                            ;   in Loop: Header=BB283_294 Depth=1
	s_wait_alu 0xfffe
	s_or_b32 exec_lo, exec_lo, s15
.LBB283_351:                            ;   in Loop: Header=BB283_294 Depth=1
	s_wait_alu 0xfffe
	s_or_b32 exec_lo, exec_lo, s0
	v_cmp_lt_u64_e32 vcc_lo, s[2:3], v[9:10]
	v_mov_b32_e32 v9, 0
	s_and_saveexec_b32 s0, vcc_lo
	s_cbranch_execz .LBB283_359
; %bb.352:                              ;   in Loop: Header=BB283_294 Depth=1
	v_lshrrev_b32_e32 v1, 24, v10
	v_bfrev_b32_e32 v9, 1
	s_mov_b32 s15, exec_lo
	s_delay_alu instid0(VALU_DEP_2)
	v_cmpx_ne_u32_e32 0x80, v1
	s_cbranch_execz .LBB283_358
; %bb.353:                              ;   in Loop: Header=BB283_294 Depth=1
	v_and_b32_e32 v40, 0x7f, v1
	v_mov_b32_e32 v9, 0x7c010000
	s_mov_b32 s17, exec_lo
	s_delay_alu instid0(VALU_DEP_2)
	v_cmpx_ne_u32_e32 0x7f, v40
	s_cbranch_execz .LBB283_357
; %bb.354:                              ;   in Loop: Header=BB283_294 Depth=1
	v_and_b32_e32 v9, 7, v1
	v_lshrrev_b32_e32 v10, 3, v40
	s_mov_b32 s18, exec_lo
	v_cmpx_gt_u32_e32 8, v40
; %bb.355:                              ;   in Loop: Header=BB283_294 Depth=1
	s_delay_alu instid0(VALU_DEP_3) | instskip(NEXT) | instid1(VALU_DEP_1)
	v_clz_i32_u32_e32 v9, v9
	v_min_u32_e32 v40, 32, v9
	s_delay_alu instid0(VALU_DEP_1) | instskip(NEXT) | instid1(VALU_DEP_1)
	v_subrev_nc_u32_e32 v9, 28, v40
	v_lshlrev_b64_e32 v[9:10], v9, v[1:2]
	v_sub_nc_u32_e32 v10, 29, v40
	s_delay_alu instid0(VALU_DEP_2)
	v_and_b32_e32 v9, 7, v9
; %bb.356:                              ;   in Loop: Header=BB283_294 Depth=1
	s_wait_alu 0xfffe
	s_or_b32 exec_lo, exec_lo, s18
	v_lshlrev_b32_e32 v1, 8, v1
	v_lshl_add_u32 v10, v10, 10, 0x2000
	v_lshlrev_b32_e32 v9, 23, v9
	s_delay_alu instid0(VALU_DEP_2) | instskip(NEXT) | instid1(VALU_DEP_1)
	v_and_or_b32 v1, 0x8000, v1, v10
	v_lshl_or_b32 v9, v1, 16, v9
.LBB283_357:                            ;   in Loop: Header=BB283_294 Depth=1
	s_wait_alu 0xfffe
	s_or_b32 exec_lo, exec_lo, s17
.LBB283_358:                            ;   in Loop: Header=BB283_294 Depth=1
	s_wait_alu 0xfffe
	s_or_b32 exec_lo, exec_lo, s15
.LBB283_359:                            ;   in Loop: Header=BB283_294 Depth=1
	s_wait_alu 0xfffe
	s_or_b32 exec_lo, exec_lo, s0
	v_or_b32_e32 v1, v28, v24
	s_wait_loadcnt 0x0
	v_fma_mixlo_f16 v10, v25, v28, 0 op_sel:[0,1,0] op_sel_hi:[0,1,0]
	v_or_b32_e32 v27, v26, v27
	v_fma_mixlo_f16 v26, v25, v26, 0 op_sel:[0,1,0] op_sel_hi:[0,1,0]
	v_or_b32_e32 v28, v31, v30
	v_fma_mixlo_f16 v1, v25, v1, 0 op_sel_hi:[0,1,0]
	v_or_b32_e32 v29, v9, v29
	v_fma_mixlo_f16 v9, v25, v9, 0 op_sel:[0,1,0] op_sel_hi:[0,1,0]
	v_lshlrev_b32_e32 v46, 16, v26
	v_fma_mixlo_f16 v26, v25, v31, 0 op_sel:[0,1,0] op_sel_hi:[0,1,0]
	v_and_b32_e32 v43, 0xffff, v1
	v_fma_mixlo_f16 v1, v25, v27, 0 op_sel_hi:[0,1,0]
	v_fma_mixlo_f16 v27, v25, v28, 0 op_sel_hi:[0,1,0]
	;; [unrolled: 1-line block ×3, first 2 shown]
	v_add_nc_u32_e32 v24, v15, v13
	v_lshlrev_b32_e32 v10, 16, v10
	v_and_b32_e32 v48, 0xffff, v1
	v_lshlrev_b32_e32 v44, 16, v26
	v_and_b32_e32 v47, 0xffff, v27
	v_lshlrev_b32_e32 v41, 16, v9
	v_and_b32_e32 v45, 0xffff, v25
	v_cmp_eq_u32_e32 vcc_lo, s37, v14
	v_or_b32_e32 v1, v10, v43
	v_or_b32_e32 v9, v46, v48
	;; [unrolled: 1-line block ×4, first 2 shown]
	v_add_nc_u32_e32 v31, 1, v24
	v_add_nc_u32_e32 v30, 2, v24
	;; [unrolled: 1-line block ×7, first 2 shown]
	s_and_saveexec_b32 s15, vcc_lo
	s_cbranch_execz .LBB283_361
; %bb.360:                              ;   in Loop: Header=BB283_294 Depth=1
	v_cmp_gt_i32_e64 s0, s34, v24
	s_wait_alu 0xf1ff
	s_delay_alu instid0(VALU_DEP_1) | instskip(SKIP_2) | instid1(VALU_DEP_1)
	v_cndmask_b32_e64 v1, 0, v48, s0
	v_cmp_gt_i32_e64 s0, s34, v31
	s_wait_alu 0xf1ff
	v_cndmask_b32_e64 v9, 0, v46, s0
	v_cmp_gt_i32_e64 s0, s34, v30
	s_delay_alu instid0(VALU_DEP_2) | instskip(SKIP_1) | instid1(VALU_DEP_2)
	v_or_b32_e32 v9, v9, v1
	s_wait_alu 0xf1ff
	v_cndmask_b32_e64 v40, 0, v43, s0
	v_cmp_gt_i32_e64 s0, s34, v29
	s_wait_alu 0xf1ff
	s_delay_alu instid0(VALU_DEP_1) | instskip(SKIP_1) | instid1(VALU_DEP_2)
	v_cndmask_b32_e64 v10, 0, v10, s0
	v_cmp_gt_i32_e64 s0, s34, v28
	v_or_b32_e32 v1, v10, v40
	s_wait_alu 0xf1ff
	s_delay_alu instid0(VALU_DEP_2) | instskip(SKIP_2) | instid1(VALU_DEP_1)
	v_cndmask_b32_e64 v42, 0, v47, s0
	v_cmp_gt_i32_e64 s0, s34, v27
	s_wait_alu 0xf1ff
	v_cndmask_b32_e64 v43, 0, v44, s0
	v_cmp_gt_i32_e64 s0, s34, v26
	s_delay_alu instid0(VALU_DEP_2) | instskip(SKIP_1) | instid1(VALU_DEP_2)
	v_or_b32_e32 v40, v43, v42
	s_wait_alu 0xf1ff
	v_cndmask_b32_e64 v44, 0, v45, s0
	v_cmp_gt_i32_e64 s0, s34, v25
	s_wait_alu 0xf1ff
	s_delay_alu instid0(VALU_DEP_1) | instskip(NEXT) | instid1(VALU_DEP_1)
	v_cndmask_b32_e64 v41, 0, v41, s0
	v_or_b32_e32 v42, v41, v44
.LBB283_361:                            ;   in Loop: Header=BB283_294 Depth=1
	s_wait_alu 0xfffe
	s_or_b32 exec_lo, exec_lo, s15
	v_and_b32_e32 v10, 0xffff, v32
	v_and_b32_e32 v32, 0xffff, v36
	;; [unrolled: 1-line block ×4, first 2 shown]
	s_mov_b32 s15, exec_lo
	s_delay_alu instid0(VALU_DEP_3) | instskip(NEXT) | instid1(VALU_DEP_3)
	v_lshl_or_b32 v36, v34, 16, v32
	v_lshl_or_b32 v34, v38, 16, v39
	v_mov_b32_e32 v39, 0
	v_lshl_or_b32 v37, v33, 16, v10
	;;#ASMSTART
	v_pk_mul_f16 v9, v37, v9;

	;;#ASMEND
	;;#ASMSTART
	v_pk_mul_f16 v1, v36, v1;

	;;#ASMEND
	v_lshl_or_b32 v35, v35, 16, v41
	;;#ASMSTART
	v_pk_mul_f16 v10, v35, v40;

	;;#ASMEND
	;;#ASMSTART
	v_pk_mul_f16 v32, v34, v42;

	;;#ASMEND
	;;#ASMSTART
	v_pk_add_f16 v1, v9, v1;

	;;#ASMEND
	;;#ASMSTART
	v_pk_add_f16 v1, v1, v10;

	;;#ASMEND
	;;#ASMSTART
	v_pk_add_f16 v1, v1, v32;

	;;#ASMEND
	v_and_b32_e32 v9, 0xffff, v1
	v_lshrrev_b32_e32 v1, 16, v1
	;;#ASMSTART
	v_cvt_f32_f16 v32, v9;
	;;#ASMEND
	;;#ASMSTART
	v_cvt_f32_f16 v33, v1;
	;;#ASMEND
	global_load_b64 v[9:10], v[7:8], off offset:256
	global_load_b32 v38, v39, s[10:11]
	s_wait_loadcnt 0x1
	v_dual_mov_b32 v40, 0 :: v_dual_and_b32 v1, 0xff, v9
	s_delay_alu instid0(VALU_DEP_1)
	v_cmpx_ne_u16_e32 0, v1
	s_cbranch_execz .LBB283_369
; %bb.362:                              ;   in Loop: Header=BB283_294 Depth=1
	v_mov_b32_e32 v40, 0x8000
	s_mov_b32 s17, exec_lo
	v_cmpx_ne_u16_e32 0x80, v1
	s_cbranch_execz .LBB283_368
; %bb.363:                              ;   in Loop: Header=BB283_294 Depth=1
	v_and_b32_e32 v41, 0x7f, v9
	v_mov_b32_e32 v40, 0x7c01
	s_mov_b32 s18, exec_lo
	s_delay_alu instid0(VALU_DEP_2)
	v_cmpx_ne_u32_e32 0x7f, v41
	s_cbranch_execz .LBB283_367
; %bb.364:                              ;   in Loop: Header=BB283_294 Depth=1
	v_and_b32_e32 v1, 7, v9
	v_lshrrev_b32_e32 v40, 3, v41
	s_mov_b32 s19, exec_lo
	v_cmpx_gt_u32_e32 8, v41
; %bb.365:                              ;   in Loop: Header=BB283_294 Depth=1
	s_delay_alu instid0(VALU_DEP_3) | instskip(NEXT) | instid1(VALU_DEP_1)
	v_clz_i32_u32_e32 v1, v1
	v_min_u32_e32 v1, 32, v1
	s_delay_alu instid0(VALU_DEP_1) | instskip(NEXT) | instid1(VALU_DEP_1)
	v_subrev_nc_u32_e32 v40, 28, v1
	v_lshlrev_b64_e32 v[41:42], v40, v[9:10]
	v_sub_nc_u32_e32 v40, 29, v1
	s_delay_alu instid0(VALU_DEP_2)
	v_and_b32_e32 v1, 7, v41
; %bb.366:                              ;   in Loop: Header=BB283_294 Depth=1
	s_wait_alu 0xfffe
	s_or_b32 exec_lo, exec_lo, s19
	v_lshlrev_b32_e32 v41, 8, v9
	v_lshl_add_u32 v40, v40, 10, 0x2000
	v_lshlrev_b32_e32 v1, 7, v1
	s_delay_alu instid0(VALU_DEP_3) | instskip(NEXT) | instid1(VALU_DEP_3)
	v_and_b32_e32 v41, 0x8000, v41
	v_and_b32_e32 v40, 0xfc00, v40
	s_delay_alu instid0(VALU_DEP_1)
	v_or3_b32 v40, v41, v40, v1
.LBB283_367:                            ;   in Loop: Header=BB283_294 Depth=1
	s_wait_alu 0xfffe
	s_or_b32 exec_lo, exec_lo, s18
.LBB283_368:                            ;   in Loop: Header=BB283_294 Depth=1
	s_wait_alu 0xfffe
	s_or_b32 exec_lo, exec_lo, s17
.LBB283_369:                            ;   in Loop: Header=BB283_294 Depth=1
	s_wait_alu 0xfffe
	s_or_b32 exec_lo, exec_lo, s15
	v_lshrrev_b16 v1, 8, v9
	s_mov_b32 s15, exec_lo
	s_delay_alu instid0(VALU_DEP_1)
	v_cmpx_ne_u16_e32 0, v1
	s_cbranch_execz .LBB283_377
; %bb.370:                              ;   in Loop: Header=BB283_294 Depth=1
	v_bfrev_b32_e32 v39, 1
	s_mov_b32 s17, exec_lo
	v_cmpx_ne_u16_e32 0x80, v1
	s_cbranch_execz .LBB283_376
; %bb.371:                              ;   in Loop: Header=BB283_294 Depth=1
	v_and_b32_e32 v41, 0xffff, v1
	v_mov_b32_e32 v39, 0x7c010000
	s_mov_b32 s18, exec_lo
	s_delay_alu instid0(VALU_DEP_2) | instskip(NEXT) | instid1(VALU_DEP_1)
	v_and_b32_e32 v43, 0x7f, v41
	v_cmpx_ne_u32_e32 0x7f, v43
	s_cbranch_execz .LBB283_375
; %bb.372:                              ;   in Loop: Header=BB283_294 Depth=1
	v_and_b32_e32 v39, 7, v41
	v_lshrrev_b32_e32 v42, 3, v43
	s_mov_b32 s19, exec_lo
	v_cmpx_gt_u32_e32 8, v43
; %bb.373:                              ;   in Loop: Header=BB283_294 Depth=1
	s_delay_alu instid0(VALU_DEP_3) | instskip(NEXT) | instid1(VALU_DEP_1)
	v_clz_i32_u32_e32 v39, v39
	v_min_u32_e32 v39, 32, v39
	s_delay_alu instid0(VALU_DEP_1) | instskip(NEXT) | instid1(VALU_DEP_1)
	v_subrev_nc_u32_e32 v42, 28, v39
	v_lshlrev_b64_e32 v[43:44], v42, v[1:2]
	v_sub_nc_u32_e32 v42, 29, v39
	s_delay_alu instid0(VALU_DEP_2)
	v_and_b32_e32 v39, 7, v43
; %bb.374:                              ;   in Loop: Header=BB283_294 Depth=1
	s_wait_alu 0xfffe
	s_or_b32 exec_lo, exec_lo, s19
	v_lshlrev_b32_e32 v1, 8, v41
	v_lshl_add_u32 v41, v42, 10, 0x2000
	v_lshlrev_b32_e32 v39, 23, v39
	s_delay_alu instid0(VALU_DEP_2) | instskip(NEXT) | instid1(VALU_DEP_1)
	v_and_or_b32 v1, 0x8000, v1, v41
	v_lshl_or_b32 v39, v1, 16, v39
.LBB283_375:                            ;   in Loop: Header=BB283_294 Depth=1
	s_wait_alu 0xfffe
	s_or_b32 exec_lo, exec_lo, s18
.LBB283_376:                            ;   in Loop: Header=BB283_294 Depth=1
	s_wait_alu 0xfffe
	s_or_b32 exec_lo, exec_lo, s17
.LBB283_377:                            ;   in Loop: Header=BB283_294 Depth=1
	s_wait_alu 0xfffe
	s_or_b32 exec_lo, exec_lo, s15
	v_lshrrev_b32_e32 v1, 16, v9
	v_mov_b32_e32 v41, 0
	s_mov_b32 s15, exec_lo
	s_delay_alu instid0(VALU_DEP_2) | instskip(NEXT) | instid1(VALU_DEP_1)
	v_dual_mov_b32 v42, 0 :: v_dual_and_b32 v43, 0xff, v1
	v_cmpx_ne_u16_e32 0, v43
	s_cbranch_execz .LBB283_385
; %bb.378:                              ;   in Loop: Header=BB283_294 Depth=1
	v_mov_b32_e32 v42, 0x8000
	s_mov_b32 s17, exec_lo
	v_cmpx_ne_u16_e32 0x80, v43
	s_cbranch_execz .LBB283_384
; %bb.379:                              ;   in Loop: Header=BB283_294 Depth=1
	v_bfe_u32 v44, v9, 16, 7
	v_mov_b32_e32 v42, 0x7c01
	s_mov_b32 s18, exec_lo
	s_delay_alu instid0(VALU_DEP_2)
	v_cmpx_ne_u32_e32 0x7f, v44
	s_cbranch_execz .LBB283_383
; %bb.380:                              ;   in Loop: Header=BB283_294 Depth=1
	v_and_b32_e32 v42, 7, v1
	v_lshrrev_b32_e32 v43, 3, v44
	s_mov_b32 s19, exec_lo
	v_cmpx_gt_u32_e32 8, v44
; %bb.381:                              ;   in Loop: Header=BB283_294 Depth=1
	s_delay_alu instid0(VALU_DEP_3) | instskip(NEXT) | instid1(VALU_DEP_1)
	v_clz_i32_u32_e32 v42, v42
	v_min_u32_e32 v44, 32, v42
	s_delay_alu instid0(VALU_DEP_1) | instskip(NEXT) | instid1(VALU_DEP_1)
	v_subrev_nc_u32_e32 v42, 28, v44
	v_lshlrev_b64_e32 v[42:43], v42, v[1:2]
	v_sub_nc_u32_e32 v43, 29, v44
	s_delay_alu instid0(VALU_DEP_2)
	v_and_b32_e32 v42, 7, v42
; %bb.382:                              ;   in Loop: Header=BB283_294 Depth=1
	s_wait_alu 0xfffe
	s_or_b32 exec_lo, exec_lo, s19
	v_lshlrev_b32_e32 v1, 8, v1
	v_lshl_add_u32 v43, v43, 10, 0x2000
	v_lshlrev_b32_e32 v42, 7, v42
	s_delay_alu instid0(VALU_DEP_3) | instskip(NEXT) | instid1(VALU_DEP_3)
	v_and_b32_e32 v1, 0x8000, v1
	v_and_b32_e32 v43, 0xfc00, v43
	s_delay_alu instid0(VALU_DEP_1)
	v_or3_b32 v42, v1, v43, v42
.LBB283_383:                            ;   in Loop: Header=BB283_294 Depth=1
	s_wait_alu 0xfffe
	s_or_b32 exec_lo, exec_lo, s18
.LBB283_384:                            ;   in Loop: Header=BB283_294 Depth=1
	s_wait_alu 0xfffe
	s_or_b32 exec_lo, exec_lo, s17
.LBB283_385:                            ;   in Loop: Header=BB283_294 Depth=1
	s_wait_alu 0xfffe
	s_or_b32 exec_lo, exec_lo, s15
	s_delay_alu instid0(SALU_CYCLE_1)
	s_mov_b32 s15, exec_lo
	v_cmpx_lt_u32_e32 0xffffff, v9
	s_cbranch_execz .LBB283_393
; %bb.386:                              ;   in Loop: Header=BB283_294 Depth=1
	v_lshrrev_b32_e32 v1, 24, v9
	v_bfrev_b32_e32 v41, 1
	s_mov_b32 s17, exec_lo
	s_delay_alu instid0(VALU_DEP_2)
	v_cmpx_ne_u32_e32 0x80, v1
	s_cbranch_execz .LBB283_392
; %bb.387:                              ;   in Loop: Header=BB283_294 Depth=1
	v_and_b32_e32 v44, 0x7f, v1
	v_mov_b32_e32 v41, 0x7c010000
	s_mov_b32 s18, exec_lo
	s_delay_alu instid0(VALU_DEP_2)
	v_cmpx_ne_u32_e32 0x7f, v44
	s_cbranch_execz .LBB283_391
; %bb.388:                              ;   in Loop: Header=BB283_294 Depth=1
	v_and_b32_e32 v41, 7, v1
	v_lshrrev_b32_e32 v43, 3, v44
	s_mov_b32 s19, exec_lo
	v_cmpx_gt_u32_e32 8, v44
; %bb.389:                              ;   in Loop: Header=BB283_294 Depth=1
	s_delay_alu instid0(VALU_DEP_3) | instskip(NEXT) | instid1(VALU_DEP_1)
	v_clz_i32_u32_e32 v41, v41
	v_min_u32_e32 v41, 32, v41
	s_delay_alu instid0(VALU_DEP_1) | instskip(NEXT) | instid1(VALU_DEP_1)
	v_subrev_nc_u32_e32 v43, 28, v41
	v_lshlrev_b64_e32 v[44:45], v43, v[1:2]
	v_sub_nc_u32_e32 v43, 29, v41
	s_delay_alu instid0(VALU_DEP_2)
	v_and_b32_e32 v41, 7, v44
; %bb.390:                              ;   in Loop: Header=BB283_294 Depth=1
	s_wait_alu 0xfffe
	s_or_b32 exec_lo, exec_lo, s19
	v_lshlrev_b32_e32 v1, 8, v1
	v_lshl_add_u32 v43, v43, 10, 0x2000
	v_lshlrev_b32_e32 v41, 23, v41
	s_delay_alu instid0(VALU_DEP_2) | instskip(NEXT) | instid1(VALU_DEP_1)
	v_and_or_b32 v1, 0x8000, v1, v43
	v_lshl_or_b32 v41, v1, 16, v41
.LBB283_391:                            ;   in Loop: Header=BB283_294 Depth=1
	s_wait_alu 0xfffe
	s_or_b32 exec_lo, exec_lo, s18
.LBB283_392:                            ;   in Loop: Header=BB283_294 Depth=1
	s_wait_alu 0xfffe
	s_or_b32 exec_lo, exec_lo, s17
.LBB283_393:                            ;   in Loop: Header=BB283_294 Depth=1
	s_wait_alu 0xfffe
	s_or_b32 exec_lo, exec_lo, s15
	v_dual_mov_b32 v44, 0 :: v_dual_and_b32 v45, 0xff, v10
	v_mov_b32_e32 v1, v10
	v_mov_b32_e32 v43, 0
	s_mov_b32 s15, exec_lo
	s_delay_alu instid0(VALU_DEP_3)
	v_cmpx_ne_u16_e32 0, v45
	s_cbranch_execz .LBB283_401
; %bb.394:                              ;   in Loop: Header=BB283_294 Depth=1
	v_mov_b32_e32 v44, 0x8000
	s_mov_b32 s17, exec_lo
	v_cmpx_ne_u16_e32 0x80, v45
	s_cbranch_execz .LBB283_400
; %bb.395:                              ;   in Loop: Header=BB283_294 Depth=1
	v_and_b32_e32 v46, 0x7f, v10
	v_mov_b32_e32 v44, 0x7c01
	s_mov_b32 s18, exec_lo
	s_delay_alu instid0(VALU_DEP_2)
	v_cmpx_ne_u32_e32 0x7f, v46
	s_cbranch_execz .LBB283_399
; %bb.396:                              ;   in Loop: Header=BB283_294 Depth=1
	v_and_b32_e32 v44, 7, v10
	v_lshrrev_b32_e32 v45, 3, v46
	s_mov_b32 s19, exec_lo
	v_cmpx_gt_u32_e32 8, v46
; %bb.397:                              ;   in Loop: Header=BB283_294 Depth=1
	s_delay_alu instid0(VALU_DEP_3) | instskip(NEXT) | instid1(VALU_DEP_1)
	v_clz_i32_u32_e32 v44, v44
	v_min_u32_e32 v46, 32, v44
	s_delay_alu instid0(VALU_DEP_1) | instskip(NEXT) | instid1(VALU_DEP_1)
	v_subrev_nc_u32_e32 v44, 28, v46
	v_lshlrev_b64_e32 v[44:45], v44, v[1:2]
	v_sub_nc_u32_e32 v45, 29, v46
	s_delay_alu instid0(VALU_DEP_2)
	v_and_b32_e32 v44, 7, v44
; %bb.398:                              ;   in Loop: Header=BB283_294 Depth=1
	s_wait_alu 0xfffe
	s_or_b32 exec_lo, exec_lo, s19
	v_lshlrev_b32_e32 v46, 8, v10
	v_lshl_add_u32 v45, v45, 10, 0x2000
	v_lshlrev_b32_e32 v44, 7, v44
	s_delay_alu instid0(VALU_DEP_3) | instskip(NEXT) | instid1(VALU_DEP_3)
	v_and_b32_e32 v46, 0x8000, v46
	v_and_b32_e32 v45, 0xfc00, v45
	s_delay_alu instid0(VALU_DEP_1)
	v_or3_b32 v44, v46, v45, v44
.LBB283_399:                            ;   in Loop: Header=BB283_294 Depth=1
	s_wait_alu 0xfffe
	s_or_b32 exec_lo, exec_lo, s18
.LBB283_400:                            ;   in Loop: Header=BB283_294 Depth=1
	s_wait_alu 0xfffe
	s_or_b32 exec_lo, exec_lo, s17
.LBB283_401:                            ;   in Loop: Header=BB283_294 Depth=1
	s_wait_alu 0xfffe
	s_or_b32 exec_lo, exec_lo, s15
	v_lshrrev_b16 v1, 8, v1
	v_mov_b32_e32 v45, 0
	s_mov_b32 s15, exec_lo
	s_delay_alu instid0(VALU_DEP_2)
	v_cmpx_ne_u16_e32 0, v1
	s_cbranch_execz .LBB283_409
; %bb.402:                              ;   in Loop: Header=BB283_294 Depth=1
	v_bfrev_b32_e32 v45, 1
	s_mov_b32 s17, exec_lo
	v_cmpx_ne_u16_e32 0x80, v1
	s_cbranch_execz .LBB283_408
; %bb.403:                              ;   in Loop: Header=BB283_294 Depth=1
	v_and_b32_e32 v46, 0xffff, v1
	v_mov_b32_e32 v45, 0x7c010000
	s_mov_b32 s18, exec_lo
	s_delay_alu instid0(VALU_DEP_2) | instskip(NEXT) | instid1(VALU_DEP_1)
	v_and_b32_e32 v48, 0x7f, v46
	v_cmpx_ne_u32_e32 0x7f, v48
	s_cbranch_execz .LBB283_407
; %bb.404:                              ;   in Loop: Header=BB283_294 Depth=1
	v_and_b32_e32 v45, 7, v46
	v_lshrrev_b32_e32 v47, 3, v48
	s_mov_b32 s19, exec_lo
	v_cmpx_gt_u32_e32 8, v48
; %bb.405:                              ;   in Loop: Header=BB283_294 Depth=1
	s_delay_alu instid0(VALU_DEP_3) | instskip(NEXT) | instid1(VALU_DEP_1)
	v_clz_i32_u32_e32 v45, v45
	v_min_u32_e32 v45, 32, v45
	s_delay_alu instid0(VALU_DEP_1) | instskip(NEXT) | instid1(VALU_DEP_1)
	v_subrev_nc_u32_e32 v47, 28, v45
	v_lshlrev_b64_e32 v[48:49], v47, v[1:2]
	v_sub_nc_u32_e32 v47, 29, v45
	s_delay_alu instid0(VALU_DEP_2)
	v_and_b32_e32 v45, 7, v48
; %bb.406:                              ;   in Loop: Header=BB283_294 Depth=1
	s_wait_alu 0xfffe
	s_or_b32 exec_lo, exec_lo, s19
	v_lshlrev_b32_e32 v1, 8, v46
	v_lshl_add_u32 v46, v47, 10, 0x2000
	v_lshlrev_b32_e32 v45, 23, v45
	s_delay_alu instid0(VALU_DEP_2) | instskip(NEXT) | instid1(VALU_DEP_1)
	v_and_or_b32 v1, 0x8000, v1, v46
	v_lshl_or_b32 v45, v1, 16, v45
.LBB283_407:                            ;   in Loop: Header=BB283_294 Depth=1
	s_wait_alu 0xfffe
	s_or_b32 exec_lo, exec_lo, s18
.LBB283_408:                            ;   in Loop: Header=BB283_294 Depth=1
	s_wait_alu 0xfffe
	s_or_b32 exec_lo, exec_lo, s17
.LBB283_409:                            ;   in Loop: Header=BB283_294 Depth=1
	s_wait_alu 0xfffe
	s_or_b32 exec_lo, exec_lo, s15
	v_lshrrev_b32_e32 v1, 16, v10
	s_mov_b32 s15, exec_lo
	s_delay_alu instid0(VALU_DEP_1) | instskip(NEXT) | instid1(VALU_DEP_1)
	v_and_b32_e32 v46, 0xff, v1
	v_cmpx_ne_u16_e32 0, v46
	s_cbranch_execz .LBB283_417
; %bb.410:                              ;   in Loop: Header=BB283_294 Depth=1
	v_mov_b32_e32 v43, 0x8000
	s_mov_b32 s17, exec_lo
	v_cmpx_ne_u16_e32 0x80, v46
	s_cbranch_execz .LBB283_416
; %bb.411:                              ;   in Loop: Header=BB283_294 Depth=1
	v_bfe_u32 v47, v10, 16, 7
	v_mov_b32_e32 v43, 0x7c01
	s_mov_b32 s18, exec_lo
	s_delay_alu instid0(VALU_DEP_2)
	v_cmpx_ne_u32_e32 0x7f, v47
	s_cbranch_execz .LBB283_415
; %bb.412:                              ;   in Loop: Header=BB283_294 Depth=1
	v_and_b32_e32 v43, 7, v1
	v_lshrrev_b32_e32 v46, 3, v47
	s_mov_b32 s19, exec_lo
	v_cmpx_gt_u32_e32 8, v47
; %bb.413:                              ;   in Loop: Header=BB283_294 Depth=1
	s_delay_alu instid0(VALU_DEP_3) | instskip(NEXT) | instid1(VALU_DEP_1)
	v_clz_i32_u32_e32 v43, v43
	v_min_u32_e32 v43, 32, v43
	s_delay_alu instid0(VALU_DEP_1) | instskip(NEXT) | instid1(VALU_DEP_1)
	v_subrev_nc_u32_e32 v46, 28, v43
	v_lshlrev_b64_e32 v[47:48], v46, v[1:2]
	v_sub_nc_u32_e32 v46, 29, v43
	s_delay_alu instid0(VALU_DEP_2)
	v_and_b32_e32 v43, 7, v47
; %bb.414:                              ;   in Loop: Header=BB283_294 Depth=1
	s_wait_alu 0xfffe
	s_or_b32 exec_lo, exec_lo, s19
	v_lshlrev_b32_e32 v1, 8, v1
	v_lshl_add_u32 v46, v46, 10, 0x2000
	v_lshlrev_b32_e32 v43, 7, v43
	s_delay_alu instid0(VALU_DEP_3) | instskip(NEXT) | instid1(VALU_DEP_3)
	v_and_b32_e32 v1, 0x8000, v1
	v_and_b32_e32 v46, 0xfc00, v46
	s_delay_alu instid0(VALU_DEP_1)
	v_or3_b32 v43, v1, v46, v43
.LBB283_415:                            ;   in Loop: Header=BB283_294 Depth=1
	s_wait_alu 0xfffe
	s_or_b32 exec_lo, exec_lo, s18
.LBB283_416:                            ;   in Loop: Header=BB283_294 Depth=1
	s_wait_alu 0xfffe
	s_or_b32 exec_lo, exec_lo, s17
.LBB283_417:                            ;   in Loop: Header=BB283_294 Depth=1
	s_wait_alu 0xfffe
	s_or_b32 exec_lo, exec_lo, s15
	v_cmp_lt_u64_e64 s0, s[2:3], v[9:10]
	v_mov_b32_e32 v9, 0
	s_and_saveexec_b32 s15, s0
	s_cbranch_execz .LBB283_425
; %bb.418:                              ;   in Loop: Header=BB283_294 Depth=1
	v_lshrrev_b32_e32 v1, 24, v10
	v_bfrev_b32_e32 v9, 1
	s_mov_b32 s17, exec_lo
	s_delay_alu instid0(VALU_DEP_2)
	v_cmpx_ne_u32_e32 0x80, v1
	s_cbranch_execz .LBB283_424
; %bb.419:                              ;   in Loop: Header=BB283_294 Depth=1
	v_and_b32_e32 v46, 0x7f, v1
	v_mov_b32_e32 v9, 0x7c010000
	s_mov_b32 s18, exec_lo
	s_delay_alu instid0(VALU_DEP_2)
	v_cmpx_ne_u32_e32 0x7f, v46
	s_cbranch_execz .LBB283_423
; %bb.420:                              ;   in Loop: Header=BB283_294 Depth=1
	v_and_b32_e32 v9, 7, v1
	v_lshrrev_b32_e32 v10, 3, v46
	s_mov_b32 s19, exec_lo
	v_cmpx_gt_u32_e32 8, v46
; %bb.421:                              ;   in Loop: Header=BB283_294 Depth=1
	s_delay_alu instid0(VALU_DEP_3) | instskip(NEXT) | instid1(VALU_DEP_1)
	v_clz_i32_u32_e32 v9, v9
	v_min_u32_e32 v46, 32, v9
	s_delay_alu instid0(VALU_DEP_1) | instskip(NEXT) | instid1(VALU_DEP_1)
	v_subrev_nc_u32_e32 v9, 28, v46
	v_lshlrev_b64_e32 v[9:10], v9, v[1:2]
	v_sub_nc_u32_e32 v10, 29, v46
	s_delay_alu instid0(VALU_DEP_2)
	v_and_b32_e32 v9, 7, v9
; %bb.422:                              ;   in Loop: Header=BB283_294 Depth=1
	s_wait_alu 0xfffe
	s_or_b32 exec_lo, exec_lo, s19
	v_lshlrev_b32_e32 v1, 8, v1
	v_lshl_add_u32 v10, v10, 10, 0x2000
	v_lshlrev_b32_e32 v9, 23, v9
	s_delay_alu instid0(VALU_DEP_2) | instskip(NEXT) | instid1(VALU_DEP_1)
	v_and_or_b32 v1, 0x8000, v1, v10
	v_lshl_or_b32 v9, v1, 16, v9
.LBB283_423:                            ;   in Loop: Header=BB283_294 Depth=1
	s_wait_alu 0xfffe
	s_or_b32 exec_lo, exec_lo, s18
.LBB283_424:                            ;   in Loop: Header=BB283_294 Depth=1
	s_wait_alu 0xfffe
	s_or_b32 exec_lo, exec_lo, s17
.LBB283_425:                            ;   in Loop: Header=BB283_294 Depth=1
	s_wait_alu 0xfffe
	s_or_b32 exec_lo, exec_lo, s15
	v_or_b32_e32 v1, v41, v42
	s_wait_loadcnt 0x0
	v_fma_mixlo_f16 v10, v38, v41, 0 op_sel:[0,1,0] op_sel_hi:[0,1,0]
	v_or_b32_e32 v41, v39, v40
	v_fma_mixlo_f16 v39, v38, v39, 0 op_sel:[0,1,0] op_sel_hi:[0,1,0]
	v_or_b32_e32 v42, v45, v44
	v_or_b32_e32 v43, v9, v43
	v_fma_mixlo_f16 v44, v38, v1, 0 op_sel_hi:[0,1,0]
	v_fma_mixlo_f16 v9, v38, v9, 0 op_sel:[0,1,0] op_sel_hi:[0,1,0]
	v_lshlrev_b32_e32 v40, 16, v39
	v_fma_mixlo_f16 v39, v38, v41, 0 op_sel_hi:[0,1,0]
	v_fma_mixlo_f16 v41, v38, v45, 0 op_sel:[0,1,0] op_sel_hi:[0,1,0]
	v_fma_mixlo_f16 v42, v38, v42, 0 op_sel_hi:[0,1,0]
	v_fma_mixlo_f16 v43, v38, v43, 0 op_sel_hi:[0,1,0]
	v_lshlrev_b32_e32 v1, 16, v10
	v_and_b32_e32 v10, 0xffff, v44
	v_and_b32_e32 v46, 0xffff, v39
	v_lshlrev_b32_e32 v38, 16, v41
	v_and_b32_e32 v42, 0xffff, v42
	v_lshlrev_b32_e32 v9, 16, v9
	v_and_b32_e32 v39, 0xffff, v43
	v_or_b32_e32 v41, v1, v10
	v_or_b32_e32 v45, v40, v46
	;; [unrolled: 1-line block ×3, first 2 shown]
	s_delay_alu instid0(VALU_DEP_4)
	v_or_b32_e32 v43, v9, v39
	s_and_saveexec_b32 s15, vcc_lo
	s_cbranch_execz .LBB283_427
; %bb.426:                              ;   in Loop: Header=BB283_294 Depth=1
	v_cmp_gt_i32_e64 s0, s34, v24
	s_wait_alu 0xf1ff
	s_delay_alu instid0(VALU_DEP_1) | instskip(SKIP_2) | instid1(VALU_DEP_1)
	v_cndmask_b32_e64 v41, 0, v46, s0
	v_cmp_gt_i32_e64 s0, s34, v31
	s_wait_alu 0xf1ff
	v_cndmask_b32_e64 v40, 0, v40, s0
	v_cmp_gt_i32_e64 s0, s34, v30
	s_delay_alu instid0(VALU_DEP_2) | instskip(SKIP_1) | instid1(VALU_DEP_2)
	v_or_b32_e32 v45, v40, v41
	s_wait_alu 0xf1ff
	v_cndmask_b32_e64 v10, 0, v10, s0
	v_cmp_gt_i32_e64 s0, s34, v29
	s_wait_alu 0xf1ff
	s_delay_alu instid0(VALU_DEP_1) | instskip(SKIP_1) | instid1(VALU_DEP_2)
	v_cndmask_b32_e64 v1, 0, v1, s0
	v_cmp_gt_i32_e64 s0, s34, v28
	v_or_b32_e32 v41, v1, v10
	s_wait_alu 0xf1ff
	s_delay_alu instid0(VALU_DEP_2) | instskip(SKIP_2) | instid1(VALU_DEP_1)
	v_cndmask_b32_e64 v42, 0, v42, s0
	v_cmp_gt_i32_e64 s0, s34, v27
	s_wait_alu 0xf1ff
	v_cndmask_b32_e64 v38, 0, v38, s0
	v_cmp_gt_i32_e64 s0, s34, v26
	s_delay_alu instid0(VALU_DEP_2) | instskip(SKIP_1) | instid1(VALU_DEP_2)
	v_or_b32_e32 v44, v38, v42
	s_wait_alu 0xf1ff
	v_cndmask_b32_e64 v39, 0, v39, s0
	v_cmp_gt_i32_e64 s0, s34, v25
	s_wait_alu 0xf1ff
	s_delay_alu instid0(VALU_DEP_1) | instskip(NEXT) | instid1(VALU_DEP_1)
	v_cndmask_b32_e64 v9, 0, v9, s0
	v_or_b32_e32 v43, v9, v39
.LBB283_427:                            ;   in Loop: Header=BB283_294 Depth=1
	s_wait_alu 0xfffe
	s_or_b32 exec_lo, exec_lo, s15
	;;#ASMSTART
	v_pk_mul_f16 v1, v37, v45;

	;;#ASMEND
	;;#ASMSTART
	v_pk_mul_f16 v9, v36, v41;

	;;#ASMEND
	;; [unrolled: 4-line block ×4, first 2 shown]
	;;#ASMSTART
	v_pk_add_f16 v1, v1, v9;

	;;#ASMEND
	;;#ASMSTART
	v_pk_add_f16 v1, v1, v10;

	;;#ASMEND
	;; [unrolled: 4-line block ×3, first 2 shown]
	v_dual_mov_b32 v42, 0 :: v_dual_and_b32 v9, 0xffff, v1
	v_lshrrev_b32_e32 v1, 16, v1
	;;#ASMSTART
	v_cvt_f32_f16 v38, v9;
	;;#ASMEND
	;;#ASMSTART
	v_cvt_f32_f16 v39, v1;
	;;#ASMEND
	global_load_b64 v[9:10], v[7:8], off offset:512
	v_mov_b32_e32 v41, 0
	s_mov_b32 s15, exec_lo
	global_load_b32 v40, v41, s[10:11]
	s_wait_loadcnt 0x1
	v_and_b32_e32 v1, 0xff, v9
	s_delay_alu instid0(VALU_DEP_1)
	v_cmpx_ne_u16_e32 0, v1
	s_cbranch_execz .LBB283_435
; %bb.428:                              ;   in Loop: Header=BB283_294 Depth=1
	v_mov_b32_e32 v42, 0x8000
	s_mov_b32 s17, exec_lo
	v_cmpx_ne_u16_e32 0x80, v1
	s_cbranch_execz .LBB283_434
; %bb.429:                              ;   in Loop: Header=BB283_294 Depth=1
	v_and_b32_e32 v43, 0x7f, v9
	v_mov_b32_e32 v42, 0x7c01
	s_mov_b32 s18, exec_lo
	s_delay_alu instid0(VALU_DEP_2)
	v_cmpx_ne_u32_e32 0x7f, v43
	s_cbranch_execz .LBB283_433
; %bb.430:                              ;   in Loop: Header=BB283_294 Depth=1
	v_and_b32_e32 v1, 7, v9
	v_lshrrev_b32_e32 v42, 3, v43
	s_mov_b32 s19, exec_lo
	v_cmpx_gt_u32_e32 8, v43
; %bb.431:                              ;   in Loop: Header=BB283_294 Depth=1
	s_delay_alu instid0(VALU_DEP_3) | instskip(NEXT) | instid1(VALU_DEP_1)
	v_clz_i32_u32_e32 v1, v1
	v_min_u32_e32 v1, 32, v1
	s_delay_alu instid0(VALU_DEP_1) | instskip(NEXT) | instid1(VALU_DEP_1)
	v_subrev_nc_u32_e32 v42, 28, v1
	v_lshlrev_b64_e32 v[43:44], v42, v[9:10]
	v_sub_nc_u32_e32 v42, 29, v1
	s_delay_alu instid0(VALU_DEP_2)
	v_and_b32_e32 v1, 7, v43
; %bb.432:                              ;   in Loop: Header=BB283_294 Depth=1
	s_wait_alu 0xfffe
	s_or_b32 exec_lo, exec_lo, s19
	v_lshlrev_b32_e32 v43, 8, v9
	v_lshl_add_u32 v42, v42, 10, 0x2000
	v_lshlrev_b32_e32 v1, 7, v1
	s_delay_alu instid0(VALU_DEP_3) | instskip(NEXT) | instid1(VALU_DEP_3)
	v_and_b32_e32 v43, 0x8000, v43
	v_and_b32_e32 v42, 0xfc00, v42
	s_delay_alu instid0(VALU_DEP_1)
	v_or3_b32 v42, v43, v42, v1
.LBB283_433:                            ;   in Loop: Header=BB283_294 Depth=1
	s_wait_alu 0xfffe
	s_or_b32 exec_lo, exec_lo, s18
.LBB283_434:                            ;   in Loop: Header=BB283_294 Depth=1
	s_wait_alu 0xfffe
	s_or_b32 exec_lo, exec_lo, s17
.LBB283_435:                            ;   in Loop: Header=BB283_294 Depth=1
	s_wait_alu 0xfffe
	s_or_b32 exec_lo, exec_lo, s15
	v_lshrrev_b16 v1, 8, v9
	s_mov_b32 s15, exec_lo
	s_delay_alu instid0(VALU_DEP_1)
	v_cmpx_ne_u16_e32 0, v1
	s_cbranch_execz .LBB283_443
; %bb.436:                              ;   in Loop: Header=BB283_294 Depth=1
	v_bfrev_b32_e32 v41, 1
	s_mov_b32 s17, exec_lo
	v_cmpx_ne_u16_e32 0x80, v1
	s_cbranch_execz .LBB283_442
; %bb.437:                              ;   in Loop: Header=BB283_294 Depth=1
	v_and_b32_e32 v43, 0xffff, v1
	v_mov_b32_e32 v41, 0x7c010000
	s_mov_b32 s18, exec_lo
	s_delay_alu instid0(VALU_DEP_2) | instskip(NEXT) | instid1(VALU_DEP_1)
	v_and_b32_e32 v45, 0x7f, v43
	v_cmpx_ne_u32_e32 0x7f, v45
	s_cbranch_execz .LBB283_441
; %bb.438:                              ;   in Loop: Header=BB283_294 Depth=1
	v_and_b32_e32 v41, 7, v43
	v_lshrrev_b32_e32 v44, 3, v45
	s_mov_b32 s19, exec_lo
	v_cmpx_gt_u32_e32 8, v45
; %bb.439:                              ;   in Loop: Header=BB283_294 Depth=1
	s_delay_alu instid0(VALU_DEP_3) | instskip(NEXT) | instid1(VALU_DEP_1)
	v_clz_i32_u32_e32 v41, v41
	v_min_u32_e32 v41, 32, v41
	s_delay_alu instid0(VALU_DEP_1) | instskip(NEXT) | instid1(VALU_DEP_1)
	v_subrev_nc_u32_e32 v44, 28, v41
	v_lshlrev_b64_e32 v[45:46], v44, v[1:2]
	v_sub_nc_u32_e32 v44, 29, v41
	s_delay_alu instid0(VALU_DEP_2)
	v_and_b32_e32 v41, 7, v45
; %bb.440:                              ;   in Loop: Header=BB283_294 Depth=1
	s_wait_alu 0xfffe
	s_or_b32 exec_lo, exec_lo, s19
	v_lshlrev_b32_e32 v1, 8, v43
	v_lshl_add_u32 v43, v44, 10, 0x2000
	v_lshlrev_b32_e32 v41, 23, v41
	s_delay_alu instid0(VALU_DEP_2) | instskip(NEXT) | instid1(VALU_DEP_1)
	v_and_or_b32 v1, 0x8000, v1, v43
	v_lshl_or_b32 v41, v1, 16, v41
.LBB283_441:                            ;   in Loop: Header=BB283_294 Depth=1
	s_wait_alu 0xfffe
	s_or_b32 exec_lo, exec_lo, s18
.LBB283_442:                            ;   in Loop: Header=BB283_294 Depth=1
	s_wait_alu 0xfffe
	s_or_b32 exec_lo, exec_lo, s17
.LBB283_443:                            ;   in Loop: Header=BB283_294 Depth=1
	s_wait_alu 0xfffe
	s_or_b32 exec_lo, exec_lo, s15
	v_lshrrev_b32_e32 v1, 16, v9
	v_mov_b32_e32 v43, 0
	s_mov_b32 s15, exec_lo
	s_delay_alu instid0(VALU_DEP_2) | instskip(NEXT) | instid1(VALU_DEP_1)
	v_dual_mov_b32 v44, 0 :: v_dual_and_b32 v45, 0xff, v1
	v_cmpx_ne_u16_e32 0, v45
	s_cbranch_execz .LBB283_451
; %bb.444:                              ;   in Loop: Header=BB283_294 Depth=1
	v_mov_b32_e32 v44, 0x8000
	s_mov_b32 s17, exec_lo
	v_cmpx_ne_u16_e32 0x80, v45
	s_cbranch_execz .LBB283_450
; %bb.445:                              ;   in Loop: Header=BB283_294 Depth=1
	v_bfe_u32 v46, v9, 16, 7
	v_mov_b32_e32 v44, 0x7c01
	s_mov_b32 s18, exec_lo
	s_delay_alu instid0(VALU_DEP_2)
	v_cmpx_ne_u32_e32 0x7f, v46
	s_cbranch_execz .LBB283_449
; %bb.446:                              ;   in Loop: Header=BB283_294 Depth=1
	v_and_b32_e32 v44, 7, v1
	v_lshrrev_b32_e32 v45, 3, v46
	s_mov_b32 s19, exec_lo
	v_cmpx_gt_u32_e32 8, v46
; %bb.447:                              ;   in Loop: Header=BB283_294 Depth=1
	s_delay_alu instid0(VALU_DEP_3) | instskip(NEXT) | instid1(VALU_DEP_1)
	v_clz_i32_u32_e32 v44, v44
	v_min_u32_e32 v46, 32, v44
	s_delay_alu instid0(VALU_DEP_1) | instskip(NEXT) | instid1(VALU_DEP_1)
	v_subrev_nc_u32_e32 v44, 28, v46
	v_lshlrev_b64_e32 v[44:45], v44, v[1:2]
	v_sub_nc_u32_e32 v45, 29, v46
	s_delay_alu instid0(VALU_DEP_2)
	v_and_b32_e32 v44, 7, v44
; %bb.448:                              ;   in Loop: Header=BB283_294 Depth=1
	s_wait_alu 0xfffe
	s_or_b32 exec_lo, exec_lo, s19
	v_lshlrev_b32_e32 v1, 8, v1
	v_lshl_add_u32 v45, v45, 10, 0x2000
	v_lshlrev_b32_e32 v44, 7, v44
	s_delay_alu instid0(VALU_DEP_3) | instskip(NEXT) | instid1(VALU_DEP_3)
	v_and_b32_e32 v1, 0x8000, v1
	v_and_b32_e32 v45, 0xfc00, v45
	s_delay_alu instid0(VALU_DEP_1)
	v_or3_b32 v44, v1, v45, v44
.LBB283_449:                            ;   in Loop: Header=BB283_294 Depth=1
	s_wait_alu 0xfffe
	s_or_b32 exec_lo, exec_lo, s18
.LBB283_450:                            ;   in Loop: Header=BB283_294 Depth=1
	s_wait_alu 0xfffe
	s_or_b32 exec_lo, exec_lo, s17
.LBB283_451:                            ;   in Loop: Header=BB283_294 Depth=1
	s_wait_alu 0xfffe
	s_or_b32 exec_lo, exec_lo, s15
	s_delay_alu instid0(SALU_CYCLE_1)
	s_mov_b32 s15, exec_lo
	v_cmpx_lt_u32_e32 0xffffff, v9
	s_cbranch_execz .LBB283_459
; %bb.452:                              ;   in Loop: Header=BB283_294 Depth=1
	v_lshrrev_b32_e32 v1, 24, v9
	v_bfrev_b32_e32 v43, 1
	s_mov_b32 s17, exec_lo
	s_delay_alu instid0(VALU_DEP_2)
	v_cmpx_ne_u32_e32 0x80, v1
	s_cbranch_execz .LBB283_458
; %bb.453:                              ;   in Loop: Header=BB283_294 Depth=1
	v_and_b32_e32 v46, 0x7f, v1
	v_mov_b32_e32 v43, 0x7c010000
	s_mov_b32 s18, exec_lo
	s_delay_alu instid0(VALU_DEP_2)
	v_cmpx_ne_u32_e32 0x7f, v46
	s_cbranch_execz .LBB283_457
; %bb.454:                              ;   in Loop: Header=BB283_294 Depth=1
	v_and_b32_e32 v43, 7, v1
	v_lshrrev_b32_e32 v45, 3, v46
	s_mov_b32 s19, exec_lo
	v_cmpx_gt_u32_e32 8, v46
; %bb.455:                              ;   in Loop: Header=BB283_294 Depth=1
	s_delay_alu instid0(VALU_DEP_3) | instskip(NEXT) | instid1(VALU_DEP_1)
	v_clz_i32_u32_e32 v43, v43
	v_min_u32_e32 v43, 32, v43
	s_delay_alu instid0(VALU_DEP_1) | instskip(NEXT) | instid1(VALU_DEP_1)
	v_subrev_nc_u32_e32 v45, 28, v43
	v_lshlrev_b64_e32 v[46:47], v45, v[1:2]
	v_sub_nc_u32_e32 v45, 29, v43
	s_delay_alu instid0(VALU_DEP_2)
	v_and_b32_e32 v43, 7, v46
; %bb.456:                              ;   in Loop: Header=BB283_294 Depth=1
	s_wait_alu 0xfffe
	s_or_b32 exec_lo, exec_lo, s19
	v_lshlrev_b32_e32 v1, 8, v1
	v_lshl_add_u32 v45, v45, 10, 0x2000
	v_lshlrev_b32_e32 v43, 23, v43
	s_delay_alu instid0(VALU_DEP_2) | instskip(NEXT) | instid1(VALU_DEP_1)
	v_and_or_b32 v1, 0x8000, v1, v45
	v_lshl_or_b32 v43, v1, 16, v43
.LBB283_457:                            ;   in Loop: Header=BB283_294 Depth=1
	s_wait_alu 0xfffe
	s_or_b32 exec_lo, exec_lo, s18
.LBB283_458:                            ;   in Loop: Header=BB283_294 Depth=1
	s_wait_alu 0xfffe
	s_or_b32 exec_lo, exec_lo, s17
.LBB283_459:                            ;   in Loop: Header=BB283_294 Depth=1
	s_wait_alu 0xfffe
	s_or_b32 exec_lo, exec_lo, s15
	v_dual_mov_b32 v46, 0 :: v_dual_and_b32 v47, 0xff, v10
	v_mov_b32_e32 v1, v10
	v_mov_b32_e32 v45, 0
	s_mov_b32 s15, exec_lo
	s_delay_alu instid0(VALU_DEP_3)
	v_cmpx_ne_u16_e32 0, v47
	s_cbranch_execz .LBB283_467
; %bb.460:                              ;   in Loop: Header=BB283_294 Depth=1
	v_mov_b32_e32 v46, 0x8000
	s_mov_b32 s17, exec_lo
	v_cmpx_ne_u16_e32 0x80, v47
	s_cbranch_execz .LBB283_466
; %bb.461:                              ;   in Loop: Header=BB283_294 Depth=1
	v_and_b32_e32 v48, 0x7f, v10
	v_mov_b32_e32 v46, 0x7c01
	s_mov_b32 s18, exec_lo
	s_delay_alu instid0(VALU_DEP_2)
	v_cmpx_ne_u32_e32 0x7f, v48
	s_cbranch_execz .LBB283_465
; %bb.462:                              ;   in Loop: Header=BB283_294 Depth=1
	v_and_b32_e32 v46, 7, v10
	v_lshrrev_b32_e32 v47, 3, v48
	s_mov_b32 s19, exec_lo
	v_cmpx_gt_u32_e32 8, v48
; %bb.463:                              ;   in Loop: Header=BB283_294 Depth=1
	s_delay_alu instid0(VALU_DEP_3) | instskip(NEXT) | instid1(VALU_DEP_1)
	v_clz_i32_u32_e32 v46, v46
	v_min_u32_e32 v48, 32, v46
	s_delay_alu instid0(VALU_DEP_1) | instskip(NEXT) | instid1(VALU_DEP_1)
	v_subrev_nc_u32_e32 v46, 28, v48
	v_lshlrev_b64_e32 v[46:47], v46, v[1:2]
	v_sub_nc_u32_e32 v47, 29, v48
	s_delay_alu instid0(VALU_DEP_2)
	v_and_b32_e32 v46, 7, v46
; %bb.464:                              ;   in Loop: Header=BB283_294 Depth=1
	s_wait_alu 0xfffe
	s_or_b32 exec_lo, exec_lo, s19
	v_lshlrev_b32_e32 v48, 8, v10
	v_lshl_add_u32 v47, v47, 10, 0x2000
	v_lshlrev_b32_e32 v46, 7, v46
	s_delay_alu instid0(VALU_DEP_3) | instskip(NEXT) | instid1(VALU_DEP_3)
	v_and_b32_e32 v48, 0x8000, v48
	v_and_b32_e32 v47, 0xfc00, v47
	s_delay_alu instid0(VALU_DEP_1)
	v_or3_b32 v46, v48, v47, v46
.LBB283_465:                            ;   in Loop: Header=BB283_294 Depth=1
	s_wait_alu 0xfffe
	s_or_b32 exec_lo, exec_lo, s18
.LBB283_466:                            ;   in Loop: Header=BB283_294 Depth=1
	s_wait_alu 0xfffe
	s_or_b32 exec_lo, exec_lo, s17
.LBB283_467:                            ;   in Loop: Header=BB283_294 Depth=1
	s_wait_alu 0xfffe
	s_or_b32 exec_lo, exec_lo, s15
	v_lshrrev_b16 v1, 8, v1
	v_mov_b32_e32 v47, 0
	s_mov_b32 s15, exec_lo
	s_delay_alu instid0(VALU_DEP_2)
	v_cmpx_ne_u16_e32 0, v1
	s_cbranch_execz .LBB283_475
; %bb.468:                              ;   in Loop: Header=BB283_294 Depth=1
	v_bfrev_b32_e32 v47, 1
	s_mov_b32 s17, exec_lo
	v_cmpx_ne_u16_e32 0x80, v1
	s_cbranch_execz .LBB283_474
; %bb.469:                              ;   in Loop: Header=BB283_294 Depth=1
	v_and_b32_e32 v48, 0xffff, v1
	v_mov_b32_e32 v47, 0x7c010000
	s_mov_b32 s18, exec_lo
	s_delay_alu instid0(VALU_DEP_2) | instskip(NEXT) | instid1(VALU_DEP_1)
	v_and_b32_e32 v50, 0x7f, v48
	v_cmpx_ne_u32_e32 0x7f, v50
	s_cbranch_execz .LBB283_473
; %bb.470:                              ;   in Loop: Header=BB283_294 Depth=1
	v_and_b32_e32 v47, 7, v48
	v_lshrrev_b32_e32 v49, 3, v50
	s_mov_b32 s19, exec_lo
	v_cmpx_gt_u32_e32 8, v50
; %bb.471:                              ;   in Loop: Header=BB283_294 Depth=1
	s_delay_alu instid0(VALU_DEP_3) | instskip(NEXT) | instid1(VALU_DEP_1)
	v_clz_i32_u32_e32 v47, v47
	v_min_u32_e32 v47, 32, v47
	s_delay_alu instid0(VALU_DEP_1) | instskip(NEXT) | instid1(VALU_DEP_1)
	v_subrev_nc_u32_e32 v49, 28, v47
	v_lshlrev_b64_e32 v[50:51], v49, v[1:2]
	v_sub_nc_u32_e32 v49, 29, v47
	s_delay_alu instid0(VALU_DEP_2)
	v_and_b32_e32 v47, 7, v50
; %bb.472:                              ;   in Loop: Header=BB283_294 Depth=1
	s_wait_alu 0xfffe
	s_or_b32 exec_lo, exec_lo, s19
	v_lshlrev_b32_e32 v1, 8, v48
	v_lshl_add_u32 v48, v49, 10, 0x2000
	v_lshlrev_b32_e32 v47, 23, v47
	s_delay_alu instid0(VALU_DEP_2) | instskip(NEXT) | instid1(VALU_DEP_1)
	v_and_or_b32 v1, 0x8000, v1, v48
	v_lshl_or_b32 v47, v1, 16, v47
.LBB283_473:                            ;   in Loop: Header=BB283_294 Depth=1
	s_wait_alu 0xfffe
	s_or_b32 exec_lo, exec_lo, s18
.LBB283_474:                            ;   in Loop: Header=BB283_294 Depth=1
	s_wait_alu 0xfffe
	s_or_b32 exec_lo, exec_lo, s17
.LBB283_475:                            ;   in Loop: Header=BB283_294 Depth=1
	s_wait_alu 0xfffe
	s_or_b32 exec_lo, exec_lo, s15
	v_lshrrev_b32_e32 v1, 16, v10
	s_mov_b32 s15, exec_lo
	s_delay_alu instid0(VALU_DEP_1) | instskip(NEXT) | instid1(VALU_DEP_1)
	v_and_b32_e32 v48, 0xff, v1
	v_cmpx_ne_u16_e32 0, v48
	s_cbranch_execz .LBB283_483
; %bb.476:                              ;   in Loop: Header=BB283_294 Depth=1
	v_mov_b32_e32 v45, 0x8000
	s_mov_b32 s17, exec_lo
	v_cmpx_ne_u16_e32 0x80, v48
	s_cbranch_execz .LBB283_482
; %bb.477:                              ;   in Loop: Header=BB283_294 Depth=1
	v_bfe_u32 v49, v10, 16, 7
	v_mov_b32_e32 v45, 0x7c01
	s_mov_b32 s18, exec_lo
	s_delay_alu instid0(VALU_DEP_2)
	v_cmpx_ne_u32_e32 0x7f, v49
	s_cbranch_execz .LBB283_481
; %bb.478:                              ;   in Loop: Header=BB283_294 Depth=1
	v_and_b32_e32 v45, 7, v1
	v_lshrrev_b32_e32 v48, 3, v49
	s_mov_b32 s19, exec_lo
	v_cmpx_gt_u32_e32 8, v49
; %bb.479:                              ;   in Loop: Header=BB283_294 Depth=1
	s_delay_alu instid0(VALU_DEP_3) | instskip(NEXT) | instid1(VALU_DEP_1)
	v_clz_i32_u32_e32 v45, v45
	v_min_u32_e32 v45, 32, v45
	s_delay_alu instid0(VALU_DEP_1) | instskip(NEXT) | instid1(VALU_DEP_1)
	v_subrev_nc_u32_e32 v48, 28, v45
	v_lshlrev_b64_e32 v[49:50], v48, v[1:2]
	v_sub_nc_u32_e32 v48, 29, v45
	s_delay_alu instid0(VALU_DEP_2)
	v_and_b32_e32 v45, 7, v49
; %bb.480:                              ;   in Loop: Header=BB283_294 Depth=1
	s_wait_alu 0xfffe
	s_or_b32 exec_lo, exec_lo, s19
	v_lshlrev_b32_e32 v1, 8, v1
	v_lshl_add_u32 v48, v48, 10, 0x2000
	v_lshlrev_b32_e32 v45, 7, v45
	s_delay_alu instid0(VALU_DEP_3) | instskip(NEXT) | instid1(VALU_DEP_3)
	v_and_b32_e32 v1, 0x8000, v1
	v_and_b32_e32 v48, 0xfc00, v48
	s_delay_alu instid0(VALU_DEP_1)
	v_or3_b32 v45, v1, v48, v45
.LBB283_481:                            ;   in Loop: Header=BB283_294 Depth=1
	s_wait_alu 0xfffe
	s_or_b32 exec_lo, exec_lo, s18
.LBB283_482:                            ;   in Loop: Header=BB283_294 Depth=1
	s_wait_alu 0xfffe
	s_or_b32 exec_lo, exec_lo, s17
.LBB283_483:                            ;   in Loop: Header=BB283_294 Depth=1
	s_wait_alu 0xfffe
	s_or_b32 exec_lo, exec_lo, s15
	v_cmp_lt_u64_e64 s0, s[2:3], v[9:10]
	v_mov_b32_e32 v9, 0
	s_and_saveexec_b32 s15, s0
	s_cbranch_execz .LBB283_491
; %bb.484:                              ;   in Loop: Header=BB283_294 Depth=1
	v_lshrrev_b32_e32 v1, 24, v10
	v_bfrev_b32_e32 v9, 1
	s_mov_b32 s17, exec_lo
	s_delay_alu instid0(VALU_DEP_2)
	v_cmpx_ne_u32_e32 0x80, v1
	s_cbranch_execz .LBB283_490
; %bb.485:                              ;   in Loop: Header=BB283_294 Depth=1
	v_and_b32_e32 v48, 0x7f, v1
	v_mov_b32_e32 v9, 0x7c010000
	s_mov_b32 s18, exec_lo
	s_delay_alu instid0(VALU_DEP_2)
	v_cmpx_ne_u32_e32 0x7f, v48
	s_cbranch_execz .LBB283_489
; %bb.486:                              ;   in Loop: Header=BB283_294 Depth=1
	v_and_b32_e32 v9, 7, v1
	v_lshrrev_b32_e32 v10, 3, v48
	s_mov_b32 s19, exec_lo
	v_cmpx_gt_u32_e32 8, v48
; %bb.487:                              ;   in Loop: Header=BB283_294 Depth=1
	s_delay_alu instid0(VALU_DEP_3) | instskip(NEXT) | instid1(VALU_DEP_1)
	v_clz_i32_u32_e32 v9, v9
	v_min_u32_e32 v48, 32, v9
	s_delay_alu instid0(VALU_DEP_1) | instskip(NEXT) | instid1(VALU_DEP_1)
	v_subrev_nc_u32_e32 v9, 28, v48
	v_lshlrev_b64_e32 v[9:10], v9, v[1:2]
	v_sub_nc_u32_e32 v10, 29, v48
	s_delay_alu instid0(VALU_DEP_2)
	v_and_b32_e32 v9, 7, v9
; %bb.488:                              ;   in Loop: Header=BB283_294 Depth=1
	s_wait_alu 0xfffe
	s_or_b32 exec_lo, exec_lo, s19
	v_lshlrev_b32_e32 v1, 8, v1
	v_lshl_add_u32 v10, v10, 10, 0x2000
	v_lshlrev_b32_e32 v9, 23, v9
	s_delay_alu instid0(VALU_DEP_2) | instskip(NEXT) | instid1(VALU_DEP_1)
	v_and_or_b32 v1, 0x8000, v1, v10
	v_lshl_or_b32 v9, v1, 16, v9
.LBB283_489:                            ;   in Loop: Header=BB283_294 Depth=1
	s_wait_alu 0xfffe
	s_or_b32 exec_lo, exec_lo, s18
.LBB283_490:                            ;   in Loop: Header=BB283_294 Depth=1
	s_wait_alu 0xfffe
	s_or_b32 exec_lo, exec_lo, s17
.LBB283_491:                            ;   in Loop: Header=BB283_294 Depth=1
	s_wait_alu 0xfffe
	s_or_b32 exec_lo, exec_lo, s15
	v_or_b32_e32 v1, v43, v44
	s_wait_loadcnt 0x0
	v_fma_mixlo_f16 v10, v40, v43, 0 op_sel:[0,1,0] op_sel_hi:[0,1,0]
	v_or_b32_e32 v43, v41, v42
	v_fma_mixlo_f16 v41, v40, v41, 0 op_sel:[0,1,0] op_sel_hi:[0,1,0]
	v_or_b32_e32 v44, v47, v46
	v_or_b32_e32 v45, v9, v45
	v_fma_mixlo_f16 v46, v40, v1, 0 op_sel_hi:[0,1,0]
	v_fma_mixlo_f16 v9, v40, v9, 0 op_sel:[0,1,0] op_sel_hi:[0,1,0]
	v_lshlrev_b32_e32 v42, 16, v41
	v_fma_mixlo_f16 v41, v40, v43, 0 op_sel_hi:[0,1,0]
	v_fma_mixlo_f16 v43, v40, v47, 0 op_sel:[0,1,0] op_sel_hi:[0,1,0]
	v_fma_mixlo_f16 v44, v40, v44, 0 op_sel_hi:[0,1,0]
	v_fma_mixlo_f16 v45, v40, v45, 0 op_sel_hi:[0,1,0]
	v_lshlrev_b32_e32 v1, 16, v10
	v_and_b32_e32 v10, 0xffff, v46
	v_and_b32_e32 v48, 0xffff, v41
	v_lshlrev_b32_e32 v40, 16, v43
	v_and_b32_e32 v44, 0xffff, v44
	v_lshlrev_b32_e32 v9, 16, v9
	v_and_b32_e32 v41, 0xffff, v45
	v_or_b32_e32 v43, v1, v10
	v_or_b32_e32 v47, v42, v48
	;; [unrolled: 1-line block ×3, first 2 shown]
	s_delay_alu instid0(VALU_DEP_4)
	v_or_b32_e32 v45, v9, v41
	s_and_saveexec_b32 s15, vcc_lo
	s_cbranch_execz .LBB283_493
; %bb.492:                              ;   in Loop: Header=BB283_294 Depth=1
	v_cmp_gt_i32_e64 s0, s34, v24
	s_wait_alu 0xf1ff
	s_delay_alu instid0(VALU_DEP_1) | instskip(SKIP_2) | instid1(VALU_DEP_1)
	v_cndmask_b32_e64 v43, 0, v48, s0
	v_cmp_gt_i32_e64 s0, s34, v31
	s_wait_alu 0xf1ff
	v_cndmask_b32_e64 v42, 0, v42, s0
	v_cmp_gt_i32_e64 s0, s34, v30
	s_delay_alu instid0(VALU_DEP_2) | instskip(SKIP_1) | instid1(VALU_DEP_2)
	v_or_b32_e32 v47, v42, v43
	s_wait_alu 0xf1ff
	v_cndmask_b32_e64 v10, 0, v10, s0
	v_cmp_gt_i32_e64 s0, s34, v29
	s_wait_alu 0xf1ff
	s_delay_alu instid0(VALU_DEP_1) | instskip(SKIP_1) | instid1(VALU_DEP_2)
	v_cndmask_b32_e64 v1, 0, v1, s0
	v_cmp_gt_i32_e64 s0, s34, v28
	v_or_b32_e32 v43, v1, v10
	s_wait_alu 0xf1ff
	s_delay_alu instid0(VALU_DEP_2) | instskip(SKIP_2) | instid1(VALU_DEP_1)
	v_cndmask_b32_e64 v44, 0, v44, s0
	v_cmp_gt_i32_e64 s0, s34, v27
	s_wait_alu 0xf1ff
	v_cndmask_b32_e64 v40, 0, v40, s0
	v_cmp_gt_i32_e64 s0, s34, v26
	s_delay_alu instid0(VALU_DEP_2) | instskip(SKIP_1) | instid1(VALU_DEP_2)
	v_or_b32_e32 v46, v40, v44
	s_wait_alu 0xf1ff
	v_cndmask_b32_e64 v41, 0, v41, s0
	v_cmp_gt_i32_e64 s0, s34, v25
	s_wait_alu 0xf1ff
	s_delay_alu instid0(VALU_DEP_1) | instskip(NEXT) | instid1(VALU_DEP_1)
	v_cndmask_b32_e64 v9, 0, v9, s0
	v_or_b32_e32 v45, v9, v41
.LBB283_493:                            ;   in Loop: Header=BB283_294 Depth=1
	s_wait_alu 0xfffe
	s_or_b32 exec_lo, exec_lo, s15
	;;#ASMSTART
	v_pk_mul_f16 v1, v37, v47;

	;;#ASMEND
	;;#ASMSTART
	v_pk_mul_f16 v9, v36, v43;

	;;#ASMEND
	;; [unrolled: 4-line block ×4, first 2 shown]
	;;#ASMSTART
	v_pk_add_f16 v1, v1, v9;

	;;#ASMEND
	;;#ASMSTART
	v_pk_add_f16 v1, v1, v10;

	;;#ASMEND
	;;#ASMSTART
	v_pk_add_f16 v1, v1, v40;

	;;#ASMEND
	v_dual_mov_b32 v42, 0 :: v_dual_and_b32 v9, 0xffff, v1
	v_lshrrev_b32_e32 v1, 16, v1
	;;#ASMSTART
	v_cvt_f32_f16 v9, v9;
	;;#ASMEND
	;;#ASMSTART
	v_cvt_f32_f16 v10, v1;
	;;#ASMEND
	global_load_b64 v[7:8], v[7:8], off offset:768
	v_mov_b32_e32 v41, 0
	s_mov_b32 s15, exec_lo
	global_load_b32 v40, v41, s[10:11]
	s_wait_loadcnt 0x1
	v_and_b32_e32 v1, 0xff, v7
	s_delay_alu instid0(VALU_DEP_1)
	v_cmpx_ne_u16_e32 0, v1
	s_cbranch_execz .LBB283_501
; %bb.494:                              ;   in Loop: Header=BB283_294 Depth=1
	v_mov_b32_e32 v42, 0x8000
	s_mov_b32 s17, exec_lo
	v_cmpx_ne_u16_e32 0x80, v1
	s_cbranch_execz .LBB283_500
; %bb.495:                              ;   in Loop: Header=BB283_294 Depth=1
	v_and_b32_e32 v43, 0x7f, v7
	v_mov_b32_e32 v42, 0x7c01
	s_mov_b32 s18, exec_lo
	s_delay_alu instid0(VALU_DEP_2)
	v_cmpx_ne_u32_e32 0x7f, v43
	s_cbranch_execz .LBB283_499
; %bb.496:                              ;   in Loop: Header=BB283_294 Depth=1
	v_and_b32_e32 v1, 7, v7
	v_lshrrev_b32_e32 v42, 3, v43
	s_mov_b32 s19, exec_lo
	v_cmpx_gt_u32_e32 8, v43
; %bb.497:                              ;   in Loop: Header=BB283_294 Depth=1
	s_delay_alu instid0(VALU_DEP_3) | instskip(NEXT) | instid1(VALU_DEP_1)
	v_clz_i32_u32_e32 v1, v1
	v_min_u32_e32 v1, 32, v1
	s_delay_alu instid0(VALU_DEP_1) | instskip(NEXT) | instid1(VALU_DEP_1)
	v_subrev_nc_u32_e32 v42, 28, v1
	v_lshlrev_b64_e32 v[43:44], v42, v[7:8]
	v_sub_nc_u32_e32 v42, 29, v1
	s_delay_alu instid0(VALU_DEP_2)
	v_and_b32_e32 v1, 7, v43
; %bb.498:                              ;   in Loop: Header=BB283_294 Depth=1
	s_wait_alu 0xfffe
	s_or_b32 exec_lo, exec_lo, s19
	v_lshlrev_b32_e32 v43, 8, v7
	v_lshl_add_u32 v42, v42, 10, 0x2000
	v_lshlrev_b32_e32 v1, 7, v1
	s_delay_alu instid0(VALU_DEP_3) | instskip(NEXT) | instid1(VALU_DEP_3)
	v_and_b32_e32 v43, 0x8000, v43
	v_and_b32_e32 v42, 0xfc00, v42
	s_delay_alu instid0(VALU_DEP_1)
	v_or3_b32 v42, v43, v42, v1
.LBB283_499:                            ;   in Loop: Header=BB283_294 Depth=1
	s_wait_alu 0xfffe
	s_or_b32 exec_lo, exec_lo, s18
.LBB283_500:                            ;   in Loop: Header=BB283_294 Depth=1
	s_wait_alu 0xfffe
	s_or_b32 exec_lo, exec_lo, s17
.LBB283_501:                            ;   in Loop: Header=BB283_294 Depth=1
	s_wait_alu 0xfffe
	s_or_b32 exec_lo, exec_lo, s15
	v_lshrrev_b16 v1, 8, v7
	s_mov_b32 s15, exec_lo
	s_delay_alu instid0(VALU_DEP_1)
	v_cmpx_ne_u16_e32 0, v1
	s_cbranch_execz .LBB283_509
; %bb.502:                              ;   in Loop: Header=BB283_294 Depth=1
	v_bfrev_b32_e32 v41, 1
	s_mov_b32 s17, exec_lo
	v_cmpx_ne_u16_e32 0x80, v1
	s_cbranch_execz .LBB283_508
; %bb.503:                              ;   in Loop: Header=BB283_294 Depth=1
	v_and_b32_e32 v43, 0xffff, v1
	v_mov_b32_e32 v41, 0x7c010000
	s_mov_b32 s18, exec_lo
	s_delay_alu instid0(VALU_DEP_2) | instskip(NEXT) | instid1(VALU_DEP_1)
	v_and_b32_e32 v45, 0x7f, v43
	v_cmpx_ne_u32_e32 0x7f, v45
	s_cbranch_execz .LBB283_507
; %bb.504:                              ;   in Loop: Header=BB283_294 Depth=1
	v_and_b32_e32 v41, 7, v43
	v_lshrrev_b32_e32 v44, 3, v45
	s_mov_b32 s19, exec_lo
	v_cmpx_gt_u32_e32 8, v45
; %bb.505:                              ;   in Loop: Header=BB283_294 Depth=1
	s_delay_alu instid0(VALU_DEP_3) | instskip(NEXT) | instid1(VALU_DEP_1)
	v_clz_i32_u32_e32 v41, v41
	v_min_u32_e32 v41, 32, v41
	s_delay_alu instid0(VALU_DEP_1) | instskip(NEXT) | instid1(VALU_DEP_1)
	v_subrev_nc_u32_e32 v44, 28, v41
	v_lshlrev_b64_e32 v[45:46], v44, v[1:2]
	v_sub_nc_u32_e32 v44, 29, v41
	s_delay_alu instid0(VALU_DEP_2)
	v_and_b32_e32 v41, 7, v45
; %bb.506:                              ;   in Loop: Header=BB283_294 Depth=1
	s_wait_alu 0xfffe
	s_or_b32 exec_lo, exec_lo, s19
	v_lshlrev_b32_e32 v1, 8, v43
	v_lshl_add_u32 v43, v44, 10, 0x2000
	v_lshlrev_b32_e32 v41, 23, v41
	s_delay_alu instid0(VALU_DEP_2) | instskip(NEXT) | instid1(VALU_DEP_1)
	v_and_or_b32 v1, 0x8000, v1, v43
	v_lshl_or_b32 v41, v1, 16, v41
.LBB283_507:                            ;   in Loop: Header=BB283_294 Depth=1
	s_wait_alu 0xfffe
	s_or_b32 exec_lo, exec_lo, s18
.LBB283_508:                            ;   in Loop: Header=BB283_294 Depth=1
	s_wait_alu 0xfffe
	s_or_b32 exec_lo, exec_lo, s17
.LBB283_509:                            ;   in Loop: Header=BB283_294 Depth=1
	s_wait_alu 0xfffe
	s_or_b32 exec_lo, exec_lo, s15
	v_lshrrev_b32_e32 v1, 16, v7
	v_mov_b32_e32 v43, 0
	s_mov_b32 s15, exec_lo
	s_delay_alu instid0(VALU_DEP_2) | instskip(NEXT) | instid1(VALU_DEP_1)
	v_dual_mov_b32 v44, 0 :: v_dual_and_b32 v45, 0xff, v1
	v_cmpx_ne_u16_e32 0, v45
	s_cbranch_execz .LBB283_517
; %bb.510:                              ;   in Loop: Header=BB283_294 Depth=1
	v_mov_b32_e32 v44, 0x8000
	s_mov_b32 s17, exec_lo
	v_cmpx_ne_u16_e32 0x80, v45
	s_cbranch_execz .LBB283_516
; %bb.511:                              ;   in Loop: Header=BB283_294 Depth=1
	v_bfe_u32 v46, v7, 16, 7
	v_mov_b32_e32 v44, 0x7c01
	s_mov_b32 s18, exec_lo
	s_delay_alu instid0(VALU_DEP_2)
	v_cmpx_ne_u32_e32 0x7f, v46
	s_cbranch_execz .LBB283_515
; %bb.512:                              ;   in Loop: Header=BB283_294 Depth=1
	v_and_b32_e32 v44, 7, v1
	v_lshrrev_b32_e32 v45, 3, v46
	s_mov_b32 s19, exec_lo
	v_cmpx_gt_u32_e32 8, v46
; %bb.513:                              ;   in Loop: Header=BB283_294 Depth=1
	s_delay_alu instid0(VALU_DEP_3) | instskip(NEXT) | instid1(VALU_DEP_1)
	v_clz_i32_u32_e32 v44, v44
	v_min_u32_e32 v46, 32, v44
	s_delay_alu instid0(VALU_DEP_1) | instskip(NEXT) | instid1(VALU_DEP_1)
	v_subrev_nc_u32_e32 v44, 28, v46
	v_lshlrev_b64_e32 v[44:45], v44, v[1:2]
	v_sub_nc_u32_e32 v45, 29, v46
	s_delay_alu instid0(VALU_DEP_2)
	v_and_b32_e32 v44, 7, v44
; %bb.514:                              ;   in Loop: Header=BB283_294 Depth=1
	s_wait_alu 0xfffe
	s_or_b32 exec_lo, exec_lo, s19
	v_lshlrev_b32_e32 v1, 8, v1
	v_lshl_add_u32 v45, v45, 10, 0x2000
	v_lshlrev_b32_e32 v44, 7, v44
	s_delay_alu instid0(VALU_DEP_3) | instskip(NEXT) | instid1(VALU_DEP_3)
	v_and_b32_e32 v1, 0x8000, v1
	v_and_b32_e32 v45, 0xfc00, v45
	s_delay_alu instid0(VALU_DEP_1)
	v_or3_b32 v44, v1, v45, v44
.LBB283_515:                            ;   in Loop: Header=BB283_294 Depth=1
	s_wait_alu 0xfffe
	s_or_b32 exec_lo, exec_lo, s18
.LBB283_516:                            ;   in Loop: Header=BB283_294 Depth=1
	s_wait_alu 0xfffe
	s_or_b32 exec_lo, exec_lo, s17
.LBB283_517:                            ;   in Loop: Header=BB283_294 Depth=1
	s_wait_alu 0xfffe
	s_or_b32 exec_lo, exec_lo, s15
	s_delay_alu instid0(SALU_CYCLE_1)
	s_mov_b32 s15, exec_lo
	v_cmpx_lt_u32_e32 0xffffff, v7
	s_cbranch_execz .LBB283_525
; %bb.518:                              ;   in Loop: Header=BB283_294 Depth=1
	v_lshrrev_b32_e32 v1, 24, v7
	v_bfrev_b32_e32 v43, 1
	s_mov_b32 s17, exec_lo
	s_delay_alu instid0(VALU_DEP_2)
	v_cmpx_ne_u32_e32 0x80, v1
	s_cbranch_execz .LBB283_524
; %bb.519:                              ;   in Loop: Header=BB283_294 Depth=1
	v_and_b32_e32 v46, 0x7f, v1
	v_mov_b32_e32 v43, 0x7c010000
	s_mov_b32 s18, exec_lo
	s_delay_alu instid0(VALU_DEP_2)
	v_cmpx_ne_u32_e32 0x7f, v46
	s_cbranch_execz .LBB283_523
; %bb.520:                              ;   in Loop: Header=BB283_294 Depth=1
	v_and_b32_e32 v43, 7, v1
	v_lshrrev_b32_e32 v45, 3, v46
	s_mov_b32 s19, exec_lo
	v_cmpx_gt_u32_e32 8, v46
; %bb.521:                              ;   in Loop: Header=BB283_294 Depth=1
	s_delay_alu instid0(VALU_DEP_3) | instskip(NEXT) | instid1(VALU_DEP_1)
	v_clz_i32_u32_e32 v43, v43
	v_min_u32_e32 v43, 32, v43
	s_delay_alu instid0(VALU_DEP_1) | instskip(NEXT) | instid1(VALU_DEP_1)
	v_subrev_nc_u32_e32 v45, 28, v43
	v_lshlrev_b64_e32 v[46:47], v45, v[1:2]
	v_sub_nc_u32_e32 v45, 29, v43
	s_delay_alu instid0(VALU_DEP_2)
	v_and_b32_e32 v43, 7, v46
; %bb.522:                              ;   in Loop: Header=BB283_294 Depth=1
	s_wait_alu 0xfffe
	s_or_b32 exec_lo, exec_lo, s19
	v_lshlrev_b32_e32 v1, 8, v1
	v_lshl_add_u32 v45, v45, 10, 0x2000
	v_lshlrev_b32_e32 v43, 23, v43
	s_delay_alu instid0(VALU_DEP_2) | instskip(NEXT) | instid1(VALU_DEP_1)
	v_and_or_b32 v1, 0x8000, v1, v45
	v_lshl_or_b32 v43, v1, 16, v43
.LBB283_523:                            ;   in Loop: Header=BB283_294 Depth=1
	s_wait_alu 0xfffe
	s_or_b32 exec_lo, exec_lo, s18
.LBB283_524:                            ;   in Loop: Header=BB283_294 Depth=1
	s_wait_alu 0xfffe
	s_or_b32 exec_lo, exec_lo, s17
.LBB283_525:                            ;   in Loop: Header=BB283_294 Depth=1
	s_wait_alu 0xfffe
	s_or_b32 exec_lo, exec_lo, s15
	v_dual_mov_b32 v46, 0 :: v_dual_and_b32 v47, 0xff, v8
	v_mov_b32_e32 v1, v8
	v_mov_b32_e32 v45, 0
	s_mov_b32 s15, exec_lo
	s_delay_alu instid0(VALU_DEP_3)
	v_cmpx_ne_u16_e32 0, v47
	s_cbranch_execz .LBB283_533
; %bb.526:                              ;   in Loop: Header=BB283_294 Depth=1
	v_mov_b32_e32 v46, 0x8000
	s_mov_b32 s17, exec_lo
	v_cmpx_ne_u16_e32 0x80, v47
	s_cbranch_execz .LBB283_532
; %bb.527:                              ;   in Loop: Header=BB283_294 Depth=1
	v_and_b32_e32 v48, 0x7f, v8
	v_mov_b32_e32 v46, 0x7c01
	s_mov_b32 s18, exec_lo
	s_delay_alu instid0(VALU_DEP_2)
	v_cmpx_ne_u32_e32 0x7f, v48
	s_cbranch_execz .LBB283_531
; %bb.528:                              ;   in Loop: Header=BB283_294 Depth=1
	v_and_b32_e32 v46, 7, v8
	v_lshrrev_b32_e32 v47, 3, v48
	s_mov_b32 s19, exec_lo
	v_cmpx_gt_u32_e32 8, v48
; %bb.529:                              ;   in Loop: Header=BB283_294 Depth=1
	s_delay_alu instid0(VALU_DEP_3) | instskip(NEXT) | instid1(VALU_DEP_1)
	v_clz_i32_u32_e32 v46, v46
	v_min_u32_e32 v48, 32, v46
	s_delay_alu instid0(VALU_DEP_1) | instskip(NEXT) | instid1(VALU_DEP_1)
	v_subrev_nc_u32_e32 v46, 28, v48
	v_lshlrev_b64_e32 v[46:47], v46, v[1:2]
	v_sub_nc_u32_e32 v47, 29, v48
	s_delay_alu instid0(VALU_DEP_2)
	v_and_b32_e32 v46, 7, v46
; %bb.530:                              ;   in Loop: Header=BB283_294 Depth=1
	s_wait_alu 0xfffe
	s_or_b32 exec_lo, exec_lo, s19
	v_lshlrev_b32_e32 v48, 8, v8
	v_lshl_add_u32 v47, v47, 10, 0x2000
	v_lshlrev_b32_e32 v46, 7, v46
	s_delay_alu instid0(VALU_DEP_3) | instskip(NEXT) | instid1(VALU_DEP_3)
	v_and_b32_e32 v48, 0x8000, v48
	v_and_b32_e32 v47, 0xfc00, v47
	s_delay_alu instid0(VALU_DEP_1)
	v_or3_b32 v46, v48, v47, v46
.LBB283_531:                            ;   in Loop: Header=BB283_294 Depth=1
	s_wait_alu 0xfffe
	s_or_b32 exec_lo, exec_lo, s18
.LBB283_532:                            ;   in Loop: Header=BB283_294 Depth=1
	s_wait_alu 0xfffe
	s_or_b32 exec_lo, exec_lo, s17
.LBB283_533:                            ;   in Loop: Header=BB283_294 Depth=1
	s_wait_alu 0xfffe
	s_or_b32 exec_lo, exec_lo, s15
	v_lshrrev_b16 v1, 8, v1
	v_mov_b32_e32 v47, 0
	s_mov_b32 s15, exec_lo
	s_delay_alu instid0(VALU_DEP_2)
	v_cmpx_ne_u16_e32 0, v1
	s_cbranch_execz .LBB283_541
; %bb.534:                              ;   in Loop: Header=BB283_294 Depth=1
	v_bfrev_b32_e32 v47, 1
	s_mov_b32 s17, exec_lo
	v_cmpx_ne_u16_e32 0x80, v1
	s_cbranch_execz .LBB283_540
; %bb.535:                              ;   in Loop: Header=BB283_294 Depth=1
	v_and_b32_e32 v48, 0xffff, v1
	v_mov_b32_e32 v47, 0x7c010000
	s_mov_b32 s18, exec_lo
	s_delay_alu instid0(VALU_DEP_2) | instskip(NEXT) | instid1(VALU_DEP_1)
	v_and_b32_e32 v50, 0x7f, v48
	v_cmpx_ne_u32_e32 0x7f, v50
	s_cbranch_execz .LBB283_539
; %bb.536:                              ;   in Loop: Header=BB283_294 Depth=1
	v_and_b32_e32 v47, 7, v48
	v_lshrrev_b32_e32 v49, 3, v50
	s_mov_b32 s19, exec_lo
	v_cmpx_gt_u32_e32 8, v50
; %bb.537:                              ;   in Loop: Header=BB283_294 Depth=1
	s_delay_alu instid0(VALU_DEP_3) | instskip(NEXT) | instid1(VALU_DEP_1)
	v_clz_i32_u32_e32 v47, v47
	v_min_u32_e32 v47, 32, v47
	s_delay_alu instid0(VALU_DEP_1) | instskip(NEXT) | instid1(VALU_DEP_1)
	v_subrev_nc_u32_e32 v49, 28, v47
	v_lshlrev_b64_e32 v[50:51], v49, v[1:2]
	v_sub_nc_u32_e32 v49, 29, v47
	s_delay_alu instid0(VALU_DEP_2)
	v_and_b32_e32 v47, 7, v50
; %bb.538:                              ;   in Loop: Header=BB283_294 Depth=1
	s_wait_alu 0xfffe
	s_or_b32 exec_lo, exec_lo, s19
	v_lshlrev_b32_e32 v1, 8, v48
	v_lshl_add_u32 v48, v49, 10, 0x2000
	v_lshlrev_b32_e32 v47, 23, v47
	s_delay_alu instid0(VALU_DEP_2) | instskip(NEXT) | instid1(VALU_DEP_1)
	v_and_or_b32 v1, 0x8000, v1, v48
	v_lshl_or_b32 v47, v1, 16, v47
.LBB283_539:                            ;   in Loop: Header=BB283_294 Depth=1
	s_wait_alu 0xfffe
	s_or_b32 exec_lo, exec_lo, s18
.LBB283_540:                            ;   in Loop: Header=BB283_294 Depth=1
	s_wait_alu 0xfffe
	s_or_b32 exec_lo, exec_lo, s17
.LBB283_541:                            ;   in Loop: Header=BB283_294 Depth=1
	s_wait_alu 0xfffe
	s_or_b32 exec_lo, exec_lo, s15
	v_lshrrev_b32_e32 v1, 16, v8
	s_mov_b32 s15, exec_lo
	s_delay_alu instid0(VALU_DEP_1) | instskip(NEXT) | instid1(VALU_DEP_1)
	v_and_b32_e32 v48, 0xff, v1
	v_cmpx_ne_u16_e32 0, v48
	s_cbranch_execz .LBB283_549
; %bb.542:                              ;   in Loop: Header=BB283_294 Depth=1
	v_mov_b32_e32 v45, 0x8000
	s_mov_b32 s17, exec_lo
	v_cmpx_ne_u16_e32 0x80, v48
	s_cbranch_execz .LBB283_548
; %bb.543:                              ;   in Loop: Header=BB283_294 Depth=1
	v_bfe_u32 v49, v8, 16, 7
	v_mov_b32_e32 v45, 0x7c01
	s_mov_b32 s18, exec_lo
	s_delay_alu instid0(VALU_DEP_2)
	v_cmpx_ne_u32_e32 0x7f, v49
	s_cbranch_execz .LBB283_547
; %bb.544:                              ;   in Loop: Header=BB283_294 Depth=1
	v_and_b32_e32 v45, 7, v1
	v_lshrrev_b32_e32 v48, 3, v49
	s_mov_b32 s19, exec_lo
	v_cmpx_gt_u32_e32 8, v49
; %bb.545:                              ;   in Loop: Header=BB283_294 Depth=1
	s_delay_alu instid0(VALU_DEP_3) | instskip(NEXT) | instid1(VALU_DEP_1)
	v_clz_i32_u32_e32 v45, v45
	v_min_u32_e32 v45, 32, v45
	s_delay_alu instid0(VALU_DEP_1) | instskip(NEXT) | instid1(VALU_DEP_1)
	v_subrev_nc_u32_e32 v48, 28, v45
	v_lshlrev_b64_e32 v[49:50], v48, v[1:2]
	v_sub_nc_u32_e32 v48, 29, v45
	s_delay_alu instid0(VALU_DEP_2)
	v_and_b32_e32 v45, 7, v49
; %bb.546:                              ;   in Loop: Header=BB283_294 Depth=1
	s_wait_alu 0xfffe
	s_or_b32 exec_lo, exec_lo, s19
	v_lshlrev_b32_e32 v1, 8, v1
	v_lshl_add_u32 v48, v48, 10, 0x2000
	v_lshlrev_b32_e32 v45, 7, v45
	s_delay_alu instid0(VALU_DEP_3) | instskip(NEXT) | instid1(VALU_DEP_3)
	v_and_b32_e32 v1, 0x8000, v1
	v_and_b32_e32 v48, 0xfc00, v48
	s_delay_alu instid0(VALU_DEP_1)
	v_or3_b32 v45, v1, v48, v45
.LBB283_547:                            ;   in Loop: Header=BB283_294 Depth=1
	s_wait_alu 0xfffe
	s_or_b32 exec_lo, exec_lo, s18
.LBB283_548:                            ;   in Loop: Header=BB283_294 Depth=1
	s_wait_alu 0xfffe
	s_or_b32 exec_lo, exec_lo, s17
.LBB283_549:                            ;   in Loop: Header=BB283_294 Depth=1
	s_wait_alu 0xfffe
	s_or_b32 exec_lo, exec_lo, s15
	v_cmp_lt_u64_e64 s0, s[2:3], v[7:8]
	v_mov_b32_e32 v7, 0
	s_and_saveexec_b32 s15, s0
	s_cbranch_execz .LBB283_557
; %bb.550:                              ;   in Loop: Header=BB283_294 Depth=1
	v_lshrrev_b32_e32 v1, 24, v8
	v_bfrev_b32_e32 v7, 1
	s_mov_b32 s17, exec_lo
	s_delay_alu instid0(VALU_DEP_2)
	v_cmpx_ne_u32_e32 0x80, v1
	s_cbranch_execz .LBB283_556
; %bb.551:                              ;   in Loop: Header=BB283_294 Depth=1
	v_and_b32_e32 v48, 0x7f, v1
	v_mov_b32_e32 v7, 0x7c010000
	s_mov_b32 s18, exec_lo
	s_delay_alu instid0(VALU_DEP_2)
	v_cmpx_ne_u32_e32 0x7f, v48
	s_cbranch_execz .LBB283_555
; %bb.552:                              ;   in Loop: Header=BB283_294 Depth=1
	v_and_b32_e32 v7, 7, v1
	v_lshrrev_b32_e32 v8, 3, v48
	s_mov_b32 s19, exec_lo
	v_cmpx_gt_u32_e32 8, v48
; %bb.553:                              ;   in Loop: Header=BB283_294 Depth=1
	s_delay_alu instid0(VALU_DEP_3) | instskip(NEXT) | instid1(VALU_DEP_1)
	v_clz_i32_u32_e32 v7, v7
	v_min_u32_e32 v48, 32, v7
	s_delay_alu instid0(VALU_DEP_1) | instskip(NEXT) | instid1(VALU_DEP_1)
	v_subrev_nc_u32_e32 v7, 28, v48
	v_lshlrev_b64_e32 v[7:8], v7, v[1:2]
	v_sub_nc_u32_e32 v8, 29, v48
	s_delay_alu instid0(VALU_DEP_2)
	v_and_b32_e32 v7, 7, v7
; %bb.554:                              ;   in Loop: Header=BB283_294 Depth=1
	s_wait_alu 0xfffe
	s_or_b32 exec_lo, exec_lo, s19
	v_lshlrev_b32_e32 v1, 8, v1
	v_lshl_add_u32 v8, v8, 10, 0x2000
	v_lshlrev_b32_e32 v7, 23, v7
	s_delay_alu instid0(VALU_DEP_2) | instskip(NEXT) | instid1(VALU_DEP_1)
	v_and_or_b32 v1, 0x8000, v1, v8
	v_lshl_or_b32 v7, v1, 16, v7
.LBB283_555:                            ;   in Loop: Header=BB283_294 Depth=1
	s_wait_alu 0xfffe
	s_or_b32 exec_lo, exec_lo, s18
.LBB283_556:                            ;   in Loop: Header=BB283_294 Depth=1
	s_wait_alu 0xfffe
	s_or_b32 exec_lo, exec_lo, s17
.LBB283_557:                            ;   in Loop: Header=BB283_294 Depth=1
	s_wait_alu 0xfffe
	s_or_b32 exec_lo, exec_lo, s15
	v_or_b32_e32 v1, v43, v44
	s_wait_loadcnt 0x0
	v_fma_mixlo_f16 v8, v40, v43, 0 op_sel:[0,1,0] op_sel_hi:[0,1,0]
	v_or_b32_e32 v42, v41, v42
	v_fma_mixlo_f16 v43, v40, v41, 0 op_sel:[0,1,0] op_sel_hi:[0,1,0]
	v_or_b32_e32 v44, v47, v46
	v_fma_mixlo_f16 v1, v40, v1, 0 op_sel_hi:[0,1,0]
	v_or_b32_e32 v45, v7, v45
	v_lshlrev_b32_e32 v41, 16, v8
	v_lshlrev_b32_e32 v46, 16, v43
	v_fma_mixlo_f16 v8, v40, v42, 0 op_sel_hi:[0,1,0]
	v_and_b32_e32 v43, 0xffff, v1
	v_fma_mixlo_f16 v1, v40, v47, 0 op_sel:[0,1,0] op_sel_hi:[0,1,0]
	v_fma_mixlo_f16 v42, v40, v44, 0 op_sel_hi:[0,1,0]
	v_fma_mixlo_f16 v7, v40, v7, 0 op_sel:[0,1,0] op_sel_hi:[0,1,0]
	v_fma_mixlo_f16 v45, v40, v45, 0 op_sel_hi:[0,1,0]
	v_and_b32_e32 v48, 0xffff, v8
	v_lshlrev_b32_e32 v44, 16, v1
	v_and_b32_e32 v47, 0xffff, v42
	v_lshlrev_b32_e32 v40, 16, v7
	v_and_b32_e32 v45, 0xffff, v45
	v_or_b32_e32 v8, v41, v43
	v_or_b32_e32 v42, v46, v48
	;; [unrolled: 1-line block ×3, first 2 shown]
	s_delay_alu instid0(VALU_DEP_4)
	v_or_b32_e32 v1, v40, v45
	s_and_saveexec_b32 s0, vcc_lo
	s_cbranch_execz .LBB283_292
; %bb.558:                              ;   in Loop: Header=BB283_294 Depth=1
	v_cmp_gt_i32_e32 vcc_lo, s34, v24
	s_wait_alu 0xfffd
	v_cndmask_b32_e32 v1, 0, v48, vcc_lo
	v_cmp_gt_i32_e32 vcc_lo, s34, v31
	s_wait_alu 0xfffd
	v_cndmask_b32_e32 v7, 0, v46, vcc_lo
	;; [unrolled: 3-line block ×4, first 2 shown]
	v_cmp_gt_i32_e32 vcc_lo, s34, v28
	v_or_b32_e32 v42, v7, v1
	s_delay_alu instid0(VALU_DEP_3)
	v_or_b32_e32 v8, v24, v8
	s_wait_alu 0xfffd
	v_cndmask_b32_e32 v28, 0, v47, vcc_lo
	v_cmp_gt_i32_e32 vcc_lo, s34, v27
	s_wait_alu 0xfffd
	v_cndmask_b32_e32 v27, 0, v44, vcc_lo
	v_cmp_gt_i32_e32 vcc_lo, s34, v26
	s_delay_alu instid0(VALU_DEP_2)
	v_or_b32_e32 v7, v27, v28
	s_wait_alu 0xfffd
	v_cndmask_b32_e32 v26, 0, v45, vcc_lo
	v_cmp_gt_i32_e32 vcc_lo, s34, v25
	s_wait_alu 0xfffd
	v_cndmask_b32_e32 v25, 0, v40, vcc_lo
	s_delay_alu instid0(VALU_DEP_1)
	v_or_b32_e32 v1, v25, v26
	s_branch .LBB283_292
.LBB283_559:
	s_or_b32 exec_lo, exec_lo, s12
.LBB283_560:
	s_wait_alu 0xfffe
	s_or_b32 exec_lo, exec_lo, s1
	ds_bpermute_b32 v1, v16, v21
	ds_bpermute_b32 v2, v16, v22
	;; [unrolled: 1-line block ×4, first 2 shown]
	v_lshrrev_b32_e32 v5, 2, v12
	s_mov_b32 s0, exec_lo
	s_wait_storecnt 0x0
	s_wait_loadcnt_dscnt 0x0
	s_barrier_signal -1
	s_barrier_wait -1
	global_inv scope:SCOPE_SE
	v_dual_add_f32 v1, v21, v1 :: v_dual_add_f32 v2, v22, v2
	v_dual_add_f32 v7, v20, v3 :: v_dual_add_f32 v8, v19, v4
	ds_bpermute_b32 v3, v17, v1
	ds_bpermute_b32 v9, v17, v2
	;; [unrolled: 1-line block ×4, first 2 shown]
	v_and_b32_e32 v4, 28, v12
	v_and_b32_e32 v12, 0x3c3, v0
	s_delay_alu instid0(VALU_DEP_2)
	v_add_nc_u32_e32 v6, 0x60, v4
	s_wait_dscnt 0x2
	v_dual_add_f32 v4, v1, v3 :: v_dual_add_f32 v3, v2, v9
	s_wait_dscnt 0x0
	v_dual_add_f32 v2, v7, v10 :: v_dual_add_f32 v1, v8, v13
	v_cmpx_eq_u32_e32 64, v12
	s_cbranch_execz .LBB283_562
; %bb.561:
	v_lshl_add_u32 v7, v11, 7, v6
	s_delay_alu instid0(VALU_DEP_1)
	v_add_nc_u32_e32 v8, 0xffffff00, v7
	v_add_nc_u32_e32 v9, 0xffffff20, v7
	;; [unrolled: 1-line block ×4, first 2 shown]
	ds_store_b32 v8, v4
	ds_store_b32 v9, v3
	;; [unrolled: 1-line block ×4, first 2 shown]
.LBB283_562:
	s_wait_alu 0xfffe
	s_or_b32 exec_lo, exec_lo, s0
	v_and_b32_e32 v7, 0x3e0, v0
	v_lshlrev_b32_e32 v5, 2, v5
	s_mov_b32 s1, exec_lo
	v_cmp_eq_u32_e32 vcc_lo, 0, v18
	s_wait_loadcnt_dscnt 0x0
	v_lshlrev_b32_e32 v7, 2, v7
	s_barrier_signal -1
	s_barrier_wait -1
	global_inv scope:SCOPE_SE
	v_add3_u32 v5, 0x60, v7, v5
	v_cmpx_gt_u32_e32 64, v0
	s_cbranch_execz .LBB283_569
; %bb.563:
	s_and_saveexec_b32 s0, vcc_lo
	s_cbranch_execnz .LBB283_581
; %bb.564:
	s_wait_alu 0xfffe
	s_or_b32 exec_lo, exec_lo, s0
	s_and_saveexec_b32 s0, vcc_lo
	s_cbranch_execnz .LBB283_582
.LBB283_565:
	s_wait_alu 0xfffe
	s_or_b32 exec_lo, exec_lo, s0
	s_and_saveexec_b32 s0, vcc_lo
	s_cbranch_execnz .LBB283_583
.LBB283_566:
	s_wait_alu 0xfffe
	s_or_b32 exec_lo, exec_lo, s0
	s_and_saveexec_b32 s0, vcc_lo
	s_cbranch_execz .LBB283_568
.LBB283_567:
	ds_load_b32 v7, v5 offset:96
	s_wait_dscnt 0x0
	v_add_f32_e32 v1, v1, v7
.LBB283_568:
	s_wait_alu 0xfffe
	s_or_b32 exec_lo, exec_lo, s0
.LBB283_569:
	s_wait_alu 0xfffe
	s_or_b32 exec_lo, exec_lo, s1
	v_and_b32_e32 v7, 0x3e3, v0
	s_mov_b32 s1, exec_lo
	s_wait_loadcnt 0x0
	s_barrier_signal -1
	s_barrier_wait -1
	global_inv scope:SCOPE_SE
	v_cmpx_eq_u32_e32 32, v7
	s_cbranch_execz .LBB283_571
; %bb.570:
	ds_store_2addr_b32 v6, v4, v3 offset1:8
	ds_store_2addr_b32 v6, v2, v1 offset0:16 offset1:24
.LBB283_571:
	s_wait_alu 0xfffe
	s_or_b32 exec_lo, exec_lo, s1
	s_delay_alu instid0(SALU_CYCLE_1)
	s_mov_b32 s1, exec_lo
	s_wait_loadcnt_dscnt 0x0
	s_barrier_signal -1
	s_barrier_wait -1
	global_inv scope:SCOPE_SE
	v_cmpx_gt_u32_e32 32, v0
	s_cbranch_execz .LBB283_578
; %bb.572:
	s_and_saveexec_b32 s0, vcc_lo
	s_cbranch_execnz .LBB283_584
; %bb.573:
	s_wait_alu 0xfffe
	s_or_b32 exec_lo, exec_lo, s0
	s_and_saveexec_b32 s0, vcc_lo
	s_cbranch_execnz .LBB283_585
.LBB283_574:
	s_wait_alu 0xfffe
	s_or_b32 exec_lo, exec_lo, s0
	s_and_saveexec_b32 s0, vcc_lo
	s_cbranch_execnz .LBB283_586
.LBB283_575:
	s_wait_alu 0xfffe
	s_or_b32 exec_lo, exec_lo, s0
	s_and_saveexec_b32 s0, vcc_lo
	s_cbranch_execz .LBB283_577
.LBB283_576:
	ds_load_b32 v5, v5 offset:96
	s_wait_dscnt 0x0
	v_add_f32_e32 v1, v1, v5
.LBB283_577:
	s_wait_alu 0xfffe
	s_or_b32 exec_lo, exec_lo, s0
.LBB283_578:
	s_wait_alu 0xfffe
	s_or_b32 exec_lo, exec_lo, s1
	s_mov_b32 s1, 0
	s_wait_loadcnt 0x0
	s_barrier_signal -1
	s_barrier_wait -1
	global_inv scope:SCOPE_SE
	s_mov_b32 s0, exec_lo
	v_cmpx_eq_u32_e32 0, v7
	s_cbranch_execz .LBB283_580
; %bb.579:
	s_lshl_b32 s2, s28, 5
	s_mul_i32 s4, s7, s20
	s_wait_alu 0xfffe
	s_ashr_i32 s3, s2, 31
	s_ashr_i32 s5, s4, 31
	s_wait_alu 0xfffe
	s_lshl_b64 s[2:3], s[2:3], 1
	s_lshl_b64 s[4:5], s[4:5], 1
	s_wait_kmcnt 0x0
	s_wait_alu 0xfffe
	s_add_nc_u64 s[2:3], s[8:9], s[2:3]
	v_lshrrev_b32_e32 v0, 1, v0
	s_lshl_b32 s0, s33, 6
	s_wait_alu 0xfffe
	s_add_nc_u64 s[2:3], s[2:3], s[4:5]
	;;#ASMSTART
	v_cvt_f16_f32 v4, v4;

	;;#ASMEND
	s_wait_alu 0xfffe
	s_add_nc_u64 s[0:1], s[2:3], s[0:1]
	global_store_b16 v0, v4, s[0:1]
	;;#ASMSTART
	v_cvt_f16_f32 v3, v3;

	;;#ASMEND
	global_store_b16 v0, v3, s[0:1] offset:16
	;;#ASMSTART
	v_cvt_f16_f32 v2, v2;

	;;#ASMEND
	global_store_b16 v0, v2, s[0:1] offset:32
	;; [unrolled: 5-line block ×3, first 2 shown]
.LBB283_580:
	s_endpgm
.LBB283_581:
	ds_load_b32 v7, v5
	s_wait_dscnt 0x0
	v_add_f32_e32 v4, v4, v7
	s_wait_alu 0xfffe
	s_or_b32 exec_lo, exec_lo, s0
	s_and_saveexec_b32 s0, vcc_lo
	s_cbranch_execz .LBB283_565
.LBB283_582:
	ds_load_b32 v7, v5 offset:32
	s_wait_dscnt 0x0
	v_add_f32_e32 v3, v3, v7
	s_wait_alu 0xfffe
	s_or_b32 exec_lo, exec_lo, s0
	s_and_saveexec_b32 s0, vcc_lo
	s_cbranch_execz .LBB283_566
.LBB283_583:
	ds_load_b32 v7, v5 offset:64
	s_wait_dscnt 0x0
	v_add_f32_e32 v2, v2, v7
	s_wait_alu 0xfffe
	s_or_b32 exec_lo, exec_lo, s0
	s_and_saveexec_b32 s0, vcc_lo
	s_cbranch_execnz .LBB283_567
	s_branch .LBB283_568
.LBB283_584:
	ds_load_b32 v6, v5
	s_wait_dscnt 0x0
	v_add_f32_e32 v4, v4, v6
	s_wait_alu 0xfffe
	s_or_b32 exec_lo, exec_lo, s0
	s_and_saveexec_b32 s0, vcc_lo
	s_cbranch_execz .LBB283_574
.LBB283_585:
	ds_load_b32 v6, v5 offset:32
	s_wait_dscnt 0x0
	v_add_f32_e32 v3, v3, v6
	s_wait_alu 0xfffe
	s_or_b32 exec_lo, exec_lo, s0
	s_and_saveexec_b32 s0, vcc_lo
	s_cbranch_execz .LBB283_575
.LBB283_586:
	ds_load_b32 v6, v5 offset:64
	s_wait_dscnt 0x0
	v_add_f32_e32 v2, v2, v6
	s_wait_alu 0xfffe
	s_or_b32 exec_lo, exec_lo, s0
	s_and_saveexec_b32 s0, vcc_lo
	s_cbranch_execnz .LBB283_576
	s_branch .LBB283_577
	.section	.rodata,"a",@progbits
	.p2align	6, 0x0
	.amdhsa_kernel _ZN4vllm25paged_attention_v2_kernelIthLi32ELi32ELi128ELNS_18Fp8KVCacheDataTypeE1ELb1ELi512EEEvPfS2_PT_PKS3_PKT0_S9_ifPKiSB_iPKfiiiSD_SD_iiiii
		.amdhsa_group_segment_fixed_size 96
		.amdhsa_private_segment_fixed_size 0
		.amdhsa_kernarg_size 400
		.amdhsa_user_sgpr_count 2
		.amdhsa_user_sgpr_dispatch_ptr 0
		.amdhsa_user_sgpr_queue_ptr 0
		.amdhsa_user_sgpr_kernarg_segment_ptr 1
		.amdhsa_user_sgpr_dispatch_id 0
		.amdhsa_user_sgpr_private_segment_size 0
		.amdhsa_wavefront_size32 1
		.amdhsa_uses_dynamic_stack 0
		.amdhsa_enable_private_segment 0
		.amdhsa_system_sgpr_workgroup_id_x 1
		.amdhsa_system_sgpr_workgroup_id_y 1
		.amdhsa_system_sgpr_workgroup_id_z 1
		.amdhsa_system_sgpr_workgroup_info 0
		.amdhsa_system_vgpr_workitem_id 0
		.amdhsa_next_free_vgpr 74
		.amdhsa_next_free_sgpr 47
		.amdhsa_reserve_vcc 1
		.amdhsa_float_round_mode_32 0
		.amdhsa_float_round_mode_16_64 0
		.amdhsa_float_denorm_mode_32 3
		.amdhsa_float_denorm_mode_16_64 3
		.amdhsa_fp16_overflow 0
		.amdhsa_workgroup_processor_mode 1
		.amdhsa_memory_ordered 1
		.amdhsa_forward_progress 1
		.amdhsa_inst_pref_size 167
		.amdhsa_round_robin_scheduling 0
		.amdhsa_exception_fp_ieee_invalid_op 0
		.amdhsa_exception_fp_denorm_src 0
		.amdhsa_exception_fp_ieee_div_zero 0
		.amdhsa_exception_fp_ieee_overflow 0
		.amdhsa_exception_fp_ieee_underflow 0
		.amdhsa_exception_fp_ieee_inexact 0
		.amdhsa_exception_int_div_zero 0
	.end_amdhsa_kernel
	.section	.text._ZN4vllm25paged_attention_v2_kernelIthLi32ELi32ELi128ELNS_18Fp8KVCacheDataTypeE1ELb1ELi512EEEvPfS2_PT_PKS3_PKT0_S9_ifPKiSB_iPKfiiiSD_SD_iiiii,"axG",@progbits,_ZN4vllm25paged_attention_v2_kernelIthLi32ELi32ELi128ELNS_18Fp8KVCacheDataTypeE1ELb1ELi512EEEvPfS2_PT_PKS3_PKT0_S9_ifPKiSB_iPKfiiiSD_SD_iiiii,comdat
.Lfunc_end283:
	.size	_ZN4vllm25paged_attention_v2_kernelIthLi32ELi32ELi128ELNS_18Fp8KVCacheDataTypeE1ELb1ELi512EEEvPfS2_PT_PKS3_PKT0_S9_ifPKiSB_iPKfiiiSD_SD_iiiii, .Lfunc_end283-_ZN4vllm25paged_attention_v2_kernelIthLi32ELi32ELi128ELNS_18Fp8KVCacheDataTypeE1ELb1ELi512EEEvPfS2_PT_PKS3_PKT0_S9_ifPKiSB_iPKfiiiSD_SD_iiiii
                                        ; -- End function
	.set _ZN4vllm25paged_attention_v2_kernelIthLi32ELi32ELi128ELNS_18Fp8KVCacheDataTypeE1ELb1ELi512EEEvPfS2_PT_PKS3_PKT0_S9_ifPKiSB_iPKfiiiSD_SD_iiiii.num_vgpr, 74
	.set _ZN4vllm25paged_attention_v2_kernelIthLi32ELi32ELi128ELNS_18Fp8KVCacheDataTypeE1ELb1ELi512EEEvPfS2_PT_PKS3_PKT0_S9_ifPKiSB_iPKfiiiSD_SD_iiiii.num_agpr, 0
	.set _ZN4vllm25paged_attention_v2_kernelIthLi32ELi32ELi128ELNS_18Fp8KVCacheDataTypeE1ELb1ELi512EEEvPfS2_PT_PKS3_PKT0_S9_ifPKiSB_iPKfiiiSD_SD_iiiii.numbered_sgpr, 47
	.set _ZN4vllm25paged_attention_v2_kernelIthLi32ELi32ELi128ELNS_18Fp8KVCacheDataTypeE1ELb1ELi512EEEvPfS2_PT_PKS3_PKT0_S9_ifPKiSB_iPKfiiiSD_SD_iiiii.num_named_barrier, 0
	.set _ZN4vllm25paged_attention_v2_kernelIthLi32ELi32ELi128ELNS_18Fp8KVCacheDataTypeE1ELb1ELi512EEEvPfS2_PT_PKS3_PKT0_S9_ifPKiSB_iPKfiiiSD_SD_iiiii.private_seg_size, 0
	.set _ZN4vllm25paged_attention_v2_kernelIthLi32ELi32ELi128ELNS_18Fp8KVCacheDataTypeE1ELb1ELi512EEEvPfS2_PT_PKS3_PKT0_S9_ifPKiSB_iPKfiiiSD_SD_iiiii.uses_vcc, 1
	.set _ZN4vllm25paged_attention_v2_kernelIthLi32ELi32ELi128ELNS_18Fp8KVCacheDataTypeE1ELb1ELi512EEEvPfS2_PT_PKS3_PKT0_S9_ifPKiSB_iPKfiiiSD_SD_iiiii.uses_flat_scratch, 0
	.set _ZN4vllm25paged_attention_v2_kernelIthLi32ELi32ELi128ELNS_18Fp8KVCacheDataTypeE1ELb1ELi512EEEvPfS2_PT_PKS3_PKT0_S9_ifPKiSB_iPKfiiiSD_SD_iiiii.has_dyn_sized_stack, 0
	.set _ZN4vllm25paged_attention_v2_kernelIthLi32ELi32ELi128ELNS_18Fp8KVCacheDataTypeE1ELb1ELi512EEEvPfS2_PT_PKS3_PKT0_S9_ifPKiSB_iPKfiiiSD_SD_iiiii.has_recursion, 0
	.set _ZN4vllm25paged_attention_v2_kernelIthLi32ELi32ELi128ELNS_18Fp8KVCacheDataTypeE1ELb1ELi512EEEvPfS2_PT_PKS3_PKT0_S9_ifPKiSB_iPKfiiiSD_SD_iiiii.has_indirect_call, 0
	.section	.AMDGPU.csdata,"",@progbits
; Kernel info:
; codeLenInByte = 21352
; TotalNumSgprs: 49
; NumVgprs: 74
; ScratchSize: 0
; MemoryBound: 0
; FloatMode: 240
; IeeeMode: 1
; LDSByteSize: 96 bytes/workgroup (compile time only)
; SGPRBlocks: 0
; VGPRBlocks: 9
; NumSGPRsForWavesPerEU: 49
; NumVGPRsForWavesPerEU: 74
; Occupancy: 16
; WaveLimiterHint : 1
; COMPUTE_PGM_RSRC2:SCRATCH_EN: 0
; COMPUTE_PGM_RSRC2:USER_SGPR: 2
; COMPUTE_PGM_RSRC2:TRAP_HANDLER: 0
; COMPUTE_PGM_RSRC2:TGID_X_EN: 1
; COMPUTE_PGM_RSRC2:TGID_Y_EN: 1
; COMPUTE_PGM_RSRC2:TGID_Z_EN: 1
; COMPUTE_PGM_RSRC2:TIDIG_COMP_CNT: 0
	.section	.text._ZN4vllm25paged_attention_v2_kernelIthLi64ELi32ELi128ELNS_18Fp8KVCacheDataTypeE1ELb1ELi512EEEvPfS2_PT_PKS3_PKT0_S9_ifPKiSB_iPKfiiiSD_SD_iiiii,"axG",@progbits,_ZN4vllm25paged_attention_v2_kernelIthLi64ELi32ELi128ELNS_18Fp8KVCacheDataTypeE1ELb1ELi512EEEvPfS2_PT_PKS3_PKT0_S9_ifPKiSB_iPKfiiiSD_SD_iiiii,comdat
	.protected	_ZN4vllm25paged_attention_v2_kernelIthLi64ELi32ELi128ELNS_18Fp8KVCacheDataTypeE1ELb1ELi512EEEvPfS2_PT_PKS3_PKT0_S9_ifPKiSB_iPKfiiiSD_SD_iiiii ; -- Begin function _ZN4vllm25paged_attention_v2_kernelIthLi64ELi32ELi128ELNS_18Fp8KVCacheDataTypeE1ELb1ELi512EEEvPfS2_PT_PKS3_PKT0_S9_ifPKiSB_iPKfiiiSD_SD_iiiii
	.globl	_ZN4vllm25paged_attention_v2_kernelIthLi64ELi32ELi128ELNS_18Fp8KVCacheDataTypeE1ELb1ELi512EEEvPfS2_PT_PKS3_PKT0_S9_ifPKiSB_iPKfiiiSD_SD_iiiii
	.p2align	8
	.type	_ZN4vllm25paged_attention_v2_kernelIthLi64ELi32ELi128ELNS_18Fp8KVCacheDataTypeE1ELb1ELi512EEEvPfS2_PT_PKS3_PKT0_S9_ifPKiSB_iPKfiiiSD_SD_iiiii,@function
_ZN4vllm25paged_attention_v2_kernelIthLi64ELi32ELi128ELNS_18Fp8KVCacheDataTypeE1ELb1ELi512EEEvPfS2_PT_PKS3_PKT0_S9_ifPKiSB_iPKfiiiSD_SD_iiiii: ; @_ZN4vllm25paged_attention_v2_kernelIthLi64ELi32ELi128ELNS_18Fp8KVCacheDataTypeE1ELb1ELi512EEEvPfS2_PT_PKS3_PKT0_S9_ifPKiSB_iPKfiiiSD_SD_iiiii
; %bb.0:
	s_load_b64 s[2:3], s[0:1], 0x40
	s_and_b32 s28, ttmp7, 0xffff
	s_lshr_b32 s33, ttmp7, 16
	s_lshl_b32 s4, s28, 2
	s_lshl_b32 s36, s33, 9
	s_wait_kmcnt 0x0
	s_load_b32 s34, s[2:3], s4 offset:0x0
	s_wait_kmcnt 0x0
	s_cmp_ge_i32 s36, s34
	s_cbranch_scc1 .LBB284_1108
; %bb.1:
	s_clause 0x1
	s_load_b32 s29, s[0:1], 0x90
	s_load_b64 s[12:13], s[0:1], 0x30
	s_wait_kmcnt 0x0
	s_abs_i32 s5, s29
	s_abs_i32 s2, s12
	s_delay_alu instid0(SALU_CYCLE_1) | instskip(SKIP_1) | instid1(SALU_CYCLE_2)
	s_cvt_f32_u32 s3, s2
	s_sub_co_i32 s4, 0, s2
	v_rcp_iflag_f32_e32 v1, s3
	s_delay_alu instid0(TRANS32_DEP_1) | instskip(SKIP_2) | instid1(SALU_CYCLE_2)
	v_readfirstlane_b32 s3, v1
	s_mul_f32 s3, s3, 0x4f7ffffe
	s_wait_alu 0xfffe
	s_cvt_u32_f32 s3, s3
	s_wait_alu 0xfffe
	s_delay_alu instid0(SALU_CYCLE_2) | instskip(NEXT) | instid1(SALU_CYCLE_1)
	s_mul_i32 s4, s4, s3
	s_mul_hi_u32 s4, s3, s4
	s_delay_alu instid0(SALU_CYCLE_1)
	s_add_co_i32 s3, s3, s4
	s_xor_b32 s4, s29, s12
	s_wait_alu 0xfffe
	s_mul_hi_u32 s3, s5, s3
	s_ashr_i32 s4, s4, 31
	s_wait_alu 0xfffe
	s_mul_i32 s6, s3, s2
	s_delay_alu instid0(SALU_CYCLE_1)
	s_sub_co_i32 s5, s5, s6
	s_add_co_i32 s6, s3, 1
	s_sub_co_i32 s7, s5, s2
	s_cmp_ge_u32 s5, s2
	s_cselect_b32 s3, s6, s3
	s_cselect_b32 s5, s7, s5
	s_wait_alu 0xfffe
	s_add_co_i32 s6, s3, 1
	s_cmp_ge_u32 s5, s2
	s_cselect_b32 s2, s6, s3
	s_load_b64 s[6:7], s[0:1], 0x50
	s_xor_b32 s2, s2, s4
	s_mov_b32 s3, 0
	s_wait_alu 0xfffe
	s_sub_co_i32 s11, s2, s4
	s_mov_b32 s30, s3
	s_abs_i32 s10, s11
	s_delay_alu instid0(SALU_CYCLE_1) | instskip(SKIP_1) | instid1(SALU_CYCLE_2)
	s_cvt_f32_u32 s2, s10
	s_wait_alu 0xfffe
	v_rcp_iflag_f32_e32 v1, s2
	s_delay_alu instid0(TRANS32_DEP_1) | instskip(SKIP_2) | instid1(SALU_CYCLE_2)
	v_readfirstlane_b32 s2, v1
	s_mul_f32 s2, s2, 0x4f7ffffe
	s_wait_alu 0xfffe
	s_cvt_u32_f32 s4, s2
	s_sub_co_i32 s2, 0, s10
	s_wait_alu 0xfffe
	s_delay_alu instid0(SALU_CYCLE_1)
	s_mul_i32 s2, s2, s4
	s_wait_alu 0xfffe
	s_mul_hi_u32 s5, s4, s2
	s_abs_i32 s2, ttmp9
	s_add_co_i32 s4, s4, s5
	s_mov_b32 s5, s3
	s_wait_kmcnt 0x0
	s_cmp_eq_u64 s[6:7], 0
	s_cbranch_scc1 .LBB284_3
; %bb.2:
	s_mov_b32 s8, ttmp9
	s_ashr_i32 s9, ttmp9, 31
	s_delay_alu instid0(SALU_CYCLE_1) | instskip(NEXT) | instid1(SALU_CYCLE_1)
	s_lshl_b64 s[8:9], s[8:9], 2
	s_add_nc_u64 s[6:7], s[6:7], s[8:9]
	s_load_b32 s30, s[6:7], 0x0
.LBB284_3:
	s_load_b96 s[16:18], s[0:1], 0x58
	s_mul_u64 s[8:9], s[2:3], s[4:5]
	s_ashr_i32 s3, ttmp9, 31
	s_ashr_i32 s8, s11, 31
	s_lshl_b32 s20, ttmp9, 6
	s_mov_b32 s4, exec_lo
	v_cmpx_gt_u32_e32 8, v0
	s_cbranch_execz .LBB284_5
; %bb.4:
	s_load_b64 s[6:7], s[0:1], 0x18
	s_wait_kmcnt 0x0
	s_mul_i32 s14, s16, s28
	s_ashr_i32 s21, s20, 31
	s_ashr_i32 s15, s14, 31
	v_lshlrev_b32_e32 v5, 4, v0
	s_lshl_b64 s[14:15], s[14:15], 1
	s_delay_alu instid0(SALU_CYCLE_1) | instskip(SKIP_1) | instid1(SALU_CYCLE_1)
	s_add_nc_u64 s[6:7], s[6:7], s[14:15]
	s_lshl_b64 s[14:15], s[20:21], 1
	s_add_nc_u64 s[6:7], s[6:7], s[14:15]
	global_load_b128 v[1:4], v5, s[6:7]
	s_wait_loadcnt 0x0
	ds_store_b128 v5, v[1:4]
.LBB284_5:
	s_or_b32 exec_lo, exec_lo, s4
	s_load_b128 s[4:7], s[0:1], 0x78
	s_mul_i32 s11, s9, s10
	s_xor_b32 s3, s3, s8
	s_sub_co_i32 s2, s2, s11
	s_add_co_i32 s8, s9, 1
	s_wait_alu 0xfffe
	s_sub_co_i32 s11, s2, s10
	s_cmp_ge_u32 s2, s10
                                        ; implicit-def: $sgpr21
	s_cselect_b32 s8, s8, s9
	s_cselect_b32 s2, s11, s2
	s_add_co_i32 s9, s8, 1
	s_wait_alu 0xfffe
	s_cmp_ge_u32 s2, s10
	s_mov_b32 s10, -1
	s_cselect_b32 s2, s9, s8
	s_load_b32 s8, s[0:1], 0x88
	s_xor_b32 s2, s2, s3
	s_wait_dscnt 0x0
	s_wait_alu 0xfffe
	s_sub_co_i32 s19, s2, s3
	s_barrier_signal -1
	s_barrier_wait -1
	s_wait_kmcnt 0x0
	s_abs_i32 s16, s7
	global_inv scope:SCOPE_SE
	s_cvt_f32_u32 s9, s16
	s_delay_alu instid0(SALU_CYCLE_3) | instskip(NEXT) | instid1(TRANS32_DEP_1)
	v_rcp_iflag_f32_e32 v1, s9
	v_readfirstlane_b32 s9, v1
	s_mul_f32 s2, s9, 0x4f7ffffe
	s_add_co_i32 s9, s34, -1
	s_wait_alu 0xfffe
	s_delay_alu instid0(SALU_CYCLE_1) | instskip(SKIP_2) | instid1(SALU_CYCLE_1)
	s_cvt_u32_f32 s11, s2
	s_sub_co_i32 s2, 0, s16
	s_wait_alu 0xfffe
	s_mul_i32 s3, s2, s11
	s_abs_i32 s2, s9
	s_wait_alu 0xfffe
	s_mul_hi_u32 s14, s11, s3
	s_mov_b32 s3, 0
	s_add_co_i32 s22, s11, s14
	s_cmp_lt_i32 s8, 0
	s_wait_alu 0xfffe
	s_mov_b32 s23, s3
	s_cbranch_scc0 .LBB284_7
; %bb.6:
	s_mul_i32 s10, s4, s12
	s_delay_alu instid0(SALU_CYCLE_1) | instskip(NEXT) | instid1(SALU_CYCLE_1)
	s_add_co_i32 s10, s19, s10
	s_mul_i32 s10, s10, s8
	s_delay_alu instid0(SALU_CYCLE_1)
	s_sub_co_i32 s21, 1, s10
	s_mov_b32 s10, s3
.LBB284_7:
	s_mul_u64 s[14:15], s[2:3], s[22:23]
	s_ashr_i32 s3, s9, 31
	s_and_not1_b32 vcc_lo, exec_lo, s10
	s_ashr_i32 s23, s7, 31
	s_cbranch_vccnz .LBB284_9
; %bb.8:
	s_mul_i32 s4, s29, s4
	s_delay_alu instid0(SALU_CYCLE_1) | instskip(NEXT) | instid1(SALU_CYCLE_1)
	s_add_co_i32 s4, s4, ttmp9
	s_mul_i32 s4, s4, s8
	s_delay_alu instid0(SALU_CYCLE_1)
	s_add_co_i32 s21, s4, 1
.LBB284_9:
	s_clause 0x3
	s_load_b32 s4, s[0:1], 0x48
	s_load_b64 s[24:25], s[0:1], 0x38
	s_load_b32 s7, s[0:1], 0x98
	s_load_b128 s[8:11], s[0:1], 0x68
	s_mul_i32 s12, s15, s16
	s_xor_b32 s3, s3, s23
	s_sub_co_i32 s2, s2, s12
	s_add_co_i32 s14, s15, 1
	v_lshrrev_b32_e32 v11, 5, v0
	v_dual_mov_b32 v17, 0xff7fffff :: v_dual_and_b32 v12, 31, v0
	s_mul_i32 s18, s19, s18
	s_delay_alu instid0(VALU_DEP_2) | instskip(NEXT) | instid1(VALU_DEP_2)
	v_lshl_add_u32 v13, v11, 5, s36
	v_lshlrev_b32_e32 v16, 2, v12
	s_wait_kmcnt 0x0
	s_mul_i32 s26, s4, s28
	s_wait_alu 0xfffe
	s_sub_co_i32 s4, s2, s16
	s_ashr_i32 s27, s26, 31
	s_cmp_ge_u32 s2, s16
	s_cselect_b32 s12, s14, s15
	s_cselect_b32 s2, s4, s2
	s_add_co_i32 s4, s12, 1
	s_wait_alu 0xfffe
	s_cmp_ge_u32 s2, s16
	s_cselect_b32 s2, s4, s12
	s_add_co_i32 s4, s34, 31
	s_lshl_b32 s39, s33, 4
	s_ashr_i32 s12, s4, 31
	v_add_nc_u32_e32 v14, s39, v11
	s_lshr_b32 s12, s12, 27
	s_delay_alu instid0(SALU_CYCLE_1)
	s_add_co_i32 s4, s4, s12
	s_add_co_i32 s12, s39, 16
	s_ashr_i32 s37, s4, 5
	s_wait_alu 0xfffe
	s_xor_b32 s4, s2, s3
	s_min_i32 s35, s12, s37
	v_lshlrev_b32_e32 v15, 2, v14
	v_cmp_gt_i32_e64 s2, s35, v14
	s_sub_co_i32 s38, s4, s3
	s_and_saveexec_b32 s12, s2
	s_cbranch_execz .LBB284_529
; %bb.10:
	s_wait_alu 0xfffe
	s_sub_co_i32 s31, s38, s5
	s_ashr_i32 s19, s18, 31
	s_cmp_neq_f32 s30, 0
	s_load_b64 s[14:15], s[0:1], 0x20
	v_dual_mov_b32 v2, 0 :: v_dual_lshlrev_b32 v5, 4, v12
	s_cselect_b32 vcc_lo, -1, 0
	s_abs_i32 s40, s6
	v_subrev_nc_u32_e32 v3, s34, v12
	s_cvt_f32_u32 s3, s40
	s_lshl_b64 s[44:45], s[26:27], 2
	v_lshl_or_b32 v4, v11, 7, v16
	s_add_nc_u64 s[44:45], s[24:25], s[44:45]
	s_wait_alu 0xfffe
	v_rcp_iflag_f32_e32 v1, s3
	s_sub_co_i32 s4, 0, s40
	v_add_nc_u32_e32 v21, 1, v3
	v_add_co_u32 v3, s43, s44, v15
	v_lshl_add_u32 v18, v11, 5, s36
	v_dual_mov_b32 v19, 0xff7fffff :: v_dual_mov_b32 v20, v14
	v_mov_b32_e32 v17, 0xff7fffff
	v_add_nc_u32_e32 v22, 0xa0, v4
	s_delay_alu instid0(TRANS32_DEP_1)
	v_readfirstlane_b32 s3, v1
	s_wait_kmcnt 0x0
	s_add_nc_u64 s[14:15], s[14:15], s[18:19]
	v_add_co_ci_u32_e64 v4, null, s45, 0, s43
	v_add_co_u32 v5, s14, s14, v5
	s_mul_f32 s3, s3, 0x4f7ffffe
	v_add_co_ci_u32_e64 v6, null, s15, 0, s14
	s_mov_b32 s14, -1
	s_wait_alu 0xfffe
	s_cvt_u32_f32 s3, s3
	s_mov_b32 s41, s17
	s_mov_b32 s42, 0
	;; [unrolled: 1-line block ×3, first 2 shown]
	s_wait_alu 0xfffe
	s_mul_i32 s4, s4, s3
	s_delay_alu instid0(SALU_CYCLE_1) | instskip(NEXT) | instid1(SALU_CYCLE_1)
	s_mul_hi_u32 s4, s3, s4
	s_add_co_i32 s19, s3, s4
	s_branch .LBB284_16
.LBB284_11:                             ;   in Loop: Header=BB284_16 Depth=1
	s_or_b32 exec_lo, exec_lo, s46
	v_lshlrev_b32_e32 v1, 8, v1
	v_lshl_add_u32 v8, v8, 10, 0x2000
	v_lshlrev_b32_e32 v7, 23, v7
	s_delay_alu instid0(VALU_DEP_2) | instskip(NEXT) | instid1(VALU_DEP_1)
	v_and_or_b32 v1, 0x8000, v1, v8
	v_lshl_or_b32 v7, v1, 16, v7
.LBB284_12:                             ;   in Loop: Header=BB284_16 Depth=1
	s_wait_alu 0xfffe
	s_or_b32 exec_lo, exec_lo, s45
.LBB284_13:                             ;   in Loop: Header=BB284_16 Depth=1
	s_wait_alu 0xfffe
	s_or_b32 exec_lo, exec_lo, s44
.LBB284_14:                             ;   in Loop: Header=BB284_16 Depth=1
	s_wait_alu 0xfffe
	s_or_b32 exec_lo, exec_lo, s43
	ds_load_b128 v[85:88], v2
	v_or_b32_e32 v25, v24, v25
	v_or_b32_e32 v1, v26, v27
	v_fma_mixlo_f16 v8, v23, v26, 0 op_sel:[0,1,0] op_sel_hi:[0,1,0]
	v_or_b32_e32 v26, v30, v29
	v_or_b32_e32 v27, v32, v28
	v_fma_mixlo_f16 v24, v23, v24, 0 op_sel:[0,1,0] op_sel_hi:[0,1,0]
	v_fma_mixlo_f16 v25, v23, v25, 0 op_sel_hi:[0,1,0]
	v_fma_mixlo_f16 v1, v23, v1, 0 op_sel_hi:[0,1,0]
	;; [unrolled: 1-line block ×3, first 2 shown]
	v_fma_mixlo_f16 v89, v23, v30, 0 op_sel:[0,1,0] op_sel_hi:[0,1,0]
	v_fma_mixlo_f16 v28, v23, v32, 0 op_sel:[0,1,0] op_sel_hi:[0,1,0]
	v_fma_mixlo_f16 v90, v23, v27, 0 op_sel_hi:[0,1,0]
	v_and_b32_e32 v24, 0xffff, v24
	v_and_b32_e32 v25, 0xffff, v25
	v_and_b32_e32 v1, 0xffff, v1
	v_and_b32_e32 v8, 0xffff, v8
	v_or_b32_e32 v111, v75, v82
	v_or_b32_e32 v45, v49, v45
	v_fma_mixlo_f16 v49, v23, v49, 0 op_sel:[0,1,0] op_sel_hi:[0,1,0]
	s_wait_dscnt 0x0
	v_and_b32_e32 v27, 0xffff, v85
	v_lshrrev_b32_e32 v29, 16, v85
	v_lshrrev_b32_e32 v30, 16, v86
	;;#ASMSTART
	v_cvt_f32_f16 v27, v27;
	;;#ASMEND
	;;#ASMSTART
	v_cvt_f32_f16 v29, v29;
	;;#ASMEND
	;; [unrolled: 3-line block ×3, first 2 shown]
	v_and_b32_e32 v32, 0xffff, v86
	;;#ASMSTART
	v_cvt_f32_f16 v97, v24;
	;;#ASMEND
	;;#ASMSTART
	v_cvt_f32_f16 v92, v32;
	;;#ASMEND
	;; [unrolled: 3-line block ×3, first 2 shown]
	v_and_b32_e32 v24, 0xffff, v87
	v_lshrrev_b32_e32 v25, 16, v87
	;;#ASMSTART
	v_cvt_f32_f16 v94, v1;
	;;#ASMEND
	;;#ASMSTART
	v_cvt_f32_f16 v95, v8;
	;;#ASMEND
	v_and_b32_e32 v26, 0xffff, v26
	;;#ASMSTART
	v_cvt_f32_f16 v30, v24;
	;;#ASMEND
	;;#ASMSTART
	v_cvt_f32_f16 v32, v25;
	;;#ASMEND
	;; [unrolled: 3-line block ×3, first 2 shown]
	v_and_b32_e32 v1, 0xffff, v89
	v_and_b32_e32 v8, 0xffff, v88
	v_lshrrev_b32_e32 v24, 16, v88
	v_and_b32_e32 v25, 0xffff, v90
	v_and_b32_e32 v26, 0xffff, v28
	;;#ASMSTART
	v_cvt_f32_f16 v86, v1;
	;;#ASMEND
	;;#ASMSTART
	v_cvt_f32_f16 v87, v8;
	;;#ASMEND
	;; [unrolled: 3-line block ×5, first 2 shown]
	ds_load_b128 v[98:101], v2 offset:16
	v_or_b32_e32 v25, v33, v31
	v_or_b32_e32 v1, v36, v34
	;; [unrolled: 1-line block ×4, first 2 shown]
	v_fma_mixlo_f16 v24, v23, v36, 0 op_sel:[0,1,0] op_sel_hi:[0,1,0]
	v_fma_mixlo_f16 v25, v23, v25, 0 op_sel_hi:[0,1,0]
	v_fma_mixlo_f16 v1, v23, v1, 0 op_sel_hi:[0,1,0]
	v_fma_mixlo_f16 v26, v23, v33, 0 op_sel:[0,1,0] op_sel_hi:[0,1,0]
	v_fma_mixlo_f16 v28, v23, v28, 0 op_sel_hi:[0,1,0]
	v_fma_mixlo_f16 v33, v23, v38, 0 op_sel:[0,1,0] op_sel_hi:[0,1,0]
	;; [unrolled: 2-line block ×3, first 2 shown]
	v_and_b32_e32 v25, 0xffff, v25
	v_or_b32_e32 v8, v78, v79
	v_and_b32_e32 v26, 0xffff, v26
	v_and_b32_e32 v1, 0xffff, v1
	;; [unrolled: 1-line block ×4, first 2 shown]
	v_or_b32_e32 v53, v57, v53
	s_wait_dscnt 0x0
	v_and_b32_e32 v35, 0xffff, v98
	v_lshrrev_b32_e32 v36, 16, v98
	;;#ASMSTART
	v_cvt_f32_f16 v39, v35;
	;;#ASMEND
	v_and_b32_e32 v35, 0xffff, v99
	;;#ASMSTART
	v_cvt_f32_f16 v40, v36;
	;;#ASMEND
	;;#ASMSTART
	v_cvt_f32_f16 v79, v25;
	;;#ASMEND
	v_and_b32_e32 v25, 0xffff, v100
	v_lshrrev_b32_e32 v38, 16, v99
	;;#ASMSTART
	v_cvt_f32_f16 v91, v26;
	;;#ASMEND
	;;#ASMSTART
	v_cvt_f32_f16 v102, v35;
	;;#ASMEND
	;; [unrolled: 3-line block ×6, first 2 shown]
	v_lshrrev_b32_e32 v25, 16, v101
	v_lshrrev_b32_e32 v26, 16, v100
	;;#ASMSTART
	v_cvt_f32_f16 v36, v26;
	;;#ASMEND
	;;#ASMSTART
	v_cvt_f32_f16 v38, v28;
	;;#ASMEND
	v_and_b32_e32 v1, 0xffff, v33
	v_and_b32_e32 v24, 0xffff, v101
	v_and_b32_e32 v26, 0xffff, v31
	v_and_b32_e32 v28, 0xffff, v34
	;;#ASMSTART
	v_cvt_f32_f16 v106, v1;
	;;#ASMEND
	;;#ASMSTART
	v_cvt_f32_f16 v107, v24;
	;;#ASMEND
	;;#ASMSTART
	v_cvt_f32_f16 v108, v25;
	;;#ASMEND
	;;#ASMSTART
	v_cvt_f32_f16 v109, v26;
	;;#ASMEND
	;;#ASMSTART
	v_cvt_f32_f16 v110, v28;
	;;#ASMEND
	ds_load_b128 v[98:101], v2 offset:32
	v_or_b32_e32 v1, v73, v72
	v_fma_mixlo_f16 v25, v23, v8, 0 op_sel_hi:[0,1,0]
	v_or_b32_e32 v8, v41, v37
	v_fma_mixlo_f16 v37, v23, v41, 0 op_sel:[0,1,0] op_sel_hi:[0,1,0]
	v_or_b32_e32 v41, v47, v43
	v_fma_mixlo_f16 v28, v23, v1, 0 op_sel_hi:[0,1,0]
	v_or_b32_e32 v1, v44, v42
	v_fma_mixlo_f16 v42, v23, v8, 0 op_sel_hi:[0,1,0]
	v_mul_f32_e32 v8, v40, v91
	v_or_b32_e32 v43, v48, v46
	v_fma_mixlo_f16 v41, v23, v41, 0 op_sel_hi:[0,1,0]
	v_fma_mixlo_f16 v34, v23, v1, 0 op_sel_hi:[0,1,0]
	s_delay_alu instid0(VALU_DEP_4)
	v_dual_mul_f32 v1, v39, v79 :: v_dual_fmac_f32 v8, v29, v97
	v_dual_mul_f32 v29, v102, v104 :: v_dual_mul_f32 v38, v35, v38
	v_mul_f32_e32 v35, v108, v110
	v_fma_mixlo_f16 v33, v23, v44, 0 op_sel:[0,1,0] op_sel_hi:[0,1,0]
	v_fma_mixlo_f16 v43, v23, v43, 0 op_sel_hi:[0,1,0]
	v_fma_mixlo_f16 v46, v23, v48, 0 op_sel:[0,1,0] op_sel_hi:[0,1,0]
	v_fmac_f32_e32 v29, v92, v94
	v_fma_mixlo_f16 v44, v23, v47, 0 op_sel:[0,1,0] op_sel_hi:[0,1,0]
	v_fmac_f32_e32 v1, v27, v96
	s_wait_dscnt 0x0
	v_and_b32_e32 v39, 0xffff, v98
	v_and_b32_e32 v42, 0xffff, v42
	;; [unrolled: 1-line block ×3, first 2 shown]
	v_fma_mixlo_f16 v26, v23, v73, 0 op_sel:[0,1,0] op_sel_hi:[0,1,0]
	v_or_b32_e32 v31, v76, v77
	v_lshrrev_b32_e32 v40, 16, v98
	;;#ASMSTART
	v_cvt_f32_f16 v39, v39;
	;;#ASMEND
	v_and_b32_e32 v37, 0xffff, v37
	;;#ASMSTART
	v_cvt_f32_f16 v48, v40;
	;;#ASMEND
	;;#ASMSTART
	v_cvt_f32_f16 v72, v42;
	;;#ASMEND
	;; [unrolled: 3-line block ×4, first 2 shown]
	v_lshrrev_b32_e32 v42, 16, v100
	v_and_b32_e32 v47, 0xffff, v41
	v_fmac_f32_e32 v35, v88, v90
	v_fma_mixlo_f16 v24, v23, v78, 0 op_sel:[0,1,0] op_sel_hi:[0,1,0]
	v_lshrrev_b32_e32 v78, 16, v99
	;;#ASMSTART
	v_cvt_f32_f16 v78, v78;
	;;#ASMEND
	v_and_b32_e32 v34, 0xffff, v34
	v_and_b32_e32 v33, 0xffff, v33
	;; [unrolled: 1-line block ×3, first 2 shown]
	;;#ASMSTART
	v_cvt_f32_f16 v79, v34;
	;;#ASMEND
	;;#ASMSTART
	v_cvt_f32_f16 v82, v33;
	;;#ASMEND
	;; [unrolled: 3-line block ×5, first 2 shown]
	v_and_b32_e32 v47, 0xffff, v43
	v_dual_fmac_f32 v29, v77, v79 :: v_dual_and_b32 v98, 0xffff, v46
	v_and_b32_e32 v33, 0xffff, v44
	v_lshrrev_b32_e32 v37, 16, v101
	;;#ASMSTART
	v_cvt_f32_f16 v91, v33;
	;;#ASMEND
	v_dual_fmac_f32 v1, v39, v72 :: v_dual_and_b32 v34, 0xffff, v101
	;;#ASMSTART
	v_cvt_f32_f16 v43, v34;
	;;#ASMEND
	;;#ASMSTART
	v_cvt_f32_f16 v44, v37;
	;;#ASMEND
	;; [unrolled: 3-line block ×4, first 2 shown]
	ds_load_b128 v[98:101], v2 offset:48
	v_mul_f32_e32 v27, v103, v105
	v_or_b32_e32 v37, v52, v50
	v_or_b32_e32 v50, v54, v51
	;; [unrolled: 1-line block ×3, first 2 shown]
	v_fma_mixlo_f16 v70, v23, v52, 0 op_sel:[0,1,0] op_sel_hi:[0,1,0]
	v_or_b32_e32 v51, v56, v55
	v_fma_mixlo_f16 v37, v23, v37, 0 op_sel_hi:[0,1,0]
	v_fma_mixlo_f16 v52, v23, v45, 0 op_sel_hi:[0,1,0]
	v_fmac_f32_e32 v27, v93, v95
	v_fma_mixlo_f16 v96, v23, v54, 0 op_sel:[0,1,0] op_sel_hi:[0,1,0]
	v_fma_mixlo_f16 v55, v23, v50, 0 op_sel_hi:[0,1,0]
	v_fma_mixlo_f16 v97, v23, v51, 0 op_sel_hi:[0,1,0]
	v_fma_mixlo_f16 v103, v23, v56, 0 op_sel:[0,1,0] op_sel_hi:[0,1,0]
	v_and_b32_e32 v51, 0xffff, v52
	v_and_b32_e32 v37, 0xffff, v37
	v_dual_fmac_f32 v27, v78, v82 :: v_dual_and_b32 v52, 0xffff, v49
	v_fma_mixlo_f16 v33, v23, v76, 0 op_sel:[0,1,0] op_sel_hi:[0,1,0]
	v_and_b32_e32 v92, 0xffff, v55
	s_wait_dscnt 0x0
	v_and_b32_e32 v45, 0xffff, v98
	v_lshrrev_b32_e32 v50, 16, v98
	v_and_b32_e32 v54, 0xffff, v99
	v_lshrrev_b32_e32 v56, 16, v99
	;;#ASMSTART
	v_cvt_f32_f16 v45, v45;
	;;#ASMEND
	;;#ASMSTART
	v_cvt_f32_f16 v49, v50;
	;;#ASMEND
	;;#ASMSTART
	v_cvt_f32_f16 v50, v51;
	;;#ASMEND
	;;#ASMSTART
	v_cvt_f32_f16 v51, v52;
	;;#ASMEND
	;;#ASMSTART
	v_cvt_f32_f16 v52, v54;
	;;#ASMEND
	;;#ASMSTART
	v_cvt_f32_f16 v54, v56;
	;;#ASMEND
	v_lshrrev_b32_e32 v76, 16, v100
	;;#ASMSTART
	v_cvt_f32_f16 v55, v37;
	;;#ASMEND
	v_and_b32_e32 v37, 0xffff, v96
	v_dual_fmac_f32 v35, v44, v47 :: v_dual_and_b32 v56, 0xffff, v70
	v_dual_fmac_f32 v1, v45, v50 :: v_dual_and_b32 v70, 0xffff, v100
	;;#ASMSTART
	v_cvt_f32_f16 v56, v56;
	;;#ASMEND
	;;#ASMSTART
	v_cvt_f32_f16 v70, v70;
	;;#ASMEND
	;; [unrolled: 3-line block ×5, first 2 shown]
	v_mul_f32_e32 v37, v36, v106
	v_lshrrev_b32_e32 v95, 16, v101
	v_dual_fmac_f32 v27, v54, v56 :: v_dual_and_b32 v94, 0xffff, v101
	;;#ASMSTART
	v_cvt_f32_f16 v94, v94;
	;;#ASMEND
	s_delay_alu instid0(VALU_DEP_3)
	v_fmac_f32_e32 v37, v32, v86
	;;#ASMSTART
	v_cvt_f32_f16 v95, v95;
	;;#ASMEND
	v_or_b32_e32 v58, v60, v58
	v_or_b32_e32 v59, v61, v59
	;; [unrolled: 1-line block ×3, first 2 shown]
	v_fmac_f32_e32 v37, v41, v91
	v_fma_mixlo_f16 v57, v23, v57, 0 op_sel:[0,1,0] op_sel_hi:[0,1,0]
	v_fma_mixlo_f16 v53, v23, v53, 0 op_sel_hi:[0,1,0]
	v_fma_mixlo_f16 v60, v23, v60, 0 op_sel:[0,1,0] op_sel_hi:[0,1,0]
	v_fma_mixlo_f16 v58, v23, v58, 0 op_sel_hi:[0,1,0]
	v_fmac_f32_e32 v37, v76, v93
	v_and_b32_e32 v96, 0xffff, v97
	v_and_b32_e32 v97, 0xffff, v103
	;;#ASMSTART
	v_cvt_f32_f16 v96, v96;
	;;#ASMEND
	;;#ASMSTART
	v_cvt_f32_f16 v97, v97;
	;;#ASMEND
	ds_load_b128 v[98:101], v2 offset:64
	v_fma_mixlo_f16 v59, v23, v59, 0 op_sel_hi:[0,1,0]
	v_fma_mixlo_f16 v61, v23, v61, 0 op_sel:[0,1,0] op_sel_hi:[0,1,0]
	v_fma_mixlo_f16 v62, v23, v62, 0 op_sel_hi:[0,1,0]
	v_fma_mixlo_f16 v63, v23, v63, 0 op_sel:[0,1,0] op_sel_hi:[0,1,0]
	v_fmac_f32_e32 v29, v52, v55
	v_and_b32_e32 v53, 0xffff, v53
	v_and_b32_e32 v57, 0xffff, v57
	;; [unrolled: 1-line block ×3, first 2 shown]
	v_fmac_f32_e32 v35, v95, v97
	v_mul_f32_e32 v36, v107, v109
	v_or_b32_e32 v64, v65, v64
	v_or_b32_e32 v68, v66, v68
	v_fmac_f32_e32 v38, v30, v85
	v_or_b32_e32 v30, v71, v67
	v_or_b32_e32 v9, v10, v9
	v_fma_mixlo_f16 v65, v23, v65, 0 op_sel:[0,1,0] op_sel_hi:[0,1,0]
	v_fma_mixlo_f16 v32, v23, v64, 0 op_sel_hi:[0,1,0]
	v_fma_mixlo_f16 v64, v23, v66, 0 op_sel:[0,1,0] op_sel_hi:[0,1,0]
	v_fma_mixlo_f16 v66, v23, v68, 0 op_sel_hi:[0,1,0]
	s_wait_dscnt 0x0
	v_and_b32_e32 v103, 0xffff, v98
	v_lshrrev_b32_e32 v104, 16, v98
	;;#ASMSTART
	v_cvt_f32_f16 v98, v103;
	;;#ASMEND
	v_and_b32_e32 v105, 0xffff, v99
	v_lshrrev_b32_e32 v106, 16, v99
	;;#ASMSTART
	v_cvt_f32_f16 v99, v104;
	;;#ASMEND
	;;#ASMSTART
	v_cvt_f32_f16 v103, v53;
	;;#ASMEND
	;; [unrolled: 3-line block ×3, first 2 shown]
	v_and_b32_e32 v53, 0xffff, v58
	v_and_b32_e32 v57, 0xffff, v60
	;; [unrolled: 1-line block ×3, first 2 shown]
	v_lshrrev_b32_e32 v60, 16, v100
	;;#ASMSTART
	v_cvt_f32_f16 v105, v105;
	;;#ASMEND
	;;#ASMSTART
	v_cvt_f32_f16 v106, v106;
	;;#ASMEND
	;; [unrolled: 3-line block ×7, first 2 shown]
	v_and_b32_e32 v59, 0xffff, v61
	v_lshrrev_b32_e32 v61, 16, v101
	v_dual_fmac_f32 v1, v98, v103 :: v_dual_and_b32 v62, 0xffff, v62
	v_dual_fmac_f32 v29, v105, v100 :: v_dual_and_b32 v60, 0xffff, v101
	v_fmac_f32_e32 v27, v106, v107
	v_and_b32_e32 v110, 0xffff, v63
	;;#ASMSTART
	v_cvt_f32_f16 v63, v59;
	;;#ASMEND
	;;#ASMSTART
	v_cvt_f32_f16 v101, v60;
	;;#ASMEND
	;; [unrolled: 3-line block ×5, first 2 shown]
	ds_load_b128 v[59:62], v2 offset:80
	v_or_b32_e32 v67, v81, v74
	v_fma_mixlo_f16 v68, v23, v30, 0 op_sel_hi:[0,1,0]
	v_or_b32_e32 v30, v83, v80
	v_or_b32_e32 v80, v7, v84
	v_fma_mixlo_f16 v69, v23, v69, 0 op_sel:[0,1,0] op_sel_hi:[0,1,0]
	v_fma_mixlo_f16 v102, v23, v102, 0 op_sel_hi:[0,1,0]
	v_fma_mixlo_f16 v71, v23, v71, 0 op_sel:[0,1,0] op_sel_hi:[0,1,0]
	v_fma_mixlo_f16 v84, v23, v9, 0 op_sel_hi:[0,1,0]
	v_fma_mixlo_f16 v9, v23, v83, 0 op_sel:[0,1,0] op_sel_hi:[0,1,0]
	v_fma_mixlo_f16 v34, v23, v31, 0 op_sel_hi:[0,1,0]
	v_fma_mixlo_f16 v31, v23, v111, 0 op_sel_hi:[0,1,0]
	v_fma_mixlo_f16 v75, v23, v75, 0 op_sel:[0,1,0] op_sel_hi:[0,1,0]
	v_fma_mixlo_f16 v74, v23, v81, 0 op_sel:[0,1,0] op_sel_hi:[0,1,0]
	v_fma_mixlo_f16 v67, v23, v67, 0 op_sel_hi:[0,1,0]
	v_fma_mixlo_f16 v81, v23, v10, 0 op_sel:[0,1,0] op_sel_hi:[0,1,0]
	v_fma_mixlo_f16 v30, v23, v30, 0 op_sel_hi:[0,1,0]
	v_fma_mixlo_f16 v10, v23, v80, 0 op_sel_hi:[0,1,0]
	v_fma_mixlo_f16 v7, v23, v7, 0 op_sel:[0,1,0] op_sel_hi:[0,1,0]
	v_fmac_f32_e32 v37, v57, v63
	s_wait_dscnt 0x0
	v_and_b32_e32 v83, 0xffff, v59
	v_lshrrev_b32_e32 v23, 16, v59
	;;#ASMSTART
	v_cvt_f32_f16 v80, v83;
	;;#ASMEND
	v_and_b32_e32 v59, 0xffff, v32
	v_and_b32_e32 v83, 0xffff, v65
	;; [unrolled: 1-line block ×3, first 2 shown]
	v_lshrrev_b32_e32 v60, 16, v60
	;;#ASMSTART
	v_cvt_f32_f16 v32, v23;
	;;#ASMEND
	;;#ASMSTART
	v_cvt_f32_f16 v65, v59;
	;;#ASMEND
	;; [unrolled: 3-line block ×5, first 2 shown]
	v_and_b32_e32 v59, 0xffff, v69
	v_and_b32_e32 v60, 0xffff, v61
	v_lshrrev_b32_e32 v61, 16, v61
	v_dual_fmac_f32 v36, v87, v89 :: v_dual_and_b32 v23, 0xffff, v102
	v_and_b32_e32 v89, 0xffff, v66
	;;#ASMSTART
	v_cvt_f32_f16 v66, v23;
	;;#ASMEND
	;;#ASMSTART
	v_cvt_f32_f16 v69, v59;
	;;#ASMEND
	;; [unrolled: 3-line block ×4, first 2 shown]
	v_and_b32_e32 v59, 0xffff, v62
	v_lshrrev_b32_e32 v60, 16, v62
	v_and_b32_e32 v61, 0xffff, v68
	v_dual_fmac_f32 v35, v108, v110 :: v_dual_and_b32 v62, 0xffff, v71
	;;#ASMSTART
	v_cvt_f32_f16 v89, v89;
	;;#ASMEND
	v_and_b32_e32 v23, 0xffff, v64
	;;#ASMSTART
	v_cvt_f32_f16 v64, v23;
	;;#ASMEND
	;;#ASMSTART
	v_cvt_f32_f16 v68, v59;
	;;#ASMEND
	;; [unrolled: 3-line block ×5, first 2 shown]
	ds_load_b128 v[59:62], v2 offset:96
	v_add_nc_u32_e32 v23, v21, v18
	v_fmac_f32_e32 v1, v80, v65
	v_dual_fmac_f32 v8, v48, v73 :: v_dual_fmac_f32 v29, v85, v66
	v_fmac_f32_e32 v27, v86, v69
	v_fmac_f32_e32 v37, v88, v64
	v_cvt_f32_i32_e32 v39, v23
	v_fmac_f32_e32 v38, v40, v42
	v_fmac_f32_e32 v36, v43, v46
	;; [unrolled: 1-line block ×3, first 2 shown]
	v_and_b32_e32 v51, 0xffff, v75
	s_delay_alu instid0(VALU_DEP_4) | instskip(NEXT) | instid1(VALU_DEP_4)
	v_dual_fmac_f32 v35, v71, v102 :: v_dual_fmac_f32 v38, v70, v92
	v_fmac_f32_e32 v36, v94, v96
	s_delay_alu instid0(VALU_DEP_4) | instskip(SKIP_1) | instid1(VALU_DEP_4)
	v_fmac_f32_e32 v8, v99, v104
	v_and_b32_e32 v10, 0xffff, v10
	v_fmac_f32_e32 v38, v53, v58
	s_wait_dscnt 0x0
	v_dual_fmac_f32 v36, v101, v109 :: v_dual_and_b32 v23, 0xffff, v59
	v_lshrrev_b32_e32 v41, 16, v59
	;;#ASMSTART
	v_cvt_f32_f16 v40, v23;
	;;#ASMEND
	v_and_b32_e32 v23, 0xffff, v28
	v_and_b32_e32 v43, 0xffff, v60
	v_lshrrev_b32_e32 v44, 16, v60
	;;#ASMSTART
	v_cvt_f32_f16 v28, v41;
	;;#ASMEND
	;;#ASMSTART
	v_cvt_f32_f16 v41, v23;
	;;#ASMEND
	v_dual_fmac_f32 v1, v40, v41 :: v_dual_and_b32 v26, 0xffff, v26
	;;#ASMSTART
	v_cvt_f32_f16 v42, v26;
	;;#ASMEND
	;;#ASMSTART
	v_cvt_f32_f16 v43, v43;
	;;#ASMEND
	;; [unrolled: 3-line block ×3, first 2 shown]
	v_and_b32_e32 v23, 0xffff, v25
	v_and_b32_e32 v25, 0xffff, v61
	v_lshrrev_b32_e32 v26, 16, v61
	v_and_b32_e32 v48, 0xffff, v34
	;;#ASMSTART
	v_cvt_f32_f16 v34, v23;
	;;#ASMEND
	v_dual_fmac_f32 v29, v43, v34 :: v_dual_and_b32 v24, 0xffff, v24
	;;#ASMSTART
	v_cvt_f32_f16 v45, v24;
	;;#ASMEND
	;;#ASMSTART
	v_cvt_f32_f16 v46, v25;
	;;#ASMEND
	;; [unrolled: 3-line block ×3, first 2 shown]
	v_and_b32_e32 v23, 0xffff, v33
	v_lshrrev_b32_e32 v25, 16, v62
	v_dual_fmac_f32 v27, v44, v45 :: v_dual_and_b32 v26, 0xffff, v31
	;;#ASMSTART
	v_cvt_f32_f16 v48, v48;
	;;#ASMEND
	;;#ASMSTART
	v_cvt_f32_f16 v31, v23;
	;;#ASMEND
	v_dual_fmac_f32 v37, v47, v31 :: v_dual_and_b32 v24, 0xffff, v62
	;;#ASMSTART
	v_cvt_f32_f16 v33, v24;
	;;#ASMEND
	;;#ASMSTART
	v_cvt_f32_f16 v49, v25;
	;;#ASMEND
	;; [unrolled: 3-line block ×4, first 2 shown]
	ds_load_b128 v[23:26], v2 offset:112
	v_fmac_f32_e32 v8, v32, v83
	v_fmac_f32_e32 v36, v68, v90
	v_dual_fmac_f32 v35, v49, v51 :: v_dual_and_b32 v32, 0xffff, v84
	v_fmac_f32_e32 v38, v87, v89
	s_delay_alu instid0(VALU_DEP_4) | instskip(NEXT) | instid1(VALU_DEP_4)
	v_fmac_f32_e32 v8, v28, v42
	v_dual_fmac_f32 v36, v33, v50 :: v_dual_and_b32 v33, 0xffff, v81
	s_delay_alu instid0(VALU_DEP_3)
	v_fmac_f32_e32 v38, v46, v48
	s_wait_dscnt 0x0
	v_and_b32_e32 v28, 0xffff, v23
	v_lshrrev_b32_e32 v31, 16, v23
	;;#ASMSTART
	v_cvt_f32_f16 v23, v28;
	;;#ASMEND
	;;#ASMSTART
	v_cvt_f32_f16 v28, v31;
	;;#ASMEND
	;; [unrolled: 3-line block ×4, first 2 shown]
	v_dual_fmac_f32 v1, v23, v31 :: v_dual_fmac_f32 v8, v28, v32
	v_and_b32_e32 v23, 0xffff, v24
	v_lshrrev_b32_e32 v24, 16, v24
	v_and_b32_e32 v31, 0xffff, v67
	;;#ASMSTART
	v_cvt_f32_f16 v23, v23;
	;;#ASMEND
	;;#ASMSTART
	v_cvt_f32_f16 v24, v24;
	;;#ASMEND
	;; [unrolled: 3-line block ×3, first 2 shown]
	v_dual_fmac_f32 v29, v23, v28 :: v_dual_and_b32 v28, 0xffff, v9
	v_add_f32_e32 v1, v1, v8
	v_and_b32_e32 v33, 0xffff, v74
	;;#ASMSTART
	v_cvt_f32_f16 v31, v33;
	;;#ASMEND
	v_fmac_f32_e32 v27, v24, v31
	v_and_b32_e32 v23, 0xffff, v25
	v_add_f32_e32 v1, v1, v29
	;;#ASMSTART
	v_cvt_f32_f16 v8, v23;
	;;#ASMEND
	v_lshrrev_b32_e32 v24, 16, v25
	v_and_b32_e32 v25, 0xffff, v30
	;;#ASMSTART
	v_cvt_f32_f16 v9, v24;
	;;#ASMEND
	;;#ASMSTART
	v_cvt_f32_f16 v23, v25;
	;;#ASMEND
	v_fmac_f32_e32 v38, v8, v23
	v_dual_add_f32 v1, v27, v1 :: v_dual_and_b32 v8, 0xffff, v26
	;;#ASMSTART
	v_cvt_f32_f16 v24, v28;
	;;#ASMEND
	v_lshrrev_b32_e32 v23, 16, v26
	;;#ASMSTART
	v_cvt_f32_f16 v8, v8;
	;;#ASMEND
	v_fmac_f32_e32 v37, v9, v24
	;;#ASMSTART
	v_cvt_f32_f16 v9, v23;
	;;#ASMEND
	;;#ASMSTART
	v_cvt_f32_f16 v10, v10;
	;;#ASMEND
	v_dual_fmac_f32 v36, v8, v10 :: v_dual_and_b32 v23, 0xffff, v7
	;;#ASMSTART
	v_cvt_f32_f16 v8, v23;
	;;#ASMEND
	v_dual_fmac_f32 v35, v9, v8 :: v_dual_add_nc_u32 v8, v12, v18
	v_add_f32_e32 v1, v1, v38
	v_mul_f32_e32 v7, s30, v39
	s_delay_alu instid0(VALU_DEP_3) | instskip(NEXT) | instid1(VALU_DEP_3)
	v_cmp_gt_i32_e64 s3, s34, v8
	v_add_f32_e32 v1, v37, v1
	s_delay_alu instid0(VALU_DEP_3) | instskip(NEXT) | instid1(VALU_DEP_2)
	v_cndmask_b32_e32 v7, 0, v7, vcc_lo
	v_add_f32_e32 v1, v1, v36
	s_delay_alu instid0(VALU_DEP_1) | instskip(NEXT) | instid1(VALU_DEP_1)
	v_add_f32_e32 v1, v35, v1
	v_fmac_f32_e32 v7, s13, v1
	v_max_num_f32_e32 v1, v17, v17
	s_delay_alu instid0(VALU_DEP_1) | instskip(SKIP_2) | instid1(VALU_DEP_2)
	v_max_num_f32_e32 v1, v1, v7
	s_wait_alu 0xf1ff
	v_cndmask_b32_e64 v7, 0, v7, s3
	v_cndmask_b32_e64 v17, v17, v1, s3
	ds_store_b32 v22, v7
.LBB284_15:                             ;   in Loop: Header=BB284_16 Depth=1
	s_wait_alu 0xfffe
	s_or_b32 exec_lo, exec_lo, s4
	v_add_nc_u32_e32 v20, 4, v20
	v_add_co_u32 v3, s4, v3, 16
	s_wait_alu 0xf1ff
	v_add_co_ci_u32_e64 v4, null, 0, v4, s4
	s_delay_alu instid0(VALU_DEP_3)
	v_cmp_le_i32_e64 s3, s35, v20
	v_add_nc_u32_e32 v18, 0x80, v18
	v_add_nc_u32_e32 v22, 0x200, v22
	s_or_b32 s42, s3, s42
	s_wait_alu 0xfffe
	s_and_not1_b32 exec_lo, exec_lo, s42
	s_cbranch_execz .LBB284_528
.LBB284_16:                             ; =>This Inner Loop Header: Depth=1
	v_sub_nc_u32_e32 v1, 0, v18
	s_delay_alu instid0(VALU_DEP_1) | instskip(NEXT) | instid1(VALU_DEP_1)
	v_max_i32_e32 v1, v18, v1
	v_mul_hi_u32 v7, v1, s22
	s_delay_alu instid0(VALU_DEP_1) | instskip(NEXT) | instid1(VALU_DEP_1)
	v_mul_lo_u32 v8, v7, s16
	v_sub_nc_u32_e32 v1, v1, v8
	v_add_nc_u32_e32 v8, 1, v7
	s_delay_alu instid0(VALU_DEP_2) | instskip(SKIP_2) | instid1(VALU_DEP_1)
	v_subrev_nc_u32_e32 v9, s16, v1
	v_cmp_le_u32_e64 s3, s16, v1
	s_wait_alu 0xf1ff
	v_cndmask_b32_e64 v7, v7, v8, s3
	s_delay_alu instid0(VALU_DEP_3) | instskip(SKIP_1) | instid1(VALU_DEP_3)
	v_cndmask_b32_e64 v1, v1, v9, s3
	v_ashrrev_i32_e32 v8, 31, v18
	v_add_nc_u32_e32 v9, 1, v7
	s_delay_alu instid0(VALU_DEP_3) | instskip(NEXT) | instid1(VALU_DEP_3)
	v_cmp_le_u32_e64 s3, s16, v1
	v_xor_b32_e32 v8, s23, v8
	s_wait_alu 0xf1ff
	s_delay_alu instid0(VALU_DEP_2) | instskip(NEXT) | instid1(VALU_DEP_1)
	v_cndmask_b32_e64 v1, v7, v9, s3
	v_xor_b32_e32 v1, v1, v8
	s_delay_alu instid0(VALU_DEP_1) | instskip(NEXT) | instid1(VALU_DEP_1)
	v_sub_nc_u32_e32 v1, v1, v8
	v_add_nc_u32_e32 v7, s21, v1
	v_cmp_ge_i32_e64 s4, s31, v1
	s_delay_alu instid0(VALU_DEP_2) | instskip(NEXT) | instid1(VALU_DEP_1)
	v_sub_nc_u32_e32 v8, 0, v7
	v_max_i32_e32 v8, v7, v8
	v_ashrrev_i32_e32 v7, 31, v7
	s_delay_alu instid0(VALU_DEP_2) | instskip(NEXT) | instid1(VALU_DEP_1)
	v_mul_hi_u32 v9, v8, s19
	v_mul_lo_u32 v9, v9, s40
	s_delay_alu instid0(VALU_DEP_1) | instskip(NEXT) | instid1(VALU_DEP_1)
	v_sub_nc_u32_e32 v8, v8, v9
	v_subrev_nc_u32_e32 v9, s40, v8
	v_cmp_le_u32_e64 s3, s40, v8
	s_wait_alu 0xf1ff
	s_delay_alu instid0(VALU_DEP_1) | instskip(NEXT) | instid1(VALU_DEP_1)
	v_cndmask_b32_e64 v8, v8, v9, s3
	v_subrev_nc_u32_e32 v9, s40, v8
	v_cmp_le_u32_e64 s3, s40, v8
	s_wait_alu 0xf1ff
	s_delay_alu instid0(VALU_DEP_1) | instskip(NEXT) | instid1(VALU_DEP_1)
	v_cndmask_b32_e64 v8, v8, v9, s3
	v_xor_b32_e32 v8, v8, v7
	s_delay_alu instid0(VALU_DEP_1) | instskip(NEXT) | instid1(VALU_DEP_1)
	v_sub_nc_u32_e32 v7, v8, v7
	v_cmp_ne_u32_e64 s3, 0, v7
	s_and_b32 s3, s3, s4
	s_wait_alu 0xfffe
	s_and_saveexec_b32 s4, s3
	s_wait_alu 0xfffe
	s_xor_b32 s3, exec_lo, s4
; %bb.17:                               ;   in Loop: Header=BB284_16 Depth=1
	ds_store_b32 v22, v19
; %bb.18:                               ;   in Loop: Header=BB284_16 Depth=1
	s_wait_alu 0xfffe
	s_and_not1_saveexec_b32 s4, s3
	s_cbranch_execz .LBB284_15
; %bb.19:                               ;   in Loop: Header=BB284_16 Depth=1
	global_load_b32 v1, v[3:4], off
	v_mov_b32_e32 v25, 0
	s_mov_b32 s43, exec_lo
	s_wait_loadcnt 0x0
	v_mad_co_i64_i32 v[7:8], null, v1, s41, v[5:6]
	global_load_b64 v[9:10], v[7:8], off
	s_wait_loadcnt 0x0
	v_dual_mov_b32 v24, 0 :: v_dual_and_b32 v1, 0xff, v9
	global_load_b32 v23, v24, s[8:9]
	v_cmpx_ne_u16_e32 0, v1
	s_cbranch_execz .LBB284_27
; %bb.20:                               ;   in Loop: Header=BB284_16 Depth=1
	v_mov_b32_e32 v25, 0x8000
	s_mov_b32 s44, exec_lo
	v_cmpx_ne_u16_e32 0x80, v1
	s_cbranch_execz .LBB284_26
; %bb.21:                               ;   in Loop: Header=BB284_16 Depth=1
	v_and_b32_e32 v26, 0x7f, v9
	v_mov_b32_e32 v25, 0x7c01
	s_mov_b32 s45, exec_lo
	s_delay_alu instid0(VALU_DEP_2)
	v_cmpx_ne_u32_e32 0x7f, v26
	s_cbranch_execz .LBB284_25
; %bb.22:                               ;   in Loop: Header=BB284_16 Depth=1
	v_and_b32_e32 v1, 7, v9
	v_lshrrev_b32_e32 v25, 3, v26
	s_mov_b32 s46, exec_lo
	v_cmpx_gt_u32_e32 8, v26
; %bb.23:                               ;   in Loop: Header=BB284_16 Depth=1
	s_delay_alu instid0(VALU_DEP_3) | instskip(NEXT) | instid1(VALU_DEP_1)
	v_clz_i32_u32_e32 v1, v1
	v_min_u32_e32 v1, 32, v1
	s_delay_alu instid0(VALU_DEP_1) | instskip(NEXT) | instid1(VALU_DEP_1)
	v_subrev_nc_u32_e32 v25, 28, v1
	v_lshlrev_b64_e32 v[26:27], v25, v[9:10]
	v_sub_nc_u32_e32 v25, 29, v1
	s_delay_alu instid0(VALU_DEP_2)
	v_and_b32_e32 v1, 7, v26
; %bb.24:                               ;   in Loop: Header=BB284_16 Depth=1
	s_or_b32 exec_lo, exec_lo, s46
	v_lshlrev_b32_e32 v26, 8, v9
	s_delay_alu instid0(VALU_DEP_3) | instskip(NEXT) | instid1(VALU_DEP_3)
	v_lshl_add_u32 v25, v25, 10, 0x2000
	v_lshlrev_b32_e32 v1, 7, v1
	s_delay_alu instid0(VALU_DEP_3) | instskip(NEXT) | instid1(VALU_DEP_3)
	v_and_b32_e32 v26, 0x8000, v26
	v_and_b32_e32 v25, 0xfc00, v25
	s_delay_alu instid0(VALU_DEP_1)
	v_or3_b32 v25, v26, v25, v1
.LBB284_25:                             ;   in Loop: Header=BB284_16 Depth=1
	s_wait_alu 0xfffe
	s_or_b32 exec_lo, exec_lo, s45
.LBB284_26:                             ;   in Loop: Header=BB284_16 Depth=1
	s_wait_alu 0xfffe
	s_or_b32 exec_lo, exec_lo, s44
.LBB284_27:                             ;   in Loop: Header=BB284_16 Depth=1
	s_wait_alu 0xfffe
	s_or_b32 exec_lo, exec_lo, s43
	v_lshrrev_b16 v1, 8, v9
	s_mov_b32 s43, exec_lo
	s_delay_alu instid0(VALU_DEP_1)
	v_cmpx_ne_u16_e32 0, v1
	s_cbranch_execz .LBB284_35
; %bb.28:                               ;   in Loop: Header=BB284_16 Depth=1
	v_bfrev_b32_e32 v24, 1
	s_mov_b32 s44, exec_lo
	v_cmpx_ne_u16_e32 0x80, v1
	s_cbranch_execz .LBB284_34
; %bb.29:                               ;   in Loop: Header=BB284_16 Depth=1
	v_and_b32_e32 v26, 0xffff, v1
	v_mov_b32_e32 v24, 0x7c010000
	s_mov_b32 s45, exec_lo
	s_delay_alu instid0(VALU_DEP_2) | instskip(NEXT) | instid1(VALU_DEP_1)
	v_and_b32_e32 v28, 0x7f, v26
	v_cmpx_ne_u32_e32 0x7f, v28
	s_cbranch_execz .LBB284_33
; %bb.30:                               ;   in Loop: Header=BB284_16 Depth=1
	v_and_b32_e32 v24, 7, v26
	v_lshrrev_b32_e32 v27, 3, v28
	s_mov_b32 s46, exec_lo
	v_cmpx_gt_u32_e32 8, v28
; %bb.31:                               ;   in Loop: Header=BB284_16 Depth=1
	s_delay_alu instid0(VALU_DEP_3) | instskip(NEXT) | instid1(VALU_DEP_1)
	v_clz_i32_u32_e32 v24, v24
	v_min_u32_e32 v24, 32, v24
	s_delay_alu instid0(VALU_DEP_1) | instskip(NEXT) | instid1(VALU_DEP_1)
	v_subrev_nc_u32_e32 v27, 28, v24
	v_lshlrev_b64_e32 v[28:29], v27, v[1:2]
	v_sub_nc_u32_e32 v27, 29, v24
	s_delay_alu instid0(VALU_DEP_2)
	v_and_b32_e32 v24, 7, v28
; %bb.32:                               ;   in Loop: Header=BB284_16 Depth=1
	s_or_b32 exec_lo, exec_lo, s46
	v_lshlrev_b32_e32 v1, 8, v26
	s_delay_alu instid0(VALU_DEP_3) | instskip(NEXT) | instid1(VALU_DEP_3)
	v_lshl_add_u32 v26, v27, 10, 0x2000
	v_lshlrev_b32_e32 v24, 23, v24
	s_delay_alu instid0(VALU_DEP_2) | instskip(NEXT) | instid1(VALU_DEP_1)
	v_and_or_b32 v1, 0x8000, v1, v26
	v_lshl_or_b32 v24, v1, 16, v24
.LBB284_33:                             ;   in Loop: Header=BB284_16 Depth=1
	s_wait_alu 0xfffe
	s_or_b32 exec_lo, exec_lo, s45
.LBB284_34:                             ;   in Loop: Header=BB284_16 Depth=1
	s_wait_alu 0xfffe
	s_or_b32 exec_lo, exec_lo, s44
.LBB284_35:                             ;   in Loop: Header=BB284_16 Depth=1
	s_wait_alu 0xfffe
	s_or_b32 exec_lo, exec_lo, s43
	v_lshrrev_b32_e32 v1, 16, v9
	v_mov_b32_e32 v26, 0
	s_mov_b32 s43, exec_lo
	s_delay_alu instid0(VALU_DEP_2) | instskip(NEXT) | instid1(VALU_DEP_1)
	v_dual_mov_b32 v27, 0 :: v_dual_and_b32 v28, 0xff, v1
	v_cmpx_ne_u16_e32 0, v28
	s_cbranch_execz .LBB284_43
; %bb.36:                               ;   in Loop: Header=BB284_16 Depth=1
	v_mov_b32_e32 v27, 0x8000
	s_mov_b32 s44, exec_lo
	v_cmpx_ne_u16_e32 0x80, v28
	s_cbranch_execz .LBB284_42
; %bb.37:                               ;   in Loop: Header=BB284_16 Depth=1
	v_bfe_u32 v29, v9, 16, 7
	v_mov_b32_e32 v27, 0x7c01
	s_mov_b32 s45, exec_lo
	s_delay_alu instid0(VALU_DEP_2)
	v_cmpx_ne_u32_e32 0x7f, v29
	s_cbranch_execz .LBB284_41
; %bb.38:                               ;   in Loop: Header=BB284_16 Depth=1
	v_and_b32_e32 v27, 7, v1
	v_lshrrev_b32_e32 v28, 3, v29
	s_mov_b32 s46, exec_lo
	v_cmpx_gt_u32_e32 8, v29
; %bb.39:                               ;   in Loop: Header=BB284_16 Depth=1
	s_delay_alu instid0(VALU_DEP_3) | instskip(NEXT) | instid1(VALU_DEP_1)
	v_clz_i32_u32_e32 v27, v27
	v_min_u32_e32 v29, 32, v27
	s_delay_alu instid0(VALU_DEP_1) | instskip(NEXT) | instid1(VALU_DEP_1)
	v_subrev_nc_u32_e32 v27, 28, v29
	v_lshlrev_b64_e32 v[27:28], v27, v[1:2]
	v_sub_nc_u32_e32 v28, 29, v29
	s_delay_alu instid0(VALU_DEP_2)
	v_and_b32_e32 v27, 7, v27
; %bb.40:                               ;   in Loop: Header=BB284_16 Depth=1
	s_or_b32 exec_lo, exec_lo, s46
	v_lshlrev_b32_e32 v1, 8, v1
	s_delay_alu instid0(VALU_DEP_3) | instskip(NEXT) | instid1(VALU_DEP_3)
	v_lshl_add_u32 v28, v28, 10, 0x2000
	v_lshlrev_b32_e32 v27, 7, v27
	s_delay_alu instid0(VALU_DEP_3) | instskip(NEXT) | instid1(VALU_DEP_3)
	v_and_b32_e32 v1, 0x8000, v1
	v_and_b32_e32 v28, 0xfc00, v28
	s_delay_alu instid0(VALU_DEP_1)
	v_or3_b32 v27, v1, v28, v27
.LBB284_41:                             ;   in Loop: Header=BB284_16 Depth=1
	s_wait_alu 0xfffe
	s_or_b32 exec_lo, exec_lo, s45
.LBB284_42:                             ;   in Loop: Header=BB284_16 Depth=1
	s_wait_alu 0xfffe
	s_or_b32 exec_lo, exec_lo, s44
.LBB284_43:                             ;   in Loop: Header=BB284_16 Depth=1
	s_wait_alu 0xfffe
	s_or_b32 exec_lo, exec_lo, s43
	s_delay_alu instid0(SALU_CYCLE_1)
	s_mov_b32 s43, exec_lo
	v_cmpx_lt_u32_e32 0xffffff, v9
	s_cbranch_execz .LBB284_51
; %bb.44:                               ;   in Loop: Header=BB284_16 Depth=1
	v_lshrrev_b32_e32 v1, 24, v9
	v_bfrev_b32_e32 v26, 1
	s_mov_b32 s44, exec_lo
	s_delay_alu instid0(VALU_DEP_2)
	v_cmpx_ne_u32_e32 0x80, v1
	s_cbranch_execz .LBB284_50
; %bb.45:                               ;   in Loop: Header=BB284_16 Depth=1
	v_and_b32_e32 v29, 0x7f, v1
	v_mov_b32_e32 v26, 0x7c010000
	s_mov_b32 s45, exec_lo
	s_delay_alu instid0(VALU_DEP_2)
	v_cmpx_ne_u32_e32 0x7f, v29
	s_cbranch_execz .LBB284_49
; %bb.46:                               ;   in Loop: Header=BB284_16 Depth=1
	v_and_b32_e32 v26, 7, v1
	v_lshrrev_b32_e32 v28, 3, v29
	s_mov_b32 s46, exec_lo
	v_cmpx_gt_u32_e32 8, v29
; %bb.47:                               ;   in Loop: Header=BB284_16 Depth=1
	s_delay_alu instid0(VALU_DEP_3) | instskip(NEXT) | instid1(VALU_DEP_1)
	v_clz_i32_u32_e32 v26, v26
	v_min_u32_e32 v26, 32, v26
	s_delay_alu instid0(VALU_DEP_1) | instskip(NEXT) | instid1(VALU_DEP_1)
	v_subrev_nc_u32_e32 v28, 28, v26
	v_lshlrev_b64_e32 v[29:30], v28, v[1:2]
	v_sub_nc_u32_e32 v28, 29, v26
	s_delay_alu instid0(VALU_DEP_2)
	v_and_b32_e32 v26, 7, v29
; %bb.48:                               ;   in Loop: Header=BB284_16 Depth=1
	s_or_b32 exec_lo, exec_lo, s46
	v_lshlrev_b32_e32 v1, 8, v1
	s_delay_alu instid0(VALU_DEP_3) | instskip(NEXT) | instid1(VALU_DEP_3)
	v_lshl_add_u32 v28, v28, 10, 0x2000
	v_lshlrev_b32_e32 v26, 23, v26
	s_delay_alu instid0(VALU_DEP_2) | instskip(NEXT) | instid1(VALU_DEP_1)
	v_and_or_b32 v1, 0x8000, v1, v28
	v_lshl_or_b32 v26, v1, 16, v26
.LBB284_49:                             ;   in Loop: Header=BB284_16 Depth=1
	s_wait_alu 0xfffe
	s_or_b32 exec_lo, exec_lo, s45
.LBB284_50:                             ;   in Loop: Header=BB284_16 Depth=1
	s_wait_alu 0xfffe
	s_or_b32 exec_lo, exec_lo, s44
.LBB284_51:                             ;   in Loop: Header=BB284_16 Depth=1
	s_wait_alu 0xfffe
	s_or_b32 exec_lo, exec_lo, s43
	v_dual_mov_b32 v1, v10 :: v_dual_and_b32 v30, 0xff, v10
	v_dual_mov_b32 v28, 0 :: v_dual_mov_b32 v29, 0
	s_mov_b32 s43, exec_lo
	s_delay_alu instid0(VALU_DEP_2)
	v_cmpx_ne_u16_e32 0, v30
	s_cbranch_execz .LBB284_59
; %bb.52:                               ;   in Loop: Header=BB284_16 Depth=1
	v_mov_b32_e32 v29, 0x8000
	s_mov_b32 s44, exec_lo
	v_cmpx_ne_u16_e32 0x80, v30
	s_cbranch_execz .LBB284_58
; %bb.53:                               ;   in Loop: Header=BB284_16 Depth=1
	v_and_b32_e32 v31, 0x7f, v10
	v_mov_b32_e32 v29, 0x7c01
	s_mov_b32 s45, exec_lo
	s_delay_alu instid0(VALU_DEP_2)
	v_cmpx_ne_u32_e32 0x7f, v31
	s_cbranch_execz .LBB284_57
; %bb.54:                               ;   in Loop: Header=BB284_16 Depth=1
	v_and_b32_e32 v29, 7, v10
	v_lshrrev_b32_e32 v30, 3, v31
	s_mov_b32 s46, exec_lo
	v_cmpx_gt_u32_e32 8, v31
; %bb.55:                               ;   in Loop: Header=BB284_16 Depth=1
	s_delay_alu instid0(VALU_DEP_3) | instskip(NEXT) | instid1(VALU_DEP_1)
	v_clz_i32_u32_e32 v29, v29
	v_min_u32_e32 v31, 32, v29
	s_delay_alu instid0(VALU_DEP_1) | instskip(NEXT) | instid1(VALU_DEP_1)
	v_subrev_nc_u32_e32 v29, 28, v31
	v_lshlrev_b64_e32 v[29:30], v29, v[1:2]
	v_sub_nc_u32_e32 v30, 29, v31
	s_delay_alu instid0(VALU_DEP_2)
	v_and_b32_e32 v29, 7, v29
; %bb.56:                               ;   in Loop: Header=BB284_16 Depth=1
	s_or_b32 exec_lo, exec_lo, s46
	v_lshlrev_b32_e32 v31, 8, v10
	s_delay_alu instid0(VALU_DEP_3) | instskip(NEXT) | instid1(VALU_DEP_3)
	v_lshl_add_u32 v30, v30, 10, 0x2000
	v_lshlrev_b32_e32 v29, 7, v29
	s_delay_alu instid0(VALU_DEP_3) | instskip(NEXT) | instid1(VALU_DEP_3)
	v_and_b32_e32 v31, 0x8000, v31
	v_and_b32_e32 v30, 0xfc00, v30
	s_delay_alu instid0(VALU_DEP_1)
	v_or3_b32 v29, v31, v30, v29
.LBB284_57:                             ;   in Loop: Header=BB284_16 Depth=1
	s_wait_alu 0xfffe
	s_or_b32 exec_lo, exec_lo, s45
.LBB284_58:                             ;   in Loop: Header=BB284_16 Depth=1
	s_wait_alu 0xfffe
	s_or_b32 exec_lo, exec_lo, s44
.LBB284_59:                             ;   in Loop: Header=BB284_16 Depth=1
	s_wait_alu 0xfffe
	s_or_b32 exec_lo, exec_lo, s43
	v_lshrrev_b16 v1, 8, v1
	v_mov_b32_e32 v30, 0
	s_mov_b32 s43, exec_lo
	s_delay_alu instid0(VALU_DEP_2)
	v_cmpx_ne_u16_e32 0, v1
	s_cbranch_execz .LBB284_67
; %bb.60:                               ;   in Loop: Header=BB284_16 Depth=1
	v_bfrev_b32_e32 v30, 1
	s_mov_b32 s44, exec_lo
	v_cmpx_ne_u16_e32 0x80, v1
	s_cbranch_execz .LBB284_66
; %bb.61:                               ;   in Loop: Header=BB284_16 Depth=1
	v_and_b32_e32 v31, 0xffff, v1
	v_mov_b32_e32 v30, 0x7c010000
	s_mov_b32 s45, exec_lo
	s_delay_alu instid0(VALU_DEP_2) | instskip(NEXT) | instid1(VALU_DEP_1)
	v_and_b32_e32 v33, 0x7f, v31
	v_cmpx_ne_u32_e32 0x7f, v33
	s_cbranch_execz .LBB284_65
; %bb.62:                               ;   in Loop: Header=BB284_16 Depth=1
	v_and_b32_e32 v30, 7, v31
	v_lshrrev_b32_e32 v32, 3, v33
	s_mov_b32 s46, exec_lo
	v_cmpx_gt_u32_e32 8, v33
; %bb.63:                               ;   in Loop: Header=BB284_16 Depth=1
	s_delay_alu instid0(VALU_DEP_3) | instskip(NEXT) | instid1(VALU_DEP_1)
	v_clz_i32_u32_e32 v30, v30
	v_min_u32_e32 v30, 32, v30
	s_delay_alu instid0(VALU_DEP_1) | instskip(NEXT) | instid1(VALU_DEP_1)
	v_subrev_nc_u32_e32 v32, 28, v30
	v_lshlrev_b64_e32 v[33:34], v32, v[1:2]
	v_sub_nc_u32_e32 v32, 29, v30
	s_delay_alu instid0(VALU_DEP_2)
	v_and_b32_e32 v30, 7, v33
; %bb.64:                               ;   in Loop: Header=BB284_16 Depth=1
	s_or_b32 exec_lo, exec_lo, s46
	v_lshlrev_b32_e32 v1, 8, v31
	s_delay_alu instid0(VALU_DEP_3) | instskip(NEXT) | instid1(VALU_DEP_3)
	v_lshl_add_u32 v31, v32, 10, 0x2000
	v_lshlrev_b32_e32 v30, 23, v30
	s_delay_alu instid0(VALU_DEP_2) | instskip(NEXT) | instid1(VALU_DEP_1)
	v_and_or_b32 v1, 0x8000, v1, v31
	v_lshl_or_b32 v30, v1, 16, v30
.LBB284_65:                             ;   in Loop: Header=BB284_16 Depth=1
	s_wait_alu 0xfffe
	s_or_b32 exec_lo, exec_lo, s45
.LBB284_66:                             ;   in Loop: Header=BB284_16 Depth=1
	s_wait_alu 0xfffe
	s_or_b32 exec_lo, exec_lo, s44
.LBB284_67:                             ;   in Loop: Header=BB284_16 Depth=1
	s_wait_alu 0xfffe
	s_or_b32 exec_lo, exec_lo, s43
	v_lshrrev_b32_e32 v1, 16, v10
	s_mov_b32 s43, exec_lo
	s_delay_alu instid0(VALU_DEP_1) | instskip(NEXT) | instid1(VALU_DEP_1)
	v_and_b32_e32 v31, 0xff, v1
	v_cmpx_ne_u16_e32 0, v31
	s_cbranch_execz .LBB284_75
; %bb.68:                               ;   in Loop: Header=BB284_16 Depth=1
	v_mov_b32_e32 v28, 0x8000
	s_mov_b32 s44, exec_lo
	v_cmpx_ne_u16_e32 0x80, v31
	s_cbranch_execz .LBB284_74
; %bb.69:                               ;   in Loop: Header=BB284_16 Depth=1
	v_bfe_u32 v32, v10, 16, 7
	v_mov_b32_e32 v28, 0x7c01
	s_mov_b32 s45, exec_lo
	s_delay_alu instid0(VALU_DEP_2)
	v_cmpx_ne_u32_e32 0x7f, v32
	s_cbranch_execz .LBB284_73
; %bb.70:                               ;   in Loop: Header=BB284_16 Depth=1
	v_and_b32_e32 v28, 7, v1
	v_lshrrev_b32_e32 v31, 3, v32
	s_mov_b32 s46, exec_lo
	v_cmpx_gt_u32_e32 8, v32
; %bb.71:                               ;   in Loop: Header=BB284_16 Depth=1
	s_delay_alu instid0(VALU_DEP_3) | instskip(NEXT) | instid1(VALU_DEP_1)
	v_clz_i32_u32_e32 v28, v28
	v_min_u32_e32 v28, 32, v28
	s_delay_alu instid0(VALU_DEP_1) | instskip(NEXT) | instid1(VALU_DEP_1)
	v_subrev_nc_u32_e32 v31, 28, v28
	v_lshlrev_b64_e32 v[32:33], v31, v[1:2]
	v_sub_nc_u32_e32 v31, 29, v28
	s_delay_alu instid0(VALU_DEP_2)
	v_and_b32_e32 v28, 7, v32
; %bb.72:                               ;   in Loop: Header=BB284_16 Depth=1
	s_or_b32 exec_lo, exec_lo, s46
	v_lshlrev_b32_e32 v1, 8, v1
	s_delay_alu instid0(VALU_DEP_3) | instskip(NEXT) | instid1(VALU_DEP_3)
	v_lshl_add_u32 v31, v31, 10, 0x2000
	v_lshlrev_b32_e32 v28, 7, v28
	s_delay_alu instid0(VALU_DEP_3) | instskip(NEXT) | instid1(VALU_DEP_3)
	v_and_b32_e32 v1, 0x8000, v1
	v_and_b32_e32 v31, 0xfc00, v31
	s_delay_alu instid0(VALU_DEP_1)
	v_or3_b32 v28, v1, v31, v28
.LBB284_73:                             ;   in Loop: Header=BB284_16 Depth=1
	s_wait_alu 0xfffe
	s_or_b32 exec_lo, exec_lo, s45
.LBB284_74:                             ;   in Loop: Header=BB284_16 Depth=1
	s_wait_alu 0xfffe
	s_or_b32 exec_lo, exec_lo, s44
.LBB284_75:                             ;   in Loop: Header=BB284_16 Depth=1
	s_wait_alu 0xfffe
	s_or_b32 exec_lo, exec_lo, s43
	v_dual_mov_b32 v31, 0 :: v_dual_mov_b32 v32, 0
	s_mov_b32 s43, exec_lo
	v_cmpx_lt_u64_e64 s[14:15], v[9:10]
	s_cbranch_execz .LBB284_83
; %bb.76:                               ;   in Loop: Header=BB284_16 Depth=1
	v_lshrrev_b32_e32 v1, 24, v10
	v_bfrev_b32_e32 v32, 1
	s_mov_b32 s44, exec_lo
	s_delay_alu instid0(VALU_DEP_2)
	v_cmpx_ne_u32_e32 0x80, v1
	s_cbranch_execz .LBB284_82
; %bb.77:                               ;   in Loop: Header=BB284_16 Depth=1
	v_and_b32_e32 v33, 0x7f, v1
	v_mov_b32_e32 v32, 0x7c010000
	s_mov_b32 s45, exec_lo
	s_delay_alu instid0(VALU_DEP_2)
	v_cmpx_ne_u32_e32 0x7f, v33
	s_cbranch_execz .LBB284_81
; %bb.78:                               ;   in Loop: Header=BB284_16 Depth=1
	v_and_b32_e32 v9, 7, v1
	v_lshrrev_b32_e32 v10, 3, v33
	s_mov_b32 s46, exec_lo
	v_cmpx_gt_u32_e32 8, v33
; %bb.79:                               ;   in Loop: Header=BB284_16 Depth=1
	s_delay_alu instid0(VALU_DEP_3) | instskip(NEXT) | instid1(VALU_DEP_1)
	v_clz_i32_u32_e32 v9, v9
	v_min_u32_e32 v32, 32, v9
	s_delay_alu instid0(VALU_DEP_1) | instskip(NEXT) | instid1(VALU_DEP_1)
	v_subrev_nc_u32_e32 v9, 28, v32
	v_lshlrev_b64_e32 v[9:10], v9, v[1:2]
	v_sub_nc_u32_e32 v10, 29, v32
	s_delay_alu instid0(VALU_DEP_2)
	v_and_b32_e32 v9, 7, v9
; %bb.80:                               ;   in Loop: Header=BB284_16 Depth=1
	s_or_b32 exec_lo, exec_lo, s46
	v_lshlrev_b32_e32 v1, 8, v1
	s_delay_alu instid0(VALU_DEP_3) | instskip(NEXT) | instid1(VALU_DEP_3)
	v_lshl_add_u32 v10, v10, 10, 0x2000
	v_lshlrev_b32_e32 v9, 23, v9
	s_delay_alu instid0(VALU_DEP_2) | instskip(NEXT) | instid1(VALU_DEP_1)
	v_and_or_b32 v1, 0x8000, v1, v10
	v_lshl_or_b32 v32, v1, 16, v9
.LBB284_81:                             ;   in Loop: Header=BB284_16 Depth=1
	s_wait_alu 0xfffe
	s_or_b32 exec_lo, exec_lo, s45
.LBB284_82:                             ;   in Loop: Header=BB284_16 Depth=1
	s_wait_alu 0xfffe
	s_or_b32 exec_lo, exec_lo, s44
.LBB284_83:                             ;   in Loop: Header=BB284_16 Depth=1
	s_wait_alu 0xfffe
	s_or_b32 exec_lo, exec_lo, s43
	global_load_b64 v[9:10], v[7:8], off offset:8
	s_mov_b32 s43, exec_lo
	s_wait_loadcnt 0x0
	v_and_b32_e32 v1, 0xff, v9
	s_delay_alu instid0(VALU_DEP_1)
	v_cmpx_ne_u16_e32 0, v1
	s_cbranch_execz .LBB284_91
; %bb.84:                               ;   in Loop: Header=BB284_16 Depth=1
	v_mov_b32_e32 v31, 0x8000
	s_mov_b32 s44, exec_lo
	v_cmpx_ne_u16_e32 0x80, v1
	s_cbranch_execz .LBB284_90
; %bb.85:                               ;   in Loop: Header=BB284_16 Depth=1
	v_and_b32_e32 v33, 0x7f, v9
	v_mov_b32_e32 v31, 0x7c01
	s_mov_b32 s45, exec_lo
	s_delay_alu instid0(VALU_DEP_2)
	v_cmpx_ne_u32_e32 0x7f, v33
	s_cbranch_execz .LBB284_89
; %bb.86:                               ;   in Loop: Header=BB284_16 Depth=1
	v_and_b32_e32 v1, 7, v9
	v_lshrrev_b32_e32 v31, 3, v33
	s_mov_b32 s46, exec_lo
	v_cmpx_gt_u32_e32 8, v33
; %bb.87:                               ;   in Loop: Header=BB284_16 Depth=1
	s_delay_alu instid0(VALU_DEP_3) | instskip(NEXT) | instid1(VALU_DEP_1)
	v_clz_i32_u32_e32 v1, v1
	v_min_u32_e32 v1, 32, v1
	s_delay_alu instid0(VALU_DEP_1) | instskip(NEXT) | instid1(VALU_DEP_1)
	v_subrev_nc_u32_e32 v31, 28, v1
	v_lshlrev_b64_e32 v[33:34], v31, v[9:10]
	v_sub_nc_u32_e32 v31, 29, v1
	s_delay_alu instid0(VALU_DEP_2)
	v_and_b32_e32 v1, 7, v33
; %bb.88:                               ;   in Loop: Header=BB284_16 Depth=1
	s_or_b32 exec_lo, exec_lo, s46
	v_lshlrev_b32_e32 v33, 8, v9
	s_delay_alu instid0(VALU_DEP_3) | instskip(NEXT) | instid1(VALU_DEP_3)
	v_lshl_add_u32 v31, v31, 10, 0x2000
	v_lshlrev_b32_e32 v1, 7, v1
	s_delay_alu instid0(VALU_DEP_3) | instskip(NEXT) | instid1(VALU_DEP_3)
	v_and_b32_e32 v33, 0x8000, v33
	v_and_b32_e32 v31, 0xfc00, v31
	s_delay_alu instid0(VALU_DEP_1)
	v_or3_b32 v31, v33, v31, v1
.LBB284_89:                             ;   in Loop: Header=BB284_16 Depth=1
	s_wait_alu 0xfffe
	s_or_b32 exec_lo, exec_lo, s45
.LBB284_90:                             ;   in Loop: Header=BB284_16 Depth=1
	s_wait_alu 0xfffe
	s_or_b32 exec_lo, exec_lo, s44
.LBB284_91:                             ;   in Loop: Header=BB284_16 Depth=1
	s_wait_alu 0xfffe
	s_or_b32 exec_lo, exec_lo, s43
	v_lshrrev_b16 v1, 8, v9
	v_dual_mov_b32 v34, 0 :: v_dual_mov_b32 v33, 0
	s_mov_b32 s43, exec_lo
	s_delay_alu instid0(VALU_DEP_2)
	v_cmpx_ne_u16_e32 0, v1
	s_cbranch_execz .LBB284_99
; %bb.92:                               ;   in Loop: Header=BB284_16 Depth=1
	v_bfrev_b32_e32 v33, 1
	s_mov_b32 s44, exec_lo
	v_cmpx_ne_u16_e32 0x80, v1
	s_cbranch_execz .LBB284_98
; %bb.93:                               ;   in Loop: Header=BB284_16 Depth=1
	v_and_b32_e32 v35, 0xffff, v1
	v_mov_b32_e32 v33, 0x7c010000
	s_mov_b32 s45, exec_lo
	s_delay_alu instid0(VALU_DEP_2) | instskip(NEXT) | instid1(VALU_DEP_1)
	v_and_b32_e32 v37, 0x7f, v35
	v_cmpx_ne_u32_e32 0x7f, v37
	s_cbranch_execz .LBB284_97
; %bb.94:                               ;   in Loop: Header=BB284_16 Depth=1
	v_and_b32_e32 v33, 7, v35
	v_lshrrev_b32_e32 v36, 3, v37
	s_mov_b32 s46, exec_lo
	v_cmpx_gt_u32_e32 8, v37
; %bb.95:                               ;   in Loop: Header=BB284_16 Depth=1
	s_delay_alu instid0(VALU_DEP_3) | instskip(NEXT) | instid1(VALU_DEP_1)
	v_clz_i32_u32_e32 v33, v33
	v_min_u32_e32 v33, 32, v33
	s_delay_alu instid0(VALU_DEP_1) | instskip(NEXT) | instid1(VALU_DEP_1)
	v_subrev_nc_u32_e32 v36, 28, v33
	v_lshlrev_b64_e32 v[37:38], v36, v[1:2]
	v_sub_nc_u32_e32 v36, 29, v33
	s_delay_alu instid0(VALU_DEP_2)
	v_and_b32_e32 v33, 7, v37
; %bb.96:                               ;   in Loop: Header=BB284_16 Depth=1
	s_or_b32 exec_lo, exec_lo, s46
	v_lshlrev_b32_e32 v1, 8, v35
	s_delay_alu instid0(VALU_DEP_3) | instskip(NEXT) | instid1(VALU_DEP_3)
	v_lshl_add_u32 v35, v36, 10, 0x2000
	v_lshlrev_b32_e32 v33, 23, v33
	s_delay_alu instid0(VALU_DEP_2) | instskip(NEXT) | instid1(VALU_DEP_1)
	v_and_or_b32 v1, 0x8000, v1, v35
	v_lshl_or_b32 v33, v1, 16, v33
.LBB284_97:                             ;   in Loop: Header=BB284_16 Depth=1
	s_wait_alu 0xfffe
	s_or_b32 exec_lo, exec_lo, s45
.LBB284_98:                             ;   in Loop: Header=BB284_16 Depth=1
	s_wait_alu 0xfffe
	s_or_b32 exec_lo, exec_lo, s44
.LBB284_99:                             ;   in Loop: Header=BB284_16 Depth=1
	s_wait_alu 0xfffe
	s_or_b32 exec_lo, exec_lo, s43
	v_lshrrev_b32_e32 v1, 16, v9
	s_mov_b32 s43, exec_lo
	s_delay_alu instid0(VALU_DEP_1) | instskip(NEXT) | instid1(VALU_DEP_1)
	v_and_b32_e32 v35, 0xff, v1
	v_cmpx_ne_u16_e32 0, v35
	s_cbranch_execz .LBB284_107
; %bb.100:                              ;   in Loop: Header=BB284_16 Depth=1
	v_mov_b32_e32 v34, 0x8000
	s_mov_b32 s44, exec_lo
	v_cmpx_ne_u16_e32 0x80, v35
	s_cbranch_execz .LBB284_106
; %bb.101:                              ;   in Loop: Header=BB284_16 Depth=1
	v_bfe_u32 v36, v9, 16, 7
	v_mov_b32_e32 v34, 0x7c01
	s_mov_b32 s45, exec_lo
	s_delay_alu instid0(VALU_DEP_2)
	v_cmpx_ne_u32_e32 0x7f, v36
	s_cbranch_execz .LBB284_105
; %bb.102:                              ;   in Loop: Header=BB284_16 Depth=1
	v_and_b32_e32 v34, 7, v1
	v_lshrrev_b32_e32 v35, 3, v36
	s_mov_b32 s46, exec_lo
	v_cmpx_gt_u32_e32 8, v36
; %bb.103:                              ;   in Loop: Header=BB284_16 Depth=1
	s_delay_alu instid0(VALU_DEP_3) | instskip(NEXT) | instid1(VALU_DEP_1)
	v_clz_i32_u32_e32 v34, v34
	v_min_u32_e32 v36, 32, v34
	s_delay_alu instid0(VALU_DEP_1) | instskip(NEXT) | instid1(VALU_DEP_1)
	v_subrev_nc_u32_e32 v34, 28, v36
	v_lshlrev_b64_e32 v[34:35], v34, v[1:2]
	v_sub_nc_u32_e32 v35, 29, v36
	s_delay_alu instid0(VALU_DEP_2)
	v_and_b32_e32 v34, 7, v34
; %bb.104:                              ;   in Loop: Header=BB284_16 Depth=1
	s_or_b32 exec_lo, exec_lo, s46
	v_lshlrev_b32_e32 v1, 8, v1
	s_delay_alu instid0(VALU_DEP_3) | instskip(NEXT) | instid1(VALU_DEP_3)
	v_lshl_add_u32 v35, v35, 10, 0x2000
	v_lshlrev_b32_e32 v34, 7, v34
	s_delay_alu instid0(VALU_DEP_3) | instskip(NEXT) | instid1(VALU_DEP_3)
	v_and_b32_e32 v1, 0x8000, v1
	v_and_b32_e32 v35, 0xfc00, v35
	s_delay_alu instid0(VALU_DEP_1)
	v_or3_b32 v34, v1, v35, v34
.LBB284_105:                            ;   in Loop: Header=BB284_16 Depth=1
	s_wait_alu 0xfffe
	s_or_b32 exec_lo, exec_lo, s45
.LBB284_106:                            ;   in Loop: Header=BB284_16 Depth=1
	s_wait_alu 0xfffe
	s_or_b32 exec_lo, exec_lo, s44
.LBB284_107:                            ;   in Loop: Header=BB284_16 Depth=1
	s_wait_alu 0xfffe
	s_or_b32 exec_lo, exec_lo, s43
	v_dual_mov_b32 v35, 0 :: v_dual_mov_b32 v36, 0
	s_mov_b32 s43, exec_lo
	v_cmpx_lt_u32_e32 0xffffff, v9
	s_cbranch_execz .LBB284_115
; %bb.108:                              ;   in Loop: Header=BB284_16 Depth=1
	v_lshrrev_b32_e32 v1, 24, v9
	v_bfrev_b32_e32 v36, 1
	s_mov_b32 s44, exec_lo
	s_delay_alu instid0(VALU_DEP_2)
	v_cmpx_ne_u32_e32 0x80, v1
	s_cbranch_execz .LBB284_114
; %bb.109:                              ;   in Loop: Header=BB284_16 Depth=1
	v_and_b32_e32 v38, 0x7f, v1
	v_mov_b32_e32 v36, 0x7c010000
	s_mov_b32 s45, exec_lo
	s_delay_alu instid0(VALU_DEP_2)
	v_cmpx_ne_u32_e32 0x7f, v38
	s_cbranch_execz .LBB284_113
; %bb.110:                              ;   in Loop: Header=BB284_16 Depth=1
	v_and_b32_e32 v36, 7, v1
	v_lshrrev_b32_e32 v37, 3, v38
	s_mov_b32 s46, exec_lo
	v_cmpx_gt_u32_e32 8, v38
; %bb.111:                              ;   in Loop: Header=BB284_16 Depth=1
	s_delay_alu instid0(VALU_DEP_3) | instskip(NEXT) | instid1(VALU_DEP_1)
	v_clz_i32_u32_e32 v36, v36
	v_min_u32_e32 v38, 32, v36
	s_delay_alu instid0(VALU_DEP_1) | instskip(NEXT) | instid1(VALU_DEP_1)
	v_subrev_nc_u32_e32 v36, 28, v38
	v_lshlrev_b64_e32 v[36:37], v36, v[1:2]
	v_sub_nc_u32_e32 v37, 29, v38
	s_delay_alu instid0(VALU_DEP_2)
	v_and_b32_e32 v36, 7, v36
; %bb.112:                              ;   in Loop: Header=BB284_16 Depth=1
	s_or_b32 exec_lo, exec_lo, s46
	v_lshlrev_b32_e32 v1, 8, v1
	s_delay_alu instid0(VALU_DEP_3) | instskip(NEXT) | instid1(VALU_DEP_3)
	v_lshl_add_u32 v37, v37, 10, 0x2000
	v_lshlrev_b32_e32 v36, 23, v36
	s_delay_alu instid0(VALU_DEP_2) | instskip(NEXT) | instid1(VALU_DEP_1)
	v_and_or_b32 v1, 0x8000, v1, v37
	v_lshl_or_b32 v36, v1, 16, v36
.LBB284_113:                            ;   in Loop: Header=BB284_16 Depth=1
	s_wait_alu 0xfffe
	s_or_b32 exec_lo, exec_lo, s45
.LBB284_114:                            ;   in Loop: Header=BB284_16 Depth=1
	s_wait_alu 0xfffe
	s_or_b32 exec_lo, exec_lo, s44
.LBB284_115:                            ;   in Loop: Header=BB284_16 Depth=1
	s_wait_alu 0xfffe
	s_or_b32 exec_lo, exec_lo, s43
	v_and_b32_e32 v37, 0xff, v10
	v_mov_b32_e32 v1, v10
	s_mov_b32 s43, exec_lo
	s_delay_alu instid0(VALU_DEP_2)
	v_cmpx_ne_u16_e32 0, v37
	s_cbranch_execz .LBB284_123
; %bb.116:                              ;   in Loop: Header=BB284_16 Depth=1
	v_mov_b32_e32 v35, 0x8000
	s_mov_b32 s44, exec_lo
	v_cmpx_ne_u16_e32 0x80, v37
	s_cbranch_execz .LBB284_122
; %bb.117:                              ;   in Loop: Header=BB284_16 Depth=1
	v_and_b32_e32 v38, 0x7f, v10
	v_mov_b32_e32 v35, 0x7c01
	s_mov_b32 s45, exec_lo
	s_delay_alu instid0(VALU_DEP_2)
	v_cmpx_ne_u32_e32 0x7f, v38
	s_cbranch_execz .LBB284_121
; %bb.118:                              ;   in Loop: Header=BB284_16 Depth=1
	v_and_b32_e32 v35, 7, v10
	v_lshrrev_b32_e32 v37, 3, v38
	s_mov_b32 s46, exec_lo
	v_cmpx_gt_u32_e32 8, v38
; %bb.119:                              ;   in Loop: Header=BB284_16 Depth=1
	s_delay_alu instid0(VALU_DEP_3) | instskip(NEXT) | instid1(VALU_DEP_1)
	v_clz_i32_u32_e32 v35, v35
	v_min_u32_e32 v35, 32, v35
	s_delay_alu instid0(VALU_DEP_1) | instskip(NEXT) | instid1(VALU_DEP_1)
	v_subrev_nc_u32_e32 v37, 28, v35
	v_lshlrev_b64_e32 v[38:39], v37, v[1:2]
	v_sub_nc_u32_e32 v37, 29, v35
	s_delay_alu instid0(VALU_DEP_2)
	v_and_b32_e32 v35, 7, v38
; %bb.120:                              ;   in Loop: Header=BB284_16 Depth=1
	s_or_b32 exec_lo, exec_lo, s46
	v_lshlrev_b32_e32 v38, 8, v10
	s_delay_alu instid0(VALU_DEP_3) | instskip(NEXT) | instid1(VALU_DEP_3)
	v_lshl_add_u32 v37, v37, 10, 0x2000
	v_lshlrev_b32_e32 v35, 7, v35
	s_delay_alu instid0(VALU_DEP_3) | instskip(NEXT) | instid1(VALU_DEP_3)
	v_and_b32_e32 v38, 0x8000, v38
	v_and_b32_e32 v37, 0xfc00, v37
	s_delay_alu instid0(VALU_DEP_1)
	v_or3_b32 v35, v38, v37, v35
.LBB284_121:                            ;   in Loop: Header=BB284_16 Depth=1
	s_wait_alu 0xfffe
	s_or_b32 exec_lo, exec_lo, s45
.LBB284_122:                            ;   in Loop: Header=BB284_16 Depth=1
	s_wait_alu 0xfffe
	s_or_b32 exec_lo, exec_lo, s44
.LBB284_123:                            ;   in Loop: Header=BB284_16 Depth=1
	s_wait_alu 0xfffe
	s_or_b32 exec_lo, exec_lo, s43
	v_lshrrev_b16 v1, 8, v1
	v_dual_mov_b32 v39, 0 :: v_dual_mov_b32 v38, 0
	s_mov_b32 s43, exec_lo
	s_delay_alu instid0(VALU_DEP_2)
	v_cmpx_ne_u16_e32 0, v1
	s_cbranch_execz .LBB284_131
; %bb.124:                              ;   in Loop: Header=BB284_16 Depth=1
	v_bfrev_b32_e32 v38, 1
	s_mov_b32 s44, exec_lo
	v_cmpx_ne_u16_e32 0x80, v1
	s_cbranch_execz .LBB284_130
; %bb.125:                              ;   in Loop: Header=BB284_16 Depth=1
	v_and_b32_e32 v37, 0xffff, v1
	v_mov_b32_e32 v38, 0x7c010000
	s_mov_b32 s45, exec_lo
	s_delay_alu instid0(VALU_DEP_2) | instskip(NEXT) | instid1(VALU_DEP_1)
	v_and_b32_e32 v41, 0x7f, v37
	v_cmpx_ne_u32_e32 0x7f, v41
	s_cbranch_execz .LBB284_129
; %bb.126:                              ;   in Loop: Header=BB284_16 Depth=1
	v_and_b32_e32 v38, 7, v37
	v_lshrrev_b32_e32 v40, 3, v41
	s_mov_b32 s46, exec_lo
	v_cmpx_gt_u32_e32 8, v41
; %bb.127:                              ;   in Loop: Header=BB284_16 Depth=1
	s_delay_alu instid0(VALU_DEP_3) | instskip(NEXT) | instid1(VALU_DEP_1)
	v_clz_i32_u32_e32 v38, v38
	v_min_u32_e32 v38, 32, v38
	s_delay_alu instid0(VALU_DEP_1) | instskip(NEXT) | instid1(VALU_DEP_1)
	v_subrev_nc_u32_e32 v40, 28, v38
	v_lshlrev_b64_e32 v[41:42], v40, v[1:2]
	v_sub_nc_u32_e32 v40, 29, v38
	s_delay_alu instid0(VALU_DEP_2)
	v_and_b32_e32 v38, 7, v41
; %bb.128:                              ;   in Loop: Header=BB284_16 Depth=1
	s_or_b32 exec_lo, exec_lo, s46
	v_lshlrev_b32_e32 v1, 8, v37
	s_delay_alu instid0(VALU_DEP_3) | instskip(NEXT) | instid1(VALU_DEP_1)
	v_lshl_add_u32 v37, v40, 10, 0x2000
	v_and_or_b32 v1, 0x8000, v1, v37
	v_lshlrev_b32_e32 v37, 23, v38
	s_delay_alu instid0(VALU_DEP_1)
	v_lshl_or_b32 v38, v1, 16, v37
.LBB284_129:                            ;   in Loop: Header=BB284_16 Depth=1
	s_wait_alu 0xfffe
	s_or_b32 exec_lo, exec_lo, s45
.LBB284_130:                            ;   in Loop: Header=BB284_16 Depth=1
	s_wait_alu 0xfffe
	s_or_b32 exec_lo, exec_lo, s44
.LBB284_131:                            ;   in Loop: Header=BB284_16 Depth=1
	s_wait_alu 0xfffe
	s_or_b32 exec_lo, exec_lo, s43
	v_lshrrev_b32_e32 v1, 16, v10
	s_mov_b32 s43, exec_lo
	s_delay_alu instid0(VALU_DEP_1) | instskip(NEXT) | instid1(VALU_DEP_1)
	v_and_b32_e32 v37, 0xff, v1
	v_cmpx_ne_u16_e32 0, v37
	s_cbranch_execz .LBB284_139
; %bb.132:                              ;   in Loop: Header=BB284_16 Depth=1
	v_mov_b32_e32 v39, 0x8000
	s_mov_b32 s44, exec_lo
	v_cmpx_ne_u16_e32 0x80, v37
	s_cbranch_execz .LBB284_138
; %bb.133:                              ;   in Loop: Header=BB284_16 Depth=1
	v_bfe_u32 v40, v10, 16, 7
	v_mov_b32_e32 v39, 0x7c01
	s_mov_b32 s45, exec_lo
	s_delay_alu instid0(VALU_DEP_2)
	v_cmpx_ne_u32_e32 0x7f, v40
	s_cbranch_execz .LBB284_137
; %bb.134:                              ;   in Loop: Header=BB284_16 Depth=1
	v_and_b32_e32 v37, 7, v1
	v_lshrrev_b32_e32 v39, 3, v40
	s_mov_b32 s46, exec_lo
	v_cmpx_gt_u32_e32 8, v40
; %bb.135:                              ;   in Loop: Header=BB284_16 Depth=1
	s_delay_alu instid0(VALU_DEP_3) | instskip(NEXT) | instid1(VALU_DEP_1)
	v_clz_i32_u32_e32 v37, v37
	v_min_u32_e32 v37, 32, v37
	s_delay_alu instid0(VALU_DEP_1) | instskip(NEXT) | instid1(VALU_DEP_1)
	v_subrev_nc_u32_e32 v39, 28, v37
	v_lshlrev_b64_e32 v[40:41], v39, v[1:2]
	v_sub_nc_u32_e32 v39, 29, v37
	s_delay_alu instid0(VALU_DEP_2)
	v_and_b32_e32 v37, 7, v40
; %bb.136:                              ;   in Loop: Header=BB284_16 Depth=1
	s_or_b32 exec_lo, exec_lo, s46
	v_lshlrev_b32_e32 v1, 8, v1
	s_delay_alu instid0(VALU_DEP_3) | instskip(NEXT) | instid1(VALU_DEP_3)
	v_lshl_add_u32 v39, v39, 10, 0x2000
	v_lshlrev_b32_e32 v37, 7, v37
	s_delay_alu instid0(VALU_DEP_3) | instskip(NEXT) | instid1(VALU_DEP_3)
	v_and_b32_e32 v1, 0x8000, v1
	v_and_b32_e32 v39, 0xfc00, v39
	s_delay_alu instid0(VALU_DEP_1)
	v_or3_b32 v39, v1, v39, v37
.LBB284_137:                            ;   in Loop: Header=BB284_16 Depth=1
	s_wait_alu 0xfffe
	s_or_b32 exec_lo, exec_lo, s45
.LBB284_138:                            ;   in Loop: Header=BB284_16 Depth=1
	s_wait_alu 0xfffe
	s_or_b32 exec_lo, exec_lo, s44
.LBB284_139:                            ;   in Loop: Header=BB284_16 Depth=1
	s_wait_alu 0xfffe
	s_or_b32 exec_lo, exec_lo, s43
	v_dual_mov_b32 v37, 0 :: v_dual_mov_b32 v40, 0
	s_mov_b32 s43, exec_lo
	v_cmpx_lt_u64_e64 s[14:15], v[9:10]
	s_cbranch_execz .LBB284_147
; %bb.140:                              ;   in Loop: Header=BB284_16 Depth=1
	v_lshrrev_b32_e32 v1, 24, v10
	v_bfrev_b32_e32 v40, 1
	s_mov_b32 s44, exec_lo
	s_delay_alu instid0(VALU_DEP_2)
	v_cmpx_ne_u32_e32 0x80, v1
	s_cbranch_execz .LBB284_146
; %bb.141:                              ;   in Loop: Header=BB284_16 Depth=1
	v_and_b32_e32 v41, 0x7f, v1
	v_mov_b32_e32 v40, 0x7c010000
	s_mov_b32 s45, exec_lo
	s_delay_alu instid0(VALU_DEP_2)
	v_cmpx_ne_u32_e32 0x7f, v41
	s_cbranch_execz .LBB284_145
; %bb.142:                              ;   in Loop: Header=BB284_16 Depth=1
	v_and_b32_e32 v9, 7, v1
	v_lshrrev_b32_e32 v10, 3, v41
	s_mov_b32 s46, exec_lo
	v_cmpx_gt_u32_e32 8, v41
; %bb.143:                              ;   in Loop: Header=BB284_16 Depth=1
	s_delay_alu instid0(VALU_DEP_3) | instskip(NEXT) | instid1(VALU_DEP_1)
	v_clz_i32_u32_e32 v9, v9
	v_min_u32_e32 v40, 32, v9
	s_delay_alu instid0(VALU_DEP_1) | instskip(NEXT) | instid1(VALU_DEP_1)
	v_subrev_nc_u32_e32 v9, 28, v40
	v_lshlrev_b64_e32 v[9:10], v9, v[1:2]
	v_sub_nc_u32_e32 v10, 29, v40
	s_delay_alu instid0(VALU_DEP_2)
	v_and_b32_e32 v9, 7, v9
; %bb.144:                              ;   in Loop: Header=BB284_16 Depth=1
	s_or_b32 exec_lo, exec_lo, s46
	v_lshlrev_b32_e32 v1, 8, v1
	s_delay_alu instid0(VALU_DEP_3) | instskip(NEXT) | instid1(VALU_DEP_3)
	v_lshl_add_u32 v10, v10, 10, 0x2000
	v_lshlrev_b32_e32 v9, 23, v9
	s_delay_alu instid0(VALU_DEP_2) | instskip(NEXT) | instid1(VALU_DEP_1)
	v_and_or_b32 v1, 0x8000, v1, v10
	v_lshl_or_b32 v40, v1, 16, v9
.LBB284_145:                            ;   in Loop: Header=BB284_16 Depth=1
	s_wait_alu 0xfffe
	s_or_b32 exec_lo, exec_lo, s45
.LBB284_146:                            ;   in Loop: Header=BB284_16 Depth=1
	s_wait_alu 0xfffe
	s_or_b32 exec_lo, exec_lo, s44
.LBB284_147:                            ;   in Loop: Header=BB284_16 Depth=1
	s_wait_alu 0xfffe
	s_or_b32 exec_lo, exec_lo, s43
	global_load_b64 v[9:10], v[7:8], off offset:512
	s_mov_b32 s43, exec_lo
	s_wait_loadcnt 0x0
	v_and_b32_e32 v1, 0xff, v9
	s_delay_alu instid0(VALU_DEP_1)
	v_cmpx_ne_u16_e32 0, v1
	s_cbranch_execz .LBB284_155
; %bb.148:                              ;   in Loop: Header=BB284_16 Depth=1
	v_mov_b32_e32 v37, 0x8000
	s_mov_b32 s44, exec_lo
	v_cmpx_ne_u16_e32 0x80, v1
	s_cbranch_execz .LBB284_154
; %bb.149:                              ;   in Loop: Header=BB284_16 Depth=1
	v_and_b32_e32 v41, 0x7f, v9
	v_mov_b32_e32 v37, 0x7c01
	s_mov_b32 s45, exec_lo
	s_delay_alu instid0(VALU_DEP_2)
	v_cmpx_ne_u32_e32 0x7f, v41
	s_cbranch_execz .LBB284_153
; %bb.150:                              ;   in Loop: Header=BB284_16 Depth=1
	v_and_b32_e32 v1, 7, v9
	v_lshrrev_b32_e32 v37, 3, v41
	s_mov_b32 s46, exec_lo
	v_cmpx_gt_u32_e32 8, v41
; %bb.151:                              ;   in Loop: Header=BB284_16 Depth=1
	s_delay_alu instid0(VALU_DEP_3) | instskip(NEXT) | instid1(VALU_DEP_1)
	v_clz_i32_u32_e32 v1, v1
	v_min_u32_e32 v1, 32, v1
	s_delay_alu instid0(VALU_DEP_1) | instskip(NEXT) | instid1(VALU_DEP_1)
	v_subrev_nc_u32_e32 v37, 28, v1
	v_lshlrev_b64_e32 v[41:42], v37, v[9:10]
	v_sub_nc_u32_e32 v37, 29, v1
	s_delay_alu instid0(VALU_DEP_2)
	v_and_b32_e32 v1, 7, v41
; %bb.152:                              ;   in Loop: Header=BB284_16 Depth=1
	s_or_b32 exec_lo, exec_lo, s46
	v_lshlrev_b32_e32 v41, 8, v9
	s_delay_alu instid0(VALU_DEP_3) | instskip(NEXT) | instid1(VALU_DEP_3)
	v_lshl_add_u32 v37, v37, 10, 0x2000
	v_lshlrev_b32_e32 v1, 7, v1
	s_delay_alu instid0(VALU_DEP_3) | instskip(NEXT) | instid1(VALU_DEP_3)
	v_and_b32_e32 v41, 0x8000, v41
	v_and_b32_e32 v37, 0xfc00, v37
	s_delay_alu instid0(VALU_DEP_1)
	v_or3_b32 v37, v41, v37, v1
.LBB284_153:                            ;   in Loop: Header=BB284_16 Depth=1
	s_wait_alu 0xfffe
	s_or_b32 exec_lo, exec_lo, s45
.LBB284_154:                            ;   in Loop: Header=BB284_16 Depth=1
	s_wait_alu 0xfffe
	s_or_b32 exec_lo, exec_lo, s44
.LBB284_155:                            ;   in Loop: Header=BB284_16 Depth=1
	s_wait_alu 0xfffe
	s_or_b32 exec_lo, exec_lo, s43
	v_lshrrev_b16 v1, 8, v9
	v_dual_mov_b32 v42, 0 :: v_dual_mov_b32 v41, 0
	s_mov_b32 s43, exec_lo
	s_delay_alu instid0(VALU_DEP_2)
	v_cmpx_ne_u16_e32 0, v1
	s_cbranch_execz .LBB284_163
; %bb.156:                              ;   in Loop: Header=BB284_16 Depth=1
	v_bfrev_b32_e32 v41, 1
	s_mov_b32 s44, exec_lo
	v_cmpx_ne_u16_e32 0x80, v1
	s_cbranch_execz .LBB284_162
; %bb.157:                              ;   in Loop: Header=BB284_16 Depth=1
	v_and_b32_e32 v43, 0xffff, v1
	v_mov_b32_e32 v41, 0x7c010000
	s_mov_b32 s45, exec_lo
	s_delay_alu instid0(VALU_DEP_2) | instskip(NEXT) | instid1(VALU_DEP_1)
	v_and_b32_e32 v45, 0x7f, v43
	v_cmpx_ne_u32_e32 0x7f, v45
	s_cbranch_execz .LBB284_161
; %bb.158:                              ;   in Loop: Header=BB284_16 Depth=1
	v_and_b32_e32 v41, 7, v43
	v_lshrrev_b32_e32 v44, 3, v45
	s_mov_b32 s46, exec_lo
	v_cmpx_gt_u32_e32 8, v45
; %bb.159:                              ;   in Loop: Header=BB284_16 Depth=1
	s_delay_alu instid0(VALU_DEP_3) | instskip(NEXT) | instid1(VALU_DEP_1)
	v_clz_i32_u32_e32 v41, v41
	v_min_u32_e32 v41, 32, v41
	s_delay_alu instid0(VALU_DEP_1) | instskip(NEXT) | instid1(VALU_DEP_1)
	v_subrev_nc_u32_e32 v44, 28, v41
	v_lshlrev_b64_e32 v[45:46], v44, v[1:2]
	v_sub_nc_u32_e32 v44, 29, v41
	s_delay_alu instid0(VALU_DEP_2)
	v_and_b32_e32 v41, 7, v45
; %bb.160:                              ;   in Loop: Header=BB284_16 Depth=1
	s_or_b32 exec_lo, exec_lo, s46
	v_lshlrev_b32_e32 v1, 8, v43
	s_delay_alu instid0(VALU_DEP_3) | instskip(NEXT) | instid1(VALU_DEP_3)
	v_lshl_add_u32 v43, v44, 10, 0x2000
	v_lshlrev_b32_e32 v41, 23, v41
	s_delay_alu instid0(VALU_DEP_2) | instskip(NEXT) | instid1(VALU_DEP_1)
	v_and_or_b32 v1, 0x8000, v1, v43
	v_lshl_or_b32 v41, v1, 16, v41
.LBB284_161:                            ;   in Loop: Header=BB284_16 Depth=1
	s_wait_alu 0xfffe
	s_or_b32 exec_lo, exec_lo, s45
.LBB284_162:                            ;   in Loop: Header=BB284_16 Depth=1
	s_wait_alu 0xfffe
	s_or_b32 exec_lo, exec_lo, s44
.LBB284_163:                            ;   in Loop: Header=BB284_16 Depth=1
	s_wait_alu 0xfffe
	s_or_b32 exec_lo, exec_lo, s43
	v_lshrrev_b32_e32 v1, 16, v9
	s_mov_b32 s43, exec_lo
	s_delay_alu instid0(VALU_DEP_1) | instskip(NEXT) | instid1(VALU_DEP_1)
	v_and_b32_e32 v43, 0xff, v1
	v_cmpx_ne_u16_e32 0, v43
	s_cbranch_execz .LBB284_171
; %bb.164:                              ;   in Loop: Header=BB284_16 Depth=1
	v_mov_b32_e32 v42, 0x8000
	s_mov_b32 s44, exec_lo
	v_cmpx_ne_u16_e32 0x80, v43
	s_cbranch_execz .LBB284_170
; %bb.165:                              ;   in Loop: Header=BB284_16 Depth=1
	v_bfe_u32 v44, v9, 16, 7
	v_mov_b32_e32 v42, 0x7c01
	s_mov_b32 s45, exec_lo
	s_delay_alu instid0(VALU_DEP_2)
	v_cmpx_ne_u32_e32 0x7f, v44
	s_cbranch_execz .LBB284_169
; %bb.166:                              ;   in Loop: Header=BB284_16 Depth=1
	v_and_b32_e32 v42, 7, v1
	v_lshrrev_b32_e32 v43, 3, v44
	s_mov_b32 s46, exec_lo
	v_cmpx_gt_u32_e32 8, v44
; %bb.167:                              ;   in Loop: Header=BB284_16 Depth=1
	s_delay_alu instid0(VALU_DEP_3) | instskip(NEXT) | instid1(VALU_DEP_1)
	v_clz_i32_u32_e32 v42, v42
	v_min_u32_e32 v44, 32, v42
	s_delay_alu instid0(VALU_DEP_1) | instskip(NEXT) | instid1(VALU_DEP_1)
	v_subrev_nc_u32_e32 v42, 28, v44
	v_lshlrev_b64_e32 v[42:43], v42, v[1:2]
	v_sub_nc_u32_e32 v43, 29, v44
	s_delay_alu instid0(VALU_DEP_2)
	v_and_b32_e32 v42, 7, v42
; %bb.168:                              ;   in Loop: Header=BB284_16 Depth=1
	s_or_b32 exec_lo, exec_lo, s46
	v_lshlrev_b32_e32 v1, 8, v1
	s_delay_alu instid0(VALU_DEP_3) | instskip(NEXT) | instid1(VALU_DEP_3)
	v_lshl_add_u32 v43, v43, 10, 0x2000
	v_lshlrev_b32_e32 v42, 7, v42
	s_delay_alu instid0(VALU_DEP_3) | instskip(NEXT) | instid1(VALU_DEP_3)
	v_and_b32_e32 v1, 0x8000, v1
	v_and_b32_e32 v43, 0xfc00, v43
	s_delay_alu instid0(VALU_DEP_1)
	v_or3_b32 v42, v1, v43, v42
.LBB284_169:                            ;   in Loop: Header=BB284_16 Depth=1
	s_wait_alu 0xfffe
	s_or_b32 exec_lo, exec_lo, s45
.LBB284_170:                            ;   in Loop: Header=BB284_16 Depth=1
	s_wait_alu 0xfffe
	s_or_b32 exec_lo, exec_lo, s44
.LBB284_171:                            ;   in Loop: Header=BB284_16 Depth=1
	s_wait_alu 0xfffe
	s_or_b32 exec_lo, exec_lo, s43
	v_dual_mov_b32 v43, 0 :: v_dual_mov_b32 v44, 0
	s_mov_b32 s43, exec_lo
	v_cmpx_lt_u32_e32 0xffffff, v9
	s_cbranch_execz .LBB284_179
; %bb.172:                              ;   in Loop: Header=BB284_16 Depth=1
	v_lshrrev_b32_e32 v1, 24, v9
	v_bfrev_b32_e32 v44, 1
	s_mov_b32 s44, exec_lo
	s_delay_alu instid0(VALU_DEP_2)
	v_cmpx_ne_u32_e32 0x80, v1
	s_cbranch_execz .LBB284_178
; %bb.173:                              ;   in Loop: Header=BB284_16 Depth=1
	v_and_b32_e32 v46, 0x7f, v1
	v_mov_b32_e32 v44, 0x7c010000
	s_mov_b32 s45, exec_lo
	s_delay_alu instid0(VALU_DEP_2)
	v_cmpx_ne_u32_e32 0x7f, v46
	s_cbranch_execz .LBB284_177
; %bb.174:                              ;   in Loop: Header=BB284_16 Depth=1
	v_and_b32_e32 v44, 7, v1
	v_lshrrev_b32_e32 v45, 3, v46
	s_mov_b32 s46, exec_lo
	v_cmpx_gt_u32_e32 8, v46
; %bb.175:                              ;   in Loop: Header=BB284_16 Depth=1
	s_delay_alu instid0(VALU_DEP_3) | instskip(NEXT) | instid1(VALU_DEP_1)
	v_clz_i32_u32_e32 v44, v44
	v_min_u32_e32 v46, 32, v44
	s_delay_alu instid0(VALU_DEP_1) | instskip(NEXT) | instid1(VALU_DEP_1)
	v_subrev_nc_u32_e32 v44, 28, v46
	v_lshlrev_b64_e32 v[44:45], v44, v[1:2]
	v_sub_nc_u32_e32 v45, 29, v46
	s_delay_alu instid0(VALU_DEP_2)
	v_and_b32_e32 v44, 7, v44
; %bb.176:                              ;   in Loop: Header=BB284_16 Depth=1
	s_or_b32 exec_lo, exec_lo, s46
	v_lshlrev_b32_e32 v1, 8, v1
	s_delay_alu instid0(VALU_DEP_3) | instskip(NEXT) | instid1(VALU_DEP_3)
	v_lshl_add_u32 v45, v45, 10, 0x2000
	v_lshlrev_b32_e32 v44, 23, v44
	s_delay_alu instid0(VALU_DEP_2) | instskip(NEXT) | instid1(VALU_DEP_1)
	v_and_or_b32 v1, 0x8000, v1, v45
	v_lshl_or_b32 v44, v1, 16, v44
.LBB284_177:                            ;   in Loop: Header=BB284_16 Depth=1
	s_wait_alu 0xfffe
	s_or_b32 exec_lo, exec_lo, s45
.LBB284_178:                            ;   in Loop: Header=BB284_16 Depth=1
	s_wait_alu 0xfffe
	s_or_b32 exec_lo, exec_lo, s44
.LBB284_179:                            ;   in Loop: Header=BB284_16 Depth=1
	s_wait_alu 0xfffe
	s_or_b32 exec_lo, exec_lo, s43
	v_and_b32_e32 v45, 0xff, v10
	v_mov_b32_e32 v1, v10
	s_mov_b32 s43, exec_lo
	s_delay_alu instid0(VALU_DEP_2)
	v_cmpx_ne_u16_e32 0, v45
	s_cbranch_execz .LBB284_187
; %bb.180:                              ;   in Loop: Header=BB284_16 Depth=1
	v_mov_b32_e32 v43, 0x8000
	s_mov_b32 s44, exec_lo
	v_cmpx_ne_u16_e32 0x80, v45
	s_cbranch_execz .LBB284_186
; %bb.181:                              ;   in Loop: Header=BB284_16 Depth=1
	v_and_b32_e32 v46, 0x7f, v10
	v_mov_b32_e32 v43, 0x7c01
	s_mov_b32 s45, exec_lo
	s_delay_alu instid0(VALU_DEP_2)
	v_cmpx_ne_u32_e32 0x7f, v46
	s_cbranch_execz .LBB284_185
; %bb.182:                              ;   in Loop: Header=BB284_16 Depth=1
	v_and_b32_e32 v43, 7, v10
	v_lshrrev_b32_e32 v45, 3, v46
	s_mov_b32 s46, exec_lo
	v_cmpx_gt_u32_e32 8, v46
; %bb.183:                              ;   in Loop: Header=BB284_16 Depth=1
	s_delay_alu instid0(VALU_DEP_3) | instskip(NEXT) | instid1(VALU_DEP_1)
	v_clz_i32_u32_e32 v43, v43
	v_min_u32_e32 v43, 32, v43
	s_delay_alu instid0(VALU_DEP_1) | instskip(NEXT) | instid1(VALU_DEP_1)
	v_subrev_nc_u32_e32 v45, 28, v43
	v_lshlrev_b64_e32 v[46:47], v45, v[1:2]
	v_sub_nc_u32_e32 v45, 29, v43
	s_delay_alu instid0(VALU_DEP_2)
	v_and_b32_e32 v43, 7, v46
; %bb.184:                              ;   in Loop: Header=BB284_16 Depth=1
	s_or_b32 exec_lo, exec_lo, s46
	v_lshlrev_b32_e32 v46, 8, v10
	s_delay_alu instid0(VALU_DEP_3) | instskip(NEXT) | instid1(VALU_DEP_3)
	v_lshl_add_u32 v45, v45, 10, 0x2000
	v_lshlrev_b32_e32 v43, 7, v43
	s_delay_alu instid0(VALU_DEP_3) | instskip(NEXT) | instid1(VALU_DEP_3)
	v_and_b32_e32 v46, 0x8000, v46
	v_and_b32_e32 v45, 0xfc00, v45
	s_delay_alu instid0(VALU_DEP_1)
	v_or3_b32 v43, v46, v45, v43
.LBB284_185:                            ;   in Loop: Header=BB284_16 Depth=1
	s_wait_alu 0xfffe
	s_or_b32 exec_lo, exec_lo, s45
.LBB284_186:                            ;   in Loop: Header=BB284_16 Depth=1
	s_wait_alu 0xfffe
	s_or_b32 exec_lo, exec_lo, s44
.LBB284_187:                            ;   in Loop: Header=BB284_16 Depth=1
	s_wait_alu 0xfffe
	s_or_b32 exec_lo, exec_lo, s43
	v_lshrrev_b16 v1, 8, v1
	v_dual_mov_b32 v46, 0 :: v_dual_mov_b32 v47, 0
	s_mov_b32 s43, exec_lo
	s_delay_alu instid0(VALU_DEP_2)
	v_cmpx_ne_u16_e32 0, v1
	s_cbranch_execz .LBB284_195
; %bb.188:                              ;   in Loop: Header=BB284_16 Depth=1
	v_bfrev_b32_e32 v47, 1
	s_mov_b32 s44, exec_lo
	v_cmpx_ne_u16_e32 0x80, v1
	s_cbranch_execz .LBB284_194
; %bb.189:                              ;   in Loop: Header=BB284_16 Depth=1
	v_and_b32_e32 v45, 0xffff, v1
	v_mov_b32_e32 v47, 0x7c010000
	s_mov_b32 s45, exec_lo
	s_delay_alu instid0(VALU_DEP_2) | instskip(NEXT) | instid1(VALU_DEP_1)
	v_and_b32_e32 v49, 0x7f, v45
	v_cmpx_ne_u32_e32 0x7f, v49
	s_cbranch_execz .LBB284_193
; %bb.190:                              ;   in Loop: Header=BB284_16 Depth=1
	v_and_b32_e32 v47, 7, v45
	v_lshrrev_b32_e32 v48, 3, v49
	s_mov_b32 s46, exec_lo
	v_cmpx_gt_u32_e32 8, v49
; %bb.191:                              ;   in Loop: Header=BB284_16 Depth=1
	s_delay_alu instid0(VALU_DEP_3) | instskip(NEXT) | instid1(VALU_DEP_1)
	v_clz_i32_u32_e32 v47, v47
	v_min_u32_e32 v49, 32, v47
	s_delay_alu instid0(VALU_DEP_1) | instskip(NEXT) | instid1(VALU_DEP_1)
	v_subrev_nc_u32_e32 v47, 28, v49
	v_lshlrev_b64_e32 v[47:48], v47, v[1:2]
	v_sub_nc_u32_e32 v48, 29, v49
	s_delay_alu instid0(VALU_DEP_2)
	v_and_b32_e32 v47, 7, v47
; %bb.192:                              ;   in Loop: Header=BB284_16 Depth=1
	s_or_b32 exec_lo, exec_lo, s46
	v_lshlrev_b32_e32 v1, 8, v45
	s_delay_alu instid0(VALU_DEP_3) | instskip(NEXT) | instid1(VALU_DEP_1)
	v_lshl_add_u32 v45, v48, 10, 0x2000
	v_and_or_b32 v1, 0x8000, v1, v45
	v_lshlrev_b32_e32 v45, 23, v47
	s_delay_alu instid0(VALU_DEP_1)
	v_lshl_or_b32 v47, v1, 16, v45
.LBB284_193:                            ;   in Loop: Header=BB284_16 Depth=1
	s_wait_alu 0xfffe
	s_or_b32 exec_lo, exec_lo, s45
.LBB284_194:                            ;   in Loop: Header=BB284_16 Depth=1
	s_wait_alu 0xfffe
	s_or_b32 exec_lo, exec_lo, s44
.LBB284_195:                            ;   in Loop: Header=BB284_16 Depth=1
	s_wait_alu 0xfffe
	s_or_b32 exec_lo, exec_lo, s43
	v_lshrrev_b32_e32 v1, 16, v10
	s_mov_b32 s43, exec_lo
	s_delay_alu instid0(VALU_DEP_1) | instskip(NEXT) | instid1(VALU_DEP_1)
	v_and_b32_e32 v45, 0xff, v1
	v_cmpx_ne_u16_e32 0, v45
	s_cbranch_execz .LBB284_203
; %bb.196:                              ;   in Loop: Header=BB284_16 Depth=1
	v_mov_b32_e32 v46, 0x8000
	s_mov_b32 s44, exec_lo
	v_cmpx_ne_u16_e32 0x80, v45
	s_cbranch_execz .LBB284_202
; %bb.197:                              ;   in Loop: Header=BB284_16 Depth=1
	v_bfe_u32 v48, v10, 16, 7
	v_mov_b32_e32 v46, 0x7c01
	s_mov_b32 s45, exec_lo
	s_delay_alu instid0(VALU_DEP_2)
	v_cmpx_ne_u32_e32 0x7f, v48
	s_cbranch_execz .LBB284_201
; %bb.198:                              ;   in Loop: Header=BB284_16 Depth=1
	v_and_b32_e32 v45, 7, v1
	v_lshrrev_b32_e32 v46, 3, v48
	s_mov_b32 s46, exec_lo
	v_cmpx_gt_u32_e32 8, v48
; %bb.199:                              ;   in Loop: Header=BB284_16 Depth=1
	s_delay_alu instid0(VALU_DEP_3) | instskip(NEXT) | instid1(VALU_DEP_1)
	v_clz_i32_u32_e32 v45, v45
	v_min_u32_e32 v48, 32, v45
	s_delay_alu instid0(VALU_DEP_1) | instskip(NEXT) | instid1(VALU_DEP_1)
	v_subrev_nc_u32_e32 v45, 28, v48
	v_lshlrev_b64_e32 v[45:46], v45, v[1:2]
	v_sub_nc_u32_e32 v46, 29, v48
	s_delay_alu instid0(VALU_DEP_2)
	v_and_b32_e32 v45, 7, v45
; %bb.200:                              ;   in Loop: Header=BB284_16 Depth=1
	s_or_b32 exec_lo, exec_lo, s46
	v_lshlrev_b32_e32 v1, 8, v1
	s_delay_alu instid0(VALU_DEP_3) | instskip(NEXT) | instid1(VALU_DEP_3)
	v_lshl_add_u32 v46, v46, 10, 0x2000
	v_lshlrev_b32_e32 v45, 7, v45
	s_delay_alu instid0(VALU_DEP_3) | instskip(NEXT) | instid1(VALU_DEP_3)
	v_and_b32_e32 v1, 0x8000, v1
	v_and_b32_e32 v46, 0xfc00, v46
	s_delay_alu instid0(VALU_DEP_1)
	v_or3_b32 v46, v1, v46, v45
.LBB284_201:                            ;   in Loop: Header=BB284_16 Depth=1
	s_wait_alu 0xfffe
	s_or_b32 exec_lo, exec_lo, s45
.LBB284_202:                            ;   in Loop: Header=BB284_16 Depth=1
	s_wait_alu 0xfffe
	s_or_b32 exec_lo, exec_lo, s44
.LBB284_203:                            ;   in Loop: Header=BB284_16 Depth=1
	s_wait_alu 0xfffe
	s_or_b32 exec_lo, exec_lo, s43
	v_dual_mov_b32 v45, 0 :: v_dual_mov_b32 v48, 0
	s_mov_b32 s43, exec_lo
	v_cmpx_lt_u64_e64 s[14:15], v[9:10]
	s_cbranch_execz .LBB284_211
; %bb.204:                              ;   in Loop: Header=BB284_16 Depth=1
	v_lshrrev_b32_e32 v1, 24, v10
	v_bfrev_b32_e32 v48, 1
	s_mov_b32 s44, exec_lo
	s_delay_alu instid0(VALU_DEP_2)
	v_cmpx_ne_u32_e32 0x80, v1
	s_cbranch_execz .LBB284_210
; %bb.205:                              ;   in Loop: Header=BB284_16 Depth=1
	v_and_b32_e32 v49, 0x7f, v1
	v_mov_b32_e32 v48, 0x7c010000
	s_mov_b32 s45, exec_lo
	s_delay_alu instid0(VALU_DEP_2)
	v_cmpx_ne_u32_e32 0x7f, v49
	s_cbranch_execz .LBB284_209
; %bb.206:                              ;   in Loop: Header=BB284_16 Depth=1
	v_and_b32_e32 v9, 7, v1
	v_lshrrev_b32_e32 v10, 3, v49
	s_mov_b32 s46, exec_lo
	v_cmpx_gt_u32_e32 8, v49
; %bb.207:                              ;   in Loop: Header=BB284_16 Depth=1
	s_delay_alu instid0(VALU_DEP_3) | instskip(NEXT) | instid1(VALU_DEP_1)
	v_clz_i32_u32_e32 v9, v9
	v_min_u32_e32 v48, 32, v9
	s_delay_alu instid0(VALU_DEP_1) | instskip(NEXT) | instid1(VALU_DEP_1)
	v_subrev_nc_u32_e32 v9, 28, v48
	v_lshlrev_b64_e32 v[9:10], v9, v[1:2]
	v_sub_nc_u32_e32 v10, 29, v48
	s_delay_alu instid0(VALU_DEP_2)
	v_and_b32_e32 v9, 7, v9
; %bb.208:                              ;   in Loop: Header=BB284_16 Depth=1
	s_or_b32 exec_lo, exec_lo, s46
	v_lshlrev_b32_e32 v1, 8, v1
	s_delay_alu instid0(VALU_DEP_3) | instskip(NEXT) | instid1(VALU_DEP_3)
	v_lshl_add_u32 v10, v10, 10, 0x2000
	v_lshlrev_b32_e32 v9, 23, v9
	s_delay_alu instid0(VALU_DEP_2) | instskip(NEXT) | instid1(VALU_DEP_1)
	v_and_or_b32 v1, 0x8000, v1, v10
	v_lshl_or_b32 v48, v1, 16, v9
.LBB284_209:                            ;   in Loop: Header=BB284_16 Depth=1
	s_wait_alu 0xfffe
	s_or_b32 exec_lo, exec_lo, s45
.LBB284_210:                            ;   in Loop: Header=BB284_16 Depth=1
	s_wait_alu 0xfffe
	s_or_b32 exec_lo, exec_lo, s44
.LBB284_211:                            ;   in Loop: Header=BB284_16 Depth=1
	s_wait_alu 0xfffe
	s_or_b32 exec_lo, exec_lo, s43
	global_load_b64 v[9:10], v[7:8], off offset:520
	s_mov_b32 s43, exec_lo
	s_wait_loadcnt 0x0
	v_and_b32_e32 v1, 0xff, v9
	s_delay_alu instid0(VALU_DEP_1)
	v_cmpx_ne_u16_e32 0, v1
	s_cbranch_execz .LBB284_219
; %bb.212:                              ;   in Loop: Header=BB284_16 Depth=1
	v_mov_b32_e32 v45, 0x8000
	s_mov_b32 s44, exec_lo
	v_cmpx_ne_u16_e32 0x80, v1
	s_cbranch_execz .LBB284_218
; %bb.213:                              ;   in Loop: Header=BB284_16 Depth=1
	v_and_b32_e32 v49, 0x7f, v9
	v_mov_b32_e32 v45, 0x7c01
	s_mov_b32 s45, exec_lo
	s_delay_alu instid0(VALU_DEP_2)
	v_cmpx_ne_u32_e32 0x7f, v49
	s_cbranch_execz .LBB284_217
; %bb.214:                              ;   in Loop: Header=BB284_16 Depth=1
	v_and_b32_e32 v1, 7, v9
	v_lshrrev_b32_e32 v45, 3, v49
	s_mov_b32 s46, exec_lo
	v_cmpx_gt_u32_e32 8, v49
; %bb.215:                              ;   in Loop: Header=BB284_16 Depth=1
	s_delay_alu instid0(VALU_DEP_3) | instskip(NEXT) | instid1(VALU_DEP_1)
	v_clz_i32_u32_e32 v1, v1
	v_min_u32_e32 v1, 32, v1
	s_delay_alu instid0(VALU_DEP_1) | instskip(NEXT) | instid1(VALU_DEP_1)
	v_subrev_nc_u32_e32 v45, 28, v1
	v_lshlrev_b64_e32 v[49:50], v45, v[9:10]
	v_sub_nc_u32_e32 v45, 29, v1
	s_delay_alu instid0(VALU_DEP_2)
	v_and_b32_e32 v1, 7, v49
; %bb.216:                              ;   in Loop: Header=BB284_16 Depth=1
	s_or_b32 exec_lo, exec_lo, s46
	v_lshlrev_b32_e32 v49, 8, v9
	s_delay_alu instid0(VALU_DEP_3) | instskip(NEXT) | instid1(VALU_DEP_3)
	v_lshl_add_u32 v45, v45, 10, 0x2000
	v_lshlrev_b32_e32 v1, 7, v1
	s_delay_alu instid0(VALU_DEP_3) | instskip(NEXT) | instid1(VALU_DEP_3)
	v_and_b32_e32 v49, 0x8000, v49
	v_and_b32_e32 v45, 0xfc00, v45
	s_delay_alu instid0(VALU_DEP_1)
	v_or3_b32 v45, v49, v45, v1
.LBB284_217:                            ;   in Loop: Header=BB284_16 Depth=1
	s_wait_alu 0xfffe
	s_or_b32 exec_lo, exec_lo, s45
.LBB284_218:                            ;   in Loop: Header=BB284_16 Depth=1
	s_wait_alu 0xfffe
	s_or_b32 exec_lo, exec_lo, s44
.LBB284_219:                            ;   in Loop: Header=BB284_16 Depth=1
	s_wait_alu 0xfffe
	s_or_b32 exec_lo, exec_lo, s43
	v_lshrrev_b16 v1, 8, v9
	v_dual_mov_b32 v50, 0 :: v_dual_mov_b32 v49, 0
	s_mov_b32 s43, exec_lo
	s_delay_alu instid0(VALU_DEP_2)
	v_cmpx_ne_u16_e32 0, v1
	s_cbranch_execz .LBB284_227
; %bb.220:                              ;   in Loop: Header=BB284_16 Depth=1
	v_bfrev_b32_e32 v49, 1
	s_mov_b32 s44, exec_lo
	v_cmpx_ne_u16_e32 0x80, v1
	s_cbranch_execz .LBB284_226
; %bb.221:                              ;   in Loop: Header=BB284_16 Depth=1
	v_and_b32_e32 v51, 0xffff, v1
	v_mov_b32_e32 v49, 0x7c010000
	s_mov_b32 s45, exec_lo
	s_delay_alu instid0(VALU_DEP_2) | instskip(NEXT) | instid1(VALU_DEP_1)
	v_and_b32_e32 v53, 0x7f, v51
	v_cmpx_ne_u32_e32 0x7f, v53
	s_cbranch_execz .LBB284_225
; %bb.222:                              ;   in Loop: Header=BB284_16 Depth=1
	v_and_b32_e32 v49, 7, v51
	v_lshrrev_b32_e32 v52, 3, v53
	s_mov_b32 s46, exec_lo
	v_cmpx_gt_u32_e32 8, v53
; %bb.223:                              ;   in Loop: Header=BB284_16 Depth=1
	s_delay_alu instid0(VALU_DEP_3) | instskip(NEXT) | instid1(VALU_DEP_1)
	v_clz_i32_u32_e32 v49, v49
	v_min_u32_e32 v49, 32, v49
	s_delay_alu instid0(VALU_DEP_1) | instskip(NEXT) | instid1(VALU_DEP_1)
	v_subrev_nc_u32_e32 v52, 28, v49
	v_lshlrev_b64_e32 v[53:54], v52, v[1:2]
	v_sub_nc_u32_e32 v52, 29, v49
	s_delay_alu instid0(VALU_DEP_2)
	v_and_b32_e32 v49, 7, v53
; %bb.224:                              ;   in Loop: Header=BB284_16 Depth=1
	s_or_b32 exec_lo, exec_lo, s46
	v_lshlrev_b32_e32 v1, 8, v51
	s_delay_alu instid0(VALU_DEP_3) | instskip(NEXT) | instid1(VALU_DEP_3)
	v_lshl_add_u32 v51, v52, 10, 0x2000
	v_lshlrev_b32_e32 v49, 23, v49
	s_delay_alu instid0(VALU_DEP_2) | instskip(NEXT) | instid1(VALU_DEP_1)
	v_and_or_b32 v1, 0x8000, v1, v51
	v_lshl_or_b32 v49, v1, 16, v49
.LBB284_225:                            ;   in Loop: Header=BB284_16 Depth=1
	s_wait_alu 0xfffe
	s_or_b32 exec_lo, exec_lo, s45
.LBB284_226:                            ;   in Loop: Header=BB284_16 Depth=1
	s_wait_alu 0xfffe
	s_or_b32 exec_lo, exec_lo, s44
.LBB284_227:                            ;   in Loop: Header=BB284_16 Depth=1
	s_wait_alu 0xfffe
	s_or_b32 exec_lo, exec_lo, s43
	v_lshrrev_b32_e32 v1, 16, v9
	s_mov_b32 s43, exec_lo
	s_delay_alu instid0(VALU_DEP_1) | instskip(NEXT) | instid1(VALU_DEP_1)
	v_and_b32_e32 v51, 0xff, v1
	v_cmpx_ne_u16_e32 0, v51
	s_cbranch_execz .LBB284_235
; %bb.228:                              ;   in Loop: Header=BB284_16 Depth=1
	v_mov_b32_e32 v50, 0x8000
	s_mov_b32 s44, exec_lo
	v_cmpx_ne_u16_e32 0x80, v51
	s_cbranch_execz .LBB284_234
; %bb.229:                              ;   in Loop: Header=BB284_16 Depth=1
	v_bfe_u32 v52, v9, 16, 7
	v_mov_b32_e32 v50, 0x7c01
	s_mov_b32 s45, exec_lo
	s_delay_alu instid0(VALU_DEP_2)
	v_cmpx_ne_u32_e32 0x7f, v52
	s_cbranch_execz .LBB284_233
; %bb.230:                              ;   in Loop: Header=BB284_16 Depth=1
	v_and_b32_e32 v50, 7, v1
	v_lshrrev_b32_e32 v51, 3, v52
	s_mov_b32 s46, exec_lo
	v_cmpx_gt_u32_e32 8, v52
; %bb.231:                              ;   in Loop: Header=BB284_16 Depth=1
	s_delay_alu instid0(VALU_DEP_3) | instskip(NEXT) | instid1(VALU_DEP_1)
	v_clz_i32_u32_e32 v50, v50
	v_min_u32_e32 v52, 32, v50
	s_delay_alu instid0(VALU_DEP_1) | instskip(NEXT) | instid1(VALU_DEP_1)
	v_subrev_nc_u32_e32 v50, 28, v52
	v_lshlrev_b64_e32 v[50:51], v50, v[1:2]
	v_sub_nc_u32_e32 v51, 29, v52
	s_delay_alu instid0(VALU_DEP_2)
	v_and_b32_e32 v50, 7, v50
; %bb.232:                              ;   in Loop: Header=BB284_16 Depth=1
	s_or_b32 exec_lo, exec_lo, s46
	v_lshlrev_b32_e32 v1, 8, v1
	s_delay_alu instid0(VALU_DEP_3) | instskip(NEXT) | instid1(VALU_DEP_3)
	v_lshl_add_u32 v51, v51, 10, 0x2000
	v_lshlrev_b32_e32 v50, 7, v50
	s_delay_alu instid0(VALU_DEP_3) | instskip(NEXT) | instid1(VALU_DEP_3)
	v_and_b32_e32 v1, 0x8000, v1
	v_and_b32_e32 v51, 0xfc00, v51
	s_delay_alu instid0(VALU_DEP_1)
	v_or3_b32 v50, v1, v51, v50
.LBB284_233:                            ;   in Loop: Header=BB284_16 Depth=1
	s_wait_alu 0xfffe
	s_or_b32 exec_lo, exec_lo, s45
.LBB284_234:                            ;   in Loop: Header=BB284_16 Depth=1
	s_wait_alu 0xfffe
	s_or_b32 exec_lo, exec_lo, s44
.LBB284_235:                            ;   in Loop: Header=BB284_16 Depth=1
	s_wait_alu 0xfffe
	s_or_b32 exec_lo, exec_lo, s43
	v_dual_mov_b32 v51, 0 :: v_dual_mov_b32 v52, 0
	s_mov_b32 s43, exec_lo
	v_cmpx_lt_u32_e32 0xffffff, v9
	s_cbranch_execz .LBB284_243
; %bb.236:                              ;   in Loop: Header=BB284_16 Depth=1
	v_lshrrev_b32_e32 v1, 24, v9
	v_bfrev_b32_e32 v52, 1
	s_mov_b32 s44, exec_lo
	s_delay_alu instid0(VALU_DEP_2)
	v_cmpx_ne_u32_e32 0x80, v1
	s_cbranch_execz .LBB284_242
; %bb.237:                              ;   in Loop: Header=BB284_16 Depth=1
	v_and_b32_e32 v54, 0x7f, v1
	v_mov_b32_e32 v52, 0x7c010000
	s_mov_b32 s45, exec_lo
	s_delay_alu instid0(VALU_DEP_2)
	v_cmpx_ne_u32_e32 0x7f, v54
	s_cbranch_execz .LBB284_241
; %bb.238:                              ;   in Loop: Header=BB284_16 Depth=1
	v_and_b32_e32 v52, 7, v1
	v_lshrrev_b32_e32 v53, 3, v54
	s_mov_b32 s46, exec_lo
	v_cmpx_gt_u32_e32 8, v54
; %bb.239:                              ;   in Loop: Header=BB284_16 Depth=1
	s_delay_alu instid0(VALU_DEP_3) | instskip(NEXT) | instid1(VALU_DEP_1)
	v_clz_i32_u32_e32 v52, v52
	v_min_u32_e32 v54, 32, v52
	s_delay_alu instid0(VALU_DEP_1) | instskip(NEXT) | instid1(VALU_DEP_1)
	v_subrev_nc_u32_e32 v52, 28, v54
	v_lshlrev_b64_e32 v[52:53], v52, v[1:2]
	v_sub_nc_u32_e32 v53, 29, v54
	s_delay_alu instid0(VALU_DEP_2)
	v_and_b32_e32 v52, 7, v52
; %bb.240:                              ;   in Loop: Header=BB284_16 Depth=1
	s_or_b32 exec_lo, exec_lo, s46
	v_lshlrev_b32_e32 v1, 8, v1
	s_delay_alu instid0(VALU_DEP_3) | instskip(NEXT) | instid1(VALU_DEP_3)
	v_lshl_add_u32 v53, v53, 10, 0x2000
	v_lshlrev_b32_e32 v52, 23, v52
	s_delay_alu instid0(VALU_DEP_2) | instskip(NEXT) | instid1(VALU_DEP_1)
	v_and_or_b32 v1, 0x8000, v1, v53
	v_lshl_or_b32 v52, v1, 16, v52
.LBB284_241:                            ;   in Loop: Header=BB284_16 Depth=1
	s_wait_alu 0xfffe
	s_or_b32 exec_lo, exec_lo, s45
.LBB284_242:                            ;   in Loop: Header=BB284_16 Depth=1
	s_wait_alu 0xfffe
	s_or_b32 exec_lo, exec_lo, s44
.LBB284_243:                            ;   in Loop: Header=BB284_16 Depth=1
	s_wait_alu 0xfffe
	s_or_b32 exec_lo, exec_lo, s43
	v_and_b32_e32 v53, 0xff, v10
	v_mov_b32_e32 v1, v10
	s_mov_b32 s43, exec_lo
	s_delay_alu instid0(VALU_DEP_2)
	v_cmpx_ne_u16_e32 0, v53
	s_cbranch_execz .LBB284_251
; %bb.244:                              ;   in Loop: Header=BB284_16 Depth=1
	v_mov_b32_e32 v51, 0x8000
	s_mov_b32 s44, exec_lo
	v_cmpx_ne_u16_e32 0x80, v53
	s_cbranch_execz .LBB284_250
; %bb.245:                              ;   in Loop: Header=BB284_16 Depth=1
	v_and_b32_e32 v54, 0x7f, v10
	v_mov_b32_e32 v51, 0x7c01
	s_mov_b32 s45, exec_lo
	s_delay_alu instid0(VALU_DEP_2)
	v_cmpx_ne_u32_e32 0x7f, v54
	s_cbranch_execz .LBB284_249
; %bb.246:                              ;   in Loop: Header=BB284_16 Depth=1
	v_and_b32_e32 v51, 7, v10
	v_lshrrev_b32_e32 v53, 3, v54
	s_mov_b32 s46, exec_lo
	v_cmpx_gt_u32_e32 8, v54
; %bb.247:                              ;   in Loop: Header=BB284_16 Depth=1
	s_delay_alu instid0(VALU_DEP_3) | instskip(NEXT) | instid1(VALU_DEP_1)
	v_clz_i32_u32_e32 v51, v51
	v_min_u32_e32 v51, 32, v51
	s_delay_alu instid0(VALU_DEP_1) | instskip(NEXT) | instid1(VALU_DEP_1)
	v_subrev_nc_u32_e32 v53, 28, v51
	v_lshlrev_b64_e32 v[54:55], v53, v[1:2]
	v_sub_nc_u32_e32 v53, 29, v51
	s_delay_alu instid0(VALU_DEP_2)
	v_and_b32_e32 v51, 7, v54
; %bb.248:                              ;   in Loop: Header=BB284_16 Depth=1
	s_or_b32 exec_lo, exec_lo, s46
	v_lshlrev_b32_e32 v54, 8, v10
	s_delay_alu instid0(VALU_DEP_3) | instskip(NEXT) | instid1(VALU_DEP_3)
	v_lshl_add_u32 v53, v53, 10, 0x2000
	v_lshlrev_b32_e32 v51, 7, v51
	s_delay_alu instid0(VALU_DEP_3) | instskip(NEXT) | instid1(VALU_DEP_3)
	v_and_b32_e32 v54, 0x8000, v54
	v_and_b32_e32 v53, 0xfc00, v53
	s_delay_alu instid0(VALU_DEP_1)
	v_or3_b32 v51, v54, v53, v51
.LBB284_249:                            ;   in Loop: Header=BB284_16 Depth=1
	s_wait_alu 0xfffe
	s_or_b32 exec_lo, exec_lo, s45
.LBB284_250:                            ;   in Loop: Header=BB284_16 Depth=1
	s_wait_alu 0xfffe
	s_or_b32 exec_lo, exec_lo, s44
.LBB284_251:                            ;   in Loop: Header=BB284_16 Depth=1
	s_wait_alu 0xfffe
	s_or_b32 exec_lo, exec_lo, s43
	v_lshrrev_b16 v1, 8, v1
	v_dual_mov_b32 v55, 0 :: v_dual_mov_b32 v54, 0
	s_mov_b32 s43, exec_lo
	s_delay_alu instid0(VALU_DEP_2)
	v_cmpx_ne_u16_e32 0, v1
	s_cbranch_execz .LBB284_259
; %bb.252:                              ;   in Loop: Header=BB284_16 Depth=1
	v_bfrev_b32_e32 v54, 1
	s_mov_b32 s44, exec_lo
	v_cmpx_ne_u16_e32 0x80, v1
	s_cbranch_execz .LBB284_258
; %bb.253:                              ;   in Loop: Header=BB284_16 Depth=1
	v_and_b32_e32 v53, 0xffff, v1
	v_mov_b32_e32 v54, 0x7c010000
	s_mov_b32 s45, exec_lo
	s_delay_alu instid0(VALU_DEP_2) | instskip(NEXT) | instid1(VALU_DEP_1)
	v_and_b32_e32 v57, 0x7f, v53
	v_cmpx_ne_u32_e32 0x7f, v57
	s_cbranch_execz .LBB284_257
; %bb.254:                              ;   in Loop: Header=BB284_16 Depth=1
	v_and_b32_e32 v54, 7, v53
	v_lshrrev_b32_e32 v56, 3, v57
	s_mov_b32 s46, exec_lo
	v_cmpx_gt_u32_e32 8, v57
; %bb.255:                              ;   in Loop: Header=BB284_16 Depth=1
	s_delay_alu instid0(VALU_DEP_3) | instskip(NEXT) | instid1(VALU_DEP_1)
	v_clz_i32_u32_e32 v54, v54
	v_min_u32_e32 v54, 32, v54
	s_delay_alu instid0(VALU_DEP_1) | instskip(NEXT) | instid1(VALU_DEP_1)
	v_subrev_nc_u32_e32 v56, 28, v54
	v_lshlrev_b64_e32 v[57:58], v56, v[1:2]
	v_sub_nc_u32_e32 v56, 29, v54
	s_delay_alu instid0(VALU_DEP_2)
	v_and_b32_e32 v54, 7, v57
; %bb.256:                              ;   in Loop: Header=BB284_16 Depth=1
	s_or_b32 exec_lo, exec_lo, s46
	v_lshlrev_b32_e32 v1, 8, v53
	s_delay_alu instid0(VALU_DEP_3) | instskip(NEXT) | instid1(VALU_DEP_1)
	v_lshl_add_u32 v53, v56, 10, 0x2000
	v_and_or_b32 v1, 0x8000, v1, v53
	v_lshlrev_b32_e32 v53, 23, v54
	s_delay_alu instid0(VALU_DEP_1)
	v_lshl_or_b32 v54, v1, 16, v53
.LBB284_257:                            ;   in Loop: Header=BB284_16 Depth=1
	s_wait_alu 0xfffe
	s_or_b32 exec_lo, exec_lo, s45
.LBB284_258:                            ;   in Loop: Header=BB284_16 Depth=1
	s_wait_alu 0xfffe
	s_or_b32 exec_lo, exec_lo, s44
.LBB284_259:                            ;   in Loop: Header=BB284_16 Depth=1
	s_wait_alu 0xfffe
	s_or_b32 exec_lo, exec_lo, s43
	v_lshrrev_b32_e32 v1, 16, v10
	s_mov_b32 s43, exec_lo
	s_delay_alu instid0(VALU_DEP_1) | instskip(NEXT) | instid1(VALU_DEP_1)
	v_and_b32_e32 v53, 0xff, v1
	v_cmpx_ne_u16_e32 0, v53
	s_cbranch_execz .LBB284_267
; %bb.260:                              ;   in Loop: Header=BB284_16 Depth=1
	v_mov_b32_e32 v55, 0x8000
	s_mov_b32 s44, exec_lo
	v_cmpx_ne_u16_e32 0x80, v53
	s_cbranch_execz .LBB284_266
; %bb.261:                              ;   in Loop: Header=BB284_16 Depth=1
	v_bfe_u32 v56, v10, 16, 7
	v_mov_b32_e32 v55, 0x7c01
	s_mov_b32 s45, exec_lo
	s_delay_alu instid0(VALU_DEP_2)
	v_cmpx_ne_u32_e32 0x7f, v56
	s_cbranch_execz .LBB284_265
; %bb.262:                              ;   in Loop: Header=BB284_16 Depth=1
	v_and_b32_e32 v53, 7, v1
	v_lshrrev_b32_e32 v55, 3, v56
	s_mov_b32 s46, exec_lo
	v_cmpx_gt_u32_e32 8, v56
; %bb.263:                              ;   in Loop: Header=BB284_16 Depth=1
	s_delay_alu instid0(VALU_DEP_3) | instskip(NEXT) | instid1(VALU_DEP_1)
	v_clz_i32_u32_e32 v53, v53
	v_min_u32_e32 v53, 32, v53
	s_delay_alu instid0(VALU_DEP_1) | instskip(NEXT) | instid1(VALU_DEP_1)
	v_subrev_nc_u32_e32 v55, 28, v53
	v_lshlrev_b64_e32 v[56:57], v55, v[1:2]
	v_sub_nc_u32_e32 v55, 29, v53
	s_delay_alu instid0(VALU_DEP_2)
	v_and_b32_e32 v53, 7, v56
; %bb.264:                              ;   in Loop: Header=BB284_16 Depth=1
	s_or_b32 exec_lo, exec_lo, s46
	v_lshlrev_b32_e32 v1, 8, v1
	s_delay_alu instid0(VALU_DEP_3) | instskip(NEXT) | instid1(VALU_DEP_3)
	v_lshl_add_u32 v55, v55, 10, 0x2000
	v_lshlrev_b32_e32 v53, 7, v53
	s_delay_alu instid0(VALU_DEP_3) | instskip(NEXT) | instid1(VALU_DEP_3)
	v_and_b32_e32 v1, 0x8000, v1
	v_and_b32_e32 v55, 0xfc00, v55
	s_delay_alu instid0(VALU_DEP_1)
	v_or3_b32 v55, v1, v55, v53
.LBB284_265:                            ;   in Loop: Header=BB284_16 Depth=1
	s_wait_alu 0xfffe
	s_or_b32 exec_lo, exec_lo, s45
.LBB284_266:                            ;   in Loop: Header=BB284_16 Depth=1
	s_wait_alu 0xfffe
	s_or_b32 exec_lo, exec_lo, s44
.LBB284_267:                            ;   in Loop: Header=BB284_16 Depth=1
	s_wait_alu 0xfffe
	s_or_b32 exec_lo, exec_lo, s43
	v_dual_mov_b32 v53, 0 :: v_dual_mov_b32 v56, 0
	s_mov_b32 s43, exec_lo
	v_cmpx_lt_u64_e64 s[14:15], v[9:10]
	s_cbranch_execz .LBB284_275
; %bb.268:                              ;   in Loop: Header=BB284_16 Depth=1
	v_lshrrev_b32_e32 v1, 24, v10
	v_bfrev_b32_e32 v56, 1
	s_mov_b32 s44, exec_lo
	s_delay_alu instid0(VALU_DEP_2)
	v_cmpx_ne_u32_e32 0x80, v1
	s_cbranch_execz .LBB284_274
; %bb.269:                              ;   in Loop: Header=BB284_16 Depth=1
	v_and_b32_e32 v57, 0x7f, v1
	v_mov_b32_e32 v56, 0x7c010000
	s_mov_b32 s45, exec_lo
	s_delay_alu instid0(VALU_DEP_2)
	v_cmpx_ne_u32_e32 0x7f, v57
	s_cbranch_execz .LBB284_273
; %bb.270:                              ;   in Loop: Header=BB284_16 Depth=1
	v_and_b32_e32 v9, 7, v1
	v_lshrrev_b32_e32 v10, 3, v57
	s_mov_b32 s46, exec_lo
	v_cmpx_gt_u32_e32 8, v57
; %bb.271:                              ;   in Loop: Header=BB284_16 Depth=1
	s_delay_alu instid0(VALU_DEP_3) | instskip(NEXT) | instid1(VALU_DEP_1)
	v_clz_i32_u32_e32 v9, v9
	v_min_u32_e32 v56, 32, v9
	s_delay_alu instid0(VALU_DEP_1) | instskip(NEXT) | instid1(VALU_DEP_1)
	v_subrev_nc_u32_e32 v9, 28, v56
	v_lshlrev_b64_e32 v[9:10], v9, v[1:2]
	v_sub_nc_u32_e32 v10, 29, v56
	s_delay_alu instid0(VALU_DEP_2)
	v_and_b32_e32 v9, 7, v9
; %bb.272:                              ;   in Loop: Header=BB284_16 Depth=1
	s_or_b32 exec_lo, exec_lo, s46
	v_lshlrev_b32_e32 v1, 8, v1
	s_delay_alu instid0(VALU_DEP_3) | instskip(NEXT) | instid1(VALU_DEP_3)
	v_lshl_add_u32 v10, v10, 10, 0x2000
	v_lshlrev_b32_e32 v9, 23, v9
	s_delay_alu instid0(VALU_DEP_2) | instskip(NEXT) | instid1(VALU_DEP_1)
	v_and_or_b32 v1, 0x8000, v1, v10
	v_lshl_or_b32 v56, v1, 16, v9
.LBB284_273:                            ;   in Loop: Header=BB284_16 Depth=1
	s_wait_alu 0xfffe
	s_or_b32 exec_lo, exec_lo, s45
.LBB284_274:                            ;   in Loop: Header=BB284_16 Depth=1
	s_wait_alu 0xfffe
	s_or_b32 exec_lo, exec_lo, s44
.LBB284_275:                            ;   in Loop: Header=BB284_16 Depth=1
	s_wait_alu 0xfffe
	s_or_b32 exec_lo, exec_lo, s43
	global_load_b64 v[9:10], v[7:8], off offset:1024
	s_mov_b32 s43, exec_lo
	s_wait_loadcnt 0x0
	v_and_b32_e32 v1, 0xff, v9
	s_delay_alu instid0(VALU_DEP_1)
	v_cmpx_ne_u16_e32 0, v1
	s_cbranch_execz .LBB284_283
; %bb.276:                              ;   in Loop: Header=BB284_16 Depth=1
	v_mov_b32_e32 v53, 0x8000
	s_mov_b32 s44, exec_lo
	v_cmpx_ne_u16_e32 0x80, v1
	s_cbranch_execz .LBB284_282
; %bb.277:                              ;   in Loop: Header=BB284_16 Depth=1
	v_and_b32_e32 v57, 0x7f, v9
	v_mov_b32_e32 v53, 0x7c01
	s_mov_b32 s45, exec_lo
	s_delay_alu instid0(VALU_DEP_2)
	v_cmpx_ne_u32_e32 0x7f, v57
	s_cbranch_execz .LBB284_281
; %bb.278:                              ;   in Loop: Header=BB284_16 Depth=1
	v_and_b32_e32 v1, 7, v9
	v_lshrrev_b32_e32 v53, 3, v57
	s_mov_b32 s46, exec_lo
	v_cmpx_gt_u32_e32 8, v57
; %bb.279:                              ;   in Loop: Header=BB284_16 Depth=1
	s_delay_alu instid0(VALU_DEP_3) | instskip(NEXT) | instid1(VALU_DEP_1)
	v_clz_i32_u32_e32 v1, v1
	v_min_u32_e32 v1, 32, v1
	s_delay_alu instid0(VALU_DEP_1) | instskip(NEXT) | instid1(VALU_DEP_1)
	v_subrev_nc_u32_e32 v53, 28, v1
	v_lshlrev_b64_e32 v[57:58], v53, v[9:10]
	v_sub_nc_u32_e32 v53, 29, v1
	s_delay_alu instid0(VALU_DEP_2)
	v_and_b32_e32 v1, 7, v57
; %bb.280:                              ;   in Loop: Header=BB284_16 Depth=1
	s_or_b32 exec_lo, exec_lo, s46
	v_lshlrev_b32_e32 v57, 8, v9
	s_delay_alu instid0(VALU_DEP_3) | instskip(NEXT) | instid1(VALU_DEP_3)
	v_lshl_add_u32 v53, v53, 10, 0x2000
	v_lshlrev_b32_e32 v1, 7, v1
	s_delay_alu instid0(VALU_DEP_3) | instskip(NEXT) | instid1(VALU_DEP_3)
	v_and_b32_e32 v57, 0x8000, v57
	v_and_b32_e32 v53, 0xfc00, v53
	s_delay_alu instid0(VALU_DEP_1)
	v_or3_b32 v53, v57, v53, v1
.LBB284_281:                            ;   in Loop: Header=BB284_16 Depth=1
	s_wait_alu 0xfffe
	s_or_b32 exec_lo, exec_lo, s45
.LBB284_282:                            ;   in Loop: Header=BB284_16 Depth=1
	s_wait_alu 0xfffe
	s_or_b32 exec_lo, exec_lo, s44
.LBB284_283:                            ;   in Loop: Header=BB284_16 Depth=1
	s_wait_alu 0xfffe
	s_or_b32 exec_lo, exec_lo, s43
	v_lshrrev_b16 v1, 8, v9
	v_dual_mov_b32 v58, 0 :: v_dual_mov_b32 v57, 0
	s_mov_b32 s43, exec_lo
	s_delay_alu instid0(VALU_DEP_2)
	v_cmpx_ne_u16_e32 0, v1
	s_cbranch_execz .LBB284_291
; %bb.284:                              ;   in Loop: Header=BB284_16 Depth=1
	v_bfrev_b32_e32 v57, 1
	s_mov_b32 s44, exec_lo
	v_cmpx_ne_u16_e32 0x80, v1
	s_cbranch_execz .LBB284_290
; %bb.285:                              ;   in Loop: Header=BB284_16 Depth=1
	v_and_b32_e32 v59, 0xffff, v1
	v_mov_b32_e32 v57, 0x7c010000
	s_mov_b32 s45, exec_lo
	s_delay_alu instid0(VALU_DEP_2) | instskip(NEXT) | instid1(VALU_DEP_1)
	v_and_b32_e32 v61, 0x7f, v59
	v_cmpx_ne_u32_e32 0x7f, v61
	s_cbranch_execz .LBB284_289
; %bb.286:                              ;   in Loop: Header=BB284_16 Depth=1
	v_and_b32_e32 v57, 7, v59
	v_lshrrev_b32_e32 v60, 3, v61
	s_mov_b32 s46, exec_lo
	v_cmpx_gt_u32_e32 8, v61
; %bb.287:                              ;   in Loop: Header=BB284_16 Depth=1
	s_delay_alu instid0(VALU_DEP_3) | instskip(NEXT) | instid1(VALU_DEP_1)
	v_clz_i32_u32_e32 v57, v57
	v_min_u32_e32 v57, 32, v57
	s_delay_alu instid0(VALU_DEP_1) | instskip(NEXT) | instid1(VALU_DEP_1)
	v_subrev_nc_u32_e32 v60, 28, v57
	v_lshlrev_b64_e32 v[61:62], v60, v[1:2]
	v_sub_nc_u32_e32 v60, 29, v57
	s_delay_alu instid0(VALU_DEP_2)
	v_and_b32_e32 v57, 7, v61
; %bb.288:                              ;   in Loop: Header=BB284_16 Depth=1
	s_or_b32 exec_lo, exec_lo, s46
	v_lshlrev_b32_e32 v1, 8, v59
	s_delay_alu instid0(VALU_DEP_3) | instskip(NEXT) | instid1(VALU_DEP_3)
	v_lshl_add_u32 v59, v60, 10, 0x2000
	v_lshlrev_b32_e32 v57, 23, v57
	s_delay_alu instid0(VALU_DEP_2) | instskip(NEXT) | instid1(VALU_DEP_1)
	v_and_or_b32 v1, 0x8000, v1, v59
	v_lshl_or_b32 v57, v1, 16, v57
.LBB284_289:                            ;   in Loop: Header=BB284_16 Depth=1
	s_wait_alu 0xfffe
	s_or_b32 exec_lo, exec_lo, s45
.LBB284_290:                            ;   in Loop: Header=BB284_16 Depth=1
	s_wait_alu 0xfffe
	s_or_b32 exec_lo, exec_lo, s44
.LBB284_291:                            ;   in Loop: Header=BB284_16 Depth=1
	s_wait_alu 0xfffe
	s_or_b32 exec_lo, exec_lo, s43
	v_lshrrev_b32_e32 v1, 16, v9
	s_mov_b32 s43, exec_lo
	s_delay_alu instid0(VALU_DEP_1) | instskip(NEXT) | instid1(VALU_DEP_1)
	v_and_b32_e32 v59, 0xff, v1
	v_cmpx_ne_u16_e32 0, v59
	s_cbranch_execz .LBB284_299
; %bb.292:                              ;   in Loop: Header=BB284_16 Depth=1
	v_mov_b32_e32 v58, 0x8000
	s_mov_b32 s44, exec_lo
	v_cmpx_ne_u16_e32 0x80, v59
	s_cbranch_execz .LBB284_298
; %bb.293:                              ;   in Loop: Header=BB284_16 Depth=1
	v_bfe_u32 v60, v9, 16, 7
	v_mov_b32_e32 v58, 0x7c01
	s_mov_b32 s45, exec_lo
	s_delay_alu instid0(VALU_DEP_2)
	v_cmpx_ne_u32_e32 0x7f, v60
	s_cbranch_execz .LBB284_297
; %bb.294:                              ;   in Loop: Header=BB284_16 Depth=1
	v_and_b32_e32 v58, 7, v1
	v_lshrrev_b32_e32 v59, 3, v60
	s_mov_b32 s46, exec_lo
	v_cmpx_gt_u32_e32 8, v60
; %bb.295:                              ;   in Loop: Header=BB284_16 Depth=1
	s_delay_alu instid0(VALU_DEP_3) | instskip(NEXT) | instid1(VALU_DEP_1)
	v_clz_i32_u32_e32 v58, v58
	v_min_u32_e32 v60, 32, v58
	s_delay_alu instid0(VALU_DEP_1) | instskip(NEXT) | instid1(VALU_DEP_1)
	v_subrev_nc_u32_e32 v58, 28, v60
	v_lshlrev_b64_e32 v[58:59], v58, v[1:2]
	v_sub_nc_u32_e32 v59, 29, v60
	s_delay_alu instid0(VALU_DEP_2)
	v_and_b32_e32 v58, 7, v58
; %bb.296:                              ;   in Loop: Header=BB284_16 Depth=1
	s_or_b32 exec_lo, exec_lo, s46
	v_lshlrev_b32_e32 v1, 8, v1
	s_delay_alu instid0(VALU_DEP_3) | instskip(NEXT) | instid1(VALU_DEP_3)
	v_lshl_add_u32 v59, v59, 10, 0x2000
	v_lshlrev_b32_e32 v58, 7, v58
	s_delay_alu instid0(VALU_DEP_3) | instskip(NEXT) | instid1(VALU_DEP_3)
	v_and_b32_e32 v1, 0x8000, v1
	v_and_b32_e32 v59, 0xfc00, v59
	s_delay_alu instid0(VALU_DEP_1)
	v_or3_b32 v58, v1, v59, v58
.LBB284_297:                            ;   in Loop: Header=BB284_16 Depth=1
	s_wait_alu 0xfffe
	s_or_b32 exec_lo, exec_lo, s45
.LBB284_298:                            ;   in Loop: Header=BB284_16 Depth=1
	s_wait_alu 0xfffe
	s_or_b32 exec_lo, exec_lo, s44
.LBB284_299:                            ;   in Loop: Header=BB284_16 Depth=1
	s_wait_alu 0xfffe
	s_or_b32 exec_lo, exec_lo, s43
	v_dual_mov_b32 v59, 0 :: v_dual_mov_b32 v60, 0
	s_mov_b32 s43, exec_lo
	v_cmpx_lt_u32_e32 0xffffff, v9
	s_cbranch_execz .LBB284_307
; %bb.300:                              ;   in Loop: Header=BB284_16 Depth=1
	v_lshrrev_b32_e32 v1, 24, v9
	v_bfrev_b32_e32 v60, 1
	s_mov_b32 s44, exec_lo
	s_delay_alu instid0(VALU_DEP_2)
	v_cmpx_ne_u32_e32 0x80, v1
	s_cbranch_execz .LBB284_306
; %bb.301:                              ;   in Loop: Header=BB284_16 Depth=1
	v_and_b32_e32 v62, 0x7f, v1
	v_mov_b32_e32 v60, 0x7c010000
	s_mov_b32 s45, exec_lo
	s_delay_alu instid0(VALU_DEP_2)
	v_cmpx_ne_u32_e32 0x7f, v62
	s_cbranch_execz .LBB284_305
; %bb.302:                              ;   in Loop: Header=BB284_16 Depth=1
	v_and_b32_e32 v60, 7, v1
	v_lshrrev_b32_e32 v61, 3, v62
	s_mov_b32 s46, exec_lo
	v_cmpx_gt_u32_e32 8, v62
; %bb.303:                              ;   in Loop: Header=BB284_16 Depth=1
	s_delay_alu instid0(VALU_DEP_3) | instskip(NEXT) | instid1(VALU_DEP_1)
	v_clz_i32_u32_e32 v60, v60
	v_min_u32_e32 v62, 32, v60
	s_delay_alu instid0(VALU_DEP_1) | instskip(NEXT) | instid1(VALU_DEP_1)
	v_subrev_nc_u32_e32 v60, 28, v62
	v_lshlrev_b64_e32 v[60:61], v60, v[1:2]
	v_sub_nc_u32_e32 v61, 29, v62
	s_delay_alu instid0(VALU_DEP_2)
	v_and_b32_e32 v60, 7, v60
; %bb.304:                              ;   in Loop: Header=BB284_16 Depth=1
	s_or_b32 exec_lo, exec_lo, s46
	v_lshlrev_b32_e32 v1, 8, v1
	s_delay_alu instid0(VALU_DEP_3) | instskip(NEXT) | instid1(VALU_DEP_3)
	v_lshl_add_u32 v61, v61, 10, 0x2000
	v_lshlrev_b32_e32 v60, 23, v60
	s_delay_alu instid0(VALU_DEP_2) | instskip(NEXT) | instid1(VALU_DEP_1)
	v_and_or_b32 v1, 0x8000, v1, v61
	v_lshl_or_b32 v60, v1, 16, v60
.LBB284_305:                            ;   in Loop: Header=BB284_16 Depth=1
	s_wait_alu 0xfffe
	s_or_b32 exec_lo, exec_lo, s45
.LBB284_306:                            ;   in Loop: Header=BB284_16 Depth=1
	s_wait_alu 0xfffe
	s_or_b32 exec_lo, exec_lo, s44
.LBB284_307:                            ;   in Loop: Header=BB284_16 Depth=1
	s_wait_alu 0xfffe
	s_or_b32 exec_lo, exec_lo, s43
	v_and_b32_e32 v61, 0xff, v10
	v_mov_b32_e32 v1, v10
	s_mov_b32 s43, exec_lo
	s_delay_alu instid0(VALU_DEP_2)
	v_cmpx_ne_u16_e32 0, v61
	s_cbranch_execz .LBB284_315
; %bb.308:                              ;   in Loop: Header=BB284_16 Depth=1
	v_mov_b32_e32 v59, 0x8000
	s_mov_b32 s44, exec_lo
	v_cmpx_ne_u16_e32 0x80, v61
	s_cbranch_execz .LBB284_314
; %bb.309:                              ;   in Loop: Header=BB284_16 Depth=1
	v_and_b32_e32 v62, 0x7f, v10
	v_mov_b32_e32 v59, 0x7c01
	s_mov_b32 s45, exec_lo
	s_delay_alu instid0(VALU_DEP_2)
	v_cmpx_ne_u32_e32 0x7f, v62
	s_cbranch_execz .LBB284_313
; %bb.310:                              ;   in Loop: Header=BB284_16 Depth=1
	v_and_b32_e32 v59, 7, v10
	v_lshrrev_b32_e32 v61, 3, v62
	s_mov_b32 s46, exec_lo
	v_cmpx_gt_u32_e32 8, v62
; %bb.311:                              ;   in Loop: Header=BB284_16 Depth=1
	s_delay_alu instid0(VALU_DEP_3) | instskip(NEXT) | instid1(VALU_DEP_1)
	v_clz_i32_u32_e32 v59, v59
	v_min_u32_e32 v59, 32, v59
	s_delay_alu instid0(VALU_DEP_1) | instskip(NEXT) | instid1(VALU_DEP_1)
	v_subrev_nc_u32_e32 v61, 28, v59
	v_lshlrev_b64_e32 v[62:63], v61, v[1:2]
	v_sub_nc_u32_e32 v61, 29, v59
	s_delay_alu instid0(VALU_DEP_2)
	v_and_b32_e32 v59, 7, v62
; %bb.312:                              ;   in Loop: Header=BB284_16 Depth=1
	s_or_b32 exec_lo, exec_lo, s46
	v_lshlrev_b32_e32 v62, 8, v10
	s_delay_alu instid0(VALU_DEP_3) | instskip(NEXT) | instid1(VALU_DEP_3)
	v_lshl_add_u32 v61, v61, 10, 0x2000
	v_lshlrev_b32_e32 v59, 7, v59
	s_delay_alu instid0(VALU_DEP_3) | instskip(NEXT) | instid1(VALU_DEP_3)
	v_and_b32_e32 v62, 0x8000, v62
	v_and_b32_e32 v61, 0xfc00, v61
	s_delay_alu instid0(VALU_DEP_1)
	v_or3_b32 v59, v62, v61, v59
.LBB284_313:                            ;   in Loop: Header=BB284_16 Depth=1
	s_wait_alu 0xfffe
	s_or_b32 exec_lo, exec_lo, s45
.LBB284_314:                            ;   in Loop: Header=BB284_16 Depth=1
	s_wait_alu 0xfffe
	s_or_b32 exec_lo, exec_lo, s44
.LBB284_315:                            ;   in Loop: Header=BB284_16 Depth=1
	s_wait_alu 0xfffe
	s_or_b32 exec_lo, exec_lo, s43
	v_lshrrev_b16 v1, 8, v1
	v_dual_mov_b32 v62, 0 :: v_dual_mov_b32 v61, 0
	s_mov_b32 s43, exec_lo
	s_delay_alu instid0(VALU_DEP_2)
	v_cmpx_ne_u16_e32 0, v1
	s_cbranch_execz .LBB284_323
; %bb.316:                              ;   in Loop: Header=BB284_16 Depth=1
	v_bfrev_b32_e32 v61, 1
	s_mov_b32 s44, exec_lo
	v_cmpx_ne_u16_e32 0x80, v1
	s_cbranch_execz .LBB284_322
; %bb.317:                              ;   in Loop: Header=BB284_16 Depth=1
	v_and_b32_e32 v63, 0xffff, v1
	v_mov_b32_e32 v61, 0x7c010000
	s_mov_b32 s45, exec_lo
	s_delay_alu instid0(VALU_DEP_2) | instskip(NEXT) | instid1(VALU_DEP_1)
	v_and_b32_e32 v65, 0x7f, v63
	v_cmpx_ne_u32_e32 0x7f, v65
	s_cbranch_execz .LBB284_321
; %bb.318:                              ;   in Loop: Header=BB284_16 Depth=1
	v_and_b32_e32 v61, 7, v63
	v_lshrrev_b32_e32 v64, 3, v65
	s_mov_b32 s46, exec_lo
	v_cmpx_gt_u32_e32 8, v65
; %bb.319:                              ;   in Loop: Header=BB284_16 Depth=1
	s_delay_alu instid0(VALU_DEP_3) | instskip(NEXT) | instid1(VALU_DEP_1)
	v_clz_i32_u32_e32 v61, v61
	v_min_u32_e32 v61, 32, v61
	s_delay_alu instid0(VALU_DEP_1) | instskip(NEXT) | instid1(VALU_DEP_1)
	v_subrev_nc_u32_e32 v64, 28, v61
	v_lshlrev_b64_e32 v[65:66], v64, v[1:2]
	v_sub_nc_u32_e32 v64, 29, v61
	s_delay_alu instid0(VALU_DEP_2)
	v_and_b32_e32 v61, 7, v65
; %bb.320:                              ;   in Loop: Header=BB284_16 Depth=1
	s_or_b32 exec_lo, exec_lo, s46
	v_lshlrev_b32_e32 v1, 8, v63
	s_delay_alu instid0(VALU_DEP_3) | instskip(NEXT) | instid1(VALU_DEP_3)
	v_lshl_add_u32 v63, v64, 10, 0x2000
	v_lshlrev_b32_e32 v61, 23, v61
	s_delay_alu instid0(VALU_DEP_2) | instskip(NEXT) | instid1(VALU_DEP_1)
	v_and_or_b32 v1, 0x8000, v1, v63
	v_lshl_or_b32 v61, v1, 16, v61
.LBB284_321:                            ;   in Loop: Header=BB284_16 Depth=1
	s_wait_alu 0xfffe
	s_or_b32 exec_lo, exec_lo, s45
.LBB284_322:                            ;   in Loop: Header=BB284_16 Depth=1
	s_wait_alu 0xfffe
	s_or_b32 exec_lo, exec_lo, s44
.LBB284_323:                            ;   in Loop: Header=BB284_16 Depth=1
	s_wait_alu 0xfffe
	s_or_b32 exec_lo, exec_lo, s43
	v_lshrrev_b32_e32 v1, 16, v10
	s_mov_b32 s43, exec_lo
	s_delay_alu instid0(VALU_DEP_1) | instskip(NEXT) | instid1(VALU_DEP_1)
	v_and_b32_e32 v63, 0xff, v1
	v_cmpx_ne_u16_e32 0, v63
	s_cbranch_execz .LBB284_331
; %bb.324:                              ;   in Loop: Header=BB284_16 Depth=1
	v_mov_b32_e32 v62, 0x8000
	s_mov_b32 s44, exec_lo
	v_cmpx_ne_u16_e32 0x80, v63
	s_cbranch_execz .LBB284_330
; %bb.325:                              ;   in Loop: Header=BB284_16 Depth=1
	v_bfe_u32 v64, v10, 16, 7
	v_mov_b32_e32 v62, 0x7c01
	s_mov_b32 s45, exec_lo
	s_delay_alu instid0(VALU_DEP_2)
	v_cmpx_ne_u32_e32 0x7f, v64
	s_cbranch_execz .LBB284_329
; %bb.326:                              ;   in Loop: Header=BB284_16 Depth=1
	v_and_b32_e32 v62, 7, v1
	v_lshrrev_b32_e32 v63, 3, v64
	s_mov_b32 s46, exec_lo
	v_cmpx_gt_u32_e32 8, v64
; %bb.327:                              ;   in Loop: Header=BB284_16 Depth=1
	s_delay_alu instid0(VALU_DEP_3) | instskip(NEXT) | instid1(VALU_DEP_1)
	v_clz_i32_u32_e32 v62, v62
	v_min_u32_e32 v64, 32, v62
	s_delay_alu instid0(VALU_DEP_1) | instskip(NEXT) | instid1(VALU_DEP_1)
	v_subrev_nc_u32_e32 v62, 28, v64
	v_lshlrev_b64_e32 v[62:63], v62, v[1:2]
	v_sub_nc_u32_e32 v63, 29, v64
	s_delay_alu instid0(VALU_DEP_2)
	v_and_b32_e32 v62, 7, v62
; %bb.328:                              ;   in Loop: Header=BB284_16 Depth=1
	s_or_b32 exec_lo, exec_lo, s46
	v_lshlrev_b32_e32 v1, 8, v1
	s_delay_alu instid0(VALU_DEP_3) | instskip(NEXT) | instid1(VALU_DEP_3)
	v_lshl_add_u32 v63, v63, 10, 0x2000
	v_lshlrev_b32_e32 v62, 7, v62
	s_delay_alu instid0(VALU_DEP_3) | instskip(NEXT) | instid1(VALU_DEP_3)
	v_and_b32_e32 v1, 0x8000, v1
	v_and_b32_e32 v63, 0xfc00, v63
	s_delay_alu instid0(VALU_DEP_1)
	v_or3_b32 v62, v1, v63, v62
.LBB284_329:                            ;   in Loop: Header=BB284_16 Depth=1
	s_wait_alu 0xfffe
	s_or_b32 exec_lo, exec_lo, s45
.LBB284_330:                            ;   in Loop: Header=BB284_16 Depth=1
	s_wait_alu 0xfffe
	s_or_b32 exec_lo, exec_lo, s44
.LBB284_331:                            ;   in Loop: Header=BB284_16 Depth=1
	s_wait_alu 0xfffe
	s_or_b32 exec_lo, exec_lo, s43
	v_dual_mov_b32 v64, 0 :: v_dual_mov_b32 v63, 0
	s_mov_b32 s43, exec_lo
	v_cmpx_lt_u64_e64 s[14:15], v[9:10]
	s_cbranch_execz .LBB284_339
; %bb.332:                              ;   in Loop: Header=BB284_16 Depth=1
	v_lshrrev_b32_e32 v1, 24, v10
	v_bfrev_b32_e32 v63, 1
	s_mov_b32 s44, exec_lo
	s_delay_alu instid0(VALU_DEP_2)
	v_cmpx_ne_u32_e32 0x80, v1
	s_cbranch_execz .LBB284_338
; %bb.333:                              ;   in Loop: Header=BB284_16 Depth=1
	v_and_b32_e32 v65, 0x7f, v1
	v_mov_b32_e32 v63, 0x7c010000
	s_mov_b32 s45, exec_lo
	s_delay_alu instid0(VALU_DEP_2)
	v_cmpx_ne_u32_e32 0x7f, v65
	s_cbranch_execz .LBB284_337
; %bb.334:                              ;   in Loop: Header=BB284_16 Depth=1
	v_and_b32_e32 v9, 7, v1
	v_lshrrev_b32_e32 v10, 3, v65
	s_mov_b32 s46, exec_lo
	v_cmpx_gt_u32_e32 8, v65
; %bb.335:                              ;   in Loop: Header=BB284_16 Depth=1
	s_delay_alu instid0(VALU_DEP_3) | instskip(NEXT) | instid1(VALU_DEP_1)
	v_clz_i32_u32_e32 v9, v9
	v_min_u32_e32 v63, 32, v9
	s_delay_alu instid0(VALU_DEP_1) | instskip(NEXT) | instid1(VALU_DEP_1)
	v_subrev_nc_u32_e32 v9, 28, v63
	v_lshlrev_b64_e32 v[9:10], v9, v[1:2]
	v_sub_nc_u32_e32 v10, 29, v63
	s_delay_alu instid0(VALU_DEP_2)
	v_and_b32_e32 v9, 7, v9
; %bb.336:                              ;   in Loop: Header=BB284_16 Depth=1
	s_or_b32 exec_lo, exec_lo, s46
	v_lshlrev_b32_e32 v1, 8, v1
	s_delay_alu instid0(VALU_DEP_3) | instskip(NEXT) | instid1(VALU_DEP_3)
	v_lshl_add_u32 v10, v10, 10, 0x2000
	v_lshlrev_b32_e32 v9, 23, v9
	s_delay_alu instid0(VALU_DEP_2) | instskip(NEXT) | instid1(VALU_DEP_1)
	v_and_or_b32 v1, 0x8000, v1, v10
	v_lshl_or_b32 v63, v1, 16, v9
.LBB284_337:                            ;   in Loop: Header=BB284_16 Depth=1
	s_wait_alu 0xfffe
	s_or_b32 exec_lo, exec_lo, s45
.LBB284_338:                            ;   in Loop: Header=BB284_16 Depth=1
	s_wait_alu 0xfffe
	s_or_b32 exec_lo, exec_lo, s44
.LBB284_339:                            ;   in Loop: Header=BB284_16 Depth=1
	s_wait_alu 0xfffe
	s_or_b32 exec_lo, exec_lo, s43
	global_load_b64 v[9:10], v[7:8], off offset:1032
	s_mov_b32 s43, exec_lo
	s_wait_loadcnt 0x0
	v_and_b32_e32 v1, 0xff, v9
	s_delay_alu instid0(VALU_DEP_1)
	v_cmpx_ne_u16_e32 0, v1
	s_cbranch_execz .LBB284_347
; %bb.340:                              ;   in Loop: Header=BB284_16 Depth=1
	v_mov_b32_e32 v64, 0x8000
	s_mov_b32 s44, exec_lo
	v_cmpx_ne_u16_e32 0x80, v1
	s_cbranch_execz .LBB284_346
; %bb.341:                              ;   in Loop: Header=BB284_16 Depth=1
	v_and_b32_e32 v65, 0x7f, v9
	v_mov_b32_e32 v64, 0x7c01
	s_mov_b32 s45, exec_lo
	s_delay_alu instid0(VALU_DEP_2)
	v_cmpx_ne_u32_e32 0x7f, v65
	s_cbranch_execz .LBB284_345
; %bb.342:                              ;   in Loop: Header=BB284_16 Depth=1
	v_and_b32_e32 v1, 7, v9
	v_lshrrev_b32_e32 v64, 3, v65
	s_mov_b32 s46, exec_lo
	v_cmpx_gt_u32_e32 8, v65
; %bb.343:                              ;   in Loop: Header=BB284_16 Depth=1
	s_delay_alu instid0(VALU_DEP_3) | instskip(NEXT) | instid1(VALU_DEP_1)
	v_clz_i32_u32_e32 v1, v1
	v_min_u32_e32 v1, 32, v1
	s_delay_alu instid0(VALU_DEP_1) | instskip(NEXT) | instid1(VALU_DEP_1)
	v_subrev_nc_u32_e32 v64, 28, v1
	v_lshlrev_b64_e32 v[65:66], v64, v[9:10]
	v_sub_nc_u32_e32 v64, 29, v1
	s_delay_alu instid0(VALU_DEP_2)
	v_and_b32_e32 v1, 7, v65
; %bb.344:                              ;   in Loop: Header=BB284_16 Depth=1
	s_or_b32 exec_lo, exec_lo, s46
	v_lshlrev_b32_e32 v65, 8, v9
	s_delay_alu instid0(VALU_DEP_3) | instskip(NEXT) | instid1(VALU_DEP_3)
	v_lshl_add_u32 v64, v64, 10, 0x2000
	v_lshlrev_b32_e32 v1, 7, v1
	s_delay_alu instid0(VALU_DEP_3) | instskip(NEXT) | instid1(VALU_DEP_3)
	v_and_b32_e32 v65, 0x8000, v65
	v_and_b32_e32 v64, 0xfc00, v64
	s_delay_alu instid0(VALU_DEP_1)
	v_or3_b32 v64, v65, v64, v1
.LBB284_345:                            ;   in Loop: Header=BB284_16 Depth=1
	s_wait_alu 0xfffe
	s_or_b32 exec_lo, exec_lo, s45
.LBB284_346:                            ;   in Loop: Header=BB284_16 Depth=1
	s_wait_alu 0xfffe
	s_or_b32 exec_lo, exec_lo, s44
.LBB284_347:                            ;   in Loop: Header=BB284_16 Depth=1
	s_wait_alu 0xfffe
	s_or_b32 exec_lo, exec_lo, s43
	v_lshrrev_b16 v1, 8, v9
	v_dual_mov_b32 v70, 0 :: v_dual_mov_b32 v65, 0
	s_mov_b32 s43, exec_lo
	s_delay_alu instid0(VALU_DEP_2)
	v_cmpx_ne_u16_e32 0, v1
	s_cbranch_execz .LBB284_355
; %bb.348:                              ;   in Loop: Header=BB284_16 Depth=1
	v_bfrev_b32_e32 v65, 1
	s_mov_b32 s44, exec_lo
	v_cmpx_ne_u16_e32 0x80, v1
	s_cbranch_execz .LBB284_354
; %bb.349:                              ;   in Loop: Header=BB284_16 Depth=1
	v_and_b32_e32 v66, 0xffff, v1
	v_mov_b32_e32 v65, 0x7c010000
	s_mov_b32 s45, exec_lo
	s_delay_alu instid0(VALU_DEP_2) | instskip(NEXT) | instid1(VALU_DEP_1)
	v_and_b32_e32 v68, 0x7f, v66
	v_cmpx_ne_u32_e32 0x7f, v68
	s_cbranch_execz .LBB284_353
; %bb.350:                              ;   in Loop: Header=BB284_16 Depth=1
	v_and_b32_e32 v65, 7, v66
	v_lshrrev_b32_e32 v67, 3, v68
	s_mov_b32 s46, exec_lo
	v_cmpx_gt_u32_e32 8, v68
; %bb.351:                              ;   in Loop: Header=BB284_16 Depth=1
	s_delay_alu instid0(VALU_DEP_3) | instskip(NEXT) | instid1(VALU_DEP_1)
	v_clz_i32_u32_e32 v65, v65
	v_min_u32_e32 v65, 32, v65
	s_delay_alu instid0(VALU_DEP_1) | instskip(NEXT) | instid1(VALU_DEP_1)
	v_subrev_nc_u32_e32 v67, 28, v65
	v_lshlrev_b64_e32 v[68:69], v67, v[1:2]
	v_sub_nc_u32_e32 v67, 29, v65
	s_delay_alu instid0(VALU_DEP_2)
	v_and_b32_e32 v65, 7, v68
; %bb.352:                              ;   in Loop: Header=BB284_16 Depth=1
	s_or_b32 exec_lo, exec_lo, s46
	v_lshlrev_b32_e32 v1, 8, v66
	s_delay_alu instid0(VALU_DEP_3) | instskip(NEXT) | instid1(VALU_DEP_3)
	v_lshl_add_u32 v66, v67, 10, 0x2000
	v_lshlrev_b32_e32 v65, 23, v65
	s_delay_alu instid0(VALU_DEP_2) | instskip(NEXT) | instid1(VALU_DEP_1)
	v_and_or_b32 v1, 0x8000, v1, v66
	v_lshl_or_b32 v65, v1, 16, v65
.LBB284_353:                            ;   in Loop: Header=BB284_16 Depth=1
	s_wait_alu 0xfffe
	s_or_b32 exec_lo, exec_lo, s45
.LBB284_354:                            ;   in Loop: Header=BB284_16 Depth=1
	s_wait_alu 0xfffe
	s_or_b32 exec_lo, exec_lo, s44
.LBB284_355:                            ;   in Loop: Header=BB284_16 Depth=1
	s_wait_alu 0xfffe
	s_or_b32 exec_lo, exec_lo, s43
	v_lshrrev_b32_e32 v1, 16, v9
	s_mov_b32 s43, exec_lo
	s_delay_alu instid0(VALU_DEP_1) | instskip(NEXT) | instid1(VALU_DEP_1)
	v_and_b32_e32 v66, 0xff, v1
	v_cmpx_ne_u16_e32 0, v66
	s_cbranch_execz .LBB284_363
; %bb.356:                              ;   in Loop: Header=BB284_16 Depth=1
	v_mov_b32_e32 v70, 0x8000
	s_mov_b32 s44, exec_lo
	v_cmpx_ne_u16_e32 0x80, v66
	s_cbranch_execz .LBB284_362
; %bb.357:                              ;   in Loop: Header=BB284_16 Depth=1
	v_bfe_u32 v68, v9, 16, 7
	v_mov_b32_e32 v70, 0x7c01
	s_mov_b32 s45, exec_lo
	s_delay_alu instid0(VALU_DEP_2)
	v_cmpx_ne_u32_e32 0x7f, v68
	s_cbranch_execz .LBB284_361
; %bb.358:                              ;   in Loop: Header=BB284_16 Depth=1
	v_and_b32_e32 v66, 7, v1
	v_lshrrev_b32_e32 v67, 3, v68
	s_mov_b32 s46, exec_lo
	v_cmpx_gt_u32_e32 8, v68
; %bb.359:                              ;   in Loop: Header=BB284_16 Depth=1
	s_delay_alu instid0(VALU_DEP_3) | instskip(NEXT) | instid1(VALU_DEP_1)
	v_clz_i32_u32_e32 v66, v66
	v_min_u32_e32 v68, 32, v66
	s_delay_alu instid0(VALU_DEP_1) | instskip(NEXT) | instid1(VALU_DEP_1)
	v_subrev_nc_u32_e32 v66, 28, v68
	v_lshlrev_b64_e32 v[66:67], v66, v[1:2]
	v_sub_nc_u32_e32 v67, 29, v68
	s_delay_alu instid0(VALU_DEP_2)
	v_and_b32_e32 v66, 7, v66
; %bb.360:                              ;   in Loop: Header=BB284_16 Depth=1
	s_or_b32 exec_lo, exec_lo, s46
	v_lshlrev_b32_e32 v1, 8, v1
	s_delay_alu instid0(VALU_DEP_3) | instskip(NEXT) | instid1(VALU_DEP_3)
	v_lshl_add_u32 v67, v67, 10, 0x2000
	v_lshlrev_b32_e32 v66, 7, v66
	s_delay_alu instid0(VALU_DEP_3) | instskip(NEXT) | instid1(VALU_DEP_3)
	v_and_b32_e32 v1, 0x8000, v1
	v_and_b32_e32 v67, 0xfc00, v67
	s_delay_alu instid0(VALU_DEP_1)
	v_or3_b32 v70, v1, v67, v66
.LBB284_361:                            ;   in Loop: Header=BB284_16 Depth=1
	s_wait_alu 0xfffe
	s_or_b32 exec_lo, exec_lo, s45
.LBB284_362:                            ;   in Loop: Header=BB284_16 Depth=1
	s_wait_alu 0xfffe
	s_or_b32 exec_lo, exec_lo, s44
.LBB284_363:                            ;   in Loop: Header=BB284_16 Depth=1
	s_wait_alu 0xfffe
	s_or_b32 exec_lo, exec_lo, s43
	v_dual_mov_b32 v68, 0 :: v_dual_mov_b32 v69, 0
	s_mov_b32 s43, exec_lo
	v_cmpx_lt_u32_e32 0xffffff, v9
	s_cbranch_execz .LBB284_371
; %bb.364:                              ;   in Loop: Header=BB284_16 Depth=1
	v_lshrrev_b32_e32 v1, 24, v9
	v_bfrev_b32_e32 v69, 1
	s_mov_b32 s44, exec_lo
	s_delay_alu instid0(VALU_DEP_2)
	v_cmpx_ne_u32_e32 0x80, v1
	s_cbranch_execz .LBB284_370
; %bb.365:                              ;   in Loop: Header=BB284_16 Depth=1
	v_and_b32_e32 v71, 0x7f, v1
	v_mov_b32_e32 v69, 0x7c010000
	s_mov_b32 s45, exec_lo
	s_delay_alu instid0(VALU_DEP_2)
	v_cmpx_ne_u32_e32 0x7f, v71
	s_cbranch_execz .LBB284_369
; %bb.366:                              ;   in Loop: Header=BB284_16 Depth=1
	v_and_b32_e32 v66, 7, v1
	v_lshrrev_b32_e32 v67, 3, v71
	s_mov_b32 s46, exec_lo
	v_cmpx_gt_u32_e32 8, v71
; %bb.367:                              ;   in Loop: Header=BB284_16 Depth=1
	s_delay_alu instid0(VALU_DEP_3) | instskip(NEXT) | instid1(VALU_DEP_1)
	v_clz_i32_u32_e32 v66, v66
	v_min_u32_e32 v69, 32, v66
	s_delay_alu instid0(VALU_DEP_1) | instskip(NEXT) | instid1(VALU_DEP_1)
	v_subrev_nc_u32_e32 v66, 28, v69
	v_lshlrev_b64_e32 v[66:67], v66, v[1:2]
	v_sub_nc_u32_e32 v67, 29, v69
	s_delay_alu instid0(VALU_DEP_2)
	v_and_b32_e32 v66, 7, v66
; %bb.368:                              ;   in Loop: Header=BB284_16 Depth=1
	s_or_b32 exec_lo, exec_lo, s46
	v_lshlrev_b32_e32 v1, 8, v1
	s_delay_alu instid0(VALU_DEP_3) | instskip(NEXT) | instid1(VALU_DEP_3)
	v_lshl_add_u32 v67, v67, 10, 0x2000
	v_lshlrev_b32_e32 v66, 23, v66
	s_delay_alu instid0(VALU_DEP_2) | instskip(NEXT) | instid1(VALU_DEP_1)
	v_and_or_b32 v1, 0x8000, v1, v67
	v_lshl_or_b32 v69, v1, 16, v66
.LBB284_369:                            ;   in Loop: Header=BB284_16 Depth=1
	s_wait_alu 0xfffe
	s_or_b32 exec_lo, exec_lo, s45
.LBB284_370:                            ;   in Loop: Header=BB284_16 Depth=1
	s_wait_alu 0xfffe
	s_or_b32 exec_lo, exec_lo, s44
.LBB284_371:                            ;   in Loop: Header=BB284_16 Depth=1
	s_wait_alu 0xfffe
	s_or_b32 exec_lo, exec_lo, s43
	v_dual_mov_b32 v1, v10 :: v_dual_and_b32 v66, 0xff, v10
	s_mov_b32 s43, exec_lo
	s_delay_alu instid0(VALU_DEP_1)
	v_cmpx_ne_u16_e32 0, v66
	s_cbranch_execz .LBB284_379
; %bb.372:                              ;   in Loop: Header=BB284_16 Depth=1
	v_mov_b32_e32 v68, 0x8000
	s_mov_b32 s44, exec_lo
	v_cmpx_ne_u16_e32 0x80, v66
	s_cbranch_execz .LBB284_378
; %bb.373:                              ;   in Loop: Header=BB284_16 Depth=1
	v_and_b32_e32 v71, 0x7f, v10
	v_mov_b32_e32 v68, 0x7c01
	s_mov_b32 s45, exec_lo
	s_delay_alu instid0(VALU_DEP_2)
	v_cmpx_ne_u32_e32 0x7f, v71
	s_cbranch_execz .LBB284_377
; %bb.374:                              ;   in Loop: Header=BB284_16 Depth=1
	v_and_b32_e32 v66, 7, v10
	v_lshrrev_b32_e32 v67, 3, v71
	s_mov_b32 s46, exec_lo
	v_cmpx_gt_u32_e32 8, v71
; %bb.375:                              ;   in Loop: Header=BB284_16 Depth=1
	s_delay_alu instid0(VALU_DEP_3) | instskip(NEXT) | instid1(VALU_DEP_1)
	v_clz_i32_u32_e32 v66, v66
	v_min_u32_e32 v68, 32, v66
	s_delay_alu instid0(VALU_DEP_1) | instskip(NEXT) | instid1(VALU_DEP_1)
	v_subrev_nc_u32_e32 v66, 28, v68
	v_lshlrev_b64_e32 v[66:67], v66, v[1:2]
	v_sub_nc_u32_e32 v67, 29, v68
	s_delay_alu instid0(VALU_DEP_2)
	v_and_b32_e32 v66, 7, v66
; %bb.376:                              ;   in Loop: Header=BB284_16 Depth=1
	s_or_b32 exec_lo, exec_lo, s46
	v_lshlrev_b32_e32 v68, 8, v10
	s_delay_alu instid0(VALU_DEP_3) | instskip(NEXT) | instid1(VALU_DEP_3)
	v_lshl_add_u32 v67, v67, 10, 0x2000
	v_lshlrev_b32_e32 v66, 7, v66
	s_delay_alu instid0(VALU_DEP_3) | instskip(NEXT) | instid1(VALU_DEP_3)
	v_and_b32_e32 v68, 0x8000, v68
	v_and_b32_e32 v67, 0xfc00, v67
	s_delay_alu instid0(VALU_DEP_1)
	v_or3_b32 v68, v68, v67, v66
.LBB284_377:                            ;   in Loop: Header=BB284_16 Depth=1
	s_wait_alu 0xfffe
	s_or_b32 exec_lo, exec_lo, s45
.LBB284_378:                            ;   in Loop: Header=BB284_16 Depth=1
	s_wait_alu 0xfffe
	s_or_b32 exec_lo, exec_lo, s44
.LBB284_379:                            ;   in Loop: Header=BB284_16 Depth=1
	s_wait_alu 0xfffe
	s_or_b32 exec_lo, exec_lo, s43
	v_lshrrev_b16 v1, 8, v1
	v_dual_mov_b32 v67, 0 :: v_dual_mov_b32 v66, 0
	s_mov_b32 s43, exec_lo
	s_delay_alu instid0(VALU_DEP_2)
	v_cmpx_ne_u16_e32 0, v1
	s_cbranch_execz .LBB284_387
; %bb.380:                              ;   in Loop: Header=BB284_16 Depth=1
	v_bfrev_b32_e32 v66, 1
	s_mov_b32 s44, exec_lo
	v_cmpx_ne_u16_e32 0x80, v1
	s_cbranch_execz .LBB284_386
; %bb.381:                              ;   in Loop: Header=BB284_16 Depth=1
	v_and_b32_e32 v71, 0xffff, v1
	v_mov_b32_e32 v66, 0x7c010000
	s_mov_b32 s45, exec_lo
	s_delay_alu instid0(VALU_DEP_2) | instskip(NEXT) | instid1(VALU_DEP_1)
	v_and_b32_e32 v73, 0x7f, v71
	v_cmpx_ne_u32_e32 0x7f, v73
	s_cbranch_execz .LBB284_385
; %bb.382:                              ;   in Loop: Header=BB284_16 Depth=1
	v_and_b32_e32 v66, 7, v71
	v_lshrrev_b32_e32 v72, 3, v73
	s_mov_b32 s46, exec_lo
	v_cmpx_gt_u32_e32 8, v73
; %bb.383:                              ;   in Loop: Header=BB284_16 Depth=1
	s_delay_alu instid0(VALU_DEP_3) | instskip(NEXT) | instid1(VALU_DEP_1)
	v_clz_i32_u32_e32 v66, v66
	v_min_u32_e32 v66, 32, v66
	s_delay_alu instid0(VALU_DEP_1) | instskip(NEXT) | instid1(VALU_DEP_1)
	v_subrev_nc_u32_e32 v72, 28, v66
	v_lshlrev_b64_e32 v[73:74], v72, v[1:2]
	v_sub_nc_u32_e32 v72, 29, v66
	s_delay_alu instid0(VALU_DEP_2)
	v_and_b32_e32 v66, 7, v73
; %bb.384:                              ;   in Loop: Header=BB284_16 Depth=1
	s_or_b32 exec_lo, exec_lo, s46
	v_lshlrev_b32_e32 v1, 8, v71
	s_delay_alu instid0(VALU_DEP_3) | instskip(NEXT) | instid1(VALU_DEP_3)
	v_lshl_add_u32 v71, v72, 10, 0x2000
	v_lshlrev_b32_e32 v66, 23, v66
	s_delay_alu instid0(VALU_DEP_2) | instskip(NEXT) | instid1(VALU_DEP_1)
	v_and_or_b32 v1, 0x8000, v1, v71
	v_lshl_or_b32 v66, v1, 16, v66
.LBB284_385:                            ;   in Loop: Header=BB284_16 Depth=1
	s_wait_alu 0xfffe
	s_or_b32 exec_lo, exec_lo, s45
.LBB284_386:                            ;   in Loop: Header=BB284_16 Depth=1
	s_wait_alu 0xfffe
	s_or_b32 exec_lo, exec_lo, s44
.LBB284_387:                            ;   in Loop: Header=BB284_16 Depth=1
	s_wait_alu 0xfffe
	s_or_b32 exec_lo, exec_lo, s43
	v_lshrrev_b32_e32 v1, 16, v10
	s_mov_b32 s43, exec_lo
	s_delay_alu instid0(VALU_DEP_1) | instskip(NEXT) | instid1(VALU_DEP_1)
	v_and_b32_e32 v71, 0xff, v1
	v_cmpx_ne_u16_e32 0, v71
	s_cbranch_execz .LBB284_395
; %bb.388:                              ;   in Loop: Header=BB284_16 Depth=1
	v_mov_b32_e32 v67, 0x8000
	s_mov_b32 s44, exec_lo
	v_cmpx_ne_u16_e32 0x80, v71
	s_cbranch_execz .LBB284_394
; %bb.389:                              ;   in Loop: Header=BB284_16 Depth=1
	v_bfe_u32 v72, v10, 16, 7
	v_mov_b32_e32 v67, 0x7c01
	s_mov_b32 s45, exec_lo
	s_delay_alu instid0(VALU_DEP_2)
	v_cmpx_ne_u32_e32 0x7f, v72
	s_cbranch_execz .LBB284_393
; %bb.390:                              ;   in Loop: Header=BB284_16 Depth=1
	v_and_b32_e32 v67, 7, v1
	v_lshrrev_b32_e32 v71, 3, v72
	s_mov_b32 s46, exec_lo
	v_cmpx_gt_u32_e32 8, v72
; %bb.391:                              ;   in Loop: Header=BB284_16 Depth=1
	s_delay_alu instid0(VALU_DEP_3) | instskip(NEXT) | instid1(VALU_DEP_1)
	v_clz_i32_u32_e32 v67, v67
	v_min_u32_e32 v67, 32, v67
	s_delay_alu instid0(VALU_DEP_1) | instskip(NEXT) | instid1(VALU_DEP_1)
	v_subrev_nc_u32_e32 v71, 28, v67
	v_lshlrev_b64_e32 v[72:73], v71, v[1:2]
	v_sub_nc_u32_e32 v71, 29, v67
	s_delay_alu instid0(VALU_DEP_2)
	v_and_b32_e32 v67, 7, v72
; %bb.392:                              ;   in Loop: Header=BB284_16 Depth=1
	s_or_b32 exec_lo, exec_lo, s46
	v_lshlrev_b32_e32 v1, 8, v1
	s_delay_alu instid0(VALU_DEP_3) | instskip(NEXT) | instid1(VALU_DEP_3)
	v_lshl_add_u32 v71, v71, 10, 0x2000
	v_lshlrev_b32_e32 v67, 7, v67
	s_delay_alu instid0(VALU_DEP_3) | instskip(NEXT) | instid1(VALU_DEP_3)
	v_and_b32_e32 v1, 0x8000, v1
	v_and_b32_e32 v71, 0xfc00, v71
	s_delay_alu instid0(VALU_DEP_1)
	v_or3_b32 v67, v1, v71, v67
.LBB284_393:                            ;   in Loop: Header=BB284_16 Depth=1
	s_wait_alu 0xfffe
	s_or_b32 exec_lo, exec_lo, s45
.LBB284_394:                            ;   in Loop: Header=BB284_16 Depth=1
	s_wait_alu 0xfffe
	s_or_b32 exec_lo, exec_lo, s44
.LBB284_395:                            ;   in Loop: Header=BB284_16 Depth=1
	s_wait_alu 0xfffe
	s_or_b32 exec_lo, exec_lo, s43
	v_dual_mov_b32 v72, 0 :: v_dual_mov_b32 v71, 0
	s_mov_b32 s43, exec_lo
	v_cmpx_lt_u64_e64 s[14:15], v[9:10]
	s_cbranch_execz .LBB284_403
; %bb.396:                              ;   in Loop: Header=BB284_16 Depth=1
	v_lshrrev_b32_e32 v1, 24, v10
	v_bfrev_b32_e32 v71, 1
	s_mov_b32 s44, exec_lo
	s_delay_alu instid0(VALU_DEP_2)
	v_cmpx_ne_u32_e32 0x80, v1
	s_cbranch_execz .LBB284_402
; %bb.397:                              ;   in Loop: Header=BB284_16 Depth=1
	v_and_b32_e32 v73, 0x7f, v1
	v_mov_b32_e32 v71, 0x7c010000
	s_mov_b32 s45, exec_lo
	s_delay_alu instid0(VALU_DEP_2)
	v_cmpx_ne_u32_e32 0x7f, v73
	s_cbranch_execz .LBB284_401
; %bb.398:                              ;   in Loop: Header=BB284_16 Depth=1
	v_and_b32_e32 v9, 7, v1
	v_lshrrev_b32_e32 v10, 3, v73
	s_mov_b32 s46, exec_lo
	v_cmpx_gt_u32_e32 8, v73
; %bb.399:                              ;   in Loop: Header=BB284_16 Depth=1
	s_delay_alu instid0(VALU_DEP_3) | instskip(NEXT) | instid1(VALU_DEP_1)
	v_clz_i32_u32_e32 v9, v9
	v_min_u32_e32 v71, 32, v9
	s_delay_alu instid0(VALU_DEP_1) | instskip(NEXT) | instid1(VALU_DEP_1)
	v_subrev_nc_u32_e32 v9, 28, v71
	v_lshlrev_b64_e32 v[9:10], v9, v[1:2]
	v_sub_nc_u32_e32 v10, 29, v71
	s_delay_alu instid0(VALU_DEP_2)
	v_and_b32_e32 v9, 7, v9
; %bb.400:                              ;   in Loop: Header=BB284_16 Depth=1
	s_or_b32 exec_lo, exec_lo, s46
	v_lshlrev_b32_e32 v1, 8, v1
	s_delay_alu instid0(VALU_DEP_3) | instskip(NEXT) | instid1(VALU_DEP_3)
	v_lshl_add_u32 v10, v10, 10, 0x2000
	v_lshlrev_b32_e32 v9, 23, v9
	s_delay_alu instid0(VALU_DEP_2) | instskip(NEXT) | instid1(VALU_DEP_1)
	v_and_or_b32 v1, 0x8000, v1, v10
	v_lshl_or_b32 v71, v1, 16, v9
.LBB284_401:                            ;   in Loop: Header=BB284_16 Depth=1
	s_wait_alu 0xfffe
	s_or_b32 exec_lo, exec_lo, s45
.LBB284_402:                            ;   in Loop: Header=BB284_16 Depth=1
	s_wait_alu 0xfffe
	s_or_b32 exec_lo, exec_lo, s44
.LBB284_403:                            ;   in Loop: Header=BB284_16 Depth=1
	s_wait_alu 0xfffe
	s_or_b32 exec_lo, exec_lo, s43
	global_load_b64 v[9:10], v[7:8], off offset:1536
	s_mov_b32 s43, exec_lo
	s_wait_loadcnt 0x0
	v_and_b32_e32 v1, 0xff, v9
	s_delay_alu instid0(VALU_DEP_1)
	v_cmpx_ne_u16_e32 0, v1
	s_cbranch_execz .LBB284_411
; %bb.404:                              ;   in Loop: Header=BB284_16 Depth=1
	v_mov_b32_e32 v72, 0x8000
	s_mov_b32 s44, exec_lo
	v_cmpx_ne_u16_e32 0x80, v1
	s_cbranch_execz .LBB284_410
; %bb.405:                              ;   in Loop: Header=BB284_16 Depth=1
	v_and_b32_e32 v73, 0x7f, v9
	v_mov_b32_e32 v72, 0x7c01
	s_mov_b32 s45, exec_lo
	s_delay_alu instid0(VALU_DEP_2)
	v_cmpx_ne_u32_e32 0x7f, v73
	s_cbranch_execz .LBB284_409
; %bb.406:                              ;   in Loop: Header=BB284_16 Depth=1
	v_and_b32_e32 v1, 7, v9
	v_lshrrev_b32_e32 v72, 3, v73
	s_mov_b32 s46, exec_lo
	v_cmpx_gt_u32_e32 8, v73
; %bb.407:                              ;   in Loop: Header=BB284_16 Depth=1
	s_delay_alu instid0(VALU_DEP_3) | instskip(NEXT) | instid1(VALU_DEP_1)
	v_clz_i32_u32_e32 v1, v1
	v_min_u32_e32 v1, 32, v1
	s_delay_alu instid0(VALU_DEP_1) | instskip(NEXT) | instid1(VALU_DEP_1)
	v_subrev_nc_u32_e32 v72, 28, v1
	v_lshlrev_b64_e32 v[73:74], v72, v[9:10]
	v_sub_nc_u32_e32 v72, 29, v1
	s_delay_alu instid0(VALU_DEP_2)
	v_and_b32_e32 v1, 7, v73
; %bb.408:                              ;   in Loop: Header=BB284_16 Depth=1
	s_or_b32 exec_lo, exec_lo, s46
	v_lshlrev_b32_e32 v73, 8, v9
	s_delay_alu instid0(VALU_DEP_3) | instskip(NEXT) | instid1(VALU_DEP_3)
	v_lshl_add_u32 v72, v72, 10, 0x2000
	v_lshlrev_b32_e32 v1, 7, v1
	s_delay_alu instid0(VALU_DEP_3) | instskip(NEXT) | instid1(VALU_DEP_3)
	v_and_b32_e32 v73, 0x8000, v73
	v_and_b32_e32 v72, 0xfc00, v72
	s_delay_alu instid0(VALU_DEP_1)
	v_or3_b32 v72, v73, v72, v1
.LBB284_409:                            ;   in Loop: Header=BB284_16 Depth=1
	s_wait_alu 0xfffe
	s_or_b32 exec_lo, exec_lo, s45
.LBB284_410:                            ;   in Loop: Header=BB284_16 Depth=1
	s_wait_alu 0xfffe
	s_or_b32 exec_lo, exec_lo, s44
.LBB284_411:                            ;   in Loop: Header=BB284_16 Depth=1
	s_wait_alu 0xfffe
	s_or_b32 exec_lo, exec_lo, s43
	v_lshrrev_b16 v1, 8, v9
	v_mov_b32_e32 v79, 0
	v_mov_b32_e32 v73, 0
	s_mov_b32 s43, exec_lo
	s_delay_alu instid0(VALU_DEP_3)
	v_cmpx_ne_u16_e32 0, v1
	s_cbranch_execz .LBB284_419
; %bb.412:                              ;   in Loop: Header=BB284_16 Depth=1
	v_bfrev_b32_e32 v73, 1
	s_mov_b32 s44, exec_lo
	v_cmpx_ne_u16_e32 0x80, v1
	s_cbranch_execz .LBB284_418
; %bb.413:                              ;   in Loop: Header=BB284_16 Depth=1
	v_and_b32_e32 v74, 0xffff, v1
	v_mov_b32_e32 v73, 0x7c010000
	s_mov_b32 s45, exec_lo
	s_delay_alu instid0(VALU_DEP_2) | instskip(NEXT) | instid1(VALU_DEP_1)
	v_and_b32_e32 v76, 0x7f, v74
	v_cmpx_ne_u32_e32 0x7f, v76
	s_cbranch_execz .LBB284_417
; %bb.414:                              ;   in Loop: Header=BB284_16 Depth=1
	v_and_b32_e32 v73, 7, v74
	v_lshrrev_b32_e32 v75, 3, v76
	s_mov_b32 s46, exec_lo
	v_cmpx_gt_u32_e32 8, v76
; %bb.415:                              ;   in Loop: Header=BB284_16 Depth=1
	s_delay_alu instid0(VALU_DEP_3) | instskip(NEXT) | instid1(VALU_DEP_1)
	v_clz_i32_u32_e32 v73, v73
	v_min_u32_e32 v73, 32, v73
	s_delay_alu instid0(VALU_DEP_1) | instskip(NEXT) | instid1(VALU_DEP_1)
	v_subrev_nc_u32_e32 v75, 28, v73
	v_lshlrev_b64_e32 v[76:77], v75, v[1:2]
	v_sub_nc_u32_e32 v75, 29, v73
	s_delay_alu instid0(VALU_DEP_2)
	v_and_b32_e32 v73, 7, v76
; %bb.416:                              ;   in Loop: Header=BB284_16 Depth=1
	s_or_b32 exec_lo, exec_lo, s46
	v_lshlrev_b32_e32 v1, 8, v74
	s_delay_alu instid0(VALU_DEP_3) | instskip(NEXT) | instid1(VALU_DEP_3)
	v_lshl_add_u32 v74, v75, 10, 0x2000
	v_lshlrev_b32_e32 v73, 23, v73
	s_delay_alu instid0(VALU_DEP_2) | instskip(NEXT) | instid1(VALU_DEP_1)
	v_and_or_b32 v1, 0x8000, v1, v74
	v_lshl_or_b32 v73, v1, 16, v73
.LBB284_417:                            ;   in Loop: Header=BB284_16 Depth=1
	s_wait_alu 0xfffe
	s_or_b32 exec_lo, exec_lo, s45
.LBB284_418:                            ;   in Loop: Header=BB284_16 Depth=1
	s_wait_alu 0xfffe
	s_or_b32 exec_lo, exec_lo, s44
.LBB284_419:                            ;   in Loop: Header=BB284_16 Depth=1
	s_wait_alu 0xfffe
	s_or_b32 exec_lo, exec_lo, s43
	v_lshrrev_b32_e32 v1, 16, v9
	s_mov_b32 s43, exec_lo
	s_delay_alu instid0(VALU_DEP_1) | instskip(NEXT) | instid1(VALU_DEP_1)
	v_and_b32_e32 v74, 0xff, v1
	v_cmpx_ne_u16_e32 0, v74
	s_cbranch_execz .LBB284_427
; %bb.420:                              ;   in Loop: Header=BB284_16 Depth=1
	v_mov_b32_e32 v79, 0x8000
	s_mov_b32 s44, exec_lo
	v_cmpx_ne_u16_e32 0x80, v74
	s_cbranch_execz .LBB284_426
; %bb.421:                              ;   in Loop: Header=BB284_16 Depth=1
	v_bfe_u32 v76, v9, 16, 7
	v_mov_b32_e32 v79, 0x7c01
	s_mov_b32 s45, exec_lo
	s_delay_alu instid0(VALU_DEP_2)
	v_cmpx_ne_u32_e32 0x7f, v76
	s_cbranch_execz .LBB284_425
; %bb.422:                              ;   in Loop: Header=BB284_16 Depth=1
	v_and_b32_e32 v74, 7, v1
	v_lshrrev_b32_e32 v75, 3, v76
	s_mov_b32 s46, exec_lo
	v_cmpx_gt_u32_e32 8, v76
; %bb.423:                              ;   in Loop: Header=BB284_16 Depth=1
	s_delay_alu instid0(VALU_DEP_3) | instskip(NEXT) | instid1(VALU_DEP_1)
	v_clz_i32_u32_e32 v74, v74
	v_min_u32_e32 v76, 32, v74
	s_delay_alu instid0(VALU_DEP_1) | instskip(NEXT) | instid1(VALU_DEP_1)
	v_subrev_nc_u32_e32 v74, 28, v76
	v_lshlrev_b64_e32 v[74:75], v74, v[1:2]
	v_sub_nc_u32_e32 v75, 29, v76
	s_delay_alu instid0(VALU_DEP_2)
	v_and_b32_e32 v74, 7, v74
; %bb.424:                              ;   in Loop: Header=BB284_16 Depth=1
	s_or_b32 exec_lo, exec_lo, s46
	v_lshlrev_b32_e32 v1, 8, v1
	s_delay_alu instid0(VALU_DEP_3) | instskip(NEXT) | instid1(VALU_DEP_3)
	v_lshl_add_u32 v75, v75, 10, 0x2000
	v_lshlrev_b32_e32 v74, 7, v74
	s_delay_alu instid0(VALU_DEP_3) | instskip(NEXT) | instid1(VALU_DEP_3)
	v_and_b32_e32 v1, 0x8000, v1
	v_and_b32_e32 v75, 0xfc00, v75
	s_delay_alu instid0(VALU_DEP_1)
	v_or3_b32 v79, v1, v75, v74
.LBB284_425:                            ;   in Loop: Header=BB284_16 Depth=1
	s_wait_alu 0xfffe
	s_or_b32 exec_lo, exec_lo, s45
.LBB284_426:                            ;   in Loop: Header=BB284_16 Depth=1
	s_wait_alu 0xfffe
	s_or_b32 exec_lo, exec_lo, s44
.LBB284_427:                            ;   in Loop: Header=BB284_16 Depth=1
	s_wait_alu 0xfffe
	s_or_b32 exec_lo, exec_lo, s43
	v_dual_mov_b32 v77, 0 :: v_dual_mov_b32 v78, 0
	s_mov_b32 s43, exec_lo
	v_cmpx_lt_u32_e32 0xffffff, v9
	s_cbranch_execz .LBB284_435
; %bb.428:                              ;   in Loop: Header=BB284_16 Depth=1
	v_lshrrev_b32_e32 v1, 24, v9
	v_bfrev_b32_e32 v78, 1
	s_mov_b32 s44, exec_lo
	s_delay_alu instid0(VALU_DEP_2)
	v_cmpx_ne_u32_e32 0x80, v1
	s_cbranch_execz .LBB284_434
; %bb.429:                              ;   in Loop: Header=BB284_16 Depth=1
	v_and_b32_e32 v76, 0x7f, v1
	v_mov_b32_e32 v78, 0x7c010000
	s_mov_b32 s45, exec_lo
	s_delay_alu instid0(VALU_DEP_2)
	v_cmpx_ne_u32_e32 0x7f, v76
	s_cbranch_execz .LBB284_433
; %bb.430:                              ;   in Loop: Header=BB284_16 Depth=1
	v_and_b32_e32 v74, 7, v1
	v_lshrrev_b32_e32 v75, 3, v76
	s_mov_b32 s46, exec_lo
	v_cmpx_gt_u32_e32 8, v76
; %bb.431:                              ;   in Loop: Header=BB284_16 Depth=1
	s_delay_alu instid0(VALU_DEP_3) | instskip(NEXT) | instid1(VALU_DEP_1)
	v_clz_i32_u32_e32 v74, v74
	v_min_u32_e32 v76, 32, v74
	s_delay_alu instid0(VALU_DEP_1) | instskip(NEXT) | instid1(VALU_DEP_1)
	v_subrev_nc_u32_e32 v74, 28, v76
	v_lshlrev_b64_e32 v[74:75], v74, v[1:2]
	v_sub_nc_u32_e32 v75, 29, v76
	s_delay_alu instid0(VALU_DEP_2)
	v_and_b32_e32 v74, 7, v74
; %bb.432:                              ;   in Loop: Header=BB284_16 Depth=1
	s_or_b32 exec_lo, exec_lo, s46
	v_lshlrev_b32_e32 v1, 8, v1
	s_delay_alu instid0(VALU_DEP_3) | instskip(NEXT) | instid1(VALU_DEP_3)
	v_lshl_add_u32 v75, v75, 10, 0x2000
	v_lshlrev_b32_e32 v74, 23, v74
	s_delay_alu instid0(VALU_DEP_2) | instskip(NEXT) | instid1(VALU_DEP_1)
	v_and_or_b32 v1, 0x8000, v1, v75
	v_lshl_or_b32 v78, v1, 16, v74
.LBB284_433:                            ;   in Loop: Header=BB284_16 Depth=1
	s_wait_alu 0xfffe
	s_or_b32 exec_lo, exec_lo, s45
.LBB284_434:                            ;   in Loop: Header=BB284_16 Depth=1
	s_wait_alu 0xfffe
	s_or_b32 exec_lo, exec_lo, s44
.LBB284_435:                            ;   in Loop: Header=BB284_16 Depth=1
	s_wait_alu 0xfffe
	s_or_b32 exec_lo, exec_lo, s43
	v_dual_mov_b32 v1, v10 :: v_dual_and_b32 v74, 0xff, v10
	s_mov_b32 s43, exec_lo
	s_delay_alu instid0(VALU_DEP_1)
	v_cmpx_ne_u16_e32 0, v74
	s_cbranch_execz .LBB284_443
; %bb.436:                              ;   in Loop: Header=BB284_16 Depth=1
	v_mov_b32_e32 v77, 0x8000
	s_mov_b32 s44, exec_lo
	v_cmpx_ne_u16_e32 0x80, v74
	s_cbranch_execz .LBB284_442
; %bb.437:                              ;   in Loop: Header=BB284_16 Depth=1
	v_and_b32_e32 v76, 0x7f, v10
	v_mov_b32_e32 v77, 0x7c01
	s_mov_b32 s45, exec_lo
	s_delay_alu instid0(VALU_DEP_2)
	v_cmpx_ne_u32_e32 0x7f, v76
	s_cbranch_execz .LBB284_441
; %bb.438:                              ;   in Loop: Header=BB284_16 Depth=1
	v_and_b32_e32 v74, 7, v10
	v_lshrrev_b32_e32 v75, 3, v76
	s_mov_b32 s46, exec_lo
	v_cmpx_gt_u32_e32 8, v76
; %bb.439:                              ;   in Loop: Header=BB284_16 Depth=1
	s_delay_alu instid0(VALU_DEP_3) | instskip(NEXT) | instid1(VALU_DEP_1)
	v_clz_i32_u32_e32 v74, v74
	v_min_u32_e32 v76, 32, v74
	s_delay_alu instid0(VALU_DEP_1) | instskip(NEXT) | instid1(VALU_DEP_1)
	v_subrev_nc_u32_e32 v74, 28, v76
	v_lshlrev_b64_e32 v[74:75], v74, v[1:2]
	v_sub_nc_u32_e32 v75, 29, v76
	s_delay_alu instid0(VALU_DEP_2)
	v_and_b32_e32 v74, 7, v74
; %bb.440:                              ;   in Loop: Header=BB284_16 Depth=1
	s_or_b32 exec_lo, exec_lo, s46
	v_lshlrev_b32_e32 v76, 8, v10
	s_delay_alu instid0(VALU_DEP_3) | instskip(NEXT) | instid1(VALU_DEP_3)
	v_lshl_add_u32 v75, v75, 10, 0x2000
	v_lshlrev_b32_e32 v74, 7, v74
	s_delay_alu instid0(VALU_DEP_3) | instskip(NEXT) | instid1(VALU_DEP_3)
	v_and_b32_e32 v76, 0x8000, v76
	v_and_b32_e32 v75, 0xfc00, v75
	s_delay_alu instid0(VALU_DEP_1)
	v_or3_b32 v77, v76, v75, v74
.LBB284_441:                            ;   in Loop: Header=BB284_16 Depth=1
	s_wait_alu 0xfffe
	s_or_b32 exec_lo, exec_lo, s45
.LBB284_442:                            ;   in Loop: Header=BB284_16 Depth=1
	s_wait_alu 0xfffe
	s_or_b32 exec_lo, exec_lo, s44
.LBB284_443:                            ;   in Loop: Header=BB284_16 Depth=1
	s_wait_alu 0xfffe
	s_or_b32 exec_lo, exec_lo, s43
	v_lshrrev_b16 v1, 8, v1
	v_mov_b32_e32 v82, 0
	v_mov_b32_e32 v76, 0
	s_mov_b32 s43, exec_lo
	s_delay_alu instid0(VALU_DEP_3)
	v_cmpx_ne_u16_e32 0, v1
	s_cbranch_execz .LBB284_451
; %bb.444:                              ;   in Loop: Header=BB284_16 Depth=1
	v_bfrev_b32_e32 v76, 1
	s_mov_b32 s44, exec_lo
	v_cmpx_ne_u16_e32 0x80, v1
	s_cbranch_execz .LBB284_450
; %bb.445:                              ;   in Loop: Header=BB284_16 Depth=1
	v_and_b32_e32 v74, 0xffff, v1
	v_mov_b32_e32 v76, 0x7c010000
	s_mov_b32 s45, exec_lo
	s_delay_alu instid0(VALU_DEP_2) | instskip(NEXT) | instid1(VALU_DEP_1)
	v_and_b32_e32 v80, 0x7f, v74
	v_cmpx_ne_u32_e32 0x7f, v80
	s_cbranch_execz .LBB284_449
; %bb.446:                              ;   in Loop: Header=BB284_16 Depth=1
	v_and_b32_e32 v75, 7, v74
	v_lshrrev_b32_e32 v76, 3, v80
	s_mov_b32 s46, exec_lo
	v_cmpx_gt_u32_e32 8, v80
; %bb.447:                              ;   in Loop: Header=BB284_16 Depth=1
	s_delay_alu instid0(VALU_DEP_3) | instskip(NEXT) | instid1(VALU_DEP_1)
	v_clz_i32_u32_e32 v75, v75
	v_min_u32_e32 v80, 32, v75
	s_delay_alu instid0(VALU_DEP_1) | instskip(NEXT) | instid1(VALU_DEP_1)
	v_subrev_nc_u32_e32 v75, 28, v80
	v_lshlrev_b64_e32 v[75:76], v75, v[1:2]
	v_sub_nc_u32_e32 v76, 29, v80
	s_delay_alu instid0(VALU_DEP_2)
	v_and_b32_e32 v75, 7, v75
; %bb.448:                              ;   in Loop: Header=BB284_16 Depth=1
	s_or_b32 exec_lo, exec_lo, s46
	v_lshlrev_b32_e32 v1, 8, v74
	s_delay_alu instid0(VALU_DEP_3) | instskip(NEXT) | instid1(VALU_DEP_1)
	v_lshl_add_u32 v74, v76, 10, 0x2000
	v_and_or_b32 v1, 0x8000, v1, v74
	v_lshlrev_b32_e32 v74, 23, v75
	s_delay_alu instid0(VALU_DEP_1)
	v_lshl_or_b32 v76, v1, 16, v74
.LBB284_449:                            ;   in Loop: Header=BB284_16 Depth=1
	s_wait_alu 0xfffe
	s_or_b32 exec_lo, exec_lo, s45
.LBB284_450:                            ;   in Loop: Header=BB284_16 Depth=1
	s_wait_alu 0xfffe
	s_or_b32 exec_lo, exec_lo, s44
.LBB284_451:                            ;   in Loop: Header=BB284_16 Depth=1
	s_wait_alu 0xfffe
	s_or_b32 exec_lo, exec_lo, s43
	v_lshrrev_b32_e32 v1, 16, v10
	s_mov_b32 s43, exec_lo
	s_delay_alu instid0(VALU_DEP_1) | instskip(NEXT) | instid1(VALU_DEP_1)
	v_and_b32_e32 v74, 0xff, v1
	v_cmpx_ne_u16_e32 0, v74
	s_cbranch_execz .LBB284_459
; %bb.452:                              ;   in Loop: Header=BB284_16 Depth=1
	v_mov_b32_e32 v82, 0x8000
	s_mov_b32 s44, exec_lo
	v_cmpx_ne_u16_e32 0x80, v74
	s_cbranch_execz .LBB284_458
; %bb.453:                              ;   in Loop: Header=BB284_16 Depth=1
	v_bfe_u32 v80, v10, 16, 7
	v_mov_b32_e32 v82, 0x7c01
	s_mov_b32 s45, exec_lo
	s_delay_alu instid0(VALU_DEP_2)
	v_cmpx_ne_u32_e32 0x7f, v80
	s_cbranch_execz .LBB284_457
; %bb.454:                              ;   in Loop: Header=BB284_16 Depth=1
	v_and_b32_e32 v74, 7, v1
	v_lshrrev_b32_e32 v75, 3, v80
	s_mov_b32 s46, exec_lo
	v_cmpx_gt_u32_e32 8, v80
; %bb.455:                              ;   in Loop: Header=BB284_16 Depth=1
	s_delay_alu instid0(VALU_DEP_3) | instskip(NEXT) | instid1(VALU_DEP_1)
	v_clz_i32_u32_e32 v74, v74
	v_min_u32_e32 v80, 32, v74
	s_delay_alu instid0(VALU_DEP_1) | instskip(NEXT) | instid1(VALU_DEP_1)
	v_subrev_nc_u32_e32 v74, 28, v80
	v_lshlrev_b64_e32 v[74:75], v74, v[1:2]
	v_sub_nc_u32_e32 v75, 29, v80
	s_delay_alu instid0(VALU_DEP_2)
	v_and_b32_e32 v74, 7, v74
; %bb.456:                              ;   in Loop: Header=BB284_16 Depth=1
	s_or_b32 exec_lo, exec_lo, s46
	v_lshlrev_b32_e32 v1, 8, v1
	s_delay_alu instid0(VALU_DEP_3) | instskip(NEXT) | instid1(VALU_DEP_3)
	v_lshl_add_u32 v75, v75, 10, 0x2000
	v_lshlrev_b32_e32 v74, 7, v74
	s_delay_alu instid0(VALU_DEP_3) | instskip(NEXT) | instid1(VALU_DEP_3)
	v_and_b32_e32 v1, 0x8000, v1
	v_and_b32_e32 v75, 0xfc00, v75
	s_delay_alu instid0(VALU_DEP_1)
	v_or3_b32 v82, v1, v75, v74
.LBB284_457:                            ;   in Loop: Header=BB284_16 Depth=1
	s_wait_alu 0xfffe
	s_or_b32 exec_lo, exec_lo, s45
.LBB284_458:                            ;   in Loop: Header=BB284_16 Depth=1
	s_wait_alu 0xfffe
	s_or_b32 exec_lo, exec_lo, s44
.LBB284_459:                            ;   in Loop: Header=BB284_16 Depth=1
	s_wait_alu 0xfffe
	s_or_b32 exec_lo, exec_lo, s43
	v_cmp_lt_u64_e64 s3, s[14:15], v[9:10]
	v_mov_b32_e32 v9, 0
	v_mov_b32_e32 v75, 0
	s_and_saveexec_b32 s43, s3
	s_cbranch_execz .LBB284_467
; %bb.460:                              ;   in Loop: Header=BB284_16 Depth=1
	v_lshrrev_b32_e32 v1, 24, v10
	v_bfrev_b32_e32 v75, 1
	s_mov_b32 s44, exec_lo
	s_delay_alu instid0(VALU_DEP_2)
	v_cmpx_ne_u32_e32 0x80, v1
	s_cbranch_execz .LBB284_466
; %bb.461:                              ;   in Loop: Header=BB284_16 Depth=1
	v_and_b32_e32 v80, 0x7f, v1
	v_mov_b32_e32 v75, 0x7c010000
	s_mov_b32 s45, exec_lo
	s_delay_alu instid0(VALU_DEP_2)
	v_cmpx_ne_u32_e32 0x7f, v80
	s_cbranch_execz .LBB284_465
; %bb.462:                              ;   in Loop: Header=BB284_16 Depth=1
	v_and_b32_e32 v10, 7, v1
	v_lshrrev_b32_e32 v74, 3, v80
	s_mov_b32 s46, exec_lo
	v_cmpx_gt_u32_e32 8, v80
; %bb.463:                              ;   in Loop: Header=BB284_16 Depth=1
	s_delay_alu instid0(VALU_DEP_3) | instskip(NEXT) | instid1(VALU_DEP_1)
	v_clz_i32_u32_e32 v10, v10
	v_min_u32_e32 v10, 32, v10
	s_delay_alu instid0(VALU_DEP_1) | instskip(NEXT) | instid1(VALU_DEP_1)
	v_subrev_nc_u32_e32 v74, 28, v10
	v_lshlrev_b64_e32 v[80:81], v74, v[1:2]
	v_sub_nc_u32_e32 v74, 29, v10
	s_delay_alu instid0(VALU_DEP_2)
	v_and_b32_e32 v10, 7, v80
; %bb.464:                              ;   in Loop: Header=BB284_16 Depth=1
	s_or_b32 exec_lo, exec_lo, s46
	v_lshlrev_b32_e32 v1, 8, v1
	s_delay_alu instid0(VALU_DEP_3) | instskip(NEXT) | instid1(VALU_DEP_3)
	v_lshl_add_u32 v74, v74, 10, 0x2000
	v_lshlrev_b32_e32 v10, 23, v10
	s_delay_alu instid0(VALU_DEP_2) | instskip(NEXT) | instid1(VALU_DEP_1)
	v_and_or_b32 v1, 0x8000, v1, v74
	v_lshl_or_b32 v75, v1, 16, v10
.LBB284_465:                            ;   in Loop: Header=BB284_16 Depth=1
	s_wait_alu 0xfffe
	s_or_b32 exec_lo, exec_lo, s45
.LBB284_466:                            ;   in Loop: Header=BB284_16 Depth=1
	s_wait_alu 0xfffe
	s_or_b32 exec_lo, exec_lo, s44
.LBB284_467:                            ;   in Loop: Header=BB284_16 Depth=1
	s_wait_alu 0xfffe
	s_or_b32 exec_lo, exec_lo, s43
	global_load_b64 v[7:8], v[7:8], off offset:1544
	s_mov_b32 s43, exec_lo
	s_wait_loadcnt 0x0
	v_and_b32_e32 v1, 0xff, v7
	s_delay_alu instid0(VALU_DEP_1)
	v_cmpx_ne_u16_e32 0, v1
	s_cbranch_execz .LBB284_475
; %bb.468:                              ;   in Loop: Header=BB284_16 Depth=1
	v_mov_b32_e32 v9, 0x8000
	s_mov_b32 s44, exec_lo
	v_cmpx_ne_u16_e32 0x80, v1
	s_cbranch_execz .LBB284_474
; %bb.469:                              ;   in Loop: Header=BB284_16 Depth=1
	v_and_b32_e32 v10, 0x7f, v7
	v_mov_b32_e32 v9, 0x7c01
	s_mov_b32 s45, exec_lo
	s_delay_alu instid0(VALU_DEP_2)
	v_cmpx_ne_u32_e32 0x7f, v10
	s_cbranch_execz .LBB284_473
; %bb.470:                              ;   in Loop: Header=BB284_16 Depth=1
	v_and_b32_e32 v1, 7, v7
	v_lshrrev_b32_e32 v9, 3, v10
	s_mov_b32 s46, exec_lo
	v_cmpx_gt_u32_e32 8, v10
; %bb.471:                              ;   in Loop: Header=BB284_16 Depth=1
	s_delay_alu instid0(VALU_DEP_3) | instskip(NEXT) | instid1(VALU_DEP_1)
	v_clz_i32_u32_e32 v1, v1
	v_min_u32_e32 v1, 32, v1
	s_delay_alu instid0(VALU_DEP_1) | instskip(NEXT) | instid1(VALU_DEP_1)
	v_subrev_nc_u32_e32 v9, 28, v1
	v_lshlrev_b64_e32 v[80:81], v9, v[7:8]
	v_sub_nc_u32_e32 v9, 29, v1
	s_delay_alu instid0(VALU_DEP_2)
	v_and_b32_e32 v1, 7, v80
; %bb.472:                              ;   in Loop: Header=BB284_16 Depth=1
	s_or_b32 exec_lo, exec_lo, s46
	v_lshlrev_b32_e32 v10, 8, v7
	s_delay_alu instid0(VALU_DEP_3) | instskip(NEXT) | instid1(VALU_DEP_3)
	v_lshl_add_u32 v9, v9, 10, 0x2000
	v_lshlrev_b32_e32 v1, 7, v1
	s_delay_alu instid0(VALU_DEP_3) | instskip(NEXT) | instid1(VALU_DEP_3)
	v_and_b32_e32 v10, 0x8000, v10
	v_and_b32_e32 v9, 0xfc00, v9
	s_delay_alu instid0(VALU_DEP_1)
	v_or3_b32 v9, v10, v9, v1
.LBB284_473:                            ;   in Loop: Header=BB284_16 Depth=1
	s_wait_alu 0xfffe
	s_or_b32 exec_lo, exec_lo, s45
.LBB284_474:                            ;   in Loop: Header=BB284_16 Depth=1
	s_wait_alu 0xfffe
	s_or_b32 exec_lo, exec_lo, s44
.LBB284_475:                            ;   in Loop: Header=BB284_16 Depth=1
	s_wait_alu 0xfffe
	s_or_b32 exec_lo, exec_lo, s43
	v_lshrrev_b16 v1, 8, v7
	v_mov_b32_e32 v74, 0
	v_mov_b32_e32 v10, 0
	s_mov_b32 s43, exec_lo
	s_delay_alu instid0(VALU_DEP_3)
	v_cmpx_ne_u16_e32 0, v1
	s_cbranch_execz .LBB284_483
; %bb.476:                              ;   in Loop: Header=BB284_16 Depth=1
	v_bfrev_b32_e32 v10, 1
	s_mov_b32 s44, exec_lo
	v_cmpx_ne_u16_e32 0x80, v1
	s_cbranch_execz .LBB284_482
; %bb.477:                              ;   in Loop: Header=BB284_16 Depth=1
	v_and_b32_e32 v80, 0xffff, v1
	v_mov_b32_e32 v10, 0x7c010000
	s_mov_b32 s45, exec_lo
	s_delay_alu instid0(VALU_DEP_2) | instskip(NEXT) | instid1(VALU_DEP_1)
	v_and_b32_e32 v83, 0x7f, v80
	v_cmpx_ne_u32_e32 0x7f, v83
	s_cbranch_execz .LBB284_481
; %bb.478:                              ;   in Loop: Header=BB284_16 Depth=1
	v_and_b32_e32 v10, 7, v80
	v_lshrrev_b32_e32 v81, 3, v83
	s_mov_b32 s46, exec_lo
	v_cmpx_gt_u32_e32 8, v83
; %bb.479:                              ;   in Loop: Header=BB284_16 Depth=1
	s_delay_alu instid0(VALU_DEP_3) | instskip(NEXT) | instid1(VALU_DEP_1)
	v_clz_i32_u32_e32 v10, v10
	v_min_u32_e32 v10, 32, v10
	s_delay_alu instid0(VALU_DEP_1) | instskip(NEXT) | instid1(VALU_DEP_1)
	v_subrev_nc_u32_e32 v81, 28, v10
	v_lshlrev_b64_e32 v[83:84], v81, v[1:2]
	v_sub_nc_u32_e32 v81, 29, v10
	s_delay_alu instid0(VALU_DEP_2)
	v_and_b32_e32 v10, 7, v83
; %bb.480:                              ;   in Loop: Header=BB284_16 Depth=1
	s_or_b32 exec_lo, exec_lo, s46
	v_lshlrev_b32_e32 v1, 8, v80
	s_delay_alu instid0(VALU_DEP_3) | instskip(NEXT) | instid1(VALU_DEP_3)
	v_lshl_add_u32 v80, v81, 10, 0x2000
	v_lshlrev_b32_e32 v10, 23, v10
	s_delay_alu instid0(VALU_DEP_2) | instskip(NEXT) | instid1(VALU_DEP_1)
	v_and_or_b32 v1, 0x8000, v1, v80
	v_lshl_or_b32 v10, v1, 16, v10
.LBB284_481:                            ;   in Loop: Header=BB284_16 Depth=1
	s_wait_alu 0xfffe
	s_or_b32 exec_lo, exec_lo, s45
.LBB284_482:                            ;   in Loop: Header=BB284_16 Depth=1
	s_wait_alu 0xfffe
	s_or_b32 exec_lo, exec_lo, s44
.LBB284_483:                            ;   in Loop: Header=BB284_16 Depth=1
	s_wait_alu 0xfffe
	s_or_b32 exec_lo, exec_lo, s43
	v_lshrrev_b32_e32 v1, 16, v7
	s_mov_b32 s43, exec_lo
	s_delay_alu instid0(VALU_DEP_1) | instskip(NEXT) | instid1(VALU_DEP_1)
	v_and_b32_e32 v80, 0xff, v1
	v_cmpx_ne_u16_e32 0, v80
	s_cbranch_execz .LBB284_491
; %bb.484:                              ;   in Loop: Header=BB284_16 Depth=1
	v_mov_b32_e32 v74, 0x8000
	s_mov_b32 s44, exec_lo
	v_cmpx_ne_u16_e32 0x80, v80
	s_cbranch_execz .LBB284_490
; %bb.485:                              ;   in Loop: Header=BB284_16 Depth=1
	v_bfe_u32 v81, v7, 16, 7
	v_mov_b32_e32 v74, 0x7c01
	s_mov_b32 s45, exec_lo
	s_delay_alu instid0(VALU_DEP_2)
	v_cmpx_ne_u32_e32 0x7f, v81
	s_cbranch_execz .LBB284_489
; %bb.486:                              ;   in Loop: Header=BB284_16 Depth=1
	v_and_b32_e32 v74, 7, v1
	v_lshrrev_b32_e32 v80, 3, v81
	s_mov_b32 s46, exec_lo
	v_cmpx_gt_u32_e32 8, v81
; %bb.487:                              ;   in Loop: Header=BB284_16 Depth=1
	s_delay_alu instid0(VALU_DEP_3) | instskip(NEXT) | instid1(VALU_DEP_1)
	v_clz_i32_u32_e32 v74, v74
	v_min_u32_e32 v74, 32, v74
	s_delay_alu instid0(VALU_DEP_1) | instskip(NEXT) | instid1(VALU_DEP_1)
	v_subrev_nc_u32_e32 v80, 28, v74
	v_lshlrev_b64_e32 v[83:84], v80, v[1:2]
	v_sub_nc_u32_e32 v80, 29, v74
	s_delay_alu instid0(VALU_DEP_2)
	v_and_b32_e32 v74, 7, v83
; %bb.488:                              ;   in Loop: Header=BB284_16 Depth=1
	s_or_b32 exec_lo, exec_lo, s46
	v_lshlrev_b32_e32 v1, 8, v1
	s_delay_alu instid0(VALU_DEP_3) | instskip(NEXT) | instid1(VALU_DEP_3)
	v_lshl_add_u32 v80, v80, 10, 0x2000
	v_lshlrev_b32_e32 v74, 7, v74
	s_delay_alu instid0(VALU_DEP_3) | instskip(NEXT) | instid1(VALU_DEP_3)
	v_and_b32_e32 v1, 0x8000, v1
	v_and_b32_e32 v80, 0xfc00, v80
	s_delay_alu instid0(VALU_DEP_1)
	v_or3_b32 v74, v1, v80, v74
.LBB284_489:                            ;   in Loop: Header=BB284_16 Depth=1
	s_wait_alu 0xfffe
	s_or_b32 exec_lo, exec_lo, s45
.LBB284_490:                            ;   in Loop: Header=BB284_16 Depth=1
	s_wait_alu 0xfffe
	s_or_b32 exec_lo, exec_lo, s44
.LBB284_491:                            ;   in Loop: Header=BB284_16 Depth=1
	s_wait_alu 0xfffe
	s_or_b32 exec_lo, exec_lo, s43
	v_dual_mov_b32 v80, 0 :: v_dual_mov_b32 v81, 0
	s_mov_b32 s43, exec_lo
	v_cmpx_lt_u32_e32 0xffffff, v7
	s_cbranch_execz .LBB284_499
; %bb.492:                              ;   in Loop: Header=BB284_16 Depth=1
	v_lshrrev_b32_e32 v1, 24, v7
	v_bfrev_b32_e32 v81, 1
	s_mov_b32 s44, exec_lo
	s_delay_alu instid0(VALU_DEP_2)
	v_cmpx_ne_u32_e32 0x80, v1
	s_cbranch_execz .LBB284_498
; %bb.493:                              ;   in Loop: Header=BB284_16 Depth=1
	v_and_b32_e32 v84, 0x7f, v1
	v_mov_b32_e32 v81, 0x7c010000
	s_mov_b32 s45, exec_lo
	s_delay_alu instid0(VALU_DEP_2)
	v_cmpx_ne_u32_e32 0x7f, v84
	s_cbranch_execz .LBB284_497
; %bb.494:                              ;   in Loop: Header=BB284_16 Depth=1
	v_and_b32_e32 v81, 7, v1
	v_lshrrev_b32_e32 v83, 3, v84
	s_mov_b32 s46, exec_lo
	v_cmpx_gt_u32_e32 8, v84
; %bb.495:                              ;   in Loop: Header=BB284_16 Depth=1
	s_delay_alu instid0(VALU_DEP_3) | instskip(NEXT) | instid1(VALU_DEP_1)
	v_clz_i32_u32_e32 v81, v81
	v_min_u32_e32 v81, 32, v81
	s_delay_alu instid0(VALU_DEP_1) | instskip(NEXT) | instid1(VALU_DEP_1)
	v_subrev_nc_u32_e32 v83, 28, v81
	v_lshlrev_b64_e32 v[84:85], v83, v[1:2]
	v_sub_nc_u32_e32 v83, 29, v81
	s_delay_alu instid0(VALU_DEP_2)
	v_and_b32_e32 v81, 7, v84
; %bb.496:                              ;   in Loop: Header=BB284_16 Depth=1
	s_or_b32 exec_lo, exec_lo, s46
	v_lshlrev_b32_e32 v1, 8, v1
	s_delay_alu instid0(VALU_DEP_3) | instskip(NEXT) | instid1(VALU_DEP_3)
	v_lshl_add_u32 v83, v83, 10, 0x2000
	v_lshlrev_b32_e32 v81, 23, v81
	s_delay_alu instid0(VALU_DEP_2) | instskip(NEXT) | instid1(VALU_DEP_1)
	v_and_or_b32 v1, 0x8000, v1, v83
	v_lshl_or_b32 v81, v1, 16, v81
.LBB284_497:                            ;   in Loop: Header=BB284_16 Depth=1
	s_wait_alu 0xfffe
	s_or_b32 exec_lo, exec_lo, s45
.LBB284_498:                            ;   in Loop: Header=BB284_16 Depth=1
	s_wait_alu 0xfffe
	s_or_b32 exec_lo, exec_lo, s44
.LBB284_499:                            ;   in Loop: Header=BB284_16 Depth=1
	s_wait_alu 0xfffe
	s_or_b32 exec_lo, exec_lo, s43
	v_and_b32_e32 v83, 0xff, v8
	v_mov_b32_e32 v1, v8
	s_mov_b32 s43, exec_lo
	s_delay_alu instid0(VALU_DEP_2)
	v_cmpx_ne_u16_e32 0, v83
	s_cbranch_execz .LBB284_507
; %bb.500:                              ;   in Loop: Header=BB284_16 Depth=1
	v_mov_b32_e32 v80, 0x8000
	s_mov_b32 s44, exec_lo
	v_cmpx_ne_u16_e32 0x80, v83
	s_cbranch_execz .LBB284_506
; %bb.501:                              ;   in Loop: Header=BB284_16 Depth=1
	v_and_b32_e32 v84, 0x7f, v8
	v_mov_b32_e32 v80, 0x7c01
	s_mov_b32 s45, exec_lo
	s_delay_alu instid0(VALU_DEP_2)
	v_cmpx_ne_u32_e32 0x7f, v84
	s_cbranch_execz .LBB284_505
; %bb.502:                              ;   in Loop: Header=BB284_16 Depth=1
	v_and_b32_e32 v80, 7, v8
	v_lshrrev_b32_e32 v83, 3, v84
	s_mov_b32 s46, exec_lo
	v_cmpx_gt_u32_e32 8, v84
; %bb.503:                              ;   in Loop: Header=BB284_16 Depth=1
	s_delay_alu instid0(VALU_DEP_3) | instskip(NEXT) | instid1(VALU_DEP_1)
	v_clz_i32_u32_e32 v80, v80
	v_min_u32_e32 v80, 32, v80
	s_delay_alu instid0(VALU_DEP_1) | instskip(NEXT) | instid1(VALU_DEP_1)
	v_subrev_nc_u32_e32 v83, 28, v80
	v_lshlrev_b64_e32 v[84:85], v83, v[1:2]
	v_sub_nc_u32_e32 v83, 29, v80
	s_delay_alu instid0(VALU_DEP_2)
	v_and_b32_e32 v80, 7, v84
; %bb.504:                              ;   in Loop: Header=BB284_16 Depth=1
	s_or_b32 exec_lo, exec_lo, s46
	v_lshlrev_b32_e32 v84, 8, v8
	s_delay_alu instid0(VALU_DEP_3) | instskip(NEXT) | instid1(VALU_DEP_3)
	v_lshl_add_u32 v83, v83, 10, 0x2000
	v_lshlrev_b32_e32 v80, 7, v80
	s_delay_alu instid0(VALU_DEP_3) | instskip(NEXT) | instid1(VALU_DEP_3)
	v_and_b32_e32 v84, 0x8000, v84
	v_and_b32_e32 v83, 0xfc00, v83
	s_delay_alu instid0(VALU_DEP_1)
	v_or3_b32 v80, v84, v83, v80
.LBB284_505:                            ;   in Loop: Header=BB284_16 Depth=1
	s_wait_alu 0xfffe
	s_or_b32 exec_lo, exec_lo, s45
.LBB284_506:                            ;   in Loop: Header=BB284_16 Depth=1
	s_wait_alu 0xfffe
	s_or_b32 exec_lo, exec_lo, s44
.LBB284_507:                            ;   in Loop: Header=BB284_16 Depth=1
	s_wait_alu 0xfffe
	s_or_b32 exec_lo, exec_lo, s43
	v_lshrrev_b16 v1, 8, v1
	v_dual_mov_b32 v84, 0 :: v_dual_mov_b32 v83, 0
	s_mov_b32 s43, exec_lo
	s_delay_alu instid0(VALU_DEP_2)
	v_cmpx_ne_u16_e32 0, v1
	s_cbranch_execz .LBB284_515
; %bb.508:                              ;   in Loop: Header=BB284_16 Depth=1
	v_bfrev_b32_e32 v83, 1
	s_mov_b32 s44, exec_lo
	v_cmpx_ne_u16_e32 0x80, v1
	s_cbranch_execz .LBB284_514
; %bb.509:                              ;   in Loop: Header=BB284_16 Depth=1
	v_and_b32_e32 v85, 0xffff, v1
	v_mov_b32_e32 v83, 0x7c010000
	s_mov_b32 s45, exec_lo
	s_delay_alu instid0(VALU_DEP_2) | instskip(NEXT) | instid1(VALU_DEP_1)
	v_and_b32_e32 v87, 0x7f, v85
	v_cmpx_ne_u32_e32 0x7f, v87
	s_cbranch_execz .LBB284_513
; %bb.510:                              ;   in Loop: Header=BB284_16 Depth=1
	v_and_b32_e32 v83, 7, v85
	v_lshrrev_b32_e32 v86, 3, v87
	s_mov_b32 s46, exec_lo
	v_cmpx_gt_u32_e32 8, v87
; %bb.511:                              ;   in Loop: Header=BB284_16 Depth=1
	s_delay_alu instid0(VALU_DEP_3) | instskip(NEXT) | instid1(VALU_DEP_1)
	v_clz_i32_u32_e32 v83, v83
	v_min_u32_e32 v83, 32, v83
	s_delay_alu instid0(VALU_DEP_1) | instskip(NEXT) | instid1(VALU_DEP_1)
	v_subrev_nc_u32_e32 v86, 28, v83
	v_lshlrev_b64_e32 v[87:88], v86, v[1:2]
	v_sub_nc_u32_e32 v86, 29, v83
	s_delay_alu instid0(VALU_DEP_2)
	v_and_b32_e32 v83, 7, v87
; %bb.512:                              ;   in Loop: Header=BB284_16 Depth=1
	s_or_b32 exec_lo, exec_lo, s46
	v_lshlrev_b32_e32 v1, 8, v85
	s_delay_alu instid0(VALU_DEP_3) | instskip(NEXT) | instid1(VALU_DEP_3)
	v_lshl_add_u32 v85, v86, 10, 0x2000
	v_lshlrev_b32_e32 v83, 23, v83
	s_delay_alu instid0(VALU_DEP_2) | instskip(NEXT) | instid1(VALU_DEP_1)
	v_and_or_b32 v1, 0x8000, v1, v85
	v_lshl_or_b32 v83, v1, 16, v83
.LBB284_513:                            ;   in Loop: Header=BB284_16 Depth=1
	s_wait_alu 0xfffe
	s_or_b32 exec_lo, exec_lo, s45
.LBB284_514:                            ;   in Loop: Header=BB284_16 Depth=1
	s_wait_alu 0xfffe
	s_or_b32 exec_lo, exec_lo, s44
.LBB284_515:                            ;   in Loop: Header=BB284_16 Depth=1
	s_wait_alu 0xfffe
	s_or_b32 exec_lo, exec_lo, s43
	v_lshrrev_b32_e32 v1, 16, v8
	s_mov_b32 s43, exec_lo
	s_delay_alu instid0(VALU_DEP_1) | instskip(NEXT) | instid1(VALU_DEP_1)
	v_and_b32_e32 v85, 0xff, v1
	v_cmpx_ne_u16_e32 0, v85
	s_cbranch_execz .LBB284_523
; %bb.516:                              ;   in Loop: Header=BB284_16 Depth=1
	v_mov_b32_e32 v84, 0x8000
	s_mov_b32 s44, exec_lo
	v_cmpx_ne_u16_e32 0x80, v85
	s_cbranch_execz .LBB284_522
; %bb.517:                              ;   in Loop: Header=BB284_16 Depth=1
	v_bfe_u32 v86, v8, 16, 7
	v_mov_b32_e32 v84, 0x7c01
	s_mov_b32 s45, exec_lo
	s_delay_alu instid0(VALU_DEP_2)
	v_cmpx_ne_u32_e32 0x7f, v86
	s_cbranch_execz .LBB284_521
; %bb.518:                              ;   in Loop: Header=BB284_16 Depth=1
	v_and_b32_e32 v84, 7, v1
	v_lshrrev_b32_e32 v85, 3, v86
	s_mov_b32 s46, exec_lo
	v_cmpx_gt_u32_e32 8, v86
; %bb.519:                              ;   in Loop: Header=BB284_16 Depth=1
	s_delay_alu instid0(VALU_DEP_3) | instskip(NEXT) | instid1(VALU_DEP_1)
	v_clz_i32_u32_e32 v84, v84
	v_min_u32_e32 v86, 32, v84
	s_delay_alu instid0(VALU_DEP_1) | instskip(NEXT) | instid1(VALU_DEP_1)
	v_subrev_nc_u32_e32 v84, 28, v86
	v_lshlrev_b64_e32 v[84:85], v84, v[1:2]
	v_sub_nc_u32_e32 v85, 29, v86
	s_delay_alu instid0(VALU_DEP_2)
	v_and_b32_e32 v84, 7, v84
; %bb.520:                              ;   in Loop: Header=BB284_16 Depth=1
	s_or_b32 exec_lo, exec_lo, s46
	v_lshlrev_b32_e32 v1, 8, v1
	s_delay_alu instid0(VALU_DEP_3) | instskip(NEXT) | instid1(VALU_DEP_3)
	v_lshl_add_u32 v85, v85, 10, 0x2000
	v_lshlrev_b32_e32 v84, 7, v84
	s_delay_alu instid0(VALU_DEP_3) | instskip(NEXT) | instid1(VALU_DEP_3)
	v_and_b32_e32 v1, 0x8000, v1
	v_and_b32_e32 v85, 0xfc00, v85
	s_delay_alu instid0(VALU_DEP_1)
	v_or3_b32 v84, v1, v85, v84
.LBB284_521:                            ;   in Loop: Header=BB284_16 Depth=1
	s_wait_alu 0xfffe
	s_or_b32 exec_lo, exec_lo, s45
.LBB284_522:                            ;   in Loop: Header=BB284_16 Depth=1
	s_wait_alu 0xfffe
	s_or_b32 exec_lo, exec_lo, s44
.LBB284_523:                            ;   in Loop: Header=BB284_16 Depth=1
	s_wait_alu 0xfffe
	s_or_b32 exec_lo, exec_lo, s43
	v_cmp_lt_u64_e64 s3, s[14:15], v[7:8]
	v_mov_b32_e32 v7, 0
	s_and_saveexec_b32 s43, s3
	s_cbranch_execz .LBB284_14
; %bb.524:                              ;   in Loop: Header=BB284_16 Depth=1
	v_lshrrev_b32_e32 v1, 24, v8
	v_bfrev_b32_e32 v7, 1
	s_mov_b32 s44, exec_lo
	s_delay_alu instid0(VALU_DEP_2)
	v_cmpx_ne_u32_e32 0x80, v1
	s_cbranch_execz .LBB284_13
; %bb.525:                              ;   in Loop: Header=BB284_16 Depth=1
	v_and_b32_e32 v85, 0x7f, v1
	v_mov_b32_e32 v7, 0x7c010000
	s_mov_b32 s45, exec_lo
	s_delay_alu instid0(VALU_DEP_2)
	v_cmpx_ne_u32_e32 0x7f, v85
	s_cbranch_execz .LBB284_12
; %bb.526:                              ;   in Loop: Header=BB284_16 Depth=1
	v_and_b32_e32 v7, 7, v1
	v_lshrrev_b32_e32 v8, 3, v85
	s_mov_b32 s46, exec_lo
	v_cmpx_gt_u32_e32 8, v85
	s_cbranch_execz .LBB284_11
; %bb.527:                              ;   in Loop: Header=BB284_16 Depth=1
	v_clz_i32_u32_e32 v7, v7
	s_delay_alu instid0(VALU_DEP_1) | instskip(NEXT) | instid1(VALU_DEP_1)
	v_min_u32_e32 v85, 32, v7
	v_subrev_nc_u32_e32 v7, 28, v85
	s_delay_alu instid0(VALU_DEP_1) | instskip(SKIP_1) | instid1(VALU_DEP_2)
	v_lshlrev_b64_e32 v[7:8], v7, v[1:2]
	v_sub_nc_u32_e32 v8, 29, v85
	v_and_b32_e32 v7, 7, v7
	s_branch .LBB284_11
.LBB284_528:
	s_or_b32 exec_lo, exec_lo, s42
.LBB284_529:
	s_delay_alu instid0(SALU_CYCLE_1)
	s_or_b32 exec_lo, exec_lo, s12
	v_mbcnt_lo_u32_b32 v1, -1, 0
	s_clause 0x2
	s_load_b128 s[12:15], s[0:1], 0x0
	s_load_b64 s[8:9], s[0:1], 0x10
	s_load_b64 s[30:31], s[0:1], 0x28
	v_max_num_f32_e32 v5, v17, v17
	v_xor_b32_e32 v2, 16, v1
	v_xor_b32_e32 v4, 8, v1
	s_delay_alu instid0(VALU_DEP_2) | instskip(SKIP_2) | instid1(VALU_DEP_3)
	v_cmp_gt_i32_e32 vcc_lo, 32, v2
	s_wait_alu 0xfffd
	v_cndmask_b32_e32 v2, v1, v2, vcc_lo
	v_cmp_gt_i32_e32 vcc_lo, 32, v4
	s_delay_alu instid0(VALU_DEP_2)
	v_lshlrev_b32_e32 v2, 2, v2
	s_wait_alu 0xfffd
	v_cndmask_b32_e32 v4, v1, v4, vcc_lo
	ds_bpermute_b32 v3, v2, v17
	s_wait_dscnt 0x0
	v_dual_max_num_f32 v6, v3, v3 :: v_dual_lshlrev_b32 v3, 2, v4
	s_delay_alu instid0(VALU_DEP_1)
	v_max_num_f32_e32 v4, v5, v6
	v_xor_b32_e32 v6, 4, v1
	ds_bpermute_b32 v5, v3, v4
	v_cmp_gt_i32_e32 vcc_lo, 32, v6
	s_wait_alu 0xfffd
	v_cndmask_b32_e32 v6, v1, v6, vcc_lo
	s_wait_dscnt 0x0
	v_max_num_f32_e32 v7, v5, v5
	s_delay_alu instid0(VALU_DEP_1)
	v_dual_max_num_f32 v4, v4, v7 :: v_dual_lshlrev_b32 v5, 2, v6
	v_xor_b32_e32 v7, 2, v1
	ds_bpermute_b32 v6, v5, v4
	v_cmp_gt_i32_e32 vcc_lo, 32, v7
	s_wait_dscnt 0x0
	s_wait_alu 0xfffd
	v_dual_cndmask_b32 v7, v1, v7 :: v_dual_max_num_f32 v6, v6, v6
	s_delay_alu instid0(VALU_DEP_1) | instskip(NEXT) | instid1(VALU_DEP_2)
	v_max_num_f32_e32 v4, v4, v6
	v_lshlrev_b32_e32 v18, 2, v7
	v_xor_b32_e32 v7, 1, v1
	s_delay_alu instid0(VALU_DEP_1)
	v_cmp_gt_i32_e32 vcc_lo, 32, v7
	s_wait_alu 0xfffd
	v_cndmask_b32_e32 v7, v1, v7, vcc_lo
	ds_bpermute_b32 v6, v18, v4
	v_cmp_eq_u32_e32 vcc_lo, 0, v12
	s_wait_dscnt 0x0
	v_dual_max_num_f32 v6, v6, v6 :: v_dual_lshlrev_b32 v17, 2, v7
	s_delay_alu instid0(VALU_DEP_1)
	v_dual_max_num_f32 v1, v4, v6 :: v_dual_lshlrev_b32 v6, 2, v11
	ds_bpermute_b32 v4, v17, v1
	s_and_saveexec_b32 s0, vcc_lo
	s_cbranch_execz .LBB284_531
; %bb.530:
	s_wait_dscnt 0x0
	v_dual_max_num_f32 v4, v4, v4 :: v_dual_max_num_f32 v1, v1, v1
	s_delay_alu instid0(VALU_DEP_1)
	v_max_num_f32_e32 v1, v1, v4
	ds_store_b32 v6, v1 offset:128
.LBB284_531:
	s_or_b32 exec_lo, exec_lo, s0
	v_cmp_gt_u32_e64 s0, 4, v12
	v_mov_b32_e32 v1, 0xff7fffff
	s_wait_loadcnt_dscnt 0x0
	s_barrier_signal -1
	s_barrier_wait -1
	global_inv scope:SCOPE_SE
	s_and_saveexec_b32 s1, s0
; %bb.532:
	ds_load_b32 v1, v16 offset:128
; %bb.533:
	s_or_b32 exec_lo, exec_lo, s1
	s_wait_dscnt 0x0
	ds_bpermute_b32 v4, v18, v1
	v_max_num_f32_e32 v1, v1, v1
	s_sub_co_i32 s1, s35, s39
	v_mov_b32_e32 v7, 0
	s_lshl_b32 s1, s1, 5
	s_delay_alu instid0(SALU_CYCLE_1) | instskip(NEXT) | instid1(SALU_CYCLE_1)
	s_add_co_i32 s1, s1, s36
	s_min_i32 s1, s1, s34
	s_delay_alu instid0(SALU_CYCLE_1) | instskip(SKIP_4) | instid1(VALU_DEP_1)
	s_sub_co_i32 s4, s1, s36
	s_wait_alu 0xfffe
	v_cmp_gt_i32_e64 s1, s4, v0
	s_wait_dscnt 0x0
	v_max_num_f32_e32 v4, v4, v4
	v_max_num_f32_e32 v1, v1, v4
	ds_bpermute_b32 v4, v17, v1
	s_wait_dscnt 0x0
	v_max_num_f32_e32 v4, v4, v4
	s_delay_alu instid0(VALU_DEP_1)
	v_max_num_f32_e32 v1, v1, v4
	v_lshl_add_u32 v4, v0, 2, 0xa0
	ds_bpermute_b32 v1, v7, v1
	s_and_saveexec_b32 s19, s1
	s_cbranch_execz .LBB284_537
; %bb.534:
	v_lshl_add_u32 v8, v0, 2, 0xa0
	v_mov_b32_e32 v7, 0
	v_mov_b32_e32 v9, v0
	s_mov_b32 s36, 0
.LBB284_535:                            ; =>This Inner Loop Header: Depth=1
	ds_load_b32 v10, v8
	v_add_nc_u32_e32 v9, 0x80, v9
	s_delay_alu instid0(VALU_DEP_1) | instskip(SKIP_4) | instid1(VALU_DEP_1)
	v_cmp_le_i32_e64 s3, s4, v9
	s_wait_alu 0xfffe
	s_or_b32 s36, s3, s36
	s_wait_dscnt 0x0
	v_sub_f32_e32 v10, v10, v1
	v_mul_f32_e32 v10, 0x3fb8aa3b, v10
	s_delay_alu instid0(VALU_DEP_1)
	v_exp_f32_e32 v10, v10
	ds_store_b32 v8, v10
	v_dual_add_f32 v7, v7, v10 :: v_dual_add_nc_u32 v8, 0x200, v8
	s_wait_alu 0xfffe
	s_and_not1_b32 exec_lo, exec_lo, s36
	s_cbranch_execnz .LBB284_535
; %bb.536:
	s_or_b32 exec_lo, exec_lo, s36
.LBB284_537:
	s_wait_alu 0xfffe
	s_or_b32 exec_lo, exec_lo, s19
	ds_bpermute_b32 v2, v2, v7
	s_wait_dscnt 0x0
	v_add_f32_e32 v2, v7, v2
	ds_bpermute_b32 v3, v3, v2
	s_wait_dscnt 0x0
	v_add_f32_e32 v2, v2, v3
	;; [unrolled: 3-line block ×5, first 2 shown]
	s_and_saveexec_b32 s3, vcc_lo
; %bb.538:
	ds_store_b32 v6, v2 offset:144
; %bb.539:
	s_wait_alu 0xfffe
	s_or_b32 exec_lo, exec_lo, s3
	s_wait_loadcnt_dscnt 0x0
	s_barrier_signal -1
	s_barrier_wait -1
	global_inv scope:SCOPE_SE
	s_and_saveexec_b32 s3, s0
; %bb.540:
	ds_load_b32 v2, v16 offset:144
; %bb.541:
	s_wait_alu 0xfffe
	s_or_b32 exec_lo, exec_lo, s3
	s_wait_dscnt 0x0
	ds_bpermute_b32 v3, v18, v2
	s_wait_dscnt 0x0
	v_add_f32_e32 v2, v2, v3
	ds_bpermute_b32 v3, v17, v2
	s_wait_dscnt 0x0
	v_dual_add_f32 v2, v2, v3 :: v_dual_mov_b32 v3, 0
	ds_bpermute_b32 v2, v3, v2
	s_and_saveexec_b32 s0, s1
	s_cbranch_execz .LBB284_544
; %bb.542:
	s_wait_dscnt 0x0
	v_add_f32_e32 v3, 0x358637bd, v2
	s_mov_b32 s1, 0
	s_delay_alu instid0(VALU_DEP_1) | instskip(SKIP_1) | instid1(VALU_DEP_2)
	v_div_scale_f32 v5, null, v3, v3, 1.0
	v_div_scale_f32 v8, vcc_lo, 1.0, v3, 1.0
	v_rcp_f32_e32 v6, v5
	s_delay_alu instid0(TRANS32_DEP_1) | instskip(NEXT) | instid1(VALU_DEP_1)
	v_fma_f32 v7, -v5, v6, 1.0
	v_fmac_f32_e32 v6, v7, v6
	s_delay_alu instid0(VALU_DEP_1) | instskip(NEXT) | instid1(VALU_DEP_1)
	v_mul_f32_e32 v7, v8, v6
	v_fma_f32 v9, -v5, v7, v8
	s_delay_alu instid0(VALU_DEP_1) | instskip(NEXT) | instid1(VALU_DEP_1)
	v_fmac_f32_e32 v7, v9, v6
	v_fma_f32 v5, -v5, v7, v8
	s_wait_alu 0xfffd
	s_delay_alu instid0(VALU_DEP_1) | instskip(NEXT) | instid1(VALU_DEP_1)
	v_div_fmas_f32 v5, v5, v6, v7
	v_div_fixup_f32 v3, v5, v3, 1.0
	v_mov_b32_e32 v5, v0
.LBB284_543:                            ; =>This Inner Loop Header: Depth=1
	ds_load_b32 v6, v4
	s_wait_dscnt 0x0
	v_dual_mul_f32 v6, v3, v6 :: v_dual_add_nc_u32 v5, 0x80, v5
	s_delay_alu instid0(VALU_DEP_1) | instskip(SKIP_3) | instid1(SALU_CYCLE_1)
	v_cmp_le_i32_e32 vcc_lo, s4, v5
	ds_store_b32 v4, v6
	v_add_nc_u32_e32 v4, 0x200, v4
	s_or_b32 s1, vcc_lo, s1
	s_and_not1_b32 exec_lo, exec_lo, s1
	s_cbranch_execnz .LBB284_543
.LBB284_544:
	s_or_b32 exec_lo, exec_lo, s0
	s_mul_i32 s0, s7, s28
	s_wait_loadcnt_dscnt 0x0
	s_mul_i32 s28, s0, s29
	s_mov_b32 s0, exec_lo
	s_barrier_signal -1
	s_barrier_wait -1
	global_inv scope:SCOPE_SE
	v_cmpx_eq_u32_e32 0, v0
	s_cbranch_execz .LBB284_546
; %bb.545:
	s_ashr_i32 s29, s28, 31
	s_mul_i32 s40, s7, ttmp9
	s_lshl_b32 s1, s33, 2
	s_lshl_b64 s[42:43], s[28:29], 2
	s_wait_alu 0xfffe
	s_ashr_i32 s41, s40, 31
	v_mov_b32_e32 v3, s1
	s_wait_kmcnt 0x0
	s_add_nc_u64 s[14:15], s[14:15], s[42:43]
	s_wait_alu 0xfffe
	s_lshl_b64 s[40:41], s[40:41], 2
	s_add_nc_u64 s[12:13], s[12:13], s[42:43]
	s_wait_alu 0xfffe
	s_add_nc_u64 s[14:15], s[14:15], s[40:41]
	s_add_nc_u64 s[12:13], s[12:13], s[40:41]
	s_clause 0x1
	global_store_b32 v3, v1, s[14:15]
	global_store_b32 v3, v2, s[12:13]
.LBB284_546:
	s_or_b32 exec_lo, exec_lo, s0
	v_dual_mov_b32 v25, 0 :: v_dual_and_b32 v16, 3, v0
	v_dual_mov_b32 v26, 0 :: v_dual_mov_b32 v23, 0
	v_dual_mov_b32 v24, 0 :: v_dual_mov_b32 v21, 0
	;; [unrolled: 1-line block ×3, first 2 shown]
	v_mov_b32_e32 v20, 0
	s_and_saveexec_b32 s1, s2
	s_cbranch_execz .LBB284_1080
; %bb.547:
	s_abs_i32 s4, s6
	s_wait_kmcnt 0x0
	s_lshl_b64 s[12:13], s[26:27], 2
	s_wait_alu 0xfffe
	s_cvt_f32_u32 s0, s4
	s_mov_b32 s6, s17
	s_add_nc_u64 s[12:13], s[24:25], s[12:13]
	v_dual_mov_b32 v2, 0 :: v_dual_lshlrev_b32 v1, 3, v0
	s_wait_alu 0xfffe
	v_rcp_iflag_f32_e32 v3, s0
	v_dual_mov_b32 v20, 0 :: v_dual_lshlrev_b32 v5, 5, v16
	s_delay_alu instid0(VALU_DEP_2)
	v_dual_mov_b32 v19, 0 :: v_dual_and_b32 v6, 0xf8, v1
	s_ashr_i32 s19, s18, 31
	s_sub_co_i32 s0, 0, s4
	s_wait_alu 0xfffe
	s_add_nc_u64 s[14:15], s[30:31], s[18:19]
	v_dual_mov_b32 v21, 0 :: v_dual_mov_b32 v26, 0
	s_delay_alu instid0(TRANS32_DEP_1)
	v_readfirstlane_b32 s17, v3
	v_add_co_u32 v3, s12, s12, v15
	s_wait_alu 0xf1ff
	v_add_co_ci_u32_e64 v4, null, s13, 0, s12
	s_mul_f32 s12, s17, 0x4f7ffffe
	v_dual_mov_b32 v22, 0 :: v_dual_and_b32 v15, 24, v1
	v_lshl_or_b32 v1, v11, 7, v5
	s_wait_alu 0xfffe
	s_cvt_u32_f32 s13, s12
	v_add_co_u32 v5, s12, s14, v6
	s_wait_alu 0xf1ff
	v_add_co_ci_u32_e64 v6, null, s15, 0, s12
	s_wait_alu 0xfffe
	s_mul_i32 s0, s0, s13
	v_dual_mov_b32 v24, 0 :: v_dual_add_nc_u32 v27, 0xa0, v1
	v_mov_b32_e32 v23, 0
	v_mov_b32_e32 v25, 0
	s_wait_alu 0xfffe
	s_mul_hi_u32 s0, s13, s0
	s_mov_b32 s2, -1
	s_sub_co_i32 s5, s38, s5
	s_mov_b32 s3, 0xffffff
	s_add_co_i32 s37, s37, -1
	s_mov_b32 s12, 0
	s_wait_alu 0xfffe
	s_add_co_i32 s13, s13, s0
	s_branch .LBB284_550
.LBB284_548:                            ;   in Loop: Header=BB284_550 Depth=1
	s_wait_alu 0xfffe
	s_or_b32 exec_lo, exec_lo, s0
	v_dual_add_f32 v9, v9, v10 :: v_dual_add_f32 v10, v50, v51
	v_add_f32_e32 v28, v48, v49
	s_delay_alu instid0(VALU_DEP_2) | instskip(NEXT) | instid1(VALU_DEP_3)
	v_dual_add_f32 v20, v20, v9 :: v_dual_add_f32 v9, v46, v47
	v_add_f32_e32 v21, v21, v10
	;;#ASMSTART
	v_pk_mul_f16 v10, v41, v52;

	;;#ASMEND
	;;#ASMSTART
	v_pk_mul_f16 v8, v40, v8;

	;;#ASMEND
	;; [unrolled: 4-line block ×4, first 2 shown]
	;;#ASMSTART
	v_pk_add_f16 v8, v10, v8;

	;;#ASMEND
	;;#ASMSTART
	v_pk_add_f16 v7, v8, v7;

	;;#ASMEND
	;;#ASMSTART
	v_pk_add_f16 v1, v7, v1;

	;;#ASMEND
	v_dual_add_f32 v7, v42, v43 :: v_dual_and_b32 v10, 0xffff, v1
	v_add_f32_e32 v22, v22, v28
	v_lshrrev_b32_e32 v28, 16, v1
	;;#ASMSTART
	v_cvt_f32_f16 v10, v10;
	;;#ASMEND
	v_add_f32_e32 v1, v44, v45
	v_add_f32_e32 v8, v35, v37
	;;#ASMSTART
	v_cvt_f32_f16 v28, v28;
	;;#ASMEND
	v_dual_add_f32 v10, v10, v28 :: v_dual_add_f32 v23, v23, v9
	s_delay_alu instid0(VALU_DEP_2) | instskip(NEXT) | instid1(VALU_DEP_2)
	v_dual_add_f32 v24, v24, v1 :: v_dual_add_f32 v25, v25, v8
	v_dual_add_f32 v26, v26, v7 :: v_dual_add_f32 v19, v19, v10
.LBB284_549:                            ;   in Loop: Header=BB284_550 Depth=1
	s_wait_alu 0xfffe
	s_or_b32 exec_lo, exec_lo, s14
	v_add_nc_u32_e32 v14, 4, v14
	v_add_co_u32 v3, s0, v3, 16
	s_wait_alu 0xf1ff
	v_add_co_ci_u32_e64 v4, null, 0, v4, s0
	s_delay_alu instid0(VALU_DEP_3)
	v_cmp_le_i32_e32 vcc_lo, s35, v14
	v_add_nc_u32_e32 v13, 0x80, v13
	v_add_nc_u32_e32 v27, 0x200, v27
	s_or_b32 s12, vcc_lo, s12
	s_wait_alu 0xfffe
	s_and_not1_b32 exec_lo, exec_lo, s12
	s_cbranch_execz .LBB284_1079
.LBB284_550:                            ; =>This Inner Loop Header: Depth=1
	v_sub_nc_u32_e32 v1, 0, v13
	s_delay_alu instid0(VALU_DEP_1) | instskip(NEXT) | instid1(VALU_DEP_1)
	v_max_i32_e32 v1, v13, v1
	v_mul_hi_u32 v7, v1, s22
	s_delay_alu instid0(VALU_DEP_1) | instskip(NEXT) | instid1(VALU_DEP_1)
	v_mul_lo_u32 v8, v7, s16
	v_sub_nc_u32_e32 v1, v1, v8
	s_delay_alu instid0(VALU_DEP_1) | instskip(SKIP_2) | instid1(VALU_DEP_2)
	v_subrev_nc_u32_e32 v9, s16, v1
	v_cmp_le_u32_e32 vcc_lo, s16, v1
	s_wait_alu 0xfffd
	v_dual_cndmask_b32 v1, v1, v9 :: v_dual_add_nc_u32 v8, 1, v7
	s_delay_alu instid0(VALU_DEP_1) | instskip(SKIP_1) | instid1(VALU_DEP_3)
	v_cndmask_b32_e32 v7, v7, v8, vcc_lo
	v_ashrrev_i32_e32 v8, 31, v13
	v_cmp_le_u32_e32 vcc_lo, s16, v1
	s_delay_alu instid0(VALU_DEP_3) | instskip(NEXT) | instid1(VALU_DEP_3)
	v_add_nc_u32_e32 v9, 1, v7
	v_xor_b32_e32 v8, s23, v8
	s_wait_alu 0xfffd
	s_delay_alu instid0(VALU_DEP_2) | instskip(NEXT) | instid1(VALU_DEP_1)
	v_cndmask_b32_e32 v1, v7, v9, vcc_lo
	v_xor_b32_e32 v1, v1, v8
	s_delay_alu instid0(VALU_DEP_1) | instskip(NEXT) | instid1(VALU_DEP_1)
	v_sub_nc_u32_e32 v1, v1, v8
	v_add_nc_u32_e32 v7, s21, v1
	v_cmp_lt_i32_e64 s0, s5, v1
	s_delay_alu instid0(VALU_DEP_2) | instskip(NEXT) | instid1(VALU_DEP_1)
	v_sub_nc_u32_e32 v8, 0, v7
	v_max_i32_e32 v8, v7, v8
	v_ashrrev_i32_e32 v7, 31, v7
	s_wait_alu 0xfffe
	s_delay_alu instid0(VALU_DEP_2) | instskip(NEXT) | instid1(VALU_DEP_1)
	v_mul_hi_u32 v9, v8, s13
	v_mul_lo_u32 v9, v9, s4
	s_delay_alu instid0(VALU_DEP_1) | instskip(NEXT) | instid1(VALU_DEP_1)
	v_sub_nc_u32_e32 v8, v8, v9
	v_subrev_nc_u32_e32 v9, s4, v8
	v_cmp_le_u32_e32 vcc_lo, s4, v8
	s_wait_alu 0xfffd
	s_delay_alu instid0(VALU_DEP_2) | instskip(NEXT) | instid1(VALU_DEP_1)
	v_cndmask_b32_e32 v8, v8, v9, vcc_lo
	v_subrev_nc_u32_e32 v9, s4, v8
	v_cmp_le_u32_e32 vcc_lo, s4, v8
	s_wait_alu 0xfffd
	s_delay_alu instid0(VALU_DEP_2) | instskip(NEXT) | instid1(VALU_DEP_1)
	v_cndmask_b32_e32 v8, v8, v9, vcc_lo
	v_xor_b32_e32 v8, v8, v7
	s_delay_alu instid0(VALU_DEP_1) | instskip(NEXT) | instid1(VALU_DEP_1)
	v_sub_nc_u32_e32 v7, v8, v7
	v_cmp_eq_u32_e32 vcc_lo, 0, v7
	s_or_b32 s0, vcc_lo, s0
	s_wait_alu 0xfffe
	s_and_saveexec_b32 s14, s0
	s_cbranch_execz .LBB284_549
; %bb.551:                              ;   in Loop: Header=BB284_550 Depth=1
	global_load_b32 v1, v[3:4], off
	ds_load_2addr_b64 v[28:31], v27 offset1:1
	ds_load_2addr_b64 v[41:44], v27 offset0:2 offset1:3
	s_mov_b32 s0, exec_lo
	s_wait_dscnt 0x1
	;;#ASMSTART
	v_cvt_f16_f32 v35, v28;

	;;#ASMEND
	;;#ASMSTART
	v_cvt_f16_f32 v37, v29;

	;;#ASMEND
	;; [unrolled: 4-line block ×4, first 2 shown]
	s_wait_dscnt 0x0
	;;#ASMSTART
	v_cvt_f16_f32 v41, v41;

	;;#ASMEND
	;;#ASMSTART
	v_cvt_f16_f32 v39, v42;

	;;#ASMEND
	;; [unrolled: 4-line block ×4, first 2 shown]
	v_mov_b32_e32 v31, 0
	s_wait_loadcnt 0x0
	v_mad_co_i64_i32 v[7:8], null, v1, s6, v[5:6]
	global_load_b64 v[9:10], v[7:8], off
	s_wait_loadcnt 0x0
	v_dual_mov_b32 v30, 0 :: v_dual_and_b32 v1, 0xff, v9
	global_load_b32 v29, v30, s[10:11]
	v_cmpx_ne_u16_e32 0, v1
	s_cbranch_execz .LBB284_559
; %bb.552:                              ;   in Loop: Header=BB284_550 Depth=1
	v_mov_b32_e32 v31, 0x8000
	s_mov_b32 s15, exec_lo
	v_cmpx_ne_u16_e32 0x80, v1
	s_cbranch_execz .LBB284_558
; %bb.553:                              ;   in Loop: Header=BB284_550 Depth=1
	v_and_b32_e32 v32, 0x7f, v9
	v_mov_b32_e32 v31, 0x7c01
	s_mov_b32 s17, exec_lo
	s_delay_alu instid0(VALU_DEP_2)
	v_cmpx_ne_u32_e32 0x7f, v32
	s_cbranch_execz .LBB284_557
; %bb.554:                              ;   in Loop: Header=BB284_550 Depth=1
	v_and_b32_e32 v1, 7, v9
	v_lshrrev_b32_e32 v28, 3, v32
	s_mov_b32 s18, exec_lo
	v_cmpx_gt_u32_e32 8, v32
; %bb.555:                              ;   in Loop: Header=BB284_550 Depth=1
	s_delay_alu instid0(VALU_DEP_3) | instskip(NEXT) | instid1(VALU_DEP_1)
	v_clz_i32_u32_e32 v1, v1
	v_min_u32_e32 v1, 32, v1
	s_delay_alu instid0(VALU_DEP_1) | instskip(NEXT) | instid1(VALU_DEP_1)
	v_subrev_nc_u32_e32 v28, 28, v1
	v_lshlrev_b64_e32 v[31:32], v28, v[9:10]
	v_sub_nc_u32_e32 v28, 29, v1
	s_delay_alu instid0(VALU_DEP_2)
	v_and_b32_e32 v1, 7, v31
; %bb.556:                              ;   in Loop: Header=BB284_550 Depth=1
	s_wait_alu 0xfffe
	s_or_b32 exec_lo, exec_lo, s18
	v_lshlrev_b32_e32 v31, 8, v9
	v_lshl_add_u32 v28, v28, 10, 0x2000
	v_lshlrev_b32_e32 v1, 7, v1
	s_delay_alu instid0(VALU_DEP_3) | instskip(NEXT) | instid1(VALU_DEP_3)
	v_and_b32_e32 v31, 0x8000, v31
	v_and_b32_e32 v28, 0xfc00, v28
	s_delay_alu instid0(VALU_DEP_1)
	v_or3_b32 v31, v31, v28, v1
.LBB284_557:                            ;   in Loop: Header=BB284_550 Depth=1
	s_wait_alu 0xfffe
	s_or_b32 exec_lo, exec_lo, s17
.LBB284_558:                            ;   in Loop: Header=BB284_550 Depth=1
	s_wait_alu 0xfffe
	s_or_b32 exec_lo, exec_lo, s15
.LBB284_559:                            ;   in Loop: Header=BB284_550 Depth=1
	s_wait_alu 0xfffe
	s_or_b32 exec_lo, exec_lo, s0
	v_lshrrev_b16 v1, 8, v9
	s_mov_b32 s0, exec_lo
	s_delay_alu instid0(VALU_DEP_1)
	v_cmpx_ne_u16_e32 0, v1
	s_cbranch_execz .LBB284_567
; %bb.560:                              ;   in Loop: Header=BB284_550 Depth=1
	v_bfrev_b32_e32 v30, 1
	s_mov_b32 s15, exec_lo
	v_cmpx_ne_u16_e32 0x80, v1
	s_cbranch_execz .LBB284_566
; %bb.561:                              ;   in Loop: Header=BB284_550 Depth=1
	v_and_b32_e32 v28, 0xffff, v1
	v_mov_b32_e32 v30, 0x7c010000
	s_mov_b32 s17, exec_lo
	s_delay_alu instid0(VALU_DEP_2) | instskip(NEXT) | instid1(VALU_DEP_1)
	v_and_b32_e32 v33, 0x7f, v28
	v_cmpx_ne_u32_e32 0x7f, v33
	s_cbranch_execz .LBB284_565
; %bb.562:                              ;   in Loop: Header=BB284_550 Depth=1
	v_and_b32_e32 v30, 7, v28
	v_lshrrev_b32_e32 v32, 3, v33
	s_mov_b32 s18, exec_lo
	v_cmpx_gt_u32_e32 8, v33
; %bb.563:                              ;   in Loop: Header=BB284_550 Depth=1
	s_delay_alu instid0(VALU_DEP_3) | instskip(NEXT) | instid1(VALU_DEP_1)
	v_clz_i32_u32_e32 v30, v30
	v_min_u32_e32 v30, 32, v30
	s_delay_alu instid0(VALU_DEP_1) | instskip(NEXT) | instid1(VALU_DEP_1)
	v_subrev_nc_u32_e32 v32, 28, v30
	v_lshlrev_b64_e32 v[33:34], v32, v[1:2]
	v_sub_nc_u32_e32 v32, 29, v30
	s_delay_alu instid0(VALU_DEP_2)
	v_and_b32_e32 v30, 7, v33
; %bb.564:                              ;   in Loop: Header=BB284_550 Depth=1
	s_wait_alu 0xfffe
	s_or_b32 exec_lo, exec_lo, s18
	v_lshlrev_b32_e32 v1, 8, v28
	v_lshl_add_u32 v28, v32, 10, 0x2000
	s_delay_alu instid0(VALU_DEP_1) | instskip(SKIP_1) | instid1(VALU_DEP_1)
	v_and_or_b32 v1, 0x8000, v1, v28
	v_lshlrev_b32_e32 v28, 23, v30
	v_lshl_or_b32 v30, v1, 16, v28
.LBB284_565:                            ;   in Loop: Header=BB284_550 Depth=1
	s_wait_alu 0xfffe
	s_or_b32 exec_lo, exec_lo, s17
.LBB284_566:                            ;   in Loop: Header=BB284_550 Depth=1
	s_wait_alu 0xfffe
	s_or_b32 exec_lo, exec_lo, s15
.LBB284_567:                            ;   in Loop: Header=BB284_550 Depth=1
	s_wait_alu 0xfffe
	s_or_b32 exec_lo, exec_lo, s0
	v_lshrrev_b32_e32 v1, 16, v9
	v_mov_b32_e32 v28, 0
	s_mov_b32 s0, exec_lo
	s_delay_alu instid0(VALU_DEP_2) | instskip(NEXT) | instid1(VALU_DEP_1)
	v_dual_mov_b32 v32, 0 :: v_dual_and_b32 v33, 0xff, v1
	v_cmpx_ne_u16_e32 0, v33
	s_cbranch_execz .LBB284_575
; %bb.568:                              ;   in Loop: Header=BB284_550 Depth=1
	v_mov_b32_e32 v28, 0x8000
	s_mov_b32 s15, exec_lo
	v_cmpx_ne_u16_e32 0x80, v33
	s_cbranch_execz .LBB284_574
; %bb.569:                              ;   in Loop: Header=BB284_550 Depth=1
	v_bfe_u32 v34, v9, 16, 7
	v_mov_b32_e32 v28, 0x7c01
	s_mov_b32 s17, exec_lo
	s_delay_alu instid0(VALU_DEP_2)
	v_cmpx_ne_u32_e32 0x7f, v34
	s_cbranch_execz .LBB284_573
; %bb.570:                              ;   in Loop: Header=BB284_550 Depth=1
	v_and_b32_e32 v28, 7, v1
	v_lshrrev_b32_e32 v33, 3, v34
	s_mov_b32 s18, exec_lo
	v_cmpx_gt_u32_e32 8, v34
; %bb.571:                              ;   in Loop: Header=BB284_550 Depth=1
	s_delay_alu instid0(VALU_DEP_3) | instskip(NEXT) | instid1(VALU_DEP_1)
	v_clz_i32_u32_e32 v28, v28
	v_min_u32_e32 v28, 32, v28
	s_delay_alu instid0(VALU_DEP_1) | instskip(NEXT) | instid1(VALU_DEP_1)
	v_subrev_nc_u32_e32 v33, 28, v28
	v_lshlrev_b64_e32 v[44:45], v33, v[1:2]
	v_sub_nc_u32_e32 v33, 29, v28
	s_delay_alu instid0(VALU_DEP_2)
	v_and_b32_e32 v28, 7, v44
; %bb.572:                              ;   in Loop: Header=BB284_550 Depth=1
	s_wait_alu 0xfffe
	s_or_b32 exec_lo, exec_lo, s18
	v_lshlrev_b32_e32 v1, 8, v1
	v_lshl_add_u32 v33, v33, 10, 0x2000
	v_lshlrev_b32_e32 v28, 7, v28
	s_delay_alu instid0(VALU_DEP_3) | instskip(NEXT) | instid1(VALU_DEP_3)
	v_and_b32_e32 v1, 0x8000, v1
	v_and_b32_e32 v33, 0xfc00, v33
	s_delay_alu instid0(VALU_DEP_1)
	v_or3_b32 v28, v1, v33, v28
.LBB284_573:                            ;   in Loop: Header=BB284_550 Depth=1
	s_wait_alu 0xfffe
	s_or_b32 exec_lo, exec_lo, s17
.LBB284_574:                            ;   in Loop: Header=BB284_550 Depth=1
	s_wait_alu 0xfffe
	s_or_b32 exec_lo, exec_lo, s15
.LBB284_575:                            ;   in Loop: Header=BB284_550 Depth=1
	s_wait_alu 0xfffe
	s_or_b32 exec_lo, exec_lo, s0
	s_delay_alu instid0(SALU_CYCLE_1)
	s_mov_b32 s0, exec_lo
	v_cmpx_lt_u32_e32 0xffffff, v9
	s_cbranch_execz .LBB284_583
; %bb.576:                              ;   in Loop: Header=BB284_550 Depth=1
	v_lshrrev_b32_e32 v1, 24, v9
	v_bfrev_b32_e32 v32, 1
	s_mov_b32 s15, exec_lo
	s_delay_alu instid0(VALU_DEP_2)
	v_cmpx_ne_u32_e32 0x80, v1
	s_cbranch_execz .LBB284_582
; %bb.577:                              ;   in Loop: Header=BB284_550 Depth=1
	v_and_b32_e32 v34, 0x7f, v1
	v_mov_b32_e32 v32, 0x7c010000
	s_mov_b32 s17, exec_lo
	s_delay_alu instid0(VALU_DEP_2)
	v_cmpx_ne_u32_e32 0x7f, v34
	s_cbranch_execz .LBB284_581
; %bb.578:                              ;   in Loop: Header=BB284_550 Depth=1
	v_and_b32_e32 v32, 7, v1
	v_lshrrev_b32_e32 v33, 3, v34
	s_mov_b32 s18, exec_lo
	v_cmpx_gt_u32_e32 8, v34
; %bb.579:                              ;   in Loop: Header=BB284_550 Depth=1
	s_delay_alu instid0(VALU_DEP_3) | instskip(NEXT) | instid1(VALU_DEP_1)
	v_clz_i32_u32_e32 v32, v32
	v_min_u32_e32 v34, 32, v32
	s_delay_alu instid0(VALU_DEP_1) | instskip(NEXT) | instid1(VALU_DEP_1)
	v_subrev_nc_u32_e32 v32, 28, v34
	v_lshlrev_b64_e32 v[32:33], v32, v[1:2]
	v_sub_nc_u32_e32 v33, 29, v34
	s_delay_alu instid0(VALU_DEP_2)
	v_and_b32_e32 v32, 7, v32
; %bb.580:                              ;   in Loop: Header=BB284_550 Depth=1
	s_wait_alu 0xfffe
	s_or_b32 exec_lo, exec_lo, s18
	v_lshlrev_b32_e32 v1, 8, v1
	v_lshl_add_u32 v33, v33, 10, 0x2000
	v_lshlrev_b32_e32 v32, 23, v32
	s_delay_alu instid0(VALU_DEP_2) | instskip(NEXT) | instid1(VALU_DEP_1)
	v_and_or_b32 v1, 0x8000, v1, v33
	v_lshl_or_b32 v32, v1, 16, v32
.LBB284_581:                            ;   in Loop: Header=BB284_550 Depth=1
	s_wait_alu 0xfffe
	s_or_b32 exec_lo, exec_lo, s17
.LBB284_582:                            ;   in Loop: Header=BB284_550 Depth=1
	s_wait_alu 0xfffe
	s_or_b32 exec_lo, exec_lo, s15
.LBB284_583:                            ;   in Loop: Header=BB284_550 Depth=1
	s_wait_alu 0xfffe
	s_or_b32 exec_lo, exec_lo, s0
	v_dual_mov_b32 v1, v10 :: v_dual_and_b32 v36, 0xff, v10
	v_dual_mov_b32 v33, 0 :: v_dual_mov_b32 v34, 0
	s_mov_b32 s0, exec_lo
	s_delay_alu instid0(VALU_DEP_2)
	v_cmpx_ne_u16_e32 0, v36
	s_cbranch_execz .LBB284_591
; %bb.584:                              ;   in Loop: Header=BB284_550 Depth=1
	v_mov_b32_e32 v34, 0x8000
	s_mov_b32 s15, exec_lo
	v_cmpx_ne_u16_e32 0x80, v36
	s_cbranch_execz .LBB284_590
; %bb.585:                              ;   in Loop: Header=BB284_550 Depth=1
	v_and_b32_e32 v44, 0x7f, v10
	v_mov_b32_e32 v34, 0x7c01
	s_mov_b32 s17, exec_lo
	s_delay_alu instid0(VALU_DEP_2)
	v_cmpx_ne_u32_e32 0x7f, v44
	s_cbranch_execz .LBB284_589
; %bb.586:                              ;   in Loop: Header=BB284_550 Depth=1
	v_and_b32_e32 v34, 7, v10
	v_lshrrev_b32_e32 v36, 3, v44
	s_mov_b32 s18, exec_lo
	v_cmpx_gt_u32_e32 8, v44
; %bb.587:                              ;   in Loop: Header=BB284_550 Depth=1
	s_delay_alu instid0(VALU_DEP_3) | instskip(NEXT) | instid1(VALU_DEP_1)
	v_clz_i32_u32_e32 v34, v34
	v_min_u32_e32 v34, 32, v34
	s_delay_alu instid0(VALU_DEP_1) | instskip(NEXT) | instid1(VALU_DEP_1)
	v_subrev_nc_u32_e32 v36, 28, v34
	v_lshlrev_b64_e32 v[44:45], v36, v[1:2]
	v_sub_nc_u32_e32 v36, 29, v34
	s_delay_alu instid0(VALU_DEP_2)
	v_and_b32_e32 v34, 7, v44
; %bb.588:                              ;   in Loop: Header=BB284_550 Depth=1
	s_wait_alu 0xfffe
	s_or_b32 exec_lo, exec_lo, s18
	v_lshlrev_b32_e32 v44, 8, v10
	v_lshl_add_u32 v36, v36, 10, 0x2000
	v_lshlrev_b32_e32 v34, 7, v34
	s_delay_alu instid0(VALU_DEP_3) | instskip(NEXT) | instid1(VALU_DEP_3)
	v_and_b32_e32 v44, 0x8000, v44
	v_and_b32_e32 v36, 0xfc00, v36
	s_delay_alu instid0(VALU_DEP_1)
	v_or3_b32 v34, v44, v36, v34
.LBB284_589:                            ;   in Loop: Header=BB284_550 Depth=1
	s_wait_alu 0xfffe
	s_or_b32 exec_lo, exec_lo, s17
.LBB284_590:                            ;   in Loop: Header=BB284_550 Depth=1
	s_wait_alu 0xfffe
	s_or_b32 exec_lo, exec_lo, s15
.LBB284_591:                            ;   in Loop: Header=BB284_550 Depth=1
	s_wait_alu 0xfffe
	s_or_b32 exec_lo, exec_lo, s0
	v_lshrrev_b16 v1, 8, v1
	v_mov_b32_e32 v36, 0
	s_mov_b32 s0, exec_lo
	s_delay_alu instid0(VALU_DEP_2)
	v_cmpx_ne_u16_e32 0, v1
	s_cbranch_execz .LBB284_599
; %bb.592:                              ;   in Loop: Header=BB284_550 Depth=1
	v_bfrev_b32_e32 v36, 1
	s_mov_b32 s15, exec_lo
	v_cmpx_ne_u16_e32 0x80, v1
	s_cbranch_execz .LBB284_598
; %bb.593:                              ;   in Loop: Header=BB284_550 Depth=1
	v_and_b32_e32 v44, 0xffff, v1
	v_mov_b32_e32 v36, 0x7c010000
	s_mov_b32 s17, exec_lo
	s_delay_alu instid0(VALU_DEP_2) | instskip(NEXT) | instid1(VALU_DEP_1)
	v_and_b32_e32 v46, 0x7f, v44
	v_cmpx_ne_u32_e32 0x7f, v46
	s_cbranch_execz .LBB284_597
; %bb.594:                              ;   in Loop: Header=BB284_550 Depth=1
	v_and_b32_e32 v36, 7, v44
	v_lshrrev_b32_e32 v45, 3, v46
	s_mov_b32 s18, exec_lo
	v_cmpx_gt_u32_e32 8, v46
; %bb.595:                              ;   in Loop: Header=BB284_550 Depth=1
	s_delay_alu instid0(VALU_DEP_3) | instskip(NEXT) | instid1(VALU_DEP_1)
	v_clz_i32_u32_e32 v36, v36
	v_min_u32_e32 v36, 32, v36
	s_delay_alu instid0(VALU_DEP_1) | instskip(NEXT) | instid1(VALU_DEP_1)
	v_subrev_nc_u32_e32 v45, 28, v36
	v_lshlrev_b64_e32 v[46:47], v45, v[1:2]
	v_sub_nc_u32_e32 v45, 29, v36
	s_delay_alu instid0(VALU_DEP_2)
	v_and_b32_e32 v36, 7, v46
; %bb.596:                              ;   in Loop: Header=BB284_550 Depth=1
	s_wait_alu 0xfffe
	s_or_b32 exec_lo, exec_lo, s18
	v_lshlrev_b32_e32 v1, 8, v44
	v_lshl_add_u32 v44, v45, 10, 0x2000
	v_lshlrev_b32_e32 v36, 23, v36
	s_delay_alu instid0(VALU_DEP_2) | instskip(NEXT) | instid1(VALU_DEP_1)
	v_and_or_b32 v1, 0x8000, v1, v44
	v_lshl_or_b32 v36, v1, 16, v36
.LBB284_597:                            ;   in Loop: Header=BB284_550 Depth=1
	s_wait_alu 0xfffe
	s_or_b32 exec_lo, exec_lo, s17
.LBB284_598:                            ;   in Loop: Header=BB284_550 Depth=1
	s_wait_alu 0xfffe
	s_or_b32 exec_lo, exec_lo, s15
.LBB284_599:                            ;   in Loop: Header=BB284_550 Depth=1
	s_wait_alu 0xfffe
	s_or_b32 exec_lo, exec_lo, s0
	v_lshrrev_b32_e32 v1, 16, v10
	s_mov_b32 s0, exec_lo
	s_delay_alu instid0(VALU_DEP_1) | instskip(NEXT) | instid1(VALU_DEP_1)
	v_and_b32_e32 v44, 0xff, v1
	v_cmpx_ne_u16_e32 0, v44
	s_cbranch_execz .LBB284_607
; %bb.600:                              ;   in Loop: Header=BB284_550 Depth=1
	v_mov_b32_e32 v33, 0x8000
	s_mov_b32 s15, exec_lo
	v_cmpx_ne_u16_e32 0x80, v44
	s_cbranch_execz .LBB284_606
; %bb.601:                              ;   in Loop: Header=BB284_550 Depth=1
	v_bfe_u32 v45, v10, 16, 7
	v_mov_b32_e32 v33, 0x7c01
	s_mov_b32 s17, exec_lo
	s_delay_alu instid0(VALU_DEP_2)
	v_cmpx_ne_u32_e32 0x7f, v45
	s_cbranch_execz .LBB284_605
; %bb.602:                              ;   in Loop: Header=BB284_550 Depth=1
	v_and_b32_e32 v33, 7, v1
	v_lshrrev_b32_e32 v44, 3, v45
	s_mov_b32 s18, exec_lo
	v_cmpx_gt_u32_e32 8, v45
; %bb.603:                              ;   in Loop: Header=BB284_550 Depth=1
	s_delay_alu instid0(VALU_DEP_3) | instskip(NEXT) | instid1(VALU_DEP_1)
	v_clz_i32_u32_e32 v33, v33
	v_min_u32_e32 v33, 32, v33
	s_delay_alu instid0(VALU_DEP_1) | instskip(NEXT) | instid1(VALU_DEP_1)
	v_subrev_nc_u32_e32 v44, 28, v33
	v_lshlrev_b64_e32 v[45:46], v44, v[1:2]
	v_sub_nc_u32_e32 v44, 29, v33
	s_delay_alu instid0(VALU_DEP_2)
	v_and_b32_e32 v33, 7, v45
; %bb.604:                              ;   in Loop: Header=BB284_550 Depth=1
	s_wait_alu 0xfffe
	s_or_b32 exec_lo, exec_lo, s18
	v_lshlrev_b32_e32 v1, 8, v1
	v_lshl_add_u32 v44, v44, 10, 0x2000
	v_lshlrev_b32_e32 v33, 7, v33
	s_delay_alu instid0(VALU_DEP_3) | instskip(NEXT) | instid1(VALU_DEP_3)
	v_and_b32_e32 v1, 0x8000, v1
	v_and_b32_e32 v44, 0xfc00, v44
	s_delay_alu instid0(VALU_DEP_1)
	v_or3_b32 v33, v1, v44, v33
.LBB284_605:                            ;   in Loop: Header=BB284_550 Depth=1
	s_wait_alu 0xfffe
	s_or_b32 exec_lo, exec_lo, s17
.LBB284_606:                            ;   in Loop: Header=BB284_550 Depth=1
	s_wait_alu 0xfffe
	s_or_b32 exec_lo, exec_lo, s15
.LBB284_607:                            ;   in Loop: Header=BB284_550 Depth=1
	s_wait_alu 0xfffe
	s_or_b32 exec_lo, exec_lo, s0
	v_cmp_lt_u64_e32 vcc_lo, s[2:3], v[9:10]
	v_mov_b32_e32 v9, 0
	s_and_saveexec_b32 s0, vcc_lo
	s_cbranch_execz .LBB284_615
; %bb.608:                              ;   in Loop: Header=BB284_550 Depth=1
	v_lshrrev_b32_e32 v1, 24, v10
	v_bfrev_b32_e32 v9, 1
	s_mov_b32 s15, exec_lo
	s_delay_alu instid0(VALU_DEP_2)
	v_cmpx_ne_u32_e32 0x80, v1
	s_cbranch_execz .LBB284_614
; %bb.609:                              ;   in Loop: Header=BB284_550 Depth=1
	v_and_b32_e32 v44, 0x7f, v1
	v_mov_b32_e32 v9, 0x7c010000
	s_mov_b32 s17, exec_lo
	s_delay_alu instid0(VALU_DEP_2)
	v_cmpx_ne_u32_e32 0x7f, v44
	s_cbranch_execz .LBB284_613
; %bb.610:                              ;   in Loop: Header=BB284_550 Depth=1
	v_and_b32_e32 v9, 7, v1
	v_lshrrev_b32_e32 v10, 3, v44
	s_mov_b32 s18, exec_lo
	v_cmpx_gt_u32_e32 8, v44
; %bb.611:                              ;   in Loop: Header=BB284_550 Depth=1
	s_delay_alu instid0(VALU_DEP_3) | instskip(NEXT) | instid1(VALU_DEP_1)
	v_clz_i32_u32_e32 v9, v9
	v_min_u32_e32 v44, 32, v9
	s_delay_alu instid0(VALU_DEP_1) | instskip(NEXT) | instid1(VALU_DEP_1)
	v_subrev_nc_u32_e32 v9, 28, v44
	v_lshlrev_b64_e32 v[9:10], v9, v[1:2]
	v_sub_nc_u32_e32 v10, 29, v44
	s_delay_alu instid0(VALU_DEP_2)
	v_and_b32_e32 v9, 7, v9
; %bb.612:                              ;   in Loop: Header=BB284_550 Depth=1
	s_wait_alu 0xfffe
	s_or_b32 exec_lo, exec_lo, s18
	v_lshlrev_b32_e32 v1, 8, v1
	v_lshl_add_u32 v10, v10, 10, 0x2000
	v_lshlrev_b32_e32 v9, 23, v9
	s_delay_alu instid0(VALU_DEP_2) | instskip(NEXT) | instid1(VALU_DEP_1)
	v_and_or_b32 v1, 0x8000, v1, v10
	v_lshl_or_b32 v9, v1, 16, v9
.LBB284_613:                            ;   in Loop: Header=BB284_550 Depth=1
	s_wait_alu 0xfffe
	s_or_b32 exec_lo, exec_lo, s17
.LBB284_614:                            ;   in Loop: Header=BB284_550 Depth=1
	s_wait_alu 0xfffe
	s_or_b32 exec_lo, exec_lo, s15
.LBB284_615:                            ;   in Loop: Header=BB284_550 Depth=1
	s_wait_alu 0xfffe
	s_or_b32 exec_lo, exec_lo, s0
	v_or_b32_e32 v1, v32, v28
	s_wait_loadcnt 0x0
	v_fma_mixlo_f16 v10, v29, v32, 0 op_sel:[0,1,0] op_sel_hi:[0,1,0]
	v_or_b32_e32 v31, v30, v31
	v_fma_mixlo_f16 v30, v29, v30, 0 op_sel:[0,1,0] op_sel_hi:[0,1,0]
	v_or_b32_e32 v32, v36, v34
	v_fma_mixlo_f16 v1, v29, v1, 0 op_sel_hi:[0,1,0]
	v_or_b32_e32 v33, v9, v33
	v_fma_mixlo_f16 v9, v29, v9, 0 op_sel:[0,1,0] op_sel_hi:[0,1,0]
	v_lshlrev_b32_e32 v50, 16, v30
	v_fma_mixlo_f16 v30, v29, v36, 0 op_sel:[0,1,0] op_sel_hi:[0,1,0]
	v_and_b32_e32 v47, 0xffff, v1
	v_fma_mixlo_f16 v1, v29, v31, 0 op_sel_hi:[0,1,0]
	v_fma_mixlo_f16 v31, v29, v32, 0 op_sel_hi:[0,1,0]
	;; [unrolled: 1-line block ×3, first 2 shown]
	v_add_nc_u32_e32 v28, v15, v13
	v_lshlrev_b32_e32 v10, 16, v10
	v_and_b32_e32 v52, 0xffff, v1
	v_lshlrev_b32_e32 v48, 16, v30
	v_and_b32_e32 v51, 0xffff, v31
	;; [unrolled: 2-line block ×3, first 2 shown]
	v_cmp_eq_u32_e32 vcc_lo, s37, v14
	v_or_b32_e32 v1, v10, v47
	v_or_b32_e32 v9, v50, v52
	v_or_b32_e32 v44, v48, v51
	v_or_b32_e32 v46, v45, v49
	v_add_nc_u32_e32 v36, 1, v28
	v_add_nc_u32_e32 v34, 2, v28
	;; [unrolled: 1-line block ×7, first 2 shown]
	s_and_saveexec_b32 s15, vcc_lo
	s_cbranch_execz .LBB284_617
; %bb.616:                              ;   in Loop: Header=BB284_550 Depth=1
	v_cmp_gt_i32_e64 s0, s34, v28
	s_wait_alu 0xf1ff
	s_delay_alu instid0(VALU_DEP_1) | instskip(SKIP_2) | instid1(VALU_DEP_1)
	v_cndmask_b32_e64 v1, 0, v52, s0
	v_cmp_gt_i32_e64 s0, s34, v36
	s_wait_alu 0xf1ff
	v_cndmask_b32_e64 v9, 0, v50, s0
	v_cmp_gt_i32_e64 s0, s34, v34
	s_delay_alu instid0(VALU_DEP_2) | instskip(SKIP_1) | instid1(VALU_DEP_2)
	v_or_b32_e32 v9, v9, v1
	s_wait_alu 0xf1ff
	v_cndmask_b32_e64 v44, 0, v47, s0
	v_cmp_gt_i32_e64 s0, s34, v33
	s_wait_alu 0xf1ff
	s_delay_alu instid0(VALU_DEP_1) | instskip(SKIP_1) | instid1(VALU_DEP_2)
	v_cndmask_b32_e64 v10, 0, v10, s0
	v_cmp_gt_i32_e64 s0, s34, v32
	v_or_b32_e32 v1, v10, v44
	s_wait_alu 0xf1ff
	s_delay_alu instid0(VALU_DEP_2) | instskip(SKIP_2) | instid1(VALU_DEP_1)
	v_cndmask_b32_e64 v46, 0, v51, s0
	v_cmp_gt_i32_e64 s0, s34, v31
	s_wait_alu 0xf1ff
	v_cndmask_b32_e64 v47, 0, v48, s0
	v_cmp_gt_i32_e64 s0, s34, v30
	s_delay_alu instid0(VALU_DEP_2) | instskip(SKIP_1) | instid1(VALU_DEP_2)
	v_or_b32_e32 v44, v47, v46
	s_wait_alu 0xf1ff
	v_cndmask_b32_e64 v48, 0, v49, s0
	v_cmp_gt_i32_e64 s0, s34, v29
	s_wait_alu 0xf1ff
	s_delay_alu instid0(VALU_DEP_1) | instskip(NEXT) | instid1(VALU_DEP_1)
	v_cndmask_b32_e64 v45, 0, v45, s0
	v_or_b32_e32 v46, v45, v48
.LBB284_617:                            ;   in Loop: Header=BB284_550 Depth=1
	s_wait_alu 0xfffe
	s_or_b32 exec_lo, exec_lo, s15
	v_and_b32_e32 v10, 0xffff, v35
	v_and_b32_e32 v35, 0xffff, v40
	;; [unrolled: 1-line block ×4, first 2 shown]
	s_mov_b32 s15, exec_lo
	s_delay_alu instid0(VALU_DEP_3) | instskip(NEXT) | instid1(VALU_DEP_3)
	v_lshl_or_b32 v40, v38, 16, v35
	v_lshl_or_b32 v38, v42, 16, v43
	v_mov_b32_e32 v43, 0
	v_lshl_or_b32 v41, v37, 16, v10
	;;#ASMSTART
	v_pk_mul_f16 v9, v41, v9;

	;;#ASMEND
	;;#ASMSTART
	v_pk_mul_f16 v1, v40, v1;

	;;#ASMEND
	v_lshl_or_b32 v39, v39, 16, v45
	;;#ASMSTART
	v_pk_mul_f16 v10, v39, v44;

	;;#ASMEND
	;;#ASMSTART
	v_pk_mul_f16 v35, v38, v46;

	;;#ASMEND
	;;#ASMSTART
	v_pk_add_f16 v1, v9, v1;

	;;#ASMEND
	;;#ASMSTART
	v_pk_add_f16 v1, v1, v10;
	;; [unrolled: 4-line block ×3, first 2 shown]

	;;#ASMEND
	v_and_b32_e32 v9, 0xffff, v1
	v_lshrrev_b32_e32 v1, 16, v1
	;;#ASMSTART
	v_cvt_f32_f16 v35, v9;
	;;#ASMEND
	;;#ASMSTART
	v_cvt_f32_f16 v37, v1;
	;;#ASMEND
	global_load_b64 v[9:10], v[7:8], off offset:256
	global_load_b32 v42, v43, s[10:11]
	s_wait_loadcnt 0x1
	v_dual_mov_b32 v44, 0 :: v_dual_and_b32 v1, 0xff, v9
	s_delay_alu instid0(VALU_DEP_1)
	v_cmpx_ne_u16_e32 0, v1
	s_cbranch_execz .LBB284_625
; %bb.618:                              ;   in Loop: Header=BB284_550 Depth=1
	v_mov_b32_e32 v44, 0x8000
	s_mov_b32 s17, exec_lo
	v_cmpx_ne_u16_e32 0x80, v1
	s_cbranch_execz .LBB284_624
; %bb.619:                              ;   in Loop: Header=BB284_550 Depth=1
	v_and_b32_e32 v45, 0x7f, v9
	v_mov_b32_e32 v44, 0x7c01
	s_mov_b32 s18, exec_lo
	s_delay_alu instid0(VALU_DEP_2)
	v_cmpx_ne_u32_e32 0x7f, v45
	s_cbranch_execz .LBB284_623
; %bb.620:                              ;   in Loop: Header=BB284_550 Depth=1
	v_and_b32_e32 v1, 7, v9
	v_lshrrev_b32_e32 v44, 3, v45
	s_mov_b32 s19, exec_lo
	v_cmpx_gt_u32_e32 8, v45
; %bb.621:                              ;   in Loop: Header=BB284_550 Depth=1
	s_delay_alu instid0(VALU_DEP_3) | instskip(NEXT) | instid1(VALU_DEP_1)
	v_clz_i32_u32_e32 v1, v1
	v_min_u32_e32 v1, 32, v1
	s_delay_alu instid0(VALU_DEP_1) | instskip(NEXT) | instid1(VALU_DEP_1)
	v_subrev_nc_u32_e32 v44, 28, v1
	v_lshlrev_b64_e32 v[45:46], v44, v[9:10]
	v_sub_nc_u32_e32 v44, 29, v1
	s_delay_alu instid0(VALU_DEP_2)
	v_and_b32_e32 v1, 7, v45
; %bb.622:                              ;   in Loop: Header=BB284_550 Depth=1
	s_wait_alu 0xfffe
	s_or_b32 exec_lo, exec_lo, s19
	v_lshlrev_b32_e32 v45, 8, v9
	v_lshl_add_u32 v44, v44, 10, 0x2000
	v_lshlrev_b32_e32 v1, 7, v1
	s_delay_alu instid0(VALU_DEP_3) | instskip(NEXT) | instid1(VALU_DEP_3)
	v_and_b32_e32 v45, 0x8000, v45
	v_and_b32_e32 v44, 0xfc00, v44
	s_delay_alu instid0(VALU_DEP_1)
	v_or3_b32 v44, v45, v44, v1
.LBB284_623:                            ;   in Loop: Header=BB284_550 Depth=1
	s_wait_alu 0xfffe
	s_or_b32 exec_lo, exec_lo, s18
.LBB284_624:                            ;   in Loop: Header=BB284_550 Depth=1
	s_wait_alu 0xfffe
	s_or_b32 exec_lo, exec_lo, s17
.LBB284_625:                            ;   in Loop: Header=BB284_550 Depth=1
	s_wait_alu 0xfffe
	s_or_b32 exec_lo, exec_lo, s15
	v_lshrrev_b16 v1, 8, v9
	s_mov_b32 s15, exec_lo
	s_delay_alu instid0(VALU_DEP_1)
	v_cmpx_ne_u16_e32 0, v1
	s_cbranch_execz .LBB284_633
; %bb.626:                              ;   in Loop: Header=BB284_550 Depth=1
	v_bfrev_b32_e32 v43, 1
	s_mov_b32 s17, exec_lo
	v_cmpx_ne_u16_e32 0x80, v1
	s_cbranch_execz .LBB284_632
; %bb.627:                              ;   in Loop: Header=BB284_550 Depth=1
	v_and_b32_e32 v45, 0xffff, v1
	v_mov_b32_e32 v43, 0x7c010000
	s_mov_b32 s18, exec_lo
	s_delay_alu instid0(VALU_DEP_2) | instskip(NEXT) | instid1(VALU_DEP_1)
	v_and_b32_e32 v47, 0x7f, v45
	v_cmpx_ne_u32_e32 0x7f, v47
	s_cbranch_execz .LBB284_631
; %bb.628:                              ;   in Loop: Header=BB284_550 Depth=1
	v_and_b32_e32 v43, 7, v45
	v_lshrrev_b32_e32 v46, 3, v47
	s_mov_b32 s19, exec_lo
	v_cmpx_gt_u32_e32 8, v47
; %bb.629:                              ;   in Loop: Header=BB284_550 Depth=1
	s_delay_alu instid0(VALU_DEP_3) | instskip(NEXT) | instid1(VALU_DEP_1)
	v_clz_i32_u32_e32 v43, v43
	v_min_u32_e32 v43, 32, v43
	s_delay_alu instid0(VALU_DEP_1) | instskip(NEXT) | instid1(VALU_DEP_1)
	v_subrev_nc_u32_e32 v46, 28, v43
	v_lshlrev_b64_e32 v[47:48], v46, v[1:2]
	v_sub_nc_u32_e32 v46, 29, v43
	s_delay_alu instid0(VALU_DEP_2)
	v_and_b32_e32 v43, 7, v47
; %bb.630:                              ;   in Loop: Header=BB284_550 Depth=1
	s_wait_alu 0xfffe
	s_or_b32 exec_lo, exec_lo, s19
	v_lshlrev_b32_e32 v1, 8, v45
	v_lshl_add_u32 v45, v46, 10, 0x2000
	v_lshlrev_b32_e32 v43, 23, v43
	s_delay_alu instid0(VALU_DEP_2) | instskip(NEXT) | instid1(VALU_DEP_1)
	v_and_or_b32 v1, 0x8000, v1, v45
	v_lshl_or_b32 v43, v1, 16, v43
.LBB284_631:                            ;   in Loop: Header=BB284_550 Depth=1
	s_wait_alu 0xfffe
	s_or_b32 exec_lo, exec_lo, s18
.LBB284_632:                            ;   in Loop: Header=BB284_550 Depth=1
	s_wait_alu 0xfffe
	s_or_b32 exec_lo, exec_lo, s17
.LBB284_633:                            ;   in Loop: Header=BB284_550 Depth=1
	s_wait_alu 0xfffe
	s_or_b32 exec_lo, exec_lo, s15
	v_lshrrev_b32_e32 v1, 16, v9
	v_mov_b32_e32 v45, 0
	s_mov_b32 s15, exec_lo
	s_delay_alu instid0(VALU_DEP_2) | instskip(NEXT) | instid1(VALU_DEP_1)
	v_dual_mov_b32 v46, 0 :: v_dual_and_b32 v47, 0xff, v1
	v_cmpx_ne_u16_e32 0, v47
	s_cbranch_execz .LBB284_641
; %bb.634:                              ;   in Loop: Header=BB284_550 Depth=1
	v_mov_b32_e32 v46, 0x8000
	s_mov_b32 s17, exec_lo
	v_cmpx_ne_u16_e32 0x80, v47
	s_cbranch_execz .LBB284_640
; %bb.635:                              ;   in Loop: Header=BB284_550 Depth=1
	v_bfe_u32 v48, v9, 16, 7
	v_mov_b32_e32 v46, 0x7c01
	s_mov_b32 s18, exec_lo
	s_delay_alu instid0(VALU_DEP_2)
	v_cmpx_ne_u32_e32 0x7f, v48
	s_cbranch_execz .LBB284_639
; %bb.636:                              ;   in Loop: Header=BB284_550 Depth=1
	v_and_b32_e32 v46, 7, v1
	v_lshrrev_b32_e32 v47, 3, v48
	s_mov_b32 s19, exec_lo
	v_cmpx_gt_u32_e32 8, v48
; %bb.637:                              ;   in Loop: Header=BB284_550 Depth=1
	s_delay_alu instid0(VALU_DEP_3) | instskip(NEXT) | instid1(VALU_DEP_1)
	v_clz_i32_u32_e32 v46, v46
	v_min_u32_e32 v48, 32, v46
	s_delay_alu instid0(VALU_DEP_1) | instskip(NEXT) | instid1(VALU_DEP_1)
	v_subrev_nc_u32_e32 v46, 28, v48
	v_lshlrev_b64_e32 v[46:47], v46, v[1:2]
	v_sub_nc_u32_e32 v47, 29, v48
	s_delay_alu instid0(VALU_DEP_2)
	v_and_b32_e32 v46, 7, v46
; %bb.638:                              ;   in Loop: Header=BB284_550 Depth=1
	s_wait_alu 0xfffe
	s_or_b32 exec_lo, exec_lo, s19
	v_lshlrev_b32_e32 v1, 8, v1
	v_lshl_add_u32 v47, v47, 10, 0x2000
	v_lshlrev_b32_e32 v46, 7, v46
	s_delay_alu instid0(VALU_DEP_3) | instskip(NEXT) | instid1(VALU_DEP_3)
	v_and_b32_e32 v1, 0x8000, v1
	v_and_b32_e32 v47, 0xfc00, v47
	s_delay_alu instid0(VALU_DEP_1)
	v_or3_b32 v46, v1, v47, v46
.LBB284_639:                            ;   in Loop: Header=BB284_550 Depth=1
	s_wait_alu 0xfffe
	s_or_b32 exec_lo, exec_lo, s18
.LBB284_640:                            ;   in Loop: Header=BB284_550 Depth=1
	s_wait_alu 0xfffe
	s_or_b32 exec_lo, exec_lo, s17
.LBB284_641:                            ;   in Loop: Header=BB284_550 Depth=1
	s_wait_alu 0xfffe
	s_or_b32 exec_lo, exec_lo, s15
	s_delay_alu instid0(SALU_CYCLE_1)
	s_mov_b32 s15, exec_lo
	v_cmpx_lt_u32_e32 0xffffff, v9
	s_cbranch_execz .LBB284_649
; %bb.642:                              ;   in Loop: Header=BB284_550 Depth=1
	v_lshrrev_b32_e32 v1, 24, v9
	v_bfrev_b32_e32 v45, 1
	s_mov_b32 s17, exec_lo
	s_delay_alu instid0(VALU_DEP_2)
	v_cmpx_ne_u32_e32 0x80, v1
	s_cbranch_execz .LBB284_648
; %bb.643:                              ;   in Loop: Header=BB284_550 Depth=1
	v_and_b32_e32 v48, 0x7f, v1
	v_mov_b32_e32 v45, 0x7c010000
	s_mov_b32 s18, exec_lo
	s_delay_alu instid0(VALU_DEP_2)
	v_cmpx_ne_u32_e32 0x7f, v48
	s_cbranch_execz .LBB284_647
; %bb.644:                              ;   in Loop: Header=BB284_550 Depth=1
	v_and_b32_e32 v45, 7, v1
	v_lshrrev_b32_e32 v47, 3, v48
	s_mov_b32 s19, exec_lo
	v_cmpx_gt_u32_e32 8, v48
; %bb.645:                              ;   in Loop: Header=BB284_550 Depth=1
	s_delay_alu instid0(VALU_DEP_3) | instskip(NEXT) | instid1(VALU_DEP_1)
	v_clz_i32_u32_e32 v45, v45
	v_min_u32_e32 v45, 32, v45
	s_delay_alu instid0(VALU_DEP_1) | instskip(NEXT) | instid1(VALU_DEP_1)
	v_subrev_nc_u32_e32 v47, 28, v45
	v_lshlrev_b64_e32 v[48:49], v47, v[1:2]
	v_sub_nc_u32_e32 v47, 29, v45
	s_delay_alu instid0(VALU_DEP_2)
	v_and_b32_e32 v45, 7, v48
; %bb.646:                              ;   in Loop: Header=BB284_550 Depth=1
	s_wait_alu 0xfffe
	s_or_b32 exec_lo, exec_lo, s19
	v_lshlrev_b32_e32 v1, 8, v1
	v_lshl_add_u32 v47, v47, 10, 0x2000
	v_lshlrev_b32_e32 v45, 23, v45
	s_delay_alu instid0(VALU_DEP_2) | instskip(NEXT) | instid1(VALU_DEP_1)
	v_and_or_b32 v1, 0x8000, v1, v47
	v_lshl_or_b32 v45, v1, 16, v45
.LBB284_647:                            ;   in Loop: Header=BB284_550 Depth=1
	s_wait_alu 0xfffe
	s_or_b32 exec_lo, exec_lo, s18
.LBB284_648:                            ;   in Loop: Header=BB284_550 Depth=1
	s_wait_alu 0xfffe
	s_or_b32 exec_lo, exec_lo, s17
.LBB284_649:                            ;   in Loop: Header=BB284_550 Depth=1
	s_wait_alu 0xfffe
	s_or_b32 exec_lo, exec_lo, s15
	v_dual_mov_b32 v48, 0 :: v_dual_and_b32 v49, 0xff, v10
	v_mov_b32_e32 v1, v10
	v_mov_b32_e32 v47, 0
	s_mov_b32 s15, exec_lo
	s_delay_alu instid0(VALU_DEP_3)
	v_cmpx_ne_u16_e32 0, v49
	s_cbranch_execz .LBB284_657
; %bb.650:                              ;   in Loop: Header=BB284_550 Depth=1
	v_mov_b32_e32 v48, 0x8000
	s_mov_b32 s17, exec_lo
	v_cmpx_ne_u16_e32 0x80, v49
	s_cbranch_execz .LBB284_656
; %bb.651:                              ;   in Loop: Header=BB284_550 Depth=1
	v_and_b32_e32 v50, 0x7f, v10
	v_mov_b32_e32 v48, 0x7c01
	s_mov_b32 s18, exec_lo
	s_delay_alu instid0(VALU_DEP_2)
	v_cmpx_ne_u32_e32 0x7f, v50
	s_cbranch_execz .LBB284_655
; %bb.652:                              ;   in Loop: Header=BB284_550 Depth=1
	v_and_b32_e32 v48, 7, v10
	v_lshrrev_b32_e32 v49, 3, v50
	s_mov_b32 s19, exec_lo
	v_cmpx_gt_u32_e32 8, v50
; %bb.653:                              ;   in Loop: Header=BB284_550 Depth=1
	s_delay_alu instid0(VALU_DEP_3) | instskip(NEXT) | instid1(VALU_DEP_1)
	v_clz_i32_u32_e32 v48, v48
	v_min_u32_e32 v50, 32, v48
	s_delay_alu instid0(VALU_DEP_1) | instskip(NEXT) | instid1(VALU_DEP_1)
	v_subrev_nc_u32_e32 v48, 28, v50
	v_lshlrev_b64_e32 v[48:49], v48, v[1:2]
	v_sub_nc_u32_e32 v49, 29, v50
	s_delay_alu instid0(VALU_DEP_2)
	v_and_b32_e32 v48, 7, v48
; %bb.654:                              ;   in Loop: Header=BB284_550 Depth=1
	s_wait_alu 0xfffe
	s_or_b32 exec_lo, exec_lo, s19
	v_lshlrev_b32_e32 v50, 8, v10
	v_lshl_add_u32 v49, v49, 10, 0x2000
	v_lshlrev_b32_e32 v48, 7, v48
	s_delay_alu instid0(VALU_DEP_3) | instskip(NEXT) | instid1(VALU_DEP_3)
	v_and_b32_e32 v50, 0x8000, v50
	v_and_b32_e32 v49, 0xfc00, v49
	s_delay_alu instid0(VALU_DEP_1)
	v_or3_b32 v48, v50, v49, v48
.LBB284_655:                            ;   in Loop: Header=BB284_550 Depth=1
	s_wait_alu 0xfffe
	s_or_b32 exec_lo, exec_lo, s18
.LBB284_656:                            ;   in Loop: Header=BB284_550 Depth=1
	s_wait_alu 0xfffe
	s_or_b32 exec_lo, exec_lo, s17
.LBB284_657:                            ;   in Loop: Header=BB284_550 Depth=1
	s_wait_alu 0xfffe
	s_or_b32 exec_lo, exec_lo, s15
	v_lshrrev_b16 v1, 8, v1
	v_mov_b32_e32 v49, 0
	s_mov_b32 s15, exec_lo
	s_delay_alu instid0(VALU_DEP_2)
	v_cmpx_ne_u16_e32 0, v1
	s_cbranch_execz .LBB284_665
; %bb.658:                              ;   in Loop: Header=BB284_550 Depth=1
	v_bfrev_b32_e32 v49, 1
	s_mov_b32 s17, exec_lo
	v_cmpx_ne_u16_e32 0x80, v1
	s_cbranch_execz .LBB284_664
; %bb.659:                              ;   in Loop: Header=BB284_550 Depth=1
	v_and_b32_e32 v50, 0xffff, v1
	v_mov_b32_e32 v49, 0x7c010000
	s_mov_b32 s18, exec_lo
	s_delay_alu instid0(VALU_DEP_2) | instskip(NEXT) | instid1(VALU_DEP_1)
	v_and_b32_e32 v52, 0x7f, v50
	v_cmpx_ne_u32_e32 0x7f, v52
	s_cbranch_execz .LBB284_663
; %bb.660:                              ;   in Loop: Header=BB284_550 Depth=1
	v_and_b32_e32 v49, 7, v50
	v_lshrrev_b32_e32 v51, 3, v52
	s_mov_b32 s19, exec_lo
	v_cmpx_gt_u32_e32 8, v52
; %bb.661:                              ;   in Loop: Header=BB284_550 Depth=1
	s_delay_alu instid0(VALU_DEP_3) | instskip(NEXT) | instid1(VALU_DEP_1)
	v_clz_i32_u32_e32 v49, v49
	v_min_u32_e32 v49, 32, v49
	s_delay_alu instid0(VALU_DEP_1) | instskip(NEXT) | instid1(VALU_DEP_1)
	v_subrev_nc_u32_e32 v51, 28, v49
	v_lshlrev_b64_e32 v[52:53], v51, v[1:2]
	v_sub_nc_u32_e32 v51, 29, v49
	s_delay_alu instid0(VALU_DEP_2)
	v_and_b32_e32 v49, 7, v52
; %bb.662:                              ;   in Loop: Header=BB284_550 Depth=1
	s_wait_alu 0xfffe
	s_or_b32 exec_lo, exec_lo, s19
	v_lshlrev_b32_e32 v1, 8, v50
	v_lshl_add_u32 v50, v51, 10, 0x2000
	v_lshlrev_b32_e32 v49, 23, v49
	s_delay_alu instid0(VALU_DEP_2) | instskip(NEXT) | instid1(VALU_DEP_1)
	v_and_or_b32 v1, 0x8000, v1, v50
	v_lshl_or_b32 v49, v1, 16, v49
.LBB284_663:                            ;   in Loop: Header=BB284_550 Depth=1
	s_wait_alu 0xfffe
	s_or_b32 exec_lo, exec_lo, s18
.LBB284_664:                            ;   in Loop: Header=BB284_550 Depth=1
	s_wait_alu 0xfffe
	s_or_b32 exec_lo, exec_lo, s17
.LBB284_665:                            ;   in Loop: Header=BB284_550 Depth=1
	s_wait_alu 0xfffe
	s_or_b32 exec_lo, exec_lo, s15
	v_lshrrev_b32_e32 v1, 16, v10
	s_mov_b32 s15, exec_lo
	s_delay_alu instid0(VALU_DEP_1) | instskip(NEXT) | instid1(VALU_DEP_1)
	v_and_b32_e32 v50, 0xff, v1
	v_cmpx_ne_u16_e32 0, v50
	s_cbranch_execz .LBB284_673
; %bb.666:                              ;   in Loop: Header=BB284_550 Depth=1
	v_mov_b32_e32 v47, 0x8000
	s_mov_b32 s17, exec_lo
	v_cmpx_ne_u16_e32 0x80, v50
	s_cbranch_execz .LBB284_672
; %bb.667:                              ;   in Loop: Header=BB284_550 Depth=1
	v_bfe_u32 v51, v10, 16, 7
	v_mov_b32_e32 v47, 0x7c01
	s_mov_b32 s18, exec_lo
	s_delay_alu instid0(VALU_DEP_2)
	v_cmpx_ne_u32_e32 0x7f, v51
	s_cbranch_execz .LBB284_671
; %bb.668:                              ;   in Loop: Header=BB284_550 Depth=1
	v_and_b32_e32 v47, 7, v1
	v_lshrrev_b32_e32 v50, 3, v51
	s_mov_b32 s19, exec_lo
	v_cmpx_gt_u32_e32 8, v51
; %bb.669:                              ;   in Loop: Header=BB284_550 Depth=1
	s_delay_alu instid0(VALU_DEP_3) | instskip(NEXT) | instid1(VALU_DEP_1)
	v_clz_i32_u32_e32 v47, v47
	v_min_u32_e32 v47, 32, v47
	s_delay_alu instid0(VALU_DEP_1) | instskip(NEXT) | instid1(VALU_DEP_1)
	v_subrev_nc_u32_e32 v50, 28, v47
	v_lshlrev_b64_e32 v[51:52], v50, v[1:2]
	v_sub_nc_u32_e32 v50, 29, v47
	s_delay_alu instid0(VALU_DEP_2)
	v_and_b32_e32 v47, 7, v51
; %bb.670:                              ;   in Loop: Header=BB284_550 Depth=1
	s_wait_alu 0xfffe
	s_or_b32 exec_lo, exec_lo, s19
	v_lshlrev_b32_e32 v1, 8, v1
	v_lshl_add_u32 v50, v50, 10, 0x2000
	v_lshlrev_b32_e32 v47, 7, v47
	s_delay_alu instid0(VALU_DEP_3) | instskip(NEXT) | instid1(VALU_DEP_3)
	v_and_b32_e32 v1, 0x8000, v1
	v_and_b32_e32 v50, 0xfc00, v50
	s_delay_alu instid0(VALU_DEP_1)
	v_or3_b32 v47, v1, v50, v47
.LBB284_671:                            ;   in Loop: Header=BB284_550 Depth=1
	s_wait_alu 0xfffe
	s_or_b32 exec_lo, exec_lo, s18
.LBB284_672:                            ;   in Loop: Header=BB284_550 Depth=1
	s_wait_alu 0xfffe
	s_or_b32 exec_lo, exec_lo, s17
.LBB284_673:                            ;   in Loop: Header=BB284_550 Depth=1
	s_wait_alu 0xfffe
	s_or_b32 exec_lo, exec_lo, s15
	v_cmp_lt_u64_e64 s0, s[2:3], v[9:10]
	v_mov_b32_e32 v9, 0
	s_and_saveexec_b32 s15, s0
	s_cbranch_execz .LBB284_681
; %bb.674:                              ;   in Loop: Header=BB284_550 Depth=1
	v_lshrrev_b32_e32 v1, 24, v10
	v_bfrev_b32_e32 v9, 1
	s_mov_b32 s17, exec_lo
	s_delay_alu instid0(VALU_DEP_2)
	v_cmpx_ne_u32_e32 0x80, v1
	s_cbranch_execz .LBB284_680
; %bb.675:                              ;   in Loop: Header=BB284_550 Depth=1
	v_and_b32_e32 v50, 0x7f, v1
	v_mov_b32_e32 v9, 0x7c010000
	s_mov_b32 s18, exec_lo
	s_delay_alu instid0(VALU_DEP_2)
	v_cmpx_ne_u32_e32 0x7f, v50
	s_cbranch_execz .LBB284_679
; %bb.676:                              ;   in Loop: Header=BB284_550 Depth=1
	v_and_b32_e32 v9, 7, v1
	v_lshrrev_b32_e32 v10, 3, v50
	s_mov_b32 s19, exec_lo
	v_cmpx_gt_u32_e32 8, v50
; %bb.677:                              ;   in Loop: Header=BB284_550 Depth=1
	s_delay_alu instid0(VALU_DEP_3) | instskip(NEXT) | instid1(VALU_DEP_1)
	v_clz_i32_u32_e32 v9, v9
	v_min_u32_e32 v50, 32, v9
	s_delay_alu instid0(VALU_DEP_1) | instskip(NEXT) | instid1(VALU_DEP_1)
	v_subrev_nc_u32_e32 v9, 28, v50
	v_lshlrev_b64_e32 v[9:10], v9, v[1:2]
	v_sub_nc_u32_e32 v10, 29, v50
	s_delay_alu instid0(VALU_DEP_2)
	v_and_b32_e32 v9, 7, v9
; %bb.678:                              ;   in Loop: Header=BB284_550 Depth=1
	s_wait_alu 0xfffe
	s_or_b32 exec_lo, exec_lo, s19
	v_lshlrev_b32_e32 v1, 8, v1
	v_lshl_add_u32 v10, v10, 10, 0x2000
	v_lshlrev_b32_e32 v9, 23, v9
	s_delay_alu instid0(VALU_DEP_2) | instskip(NEXT) | instid1(VALU_DEP_1)
	v_and_or_b32 v1, 0x8000, v1, v10
	v_lshl_or_b32 v9, v1, 16, v9
.LBB284_679:                            ;   in Loop: Header=BB284_550 Depth=1
	s_wait_alu 0xfffe
	s_or_b32 exec_lo, exec_lo, s18
.LBB284_680:                            ;   in Loop: Header=BB284_550 Depth=1
	s_wait_alu 0xfffe
	s_or_b32 exec_lo, exec_lo, s17
.LBB284_681:                            ;   in Loop: Header=BB284_550 Depth=1
	s_wait_alu 0xfffe
	s_or_b32 exec_lo, exec_lo, s15
	v_or_b32_e32 v1, v45, v46
	s_wait_loadcnt 0x0
	v_fma_mixlo_f16 v10, v42, v45, 0 op_sel:[0,1,0] op_sel_hi:[0,1,0]
	v_or_b32_e32 v45, v43, v44
	v_fma_mixlo_f16 v43, v42, v43, 0 op_sel:[0,1,0] op_sel_hi:[0,1,0]
	v_or_b32_e32 v46, v49, v48
	v_or_b32_e32 v47, v9, v47
	v_fma_mixlo_f16 v48, v42, v1, 0 op_sel_hi:[0,1,0]
	v_fma_mixlo_f16 v9, v42, v9, 0 op_sel:[0,1,0] op_sel_hi:[0,1,0]
	v_lshlrev_b32_e32 v44, 16, v43
	v_fma_mixlo_f16 v43, v42, v45, 0 op_sel_hi:[0,1,0]
	v_fma_mixlo_f16 v45, v42, v49, 0 op_sel:[0,1,0] op_sel_hi:[0,1,0]
	v_fma_mixlo_f16 v46, v42, v46, 0 op_sel_hi:[0,1,0]
	v_fma_mixlo_f16 v47, v42, v47, 0 op_sel_hi:[0,1,0]
	v_lshlrev_b32_e32 v1, 16, v10
	v_and_b32_e32 v10, 0xffff, v48
	v_and_b32_e32 v50, 0xffff, v43
	v_lshlrev_b32_e32 v42, 16, v45
	v_and_b32_e32 v46, 0xffff, v46
	v_lshlrev_b32_e32 v9, 16, v9
	v_and_b32_e32 v43, 0xffff, v47
	v_or_b32_e32 v45, v1, v10
	v_or_b32_e32 v49, v44, v50
	v_or_b32_e32 v48, v42, v46
	s_delay_alu instid0(VALU_DEP_4)
	v_or_b32_e32 v47, v9, v43
	s_and_saveexec_b32 s15, vcc_lo
	s_cbranch_execz .LBB284_683
; %bb.682:                              ;   in Loop: Header=BB284_550 Depth=1
	v_cmp_gt_i32_e64 s0, s34, v28
	s_wait_alu 0xf1ff
	s_delay_alu instid0(VALU_DEP_1) | instskip(SKIP_2) | instid1(VALU_DEP_1)
	v_cndmask_b32_e64 v45, 0, v50, s0
	v_cmp_gt_i32_e64 s0, s34, v36
	s_wait_alu 0xf1ff
	v_cndmask_b32_e64 v44, 0, v44, s0
	v_cmp_gt_i32_e64 s0, s34, v34
	s_delay_alu instid0(VALU_DEP_2) | instskip(SKIP_1) | instid1(VALU_DEP_2)
	v_or_b32_e32 v49, v44, v45
	s_wait_alu 0xf1ff
	v_cndmask_b32_e64 v10, 0, v10, s0
	v_cmp_gt_i32_e64 s0, s34, v33
	s_wait_alu 0xf1ff
	s_delay_alu instid0(VALU_DEP_1) | instskip(SKIP_1) | instid1(VALU_DEP_2)
	v_cndmask_b32_e64 v1, 0, v1, s0
	v_cmp_gt_i32_e64 s0, s34, v32
	v_or_b32_e32 v45, v1, v10
	s_wait_alu 0xf1ff
	s_delay_alu instid0(VALU_DEP_2) | instskip(SKIP_2) | instid1(VALU_DEP_1)
	v_cndmask_b32_e64 v46, 0, v46, s0
	v_cmp_gt_i32_e64 s0, s34, v31
	s_wait_alu 0xf1ff
	v_cndmask_b32_e64 v42, 0, v42, s0
	v_cmp_gt_i32_e64 s0, s34, v30
	s_delay_alu instid0(VALU_DEP_2) | instskip(SKIP_1) | instid1(VALU_DEP_2)
	v_or_b32_e32 v48, v42, v46
	s_wait_alu 0xf1ff
	v_cndmask_b32_e64 v43, 0, v43, s0
	v_cmp_gt_i32_e64 s0, s34, v29
	s_wait_alu 0xf1ff
	s_delay_alu instid0(VALU_DEP_1) | instskip(NEXT) | instid1(VALU_DEP_1)
	v_cndmask_b32_e64 v9, 0, v9, s0
	v_or_b32_e32 v47, v9, v43
.LBB284_683:                            ;   in Loop: Header=BB284_550 Depth=1
	s_wait_alu 0xfffe
	s_or_b32 exec_lo, exec_lo, s15
	;;#ASMSTART
	v_pk_mul_f16 v1, v41, v49;

	;;#ASMEND
	;;#ASMSTART
	v_pk_mul_f16 v9, v40, v45;

	;;#ASMEND
	;;#ASMSTART
	v_pk_mul_f16 v10, v39, v48;

	;;#ASMEND
	;;#ASMSTART
	v_pk_mul_f16 v42, v38, v47;

	;;#ASMEND
	;;#ASMSTART
	v_pk_add_f16 v1, v1, v9;

	;;#ASMEND
	;;#ASMSTART
	v_pk_add_f16 v1, v1, v10;

	;;#ASMEND
	;; [unrolled: 4-line block ×3, first 2 shown]
	v_dual_mov_b32 v46, 0 :: v_dual_and_b32 v9, 0xffff, v1
	v_lshrrev_b32_e32 v1, 16, v1
	;;#ASMSTART
	v_cvt_f32_f16 v42, v9;
	;;#ASMEND
	;;#ASMSTART
	v_cvt_f32_f16 v43, v1;
	;;#ASMEND
	global_load_b64 v[9:10], v[7:8], off offset:512
	v_mov_b32_e32 v45, 0
	s_mov_b32 s15, exec_lo
	global_load_b32 v44, v45, s[10:11]
	s_wait_loadcnt 0x1
	v_and_b32_e32 v1, 0xff, v9
	s_delay_alu instid0(VALU_DEP_1)
	v_cmpx_ne_u16_e32 0, v1
	s_cbranch_execz .LBB284_691
; %bb.684:                              ;   in Loop: Header=BB284_550 Depth=1
	v_mov_b32_e32 v46, 0x8000
	s_mov_b32 s17, exec_lo
	v_cmpx_ne_u16_e32 0x80, v1
	s_cbranch_execz .LBB284_690
; %bb.685:                              ;   in Loop: Header=BB284_550 Depth=1
	v_and_b32_e32 v47, 0x7f, v9
	v_mov_b32_e32 v46, 0x7c01
	s_mov_b32 s18, exec_lo
	s_delay_alu instid0(VALU_DEP_2)
	v_cmpx_ne_u32_e32 0x7f, v47
	s_cbranch_execz .LBB284_689
; %bb.686:                              ;   in Loop: Header=BB284_550 Depth=1
	v_and_b32_e32 v1, 7, v9
	v_lshrrev_b32_e32 v46, 3, v47
	s_mov_b32 s19, exec_lo
	v_cmpx_gt_u32_e32 8, v47
; %bb.687:                              ;   in Loop: Header=BB284_550 Depth=1
	s_delay_alu instid0(VALU_DEP_3) | instskip(NEXT) | instid1(VALU_DEP_1)
	v_clz_i32_u32_e32 v1, v1
	v_min_u32_e32 v1, 32, v1
	s_delay_alu instid0(VALU_DEP_1) | instskip(NEXT) | instid1(VALU_DEP_1)
	v_subrev_nc_u32_e32 v46, 28, v1
	v_lshlrev_b64_e32 v[47:48], v46, v[9:10]
	v_sub_nc_u32_e32 v46, 29, v1
	s_delay_alu instid0(VALU_DEP_2)
	v_and_b32_e32 v1, 7, v47
; %bb.688:                              ;   in Loop: Header=BB284_550 Depth=1
	s_wait_alu 0xfffe
	s_or_b32 exec_lo, exec_lo, s19
	v_lshlrev_b32_e32 v47, 8, v9
	v_lshl_add_u32 v46, v46, 10, 0x2000
	v_lshlrev_b32_e32 v1, 7, v1
	s_delay_alu instid0(VALU_DEP_3) | instskip(NEXT) | instid1(VALU_DEP_3)
	v_and_b32_e32 v47, 0x8000, v47
	v_and_b32_e32 v46, 0xfc00, v46
	s_delay_alu instid0(VALU_DEP_1)
	v_or3_b32 v46, v47, v46, v1
.LBB284_689:                            ;   in Loop: Header=BB284_550 Depth=1
	s_wait_alu 0xfffe
	s_or_b32 exec_lo, exec_lo, s18
.LBB284_690:                            ;   in Loop: Header=BB284_550 Depth=1
	s_wait_alu 0xfffe
	s_or_b32 exec_lo, exec_lo, s17
.LBB284_691:                            ;   in Loop: Header=BB284_550 Depth=1
	s_wait_alu 0xfffe
	s_or_b32 exec_lo, exec_lo, s15
	v_lshrrev_b16 v1, 8, v9
	s_mov_b32 s15, exec_lo
	s_delay_alu instid0(VALU_DEP_1)
	v_cmpx_ne_u16_e32 0, v1
	s_cbranch_execz .LBB284_699
; %bb.692:                              ;   in Loop: Header=BB284_550 Depth=1
	v_bfrev_b32_e32 v45, 1
	s_mov_b32 s17, exec_lo
	v_cmpx_ne_u16_e32 0x80, v1
	s_cbranch_execz .LBB284_698
; %bb.693:                              ;   in Loop: Header=BB284_550 Depth=1
	v_and_b32_e32 v47, 0xffff, v1
	v_mov_b32_e32 v45, 0x7c010000
	s_mov_b32 s18, exec_lo
	s_delay_alu instid0(VALU_DEP_2) | instskip(NEXT) | instid1(VALU_DEP_1)
	v_and_b32_e32 v49, 0x7f, v47
	v_cmpx_ne_u32_e32 0x7f, v49
	s_cbranch_execz .LBB284_697
; %bb.694:                              ;   in Loop: Header=BB284_550 Depth=1
	v_and_b32_e32 v45, 7, v47
	v_lshrrev_b32_e32 v48, 3, v49
	s_mov_b32 s19, exec_lo
	v_cmpx_gt_u32_e32 8, v49
; %bb.695:                              ;   in Loop: Header=BB284_550 Depth=1
	s_delay_alu instid0(VALU_DEP_3) | instskip(NEXT) | instid1(VALU_DEP_1)
	v_clz_i32_u32_e32 v45, v45
	v_min_u32_e32 v45, 32, v45
	s_delay_alu instid0(VALU_DEP_1) | instskip(NEXT) | instid1(VALU_DEP_1)
	v_subrev_nc_u32_e32 v48, 28, v45
	v_lshlrev_b64_e32 v[49:50], v48, v[1:2]
	v_sub_nc_u32_e32 v48, 29, v45
	s_delay_alu instid0(VALU_DEP_2)
	v_and_b32_e32 v45, 7, v49
; %bb.696:                              ;   in Loop: Header=BB284_550 Depth=1
	s_wait_alu 0xfffe
	s_or_b32 exec_lo, exec_lo, s19
	v_lshlrev_b32_e32 v1, 8, v47
	v_lshl_add_u32 v47, v48, 10, 0x2000
	v_lshlrev_b32_e32 v45, 23, v45
	s_delay_alu instid0(VALU_DEP_2) | instskip(NEXT) | instid1(VALU_DEP_1)
	v_and_or_b32 v1, 0x8000, v1, v47
	v_lshl_or_b32 v45, v1, 16, v45
.LBB284_697:                            ;   in Loop: Header=BB284_550 Depth=1
	s_wait_alu 0xfffe
	s_or_b32 exec_lo, exec_lo, s18
.LBB284_698:                            ;   in Loop: Header=BB284_550 Depth=1
	s_wait_alu 0xfffe
	s_or_b32 exec_lo, exec_lo, s17
.LBB284_699:                            ;   in Loop: Header=BB284_550 Depth=1
	s_wait_alu 0xfffe
	s_or_b32 exec_lo, exec_lo, s15
	v_lshrrev_b32_e32 v1, 16, v9
	v_mov_b32_e32 v47, 0
	s_mov_b32 s15, exec_lo
	s_delay_alu instid0(VALU_DEP_2) | instskip(NEXT) | instid1(VALU_DEP_1)
	v_dual_mov_b32 v48, 0 :: v_dual_and_b32 v49, 0xff, v1
	v_cmpx_ne_u16_e32 0, v49
	s_cbranch_execz .LBB284_707
; %bb.700:                              ;   in Loop: Header=BB284_550 Depth=1
	v_mov_b32_e32 v48, 0x8000
	s_mov_b32 s17, exec_lo
	v_cmpx_ne_u16_e32 0x80, v49
	s_cbranch_execz .LBB284_706
; %bb.701:                              ;   in Loop: Header=BB284_550 Depth=1
	v_bfe_u32 v50, v9, 16, 7
	v_mov_b32_e32 v48, 0x7c01
	s_mov_b32 s18, exec_lo
	s_delay_alu instid0(VALU_DEP_2)
	v_cmpx_ne_u32_e32 0x7f, v50
	s_cbranch_execz .LBB284_705
; %bb.702:                              ;   in Loop: Header=BB284_550 Depth=1
	v_and_b32_e32 v48, 7, v1
	v_lshrrev_b32_e32 v49, 3, v50
	s_mov_b32 s19, exec_lo
	v_cmpx_gt_u32_e32 8, v50
; %bb.703:                              ;   in Loop: Header=BB284_550 Depth=1
	s_delay_alu instid0(VALU_DEP_3) | instskip(NEXT) | instid1(VALU_DEP_1)
	v_clz_i32_u32_e32 v48, v48
	v_min_u32_e32 v50, 32, v48
	s_delay_alu instid0(VALU_DEP_1) | instskip(NEXT) | instid1(VALU_DEP_1)
	v_subrev_nc_u32_e32 v48, 28, v50
	v_lshlrev_b64_e32 v[48:49], v48, v[1:2]
	v_sub_nc_u32_e32 v49, 29, v50
	s_delay_alu instid0(VALU_DEP_2)
	v_and_b32_e32 v48, 7, v48
; %bb.704:                              ;   in Loop: Header=BB284_550 Depth=1
	s_wait_alu 0xfffe
	s_or_b32 exec_lo, exec_lo, s19
	v_lshlrev_b32_e32 v1, 8, v1
	v_lshl_add_u32 v49, v49, 10, 0x2000
	v_lshlrev_b32_e32 v48, 7, v48
	s_delay_alu instid0(VALU_DEP_3) | instskip(NEXT) | instid1(VALU_DEP_3)
	v_and_b32_e32 v1, 0x8000, v1
	v_and_b32_e32 v49, 0xfc00, v49
	s_delay_alu instid0(VALU_DEP_1)
	v_or3_b32 v48, v1, v49, v48
.LBB284_705:                            ;   in Loop: Header=BB284_550 Depth=1
	s_wait_alu 0xfffe
	s_or_b32 exec_lo, exec_lo, s18
.LBB284_706:                            ;   in Loop: Header=BB284_550 Depth=1
	s_wait_alu 0xfffe
	s_or_b32 exec_lo, exec_lo, s17
.LBB284_707:                            ;   in Loop: Header=BB284_550 Depth=1
	s_wait_alu 0xfffe
	s_or_b32 exec_lo, exec_lo, s15
	s_delay_alu instid0(SALU_CYCLE_1)
	s_mov_b32 s15, exec_lo
	v_cmpx_lt_u32_e32 0xffffff, v9
	s_cbranch_execz .LBB284_715
; %bb.708:                              ;   in Loop: Header=BB284_550 Depth=1
	v_lshrrev_b32_e32 v1, 24, v9
	v_bfrev_b32_e32 v47, 1
	s_mov_b32 s17, exec_lo
	s_delay_alu instid0(VALU_DEP_2)
	v_cmpx_ne_u32_e32 0x80, v1
	s_cbranch_execz .LBB284_714
; %bb.709:                              ;   in Loop: Header=BB284_550 Depth=1
	v_and_b32_e32 v50, 0x7f, v1
	v_mov_b32_e32 v47, 0x7c010000
	s_mov_b32 s18, exec_lo
	s_delay_alu instid0(VALU_DEP_2)
	v_cmpx_ne_u32_e32 0x7f, v50
	s_cbranch_execz .LBB284_713
; %bb.710:                              ;   in Loop: Header=BB284_550 Depth=1
	v_and_b32_e32 v47, 7, v1
	v_lshrrev_b32_e32 v49, 3, v50
	s_mov_b32 s19, exec_lo
	v_cmpx_gt_u32_e32 8, v50
; %bb.711:                              ;   in Loop: Header=BB284_550 Depth=1
	s_delay_alu instid0(VALU_DEP_3) | instskip(NEXT) | instid1(VALU_DEP_1)
	v_clz_i32_u32_e32 v47, v47
	v_min_u32_e32 v47, 32, v47
	s_delay_alu instid0(VALU_DEP_1) | instskip(NEXT) | instid1(VALU_DEP_1)
	v_subrev_nc_u32_e32 v49, 28, v47
	v_lshlrev_b64_e32 v[50:51], v49, v[1:2]
	v_sub_nc_u32_e32 v49, 29, v47
	s_delay_alu instid0(VALU_DEP_2)
	v_and_b32_e32 v47, 7, v50
; %bb.712:                              ;   in Loop: Header=BB284_550 Depth=1
	s_wait_alu 0xfffe
	s_or_b32 exec_lo, exec_lo, s19
	v_lshlrev_b32_e32 v1, 8, v1
	v_lshl_add_u32 v49, v49, 10, 0x2000
	v_lshlrev_b32_e32 v47, 23, v47
	s_delay_alu instid0(VALU_DEP_2) | instskip(NEXT) | instid1(VALU_DEP_1)
	v_and_or_b32 v1, 0x8000, v1, v49
	v_lshl_or_b32 v47, v1, 16, v47
.LBB284_713:                            ;   in Loop: Header=BB284_550 Depth=1
	s_wait_alu 0xfffe
	s_or_b32 exec_lo, exec_lo, s18
.LBB284_714:                            ;   in Loop: Header=BB284_550 Depth=1
	s_wait_alu 0xfffe
	s_or_b32 exec_lo, exec_lo, s17
.LBB284_715:                            ;   in Loop: Header=BB284_550 Depth=1
	s_wait_alu 0xfffe
	s_or_b32 exec_lo, exec_lo, s15
	v_dual_mov_b32 v50, 0 :: v_dual_and_b32 v51, 0xff, v10
	v_mov_b32_e32 v1, v10
	v_mov_b32_e32 v49, 0
	s_mov_b32 s15, exec_lo
	s_delay_alu instid0(VALU_DEP_3)
	v_cmpx_ne_u16_e32 0, v51
	s_cbranch_execz .LBB284_723
; %bb.716:                              ;   in Loop: Header=BB284_550 Depth=1
	v_mov_b32_e32 v50, 0x8000
	s_mov_b32 s17, exec_lo
	v_cmpx_ne_u16_e32 0x80, v51
	s_cbranch_execz .LBB284_722
; %bb.717:                              ;   in Loop: Header=BB284_550 Depth=1
	v_and_b32_e32 v52, 0x7f, v10
	v_mov_b32_e32 v50, 0x7c01
	s_mov_b32 s18, exec_lo
	s_delay_alu instid0(VALU_DEP_2)
	v_cmpx_ne_u32_e32 0x7f, v52
	s_cbranch_execz .LBB284_721
; %bb.718:                              ;   in Loop: Header=BB284_550 Depth=1
	v_and_b32_e32 v50, 7, v10
	v_lshrrev_b32_e32 v51, 3, v52
	s_mov_b32 s19, exec_lo
	v_cmpx_gt_u32_e32 8, v52
; %bb.719:                              ;   in Loop: Header=BB284_550 Depth=1
	s_delay_alu instid0(VALU_DEP_3) | instskip(NEXT) | instid1(VALU_DEP_1)
	v_clz_i32_u32_e32 v50, v50
	v_min_u32_e32 v52, 32, v50
	s_delay_alu instid0(VALU_DEP_1) | instskip(NEXT) | instid1(VALU_DEP_1)
	v_subrev_nc_u32_e32 v50, 28, v52
	v_lshlrev_b64_e32 v[50:51], v50, v[1:2]
	v_sub_nc_u32_e32 v51, 29, v52
	s_delay_alu instid0(VALU_DEP_2)
	v_and_b32_e32 v50, 7, v50
; %bb.720:                              ;   in Loop: Header=BB284_550 Depth=1
	s_wait_alu 0xfffe
	s_or_b32 exec_lo, exec_lo, s19
	v_lshlrev_b32_e32 v52, 8, v10
	v_lshl_add_u32 v51, v51, 10, 0x2000
	v_lshlrev_b32_e32 v50, 7, v50
	s_delay_alu instid0(VALU_DEP_3) | instskip(NEXT) | instid1(VALU_DEP_3)
	v_and_b32_e32 v52, 0x8000, v52
	v_and_b32_e32 v51, 0xfc00, v51
	s_delay_alu instid0(VALU_DEP_1)
	v_or3_b32 v50, v52, v51, v50
.LBB284_721:                            ;   in Loop: Header=BB284_550 Depth=1
	s_wait_alu 0xfffe
	s_or_b32 exec_lo, exec_lo, s18
.LBB284_722:                            ;   in Loop: Header=BB284_550 Depth=1
	s_wait_alu 0xfffe
	s_or_b32 exec_lo, exec_lo, s17
.LBB284_723:                            ;   in Loop: Header=BB284_550 Depth=1
	s_wait_alu 0xfffe
	s_or_b32 exec_lo, exec_lo, s15
	v_lshrrev_b16 v1, 8, v1
	v_mov_b32_e32 v51, 0
	s_mov_b32 s15, exec_lo
	s_delay_alu instid0(VALU_DEP_2)
	v_cmpx_ne_u16_e32 0, v1
	s_cbranch_execz .LBB284_731
; %bb.724:                              ;   in Loop: Header=BB284_550 Depth=1
	v_bfrev_b32_e32 v51, 1
	s_mov_b32 s17, exec_lo
	v_cmpx_ne_u16_e32 0x80, v1
	s_cbranch_execz .LBB284_730
; %bb.725:                              ;   in Loop: Header=BB284_550 Depth=1
	v_and_b32_e32 v52, 0xffff, v1
	v_mov_b32_e32 v51, 0x7c010000
	s_mov_b32 s18, exec_lo
	s_delay_alu instid0(VALU_DEP_2) | instskip(NEXT) | instid1(VALU_DEP_1)
	v_and_b32_e32 v54, 0x7f, v52
	v_cmpx_ne_u32_e32 0x7f, v54
	s_cbranch_execz .LBB284_729
; %bb.726:                              ;   in Loop: Header=BB284_550 Depth=1
	v_and_b32_e32 v51, 7, v52
	v_lshrrev_b32_e32 v53, 3, v54
	s_mov_b32 s19, exec_lo
	v_cmpx_gt_u32_e32 8, v54
; %bb.727:                              ;   in Loop: Header=BB284_550 Depth=1
	s_delay_alu instid0(VALU_DEP_3) | instskip(NEXT) | instid1(VALU_DEP_1)
	v_clz_i32_u32_e32 v51, v51
	v_min_u32_e32 v51, 32, v51
	s_delay_alu instid0(VALU_DEP_1) | instskip(NEXT) | instid1(VALU_DEP_1)
	v_subrev_nc_u32_e32 v53, 28, v51
	v_lshlrev_b64_e32 v[54:55], v53, v[1:2]
	v_sub_nc_u32_e32 v53, 29, v51
	s_delay_alu instid0(VALU_DEP_2)
	v_and_b32_e32 v51, 7, v54
; %bb.728:                              ;   in Loop: Header=BB284_550 Depth=1
	s_wait_alu 0xfffe
	s_or_b32 exec_lo, exec_lo, s19
	v_lshlrev_b32_e32 v1, 8, v52
	v_lshl_add_u32 v52, v53, 10, 0x2000
	v_lshlrev_b32_e32 v51, 23, v51
	s_delay_alu instid0(VALU_DEP_2) | instskip(NEXT) | instid1(VALU_DEP_1)
	v_and_or_b32 v1, 0x8000, v1, v52
	v_lshl_or_b32 v51, v1, 16, v51
.LBB284_729:                            ;   in Loop: Header=BB284_550 Depth=1
	s_wait_alu 0xfffe
	s_or_b32 exec_lo, exec_lo, s18
.LBB284_730:                            ;   in Loop: Header=BB284_550 Depth=1
	s_wait_alu 0xfffe
	s_or_b32 exec_lo, exec_lo, s17
.LBB284_731:                            ;   in Loop: Header=BB284_550 Depth=1
	s_wait_alu 0xfffe
	s_or_b32 exec_lo, exec_lo, s15
	v_lshrrev_b32_e32 v1, 16, v10
	s_mov_b32 s15, exec_lo
	s_delay_alu instid0(VALU_DEP_1) | instskip(NEXT) | instid1(VALU_DEP_1)
	v_and_b32_e32 v52, 0xff, v1
	v_cmpx_ne_u16_e32 0, v52
	s_cbranch_execz .LBB284_739
; %bb.732:                              ;   in Loop: Header=BB284_550 Depth=1
	v_mov_b32_e32 v49, 0x8000
	s_mov_b32 s17, exec_lo
	v_cmpx_ne_u16_e32 0x80, v52
	s_cbranch_execz .LBB284_738
; %bb.733:                              ;   in Loop: Header=BB284_550 Depth=1
	v_bfe_u32 v53, v10, 16, 7
	v_mov_b32_e32 v49, 0x7c01
	s_mov_b32 s18, exec_lo
	s_delay_alu instid0(VALU_DEP_2)
	v_cmpx_ne_u32_e32 0x7f, v53
	s_cbranch_execz .LBB284_737
; %bb.734:                              ;   in Loop: Header=BB284_550 Depth=1
	v_and_b32_e32 v49, 7, v1
	v_lshrrev_b32_e32 v52, 3, v53
	s_mov_b32 s19, exec_lo
	v_cmpx_gt_u32_e32 8, v53
; %bb.735:                              ;   in Loop: Header=BB284_550 Depth=1
	s_delay_alu instid0(VALU_DEP_3) | instskip(NEXT) | instid1(VALU_DEP_1)
	v_clz_i32_u32_e32 v49, v49
	v_min_u32_e32 v49, 32, v49
	s_delay_alu instid0(VALU_DEP_1) | instskip(NEXT) | instid1(VALU_DEP_1)
	v_subrev_nc_u32_e32 v52, 28, v49
	v_lshlrev_b64_e32 v[53:54], v52, v[1:2]
	v_sub_nc_u32_e32 v52, 29, v49
	s_delay_alu instid0(VALU_DEP_2)
	v_and_b32_e32 v49, 7, v53
; %bb.736:                              ;   in Loop: Header=BB284_550 Depth=1
	s_wait_alu 0xfffe
	s_or_b32 exec_lo, exec_lo, s19
	v_lshlrev_b32_e32 v1, 8, v1
	v_lshl_add_u32 v52, v52, 10, 0x2000
	v_lshlrev_b32_e32 v49, 7, v49
	s_delay_alu instid0(VALU_DEP_3) | instskip(NEXT) | instid1(VALU_DEP_3)
	v_and_b32_e32 v1, 0x8000, v1
	v_and_b32_e32 v52, 0xfc00, v52
	s_delay_alu instid0(VALU_DEP_1)
	v_or3_b32 v49, v1, v52, v49
.LBB284_737:                            ;   in Loop: Header=BB284_550 Depth=1
	s_wait_alu 0xfffe
	s_or_b32 exec_lo, exec_lo, s18
.LBB284_738:                            ;   in Loop: Header=BB284_550 Depth=1
	s_wait_alu 0xfffe
	s_or_b32 exec_lo, exec_lo, s17
.LBB284_739:                            ;   in Loop: Header=BB284_550 Depth=1
	s_wait_alu 0xfffe
	s_or_b32 exec_lo, exec_lo, s15
	v_cmp_lt_u64_e64 s0, s[2:3], v[9:10]
	v_mov_b32_e32 v9, 0
	s_and_saveexec_b32 s15, s0
	s_cbranch_execz .LBB284_747
; %bb.740:                              ;   in Loop: Header=BB284_550 Depth=1
	v_lshrrev_b32_e32 v1, 24, v10
	v_bfrev_b32_e32 v9, 1
	s_mov_b32 s17, exec_lo
	s_delay_alu instid0(VALU_DEP_2)
	v_cmpx_ne_u32_e32 0x80, v1
	s_cbranch_execz .LBB284_746
; %bb.741:                              ;   in Loop: Header=BB284_550 Depth=1
	v_and_b32_e32 v52, 0x7f, v1
	v_mov_b32_e32 v9, 0x7c010000
	s_mov_b32 s18, exec_lo
	s_delay_alu instid0(VALU_DEP_2)
	v_cmpx_ne_u32_e32 0x7f, v52
	s_cbranch_execz .LBB284_745
; %bb.742:                              ;   in Loop: Header=BB284_550 Depth=1
	v_and_b32_e32 v9, 7, v1
	v_lshrrev_b32_e32 v10, 3, v52
	s_mov_b32 s19, exec_lo
	v_cmpx_gt_u32_e32 8, v52
; %bb.743:                              ;   in Loop: Header=BB284_550 Depth=1
	s_delay_alu instid0(VALU_DEP_3) | instskip(NEXT) | instid1(VALU_DEP_1)
	v_clz_i32_u32_e32 v9, v9
	v_min_u32_e32 v52, 32, v9
	s_delay_alu instid0(VALU_DEP_1) | instskip(NEXT) | instid1(VALU_DEP_1)
	v_subrev_nc_u32_e32 v9, 28, v52
	v_lshlrev_b64_e32 v[9:10], v9, v[1:2]
	v_sub_nc_u32_e32 v10, 29, v52
	s_delay_alu instid0(VALU_DEP_2)
	v_and_b32_e32 v9, 7, v9
; %bb.744:                              ;   in Loop: Header=BB284_550 Depth=1
	s_wait_alu 0xfffe
	s_or_b32 exec_lo, exec_lo, s19
	v_lshlrev_b32_e32 v1, 8, v1
	v_lshl_add_u32 v10, v10, 10, 0x2000
	v_lshlrev_b32_e32 v9, 23, v9
	s_delay_alu instid0(VALU_DEP_2) | instskip(NEXT) | instid1(VALU_DEP_1)
	v_and_or_b32 v1, 0x8000, v1, v10
	v_lshl_or_b32 v9, v1, 16, v9
.LBB284_745:                            ;   in Loop: Header=BB284_550 Depth=1
	s_wait_alu 0xfffe
	s_or_b32 exec_lo, exec_lo, s18
.LBB284_746:                            ;   in Loop: Header=BB284_550 Depth=1
	s_wait_alu 0xfffe
	s_or_b32 exec_lo, exec_lo, s17
.LBB284_747:                            ;   in Loop: Header=BB284_550 Depth=1
	s_wait_alu 0xfffe
	s_or_b32 exec_lo, exec_lo, s15
	v_or_b32_e32 v1, v47, v48
	s_wait_loadcnt 0x0
	v_fma_mixlo_f16 v10, v44, v47, 0 op_sel:[0,1,0] op_sel_hi:[0,1,0]
	v_or_b32_e32 v47, v45, v46
	v_fma_mixlo_f16 v45, v44, v45, 0 op_sel:[0,1,0] op_sel_hi:[0,1,0]
	v_or_b32_e32 v48, v51, v50
	v_or_b32_e32 v49, v9, v49
	v_fma_mixlo_f16 v50, v44, v1, 0 op_sel_hi:[0,1,0]
	v_fma_mixlo_f16 v9, v44, v9, 0 op_sel:[0,1,0] op_sel_hi:[0,1,0]
	v_lshlrev_b32_e32 v46, 16, v45
	v_fma_mixlo_f16 v45, v44, v47, 0 op_sel_hi:[0,1,0]
	v_fma_mixlo_f16 v47, v44, v51, 0 op_sel:[0,1,0] op_sel_hi:[0,1,0]
	v_fma_mixlo_f16 v48, v44, v48, 0 op_sel_hi:[0,1,0]
	v_fma_mixlo_f16 v49, v44, v49, 0 op_sel_hi:[0,1,0]
	v_lshlrev_b32_e32 v1, 16, v10
	v_and_b32_e32 v10, 0xffff, v50
	v_and_b32_e32 v52, 0xffff, v45
	v_lshlrev_b32_e32 v44, 16, v47
	v_and_b32_e32 v48, 0xffff, v48
	v_lshlrev_b32_e32 v9, 16, v9
	v_and_b32_e32 v45, 0xffff, v49
	v_or_b32_e32 v47, v1, v10
	v_or_b32_e32 v51, v46, v52
	;; [unrolled: 1-line block ×3, first 2 shown]
	s_delay_alu instid0(VALU_DEP_4)
	v_or_b32_e32 v49, v9, v45
	s_and_saveexec_b32 s15, vcc_lo
	s_cbranch_execz .LBB284_749
; %bb.748:                              ;   in Loop: Header=BB284_550 Depth=1
	v_cmp_gt_i32_e64 s0, s34, v28
	s_wait_alu 0xf1ff
	s_delay_alu instid0(VALU_DEP_1) | instskip(SKIP_2) | instid1(VALU_DEP_1)
	v_cndmask_b32_e64 v47, 0, v52, s0
	v_cmp_gt_i32_e64 s0, s34, v36
	s_wait_alu 0xf1ff
	v_cndmask_b32_e64 v46, 0, v46, s0
	v_cmp_gt_i32_e64 s0, s34, v34
	s_delay_alu instid0(VALU_DEP_2) | instskip(SKIP_1) | instid1(VALU_DEP_2)
	v_or_b32_e32 v51, v46, v47
	s_wait_alu 0xf1ff
	v_cndmask_b32_e64 v10, 0, v10, s0
	v_cmp_gt_i32_e64 s0, s34, v33
	s_wait_alu 0xf1ff
	s_delay_alu instid0(VALU_DEP_1) | instskip(SKIP_1) | instid1(VALU_DEP_2)
	v_cndmask_b32_e64 v1, 0, v1, s0
	v_cmp_gt_i32_e64 s0, s34, v32
	v_or_b32_e32 v47, v1, v10
	s_wait_alu 0xf1ff
	s_delay_alu instid0(VALU_DEP_2) | instskip(SKIP_2) | instid1(VALU_DEP_1)
	v_cndmask_b32_e64 v48, 0, v48, s0
	v_cmp_gt_i32_e64 s0, s34, v31
	s_wait_alu 0xf1ff
	v_cndmask_b32_e64 v44, 0, v44, s0
	v_cmp_gt_i32_e64 s0, s34, v30
	s_delay_alu instid0(VALU_DEP_2) | instskip(SKIP_1) | instid1(VALU_DEP_2)
	v_or_b32_e32 v50, v44, v48
	s_wait_alu 0xf1ff
	v_cndmask_b32_e64 v45, 0, v45, s0
	v_cmp_gt_i32_e64 s0, s34, v29
	s_wait_alu 0xf1ff
	s_delay_alu instid0(VALU_DEP_1) | instskip(NEXT) | instid1(VALU_DEP_1)
	v_cndmask_b32_e64 v9, 0, v9, s0
	v_or_b32_e32 v49, v9, v45
.LBB284_749:                            ;   in Loop: Header=BB284_550 Depth=1
	s_wait_alu 0xfffe
	s_or_b32 exec_lo, exec_lo, s15
	;;#ASMSTART
	v_pk_mul_f16 v1, v41, v51;

	;;#ASMEND
	;;#ASMSTART
	v_pk_mul_f16 v9, v40, v47;

	;;#ASMEND
	;; [unrolled: 4-line block ×4, first 2 shown]
	;;#ASMSTART
	v_pk_add_f16 v1, v1, v9;

	;;#ASMEND
	;;#ASMSTART
	v_pk_add_f16 v1, v1, v10;

	;;#ASMEND
	;; [unrolled: 4-line block ×3, first 2 shown]
	v_dual_mov_b32 v48, 0 :: v_dual_and_b32 v9, 0xffff, v1
	v_lshrrev_b32_e32 v1, 16, v1
	;;#ASMSTART
	v_cvt_f32_f16 v44, v9;
	;;#ASMEND
	;;#ASMSTART
	v_cvt_f32_f16 v45, v1;
	;;#ASMEND
	global_load_b64 v[9:10], v[7:8], off offset:768
	v_mov_b32_e32 v47, 0
	s_mov_b32 s15, exec_lo
	global_load_b32 v46, v47, s[10:11]
	s_wait_loadcnt 0x1
	v_and_b32_e32 v1, 0xff, v9
	s_delay_alu instid0(VALU_DEP_1)
	v_cmpx_ne_u16_e32 0, v1
	s_cbranch_execz .LBB284_757
; %bb.750:                              ;   in Loop: Header=BB284_550 Depth=1
	v_mov_b32_e32 v48, 0x8000
	s_mov_b32 s17, exec_lo
	v_cmpx_ne_u16_e32 0x80, v1
	s_cbranch_execz .LBB284_756
; %bb.751:                              ;   in Loop: Header=BB284_550 Depth=1
	v_and_b32_e32 v49, 0x7f, v9
	v_mov_b32_e32 v48, 0x7c01
	s_mov_b32 s18, exec_lo
	s_delay_alu instid0(VALU_DEP_2)
	v_cmpx_ne_u32_e32 0x7f, v49
	s_cbranch_execz .LBB284_755
; %bb.752:                              ;   in Loop: Header=BB284_550 Depth=1
	v_and_b32_e32 v1, 7, v9
	v_lshrrev_b32_e32 v48, 3, v49
	s_mov_b32 s19, exec_lo
	v_cmpx_gt_u32_e32 8, v49
; %bb.753:                              ;   in Loop: Header=BB284_550 Depth=1
	s_delay_alu instid0(VALU_DEP_3) | instskip(NEXT) | instid1(VALU_DEP_1)
	v_clz_i32_u32_e32 v1, v1
	v_min_u32_e32 v1, 32, v1
	s_delay_alu instid0(VALU_DEP_1) | instskip(NEXT) | instid1(VALU_DEP_1)
	v_subrev_nc_u32_e32 v48, 28, v1
	v_lshlrev_b64_e32 v[49:50], v48, v[9:10]
	v_sub_nc_u32_e32 v48, 29, v1
	s_delay_alu instid0(VALU_DEP_2)
	v_and_b32_e32 v1, 7, v49
; %bb.754:                              ;   in Loop: Header=BB284_550 Depth=1
	s_wait_alu 0xfffe
	s_or_b32 exec_lo, exec_lo, s19
	v_lshlrev_b32_e32 v49, 8, v9
	v_lshl_add_u32 v48, v48, 10, 0x2000
	v_lshlrev_b32_e32 v1, 7, v1
	s_delay_alu instid0(VALU_DEP_3) | instskip(NEXT) | instid1(VALU_DEP_3)
	v_and_b32_e32 v49, 0x8000, v49
	v_and_b32_e32 v48, 0xfc00, v48
	s_delay_alu instid0(VALU_DEP_1)
	v_or3_b32 v48, v49, v48, v1
.LBB284_755:                            ;   in Loop: Header=BB284_550 Depth=1
	s_wait_alu 0xfffe
	s_or_b32 exec_lo, exec_lo, s18
.LBB284_756:                            ;   in Loop: Header=BB284_550 Depth=1
	s_wait_alu 0xfffe
	s_or_b32 exec_lo, exec_lo, s17
.LBB284_757:                            ;   in Loop: Header=BB284_550 Depth=1
	s_wait_alu 0xfffe
	s_or_b32 exec_lo, exec_lo, s15
	v_lshrrev_b16 v1, 8, v9
	s_mov_b32 s15, exec_lo
	s_delay_alu instid0(VALU_DEP_1)
	v_cmpx_ne_u16_e32 0, v1
	s_cbranch_execz .LBB284_765
; %bb.758:                              ;   in Loop: Header=BB284_550 Depth=1
	v_bfrev_b32_e32 v47, 1
	s_mov_b32 s17, exec_lo
	v_cmpx_ne_u16_e32 0x80, v1
	s_cbranch_execz .LBB284_764
; %bb.759:                              ;   in Loop: Header=BB284_550 Depth=1
	v_and_b32_e32 v49, 0xffff, v1
	v_mov_b32_e32 v47, 0x7c010000
	s_mov_b32 s18, exec_lo
	s_delay_alu instid0(VALU_DEP_2) | instskip(NEXT) | instid1(VALU_DEP_1)
	v_and_b32_e32 v51, 0x7f, v49
	v_cmpx_ne_u32_e32 0x7f, v51
	s_cbranch_execz .LBB284_763
; %bb.760:                              ;   in Loop: Header=BB284_550 Depth=1
	v_and_b32_e32 v47, 7, v49
	v_lshrrev_b32_e32 v50, 3, v51
	s_mov_b32 s19, exec_lo
	v_cmpx_gt_u32_e32 8, v51
; %bb.761:                              ;   in Loop: Header=BB284_550 Depth=1
	s_delay_alu instid0(VALU_DEP_3) | instskip(NEXT) | instid1(VALU_DEP_1)
	v_clz_i32_u32_e32 v47, v47
	v_min_u32_e32 v47, 32, v47
	s_delay_alu instid0(VALU_DEP_1) | instskip(NEXT) | instid1(VALU_DEP_1)
	v_subrev_nc_u32_e32 v50, 28, v47
	v_lshlrev_b64_e32 v[51:52], v50, v[1:2]
	v_sub_nc_u32_e32 v50, 29, v47
	s_delay_alu instid0(VALU_DEP_2)
	v_and_b32_e32 v47, 7, v51
; %bb.762:                              ;   in Loop: Header=BB284_550 Depth=1
	s_wait_alu 0xfffe
	s_or_b32 exec_lo, exec_lo, s19
	v_lshlrev_b32_e32 v1, 8, v49
	v_lshl_add_u32 v49, v50, 10, 0x2000
	v_lshlrev_b32_e32 v47, 23, v47
	s_delay_alu instid0(VALU_DEP_2) | instskip(NEXT) | instid1(VALU_DEP_1)
	v_and_or_b32 v1, 0x8000, v1, v49
	v_lshl_or_b32 v47, v1, 16, v47
.LBB284_763:                            ;   in Loop: Header=BB284_550 Depth=1
	s_wait_alu 0xfffe
	s_or_b32 exec_lo, exec_lo, s18
.LBB284_764:                            ;   in Loop: Header=BB284_550 Depth=1
	s_wait_alu 0xfffe
	s_or_b32 exec_lo, exec_lo, s17
.LBB284_765:                            ;   in Loop: Header=BB284_550 Depth=1
	s_wait_alu 0xfffe
	s_or_b32 exec_lo, exec_lo, s15
	v_lshrrev_b32_e32 v1, 16, v9
	v_mov_b32_e32 v49, 0
	s_mov_b32 s15, exec_lo
	s_delay_alu instid0(VALU_DEP_2) | instskip(NEXT) | instid1(VALU_DEP_1)
	v_dual_mov_b32 v50, 0 :: v_dual_and_b32 v51, 0xff, v1
	v_cmpx_ne_u16_e32 0, v51
	s_cbranch_execz .LBB284_773
; %bb.766:                              ;   in Loop: Header=BB284_550 Depth=1
	v_mov_b32_e32 v50, 0x8000
	s_mov_b32 s17, exec_lo
	v_cmpx_ne_u16_e32 0x80, v51
	s_cbranch_execz .LBB284_772
; %bb.767:                              ;   in Loop: Header=BB284_550 Depth=1
	v_bfe_u32 v52, v9, 16, 7
	v_mov_b32_e32 v50, 0x7c01
	s_mov_b32 s18, exec_lo
	s_delay_alu instid0(VALU_DEP_2)
	v_cmpx_ne_u32_e32 0x7f, v52
	s_cbranch_execz .LBB284_771
; %bb.768:                              ;   in Loop: Header=BB284_550 Depth=1
	v_and_b32_e32 v50, 7, v1
	v_lshrrev_b32_e32 v51, 3, v52
	s_mov_b32 s19, exec_lo
	v_cmpx_gt_u32_e32 8, v52
; %bb.769:                              ;   in Loop: Header=BB284_550 Depth=1
	s_delay_alu instid0(VALU_DEP_3) | instskip(NEXT) | instid1(VALU_DEP_1)
	v_clz_i32_u32_e32 v50, v50
	v_min_u32_e32 v52, 32, v50
	s_delay_alu instid0(VALU_DEP_1) | instskip(NEXT) | instid1(VALU_DEP_1)
	v_subrev_nc_u32_e32 v50, 28, v52
	v_lshlrev_b64_e32 v[50:51], v50, v[1:2]
	v_sub_nc_u32_e32 v51, 29, v52
	s_delay_alu instid0(VALU_DEP_2)
	v_and_b32_e32 v50, 7, v50
; %bb.770:                              ;   in Loop: Header=BB284_550 Depth=1
	s_wait_alu 0xfffe
	s_or_b32 exec_lo, exec_lo, s19
	v_lshlrev_b32_e32 v1, 8, v1
	v_lshl_add_u32 v51, v51, 10, 0x2000
	v_lshlrev_b32_e32 v50, 7, v50
	s_delay_alu instid0(VALU_DEP_3) | instskip(NEXT) | instid1(VALU_DEP_3)
	v_and_b32_e32 v1, 0x8000, v1
	v_and_b32_e32 v51, 0xfc00, v51
	s_delay_alu instid0(VALU_DEP_1)
	v_or3_b32 v50, v1, v51, v50
.LBB284_771:                            ;   in Loop: Header=BB284_550 Depth=1
	s_wait_alu 0xfffe
	s_or_b32 exec_lo, exec_lo, s18
.LBB284_772:                            ;   in Loop: Header=BB284_550 Depth=1
	s_wait_alu 0xfffe
	s_or_b32 exec_lo, exec_lo, s17
.LBB284_773:                            ;   in Loop: Header=BB284_550 Depth=1
	s_wait_alu 0xfffe
	s_or_b32 exec_lo, exec_lo, s15
	s_delay_alu instid0(SALU_CYCLE_1)
	s_mov_b32 s15, exec_lo
	v_cmpx_lt_u32_e32 0xffffff, v9
	s_cbranch_execz .LBB284_781
; %bb.774:                              ;   in Loop: Header=BB284_550 Depth=1
	v_lshrrev_b32_e32 v1, 24, v9
	v_bfrev_b32_e32 v49, 1
	s_mov_b32 s17, exec_lo
	s_delay_alu instid0(VALU_DEP_2)
	v_cmpx_ne_u32_e32 0x80, v1
	s_cbranch_execz .LBB284_780
; %bb.775:                              ;   in Loop: Header=BB284_550 Depth=1
	v_and_b32_e32 v52, 0x7f, v1
	v_mov_b32_e32 v49, 0x7c010000
	s_mov_b32 s18, exec_lo
	s_delay_alu instid0(VALU_DEP_2)
	v_cmpx_ne_u32_e32 0x7f, v52
	s_cbranch_execz .LBB284_779
; %bb.776:                              ;   in Loop: Header=BB284_550 Depth=1
	v_and_b32_e32 v49, 7, v1
	v_lshrrev_b32_e32 v51, 3, v52
	s_mov_b32 s19, exec_lo
	v_cmpx_gt_u32_e32 8, v52
; %bb.777:                              ;   in Loop: Header=BB284_550 Depth=1
	s_delay_alu instid0(VALU_DEP_3) | instskip(NEXT) | instid1(VALU_DEP_1)
	v_clz_i32_u32_e32 v49, v49
	v_min_u32_e32 v49, 32, v49
	s_delay_alu instid0(VALU_DEP_1) | instskip(NEXT) | instid1(VALU_DEP_1)
	v_subrev_nc_u32_e32 v51, 28, v49
	v_lshlrev_b64_e32 v[52:53], v51, v[1:2]
	v_sub_nc_u32_e32 v51, 29, v49
	s_delay_alu instid0(VALU_DEP_2)
	v_and_b32_e32 v49, 7, v52
; %bb.778:                              ;   in Loop: Header=BB284_550 Depth=1
	s_wait_alu 0xfffe
	s_or_b32 exec_lo, exec_lo, s19
	v_lshlrev_b32_e32 v1, 8, v1
	v_lshl_add_u32 v51, v51, 10, 0x2000
	v_lshlrev_b32_e32 v49, 23, v49
	s_delay_alu instid0(VALU_DEP_2) | instskip(NEXT) | instid1(VALU_DEP_1)
	v_and_or_b32 v1, 0x8000, v1, v51
	v_lshl_or_b32 v49, v1, 16, v49
.LBB284_779:                            ;   in Loop: Header=BB284_550 Depth=1
	s_wait_alu 0xfffe
	s_or_b32 exec_lo, exec_lo, s18
.LBB284_780:                            ;   in Loop: Header=BB284_550 Depth=1
	s_wait_alu 0xfffe
	s_or_b32 exec_lo, exec_lo, s17
.LBB284_781:                            ;   in Loop: Header=BB284_550 Depth=1
	s_wait_alu 0xfffe
	s_or_b32 exec_lo, exec_lo, s15
	v_dual_mov_b32 v52, 0 :: v_dual_and_b32 v53, 0xff, v10
	v_mov_b32_e32 v1, v10
	v_mov_b32_e32 v51, 0
	s_mov_b32 s15, exec_lo
	s_delay_alu instid0(VALU_DEP_3)
	v_cmpx_ne_u16_e32 0, v53
	s_cbranch_execz .LBB284_789
; %bb.782:                              ;   in Loop: Header=BB284_550 Depth=1
	v_mov_b32_e32 v52, 0x8000
	s_mov_b32 s17, exec_lo
	v_cmpx_ne_u16_e32 0x80, v53
	s_cbranch_execz .LBB284_788
; %bb.783:                              ;   in Loop: Header=BB284_550 Depth=1
	v_and_b32_e32 v54, 0x7f, v10
	v_mov_b32_e32 v52, 0x7c01
	s_mov_b32 s18, exec_lo
	s_delay_alu instid0(VALU_DEP_2)
	v_cmpx_ne_u32_e32 0x7f, v54
	s_cbranch_execz .LBB284_787
; %bb.784:                              ;   in Loop: Header=BB284_550 Depth=1
	v_and_b32_e32 v52, 7, v10
	v_lshrrev_b32_e32 v53, 3, v54
	s_mov_b32 s19, exec_lo
	v_cmpx_gt_u32_e32 8, v54
; %bb.785:                              ;   in Loop: Header=BB284_550 Depth=1
	s_delay_alu instid0(VALU_DEP_3) | instskip(NEXT) | instid1(VALU_DEP_1)
	v_clz_i32_u32_e32 v52, v52
	v_min_u32_e32 v54, 32, v52
	s_delay_alu instid0(VALU_DEP_1) | instskip(NEXT) | instid1(VALU_DEP_1)
	v_subrev_nc_u32_e32 v52, 28, v54
	v_lshlrev_b64_e32 v[52:53], v52, v[1:2]
	v_sub_nc_u32_e32 v53, 29, v54
	s_delay_alu instid0(VALU_DEP_2)
	v_and_b32_e32 v52, 7, v52
; %bb.786:                              ;   in Loop: Header=BB284_550 Depth=1
	s_wait_alu 0xfffe
	s_or_b32 exec_lo, exec_lo, s19
	v_lshlrev_b32_e32 v54, 8, v10
	v_lshl_add_u32 v53, v53, 10, 0x2000
	v_lshlrev_b32_e32 v52, 7, v52
	s_delay_alu instid0(VALU_DEP_3) | instskip(NEXT) | instid1(VALU_DEP_3)
	v_and_b32_e32 v54, 0x8000, v54
	v_and_b32_e32 v53, 0xfc00, v53
	s_delay_alu instid0(VALU_DEP_1)
	v_or3_b32 v52, v54, v53, v52
.LBB284_787:                            ;   in Loop: Header=BB284_550 Depth=1
	s_wait_alu 0xfffe
	s_or_b32 exec_lo, exec_lo, s18
.LBB284_788:                            ;   in Loop: Header=BB284_550 Depth=1
	s_wait_alu 0xfffe
	s_or_b32 exec_lo, exec_lo, s17
.LBB284_789:                            ;   in Loop: Header=BB284_550 Depth=1
	s_wait_alu 0xfffe
	s_or_b32 exec_lo, exec_lo, s15
	v_lshrrev_b16 v1, 8, v1
	v_mov_b32_e32 v53, 0
	s_mov_b32 s15, exec_lo
	s_delay_alu instid0(VALU_DEP_2)
	v_cmpx_ne_u16_e32 0, v1
	s_cbranch_execz .LBB284_797
; %bb.790:                              ;   in Loop: Header=BB284_550 Depth=1
	v_bfrev_b32_e32 v53, 1
	s_mov_b32 s17, exec_lo
	v_cmpx_ne_u16_e32 0x80, v1
	s_cbranch_execz .LBB284_796
; %bb.791:                              ;   in Loop: Header=BB284_550 Depth=1
	v_and_b32_e32 v54, 0xffff, v1
	v_mov_b32_e32 v53, 0x7c010000
	s_mov_b32 s18, exec_lo
	s_delay_alu instid0(VALU_DEP_2) | instskip(NEXT) | instid1(VALU_DEP_1)
	v_and_b32_e32 v56, 0x7f, v54
	v_cmpx_ne_u32_e32 0x7f, v56
	s_cbranch_execz .LBB284_795
; %bb.792:                              ;   in Loop: Header=BB284_550 Depth=1
	v_and_b32_e32 v53, 7, v54
	v_lshrrev_b32_e32 v55, 3, v56
	s_mov_b32 s19, exec_lo
	v_cmpx_gt_u32_e32 8, v56
; %bb.793:                              ;   in Loop: Header=BB284_550 Depth=1
	s_delay_alu instid0(VALU_DEP_3) | instskip(NEXT) | instid1(VALU_DEP_1)
	v_clz_i32_u32_e32 v53, v53
	v_min_u32_e32 v53, 32, v53
	s_delay_alu instid0(VALU_DEP_1) | instskip(NEXT) | instid1(VALU_DEP_1)
	v_subrev_nc_u32_e32 v55, 28, v53
	v_lshlrev_b64_e32 v[56:57], v55, v[1:2]
	v_sub_nc_u32_e32 v55, 29, v53
	s_delay_alu instid0(VALU_DEP_2)
	v_and_b32_e32 v53, 7, v56
; %bb.794:                              ;   in Loop: Header=BB284_550 Depth=1
	s_wait_alu 0xfffe
	s_or_b32 exec_lo, exec_lo, s19
	v_lshlrev_b32_e32 v1, 8, v54
	v_lshl_add_u32 v54, v55, 10, 0x2000
	v_lshlrev_b32_e32 v53, 23, v53
	s_delay_alu instid0(VALU_DEP_2) | instskip(NEXT) | instid1(VALU_DEP_1)
	v_and_or_b32 v1, 0x8000, v1, v54
	v_lshl_or_b32 v53, v1, 16, v53
.LBB284_795:                            ;   in Loop: Header=BB284_550 Depth=1
	s_wait_alu 0xfffe
	s_or_b32 exec_lo, exec_lo, s18
.LBB284_796:                            ;   in Loop: Header=BB284_550 Depth=1
	s_wait_alu 0xfffe
	s_or_b32 exec_lo, exec_lo, s17
.LBB284_797:                            ;   in Loop: Header=BB284_550 Depth=1
	s_wait_alu 0xfffe
	s_or_b32 exec_lo, exec_lo, s15
	v_lshrrev_b32_e32 v1, 16, v10
	s_mov_b32 s15, exec_lo
	s_delay_alu instid0(VALU_DEP_1) | instskip(NEXT) | instid1(VALU_DEP_1)
	v_and_b32_e32 v54, 0xff, v1
	v_cmpx_ne_u16_e32 0, v54
	s_cbranch_execz .LBB284_805
; %bb.798:                              ;   in Loop: Header=BB284_550 Depth=1
	v_mov_b32_e32 v51, 0x8000
	s_mov_b32 s17, exec_lo
	v_cmpx_ne_u16_e32 0x80, v54
	s_cbranch_execz .LBB284_804
; %bb.799:                              ;   in Loop: Header=BB284_550 Depth=1
	v_bfe_u32 v55, v10, 16, 7
	v_mov_b32_e32 v51, 0x7c01
	s_mov_b32 s18, exec_lo
	s_delay_alu instid0(VALU_DEP_2)
	v_cmpx_ne_u32_e32 0x7f, v55
	s_cbranch_execz .LBB284_803
; %bb.800:                              ;   in Loop: Header=BB284_550 Depth=1
	v_and_b32_e32 v51, 7, v1
	v_lshrrev_b32_e32 v54, 3, v55
	s_mov_b32 s19, exec_lo
	v_cmpx_gt_u32_e32 8, v55
; %bb.801:                              ;   in Loop: Header=BB284_550 Depth=1
	s_delay_alu instid0(VALU_DEP_3) | instskip(NEXT) | instid1(VALU_DEP_1)
	v_clz_i32_u32_e32 v51, v51
	v_min_u32_e32 v51, 32, v51
	s_delay_alu instid0(VALU_DEP_1) | instskip(NEXT) | instid1(VALU_DEP_1)
	v_subrev_nc_u32_e32 v54, 28, v51
	v_lshlrev_b64_e32 v[55:56], v54, v[1:2]
	v_sub_nc_u32_e32 v54, 29, v51
	s_delay_alu instid0(VALU_DEP_2)
	v_and_b32_e32 v51, 7, v55
; %bb.802:                              ;   in Loop: Header=BB284_550 Depth=1
	s_wait_alu 0xfffe
	s_or_b32 exec_lo, exec_lo, s19
	v_lshlrev_b32_e32 v1, 8, v1
	v_lshl_add_u32 v54, v54, 10, 0x2000
	v_lshlrev_b32_e32 v51, 7, v51
	s_delay_alu instid0(VALU_DEP_3) | instskip(NEXT) | instid1(VALU_DEP_3)
	v_and_b32_e32 v1, 0x8000, v1
	v_and_b32_e32 v54, 0xfc00, v54
	s_delay_alu instid0(VALU_DEP_1)
	v_or3_b32 v51, v1, v54, v51
.LBB284_803:                            ;   in Loop: Header=BB284_550 Depth=1
	s_wait_alu 0xfffe
	s_or_b32 exec_lo, exec_lo, s18
.LBB284_804:                            ;   in Loop: Header=BB284_550 Depth=1
	s_wait_alu 0xfffe
	s_or_b32 exec_lo, exec_lo, s17
.LBB284_805:                            ;   in Loop: Header=BB284_550 Depth=1
	s_wait_alu 0xfffe
	s_or_b32 exec_lo, exec_lo, s15
	v_cmp_lt_u64_e64 s0, s[2:3], v[9:10]
	v_mov_b32_e32 v9, 0
	s_and_saveexec_b32 s15, s0
	s_cbranch_execz .LBB284_813
; %bb.806:                              ;   in Loop: Header=BB284_550 Depth=1
	v_lshrrev_b32_e32 v1, 24, v10
	v_bfrev_b32_e32 v9, 1
	s_mov_b32 s17, exec_lo
	s_delay_alu instid0(VALU_DEP_2)
	v_cmpx_ne_u32_e32 0x80, v1
	s_cbranch_execz .LBB284_812
; %bb.807:                              ;   in Loop: Header=BB284_550 Depth=1
	v_and_b32_e32 v54, 0x7f, v1
	v_mov_b32_e32 v9, 0x7c010000
	s_mov_b32 s18, exec_lo
	s_delay_alu instid0(VALU_DEP_2)
	v_cmpx_ne_u32_e32 0x7f, v54
	s_cbranch_execz .LBB284_811
; %bb.808:                              ;   in Loop: Header=BB284_550 Depth=1
	v_and_b32_e32 v9, 7, v1
	v_lshrrev_b32_e32 v10, 3, v54
	s_mov_b32 s19, exec_lo
	v_cmpx_gt_u32_e32 8, v54
; %bb.809:                              ;   in Loop: Header=BB284_550 Depth=1
	s_delay_alu instid0(VALU_DEP_3) | instskip(NEXT) | instid1(VALU_DEP_1)
	v_clz_i32_u32_e32 v9, v9
	v_min_u32_e32 v54, 32, v9
	s_delay_alu instid0(VALU_DEP_1) | instskip(NEXT) | instid1(VALU_DEP_1)
	v_subrev_nc_u32_e32 v9, 28, v54
	v_lshlrev_b64_e32 v[9:10], v9, v[1:2]
	v_sub_nc_u32_e32 v10, 29, v54
	s_delay_alu instid0(VALU_DEP_2)
	v_and_b32_e32 v9, 7, v9
; %bb.810:                              ;   in Loop: Header=BB284_550 Depth=1
	s_wait_alu 0xfffe
	s_or_b32 exec_lo, exec_lo, s19
	v_lshlrev_b32_e32 v1, 8, v1
	v_lshl_add_u32 v10, v10, 10, 0x2000
	v_lshlrev_b32_e32 v9, 23, v9
	s_delay_alu instid0(VALU_DEP_2) | instskip(NEXT) | instid1(VALU_DEP_1)
	v_and_or_b32 v1, 0x8000, v1, v10
	v_lshl_or_b32 v9, v1, 16, v9
.LBB284_811:                            ;   in Loop: Header=BB284_550 Depth=1
	s_wait_alu 0xfffe
	s_or_b32 exec_lo, exec_lo, s18
.LBB284_812:                            ;   in Loop: Header=BB284_550 Depth=1
	s_wait_alu 0xfffe
	s_or_b32 exec_lo, exec_lo, s17
.LBB284_813:                            ;   in Loop: Header=BB284_550 Depth=1
	s_wait_alu 0xfffe
	s_or_b32 exec_lo, exec_lo, s15
	v_or_b32_e32 v1, v49, v50
	s_wait_loadcnt 0x0
	v_fma_mixlo_f16 v10, v46, v49, 0 op_sel:[0,1,0] op_sel_hi:[0,1,0]
	v_or_b32_e32 v49, v47, v48
	v_fma_mixlo_f16 v47, v46, v47, 0 op_sel:[0,1,0] op_sel_hi:[0,1,0]
	v_or_b32_e32 v50, v53, v52
	v_or_b32_e32 v51, v9, v51
	v_fma_mixlo_f16 v52, v46, v1, 0 op_sel_hi:[0,1,0]
	v_fma_mixlo_f16 v9, v46, v9, 0 op_sel:[0,1,0] op_sel_hi:[0,1,0]
	v_lshlrev_b32_e32 v48, 16, v47
	v_fma_mixlo_f16 v47, v46, v49, 0 op_sel_hi:[0,1,0]
	v_fma_mixlo_f16 v49, v46, v53, 0 op_sel:[0,1,0] op_sel_hi:[0,1,0]
	v_fma_mixlo_f16 v50, v46, v50, 0 op_sel_hi:[0,1,0]
	v_fma_mixlo_f16 v51, v46, v51, 0 op_sel_hi:[0,1,0]
	v_lshlrev_b32_e32 v1, 16, v10
	v_and_b32_e32 v10, 0xffff, v52
	v_and_b32_e32 v54, 0xffff, v47
	v_lshlrev_b32_e32 v46, 16, v49
	v_and_b32_e32 v50, 0xffff, v50
	v_lshlrev_b32_e32 v9, 16, v9
	v_and_b32_e32 v47, 0xffff, v51
	v_or_b32_e32 v49, v1, v10
	v_or_b32_e32 v53, v48, v54
	;; [unrolled: 1-line block ×3, first 2 shown]
	s_delay_alu instid0(VALU_DEP_4)
	v_or_b32_e32 v51, v9, v47
	s_and_saveexec_b32 s15, vcc_lo
	s_cbranch_execz .LBB284_815
; %bb.814:                              ;   in Loop: Header=BB284_550 Depth=1
	v_cmp_gt_i32_e64 s0, s34, v28
	s_wait_alu 0xf1ff
	s_delay_alu instid0(VALU_DEP_1) | instskip(SKIP_2) | instid1(VALU_DEP_1)
	v_cndmask_b32_e64 v49, 0, v54, s0
	v_cmp_gt_i32_e64 s0, s34, v36
	s_wait_alu 0xf1ff
	v_cndmask_b32_e64 v48, 0, v48, s0
	v_cmp_gt_i32_e64 s0, s34, v34
	s_delay_alu instid0(VALU_DEP_2) | instskip(SKIP_1) | instid1(VALU_DEP_2)
	v_or_b32_e32 v53, v48, v49
	s_wait_alu 0xf1ff
	v_cndmask_b32_e64 v10, 0, v10, s0
	v_cmp_gt_i32_e64 s0, s34, v33
	s_wait_alu 0xf1ff
	s_delay_alu instid0(VALU_DEP_1) | instskip(SKIP_1) | instid1(VALU_DEP_2)
	v_cndmask_b32_e64 v1, 0, v1, s0
	v_cmp_gt_i32_e64 s0, s34, v32
	v_or_b32_e32 v49, v1, v10
	s_wait_alu 0xf1ff
	s_delay_alu instid0(VALU_DEP_2) | instskip(SKIP_2) | instid1(VALU_DEP_1)
	v_cndmask_b32_e64 v50, 0, v50, s0
	v_cmp_gt_i32_e64 s0, s34, v31
	s_wait_alu 0xf1ff
	v_cndmask_b32_e64 v46, 0, v46, s0
	v_cmp_gt_i32_e64 s0, s34, v30
	s_delay_alu instid0(VALU_DEP_2) | instskip(SKIP_1) | instid1(VALU_DEP_2)
	v_or_b32_e32 v52, v46, v50
	s_wait_alu 0xf1ff
	v_cndmask_b32_e64 v47, 0, v47, s0
	v_cmp_gt_i32_e64 s0, s34, v29
	s_wait_alu 0xf1ff
	s_delay_alu instid0(VALU_DEP_1) | instskip(NEXT) | instid1(VALU_DEP_1)
	v_cndmask_b32_e64 v9, 0, v9, s0
	v_or_b32_e32 v51, v9, v47
.LBB284_815:                            ;   in Loop: Header=BB284_550 Depth=1
	s_wait_alu 0xfffe
	s_or_b32 exec_lo, exec_lo, s15
	;;#ASMSTART
	v_pk_mul_f16 v1, v41, v53;

	;;#ASMEND
	;;#ASMSTART
	v_pk_mul_f16 v9, v40, v49;

	;;#ASMEND
	;; [unrolled: 4-line block ×4, first 2 shown]
	;;#ASMSTART
	v_pk_add_f16 v1, v1, v9;

	;;#ASMEND
	;;#ASMSTART
	v_pk_add_f16 v1, v1, v10;

	;;#ASMEND
	;; [unrolled: 4-line block ×3, first 2 shown]
	v_dual_mov_b32 v50, 0 :: v_dual_and_b32 v9, 0xffff, v1
	v_lshrrev_b32_e32 v1, 16, v1
	;;#ASMSTART
	v_cvt_f32_f16 v46, v9;
	;;#ASMEND
	;;#ASMSTART
	v_cvt_f32_f16 v47, v1;
	;;#ASMEND
	global_load_b64 v[9:10], v[7:8], off offset:1024
	v_mov_b32_e32 v49, 0
	s_mov_b32 s15, exec_lo
	global_load_b32 v48, v49, s[10:11]
	s_wait_loadcnt 0x1
	v_and_b32_e32 v1, 0xff, v9
	s_delay_alu instid0(VALU_DEP_1)
	v_cmpx_ne_u16_e32 0, v1
	s_cbranch_execz .LBB284_823
; %bb.816:                              ;   in Loop: Header=BB284_550 Depth=1
	v_mov_b32_e32 v50, 0x8000
	s_mov_b32 s17, exec_lo
	v_cmpx_ne_u16_e32 0x80, v1
	s_cbranch_execz .LBB284_822
; %bb.817:                              ;   in Loop: Header=BB284_550 Depth=1
	v_and_b32_e32 v51, 0x7f, v9
	v_mov_b32_e32 v50, 0x7c01
	s_mov_b32 s18, exec_lo
	s_delay_alu instid0(VALU_DEP_2)
	v_cmpx_ne_u32_e32 0x7f, v51
	s_cbranch_execz .LBB284_821
; %bb.818:                              ;   in Loop: Header=BB284_550 Depth=1
	v_and_b32_e32 v1, 7, v9
	v_lshrrev_b32_e32 v50, 3, v51
	s_mov_b32 s19, exec_lo
	v_cmpx_gt_u32_e32 8, v51
; %bb.819:                              ;   in Loop: Header=BB284_550 Depth=1
	s_delay_alu instid0(VALU_DEP_3) | instskip(NEXT) | instid1(VALU_DEP_1)
	v_clz_i32_u32_e32 v1, v1
	v_min_u32_e32 v1, 32, v1
	s_delay_alu instid0(VALU_DEP_1) | instskip(NEXT) | instid1(VALU_DEP_1)
	v_subrev_nc_u32_e32 v50, 28, v1
	v_lshlrev_b64_e32 v[51:52], v50, v[9:10]
	v_sub_nc_u32_e32 v50, 29, v1
	s_delay_alu instid0(VALU_DEP_2)
	v_and_b32_e32 v1, 7, v51
; %bb.820:                              ;   in Loop: Header=BB284_550 Depth=1
	s_wait_alu 0xfffe
	s_or_b32 exec_lo, exec_lo, s19
	v_lshlrev_b32_e32 v51, 8, v9
	v_lshl_add_u32 v50, v50, 10, 0x2000
	v_lshlrev_b32_e32 v1, 7, v1
	s_delay_alu instid0(VALU_DEP_3) | instskip(NEXT) | instid1(VALU_DEP_3)
	v_and_b32_e32 v51, 0x8000, v51
	v_and_b32_e32 v50, 0xfc00, v50
	s_delay_alu instid0(VALU_DEP_1)
	v_or3_b32 v50, v51, v50, v1
.LBB284_821:                            ;   in Loop: Header=BB284_550 Depth=1
	s_wait_alu 0xfffe
	s_or_b32 exec_lo, exec_lo, s18
.LBB284_822:                            ;   in Loop: Header=BB284_550 Depth=1
	s_wait_alu 0xfffe
	s_or_b32 exec_lo, exec_lo, s17
.LBB284_823:                            ;   in Loop: Header=BB284_550 Depth=1
	s_wait_alu 0xfffe
	s_or_b32 exec_lo, exec_lo, s15
	v_lshrrev_b16 v1, 8, v9
	s_mov_b32 s15, exec_lo
	s_delay_alu instid0(VALU_DEP_1)
	v_cmpx_ne_u16_e32 0, v1
	s_cbranch_execz .LBB284_831
; %bb.824:                              ;   in Loop: Header=BB284_550 Depth=1
	v_bfrev_b32_e32 v49, 1
	s_mov_b32 s17, exec_lo
	v_cmpx_ne_u16_e32 0x80, v1
	s_cbranch_execz .LBB284_830
; %bb.825:                              ;   in Loop: Header=BB284_550 Depth=1
	v_and_b32_e32 v51, 0xffff, v1
	v_mov_b32_e32 v49, 0x7c010000
	s_mov_b32 s18, exec_lo
	s_delay_alu instid0(VALU_DEP_2) | instskip(NEXT) | instid1(VALU_DEP_1)
	v_and_b32_e32 v53, 0x7f, v51
	v_cmpx_ne_u32_e32 0x7f, v53
	s_cbranch_execz .LBB284_829
; %bb.826:                              ;   in Loop: Header=BB284_550 Depth=1
	v_and_b32_e32 v49, 7, v51
	v_lshrrev_b32_e32 v52, 3, v53
	s_mov_b32 s19, exec_lo
	v_cmpx_gt_u32_e32 8, v53
; %bb.827:                              ;   in Loop: Header=BB284_550 Depth=1
	s_delay_alu instid0(VALU_DEP_3) | instskip(NEXT) | instid1(VALU_DEP_1)
	v_clz_i32_u32_e32 v49, v49
	v_min_u32_e32 v49, 32, v49
	s_delay_alu instid0(VALU_DEP_1) | instskip(NEXT) | instid1(VALU_DEP_1)
	v_subrev_nc_u32_e32 v52, 28, v49
	v_lshlrev_b64_e32 v[53:54], v52, v[1:2]
	v_sub_nc_u32_e32 v52, 29, v49
	s_delay_alu instid0(VALU_DEP_2)
	v_and_b32_e32 v49, 7, v53
; %bb.828:                              ;   in Loop: Header=BB284_550 Depth=1
	s_wait_alu 0xfffe
	s_or_b32 exec_lo, exec_lo, s19
	v_lshlrev_b32_e32 v1, 8, v51
	v_lshl_add_u32 v51, v52, 10, 0x2000
	v_lshlrev_b32_e32 v49, 23, v49
	s_delay_alu instid0(VALU_DEP_2) | instskip(NEXT) | instid1(VALU_DEP_1)
	v_and_or_b32 v1, 0x8000, v1, v51
	v_lshl_or_b32 v49, v1, 16, v49
.LBB284_829:                            ;   in Loop: Header=BB284_550 Depth=1
	s_wait_alu 0xfffe
	s_or_b32 exec_lo, exec_lo, s18
.LBB284_830:                            ;   in Loop: Header=BB284_550 Depth=1
	s_wait_alu 0xfffe
	s_or_b32 exec_lo, exec_lo, s17
.LBB284_831:                            ;   in Loop: Header=BB284_550 Depth=1
	s_wait_alu 0xfffe
	s_or_b32 exec_lo, exec_lo, s15
	v_lshrrev_b32_e32 v1, 16, v9
	v_mov_b32_e32 v51, 0
	s_mov_b32 s15, exec_lo
	s_delay_alu instid0(VALU_DEP_2) | instskip(NEXT) | instid1(VALU_DEP_1)
	v_dual_mov_b32 v52, 0 :: v_dual_and_b32 v53, 0xff, v1
	v_cmpx_ne_u16_e32 0, v53
	s_cbranch_execz .LBB284_839
; %bb.832:                              ;   in Loop: Header=BB284_550 Depth=1
	v_mov_b32_e32 v52, 0x8000
	s_mov_b32 s17, exec_lo
	v_cmpx_ne_u16_e32 0x80, v53
	s_cbranch_execz .LBB284_838
; %bb.833:                              ;   in Loop: Header=BB284_550 Depth=1
	v_bfe_u32 v54, v9, 16, 7
	v_mov_b32_e32 v52, 0x7c01
	s_mov_b32 s18, exec_lo
	s_delay_alu instid0(VALU_DEP_2)
	v_cmpx_ne_u32_e32 0x7f, v54
	s_cbranch_execz .LBB284_837
; %bb.834:                              ;   in Loop: Header=BB284_550 Depth=1
	v_and_b32_e32 v52, 7, v1
	v_lshrrev_b32_e32 v53, 3, v54
	s_mov_b32 s19, exec_lo
	v_cmpx_gt_u32_e32 8, v54
; %bb.835:                              ;   in Loop: Header=BB284_550 Depth=1
	s_delay_alu instid0(VALU_DEP_3) | instskip(NEXT) | instid1(VALU_DEP_1)
	v_clz_i32_u32_e32 v52, v52
	v_min_u32_e32 v54, 32, v52
	s_delay_alu instid0(VALU_DEP_1) | instskip(NEXT) | instid1(VALU_DEP_1)
	v_subrev_nc_u32_e32 v52, 28, v54
	v_lshlrev_b64_e32 v[52:53], v52, v[1:2]
	v_sub_nc_u32_e32 v53, 29, v54
	s_delay_alu instid0(VALU_DEP_2)
	v_and_b32_e32 v52, 7, v52
; %bb.836:                              ;   in Loop: Header=BB284_550 Depth=1
	s_wait_alu 0xfffe
	s_or_b32 exec_lo, exec_lo, s19
	v_lshlrev_b32_e32 v1, 8, v1
	v_lshl_add_u32 v53, v53, 10, 0x2000
	v_lshlrev_b32_e32 v52, 7, v52
	s_delay_alu instid0(VALU_DEP_3) | instskip(NEXT) | instid1(VALU_DEP_3)
	v_and_b32_e32 v1, 0x8000, v1
	v_and_b32_e32 v53, 0xfc00, v53
	s_delay_alu instid0(VALU_DEP_1)
	v_or3_b32 v52, v1, v53, v52
.LBB284_837:                            ;   in Loop: Header=BB284_550 Depth=1
	s_wait_alu 0xfffe
	s_or_b32 exec_lo, exec_lo, s18
.LBB284_838:                            ;   in Loop: Header=BB284_550 Depth=1
	s_wait_alu 0xfffe
	s_or_b32 exec_lo, exec_lo, s17
.LBB284_839:                            ;   in Loop: Header=BB284_550 Depth=1
	s_wait_alu 0xfffe
	s_or_b32 exec_lo, exec_lo, s15
	s_delay_alu instid0(SALU_CYCLE_1)
	s_mov_b32 s15, exec_lo
	v_cmpx_lt_u32_e32 0xffffff, v9
	s_cbranch_execz .LBB284_847
; %bb.840:                              ;   in Loop: Header=BB284_550 Depth=1
	v_lshrrev_b32_e32 v1, 24, v9
	v_bfrev_b32_e32 v51, 1
	s_mov_b32 s17, exec_lo
	s_delay_alu instid0(VALU_DEP_2)
	v_cmpx_ne_u32_e32 0x80, v1
	s_cbranch_execz .LBB284_846
; %bb.841:                              ;   in Loop: Header=BB284_550 Depth=1
	v_and_b32_e32 v54, 0x7f, v1
	v_mov_b32_e32 v51, 0x7c010000
	s_mov_b32 s18, exec_lo
	s_delay_alu instid0(VALU_DEP_2)
	v_cmpx_ne_u32_e32 0x7f, v54
	s_cbranch_execz .LBB284_845
; %bb.842:                              ;   in Loop: Header=BB284_550 Depth=1
	v_and_b32_e32 v51, 7, v1
	v_lshrrev_b32_e32 v53, 3, v54
	s_mov_b32 s19, exec_lo
	v_cmpx_gt_u32_e32 8, v54
; %bb.843:                              ;   in Loop: Header=BB284_550 Depth=1
	s_delay_alu instid0(VALU_DEP_3) | instskip(NEXT) | instid1(VALU_DEP_1)
	v_clz_i32_u32_e32 v51, v51
	v_min_u32_e32 v51, 32, v51
	s_delay_alu instid0(VALU_DEP_1) | instskip(NEXT) | instid1(VALU_DEP_1)
	v_subrev_nc_u32_e32 v53, 28, v51
	v_lshlrev_b64_e32 v[54:55], v53, v[1:2]
	v_sub_nc_u32_e32 v53, 29, v51
	s_delay_alu instid0(VALU_DEP_2)
	v_and_b32_e32 v51, 7, v54
; %bb.844:                              ;   in Loop: Header=BB284_550 Depth=1
	s_wait_alu 0xfffe
	s_or_b32 exec_lo, exec_lo, s19
	v_lshlrev_b32_e32 v1, 8, v1
	v_lshl_add_u32 v53, v53, 10, 0x2000
	v_lshlrev_b32_e32 v51, 23, v51
	s_delay_alu instid0(VALU_DEP_2) | instskip(NEXT) | instid1(VALU_DEP_1)
	v_and_or_b32 v1, 0x8000, v1, v53
	v_lshl_or_b32 v51, v1, 16, v51
.LBB284_845:                            ;   in Loop: Header=BB284_550 Depth=1
	s_wait_alu 0xfffe
	s_or_b32 exec_lo, exec_lo, s18
.LBB284_846:                            ;   in Loop: Header=BB284_550 Depth=1
	s_wait_alu 0xfffe
	s_or_b32 exec_lo, exec_lo, s17
.LBB284_847:                            ;   in Loop: Header=BB284_550 Depth=1
	s_wait_alu 0xfffe
	s_or_b32 exec_lo, exec_lo, s15
	v_dual_mov_b32 v54, 0 :: v_dual_and_b32 v55, 0xff, v10
	v_mov_b32_e32 v1, v10
	v_mov_b32_e32 v53, 0
	s_mov_b32 s15, exec_lo
	s_delay_alu instid0(VALU_DEP_3)
	v_cmpx_ne_u16_e32 0, v55
	s_cbranch_execz .LBB284_855
; %bb.848:                              ;   in Loop: Header=BB284_550 Depth=1
	v_mov_b32_e32 v54, 0x8000
	s_mov_b32 s17, exec_lo
	v_cmpx_ne_u16_e32 0x80, v55
	s_cbranch_execz .LBB284_854
; %bb.849:                              ;   in Loop: Header=BB284_550 Depth=1
	v_and_b32_e32 v56, 0x7f, v10
	v_mov_b32_e32 v54, 0x7c01
	s_mov_b32 s18, exec_lo
	s_delay_alu instid0(VALU_DEP_2)
	v_cmpx_ne_u32_e32 0x7f, v56
	s_cbranch_execz .LBB284_853
; %bb.850:                              ;   in Loop: Header=BB284_550 Depth=1
	v_and_b32_e32 v54, 7, v10
	v_lshrrev_b32_e32 v55, 3, v56
	s_mov_b32 s19, exec_lo
	v_cmpx_gt_u32_e32 8, v56
; %bb.851:                              ;   in Loop: Header=BB284_550 Depth=1
	s_delay_alu instid0(VALU_DEP_3) | instskip(NEXT) | instid1(VALU_DEP_1)
	v_clz_i32_u32_e32 v54, v54
	v_min_u32_e32 v56, 32, v54
	s_delay_alu instid0(VALU_DEP_1) | instskip(NEXT) | instid1(VALU_DEP_1)
	v_subrev_nc_u32_e32 v54, 28, v56
	v_lshlrev_b64_e32 v[54:55], v54, v[1:2]
	v_sub_nc_u32_e32 v55, 29, v56
	s_delay_alu instid0(VALU_DEP_2)
	v_and_b32_e32 v54, 7, v54
; %bb.852:                              ;   in Loop: Header=BB284_550 Depth=1
	s_wait_alu 0xfffe
	s_or_b32 exec_lo, exec_lo, s19
	v_lshlrev_b32_e32 v56, 8, v10
	v_lshl_add_u32 v55, v55, 10, 0x2000
	v_lshlrev_b32_e32 v54, 7, v54
	s_delay_alu instid0(VALU_DEP_3) | instskip(NEXT) | instid1(VALU_DEP_3)
	v_and_b32_e32 v56, 0x8000, v56
	v_and_b32_e32 v55, 0xfc00, v55
	s_delay_alu instid0(VALU_DEP_1)
	v_or3_b32 v54, v56, v55, v54
.LBB284_853:                            ;   in Loop: Header=BB284_550 Depth=1
	s_wait_alu 0xfffe
	s_or_b32 exec_lo, exec_lo, s18
.LBB284_854:                            ;   in Loop: Header=BB284_550 Depth=1
	s_wait_alu 0xfffe
	s_or_b32 exec_lo, exec_lo, s17
.LBB284_855:                            ;   in Loop: Header=BB284_550 Depth=1
	s_wait_alu 0xfffe
	s_or_b32 exec_lo, exec_lo, s15
	v_lshrrev_b16 v1, 8, v1
	v_mov_b32_e32 v55, 0
	s_mov_b32 s15, exec_lo
	s_delay_alu instid0(VALU_DEP_2)
	v_cmpx_ne_u16_e32 0, v1
	s_cbranch_execz .LBB284_863
; %bb.856:                              ;   in Loop: Header=BB284_550 Depth=1
	v_bfrev_b32_e32 v55, 1
	s_mov_b32 s17, exec_lo
	v_cmpx_ne_u16_e32 0x80, v1
	s_cbranch_execz .LBB284_862
; %bb.857:                              ;   in Loop: Header=BB284_550 Depth=1
	v_and_b32_e32 v56, 0xffff, v1
	v_mov_b32_e32 v55, 0x7c010000
	s_mov_b32 s18, exec_lo
	s_delay_alu instid0(VALU_DEP_2) | instskip(NEXT) | instid1(VALU_DEP_1)
	v_and_b32_e32 v58, 0x7f, v56
	v_cmpx_ne_u32_e32 0x7f, v58
	s_cbranch_execz .LBB284_861
; %bb.858:                              ;   in Loop: Header=BB284_550 Depth=1
	v_and_b32_e32 v55, 7, v56
	v_lshrrev_b32_e32 v57, 3, v58
	s_mov_b32 s19, exec_lo
	v_cmpx_gt_u32_e32 8, v58
; %bb.859:                              ;   in Loop: Header=BB284_550 Depth=1
	s_delay_alu instid0(VALU_DEP_3) | instskip(NEXT) | instid1(VALU_DEP_1)
	v_clz_i32_u32_e32 v55, v55
	v_min_u32_e32 v55, 32, v55
	s_delay_alu instid0(VALU_DEP_1) | instskip(NEXT) | instid1(VALU_DEP_1)
	v_subrev_nc_u32_e32 v57, 28, v55
	v_lshlrev_b64_e32 v[58:59], v57, v[1:2]
	v_sub_nc_u32_e32 v57, 29, v55
	s_delay_alu instid0(VALU_DEP_2)
	v_and_b32_e32 v55, 7, v58
; %bb.860:                              ;   in Loop: Header=BB284_550 Depth=1
	s_wait_alu 0xfffe
	s_or_b32 exec_lo, exec_lo, s19
	v_lshlrev_b32_e32 v1, 8, v56
	v_lshl_add_u32 v56, v57, 10, 0x2000
	v_lshlrev_b32_e32 v55, 23, v55
	s_delay_alu instid0(VALU_DEP_2) | instskip(NEXT) | instid1(VALU_DEP_1)
	v_and_or_b32 v1, 0x8000, v1, v56
	v_lshl_or_b32 v55, v1, 16, v55
.LBB284_861:                            ;   in Loop: Header=BB284_550 Depth=1
	s_wait_alu 0xfffe
	s_or_b32 exec_lo, exec_lo, s18
.LBB284_862:                            ;   in Loop: Header=BB284_550 Depth=1
	s_wait_alu 0xfffe
	s_or_b32 exec_lo, exec_lo, s17
.LBB284_863:                            ;   in Loop: Header=BB284_550 Depth=1
	s_wait_alu 0xfffe
	s_or_b32 exec_lo, exec_lo, s15
	v_lshrrev_b32_e32 v1, 16, v10
	s_mov_b32 s15, exec_lo
	s_delay_alu instid0(VALU_DEP_1) | instskip(NEXT) | instid1(VALU_DEP_1)
	v_and_b32_e32 v56, 0xff, v1
	v_cmpx_ne_u16_e32 0, v56
	s_cbranch_execz .LBB284_871
; %bb.864:                              ;   in Loop: Header=BB284_550 Depth=1
	v_mov_b32_e32 v53, 0x8000
	s_mov_b32 s17, exec_lo
	v_cmpx_ne_u16_e32 0x80, v56
	s_cbranch_execz .LBB284_870
; %bb.865:                              ;   in Loop: Header=BB284_550 Depth=1
	v_bfe_u32 v57, v10, 16, 7
	v_mov_b32_e32 v53, 0x7c01
	s_mov_b32 s18, exec_lo
	s_delay_alu instid0(VALU_DEP_2)
	v_cmpx_ne_u32_e32 0x7f, v57
	s_cbranch_execz .LBB284_869
; %bb.866:                              ;   in Loop: Header=BB284_550 Depth=1
	v_and_b32_e32 v53, 7, v1
	v_lshrrev_b32_e32 v56, 3, v57
	s_mov_b32 s19, exec_lo
	v_cmpx_gt_u32_e32 8, v57
; %bb.867:                              ;   in Loop: Header=BB284_550 Depth=1
	s_delay_alu instid0(VALU_DEP_3) | instskip(NEXT) | instid1(VALU_DEP_1)
	v_clz_i32_u32_e32 v53, v53
	v_min_u32_e32 v53, 32, v53
	s_delay_alu instid0(VALU_DEP_1) | instskip(NEXT) | instid1(VALU_DEP_1)
	v_subrev_nc_u32_e32 v56, 28, v53
	v_lshlrev_b64_e32 v[57:58], v56, v[1:2]
	v_sub_nc_u32_e32 v56, 29, v53
	s_delay_alu instid0(VALU_DEP_2)
	v_and_b32_e32 v53, 7, v57
; %bb.868:                              ;   in Loop: Header=BB284_550 Depth=1
	s_wait_alu 0xfffe
	s_or_b32 exec_lo, exec_lo, s19
	v_lshlrev_b32_e32 v1, 8, v1
	v_lshl_add_u32 v56, v56, 10, 0x2000
	v_lshlrev_b32_e32 v53, 7, v53
	s_delay_alu instid0(VALU_DEP_3) | instskip(NEXT) | instid1(VALU_DEP_3)
	v_and_b32_e32 v1, 0x8000, v1
	v_and_b32_e32 v56, 0xfc00, v56
	s_delay_alu instid0(VALU_DEP_1)
	v_or3_b32 v53, v1, v56, v53
.LBB284_869:                            ;   in Loop: Header=BB284_550 Depth=1
	s_wait_alu 0xfffe
	s_or_b32 exec_lo, exec_lo, s18
.LBB284_870:                            ;   in Loop: Header=BB284_550 Depth=1
	s_wait_alu 0xfffe
	s_or_b32 exec_lo, exec_lo, s17
.LBB284_871:                            ;   in Loop: Header=BB284_550 Depth=1
	s_wait_alu 0xfffe
	s_or_b32 exec_lo, exec_lo, s15
	v_cmp_lt_u64_e64 s0, s[2:3], v[9:10]
	v_mov_b32_e32 v9, 0
	s_and_saveexec_b32 s15, s0
	s_cbranch_execz .LBB284_879
; %bb.872:                              ;   in Loop: Header=BB284_550 Depth=1
	v_lshrrev_b32_e32 v1, 24, v10
	v_bfrev_b32_e32 v9, 1
	s_mov_b32 s17, exec_lo
	s_delay_alu instid0(VALU_DEP_2)
	v_cmpx_ne_u32_e32 0x80, v1
	s_cbranch_execz .LBB284_878
; %bb.873:                              ;   in Loop: Header=BB284_550 Depth=1
	v_and_b32_e32 v56, 0x7f, v1
	v_mov_b32_e32 v9, 0x7c010000
	s_mov_b32 s18, exec_lo
	s_delay_alu instid0(VALU_DEP_2)
	v_cmpx_ne_u32_e32 0x7f, v56
	s_cbranch_execz .LBB284_877
; %bb.874:                              ;   in Loop: Header=BB284_550 Depth=1
	v_and_b32_e32 v9, 7, v1
	v_lshrrev_b32_e32 v10, 3, v56
	s_mov_b32 s19, exec_lo
	v_cmpx_gt_u32_e32 8, v56
; %bb.875:                              ;   in Loop: Header=BB284_550 Depth=1
	s_delay_alu instid0(VALU_DEP_3) | instskip(NEXT) | instid1(VALU_DEP_1)
	v_clz_i32_u32_e32 v9, v9
	v_min_u32_e32 v56, 32, v9
	s_delay_alu instid0(VALU_DEP_1) | instskip(NEXT) | instid1(VALU_DEP_1)
	v_subrev_nc_u32_e32 v9, 28, v56
	v_lshlrev_b64_e32 v[9:10], v9, v[1:2]
	v_sub_nc_u32_e32 v10, 29, v56
	s_delay_alu instid0(VALU_DEP_2)
	v_and_b32_e32 v9, 7, v9
; %bb.876:                              ;   in Loop: Header=BB284_550 Depth=1
	s_wait_alu 0xfffe
	s_or_b32 exec_lo, exec_lo, s19
	v_lshlrev_b32_e32 v1, 8, v1
	v_lshl_add_u32 v10, v10, 10, 0x2000
	v_lshlrev_b32_e32 v9, 23, v9
	s_delay_alu instid0(VALU_DEP_2) | instskip(NEXT) | instid1(VALU_DEP_1)
	v_and_or_b32 v1, 0x8000, v1, v10
	v_lshl_or_b32 v9, v1, 16, v9
.LBB284_877:                            ;   in Loop: Header=BB284_550 Depth=1
	s_wait_alu 0xfffe
	s_or_b32 exec_lo, exec_lo, s18
.LBB284_878:                            ;   in Loop: Header=BB284_550 Depth=1
	s_wait_alu 0xfffe
	s_or_b32 exec_lo, exec_lo, s17
.LBB284_879:                            ;   in Loop: Header=BB284_550 Depth=1
	s_wait_alu 0xfffe
	s_or_b32 exec_lo, exec_lo, s15
	v_or_b32_e32 v1, v51, v52
	s_wait_loadcnt 0x0
	v_fma_mixlo_f16 v10, v48, v51, 0 op_sel:[0,1,0] op_sel_hi:[0,1,0]
	v_or_b32_e32 v51, v49, v50
	v_fma_mixlo_f16 v49, v48, v49, 0 op_sel:[0,1,0] op_sel_hi:[0,1,0]
	v_or_b32_e32 v52, v55, v54
	v_or_b32_e32 v53, v9, v53
	v_fma_mixlo_f16 v54, v48, v1, 0 op_sel_hi:[0,1,0]
	v_fma_mixlo_f16 v9, v48, v9, 0 op_sel:[0,1,0] op_sel_hi:[0,1,0]
	v_lshlrev_b32_e32 v50, 16, v49
	v_fma_mixlo_f16 v49, v48, v51, 0 op_sel_hi:[0,1,0]
	v_fma_mixlo_f16 v51, v48, v55, 0 op_sel:[0,1,0] op_sel_hi:[0,1,0]
	v_fma_mixlo_f16 v52, v48, v52, 0 op_sel_hi:[0,1,0]
	v_fma_mixlo_f16 v53, v48, v53, 0 op_sel_hi:[0,1,0]
	v_lshlrev_b32_e32 v1, 16, v10
	v_and_b32_e32 v10, 0xffff, v54
	v_and_b32_e32 v56, 0xffff, v49
	v_lshlrev_b32_e32 v48, 16, v51
	v_and_b32_e32 v52, 0xffff, v52
	v_lshlrev_b32_e32 v9, 16, v9
	v_and_b32_e32 v49, 0xffff, v53
	v_or_b32_e32 v51, v1, v10
	v_or_b32_e32 v55, v50, v56
	;; [unrolled: 1-line block ×3, first 2 shown]
	s_delay_alu instid0(VALU_DEP_4)
	v_or_b32_e32 v53, v9, v49
	s_and_saveexec_b32 s15, vcc_lo
	s_cbranch_execz .LBB284_881
; %bb.880:                              ;   in Loop: Header=BB284_550 Depth=1
	v_cmp_gt_i32_e64 s0, s34, v28
	s_wait_alu 0xf1ff
	s_delay_alu instid0(VALU_DEP_1) | instskip(SKIP_2) | instid1(VALU_DEP_1)
	v_cndmask_b32_e64 v51, 0, v56, s0
	v_cmp_gt_i32_e64 s0, s34, v36
	s_wait_alu 0xf1ff
	v_cndmask_b32_e64 v50, 0, v50, s0
	v_cmp_gt_i32_e64 s0, s34, v34
	s_delay_alu instid0(VALU_DEP_2) | instskip(SKIP_1) | instid1(VALU_DEP_2)
	v_or_b32_e32 v55, v50, v51
	s_wait_alu 0xf1ff
	v_cndmask_b32_e64 v10, 0, v10, s0
	v_cmp_gt_i32_e64 s0, s34, v33
	s_wait_alu 0xf1ff
	s_delay_alu instid0(VALU_DEP_1) | instskip(SKIP_1) | instid1(VALU_DEP_2)
	v_cndmask_b32_e64 v1, 0, v1, s0
	v_cmp_gt_i32_e64 s0, s34, v32
	v_or_b32_e32 v51, v1, v10
	s_wait_alu 0xf1ff
	s_delay_alu instid0(VALU_DEP_2) | instskip(SKIP_2) | instid1(VALU_DEP_1)
	v_cndmask_b32_e64 v52, 0, v52, s0
	v_cmp_gt_i32_e64 s0, s34, v31
	s_wait_alu 0xf1ff
	v_cndmask_b32_e64 v48, 0, v48, s0
	v_cmp_gt_i32_e64 s0, s34, v30
	s_delay_alu instid0(VALU_DEP_2) | instskip(SKIP_1) | instid1(VALU_DEP_2)
	v_or_b32_e32 v54, v48, v52
	s_wait_alu 0xf1ff
	v_cndmask_b32_e64 v49, 0, v49, s0
	v_cmp_gt_i32_e64 s0, s34, v29
	s_wait_alu 0xf1ff
	s_delay_alu instid0(VALU_DEP_1) | instskip(NEXT) | instid1(VALU_DEP_1)
	v_cndmask_b32_e64 v9, 0, v9, s0
	v_or_b32_e32 v53, v9, v49
.LBB284_881:                            ;   in Loop: Header=BB284_550 Depth=1
	s_wait_alu 0xfffe
	s_or_b32 exec_lo, exec_lo, s15
	;;#ASMSTART
	v_pk_mul_f16 v1, v41, v55;

	;;#ASMEND
	;;#ASMSTART
	v_pk_mul_f16 v9, v40, v51;

	;;#ASMEND
	;; [unrolled: 4-line block ×4, first 2 shown]
	;;#ASMSTART
	v_pk_add_f16 v1, v1, v9;

	;;#ASMEND
	;;#ASMSTART
	v_pk_add_f16 v1, v1, v10;

	;;#ASMEND
	;; [unrolled: 4-line block ×3, first 2 shown]
	v_dual_mov_b32 v52, 0 :: v_dual_and_b32 v9, 0xffff, v1
	v_lshrrev_b32_e32 v1, 16, v1
	;;#ASMSTART
	v_cvt_f32_f16 v48, v9;
	;;#ASMEND
	;;#ASMSTART
	v_cvt_f32_f16 v49, v1;
	;;#ASMEND
	global_load_b64 v[9:10], v[7:8], off offset:1280
	v_mov_b32_e32 v51, 0
	s_mov_b32 s15, exec_lo
	global_load_b32 v50, v51, s[10:11]
	s_wait_loadcnt 0x1
	v_and_b32_e32 v1, 0xff, v9
	s_delay_alu instid0(VALU_DEP_1)
	v_cmpx_ne_u16_e32 0, v1
	s_cbranch_execz .LBB284_889
; %bb.882:                              ;   in Loop: Header=BB284_550 Depth=1
	v_mov_b32_e32 v52, 0x8000
	s_mov_b32 s17, exec_lo
	v_cmpx_ne_u16_e32 0x80, v1
	s_cbranch_execz .LBB284_888
; %bb.883:                              ;   in Loop: Header=BB284_550 Depth=1
	v_and_b32_e32 v53, 0x7f, v9
	v_mov_b32_e32 v52, 0x7c01
	s_mov_b32 s18, exec_lo
	s_delay_alu instid0(VALU_DEP_2)
	v_cmpx_ne_u32_e32 0x7f, v53
	s_cbranch_execz .LBB284_887
; %bb.884:                              ;   in Loop: Header=BB284_550 Depth=1
	v_and_b32_e32 v1, 7, v9
	v_lshrrev_b32_e32 v52, 3, v53
	s_mov_b32 s19, exec_lo
	v_cmpx_gt_u32_e32 8, v53
; %bb.885:                              ;   in Loop: Header=BB284_550 Depth=1
	s_delay_alu instid0(VALU_DEP_3) | instskip(NEXT) | instid1(VALU_DEP_1)
	v_clz_i32_u32_e32 v1, v1
	v_min_u32_e32 v1, 32, v1
	s_delay_alu instid0(VALU_DEP_1) | instskip(NEXT) | instid1(VALU_DEP_1)
	v_subrev_nc_u32_e32 v52, 28, v1
	v_lshlrev_b64_e32 v[53:54], v52, v[9:10]
	v_sub_nc_u32_e32 v52, 29, v1
	s_delay_alu instid0(VALU_DEP_2)
	v_and_b32_e32 v1, 7, v53
; %bb.886:                              ;   in Loop: Header=BB284_550 Depth=1
	s_wait_alu 0xfffe
	s_or_b32 exec_lo, exec_lo, s19
	v_lshlrev_b32_e32 v53, 8, v9
	v_lshl_add_u32 v52, v52, 10, 0x2000
	v_lshlrev_b32_e32 v1, 7, v1
	s_delay_alu instid0(VALU_DEP_3) | instskip(NEXT) | instid1(VALU_DEP_3)
	v_and_b32_e32 v53, 0x8000, v53
	v_and_b32_e32 v52, 0xfc00, v52
	s_delay_alu instid0(VALU_DEP_1)
	v_or3_b32 v52, v53, v52, v1
.LBB284_887:                            ;   in Loop: Header=BB284_550 Depth=1
	s_wait_alu 0xfffe
	s_or_b32 exec_lo, exec_lo, s18
.LBB284_888:                            ;   in Loop: Header=BB284_550 Depth=1
	s_wait_alu 0xfffe
	s_or_b32 exec_lo, exec_lo, s17
.LBB284_889:                            ;   in Loop: Header=BB284_550 Depth=1
	s_wait_alu 0xfffe
	s_or_b32 exec_lo, exec_lo, s15
	v_lshrrev_b16 v1, 8, v9
	s_mov_b32 s15, exec_lo
	s_delay_alu instid0(VALU_DEP_1)
	v_cmpx_ne_u16_e32 0, v1
	s_cbranch_execz .LBB284_897
; %bb.890:                              ;   in Loop: Header=BB284_550 Depth=1
	v_bfrev_b32_e32 v51, 1
	s_mov_b32 s17, exec_lo
	v_cmpx_ne_u16_e32 0x80, v1
	s_cbranch_execz .LBB284_896
; %bb.891:                              ;   in Loop: Header=BB284_550 Depth=1
	v_and_b32_e32 v53, 0xffff, v1
	v_mov_b32_e32 v51, 0x7c010000
	s_mov_b32 s18, exec_lo
	s_delay_alu instid0(VALU_DEP_2) | instskip(NEXT) | instid1(VALU_DEP_1)
	v_and_b32_e32 v55, 0x7f, v53
	v_cmpx_ne_u32_e32 0x7f, v55
	s_cbranch_execz .LBB284_895
; %bb.892:                              ;   in Loop: Header=BB284_550 Depth=1
	v_and_b32_e32 v51, 7, v53
	v_lshrrev_b32_e32 v54, 3, v55
	s_mov_b32 s19, exec_lo
	v_cmpx_gt_u32_e32 8, v55
; %bb.893:                              ;   in Loop: Header=BB284_550 Depth=1
	s_delay_alu instid0(VALU_DEP_3) | instskip(NEXT) | instid1(VALU_DEP_1)
	v_clz_i32_u32_e32 v51, v51
	v_min_u32_e32 v51, 32, v51
	s_delay_alu instid0(VALU_DEP_1) | instskip(NEXT) | instid1(VALU_DEP_1)
	v_subrev_nc_u32_e32 v54, 28, v51
	v_lshlrev_b64_e32 v[55:56], v54, v[1:2]
	v_sub_nc_u32_e32 v54, 29, v51
	s_delay_alu instid0(VALU_DEP_2)
	v_and_b32_e32 v51, 7, v55
; %bb.894:                              ;   in Loop: Header=BB284_550 Depth=1
	s_wait_alu 0xfffe
	s_or_b32 exec_lo, exec_lo, s19
	v_lshlrev_b32_e32 v1, 8, v53
	v_lshl_add_u32 v53, v54, 10, 0x2000
	v_lshlrev_b32_e32 v51, 23, v51
	s_delay_alu instid0(VALU_DEP_2) | instskip(NEXT) | instid1(VALU_DEP_1)
	v_and_or_b32 v1, 0x8000, v1, v53
	v_lshl_or_b32 v51, v1, 16, v51
.LBB284_895:                            ;   in Loop: Header=BB284_550 Depth=1
	s_wait_alu 0xfffe
	s_or_b32 exec_lo, exec_lo, s18
.LBB284_896:                            ;   in Loop: Header=BB284_550 Depth=1
	s_wait_alu 0xfffe
	s_or_b32 exec_lo, exec_lo, s17
.LBB284_897:                            ;   in Loop: Header=BB284_550 Depth=1
	s_wait_alu 0xfffe
	s_or_b32 exec_lo, exec_lo, s15
	v_lshrrev_b32_e32 v1, 16, v9
	v_mov_b32_e32 v53, 0
	s_mov_b32 s15, exec_lo
	s_delay_alu instid0(VALU_DEP_2) | instskip(NEXT) | instid1(VALU_DEP_1)
	v_dual_mov_b32 v54, 0 :: v_dual_and_b32 v55, 0xff, v1
	v_cmpx_ne_u16_e32 0, v55
	s_cbranch_execz .LBB284_905
; %bb.898:                              ;   in Loop: Header=BB284_550 Depth=1
	v_mov_b32_e32 v54, 0x8000
	s_mov_b32 s17, exec_lo
	v_cmpx_ne_u16_e32 0x80, v55
	s_cbranch_execz .LBB284_904
; %bb.899:                              ;   in Loop: Header=BB284_550 Depth=1
	v_bfe_u32 v56, v9, 16, 7
	v_mov_b32_e32 v54, 0x7c01
	s_mov_b32 s18, exec_lo
	s_delay_alu instid0(VALU_DEP_2)
	v_cmpx_ne_u32_e32 0x7f, v56
	s_cbranch_execz .LBB284_903
; %bb.900:                              ;   in Loop: Header=BB284_550 Depth=1
	v_and_b32_e32 v54, 7, v1
	v_lshrrev_b32_e32 v55, 3, v56
	s_mov_b32 s19, exec_lo
	v_cmpx_gt_u32_e32 8, v56
; %bb.901:                              ;   in Loop: Header=BB284_550 Depth=1
	s_delay_alu instid0(VALU_DEP_3) | instskip(NEXT) | instid1(VALU_DEP_1)
	v_clz_i32_u32_e32 v54, v54
	v_min_u32_e32 v56, 32, v54
	s_delay_alu instid0(VALU_DEP_1) | instskip(NEXT) | instid1(VALU_DEP_1)
	v_subrev_nc_u32_e32 v54, 28, v56
	v_lshlrev_b64_e32 v[54:55], v54, v[1:2]
	v_sub_nc_u32_e32 v55, 29, v56
	s_delay_alu instid0(VALU_DEP_2)
	v_and_b32_e32 v54, 7, v54
; %bb.902:                              ;   in Loop: Header=BB284_550 Depth=1
	s_wait_alu 0xfffe
	s_or_b32 exec_lo, exec_lo, s19
	v_lshlrev_b32_e32 v1, 8, v1
	v_lshl_add_u32 v55, v55, 10, 0x2000
	v_lshlrev_b32_e32 v54, 7, v54
	s_delay_alu instid0(VALU_DEP_3) | instskip(NEXT) | instid1(VALU_DEP_3)
	v_and_b32_e32 v1, 0x8000, v1
	v_and_b32_e32 v55, 0xfc00, v55
	s_delay_alu instid0(VALU_DEP_1)
	v_or3_b32 v54, v1, v55, v54
.LBB284_903:                            ;   in Loop: Header=BB284_550 Depth=1
	s_wait_alu 0xfffe
	s_or_b32 exec_lo, exec_lo, s18
.LBB284_904:                            ;   in Loop: Header=BB284_550 Depth=1
	s_wait_alu 0xfffe
	s_or_b32 exec_lo, exec_lo, s17
.LBB284_905:                            ;   in Loop: Header=BB284_550 Depth=1
	s_wait_alu 0xfffe
	s_or_b32 exec_lo, exec_lo, s15
	s_delay_alu instid0(SALU_CYCLE_1)
	s_mov_b32 s15, exec_lo
	v_cmpx_lt_u32_e32 0xffffff, v9
	s_cbranch_execz .LBB284_913
; %bb.906:                              ;   in Loop: Header=BB284_550 Depth=1
	v_lshrrev_b32_e32 v1, 24, v9
	v_bfrev_b32_e32 v53, 1
	s_mov_b32 s17, exec_lo
	s_delay_alu instid0(VALU_DEP_2)
	v_cmpx_ne_u32_e32 0x80, v1
	s_cbranch_execz .LBB284_912
; %bb.907:                              ;   in Loop: Header=BB284_550 Depth=1
	v_and_b32_e32 v56, 0x7f, v1
	v_mov_b32_e32 v53, 0x7c010000
	s_mov_b32 s18, exec_lo
	s_delay_alu instid0(VALU_DEP_2)
	v_cmpx_ne_u32_e32 0x7f, v56
	s_cbranch_execz .LBB284_911
; %bb.908:                              ;   in Loop: Header=BB284_550 Depth=1
	v_and_b32_e32 v53, 7, v1
	v_lshrrev_b32_e32 v55, 3, v56
	s_mov_b32 s19, exec_lo
	v_cmpx_gt_u32_e32 8, v56
; %bb.909:                              ;   in Loop: Header=BB284_550 Depth=1
	s_delay_alu instid0(VALU_DEP_3) | instskip(NEXT) | instid1(VALU_DEP_1)
	v_clz_i32_u32_e32 v53, v53
	v_min_u32_e32 v53, 32, v53
	s_delay_alu instid0(VALU_DEP_1) | instskip(NEXT) | instid1(VALU_DEP_1)
	v_subrev_nc_u32_e32 v55, 28, v53
	v_lshlrev_b64_e32 v[56:57], v55, v[1:2]
	v_sub_nc_u32_e32 v55, 29, v53
	s_delay_alu instid0(VALU_DEP_2)
	v_and_b32_e32 v53, 7, v56
; %bb.910:                              ;   in Loop: Header=BB284_550 Depth=1
	s_wait_alu 0xfffe
	s_or_b32 exec_lo, exec_lo, s19
	v_lshlrev_b32_e32 v1, 8, v1
	v_lshl_add_u32 v55, v55, 10, 0x2000
	v_lshlrev_b32_e32 v53, 23, v53
	s_delay_alu instid0(VALU_DEP_2) | instskip(NEXT) | instid1(VALU_DEP_1)
	v_and_or_b32 v1, 0x8000, v1, v55
	v_lshl_or_b32 v53, v1, 16, v53
.LBB284_911:                            ;   in Loop: Header=BB284_550 Depth=1
	s_wait_alu 0xfffe
	s_or_b32 exec_lo, exec_lo, s18
.LBB284_912:                            ;   in Loop: Header=BB284_550 Depth=1
	s_wait_alu 0xfffe
	s_or_b32 exec_lo, exec_lo, s17
.LBB284_913:                            ;   in Loop: Header=BB284_550 Depth=1
	s_wait_alu 0xfffe
	s_or_b32 exec_lo, exec_lo, s15
	v_dual_mov_b32 v56, 0 :: v_dual_and_b32 v57, 0xff, v10
	v_mov_b32_e32 v1, v10
	v_mov_b32_e32 v55, 0
	s_mov_b32 s15, exec_lo
	s_delay_alu instid0(VALU_DEP_3)
	v_cmpx_ne_u16_e32 0, v57
	s_cbranch_execz .LBB284_921
; %bb.914:                              ;   in Loop: Header=BB284_550 Depth=1
	v_mov_b32_e32 v56, 0x8000
	s_mov_b32 s17, exec_lo
	v_cmpx_ne_u16_e32 0x80, v57
	s_cbranch_execz .LBB284_920
; %bb.915:                              ;   in Loop: Header=BB284_550 Depth=1
	v_and_b32_e32 v58, 0x7f, v10
	v_mov_b32_e32 v56, 0x7c01
	s_mov_b32 s18, exec_lo
	s_delay_alu instid0(VALU_DEP_2)
	v_cmpx_ne_u32_e32 0x7f, v58
	s_cbranch_execz .LBB284_919
; %bb.916:                              ;   in Loop: Header=BB284_550 Depth=1
	v_and_b32_e32 v56, 7, v10
	v_lshrrev_b32_e32 v57, 3, v58
	s_mov_b32 s19, exec_lo
	v_cmpx_gt_u32_e32 8, v58
; %bb.917:                              ;   in Loop: Header=BB284_550 Depth=1
	s_delay_alu instid0(VALU_DEP_3) | instskip(NEXT) | instid1(VALU_DEP_1)
	v_clz_i32_u32_e32 v56, v56
	v_min_u32_e32 v58, 32, v56
	s_delay_alu instid0(VALU_DEP_1) | instskip(NEXT) | instid1(VALU_DEP_1)
	v_subrev_nc_u32_e32 v56, 28, v58
	v_lshlrev_b64_e32 v[56:57], v56, v[1:2]
	v_sub_nc_u32_e32 v57, 29, v58
	s_delay_alu instid0(VALU_DEP_2)
	v_and_b32_e32 v56, 7, v56
; %bb.918:                              ;   in Loop: Header=BB284_550 Depth=1
	s_wait_alu 0xfffe
	s_or_b32 exec_lo, exec_lo, s19
	v_lshlrev_b32_e32 v58, 8, v10
	v_lshl_add_u32 v57, v57, 10, 0x2000
	v_lshlrev_b32_e32 v56, 7, v56
	s_delay_alu instid0(VALU_DEP_3) | instskip(NEXT) | instid1(VALU_DEP_3)
	v_and_b32_e32 v58, 0x8000, v58
	v_and_b32_e32 v57, 0xfc00, v57
	s_delay_alu instid0(VALU_DEP_1)
	v_or3_b32 v56, v58, v57, v56
.LBB284_919:                            ;   in Loop: Header=BB284_550 Depth=1
	s_wait_alu 0xfffe
	s_or_b32 exec_lo, exec_lo, s18
.LBB284_920:                            ;   in Loop: Header=BB284_550 Depth=1
	s_wait_alu 0xfffe
	s_or_b32 exec_lo, exec_lo, s17
.LBB284_921:                            ;   in Loop: Header=BB284_550 Depth=1
	s_wait_alu 0xfffe
	s_or_b32 exec_lo, exec_lo, s15
	v_lshrrev_b16 v1, 8, v1
	v_mov_b32_e32 v57, 0
	s_mov_b32 s15, exec_lo
	s_delay_alu instid0(VALU_DEP_2)
	v_cmpx_ne_u16_e32 0, v1
	s_cbranch_execz .LBB284_929
; %bb.922:                              ;   in Loop: Header=BB284_550 Depth=1
	v_bfrev_b32_e32 v57, 1
	s_mov_b32 s17, exec_lo
	v_cmpx_ne_u16_e32 0x80, v1
	s_cbranch_execz .LBB284_928
; %bb.923:                              ;   in Loop: Header=BB284_550 Depth=1
	v_and_b32_e32 v58, 0xffff, v1
	v_mov_b32_e32 v57, 0x7c010000
	s_mov_b32 s18, exec_lo
	s_delay_alu instid0(VALU_DEP_2) | instskip(NEXT) | instid1(VALU_DEP_1)
	v_and_b32_e32 v60, 0x7f, v58
	v_cmpx_ne_u32_e32 0x7f, v60
	s_cbranch_execz .LBB284_927
; %bb.924:                              ;   in Loop: Header=BB284_550 Depth=1
	v_and_b32_e32 v57, 7, v58
	v_lshrrev_b32_e32 v59, 3, v60
	s_mov_b32 s19, exec_lo
	v_cmpx_gt_u32_e32 8, v60
; %bb.925:                              ;   in Loop: Header=BB284_550 Depth=1
	s_delay_alu instid0(VALU_DEP_3) | instskip(NEXT) | instid1(VALU_DEP_1)
	v_clz_i32_u32_e32 v57, v57
	v_min_u32_e32 v57, 32, v57
	s_delay_alu instid0(VALU_DEP_1) | instskip(NEXT) | instid1(VALU_DEP_1)
	v_subrev_nc_u32_e32 v59, 28, v57
	v_lshlrev_b64_e32 v[60:61], v59, v[1:2]
	v_sub_nc_u32_e32 v59, 29, v57
	s_delay_alu instid0(VALU_DEP_2)
	v_and_b32_e32 v57, 7, v60
; %bb.926:                              ;   in Loop: Header=BB284_550 Depth=1
	s_wait_alu 0xfffe
	s_or_b32 exec_lo, exec_lo, s19
	v_lshlrev_b32_e32 v1, 8, v58
	v_lshl_add_u32 v58, v59, 10, 0x2000
	v_lshlrev_b32_e32 v57, 23, v57
	s_delay_alu instid0(VALU_DEP_2) | instskip(NEXT) | instid1(VALU_DEP_1)
	v_and_or_b32 v1, 0x8000, v1, v58
	v_lshl_or_b32 v57, v1, 16, v57
.LBB284_927:                            ;   in Loop: Header=BB284_550 Depth=1
	s_wait_alu 0xfffe
	s_or_b32 exec_lo, exec_lo, s18
.LBB284_928:                            ;   in Loop: Header=BB284_550 Depth=1
	s_wait_alu 0xfffe
	s_or_b32 exec_lo, exec_lo, s17
.LBB284_929:                            ;   in Loop: Header=BB284_550 Depth=1
	s_wait_alu 0xfffe
	s_or_b32 exec_lo, exec_lo, s15
	v_lshrrev_b32_e32 v1, 16, v10
	s_mov_b32 s15, exec_lo
	s_delay_alu instid0(VALU_DEP_1) | instskip(NEXT) | instid1(VALU_DEP_1)
	v_and_b32_e32 v58, 0xff, v1
	v_cmpx_ne_u16_e32 0, v58
	s_cbranch_execz .LBB284_937
; %bb.930:                              ;   in Loop: Header=BB284_550 Depth=1
	v_mov_b32_e32 v55, 0x8000
	s_mov_b32 s17, exec_lo
	v_cmpx_ne_u16_e32 0x80, v58
	s_cbranch_execz .LBB284_936
; %bb.931:                              ;   in Loop: Header=BB284_550 Depth=1
	v_bfe_u32 v59, v10, 16, 7
	v_mov_b32_e32 v55, 0x7c01
	s_mov_b32 s18, exec_lo
	s_delay_alu instid0(VALU_DEP_2)
	v_cmpx_ne_u32_e32 0x7f, v59
	s_cbranch_execz .LBB284_935
; %bb.932:                              ;   in Loop: Header=BB284_550 Depth=1
	v_and_b32_e32 v55, 7, v1
	v_lshrrev_b32_e32 v58, 3, v59
	s_mov_b32 s19, exec_lo
	v_cmpx_gt_u32_e32 8, v59
; %bb.933:                              ;   in Loop: Header=BB284_550 Depth=1
	s_delay_alu instid0(VALU_DEP_3) | instskip(NEXT) | instid1(VALU_DEP_1)
	v_clz_i32_u32_e32 v55, v55
	v_min_u32_e32 v55, 32, v55
	s_delay_alu instid0(VALU_DEP_1) | instskip(NEXT) | instid1(VALU_DEP_1)
	v_subrev_nc_u32_e32 v58, 28, v55
	v_lshlrev_b64_e32 v[59:60], v58, v[1:2]
	v_sub_nc_u32_e32 v58, 29, v55
	s_delay_alu instid0(VALU_DEP_2)
	v_and_b32_e32 v55, 7, v59
; %bb.934:                              ;   in Loop: Header=BB284_550 Depth=1
	s_wait_alu 0xfffe
	s_or_b32 exec_lo, exec_lo, s19
	v_lshlrev_b32_e32 v1, 8, v1
	v_lshl_add_u32 v58, v58, 10, 0x2000
	v_lshlrev_b32_e32 v55, 7, v55
	s_delay_alu instid0(VALU_DEP_3) | instskip(NEXT) | instid1(VALU_DEP_3)
	v_and_b32_e32 v1, 0x8000, v1
	v_and_b32_e32 v58, 0xfc00, v58
	s_delay_alu instid0(VALU_DEP_1)
	v_or3_b32 v55, v1, v58, v55
.LBB284_935:                            ;   in Loop: Header=BB284_550 Depth=1
	s_wait_alu 0xfffe
	s_or_b32 exec_lo, exec_lo, s18
.LBB284_936:                            ;   in Loop: Header=BB284_550 Depth=1
	s_wait_alu 0xfffe
	s_or_b32 exec_lo, exec_lo, s17
.LBB284_937:                            ;   in Loop: Header=BB284_550 Depth=1
	s_wait_alu 0xfffe
	s_or_b32 exec_lo, exec_lo, s15
	v_cmp_lt_u64_e64 s0, s[2:3], v[9:10]
	v_mov_b32_e32 v9, 0
	s_and_saveexec_b32 s15, s0
	s_cbranch_execz .LBB284_945
; %bb.938:                              ;   in Loop: Header=BB284_550 Depth=1
	v_lshrrev_b32_e32 v1, 24, v10
	v_bfrev_b32_e32 v9, 1
	s_mov_b32 s17, exec_lo
	s_delay_alu instid0(VALU_DEP_2)
	v_cmpx_ne_u32_e32 0x80, v1
	s_cbranch_execz .LBB284_944
; %bb.939:                              ;   in Loop: Header=BB284_550 Depth=1
	v_and_b32_e32 v58, 0x7f, v1
	v_mov_b32_e32 v9, 0x7c010000
	s_mov_b32 s18, exec_lo
	s_delay_alu instid0(VALU_DEP_2)
	v_cmpx_ne_u32_e32 0x7f, v58
	s_cbranch_execz .LBB284_943
; %bb.940:                              ;   in Loop: Header=BB284_550 Depth=1
	v_and_b32_e32 v9, 7, v1
	v_lshrrev_b32_e32 v10, 3, v58
	s_mov_b32 s19, exec_lo
	v_cmpx_gt_u32_e32 8, v58
; %bb.941:                              ;   in Loop: Header=BB284_550 Depth=1
	s_delay_alu instid0(VALU_DEP_3) | instskip(NEXT) | instid1(VALU_DEP_1)
	v_clz_i32_u32_e32 v9, v9
	v_min_u32_e32 v58, 32, v9
	s_delay_alu instid0(VALU_DEP_1) | instskip(NEXT) | instid1(VALU_DEP_1)
	v_subrev_nc_u32_e32 v9, 28, v58
	v_lshlrev_b64_e32 v[9:10], v9, v[1:2]
	v_sub_nc_u32_e32 v10, 29, v58
	s_delay_alu instid0(VALU_DEP_2)
	v_and_b32_e32 v9, 7, v9
; %bb.942:                              ;   in Loop: Header=BB284_550 Depth=1
	s_wait_alu 0xfffe
	s_or_b32 exec_lo, exec_lo, s19
	v_lshlrev_b32_e32 v1, 8, v1
	v_lshl_add_u32 v10, v10, 10, 0x2000
	v_lshlrev_b32_e32 v9, 23, v9
	s_delay_alu instid0(VALU_DEP_2) | instskip(NEXT) | instid1(VALU_DEP_1)
	v_and_or_b32 v1, 0x8000, v1, v10
	v_lshl_or_b32 v9, v1, 16, v9
.LBB284_943:                            ;   in Loop: Header=BB284_550 Depth=1
	s_wait_alu 0xfffe
	s_or_b32 exec_lo, exec_lo, s18
.LBB284_944:                            ;   in Loop: Header=BB284_550 Depth=1
	s_wait_alu 0xfffe
	s_or_b32 exec_lo, exec_lo, s17
.LBB284_945:                            ;   in Loop: Header=BB284_550 Depth=1
	s_wait_alu 0xfffe
	s_or_b32 exec_lo, exec_lo, s15
	v_or_b32_e32 v1, v53, v54
	s_wait_loadcnt 0x0
	v_fma_mixlo_f16 v10, v50, v53, 0 op_sel:[0,1,0] op_sel_hi:[0,1,0]
	v_or_b32_e32 v53, v51, v52
	v_fma_mixlo_f16 v51, v50, v51, 0 op_sel:[0,1,0] op_sel_hi:[0,1,0]
	v_or_b32_e32 v54, v57, v56
	v_or_b32_e32 v55, v9, v55
	v_fma_mixlo_f16 v56, v50, v1, 0 op_sel_hi:[0,1,0]
	v_fma_mixlo_f16 v9, v50, v9, 0 op_sel:[0,1,0] op_sel_hi:[0,1,0]
	v_lshlrev_b32_e32 v52, 16, v51
	v_fma_mixlo_f16 v51, v50, v53, 0 op_sel_hi:[0,1,0]
	v_fma_mixlo_f16 v53, v50, v57, 0 op_sel:[0,1,0] op_sel_hi:[0,1,0]
	v_fma_mixlo_f16 v54, v50, v54, 0 op_sel_hi:[0,1,0]
	v_fma_mixlo_f16 v55, v50, v55, 0 op_sel_hi:[0,1,0]
	v_lshlrev_b32_e32 v1, 16, v10
	v_and_b32_e32 v10, 0xffff, v56
	v_and_b32_e32 v58, 0xffff, v51
	v_lshlrev_b32_e32 v50, 16, v53
	v_and_b32_e32 v54, 0xffff, v54
	v_lshlrev_b32_e32 v9, 16, v9
	v_and_b32_e32 v51, 0xffff, v55
	v_or_b32_e32 v53, v1, v10
	v_or_b32_e32 v57, v52, v58
	;; [unrolled: 1-line block ×3, first 2 shown]
	s_delay_alu instid0(VALU_DEP_4)
	v_or_b32_e32 v55, v9, v51
	s_and_saveexec_b32 s15, vcc_lo
	s_cbranch_execz .LBB284_947
; %bb.946:                              ;   in Loop: Header=BB284_550 Depth=1
	v_cmp_gt_i32_e64 s0, s34, v28
	s_wait_alu 0xf1ff
	s_delay_alu instid0(VALU_DEP_1) | instskip(SKIP_2) | instid1(VALU_DEP_1)
	v_cndmask_b32_e64 v53, 0, v58, s0
	v_cmp_gt_i32_e64 s0, s34, v36
	s_wait_alu 0xf1ff
	v_cndmask_b32_e64 v52, 0, v52, s0
	v_cmp_gt_i32_e64 s0, s34, v34
	s_delay_alu instid0(VALU_DEP_2) | instskip(SKIP_1) | instid1(VALU_DEP_2)
	v_or_b32_e32 v57, v52, v53
	s_wait_alu 0xf1ff
	v_cndmask_b32_e64 v10, 0, v10, s0
	v_cmp_gt_i32_e64 s0, s34, v33
	s_wait_alu 0xf1ff
	s_delay_alu instid0(VALU_DEP_1) | instskip(SKIP_1) | instid1(VALU_DEP_2)
	v_cndmask_b32_e64 v1, 0, v1, s0
	v_cmp_gt_i32_e64 s0, s34, v32
	v_or_b32_e32 v53, v1, v10
	s_wait_alu 0xf1ff
	s_delay_alu instid0(VALU_DEP_2) | instskip(SKIP_2) | instid1(VALU_DEP_1)
	v_cndmask_b32_e64 v54, 0, v54, s0
	v_cmp_gt_i32_e64 s0, s34, v31
	s_wait_alu 0xf1ff
	v_cndmask_b32_e64 v50, 0, v50, s0
	v_cmp_gt_i32_e64 s0, s34, v30
	s_delay_alu instid0(VALU_DEP_2) | instskip(SKIP_1) | instid1(VALU_DEP_2)
	v_or_b32_e32 v56, v50, v54
	s_wait_alu 0xf1ff
	v_cndmask_b32_e64 v51, 0, v51, s0
	v_cmp_gt_i32_e64 s0, s34, v29
	s_wait_alu 0xf1ff
	s_delay_alu instid0(VALU_DEP_1) | instskip(NEXT) | instid1(VALU_DEP_1)
	v_cndmask_b32_e64 v9, 0, v9, s0
	v_or_b32_e32 v55, v9, v51
.LBB284_947:                            ;   in Loop: Header=BB284_550 Depth=1
	s_wait_alu 0xfffe
	s_or_b32 exec_lo, exec_lo, s15
	;;#ASMSTART
	v_pk_mul_f16 v1, v41, v57;

	;;#ASMEND
	;;#ASMSTART
	v_pk_mul_f16 v9, v40, v53;

	;;#ASMEND
	;; [unrolled: 4-line block ×4, first 2 shown]
	;;#ASMSTART
	v_pk_add_f16 v1, v1, v9;

	;;#ASMEND
	;;#ASMSTART
	v_pk_add_f16 v1, v1, v10;

	;;#ASMEND
	;; [unrolled: 4-line block ×3, first 2 shown]
	v_dual_mov_b32 v54, 0 :: v_dual_and_b32 v9, 0xffff, v1
	v_lshrrev_b32_e32 v1, 16, v1
	;;#ASMSTART
	v_cvt_f32_f16 v50, v9;
	;;#ASMEND
	;;#ASMSTART
	v_cvt_f32_f16 v51, v1;
	;;#ASMEND
	global_load_b64 v[9:10], v[7:8], off offset:1536
	v_mov_b32_e32 v53, 0
	s_mov_b32 s15, exec_lo
	global_load_b32 v52, v53, s[10:11]
	s_wait_loadcnt 0x1
	v_and_b32_e32 v1, 0xff, v9
	s_delay_alu instid0(VALU_DEP_1)
	v_cmpx_ne_u16_e32 0, v1
	s_cbranch_execz .LBB284_955
; %bb.948:                              ;   in Loop: Header=BB284_550 Depth=1
	v_mov_b32_e32 v54, 0x8000
	s_mov_b32 s17, exec_lo
	v_cmpx_ne_u16_e32 0x80, v1
	s_cbranch_execz .LBB284_954
; %bb.949:                              ;   in Loop: Header=BB284_550 Depth=1
	v_and_b32_e32 v55, 0x7f, v9
	v_mov_b32_e32 v54, 0x7c01
	s_mov_b32 s18, exec_lo
	s_delay_alu instid0(VALU_DEP_2)
	v_cmpx_ne_u32_e32 0x7f, v55
	s_cbranch_execz .LBB284_953
; %bb.950:                              ;   in Loop: Header=BB284_550 Depth=1
	v_and_b32_e32 v1, 7, v9
	v_lshrrev_b32_e32 v54, 3, v55
	s_mov_b32 s19, exec_lo
	v_cmpx_gt_u32_e32 8, v55
; %bb.951:                              ;   in Loop: Header=BB284_550 Depth=1
	s_delay_alu instid0(VALU_DEP_3) | instskip(NEXT) | instid1(VALU_DEP_1)
	v_clz_i32_u32_e32 v1, v1
	v_min_u32_e32 v1, 32, v1
	s_delay_alu instid0(VALU_DEP_1) | instskip(NEXT) | instid1(VALU_DEP_1)
	v_subrev_nc_u32_e32 v54, 28, v1
	v_lshlrev_b64_e32 v[55:56], v54, v[9:10]
	v_sub_nc_u32_e32 v54, 29, v1
	s_delay_alu instid0(VALU_DEP_2)
	v_and_b32_e32 v1, 7, v55
; %bb.952:                              ;   in Loop: Header=BB284_550 Depth=1
	s_wait_alu 0xfffe
	s_or_b32 exec_lo, exec_lo, s19
	v_lshlrev_b32_e32 v55, 8, v9
	v_lshl_add_u32 v54, v54, 10, 0x2000
	v_lshlrev_b32_e32 v1, 7, v1
	s_delay_alu instid0(VALU_DEP_3) | instskip(NEXT) | instid1(VALU_DEP_3)
	v_and_b32_e32 v55, 0x8000, v55
	v_and_b32_e32 v54, 0xfc00, v54
	s_delay_alu instid0(VALU_DEP_1)
	v_or3_b32 v54, v55, v54, v1
.LBB284_953:                            ;   in Loop: Header=BB284_550 Depth=1
	s_wait_alu 0xfffe
	s_or_b32 exec_lo, exec_lo, s18
.LBB284_954:                            ;   in Loop: Header=BB284_550 Depth=1
	s_wait_alu 0xfffe
	s_or_b32 exec_lo, exec_lo, s17
.LBB284_955:                            ;   in Loop: Header=BB284_550 Depth=1
	s_wait_alu 0xfffe
	s_or_b32 exec_lo, exec_lo, s15
	v_lshrrev_b16 v1, 8, v9
	s_mov_b32 s15, exec_lo
	s_delay_alu instid0(VALU_DEP_1)
	v_cmpx_ne_u16_e32 0, v1
	s_cbranch_execz .LBB284_963
; %bb.956:                              ;   in Loop: Header=BB284_550 Depth=1
	v_bfrev_b32_e32 v53, 1
	s_mov_b32 s17, exec_lo
	v_cmpx_ne_u16_e32 0x80, v1
	s_cbranch_execz .LBB284_962
; %bb.957:                              ;   in Loop: Header=BB284_550 Depth=1
	v_and_b32_e32 v55, 0xffff, v1
	v_mov_b32_e32 v53, 0x7c010000
	s_mov_b32 s18, exec_lo
	s_delay_alu instid0(VALU_DEP_2) | instskip(NEXT) | instid1(VALU_DEP_1)
	v_and_b32_e32 v57, 0x7f, v55
	v_cmpx_ne_u32_e32 0x7f, v57
	s_cbranch_execz .LBB284_961
; %bb.958:                              ;   in Loop: Header=BB284_550 Depth=1
	v_and_b32_e32 v53, 7, v55
	v_lshrrev_b32_e32 v56, 3, v57
	s_mov_b32 s19, exec_lo
	v_cmpx_gt_u32_e32 8, v57
; %bb.959:                              ;   in Loop: Header=BB284_550 Depth=1
	s_delay_alu instid0(VALU_DEP_3) | instskip(NEXT) | instid1(VALU_DEP_1)
	v_clz_i32_u32_e32 v53, v53
	v_min_u32_e32 v53, 32, v53
	s_delay_alu instid0(VALU_DEP_1) | instskip(NEXT) | instid1(VALU_DEP_1)
	v_subrev_nc_u32_e32 v56, 28, v53
	v_lshlrev_b64_e32 v[57:58], v56, v[1:2]
	v_sub_nc_u32_e32 v56, 29, v53
	s_delay_alu instid0(VALU_DEP_2)
	v_and_b32_e32 v53, 7, v57
; %bb.960:                              ;   in Loop: Header=BB284_550 Depth=1
	s_wait_alu 0xfffe
	s_or_b32 exec_lo, exec_lo, s19
	v_lshlrev_b32_e32 v1, 8, v55
	v_lshl_add_u32 v55, v56, 10, 0x2000
	v_lshlrev_b32_e32 v53, 23, v53
	s_delay_alu instid0(VALU_DEP_2) | instskip(NEXT) | instid1(VALU_DEP_1)
	v_and_or_b32 v1, 0x8000, v1, v55
	v_lshl_or_b32 v53, v1, 16, v53
.LBB284_961:                            ;   in Loop: Header=BB284_550 Depth=1
	s_wait_alu 0xfffe
	s_or_b32 exec_lo, exec_lo, s18
.LBB284_962:                            ;   in Loop: Header=BB284_550 Depth=1
	s_wait_alu 0xfffe
	s_or_b32 exec_lo, exec_lo, s17
.LBB284_963:                            ;   in Loop: Header=BB284_550 Depth=1
	s_wait_alu 0xfffe
	s_or_b32 exec_lo, exec_lo, s15
	v_lshrrev_b32_e32 v1, 16, v9
	v_mov_b32_e32 v55, 0
	s_mov_b32 s15, exec_lo
	s_delay_alu instid0(VALU_DEP_2) | instskip(NEXT) | instid1(VALU_DEP_1)
	v_dual_mov_b32 v56, 0 :: v_dual_and_b32 v57, 0xff, v1
	v_cmpx_ne_u16_e32 0, v57
	s_cbranch_execz .LBB284_971
; %bb.964:                              ;   in Loop: Header=BB284_550 Depth=1
	v_mov_b32_e32 v56, 0x8000
	s_mov_b32 s17, exec_lo
	v_cmpx_ne_u16_e32 0x80, v57
	s_cbranch_execz .LBB284_970
; %bb.965:                              ;   in Loop: Header=BB284_550 Depth=1
	v_bfe_u32 v58, v9, 16, 7
	v_mov_b32_e32 v56, 0x7c01
	s_mov_b32 s18, exec_lo
	s_delay_alu instid0(VALU_DEP_2)
	v_cmpx_ne_u32_e32 0x7f, v58
	s_cbranch_execz .LBB284_969
; %bb.966:                              ;   in Loop: Header=BB284_550 Depth=1
	v_and_b32_e32 v56, 7, v1
	v_lshrrev_b32_e32 v57, 3, v58
	s_mov_b32 s19, exec_lo
	v_cmpx_gt_u32_e32 8, v58
; %bb.967:                              ;   in Loop: Header=BB284_550 Depth=1
	s_delay_alu instid0(VALU_DEP_3) | instskip(NEXT) | instid1(VALU_DEP_1)
	v_clz_i32_u32_e32 v56, v56
	v_min_u32_e32 v58, 32, v56
	s_delay_alu instid0(VALU_DEP_1) | instskip(NEXT) | instid1(VALU_DEP_1)
	v_subrev_nc_u32_e32 v56, 28, v58
	v_lshlrev_b64_e32 v[56:57], v56, v[1:2]
	v_sub_nc_u32_e32 v57, 29, v58
	s_delay_alu instid0(VALU_DEP_2)
	v_and_b32_e32 v56, 7, v56
; %bb.968:                              ;   in Loop: Header=BB284_550 Depth=1
	s_wait_alu 0xfffe
	s_or_b32 exec_lo, exec_lo, s19
	v_lshlrev_b32_e32 v1, 8, v1
	v_lshl_add_u32 v57, v57, 10, 0x2000
	v_lshlrev_b32_e32 v56, 7, v56
	s_delay_alu instid0(VALU_DEP_3) | instskip(NEXT) | instid1(VALU_DEP_3)
	v_and_b32_e32 v1, 0x8000, v1
	v_and_b32_e32 v57, 0xfc00, v57
	s_delay_alu instid0(VALU_DEP_1)
	v_or3_b32 v56, v1, v57, v56
.LBB284_969:                            ;   in Loop: Header=BB284_550 Depth=1
	s_wait_alu 0xfffe
	s_or_b32 exec_lo, exec_lo, s18
.LBB284_970:                            ;   in Loop: Header=BB284_550 Depth=1
	s_wait_alu 0xfffe
	s_or_b32 exec_lo, exec_lo, s17
.LBB284_971:                            ;   in Loop: Header=BB284_550 Depth=1
	s_wait_alu 0xfffe
	s_or_b32 exec_lo, exec_lo, s15
	s_delay_alu instid0(SALU_CYCLE_1)
	s_mov_b32 s15, exec_lo
	v_cmpx_lt_u32_e32 0xffffff, v9
	s_cbranch_execz .LBB284_979
; %bb.972:                              ;   in Loop: Header=BB284_550 Depth=1
	v_lshrrev_b32_e32 v1, 24, v9
	v_bfrev_b32_e32 v55, 1
	s_mov_b32 s17, exec_lo
	s_delay_alu instid0(VALU_DEP_2)
	v_cmpx_ne_u32_e32 0x80, v1
	s_cbranch_execz .LBB284_978
; %bb.973:                              ;   in Loop: Header=BB284_550 Depth=1
	v_and_b32_e32 v58, 0x7f, v1
	v_mov_b32_e32 v55, 0x7c010000
	s_mov_b32 s18, exec_lo
	s_delay_alu instid0(VALU_DEP_2)
	v_cmpx_ne_u32_e32 0x7f, v58
	s_cbranch_execz .LBB284_977
; %bb.974:                              ;   in Loop: Header=BB284_550 Depth=1
	v_and_b32_e32 v55, 7, v1
	v_lshrrev_b32_e32 v57, 3, v58
	s_mov_b32 s19, exec_lo
	v_cmpx_gt_u32_e32 8, v58
; %bb.975:                              ;   in Loop: Header=BB284_550 Depth=1
	s_delay_alu instid0(VALU_DEP_3) | instskip(NEXT) | instid1(VALU_DEP_1)
	v_clz_i32_u32_e32 v55, v55
	v_min_u32_e32 v55, 32, v55
	s_delay_alu instid0(VALU_DEP_1) | instskip(NEXT) | instid1(VALU_DEP_1)
	v_subrev_nc_u32_e32 v57, 28, v55
	v_lshlrev_b64_e32 v[58:59], v57, v[1:2]
	v_sub_nc_u32_e32 v57, 29, v55
	s_delay_alu instid0(VALU_DEP_2)
	v_and_b32_e32 v55, 7, v58
; %bb.976:                              ;   in Loop: Header=BB284_550 Depth=1
	s_wait_alu 0xfffe
	s_or_b32 exec_lo, exec_lo, s19
	v_lshlrev_b32_e32 v1, 8, v1
	v_lshl_add_u32 v57, v57, 10, 0x2000
	v_lshlrev_b32_e32 v55, 23, v55
	s_delay_alu instid0(VALU_DEP_2) | instskip(NEXT) | instid1(VALU_DEP_1)
	v_and_or_b32 v1, 0x8000, v1, v57
	v_lshl_or_b32 v55, v1, 16, v55
.LBB284_977:                            ;   in Loop: Header=BB284_550 Depth=1
	s_wait_alu 0xfffe
	s_or_b32 exec_lo, exec_lo, s18
.LBB284_978:                            ;   in Loop: Header=BB284_550 Depth=1
	s_wait_alu 0xfffe
	s_or_b32 exec_lo, exec_lo, s17
.LBB284_979:                            ;   in Loop: Header=BB284_550 Depth=1
	s_wait_alu 0xfffe
	s_or_b32 exec_lo, exec_lo, s15
	v_dual_mov_b32 v58, 0 :: v_dual_and_b32 v59, 0xff, v10
	v_mov_b32_e32 v1, v10
	v_mov_b32_e32 v57, 0
	s_mov_b32 s15, exec_lo
	s_delay_alu instid0(VALU_DEP_3)
	v_cmpx_ne_u16_e32 0, v59
	s_cbranch_execz .LBB284_987
; %bb.980:                              ;   in Loop: Header=BB284_550 Depth=1
	v_mov_b32_e32 v58, 0x8000
	s_mov_b32 s17, exec_lo
	v_cmpx_ne_u16_e32 0x80, v59
	s_cbranch_execz .LBB284_986
; %bb.981:                              ;   in Loop: Header=BB284_550 Depth=1
	v_and_b32_e32 v60, 0x7f, v10
	v_mov_b32_e32 v58, 0x7c01
	s_mov_b32 s18, exec_lo
	s_delay_alu instid0(VALU_DEP_2)
	v_cmpx_ne_u32_e32 0x7f, v60
	s_cbranch_execz .LBB284_985
; %bb.982:                              ;   in Loop: Header=BB284_550 Depth=1
	v_and_b32_e32 v58, 7, v10
	v_lshrrev_b32_e32 v59, 3, v60
	s_mov_b32 s19, exec_lo
	v_cmpx_gt_u32_e32 8, v60
; %bb.983:                              ;   in Loop: Header=BB284_550 Depth=1
	s_delay_alu instid0(VALU_DEP_3) | instskip(NEXT) | instid1(VALU_DEP_1)
	v_clz_i32_u32_e32 v58, v58
	v_min_u32_e32 v60, 32, v58
	s_delay_alu instid0(VALU_DEP_1) | instskip(NEXT) | instid1(VALU_DEP_1)
	v_subrev_nc_u32_e32 v58, 28, v60
	v_lshlrev_b64_e32 v[58:59], v58, v[1:2]
	v_sub_nc_u32_e32 v59, 29, v60
	s_delay_alu instid0(VALU_DEP_2)
	v_and_b32_e32 v58, 7, v58
; %bb.984:                              ;   in Loop: Header=BB284_550 Depth=1
	s_wait_alu 0xfffe
	s_or_b32 exec_lo, exec_lo, s19
	v_lshlrev_b32_e32 v60, 8, v10
	v_lshl_add_u32 v59, v59, 10, 0x2000
	v_lshlrev_b32_e32 v58, 7, v58
	s_delay_alu instid0(VALU_DEP_3) | instskip(NEXT) | instid1(VALU_DEP_3)
	v_and_b32_e32 v60, 0x8000, v60
	v_and_b32_e32 v59, 0xfc00, v59
	s_delay_alu instid0(VALU_DEP_1)
	v_or3_b32 v58, v60, v59, v58
.LBB284_985:                            ;   in Loop: Header=BB284_550 Depth=1
	s_wait_alu 0xfffe
	s_or_b32 exec_lo, exec_lo, s18
.LBB284_986:                            ;   in Loop: Header=BB284_550 Depth=1
	s_wait_alu 0xfffe
	s_or_b32 exec_lo, exec_lo, s17
.LBB284_987:                            ;   in Loop: Header=BB284_550 Depth=1
	s_wait_alu 0xfffe
	s_or_b32 exec_lo, exec_lo, s15
	v_lshrrev_b16 v1, 8, v1
	v_mov_b32_e32 v59, 0
	s_mov_b32 s15, exec_lo
	s_delay_alu instid0(VALU_DEP_2)
	v_cmpx_ne_u16_e32 0, v1
	s_cbranch_execz .LBB284_995
; %bb.988:                              ;   in Loop: Header=BB284_550 Depth=1
	v_bfrev_b32_e32 v59, 1
	s_mov_b32 s17, exec_lo
	v_cmpx_ne_u16_e32 0x80, v1
	s_cbranch_execz .LBB284_994
; %bb.989:                              ;   in Loop: Header=BB284_550 Depth=1
	v_and_b32_e32 v60, 0xffff, v1
	v_mov_b32_e32 v59, 0x7c010000
	s_mov_b32 s18, exec_lo
	s_delay_alu instid0(VALU_DEP_2) | instskip(NEXT) | instid1(VALU_DEP_1)
	v_and_b32_e32 v62, 0x7f, v60
	v_cmpx_ne_u32_e32 0x7f, v62
	s_cbranch_execz .LBB284_993
; %bb.990:                              ;   in Loop: Header=BB284_550 Depth=1
	v_and_b32_e32 v59, 7, v60
	v_lshrrev_b32_e32 v61, 3, v62
	s_mov_b32 s19, exec_lo
	v_cmpx_gt_u32_e32 8, v62
; %bb.991:                              ;   in Loop: Header=BB284_550 Depth=1
	s_delay_alu instid0(VALU_DEP_3) | instskip(NEXT) | instid1(VALU_DEP_1)
	v_clz_i32_u32_e32 v59, v59
	v_min_u32_e32 v59, 32, v59
	s_delay_alu instid0(VALU_DEP_1) | instskip(NEXT) | instid1(VALU_DEP_1)
	v_subrev_nc_u32_e32 v61, 28, v59
	v_lshlrev_b64_e32 v[62:63], v61, v[1:2]
	v_sub_nc_u32_e32 v61, 29, v59
	s_delay_alu instid0(VALU_DEP_2)
	v_and_b32_e32 v59, 7, v62
; %bb.992:                              ;   in Loop: Header=BB284_550 Depth=1
	s_wait_alu 0xfffe
	s_or_b32 exec_lo, exec_lo, s19
	v_lshlrev_b32_e32 v1, 8, v60
	v_lshl_add_u32 v60, v61, 10, 0x2000
	v_lshlrev_b32_e32 v59, 23, v59
	s_delay_alu instid0(VALU_DEP_2) | instskip(NEXT) | instid1(VALU_DEP_1)
	v_and_or_b32 v1, 0x8000, v1, v60
	v_lshl_or_b32 v59, v1, 16, v59
.LBB284_993:                            ;   in Loop: Header=BB284_550 Depth=1
	s_wait_alu 0xfffe
	s_or_b32 exec_lo, exec_lo, s18
.LBB284_994:                            ;   in Loop: Header=BB284_550 Depth=1
	s_wait_alu 0xfffe
	s_or_b32 exec_lo, exec_lo, s17
.LBB284_995:                            ;   in Loop: Header=BB284_550 Depth=1
	s_wait_alu 0xfffe
	s_or_b32 exec_lo, exec_lo, s15
	v_lshrrev_b32_e32 v1, 16, v10
	s_mov_b32 s15, exec_lo
	s_delay_alu instid0(VALU_DEP_1) | instskip(NEXT) | instid1(VALU_DEP_1)
	v_and_b32_e32 v60, 0xff, v1
	v_cmpx_ne_u16_e32 0, v60
	s_cbranch_execz .LBB284_1003
; %bb.996:                              ;   in Loop: Header=BB284_550 Depth=1
	v_mov_b32_e32 v57, 0x8000
	s_mov_b32 s17, exec_lo
	v_cmpx_ne_u16_e32 0x80, v60
	s_cbranch_execz .LBB284_1002
; %bb.997:                              ;   in Loop: Header=BB284_550 Depth=1
	v_bfe_u32 v61, v10, 16, 7
	v_mov_b32_e32 v57, 0x7c01
	s_mov_b32 s18, exec_lo
	s_delay_alu instid0(VALU_DEP_2)
	v_cmpx_ne_u32_e32 0x7f, v61
	s_cbranch_execz .LBB284_1001
; %bb.998:                              ;   in Loop: Header=BB284_550 Depth=1
	v_and_b32_e32 v57, 7, v1
	v_lshrrev_b32_e32 v60, 3, v61
	s_mov_b32 s19, exec_lo
	v_cmpx_gt_u32_e32 8, v61
; %bb.999:                              ;   in Loop: Header=BB284_550 Depth=1
	s_delay_alu instid0(VALU_DEP_3) | instskip(NEXT) | instid1(VALU_DEP_1)
	v_clz_i32_u32_e32 v57, v57
	v_min_u32_e32 v57, 32, v57
	s_delay_alu instid0(VALU_DEP_1) | instskip(NEXT) | instid1(VALU_DEP_1)
	v_subrev_nc_u32_e32 v60, 28, v57
	v_lshlrev_b64_e32 v[61:62], v60, v[1:2]
	v_sub_nc_u32_e32 v60, 29, v57
	s_delay_alu instid0(VALU_DEP_2)
	v_and_b32_e32 v57, 7, v61
; %bb.1000:                             ;   in Loop: Header=BB284_550 Depth=1
	s_wait_alu 0xfffe
	s_or_b32 exec_lo, exec_lo, s19
	v_lshlrev_b32_e32 v1, 8, v1
	v_lshl_add_u32 v60, v60, 10, 0x2000
	v_lshlrev_b32_e32 v57, 7, v57
	s_delay_alu instid0(VALU_DEP_3) | instskip(NEXT) | instid1(VALU_DEP_3)
	v_and_b32_e32 v1, 0x8000, v1
	v_and_b32_e32 v60, 0xfc00, v60
	s_delay_alu instid0(VALU_DEP_1)
	v_or3_b32 v57, v1, v60, v57
.LBB284_1001:                           ;   in Loop: Header=BB284_550 Depth=1
	s_wait_alu 0xfffe
	s_or_b32 exec_lo, exec_lo, s18
.LBB284_1002:                           ;   in Loop: Header=BB284_550 Depth=1
	s_wait_alu 0xfffe
	s_or_b32 exec_lo, exec_lo, s17
.LBB284_1003:                           ;   in Loop: Header=BB284_550 Depth=1
	s_wait_alu 0xfffe
	s_or_b32 exec_lo, exec_lo, s15
	v_cmp_lt_u64_e64 s0, s[2:3], v[9:10]
	v_mov_b32_e32 v9, 0
	s_and_saveexec_b32 s15, s0
	s_cbranch_execz .LBB284_1011
; %bb.1004:                             ;   in Loop: Header=BB284_550 Depth=1
	v_lshrrev_b32_e32 v1, 24, v10
	v_bfrev_b32_e32 v9, 1
	s_mov_b32 s17, exec_lo
	s_delay_alu instid0(VALU_DEP_2)
	v_cmpx_ne_u32_e32 0x80, v1
	s_cbranch_execz .LBB284_1010
; %bb.1005:                             ;   in Loop: Header=BB284_550 Depth=1
	v_and_b32_e32 v60, 0x7f, v1
	v_mov_b32_e32 v9, 0x7c010000
	s_mov_b32 s18, exec_lo
	s_delay_alu instid0(VALU_DEP_2)
	v_cmpx_ne_u32_e32 0x7f, v60
	s_cbranch_execz .LBB284_1009
; %bb.1006:                             ;   in Loop: Header=BB284_550 Depth=1
	v_and_b32_e32 v9, 7, v1
	v_lshrrev_b32_e32 v10, 3, v60
	s_mov_b32 s19, exec_lo
	v_cmpx_gt_u32_e32 8, v60
; %bb.1007:                             ;   in Loop: Header=BB284_550 Depth=1
	s_delay_alu instid0(VALU_DEP_3) | instskip(NEXT) | instid1(VALU_DEP_1)
	v_clz_i32_u32_e32 v9, v9
	v_min_u32_e32 v60, 32, v9
	s_delay_alu instid0(VALU_DEP_1) | instskip(NEXT) | instid1(VALU_DEP_1)
	v_subrev_nc_u32_e32 v9, 28, v60
	v_lshlrev_b64_e32 v[9:10], v9, v[1:2]
	v_sub_nc_u32_e32 v10, 29, v60
	s_delay_alu instid0(VALU_DEP_2)
	v_and_b32_e32 v9, 7, v9
; %bb.1008:                             ;   in Loop: Header=BB284_550 Depth=1
	s_wait_alu 0xfffe
	s_or_b32 exec_lo, exec_lo, s19
	v_lshlrev_b32_e32 v1, 8, v1
	v_lshl_add_u32 v10, v10, 10, 0x2000
	v_lshlrev_b32_e32 v9, 23, v9
	s_delay_alu instid0(VALU_DEP_2) | instskip(NEXT) | instid1(VALU_DEP_1)
	v_and_or_b32 v1, 0x8000, v1, v10
	v_lshl_or_b32 v9, v1, 16, v9
.LBB284_1009:                           ;   in Loop: Header=BB284_550 Depth=1
	s_wait_alu 0xfffe
	s_or_b32 exec_lo, exec_lo, s18
.LBB284_1010:                           ;   in Loop: Header=BB284_550 Depth=1
	s_wait_alu 0xfffe
	s_or_b32 exec_lo, exec_lo, s17
.LBB284_1011:                           ;   in Loop: Header=BB284_550 Depth=1
	s_wait_alu 0xfffe
	s_or_b32 exec_lo, exec_lo, s15
	v_or_b32_e32 v1, v55, v56
	s_wait_loadcnt 0x0
	v_fma_mixlo_f16 v10, v52, v55, 0 op_sel:[0,1,0] op_sel_hi:[0,1,0]
	v_or_b32_e32 v55, v53, v54
	v_fma_mixlo_f16 v53, v52, v53, 0 op_sel:[0,1,0] op_sel_hi:[0,1,0]
	v_or_b32_e32 v56, v59, v58
	v_or_b32_e32 v57, v9, v57
	v_fma_mixlo_f16 v58, v52, v1, 0 op_sel_hi:[0,1,0]
	v_fma_mixlo_f16 v9, v52, v9, 0 op_sel:[0,1,0] op_sel_hi:[0,1,0]
	v_lshlrev_b32_e32 v54, 16, v53
	v_fma_mixlo_f16 v53, v52, v55, 0 op_sel_hi:[0,1,0]
	v_fma_mixlo_f16 v55, v52, v59, 0 op_sel:[0,1,0] op_sel_hi:[0,1,0]
	v_fma_mixlo_f16 v56, v52, v56, 0 op_sel_hi:[0,1,0]
	v_fma_mixlo_f16 v57, v52, v57, 0 op_sel_hi:[0,1,0]
	v_lshlrev_b32_e32 v1, 16, v10
	v_and_b32_e32 v10, 0xffff, v58
	v_and_b32_e32 v60, 0xffff, v53
	v_lshlrev_b32_e32 v52, 16, v55
	v_and_b32_e32 v56, 0xffff, v56
	v_lshlrev_b32_e32 v9, 16, v9
	v_and_b32_e32 v53, 0xffff, v57
	v_or_b32_e32 v55, v1, v10
	v_or_b32_e32 v59, v54, v60
	;; [unrolled: 1-line block ×3, first 2 shown]
	s_delay_alu instid0(VALU_DEP_4)
	v_or_b32_e32 v57, v9, v53
	s_and_saveexec_b32 s15, vcc_lo
	s_cbranch_execz .LBB284_1013
; %bb.1012:                             ;   in Loop: Header=BB284_550 Depth=1
	v_cmp_gt_i32_e64 s0, s34, v28
	s_wait_alu 0xf1ff
	s_delay_alu instid0(VALU_DEP_1) | instskip(SKIP_2) | instid1(VALU_DEP_1)
	v_cndmask_b32_e64 v55, 0, v60, s0
	v_cmp_gt_i32_e64 s0, s34, v36
	s_wait_alu 0xf1ff
	v_cndmask_b32_e64 v54, 0, v54, s0
	v_cmp_gt_i32_e64 s0, s34, v34
	s_delay_alu instid0(VALU_DEP_2) | instskip(SKIP_1) | instid1(VALU_DEP_2)
	v_or_b32_e32 v59, v54, v55
	s_wait_alu 0xf1ff
	v_cndmask_b32_e64 v10, 0, v10, s0
	v_cmp_gt_i32_e64 s0, s34, v33
	s_wait_alu 0xf1ff
	s_delay_alu instid0(VALU_DEP_1) | instskip(SKIP_1) | instid1(VALU_DEP_2)
	v_cndmask_b32_e64 v1, 0, v1, s0
	v_cmp_gt_i32_e64 s0, s34, v32
	v_or_b32_e32 v55, v1, v10
	s_wait_alu 0xf1ff
	s_delay_alu instid0(VALU_DEP_2) | instskip(SKIP_2) | instid1(VALU_DEP_1)
	v_cndmask_b32_e64 v56, 0, v56, s0
	v_cmp_gt_i32_e64 s0, s34, v31
	s_wait_alu 0xf1ff
	v_cndmask_b32_e64 v52, 0, v52, s0
	v_cmp_gt_i32_e64 s0, s34, v30
	s_delay_alu instid0(VALU_DEP_2) | instskip(SKIP_1) | instid1(VALU_DEP_2)
	v_or_b32_e32 v58, v52, v56
	s_wait_alu 0xf1ff
	v_cndmask_b32_e64 v53, 0, v53, s0
	v_cmp_gt_i32_e64 s0, s34, v29
	s_wait_alu 0xf1ff
	s_delay_alu instid0(VALU_DEP_1) | instskip(NEXT) | instid1(VALU_DEP_1)
	v_cndmask_b32_e64 v9, 0, v9, s0
	v_or_b32_e32 v57, v9, v53
.LBB284_1013:                           ;   in Loop: Header=BB284_550 Depth=1
	s_wait_alu 0xfffe
	s_or_b32 exec_lo, exec_lo, s15
	;;#ASMSTART
	v_pk_mul_f16 v1, v41, v59;

	;;#ASMEND
	;;#ASMSTART
	v_pk_mul_f16 v9, v40, v55;

	;;#ASMEND
	;; [unrolled: 4-line block ×4, first 2 shown]
	;;#ASMSTART
	v_pk_add_f16 v1, v1, v9;

	;;#ASMEND
	;;#ASMSTART
	v_pk_add_f16 v1, v1, v10;

	;;#ASMEND
	;; [unrolled: 4-line block ×3, first 2 shown]
	v_dual_mov_b32 v54, 0 :: v_dual_and_b32 v9, 0xffff, v1
	v_lshrrev_b32_e32 v1, 16, v1
	;;#ASMSTART
	v_cvt_f32_f16 v9, v9;
	;;#ASMEND
	;;#ASMSTART
	v_cvt_f32_f16 v10, v1;
	;;#ASMEND
	global_load_b64 v[7:8], v[7:8], off offset:1792
	v_mov_b32_e32 v53, 0
	s_mov_b32 s15, exec_lo
	global_load_b32 v52, v53, s[10:11]
	s_wait_loadcnt 0x1
	v_and_b32_e32 v1, 0xff, v7
	s_delay_alu instid0(VALU_DEP_1)
	v_cmpx_ne_u16_e32 0, v1
	s_cbranch_execz .LBB284_1021
; %bb.1014:                             ;   in Loop: Header=BB284_550 Depth=1
	v_mov_b32_e32 v54, 0x8000
	s_mov_b32 s17, exec_lo
	v_cmpx_ne_u16_e32 0x80, v1
	s_cbranch_execz .LBB284_1020
; %bb.1015:                             ;   in Loop: Header=BB284_550 Depth=1
	v_and_b32_e32 v55, 0x7f, v7
	v_mov_b32_e32 v54, 0x7c01
	s_mov_b32 s18, exec_lo
	s_delay_alu instid0(VALU_DEP_2)
	v_cmpx_ne_u32_e32 0x7f, v55
	s_cbranch_execz .LBB284_1019
; %bb.1016:                             ;   in Loop: Header=BB284_550 Depth=1
	v_and_b32_e32 v1, 7, v7
	v_lshrrev_b32_e32 v54, 3, v55
	s_mov_b32 s19, exec_lo
	v_cmpx_gt_u32_e32 8, v55
; %bb.1017:                             ;   in Loop: Header=BB284_550 Depth=1
	s_delay_alu instid0(VALU_DEP_3) | instskip(NEXT) | instid1(VALU_DEP_1)
	v_clz_i32_u32_e32 v1, v1
	v_min_u32_e32 v1, 32, v1
	s_delay_alu instid0(VALU_DEP_1) | instskip(NEXT) | instid1(VALU_DEP_1)
	v_subrev_nc_u32_e32 v54, 28, v1
	v_lshlrev_b64_e32 v[55:56], v54, v[7:8]
	v_sub_nc_u32_e32 v54, 29, v1
	s_delay_alu instid0(VALU_DEP_2)
	v_and_b32_e32 v1, 7, v55
; %bb.1018:                             ;   in Loop: Header=BB284_550 Depth=1
	s_wait_alu 0xfffe
	s_or_b32 exec_lo, exec_lo, s19
	v_lshlrev_b32_e32 v55, 8, v7
	v_lshl_add_u32 v54, v54, 10, 0x2000
	v_lshlrev_b32_e32 v1, 7, v1
	s_delay_alu instid0(VALU_DEP_3) | instskip(NEXT) | instid1(VALU_DEP_3)
	v_and_b32_e32 v55, 0x8000, v55
	v_and_b32_e32 v54, 0xfc00, v54
	s_delay_alu instid0(VALU_DEP_1)
	v_or3_b32 v54, v55, v54, v1
.LBB284_1019:                           ;   in Loop: Header=BB284_550 Depth=1
	s_wait_alu 0xfffe
	s_or_b32 exec_lo, exec_lo, s18
.LBB284_1020:                           ;   in Loop: Header=BB284_550 Depth=1
	s_wait_alu 0xfffe
	s_or_b32 exec_lo, exec_lo, s17
.LBB284_1021:                           ;   in Loop: Header=BB284_550 Depth=1
	s_wait_alu 0xfffe
	s_or_b32 exec_lo, exec_lo, s15
	v_lshrrev_b16 v1, 8, v7
	s_mov_b32 s15, exec_lo
	s_delay_alu instid0(VALU_DEP_1)
	v_cmpx_ne_u16_e32 0, v1
	s_cbranch_execz .LBB284_1029
; %bb.1022:                             ;   in Loop: Header=BB284_550 Depth=1
	v_bfrev_b32_e32 v53, 1
	s_mov_b32 s17, exec_lo
	v_cmpx_ne_u16_e32 0x80, v1
	s_cbranch_execz .LBB284_1028
; %bb.1023:                             ;   in Loop: Header=BB284_550 Depth=1
	v_and_b32_e32 v55, 0xffff, v1
	v_mov_b32_e32 v53, 0x7c010000
	s_mov_b32 s18, exec_lo
	s_delay_alu instid0(VALU_DEP_2) | instskip(NEXT) | instid1(VALU_DEP_1)
	v_and_b32_e32 v57, 0x7f, v55
	v_cmpx_ne_u32_e32 0x7f, v57
	s_cbranch_execz .LBB284_1027
; %bb.1024:                             ;   in Loop: Header=BB284_550 Depth=1
	v_and_b32_e32 v53, 7, v55
	v_lshrrev_b32_e32 v56, 3, v57
	s_mov_b32 s19, exec_lo
	v_cmpx_gt_u32_e32 8, v57
; %bb.1025:                             ;   in Loop: Header=BB284_550 Depth=1
	s_delay_alu instid0(VALU_DEP_3) | instskip(NEXT) | instid1(VALU_DEP_1)
	v_clz_i32_u32_e32 v53, v53
	v_min_u32_e32 v53, 32, v53
	s_delay_alu instid0(VALU_DEP_1) | instskip(NEXT) | instid1(VALU_DEP_1)
	v_subrev_nc_u32_e32 v56, 28, v53
	v_lshlrev_b64_e32 v[57:58], v56, v[1:2]
	v_sub_nc_u32_e32 v56, 29, v53
	s_delay_alu instid0(VALU_DEP_2)
	v_and_b32_e32 v53, 7, v57
; %bb.1026:                             ;   in Loop: Header=BB284_550 Depth=1
	s_wait_alu 0xfffe
	s_or_b32 exec_lo, exec_lo, s19
	v_lshlrev_b32_e32 v1, 8, v55
	v_lshl_add_u32 v55, v56, 10, 0x2000
	v_lshlrev_b32_e32 v53, 23, v53
	s_delay_alu instid0(VALU_DEP_2) | instskip(NEXT) | instid1(VALU_DEP_1)
	v_and_or_b32 v1, 0x8000, v1, v55
	v_lshl_or_b32 v53, v1, 16, v53
.LBB284_1027:                           ;   in Loop: Header=BB284_550 Depth=1
	s_wait_alu 0xfffe
	s_or_b32 exec_lo, exec_lo, s18
.LBB284_1028:                           ;   in Loop: Header=BB284_550 Depth=1
	s_wait_alu 0xfffe
	s_or_b32 exec_lo, exec_lo, s17
.LBB284_1029:                           ;   in Loop: Header=BB284_550 Depth=1
	s_wait_alu 0xfffe
	s_or_b32 exec_lo, exec_lo, s15
	v_lshrrev_b32_e32 v1, 16, v7
	v_mov_b32_e32 v55, 0
	s_mov_b32 s15, exec_lo
	s_delay_alu instid0(VALU_DEP_2) | instskip(NEXT) | instid1(VALU_DEP_1)
	v_dual_mov_b32 v56, 0 :: v_dual_and_b32 v57, 0xff, v1
	v_cmpx_ne_u16_e32 0, v57
	s_cbranch_execz .LBB284_1037
; %bb.1030:                             ;   in Loop: Header=BB284_550 Depth=1
	v_mov_b32_e32 v56, 0x8000
	s_mov_b32 s17, exec_lo
	v_cmpx_ne_u16_e32 0x80, v57
	s_cbranch_execz .LBB284_1036
; %bb.1031:                             ;   in Loop: Header=BB284_550 Depth=1
	v_bfe_u32 v58, v7, 16, 7
	v_mov_b32_e32 v56, 0x7c01
	s_mov_b32 s18, exec_lo
	s_delay_alu instid0(VALU_DEP_2)
	v_cmpx_ne_u32_e32 0x7f, v58
	s_cbranch_execz .LBB284_1035
; %bb.1032:                             ;   in Loop: Header=BB284_550 Depth=1
	v_and_b32_e32 v56, 7, v1
	v_lshrrev_b32_e32 v57, 3, v58
	s_mov_b32 s19, exec_lo
	v_cmpx_gt_u32_e32 8, v58
; %bb.1033:                             ;   in Loop: Header=BB284_550 Depth=1
	s_delay_alu instid0(VALU_DEP_3) | instskip(NEXT) | instid1(VALU_DEP_1)
	v_clz_i32_u32_e32 v56, v56
	v_min_u32_e32 v58, 32, v56
	s_delay_alu instid0(VALU_DEP_1) | instskip(NEXT) | instid1(VALU_DEP_1)
	v_subrev_nc_u32_e32 v56, 28, v58
	v_lshlrev_b64_e32 v[56:57], v56, v[1:2]
	v_sub_nc_u32_e32 v57, 29, v58
	s_delay_alu instid0(VALU_DEP_2)
	v_and_b32_e32 v56, 7, v56
; %bb.1034:                             ;   in Loop: Header=BB284_550 Depth=1
	s_wait_alu 0xfffe
	s_or_b32 exec_lo, exec_lo, s19
	v_lshlrev_b32_e32 v1, 8, v1
	v_lshl_add_u32 v57, v57, 10, 0x2000
	v_lshlrev_b32_e32 v56, 7, v56
	s_delay_alu instid0(VALU_DEP_3) | instskip(NEXT) | instid1(VALU_DEP_3)
	v_and_b32_e32 v1, 0x8000, v1
	v_and_b32_e32 v57, 0xfc00, v57
	s_delay_alu instid0(VALU_DEP_1)
	v_or3_b32 v56, v1, v57, v56
.LBB284_1035:                           ;   in Loop: Header=BB284_550 Depth=1
	s_wait_alu 0xfffe
	s_or_b32 exec_lo, exec_lo, s18
.LBB284_1036:                           ;   in Loop: Header=BB284_550 Depth=1
	s_wait_alu 0xfffe
	s_or_b32 exec_lo, exec_lo, s17
.LBB284_1037:                           ;   in Loop: Header=BB284_550 Depth=1
	s_wait_alu 0xfffe
	s_or_b32 exec_lo, exec_lo, s15
	s_delay_alu instid0(SALU_CYCLE_1)
	s_mov_b32 s15, exec_lo
	v_cmpx_lt_u32_e32 0xffffff, v7
	s_cbranch_execz .LBB284_1045
; %bb.1038:                             ;   in Loop: Header=BB284_550 Depth=1
	v_lshrrev_b32_e32 v1, 24, v7
	v_bfrev_b32_e32 v55, 1
	s_mov_b32 s17, exec_lo
	s_delay_alu instid0(VALU_DEP_2)
	v_cmpx_ne_u32_e32 0x80, v1
	s_cbranch_execz .LBB284_1044
; %bb.1039:                             ;   in Loop: Header=BB284_550 Depth=1
	v_and_b32_e32 v58, 0x7f, v1
	v_mov_b32_e32 v55, 0x7c010000
	s_mov_b32 s18, exec_lo
	s_delay_alu instid0(VALU_DEP_2)
	v_cmpx_ne_u32_e32 0x7f, v58
	s_cbranch_execz .LBB284_1043
; %bb.1040:                             ;   in Loop: Header=BB284_550 Depth=1
	v_and_b32_e32 v55, 7, v1
	v_lshrrev_b32_e32 v57, 3, v58
	s_mov_b32 s19, exec_lo
	v_cmpx_gt_u32_e32 8, v58
; %bb.1041:                             ;   in Loop: Header=BB284_550 Depth=1
	s_delay_alu instid0(VALU_DEP_3) | instskip(NEXT) | instid1(VALU_DEP_1)
	v_clz_i32_u32_e32 v55, v55
	v_min_u32_e32 v55, 32, v55
	s_delay_alu instid0(VALU_DEP_1) | instskip(NEXT) | instid1(VALU_DEP_1)
	v_subrev_nc_u32_e32 v57, 28, v55
	v_lshlrev_b64_e32 v[58:59], v57, v[1:2]
	v_sub_nc_u32_e32 v57, 29, v55
	s_delay_alu instid0(VALU_DEP_2)
	v_and_b32_e32 v55, 7, v58
; %bb.1042:                             ;   in Loop: Header=BB284_550 Depth=1
	s_wait_alu 0xfffe
	s_or_b32 exec_lo, exec_lo, s19
	v_lshlrev_b32_e32 v1, 8, v1
	v_lshl_add_u32 v57, v57, 10, 0x2000
	v_lshlrev_b32_e32 v55, 23, v55
	s_delay_alu instid0(VALU_DEP_2) | instskip(NEXT) | instid1(VALU_DEP_1)
	v_and_or_b32 v1, 0x8000, v1, v57
	v_lshl_or_b32 v55, v1, 16, v55
.LBB284_1043:                           ;   in Loop: Header=BB284_550 Depth=1
	s_wait_alu 0xfffe
	s_or_b32 exec_lo, exec_lo, s18
.LBB284_1044:                           ;   in Loop: Header=BB284_550 Depth=1
	s_wait_alu 0xfffe
	s_or_b32 exec_lo, exec_lo, s17
.LBB284_1045:                           ;   in Loop: Header=BB284_550 Depth=1
	s_wait_alu 0xfffe
	s_or_b32 exec_lo, exec_lo, s15
	v_dual_mov_b32 v58, 0 :: v_dual_and_b32 v59, 0xff, v8
	v_mov_b32_e32 v1, v8
	v_mov_b32_e32 v57, 0
	s_mov_b32 s15, exec_lo
	s_delay_alu instid0(VALU_DEP_3)
	v_cmpx_ne_u16_e32 0, v59
	s_cbranch_execz .LBB284_1053
; %bb.1046:                             ;   in Loop: Header=BB284_550 Depth=1
	v_mov_b32_e32 v58, 0x8000
	s_mov_b32 s17, exec_lo
	v_cmpx_ne_u16_e32 0x80, v59
	s_cbranch_execz .LBB284_1052
; %bb.1047:                             ;   in Loop: Header=BB284_550 Depth=1
	v_and_b32_e32 v60, 0x7f, v8
	v_mov_b32_e32 v58, 0x7c01
	s_mov_b32 s18, exec_lo
	s_delay_alu instid0(VALU_DEP_2)
	v_cmpx_ne_u32_e32 0x7f, v60
	s_cbranch_execz .LBB284_1051
; %bb.1048:                             ;   in Loop: Header=BB284_550 Depth=1
	v_and_b32_e32 v58, 7, v8
	v_lshrrev_b32_e32 v59, 3, v60
	s_mov_b32 s19, exec_lo
	v_cmpx_gt_u32_e32 8, v60
; %bb.1049:                             ;   in Loop: Header=BB284_550 Depth=1
	s_delay_alu instid0(VALU_DEP_3) | instskip(NEXT) | instid1(VALU_DEP_1)
	v_clz_i32_u32_e32 v58, v58
	v_min_u32_e32 v60, 32, v58
	s_delay_alu instid0(VALU_DEP_1) | instskip(NEXT) | instid1(VALU_DEP_1)
	v_subrev_nc_u32_e32 v58, 28, v60
	v_lshlrev_b64_e32 v[58:59], v58, v[1:2]
	v_sub_nc_u32_e32 v59, 29, v60
	s_delay_alu instid0(VALU_DEP_2)
	v_and_b32_e32 v58, 7, v58
; %bb.1050:                             ;   in Loop: Header=BB284_550 Depth=1
	s_wait_alu 0xfffe
	s_or_b32 exec_lo, exec_lo, s19
	v_lshlrev_b32_e32 v60, 8, v8
	v_lshl_add_u32 v59, v59, 10, 0x2000
	v_lshlrev_b32_e32 v58, 7, v58
	s_delay_alu instid0(VALU_DEP_3) | instskip(NEXT) | instid1(VALU_DEP_3)
	v_and_b32_e32 v60, 0x8000, v60
	v_and_b32_e32 v59, 0xfc00, v59
	s_delay_alu instid0(VALU_DEP_1)
	v_or3_b32 v58, v60, v59, v58
.LBB284_1051:                           ;   in Loop: Header=BB284_550 Depth=1
	s_wait_alu 0xfffe
	s_or_b32 exec_lo, exec_lo, s18
.LBB284_1052:                           ;   in Loop: Header=BB284_550 Depth=1
	s_wait_alu 0xfffe
	s_or_b32 exec_lo, exec_lo, s17
.LBB284_1053:                           ;   in Loop: Header=BB284_550 Depth=1
	s_wait_alu 0xfffe
	s_or_b32 exec_lo, exec_lo, s15
	v_lshrrev_b16 v1, 8, v1
	v_mov_b32_e32 v59, 0
	s_mov_b32 s15, exec_lo
	s_delay_alu instid0(VALU_DEP_2)
	v_cmpx_ne_u16_e32 0, v1
	s_cbranch_execz .LBB284_1061
; %bb.1054:                             ;   in Loop: Header=BB284_550 Depth=1
	v_bfrev_b32_e32 v59, 1
	s_mov_b32 s17, exec_lo
	v_cmpx_ne_u16_e32 0x80, v1
	s_cbranch_execz .LBB284_1060
; %bb.1055:                             ;   in Loop: Header=BB284_550 Depth=1
	v_and_b32_e32 v60, 0xffff, v1
	v_mov_b32_e32 v59, 0x7c010000
	s_mov_b32 s18, exec_lo
	s_delay_alu instid0(VALU_DEP_2) | instskip(NEXT) | instid1(VALU_DEP_1)
	v_and_b32_e32 v62, 0x7f, v60
	v_cmpx_ne_u32_e32 0x7f, v62
	s_cbranch_execz .LBB284_1059
; %bb.1056:                             ;   in Loop: Header=BB284_550 Depth=1
	v_and_b32_e32 v59, 7, v60
	v_lshrrev_b32_e32 v61, 3, v62
	s_mov_b32 s19, exec_lo
	v_cmpx_gt_u32_e32 8, v62
; %bb.1057:                             ;   in Loop: Header=BB284_550 Depth=1
	s_delay_alu instid0(VALU_DEP_3) | instskip(NEXT) | instid1(VALU_DEP_1)
	v_clz_i32_u32_e32 v59, v59
	v_min_u32_e32 v59, 32, v59
	s_delay_alu instid0(VALU_DEP_1) | instskip(NEXT) | instid1(VALU_DEP_1)
	v_subrev_nc_u32_e32 v61, 28, v59
	v_lshlrev_b64_e32 v[62:63], v61, v[1:2]
	v_sub_nc_u32_e32 v61, 29, v59
	s_delay_alu instid0(VALU_DEP_2)
	v_and_b32_e32 v59, 7, v62
; %bb.1058:                             ;   in Loop: Header=BB284_550 Depth=1
	s_wait_alu 0xfffe
	s_or_b32 exec_lo, exec_lo, s19
	v_lshlrev_b32_e32 v1, 8, v60
	v_lshl_add_u32 v60, v61, 10, 0x2000
	v_lshlrev_b32_e32 v59, 23, v59
	s_delay_alu instid0(VALU_DEP_2) | instskip(NEXT) | instid1(VALU_DEP_1)
	v_and_or_b32 v1, 0x8000, v1, v60
	v_lshl_or_b32 v59, v1, 16, v59
.LBB284_1059:                           ;   in Loop: Header=BB284_550 Depth=1
	s_wait_alu 0xfffe
	s_or_b32 exec_lo, exec_lo, s18
.LBB284_1060:                           ;   in Loop: Header=BB284_550 Depth=1
	s_wait_alu 0xfffe
	s_or_b32 exec_lo, exec_lo, s17
.LBB284_1061:                           ;   in Loop: Header=BB284_550 Depth=1
	s_wait_alu 0xfffe
	s_or_b32 exec_lo, exec_lo, s15
	v_lshrrev_b32_e32 v1, 16, v8
	s_mov_b32 s15, exec_lo
	s_delay_alu instid0(VALU_DEP_1) | instskip(NEXT) | instid1(VALU_DEP_1)
	v_and_b32_e32 v60, 0xff, v1
	v_cmpx_ne_u16_e32 0, v60
	s_cbranch_execz .LBB284_1069
; %bb.1062:                             ;   in Loop: Header=BB284_550 Depth=1
	v_mov_b32_e32 v57, 0x8000
	s_mov_b32 s17, exec_lo
	v_cmpx_ne_u16_e32 0x80, v60
	s_cbranch_execz .LBB284_1068
; %bb.1063:                             ;   in Loop: Header=BB284_550 Depth=1
	v_bfe_u32 v61, v8, 16, 7
	v_mov_b32_e32 v57, 0x7c01
	s_mov_b32 s18, exec_lo
	s_delay_alu instid0(VALU_DEP_2)
	v_cmpx_ne_u32_e32 0x7f, v61
	s_cbranch_execz .LBB284_1067
; %bb.1064:                             ;   in Loop: Header=BB284_550 Depth=1
	v_and_b32_e32 v57, 7, v1
	v_lshrrev_b32_e32 v60, 3, v61
	s_mov_b32 s19, exec_lo
	v_cmpx_gt_u32_e32 8, v61
; %bb.1065:                             ;   in Loop: Header=BB284_550 Depth=1
	s_delay_alu instid0(VALU_DEP_3) | instskip(NEXT) | instid1(VALU_DEP_1)
	v_clz_i32_u32_e32 v57, v57
	v_min_u32_e32 v57, 32, v57
	s_delay_alu instid0(VALU_DEP_1) | instskip(NEXT) | instid1(VALU_DEP_1)
	v_subrev_nc_u32_e32 v60, 28, v57
	v_lshlrev_b64_e32 v[61:62], v60, v[1:2]
	v_sub_nc_u32_e32 v60, 29, v57
	s_delay_alu instid0(VALU_DEP_2)
	v_and_b32_e32 v57, 7, v61
; %bb.1066:                             ;   in Loop: Header=BB284_550 Depth=1
	s_wait_alu 0xfffe
	s_or_b32 exec_lo, exec_lo, s19
	v_lshlrev_b32_e32 v1, 8, v1
	v_lshl_add_u32 v60, v60, 10, 0x2000
	v_lshlrev_b32_e32 v57, 7, v57
	s_delay_alu instid0(VALU_DEP_3) | instskip(NEXT) | instid1(VALU_DEP_3)
	v_and_b32_e32 v1, 0x8000, v1
	v_and_b32_e32 v60, 0xfc00, v60
	s_delay_alu instid0(VALU_DEP_1)
	v_or3_b32 v57, v1, v60, v57
.LBB284_1067:                           ;   in Loop: Header=BB284_550 Depth=1
	s_wait_alu 0xfffe
	s_or_b32 exec_lo, exec_lo, s18
.LBB284_1068:                           ;   in Loop: Header=BB284_550 Depth=1
	s_wait_alu 0xfffe
	s_or_b32 exec_lo, exec_lo, s17
.LBB284_1069:                           ;   in Loop: Header=BB284_550 Depth=1
	s_wait_alu 0xfffe
	s_or_b32 exec_lo, exec_lo, s15
	v_cmp_lt_u64_e64 s0, s[2:3], v[7:8]
	v_mov_b32_e32 v7, 0
	s_and_saveexec_b32 s15, s0
	s_cbranch_execz .LBB284_1077
; %bb.1070:                             ;   in Loop: Header=BB284_550 Depth=1
	v_lshrrev_b32_e32 v1, 24, v8
	v_bfrev_b32_e32 v7, 1
	s_mov_b32 s17, exec_lo
	s_delay_alu instid0(VALU_DEP_2)
	v_cmpx_ne_u32_e32 0x80, v1
	s_cbranch_execz .LBB284_1076
; %bb.1071:                             ;   in Loop: Header=BB284_550 Depth=1
	v_and_b32_e32 v60, 0x7f, v1
	v_mov_b32_e32 v7, 0x7c010000
	s_mov_b32 s18, exec_lo
	s_delay_alu instid0(VALU_DEP_2)
	v_cmpx_ne_u32_e32 0x7f, v60
	s_cbranch_execz .LBB284_1075
; %bb.1072:                             ;   in Loop: Header=BB284_550 Depth=1
	v_and_b32_e32 v7, 7, v1
	v_lshrrev_b32_e32 v8, 3, v60
	s_mov_b32 s19, exec_lo
	v_cmpx_gt_u32_e32 8, v60
; %bb.1073:                             ;   in Loop: Header=BB284_550 Depth=1
	s_delay_alu instid0(VALU_DEP_3) | instskip(NEXT) | instid1(VALU_DEP_1)
	v_clz_i32_u32_e32 v7, v7
	v_min_u32_e32 v60, 32, v7
	s_delay_alu instid0(VALU_DEP_1) | instskip(NEXT) | instid1(VALU_DEP_1)
	v_subrev_nc_u32_e32 v7, 28, v60
	v_lshlrev_b64_e32 v[7:8], v7, v[1:2]
	v_sub_nc_u32_e32 v8, 29, v60
	s_delay_alu instid0(VALU_DEP_2)
	v_and_b32_e32 v7, 7, v7
; %bb.1074:                             ;   in Loop: Header=BB284_550 Depth=1
	s_wait_alu 0xfffe
	s_or_b32 exec_lo, exec_lo, s19
	v_lshlrev_b32_e32 v1, 8, v1
	v_lshl_add_u32 v8, v8, 10, 0x2000
	v_lshlrev_b32_e32 v7, 23, v7
	s_delay_alu instid0(VALU_DEP_2) | instskip(NEXT) | instid1(VALU_DEP_1)
	v_and_or_b32 v1, 0x8000, v1, v8
	v_lshl_or_b32 v7, v1, 16, v7
.LBB284_1075:                           ;   in Loop: Header=BB284_550 Depth=1
	s_wait_alu 0xfffe
	s_or_b32 exec_lo, exec_lo, s18
.LBB284_1076:                           ;   in Loop: Header=BB284_550 Depth=1
	s_wait_alu 0xfffe
	s_or_b32 exec_lo, exec_lo, s17
.LBB284_1077:                           ;   in Loop: Header=BB284_550 Depth=1
	s_wait_alu 0xfffe
	s_or_b32 exec_lo, exec_lo, s15
	v_or_b32_e32 v1, v55, v56
	s_wait_loadcnt 0x0
	v_fma_mixlo_f16 v8, v52, v55, 0 op_sel:[0,1,0] op_sel_hi:[0,1,0]
	v_or_b32_e32 v54, v53, v54
	v_fma_mixlo_f16 v55, v52, v53, 0 op_sel:[0,1,0] op_sel_hi:[0,1,0]
	v_or_b32_e32 v56, v59, v58
	v_fma_mixlo_f16 v1, v52, v1, 0 op_sel_hi:[0,1,0]
	v_or_b32_e32 v57, v7, v57
	v_lshlrev_b32_e32 v53, 16, v8
	v_lshlrev_b32_e32 v58, 16, v55
	v_fma_mixlo_f16 v8, v52, v54, 0 op_sel_hi:[0,1,0]
	v_and_b32_e32 v55, 0xffff, v1
	v_fma_mixlo_f16 v1, v52, v59, 0 op_sel:[0,1,0] op_sel_hi:[0,1,0]
	v_fma_mixlo_f16 v54, v52, v56, 0 op_sel_hi:[0,1,0]
	v_fma_mixlo_f16 v7, v52, v7, 0 op_sel:[0,1,0] op_sel_hi:[0,1,0]
	v_fma_mixlo_f16 v52, v52, v57, 0 op_sel_hi:[0,1,0]
	v_and_b32_e32 v60, 0xffff, v8
	v_lshlrev_b32_e32 v56, 16, v1
	v_and_b32_e32 v59, 0xffff, v54
	v_lshlrev_b32_e32 v54, 16, v7
	v_and_b32_e32 v57, 0xffff, v52
	v_or_b32_e32 v8, v53, v55
	v_or_b32_e32 v52, v58, v60
	;; [unrolled: 1-line block ×3, first 2 shown]
	s_delay_alu instid0(VALU_DEP_4)
	v_or_b32_e32 v1, v54, v57
	s_and_saveexec_b32 s0, vcc_lo
	s_cbranch_execz .LBB284_548
; %bb.1078:                             ;   in Loop: Header=BB284_550 Depth=1
	v_cmp_gt_i32_e32 vcc_lo, s34, v28
	s_wait_alu 0xfffd
	v_cndmask_b32_e32 v1, 0, v60, vcc_lo
	v_cmp_gt_i32_e32 vcc_lo, s34, v36
	s_wait_alu 0xfffd
	v_cndmask_b32_e32 v7, 0, v58, vcc_lo
	;; [unrolled: 3-line block ×4, first 2 shown]
	v_cmp_gt_i32_e32 vcc_lo, s34, v32
	v_or_b32_e32 v52, v7, v1
	s_delay_alu instid0(VALU_DEP_3)
	v_or_b32_e32 v8, v28, v8
	s_wait_alu 0xfffd
	v_cndmask_b32_e32 v32, 0, v59, vcc_lo
	v_cmp_gt_i32_e32 vcc_lo, s34, v31
	s_wait_alu 0xfffd
	v_cndmask_b32_e32 v31, 0, v56, vcc_lo
	v_cmp_gt_i32_e32 vcc_lo, s34, v30
	s_delay_alu instid0(VALU_DEP_2)
	v_or_b32_e32 v7, v31, v32
	s_wait_alu 0xfffd
	v_cndmask_b32_e32 v30, 0, v57, vcc_lo
	v_cmp_gt_i32_e32 vcc_lo, s34, v29
	s_wait_alu 0xfffd
	v_cndmask_b32_e32 v29, 0, v54, vcc_lo
	s_delay_alu instid0(VALU_DEP_1)
	v_or_b32_e32 v1, v29, v30
	s_branch .LBB284_548
.LBB284_1079:
	s_or_b32 exec_lo, exec_lo, s12
.LBB284_1080:
	s_wait_alu 0xfffe
	s_or_b32 exec_lo, exec_lo, s1
	ds_bpermute_b32 v1, v18, v25
	ds_bpermute_b32 v2, v18, v26
	ds_bpermute_b32 v3, v18, v24
	ds_bpermute_b32 v4, v18, v23
	ds_bpermute_b32 v5, v18, v22
	ds_bpermute_b32 v6, v18, v21
	ds_bpermute_b32 v7, v18, v20
	ds_bpermute_b32 v8, v18, v19
	v_lshrrev_b32_e32 v9, 2, v12
	s_mov_b32 s0, exec_lo
	s_wait_storecnt 0x0
	s_wait_loadcnt_dscnt 0x0
	s_barrier_signal -1
	s_barrier_wait -1
	global_inv scope:SCOPE_SE
	v_dual_add_f32 v1, v25, v1 :: v_dual_add_f32 v2, v26, v2
	v_dual_add_f32 v3, v24, v3 :: v_dual_add_f32 v4, v23, v4
	;; [unrolled: 1-line block ×4, first 2 shown]
	ds_bpermute_b32 v5, v17, v1
	ds_bpermute_b32 v6, v17, v2
	;; [unrolled: 1-line block ×8, first 2 shown]
	v_and_b32_e32 v7, 28, v12
	v_lshlrev_b32_e32 v11, 8, v11
	v_and_b32_e32 v12, 0x3c3, v0
	s_wait_dscnt 0x7
	v_add_f32_e32 v8, v1, v5
	s_wait_dscnt 0x6
	v_dual_add_f32 v7, v2, v6 :: v_dual_add_nc_u32 v10, 0xa0, v7
	s_wait_dscnt 0x4
	v_dual_add_f32 v6, v3, v19 :: v_dual_add_f32 v5, v4, v20
	s_wait_dscnt 0x2
	v_dual_add_f32 v4, v13, v21 :: v_dual_add_f32 v3, v14, v22
	;; [unrolled: 2-line block ×3, first 2 shown]
	v_cmpx_eq_u32_e32 64, v12
	s_cbranch_execz .LBB284_1082
; %bb.1081:
	v_add_nc_u32_e32 v12, v10, v11
	s_delay_alu instid0(VALU_DEP_1)
	v_add_nc_u32_e32 v13, 0xfffffe00, v12
	v_add_nc_u32_e32 v14, 0xfffffe20, v12
	;; [unrolled: 1-line block ×8, first 2 shown]
	ds_store_b32 v13, v8
	ds_store_b32 v14, v7
	;; [unrolled: 1-line block ×8, first 2 shown]
.LBB284_1082:
	s_wait_alu 0xfffe
	s_or_b32 exec_lo, exec_lo, s0
	v_lshlrev_b32_e32 v9, 2, v9
	s_mov_b32 s1, exec_lo
	v_cmp_eq_u32_e32 vcc_lo, 0, v16
	s_wait_loadcnt_dscnt 0x0
	s_barrier_signal -1
	v_add3_u32 v9, 0xa0, v11, v9
	s_barrier_wait -1
	global_inv scope:SCOPE_SE
	v_cmpx_gt_u32_e32 64, v0
	s_cbranch_execz .LBB284_1093
; %bb.1083:
	s_and_saveexec_b32 s0, vcc_lo
	s_cbranch_execnz .LBB284_1109
; %bb.1084:
	s_wait_alu 0xfffe
	s_or_b32 exec_lo, exec_lo, s0
	s_and_saveexec_b32 s0, vcc_lo
	s_cbranch_execnz .LBB284_1110
.LBB284_1085:
	s_wait_alu 0xfffe
	s_or_b32 exec_lo, exec_lo, s0
	s_and_saveexec_b32 s0, vcc_lo
	s_cbranch_execnz .LBB284_1111
.LBB284_1086:
	s_wait_alu 0xfffe
	s_or_b32 exec_lo, exec_lo, s0
	s_and_saveexec_b32 s0, vcc_lo
	s_cbranch_execnz .LBB284_1112
.LBB284_1087:
	s_wait_alu 0xfffe
	s_or_b32 exec_lo, exec_lo, s0
	s_and_saveexec_b32 s0, vcc_lo
	s_cbranch_execnz .LBB284_1113
.LBB284_1088:
	s_wait_alu 0xfffe
	s_or_b32 exec_lo, exec_lo, s0
	s_and_saveexec_b32 s0, vcc_lo
	s_cbranch_execnz .LBB284_1114
.LBB284_1089:
	s_wait_alu 0xfffe
	s_or_b32 exec_lo, exec_lo, s0
	s_and_saveexec_b32 s0, vcc_lo
	s_cbranch_execnz .LBB284_1115
.LBB284_1090:
	s_wait_alu 0xfffe
	s_or_b32 exec_lo, exec_lo, s0
	s_and_saveexec_b32 s0, vcc_lo
	s_cbranch_execz .LBB284_1092
.LBB284_1091:
	ds_load_b32 v11, v9 offset:224
	s_wait_dscnt 0x0
	v_add_f32_e32 v1, v1, v11
.LBB284_1092:
	s_wait_alu 0xfffe
	s_or_b32 exec_lo, exec_lo, s0
.LBB284_1093:
	s_wait_alu 0xfffe
	s_or_b32 exec_lo, exec_lo, s1
	v_and_b32_e32 v11, 0x3e3, v0
	s_mov_b32 s1, exec_lo
	s_wait_loadcnt 0x0
	s_barrier_signal -1
	s_barrier_wait -1
	global_inv scope:SCOPE_SE
	v_cmpx_eq_u32_e32 32, v11
	s_cbranch_execz .LBB284_1095
; %bb.1094:
	ds_store_2addr_b32 v10, v8, v7 offset1:8
	ds_store_2addr_b32 v10, v6, v5 offset0:16 offset1:24
	ds_store_2addr_b32 v10, v4, v3 offset0:32 offset1:40
	;; [unrolled: 1-line block ×3, first 2 shown]
.LBB284_1095:
	s_wait_alu 0xfffe
	s_or_b32 exec_lo, exec_lo, s1
	s_delay_alu instid0(SALU_CYCLE_1)
	s_mov_b32 s1, exec_lo
	s_wait_loadcnt_dscnt 0x0
	s_barrier_signal -1
	s_barrier_wait -1
	global_inv scope:SCOPE_SE
	v_cmpx_gt_u32_e32 32, v0
	s_cbranch_execz .LBB284_1106
; %bb.1096:
	s_and_saveexec_b32 s0, vcc_lo
	s_cbranch_execnz .LBB284_1116
; %bb.1097:
	s_wait_alu 0xfffe
	s_or_b32 exec_lo, exec_lo, s0
	s_and_saveexec_b32 s0, vcc_lo
	s_cbranch_execnz .LBB284_1117
.LBB284_1098:
	s_wait_alu 0xfffe
	s_or_b32 exec_lo, exec_lo, s0
	s_and_saveexec_b32 s0, vcc_lo
	s_cbranch_execnz .LBB284_1118
.LBB284_1099:
	s_wait_alu 0xfffe
	s_or_b32 exec_lo, exec_lo, s0
	s_and_saveexec_b32 s0, vcc_lo
	s_cbranch_execnz .LBB284_1119
.LBB284_1100:
	s_wait_alu 0xfffe
	s_or_b32 exec_lo, exec_lo, s0
	s_and_saveexec_b32 s0, vcc_lo
	s_cbranch_execnz .LBB284_1120
.LBB284_1101:
	s_wait_alu 0xfffe
	s_or_b32 exec_lo, exec_lo, s0
	s_and_saveexec_b32 s0, vcc_lo
	s_cbranch_execnz .LBB284_1121
.LBB284_1102:
	s_wait_alu 0xfffe
	s_or_b32 exec_lo, exec_lo, s0
	s_and_saveexec_b32 s0, vcc_lo
	s_cbranch_execnz .LBB284_1122
.LBB284_1103:
	s_wait_alu 0xfffe
	s_or_b32 exec_lo, exec_lo, s0
	s_and_saveexec_b32 s0, vcc_lo
	s_cbranch_execz .LBB284_1105
.LBB284_1104:
	ds_load_b32 v9, v9 offset:224
	s_wait_dscnt 0x0
	v_add_f32_e32 v1, v1, v9
.LBB284_1105:
	s_wait_alu 0xfffe
	s_or_b32 exec_lo, exec_lo, s0
.LBB284_1106:
	s_wait_alu 0xfffe
	s_or_b32 exec_lo, exec_lo, s1
	s_mov_b32 s1, 0
	s_wait_loadcnt 0x0
	s_barrier_signal -1
	s_barrier_wait -1
	global_inv scope:SCOPE_SE
	s_mov_b32 s0, exec_lo
	v_cmpx_eq_u32_e32 0, v11
	s_cbranch_execz .LBB284_1108
; %bb.1107:
	s_lshl_b32 s2, s28, 6
	s_mul_i32 s4, s7, s20
	s_wait_alu 0xfffe
	s_ashr_i32 s3, s2, 31
	s_ashr_i32 s5, s4, 31
	s_wait_alu 0xfffe
	s_lshl_b64 s[2:3], s[2:3], 1
	s_lshl_b64 s[4:5], s[4:5], 1
	s_wait_kmcnt 0x0
	s_wait_alu 0xfffe
	s_add_nc_u64 s[2:3], s[8:9], s[2:3]
	v_lshrrev_b32_e32 v0, 1, v0
	s_lshl_b32 s0, s33, 7
	s_wait_alu 0xfffe
	s_add_nc_u64 s[2:3], s[2:3], s[4:5]
	;;#ASMSTART
	v_cvt_f16_f32 v8, v8;

	;;#ASMEND
	s_wait_alu 0xfffe
	s_add_nc_u64 s[0:1], s[2:3], s[0:1]
	global_store_b16 v0, v8, s[0:1]
	;;#ASMSTART
	v_cvt_f16_f32 v7, v7;

	;;#ASMEND
	global_store_b16 v0, v7, s[0:1] offset:16
	;;#ASMSTART
	v_cvt_f16_f32 v6, v6;

	;;#ASMEND
	global_store_b16 v0, v6, s[0:1] offset:32
	;; [unrolled: 5-line block ×7, first 2 shown]
.LBB284_1108:
	s_nop 0
	s_sendmsg sendmsg(MSG_DEALLOC_VGPRS)
	s_endpgm
.LBB284_1109:
	ds_load_b32 v11, v9
	s_wait_dscnt 0x0
	v_add_f32_e32 v8, v8, v11
	s_wait_alu 0xfffe
	s_or_b32 exec_lo, exec_lo, s0
	s_and_saveexec_b32 s0, vcc_lo
	s_cbranch_execz .LBB284_1085
.LBB284_1110:
	ds_load_b32 v11, v9 offset:32
	s_wait_dscnt 0x0
	v_add_f32_e32 v7, v7, v11
	s_wait_alu 0xfffe
	s_or_b32 exec_lo, exec_lo, s0
	s_and_saveexec_b32 s0, vcc_lo
	s_cbranch_execz .LBB284_1086
.LBB284_1111:
	ds_load_b32 v11, v9 offset:64
	s_wait_dscnt 0x0
	v_add_f32_e32 v6, v6, v11
	s_wait_alu 0xfffe
	s_or_b32 exec_lo, exec_lo, s0
	s_and_saveexec_b32 s0, vcc_lo
	s_cbranch_execz .LBB284_1087
.LBB284_1112:
	ds_load_b32 v11, v9 offset:96
	s_wait_dscnt 0x0
	v_add_f32_e32 v5, v5, v11
	s_wait_alu 0xfffe
	s_or_b32 exec_lo, exec_lo, s0
	s_and_saveexec_b32 s0, vcc_lo
	s_cbranch_execz .LBB284_1088
.LBB284_1113:
	ds_load_b32 v11, v9 offset:128
	s_wait_dscnt 0x0
	v_add_f32_e32 v4, v4, v11
	s_wait_alu 0xfffe
	s_or_b32 exec_lo, exec_lo, s0
	s_and_saveexec_b32 s0, vcc_lo
	s_cbranch_execz .LBB284_1089
.LBB284_1114:
	ds_load_b32 v11, v9 offset:160
	s_wait_dscnt 0x0
	v_add_f32_e32 v3, v3, v11
	s_wait_alu 0xfffe
	s_or_b32 exec_lo, exec_lo, s0
	s_and_saveexec_b32 s0, vcc_lo
	s_cbranch_execz .LBB284_1090
.LBB284_1115:
	ds_load_b32 v11, v9 offset:192
	s_wait_dscnt 0x0
	v_add_f32_e32 v2, v2, v11
	s_wait_alu 0xfffe
	s_or_b32 exec_lo, exec_lo, s0
	s_and_saveexec_b32 s0, vcc_lo
	s_cbranch_execnz .LBB284_1091
	s_branch .LBB284_1092
.LBB284_1116:
	ds_load_b32 v10, v9
	s_wait_dscnt 0x0
	v_add_f32_e32 v8, v8, v10
	s_wait_alu 0xfffe
	s_or_b32 exec_lo, exec_lo, s0
	s_and_saveexec_b32 s0, vcc_lo
	s_cbranch_execz .LBB284_1098
.LBB284_1117:
	ds_load_b32 v10, v9 offset:32
	s_wait_dscnt 0x0
	v_add_f32_e32 v7, v7, v10
	s_wait_alu 0xfffe
	s_or_b32 exec_lo, exec_lo, s0
	s_and_saveexec_b32 s0, vcc_lo
	s_cbranch_execz .LBB284_1099
.LBB284_1118:
	ds_load_b32 v10, v9 offset:64
	s_wait_dscnt 0x0
	v_add_f32_e32 v6, v6, v10
	s_wait_alu 0xfffe
	s_or_b32 exec_lo, exec_lo, s0
	s_and_saveexec_b32 s0, vcc_lo
	s_cbranch_execz .LBB284_1100
.LBB284_1119:
	ds_load_b32 v10, v9 offset:96
	s_wait_dscnt 0x0
	v_add_f32_e32 v5, v5, v10
	s_wait_alu 0xfffe
	s_or_b32 exec_lo, exec_lo, s0
	s_and_saveexec_b32 s0, vcc_lo
	s_cbranch_execz .LBB284_1101
.LBB284_1120:
	ds_load_b32 v10, v9 offset:128
	s_wait_dscnt 0x0
	v_add_f32_e32 v4, v4, v10
	s_wait_alu 0xfffe
	s_or_b32 exec_lo, exec_lo, s0
	s_and_saveexec_b32 s0, vcc_lo
	s_cbranch_execz .LBB284_1102
.LBB284_1121:
	ds_load_b32 v10, v9 offset:160
	s_wait_dscnt 0x0
	v_add_f32_e32 v3, v3, v10
	s_wait_alu 0xfffe
	s_or_b32 exec_lo, exec_lo, s0
	s_and_saveexec_b32 s0, vcc_lo
	s_cbranch_execz .LBB284_1103
.LBB284_1122:
	ds_load_b32 v10, v9 offset:192
	s_wait_dscnt 0x0
	v_add_f32_e32 v2, v2, v10
	s_wait_alu 0xfffe
	s_or_b32 exec_lo, exec_lo, s0
	s_and_saveexec_b32 s0, vcc_lo
	s_cbranch_execnz .LBB284_1104
	s_branch .LBB284_1105
	.section	.rodata,"a",@progbits
	.p2align	6, 0x0
	.amdhsa_kernel _ZN4vllm25paged_attention_v2_kernelIthLi64ELi32ELi128ELNS_18Fp8KVCacheDataTypeE1ELb1ELi512EEEvPfS2_PT_PKS3_PKT0_S9_ifPKiSB_iPKfiiiSD_SD_iiiii
		.amdhsa_group_segment_fixed_size 160
		.amdhsa_private_segment_fixed_size 0
		.amdhsa_kernarg_size 400
		.amdhsa_user_sgpr_count 2
		.amdhsa_user_sgpr_dispatch_ptr 0
		.amdhsa_user_sgpr_queue_ptr 0
		.amdhsa_user_sgpr_kernarg_segment_ptr 1
		.amdhsa_user_sgpr_dispatch_id 0
		.amdhsa_user_sgpr_private_segment_size 0
		.amdhsa_wavefront_size32 1
		.amdhsa_uses_dynamic_stack 0
		.amdhsa_enable_private_segment 0
		.amdhsa_system_sgpr_workgroup_id_x 1
		.amdhsa_system_sgpr_workgroup_id_y 1
		.amdhsa_system_sgpr_workgroup_id_z 1
		.amdhsa_system_sgpr_workgroup_info 0
		.amdhsa_system_vgpr_workitem_id 0
		.amdhsa_next_free_vgpr 112
		.amdhsa_next_free_sgpr 47
		.amdhsa_reserve_vcc 1
		.amdhsa_float_round_mode_32 0
		.amdhsa_float_round_mode_16_64 0
		.amdhsa_float_denorm_mode_32 3
		.amdhsa_float_denorm_mode_16_64 3
		.amdhsa_fp16_overflow 0
		.amdhsa_workgroup_processor_mode 1
		.amdhsa_memory_ordered 1
		.amdhsa_forward_progress 1
		.amdhsa_inst_pref_size 255
		.amdhsa_round_robin_scheduling 0
		.amdhsa_exception_fp_ieee_invalid_op 0
		.amdhsa_exception_fp_denorm_src 0
		.amdhsa_exception_fp_ieee_div_zero 0
		.amdhsa_exception_fp_ieee_overflow 0
		.amdhsa_exception_fp_ieee_underflow 0
		.amdhsa_exception_fp_ieee_inexact 0
		.amdhsa_exception_int_div_zero 0
	.end_amdhsa_kernel
	.section	.text._ZN4vllm25paged_attention_v2_kernelIthLi64ELi32ELi128ELNS_18Fp8KVCacheDataTypeE1ELb1ELi512EEEvPfS2_PT_PKS3_PKT0_S9_ifPKiSB_iPKfiiiSD_SD_iiiii,"axG",@progbits,_ZN4vllm25paged_attention_v2_kernelIthLi64ELi32ELi128ELNS_18Fp8KVCacheDataTypeE1ELb1ELi512EEEvPfS2_PT_PKS3_PKT0_S9_ifPKiSB_iPKfiiiSD_SD_iiiii,comdat
.Lfunc_end284:
	.size	_ZN4vllm25paged_attention_v2_kernelIthLi64ELi32ELi128ELNS_18Fp8KVCacheDataTypeE1ELb1ELi512EEEvPfS2_PT_PKS3_PKT0_S9_ifPKiSB_iPKfiiiSD_SD_iiiii, .Lfunc_end284-_ZN4vllm25paged_attention_v2_kernelIthLi64ELi32ELi128ELNS_18Fp8KVCacheDataTypeE1ELb1ELi512EEEvPfS2_PT_PKS3_PKT0_S9_ifPKiSB_iPKfiiiSD_SD_iiiii
                                        ; -- End function
	.set _ZN4vllm25paged_attention_v2_kernelIthLi64ELi32ELi128ELNS_18Fp8KVCacheDataTypeE1ELb1ELi512EEEvPfS2_PT_PKS3_PKT0_S9_ifPKiSB_iPKfiiiSD_SD_iiiii.num_vgpr, 112
	.set _ZN4vllm25paged_attention_v2_kernelIthLi64ELi32ELi128ELNS_18Fp8KVCacheDataTypeE1ELb1ELi512EEEvPfS2_PT_PKS3_PKT0_S9_ifPKiSB_iPKfiiiSD_SD_iiiii.num_agpr, 0
	.set _ZN4vllm25paged_attention_v2_kernelIthLi64ELi32ELi128ELNS_18Fp8KVCacheDataTypeE1ELb1ELi512EEEvPfS2_PT_PKS3_PKT0_S9_ifPKiSB_iPKfiiiSD_SD_iiiii.numbered_sgpr, 47
	.set _ZN4vllm25paged_attention_v2_kernelIthLi64ELi32ELi128ELNS_18Fp8KVCacheDataTypeE1ELb1ELi512EEEvPfS2_PT_PKS3_PKT0_S9_ifPKiSB_iPKfiiiSD_SD_iiiii.num_named_barrier, 0
	.set _ZN4vllm25paged_attention_v2_kernelIthLi64ELi32ELi128ELNS_18Fp8KVCacheDataTypeE1ELb1ELi512EEEvPfS2_PT_PKS3_PKT0_S9_ifPKiSB_iPKfiiiSD_SD_iiiii.private_seg_size, 0
	.set _ZN4vllm25paged_attention_v2_kernelIthLi64ELi32ELi128ELNS_18Fp8KVCacheDataTypeE1ELb1ELi512EEEvPfS2_PT_PKS3_PKT0_S9_ifPKiSB_iPKfiiiSD_SD_iiiii.uses_vcc, 1
	.set _ZN4vllm25paged_attention_v2_kernelIthLi64ELi32ELi128ELNS_18Fp8KVCacheDataTypeE1ELb1ELi512EEEvPfS2_PT_PKS3_PKT0_S9_ifPKiSB_iPKfiiiSD_SD_iiiii.uses_flat_scratch, 0
	.set _ZN4vllm25paged_attention_v2_kernelIthLi64ELi32ELi128ELNS_18Fp8KVCacheDataTypeE1ELb1ELi512EEEvPfS2_PT_PKS3_PKT0_S9_ifPKiSB_iPKfiiiSD_SD_iiiii.has_dyn_sized_stack, 0
	.set _ZN4vllm25paged_attention_v2_kernelIthLi64ELi32ELi128ELNS_18Fp8KVCacheDataTypeE1ELb1ELi512EEEvPfS2_PT_PKS3_PKT0_S9_ifPKiSB_iPKfiiiSD_SD_iiiii.has_recursion, 0
	.set _ZN4vllm25paged_attention_v2_kernelIthLi64ELi32ELi128ELNS_18Fp8KVCacheDataTypeE1ELb1ELi512EEEvPfS2_PT_PKS3_PKT0_S9_ifPKiSB_iPKfiiiSD_SD_iiiii.has_indirect_call, 0
	.section	.AMDGPU.csdata,"",@progbits
; Kernel info:
; codeLenInByte = 38876
; TotalNumSgprs: 49
; NumVgprs: 112
; ScratchSize: 0
; MemoryBound: 0
; FloatMode: 240
; IeeeMode: 1
; LDSByteSize: 160 bytes/workgroup (compile time only)
; SGPRBlocks: 0
; VGPRBlocks: 13
; NumSGPRsForWavesPerEU: 49
; NumVGPRsForWavesPerEU: 112
; Occupancy: 12
; WaveLimiterHint : 1
; COMPUTE_PGM_RSRC2:SCRATCH_EN: 0
; COMPUTE_PGM_RSRC2:USER_SGPR: 2
; COMPUTE_PGM_RSRC2:TRAP_HANDLER: 0
; COMPUTE_PGM_RSRC2:TGID_X_EN: 1
; COMPUTE_PGM_RSRC2:TGID_Y_EN: 1
; COMPUTE_PGM_RSRC2:TGID_Z_EN: 1
; COMPUTE_PGM_RSRC2:TIDIG_COMP_CNT: 0
	.section	.text._ZN4vllm25paged_attention_v2_kernelIthLi80ELi32ELi128ELNS_18Fp8KVCacheDataTypeE1ELb1ELi512EEEvPfS2_PT_PKS3_PKT0_S9_ifPKiSB_iPKfiiiSD_SD_iiiii,"axG",@progbits,_ZN4vllm25paged_attention_v2_kernelIthLi80ELi32ELi128ELNS_18Fp8KVCacheDataTypeE1ELb1ELi512EEEvPfS2_PT_PKS3_PKT0_S9_ifPKiSB_iPKfiiiSD_SD_iiiii,comdat
	.protected	_ZN4vllm25paged_attention_v2_kernelIthLi80ELi32ELi128ELNS_18Fp8KVCacheDataTypeE1ELb1ELi512EEEvPfS2_PT_PKS3_PKT0_S9_ifPKiSB_iPKfiiiSD_SD_iiiii ; -- Begin function _ZN4vllm25paged_attention_v2_kernelIthLi80ELi32ELi128ELNS_18Fp8KVCacheDataTypeE1ELb1ELi512EEEvPfS2_PT_PKS3_PKT0_S9_ifPKiSB_iPKfiiiSD_SD_iiiii
	.globl	_ZN4vllm25paged_attention_v2_kernelIthLi80ELi32ELi128ELNS_18Fp8KVCacheDataTypeE1ELb1ELi512EEEvPfS2_PT_PKS3_PKT0_S9_ifPKiSB_iPKfiiiSD_SD_iiiii
	.p2align	8
	.type	_ZN4vllm25paged_attention_v2_kernelIthLi80ELi32ELi128ELNS_18Fp8KVCacheDataTypeE1ELb1ELi512EEEvPfS2_PT_PKS3_PKT0_S9_ifPKiSB_iPKfiiiSD_SD_iiiii,@function
_ZN4vllm25paged_attention_v2_kernelIthLi80ELi32ELi128ELNS_18Fp8KVCacheDataTypeE1ELb1ELi512EEEvPfS2_PT_PKS3_PKT0_S9_ifPKiSB_iPKfiiiSD_SD_iiiii: ; @_ZN4vllm25paged_attention_v2_kernelIthLi80ELi32ELi128ELNS_18Fp8KVCacheDataTypeE1ELb1ELi512EEEvPfS2_PT_PKS3_PKT0_S9_ifPKiSB_iPKfiiiSD_SD_iiiii
; %bb.0:
	s_load_b64 s[2:3], s[0:1], 0x40
	s_and_b32 s28, ttmp7, 0xffff
	s_lshr_b32 s33, ttmp7, 16
	s_lshl_b32 s4, s28, 2
	s_lshl_b32 s36, s33, 9
	s_wait_kmcnt 0x0
	s_load_b32 s34, s[2:3], s4 offset:0x0
	s_wait_kmcnt 0x0
	s_cmp_ge_i32 s36, s34
	s_cbranch_scc1 .LBB285_1372
; %bb.1:
	s_clause 0x1
	s_load_b32 s29, s[0:1], 0x90
	s_load_b64 s[12:13], s[0:1], 0x30
	s_wait_kmcnt 0x0
	s_abs_i32 s5, s29
	s_abs_i32 s2, s12
	s_delay_alu instid0(SALU_CYCLE_1) | instskip(SKIP_1) | instid1(SALU_CYCLE_2)
	s_cvt_f32_u32 s3, s2
	s_sub_co_i32 s4, 0, s2
	v_rcp_iflag_f32_e32 v1, s3
	s_delay_alu instid0(TRANS32_DEP_1) | instskip(SKIP_2) | instid1(SALU_CYCLE_2)
	v_readfirstlane_b32 s3, v1
	s_mul_f32 s3, s3, 0x4f7ffffe
	s_wait_alu 0xfffe
	s_cvt_u32_f32 s3, s3
	s_wait_alu 0xfffe
	s_delay_alu instid0(SALU_CYCLE_2) | instskip(NEXT) | instid1(SALU_CYCLE_1)
	s_mul_i32 s4, s4, s3
	s_mul_hi_u32 s4, s3, s4
	s_delay_alu instid0(SALU_CYCLE_1)
	s_add_co_i32 s3, s3, s4
	s_xor_b32 s4, s29, s12
	s_wait_alu 0xfffe
	s_mul_hi_u32 s3, s5, s3
	s_ashr_i32 s4, s4, 31
	s_wait_alu 0xfffe
	s_mul_i32 s6, s3, s2
	s_delay_alu instid0(SALU_CYCLE_1)
	s_sub_co_i32 s5, s5, s6
	s_add_co_i32 s6, s3, 1
	s_sub_co_i32 s7, s5, s2
	s_cmp_ge_u32 s5, s2
	s_cselect_b32 s3, s6, s3
	s_cselect_b32 s5, s7, s5
	s_wait_alu 0xfffe
	s_add_co_i32 s6, s3, 1
	s_cmp_ge_u32 s5, s2
	s_cselect_b32 s2, s6, s3
	s_load_b64 s[6:7], s[0:1], 0x50
	s_xor_b32 s2, s2, s4
	s_mov_b32 s3, 0
	s_wait_alu 0xfffe
	s_sub_co_i32 s11, s2, s4
	s_mov_b32 s30, s3
	s_abs_i32 s10, s11
	s_delay_alu instid0(SALU_CYCLE_1) | instskip(SKIP_1) | instid1(SALU_CYCLE_2)
	s_cvt_f32_u32 s2, s10
	s_wait_alu 0xfffe
	v_rcp_iflag_f32_e32 v1, s2
	s_delay_alu instid0(TRANS32_DEP_1) | instskip(SKIP_2) | instid1(SALU_CYCLE_2)
	v_readfirstlane_b32 s2, v1
	s_mul_f32 s2, s2, 0x4f7ffffe
	s_wait_alu 0xfffe
	s_cvt_u32_f32 s4, s2
	s_sub_co_i32 s2, 0, s10
	s_wait_alu 0xfffe
	s_delay_alu instid0(SALU_CYCLE_1)
	s_mul_i32 s2, s2, s4
	s_wait_alu 0xfffe
	s_mul_hi_u32 s5, s4, s2
	s_abs_i32 s2, ttmp9
	s_add_co_i32 s4, s4, s5
	s_mov_b32 s5, s3
	s_wait_kmcnt 0x0
	s_cmp_eq_u64 s[6:7], 0
	s_cbranch_scc1 .LBB285_3
; %bb.2:
	s_mov_b32 s8, ttmp9
	s_ashr_i32 s9, ttmp9, 31
	s_delay_alu instid0(SALU_CYCLE_1) | instskip(NEXT) | instid1(SALU_CYCLE_1)
	s_lshl_b64 s[8:9], s[8:9], 2
	s_add_nc_u64 s[6:7], s[6:7], s[8:9]
	s_load_b32 s30, s[6:7], 0x0
.LBB285_3:
	s_load_b96 s[16:18], s[0:1], 0x58
	s_mul_u64 s[8:9], s[2:3], s[4:5]
	s_ashr_i32 s3, ttmp9, 31
	s_ashr_i32 s8, s11, 31
	s_mul_i32 s20, ttmp9, 0x50
	s_mov_b32 s4, exec_lo
	v_cmpx_gt_u32_e32 10, v0
	s_cbranch_execz .LBB285_5
; %bb.4:
	s_load_b64 s[6:7], s[0:1], 0x18
	s_wait_kmcnt 0x0
	s_mul_i32 s14, s16, s28
	s_ashr_i32 s21, s20, 31
	s_ashr_i32 s15, s14, 31
	v_lshlrev_b32_e32 v5, 4, v0
	s_lshl_b64 s[14:15], s[14:15], 1
	s_delay_alu instid0(SALU_CYCLE_1) | instskip(SKIP_1) | instid1(SALU_CYCLE_1)
	s_add_nc_u64 s[6:7], s[6:7], s[14:15]
	s_lshl_b64 s[14:15], s[20:21], 1
	s_add_nc_u64 s[6:7], s[6:7], s[14:15]
	global_load_b128 v[1:4], v5, s[6:7]
	s_wait_loadcnt 0x0
	ds_store_b128 v5, v[1:4]
.LBB285_5:
	s_or_b32 exec_lo, exec_lo, s4
	s_load_b128 s[4:7], s[0:1], 0x78
	s_mul_i32 s11, s9, s10
	s_xor_b32 s3, s3, s8
	s_sub_co_i32 s2, s2, s11
	s_add_co_i32 s8, s9, 1
	s_wait_alu 0xfffe
	s_sub_co_i32 s11, s2, s10
	s_cmp_ge_u32 s2, s10
                                        ; implicit-def: $sgpr21
	s_cselect_b32 s8, s8, s9
	s_cselect_b32 s2, s11, s2
	s_add_co_i32 s9, s8, 1
	s_wait_alu 0xfffe
	s_cmp_ge_u32 s2, s10
	s_mov_b32 s10, -1
	s_cselect_b32 s2, s9, s8
	s_load_b32 s8, s[0:1], 0x88
	s_xor_b32 s2, s2, s3
	s_wait_dscnt 0x0
	s_wait_alu 0xfffe
	s_sub_co_i32 s19, s2, s3
	s_barrier_signal -1
	s_barrier_wait -1
	s_wait_kmcnt 0x0
	s_abs_i32 s16, s7
	global_inv scope:SCOPE_SE
	s_cvt_f32_u32 s9, s16
	s_delay_alu instid0(SALU_CYCLE_3) | instskip(NEXT) | instid1(TRANS32_DEP_1)
	v_rcp_iflag_f32_e32 v1, s9
	v_readfirstlane_b32 s9, v1
	s_mul_f32 s2, s9, 0x4f7ffffe
	s_add_co_i32 s9, s34, -1
	s_wait_alu 0xfffe
	s_delay_alu instid0(SALU_CYCLE_1) | instskip(SKIP_2) | instid1(SALU_CYCLE_1)
	s_cvt_u32_f32 s11, s2
	s_sub_co_i32 s2, 0, s16
	s_wait_alu 0xfffe
	s_mul_i32 s3, s2, s11
	s_abs_i32 s2, s9
	s_wait_alu 0xfffe
	s_mul_hi_u32 s14, s11, s3
	s_mov_b32 s3, 0
	s_add_co_i32 s22, s11, s14
	s_cmp_lt_i32 s8, 0
	s_wait_alu 0xfffe
	s_mov_b32 s23, s3
	s_cbranch_scc0 .LBB285_7
; %bb.6:
	s_mul_i32 s10, s4, s12
	s_delay_alu instid0(SALU_CYCLE_1) | instskip(NEXT) | instid1(SALU_CYCLE_1)
	s_add_co_i32 s10, s19, s10
	s_mul_i32 s10, s10, s8
	s_delay_alu instid0(SALU_CYCLE_1)
	s_sub_co_i32 s21, 1, s10
	s_mov_b32 s10, s3
.LBB285_7:
	s_mul_u64 s[14:15], s[2:3], s[22:23]
	s_ashr_i32 s3, s9, 31
	s_and_not1_b32 vcc_lo, exec_lo, s10
	s_ashr_i32 s23, s7, 31
	s_cbranch_vccnz .LBB285_9
; %bb.8:
	s_mul_i32 s4, s29, s4
	s_delay_alu instid0(SALU_CYCLE_1) | instskip(NEXT) | instid1(SALU_CYCLE_1)
	s_add_co_i32 s4, s4, ttmp9
	s_mul_i32 s4, s4, s8
	s_delay_alu instid0(SALU_CYCLE_1)
	s_add_co_i32 s21, s4, 1
.LBB285_9:
	s_clause 0x3
	s_load_b32 s4, s[0:1], 0x48
	s_load_b64 s[24:25], s[0:1], 0x38
	s_load_b32 s7, s[0:1], 0x98
	s_load_b128 s[8:11], s[0:1], 0x68
	s_mul_i32 s12, s15, s16
	s_xor_b32 s3, s3, s23
	s_sub_co_i32 s2, s2, s12
	s_add_co_i32 s14, s15, 1
	v_lshrrev_b32_e32 v11, 5, v0
	v_dual_mov_b32 v17, 0xff7fffff :: v_dual_and_b32 v12, 31, v0
	s_mul_i32 s18, s19, s18
	s_delay_alu instid0(VALU_DEP_2) | instskip(NEXT) | instid1(VALU_DEP_2)
	v_lshl_add_u32 v13, v11, 5, s36
	v_lshlrev_b32_e32 v16, 2, v12
	s_wait_kmcnt 0x0
	s_mul_i32 s26, s4, s28
	s_wait_alu 0xfffe
	s_sub_co_i32 s4, s2, s16
	s_ashr_i32 s27, s26, 31
	s_cmp_ge_u32 s2, s16
	s_cselect_b32 s12, s14, s15
	s_cselect_b32 s2, s4, s2
	s_add_co_i32 s4, s12, 1
	s_wait_alu 0xfffe
	s_cmp_ge_u32 s2, s16
	s_cselect_b32 s2, s4, s12
	s_add_co_i32 s4, s34, 31
	s_lshl_b32 s39, s33, 4
	s_ashr_i32 s12, s4, 31
	v_add_nc_u32_e32 v14, s39, v11
	s_lshr_b32 s12, s12, 27
	s_delay_alu instid0(SALU_CYCLE_1)
	s_add_co_i32 s4, s4, s12
	s_add_co_i32 s12, s39, 16
	s_ashr_i32 s37, s4, 5
	s_wait_alu 0xfffe
	s_xor_b32 s4, s2, s3
	s_min_i32 s35, s12, s37
	v_lshlrev_b32_e32 v15, 2, v14
	v_cmp_gt_i32_e64 s2, s35, v14
	s_sub_co_i32 s38, s4, s3
	s_and_saveexec_b32 s12, s2
	s_cbranch_execz .LBB285_657
; %bb.10:
	s_wait_alu 0xfffe
	s_sub_co_i32 s31, s38, s5
	s_ashr_i32 s19, s18, 31
	s_cmp_neq_f32 s30, 0
	s_load_b64 s[14:15], s[0:1], 0x20
	v_dual_mov_b32 v2, 0 :: v_dual_lshlrev_b32 v5, 4, v12
	s_cselect_b32 vcc_lo, -1, 0
	s_abs_i32 s40, s6
	v_subrev_nc_u32_e32 v3, s34, v12
	s_cvt_f32_u32 s3, s40
	s_lshl_b64 s[44:45], s[26:27], 2
	v_lshl_or_b32 v4, v11, 7, v16
	s_add_nc_u64 s[44:45], s[24:25], s[44:45]
	s_wait_alu 0xfffe
	v_rcp_iflag_f32_e32 v1, s3
	s_sub_co_i32 s4, 0, s40
	v_add_nc_u32_e32 v21, 1, v3
	v_add_co_u32 v3, s43, s44, v15
	v_lshl_add_u32 v18, v11, 5, s36
	v_dual_mov_b32 v19, 0xff7fffff :: v_dual_mov_b32 v20, v14
	v_mov_b32_e32 v17, 0xff7fffff
	v_add_nc_u32_e32 v22, 0xc0, v4
	s_delay_alu instid0(TRANS32_DEP_1)
	v_readfirstlane_b32 s3, v1
	s_wait_kmcnt 0x0
	s_add_nc_u64 s[14:15], s[14:15], s[18:19]
	v_add_co_ci_u32_e64 v4, null, s45, 0, s43
	v_add_co_u32 v5, s14, s14, v5
	s_mul_f32 s3, s3, 0x4f7ffffe
	v_add_co_ci_u32_e64 v6, null, s15, 0, s14
	s_mov_b32 s14, -1
	s_wait_alu 0xfffe
	s_cvt_u32_f32 s3, s3
	s_mov_b32 s41, s17
	s_mov_b32 s42, 0
	;; [unrolled: 1-line block ×3, first 2 shown]
	s_wait_alu 0xfffe
	s_mul_i32 s4, s4, s3
	s_delay_alu instid0(SALU_CYCLE_1) | instskip(NEXT) | instid1(SALU_CYCLE_1)
	s_mul_hi_u32 s4, s3, s4
	s_add_co_i32 s19, s3, s4
	s_branch .LBB285_16
.LBB285_11:                             ;   in Loop: Header=BB285_16 Depth=1
	s_or_b32 exec_lo, exec_lo, s46
	v_lshlrev_b32_e32 v1, 8, v1
	v_lshl_add_u32 v8, v8, 10, 0x2000
	v_lshlrev_b32_e32 v7, 23, v7
	s_delay_alu instid0(VALU_DEP_2) | instskip(NEXT) | instid1(VALU_DEP_1)
	v_and_or_b32 v1, 0x8000, v1, v8
	v_lshl_or_b32 v7, v1, 16, v7
.LBB285_12:                             ;   in Loop: Header=BB285_16 Depth=1
	s_wait_alu 0xfffe
	s_or_b32 exec_lo, exec_lo, s45
.LBB285_13:                             ;   in Loop: Header=BB285_16 Depth=1
	s_wait_alu 0xfffe
	s_or_b32 exec_lo, exec_lo, s44
.LBB285_14:                             ;   in Loop: Header=BB285_16 Depth=1
	s_wait_alu 0xfffe
	s_or_b32 exec_lo, exec_lo, s43
	ds_load_b128 v[101:104], v2
	v_or_b32_e32 v25, v24, v25
	v_or_b32_e32 v1, v26, v27
	v_fma_mixlo_f16 v8, v23, v26, 0 op_sel:[0,1,0] op_sel_hi:[0,1,0]
	v_or_b32_e32 v26, v30, v29
	v_or_b32_e32 v28, v32, v28
	v_fma_mixlo_f16 v24, v23, v24, 0 op_sel:[0,1,0] op_sel_hi:[0,1,0]
	v_fma_mixlo_f16 v25, v23, v25, 0 op_sel_hi:[0,1,0]
	v_fma_mixlo_f16 v1, v23, v1, 0 op_sel_hi:[0,1,0]
	;; [unrolled: 1-line block ×3, first 2 shown]
	v_fma_mixlo_f16 v27, v23, v30, 0 op_sel:[0,1,0] op_sel_hi:[0,1,0]
	v_fma_mixlo_f16 v29, v23, v32, 0 op_sel:[0,1,0] op_sel_hi:[0,1,0]
	v_fma_mixlo_f16 v28, v23, v28, 0 op_sel_hi:[0,1,0]
	v_and_b32_e32 v25, 0xffff, v25
	v_and_b32_e32 v8, 0xffff, v8
	;; [unrolled: 1-line block ×3, first 2 shown]
	v_or_b32_e32 v51, v55, v51
	v_or_b32_e32 v54, v56, v54
	;; [unrolled: 1-line block ×4, first 2 shown]
	s_wait_dscnt 0x0
	v_and_b32_e32 v30, 0xffff, v101
	v_lshrrev_b32_e32 v101, 16, v101
	;;#ASMSTART
	v_cvt_f32_f16 v32, v30;
	;;#ASMEND
	;;#ASMSTART
	v_cvt_f32_f16 v113, v101;
	;;#ASMEND
	v_and_b32_e32 v24, 0xffff, v24
	v_lshrrev_b32_e32 v105, 16, v102
	v_and_b32_e32 v102, 0xffff, v102
	;;#ASMSTART
	v_cvt_f32_f16 v122, v25;
	;;#ASMEND
	v_and_b32_e32 v1, 0xffff, v1
	;;#ASMSTART
	v_cvt_f32_f16 v123, v24;
	;;#ASMEND
	v_and_b32_e32 v24, 0xffff, v103
	v_lshrrev_b32_e32 v25, 16, v103
	;;#ASMSTART
	v_cvt_f32_f16 v115, v102;
	;;#ASMEND
	;;#ASMSTART
	v_cvt_f32_f16 v118, v105;
	;;#ASMEND
	;; [unrolled: 3-line block ×7, first 2 shown]
	v_and_b32_e32 v1, 0xffff, v27
	v_and_b32_e32 v8, 0xffff, v104
	v_lshrrev_b32_e32 v24, 16, v104
	v_and_b32_e32 v25, 0xffff, v28
	;;#ASMSTART
	v_cvt_f32_f16 v104, v1;
	;;#ASMEND
	;;#ASMSTART
	v_cvt_f32_f16 v105, v8;
	;;#ASMEND
	;; [unrolled: 3-line block ×3, first 2 shown]
	v_and_b32_e32 v26, 0xffff, v29
	;;#ASMSTART
	v_cvt_f32_f16 v107, v25;
	;;#ASMEND
	;;#ASMSTART
	v_cvt_f32_f16 v108, v26;
	;;#ASMEND
	ds_load_b128 v[24:27], v2 offset:16
	v_or_b32_e32 v28, v33, v31
	v_or_b32_e32 v1, v36, v34
	v_fma_mixlo_f16 v29, v23, v33, 0 op_sel:[0,1,0] op_sel_hi:[0,1,0]
	v_or_b32_e32 v30, v37, v35
	v_or_b32_e32 v31, v40, v38
	v_fma_mixlo_f16 v28, v23, v28, 0 op_sel_hi:[0,1,0]
	v_fma_mixlo_f16 v1, v23, v1, 0 op_sel_hi:[0,1,0]
	v_and_b32_e32 v29, 0xffff, v29
	v_fma_mixlo_f16 v30, v23, v30, 0 op_sel_hi:[0,1,0]
	v_fma_mixlo_f16 v8, v23, v36, 0 op_sel:[0,1,0] op_sel_hi:[0,1,0]
	v_and_b32_e32 v28, 0xffff, v28
	v_fma_mixlo_f16 v31, v23, v31, 0 op_sel_hi:[0,1,0]
	v_fma_mixlo_f16 v35, v23, v40, 0 op_sel:[0,1,0] op_sel_hi:[0,1,0]
	v_and_b32_e32 v1, 0xffff, v1
	v_fma_mixlo_f16 v34, v23, v37, 0 op_sel:[0,1,0] op_sel_hi:[0,1,0]
	v_or_b32_e32 v36, v46, v43
	v_or_b32_e32 v37, v48, v47
	v_fma_mixlo_f16 v38, v23, v46, 0 op_sel:[0,1,0] op_sel_hi:[0,1,0]
	v_fma_mixlo_f16 v40, v23, v48, 0 op_sel:[0,1,0] op_sel_hi:[0,1,0]
	s_wait_dscnt 0x0
	v_and_b32_e32 v33, 0xffff, v24
	;;#ASMSTART
	v_cvt_f32_f16 v109, v33;
	;;#ASMEND
	v_and_b32_e32 v33, 0xffff, v25
	v_lshrrev_b32_e32 v24, 16, v24
	;;#ASMSTART
	v_cvt_f32_f16 v110, v24;
	;;#ASMEND
	;;#ASMSTART
	v_cvt_f32_f16 v111, v28;
	;;#ASMEND
	;;#ASMSTART
	v_cvt_f32_f16 v112, v29;
	;;#ASMEND
	;;#ASMSTART
	v_cvt_f32_f16 v33, v33;
	;;#ASMEND
	v_lshrrev_b32_e32 v25, 16, v25
	;;#ASMSTART
	v_cvt_f32_f16 v129, v25;
	;;#ASMEND
	;;#ASMSTART
	v_cvt_f32_f16 v130, v1;
	;;#ASMEND
	v_mul_f32_e32 v33, v33, v130
	v_and_b32_e32 v24, 0xffff, v26
	v_lshrrev_b32_e32 v25, 16, v26
	v_and_b32_e32 v26, 0xffff, v30
	v_and_b32_e32 v1, 0xffff, v34
	v_dual_fmac_f32 v33, v115, v119 :: v_dual_and_b32 v8, 0xffff, v8
	;;#ASMSTART
	v_cvt_f32_f16 v131, v8;
	;;#ASMEND
	;;#ASMSTART
	v_cvt_f32_f16 v116, v24;
	;;#ASMEND
	;;#ASMSTART
	v_cvt_f32_f16 v117, v25;
	;;#ASMEND
	;;#ASMSTART
	v_cvt_f32_f16 v121, v26;
	;;#ASMEND
	v_lshrrev_b32_e32 v24, 16, v27
	v_and_b32_e32 v25, 0xffff, v31
	v_and_b32_e32 v26, 0xffff, v35
	;; [unrolled: 1-line block ×3, first 2 shown]
	;;#ASMSTART
	v_cvt_f32_f16 v124, v1;
	;;#ASMEND
	;;#ASMSTART
	v_cvt_f32_f16 v125, v8;
	;;#ASMEND
	;; [unrolled: 3-line block ×5, first 2 shown]
	ds_load_b128 v[24:27], v2 offset:32
	v_or_b32_e32 v29, v44, v42
	v_or_b32_e32 v31, v41, v39
	v_fma_mixlo_f16 v35, v23, v41, 0 op_sel:[0,1,0] op_sel_hi:[0,1,0]
	v_fma_mixlo_f16 v30, v23, v44, 0 op_sel:[0,1,0] op_sel_hi:[0,1,0]
	v_fma_mixlo_f16 v36, v23, v36, 0 op_sel_hi:[0,1,0]
	v_fma_mixlo_f16 v29, v23, v29, 0 op_sel_hi:[0,1,0]
	;; [unrolled: 1-line block ×3, first 2 shown]
	v_or_b32_e32 v28, v88, v89
	v_fma_mixlo_f16 v39, v23, v37, 0 op_sel_hi:[0,1,0]
	v_and_b32_e32 v35, 0xffff, v35
	v_or_b32_e32 v8, v97, v91
	v_and_b32_e32 v31, 0xffff, v31
	v_or_b32_e32 v34, v95, v96
	v_fma_mixlo_f16 v80, v23, v81, 0 op_sel:[0,1,0] op_sel_hi:[0,1,0]
	v_or_b32_e32 v61, v65, v61
	v_or_b32_e32 v67, v70, v67
	;; [unrolled: 1-line block ×4, first 2 shown]
	v_fma_mixlo_f16 v83, v23, v83, 0 op_sel:[0,1,0] op_sel_hi:[0,1,0]
	s_wait_dscnt 0x0
	v_and_b32_e32 v41, 0xffff, v24
	v_lshrrev_b32_e32 v24, 16, v24
	;;#ASMSTART
	v_cvt_f32_f16 v42, v41;
	;;#ASMEND
	;;#ASMSTART
	v_cvt_f32_f16 v43, v24;
	;;#ASMEND
	v_and_b32_e32 v24, 0xffff, v29
	v_and_b32_e32 v37, 0xffff, v25
	v_lshrrev_b32_e32 v25, 16, v25
	;;#ASMSTART
	v_cvt_f32_f16 v44, v31;
	;;#ASMEND
	;;#ASMSTART
	v_cvt_f32_f16 v46, v35;
	;;#ASMEND
	;; [unrolled: 3-line block ×5, first 2 shown]
	v_and_b32_e32 v24, 0xffff, v38
	v_and_b32_e32 v25, 0xffff, v30
	;; [unrolled: 1-line block ×3, first 2 shown]
	v_lshrrev_b32_e32 v26, 16, v26
	v_and_b32_e32 v30, 0xffff, v36
	;;#ASMSTART
	v_cvt_f32_f16 v91, v25;
	;;#ASMEND
	;;#ASMSTART
	v_cvt_f32_f16 v35, v29;
	;;#ASMEND
	;; [unrolled: 3-line block ×5, first 2 shown]
	v_or_b32_e32 v24, v52, v50
	v_and_b32_e32 v25, 0xffff, v27
	v_lshrrev_b32_e32 v26, 16, v27
	v_and_b32_e32 v27, 0xffff, v39
	v_and_b32_e32 v29, 0xffff, v40
	;;#ASMSTART
	v_cvt_f32_f16 v38, v25;
	;;#ASMEND
	;;#ASMSTART
	v_cvt_f32_f16 v39, v26;
	;;#ASMEND
	;; [unrolled: 3-line block ×4, first 2 shown]
	ds_load_b128 v[132:135], v2 offset:48
	v_or_b32_e32 v25, v49, v45
	v_fma_mixlo_f16 v45, v23, v52, 0 op_sel:[0,1,0] op_sel_hi:[0,1,0]
	v_fma_mixlo_f16 v52, v23, v24, 0 op_sel_hi:[0,1,0]
	v_mul_f32_e32 v24, v109, v111
	v_or_b32_e32 v50, v87, v86
	v_fma_mixlo_f16 v49, v23, v49, 0 op_sel:[0,1,0] op_sel_hi:[0,1,0]
	v_fma_mixlo_f16 v86, v23, v25, 0 op_sel_hi:[0,1,0]
	v_fma_mixlo_f16 v31, v23, v28, 0 op_sel_hi:[0,1,0]
	v_fmac_f32_e32 v24, v32, v122
	v_fma_mixlo_f16 v28, v23, v95, 0 op_sel:[0,1,0] op_sel_hi:[0,1,0]
	v_fma_mixlo_f16 v26, v23, v99, 0 op_sel:[0,1,0] op_sel_hi:[0,1,0]
	v_fma_mixlo_f16 v95, v23, v51, 0 op_sel_hi:[0,1,0]
	s_delay_alu instid0(VALU_DEP_4)
	v_dual_fmac_f32 v33, v47, v89 :: v_dual_fmac_f32 v24, v42, v44
	v_fma_mixlo_f16 v1, v23, v97, 0 op_sel:[0,1,0] op_sel_hi:[0,1,0]
	v_or_b32_e32 v97, v99, v100
	v_fma_mixlo_f16 v99, v23, v56, 0 op_sel:[0,1,0] op_sel_hi:[0,1,0]
	v_fma_mixlo_f16 v30, v23, v88, 0 op_sel:[0,1,0] op_sel_hi:[0,1,0]
	;; [unrolled: 1-line block ×3, first 2 shown]
	v_fma_mixlo_f16 v29, v23, v34, 0 op_sel_hi:[0,1,0]
	v_fma_mixlo_f16 v27, v23, v97, 0 op_sel_hi:[0,1,0]
	;; [unrolled: 1-line block ×3, first 2 shown]
	v_fma_mixlo_f16 v34, v23, v87, 0 op_sel:[0,1,0] op_sel_hi:[0,1,0]
	s_wait_dscnt 0x0
	v_and_b32_e32 v51, 0xffff, v132
	v_lshrrev_b32_e32 v54, 16, v132
	v_and_b32_e32 v55, 0xffff, v86
	v_and_b32_e32 v49, 0xffff, v49
	;; [unrolled: 1-line block ×3, first 2 shown]
	v_mul_f32_e32 v25, v110, v112
	;;#ASMSTART
	v_cvt_f32_f16 v51, v51;
	;;#ASMEND
	v_lshrrev_b32_e32 v100, 16, v133
	;;#ASMSTART
	v_cvt_f32_f16 v54, v54;
	;;#ASMEND
	;;#ASMSTART
	v_cvt_f32_f16 v56, v55;
	;;#ASMEND
	;; [unrolled: 3-line block ×5, first 2 shown]
	v_and_b32_e32 v49, 0xffff, v52
	v_and_b32_e32 v45, 0xffff, v45
	v_lshrrev_b32_e32 v110, 16, v134
	v_and_b32_e32 v95, 0xffff, v95
	;;#ASMSTART
	v_cvt_f32_f16 v111, v49;
	;;#ASMEND
	v_and_b32_e32 v97, 0xffff, v97
	v_and_b32_e32 v99, 0xffff, v99
	v_dual_fmac_f32 v33, v87, v111 :: v_dual_and_b32 v52, 0xffff, v134
	;;#ASMSTART
	v_cvt_f32_f16 v100, v45;
	;;#ASMEND
	;;#ASMSTART
	v_cvt_f32_f16 v109, v52;
	;;#ASMEND
	;; [unrolled: 3-line block ×4, first 2 shown]
	v_and_b32_e32 v45, 0xffff, v88
	v_and_b32_e32 v49, 0xffff, v135
	v_lshrrev_b32_e32 v52, 16, v135
	;;#ASMSTART
	v_cvt_f32_f16 v114, v45;
	;;#ASMEND
	;;#ASMSTART
	v_cvt_f32_f16 v88, v49;
	;;#ASMEND
	;; [unrolled: 3-line block ×5, first 2 shown]
	ds_load_b128 v[132:135], v2 offset:64
	v_fmac_f32_e32 v25, v113, v123
	v_fma_mixlo_f16 v113, v23, v50, 0 op_sel_hi:[0,1,0]
	v_or_b32_e32 v45, v60, v58
	v_or_b32_e32 v50, v57, v53
	;; [unrolled: 1-line block ×4, first 2 shown]
	v_fmac_f32_e32 v25, v43, v46
	v_fma_mixlo_f16 v57, v23, v57, 0 op_sel:[0,1,0] op_sel_hi:[0,1,0]
	v_fma_mixlo_f16 v45, v23, v45, 0 op_sel_hi:[0,1,0]
	v_fma_mixlo_f16 v50, v23, v50, 0 op_sel_hi:[0,1,0]
	;; [unrolled: 1-line block ×3, first 2 shown]
	v_mul_f32_e32 v32, v129, v131
	v_fma_mixlo_f16 v49, v23, v60, 0 op_sel:[0,1,0] op_sel_hi:[0,1,0]
	v_fma_mixlo_f16 v122, v23, v62, 0 op_sel:[0,1,0] op_sel_hi:[0,1,0]
	v_fma_mixlo_f16 v123, v23, v53, 0 op_sel_hi:[0,1,0]
	v_fma_mixlo_f16 v129, v23, v64, 0 op_sel:[0,1,0] op_sel_hi:[0,1,0]
	v_fmac_f32_e32 v25, v54, v86
	v_and_b32_e32 v59, 0xffff, v57
	v_and_b32_e32 v50, 0xffff, v50
	s_wait_dscnt 0x0
	v_and_b32_e32 v53, 0xffff, v132
	v_lshrrev_b32_e32 v58, 16, v132
	v_and_b32_e32 v60, 0xffff, v133
	v_lshrrev_b32_e32 v62, 16, v133
	;;#ASMSTART
	v_cvt_f32_f16 v53, v53;
	;;#ASMEND
	;;#ASMSTART
	v_cvt_f32_f16 v57, v58;
	;;#ASMEND
	;; [unrolled: 3-line block ×6, first 2 shown]
	v_and_b32_e32 v45, 0xffff, v45
	v_lshrrev_b32_e32 v85, 16, v134
	;;#ASMSTART
	v_cvt_f32_f16 v63, v45;
	;;#ASMEND
	v_dual_fmac_f32 v33, v60, v63 :: v_dual_and_b32 v52, 0xffff, v52
	v_and_b32_e32 v49, 0xffff, v49
	;;#ASMSTART
	v_cvt_f32_f16 v64, v49;
	;;#ASMEND
	v_and_b32_e32 v45, 0xffff, v122
	v_dual_fmac_f32 v25, v57, v59 :: v_dual_and_b32 v50, 0xffff, v134
	;;#ASMSTART
	v_cvt_f32_f16 v81, v50;
	;;#ASMEND
	;;#ASMSTART
	v_cvt_f32_f16 v85, v85;
	;;#ASMEND
	;; [unrolled: 3-line block ×3, first 2 shown]
	v_and_b32_e32 v52, 0xffff, v123
	v_dual_fmac_f32 v32, v118, v120 :: v_dual_and_b32 v123, 0xffff, v129
	v_and_b32_e32 v49, 0xffff, v135
	v_lshrrev_b32_e32 v50, 16, v135
	;;#ASMSTART
	v_cvt_f32_f16 v118, v45;
	;;#ASMEND
	;;#ASMSTART
	v_cvt_f32_f16 v119, v49;
	;;#ASMEND
	;;#ASMSTART
	v_cvt_f32_f16 v120, v50;
	;;#ASMEND
	;;#ASMSTART
	v_cvt_f32_f16 v122, v52;
	;;#ASMEND
	;;#ASMSTART
	v_cvt_f32_f16 v123, v123;
	;;#ASMEND
	ds_load_b128 v[129:132], v2 offset:80
	v_mul_f32_e32 v45, v126, v128
	v_mul_f32_e32 v50, v117, v124
	v_or_b32_e32 v117, v82, v84
	v_mul_f32_e32 v52, v116, v121
	v_or_b32_e32 v121, v68, v66
	v_fmac_f32_e32 v45, v106, v108
	v_fma_mixlo_f16 v61, v23, v61, 0 op_sel_hi:[0,1,0]
	v_fma_mixlo_f16 v66, v23, v117, 0 op_sel_hi:[0,1,0]
	v_fma_mixlo_f16 v117, v23, v68, 0 op_sel:[0,1,0] op_sel_hi:[0,1,0]
	v_or_b32_e32 v68, v72, v71
	v_fmac_f32_e32 v45, v39, v41
	v_fma_mixlo_f16 v71, v23, v65, 0 op_sel:[0,1,0] op_sel_hi:[0,1,0]
	v_fma_mixlo_f16 v121, v23, v121, 0 op_sel_hi:[0,1,0]
	v_fma_mixlo_f16 v67, v23, v67, 0 op_sel_hi:[0,1,0]
	;; [unrolled: 1-line block ×3, first 2 shown]
	v_fmac_f32_e32 v45, v95, v99
	v_fma_mixlo_f16 v133, v23, v72, 0 op_sel:[0,1,0] op_sel_hi:[0,1,0]
	v_mul_f32_e32 v49, v125, v127
	v_fma_mixlo_f16 v127, v23, v70, 0 op_sel:[0,1,0] op_sel_hi:[0,1,0]
	v_fma_mixlo_f16 v116, v23, v136, 0 op_sel_hi:[0,1,0]
	v_or_b32_e32 v136, v75, v76
	s_wait_dscnt 0x0
	v_and_b32_e32 v65, 0xffff, v129
	v_lshrrev_b32_e32 v68, 16, v129
	v_and_b32_e32 v61, 0xffff, v61
	v_and_b32_e32 v71, 0xffff, v71
	v_lshrrev_b32_e32 v76, 16, v130
	v_dual_fmac_f32 v45, v120, v123 :: v_dual_and_b32 v72, 0xffff, v130
	;;#ASMSTART
	v_cvt_f32_f16 v65, v65;
	;;#ASMEND
	;;#ASMSTART
	v_cvt_f32_f16 v68, v68;
	;;#ASMEND
	;;#ASMSTART
	v_cvt_f32_f16 v70, v61;
	;;#ASMEND
	;;#ASMSTART
	v_cvt_f32_f16 v71, v71;
	;;#ASMEND
	;;#ASMSTART
	v_cvt_f32_f16 v72, v72;
	;;#ASMEND
	;;#ASMSTART
	v_cvt_f32_f16 v76, v76;
	;;#ASMEND
	v_and_b32_e32 v61, 0xffff, v121
	v_and_b32_e32 v121, 0xffff, v117
	v_lshrrev_b32_e32 v125, 16, v131
	v_and_b32_e32 v67, 0xffff, v67
	;;#ASMSTART
	v_cvt_f32_f16 v117, v61;
	;;#ASMEND
	v_lshrrev_b32_e32 v129, 16, v132
	v_fmac_f32_e32 v25, v68, v71
	v_and_b32_e32 v124, 0xffff, v131
	v_and_b32_e32 v131, 0xffff, v133
	v_dual_fmac_f32 v33, v72, v117 :: v_dual_and_b32 v130, 0xffff, v128
	;;#ASMSTART
	v_cvt_f32_f16 v121, v121;
	;;#ASMEND
	;;#ASMSTART
	v_cvt_f32_f16 v124, v124;
	;;#ASMEND
	;; [unrolled: 3-line block ×4, first 2 shown]
	v_and_b32_e32 v61, 0xffff, v127
	v_and_b32_e32 v67, 0xffff, v132
	;;#ASMSTART
	v_cvt_f32_f16 v127, v61;
	;;#ASMEND
	;;#ASMSTART
	v_cvt_f32_f16 v128, v67;
	;;#ASMEND
	;;#ASMSTART
	v_cvt_f32_f16 v129, v129;
	;;#ASMEND
	;;#ASMSTART
	v_cvt_f32_f16 v130, v130;
	;;#ASMEND
	;;#ASMSTART
	v_cvt_f32_f16 v131, v131;
	;;#ASMEND
	ds_load_b128 v[132:135], v2 offset:96
	v_fmac_f32_e32 v49, v105, v107
	v_or_b32_e32 v61, v73, v69
	v_or_b32_e32 v67, v77, v74
	;; [unrolled: 1-line block ×3, first 2 shown]
	v_fma_mixlo_f16 v73, v23, v73, 0 op_sel:[0,1,0] op_sel_hi:[0,1,0]
	v_fmac_f32_e32 v49, v38, v40
	v_fma_mixlo_f16 v78, v23, v61, 0 op_sel_hi:[0,1,0]
	v_fmac_f32_e32 v52, v101, v103
	v_fma_mixlo_f16 v75, v23, v75, 0 op_sel:[0,1,0] op_sel_hi:[0,1,0]
	v_fma_mixlo_f16 v69, v23, v136, 0 op_sel_hi:[0,1,0]
	v_fmac_f32_e32 v49, v88, v97
	v_fma_mixlo_f16 v101, v23, v67, 0 op_sel_hi:[0,1,0]
	v_fma_mixlo_f16 v77, v23, v77, 0 op_sel:[0,1,0] op_sel_hi:[0,1,0]
	v_fma_mixlo_f16 v74, v23, v74, 0 op_sel_hi:[0,1,0]
	v_fma_mixlo_f16 v79, v23, v79, 0 op_sel:[0,1,0] op_sel_hi:[0,1,0]
	v_dual_fmac_f32 v49, v119, v122 :: v_dual_fmac_f32 v50, v102, v104
	v_fma_mixlo_f16 v61, v23, v93, 0 op_sel:[0,1,0] op_sel_hi:[0,1,0]
	v_fma_mixlo_f16 v67, v23, v90, 0 op_sel_hi:[0,1,0]
	s_wait_dscnt 0x0
	v_and_b32_e32 v93, 0xffff, v132
	v_or_b32_e32 v90, v94, v92
	v_or_b32_e32 v92, v7, v98
	v_lshrrev_b32_e32 v98, 16, v132
	v_and_b32_e32 v103, 0xffff, v133
	v_fmac_f32_e32 v49, v128, v130
	v_dual_fmac_f32 v45, v129, v131 :: v_dual_and_b32 v78, 0xffff, v78
	v_and_b32_e32 v102, 0xffff, v73
	;;#ASMSTART
	v_cvt_f32_f16 v93, v93;
	;;#ASMEND
	v_lshrrev_b32_e32 v104, 16, v133
	;;#ASMSTART
	v_cvt_f32_f16 v73, v98;
	;;#ASMEND
	;;#ASMSTART
	v_cvt_f32_f16 v78, v78;
	;;#ASMEND
	;; [unrolled: 3-line block ×4, first 2 shown]
	v_and_b32_e32 v69, 0xffff, v69
	v_and_b32_e32 v75, 0xffff, v75
	v_lshrrev_b32_e32 v103, 16, v134
	v_and_b32_e32 v101, 0xffff, v101
	v_fmac_f32_e32 v25, v73, v98
	v_and_b32_e32 v102, 0xffff, v134
	;;#ASMSTART
	v_cvt_f32_f16 v106, v104;
	;;#ASMEND
	;;#ASMSTART
	v_cvt_f32_f16 v69, v69;
	;;#ASMEND
	;; [unrolled: 3-line block ×6, first 2 shown]
	v_and_b32_e32 v77, 0xffff, v77
	v_and_b32_e32 v101, 0xffff, v135
	v_lshrrev_b32_e32 v102, 16, v135
	v_and_b32_e32 v103, 0xffff, v74
	v_dual_fmac_f32 v33, v105, v69 :: v_dual_and_b32 v104, 0xffff, v79
	;;#ASMSTART
	v_cvt_f32_f16 v74, v77;
	;;#ASMEND
	;;#ASMSTART
	v_cvt_f32_f16 v77, v101;
	;;#ASMEND
	;; [unrolled: 3-line block ×5, first 2 shown]
	ds_load_b128 v[101:104], v2 offset:112
	v_add_nc_u32_e32 v47, v21, v18
	v_fma_mixlo_f16 v84, v23, v137, 0 op_sel_hi:[0,1,0]
	v_fma_mixlo_f16 v82, v23, v82, 0 op_sel:[0,1,0] op_sel_hi:[0,1,0]
	v_fmac_f32_e32 v32, v48, v91
	v_fma_mixlo_f16 v8, v23, v8, 0 op_sel_hi:[0,1,0]
	v_fma_mixlo_f16 v44, v23, v10, 0 op_sel:[0,1,0] op_sel_hi:[0,1,0]
	v_fma_mixlo_f16 v46, v23, v9, 0 op_sel_hi:[0,1,0]
	v_fma_mixlo_f16 v42, v23, v94, 0 op_sel:[0,1,0] op_sel_hi:[0,1,0]
	v_fma_mixlo_f16 v43, v23, v90, 0 op_sel_hi:[0,1,0]
	v_fma_mixlo_f16 v10, v23, v92, 0 op_sel_hi:[0,1,0]
	v_fma_mixlo_f16 v9, v23, v7, 0 op_sel:[0,1,0] op_sel_hi:[0,1,0]
	v_cvt_f32_i32_e32 v7, v47
	v_fmac_f32_e32 v52, v35, v37
	v_fmac_f32_e32 v50, v36, v96
	v_and_b32_e32 v37, 0xffff, v80
	v_dual_fmac_f32 v49, v77, v133 :: v_dual_and_b32 v36, 0xffff, v116
	v_fmac_f32_e32 v45, v79, v134
	v_and_b32_e32 v34, 0xffff, v34
	s_wait_dscnt 0x0
	v_and_b32_e32 v23, 0xffff, v101
	v_lshrrev_b32_e32 v35, 16, v101
	v_and_b32_e32 v41, 0xffff, v102
	v_lshrrev_b32_e32 v47, 16, v102
	;;#ASMSTART
	v_cvt_f32_f16 v23, v23;
	;;#ASMEND
	;;#ASMSTART
	v_cvt_f32_f16 v38, v35;
	;;#ASMEND
	;; [unrolled: 3-line block ×6, first 2 shown]
	v_and_b32_e32 v35, 0xffff, v113
	v_lshrrev_b32_e32 v37, 16, v103
	;;#ASMSTART
	v_cvt_f32_f16 v48, v35;
	;;#ASMEND
	v_dual_fmac_f32 v33, v41, v48 :: v_dual_and_b32 v36, 0xffff, v103
	v_fmac_f32_e32 v24, v51, v56
	v_fmac_f32_e32 v32, v55, v100
	;;#ASMSTART
	v_cvt_f32_f16 v51, v34;
	;;#ASMEND
	;;#ASMSTART
	v_cvt_f32_f16 v54, v36;
	;;#ASMEND
	;; [unrolled: 3-line block ×3, first 2 shown]
	v_and_b32_e32 v34, 0xffff, v83
	v_and_b32_e32 v35, 0xffff, v104
	v_lshrrev_b32_e32 v36, 16, v104
	v_and_b32_e32 v37, 0xffff, v66
	v_fmac_f32_e32 v25, v38, v40
	v_and_b32_e32 v56, 0xffff, v84
	v_and_b32_e32 v84, 0xffff, v82
	;;#ASMSTART
	v_cvt_f32_f16 v56, v56;
	;;#ASMEND
	;;#ASMSTART
	v_cvt_f32_f16 v66, v34;
	;;#ASMEND
	;; [unrolled: 3-line block ×6, first 2 shown]
	ds_load_b128 v[34:37], v2 offset:128
	v_dual_fmac_f32 v24, v53, v58 :: v_dual_and_b32 v31, 0xffff, v31
	v_and_b32_e32 v8, 0xffff, v8
	v_dual_fmac_f32 v32, v62, v64 :: v_dual_and_b32 v29, 0xffff, v29
	v_and_b32_e32 v28, 0xffff, v28
	v_and_b32_e32 v27, 0xffff, v27
	;; [unrolled: 1-line block ×3, first 2 shown]
	v_fmac_f32_e32 v24, v65, v70
	v_fmac_f32_e32 v32, v76, v121
	;; [unrolled: 1-line block ×3, first 2 shown]
	v_dual_fmac_f32 v50, v110, v114 :: v_dual_fmac_f32 v49, v80, v83
	s_delay_alu instid0(VALU_DEP_4) | instskip(NEXT) | instid1(VALU_DEP_4)
	v_fmac_f32_e32 v24, v93, v78
	v_fmac_f32_e32 v32, v106, v75
	s_delay_alu instid0(VALU_DEP_4) | instskip(NEXT) | instid1(VALU_DEP_4)
	v_fmac_f32_e32 v52, v81, v115
	v_dual_fmac_f32 v50, v85, v118 :: v_dual_fmac_f32 v45, v82, v84
	s_wait_dscnt 0x0
	v_dual_fmac_f32 v24, v23, v39 :: v_dual_and_b32 v53, 0xffff, v34
	v_lshrrev_b32_e32 v57, 16, v34
	;;#ASMSTART
	v_cvt_f32_f16 v34, v53;
	;;#ASMEND
	v_and_b32_e32 v53, 0xffff, v30
	v_and_b32_e32 v58, 0xffff, v35
	v_lshrrev_b32_e32 v59, 16, v35
	;;#ASMSTART
	v_cvt_f32_f16 v30, v57;
	;;#ASMEND
	;;#ASMSTART
	v_cvt_f32_f16 v31, v31;
	;;#ASMEND
	;; [unrolled: 3-line block ×5, first 2 shown]
	v_and_b32_e32 v58, 0xffff, v1
	v_and_b32_e32 v59, 0xffff, v36
	v_lshrrev_b32_e32 v60, 16, v36
	;;#ASMSTART
	v_cvt_f32_f16 v1, v8;
	;;#ASMEND
	;;#ASMSTART
	v_cvt_f32_f16 v8, v58;
	;;#ASMEND
	;; [unrolled: 3-line block ×5, first 2 shown]
	v_and_b32_e32 v29, 0xffff, v37
	v_lshrrev_b32_e32 v62, 16, v37
	;;#ASMSTART
	v_cvt_f32_f16 v37, v28;
	;;#ASMEND
	;;#ASMSTART
	v_cvt_f32_f16 v60, v29;
	;;#ASMEND
	;; [unrolled: 3-line block ×5, first 2 shown]
	ds_load_b128 v[26:29], v2 offset:144
	v_fmac_f32_e32 v32, v47, v51
	v_fmac_f32_e32 v52, v124, v126
	;; [unrolled: 1-line block ×5, first 2 shown]
	v_dual_fmac_f32 v32, v57, v8 :: v_dual_and_b32 v23, 0xffff, v46
	v_fmac_f32_e32 v50, v125, v127
	v_dual_fmac_f32 v52, v107, v132 :: v_dual_fmac_f32 v49, v60, v63
	v_dual_fmac_f32 v45, v62, v64 :: v_dual_and_b32 v30, 0xffff, v61
	s_delay_alu instid0(VALU_DEP_3) | instskip(NEXT) | instid1(VALU_DEP_3)
	v_fmac_f32_e32 v50, v108, v74
	v_dual_fmac_f32 v52, v54, v56 :: v_dual_mul_f32 v7, s30, v7
	s_delay_alu instid0(VALU_DEP_2) | instskip(SKIP_1) | instid1(VALU_DEP_2)
	v_dual_fmac_f32 v50, v55, v66 :: v_dual_and_b32 v9, 0xffff, v9
	s_wait_dscnt 0x0
	v_dual_fmac_f32 v52, v36, v59 :: v_dual_and_b32 v1, 0xffff, v26
	v_lshrrev_b32_e32 v8, 16, v26
	v_and_b32_e32 v26, 0xffff, v44
	;;#ASMSTART
	v_cvt_f32_f16 v1, v1;
	;;#ASMEND
	;;#ASMSTART
	v_cvt_f32_f16 v8, v8;
	;;#ASMEND
	;; [unrolled: 3-line block ×4, first 2 shown]
	v_dual_fmac_f32 v24, v1, v23 :: v_dual_fmac_f32 v25, v8, v26
	v_and_b32_e32 v1, 0xffff, v27
	v_lshrrev_b32_e32 v23, 16, v27
	;;#ASMSTART
	v_cvt_f32_f16 v1, v1;
	;;#ASMEND
	v_and_b32_e32 v27, 0xffff, v67
	;;#ASMSTART
	v_cvt_f32_f16 v8, v23;
	;;#ASMEND
	;;#ASMSTART
	v_cvt_f32_f16 v23, v27;
	;;#ASMEND
	v_fmac_f32_e32 v33, v1, v23
	v_add_f32_e32 v1, v24, v25
	;;#ASMSTART
	v_cvt_f32_f16 v26, v30;
	;;#ASMEND
	v_fmac_f32_e32 v32, v8, v26
	v_and_b32_e32 v8, 0xffff, v28
	v_lshrrev_b32_e32 v23, 16, v28
	v_dual_add_f32 v1, v1, v33 :: v_dual_and_b32 v24, 0xffff, v43
	v_fmac_f32_e32 v50, v58, v37
	;;#ASMSTART
	v_cvt_f32_f16 v8, v8;
	;;#ASMEND
	;;#ASMSTART
	v_cvt_f32_f16 v23, v23;
	;;#ASMEND
	;; [unrolled: 3-line block ×3, first 2 shown]
	v_fmac_f32_e32 v52, v8, v24
	v_add_f32_e32 v1, v32, v1
	v_and_b32_e32 v25, 0xffff, v42
	;;#ASMSTART
	v_cvt_f32_f16 v25, v25;
	;;#ASMEND
	s_delay_alu instid0(VALU_DEP_1) | instskip(NEXT) | instid1(VALU_DEP_3)
	v_fmac_f32_e32 v50, v23, v25
	v_dual_add_f32 v1, v1, v52 :: v_dual_and_b32 v8, 0xffff, v29
	v_lshrrev_b32_e32 v24, 16, v29
	;;#ASMSTART
	v_cvt_f32_f16 v8, v8;
	;;#ASMEND
	v_cndmask_b32_e32 v7, 0, v7, vcc_lo
	s_delay_alu instid0(VALU_DEP_3)
	v_dual_add_f32 v1, v50, v1 :: v_dual_and_b32 v26, 0xffff, v10
	;;#ASMSTART
	v_cvt_f32_f16 v10, v24;
	;;#ASMEND
	;;#ASMSTART
	v_cvt_f32_f16 v23, v26;
	;;#ASMEND
	v_fmac_f32_e32 v49, v8, v23
	;;#ASMSTART
	v_cvt_f32_f16 v8, v9;
	;;#ASMEND
	v_dual_fmac_f32 v45, v10, v8 :: v_dual_add_nc_u32 v8, v12, v18
	s_delay_alu instid0(VALU_DEP_2) | instskip(NEXT) | instid1(VALU_DEP_2)
	v_add_f32_e32 v1, v1, v49
	v_cmp_gt_i32_e64 s3, s34, v8
	s_delay_alu instid0(VALU_DEP_2) | instskip(NEXT) | instid1(VALU_DEP_1)
	v_add_f32_e32 v1, v45, v1
	v_fmac_f32_e32 v7, s13, v1
	v_max_num_f32_e32 v1, v17, v17
	s_delay_alu instid0(VALU_DEP_1) | instskip(SKIP_2) | instid1(VALU_DEP_2)
	v_max_num_f32_e32 v1, v1, v7
	s_wait_alu 0xf1ff
	v_cndmask_b32_e64 v7, 0, v7, s3
	v_cndmask_b32_e64 v17, v17, v1, s3
	ds_store_b32 v22, v7
.LBB285_15:                             ;   in Loop: Header=BB285_16 Depth=1
	s_wait_alu 0xfffe
	s_or_b32 exec_lo, exec_lo, s4
	v_add_nc_u32_e32 v20, 4, v20
	v_add_co_u32 v3, s4, v3, 16
	s_wait_alu 0xf1ff
	v_add_co_ci_u32_e64 v4, null, 0, v4, s4
	s_delay_alu instid0(VALU_DEP_3)
	v_cmp_le_i32_e64 s3, s35, v20
	v_add_nc_u32_e32 v18, 0x80, v18
	v_add_nc_u32_e32 v22, 0x200, v22
	s_or_b32 s42, s3, s42
	s_wait_alu 0xfffe
	s_and_not1_b32 exec_lo, exec_lo, s42
	s_cbranch_execz .LBB285_656
.LBB285_16:                             ; =>This Inner Loop Header: Depth=1
	v_sub_nc_u32_e32 v1, 0, v18
	s_delay_alu instid0(VALU_DEP_1) | instskip(NEXT) | instid1(VALU_DEP_1)
	v_max_i32_e32 v1, v18, v1
	v_mul_hi_u32 v7, v1, s22
	s_delay_alu instid0(VALU_DEP_1) | instskip(NEXT) | instid1(VALU_DEP_1)
	v_mul_lo_u32 v8, v7, s16
	v_sub_nc_u32_e32 v1, v1, v8
	v_add_nc_u32_e32 v8, 1, v7
	s_delay_alu instid0(VALU_DEP_2) | instskip(SKIP_2) | instid1(VALU_DEP_1)
	v_subrev_nc_u32_e32 v9, s16, v1
	v_cmp_le_u32_e64 s3, s16, v1
	s_wait_alu 0xf1ff
	v_cndmask_b32_e64 v7, v7, v8, s3
	s_delay_alu instid0(VALU_DEP_3) | instskip(SKIP_1) | instid1(VALU_DEP_3)
	v_cndmask_b32_e64 v1, v1, v9, s3
	v_ashrrev_i32_e32 v8, 31, v18
	v_add_nc_u32_e32 v9, 1, v7
	s_delay_alu instid0(VALU_DEP_3) | instskip(NEXT) | instid1(VALU_DEP_3)
	v_cmp_le_u32_e64 s3, s16, v1
	v_xor_b32_e32 v8, s23, v8
	s_wait_alu 0xf1ff
	s_delay_alu instid0(VALU_DEP_2) | instskip(NEXT) | instid1(VALU_DEP_1)
	v_cndmask_b32_e64 v1, v7, v9, s3
	v_xor_b32_e32 v1, v1, v8
	s_delay_alu instid0(VALU_DEP_1) | instskip(NEXT) | instid1(VALU_DEP_1)
	v_sub_nc_u32_e32 v1, v1, v8
	v_add_nc_u32_e32 v7, s21, v1
	v_cmp_ge_i32_e64 s4, s31, v1
	s_delay_alu instid0(VALU_DEP_2) | instskip(NEXT) | instid1(VALU_DEP_1)
	v_sub_nc_u32_e32 v8, 0, v7
	v_max_i32_e32 v8, v7, v8
	v_ashrrev_i32_e32 v7, 31, v7
	s_delay_alu instid0(VALU_DEP_2) | instskip(NEXT) | instid1(VALU_DEP_1)
	v_mul_hi_u32 v9, v8, s19
	v_mul_lo_u32 v9, v9, s40
	s_delay_alu instid0(VALU_DEP_1) | instskip(NEXT) | instid1(VALU_DEP_1)
	v_sub_nc_u32_e32 v8, v8, v9
	v_subrev_nc_u32_e32 v9, s40, v8
	v_cmp_le_u32_e64 s3, s40, v8
	s_wait_alu 0xf1ff
	s_delay_alu instid0(VALU_DEP_1) | instskip(NEXT) | instid1(VALU_DEP_1)
	v_cndmask_b32_e64 v8, v8, v9, s3
	v_subrev_nc_u32_e32 v9, s40, v8
	v_cmp_le_u32_e64 s3, s40, v8
	s_wait_alu 0xf1ff
	s_delay_alu instid0(VALU_DEP_1) | instskip(NEXT) | instid1(VALU_DEP_1)
	v_cndmask_b32_e64 v8, v8, v9, s3
	v_xor_b32_e32 v8, v8, v7
	s_delay_alu instid0(VALU_DEP_1) | instskip(NEXT) | instid1(VALU_DEP_1)
	v_sub_nc_u32_e32 v7, v8, v7
	v_cmp_ne_u32_e64 s3, 0, v7
	s_and_b32 s3, s3, s4
	s_wait_alu 0xfffe
	s_and_saveexec_b32 s4, s3
	s_wait_alu 0xfffe
	s_xor_b32 s3, exec_lo, s4
; %bb.17:                               ;   in Loop: Header=BB285_16 Depth=1
	ds_store_b32 v22, v19
; %bb.18:                               ;   in Loop: Header=BB285_16 Depth=1
	s_wait_alu 0xfffe
	s_and_not1_saveexec_b32 s4, s3
	s_cbranch_execz .LBB285_15
; %bb.19:                               ;   in Loop: Header=BB285_16 Depth=1
	global_load_b32 v1, v[3:4], off
	v_mov_b32_e32 v25, 0
	s_mov_b32 s43, exec_lo
	s_wait_loadcnt 0x0
	v_mad_co_i64_i32 v[7:8], null, v1, s41, v[5:6]
	global_load_b64 v[9:10], v[7:8], off
	s_wait_loadcnt 0x0
	v_dual_mov_b32 v24, 0 :: v_dual_and_b32 v1, 0xff, v9
	global_load_b32 v23, v24, s[8:9]
	v_cmpx_ne_u16_e32 0, v1
	s_cbranch_execz .LBB285_27
; %bb.20:                               ;   in Loop: Header=BB285_16 Depth=1
	v_mov_b32_e32 v25, 0x8000
	s_mov_b32 s44, exec_lo
	v_cmpx_ne_u16_e32 0x80, v1
	s_cbranch_execz .LBB285_26
; %bb.21:                               ;   in Loop: Header=BB285_16 Depth=1
	v_and_b32_e32 v26, 0x7f, v9
	v_mov_b32_e32 v25, 0x7c01
	s_mov_b32 s45, exec_lo
	s_delay_alu instid0(VALU_DEP_2)
	v_cmpx_ne_u32_e32 0x7f, v26
	s_cbranch_execz .LBB285_25
; %bb.22:                               ;   in Loop: Header=BB285_16 Depth=1
	v_and_b32_e32 v1, 7, v9
	v_lshrrev_b32_e32 v25, 3, v26
	s_mov_b32 s46, exec_lo
	v_cmpx_gt_u32_e32 8, v26
; %bb.23:                               ;   in Loop: Header=BB285_16 Depth=1
	s_delay_alu instid0(VALU_DEP_3) | instskip(NEXT) | instid1(VALU_DEP_1)
	v_clz_i32_u32_e32 v1, v1
	v_min_u32_e32 v1, 32, v1
	s_delay_alu instid0(VALU_DEP_1) | instskip(NEXT) | instid1(VALU_DEP_1)
	v_subrev_nc_u32_e32 v25, 28, v1
	v_lshlrev_b64_e32 v[26:27], v25, v[9:10]
	v_sub_nc_u32_e32 v25, 29, v1
	s_delay_alu instid0(VALU_DEP_2)
	v_and_b32_e32 v1, 7, v26
; %bb.24:                               ;   in Loop: Header=BB285_16 Depth=1
	s_or_b32 exec_lo, exec_lo, s46
	v_lshlrev_b32_e32 v26, 8, v9
	s_delay_alu instid0(VALU_DEP_3) | instskip(NEXT) | instid1(VALU_DEP_3)
	v_lshl_add_u32 v25, v25, 10, 0x2000
	v_lshlrev_b32_e32 v1, 7, v1
	s_delay_alu instid0(VALU_DEP_3) | instskip(NEXT) | instid1(VALU_DEP_3)
	v_and_b32_e32 v26, 0x8000, v26
	v_and_b32_e32 v25, 0xfc00, v25
	s_delay_alu instid0(VALU_DEP_1)
	v_or3_b32 v25, v26, v25, v1
.LBB285_25:                             ;   in Loop: Header=BB285_16 Depth=1
	s_wait_alu 0xfffe
	s_or_b32 exec_lo, exec_lo, s45
.LBB285_26:                             ;   in Loop: Header=BB285_16 Depth=1
	s_wait_alu 0xfffe
	s_or_b32 exec_lo, exec_lo, s44
.LBB285_27:                             ;   in Loop: Header=BB285_16 Depth=1
	s_wait_alu 0xfffe
	s_or_b32 exec_lo, exec_lo, s43
	v_lshrrev_b16 v1, 8, v9
	s_mov_b32 s43, exec_lo
	s_delay_alu instid0(VALU_DEP_1)
	v_cmpx_ne_u16_e32 0, v1
	s_cbranch_execz .LBB285_35
; %bb.28:                               ;   in Loop: Header=BB285_16 Depth=1
	v_bfrev_b32_e32 v24, 1
	s_mov_b32 s44, exec_lo
	v_cmpx_ne_u16_e32 0x80, v1
	s_cbranch_execz .LBB285_34
; %bb.29:                               ;   in Loop: Header=BB285_16 Depth=1
	v_and_b32_e32 v26, 0xffff, v1
	v_mov_b32_e32 v24, 0x7c010000
	s_mov_b32 s45, exec_lo
	s_delay_alu instid0(VALU_DEP_2) | instskip(NEXT) | instid1(VALU_DEP_1)
	v_and_b32_e32 v28, 0x7f, v26
	v_cmpx_ne_u32_e32 0x7f, v28
	s_cbranch_execz .LBB285_33
; %bb.30:                               ;   in Loop: Header=BB285_16 Depth=1
	v_and_b32_e32 v24, 7, v26
	v_lshrrev_b32_e32 v27, 3, v28
	s_mov_b32 s46, exec_lo
	v_cmpx_gt_u32_e32 8, v28
; %bb.31:                               ;   in Loop: Header=BB285_16 Depth=1
	s_delay_alu instid0(VALU_DEP_3) | instskip(NEXT) | instid1(VALU_DEP_1)
	v_clz_i32_u32_e32 v24, v24
	v_min_u32_e32 v24, 32, v24
	s_delay_alu instid0(VALU_DEP_1) | instskip(NEXT) | instid1(VALU_DEP_1)
	v_subrev_nc_u32_e32 v27, 28, v24
	v_lshlrev_b64_e32 v[28:29], v27, v[1:2]
	v_sub_nc_u32_e32 v27, 29, v24
	s_delay_alu instid0(VALU_DEP_2)
	v_and_b32_e32 v24, 7, v28
; %bb.32:                               ;   in Loop: Header=BB285_16 Depth=1
	s_or_b32 exec_lo, exec_lo, s46
	v_lshlrev_b32_e32 v1, 8, v26
	s_delay_alu instid0(VALU_DEP_3) | instskip(NEXT) | instid1(VALU_DEP_3)
	v_lshl_add_u32 v26, v27, 10, 0x2000
	v_lshlrev_b32_e32 v24, 23, v24
	s_delay_alu instid0(VALU_DEP_2) | instskip(NEXT) | instid1(VALU_DEP_1)
	v_and_or_b32 v1, 0x8000, v1, v26
	v_lshl_or_b32 v24, v1, 16, v24
.LBB285_33:                             ;   in Loop: Header=BB285_16 Depth=1
	s_wait_alu 0xfffe
	s_or_b32 exec_lo, exec_lo, s45
.LBB285_34:                             ;   in Loop: Header=BB285_16 Depth=1
	s_wait_alu 0xfffe
	s_or_b32 exec_lo, exec_lo, s44
.LBB285_35:                             ;   in Loop: Header=BB285_16 Depth=1
	s_wait_alu 0xfffe
	s_or_b32 exec_lo, exec_lo, s43
	v_lshrrev_b32_e32 v1, 16, v9
	v_mov_b32_e32 v26, 0
	s_mov_b32 s43, exec_lo
	s_delay_alu instid0(VALU_DEP_2) | instskip(NEXT) | instid1(VALU_DEP_1)
	v_dual_mov_b32 v27, 0 :: v_dual_and_b32 v28, 0xff, v1
	v_cmpx_ne_u16_e32 0, v28
	s_cbranch_execz .LBB285_43
; %bb.36:                               ;   in Loop: Header=BB285_16 Depth=1
	v_mov_b32_e32 v27, 0x8000
	s_mov_b32 s44, exec_lo
	v_cmpx_ne_u16_e32 0x80, v28
	s_cbranch_execz .LBB285_42
; %bb.37:                               ;   in Loop: Header=BB285_16 Depth=1
	v_bfe_u32 v29, v9, 16, 7
	v_mov_b32_e32 v27, 0x7c01
	s_mov_b32 s45, exec_lo
	s_delay_alu instid0(VALU_DEP_2)
	v_cmpx_ne_u32_e32 0x7f, v29
	s_cbranch_execz .LBB285_41
; %bb.38:                               ;   in Loop: Header=BB285_16 Depth=1
	v_and_b32_e32 v27, 7, v1
	v_lshrrev_b32_e32 v28, 3, v29
	s_mov_b32 s46, exec_lo
	v_cmpx_gt_u32_e32 8, v29
; %bb.39:                               ;   in Loop: Header=BB285_16 Depth=1
	s_delay_alu instid0(VALU_DEP_3) | instskip(NEXT) | instid1(VALU_DEP_1)
	v_clz_i32_u32_e32 v27, v27
	v_min_u32_e32 v29, 32, v27
	s_delay_alu instid0(VALU_DEP_1) | instskip(NEXT) | instid1(VALU_DEP_1)
	v_subrev_nc_u32_e32 v27, 28, v29
	v_lshlrev_b64_e32 v[27:28], v27, v[1:2]
	v_sub_nc_u32_e32 v28, 29, v29
	s_delay_alu instid0(VALU_DEP_2)
	v_and_b32_e32 v27, 7, v27
; %bb.40:                               ;   in Loop: Header=BB285_16 Depth=1
	s_or_b32 exec_lo, exec_lo, s46
	v_lshlrev_b32_e32 v1, 8, v1
	s_delay_alu instid0(VALU_DEP_3) | instskip(NEXT) | instid1(VALU_DEP_3)
	v_lshl_add_u32 v28, v28, 10, 0x2000
	v_lshlrev_b32_e32 v27, 7, v27
	s_delay_alu instid0(VALU_DEP_3) | instskip(NEXT) | instid1(VALU_DEP_3)
	v_and_b32_e32 v1, 0x8000, v1
	v_and_b32_e32 v28, 0xfc00, v28
	s_delay_alu instid0(VALU_DEP_1)
	v_or3_b32 v27, v1, v28, v27
.LBB285_41:                             ;   in Loop: Header=BB285_16 Depth=1
	s_wait_alu 0xfffe
	s_or_b32 exec_lo, exec_lo, s45
.LBB285_42:                             ;   in Loop: Header=BB285_16 Depth=1
	s_wait_alu 0xfffe
	s_or_b32 exec_lo, exec_lo, s44
.LBB285_43:                             ;   in Loop: Header=BB285_16 Depth=1
	s_wait_alu 0xfffe
	s_or_b32 exec_lo, exec_lo, s43
	s_delay_alu instid0(SALU_CYCLE_1)
	s_mov_b32 s43, exec_lo
	v_cmpx_lt_u32_e32 0xffffff, v9
	s_cbranch_execz .LBB285_51
; %bb.44:                               ;   in Loop: Header=BB285_16 Depth=1
	v_lshrrev_b32_e32 v1, 24, v9
	v_bfrev_b32_e32 v26, 1
	s_mov_b32 s44, exec_lo
	s_delay_alu instid0(VALU_DEP_2)
	v_cmpx_ne_u32_e32 0x80, v1
	s_cbranch_execz .LBB285_50
; %bb.45:                               ;   in Loop: Header=BB285_16 Depth=1
	v_and_b32_e32 v29, 0x7f, v1
	v_mov_b32_e32 v26, 0x7c010000
	s_mov_b32 s45, exec_lo
	s_delay_alu instid0(VALU_DEP_2)
	v_cmpx_ne_u32_e32 0x7f, v29
	s_cbranch_execz .LBB285_49
; %bb.46:                               ;   in Loop: Header=BB285_16 Depth=1
	v_and_b32_e32 v26, 7, v1
	v_lshrrev_b32_e32 v28, 3, v29
	s_mov_b32 s46, exec_lo
	v_cmpx_gt_u32_e32 8, v29
; %bb.47:                               ;   in Loop: Header=BB285_16 Depth=1
	s_delay_alu instid0(VALU_DEP_3) | instskip(NEXT) | instid1(VALU_DEP_1)
	v_clz_i32_u32_e32 v26, v26
	v_min_u32_e32 v26, 32, v26
	s_delay_alu instid0(VALU_DEP_1) | instskip(NEXT) | instid1(VALU_DEP_1)
	v_subrev_nc_u32_e32 v28, 28, v26
	v_lshlrev_b64_e32 v[29:30], v28, v[1:2]
	v_sub_nc_u32_e32 v28, 29, v26
	s_delay_alu instid0(VALU_DEP_2)
	v_and_b32_e32 v26, 7, v29
; %bb.48:                               ;   in Loop: Header=BB285_16 Depth=1
	s_or_b32 exec_lo, exec_lo, s46
	v_lshlrev_b32_e32 v1, 8, v1
	s_delay_alu instid0(VALU_DEP_3) | instskip(NEXT) | instid1(VALU_DEP_3)
	v_lshl_add_u32 v28, v28, 10, 0x2000
	v_lshlrev_b32_e32 v26, 23, v26
	s_delay_alu instid0(VALU_DEP_2) | instskip(NEXT) | instid1(VALU_DEP_1)
	v_and_or_b32 v1, 0x8000, v1, v28
	v_lshl_or_b32 v26, v1, 16, v26
.LBB285_49:                             ;   in Loop: Header=BB285_16 Depth=1
	s_wait_alu 0xfffe
	s_or_b32 exec_lo, exec_lo, s45
.LBB285_50:                             ;   in Loop: Header=BB285_16 Depth=1
	s_wait_alu 0xfffe
	s_or_b32 exec_lo, exec_lo, s44
.LBB285_51:                             ;   in Loop: Header=BB285_16 Depth=1
	s_wait_alu 0xfffe
	s_or_b32 exec_lo, exec_lo, s43
	v_dual_mov_b32 v1, v10 :: v_dual_and_b32 v30, 0xff, v10
	v_dual_mov_b32 v28, 0 :: v_dual_mov_b32 v29, 0
	s_mov_b32 s43, exec_lo
	s_delay_alu instid0(VALU_DEP_2)
	v_cmpx_ne_u16_e32 0, v30
	s_cbranch_execz .LBB285_59
; %bb.52:                               ;   in Loop: Header=BB285_16 Depth=1
	v_mov_b32_e32 v29, 0x8000
	s_mov_b32 s44, exec_lo
	v_cmpx_ne_u16_e32 0x80, v30
	s_cbranch_execz .LBB285_58
; %bb.53:                               ;   in Loop: Header=BB285_16 Depth=1
	v_and_b32_e32 v31, 0x7f, v10
	v_mov_b32_e32 v29, 0x7c01
	s_mov_b32 s45, exec_lo
	s_delay_alu instid0(VALU_DEP_2)
	v_cmpx_ne_u32_e32 0x7f, v31
	s_cbranch_execz .LBB285_57
; %bb.54:                               ;   in Loop: Header=BB285_16 Depth=1
	v_and_b32_e32 v29, 7, v10
	v_lshrrev_b32_e32 v30, 3, v31
	s_mov_b32 s46, exec_lo
	v_cmpx_gt_u32_e32 8, v31
; %bb.55:                               ;   in Loop: Header=BB285_16 Depth=1
	s_delay_alu instid0(VALU_DEP_3) | instskip(NEXT) | instid1(VALU_DEP_1)
	v_clz_i32_u32_e32 v29, v29
	v_min_u32_e32 v31, 32, v29
	s_delay_alu instid0(VALU_DEP_1) | instskip(NEXT) | instid1(VALU_DEP_1)
	v_subrev_nc_u32_e32 v29, 28, v31
	v_lshlrev_b64_e32 v[29:30], v29, v[1:2]
	v_sub_nc_u32_e32 v30, 29, v31
	s_delay_alu instid0(VALU_DEP_2)
	v_and_b32_e32 v29, 7, v29
; %bb.56:                               ;   in Loop: Header=BB285_16 Depth=1
	s_or_b32 exec_lo, exec_lo, s46
	v_lshlrev_b32_e32 v31, 8, v10
	s_delay_alu instid0(VALU_DEP_3) | instskip(NEXT) | instid1(VALU_DEP_3)
	v_lshl_add_u32 v30, v30, 10, 0x2000
	v_lshlrev_b32_e32 v29, 7, v29
	s_delay_alu instid0(VALU_DEP_3) | instskip(NEXT) | instid1(VALU_DEP_3)
	v_and_b32_e32 v31, 0x8000, v31
	v_and_b32_e32 v30, 0xfc00, v30
	s_delay_alu instid0(VALU_DEP_1)
	v_or3_b32 v29, v31, v30, v29
.LBB285_57:                             ;   in Loop: Header=BB285_16 Depth=1
	s_wait_alu 0xfffe
	s_or_b32 exec_lo, exec_lo, s45
.LBB285_58:                             ;   in Loop: Header=BB285_16 Depth=1
	s_wait_alu 0xfffe
	s_or_b32 exec_lo, exec_lo, s44
.LBB285_59:                             ;   in Loop: Header=BB285_16 Depth=1
	s_wait_alu 0xfffe
	s_or_b32 exec_lo, exec_lo, s43
	v_lshrrev_b16 v1, 8, v1
	v_mov_b32_e32 v30, 0
	s_mov_b32 s43, exec_lo
	s_delay_alu instid0(VALU_DEP_2)
	v_cmpx_ne_u16_e32 0, v1
	s_cbranch_execz .LBB285_67
; %bb.60:                               ;   in Loop: Header=BB285_16 Depth=1
	v_bfrev_b32_e32 v30, 1
	s_mov_b32 s44, exec_lo
	v_cmpx_ne_u16_e32 0x80, v1
	s_cbranch_execz .LBB285_66
; %bb.61:                               ;   in Loop: Header=BB285_16 Depth=1
	v_and_b32_e32 v31, 0xffff, v1
	v_mov_b32_e32 v30, 0x7c010000
	s_mov_b32 s45, exec_lo
	s_delay_alu instid0(VALU_DEP_2) | instskip(NEXT) | instid1(VALU_DEP_1)
	v_and_b32_e32 v33, 0x7f, v31
	v_cmpx_ne_u32_e32 0x7f, v33
	s_cbranch_execz .LBB285_65
; %bb.62:                               ;   in Loop: Header=BB285_16 Depth=1
	v_and_b32_e32 v30, 7, v31
	v_lshrrev_b32_e32 v32, 3, v33
	s_mov_b32 s46, exec_lo
	v_cmpx_gt_u32_e32 8, v33
; %bb.63:                               ;   in Loop: Header=BB285_16 Depth=1
	s_delay_alu instid0(VALU_DEP_3) | instskip(NEXT) | instid1(VALU_DEP_1)
	v_clz_i32_u32_e32 v30, v30
	v_min_u32_e32 v30, 32, v30
	s_delay_alu instid0(VALU_DEP_1) | instskip(NEXT) | instid1(VALU_DEP_1)
	v_subrev_nc_u32_e32 v32, 28, v30
	v_lshlrev_b64_e32 v[33:34], v32, v[1:2]
	v_sub_nc_u32_e32 v32, 29, v30
	s_delay_alu instid0(VALU_DEP_2)
	v_and_b32_e32 v30, 7, v33
; %bb.64:                               ;   in Loop: Header=BB285_16 Depth=1
	s_or_b32 exec_lo, exec_lo, s46
	v_lshlrev_b32_e32 v1, 8, v31
	s_delay_alu instid0(VALU_DEP_3) | instskip(NEXT) | instid1(VALU_DEP_3)
	v_lshl_add_u32 v31, v32, 10, 0x2000
	v_lshlrev_b32_e32 v30, 23, v30
	s_delay_alu instid0(VALU_DEP_2) | instskip(NEXT) | instid1(VALU_DEP_1)
	v_and_or_b32 v1, 0x8000, v1, v31
	v_lshl_or_b32 v30, v1, 16, v30
.LBB285_65:                             ;   in Loop: Header=BB285_16 Depth=1
	s_wait_alu 0xfffe
	s_or_b32 exec_lo, exec_lo, s45
.LBB285_66:                             ;   in Loop: Header=BB285_16 Depth=1
	s_wait_alu 0xfffe
	s_or_b32 exec_lo, exec_lo, s44
.LBB285_67:                             ;   in Loop: Header=BB285_16 Depth=1
	s_wait_alu 0xfffe
	s_or_b32 exec_lo, exec_lo, s43
	v_lshrrev_b32_e32 v1, 16, v10
	s_mov_b32 s43, exec_lo
	s_delay_alu instid0(VALU_DEP_1) | instskip(NEXT) | instid1(VALU_DEP_1)
	v_and_b32_e32 v31, 0xff, v1
	v_cmpx_ne_u16_e32 0, v31
	s_cbranch_execz .LBB285_75
; %bb.68:                               ;   in Loop: Header=BB285_16 Depth=1
	v_mov_b32_e32 v28, 0x8000
	s_mov_b32 s44, exec_lo
	v_cmpx_ne_u16_e32 0x80, v31
	s_cbranch_execz .LBB285_74
; %bb.69:                               ;   in Loop: Header=BB285_16 Depth=1
	v_bfe_u32 v32, v10, 16, 7
	v_mov_b32_e32 v28, 0x7c01
	s_mov_b32 s45, exec_lo
	s_delay_alu instid0(VALU_DEP_2)
	v_cmpx_ne_u32_e32 0x7f, v32
	s_cbranch_execz .LBB285_73
; %bb.70:                               ;   in Loop: Header=BB285_16 Depth=1
	v_and_b32_e32 v28, 7, v1
	v_lshrrev_b32_e32 v31, 3, v32
	s_mov_b32 s46, exec_lo
	v_cmpx_gt_u32_e32 8, v32
; %bb.71:                               ;   in Loop: Header=BB285_16 Depth=1
	s_delay_alu instid0(VALU_DEP_3) | instskip(NEXT) | instid1(VALU_DEP_1)
	v_clz_i32_u32_e32 v28, v28
	v_min_u32_e32 v28, 32, v28
	s_delay_alu instid0(VALU_DEP_1) | instskip(NEXT) | instid1(VALU_DEP_1)
	v_subrev_nc_u32_e32 v31, 28, v28
	v_lshlrev_b64_e32 v[32:33], v31, v[1:2]
	v_sub_nc_u32_e32 v31, 29, v28
	s_delay_alu instid0(VALU_DEP_2)
	v_and_b32_e32 v28, 7, v32
; %bb.72:                               ;   in Loop: Header=BB285_16 Depth=1
	s_or_b32 exec_lo, exec_lo, s46
	v_lshlrev_b32_e32 v1, 8, v1
	s_delay_alu instid0(VALU_DEP_3) | instskip(NEXT) | instid1(VALU_DEP_3)
	v_lshl_add_u32 v31, v31, 10, 0x2000
	v_lshlrev_b32_e32 v28, 7, v28
	s_delay_alu instid0(VALU_DEP_3) | instskip(NEXT) | instid1(VALU_DEP_3)
	v_and_b32_e32 v1, 0x8000, v1
	v_and_b32_e32 v31, 0xfc00, v31
	s_delay_alu instid0(VALU_DEP_1)
	v_or3_b32 v28, v1, v31, v28
.LBB285_73:                             ;   in Loop: Header=BB285_16 Depth=1
	s_wait_alu 0xfffe
	s_or_b32 exec_lo, exec_lo, s45
.LBB285_74:                             ;   in Loop: Header=BB285_16 Depth=1
	s_wait_alu 0xfffe
	s_or_b32 exec_lo, exec_lo, s44
.LBB285_75:                             ;   in Loop: Header=BB285_16 Depth=1
	s_wait_alu 0xfffe
	s_or_b32 exec_lo, exec_lo, s43
	v_dual_mov_b32 v31, 0 :: v_dual_mov_b32 v32, 0
	s_mov_b32 s43, exec_lo
	v_cmpx_lt_u64_e64 s[14:15], v[9:10]
	s_cbranch_execz .LBB285_83
; %bb.76:                               ;   in Loop: Header=BB285_16 Depth=1
	v_lshrrev_b32_e32 v1, 24, v10
	v_bfrev_b32_e32 v32, 1
	s_mov_b32 s44, exec_lo
	s_delay_alu instid0(VALU_DEP_2)
	v_cmpx_ne_u32_e32 0x80, v1
	s_cbranch_execz .LBB285_82
; %bb.77:                               ;   in Loop: Header=BB285_16 Depth=1
	v_and_b32_e32 v33, 0x7f, v1
	v_mov_b32_e32 v32, 0x7c010000
	s_mov_b32 s45, exec_lo
	s_delay_alu instid0(VALU_DEP_2)
	v_cmpx_ne_u32_e32 0x7f, v33
	s_cbranch_execz .LBB285_81
; %bb.78:                               ;   in Loop: Header=BB285_16 Depth=1
	v_and_b32_e32 v9, 7, v1
	v_lshrrev_b32_e32 v10, 3, v33
	s_mov_b32 s46, exec_lo
	v_cmpx_gt_u32_e32 8, v33
; %bb.79:                               ;   in Loop: Header=BB285_16 Depth=1
	s_delay_alu instid0(VALU_DEP_3) | instskip(NEXT) | instid1(VALU_DEP_1)
	v_clz_i32_u32_e32 v9, v9
	v_min_u32_e32 v32, 32, v9
	s_delay_alu instid0(VALU_DEP_1) | instskip(NEXT) | instid1(VALU_DEP_1)
	v_subrev_nc_u32_e32 v9, 28, v32
	v_lshlrev_b64_e32 v[9:10], v9, v[1:2]
	v_sub_nc_u32_e32 v10, 29, v32
	s_delay_alu instid0(VALU_DEP_2)
	v_and_b32_e32 v9, 7, v9
; %bb.80:                               ;   in Loop: Header=BB285_16 Depth=1
	s_or_b32 exec_lo, exec_lo, s46
	v_lshlrev_b32_e32 v1, 8, v1
	s_delay_alu instid0(VALU_DEP_3) | instskip(NEXT) | instid1(VALU_DEP_3)
	v_lshl_add_u32 v10, v10, 10, 0x2000
	v_lshlrev_b32_e32 v9, 23, v9
	s_delay_alu instid0(VALU_DEP_2) | instskip(NEXT) | instid1(VALU_DEP_1)
	v_and_or_b32 v1, 0x8000, v1, v10
	v_lshl_or_b32 v32, v1, 16, v9
.LBB285_81:                             ;   in Loop: Header=BB285_16 Depth=1
	s_wait_alu 0xfffe
	s_or_b32 exec_lo, exec_lo, s45
.LBB285_82:                             ;   in Loop: Header=BB285_16 Depth=1
	s_wait_alu 0xfffe
	s_or_b32 exec_lo, exec_lo, s44
.LBB285_83:                             ;   in Loop: Header=BB285_16 Depth=1
	s_wait_alu 0xfffe
	s_or_b32 exec_lo, exec_lo, s43
	global_load_b64 v[9:10], v[7:8], off offset:8
	s_mov_b32 s43, exec_lo
	s_wait_loadcnt 0x0
	v_and_b32_e32 v1, 0xff, v9
	s_delay_alu instid0(VALU_DEP_1)
	v_cmpx_ne_u16_e32 0, v1
	s_cbranch_execz .LBB285_91
; %bb.84:                               ;   in Loop: Header=BB285_16 Depth=1
	v_mov_b32_e32 v31, 0x8000
	s_mov_b32 s44, exec_lo
	v_cmpx_ne_u16_e32 0x80, v1
	s_cbranch_execz .LBB285_90
; %bb.85:                               ;   in Loop: Header=BB285_16 Depth=1
	v_and_b32_e32 v33, 0x7f, v9
	v_mov_b32_e32 v31, 0x7c01
	s_mov_b32 s45, exec_lo
	s_delay_alu instid0(VALU_DEP_2)
	v_cmpx_ne_u32_e32 0x7f, v33
	s_cbranch_execz .LBB285_89
; %bb.86:                               ;   in Loop: Header=BB285_16 Depth=1
	v_and_b32_e32 v1, 7, v9
	v_lshrrev_b32_e32 v31, 3, v33
	s_mov_b32 s46, exec_lo
	v_cmpx_gt_u32_e32 8, v33
; %bb.87:                               ;   in Loop: Header=BB285_16 Depth=1
	s_delay_alu instid0(VALU_DEP_3) | instskip(NEXT) | instid1(VALU_DEP_1)
	v_clz_i32_u32_e32 v1, v1
	v_min_u32_e32 v1, 32, v1
	s_delay_alu instid0(VALU_DEP_1) | instskip(NEXT) | instid1(VALU_DEP_1)
	v_subrev_nc_u32_e32 v31, 28, v1
	v_lshlrev_b64_e32 v[33:34], v31, v[9:10]
	v_sub_nc_u32_e32 v31, 29, v1
	s_delay_alu instid0(VALU_DEP_2)
	v_and_b32_e32 v1, 7, v33
; %bb.88:                               ;   in Loop: Header=BB285_16 Depth=1
	s_or_b32 exec_lo, exec_lo, s46
	v_lshlrev_b32_e32 v33, 8, v9
	s_delay_alu instid0(VALU_DEP_3) | instskip(NEXT) | instid1(VALU_DEP_3)
	v_lshl_add_u32 v31, v31, 10, 0x2000
	v_lshlrev_b32_e32 v1, 7, v1
	s_delay_alu instid0(VALU_DEP_3) | instskip(NEXT) | instid1(VALU_DEP_3)
	v_and_b32_e32 v33, 0x8000, v33
	v_and_b32_e32 v31, 0xfc00, v31
	s_delay_alu instid0(VALU_DEP_1)
	v_or3_b32 v31, v33, v31, v1
.LBB285_89:                             ;   in Loop: Header=BB285_16 Depth=1
	s_wait_alu 0xfffe
	s_or_b32 exec_lo, exec_lo, s45
.LBB285_90:                             ;   in Loop: Header=BB285_16 Depth=1
	s_wait_alu 0xfffe
	s_or_b32 exec_lo, exec_lo, s44
.LBB285_91:                             ;   in Loop: Header=BB285_16 Depth=1
	s_wait_alu 0xfffe
	s_or_b32 exec_lo, exec_lo, s43
	v_lshrrev_b16 v1, 8, v9
	v_dual_mov_b32 v34, 0 :: v_dual_mov_b32 v33, 0
	s_mov_b32 s43, exec_lo
	s_delay_alu instid0(VALU_DEP_2)
	v_cmpx_ne_u16_e32 0, v1
	s_cbranch_execz .LBB285_99
; %bb.92:                               ;   in Loop: Header=BB285_16 Depth=1
	v_bfrev_b32_e32 v33, 1
	s_mov_b32 s44, exec_lo
	v_cmpx_ne_u16_e32 0x80, v1
	s_cbranch_execz .LBB285_98
; %bb.93:                               ;   in Loop: Header=BB285_16 Depth=1
	v_and_b32_e32 v35, 0xffff, v1
	v_mov_b32_e32 v33, 0x7c010000
	s_mov_b32 s45, exec_lo
	s_delay_alu instid0(VALU_DEP_2) | instskip(NEXT) | instid1(VALU_DEP_1)
	v_and_b32_e32 v37, 0x7f, v35
	v_cmpx_ne_u32_e32 0x7f, v37
	s_cbranch_execz .LBB285_97
; %bb.94:                               ;   in Loop: Header=BB285_16 Depth=1
	v_and_b32_e32 v33, 7, v35
	v_lshrrev_b32_e32 v36, 3, v37
	s_mov_b32 s46, exec_lo
	v_cmpx_gt_u32_e32 8, v37
; %bb.95:                               ;   in Loop: Header=BB285_16 Depth=1
	s_delay_alu instid0(VALU_DEP_3) | instskip(NEXT) | instid1(VALU_DEP_1)
	v_clz_i32_u32_e32 v33, v33
	v_min_u32_e32 v33, 32, v33
	s_delay_alu instid0(VALU_DEP_1) | instskip(NEXT) | instid1(VALU_DEP_1)
	v_subrev_nc_u32_e32 v36, 28, v33
	v_lshlrev_b64_e32 v[37:38], v36, v[1:2]
	v_sub_nc_u32_e32 v36, 29, v33
	s_delay_alu instid0(VALU_DEP_2)
	v_and_b32_e32 v33, 7, v37
; %bb.96:                               ;   in Loop: Header=BB285_16 Depth=1
	s_or_b32 exec_lo, exec_lo, s46
	v_lshlrev_b32_e32 v1, 8, v35
	s_delay_alu instid0(VALU_DEP_3) | instskip(NEXT) | instid1(VALU_DEP_3)
	v_lshl_add_u32 v35, v36, 10, 0x2000
	v_lshlrev_b32_e32 v33, 23, v33
	s_delay_alu instid0(VALU_DEP_2) | instskip(NEXT) | instid1(VALU_DEP_1)
	v_and_or_b32 v1, 0x8000, v1, v35
	v_lshl_or_b32 v33, v1, 16, v33
.LBB285_97:                             ;   in Loop: Header=BB285_16 Depth=1
	s_wait_alu 0xfffe
	s_or_b32 exec_lo, exec_lo, s45
.LBB285_98:                             ;   in Loop: Header=BB285_16 Depth=1
	s_wait_alu 0xfffe
	s_or_b32 exec_lo, exec_lo, s44
.LBB285_99:                             ;   in Loop: Header=BB285_16 Depth=1
	s_wait_alu 0xfffe
	s_or_b32 exec_lo, exec_lo, s43
	v_lshrrev_b32_e32 v1, 16, v9
	s_mov_b32 s43, exec_lo
	s_delay_alu instid0(VALU_DEP_1) | instskip(NEXT) | instid1(VALU_DEP_1)
	v_and_b32_e32 v35, 0xff, v1
	v_cmpx_ne_u16_e32 0, v35
	s_cbranch_execz .LBB285_107
; %bb.100:                              ;   in Loop: Header=BB285_16 Depth=1
	v_mov_b32_e32 v34, 0x8000
	s_mov_b32 s44, exec_lo
	v_cmpx_ne_u16_e32 0x80, v35
	s_cbranch_execz .LBB285_106
; %bb.101:                              ;   in Loop: Header=BB285_16 Depth=1
	v_bfe_u32 v36, v9, 16, 7
	v_mov_b32_e32 v34, 0x7c01
	s_mov_b32 s45, exec_lo
	s_delay_alu instid0(VALU_DEP_2)
	v_cmpx_ne_u32_e32 0x7f, v36
	s_cbranch_execz .LBB285_105
; %bb.102:                              ;   in Loop: Header=BB285_16 Depth=1
	v_and_b32_e32 v34, 7, v1
	v_lshrrev_b32_e32 v35, 3, v36
	s_mov_b32 s46, exec_lo
	v_cmpx_gt_u32_e32 8, v36
; %bb.103:                              ;   in Loop: Header=BB285_16 Depth=1
	s_delay_alu instid0(VALU_DEP_3) | instskip(NEXT) | instid1(VALU_DEP_1)
	v_clz_i32_u32_e32 v34, v34
	v_min_u32_e32 v36, 32, v34
	s_delay_alu instid0(VALU_DEP_1) | instskip(NEXT) | instid1(VALU_DEP_1)
	v_subrev_nc_u32_e32 v34, 28, v36
	v_lshlrev_b64_e32 v[34:35], v34, v[1:2]
	v_sub_nc_u32_e32 v35, 29, v36
	s_delay_alu instid0(VALU_DEP_2)
	v_and_b32_e32 v34, 7, v34
; %bb.104:                              ;   in Loop: Header=BB285_16 Depth=1
	s_or_b32 exec_lo, exec_lo, s46
	v_lshlrev_b32_e32 v1, 8, v1
	s_delay_alu instid0(VALU_DEP_3) | instskip(NEXT) | instid1(VALU_DEP_3)
	v_lshl_add_u32 v35, v35, 10, 0x2000
	v_lshlrev_b32_e32 v34, 7, v34
	s_delay_alu instid0(VALU_DEP_3) | instskip(NEXT) | instid1(VALU_DEP_3)
	v_and_b32_e32 v1, 0x8000, v1
	v_and_b32_e32 v35, 0xfc00, v35
	s_delay_alu instid0(VALU_DEP_1)
	v_or3_b32 v34, v1, v35, v34
.LBB285_105:                            ;   in Loop: Header=BB285_16 Depth=1
	s_wait_alu 0xfffe
	s_or_b32 exec_lo, exec_lo, s45
.LBB285_106:                            ;   in Loop: Header=BB285_16 Depth=1
	s_wait_alu 0xfffe
	s_or_b32 exec_lo, exec_lo, s44
.LBB285_107:                            ;   in Loop: Header=BB285_16 Depth=1
	s_wait_alu 0xfffe
	s_or_b32 exec_lo, exec_lo, s43
	v_dual_mov_b32 v35, 0 :: v_dual_mov_b32 v36, 0
	s_mov_b32 s43, exec_lo
	v_cmpx_lt_u32_e32 0xffffff, v9
	s_cbranch_execz .LBB285_115
; %bb.108:                              ;   in Loop: Header=BB285_16 Depth=1
	v_lshrrev_b32_e32 v1, 24, v9
	v_bfrev_b32_e32 v36, 1
	s_mov_b32 s44, exec_lo
	s_delay_alu instid0(VALU_DEP_2)
	v_cmpx_ne_u32_e32 0x80, v1
	s_cbranch_execz .LBB285_114
; %bb.109:                              ;   in Loop: Header=BB285_16 Depth=1
	v_and_b32_e32 v38, 0x7f, v1
	v_mov_b32_e32 v36, 0x7c010000
	s_mov_b32 s45, exec_lo
	s_delay_alu instid0(VALU_DEP_2)
	v_cmpx_ne_u32_e32 0x7f, v38
	s_cbranch_execz .LBB285_113
; %bb.110:                              ;   in Loop: Header=BB285_16 Depth=1
	v_and_b32_e32 v36, 7, v1
	v_lshrrev_b32_e32 v37, 3, v38
	s_mov_b32 s46, exec_lo
	v_cmpx_gt_u32_e32 8, v38
; %bb.111:                              ;   in Loop: Header=BB285_16 Depth=1
	s_delay_alu instid0(VALU_DEP_3) | instskip(NEXT) | instid1(VALU_DEP_1)
	v_clz_i32_u32_e32 v36, v36
	v_min_u32_e32 v38, 32, v36
	s_delay_alu instid0(VALU_DEP_1) | instskip(NEXT) | instid1(VALU_DEP_1)
	v_subrev_nc_u32_e32 v36, 28, v38
	v_lshlrev_b64_e32 v[36:37], v36, v[1:2]
	v_sub_nc_u32_e32 v37, 29, v38
	s_delay_alu instid0(VALU_DEP_2)
	v_and_b32_e32 v36, 7, v36
; %bb.112:                              ;   in Loop: Header=BB285_16 Depth=1
	s_or_b32 exec_lo, exec_lo, s46
	v_lshlrev_b32_e32 v1, 8, v1
	s_delay_alu instid0(VALU_DEP_3) | instskip(NEXT) | instid1(VALU_DEP_3)
	v_lshl_add_u32 v37, v37, 10, 0x2000
	v_lshlrev_b32_e32 v36, 23, v36
	s_delay_alu instid0(VALU_DEP_2) | instskip(NEXT) | instid1(VALU_DEP_1)
	v_and_or_b32 v1, 0x8000, v1, v37
	v_lshl_or_b32 v36, v1, 16, v36
.LBB285_113:                            ;   in Loop: Header=BB285_16 Depth=1
	s_wait_alu 0xfffe
	s_or_b32 exec_lo, exec_lo, s45
.LBB285_114:                            ;   in Loop: Header=BB285_16 Depth=1
	s_wait_alu 0xfffe
	s_or_b32 exec_lo, exec_lo, s44
.LBB285_115:                            ;   in Loop: Header=BB285_16 Depth=1
	s_wait_alu 0xfffe
	s_or_b32 exec_lo, exec_lo, s43
	v_and_b32_e32 v37, 0xff, v10
	v_mov_b32_e32 v1, v10
	s_mov_b32 s43, exec_lo
	s_delay_alu instid0(VALU_DEP_2)
	v_cmpx_ne_u16_e32 0, v37
	s_cbranch_execz .LBB285_123
; %bb.116:                              ;   in Loop: Header=BB285_16 Depth=1
	v_mov_b32_e32 v35, 0x8000
	s_mov_b32 s44, exec_lo
	v_cmpx_ne_u16_e32 0x80, v37
	s_cbranch_execz .LBB285_122
; %bb.117:                              ;   in Loop: Header=BB285_16 Depth=1
	v_and_b32_e32 v38, 0x7f, v10
	v_mov_b32_e32 v35, 0x7c01
	s_mov_b32 s45, exec_lo
	s_delay_alu instid0(VALU_DEP_2)
	v_cmpx_ne_u32_e32 0x7f, v38
	s_cbranch_execz .LBB285_121
; %bb.118:                              ;   in Loop: Header=BB285_16 Depth=1
	v_and_b32_e32 v35, 7, v10
	v_lshrrev_b32_e32 v37, 3, v38
	s_mov_b32 s46, exec_lo
	v_cmpx_gt_u32_e32 8, v38
; %bb.119:                              ;   in Loop: Header=BB285_16 Depth=1
	s_delay_alu instid0(VALU_DEP_3) | instskip(NEXT) | instid1(VALU_DEP_1)
	v_clz_i32_u32_e32 v35, v35
	v_min_u32_e32 v35, 32, v35
	s_delay_alu instid0(VALU_DEP_1) | instskip(NEXT) | instid1(VALU_DEP_1)
	v_subrev_nc_u32_e32 v37, 28, v35
	v_lshlrev_b64_e32 v[38:39], v37, v[1:2]
	v_sub_nc_u32_e32 v37, 29, v35
	s_delay_alu instid0(VALU_DEP_2)
	v_and_b32_e32 v35, 7, v38
; %bb.120:                              ;   in Loop: Header=BB285_16 Depth=1
	s_or_b32 exec_lo, exec_lo, s46
	v_lshlrev_b32_e32 v38, 8, v10
	s_delay_alu instid0(VALU_DEP_3) | instskip(NEXT) | instid1(VALU_DEP_3)
	v_lshl_add_u32 v37, v37, 10, 0x2000
	v_lshlrev_b32_e32 v35, 7, v35
	s_delay_alu instid0(VALU_DEP_3) | instskip(NEXT) | instid1(VALU_DEP_3)
	v_and_b32_e32 v38, 0x8000, v38
	v_and_b32_e32 v37, 0xfc00, v37
	s_delay_alu instid0(VALU_DEP_1)
	v_or3_b32 v35, v38, v37, v35
.LBB285_121:                            ;   in Loop: Header=BB285_16 Depth=1
	s_wait_alu 0xfffe
	s_or_b32 exec_lo, exec_lo, s45
.LBB285_122:                            ;   in Loop: Header=BB285_16 Depth=1
	s_wait_alu 0xfffe
	s_or_b32 exec_lo, exec_lo, s44
.LBB285_123:                            ;   in Loop: Header=BB285_16 Depth=1
	s_wait_alu 0xfffe
	s_or_b32 exec_lo, exec_lo, s43
	v_lshrrev_b16 v1, 8, v1
	v_dual_mov_b32 v38, 0 :: v_dual_mov_b32 v37, 0
	s_mov_b32 s43, exec_lo
	s_delay_alu instid0(VALU_DEP_2)
	v_cmpx_ne_u16_e32 0, v1
	s_cbranch_execz .LBB285_131
; %bb.124:                              ;   in Loop: Header=BB285_16 Depth=1
	v_bfrev_b32_e32 v37, 1
	s_mov_b32 s44, exec_lo
	v_cmpx_ne_u16_e32 0x80, v1
	s_cbranch_execz .LBB285_130
; %bb.125:                              ;   in Loop: Header=BB285_16 Depth=1
	v_and_b32_e32 v39, 0xffff, v1
	v_mov_b32_e32 v37, 0x7c010000
	s_mov_b32 s45, exec_lo
	s_delay_alu instid0(VALU_DEP_2) | instskip(NEXT) | instid1(VALU_DEP_1)
	v_and_b32_e32 v41, 0x7f, v39
	v_cmpx_ne_u32_e32 0x7f, v41
	s_cbranch_execz .LBB285_129
; %bb.126:                              ;   in Loop: Header=BB285_16 Depth=1
	v_and_b32_e32 v37, 7, v39
	v_lshrrev_b32_e32 v40, 3, v41
	s_mov_b32 s46, exec_lo
	v_cmpx_gt_u32_e32 8, v41
; %bb.127:                              ;   in Loop: Header=BB285_16 Depth=1
	s_delay_alu instid0(VALU_DEP_3) | instskip(NEXT) | instid1(VALU_DEP_1)
	v_clz_i32_u32_e32 v37, v37
	v_min_u32_e32 v37, 32, v37
	s_delay_alu instid0(VALU_DEP_1) | instskip(NEXT) | instid1(VALU_DEP_1)
	v_subrev_nc_u32_e32 v40, 28, v37
	v_lshlrev_b64_e32 v[41:42], v40, v[1:2]
	v_sub_nc_u32_e32 v40, 29, v37
	s_delay_alu instid0(VALU_DEP_2)
	v_and_b32_e32 v37, 7, v41
; %bb.128:                              ;   in Loop: Header=BB285_16 Depth=1
	s_or_b32 exec_lo, exec_lo, s46
	v_lshlrev_b32_e32 v1, 8, v39
	s_delay_alu instid0(VALU_DEP_3) | instskip(NEXT) | instid1(VALU_DEP_3)
	v_lshl_add_u32 v39, v40, 10, 0x2000
	v_lshlrev_b32_e32 v37, 23, v37
	s_delay_alu instid0(VALU_DEP_2) | instskip(NEXT) | instid1(VALU_DEP_1)
	v_and_or_b32 v1, 0x8000, v1, v39
	v_lshl_or_b32 v37, v1, 16, v37
.LBB285_129:                            ;   in Loop: Header=BB285_16 Depth=1
	s_wait_alu 0xfffe
	s_or_b32 exec_lo, exec_lo, s45
.LBB285_130:                            ;   in Loop: Header=BB285_16 Depth=1
	s_wait_alu 0xfffe
	s_or_b32 exec_lo, exec_lo, s44
.LBB285_131:                            ;   in Loop: Header=BB285_16 Depth=1
	s_wait_alu 0xfffe
	s_or_b32 exec_lo, exec_lo, s43
	v_lshrrev_b32_e32 v1, 16, v10
	s_mov_b32 s43, exec_lo
	s_delay_alu instid0(VALU_DEP_1) | instskip(NEXT) | instid1(VALU_DEP_1)
	v_and_b32_e32 v39, 0xff, v1
	v_cmpx_ne_u16_e32 0, v39
	s_cbranch_execz .LBB285_139
; %bb.132:                              ;   in Loop: Header=BB285_16 Depth=1
	v_mov_b32_e32 v38, 0x8000
	s_mov_b32 s44, exec_lo
	v_cmpx_ne_u16_e32 0x80, v39
	s_cbranch_execz .LBB285_138
; %bb.133:                              ;   in Loop: Header=BB285_16 Depth=1
	v_bfe_u32 v40, v10, 16, 7
	v_mov_b32_e32 v38, 0x7c01
	s_mov_b32 s45, exec_lo
	s_delay_alu instid0(VALU_DEP_2)
	v_cmpx_ne_u32_e32 0x7f, v40
	s_cbranch_execz .LBB285_137
; %bb.134:                              ;   in Loop: Header=BB285_16 Depth=1
	v_and_b32_e32 v38, 7, v1
	v_lshrrev_b32_e32 v39, 3, v40
	s_mov_b32 s46, exec_lo
	v_cmpx_gt_u32_e32 8, v40
; %bb.135:                              ;   in Loop: Header=BB285_16 Depth=1
	s_delay_alu instid0(VALU_DEP_3) | instskip(NEXT) | instid1(VALU_DEP_1)
	v_clz_i32_u32_e32 v38, v38
	v_min_u32_e32 v40, 32, v38
	s_delay_alu instid0(VALU_DEP_1) | instskip(NEXT) | instid1(VALU_DEP_1)
	v_subrev_nc_u32_e32 v38, 28, v40
	v_lshlrev_b64_e32 v[38:39], v38, v[1:2]
	v_sub_nc_u32_e32 v39, 29, v40
	s_delay_alu instid0(VALU_DEP_2)
	v_and_b32_e32 v38, 7, v38
; %bb.136:                              ;   in Loop: Header=BB285_16 Depth=1
	s_or_b32 exec_lo, exec_lo, s46
	v_lshlrev_b32_e32 v1, 8, v1
	s_delay_alu instid0(VALU_DEP_3) | instskip(NEXT) | instid1(VALU_DEP_3)
	v_lshl_add_u32 v39, v39, 10, 0x2000
	v_lshlrev_b32_e32 v38, 7, v38
	s_delay_alu instid0(VALU_DEP_3) | instskip(NEXT) | instid1(VALU_DEP_3)
	v_and_b32_e32 v1, 0x8000, v1
	v_and_b32_e32 v39, 0xfc00, v39
	s_delay_alu instid0(VALU_DEP_1)
	v_or3_b32 v38, v1, v39, v38
.LBB285_137:                            ;   in Loop: Header=BB285_16 Depth=1
	s_wait_alu 0xfffe
	s_or_b32 exec_lo, exec_lo, s45
.LBB285_138:                            ;   in Loop: Header=BB285_16 Depth=1
	s_wait_alu 0xfffe
	s_or_b32 exec_lo, exec_lo, s44
.LBB285_139:                            ;   in Loop: Header=BB285_16 Depth=1
	s_wait_alu 0xfffe
	s_or_b32 exec_lo, exec_lo, s43
	v_dual_mov_b32 v39, 0 :: v_dual_mov_b32 v40, 0
	s_mov_b32 s43, exec_lo
	v_cmpx_lt_u64_e64 s[14:15], v[9:10]
	s_cbranch_execz .LBB285_147
; %bb.140:                              ;   in Loop: Header=BB285_16 Depth=1
	v_lshrrev_b32_e32 v1, 24, v10
	v_bfrev_b32_e32 v40, 1
	s_mov_b32 s44, exec_lo
	s_delay_alu instid0(VALU_DEP_2)
	v_cmpx_ne_u32_e32 0x80, v1
	s_cbranch_execz .LBB285_146
; %bb.141:                              ;   in Loop: Header=BB285_16 Depth=1
	v_and_b32_e32 v41, 0x7f, v1
	v_mov_b32_e32 v40, 0x7c010000
	s_mov_b32 s45, exec_lo
	s_delay_alu instid0(VALU_DEP_2)
	v_cmpx_ne_u32_e32 0x7f, v41
	s_cbranch_execz .LBB285_145
; %bb.142:                              ;   in Loop: Header=BB285_16 Depth=1
	v_and_b32_e32 v9, 7, v1
	v_lshrrev_b32_e32 v10, 3, v41
	s_mov_b32 s46, exec_lo
	v_cmpx_gt_u32_e32 8, v41
; %bb.143:                              ;   in Loop: Header=BB285_16 Depth=1
	s_delay_alu instid0(VALU_DEP_3) | instskip(NEXT) | instid1(VALU_DEP_1)
	v_clz_i32_u32_e32 v9, v9
	v_min_u32_e32 v40, 32, v9
	s_delay_alu instid0(VALU_DEP_1) | instskip(NEXT) | instid1(VALU_DEP_1)
	v_subrev_nc_u32_e32 v9, 28, v40
	v_lshlrev_b64_e32 v[9:10], v9, v[1:2]
	v_sub_nc_u32_e32 v10, 29, v40
	s_delay_alu instid0(VALU_DEP_2)
	v_and_b32_e32 v9, 7, v9
; %bb.144:                              ;   in Loop: Header=BB285_16 Depth=1
	s_or_b32 exec_lo, exec_lo, s46
	v_lshlrev_b32_e32 v1, 8, v1
	s_delay_alu instid0(VALU_DEP_3) | instskip(NEXT) | instid1(VALU_DEP_3)
	v_lshl_add_u32 v10, v10, 10, 0x2000
	v_lshlrev_b32_e32 v9, 23, v9
	s_delay_alu instid0(VALU_DEP_2) | instskip(NEXT) | instid1(VALU_DEP_1)
	v_and_or_b32 v1, 0x8000, v1, v10
	v_lshl_or_b32 v40, v1, 16, v9
.LBB285_145:                            ;   in Loop: Header=BB285_16 Depth=1
	s_wait_alu 0xfffe
	s_or_b32 exec_lo, exec_lo, s45
.LBB285_146:                            ;   in Loop: Header=BB285_16 Depth=1
	s_wait_alu 0xfffe
	s_or_b32 exec_lo, exec_lo, s44
.LBB285_147:                            ;   in Loop: Header=BB285_16 Depth=1
	s_wait_alu 0xfffe
	s_or_b32 exec_lo, exec_lo, s43
	global_load_b64 v[9:10], v[7:8], off offset:512
	s_mov_b32 s43, exec_lo
	s_wait_loadcnt 0x0
	v_and_b32_e32 v1, 0xff, v9
	s_delay_alu instid0(VALU_DEP_1)
	v_cmpx_ne_u16_e32 0, v1
	s_cbranch_execz .LBB285_155
; %bb.148:                              ;   in Loop: Header=BB285_16 Depth=1
	v_mov_b32_e32 v39, 0x8000
	s_mov_b32 s44, exec_lo
	v_cmpx_ne_u16_e32 0x80, v1
	s_cbranch_execz .LBB285_154
; %bb.149:                              ;   in Loop: Header=BB285_16 Depth=1
	v_and_b32_e32 v41, 0x7f, v9
	v_mov_b32_e32 v39, 0x7c01
	s_mov_b32 s45, exec_lo
	s_delay_alu instid0(VALU_DEP_2)
	v_cmpx_ne_u32_e32 0x7f, v41
	s_cbranch_execz .LBB285_153
; %bb.150:                              ;   in Loop: Header=BB285_16 Depth=1
	v_and_b32_e32 v1, 7, v9
	v_lshrrev_b32_e32 v39, 3, v41
	s_mov_b32 s46, exec_lo
	v_cmpx_gt_u32_e32 8, v41
; %bb.151:                              ;   in Loop: Header=BB285_16 Depth=1
	s_delay_alu instid0(VALU_DEP_3) | instskip(NEXT) | instid1(VALU_DEP_1)
	v_clz_i32_u32_e32 v1, v1
	v_min_u32_e32 v1, 32, v1
	s_delay_alu instid0(VALU_DEP_1) | instskip(NEXT) | instid1(VALU_DEP_1)
	v_subrev_nc_u32_e32 v39, 28, v1
	v_lshlrev_b64_e32 v[41:42], v39, v[9:10]
	v_sub_nc_u32_e32 v39, 29, v1
	s_delay_alu instid0(VALU_DEP_2)
	v_and_b32_e32 v1, 7, v41
; %bb.152:                              ;   in Loop: Header=BB285_16 Depth=1
	s_or_b32 exec_lo, exec_lo, s46
	v_lshlrev_b32_e32 v41, 8, v9
	s_delay_alu instid0(VALU_DEP_3) | instskip(NEXT) | instid1(VALU_DEP_3)
	v_lshl_add_u32 v39, v39, 10, 0x2000
	v_lshlrev_b32_e32 v1, 7, v1
	s_delay_alu instid0(VALU_DEP_3) | instskip(NEXT) | instid1(VALU_DEP_3)
	v_and_b32_e32 v41, 0x8000, v41
	v_and_b32_e32 v39, 0xfc00, v39
	s_delay_alu instid0(VALU_DEP_1)
	v_or3_b32 v39, v41, v39, v1
.LBB285_153:                            ;   in Loop: Header=BB285_16 Depth=1
	s_wait_alu 0xfffe
	s_or_b32 exec_lo, exec_lo, s45
.LBB285_154:                            ;   in Loop: Header=BB285_16 Depth=1
	s_wait_alu 0xfffe
	s_or_b32 exec_lo, exec_lo, s44
.LBB285_155:                            ;   in Loop: Header=BB285_16 Depth=1
	s_wait_alu 0xfffe
	s_or_b32 exec_lo, exec_lo, s43
	v_lshrrev_b16 v1, 8, v9
	v_dual_mov_b32 v42, 0 :: v_dual_mov_b32 v41, 0
	s_mov_b32 s43, exec_lo
	s_delay_alu instid0(VALU_DEP_2)
	v_cmpx_ne_u16_e32 0, v1
	s_cbranch_execz .LBB285_163
; %bb.156:                              ;   in Loop: Header=BB285_16 Depth=1
	v_bfrev_b32_e32 v41, 1
	s_mov_b32 s44, exec_lo
	v_cmpx_ne_u16_e32 0x80, v1
	s_cbranch_execz .LBB285_162
; %bb.157:                              ;   in Loop: Header=BB285_16 Depth=1
	v_and_b32_e32 v43, 0xffff, v1
	v_mov_b32_e32 v41, 0x7c010000
	s_mov_b32 s45, exec_lo
	s_delay_alu instid0(VALU_DEP_2) | instskip(NEXT) | instid1(VALU_DEP_1)
	v_and_b32_e32 v45, 0x7f, v43
	v_cmpx_ne_u32_e32 0x7f, v45
	s_cbranch_execz .LBB285_161
; %bb.158:                              ;   in Loop: Header=BB285_16 Depth=1
	v_and_b32_e32 v41, 7, v43
	v_lshrrev_b32_e32 v44, 3, v45
	s_mov_b32 s46, exec_lo
	v_cmpx_gt_u32_e32 8, v45
; %bb.159:                              ;   in Loop: Header=BB285_16 Depth=1
	s_delay_alu instid0(VALU_DEP_3) | instskip(NEXT) | instid1(VALU_DEP_1)
	v_clz_i32_u32_e32 v41, v41
	v_min_u32_e32 v41, 32, v41
	s_delay_alu instid0(VALU_DEP_1) | instskip(NEXT) | instid1(VALU_DEP_1)
	v_subrev_nc_u32_e32 v44, 28, v41
	v_lshlrev_b64_e32 v[45:46], v44, v[1:2]
	v_sub_nc_u32_e32 v44, 29, v41
	s_delay_alu instid0(VALU_DEP_2)
	v_and_b32_e32 v41, 7, v45
; %bb.160:                              ;   in Loop: Header=BB285_16 Depth=1
	s_or_b32 exec_lo, exec_lo, s46
	v_lshlrev_b32_e32 v1, 8, v43
	s_delay_alu instid0(VALU_DEP_3) | instskip(NEXT) | instid1(VALU_DEP_3)
	v_lshl_add_u32 v43, v44, 10, 0x2000
	v_lshlrev_b32_e32 v41, 23, v41
	s_delay_alu instid0(VALU_DEP_2) | instskip(NEXT) | instid1(VALU_DEP_1)
	v_and_or_b32 v1, 0x8000, v1, v43
	v_lshl_or_b32 v41, v1, 16, v41
.LBB285_161:                            ;   in Loop: Header=BB285_16 Depth=1
	s_wait_alu 0xfffe
	s_or_b32 exec_lo, exec_lo, s45
.LBB285_162:                            ;   in Loop: Header=BB285_16 Depth=1
	s_wait_alu 0xfffe
	s_or_b32 exec_lo, exec_lo, s44
.LBB285_163:                            ;   in Loop: Header=BB285_16 Depth=1
	s_wait_alu 0xfffe
	s_or_b32 exec_lo, exec_lo, s43
	v_lshrrev_b32_e32 v1, 16, v9
	s_mov_b32 s43, exec_lo
	s_delay_alu instid0(VALU_DEP_1) | instskip(NEXT) | instid1(VALU_DEP_1)
	v_and_b32_e32 v43, 0xff, v1
	v_cmpx_ne_u16_e32 0, v43
	s_cbranch_execz .LBB285_171
; %bb.164:                              ;   in Loop: Header=BB285_16 Depth=1
	v_mov_b32_e32 v42, 0x8000
	s_mov_b32 s44, exec_lo
	v_cmpx_ne_u16_e32 0x80, v43
	s_cbranch_execz .LBB285_170
; %bb.165:                              ;   in Loop: Header=BB285_16 Depth=1
	v_bfe_u32 v44, v9, 16, 7
	v_mov_b32_e32 v42, 0x7c01
	s_mov_b32 s45, exec_lo
	s_delay_alu instid0(VALU_DEP_2)
	v_cmpx_ne_u32_e32 0x7f, v44
	s_cbranch_execz .LBB285_169
; %bb.166:                              ;   in Loop: Header=BB285_16 Depth=1
	v_and_b32_e32 v42, 7, v1
	v_lshrrev_b32_e32 v43, 3, v44
	s_mov_b32 s46, exec_lo
	v_cmpx_gt_u32_e32 8, v44
; %bb.167:                              ;   in Loop: Header=BB285_16 Depth=1
	s_delay_alu instid0(VALU_DEP_3) | instskip(NEXT) | instid1(VALU_DEP_1)
	v_clz_i32_u32_e32 v42, v42
	v_min_u32_e32 v44, 32, v42
	s_delay_alu instid0(VALU_DEP_1) | instskip(NEXT) | instid1(VALU_DEP_1)
	v_subrev_nc_u32_e32 v42, 28, v44
	v_lshlrev_b64_e32 v[42:43], v42, v[1:2]
	v_sub_nc_u32_e32 v43, 29, v44
	s_delay_alu instid0(VALU_DEP_2)
	v_and_b32_e32 v42, 7, v42
; %bb.168:                              ;   in Loop: Header=BB285_16 Depth=1
	s_or_b32 exec_lo, exec_lo, s46
	v_lshlrev_b32_e32 v1, 8, v1
	s_delay_alu instid0(VALU_DEP_3) | instskip(NEXT) | instid1(VALU_DEP_3)
	v_lshl_add_u32 v43, v43, 10, 0x2000
	v_lshlrev_b32_e32 v42, 7, v42
	s_delay_alu instid0(VALU_DEP_3) | instskip(NEXT) | instid1(VALU_DEP_3)
	v_and_b32_e32 v1, 0x8000, v1
	v_and_b32_e32 v43, 0xfc00, v43
	s_delay_alu instid0(VALU_DEP_1)
	v_or3_b32 v42, v1, v43, v42
.LBB285_169:                            ;   in Loop: Header=BB285_16 Depth=1
	s_wait_alu 0xfffe
	s_or_b32 exec_lo, exec_lo, s45
.LBB285_170:                            ;   in Loop: Header=BB285_16 Depth=1
	s_wait_alu 0xfffe
	s_or_b32 exec_lo, exec_lo, s44
.LBB285_171:                            ;   in Loop: Header=BB285_16 Depth=1
	s_wait_alu 0xfffe
	s_or_b32 exec_lo, exec_lo, s43
	v_dual_mov_b32 v43, 0 :: v_dual_mov_b32 v44, 0
	s_mov_b32 s43, exec_lo
	v_cmpx_lt_u32_e32 0xffffff, v9
	s_cbranch_execz .LBB285_179
; %bb.172:                              ;   in Loop: Header=BB285_16 Depth=1
	v_lshrrev_b32_e32 v1, 24, v9
	v_bfrev_b32_e32 v44, 1
	s_mov_b32 s44, exec_lo
	s_delay_alu instid0(VALU_DEP_2)
	v_cmpx_ne_u32_e32 0x80, v1
	s_cbranch_execz .LBB285_178
; %bb.173:                              ;   in Loop: Header=BB285_16 Depth=1
	v_and_b32_e32 v46, 0x7f, v1
	v_mov_b32_e32 v44, 0x7c010000
	s_mov_b32 s45, exec_lo
	s_delay_alu instid0(VALU_DEP_2)
	v_cmpx_ne_u32_e32 0x7f, v46
	s_cbranch_execz .LBB285_177
; %bb.174:                              ;   in Loop: Header=BB285_16 Depth=1
	v_and_b32_e32 v44, 7, v1
	v_lshrrev_b32_e32 v45, 3, v46
	s_mov_b32 s46, exec_lo
	v_cmpx_gt_u32_e32 8, v46
; %bb.175:                              ;   in Loop: Header=BB285_16 Depth=1
	s_delay_alu instid0(VALU_DEP_3) | instskip(NEXT) | instid1(VALU_DEP_1)
	v_clz_i32_u32_e32 v44, v44
	v_min_u32_e32 v46, 32, v44
	s_delay_alu instid0(VALU_DEP_1) | instskip(NEXT) | instid1(VALU_DEP_1)
	v_subrev_nc_u32_e32 v44, 28, v46
	v_lshlrev_b64_e32 v[44:45], v44, v[1:2]
	v_sub_nc_u32_e32 v45, 29, v46
	s_delay_alu instid0(VALU_DEP_2)
	v_and_b32_e32 v44, 7, v44
; %bb.176:                              ;   in Loop: Header=BB285_16 Depth=1
	s_or_b32 exec_lo, exec_lo, s46
	v_lshlrev_b32_e32 v1, 8, v1
	s_delay_alu instid0(VALU_DEP_3) | instskip(NEXT) | instid1(VALU_DEP_3)
	v_lshl_add_u32 v45, v45, 10, 0x2000
	v_lshlrev_b32_e32 v44, 23, v44
	s_delay_alu instid0(VALU_DEP_2) | instskip(NEXT) | instid1(VALU_DEP_1)
	v_and_or_b32 v1, 0x8000, v1, v45
	v_lshl_or_b32 v44, v1, 16, v44
.LBB285_177:                            ;   in Loop: Header=BB285_16 Depth=1
	s_wait_alu 0xfffe
	s_or_b32 exec_lo, exec_lo, s45
.LBB285_178:                            ;   in Loop: Header=BB285_16 Depth=1
	s_wait_alu 0xfffe
	s_or_b32 exec_lo, exec_lo, s44
.LBB285_179:                            ;   in Loop: Header=BB285_16 Depth=1
	s_wait_alu 0xfffe
	s_or_b32 exec_lo, exec_lo, s43
	v_and_b32_e32 v45, 0xff, v10
	v_mov_b32_e32 v1, v10
	s_mov_b32 s43, exec_lo
	s_delay_alu instid0(VALU_DEP_2)
	v_cmpx_ne_u16_e32 0, v45
	s_cbranch_execz .LBB285_187
; %bb.180:                              ;   in Loop: Header=BB285_16 Depth=1
	v_mov_b32_e32 v43, 0x8000
	s_mov_b32 s44, exec_lo
	v_cmpx_ne_u16_e32 0x80, v45
	s_cbranch_execz .LBB285_186
; %bb.181:                              ;   in Loop: Header=BB285_16 Depth=1
	v_and_b32_e32 v46, 0x7f, v10
	v_mov_b32_e32 v43, 0x7c01
	s_mov_b32 s45, exec_lo
	s_delay_alu instid0(VALU_DEP_2)
	v_cmpx_ne_u32_e32 0x7f, v46
	s_cbranch_execz .LBB285_185
; %bb.182:                              ;   in Loop: Header=BB285_16 Depth=1
	v_and_b32_e32 v43, 7, v10
	v_lshrrev_b32_e32 v45, 3, v46
	s_mov_b32 s46, exec_lo
	v_cmpx_gt_u32_e32 8, v46
; %bb.183:                              ;   in Loop: Header=BB285_16 Depth=1
	s_delay_alu instid0(VALU_DEP_3) | instskip(NEXT) | instid1(VALU_DEP_1)
	v_clz_i32_u32_e32 v43, v43
	v_min_u32_e32 v43, 32, v43
	s_delay_alu instid0(VALU_DEP_1) | instskip(NEXT) | instid1(VALU_DEP_1)
	v_subrev_nc_u32_e32 v45, 28, v43
	v_lshlrev_b64_e32 v[46:47], v45, v[1:2]
	v_sub_nc_u32_e32 v45, 29, v43
	s_delay_alu instid0(VALU_DEP_2)
	v_and_b32_e32 v43, 7, v46
; %bb.184:                              ;   in Loop: Header=BB285_16 Depth=1
	s_or_b32 exec_lo, exec_lo, s46
	v_lshlrev_b32_e32 v46, 8, v10
	s_delay_alu instid0(VALU_DEP_3) | instskip(NEXT) | instid1(VALU_DEP_3)
	v_lshl_add_u32 v45, v45, 10, 0x2000
	v_lshlrev_b32_e32 v43, 7, v43
	s_delay_alu instid0(VALU_DEP_3) | instskip(NEXT) | instid1(VALU_DEP_3)
	v_and_b32_e32 v46, 0x8000, v46
	v_and_b32_e32 v45, 0xfc00, v45
	s_delay_alu instid0(VALU_DEP_1)
	v_or3_b32 v43, v46, v45, v43
.LBB285_185:                            ;   in Loop: Header=BB285_16 Depth=1
	s_wait_alu 0xfffe
	s_or_b32 exec_lo, exec_lo, s45
.LBB285_186:                            ;   in Loop: Header=BB285_16 Depth=1
	s_wait_alu 0xfffe
	s_or_b32 exec_lo, exec_lo, s44
.LBB285_187:                            ;   in Loop: Header=BB285_16 Depth=1
	s_wait_alu 0xfffe
	s_or_b32 exec_lo, exec_lo, s43
	v_lshrrev_b16 v1, 8, v1
	v_dual_mov_b32 v47, 0 :: v_dual_mov_b32 v46, 0
	s_mov_b32 s43, exec_lo
	s_delay_alu instid0(VALU_DEP_2)
	v_cmpx_ne_u16_e32 0, v1
	s_cbranch_execz .LBB285_195
; %bb.188:                              ;   in Loop: Header=BB285_16 Depth=1
	v_bfrev_b32_e32 v46, 1
	s_mov_b32 s44, exec_lo
	v_cmpx_ne_u16_e32 0x80, v1
	s_cbranch_execz .LBB285_194
; %bb.189:                              ;   in Loop: Header=BB285_16 Depth=1
	v_and_b32_e32 v45, 0xffff, v1
	v_mov_b32_e32 v46, 0x7c010000
	s_mov_b32 s45, exec_lo
	s_delay_alu instid0(VALU_DEP_2) | instskip(NEXT) | instid1(VALU_DEP_1)
	v_and_b32_e32 v49, 0x7f, v45
	v_cmpx_ne_u32_e32 0x7f, v49
	s_cbranch_execz .LBB285_193
; %bb.190:                              ;   in Loop: Header=BB285_16 Depth=1
	v_and_b32_e32 v46, 7, v45
	v_lshrrev_b32_e32 v48, 3, v49
	s_mov_b32 s46, exec_lo
	v_cmpx_gt_u32_e32 8, v49
; %bb.191:                              ;   in Loop: Header=BB285_16 Depth=1
	s_delay_alu instid0(VALU_DEP_3) | instskip(NEXT) | instid1(VALU_DEP_1)
	v_clz_i32_u32_e32 v46, v46
	v_min_u32_e32 v46, 32, v46
	s_delay_alu instid0(VALU_DEP_1) | instskip(NEXT) | instid1(VALU_DEP_1)
	v_subrev_nc_u32_e32 v48, 28, v46
	v_lshlrev_b64_e32 v[49:50], v48, v[1:2]
	v_sub_nc_u32_e32 v48, 29, v46
	s_delay_alu instid0(VALU_DEP_2)
	v_and_b32_e32 v46, 7, v49
; %bb.192:                              ;   in Loop: Header=BB285_16 Depth=1
	s_or_b32 exec_lo, exec_lo, s46
	v_lshlrev_b32_e32 v1, 8, v45
	s_delay_alu instid0(VALU_DEP_3) | instskip(NEXT) | instid1(VALU_DEP_1)
	v_lshl_add_u32 v45, v48, 10, 0x2000
	v_and_or_b32 v1, 0x8000, v1, v45
	v_lshlrev_b32_e32 v45, 23, v46
	s_delay_alu instid0(VALU_DEP_1)
	v_lshl_or_b32 v46, v1, 16, v45
.LBB285_193:                            ;   in Loop: Header=BB285_16 Depth=1
	s_wait_alu 0xfffe
	s_or_b32 exec_lo, exec_lo, s45
.LBB285_194:                            ;   in Loop: Header=BB285_16 Depth=1
	s_wait_alu 0xfffe
	s_or_b32 exec_lo, exec_lo, s44
.LBB285_195:                            ;   in Loop: Header=BB285_16 Depth=1
	s_wait_alu 0xfffe
	s_or_b32 exec_lo, exec_lo, s43
	v_lshrrev_b32_e32 v1, 16, v10
	s_mov_b32 s43, exec_lo
	s_delay_alu instid0(VALU_DEP_1) | instskip(NEXT) | instid1(VALU_DEP_1)
	v_and_b32_e32 v45, 0xff, v1
	v_cmpx_ne_u16_e32 0, v45
	s_cbranch_execz .LBB285_203
; %bb.196:                              ;   in Loop: Header=BB285_16 Depth=1
	v_mov_b32_e32 v47, 0x8000
	s_mov_b32 s44, exec_lo
	v_cmpx_ne_u16_e32 0x80, v45
	s_cbranch_execz .LBB285_202
; %bb.197:                              ;   in Loop: Header=BB285_16 Depth=1
	v_bfe_u32 v48, v10, 16, 7
	v_mov_b32_e32 v47, 0x7c01
	s_mov_b32 s45, exec_lo
	s_delay_alu instid0(VALU_DEP_2)
	v_cmpx_ne_u32_e32 0x7f, v48
	s_cbranch_execz .LBB285_201
; %bb.198:                              ;   in Loop: Header=BB285_16 Depth=1
	v_and_b32_e32 v45, 7, v1
	v_lshrrev_b32_e32 v47, 3, v48
	s_mov_b32 s46, exec_lo
	v_cmpx_gt_u32_e32 8, v48
; %bb.199:                              ;   in Loop: Header=BB285_16 Depth=1
	s_delay_alu instid0(VALU_DEP_3) | instskip(NEXT) | instid1(VALU_DEP_1)
	v_clz_i32_u32_e32 v45, v45
	v_min_u32_e32 v45, 32, v45
	s_delay_alu instid0(VALU_DEP_1) | instskip(NEXT) | instid1(VALU_DEP_1)
	v_subrev_nc_u32_e32 v47, 28, v45
	v_lshlrev_b64_e32 v[48:49], v47, v[1:2]
	v_sub_nc_u32_e32 v47, 29, v45
	s_delay_alu instid0(VALU_DEP_2)
	v_and_b32_e32 v45, 7, v48
; %bb.200:                              ;   in Loop: Header=BB285_16 Depth=1
	s_or_b32 exec_lo, exec_lo, s46
	v_lshlrev_b32_e32 v1, 8, v1
	s_delay_alu instid0(VALU_DEP_3) | instskip(NEXT) | instid1(VALU_DEP_3)
	v_lshl_add_u32 v47, v47, 10, 0x2000
	v_lshlrev_b32_e32 v45, 7, v45
	s_delay_alu instid0(VALU_DEP_3) | instskip(NEXT) | instid1(VALU_DEP_3)
	v_and_b32_e32 v1, 0x8000, v1
	v_and_b32_e32 v47, 0xfc00, v47
	s_delay_alu instid0(VALU_DEP_1)
	v_or3_b32 v47, v1, v47, v45
.LBB285_201:                            ;   in Loop: Header=BB285_16 Depth=1
	s_wait_alu 0xfffe
	s_or_b32 exec_lo, exec_lo, s45
.LBB285_202:                            ;   in Loop: Header=BB285_16 Depth=1
	s_wait_alu 0xfffe
	s_or_b32 exec_lo, exec_lo, s44
.LBB285_203:                            ;   in Loop: Header=BB285_16 Depth=1
	s_wait_alu 0xfffe
	s_or_b32 exec_lo, exec_lo, s43
	v_dual_mov_b32 v45, 0 :: v_dual_mov_b32 v48, 0
	s_mov_b32 s43, exec_lo
	v_cmpx_lt_u64_e64 s[14:15], v[9:10]
	s_cbranch_execz .LBB285_211
; %bb.204:                              ;   in Loop: Header=BB285_16 Depth=1
	v_lshrrev_b32_e32 v1, 24, v10
	v_bfrev_b32_e32 v48, 1
	s_mov_b32 s44, exec_lo
	s_delay_alu instid0(VALU_DEP_2)
	v_cmpx_ne_u32_e32 0x80, v1
	s_cbranch_execz .LBB285_210
; %bb.205:                              ;   in Loop: Header=BB285_16 Depth=1
	v_and_b32_e32 v49, 0x7f, v1
	v_mov_b32_e32 v48, 0x7c010000
	s_mov_b32 s45, exec_lo
	s_delay_alu instid0(VALU_DEP_2)
	v_cmpx_ne_u32_e32 0x7f, v49
	s_cbranch_execz .LBB285_209
; %bb.206:                              ;   in Loop: Header=BB285_16 Depth=1
	v_and_b32_e32 v9, 7, v1
	v_lshrrev_b32_e32 v10, 3, v49
	s_mov_b32 s46, exec_lo
	v_cmpx_gt_u32_e32 8, v49
; %bb.207:                              ;   in Loop: Header=BB285_16 Depth=1
	s_delay_alu instid0(VALU_DEP_3) | instskip(NEXT) | instid1(VALU_DEP_1)
	v_clz_i32_u32_e32 v9, v9
	v_min_u32_e32 v48, 32, v9
	s_delay_alu instid0(VALU_DEP_1) | instskip(NEXT) | instid1(VALU_DEP_1)
	v_subrev_nc_u32_e32 v9, 28, v48
	v_lshlrev_b64_e32 v[9:10], v9, v[1:2]
	v_sub_nc_u32_e32 v10, 29, v48
	s_delay_alu instid0(VALU_DEP_2)
	v_and_b32_e32 v9, 7, v9
; %bb.208:                              ;   in Loop: Header=BB285_16 Depth=1
	s_or_b32 exec_lo, exec_lo, s46
	v_lshlrev_b32_e32 v1, 8, v1
	s_delay_alu instid0(VALU_DEP_3) | instskip(NEXT) | instid1(VALU_DEP_3)
	v_lshl_add_u32 v10, v10, 10, 0x2000
	v_lshlrev_b32_e32 v9, 23, v9
	s_delay_alu instid0(VALU_DEP_2) | instskip(NEXT) | instid1(VALU_DEP_1)
	v_and_or_b32 v1, 0x8000, v1, v10
	v_lshl_or_b32 v48, v1, 16, v9
.LBB285_209:                            ;   in Loop: Header=BB285_16 Depth=1
	s_wait_alu 0xfffe
	s_or_b32 exec_lo, exec_lo, s45
.LBB285_210:                            ;   in Loop: Header=BB285_16 Depth=1
	s_wait_alu 0xfffe
	s_or_b32 exec_lo, exec_lo, s44
.LBB285_211:                            ;   in Loop: Header=BB285_16 Depth=1
	s_wait_alu 0xfffe
	s_or_b32 exec_lo, exec_lo, s43
	global_load_b64 v[9:10], v[7:8], off offset:520
	s_mov_b32 s43, exec_lo
	s_wait_loadcnt 0x0
	v_and_b32_e32 v1, 0xff, v9
	s_delay_alu instid0(VALU_DEP_1)
	v_cmpx_ne_u16_e32 0, v1
	s_cbranch_execz .LBB285_219
; %bb.212:                              ;   in Loop: Header=BB285_16 Depth=1
	v_mov_b32_e32 v45, 0x8000
	s_mov_b32 s44, exec_lo
	v_cmpx_ne_u16_e32 0x80, v1
	s_cbranch_execz .LBB285_218
; %bb.213:                              ;   in Loop: Header=BB285_16 Depth=1
	v_and_b32_e32 v49, 0x7f, v9
	v_mov_b32_e32 v45, 0x7c01
	s_mov_b32 s45, exec_lo
	s_delay_alu instid0(VALU_DEP_2)
	v_cmpx_ne_u32_e32 0x7f, v49
	s_cbranch_execz .LBB285_217
; %bb.214:                              ;   in Loop: Header=BB285_16 Depth=1
	v_and_b32_e32 v1, 7, v9
	v_lshrrev_b32_e32 v45, 3, v49
	s_mov_b32 s46, exec_lo
	v_cmpx_gt_u32_e32 8, v49
; %bb.215:                              ;   in Loop: Header=BB285_16 Depth=1
	s_delay_alu instid0(VALU_DEP_3) | instskip(NEXT) | instid1(VALU_DEP_1)
	v_clz_i32_u32_e32 v1, v1
	v_min_u32_e32 v1, 32, v1
	s_delay_alu instid0(VALU_DEP_1) | instskip(NEXT) | instid1(VALU_DEP_1)
	v_subrev_nc_u32_e32 v45, 28, v1
	v_lshlrev_b64_e32 v[49:50], v45, v[9:10]
	v_sub_nc_u32_e32 v45, 29, v1
	s_delay_alu instid0(VALU_DEP_2)
	v_and_b32_e32 v1, 7, v49
; %bb.216:                              ;   in Loop: Header=BB285_16 Depth=1
	s_or_b32 exec_lo, exec_lo, s46
	v_lshlrev_b32_e32 v49, 8, v9
	s_delay_alu instid0(VALU_DEP_3) | instskip(NEXT) | instid1(VALU_DEP_3)
	v_lshl_add_u32 v45, v45, 10, 0x2000
	v_lshlrev_b32_e32 v1, 7, v1
	s_delay_alu instid0(VALU_DEP_3) | instskip(NEXT) | instid1(VALU_DEP_3)
	v_and_b32_e32 v49, 0x8000, v49
	v_and_b32_e32 v45, 0xfc00, v45
	s_delay_alu instid0(VALU_DEP_1)
	v_or3_b32 v45, v49, v45, v1
.LBB285_217:                            ;   in Loop: Header=BB285_16 Depth=1
	s_wait_alu 0xfffe
	s_or_b32 exec_lo, exec_lo, s45
.LBB285_218:                            ;   in Loop: Header=BB285_16 Depth=1
	s_wait_alu 0xfffe
	s_or_b32 exec_lo, exec_lo, s44
.LBB285_219:                            ;   in Loop: Header=BB285_16 Depth=1
	s_wait_alu 0xfffe
	s_or_b32 exec_lo, exec_lo, s43
	v_lshrrev_b16 v1, 8, v9
	v_dual_mov_b32 v50, 0 :: v_dual_mov_b32 v49, 0
	s_mov_b32 s43, exec_lo
	s_delay_alu instid0(VALU_DEP_2)
	v_cmpx_ne_u16_e32 0, v1
	s_cbranch_execz .LBB285_227
; %bb.220:                              ;   in Loop: Header=BB285_16 Depth=1
	v_bfrev_b32_e32 v49, 1
	s_mov_b32 s44, exec_lo
	v_cmpx_ne_u16_e32 0x80, v1
	s_cbranch_execz .LBB285_226
; %bb.221:                              ;   in Loop: Header=BB285_16 Depth=1
	v_and_b32_e32 v51, 0xffff, v1
	v_mov_b32_e32 v49, 0x7c010000
	s_mov_b32 s45, exec_lo
	s_delay_alu instid0(VALU_DEP_2) | instskip(NEXT) | instid1(VALU_DEP_1)
	v_and_b32_e32 v53, 0x7f, v51
	v_cmpx_ne_u32_e32 0x7f, v53
	s_cbranch_execz .LBB285_225
; %bb.222:                              ;   in Loop: Header=BB285_16 Depth=1
	v_and_b32_e32 v49, 7, v51
	v_lshrrev_b32_e32 v52, 3, v53
	s_mov_b32 s46, exec_lo
	v_cmpx_gt_u32_e32 8, v53
; %bb.223:                              ;   in Loop: Header=BB285_16 Depth=1
	s_delay_alu instid0(VALU_DEP_3) | instskip(NEXT) | instid1(VALU_DEP_1)
	v_clz_i32_u32_e32 v49, v49
	v_min_u32_e32 v49, 32, v49
	s_delay_alu instid0(VALU_DEP_1) | instskip(NEXT) | instid1(VALU_DEP_1)
	v_subrev_nc_u32_e32 v52, 28, v49
	v_lshlrev_b64_e32 v[53:54], v52, v[1:2]
	v_sub_nc_u32_e32 v52, 29, v49
	s_delay_alu instid0(VALU_DEP_2)
	v_and_b32_e32 v49, 7, v53
; %bb.224:                              ;   in Loop: Header=BB285_16 Depth=1
	s_or_b32 exec_lo, exec_lo, s46
	v_lshlrev_b32_e32 v1, 8, v51
	s_delay_alu instid0(VALU_DEP_3) | instskip(NEXT) | instid1(VALU_DEP_3)
	v_lshl_add_u32 v51, v52, 10, 0x2000
	v_lshlrev_b32_e32 v49, 23, v49
	s_delay_alu instid0(VALU_DEP_2) | instskip(NEXT) | instid1(VALU_DEP_1)
	v_and_or_b32 v1, 0x8000, v1, v51
	v_lshl_or_b32 v49, v1, 16, v49
.LBB285_225:                            ;   in Loop: Header=BB285_16 Depth=1
	s_wait_alu 0xfffe
	s_or_b32 exec_lo, exec_lo, s45
.LBB285_226:                            ;   in Loop: Header=BB285_16 Depth=1
	s_wait_alu 0xfffe
	s_or_b32 exec_lo, exec_lo, s44
.LBB285_227:                            ;   in Loop: Header=BB285_16 Depth=1
	s_wait_alu 0xfffe
	s_or_b32 exec_lo, exec_lo, s43
	v_lshrrev_b32_e32 v1, 16, v9
	s_mov_b32 s43, exec_lo
	s_delay_alu instid0(VALU_DEP_1) | instskip(NEXT) | instid1(VALU_DEP_1)
	v_and_b32_e32 v51, 0xff, v1
	v_cmpx_ne_u16_e32 0, v51
	s_cbranch_execz .LBB285_235
; %bb.228:                              ;   in Loop: Header=BB285_16 Depth=1
	v_mov_b32_e32 v50, 0x8000
	s_mov_b32 s44, exec_lo
	v_cmpx_ne_u16_e32 0x80, v51
	s_cbranch_execz .LBB285_234
; %bb.229:                              ;   in Loop: Header=BB285_16 Depth=1
	v_bfe_u32 v52, v9, 16, 7
	v_mov_b32_e32 v50, 0x7c01
	s_mov_b32 s45, exec_lo
	s_delay_alu instid0(VALU_DEP_2)
	v_cmpx_ne_u32_e32 0x7f, v52
	s_cbranch_execz .LBB285_233
; %bb.230:                              ;   in Loop: Header=BB285_16 Depth=1
	v_and_b32_e32 v50, 7, v1
	v_lshrrev_b32_e32 v51, 3, v52
	s_mov_b32 s46, exec_lo
	v_cmpx_gt_u32_e32 8, v52
; %bb.231:                              ;   in Loop: Header=BB285_16 Depth=1
	s_delay_alu instid0(VALU_DEP_3) | instskip(NEXT) | instid1(VALU_DEP_1)
	v_clz_i32_u32_e32 v50, v50
	v_min_u32_e32 v52, 32, v50
	s_delay_alu instid0(VALU_DEP_1) | instskip(NEXT) | instid1(VALU_DEP_1)
	v_subrev_nc_u32_e32 v50, 28, v52
	v_lshlrev_b64_e32 v[50:51], v50, v[1:2]
	v_sub_nc_u32_e32 v51, 29, v52
	s_delay_alu instid0(VALU_DEP_2)
	v_and_b32_e32 v50, 7, v50
; %bb.232:                              ;   in Loop: Header=BB285_16 Depth=1
	s_or_b32 exec_lo, exec_lo, s46
	v_lshlrev_b32_e32 v1, 8, v1
	s_delay_alu instid0(VALU_DEP_3) | instskip(NEXT) | instid1(VALU_DEP_3)
	v_lshl_add_u32 v51, v51, 10, 0x2000
	v_lshlrev_b32_e32 v50, 7, v50
	s_delay_alu instid0(VALU_DEP_3) | instskip(NEXT) | instid1(VALU_DEP_3)
	v_and_b32_e32 v1, 0x8000, v1
	v_and_b32_e32 v51, 0xfc00, v51
	s_delay_alu instid0(VALU_DEP_1)
	v_or3_b32 v50, v1, v51, v50
.LBB285_233:                            ;   in Loop: Header=BB285_16 Depth=1
	s_wait_alu 0xfffe
	s_or_b32 exec_lo, exec_lo, s45
.LBB285_234:                            ;   in Loop: Header=BB285_16 Depth=1
	s_wait_alu 0xfffe
	s_or_b32 exec_lo, exec_lo, s44
.LBB285_235:                            ;   in Loop: Header=BB285_16 Depth=1
	s_wait_alu 0xfffe
	s_or_b32 exec_lo, exec_lo, s43
	v_dual_mov_b32 v51, 0 :: v_dual_mov_b32 v52, 0
	s_mov_b32 s43, exec_lo
	v_cmpx_lt_u32_e32 0xffffff, v9
	s_cbranch_execz .LBB285_243
; %bb.236:                              ;   in Loop: Header=BB285_16 Depth=1
	v_lshrrev_b32_e32 v1, 24, v9
	v_bfrev_b32_e32 v52, 1
	s_mov_b32 s44, exec_lo
	s_delay_alu instid0(VALU_DEP_2)
	v_cmpx_ne_u32_e32 0x80, v1
	s_cbranch_execz .LBB285_242
; %bb.237:                              ;   in Loop: Header=BB285_16 Depth=1
	v_and_b32_e32 v54, 0x7f, v1
	v_mov_b32_e32 v52, 0x7c010000
	s_mov_b32 s45, exec_lo
	s_delay_alu instid0(VALU_DEP_2)
	v_cmpx_ne_u32_e32 0x7f, v54
	s_cbranch_execz .LBB285_241
; %bb.238:                              ;   in Loop: Header=BB285_16 Depth=1
	v_and_b32_e32 v52, 7, v1
	v_lshrrev_b32_e32 v53, 3, v54
	s_mov_b32 s46, exec_lo
	v_cmpx_gt_u32_e32 8, v54
; %bb.239:                              ;   in Loop: Header=BB285_16 Depth=1
	s_delay_alu instid0(VALU_DEP_3) | instskip(NEXT) | instid1(VALU_DEP_1)
	v_clz_i32_u32_e32 v52, v52
	v_min_u32_e32 v54, 32, v52
	s_delay_alu instid0(VALU_DEP_1) | instskip(NEXT) | instid1(VALU_DEP_1)
	v_subrev_nc_u32_e32 v52, 28, v54
	v_lshlrev_b64_e32 v[52:53], v52, v[1:2]
	v_sub_nc_u32_e32 v53, 29, v54
	s_delay_alu instid0(VALU_DEP_2)
	v_and_b32_e32 v52, 7, v52
; %bb.240:                              ;   in Loop: Header=BB285_16 Depth=1
	s_or_b32 exec_lo, exec_lo, s46
	v_lshlrev_b32_e32 v1, 8, v1
	s_delay_alu instid0(VALU_DEP_3) | instskip(NEXT) | instid1(VALU_DEP_3)
	v_lshl_add_u32 v53, v53, 10, 0x2000
	v_lshlrev_b32_e32 v52, 23, v52
	s_delay_alu instid0(VALU_DEP_2) | instskip(NEXT) | instid1(VALU_DEP_1)
	v_and_or_b32 v1, 0x8000, v1, v53
	v_lshl_or_b32 v52, v1, 16, v52
.LBB285_241:                            ;   in Loop: Header=BB285_16 Depth=1
	s_wait_alu 0xfffe
	s_or_b32 exec_lo, exec_lo, s45
.LBB285_242:                            ;   in Loop: Header=BB285_16 Depth=1
	s_wait_alu 0xfffe
	s_or_b32 exec_lo, exec_lo, s44
.LBB285_243:                            ;   in Loop: Header=BB285_16 Depth=1
	s_wait_alu 0xfffe
	s_or_b32 exec_lo, exec_lo, s43
	v_and_b32_e32 v53, 0xff, v10
	v_mov_b32_e32 v1, v10
	s_mov_b32 s43, exec_lo
	s_delay_alu instid0(VALU_DEP_2)
	v_cmpx_ne_u16_e32 0, v53
	s_cbranch_execz .LBB285_251
; %bb.244:                              ;   in Loop: Header=BB285_16 Depth=1
	v_mov_b32_e32 v51, 0x8000
	s_mov_b32 s44, exec_lo
	v_cmpx_ne_u16_e32 0x80, v53
	s_cbranch_execz .LBB285_250
; %bb.245:                              ;   in Loop: Header=BB285_16 Depth=1
	v_and_b32_e32 v54, 0x7f, v10
	v_mov_b32_e32 v51, 0x7c01
	s_mov_b32 s45, exec_lo
	s_delay_alu instid0(VALU_DEP_2)
	v_cmpx_ne_u32_e32 0x7f, v54
	s_cbranch_execz .LBB285_249
; %bb.246:                              ;   in Loop: Header=BB285_16 Depth=1
	v_and_b32_e32 v51, 7, v10
	v_lshrrev_b32_e32 v53, 3, v54
	s_mov_b32 s46, exec_lo
	v_cmpx_gt_u32_e32 8, v54
; %bb.247:                              ;   in Loop: Header=BB285_16 Depth=1
	s_delay_alu instid0(VALU_DEP_3) | instskip(NEXT) | instid1(VALU_DEP_1)
	v_clz_i32_u32_e32 v51, v51
	v_min_u32_e32 v51, 32, v51
	s_delay_alu instid0(VALU_DEP_1) | instskip(NEXT) | instid1(VALU_DEP_1)
	v_subrev_nc_u32_e32 v53, 28, v51
	v_lshlrev_b64_e32 v[54:55], v53, v[1:2]
	v_sub_nc_u32_e32 v53, 29, v51
	s_delay_alu instid0(VALU_DEP_2)
	v_and_b32_e32 v51, 7, v54
; %bb.248:                              ;   in Loop: Header=BB285_16 Depth=1
	s_or_b32 exec_lo, exec_lo, s46
	v_lshlrev_b32_e32 v54, 8, v10
	s_delay_alu instid0(VALU_DEP_3) | instskip(NEXT) | instid1(VALU_DEP_3)
	v_lshl_add_u32 v53, v53, 10, 0x2000
	v_lshlrev_b32_e32 v51, 7, v51
	s_delay_alu instid0(VALU_DEP_3) | instskip(NEXT) | instid1(VALU_DEP_3)
	v_and_b32_e32 v54, 0x8000, v54
	v_and_b32_e32 v53, 0xfc00, v53
	s_delay_alu instid0(VALU_DEP_1)
	v_or3_b32 v51, v54, v53, v51
.LBB285_249:                            ;   in Loop: Header=BB285_16 Depth=1
	s_wait_alu 0xfffe
	s_or_b32 exec_lo, exec_lo, s45
.LBB285_250:                            ;   in Loop: Header=BB285_16 Depth=1
	s_wait_alu 0xfffe
	s_or_b32 exec_lo, exec_lo, s44
.LBB285_251:                            ;   in Loop: Header=BB285_16 Depth=1
	s_wait_alu 0xfffe
	s_or_b32 exec_lo, exec_lo, s43
	v_lshrrev_b16 v1, 8, v1
	v_dual_mov_b32 v54, 0 :: v_dual_mov_b32 v55, 0
	s_mov_b32 s43, exec_lo
	s_delay_alu instid0(VALU_DEP_2)
	v_cmpx_ne_u16_e32 0, v1
	s_cbranch_execz .LBB285_259
; %bb.252:                              ;   in Loop: Header=BB285_16 Depth=1
	v_bfrev_b32_e32 v55, 1
	s_mov_b32 s44, exec_lo
	v_cmpx_ne_u16_e32 0x80, v1
	s_cbranch_execz .LBB285_258
; %bb.253:                              ;   in Loop: Header=BB285_16 Depth=1
	v_and_b32_e32 v53, 0xffff, v1
	v_mov_b32_e32 v55, 0x7c010000
	s_mov_b32 s45, exec_lo
	s_delay_alu instid0(VALU_DEP_2) | instskip(NEXT) | instid1(VALU_DEP_1)
	v_and_b32_e32 v57, 0x7f, v53
	v_cmpx_ne_u32_e32 0x7f, v57
	s_cbranch_execz .LBB285_257
; %bb.254:                              ;   in Loop: Header=BB285_16 Depth=1
	v_and_b32_e32 v55, 7, v53
	v_lshrrev_b32_e32 v56, 3, v57
	s_mov_b32 s46, exec_lo
	v_cmpx_gt_u32_e32 8, v57
; %bb.255:                              ;   in Loop: Header=BB285_16 Depth=1
	s_delay_alu instid0(VALU_DEP_3) | instskip(NEXT) | instid1(VALU_DEP_1)
	v_clz_i32_u32_e32 v55, v55
	v_min_u32_e32 v57, 32, v55
	s_delay_alu instid0(VALU_DEP_1) | instskip(NEXT) | instid1(VALU_DEP_1)
	v_subrev_nc_u32_e32 v55, 28, v57
	v_lshlrev_b64_e32 v[55:56], v55, v[1:2]
	v_sub_nc_u32_e32 v56, 29, v57
	s_delay_alu instid0(VALU_DEP_2)
	v_and_b32_e32 v55, 7, v55
; %bb.256:                              ;   in Loop: Header=BB285_16 Depth=1
	s_or_b32 exec_lo, exec_lo, s46
	v_lshlrev_b32_e32 v1, 8, v53
	s_delay_alu instid0(VALU_DEP_3) | instskip(NEXT) | instid1(VALU_DEP_1)
	v_lshl_add_u32 v53, v56, 10, 0x2000
	v_and_or_b32 v1, 0x8000, v1, v53
	v_lshlrev_b32_e32 v53, 23, v55
	s_delay_alu instid0(VALU_DEP_1)
	v_lshl_or_b32 v55, v1, 16, v53
.LBB285_257:                            ;   in Loop: Header=BB285_16 Depth=1
	s_wait_alu 0xfffe
	s_or_b32 exec_lo, exec_lo, s45
.LBB285_258:                            ;   in Loop: Header=BB285_16 Depth=1
	s_wait_alu 0xfffe
	s_or_b32 exec_lo, exec_lo, s44
.LBB285_259:                            ;   in Loop: Header=BB285_16 Depth=1
	s_wait_alu 0xfffe
	s_or_b32 exec_lo, exec_lo, s43
	v_lshrrev_b32_e32 v1, 16, v10
	s_mov_b32 s43, exec_lo
	s_delay_alu instid0(VALU_DEP_1) | instskip(NEXT) | instid1(VALU_DEP_1)
	v_and_b32_e32 v53, 0xff, v1
	v_cmpx_ne_u16_e32 0, v53
	s_cbranch_execz .LBB285_267
; %bb.260:                              ;   in Loop: Header=BB285_16 Depth=1
	v_mov_b32_e32 v54, 0x8000
	s_mov_b32 s44, exec_lo
	v_cmpx_ne_u16_e32 0x80, v53
	s_cbranch_execz .LBB285_266
; %bb.261:                              ;   in Loop: Header=BB285_16 Depth=1
	v_bfe_u32 v56, v10, 16, 7
	v_mov_b32_e32 v54, 0x7c01
	s_mov_b32 s45, exec_lo
	s_delay_alu instid0(VALU_DEP_2)
	v_cmpx_ne_u32_e32 0x7f, v56
	s_cbranch_execz .LBB285_265
; %bb.262:                              ;   in Loop: Header=BB285_16 Depth=1
	v_and_b32_e32 v53, 7, v1
	v_lshrrev_b32_e32 v54, 3, v56
	s_mov_b32 s46, exec_lo
	v_cmpx_gt_u32_e32 8, v56
; %bb.263:                              ;   in Loop: Header=BB285_16 Depth=1
	s_delay_alu instid0(VALU_DEP_3) | instskip(NEXT) | instid1(VALU_DEP_1)
	v_clz_i32_u32_e32 v53, v53
	v_min_u32_e32 v56, 32, v53
	s_delay_alu instid0(VALU_DEP_1) | instskip(NEXT) | instid1(VALU_DEP_1)
	v_subrev_nc_u32_e32 v53, 28, v56
	v_lshlrev_b64_e32 v[53:54], v53, v[1:2]
	v_sub_nc_u32_e32 v54, 29, v56
	s_delay_alu instid0(VALU_DEP_2)
	v_and_b32_e32 v53, 7, v53
; %bb.264:                              ;   in Loop: Header=BB285_16 Depth=1
	s_or_b32 exec_lo, exec_lo, s46
	v_lshlrev_b32_e32 v1, 8, v1
	s_delay_alu instid0(VALU_DEP_3) | instskip(NEXT) | instid1(VALU_DEP_3)
	v_lshl_add_u32 v54, v54, 10, 0x2000
	v_lshlrev_b32_e32 v53, 7, v53
	s_delay_alu instid0(VALU_DEP_3) | instskip(NEXT) | instid1(VALU_DEP_3)
	v_and_b32_e32 v1, 0x8000, v1
	v_and_b32_e32 v54, 0xfc00, v54
	s_delay_alu instid0(VALU_DEP_1)
	v_or3_b32 v54, v1, v54, v53
.LBB285_265:                            ;   in Loop: Header=BB285_16 Depth=1
	s_wait_alu 0xfffe
	s_or_b32 exec_lo, exec_lo, s45
.LBB285_266:                            ;   in Loop: Header=BB285_16 Depth=1
	s_wait_alu 0xfffe
	s_or_b32 exec_lo, exec_lo, s44
.LBB285_267:                            ;   in Loop: Header=BB285_16 Depth=1
	s_wait_alu 0xfffe
	s_or_b32 exec_lo, exec_lo, s43
	v_dual_mov_b32 v53, 0 :: v_dual_mov_b32 v56, 0
	s_mov_b32 s43, exec_lo
	v_cmpx_lt_u64_e64 s[14:15], v[9:10]
	s_cbranch_execz .LBB285_275
; %bb.268:                              ;   in Loop: Header=BB285_16 Depth=1
	v_lshrrev_b32_e32 v1, 24, v10
	v_bfrev_b32_e32 v56, 1
	s_mov_b32 s44, exec_lo
	s_delay_alu instid0(VALU_DEP_2)
	v_cmpx_ne_u32_e32 0x80, v1
	s_cbranch_execz .LBB285_274
; %bb.269:                              ;   in Loop: Header=BB285_16 Depth=1
	v_and_b32_e32 v57, 0x7f, v1
	v_mov_b32_e32 v56, 0x7c010000
	s_mov_b32 s45, exec_lo
	s_delay_alu instid0(VALU_DEP_2)
	v_cmpx_ne_u32_e32 0x7f, v57
	s_cbranch_execz .LBB285_273
; %bb.270:                              ;   in Loop: Header=BB285_16 Depth=1
	v_and_b32_e32 v9, 7, v1
	v_lshrrev_b32_e32 v10, 3, v57
	s_mov_b32 s46, exec_lo
	v_cmpx_gt_u32_e32 8, v57
; %bb.271:                              ;   in Loop: Header=BB285_16 Depth=1
	s_delay_alu instid0(VALU_DEP_3) | instskip(NEXT) | instid1(VALU_DEP_1)
	v_clz_i32_u32_e32 v9, v9
	v_min_u32_e32 v56, 32, v9
	s_delay_alu instid0(VALU_DEP_1) | instskip(NEXT) | instid1(VALU_DEP_1)
	v_subrev_nc_u32_e32 v9, 28, v56
	v_lshlrev_b64_e32 v[9:10], v9, v[1:2]
	v_sub_nc_u32_e32 v10, 29, v56
	s_delay_alu instid0(VALU_DEP_2)
	v_and_b32_e32 v9, 7, v9
; %bb.272:                              ;   in Loop: Header=BB285_16 Depth=1
	s_or_b32 exec_lo, exec_lo, s46
	v_lshlrev_b32_e32 v1, 8, v1
	s_delay_alu instid0(VALU_DEP_3) | instskip(NEXT) | instid1(VALU_DEP_3)
	v_lshl_add_u32 v10, v10, 10, 0x2000
	v_lshlrev_b32_e32 v9, 23, v9
	s_delay_alu instid0(VALU_DEP_2) | instskip(NEXT) | instid1(VALU_DEP_1)
	v_and_or_b32 v1, 0x8000, v1, v10
	v_lshl_or_b32 v56, v1, 16, v9
.LBB285_273:                            ;   in Loop: Header=BB285_16 Depth=1
	s_wait_alu 0xfffe
	s_or_b32 exec_lo, exec_lo, s45
.LBB285_274:                            ;   in Loop: Header=BB285_16 Depth=1
	s_wait_alu 0xfffe
	s_or_b32 exec_lo, exec_lo, s44
.LBB285_275:                            ;   in Loop: Header=BB285_16 Depth=1
	s_wait_alu 0xfffe
	s_or_b32 exec_lo, exec_lo, s43
	global_load_b64 v[9:10], v[7:8], off offset:1024
	s_mov_b32 s43, exec_lo
	s_wait_loadcnt 0x0
	v_and_b32_e32 v1, 0xff, v9
	s_delay_alu instid0(VALU_DEP_1)
	v_cmpx_ne_u16_e32 0, v1
	s_cbranch_execz .LBB285_283
; %bb.276:                              ;   in Loop: Header=BB285_16 Depth=1
	v_mov_b32_e32 v53, 0x8000
	s_mov_b32 s44, exec_lo
	v_cmpx_ne_u16_e32 0x80, v1
	s_cbranch_execz .LBB285_282
; %bb.277:                              ;   in Loop: Header=BB285_16 Depth=1
	v_and_b32_e32 v57, 0x7f, v9
	v_mov_b32_e32 v53, 0x7c01
	s_mov_b32 s45, exec_lo
	s_delay_alu instid0(VALU_DEP_2)
	v_cmpx_ne_u32_e32 0x7f, v57
	s_cbranch_execz .LBB285_281
; %bb.278:                              ;   in Loop: Header=BB285_16 Depth=1
	v_and_b32_e32 v1, 7, v9
	v_lshrrev_b32_e32 v53, 3, v57
	s_mov_b32 s46, exec_lo
	v_cmpx_gt_u32_e32 8, v57
; %bb.279:                              ;   in Loop: Header=BB285_16 Depth=1
	s_delay_alu instid0(VALU_DEP_3) | instskip(NEXT) | instid1(VALU_DEP_1)
	v_clz_i32_u32_e32 v1, v1
	v_min_u32_e32 v1, 32, v1
	s_delay_alu instid0(VALU_DEP_1) | instskip(NEXT) | instid1(VALU_DEP_1)
	v_subrev_nc_u32_e32 v53, 28, v1
	v_lshlrev_b64_e32 v[57:58], v53, v[9:10]
	v_sub_nc_u32_e32 v53, 29, v1
	s_delay_alu instid0(VALU_DEP_2)
	v_and_b32_e32 v1, 7, v57
; %bb.280:                              ;   in Loop: Header=BB285_16 Depth=1
	s_or_b32 exec_lo, exec_lo, s46
	v_lshlrev_b32_e32 v57, 8, v9
	s_delay_alu instid0(VALU_DEP_3) | instskip(NEXT) | instid1(VALU_DEP_3)
	v_lshl_add_u32 v53, v53, 10, 0x2000
	v_lshlrev_b32_e32 v1, 7, v1
	s_delay_alu instid0(VALU_DEP_3) | instskip(NEXT) | instid1(VALU_DEP_3)
	v_and_b32_e32 v57, 0x8000, v57
	v_and_b32_e32 v53, 0xfc00, v53
	s_delay_alu instid0(VALU_DEP_1)
	v_or3_b32 v53, v57, v53, v1
.LBB285_281:                            ;   in Loop: Header=BB285_16 Depth=1
	s_wait_alu 0xfffe
	s_or_b32 exec_lo, exec_lo, s45
.LBB285_282:                            ;   in Loop: Header=BB285_16 Depth=1
	s_wait_alu 0xfffe
	s_or_b32 exec_lo, exec_lo, s44
.LBB285_283:                            ;   in Loop: Header=BB285_16 Depth=1
	s_wait_alu 0xfffe
	s_or_b32 exec_lo, exec_lo, s43
	v_lshrrev_b16 v1, 8, v9
	v_dual_mov_b32 v58, 0 :: v_dual_mov_b32 v57, 0
	s_mov_b32 s43, exec_lo
	s_delay_alu instid0(VALU_DEP_2)
	v_cmpx_ne_u16_e32 0, v1
	s_cbranch_execz .LBB285_291
; %bb.284:                              ;   in Loop: Header=BB285_16 Depth=1
	v_bfrev_b32_e32 v57, 1
	s_mov_b32 s44, exec_lo
	v_cmpx_ne_u16_e32 0x80, v1
	s_cbranch_execz .LBB285_290
; %bb.285:                              ;   in Loop: Header=BB285_16 Depth=1
	v_and_b32_e32 v59, 0xffff, v1
	v_mov_b32_e32 v57, 0x7c010000
	s_mov_b32 s45, exec_lo
	s_delay_alu instid0(VALU_DEP_2) | instskip(NEXT) | instid1(VALU_DEP_1)
	v_and_b32_e32 v61, 0x7f, v59
	v_cmpx_ne_u32_e32 0x7f, v61
	s_cbranch_execz .LBB285_289
; %bb.286:                              ;   in Loop: Header=BB285_16 Depth=1
	v_and_b32_e32 v57, 7, v59
	v_lshrrev_b32_e32 v60, 3, v61
	s_mov_b32 s46, exec_lo
	v_cmpx_gt_u32_e32 8, v61
; %bb.287:                              ;   in Loop: Header=BB285_16 Depth=1
	s_delay_alu instid0(VALU_DEP_3) | instskip(NEXT) | instid1(VALU_DEP_1)
	v_clz_i32_u32_e32 v57, v57
	v_min_u32_e32 v57, 32, v57
	s_delay_alu instid0(VALU_DEP_1) | instskip(NEXT) | instid1(VALU_DEP_1)
	v_subrev_nc_u32_e32 v60, 28, v57
	v_lshlrev_b64_e32 v[61:62], v60, v[1:2]
	v_sub_nc_u32_e32 v60, 29, v57
	s_delay_alu instid0(VALU_DEP_2)
	v_and_b32_e32 v57, 7, v61
; %bb.288:                              ;   in Loop: Header=BB285_16 Depth=1
	s_or_b32 exec_lo, exec_lo, s46
	v_lshlrev_b32_e32 v1, 8, v59
	s_delay_alu instid0(VALU_DEP_3) | instskip(NEXT) | instid1(VALU_DEP_3)
	v_lshl_add_u32 v59, v60, 10, 0x2000
	v_lshlrev_b32_e32 v57, 23, v57
	s_delay_alu instid0(VALU_DEP_2) | instskip(NEXT) | instid1(VALU_DEP_1)
	v_and_or_b32 v1, 0x8000, v1, v59
	v_lshl_or_b32 v57, v1, 16, v57
.LBB285_289:                            ;   in Loop: Header=BB285_16 Depth=1
	s_wait_alu 0xfffe
	s_or_b32 exec_lo, exec_lo, s45
.LBB285_290:                            ;   in Loop: Header=BB285_16 Depth=1
	s_wait_alu 0xfffe
	s_or_b32 exec_lo, exec_lo, s44
.LBB285_291:                            ;   in Loop: Header=BB285_16 Depth=1
	s_wait_alu 0xfffe
	s_or_b32 exec_lo, exec_lo, s43
	v_lshrrev_b32_e32 v1, 16, v9
	s_mov_b32 s43, exec_lo
	s_delay_alu instid0(VALU_DEP_1) | instskip(NEXT) | instid1(VALU_DEP_1)
	v_and_b32_e32 v59, 0xff, v1
	v_cmpx_ne_u16_e32 0, v59
	s_cbranch_execz .LBB285_299
; %bb.292:                              ;   in Loop: Header=BB285_16 Depth=1
	v_mov_b32_e32 v58, 0x8000
	s_mov_b32 s44, exec_lo
	v_cmpx_ne_u16_e32 0x80, v59
	s_cbranch_execz .LBB285_298
; %bb.293:                              ;   in Loop: Header=BB285_16 Depth=1
	v_bfe_u32 v60, v9, 16, 7
	v_mov_b32_e32 v58, 0x7c01
	s_mov_b32 s45, exec_lo
	s_delay_alu instid0(VALU_DEP_2)
	v_cmpx_ne_u32_e32 0x7f, v60
	s_cbranch_execz .LBB285_297
; %bb.294:                              ;   in Loop: Header=BB285_16 Depth=1
	v_and_b32_e32 v58, 7, v1
	v_lshrrev_b32_e32 v59, 3, v60
	s_mov_b32 s46, exec_lo
	v_cmpx_gt_u32_e32 8, v60
; %bb.295:                              ;   in Loop: Header=BB285_16 Depth=1
	s_delay_alu instid0(VALU_DEP_3) | instskip(NEXT) | instid1(VALU_DEP_1)
	v_clz_i32_u32_e32 v58, v58
	v_min_u32_e32 v60, 32, v58
	s_delay_alu instid0(VALU_DEP_1) | instskip(NEXT) | instid1(VALU_DEP_1)
	v_subrev_nc_u32_e32 v58, 28, v60
	v_lshlrev_b64_e32 v[58:59], v58, v[1:2]
	v_sub_nc_u32_e32 v59, 29, v60
	s_delay_alu instid0(VALU_DEP_2)
	v_and_b32_e32 v58, 7, v58
; %bb.296:                              ;   in Loop: Header=BB285_16 Depth=1
	s_or_b32 exec_lo, exec_lo, s46
	v_lshlrev_b32_e32 v1, 8, v1
	s_delay_alu instid0(VALU_DEP_3) | instskip(NEXT) | instid1(VALU_DEP_3)
	v_lshl_add_u32 v59, v59, 10, 0x2000
	v_lshlrev_b32_e32 v58, 7, v58
	s_delay_alu instid0(VALU_DEP_3) | instskip(NEXT) | instid1(VALU_DEP_3)
	v_and_b32_e32 v1, 0x8000, v1
	v_and_b32_e32 v59, 0xfc00, v59
	s_delay_alu instid0(VALU_DEP_1)
	v_or3_b32 v58, v1, v59, v58
.LBB285_297:                            ;   in Loop: Header=BB285_16 Depth=1
	s_wait_alu 0xfffe
	s_or_b32 exec_lo, exec_lo, s45
.LBB285_298:                            ;   in Loop: Header=BB285_16 Depth=1
	s_wait_alu 0xfffe
	s_or_b32 exec_lo, exec_lo, s44
.LBB285_299:                            ;   in Loop: Header=BB285_16 Depth=1
	s_wait_alu 0xfffe
	s_or_b32 exec_lo, exec_lo, s43
	v_dual_mov_b32 v59, 0 :: v_dual_mov_b32 v60, 0
	s_mov_b32 s43, exec_lo
	v_cmpx_lt_u32_e32 0xffffff, v9
	s_cbranch_execz .LBB285_307
; %bb.300:                              ;   in Loop: Header=BB285_16 Depth=1
	v_lshrrev_b32_e32 v1, 24, v9
	v_bfrev_b32_e32 v60, 1
	s_mov_b32 s44, exec_lo
	s_delay_alu instid0(VALU_DEP_2)
	v_cmpx_ne_u32_e32 0x80, v1
	s_cbranch_execz .LBB285_306
; %bb.301:                              ;   in Loop: Header=BB285_16 Depth=1
	v_and_b32_e32 v62, 0x7f, v1
	v_mov_b32_e32 v60, 0x7c010000
	s_mov_b32 s45, exec_lo
	s_delay_alu instid0(VALU_DEP_2)
	v_cmpx_ne_u32_e32 0x7f, v62
	s_cbranch_execz .LBB285_305
; %bb.302:                              ;   in Loop: Header=BB285_16 Depth=1
	v_and_b32_e32 v60, 7, v1
	v_lshrrev_b32_e32 v61, 3, v62
	s_mov_b32 s46, exec_lo
	v_cmpx_gt_u32_e32 8, v62
; %bb.303:                              ;   in Loop: Header=BB285_16 Depth=1
	s_delay_alu instid0(VALU_DEP_3) | instskip(NEXT) | instid1(VALU_DEP_1)
	v_clz_i32_u32_e32 v60, v60
	v_min_u32_e32 v62, 32, v60
	s_delay_alu instid0(VALU_DEP_1) | instskip(NEXT) | instid1(VALU_DEP_1)
	v_subrev_nc_u32_e32 v60, 28, v62
	v_lshlrev_b64_e32 v[60:61], v60, v[1:2]
	v_sub_nc_u32_e32 v61, 29, v62
	s_delay_alu instid0(VALU_DEP_2)
	v_and_b32_e32 v60, 7, v60
; %bb.304:                              ;   in Loop: Header=BB285_16 Depth=1
	s_or_b32 exec_lo, exec_lo, s46
	v_lshlrev_b32_e32 v1, 8, v1
	s_delay_alu instid0(VALU_DEP_3) | instskip(NEXT) | instid1(VALU_DEP_3)
	v_lshl_add_u32 v61, v61, 10, 0x2000
	v_lshlrev_b32_e32 v60, 23, v60
	s_delay_alu instid0(VALU_DEP_2) | instskip(NEXT) | instid1(VALU_DEP_1)
	v_and_or_b32 v1, 0x8000, v1, v61
	v_lshl_or_b32 v60, v1, 16, v60
.LBB285_305:                            ;   in Loop: Header=BB285_16 Depth=1
	s_wait_alu 0xfffe
	s_or_b32 exec_lo, exec_lo, s45
.LBB285_306:                            ;   in Loop: Header=BB285_16 Depth=1
	s_wait_alu 0xfffe
	s_or_b32 exec_lo, exec_lo, s44
.LBB285_307:                            ;   in Loop: Header=BB285_16 Depth=1
	s_wait_alu 0xfffe
	s_or_b32 exec_lo, exec_lo, s43
	v_and_b32_e32 v61, 0xff, v10
	v_mov_b32_e32 v1, v10
	s_mov_b32 s43, exec_lo
	s_delay_alu instid0(VALU_DEP_2)
	v_cmpx_ne_u16_e32 0, v61
	s_cbranch_execz .LBB285_315
; %bb.308:                              ;   in Loop: Header=BB285_16 Depth=1
	v_mov_b32_e32 v59, 0x8000
	s_mov_b32 s44, exec_lo
	v_cmpx_ne_u16_e32 0x80, v61
	s_cbranch_execz .LBB285_314
; %bb.309:                              ;   in Loop: Header=BB285_16 Depth=1
	v_and_b32_e32 v62, 0x7f, v10
	v_mov_b32_e32 v59, 0x7c01
	s_mov_b32 s45, exec_lo
	s_delay_alu instid0(VALU_DEP_2)
	v_cmpx_ne_u32_e32 0x7f, v62
	s_cbranch_execz .LBB285_313
; %bb.310:                              ;   in Loop: Header=BB285_16 Depth=1
	v_and_b32_e32 v59, 7, v10
	v_lshrrev_b32_e32 v61, 3, v62
	s_mov_b32 s46, exec_lo
	v_cmpx_gt_u32_e32 8, v62
; %bb.311:                              ;   in Loop: Header=BB285_16 Depth=1
	s_delay_alu instid0(VALU_DEP_3) | instskip(NEXT) | instid1(VALU_DEP_1)
	v_clz_i32_u32_e32 v59, v59
	v_min_u32_e32 v59, 32, v59
	s_delay_alu instid0(VALU_DEP_1) | instskip(NEXT) | instid1(VALU_DEP_1)
	v_subrev_nc_u32_e32 v61, 28, v59
	v_lshlrev_b64_e32 v[62:63], v61, v[1:2]
	v_sub_nc_u32_e32 v61, 29, v59
	s_delay_alu instid0(VALU_DEP_2)
	v_and_b32_e32 v59, 7, v62
; %bb.312:                              ;   in Loop: Header=BB285_16 Depth=1
	s_or_b32 exec_lo, exec_lo, s46
	v_lshlrev_b32_e32 v62, 8, v10
	s_delay_alu instid0(VALU_DEP_3) | instskip(NEXT) | instid1(VALU_DEP_3)
	v_lshl_add_u32 v61, v61, 10, 0x2000
	v_lshlrev_b32_e32 v59, 7, v59
	s_delay_alu instid0(VALU_DEP_3) | instskip(NEXT) | instid1(VALU_DEP_3)
	v_and_b32_e32 v62, 0x8000, v62
	v_and_b32_e32 v61, 0xfc00, v61
	s_delay_alu instid0(VALU_DEP_1)
	v_or3_b32 v59, v62, v61, v59
.LBB285_313:                            ;   in Loop: Header=BB285_16 Depth=1
	s_wait_alu 0xfffe
	s_or_b32 exec_lo, exec_lo, s45
.LBB285_314:                            ;   in Loop: Header=BB285_16 Depth=1
	s_wait_alu 0xfffe
	s_or_b32 exec_lo, exec_lo, s44
.LBB285_315:                            ;   in Loop: Header=BB285_16 Depth=1
	s_wait_alu 0xfffe
	s_or_b32 exec_lo, exec_lo, s43
	v_lshrrev_b16 v1, 8, v1
	v_dual_mov_b32 v63, 0 :: v_dual_mov_b32 v62, 0
	s_mov_b32 s43, exec_lo
	s_delay_alu instid0(VALU_DEP_2)
	v_cmpx_ne_u16_e32 0, v1
	s_cbranch_execz .LBB285_323
; %bb.316:                              ;   in Loop: Header=BB285_16 Depth=1
	v_bfrev_b32_e32 v62, 1
	s_mov_b32 s44, exec_lo
	v_cmpx_ne_u16_e32 0x80, v1
	s_cbranch_execz .LBB285_322
; %bb.317:                              ;   in Loop: Header=BB285_16 Depth=1
	v_and_b32_e32 v61, 0xffff, v1
	v_mov_b32_e32 v62, 0x7c010000
	s_mov_b32 s45, exec_lo
	s_delay_alu instid0(VALU_DEP_2) | instskip(NEXT) | instid1(VALU_DEP_1)
	v_and_b32_e32 v65, 0x7f, v61
	v_cmpx_ne_u32_e32 0x7f, v65
	s_cbranch_execz .LBB285_321
; %bb.318:                              ;   in Loop: Header=BB285_16 Depth=1
	v_and_b32_e32 v62, 7, v61
	v_lshrrev_b32_e32 v64, 3, v65
	s_mov_b32 s46, exec_lo
	v_cmpx_gt_u32_e32 8, v65
; %bb.319:                              ;   in Loop: Header=BB285_16 Depth=1
	s_delay_alu instid0(VALU_DEP_3) | instskip(NEXT) | instid1(VALU_DEP_1)
	v_clz_i32_u32_e32 v62, v62
	v_min_u32_e32 v62, 32, v62
	s_delay_alu instid0(VALU_DEP_1) | instskip(NEXT) | instid1(VALU_DEP_1)
	v_subrev_nc_u32_e32 v64, 28, v62
	v_lshlrev_b64_e32 v[65:66], v64, v[1:2]
	v_sub_nc_u32_e32 v64, 29, v62
	s_delay_alu instid0(VALU_DEP_2)
	v_and_b32_e32 v62, 7, v65
; %bb.320:                              ;   in Loop: Header=BB285_16 Depth=1
	s_or_b32 exec_lo, exec_lo, s46
	v_lshlrev_b32_e32 v1, 8, v61
	s_delay_alu instid0(VALU_DEP_3) | instskip(NEXT) | instid1(VALU_DEP_1)
	v_lshl_add_u32 v61, v64, 10, 0x2000
	v_and_or_b32 v1, 0x8000, v1, v61
	v_lshlrev_b32_e32 v61, 23, v62
	s_delay_alu instid0(VALU_DEP_1)
	v_lshl_or_b32 v62, v1, 16, v61
.LBB285_321:                            ;   in Loop: Header=BB285_16 Depth=1
	s_wait_alu 0xfffe
	s_or_b32 exec_lo, exec_lo, s45
.LBB285_322:                            ;   in Loop: Header=BB285_16 Depth=1
	s_wait_alu 0xfffe
	s_or_b32 exec_lo, exec_lo, s44
.LBB285_323:                            ;   in Loop: Header=BB285_16 Depth=1
	s_wait_alu 0xfffe
	s_or_b32 exec_lo, exec_lo, s43
	v_lshrrev_b32_e32 v1, 16, v10
	s_mov_b32 s43, exec_lo
	s_delay_alu instid0(VALU_DEP_1) | instskip(NEXT) | instid1(VALU_DEP_1)
	v_and_b32_e32 v61, 0xff, v1
	v_cmpx_ne_u16_e32 0, v61
	s_cbranch_execz .LBB285_331
; %bb.324:                              ;   in Loop: Header=BB285_16 Depth=1
	v_mov_b32_e32 v63, 0x8000
	s_mov_b32 s44, exec_lo
	v_cmpx_ne_u16_e32 0x80, v61
	s_cbranch_execz .LBB285_330
; %bb.325:                              ;   in Loop: Header=BB285_16 Depth=1
	v_bfe_u32 v64, v10, 16, 7
	v_mov_b32_e32 v63, 0x7c01
	s_mov_b32 s45, exec_lo
	s_delay_alu instid0(VALU_DEP_2)
	v_cmpx_ne_u32_e32 0x7f, v64
	s_cbranch_execz .LBB285_329
; %bb.326:                              ;   in Loop: Header=BB285_16 Depth=1
	v_and_b32_e32 v61, 7, v1
	v_lshrrev_b32_e32 v63, 3, v64
	s_mov_b32 s46, exec_lo
	v_cmpx_gt_u32_e32 8, v64
; %bb.327:                              ;   in Loop: Header=BB285_16 Depth=1
	s_delay_alu instid0(VALU_DEP_3) | instskip(NEXT) | instid1(VALU_DEP_1)
	v_clz_i32_u32_e32 v61, v61
	v_min_u32_e32 v61, 32, v61
	s_delay_alu instid0(VALU_DEP_1) | instskip(NEXT) | instid1(VALU_DEP_1)
	v_subrev_nc_u32_e32 v63, 28, v61
	v_lshlrev_b64_e32 v[64:65], v63, v[1:2]
	v_sub_nc_u32_e32 v63, 29, v61
	s_delay_alu instid0(VALU_DEP_2)
	v_and_b32_e32 v61, 7, v64
; %bb.328:                              ;   in Loop: Header=BB285_16 Depth=1
	s_or_b32 exec_lo, exec_lo, s46
	v_lshlrev_b32_e32 v1, 8, v1
	s_delay_alu instid0(VALU_DEP_3) | instskip(NEXT) | instid1(VALU_DEP_3)
	v_lshl_add_u32 v63, v63, 10, 0x2000
	v_lshlrev_b32_e32 v61, 7, v61
	s_delay_alu instid0(VALU_DEP_3) | instskip(NEXT) | instid1(VALU_DEP_3)
	v_and_b32_e32 v1, 0x8000, v1
	v_and_b32_e32 v63, 0xfc00, v63
	s_delay_alu instid0(VALU_DEP_1)
	v_or3_b32 v63, v1, v63, v61
.LBB285_329:                            ;   in Loop: Header=BB285_16 Depth=1
	s_wait_alu 0xfffe
	s_or_b32 exec_lo, exec_lo, s45
.LBB285_330:                            ;   in Loop: Header=BB285_16 Depth=1
	s_wait_alu 0xfffe
	s_or_b32 exec_lo, exec_lo, s44
.LBB285_331:                            ;   in Loop: Header=BB285_16 Depth=1
	s_wait_alu 0xfffe
	s_or_b32 exec_lo, exec_lo, s43
	v_dual_mov_b32 v61, 0 :: v_dual_mov_b32 v64, 0
	s_mov_b32 s43, exec_lo
	v_cmpx_lt_u64_e64 s[14:15], v[9:10]
	s_cbranch_execz .LBB285_339
; %bb.332:                              ;   in Loop: Header=BB285_16 Depth=1
	v_lshrrev_b32_e32 v1, 24, v10
	v_bfrev_b32_e32 v64, 1
	s_mov_b32 s44, exec_lo
	s_delay_alu instid0(VALU_DEP_2)
	v_cmpx_ne_u32_e32 0x80, v1
	s_cbranch_execz .LBB285_338
; %bb.333:                              ;   in Loop: Header=BB285_16 Depth=1
	v_and_b32_e32 v65, 0x7f, v1
	v_mov_b32_e32 v64, 0x7c010000
	s_mov_b32 s45, exec_lo
	s_delay_alu instid0(VALU_DEP_2)
	v_cmpx_ne_u32_e32 0x7f, v65
	s_cbranch_execz .LBB285_337
; %bb.334:                              ;   in Loop: Header=BB285_16 Depth=1
	v_and_b32_e32 v9, 7, v1
	v_lshrrev_b32_e32 v10, 3, v65
	s_mov_b32 s46, exec_lo
	v_cmpx_gt_u32_e32 8, v65
; %bb.335:                              ;   in Loop: Header=BB285_16 Depth=1
	s_delay_alu instid0(VALU_DEP_3) | instskip(NEXT) | instid1(VALU_DEP_1)
	v_clz_i32_u32_e32 v9, v9
	v_min_u32_e32 v64, 32, v9
	s_delay_alu instid0(VALU_DEP_1) | instskip(NEXT) | instid1(VALU_DEP_1)
	v_subrev_nc_u32_e32 v9, 28, v64
	v_lshlrev_b64_e32 v[9:10], v9, v[1:2]
	v_sub_nc_u32_e32 v10, 29, v64
	s_delay_alu instid0(VALU_DEP_2)
	v_and_b32_e32 v9, 7, v9
; %bb.336:                              ;   in Loop: Header=BB285_16 Depth=1
	s_or_b32 exec_lo, exec_lo, s46
	v_lshlrev_b32_e32 v1, 8, v1
	s_delay_alu instid0(VALU_DEP_3) | instskip(NEXT) | instid1(VALU_DEP_3)
	v_lshl_add_u32 v10, v10, 10, 0x2000
	v_lshlrev_b32_e32 v9, 23, v9
	s_delay_alu instid0(VALU_DEP_2) | instskip(NEXT) | instid1(VALU_DEP_1)
	v_and_or_b32 v1, 0x8000, v1, v10
	v_lshl_or_b32 v64, v1, 16, v9
.LBB285_337:                            ;   in Loop: Header=BB285_16 Depth=1
	s_wait_alu 0xfffe
	s_or_b32 exec_lo, exec_lo, s45
.LBB285_338:                            ;   in Loop: Header=BB285_16 Depth=1
	s_wait_alu 0xfffe
	s_or_b32 exec_lo, exec_lo, s44
.LBB285_339:                            ;   in Loop: Header=BB285_16 Depth=1
	s_wait_alu 0xfffe
	s_or_b32 exec_lo, exec_lo, s43
	global_load_b64 v[9:10], v[7:8], off offset:1032
	s_mov_b32 s43, exec_lo
	s_wait_loadcnt 0x0
	v_and_b32_e32 v1, 0xff, v9
	s_delay_alu instid0(VALU_DEP_1)
	v_cmpx_ne_u16_e32 0, v1
	s_cbranch_execz .LBB285_347
; %bb.340:                              ;   in Loop: Header=BB285_16 Depth=1
	v_mov_b32_e32 v61, 0x8000
	s_mov_b32 s44, exec_lo
	v_cmpx_ne_u16_e32 0x80, v1
	s_cbranch_execz .LBB285_346
; %bb.341:                              ;   in Loop: Header=BB285_16 Depth=1
	v_and_b32_e32 v65, 0x7f, v9
	v_mov_b32_e32 v61, 0x7c01
	s_mov_b32 s45, exec_lo
	s_delay_alu instid0(VALU_DEP_2)
	v_cmpx_ne_u32_e32 0x7f, v65
	s_cbranch_execz .LBB285_345
; %bb.342:                              ;   in Loop: Header=BB285_16 Depth=1
	v_and_b32_e32 v1, 7, v9
	v_lshrrev_b32_e32 v61, 3, v65
	s_mov_b32 s46, exec_lo
	v_cmpx_gt_u32_e32 8, v65
; %bb.343:                              ;   in Loop: Header=BB285_16 Depth=1
	s_delay_alu instid0(VALU_DEP_3) | instskip(NEXT) | instid1(VALU_DEP_1)
	v_clz_i32_u32_e32 v1, v1
	v_min_u32_e32 v1, 32, v1
	s_delay_alu instid0(VALU_DEP_1) | instskip(NEXT) | instid1(VALU_DEP_1)
	v_subrev_nc_u32_e32 v61, 28, v1
	v_lshlrev_b64_e32 v[65:66], v61, v[9:10]
	v_sub_nc_u32_e32 v61, 29, v1
	s_delay_alu instid0(VALU_DEP_2)
	v_and_b32_e32 v1, 7, v65
; %bb.344:                              ;   in Loop: Header=BB285_16 Depth=1
	s_or_b32 exec_lo, exec_lo, s46
	v_lshlrev_b32_e32 v65, 8, v9
	s_delay_alu instid0(VALU_DEP_3) | instskip(NEXT) | instid1(VALU_DEP_3)
	v_lshl_add_u32 v61, v61, 10, 0x2000
	v_lshlrev_b32_e32 v1, 7, v1
	s_delay_alu instid0(VALU_DEP_3) | instskip(NEXT) | instid1(VALU_DEP_3)
	v_and_b32_e32 v65, 0x8000, v65
	v_and_b32_e32 v61, 0xfc00, v61
	s_delay_alu instid0(VALU_DEP_1)
	v_or3_b32 v61, v65, v61, v1
.LBB285_345:                            ;   in Loop: Header=BB285_16 Depth=1
	s_wait_alu 0xfffe
	s_or_b32 exec_lo, exec_lo, s45
.LBB285_346:                            ;   in Loop: Header=BB285_16 Depth=1
	s_wait_alu 0xfffe
	s_or_b32 exec_lo, exec_lo, s44
.LBB285_347:                            ;   in Loop: Header=BB285_16 Depth=1
	s_wait_alu 0xfffe
	s_or_b32 exec_lo, exec_lo, s43
	v_lshrrev_b16 v1, 8, v9
	v_dual_mov_b32 v66, 0 :: v_dual_mov_b32 v65, 0
	s_mov_b32 s43, exec_lo
	s_delay_alu instid0(VALU_DEP_2)
	v_cmpx_ne_u16_e32 0, v1
	s_cbranch_execz .LBB285_355
; %bb.348:                              ;   in Loop: Header=BB285_16 Depth=1
	v_bfrev_b32_e32 v65, 1
	s_mov_b32 s44, exec_lo
	v_cmpx_ne_u16_e32 0x80, v1
	s_cbranch_execz .LBB285_354
; %bb.349:                              ;   in Loop: Header=BB285_16 Depth=1
	v_and_b32_e32 v67, 0xffff, v1
	v_mov_b32_e32 v65, 0x7c010000
	s_mov_b32 s45, exec_lo
	s_delay_alu instid0(VALU_DEP_2) | instskip(NEXT) | instid1(VALU_DEP_1)
	v_and_b32_e32 v69, 0x7f, v67
	v_cmpx_ne_u32_e32 0x7f, v69
	s_cbranch_execz .LBB285_353
; %bb.350:                              ;   in Loop: Header=BB285_16 Depth=1
	v_and_b32_e32 v65, 7, v67
	v_lshrrev_b32_e32 v68, 3, v69
	s_mov_b32 s46, exec_lo
	v_cmpx_gt_u32_e32 8, v69
; %bb.351:                              ;   in Loop: Header=BB285_16 Depth=1
	s_delay_alu instid0(VALU_DEP_3) | instskip(NEXT) | instid1(VALU_DEP_1)
	v_clz_i32_u32_e32 v65, v65
	v_min_u32_e32 v65, 32, v65
	s_delay_alu instid0(VALU_DEP_1) | instskip(NEXT) | instid1(VALU_DEP_1)
	v_subrev_nc_u32_e32 v68, 28, v65
	v_lshlrev_b64_e32 v[69:70], v68, v[1:2]
	v_sub_nc_u32_e32 v68, 29, v65
	s_delay_alu instid0(VALU_DEP_2)
	v_and_b32_e32 v65, 7, v69
; %bb.352:                              ;   in Loop: Header=BB285_16 Depth=1
	s_or_b32 exec_lo, exec_lo, s46
	v_lshlrev_b32_e32 v1, 8, v67
	s_delay_alu instid0(VALU_DEP_3) | instskip(NEXT) | instid1(VALU_DEP_3)
	v_lshl_add_u32 v67, v68, 10, 0x2000
	v_lshlrev_b32_e32 v65, 23, v65
	s_delay_alu instid0(VALU_DEP_2) | instskip(NEXT) | instid1(VALU_DEP_1)
	v_and_or_b32 v1, 0x8000, v1, v67
	v_lshl_or_b32 v65, v1, 16, v65
.LBB285_353:                            ;   in Loop: Header=BB285_16 Depth=1
	s_wait_alu 0xfffe
	s_or_b32 exec_lo, exec_lo, s45
.LBB285_354:                            ;   in Loop: Header=BB285_16 Depth=1
	s_wait_alu 0xfffe
	s_or_b32 exec_lo, exec_lo, s44
.LBB285_355:                            ;   in Loop: Header=BB285_16 Depth=1
	s_wait_alu 0xfffe
	s_or_b32 exec_lo, exec_lo, s43
	v_lshrrev_b32_e32 v1, 16, v9
	s_mov_b32 s43, exec_lo
	s_delay_alu instid0(VALU_DEP_1) | instskip(NEXT) | instid1(VALU_DEP_1)
	v_and_b32_e32 v67, 0xff, v1
	v_cmpx_ne_u16_e32 0, v67
	s_cbranch_execz .LBB285_363
; %bb.356:                              ;   in Loop: Header=BB285_16 Depth=1
	v_mov_b32_e32 v66, 0x8000
	s_mov_b32 s44, exec_lo
	v_cmpx_ne_u16_e32 0x80, v67
	s_cbranch_execz .LBB285_362
; %bb.357:                              ;   in Loop: Header=BB285_16 Depth=1
	v_bfe_u32 v68, v9, 16, 7
	v_mov_b32_e32 v66, 0x7c01
	s_mov_b32 s45, exec_lo
	s_delay_alu instid0(VALU_DEP_2)
	v_cmpx_ne_u32_e32 0x7f, v68
	s_cbranch_execz .LBB285_361
; %bb.358:                              ;   in Loop: Header=BB285_16 Depth=1
	v_and_b32_e32 v66, 7, v1
	v_lshrrev_b32_e32 v67, 3, v68
	s_mov_b32 s46, exec_lo
	v_cmpx_gt_u32_e32 8, v68
; %bb.359:                              ;   in Loop: Header=BB285_16 Depth=1
	s_delay_alu instid0(VALU_DEP_3) | instskip(NEXT) | instid1(VALU_DEP_1)
	v_clz_i32_u32_e32 v66, v66
	v_min_u32_e32 v68, 32, v66
	s_delay_alu instid0(VALU_DEP_1) | instskip(NEXT) | instid1(VALU_DEP_1)
	v_subrev_nc_u32_e32 v66, 28, v68
	v_lshlrev_b64_e32 v[66:67], v66, v[1:2]
	v_sub_nc_u32_e32 v67, 29, v68
	s_delay_alu instid0(VALU_DEP_2)
	v_and_b32_e32 v66, 7, v66
; %bb.360:                              ;   in Loop: Header=BB285_16 Depth=1
	s_or_b32 exec_lo, exec_lo, s46
	v_lshlrev_b32_e32 v1, 8, v1
	s_delay_alu instid0(VALU_DEP_3) | instskip(NEXT) | instid1(VALU_DEP_3)
	v_lshl_add_u32 v67, v67, 10, 0x2000
	v_lshlrev_b32_e32 v66, 7, v66
	s_delay_alu instid0(VALU_DEP_3) | instskip(NEXT) | instid1(VALU_DEP_3)
	v_and_b32_e32 v1, 0x8000, v1
	v_and_b32_e32 v67, 0xfc00, v67
	s_delay_alu instid0(VALU_DEP_1)
	v_or3_b32 v66, v1, v67, v66
.LBB285_361:                            ;   in Loop: Header=BB285_16 Depth=1
	s_wait_alu 0xfffe
	s_or_b32 exec_lo, exec_lo, s45
.LBB285_362:                            ;   in Loop: Header=BB285_16 Depth=1
	s_wait_alu 0xfffe
	s_or_b32 exec_lo, exec_lo, s44
.LBB285_363:                            ;   in Loop: Header=BB285_16 Depth=1
	s_wait_alu 0xfffe
	s_or_b32 exec_lo, exec_lo, s43
	v_dual_mov_b32 v67, 0 :: v_dual_mov_b32 v68, 0
	s_mov_b32 s43, exec_lo
	v_cmpx_lt_u32_e32 0xffffff, v9
	s_cbranch_execz .LBB285_371
; %bb.364:                              ;   in Loop: Header=BB285_16 Depth=1
	v_lshrrev_b32_e32 v1, 24, v9
	v_bfrev_b32_e32 v68, 1
	s_mov_b32 s44, exec_lo
	s_delay_alu instid0(VALU_DEP_2)
	v_cmpx_ne_u32_e32 0x80, v1
	s_cbranch_execz .LBB285_370
; %bb.365:                              ;   in Loop: Header=BB285_16 Depth=1
	v_and_b32_e32 v70, 0x7f, v1
	v_mov_b32_e32 v68, 0x7c010000
	s_mov_b32 s45, exec_lo
	s_delay_alu instid0(VALU_DEP_2)
	v_cmpx_ne_u32_e32 0x7f, v70
	s_cbranch_execz .LBB285_369
; %bb.366:                              ;   in Loop: Header=BB285_16 Depth=1
	v_and_b32_e32 v68, 7, v1
	v_lshrrev_b32_e32 v69, 3, v70
	s_mov_b32 s46, exec_lo
	v_cmpx_gt_u32_e32 8, v70
; %bb.367:                              ;   in Loop: Header=BB285_16 Depth=1
	s_delay_alu instid0(VALU_DEP_3) | instskip(NEXT) | instid1(VALU_DEP_1)
	v_clz_i32_u32_e32 v68, v68
	v_min_u32_e32 v70, 32, v68
	s_delay_alu instid0(VALU_DEP_1) | instskip(NEXT) | instid1(VALU_DEP_1)
	v_subrev_nc_u32_e32 v68, 28, v70
	v_lshlrev_b64_e32 v[68:69], v68, v[1:2]
	v_sub_nc_u32_e32 v69, 29, v70
	s_delay_alu instid0(VALU_DEP_2)
	v_and_b32_e32 v68, 7, v68
; %bb.368:                              ;   in Loop: Header=BB285_16 Depth=1
	s_or_b32 exec_lo, exec_lo, s46
	v_lshlrev_b32_e32 v1, 8, v1
	s_delay_alu instid0(VALU_DEP_3) | instskip(NEXT) | instid1(VALU_DEP_3)
	v_lshl_add_u32 v69, v69, 10, 0x2000
	v_lshlrev_b32_e32 v68, 23, v68
	s_delay_alu instid0(VALU_DEP_2) | instskip(NEXT) | instid1(VALU_DEP_1)
	v_and_or_b32 v1, 0x8000, v1, v69
	v_lshl_or_b32 v68, v1, 16, v68
.LBB285_369:                            ;   in Loop: Header=BB285_16 Depth=1
	s_wait_alu 0xfffe
	s_or_b32 exec_lo, exec_lo, s45
.LBB285_370:                            ;   in Loop: Header=BB285_16 Depth=1
	s_wait_alu 0xfffe
	s_or_b32 exec_lo, exec_lo, s44
.LBB285_371:                            ;   in Loop: Header=BB285_16 Depth=1
	s_wait_alu 0xfffe
	s_or_b32 exec_lo, exec_lo, s43
	v_and_b32_e32 v69, 0xff, v10
	v_mov_b32_e32 v1, v10
	s_mov_b32 s43, exec_lo
	s_delay_alu instid0(VALU_DEP_2)
	v_cmpx_ne_u16_e32 0, v69
	s_cbranch_execz .LBB285_379
; %bb.372:                              ;   in Loop: Header=BB285_16 Depth=1
	v_mov_b32_e32 v67, 0x8000
	s_mov_b32 s44, exec_lo
	v_cmpx_ne_u16_e32 0x80, v69
	s_cbranch_execz .LBB285_378
; %bb.373:                              ;   in Loop: Header=BB285_16 Depth=1
	v_and_b32_e32 v70, 0x7f, v10
	v_mov_b32_e32 v67, 0x7c01
	s_mov_b32 s45, exec_lo
	s_delay_alu instid0(VALU_DEP_2)
	v_cmpx_ne_u32_e32 0x7f, v70
	s_cbranch_execz .LBB285_377
; %bb.374:                              ;   in Loop: Header=BB285_16 Depth=1
	v_and_b32_e32 v67, 7, v10
	v_lshrrev_b32_e32 v69, 3, v70
	s_mov_b32 s46, exec_lo
	v_cmpx_gt_u32_e32 8, v70
; %bb.375:                              ;   in Loop: Header=BB285_16 Depth=1
	s_delay_alu instid0(VALU_DEP_3) | instskip(NEXT) | instid1(VALU_DEP_1)
	v_clz_i32_u32_e32 v67, v67
	v_min_u32_e32 v67, 32, v67
	s_delay_alu instid0(VALU_DEP_1) | instskip(NEXT) | instid1(VALU_DEP_1)
	v_subrev_nc_u32_e32 v69, 28, v67
	v_lshlrev_b64_e32 v[70:71], v69, v[1:2]
	v_sub_nc_u32_e32 v69, 29, v67
	s_delay_alu instid0(VALU_DEP_2)
	v_and_b32_e32 v67, 7, v70
; %bb.376:                              ;   in Loop: Header=BB285_16 Depth=1
	s_or_b32 exec_lo, exec_lo, s46
	v_lshlrev_b32_e32 v70, 8, v10
	s_delay_alu instid0(VALU_DEP_3) | instskip(NEXT) | instid1(VALU_DEP_3)
	v_lshl_add_u32 v69, v69, 10, 0x2000
	v_lshlrev_b32_e32 v67, 7, v67
	s_delay_alu instid0(VALU_DEP_3) | instskip(NEXT) | instid1(VALU_DEP_3)
	v_and_b32_e32 v70, 0x8000, v70
	v_and_b32_e32 v69, 0xfc00, v69
	s_delay_alu instid0(VALU_DEP_1)
	v_or3_b32 v67, v70, v69, v67
.LBB285_377:                            ;   in Loop: Header=BB285_16 Depth=1
	s_wait_alu 0xfffe
	s_or_b32 exec_lo, exec_lo, s45
.LBB285_378:                            ;   in Loop: Header=BB285_16 Depth=1
	s_wait_alu 0xfffe
	s_or_b32 exec_lo, exec_lo, s44
.LBB285_379:                            ;   in Loop: Header=BB285_16 Depth=1
	s_wait_alu 0xfffe
	s_or_b32 exec_lo, exec_lo, s43
	v_lshrrev_b16 v1, 8, v1
	v_dual_mov_b32 v71, 0 :: v_dual_mov_b32 v70, 0
	s_mov_b32 s43, exec_lo
	s_delay_alu instid0(VALU_DEP_2)
	v_cmpx_ne_u16_e32 0, v1
	s_cbranch_execz .LBB285_387
; %bb.380:                              ;   in Loop: Header=BB285_16 Depth=1
	v_bfrev_b32_e32 v70, 1
	s_mov_b32 s44, exec_lo
	v_cmpx_ne_u16_e32 0x80, v1
	s_cbranch_execz .LBB285_386
; %bb.381:                              ;   in Loop: Header=BB285_16 Depth=1
	v_and_b32_e32 v69, 0xffff, v1
	v_mov_b32_e32 v70, 0x7c010000
	s_mov_b32 s45, exec_lo
	s_delay_alu instid0(VALU_DEP_2) | instskip(NEXT) | instid1(VALU_DEP_1)
	v_and_b32_e32 v73, 0x7f, v69
	v_cmpx_ne_u32_e32 0x7f, v73
	s_cbranch_execz .LBB285_385
; %bb.382:                              ;   in Loop: Header=BB285_16 Depth=1
	v_and_b32_e32 v70, 7, v69
	v_lshrrev_b32_e32 v72, 3, v73
	s_mov_b32 s46, exec_lo
	v_cmpx_gt_u32_e32 8, v73
; %bb.383:                              ;   in Loop: Header=BB285_16 Depth=1
	s_delay_alu instid0(VALU_DEP_3) | instskip(NEXT) | instid1(VALU_DEP_1)
	v_clz_i32_u32_e32 v70, v70
	v_min_u32_e32 v70, 32, v70
	s_delay_alu instid0(VALU_DEP_1) | instskip(NEXT) | instid1(VALU_DEP_1)
	v_subrev_nc_u32_e32 v72, 28, v70
	v_lshlrev_b64_e32 v[73:74], v72, v[1:2]
	v_sub_nc_u32_e32 v72, 29, v70
	s_delay_alu instid0(VALU_DEP_2)
	v_and_b32_e32 v70, 7, v73
; %bb.384:                              ;   in Loop: Header=BB285_16 Depth=1
	s_or_b32 exec_lo, exec_lo, s46
	v_lshlrev_b32_e32 v1, 8, v69
	s_delay_alu instid0(VALU_DEP_3) | instskip(NEXT) | instid1(VALU_DEP_1)
	v_lshl_add_u32 v69, v72, 10, 0x2000
	v_and_or_b32 v1, 0x8000, v1, v69
	v_lshlrev_b32_e32 v69, 23, v70
	s_delay_alu instid0(VALU_DEP_1)
	v_lshl_or_b32 v70, v1, 16, v69
.LBB285_385:                            ;   in Loop: Header=BB285_16 Depth=1
	s_wait_alu 0xfffe
	s_or_b32 exec_lo, exec_lo, s45
.LBB285_386:                            ;   in Loop: Header=BB285_16 Depth=1
	s_wait_alu 0xfffe
	s_or_b32 exec_lo, exec_lo, s44
.LBB285_387:                            ;   in Loop: Header=BB285_16 Depth=1
	s_wait_alu 0xfffe
	s_or_b32 exec_lo, exec_lo, s43
	v_lshrrev_b32_e32 v1, 16, v10
	s_mov_b32 s43, exec_lo
	s_delay_alu instid0(VALU_DEP_1) | instskip(NEXT) | instid1(VALU_DEP_1)
	v_and_b32_e32 v69, 0xff, v1
	v_cmpx_ne_u16_e32 0, v69
	s_cbranch_execz .LBB285_395
; %bb.388:                              ;   in Loop: Header=BB285_16 Depth=1
	v_mov_b32_e32 v71, 0x8000
	s_mov_b32 s44, exec_lo
	v_cmpx_ne_u16_e32 0x80, v69
	s_cbranch_execz .LBB285_394
; %bb.389:                              ;   in Loop: Header=BB285_16 Depth=1
	v_bfe_u32 v72, v10, 16, 7
	v_mov_b32_e32 v71, 0x7c01
	s_mov_b32 s45, exec_lo
	s_delay_alu instid0(VALU_DEP_2)
	v_cmpx_ne_u32_e32 0x7f, v72
	s_cbranch_execz .LBB285_393
; %bb.390:                              ;   in Loop: Header=BB285_16 Depth=1
	v_and_b32_e32 v69, 7, v1
	v_lshrrev_b32_e32 v71, 3, v72
	s_mov_b32 s46, exec_lo
	v_cmpx_gt_u32_e32 8, v72
; %bb.391:                              ;   in Loop: Header=BB285_16 Depth=1
	s_delay_alu instid0(VALU_DEP_3) | instskip(NEXT) | instid1(VALU_DEP_1)
	v_clz_i32_u32_e32 v69, v69
	v_min_u32_e32 v69, 32, v69
	s_delay_alu instid0(VALU_DEP_1) | instskip(NEXT) | instid1(VALU_DEP_1)
	v_subrev_nc_u32_e32 v71, 28, v69
	v_lshlrev_b64_e32 v[72:73], v71, v[1:2]
	v_sub_nc_u32_e32 v71, 29, v69
	s_delay_alu instid0(VALU_DEP_2)
	v_and_b32_e32 v69, 7, v72
; %bb.392:                              ;   in Loop: Header=BB285_16 Depth=1
	s_or_b32 exec_lo, exec_lo, s46
	v_lshlrev_b32_e32 v1, 8, v1
	s_delay_alu instid0(VALU_DEP_3) | instskip(NEXT) | instid1(VALU_DEP_3)
	v_lshl_add_u32 v71, v71, 10, 0x2000
	v_lshlrev_b32_e32 v69, 7, v69
	s_delay_alu instid0(VALU_DEP_3) | instskip(NEXT) | instid1(VALU_DEP_3)
	v_and_b32_e32 v1, 0x8000, v1
	v_and_b32_e32 v71, 0xfc00, v71
	s_delay_alu instid0(VALU_DEP_1)
	v_or3_b32 v71, v1, v71, v69
.LBB285_393:                            ;   in Loop: Header=BB285_16 Depth=1
	s_wait_alu 0xfffe
	s_or_b32 exec_lo, exec_lo, s45
.LBB285_394:                            ;   in Loop: Header=BB285_16 Depth=1
	s_wait_alu 0xfffe
	s_or_b32 exec_lo, exec_lo, s44
.LBB285_395:                            ;   in Loop: Header=BB285_16 Depth=1
	s_wait_alu 0xfffe
	s_or_b32 exec_lo, exec_lo, s43
	v_dual_mov_b32 v69, 0 :: v_dual_mov_b32 v72, 0
	s_mov_b32 s43, exec_lo
	v_cmpx_lt_u64_e64 s[14:15], v[9:10]
	s_cbranch_execz .LBB285_403
; %bb.396:                              ;   in Loop: Header=BB285_16 Depth=1
	v_lshrrev_b32_e32 v1, 24, v10
	v_bfrev_b32_e32 v72, 1
	s_mov_b32 s44, exec_lo
	s_delay_alu instid0(VALU_DEP_2)
	v_cmpx_ne_u32_e32 0x80, v1
	s_cbranch_execz .LBB285_402
; %bb.397:                              ;   in Loop: Header=BB285_16 Depth=1
	v_and_b32_e32 v73, 0x7f, v1
	v_mov_b32_e32 v72, 0x7c010000
	s_mov_b32 s45, exec_lo
	s_delay_alu instid0(VALU_DEP_2)
	v_cmpx_ne_u32_e32 0x7f, v73
	s_cbranch_execz .LBB285_401
; %bb.398:                              ;   in Loop: Header=BB285_16 Depth=1
	v_and_b32_e32 v9, 7, v1
	v_lshrrev_b32_e32 v10, 3, v73
	s_mov_b32 s46, exec_lo
	v_cmpx_gt_u32_e32 8, v73
; %bb.399:                              ;   in Loop: Header=BB285_16 Depth=1
	s_delay_alu instid0(VALU_DEP_3) | instskip(NEXT) | instid1(VALU_DEP_1)
	v_clz_i32_u32_e32 v9, v9
	v_min_u32_e32 v72, 32, v9
	s_delay_alu instid0(VALU_DEP_1) | instskip(NEXT) | instid1(VALU_DEP_1)
	v_subrev_nc_u32_e32 v9, 28, v72
	v_lshlrev_b64_e32 v[9:10], v9, v[1:2]
	v_sub_nc_u32_e32 v10, 29, v72
	s_delay_alu instid0(VALU_DEP_2)
	v_and_b32_e32 v9, 7, v9
; %bb.400:                              ;   in Loop: Header=BB285_16 Depth=1
	s_or_b32 exec_lo, exec_lo, s46
	v_lshlrev_b32_e32 v1, 8, v1
	s_delay_alu instid0(VALU_DEP_3) | instskip(NEXT) | instid1(VALU_DEP_3)
	v_lshl_add_u32 v10, v10, 10, 0x2000
	v_lshlrev_b32_e32 v9, 23, v9
	s_delay_alu instid0(VALU_DEP_2) | instskip(NEXT) | instid1(VALU_DEP_1)
	v_and_or_b32 v1, 0x8000, v1, v10
	v_lshl_or_b32 v72, v1, 16, v9
.LBB285_401:                            ;   in Loop: Header=BB285_16 Depth=1
	s_wait_alu 0xfffe
	s_or_b32 exec_lo, exec_lo, s45
.LBB285_402:                            ;   in Loop: Header=BB285_16 Depth=1
	s_wait_alu 0xfffe
	s_or_b32 exec_lo, exec_lo, s44
.LBB285_403:                            ;   in Loop: Header=BB285_16 Depth=1
	s_wait_alu 0xfffe
	s_or_b32 exec_lo, exec_lo, s43
	global_load_b64 v[9:10], v[7:8], off offset:1536
	s_mov_b32 s43, exec_lo
	s_wait_loadcnt 0x0
	v_and_b32_e32 v1, 0xff, v9
	s_delay_alu instid0(VALU_DEP_1)
	v_cmpx_ne_u16_e32 0, v1
	s_cbranch_execz .LBB285_411
; %bb.404:                              ;   in Loop: Header=BB285_16 Depth=1
	v_mov_b32_e32 v69, 0x8000
	s_mov_b32 s44, exec_lo
	v_cmpx_ne_u16_e32 0x80, v1
	s_cbranch_execz .LBB285_410
; %bb.405:                              ;   in Loop: Header=BB285_16 Depth=1
	v_and_b32_e32 v73, 0x7f, v9
	v_mov_b32_e32 v69, 0x7c01
	s_mov_b32 s45, exec_lo
	s_delay_alu instid0(VALU_DEP_2)
	v_cmpx_ne_u32_e32 0x7f, v73
	s_cbranch_execz .LBB285_409
; %bb.406:                              ;   in Loop: Header=BB285_16 Depth=1
	v_and_b32_e32 v1, 7, v9
	v_lshrrev_b32_e32 v69, 3, v73
	s_mov_b32 s46, exec_lo
	v_cmpx_gt_u32_e32 8, v73
; %bb.407:                              ;   in Loop: Header=BB285_16 Depth=1
	s_delay_alu instid0(VALU_DEP_3) | instskip(NEXT) | instid1(VALU_DEP_1)
	v_clz_i32_u32_e32 v1, v1
	v_min_u32_e32 v1, 32, v1
	s_delay_alu instid0(VALU_DEP_1) | instskip(NEXT) | instid1(VALU_DEP_1)
	v_subrev_nc_u32_e32 v69, 28, v1
	v_lshlrev_b64_e32 v[73:74], v69, v[9:10]
	v_sub_nc_u32_e32 v69, 29, v1
	s_delay_alu instid0(VALU_DEP_2)
	v_and_b32_e32 v1, 7, v73
; %bb.408:                              ;   in Loop: Header=BB285_16 Depth=1
	s_or_b32 exec_lo, exec_lo, s46
	v_lshlrev_b32_e32 v73, 8, v9
	s_delay_alu instid0(VALU_DEP_3) | instskip(NEXT) | instid1(VALU_DEP_3)
	v_lshl_add_u32 v69, v69, 10, 0x2000
	v_lshlrev_b32_e32 v1, 7, v1
	s_delay_alu instid0(VALU_DEP_3) | instskip(NEXT) | instid1(VALU_DEP_3)
	v_and_b32_e32 v73, 0x8000, v73
	v_and_b32_e32 v69, 0xfc00, v69
	s_delay_alu instid0(VALU_DEP_1)
	v_or3_b32 v69, v73, v69, v1
.LBB285_409:                            ;   in Loop: Header=BB285_16 Depth=1
	s_wait_alu 0xfffe
	s_or_b32 exec_lo, exec_lo, s45
.LBB285_410:                            ;   in Loop: Header=BB285_16 Depth=1
	s_wait_alu 0xfffe
	s_or_b32 exec_lo, exec_lo, s44
.LBB285_411:                            ;   in Loop: Header=BB285_16 Depth=1
	s_wait_alu 0xfffe
	s_or_b32 exec_lo, exec_lo, s43
	v_lshrrev_b16 v1, 8, v9
	v_dual_mov_b32 v76, 0 :: v_dual_mov_b32 v73, 0
	s_mov_b32 s43, exec_lo
	s_delay_alu instid0(VALU_DEP_2)
	v_cmpx_ne_u16_e32 0, v1
	s_cbranch_execz .LBB285_419
; %bb.412:                              ;   in Loop: Header=BB285_16 Depth=1
	v_bfrev_b32_e32 v73, 1
	s_mov_b32 s44, exec_lo
	v_cmpx_ne_u16_e32 0x80, v1
	s_cbranch_execz .LBB285_418
; %bb.413:                              ;   in Loop: Header=BB285_16 Depth=1
	v_and_b32_e32 v74, 0xffff, v1
	v_mov_b32_e32 v73, 0x7c010000
	s_mov_b32 s45, exec_lo
	s_delay_alu instid0(VALU_DEP_2) | instskip(NEXT) | instid1(VALU_DEP_1)
	v_and_b32_e32 v77, 0x7f, v74
	v_cmpx_ne_u32_e32 0x7f, v77
	s_cbranch_execz .LBB285_417
; %bb.414:                              ;   in Loop: Header=BB285_16 Depth=1
	v_and_b32_e32 v73, 7, v74
	v_lshrrev_b32_e32 v75, 3, v77
	s_mov_b32 s46, exec_lo
	v_cmpx_gt_u32_e32 8, v77
; %bb.415:                              ;   in Loop: Header=BB285_16 Depth=1
	s_delay_alu instid0(VALU_DEP_3) | instskip(NEXT) | instid1(VALU_DEP_1)
	v_clz_i32_u32_e32 v73, v73
	v_min_u32_e32 v73, 32, v73
	s_delay_alu instid0(VALU_DEP_1) | instskip(NEXT) | instid1(VALU_DEP_1)
	v_subrev_nc_u32_e32 v75, 28, v73
	v_lshlrev_b64_e32 v[77:78], v75, v[1:2]
	v_sub_nc_u32_e32 v75, 29, v73
	s_delay_alu instid0(VALU_DEP_2)
	v_and_b32_e32 v73, 7, v77
; %bb.416:                              ;   in Loop: Header=BB285_16 Depth=1
	s_or_b32 exec_lo, exec_lo, s46
	v_lshlrev_b32_e32 v1, 8, v74
	s_delay_alu instid0(VALU_DEP_3) | instskip(NEXT) | instid1(VALU_DEP_3)
	v_lshl_add_u32 v74, v75, 10, 0x2000
	v_lshlrev_b32_e32 v73, 23, v73
	s_delay_alu instid0(VALU_DEP_2) | instskip(NEXT) | instid1(VALU_DEP_1)
	v_and_or_b32 v1, 0x8000, v1, v74
	v_lshl_or_b32 v73, v1, 16, v73
.LBB285_417:                            ;   in Loop: Header=BB285_16 Depth=1
	s_wait_alu 0xfffe
	s_or_b32 exec_lo, exec_lo, s45
.LBB285_418:                            ;   in Loop: Header=BB285_16 Depth=1
	s_wait_alu 0xfffe
	s_or_b32 exec_lo, exec_lo, s44
.LBB285_419:                            ;   in Loop: Header=BB285_16 Depth=1
	s_wait_alu 0xfffe
	s_or_b32 exec_lo, exec_lo, s43
	v_lshrrev_b32_e32 v1, 16, v9
	s_mov_b32 s43, exec_lo
	s_delay_alu instid0(VALU_DEP_1) | instskip(NEXT) | instid1(VALU_DEP_1)
	v_and_b32_e32 v74, 0xff, v1
	v_cmpx_ne_u16_e32 0, v74
	s_cbranch_execz .LBB285_427
; %bb.420:                              ;   in Loop: Header=BB285_16 Depth=1
	v_mov_b32_e32 v76, 0x8000
	s_mov_b32 s44, exec_lo
	v_cmpx_ne_u16_e32 0x80, v74
	s_cbranch_execz .LBB285_426
; %bb.421:                              ;   in Loop: Header=BB285_16 Depth=1
	v_bfe_u32 v77, v9, 16, 7
	v_mov_b32_e32 v76, 0x7c01
	s_mov_b32 s45, exec_lo
	s_delay_alu instid0(VALU_DEP_2)
	v_cmpx_ne_u32_e32 0x7f, v77
	s_cbranch_execz .LBB285_425
; %bb.422:                              ;   in Loop: Header=BB285_16 Depth=1
	v_and_b32_e32 v74, 7, v1
	v_lshrrev_b32_e32 v75, 3, v77
	s_mov_b32 s46, exec_lo
	v_cmpx_gt_u32_e32 8, v77
; %bb.423:                              ;   in Loop: Header=BB285_16 Depth=1
	s_delay_alu instid0(VALU_DEP_3) | instskip(NEXT) | instid1(VALU_DEP_1)
	v_clz_i32_u32_e32 v74, v74
	v_min_u32_e32 v76, 32, v74
	s_delay_alu instid0(VALU_DEP_1) | instskip(NEXT) | instid1(VALU_DEP_1)
	v_subrev_nc_u32_e32 v74, 28, v76
	v_lshlrev_b64_e32 v[74:75], v74, v[1:2]
	v_sub_nc_u32_e32 v75, 29, v76
	s_delay_alu instid0(VALU_DEP_2)
	v_and_b32_e32 v74, 7, v74
; %bb.424:                              ;   in Loop: Header=BB285_16 Depth=1
	s_or_b32 exec_lo, exec_lo, s46
	v_lshlrev_b32_e32 v1, 8, v1
	s_delay_alu instid0(VALU_DEP_3) | instskip(NEXT) | instid1(VALU_DEP_3)
	v_lshl_add_u32 v75, v75, 10, 0x2000
	v_lshlrev_b32_e32 v74, 7, v74
	s_delay_alu instid0(VALU_DEP_3) | instskip(NEXT) | instid1(VALU_DEP_3)
	v_and_b32_e32 v1, 0x8000, v1
	v_and_b32_e32 v75, 0xfc00, v75
	s_delay_alu instid0(VALU_DEP_1)
	v_or3_b32 v76, v1, v75, v74
.LBB285_425:                            ;   in Loop: Header=BB285_16 Depth=1
	s_wait_alu 0xfffe
	s_or_b32 exec_lo, exec_lo, s45
.LBB285_426:                            ;   in Loop: Header=BB285_16 Depth=1
	s_wait_alu 0xfffe
	s_or_b32 exec_lo, exec_lo, s44
.LBB285_427:                            ;   in Loop: Header=BB285_16 Depth=1
	s_wait_alu 0xfffe
	s_or_b32 exec_lo, exec_lo, s43
	v_dual_mov_b32 v74, 0 :: v_dual_mov_b32 v75, 0
	s_mov_b32 s43, exec_lo
	v_cmpx_lt_u32_e32 0xffffff, v9
	s_cbranch_execz .LBB285_435
; %bb.428:                              ;   in Loop: Header=BB285_16 Depth=1
	v_lshrrev_b32_e32 v1, 24, v9
	v_bfrev_b32_e32 v75, 1
	s_mov_b32 s44, exec_lo
	s_delay_alu instid0(VALU_DEP_2)
	v_cmpx_ne_u32_e32 0x80, v1
	s_cbranch_execz .LBB285_434
; %bb.429:                              ;   in Loop: Header=BB285_16 Depth=1
	v_and_b32_e32 v78, 0x7f, v1
	v_mov_b32_e32 v75, 0x7c010000
	s_mov_b32 s45, exec_lo
	s_delay_alu instid0(VALU_DEP_2)
	v_cmpx_ne_u32_e32 0x7f, v78
	s_cbranch_execz .LBB285_433
; %bb.430:                              ;   in Loop: Header=BB285_16 Depth=1
	v_and_b32_e32 v75, 7, v1
	v_lshrrev_b32_e32 v77, 3, v78
	s_mov_b32 s46, exec_lo
	v_cmpx_gt_u32_e32 8, v78
; %bb.431:                              ;   in Loop: Header=BB285_16 Depth=1
	s_delay_alu instid0(VALU_DEP_3) | instskip(NEXT) | instid1(VALU_DEP_1)
	v_clz_i32_u32_e32 v75, v75
	v_min_u32_e32 v75, 32, v75
	s_delay_alu instid0(VALU_DEP_1) | instskip(NEXT) | instid1(VALU_DEP_1)
	v_subrev_nc_u32_e32 v77, 28, v75
	v_lshlrev_b64_e32 v[78:79], v77, v[1:2]
	v_sub_nc_u32_e32 v77, 29, v75
	s_delay_alu instid0(VALU_DEP_2)
	v_and_b32_e32 v75, 7, v78
; %bb.432:                              ;   in Loop: Header=BB285_16 Depth=1
	s_or_b32 exec_lo, exec_lo, s46
	v_lshlrev_b32_e32 v1, 8, v1
	s_delay_alu instid0(VALU_DEP_3) | instskip(NEXT) | instid1(VALU_DEP_3)
	v_lshl_add_u32 v77, v77, 10, 0x2000
	v_lshlrev_b32_e32 v75, 23, v75
	s_delay_alu instid0(VALU_DEP_2) | instskip(NEXT) | instid1(VALU_DEP_1)
	v_and_or_b32 v1, 0x8000, v1, v77
	v_lshl_or_b32 v75, v1, 16, v75
.LBB285_433:                            ;   in Loop: Header=BB285_16 Depth=1
	s_wait_alu 0xfffe
	s_or_b32 exec_lo, exec_lo, s45
.LBB285_434:                            ;   in Loop: Header=BB285_16 Depth=1
	s_wait_alu 0xfffe
	s_or_b32 exec_lo, exec_lo, s44
.LBB285_435:                            ;   in Loop: Header=BB285_16 Depth=1
	s_wait_alu 0xfffe
	s_or_b32 exec_lo, exec_lo, s43
	v_and_b32_e32 v77, 0xff, v10
	v_mov_b32_e32 v1, v10
	s_mov_b32 s43, exec_lo
	s_delay_alu instid0(VALU_DEP_2)
	v_cmpx_ne_u16_e32 0, v77
	s_cbranch_execz .LBB285_443
; %bb.436:                              ;   in Loop: Header=BB285_16 Depth=1
	v_mov_b32_e32 v74, 0x8000
	s_mov_b32 s44, exec_lo
	v_cmpx_ne_u16_e32 0x80, v77
	s_cbranch_execz .LBB285_442
; %bb.437:                              ;   in Loop: Header=BB285_16 Depth=1
	v_and_b32_e32 v78, 0x7f, v10
	v_mov_b32_e32 v74, 0x7c01
	s_mov_b32 s45, exec_lo
	s_delay_alu instid0(VALU_DEP_2)
	v_cmpx_ne_u32_e32 0x7f, v78
	s_cbranch_execz .LBB285_441
; %bb.438:                              ;   in Loop: Header=BB285_16 Depth=1
	v_and_b32_e32 v74, 7, v10
	v_lshrrev_b32_e32 v77, 3, v78
	s_mov_b32 s46, exec_lo
	v_cmpx_gt_u32_e32 8, v78
; %bb.439:                              ;   in Loop: Header=BB285_16 Depth=1
	s_delay_alu instid0(VALU_DEP_3) | instskip(NEXT) | instid1(VALU_DEP_1)
	v_clz_i32_u32_e32 v74, v74
	v_min_u32_e32 v74, 32, v74
	s_delay_alu instid0(VALU_DEP_1) | instskip(NEXT) | instid1(VALU_DEP_1)
	v_subrev_nc_u32_e32 v77, 28, v74
	v_lshlrev_b64_e32 v[78:79], v77, v[1:2]
	v_sub_nc_u32_e32 v77, 29, v74
	s_delay_alu instid0(VALU_DEP_2)
	v_and_b32_e32 v74, 7, v78
; %bb.440:                              ;   in Loop: Header=BB285_16 Depth=1
	s_or_b32 exec_lo, exec_lo, s46
	v_lshlrev_b32_e32 v78, 8, v10
	s_delay_alu instid0(VALU_DEP_3) | instskip(NEXT) | instid1(VALU_DEP_3)
	v_lshl_add_u32 v77, v77, 10, 0x2000
	v_lshlrev_b32_e32 v74, 7, v74
	s_delay_alu instid0(VALU_DEP_3) | instskip(NEXT) | instid1(VALU_DEP_3)
	v_and_b32_e32 v78, 0x8000, v78
	v_and_b32_e32 v77, 0xfc00, v77
	s_delay_alu instid0(VALU_DEP_1)
	v_or3_b32 v74, v78, v77, v74
.LBB285_441:                            ;   in Loop: Header=BB285_16 Depth=1
	s_wait_alu 0xfffe
	s_or_b32 exec_lo, exec_lo, s45
.LBB285_442:                            ;   in Loop: Header=BB285_16 Depth=1
	s_wait_alu 0xfffe
	s_or_b32 exec_lo, exec_lo, s44
.LBB285_443:                            ;   in Loop: Header=BB285_16 Depth=1
	s_wait_alu 0xfffe
	s_or_b32 exec_lo, exec_lo, s43
	v_lshrrev_b16 v1, 8, v1
	v_dual_mov_b32 v78, 0 :: v_dual_mov_b32 v77, 0
	s_mov_b32 s43, exec_lo
	s_delay_alu instid0(VALU_DEP_2)
	v_cmpx_ne_u16_e32 0, v1
	s_cbranch_execz .LBB285_451
; %bb.444:                              ;   in Loop: Header=BB285_16 Depth=1
	v_bfrev_b32_e32 v77, 1
	s_mov_b32 s44, exec_lo
	v_cmpx_ne_u16_e32 0x80, v1
	s_cbranch_execz .LBB285_450
; %bb.445:                              ;   in Loop: Header=BB285_16 Depth=1
	v_and_b32_e32 v79, 0xffff, v1
	v_mov_b32_e32 v77, 0x7c010000
	s_mov_b32 s45, exec_lo
	s_delay_alu instid0(VALU_DEP_2) | instskip(NEXT) | instid1(VALU_DEP_1)
	v_and_b32_e32 v81, 0x7f, v79
	v_cmpx_ne_u32_e32 0x7f, v81
	s_cbranch_execz .LBB285_449
; %bb.446:                              ;   in Loop: Header=BB285_16 Depth=1
	v_and_b32_e32 v77, 7, v79
	v_lshrrev_b32_e32 v80, 3, v81
	s_mov_b32 s46, exec_lo
	v_cmpx_gt_u32_e32 8, v81
; %bb.447:                              ;   in Loop: Header=BB285_16 Depth=1
	s_delay_alu instid0(VALU_DEP_3) | instskip(NEXT) | instid1(VALU_DEP_1)
	v_clz_i32_u32_e32 v77, v77
	v_min_u32_e32 v77, 32, v77
	s_delay_alu instid0(VALU_DEP_1) | instskip(NEXT) | instid1(VALU_DEP_1)
	v_subrev_nc_u32_e32 v80, 28, v77
	v_lshlrev_b64_e32 v[81:82], v80, v[1:2]
	v_sub_nc_u32_e32 v80, 29, v77
	s_delay_alu instid0(VALU_DEP_2)
	v_and_b32_e32 v77, 7, v81
; %bb.448:                              ;   in Loop: Header=BB285_16 Depth=1
	s_or_b32 exec_lo, exec_lo, s46
	v_lshlrev_b32_e32 v1, 8, v79
	s_delay_alu instid0(VALU_DEP_3) | instskip(NEXT) | instid1(VALU_DEP_3)
	v_lshl_add_u32 v79, v80, 10, 0x2000
	v_lshlrev_b32_e32 v77, 23, v77
	s_delay_alu instid0(VALU_DEP_2) | instskip(NEXT) | instid1(VALU_DEP_1)
	v_and_or_b32 v1, 0x8000, v1, v79
	v_lshl_or_b32 v77, v1, 16, v77
.LBB285_449:                            ;   in Loop: Header=BB285_16 Depth=1
	s_wait_alu 0xfffe
	s_or_b32 exec_lo, exec_lo, s45
.LBB285_450:                            ;   in Loop: Header=BB285_16 Depth=1
	s_wait_alu 0xfffe
	s_or_b32 exec_lo, exec_lo, s44
.LBB285_451:                            ;   in Loop: Header=BB285_16 Depth=1
	s_wait_alu 0xfffe
	s_or_b32 exec_lo, exec_lo, s43
	v_lshrrev_b32_e32 v1, 16, v10
	s_mov_b32 s43, exec_lo
	s_delay_alu instid0(VALU_DEP_1) | instskip(NEXT) | instid1(VALU_DEP_1)
	v_and_b32_e32 v79, 0xff, v1
	v_cmpx_ne_u16_e32 0, v79
	s_cbranch_execz .LBB285_459
; %bb.452:                              ;   in Loop: Header=BB285_16 Depth=1
	v_mov_b32_e32 v78, 0x8000
	s_mov_b32 s44, exec_lo
	v_cmpx_ne_u16_e32 0x80, v79
	s_cbranch_execz .LBB285_458
; %bb.453:                              ;   in Loop: Header=BB285_16 Depth=1
	v_bfe_u32 v80, v10, 16, 7
	v_mov_b32_e32 v78, 0x7c01
	s_mov_b32 s45, exec_lo
	s_delay_alu instid0(VALU_DEP_2)
	v_cmpx_ne_u32_e32 0x7f, v80
	s_cbranch_execz .LBB285_457
; %bb.454:                              ;   in Loop: Header=BB285_16 Depth=1
	v_and_b32_e32 v78, 7, v1
	v_lshrrev_b32_e32 v79, 3, v80
	s_mov_b32 s46, exec_lo
	v_cmpx_gt_u32_e32 8, v80
; %bb.455:                              ;   in Loop: Header=BB285_16 Depth=1
	s_delay_alu instid0(VALU_DEP_3) | instskip(NEXT) | instid1(VALU_DEP_1)
	v_clz_i32_u32_e32 v78, v78
	v_min_u32_e32 v80, 32, v78
	s_delay_alu instid0(VALU_DEP_1) | instskip(NEXT) | instid1(VALU_DEP_1)
	v_subrev_nc_u32_e32 v78, 28, v80
	v_lshlrev_b64_e32 v[78:79], v78, v[1:2]
	v_sub_nc_u32_e32 v79, 29, v80
	s_delay_alu instid0(VALU_DEP_2)
	v_and_b32_e32 v78, 7, v78
; %bb.456:                              ;   in Loop: Header=BB285_16 Depth=1
	s_or_b32 exec_lo, exec_lo, s46
	v_lshlrev_b32_e32 v1, 8, v1
	s_delay_alu instid0(VALU_DEP_3) | instskip(NEXT) | instid1(VALU_DEP_3)
	v_lshl_add_u32 v79, v79, 10, 0x2000
	v_lshlrev_b32_e32 v78, 7, v78
	s_delay_alu instid0(VALU_DEP_3) | instskip(NEXT) | instid1(VALU_DEP_3)
	v_and_b32_e32 v1, 0x8000, v1
	v_and_b32_e32 v79, 0xfc00, v79
	s_delay_alu instid0(VALU_DEP_1)
	v_or3_b32 v78, v1, v79, v78
.LBB285_457:                            ;   in Loop: Header=BB285_16 Depth=1
	s_wait_alu 0xfffe
	s_or_b32 exec_lo, exec_lo, s45
.LBB285_458:                            ;   in Loop: Header=BB285_16 Depth=1
	s_wait_alu 0xfffe
	s_or_b32 exec_lo, exec_lo, s44
.LBB285_459:                            ;   in Loop: Header=BB285_16 Depth=1
	s_wait_alu 0xfffe
	s_or_b32 exec_lo, exec_lo, s43
	v_dual_mov_b32 v80, 0 :: v_dual_mov_b32 v79, 0
	s_mov_b32 s43, exec_lo
	v_cmpx_lt_u64_e64 s[14:15], v[9:10]
	s_cbranch_execz .LBB285_467
; %bb.460:                              ;   in Loop: Header=BB285_16 Depth=1
	v_lshrrev_b32_e32 v1, 24, v10
	v_bfrev_b32_e32 v79, 1
	s_mov_b32 s44, exec_lo
	s_delay_alu instid0(VALU_DEP_2)
	v_cmpx_ne_u32_e32 0x80, v1
	s_cbranch_execz .LBB285_466
; %bb.461:                              ;   in Loop: Header=BB285_16 Depth=1
	v_and_b32_e32 v81, 0x7f, v1
	v_mov_b32_e32 v79, 0x7c010000
	s_mov_b32 s45, exec_lo
	s_delay_alu instid0(VALU_DEP_2)
	v_cmpx_ne_u32_e32 0x7f, v81
	s_cbranch_execz .LBB285_465
; %bb.462:                              ;   in Loop: Header=BB285_16 Depth=1
	v_and_b32_e32 v9, 7, v1
	v_lshrrev_b32_e32 v10, 3, v81
	s_mov_b32 s46, exec_lo
	v_cmpx_gt_u32_e32 8, v81
; %bb.463:                              ;   in Loop: Header=BB285_16 Depth=1
	s_delay_alu instid0(VALU_DEP_3) | instskip(NEXT) | instid1(VALU_DEP_1)
	v_clz_i32_u32_e32 v9, v9
	v_min_u32_e32 v79, 32, v9
	s_delay_alu instid0(VALU_DEP_1) | instskip(NEXT) | instid1(VALU_DEP_1)
	v_subrev_nc_u32_e32 v9, 28, v79
	v_lshlrev_b64_e32 v[9:10], v9, v[1:2]
	v_sub_nc_u32_e32 v10, 29, v79
	s_delay_alu instid0(VALU_DEP_2)
	v_and_b32_e32 v9, 7, v9
; %bb.464:                              ;   in Loop: Header=BB285_16 Depth=1
	s_or_b32 exec_lo, exec_lo, s46
	v_lshlrev_b32_e32 v1, 8, v1
	s_delay_alu instid0(VALU_DEP_3) | instskip(NEXT) | instid1(VALU_DEP_3)
	v_lshl_add_u32 v10, v10, 10, 0x2000
	v_lshlrev_b32_e32 v9, 23, v9
	s_delay_alu instid0(VALU_DEP_2) | instskip(NEXT) | instid1(VALU_DEP_1)
	v_and_or_b32 v1, 0x8000, v1, v10
	v_lshl_or_b32 v79, v1, 16, v9
.LBB285_465:                            ;   in Loop: Header=BB285_16 Depth=1
	s_wait_alu 0xfffe
	s_or_b32 exec_lo, exec_lo, s45
.LBB285_466:                            ;   in Loop: Header=BB285_16 Depth=1
	s_wait_alu 0xfffe
	s_or_b32 exec_lo, exec_lo, s44
.LBB285_467:                            ;   in Loop: Header=BB285_16 Depth=1
	s_wait_alu 0xfffe
	s_or_b32 exec_lo, exec_lo, s43
	global_load_b64 v[9:10], v[7:8], off offset:1544
	s_mov_b32 s43, exec_lo
	s_wait_loadcnt 0x0
	v_and_b32_e32 v1, 0xff, v9
	s_delay_alu instid0(VALU_DEP_1)
	v_cmpx_ne_u16_e32 0, v1
	s_cbranch_execz .LBB285_475
; %bb.468:                              ;   in Loop: Header=BB285_16 Depth=1
	v_mov_b32_e32 v80, 0x8000
	s_mov_b32 s44, exec_lo
	v_cmpx_ne_u16_e32 0x80, v1
	s_cbranch_execz .LBB285_474
; %bb.469:                              ;   in Loop: Header=BB285_16 Depth=1
	v_and_b32_e32 v81, 0x7f, v9
	v_mov_b32_e32 v80, 0x7c01
	s_mov_b32 s45, exec_lo
	s_delay_alu instid0(VALU_DEP_2)
	v_cmpx_ne_u32_e32 0x7f, v81
	s_cbranch_execz .LBB285_473
; %bb.470:                              ;   in Loop: Header=BB285_16 Depth=1
	v_and_b32_e32 v1, 7, v9
	v_lshrrev_b32_e32 v80, 3, v81
	s_mov_b32 s46, exec_lo
	v_cmpx_gt_u32_e32 8, v81
; %bb.471:                              ;   in Loop: Header=BB285_16 Depth=1
	s_delay_alu instid0(VALU_DEP_3) | instskip(NEXT) | instid1(VALU_DEP_1)
	v_clz_i32_u32_e32 v1, v1
	v_min_u32_e32 v1, 32, v1
	s_delay_alu instid0(VALU_DEP_1) | instskip(NEXT) | instid1(VALU_DEP_1)
	v_subrev_nc_u32_e32 v80, 28, v1
	v_lshlrev_b64_e32 v[81:82], v80, v[9:10]
	v_sub_nc_u32_e32 v80, 29, v1
	s_delay_alu instid0(VALU_DEP_2)
	v_and_b32_e32 v1, 7, v81
; %bb.472:                              ;   in Loop: Header=BB285_16 Depth=1
	s_or_b32 exec_lo, exec_lo, s46
	v_lshlrev_b32_e32 v81, 8, v9
	s_delay_alu instid0(VALU_DEP_3) | instskip(NEXT) | instid1(VALU_DEP_3)
	v_lshl_add_u32 v80, v80, 10, 0x2000
	v_lshlrev_b32_e32 v1, 7, v1
	s_delay_alu instid0(VALU_DEP_3) | instskip(NEXT) | instid1(VALU_DEP_3)
	v_and_b32_e32 v81, 0x8000, v81
	v_and_b32_e32 v80, 0xfc00, v80
	s_delay_alu instid0(VALU_DEP_1)
	v_or3_b32 v80, v81, v80, v1
.LBB285_473:                            ;   in Loop: Header=BB285_16 Depth=1
	s_wait_alu 0xfffe
	s_or_b32 exec_lo, exec_lo, s45
.LBB285_474:                            ;   in Loop: Header=BB285_16 Depth=1
	s_wait_alu 0xfffe
	s_or_b32 exec_lo, exec_lo, s44
.LBB285_475:                            ;   in Loop: Header=BB285_16 Depth=1
	s_wait_alu 0xfffe
	s_or_b32 exec_lo, exec_lo, s43
	v_lshrrev_b16 v1, 8, v9
	v_dual_mov_b32 v86, 0 :: v_dual_mov_b32 v81, 0
	s_mov_b32 s43, exec_lo
	s_delay_alu instid0(VALU_DEP_2)
	v_cmpx_ne_u16_e32 0, v1
	s_cbranch_execz .LBB285_483
; %bb.476:                              ;   in Loop: Header=BB285_16 Depth=1
	v_bfrev_b32_e32 v81, 1
	s_mov_b32 s44, exec_lo
	v_cmpx_ne_u16_e32 0x80, v1
	s_cbranch_execz .LBB285_482
; %bb.477:                              ;   in Loop: Header=BB285_16 Depth=1
	v_and_b32_e32 v82, 0xffff, v1
	v_mov_b32_e32 v81, 0x7c010000
	s_mov_b32 s45, exec_lo
	s_delay_alu instid0(VALU_DEP_2) | instskip(NEXT) | instid1(VALU_DEP_1)
	v_and_b32_e32 v84, 0x7f, v82
	v_cmpx_ne_u32_e32 0x7f, v84
	s_cbranch_execz .LBB285_481
; %bb.478:                              ;   in Loop: Header=BB285_16 Depth=1
	v_and_b32_e32 v81, 7, v82
	v_lshrrev_b32_e32 v83, 3, v84
	s_mov_b32 s46, exec_lo
	v_cmpx_gt_u32_e32 8, v84
; %bb.479:                              ;   in Loop: Header=BB285_16 Depth=1
	s_delay_alu instid0(VALU_DEP_3) | instskip(NEXT) | instid1(VALU_DEP_1)
	v_clz_i32_u32_e32 v81, v81
	v_min_u32_e32 v81, 32, v81
	s_delay_alu instid0(VALU_DEP_1) | instskip(NEXT) | instid1(VALU_DEP_1)
	v_subrev_nc_u32_e32 v83, 28, v81
	v_lshlrev_b64_e32 v[84:85], v83, v[1:2]
	v_sub_nc_u32_e32 v83, 29, v81
	s_delay_alu instid0(VALU_DEP_2)
	v_and_b32_e32 v81, 7, v84
; %bb.480:                              ;   in Loop: Header=BB285_16 Depth=1
	s_or_b32 exec_lo, exec_lo, s46
	v_lshlrev_b32_e32 v1, 8, v82
	s_delay_alu instid0(VALU_DEP_3) | instskip(NEXT) | instid1(VALU_DEP_3)
	v_lshl_add_u32 v82, v83, 10, 0x2000
	v_lshlrev_b32_e32 v81, 23, v81
	s_delay_alu instid0(VALU_DEP_2) | instskip(NEXT) | instid1(VALU_DEP_1)
	v_and_or_b32 v1, 0x8000, v1, v82
	v_lshl_or_b32 v81, v1, 16, v81
.LBB285_481:                            ;   in Loop: Header=BB285_16 Depth=1
	s_wait_alu 0xfffe
	s_or_b32 exec_lo, exec_lo, s45
.LBB285_482:                            ;   in Loop: Header=BB285_16 Depth=1
	s_wait_alu 0xfffe
	s_or_b32 exec_lo, exec_lo, s44
.LBB285_483:                            ;   in Loop: Header=BB285_16 Depth=1
	s_wait_alu 0xfffe
	s_or_b32 exec_lo, exec_lo, s43
	v_lshrrev_b32_e32 v1, 16, v9
	s_mov_b32 s43, exec_lo
	s_delay_alu instid0(VALU_DEP_1) | instskip(NEXT) | instid1(VALU_DEP_1)
	v_and_b32_e32 v82, 0xff, v1
	v_cmpx_ne_u16_e32 0, v82
	s_cbranch_execz .LBB285_491
; %bb.484:                              ;   in Loop: Header=BB285_16 Depth=1
	v_mov_b32_e32 v86, 0x8000
	s_mov_b32 s44, exec_lo
	v_cmpx_ne_u16_e32 0x80, v82
	s_cbranch_execz .LBB285_490
; %bb.485:                              ;   in Loop: Header=BB285_16 Depth=1
	v_bfe_u32 v84, v9, 16, 7
	v_mov_b32_e32 v86, 0x7c01
	s_mov_b32 s45, exec_lo
	s_delay_alu instid0(VALU_DEP_2)
	v_cmpx_ne_u32_e32 0x7f, v84
	s_cbranch_execz .LBB285_489
; %bb.486:                              ;   in Loop: Header=BB285_16 Depth=1
	v_and_b32_e32 v82, 7, v1
	v_lshrrev_b32_e32 v83, 3, v84
	s_mov_b32 s46, exec_lo
	v_cmpx_gt_u32_e32 8, v84
; %bb.487:                              ;   in Loop: Header=BB285_16 Depth=1
	s_delay_alu instid0(VALU_DEP_3) | instskip(NEXT) | instid1(VALU_DEP_1)
	v_clz_i32_u32_e32 v82, v82
	v_min_u32_e32 v84, 32, v82
	s_delay_alu instid0(VALU_DEP_1) | instskip(NEXT) | instid1(VALU_DEP_1)
	v_subrev_nc_u32_e32 v82, 28, v84
	v_lshlrev_b64_e32 v[82:83], v82, v[1:2]
	v_sub_nc_u32_e32 v83, 29, v84
	s_delay_alu instid0(VALU_DEP_2)
	v_and_b32_e32 v82, 7, v82
; %bb.488:                              ;   in Loop: Header=BB285_16 Depth=1
	s_or_b32 exec_lo, exec_lo, s46
	v_lshlrev_b32_e32 v1, 8, v1
	s_delay_alu instid0(VALU_DEP_3) | instskip(NEXT) | instid1(VALU_DEP_3)
	v_lshl_add_u32 v83, v83, 10, 0x2000
	v_lshlrev_b32_e32 v82, 7, v82
	s_delay_alu instid0(VALU_DEP_3) | instskip(NEXT) | instid1(VALU_DEP_3)
	v_and_b32_e32 v1, 0x8000, v1
	v_and_b32_e32 v83, 0xfc00, v83
	s_delay_alu instid0(VALU_DEP_1)
	v_or3_b32 v86, v1, v83, v82
.LBB285_489:                            ;   in Loop: Header=BB285_16 Depth=1
	s_wait_alu 0xfffe
	s_or_b32 exec_lo, exec_lo, s45
.LBB285_490:                            ;   in Loop: Header=BB285_16 Depth=1
	s_wait_alu 0xfffe
	s_or_b32 exec_lo, exec_lo, s44
.LBB285_491:                            ;   in Loop: Header=BB285_16 Depth=1
	s_wait_alu 0xfffe
	s_or_b32 exec_lo, exec_lo, s43
	v_mov_b32_e32 v85, 0
	v_mov_b32_e32 v87, 0
	s_mov_b32 s43, exec_lo
	v_cmpx_lt_u32_e32 0xffffff, v9
	s_cbranch_execz .LBB285_499
; %bb.492:                              ;   in Loop: Header=BB285_16 Depth=1
	v_lshrrev_b32_e32 v1, 24, v9
	v_bfrev_b32_e32 v87, 1
	s_mov_b32 s44, exec_lo
	s_delay_alu instid0(VALU_DEP_2)
	v_cmpx_ne_u32_e32 0x80, v1
	s_cbranch_execz .LBB285_498
; %bb.493:                              ;   in Loop: Header=BB285_16 Depth=1
	v_and_b32_e32 v84, 0x7f, v1
	v_mov_b32_e32 v87, 0x7c010000
	s_mov_b32 s45, exec_lo
	s_delay_alu instid0(VALU_DEP_2)
	v_cmpx_ne_u32_e32 0x7f, v84
	s_cbranch_execz .LBB285_497
; %bb.494:                              ;   in Loop: Header=BB285_16 Depth=1
	v_and_b32_e32 v82, 7, v1
	v_lshrrev_b32_e32 v83, 3, v84
	s_mov_b32 s46, exec_lo
	v_cmpx_gt_u32_e32 8, v84
; %bb.495:                              ;   in Loop: Header=BB285_16 Depth=1
	s_delay_alu instid0(VALU_DEP_3) | instskip(NEXT) | instid1(VALU_DEP_1)
	v_clz_i32_u32_e32 v82, v82
	v_min_u32_e32 v84, 32, v82
	s_delay_alu instid0(VALU_DEP_1) | instskip(NEXT) | instid1(VALU_DEP_1)
	v_subrev_nc_u32_e32 v82, 28, v84
	v_lshlrev_b64_e32 v[82:83], v82, v[1:2]
	v_sub_nc_u32_e32 v83, 29, v84
	s_delay_alu instid0(VALU_DEP_2)
	v_and_b32_e32 v82, 7, v82
; %bb.496:                              ;   in Loop: Header=BB285_16 Depth=1
	s_or_b32 exec_lo, exec_lo, s46
	v_lshlrev_b32_e32 v1, 8, v1
	s_delay_alu instid0(VALU_DEP_3) | instskip(NEXT) | instid1(VALU_DEP_3)
	v_lshl_add_u32 v83, v83, 10, 0x2000
	v_lshlrev_b32_e32 v82, 23, v82
	s_delay_alu instid0(VALU_DEP_2) | instskip(NEXT) | instid1(VALU_DEP_1)
	v_and_or_b32 v1, 0x8000, v1, v83
	v_lshl_or_b32 v87, v1, 16, v82
.LBB285_497:                            ;   in Loop: Header=BB285_16 Depth=1
	s_wait_alu 0xfffe
	s_or_b32 exec_lo, exec_lo, s45
.LBB285_498:                            ;   in Loop: Header=BB285_16 Depth=1
	s_wait_alu 0xfffe
	s_or_b32 exec_lo, exec_lo, s44
.LBB285_499:                            ;   in Loop: Header=BB285_16 Depth=1
	s_wait_alu 0xfffe
	s_or_b32 exec_lo, exec_lo, s43
	v_dual_mov_b32 v1, v10 :: v_dual_and_b32 v82, 0xff, v10
	s_mov_b32 s43, exec_lo
	s_delay_alu instid0(VALU_DEP_1)
	v_cmpx_ne_u16_e32 0, v82
	s_cbranch_execz .LBB285_507
; %bb.500:                              ;   in Loop: Header=BB285_16 Depth=1
	v_mov_b32_e32 v85, 0x8000
	s_mov_b32 s44, exec_lo
	v_cmpx_ne_u16_e32 0x80, v82
	s_cbranch_execz .LBB285_506
; %bb.501:                              ;   in Loop: Header=BB285_16 Depth=1
	v_and_b32_e32 v84, 0x7f, v10
	v_mov_b32_e32 v85, 0x7c01
	s_mov_b32 s45, exec_lo
	s_delay_alu instid0(VALU_DEP_2)
	v_cmpx_ne_u32_e32 0x7f, v84
	s_cbranch_execz .LBB285_505
; %bb.502:                              ;   in Loop: Header=BB285_16 Depth=1
	v_and_b32_e32 v82, 7, v10
	v_lshrrev_b32_e32 v83, 3, v84
	s_mov_b32 s46, exec_lo
	v_cmpx_gt_u32_e32 8, v84
; %bb.503:                              ;   in Loop: Header=BB285_16 Depth=1
	s_delay_alu instid0(VALU_DEP_3) | instskip(NEXT) | instid1(VALU_DEP_1)
	v_clz_i32_u32_e32 v82, v82
	v_min_u32_e32 v84, 32, v82
	s_delay_alu instid0(VALU_DEP_1) | instskip(NEXT) | instid1(VALU_DEP_1)
	v_subrev_nc_u32_e32 v82, 28, v84
	v_lshlrev_b64_e32 v[82:83], v82, v[1:2]
	v_sub_nc_u32_e32 v83, 29, v84
	s_delay_alu instid0(VALU_DEP_2)
	v_and_b32_e32 v82, 7, v82
; %bb.504:                              ;   in Loop: Header=BB285_16 Depth=1
	s_or_b32 exec_lo, exec_lo, s46
	v_lshlrev_b32_e32 v84, 8, v10
	s_delay_alu instid0(VALU_DEP_3) | instskip(NEXT) | instid1(VALU_DEP_3)
	v_lshl_add_u32 v83, v83, 10, 0x2000
	v_lshlrev_b32_e32 v82, 7, v82
	s_delay_alu instid0(VALU_DEP_3) | instskip(NEXT) | instid1(VALU_DEP_3)
	v_and_b32_e32 v84, 0x8000, v84
	v_and_b32_e32 v83, 0xfc00, v83
	s_delay_alu instid0(VALU_DEP_1)
	v_or3_b32 v85, v84, v83, v82
.LBB285_505:                            ;   in Loop: Header=BB285_16 Depth=1
	s_wait_alu 0xfffe
	s_or_b32 exec_lo, exec_lo, s45
.LBB285_506:                            ;   in Loop: Header=BB285_16 Depth=1
	s_wait_alu 0xfffe
	s_or_b32 exec_lo, exec_lo, s44
.LBB285_507:                            ;   in Loop: Header=BB285_16 Depth=1
	s_wait_alu 0xfffe
	s_or_b32 exec_lo, exec_lo, s43
	v_lshrrev_b16 v1, 8, v1
	v_dual_mov_b32 v84, 0 :: v_dual_mov_b32 v83, 0
	s_mov_b32 s43, exec_lo
	s_delay_alu instid0(VALU_DEP_2)
	v_cmpx_ne_u16_e32 0, v1
	s_cbranch_execz .LBB285_515
; %bb.508:                              ;   in Loop: Header=BB285_16 Depth=1
	v_bfrev_b32_e32 v83, 1
	s_mov_b32 s44, exec_lo
	v_cmpx_ne_u16_e32 0x80, v1
	s_cbranch_execz .LBB285_514
; %bb.509:                              ;   in Loop: Header=BB285_16 Depth=1
	v_and_b32_e32 v82, 0xffff, v1
	v_mov_b32_e32 v83, 0x7c010000
	s_mov_b32 s45, exec_lo
	s_delay_alu instid0(VALU_DEP_2) | instskip(NEXT) | instid1(VALU_DEP_1)
	v_and_b32_e32 v89, 0x7f, v82
	v_cmpx_ne_u32_e32 0x7f, v89
	s_cbranch_execz .LBB285_513
; %bb.510:                              ;   in Loop: Header=BB285_16 Depth=1
	v_and_b32_e32 v83, 7, v82
	v_lshrrev_b32_e32 v88, 3, v89
	s_mov_b32 s46, exec_lo
	v_cmpx_gt_u32_e32 8, v89
; %bb.511:                              ;   in Loop: Header=BB285_16 Depth=1
	s_delay_alu instid0(VALU_DEP_3) | instskip(NEXT) | instid1(VALU_DEP_1)
	v_clz_i32_u32_e32 v83, v83
	v_min_u32_e32 v83, 32, v83
	s_delay_alu instid0(VALU_DEP_1) | instskip(NEXT) | instid1(VALU_DEP_1)
	v_subrev_nc_u32_e32 v88, 28, v83
	v_lshlrev_b64_e32 v[89:90], v88, v[1:2]
	v_sub_nc_u32_e32 v88, 29, v83
	s_delay_alu instid0(VALU_DEP_2)
	v_and_b32_e32 v83, 7, v89
; %bb.512:                              ;   in Loop: Header=BB285_16 Depth=1
	s_or_b32 exec_lo, exec_lo, s46
	v_lshlrev_b32_e32 v1, 8, v82
	s_delay_alu instid0(VALU_DEP_3) | instskip(NEXT) | instid1(VALU_DEP_1)
	v_lshl_add_u32 v82, v88, 10, 0x2000
	v_and_or_b32 v1, 0x8000, v1, v82
	v_lshlrev_b32_e32 v82, 23, v83
	s_delay_alu instid0(VALU_DEP_1)
	v_lshl_or_b32 v83, v1, 16, v82
.LBB285_513:                            ;   in Loop: Header=BB285_16 Depth=1
	s_wait_alu 0xfffe
	s_or_b32 exec_lo, exec_lo, s45
.LBB285_514:                            ;   in Loop: Header=BB285_16 Depth=1
	s_wait_alu 0xfffe
	s_or_b32 exec_lo, exec_lo, s44
.LBB285_515:                            ;   in Loop: Header=BB285_16 Depth=1
	s_wait_alu 0xfffe
	s_or_b32 exec_lo, exec_lo, s43
	v_lshrrev_b32_e32 v1, 16, v10
	s_mov_b32 s43, exec_lo
	s_delay_alu instid0(VALU_DEP_1) | instskip(NEXT) | instid1(VALU_DEP_1)
	v_and_b32_e32 v82, 0xff, v1
	v_cmpx_ne_u16_e32 0, v82
	s_cbranch_execz .LBB285_523
; %bb.516:                              ;   in Loop: Header=BB285_16 Depth=1
	v_mov_b32_e32 v84, 0x8000
	s_mov_b32 s44, exec_lo
	v_cmpx_ne_u16_e32 0x80, v82
	s_cbranch_execz .LBB285_522
; %bb.517:                              ;   in Loop: Header=BB285_16 Depth=1
	v_bfe_u32 v88, v10, 16, 7
	v_mov_b32_e32 v84, 0x7c01
	s_mov_b32 s45, exec_lo
	s_delay_alu instid0(VALU_DEP_2)
	v_cmpx_ne_u32_e32 0x7f, v88
	s_cbranch_execz .LBB285_521
; %bb.518:                              ;   in Loop: Header=BB285_16 Depth=1
	v_and_b32_e32 v82, 7, v1
	v_lshrrev_b32_e32 v84, 3, v88
	s_mov_b32 s46, exec_lo
	v_cmpx_gt_u32_e32 8, v88
; %bb.519:                              ;   in Loop: Header=BB285_16 Depth=1
	s_delay_alu instid0(VALU_DEP_3) | instskip(NEXT) | instid1(VALU_DEP_1)
	v_clz_i32_u32_e32 v82, v82
	v_min_u32_e32 v82, 32, v82
	s_delay_alu instid0(VALU_DEP_1) | instskip(NEXT) | instid1(VALU_DEP_1)
	v_subrev_nc_u32_e32 v84, 28, v82
	v_lshlrev_b64_e32 v[88:89], v84, v[1:2]
	v_sub_nc_u32_e32 v84, 29, v82
	s_delay_alu instid0(VALU_DEP_2)
	v_and_b32_e32 v82, 7, v88
; %bb.520:                              ;   in Loop: Header=BB285_16 Depth=1
	s_or_b32 exec_lo, exec_lo, s46
	v_lshlrev_b32_e32 v1, 8, v1
	s_delay_alu instid0(VALU_DEP_3) | instskip(NEXT) | instid1(VALU_DEP_3)
	v_lshl_add_u32 v84, v84, 10, 0x2000
	v_lshlrev_b32_e32 v82, 7, v82
	s_delay_alu instid0(VALU_DEP_3) | instskip(NEXT) | instid1(VALU_DEP_3)
	v_and_b32_e32 v1, 0x8000, v1
	v_and_b32_e32 v84, 0xfc00, v84
	s_delay_alu instid0(VALU_DEP_1)
	v_or3_b32 v84, v1, v84, v82
.LBB285_521:                            ;   in Loop: Header=BB285_16 Depth=1
	s_wait_alu 0xfffe
	s_or_b32 exec_lo, exec_lo, s45
.LBB285_522:                            ;   in Loop: Header=BB285_16 Depth=1
	s_wait_alu 0xfffe
	s_or_b32 exec_lo, exec_lo, s44
.LBB285_523:                            ;   in Loop: Header=BB285_16 Depth=1
	s_wait_alu 0xfffe
	s_or_b32 exec_lo, exec_lo, s43
	v_dual_mov_b32 v89, 0 :: v_dual_mov_b32 v82, 0
	s_mov_b32 s43, exec_lo
	v_cmpx_lt_u64_e64 s[14:15], v[9:10]
	s_cbranch_execz .LBB285_531
; %bb.524:                              ;   in Loop: Header=BB285_16 Depth=1
	v_lshrrev_b32_e32 v1, 24, v10
	v_bfrev_b32_e32 v82, 1
	s_mov_b32 s44, exec_lo
	s_delay_alu instid0(VALU_DEP_2)
	v_cmpx_ne_u32_e32 0x80, v1
	s_cbranch_execz .LBB285_530
; %bb.525:                              ;   in Loop: Header=BB285_16 Depth=1
	v_and_b32_e32 v88, 0x7f, v1
	v_mov_b32_e32 v82, 0x7c010000
	s_mov_b32 s45, exec_lo
	s_delay_alu instid0(VALU_DEP_2)
	v_cmpx_ne_u32_e32 0x7f, v88
	s_cbranch_execz .LBB285_529
; %bb.526:                              ;   in Loop: Header=BB285_16 Depth=1
	v_and_b32_e32 v9, 7, v1
	v_lshrrev_b32_e32 v10, 3, v88
	s_mov_b32 s46, exec_lo
	v_cmpx_gt_u32_e32 8, v88
; %bb.527:                              ;   in Loop: Header=BB285_16 Depth=1
	s_delay_alu instid0(VALU_DEP_3) | instskip(NEXT) | instid1(VALU_DEP_1)
	v_clz_i32_u32_e32 v9, v9
	v_min_u32_e32 v82, 32, v9
	s_delay_alu instid0(VALU_DEP_1) | instskip(NEXT) | instid1(VALU_DEP_1)
	v_subrev_nc_u32_e32 v9, 28, v82
	v_lshlrev_b64_e32 v[9:10], v9, v[1:2]
	v_sub_nc_u32_e32 v10, 29, v82
	s_delay_alu instid0(VALU_DEP_2)
	v_and_b32_e32 v9, 7, v9
; %bb.528:                              ;   in Loop: Header=BB285_16 Depth=1
	s_or_b32 exec_lo, exec_lo, s46
	v_lshlrev_b32_e32 v1, 8, v1
	s_delay_alu instid0(VALU_DEP_3) | instskip(NEXT) | instid1(VALU_DEP_3)
	v_lshl_add_u32 v10, v10, 10, 0x2000
	v_lshlrev_b32_e32 v9, 23, v9
	s_delay_alu instid0(VALU_DEP_2) | instskip(NEXT) | instid1(VALU_DEP_1)
	v_and_or_b32 v1, 0x8000, v1, v10
	v_lshl_or_b32 v82, v1, 16, v9
.LBB285_529:                            ;   in Loop: Header=BB285_16 Depth=1
	s_wait_alu 0xfffe
	s_or_b32 exec_lo, exec_lo, s45
.LBB285_530:                            ;   in Loop: Header=BB285_16 Depth=1
	s_wait_alu 0xfffe
	s_or_b32 exec_lo, exec_lo, s44
.LBB285_531:                            ;   in Loop: Header=BB285_16 Depth=1
	s_wait_alu 0xfffe
	s_or_b32 exec_lo, exec_lo, s43
	global_load_b64 v[9:10], v[7:8], off offset:2048
	s_mov_b32 s43, exec_lo
	s_wait_loadcnt 0x0
	v_and_b32_e32 v1, 0xff, v9
	s_delay_alu instid0(VALU_DEP_1)
	v_cmpx_ne_u16_e32 0, v1
	s_cbranch_execz .LBB285_539
; %bb.532:                              ;   in Loop: Header=BB285_16 Depth=1
	v_mov_b32_e32 v89, 0x8000
	s_mov_b32 s44, exec_lo
	v_cmpx_ne_u16_e32 0x80, v1
	s_cbranch_execz .LBB285_538
; %bb.533:                              ;   in Loop: Header=BB285_16 Depth=1
	v_and_b32_e32 v90, 0x7f, v9
	v_mov_b32_e32 v89, 0x7c01
	s_mov_b32 s45, exec_lo
	s_delay_alu instid0(VALU_DEP_2)
	v_cmpx_ne_u32_e32 0x7f, v90
	s_cbranch_execz .LBB285_537
; %bb.534:                              ;   in Loop: Header=BB285_16 Depth=1
	v_and_b32_e32 v1, 7, v9
	v_lshrrev_b32_e32 v88, 3, v90
	s_mov_b32 s46, exec_lo
	v_cmpx_gt_u32_e32 8, v90
; %bb.535:                              ;   in Loop: Header=BB285_16 Depth=1
	s_delay_alu instid0(VALU_DEP_3) | instskip(NEXT) | instid1(VALU_DEP_1)
	v_clz_i32_u32_e32 v1, v1
	v_min_u32_e32 v1, 32, v1
	s_delay_alu instid0(VALU_DEP_1) | instskip(NEXT) | instid1(VALU_DEP_1)
	v_subrev_nc_u32_e32 v88, 28, v1
	v_lshlrev_b64_e32 v[89:90], v88, v[9:10]
	v_sub_nc_u32_e32 v88, 29, v1
	s_delay_alu instid0(VALU_DEP_2)
	v_and_b32_e32 v1, 7, v89
; %bb.536:                              ;   in Loop: Header=BB285_16 Depth=1
	s_or_b32 exec_lo, exec_lo, s46
	v_lshlrev_b32_e32 v89, 8, v9
	s_delay_alu instid0(VALU_DEP_3) | instskip(NEXT) | instid1(VALU_DEP_3)
	v_lshl_add_u32 v88, v88, 10, 0x2000
	v_lshlrev_b32_e32 v1, 7, v1
	s_delay_alu instid0(VALU_DEP_3) | instskip(NEXT) | instid1(VALU_DEP_3)
	v_and_b32_e32 v89, 0x8000, v89
	v_and_b32_e32 v88, 0xfc00, v88
	s_delay_alu instid0(VALU_DEP_1)
	v_or3_b32 v89, v89, v88, v1
.LBB285_537:                            ;   in Loop: Header=BB285_16 Depth=1
	s_wait_alu 0xfffe
	s_or_b32 exec_lo, exec_lo, s45
.LBB285_538:                            ;   in Loop: Header=BB285_16 Depth=1
	s_wait_alu 0xfffe
	s_or_b32 exec_lo, exec_lo, s44
.LBB285_539:                            ;   in Loop: Header=BB285_16 Depth=1
	s_wait_alu 0xfffe
	s_or_b32 exec_lo, exec_lo, s43
	v_lshrrev_b16 v1, 8, v9
	v_dual_mov_b32 v91, 0 :: v_dual_mov_b32 v88, 0
	s_mov_b32 s43, exec_lo
	s_delay_alu instid0(VALU_DEP_2)
	v_cmpx_ne_u16_e32 0, v1
	s_cbranch_execz .LBB285_547
; %bb.540:                              ;   in Loop: Header=BB285_16 Depth=1
	v_bfrev_b32_e32 v88, 1
	s_mov_b32 s44, exec_lo
	v_cmpx_ne_u16_e32 0x80, v1
	s_cbranch_execz .LBB285_546
; %bb.541:                              ;   in Loop: Header=BB285_16 Depth=1
	v_and_b32_e32 v90, 0xffff, v1
	v_mov_b32_e32 v88, 0x7c010000
	s_mov_b32 s45, exec_lo
	s_delay_alu instid0(VALU_DEP_2) | instskip(NEXT) | instid1(VALU_DEP_1)
	v_and_b32_e32 v93, 0x7f, v90
	v_cmpx_ne_u32_e32 0x7f, v93
	s_cbranch_execz .LBB285_545
; %bb.542:                              ;   in Loop: Header=BB285_16 Depth=1
	v_and_b32_e32 v88, 7, v90
	v_lshrrev_b32_e32 v92, 3, v93
	s_mov_b32 s46, exec_lo
	v_cmpx_gt_u32_e32 8, v93
; %bb.543:                              ;   in Loop: Header=BB285_16 Depth=1
	s_delay_alu instid0(VALU_DEP_3) | instskip(NEXT) | instid1(VALU_DEP_1)
	v_clz_i32_u32_e32 v88, v88
	v_min_u32_e32 v88, 32, v88
	s_delay_alu instid0(VALU_DEP_1) | instskip(NEXT) | instid1(VALU_DEP_1)
	v_subrev_nc_u32_e32 v92, 28, v88
	v_lshlrev_b64_e32 v[93:94], v92, v[1:2]
	v_sub_nc_u32_e32 v92, 29, v88
	s_delay_alu instid0(VALU_DEP_2)
	v_and_b32_e32 v88, 7, v93
; %bb.544:                              ;   in Loop: Header=BB285_16 Depth=1
	s_or_b32 exec_lo, exec_lo, s46
	v_lshlrev_b32_e32 v1, 8, v90
	s_delay_alu instid0(VALU_DEP_3) | instskip(NEXT) | instid1(VALU_DEP_3)
	v_lshl_add_u32 v90, v92, 10, 0x2000
	v_lshlrev_b32_e32 v88, 23, v88
	s_delay_alu instid0(VALU_DEP_2) | instskip(NEXT) | instid1(VALU_DEP_1)
	v_and_or_b32 v1, 0x8000, v1, v90
	v_lshl_or_b32 v88, v1, 16, v88
.LBB285_545:                            ;   in Loop: Header=BB285_16 Depth=1
	s_wait_alu 0xfffe
	s_or_b32 exec_lo, exec_lo, s45
.LBB285_546:                            ;   in Loop: Header=BB285_16 Depth=1
	s_wait_alu 0xfffe
	s_or_b32 exec_lo, exec_lo, s44
.LBB285_547:                            ;   in Loop: Header=BB285_16 Depth=1
	s_wait_alu 0xfffe
	s_or_b32 exec_lo, exec_lo, s43
	v_lshrrev_b32_e32 v1, 16, v9
	s_mov_b32 s43, exec_lo
	s_delay_alu instid0(VALU_DEP_1) | instskip(NEXT) | instid1(VALU_DEP_1)
	v_and_b32_e32 v90, 0xff, v1
	v_cmpx_ne_u16_e32 0, v90
	s_cbranch_execz .LBB285_555
; %bb.548:                              ;   in Loop: Header=BB285_16 Depth=1
	v_mov_b32_e32 v91, 0x8000
	s_mov_b32 s44, exec_lo
	v_cmpx_ne_u16_e32 0x80, v90
	s_cbranch_execz .LBB285_554
; %bb.549:                              ;   in Loop: Header=BB285_16 Depth=1
	v_bfe_u32 v92, v9, 16, 7
	v_mov_b32_e32 v91, 0x7c01
	s_mov_b32 s45, exec_lo
	s_delay_alu instid0(VALU_DEP_2)
	v_cmpx_ne_u32_e32 0x7f, v92
	s_cbranch_execz .LBB285_553
; %bb.550:                              ;   in Loop: Header=BB285_16 Depth=1
	v_and_b32_e32 v90, 7, v1
	v_lshrrev_b32_e32 v91, 3, v92
	s_mov_b32 s46, exec_lo
	v_cmpx_gt_u32_e32 8, v92
; %bb.551:                              ;   in Loop: Header=BB285_16 Depth=1
	s_delay_alu instid0(VALU_DEP_3) | instskip(NEXT) | instid1(VALU_DEP_1)
	v_clz_i32_u32_e32 v90, v90
	v_min_u32_e32 v92, 32, v90
	s_delay_alu instid0(VALU_DEP_1) | instskip(NEXT) | instid1(VALU_DEP_1)
	v_subrev_nc_u32_e32 v90, 28, v92
	v_lshlrev_b64_e32 v[90:91], v90, v[1:2]
	v_sub_nc_u32_e32 v91, 29, v92
	s_delay_alu instid0(VALU_DEP_2)
	v_and_b32_e32 v90, 7, v90
; %bb.552:                              ;   in Loop: Header=BB285_16 Depth=1
	s_or_b32 exec_lo, exec_lo, s46
	v_lshlrev_b32_e32 v1, 8, v1
	s_delay_alu instid0(VALU_DEP_3) | instskip(NEXT) | instid1(VALU_DEP_3)
	v_lshl_add_u32 v91, v91, 10, 0x2000
	v_lshlrev_b32_e32 v90, 7, v90
	s_delay_alu instid0(VALU_DEP_3) | instskip(NEXT) | instid1(VALU_DEP_3)
	v_and_b32_e32 v1, 0x8000, v1
	v_and_b32_e32 v91, 0xfc00, v91
	s_delay_alu instid0(VALU_DEP_1)
	v_or3_b32 v91, v1, v91, v90
.LBB285_553:                            ;   in Loop: Header=BB285_16 Depth=1
	s_wait_alu 0xfffe
	s_or_b32 exec_lo, exec_lo, s45
.LBB285_554:                            ;   in Loop: Header=BB285_16 Depth=1
	s_wait_alu 0xfffe
	s_or_b32 exec_lo, exec_lo, s44
.LBB285_555:                            ;   in Loop: Header=BB285_16 Depth=1
	s_wait_alu 0xfffe
	s_or_b32 exec_lo, exec_lo, s43
	v_dual_mov_b32 v96, 0 :: v_dual_mov_b32 v97, 0
	s_mov_b32 s43, exec_lo
	v_cmpx_lt_u32_e32 0xffffff, v9
	s_cbranch_execz .LBB285_563
; %bb.556:                              ;   in Loop: Header=BB285_16 Depth=1
	v_lshrrev_b32_e32 v1, 24, v9
	v_bfrev_b32_e32 v97, 1
	s_mov_b32 s44, exec_lo
	s_delay_alu instid0(VALU_DEP_2)
	v_cmpx_ne_u32_e32 0x80, v1
	s_cbranch_execz .LBB285_562
; %bb.557:                              ;   in Loop: Header=BB285_16 Depth=1
	v_and_b32_e32 v93, 0x7f, v1
	v_mov_b32_e32 v97, 0x7c010000
	s_mov_b32 s45, exec_lo
	s_delay_alu instid0(VALU_DEP_2)
	v_cmpx_ne_u32_e32 0x7f, v93
	s_cbranch_execz .LBB285_561
; %bb.558:                              ;   in Loop: Header=BB285_16 Depth=1
	v_and_b32_e32 v90, 7, v1
	v_lshrrev_b32_e32 v92, 3, v93
	s_mov_b32 s46, exec_lo
	v_cmpx_gt_u32_e32 8, v93
; %bb.559:                              ;   in Loop: Header=BB285_16 Depth=1
	s_delay_alu instid0(VALU_DEP_3) | instskip(NEXT) | instid1(VALU_DEP_1)
	v_clz_i32_u32_e32 v90, v90
	v_min_u32_e32 v90, 32, v90
	s_delay_alu instid0(VALU_DEP_1) | instskip(NEXT) | instid1(VALU_DEP_1)
	v_subrev_nc_u32_e32 v92, 28, v90
	v_lshlrev_b64_e32 v[93:94], v92, v[1:2]
	v_sub_nc_u32_e32 v92, 29, v90
	s_delay_alu instid0(VALU_DEP_2)
	v_and_b32_e32 v90, 7, v93
; %bb.560:                              ;   in Loop: Header=BB285_16 Depth=1
	s_or_b32 exec_lo, exec_lo, s46
	v_lshlrev_b32_e32 v1, 8, v1
	s_delay_alu instid0(VALU_DEP_3) | instskip(NEXT) | instid1(VALU_DEP_3)
	v_lshl_add_u32 v92, v92, 10, 0x2000
	v_lshlrev_b32_e32 v90, 23, v90
	s_delay_alu instid0(VALU_DEP_2) | instskip(NEXT) | instid1(VALU_DEP_1)
	v_and_or_b32 v1, 0x8000, v1, v92
	v_lshl_or_b32 v97, v1, 16, v90
.LBB285_561:                            ;   in Loop: Header=BB285_16 Depth=1
	s_wait_alu 0xfffe
	s_or_b32 exec_lo, exec_lo, s45
.LBB285_562:                            ;   in Loop: Header=BB285_16 Depth=1
	s_wait_alu 0xfffe
	s_or_b32 exec_lo, exec_lo, s44
.LBB285_563:                            ;   in Loop: Header=BB285_16 Depth=1
	s_wait_alu 0xfffe
	s_or_b32 exec_lo, exec_lo, s43
	v_dual_mov_b32 v1, v10 :: v_dual_and_b32 v90, 0xff, v10
	s_mov_b32 s43, exec_lo
	s_delay_alu instid0(VALU_DEP_1)
	v_cmpx_ne_u16_e32 0, v90
	s_cbranch_execz .LBB285_571
; %bb.564:                              ;   in Loop: Header=BB285_16 Depth=1
	v_mov_b32_e32 v96, 0x8000
	s_mov_b32 s44, exec_lo
	v_cmpx_ne_u16_e32 0x80, v90
	s_cbranch_execz .LBB285_570
; %bb.565:                              ;   in Loop: Header=BB285_16 Depth=1
	v_and_b32_e32 v93, 0x7f, v10
	v_mov_b32_e32 v96, 0x7c01
	s_mov_b32 s45, exec_lo
	s_delay_alu instid0(VALU_DEP_2)
	v_cmpx_ne_u32_e32 0x7f, v93
	s_cbranch_execz .LBB285_569
; %bb.566:                              ;   in Loop: Header=BB285_16 Depth=1
	v_and_b32_e32 v90, 7, v10
	v_lshrrev_b32_e32 v92, 3, v93
	s_mov_b32 s46, exec_lo
	v_cmpx_gt_u32_e32 8, v93
; %bb.567:                              ;   in Loop: Header=BB285_16 Depth=1
	s_delay_alu instid0(VALU_DEP_3) | instskip(NEXT) | instid1(VALU_DEP_1)
	v_clz_i32_u32_e32 v90, v90
	v_min_u32_e32 v90, 32, v90
	s_delay_alu instid0(VALU_DEP_1) | instskip(NEXT) | instid1(VALU_DEP_1)
	v_subrev_nc_u32_e32 v92, 28, v90
	v_lshlrev_b64_e32 v[93:94], v92, v[1:2]
	v_sub_nc_u32_e32 v92, 29, v90
	s_delay_alu instid0(VALU_DEP_2)
	v_and_b32_e32 v90, 7, v93
; %bb.568:                              ;   in Loop: Header=BB285_16 Depth=1
	s_or_b32 exec_lo, exec_lo, s46
	v_lshlrev_b32_e32 v93, 8, v10
	s_delay_alu instid0(VALU_DEP_3) | instskip(NEXT) | instid1(VALU_DEP_3)
	v_lshl_add_u32 v92, v92, 10, 0x2000
	v_lshlrev_b32_e32 v90, 7, v90
	s_delay_alu instid0(VALU_DEP_3) | instskip(NEXT) | instid1(VALU_DEP_3)
	v_and_b32_e32 v93, 0x8000, v93
	v_and_b32_e32 v92, 0xfc00, v92
	s_delay_alu instid0(VALU_DEP_1)
	v_or3_b32 v96, v93, v92, v90
.LBB285_569:                            ;   in Loop: Header=BB285_16 Depth=1
	s_wait_alu 0xfffe
	s_or_b32 exec_lo, exec_lo, s45
.LBB285_570:                            ;   in Loop: Header=BB285_16 Depth=1
	s_wait_alu 0xfffe
	s_or_b32 exec_lo, exec_lo, s44
.LBB285_571:                            ;   in Loop: Header=BB285_16 Depth=1
	s_wait_alu 0xfffe
	s_or_b32 exec_lo, exec_lo, s43
	v_lshrrev_b16 v1, 8, v1
	v_dual_mov_b32 v100, 0 :: v_dual_mov_b32 v95, 0
	s_mov_b32 s43, exec_lo
	s_delay_alu instid0(VALU_DEP_2)
	v_cmpx_ne_u16_e32 0, v1
	s_cbranch_execz .LBB285_579
; %bb.572:                              ;   in Loop: Header=BB285_16 Depth=1
	v_bfrev_b32_e32 v95, 1
	s_mov_b32 s44, exec_lo
	v_cmpx_ne_u16_e32 0x80, v1
	s_cbranch_execz .LBB285_578
; %bb.573:                              ;   in Loop: Header=BB285_16 Depth=1
	v_and_b32_e32 v90, 0xffff, v1
	v_mov_b32_e32 v95, 0x7c010000
	s_mov_b32 s45, exec_lo
	s_delay_alu instid0(VALU_DEP_2) | instskip(NEXT) | instid1(VALU_DEP_1)
	v_and_b32_e32 v94, 0x7f, v90
	v_cmpx_ne_u32_e32 0x7f, v94
	s_cbranch_execz .LBB285_577
; %bb.574:                              ;   in Loop: Header=BB285_16 Depth=1
	v_and_b32_e32 v92, 7, v90
	v_lshrrev_b32_e32 v93, 3, v94
	s_mov_b32 s46, exec_lo
	v_cmpx_gt_u32_e32 8, v94
; %bb.575:                              ;   in Loop: Header=BB285_16 Depth=1
	s_delay_alu instid0(VALU_DEP_3) | instskip(NEXT) | instid1(VALU_DEP_1)
	v_clz_i32_u32_e32 v92, v92
	v_min_u32_e32 v94, 32, v92
	s_delay_alu instid0(VALU_DEP_1) | instskip(NEXT) | instid1(VALU_DEP_1)
	v_subrev_nc_u32_e32 v92, 28, v94
	v_lshlrev_b64_e32 v[92:93], v92, v[1:2]
	v_sub_nc_u32_e32 v93, 29, v94
	s_delay_alu instid0(VALU_DEP_2)
	v_and_b32_e32 v92, 7, v92
; %bb.576:                              ;   in Loop: Header=BB285_16 Depth=1
	s_or_b32 exec_lo, exec_lo, s46
	v_lshlrev_b32_e32 v1, 8, v90
	s_delay_alu instid0(VALU_DEP_3) | instskip(NEXT) | instid1(VALU_DEP_1)
	v_lshl_add_u32 v90, v93, 10, 0x2000
	v_and_or_b32 v1, 0x8000, v1, v90
	v_lshlrev_b32_e32 v90, 23, v92
	s_delay_alu instid0(VALU_DEP_1)
	v_lshl_or_b32 v95, v1, 16, v90
.LBB285_577:                            ;   in Loop: Header=BB285_16 Depth=1
	s_wait_alu 0xfffe
	s_or_b32 exec_lo, exec_lo, s45
.LBB285_578:                            ;   in Loop: Header=BB285_16 Depth=1
	s_wait_alu 0xfffe
	s_or_b32 exec_lo, exec_lo, s44
.LBB285_579:                            ;   in Loop: Header=BB285_16 Depth=1
	s_wait_alu 0xfffe
	s_or_b32 exec_lo, exec_lo, s43
	v_lshrrev_b32_e32 v1, 16, v10
	s_mov_b32 s43, exec_lo
	s_delay_alu instid0(VALU_DEP_1) | instskip(NEXT) | instid1(VALU_DEP_1)
	v_and_b32_e32 v90, 0xff, v1
	v_cmpx_ne_u16_e32 0, v90
	s_cbranch_execz .LBB285_587
; %bb.580:                              ;   in Loop: Header=BB285_16 Depth=1
	v_mov_b32_e32 v100, 0x8000
	s_mov_b32 s44, exec_lo
	v_cmpx_ne_u16_e32 0x80, v90
	s_cbranch_execz .LBB285_586
; %bb.581:                              ;   in Loop: Header=BB285_16 Depth=1
	v_bfe_u32 v93, v10, 16, 7
	v_mov_b32_e32 v100, 0x7c01
	s_mov_b32 s45, exec_lo
	s_delay_alu instid0(VALU_DEP_2)
	v_cmpx_ne_u32_e32 0x7f, v93
	s_cbranch_execz .LBB285_585
; %bb.582:                              ;   in Loop: Header=BB285_16 Depth=1
	v_and_b32_e32 v90, 7, v1
	v_lshrrev_b32_e32 v92, 3, v93
	s_mov_b32 s46, exec_lo
	v_cmpx_gt_u32_e32 8, v93
; %bb.583:                              ;   in Loop: Header=BB285_16 Depth=1
	s_delay_alu instid0(VALU_DEP_3) | instskip(NEXT) | instid1(VALU_DEP_1)
	v_clz_i32_u32_e32 v90, v90
	v_min_u32_e32 v90, 32, v90
	s_delay_alu instid0(VALU_DEP_1) | instskip(NEXT) | instid1(VALU_DEP_1)
	v_subrev_nc_u32_e32 v92, 28, v90
	v_lshlrev_b64_e32 v[93:94], v92, v[1:2]
	v_sub_nc_u32_e32 v92, 29, v90
	s_delay_alu instid0(VALU_DEP_2)
	v_and_b32_e32 v90, 7, v93
; %bb.584:                              ;   in Loop: Header=BB285_16 Depth=1
	s_or_b32 exec_lo, exec_lo, s46
	v_lshlrev_b32_e32 v1, 8, v1
	s_delay_alu instid0(VALU_DEP_3) | instskip(NEXT) | instid1(VALU_DEP_3)
	v_lshl_add_u32 v92, v92, 10, 0x2000
	v_lshlrev_b32_e32 v90, 7, v90
	s_delay_alu instid0(VALU_DEP_3) | instskip(NEXT) | instid1(VALU_DEP_3)
	v_and_b32_e32 v1, 0x8000, v1
	v_and_b32_e32 v92, 0xfc00, v92
	s_delay_alu instid0(VALU_DEP_1)
	v_or3_b32 v100, v1, v92, v90
.LBB285_585:                            ;   in Loop: Header=BB285_16 Depth=1
	s_wait_alu 0xfffe
	s_or_b32 exec_lo, exec_lo, s45
.LBB285_586:                            ;   in Loop: Header=BB285_16 Depth=1
	s_wait_alu 0xfffe
	s_or_b32 exec_lo, exec_lo, s44
.LBB285_587:                            ;   in Loop: Header=BB285_16 Depth=1
	s_wait_alu 0xfffe
	s_or_b32 exec_lo, exec_lo, s43
	v_cmp_lt_u64_e64 s3, s[14:15], v[9:10]
	v_mov_b32_e32 v9, 0
	v_mov_b32_e32 v99, 0
	s_and_saveexec_b32 s43, s3
	s_cbranch_execz .LBB285_595
; %bb.588:                              ;   in Loop: Header=BB285_16 Depth=1
	v_lshrrev_b32_e32 v1, 24, v10
	v_bfrev_b32_e32 v99, 1
	s_mov_b32 s44, exec_lo
	s_delay_alu instid0(VALU_DEP_2)
	v_cmpx_ne_u32_e32 0x80, v1
	s_cbranch_execz .LBB285_594
; %bb.589:                              ;   in Loop: Header=BB285_16 Depth=1
	v_and_b32_e32 v92, 0x7f, v1
	v_mov_b32_e32 v99, 0x7c010000
	s_mov_b32 s45, exec_lo
	s_delay_alu instid0(VALU_DEP_2)
	v_cmpx_ne_u32_e32 0x7f, v92
	s_cbranch_execz .LBB285_593
; %bb.590:                              ;   in Loop: Header=BB285_16 Depth=1
	v_and_b32_e32 v10, 7, v1
	v_lshrrev_b32_e32 v90, 3, v92
	s_mov_b32 s46, exec_lo
	v_cmpx_gt_u32_e32 8, v92
; %bb.591:                              ;   in Loop: Header=BB285_16 Depth=1
	s_delay_alu instid0(VALU_DEP_3) | instskip(NEXT) | instid1(VALU_DEP_1)
	v_clz_i32_u32_e32 v10, v10
	v_min_u32_e32 v10, 32, v10
	s_delay_alu instid0(VALU_DEP_1) | instskip(NEXT) | instid1(VALU_DEP_1)
	v_subrev_nc_u32_e32 v90, 28, v10
	v_lshlrev_b64_e32 v[92:93], v90, v[1:2]
	v_sub_nc_u32_e32 v90, 29, v10
	s_delay_alu instid0(VALU_DEP_2)
	v_and_b32_e32 v10, 7, v92
; %bb.592:                              ;   in Loop: Header=BB285_16 Depth=1
	s_or_b32 exec_lo, exec_lo, s46
	v_lshlrev_b32_e32 v1, 8, v1
	s_delay_alu instid0(VALU_DEP_3) | instskip(NEXT) | instid1(VALU_DEP_3)
	v_lshl_add_u32 v90, v90, 10, 0x2000
	v_lshlrev_b32_e32 v10, 23, v10
	s_delay_alu instid0(VALU_DEP_2) | instskip(NEXT) | instid1(VALU_DEP_1)
	v_and_or_b32 v1, 0x8000, v1, v90
	v_lshl_or_b32 v99, v1, 16, v10
.LBB285_593:                            ;   in Loop: Header=BB285_16 Depth=1
	s_wait_alu 0xfffe
	s_or_b32 exec_lo, exec_lo, s45
.LBB285_594:                            ;   in Loop: Header=BB285_16 Depth=1
	s_wait_alu 0xfffe
	s_or_b32 exec_lo, exec_lo, s44
.LBB285_595:                            ;   in Loop: Header=BB285_16 Depth=1
	s_wait_alu 0xfffe
	s_or_b32 exec_lo, exec_lo, s43
	global_load_b64 v[7:8], v[7:8], off offset:2056
	s_mov_b32 s43, exec_lo
	s_wait_loadcnt 0x0
	v_and_b32_e32 v1, 0xff, v7
	s_delay_alu instid0(VALU_DEP_1)
	v_cmpx_ne_u16_e32 0, v1
	s_cbranch_execz .LBB285_603
; %bb.596:                              ;   in Loop: Header=BB285_16 Depth=1
	v_mov_b32_e32 v9, 0x8000
	s_mov_b32 s44, exec_lo
	v_cmpx_ne_u16_e32 0x80, v1
	s_cbranch_execz .LBB285_602
; %bb.597:                              ;   in Loop: Header=BB285_16 Depth=1
	v_and_b32_e32 v10, 0x7f, v7
	v_mov_b32_e32 v9, 0x7c01
	s_mov_b32 s45, exec_lo
	s_delay_alu instid0(VALU_DEP_2)
	v_cmpx_ne_u32_e32 0x7f, v10
	s_cbranch_execz .LBB285_601
; %bb.598:                              ;   in Loop: Header=BB285_16 Depth=1
	v_and_b32_e32 v1, 7, v7
	v_lshrrev_b32_e32 v9, 3, v10
	s_mov_b32 s46, exec_lo
	v_cmpx_gt_u32_e32 8, v10
; %bb.599:                              ;   in Loop: Header=BB285_16 Depth=1
	s_delay_alu instid0(VALU_DEP_3) | instskip(NEXT) | instid1(VALU_DEP_1)
	v_clz_i32_u32_e32 v1, v1
	v_min_u32_e32 v1, 32, v1
	s_delay_alu instid0(VALU_DEP_1) | instskip(NEXT) | instid1(VALU_DEP_1)
	v_subrev_nc_u32_e32 v9, 28, v1
	v_lshlrev_b64_e32 v[92:93], v9, v[7:8]
	v_sub_nc_u32_e32 v9, 29, v1
	s_delay_alu instid0(VALU_DEP_2)
	v_and_b32_e32 v1, 7, v92
; %bb.600:                              ;   in Loop: Header=BB285_16 Depth=1
	s_or_b32 exec_lo, exec_lo, s46
	v_lshlrev_b32_e32 v10, 8, v7
	s_delay_alu instid0(VALU_DEP_3) | instskip(NEXT) | instid1(VALU_DEP_3)
	v_lshl_add_u32 v9, v9, 10, 0x2000
	v_lshlrev_b32_e32 v1, 7, v1
	s_delay_alu instid0(VALU_DEP_3) | instskip(NEXT) | instid1(VALU_DEP_3)
	v_and_b32_e32 v10, 0x8000, v10
	v_and_b32_e32 v9, 0xfc00, v9
	s_delay_alu instid0(VALU_DEP_1)
	v_or3_b32 v9, v10, v9, v1
.LBB285_601:                            ;   in Loop: Header=BB285_16 Depth=1
	s_wait_alu 0xfffe
	s_or_b32 exec_lo, exec_lo, s45
.LBB285_602:                            ;   in Loop: Header=BB285_16 Depth=1
	s_wait_alu 0xfffe
	s_or_b32 exec_lo, exec_lo, s44
.LBB285_603:                            ;   in Loop: Header=BB285_16 Depth=1
	s_wait_alu 0xfffe
	s_or_b32 exec_lo, exec_lo, s43
	v_lshrrev_b16 v1, 8, v7
	v_mov_b32_e32 v90, 0
	v_mov_b32_e32 v10, 0
	s_mov_b32 s43, exec_lo
	s_delay_alu instid0(VALU_DEP_3)
	v_cmpx_ne_u16_e32 0, v1
	s_cbranch_execz .LBB285_611
; %bb.604:                              ;   in Loop: Header=BB285_16 Depth=1
	v_bfrev_b32_e32 v10, 1
	s_mov_b32 s44, exec_lo
	v_cmpx_ne_u16_e32 0x80, v1
	s_cbranch_execz .LBB285_610
; %bb.605:                              ;   in Loop: Header=BB285_16 Depth=1
	v_and_b32_e32 v92, 0xffff, v1
	v_mov_b32_e32 v10, 0x7c010000
	s_mov_b32 s45, exec_lo
	s_delay_alu instid0(VALU_DEP_2) | instskip(NEXT) | instid1(VALU_DEP_1)
	v_and_b32_e32 v94, 0x7f, v92
	v_cmpx_ne_u32_e32 0x7f, v94
	s_cbranch_execz .LBB285_609
; %bb.606:                              ;   in Loop: Header=BB285_16 Depth=1
	v_and_b32_e32 v10, 7, v92
	v_lshrrev_b32_e32 v93, 3, v94
	s_mov_b32 s46, exec_lo
	v_cmpx_gt_u32_e32 8, v94
; %bb.607:                              ;   in Loop: Header=BB285_16 Depth=1
	s_delay_alu instid0(VALU_DEP_3) | instskip(NEXT) | instid1(VALU_DEP_1)
	v_clz_i32_u32_e32 v10, v10
	v_min_u32_e32 v10, 32, v10
	s_delay_alu instid0(VALU_DEP_1) | instskip(NEXT) | instid1(VALU_DEP_1)
	v_subrev_nc_u32_e32 v93, 28, v10
	v_lshlrev_b64_e32 v[101:102], v93, v[1:2]
	v_sub_nc_u32_e32 v93, 29, v10
	s_delay_alu instid0(VALU_DEP_2)
	v_and_b32_e32 v10, 7, v101
; %bb.608:                              ;   in Loop: Header=BB285_16 Depth=1
	s_or_b32 exec_lo, exec_lo, s46
	v_lshlrev_b32_e32 v1, 8, v92
	s_delay_alu instid0(VALU_DEP_3) | instskip(NEXT) | instid1(VALU_DEP_3)
	v_lshl_add_u32 v92, v93, 10, 0x2000
	v_lshlrev_b32_e32 v10, 23, v10
	s_delay_alu instid0(VALU_DEP_2) | instskip(NEXT) | instid1(VALU_DEP_1)
	v_and_or_b32 v1, 0x8000, v1, v92
	v_lshl_or_b32 v10, v1, 16, v10
.LBB285_609:                            ;   in Loop: Header=BB285_16 Depth=1
	s_wait_alu 0xfffe
	s_or_b32 exec_lo, exec_lo, s45
.LBB285_610:                            ;   in Loop: Header=BB285_16 Depth=1
	s_wait_alu 0xfffe
	s_or_b32 exec_lo, exec_lo, s44
.LBB285_611:                            ;   in Loop: Header=BB285_16 Depth=1
	s_wait_alu 0xfffe
	s_or_b32 exec_lo, exec_lo, s43
	v_lshrrev_b32_e32 v1, 16, v7
	s_mov_b32 s43, exec_lo
	s_delay_alu instid0(VALU_DEP_1) | instskip(NEXT) | instid1(VALU_DEP_1)
	v_and_b32_e32 v92, 0xff, v1
	v_cmpx_ne_u16_e32 0, v92
	s_cbranch_execz .LBB285_619
; %bb.612:                              ;   in Loop: Header=BB285_16 Depth=1
	v_mov_b32_e32 v90, 0x8000
	s_mov_b32 s44, exec_lo
	v_cmpx_ne_u16_e32 0x80, v92
	s_cbranch_execz .LBB285_618
; %bb.613:                              ;   in Loop: Header=BB285_16 Depth=1
	v_bfe_u32 v93, v7, 16, 7
	v_mov_b32_e32 v90, 0x7c01
	s_mov_b32 s45, exec_lo
	s_delay_alu instid0(VALU_DEP_2)
	v_cmpx_ne_u32_e32 0x7f, v93
	s_cbranch_execz .LBB285_617
; %bb.614:                              ;   in Loop: Header=BB285_16 Depth=1
	v_and_b32_e32 v90, 7, v1
	v_lshrrev_b32_e32 v92, 3, v93
	s_mov_b32 s46, exec_lo
	v_cmpx_gt_u32_e32 8, v93
; %bb.615:                              ;   in Loop: Header=BB285_16 Depth=1
	s_delay_alu instid0(VALU_DEP_3) | instskip(NEXT) | instid1(VALU_DEP_1)
	v_clz_i32_u32_e32 v90, v90
	v_min_u32_e32 v90, 32, v90
	s_delay_alu instid0(VALU_DEP_1) | instskip(NEXT) | instid1(VALU_DEP_1)
	v_subrev_nc_u32_e32 v92, 28, v90
	v_lshlrev_b64_e32 v[93:94], v92, v[1:2]
	v_sub_nc_u32_e32 v92, 29, v90
	s_delay_alu instid0(VALU_DEP_2)
	v_and_b32_e32 v90, 7, v93
; %bb.616:                              ;   in Loop: Header=BB285_16 Depth=1
	s_or_b32 exec_lo, exec_lo, s46
	v_lshlrev_b32_e32 v1, 8, v1
	s_delay_alu instid0(VALU_DEP_3) | instskip(NEXT) | instid1(VALU_DEP_3)
	v_lshl_add_u32 v92, v92, 10, 0x2000
	v_lshlrev_b32_e32 v90, 7, v90
	s_delay_alu instid0(VALU_DEP_3) | instskip(NEXT) | instid1(VALU_DEP_3)
	v_and_b32_e32 v1, 0x8000, v1
	v_and_b32_e32 v92, 0xfc00, v92
	s_delay_alu instid0(VALU_DEP_1)
	v_or3_b32 v90, v1, v92, v90
.LBB285_617:                            ;   in Loop: Header=BB285_16 Depth=1
	s_wait_alu 0xfffe
	s_or_b32 exec_lo, exec_lo, s45
.LBB285_618:                            ;   in Loop: Header=BB285_16 Depth=1
	s_wait_alu 0xfffe
	s_or_b32 exec_lo, exec_lo, s44
.LBB285_619:                            ;   in Loop: Header=BB285_16 Depth=1
	s_wait_alu 0xfffe
	s_or_b32 exec_lo, exec_lo, s43
	v_dual_mov_b32 v92, 0 :: v_dual_mov_b32 v93, 0
	s_mov_b32 s43, exec_lo
	v_cmpx_lt_u32_e32 0xffffff, v7
	s_cbranch_execz .LBB285_627
; %bb.620:                              ;   in Loop: Header=BB285_16 Depth=1
	v_lshrrev_b32_e32 v1, 24, v7
	v_bfrev_b32_e32 v93, 1
	s_mov_b32 s44, exec_lo
	s_delay_alu instid0(VALU_DEP_2)
	v_cmpx_ne_u32_e32 0x80, v1
	s_cbranch_execz .LBB285_626
; %bb.621:                              ;   in Loop: Header=BB285_16 Depth=1
	v_and_b32_e32 v98, 0x7f, v1
	v_mov_b32_e32 v93, 0x7c010000
	s_mov_b32 s45, exec_lo
	s_delay_alu instid0(VALU_DEP_2)
	v_cmpx_ne_u32_e32 0x7f, v98
	s_cbranch_execz .LBB285_625
; %bb.622:                              ;   in Loop: Header=BB285_16 Depth=1
	v_and_b32_e32 v93, 7, v1
	v_lshrrev_b32_e32 v94, 3, v98
	s_mov_b32 s46, exec_lo
	v_cmpx_gt_u32_e32 8, v98
; %bb.623:                              ;   in Loop: Header=BB285_16 Depth=1
	s_delay_alu instid0(VALU_DEP_3) | instskip(NEXT) | instid1(VALU_DEP_1)
	v_clz_i32_u32_e32 v93, v93
	v_min_u32_e32 v98, 32, v93
	s_delay_alu instid0(VALU_DEP_1) | instskip(NEXT) | instid1(VALU_DEP_1)
	v_subrev_nc_u32_e32 v93, 28, v98
	v_lshlrev_b64_e32 v[93:94], v93, v[1:2]
	v_sub_nc_u32_e32 v94, 29, v98
	s_delay_alu instid0(VALU_DEP_2)
	v_and_b32_e32 v93, 7, v93
; %bb.624:                              ;   in Loop: Header=BB285_16 Depth=1
	s_or_b32 exec_lo, exec_lo, s46
	v_lshlrev_b32_e32 v1, 8, v1
	s_delay_alu instid0(VALU_DEP_3) | instskip(NEXT) | instid1(VALU_DEP_3)
	v_lshl_add_u32 v94, v94, 10, 0x2000
	v_lshlrev_b32_e32 v93, 23, v93
	s_delay_alu instid0(VALU_DEP_2) | instskip(NEXT) | instid1(VALU_DEP_1)
	v_and_or_b32 v1, 0x8000, v1, v94
	v_lshl_or_b32 v93, v1, 16, v93
.LBB285_625:                            ;   in Loop: Header=BB285_16 Depth=1
	s_wait_alu 0xfffe
	s_or_b32 exec_lo, exec_lo, s45
.LBB285_626:                            ;   in Loop: Header=BB285_16 Depth=1
	s_wait_alu 0xfffe
	s_or_b32 exec_lo, exec_lo, s44
.LBB285_627:                            ;   in Loop: Header=BB285_16 Depth=1
	s_wait_alu 0xfffe
	s_or_b32 exec_lo, exec_lo, s43
	v_dual_mov_b32 v1, v8 :: v_dual_and_b32 v94, 0xff, v8
	s_mov_b32 s43, exec_lo
	s_delay_alu instid0(VALU_DEP_1)
	v_cmpx_ne_u16_e32 0, v94
	s_cbranch_execz .LBB285_635
; %bb.628:                              ;   in Loop: Header=BB285_16 Depth=1
	v_mov_b32_e32 v92, 0x8000
	s_mov_b32 s44, exec_lo
	v_cmpx_ne_u16_e32 0x80, v94
	s_cbranch_execz .LBB285_634
; %bb.629:                              ;   in Loop: Header=BB285_16 Depth=1
	v_and_b32_e32 v98, 0x7f, v8
	v_mov_b32_e32 v92, 0x7c01
	s_mov_b32 s45, exec_lo
	s_delay_alu instid0(VALU_DEP_2)
	v_cmpx_ne_u32_e32 0x7f, v98
	s_cbranch_execz .LBB285_633
; %bb.630:                              ;   in Loop: Header=BB285_16 Depth=1
	v_and_b32_e32 v92, 7, v8
	v_lshrrev_b32_e32 v94, 3, v98
	s_mov_b32 s46, exec_lo
	v_cmpx_gt_u32_e32 8, v98
; %bb.631:                              ;   in Loop: Header=BB285_16 Depth=1
	s_delay_alu instid0(VALU_DEP_3) | instskip(NEXT) | instid1(VALU_DEP_1)
	v_clz_i32_u32_e32 v92, v92
	v_min_u32_e32 v92, 32, v92
	s_delay_alu instid0(VALU_DEP_1) | instskip(NEXT) | instid1(VALU_DEP_1)
	v_subrev_nc_u32_e32 v94, 28, v92
	v_lshlrev_b64_e32 v[101:102], v94, v[1:2]
	v_sub_nc_u32_e32 v94, 29, v92
	s_delay_alu instid0(VALU_DEP_2)
	v_and_b32_e32 v92, 7, v101
; %bb.632:                              ;   in Loop: Header=BB285_16 Depth=1
	s_or_b32 exec_lo, exec_lo, s46
	v_lshlrev_b32_e32 v98, 8, v8
	s_delay_alu instid0(VALU_DEP_3) | instskip(NEXT) | instid1(VALU_DEP_3)
	v_lshl_add_u32 v94, v94, 10, 0x2000
	v_lshlrev_b32_e32 v92, 7, v92
	s_delay_alu instid0(VALU_DEP_3) | instskip(NEXT) | instid1(VALU_DEP_3)
	v_and_b32_e32 v98, 0x8000, v98
	v_and_b32_e32 v94, 0xfc00, v94
	s_delay_alu instid0(VALU_DEP_1)
	v_or3_b32 v92, v98, v94, v92
.LBB285_633:                            ;   in Loop: Header=BB285_16 Depth=1
	s_wait_alu 0xfffe
	s_or_b32 exec_lo, exec_lo, s45
.LBB285_634:                            ;   in Loop: Header=BB285_16 Depth=1
	s_wait_alu 0xfffe
	s_or_b32 exec_lo, exec_lo, s44
.LBB285_635:                            ;   in Loop: Header=BB285_16 Depth=1
	s_wait_alu 0xfffe
	s_or_b32 exec_lo, exec_lo, s43
	v_lshrrev_b16 v1, 8, v1
	v_mov_b32_e32 v98, 0
	v_mov_b32_e32 v94, 0
	s_mov_b32 s43, exec_lo
	s_delay_alu instid0(VALU_DEP_3)
	v_cmpx_ne_u16_e32 0, v1
	s_cbranch_execz .LBB285_643
; %bb.636:                              ;   in Loop: Header=BB285_16 Depth=1
	v_bfrev_b32_e32 v94, 1
	s_mov_b32 s44, exec_lo
	v_cmpx_ne_u16_e32 0x80, v1
	s_cbranch_execz .LBB285_642
; %bb.637:                              ;   in Loop: Header=BB285_16 Depth=1
	v_and_b32_e32 v101, 0xffff, v1
	v_mov_b32_e32 v94, 0x7c010000
	s_mov_b32 s45, exec_lo
	s_delay_alu instid0(VALU_DEP_2) | instskip(NEXT) | instid1(VALU_DEP_1)
	v_and_b32_e32 v103, 0x7f, v101
	v_cmpx_ne_u32_e32 0x7f, v103
	s_cbranch_execz .LBB285_641
; %bb.638:                              ;   in Loop: Header=BB285_16 Depth=1
	v_and_b32_e32 v94, 7, v101
	v_lshrrev_b32_e32 v102, 3, v103
	s_mov_b32 s46, exec_lo
	v_cmpx_gt_u32_e32 8, v103
; %bb.639:                              ;   in Loop: Header=BB285_16 Depth=1
	s_delay_alu instid0(VALU_DEP_3) | instskip(NEXT) | instid1(VALU_DEP_1)
	v_clz_i32_u32_e32 v94, v94
	v_min_u32_e32 v94, 32, v94
	s_delay_alu instid0(VALU_DEP_1) | instskip(NEXT) | instid1(VALU_DEP_1)
	v_subrev_nc_u32_e32 v102, 28, v94
	v_lshlrev_b64_e32 v[103:104], v102, v[1:2]
	v_sub_nc_u32_e32 v102, 29, v94
	s_delay_alu instid0(VALU_DEP_2)
	v_and_b32_e32 v94, 7, v103
; %bb.640:                              ;   in Loop: Header=BB285_16 Depth=1
	s_or_b32 exec_lo, exec_lo, s46
	v_lshlrev_b32_e32 v1, 8, v101
	s_delay_alu instid0(VALU_DEP_3) | instskip(NEXT) | instid1(VALU_DEP_3)
	v_lshl_add_u32 v101, v102, 10, 0x2000
	v_lshlrev_b32_e32 v94, 23, v94
	s_delay_alu instid0(VALU_DEP_2) | instskip(NEXT) | instid1(VALU_DEP_1)
	v_and_or_b32 v1, 0x8000, v1, v101
	v_lshl_or_b32 v94, v1, 16, v94
.LBB285_641:                            ;   in Loop: Header=BB285_16 Depth=1
	s_wait_alu 0xfffe
	s_or_b32 exec_lo, exec_lo, s45
.LBB285_642:                            ;   in Loop: Header=BB285_16 Depth=1
	s_wait_alu 0xfffe
	s_or_b32 exec_lo, exec_lo, s44
.LBB285_643:                            ;   in Loop: Header=BB285_16 Depth=1
	s_wait_alu 0xfffe
	s_or_b32 exec_lo, exec_lo, s43
	v_lshrrev_b32_e32 v1, 16, v8
	s_mov_b32 s43, exec_lo
	s_delay_alu instid0(VALU_DEP_1) | instskip(NEXT) | instid1(VALU_DEP_1)
	v_and_b32_e32 v101, 0xff, v1
	v_cmpx_ne_u16_e32 0, v101
	s_cbranch_execz .LBB285_651
; %bb.644:                              ;   in Loop: Header=BB285_16 Depth=1
	v_mov_b32_e32 v98, 0x8000
	s_mov_b32 s44, exec_lo
	v_cmpx_ne_u16_e32 0x80, v101
	s_cbranch_execz .LBB285_650
; %bb.645:                              ;   in Loop: Header=BB285_16 Depth=1
	v_bfe_u32 v102, v8, 16, 7
	v_mov_b32_e32 v98, 0x7c01
	s_mov_b32 s45, exec_lo
	s_delay_alu instid0(VALU_DEP_2)
	v_cmpx_ne_u32_e32 0x7f, v102
	s_cbranch_execz .LBB285_649
; %bb.646:                              ;   in Loop: Header=BB285_16 Depth=1
	v_and_b32_e32 v98, 7, v1
	v_lshrrev_b32_e32 v101, 3, v102
	s_mov_b32 s46, exec_lo
	v_cmpx_gt_u32_e32 8, v102
; %bb.647:                              ;   in Loop: Header=BB285_16 Depth=1
	s_delay_alu instid0(VALU_DEP_3) | instskip(NEXT) | instid1(VALU_DEP_1)
	v_clz_i32_u32_e32 v98, v98
	v_min_u32_e32 v98, 32, v98
	s_delay_alu instid0(VALU_DEP_1) | instskip(NEXT) | instid1(VALU_DEP_1)
	v_subrev_nc_u32_e32 v101, 28, v98
	v_lshlrev_b64_e32 v[102:103], v101, v[1:2]
	v_sub_nc_u32_e32 v101, 29, v98
	s_delay_alu instid0(VALU_DEP_2)
	v_and_b32_e32 v98, 7, v102
; %bb.648:                              ;   in Loop: Header=BB285_16 Depth=1
	s_or_b32 exec_lo, exec_lo, s46
	v_lshlrev_b32_e32 v1, 8, v1
	s_delay_alu instid0(VALU_DEP_3) | instskip(NEXT) | instid1(VALU_DEP_3)
	v_lshl_add_u32 v101, v101, 10, 0x2000
	v_lshlrev_b32_e32 v98, 7, v98
	s_delay_alu instid0(VALU_DEP_3) | instskip(NEXT) | instid1(VALU_DEP_3)
	v_and_b32_e32 v1, 0x8000, v1
	v_and_b32_e32 v101, 0xfc00, v101
	s_delay_alu instid0(VALU_DEP_1)
	v_or3_b32 v98, v1, v101, v98
.LBB285_649:                            ;   in Loop: Header=BB285_16 Depth=1
	s_wait_alu 0xfffe
	s_or_b32 exec_lo, exec_lo, s45
.LBB285_650:                            ;   in Loop: Header=BB285_16 Depth=1
	s_wait_alu 0xfffe
	s_or_b32 exec_lo, exec_lo, s44
.LBB285_651:                            ;   in Loop: Header=BB285_16 Depth=1
	s_wait_alu 0xfffe
	s_or_b32 exec_lo, exec_lo, s43
	v_cmp_lt_u64_e64 s3, s[14:15], v[7:8]
	v_mov_b32_e32 v7, 0
	s_and_saveexec_b32 s43, s3
	s_cbranch_execz .LBB285_14
; %bb.652:                              ;   in Loop: Header=BB285_16 Depth=1
	v_lshrrev_b32_e32 v1, 24, v8
	v_bfrev_b32_e32 v7, 1
	s_mov_b32 s44, exec_lo
	s_delay_alu instid0(VALU_DEP_2)
	v_cmpx_ne_u32_e32 0x80, v1
	s_cbranch_execz .LBB285_13
; %bb.653:                              ;   in Loop: Header=BB285_16 Depth=1
	v_and_b32_e32 v101, 0x7f, v1
	v_mov_b32_e32 v7, 0x7c010000
	s_mov_b32 s45, exec_lo
	s_delay_alu instid0(VALU_DEP_2)
	v_cmpx_ne_u32_e32 0x7f, v101
	s_cbranch_execz .LBB285_12
; %bb.654:                              ;   in Loop: Header=BB285_16 Depth=1
	v_and_b32_e32 v7, 7, v1
	v_lshrrev_b32_e32 v8, 3, v101
	s_mov_b32 s46, exec_lo
	v_cmpx_gt_u32_e32 8, v101
	s_cbranch_execz .LBB285_11
; %bb.655:                              ;   in Loop: Header=BB285_16 Depth=1
	v_clz_i32_u32_e32 v7, v7
	s_delay_alu instid0(VALU_DEP_1) | instskip(NEXT) | instid1(VALU_DEP_1)
	v_min_u32_e32 v101, 32, v7
	v_subrev_nc_u32_e32 v7, 28, v101
	s_delay_alu instid0(VALU_DEP_1) | instskip(SKIP_1) | instid1(VALU_DEP_2)
	v_lshlrev_b64_e32 v[7:8], v7, v[1:2]
	v_sub_nc_u32_e32 v8, 29, v101
	v_and_b32_e32 v7, 7, v7
	s_branch .LBB285_11
.LBB285_656:
	s_or_b32 exec_lo, exec_lo, s42
.LBB285_657:
	s_delay_alu instid0(SALU_CYCLE_1)
	s_or_b32 exec_lo, exec_lo, s12
	v_mbcnt_lo_u32_b32 v1, -1, 0
	s_clause 0x2
	s_load_b128 s[12:15], s[0:1], 0x0
	s_load_b64 s[8:9], s[0:1], 0x10
	s_load_b64 s[30:31], s[0:1], 0x28
	v_max_num_f32_e32 v5, v17, v17
	v_xor_b32_e32 v2, 16, v1
	v_xor_b32_e32 v4, 8, v1
	s_delay_alu instid0(VALU_DEP_2) | instskip(SKIP_2) | instid1(VALU_DEP_3)
	v_cmp_gt_i32_e32 vcc_lo, 32, v2
	s_wait_alu 0xfffd
	v_cndmask_b32_e32 v2, v1, v2, vcc_lo
	v_cmp_gt_i32_e32 vcc_lo, 32, v4
	s_delay_alu instid0(VALU_DEP_2)
	v_lshlrev_b32_e32 v2, 2, v2
	s_wait_alu 0xfffd
	v_cndmask_b32_e32 v4, v1, v4, vcc_lo
	ds_bpermute_b32 v3, v2, v17
	s_wait_dscnt 0x0
	v_dual_max_num_f32 v6, v3, v3 :: v_dual_lshlrev_b32 v3, 2, v4
	s_delay_alu instid0(VALU_DEP_1)
	v_max_num_f32_e32 v4, v5, v6
	v_xor_b32_e32 v6, 4, v1
	ds_bpermute_b32 v5, v3, v4
	v_cmp_gt_i32_e32 vcc_lo, 32, v6
	s_wait_alu 0xfffd
	v_cndmask_b32_e32 v6, v1, v6, vcc_lo
	s_wait_dscnt 0x0
	v_max_num_f32_e32 v7, v5, v5
	s_delay_alu instid0(VALU_DEP_1)
	v_dual_max_num_f32 v4, v4, v7 :: v_dual_lshlrev_b32 v5, 2, v6
	v_xor_b32_e32 v7, 2, v1
	ds_bpermute_b32 v6, v5, v4
	v_cmp_gt_i32_e32 vcc_lo, 32, v7
	s_wait_dscnt 0x0
	s_wait_alu 0xfffd
	v_dual_cndmask_b32 v7, v1, v7 :: v_dual_max_num_f32 v6, v6, v6
	s_delay_alu instid0(VALU_DEP_1) | instskip(NEXT) | instid1(VALU_DEP_2)
	v_max_num_f32_e32 v4, v4, v6
	v_lshlrev_b32_e32 v18, 2, v7
	v_xor_b32_e32 v7, 1, v1
	s_delay_alu instid0(VALU_DEP_1)
	v_cmp_gt_i32_e32 vcc_lo, 32, v7
	s_wait_alu 0xfffd
	v_cndmask_b32_e32 v7, v1, v7, vcc_lo
	ds_bpermute_b32 v6, v18, v4
	v_cmp_eq_u32_e32 vcc_lo, 0, v12
	s_wait_dscnt 0x0
	v_dual_max_num_f32 v6, v6, v6 :: v_dual_lshlrev_b32 v17, 2, v7
	s_delay_alu instid0(VALU_DEP_1)
	v_dual_max_num_f32 v1, v4, v6 :: v_dual_lshlrev_b32 v6, 2, v11
	ds_bpermute_b32 v4, v17, v1
	s_and_saveexec_b32 s0, vcc_lo
	s_cbranch_execz .LBB285_659
; %bb.658:
	s_wait_dscnt 0x0
	v_dual_max_num_f32 v4, v4, v4 :: v_dual_max_num_f32 v1, v1, v1
	s_delay_alu instid0(VALU_DEP_1)
	v_max_num_f32_e32 v1, v1, v4
	ds_store_b32 v6, v1 offset:160
.LBB285_659:
	s_or_b32 exec_lo, exec_lo, s0
	v_cmp_gt_u32_e64 s0, 4, v12
	v_mov_b32_e32 v1, 0xff7fffff
	s_wait_loadcnt_dscnt 0x0
	s_barrier_signal -1
	s_barrier_wait -1
	global_inv scope:SCOPE_SE
	s_and_saveexec_b32 s1, s0
; %bb.660:
	ds_load_b32 v1, v16 offset:160
; %bb.661:
	s_or_b32 exec_lo, exec_lo, s1
	s_wait_dscnt 0x0
	ds_bpermute_b32 v4, v18, v1
	v_max_num_f32_e32 v1, v1, v1
	s_sub_co_i32 s1, s35, s39
	v_mov_b32_e32 v7, 0
	s_lshl_b32 s1, s1, 5
	s_delay_alu instid0(SALU_CYCLE_1) | instskip(NEXT) | instid1(SALU_CYCLE_1)
	s_add_co_i32 s1, s1, s36
	s_min_i32 s1, s1, s34
	s_delay_alu instid0(SALU_CYCLE_1) | instskip(SKIP_4) | instid1(VALU_DEP_1)
	s_sub_co_i32 s4, s1, s36
	s_wait_alu 0xfffe
	v_cmp_gt_i32_e64 s1, s4, v0
	s_wait_dscnt 0x0
	v_max_num_f32_e32 v4, v4, v4
	v_max_num_f32_e32 v1, v1, v4
	ds_bpermute_b32 v4, v17, v1
	s_wait_dscnt 0x0
	v_max_num_f32_e32 v4, v4, v4
	s_delay_alu instid0(VALU_DEP_1)
	v_max_num_f32_e32 v1, v1, v4
	v_lshl_add_u32 v4, v0, 2, 0xc0
	ds_bpermute_b32 v1, v7, v1
	s_and_saveexec_b32 s19, s1
	s_cbranch_execz .LBB285_665
; %bb.662:
	v_lshl_add_u32 v8, v0, 2, 0xc0
	v_mov_b32_e32 v7, 0
	v_mov_b32_e32 v9, v0
	s_mov_b32 s36, 0
.LBB285_663:                            ; =>This Inner Loop Header: Depth=1
	ds_load_b32 v10, v8
	v_add_nc_u32_e32 v9, 0x80, v9
	s_delay_alu instid0(VALU_DEP_1) | instskip(SKIP_4) | instid1(VALU_DEP_1)
	v_cmp_le_i32_e64 s3, s4, v9
	s_wait_alu 0xfffe
	s_or_b32 s36, s3, s36
	s_wait_dscnt 0x0
	v_sub_f32_e32 v10, v10, v1
	v_mul_f32_e32 v10, 0x3fb8aa3b, v10
	s_delay_alu instid0(VALU_DEP_1)
	v_exp_f32_e32 v10, v10
	ds_store_b32 v8, v10
	v_dual_add_f32 v7, v7, v10 :: v_dual_add_nc_u32 v8, 0x200, v8
	s_wait_alu 0xfffe
	s_and_not1_b32 exec_lo, exec_lo, s36
	s_cbranch_execnz .LBB285_663
; %bb.664:
	s_or_b32 exec_lo, exec_lo, s36
.LBB285_665:
	s_wait_alu 0xfffe
	s_or_b32 exec_lo, exec_lo, s19
	ds_bpermute_b32 v2, v2, v7
	s_wait_dscnt 0x0
	v_add_f32_e32 v2, v7, v2
	ds_bpermute_b32 v3, v3, v2
	s_wait_dscnt 0x0
	v_add_f32_e32 v2, v2, v3
	;; [unrolled: 3-line block ×5, first 2 shown]
	s_and_saveexec_b32 s3, vcc_lo
; %bb.666:
	ds_store_b32 v6, v2 offset:176
; %bb.667:
	s_wait_alu 0xfffe
	s_or_b32 exec_lo, exec_lo, s3
	s_wait_loadcnt_dscnt 0x0
	s_barrier_signal -1
	s_barrier_wait -1
	global_inv scope:SCOPE_SE
	s_and_saveexec_b32 s3, s0
; %bb.668:
	ds_load_b32 v2, v16 offset:176
; %bb.669:
	s_wait_alu 0xfffe
	s_or_b32 exec_lo, exec_lo, s3
	s_wait_dscnt 0x0
	ds_bpermute_b32 v3, v18, v2
	s_wait_dscnt 0x0
	v_add_f32_e32 v2, v2, v3
	ds_bpermute_b32 v3, v17, v2
	s_wait_dscnt 0x0
	v_dual_add_f32 v2, v2, v3 :: v_dual_mov_b32 v3, 0
	ds_bpermute_b32 v2, v3, v2
	s_and_saveexec_b32 s0, s1
	s_cbranch_execz .LBB285_672
; %bb.670:
	s_wait_dscnt 0x0
	v_add_f32_e32 v3, 0x358637bd, v2
	s_mov_b32 s1, 0
	s_delay_alu instid0(VALU_DEP_1) | instskip(SKIP_1) | instid1(VALU_DEP_2)
	v_div_scale_f32 v5, null, v3, v3, 1.0
	v_div_scale_f32 v8, vcc_lo, 1.0, v3, 1.0
	v_rcp_f32_e32 v6, v5
	s_delay_alu instid0(TRANS32_DEP_1) | instskip(NEXT) | instid1(VALU_DEP_1)
	v_fma_f32 v7, -v5, v6, 1.0
	v_fmac_f32_e32 v6, v7, v6
	s_delay_alu instid0(VALU_DEP_1) | instskip(NEXT) | instid1(VALU_DEP_1)
	v_mul_f32_e32 v7, v8, v6
	v_fma_f32 v9, -v5, v7, v8
	s_delay_alu instid0(VALU_DEP_1) | instskip(NEXT) | instid1(VALU_DEP_1)
	v_fmac_f32_e32 v7, v9, v6
	v_fma_f32 v5, -v5, v7, v8
	s_wait_alu 0xfffd
	s_delay_alu instid0(VALU_DEP_1) | instskip(NEXT) | instid1(VALU_DEP_1)
	v_div_fmas_f32 v5, v5, v6, v7
	v_div_fixup_f32 v3, v5, v3, 1.0
	v_mov_b32_e32 v5, v0
.LBB285_671:                            ; =>This Inner Loop Header: Depth=1
	ds_load_b32 v6, v4
	s_wait_dscnt 0x0
	v_dual_mul_f32 v6, v3, v6 :: v_dual_add_nc_u32 v5, 0x80, v5
	s_delay_alu instid0(VALU_DEP_1) | instskip(SKIP_3) | instid1(SALU_CYCLE_1)
	v_cmp_le_i32_e32 vcc_lo, s4, v5
	ds_store_b32 v4, v6
	v_add_nc_u32_e32 v4, 0x200, v4
	s_or_b32 s1, vcc_lo, s1
	s_and_not1_b32 exec_lo, exec_lo, s1
	s_cbranch_execnz .LBB285_671
.LBB285_672:
	s_or_b32 exec_lo, exec_lo, s0
	s_mul_i32 s0, s7, s28
	s_wait_loadcnt_dscnt 0x0
	s_mul_i32 s28, s0, s29
	s_mov_b32 s0, exec_lo
	s_barrier_signal -1
	s_barrier_wait -1
	global_inv scope:SCOPE_SE
	v_cmpx_eq_u32_e32 0, v0
	s_cbranch_execz .LBB285_674
; %bb.673:
	s_ashr_i32 s29, s28, 31
	s_mul_i32 s40, s7, ttmp9
	s_lshl_b32 s1, s33, 2
	s_lshl_b64 s[42:43], s[28:29], 2
	s_wait_alu 0xfffe
	s_ashr_i32 s41, s40, 31
	v_mov_b32_e32 v3, s1
	s_wait_kmcnt 0x0
	s_add_nc_u64 s[14:15], s[14:15], s[42:43]
	s_wait_alu 0xfffe
	s_lshl_b64 s[40:41], s[40:41], 2
	s_add_nc_u64 s[12:13], s[12:13], s[42:43]
	s_wait_alu 0xfffe
	s_add_nc_u64 s[14:15], s[14:15], s[40:41]
	s_add_nc_u64 s[12:13], s[12:13], s[40:41]
	s_clause 0x1
	global_store_b32 v3, v1, s[14:15]
	global_store_b32 v3, v2, s[12:13]
.LBB285_674:
	s_or_b32 exec_lo, exec_lo, s0
	v_dual_mov_b32 v27, 0 :: v_dual_and_b32 v16, 3, v0
	v_dual_mov_b32 v28, 0 :: v_dual_mov_b32 v25, 0
	v_dual_mov_b32 v26, 0 :: v_dual_mov_b32 v23, 0
	;; [unrolled: 1-line block ×4, first 2 shown]
	v_mov_b32_e32 v20, 0
	s_and_saveexec_b32 s1, s2
	s_cbranch_execz .LBB285_1340
; %bb.675:
	s_abs_i32 s4, s6
	s_wait_kmcnt 0x0
	s_lshl_b64 s[12:13], s[26:27], 2
	s_wait_alu 0xfffe
	s_cvt_f32_u32 s0, s4
	s_mov_b32 s6, s17
	s_add_nc_u64 s[12:13], s[24:25], s[12:13]
	v_dual_mov_b32 v2, 0 :: v_dual_lshlrev_b32 v1, 3, v0
	s_wait_alu 0xfffe
	v_rcp_iflag_f32_e32 v3, s0
	v_dual_mov_b32 v20, 0 :: v_dual_lshlrev_b32 v5, 5, v16
	s_delay_alu instid0(VALU_DEP_2)
	v_dual_mov_b32 v19, 0 :: v_dual_and_b32 v6, 0xf8, v1
	s_ashr_i32 s19, s18, 31
	s_sub_co_i32 s0, 0, s4
	s_wait_alu 0xfffe
	s_add_nc_u64 s[14:15], s[30:31], s[18:19]
	v_dual_mov_b32 v21, 0 :: v_dual_mov_b32 v26, 0
	s_delay_alu instid0(TRANS32_DEP_1)
	v_readfirstlane_b32 s17, v3
	v_add_co_u32 v3, s12, s12, v15
	s_wait_alu 0xf1ff
	v_add_co_ci_u32_e64 v4, null, s13, 0, s12
	s_mul_f32 s12, s17, 0x4f7ffffe
	v_dual_mov_b32 v22, 0 :: v_dual_and_b32 v15, 24, v1
	v_lshl_or_b32 v1, v11, 7, v5
	s_wait_alu 0xfffe
	s_cvt_u32_f32 s13, s12
	v_add_co_u32 v5, s12, s14, v6
	s_wait_alu 0xf1ff
	v_add_co_ci_u32_e64 v6, null, s15, 0, s12
	s_wait_alu 0xfffe
	s_mul_i32 s0, s0, s13
	v_dual_mov_b32 v24, 0 :: v_dual_add_nc_u32 v29, 0xc0, v1
	v_dual_mov_b32 v23, 0 :: v_dual_mov_b32 v28, 0
	v_mov_b32_e32 v25, 0
	v_mov_b32_e32 v27, 0
	s_wait_alu 0xfffe
	s_mul_hi_u32 s0, s13, s0
	s_mov_b32 s2, -1
	s_sub_co_i32 s5, s38, s5
	s_mov_b32 s3, 0xffffff
	s_add_co_i32 s37, s37, -1
	s_mov_b32 s12, 0
	s_wait_alu 0xfffe
	s_add_co_i32 s13, s13, s0
	s_branch .LBB285_678
.LBB285_676:                            ;   in Loop: Header=BB285_678 Depth=1
	s_wait_alu 0xfffe
	s_or_b32 exec_lo, exec_lo, s0
	v_dual_add_f32 v9, v9, v10 :: v_dual_add_f32 v10, v56, v57
	v_add_f32_e32 v32, v50, v51
	v_dual_add_f32 v30, v54, v55 :: v_dual_add_f32 v31, v52, v53
	s_delay_alu instid0(VALU_DEP_3)
	v_dual_add_f32 v20, v20, v9 :: v_dual_add_f32 v21, v21, v10
	;;#ASMSTART
	v_pk_mul_f16 v10, v43, v58;

	;;#ASMEND
	;;#ASMSTART
	v_pk_mul_f16 v8, v41, v8;

	;;#ASMEND
	;; [unrolled: 4-line block ×4, first 2 shown]
	;;#ASMSTART
	v_pk_add_f16 v8, v10, v8;

	;;#ASMEND
	;;#ASMSTART
	v_pk_add_f16 v7, v8, v7;

	;;#ASMEND
	;; [unrolled: 4-line block ×3, first 2 shown]
	v_dual_add_f32 v7, v44, v45 :: v_dual_add_f32 v8, v33, v35
	v_and_b32_e32 v10, 0xffff, v1
	v_dual_add_f32 v22, v22, v30 :: v_dual_add_f32 v9, v48, v49
	v_lshrrev_b32_e32 v30, 16, v1
	s_delay_alu instid0(VALU_DEP_4) | instskip(SKIP_4) | instid1(VALU_DEP_2)
	v_add_f32_e32 v27, v27, v8
	;;#ASMSTART
	v_cvt_f32_f16 v10, v10;
	;;#ASMEND
	v_dual_add_f32 v24, v24, v32 :: v_dual_add_f32 v1, v46, v47
	;;#ASMSTART
	v_cvt_f32_f16 v30, v30;
	;;#ASMEND
	v_dual_add_f32 v10, v10, v30 :: v_dual_add_f32 v25, v25, v9
	v_dual_add_f32 v23, v23, v31 :: v_dual_add_f32 v26, v26, v1
	s_delay_alu instid0(VALU_DEP_2)
	v_dual_add_f32 v28, v28, v7 :: v_dual_add_f32 v19, v19, v10
.LBB285_677:                            ;   in Loop: Header=BB285_678 Depth=1
	s_wait_alu 0xfffe
	s_or_b32 exec_lo, exec_lo, s14
	v_add_nc_u32_e32 v14, 4, v14
	v_add_co_u32 v3, s0, v3, 16
	s_wait_alu 0xf1ff
	v_add_co_ci_u32_e64 v4, null, 0, v4, s0
	s_delay_alu instid0(VALU_DEP_3)
	v_cmp_le_i32_e32 vcc_lo, s35, v14
	v_add_nc_u32_e32 v13, 0x80, v13
	v_add_nc_u32_e32 v29, 0x200, v29
	s_or_b32 s12, vcc_lo, s12
	s_wait_alu 0xfffe
	s_and_not1_b32 exec_lo, exec_lo, s12
	s_cbranch_execz .LBB285_1339
.LBB285_678:                            ; =>This Inner Loop Header: Depth=1
	v_sub_nc_u32_e32 v1, 0, v13
	s_delay_alu instid0(VALU_DEP_1) | instskip(NEXT) | instid1(VALU_DEP_1)
	v_max_i32_e32 v1, v13, v1
	v_mul_hi_u32 v7, v1, s22
	s_delay_alu instid0(VALU_DEP_1) | instskip(NEXT) | instid1(VALU_DEP_1)
	v_mul_lo_u32 v8, v7, s16
	v_sub_nc_u32_e32 v1, v1, v8
	s_delay_alu instid0(VALU_DEP_1) | instskip(SKIP_2) | instid1(VALU_DEP_2)
	v_subrev_nc_u32_e32 v9, s16, v1
	v_cmp_le_u32_e32 vcc_lo, s16, v1
	s_wait_alu 0xfffd
	v_dual_cndmask_b32 v1, v1, v9 :: v_dual_add_nc_u32 v8, 1, v7
	s_delay_alu instid0(VALU_DEP_1) | instskip(SKIP_1) | instid1(VALU_DEP_3)
	v_cndmask_b32_e32 v7, v7, v8, vcc_lo
	v_ashrrev_i32_e32 v8, 31, v13
	v_cmp_le_u32_e32 vcc_lo, s16, v1
	s_delay_alu instid0(VALU_DEP_3) | instskip(NEXT) | instid1(VALU_DEP_3)
	v_add_nc_u32_e32 v9, 1, v7
	v_xor_b32_e32 v8, s23, v8
	s_wait_alu 0xfffd
	s_delay_alu instid0(VALU_DEP_2) | instskip(NEXT) | instid1(VALU_DEP_1)
	v_cndmask_b32_e32 v1, v7, v9, vcc_lo
	v_xor_b32_e32 v1, v1, v8
	s_delay_alu instid0(VALU_DEP_1) | instskip(NEXT) | instid1(VALU_DEP_1)
	v_sub_nc_u32_e32 v1, v1, v8
	v_add_nc_u32_e32 v7, s21, v1
	v_cmp_lt_i32_e64 s0, s5, v1
	s_delay_alu instid0(VALU_DEP_2) | instskip(NEXT) | instid1(VALU_DEP_1)
	v_sub_nc_u32_e32 v8, 0, v7
	v_max_i32_e32 v8, v7, v8
	v_ashrrev_i32_e32 v7, 31, v7
	s_wait_alu 0xfffe
	s_delay_alu instid0(VALU_DEP_2) | instskip(NEXT) | instid1(VALU_DEP_1)
	v_mul_hi_u32 v9, v8, s13
	v_mul_lo_u32 v9, v9, s4
	s_delay_alu instid0(VALU_DEP_1) | instskip(NEXT) | instid1(VALU_DEP_1)
	v_sub_nc_u32_e32 v8, v8, v9
	v_subrev_nc_u32_e32 v9, s4, v8
	v_cmp_le_u32_e32 vcc_lo, s4, v8
	s_wait_alu 0xfffd
	s_delay_alu instid0(VALU_DEP_2) | instskip(NEXT) | instid1(VALU_DEP_1)
	v_cndmask_b32_e32 v8, v8, v9, vcc_lo
	v_subrev_nc_u32_e32 v9, s4, v8
	v_cmp_le_u32_e32 vcc_lo, s4, v8
	s_wait_alu 0xfffd
	s_delay_alu instid0(VALU_DEP_2) | instskip(NEXT) | instid1(VALU_DEP_1)
	v_cndmask_b32_e32 v8, v8, v9, vcc_lo
	v_xor_b32_e32 v8, v8, v7
	s_delay_alu instid0(VALU_DEP_1) | instskip(NEXT) | instid1(VALU_DEP_1)
	v_sub_nc_u32_e32 v7, v8, v7
	v_cmp_eq_u32_e32 vcc_lo, 0, v7
	s_or_b32 s0, vcc_lo, s0
	s_wait_alu 0xfffe
	s_and_saveexec_b32 s14, s0
	s_cbranch_execz .LBB285_677
; %bb.679:                              ;   in Loop: Header=BB285_678 Depth=1
	global_load_b32 v1, v[3:4], off
	ds_load_2addr_b64 v[34:37], v29 offset1:1
	ds_load_2addr_b64 v[43:46], v29 offset0:2 offset1:3
	s_mov_b32 s0, exec_lo
	s_wait_dscnt 0x1
	;;#ASMSTART
	v_cvt_f16_f32 v33, v34;

	;;#ASMEND
	;;#ASMSTART
	v_cvt_f16_f32 v35, v35;

	;;#ASMEND
	;; [unrolled: 4-line block ×4, first 2 shown]
	s_wait_dscnt 0x0
	;;#ASMSTART
	v_cvt_f16_f32 v43, v43;

	;;#ASMEND
	;;#ASMSTART
	v_cvt_f16_f32 v39, v44;

	;;#ASMEND
	;; [unrolled: 4-line block ×4, first 2 shown]
	v_mov_b32_e32 v34, 0
	s_wait_loadcnt 0x0
	v_mad_co_i64_i32 v[7:8], null, v1, s6, v[5:6]
	global_load_b64 v[9:10], v[7:8], off
	s_wait_loadcnt 0x0
	v_dual_mov_b32 v32, 0 :: v_dual_and_b32 v1, 0xff, v9
	global_load_b32 v31, v32, s[10:11]
	v_cmpx_ne_u16_e32 0, v1
	s_cbranch_execz .LBB285_687
; %bb.680:                              ;   in Loop: Header=BB285_678 Depth=1
	v_mov_b32_e32 v34, 0x8000
	s_mov_b32 s15, exec_lo
	v_cmpx_ne_u16_e32 0x80, v1
	s_cbranch_execz .LBB285_686
; %bb.681:                              ;   in Loop: Header=BB285_678 Depth=1
	v_and_b32_e32 v36, 0x7f, v9
	v_mov_b32_e32 v34, 0x7c01
	s_mov_b32 s17, exec_lo
	s_delay_alu instid0(VALU_DEP_2)
	v_cmpx_ne_u32_e32 0x7f, v36
	s_cbranch_execz .LBB285_685
; %bb.682:                              ;   in Loop: Header=BB285_678 Depth=1
	v_and_b32_e32 v1, 7, v9
	v_lshrrev_b32_e32 v30, 3, v36
	s_mov_b32 s18, exec_lo
	v_cmpx_gt_u32_e32 8, v36
; %bb.683:                              ;   in Loop: Header=BB285_678 Depth=1
	s_delay_alu instid0(VALU_DEP_3) | instskip(NEXT) | instid1(VALU_DEP_1)
	v_clz_i32_u32_e32 v1, v1
	v_min_u32_e32 v1, 32, v1
	s_delay_alu instid0(VALU_DEP_1) | instskip(NEXT) | instid1(VALU_DEP_1)
	v_subrev_nc_u32_e32 v30, 28, v1
	v_lshlrev_b64_e32 v[46:47], v30, v[9:10]
	v_sub_nc_u32_e32 v30, 29, v1
	s_delay_alu instid0(VALU_DEP_2)
	v_and_b32_e32 v1, 7, v46
; %bb.684:                              ;   in Loop: Header=BB285_678 Depth=1
	s_wait_alu 0xfffe
	s_or_b32 exec_lo, exec_lo, s18
	v_lshlrev_b32_e32 v34, 8, v9
	v_lshl_add_u32 v30, v30, 10, 0x2000
	v_lshlrev_b32_e32 v1, 7, v1
	s_delay_alu instid0(VALU_DEP_3) | instskip(NEXT) | instid1(VALU_DEP_3)
	v_and_b32_e32 v34, 0x8000, v34
	v_and_b32_e32 v30, 0xfc00, v30
	s_delay_alu instid0(VALU_DEP_1)
	v_or3_b32 v34, v34, v30, v1
.LBB285_685:                            ;   in Loop: Header=BB285_678 Depth=1
	s_wait_alu 0xfffe
	s_or_b32 exec_lo, exec_lo, s17
.LBB285_686:                            ;   in Loop: Header=BB285_678 Depth=1
	s_wait_alu 0xfffe
	s_or_b32 exec_lo, exec_lo, s15
.LBB285_687:                            ;   in Loop: Header=BB285_678 Depth=1
	s_wait_alu 0xfffe
	s_or_b32 exec_lo, exec_lo, s0
	v_lshrrev_b16 v1, 8, v9
	s_mov_b32 s0, exec_lo
	s_delay_alu instid0(VALU_DEP_1)
	v_cmpx_ne_u16_e32 0, v1
	s_cbranch_execz .LBB285_695
; %bb.688:                              ;   in Loop: Header=BB285_678 Depth=1
	v_bfrev_b32_e32 v32, 1
	s_mov_b32 s15, exec_lo
	v_cmpx_ne_u16_e32 0x80, v1
	s_cbranch_execz .LBB285_694
; %bb.689:                              ;   in Loop: Header=BB285_678 Depth=1
	v_and_b32_e32 v30, 0xffff, v1
	v_mov_b32_e32 v32, 0x7c010000
	s_mov_b32 s17, exec_lo
	s_delay_alu instid0(VALU_DEP_2) | instskip(NEXT) | instid1(VALU_DEP_1)
	v_and_b32_e32 v38, 0x7f, v30
	v_cmpx_ne_u32_e32 0x7f, v38
	s_cbranch_execz .LBB285_693
; %bb.690:                              ;   in Loop: Header=BB285_678 Depth=1
	v_and_b32_e32 v32, 7, v30
	v_lshrrev_b32_e32 v36, 3, v38
	s_mov_b32 s18, exec_lo
	v_cmpx_gt_u32_e32 8, v38
; %bb.691:                              ;   in Loop: Header=BB285_678 Depth=1
	s_delay_alu instid0(VALU_DEP_3) | instskip(NEXT) | instid1(VALU_DEP_1)
	v_clz_i32_u32_e32 v32, v32
	v_min_u32_e32 v32, 32, v32
	s_delay_alu instid0(VALU_DEP_1) | instskip(NEXT) | instid1(VALU_DEP_1)
	v_subrev_nc_u32_e32 v36, 28, v32
	v_lshlrev_b64_e32 v[46:47], v36, v[1:2]
	v_sub_nc_u32_e32 v36, 29, v32
	s_delay_alu instid0(VALU_DEP_2)
	v_and_b32_e32 v32, 7, v46
; %bb.692:                              ;   in Loop: Header=BB285_678 Depth=1
	s_wait_alu 0xfffe
	s_or_b32 exec_lo, exec_lo, s18
	v_lshlrev_b32_e32 v1, 8, v30
	v_lshl_add_u32 v30, v36, 10, 0x2000
	s_delay_alu instid0(VALU_DEP_1) | instskip(SKIP_1) | instid1(VALU_DEP_1)
	v_and_or_b32 v1, 0x8000, v1, v30
	v_lshlrev_b32_e32 v30, 23, v32
	v_lshl_or_b32 v32, v1, 16, v30
.LBB285_693:                            ;   in Loop: Header=BB285_678 Depth=1
	s_wait_alu 0xfffe
	s_or_b32 exec_lo, exec_lo, s17
.LBB285_694:                            ;   in Loop: Header=BB285_678 Depth=1
	s_wait_alu 0xfffe
	s_or_b32 exec_lo, exec_lo, s15
.LBB285_695:                            ;   in Loop: Header=BB285_678 Depth=1
	s_wait_alu 0xfffe
	s_or_b32 exec_lo, exec_lo, s0
	v_lshrrev_b32_e32 v1, 16, v9
	v_mov_b32_e32 v36, 0
	v_mov_b32_e32 v30, 0
	s_mov_b32 s0, exec_lo
	s_delay_alu instid0(VALU_DEP_3) | instskip(NEXT) | instid1(VALU_DEP_1)
	v_and_b32_e32 v38, 0xff, v1
	v_cmpx_ne_u16_e32 0, v38
	s_cbranch_execz .LBB285_703
; %bb.696:                              ;   in Loop: Header=BB285_678 Depth=1
	v_mov_b32_e32 v30, 0x8000
	s_mov_b32 s15, exec_lo
	v_cmpx_ne_u16_e32 0x80, v38
	s_cbranch_execz .LBB285_702
; %bb.697:                              ;   in Loop: Header=BB285_678 Depth=1
	v_bfe_u32 v40, v9, 16, 7
	v_mov_b32_e32 v30, 0x7c01
	s_mov_b32 s17, exec_lo
	s_delay_alu instid0(VALU_DEP_2)
	v_cmpx_ne_u32_e32 0x7f, v40
	s_cbranch_execz .LBB285_701
; %bb.698:                              ;   in Loop: Header=BB285_678 Depth=1
	v_and_b32_e32 v30, 7, v1
	v_lshrrev_b32_e32 v38, 3, v40
	s_mov_b32 s18, exec_lo
	v_cmpx_gt_u32_e32 8, v40
; %bb.699:                              ;   in Loop: Header=BB285_678 Depth=1
	s_delay_alu instid0(VALU_DEP_3) | instskip(NEXT) | instid1(VALU_DEP_1)
	v_clz_i32_u32_e32 v30, v30
	v_min_u32_e32 v30, 32, v30
	s_delay_alu instid0(VALU_DEP_1) | instskip(NEXT) | instid1(VALU_DEP_1)
	v_subrev_nc_u32_e32 v38, 28, v30
	v_lshlrev_b64_e32 v[46:47], v38, v[1:2]
	v_sub_nc_u32_e32 v38, 29, v30
	s_delay_alu instid0(VALU_DEP_2)
	v_and_b32_e32 v30, 7, v46
; %bb.700:                              ;   in Loop: Header=BB285_678 Depth=1
	s_wait_alu 0xfffe
	s_or_b32 exec_lo, exec_lo, s18
	v_lshlrev_b32_e32 v1, 8, v1
	v_lshl_add_u32 v38, v38, 10, 0x2000
	v_lshlrev_b32_e32 v30, 7, v30
	s_delay_alu instid0(VALU_DEP_3) | instskip(NEXT) | instid1(VALU_DEP_3)
	v_and_b32_e32 v1, 0x8000, v1
	v_and_b32_e32 v38, 0xfc00, v38
	s_delay_alu instid0(VALU_DEP_1)
	v_or3_b32 v30, v1, v38, v30
.LBB285_701:                            ;   in Loop: Header=BB285_678 Depth=1
	s_wait_alu 0xfffe
	s_or_b32 exec_lo, exec_lo, s17
.LBB285_702:                            ;   in Loop: Header=BB285_678 Depth=1
	s_wait_alu 0xfffe
	s_or_b32 exec_lo, exec_lo, s15
.LBB285_703:                            ;   in Loop: Header=BB285_678 Depth=1
	s_wait_alu 0xfffe
	s_or_b32 exec_lo, exec_lo, s0
	s_delay_alu instid0(SALU_CYCLE_1)
	s_mov_b32 s0, exec_lo
	v_cmpx_lt_u32_e32 0xffffff, v9
	s_cbranch_execz .LBB285_711
; %bb.704:                              ;   in Loop: Header=BB285_678 Depth=1
	v_lshrrev_b32_e32 v1, 24, v9
	v_bfrev_b32_e32 v36, 1
	s_mov_b32 s15, exec_lo
	s_delay_alu instid0(VALU_DEP_2)
	v_cmpx_ne_u32_e32 0x80, v1
	s_cbranch_execz .LBB285_710
; %bb.705:                              ;   in Loop: Header=BB285_678 Depth=1
	v_and_b32_e32 v40, 0x7f, v1
	v_mov_b32_e32 v36, 0x7c010000
	s_mov_b32 s17, exec_lo
	s_delay_alu instid0(VALU_DEP_2)
	v_cmpx_ne_u32_e32 0x7f, v40
	s_cbranch_execz .LBB285_709
; %bb.706:                              ;   in Loop: Header=BB285_678 Depth=1
	v_and_b32_e32 v36, 7, v1
	v_lshrrev_b32_e32 v38, 3, v40
	s_mov_b32 s18, exec_lo
	v_cmpx_gt_u32_e32 8, v40
; %bb.707:                              ;   in Loop: Header=BB285_678 Depth=1
	s_delay_alu instid0(VALU_DEP_3) | instskip(NEXT) | instid1(VALU_DEP_1)
	v_clz_i32_u32_e32 v36, v36
	v_min_u32_e32 v36, 32, v36
	s_delay_alu instid0(VALU_DEP_1) | instskip(NEXT) | instid1(VALU_DEP_1)
	v_subrev_nc_u32_e32 v38, 28, v36
	v_lshlrev_b64_e32 v[46:47], v38, v[1:2]
	v_sub_nc_u32_e32 v38, 29, v36
	s_delay_alu instid0(VALU_DEP_2)
	v_and_b32_e32 v36, 7, v46
; %bb.708:                              ;   in Loop: Header=BB285_678 Depth=1
	s_wait_alu 0xfffe
	s_or_b32 exec_lo, exec_lo, s18
	v_lshlrev_b32_e32 v1, 8, v1
	v_lshl_add_u32 v38, v38, 10, 0x2000
	v_lshlrev_b32_e32 v36, 23, v36
	s_delay_alu instid0(VALU_DEP_2) | instskip(NEXT) | instid1(VALU_DEP_1)
	v_and_or_b32 v1, 0x8000, v1, v38
	v_lshl_or_b32 v36, v1, 16, v36
.LBB285_709:                            ;   in Loop: Header=BB285_678 Depth=1
	s_wait_alu 0xfffe
	s_or_b32 exec_lo, exec_lo, s17
.LBB285_710:                            ;   in Loop: Header=BB285_678 Depth=1
	s_wait_alu 0xfffe
	s_or_b32 exec_lo, exec_lo, s15
.LBB285_711:                            ;   in Loop: Header=BB285_678 Depth=1
	s_wait_alu 0xfffe
	s_or_b32 exec_lo, exec_lo, s0
	v_dual_mov_b32 v1, v10 :: v_dual_and_b32 v42, 0xff, v10
	v_mov_b32_e32 v38, 0
	v_mov_b32_e32 v40, 0
	s_mov_b32 s0, exec_lo
	s_delay_alu instid0(VALU_DEP_3)
	v_cmpx_ne_u16_e32 0, v42
	s_cbranch_execz .LBB285_719
; %bb.712:                              ;   in Loop: Header=BB285_678 Depth=1
	v_mov_b32_e32 v40, 0x8000
	s_mov_b32 s15, exec_lo
	v_cmpx_ne_u16_e32 0x80, v42
	s_cbranch_execz .LBB285_718
; %bb.713:                              ;   in Loop: Header=BB285_678 Depth=1
	v_and_b32_e32 v46, 0x7f, v10
	v_mov_b32_e32 v40, 0x7c01
	s_mov_b32 s17, exec_lo
	s_delay_alu instid0(VALU_DEP_2)
	v_cmpx_ne_u32_e32 0x7f, v46
	s_cbranch_execz .LBB285_717
; %bb.714:                              ;   in Loop: Header=BB285_678 Depth=1
	v_and_b32_e32 v40, 7, v10
	v_lshrrev_b32_e32 v42, 3, v46
	s_mov_b32 s18, exec_lo
	v_cmpx_gt_u32_e32 8, v46
; %bb.715:                              ;   in Loop: Header=BB285_678 Depth=1
	s_delay_alu instid0(VALU_DEP_3) | instskip(NEXT) | instid1(VALU_DEP_1)
	v_clz_i32_u32_e32 v40, v40
	v_min_u32_e32 v40, 32, v40
	s_delay_alu instid0(VALU_DEP_1) | instskip(NEXT) | instid1(VALU_DEP_1)
	v_subrev_nc_u32_e32 v42, 28, v40
	v_lshlrev_b64_e32 v[46:47], v42, v[1:2]
	v_sub_nc_u32_e32 v42, 29, v40
	s_delay_alu instid0(VALU_DEP_2)
	v_and_b32_e32 v40, 7, v46
; %bb.716:                              ;   in Loop: Header=BB285_678 Depth=1
	s_wait_alu 0xfffe
	s_or_b32 exec_lo, exec_lo, s18
	v_lshlrev_b32_e32 v46, 8, v10
	v_lshl_add_u32 v42, v42, 10, 0x2000
	v_lshlrev_b32_e32 v40, 7, v40
	s_delay_alu instid0(VALU_DEP_3) | instskip(NEXT) | instid1(VALU_DEP_3)
	v_and_b32_e32 v46, 0x8000, v46
	v_and_b32_e32 v42, 0xfc00, v42
	s_delay_alu instid0(VALU_DEP_1)
	v_or3_b32 v40, v46, v42, v40
.LBB285_717:                            ;   in Loop: Header=BB285_678 Depth=1
	s_wait_alu 0xfffe
	s_or_b32 exec_lo, exec_lo, s17
.LBB285_718:                            ;   in Loop: Header=BB285_678 Depth=1
	s_wait_alu 0xfffe
	s_or_b32 exec_lo, exec_lo, s15
.LBB285_719:                            ;   in Loop: Header=BB285_678 Depth=1
	s_wait_alu 0xfffe
	s_or_b32 exec_lo, exec_lo, s0
	v_lshrrev_b16 v1, 8, v1
	v_mov_b32_e32 v42, 0
	s_mov_b32 s0, exec_lo
	s_delay_alu instid0(VALU_DEP_2)
	v_cmpx_ne_u16_e32 0, v1
	s_cbranch_execz .LBB285_727
; %bb.720:                              ;   in Loop: Header=BB285_678 Depth=1
	v_bfrev_b32_e32 v42, 1
	s_mov_b32 s15, exec_lo
	v_cmpx_ne_u16_e32 0x80, v1
	s_cbranch_execz .LBB285_726
; %bb.721:                              ;   in Loop: Header=BB285_678 Depth=1
	v_and_b32_e32 v46, 0xffff, v1
	v_mov_b32_e32 v42, 0x7c010000
	s_mov_b32 s17, exec_lo
	s_delay_alu instid0(VALU_DEP_2) | instskip(NEXT) | instid1(VALU_DEP_1)
	v_and_b32_e32 v48, 0x7f, v46
	v_cmpx_ne_u32_e32 0x7f, v48
	s_cbranch_execz .LBB285_725
; %bb.722:                              ;   in Loop: Header=BB285_678 Depth=1
	v_and_b32_e32 v42, 7, v46
	v_lshrrev_b32_e32 v47, 3, v48
	s_mov_b32 s18, exec_lo
	v_cmpx_gt_u32_e32 8, v48
; %bb.723:                              ;   in Loop: Header=BB285_678 Depth=1
	s_delay_alu instid0(VALU_DEP_3) | instskip(NEXT) | instid1(VALU_DEP_1)
	v_clz_i32_u32_e32 v42, v42
	v_min_u32_e32 v42, 32, v42
	s_delay_alu instid0(VALU_DEP_1) | instskip(NEXT) | instid1(VALU_DEP_1)
	v_subrev_nc_u32_e32 v47, 28, v42
	v_lshlrev_b64_e32 v[48:49], v47, v[1:2]
	v_sub_nc_u32_e32 v47, 29, v42
	s_delay_alu instid0(VALU_DEP_2)
	v_and_b32_e32 v42, 7, v48
; %bb.724:                              ;   in Loop: Header=BB285_678 Depth=1
	s_wait_alu 0xfffe
	s_or_b32 exec_lo, exec_lo, s18
	v_lshlrev_b32_e32 v1, 8, v46
	v_lshl_add_u32 v46, v47, 10, 0x2000
	v_lshlrev_b32_e32 v42, 23, v42
	s_delay_alu instid0(VALU_DEP_2) | instskip(NEXT) | instid1(VALU_DEP_1)
	v_and_or_b32 v1, 0x8000, v1, v46
	v_lshl_or_b32 v42, v1, 16, v42
.LBB285_725:                            ;   in Loop: Header=BB285_678 Depth=1
	s_wait_alu 0xfffe
	s_or_b32 exec_lo, exec_lo, s17
.LBB285_726:                            ;   in Loop: Header=BB285_678 Depth=1
	s_wait_alu 0xfffe
	s_or_b32 exec_lo, exec_lo, s15
.LBB285_727:                            ;   in Loop: Header=BB285_678 Depth=1
	s_wait_alu 0xfffe
	s_or_b32 exec_lo, exec_lo, s0
	v_lshrrev_b32_e32 v1, 16, v10
	s_mov_b32 s0, exec_lo
	s_delay_alu instid0(VALU_DEP_1) | instskip(NEXT) | instid1(VALU_DEP_1)
	v_and_b32_e32 v46, 0xff, v1
	v_cmpx_ne_u16_e32 0, v46
	s_cbranch_execz .LBB285_735
; %bb.728:                              ;   in Loop: Header=BB285_678 Depth=1
	v_mov_b32_e32 v38, 0x8000
	s_mov_b32 s15, exec_lo
	v_cmpx_ne_u16_e32 0x80, v46
	s_cbranch_execz .LBB285_734
; %bb.729:                              ;   in Loop: Header=BB285_678 Depth=1
	v_bfe_u32 v47, v10, 16, 7
	v_mov_b32_e32 v38, 0x7c01
	s_mov_b32 s17, exec_lo
	s_delay_alu instid0(VALU_DEP_2)
	v_cmpx_ne_u32_e32 0x7f, v47
	s_cbranch_execz .LBB285_733
; %bb.730:                              ;   in Loop: Header=BB285_678 Depth=1
	v_and_b32_e32 v38, 7, v1
	v_lshrrev_b32_e32 v46, 3, v47
	s_mov_b32 s18, exec_lo
	v_cmpx_gt_u32_e32 8, v47
; %bb.731:                              ;   in Loop: Header=BB285_678 Depth=1
	s_delay_alu instid0(VALU_DEP_3) | instskip(NEXT) | instid1(VALU_DEP_1)
	v_clz_i32_u32_e32 v38, v38
	v_min_u32_e32 v38, 32, v38
	s_delay_alu instid0(VALU_DEP_1) | instskip(NEXT) | instid1(VALU_DEP_1)
	v_subrev_nc_u32_e32 v46, 28, v38
	v_lshlrev_b64_e32 v[47:48], v46, v[1:2]
	v_sub_nc_u32_e32 v46, 29, v38
	s_delay_alu instid0(VALU_DEP_2)
	v_and_b32_e32 v38, 7, v47
; %bb.732:                              ;   in Loop: Header=BB285_678 Depth=1
	s_wait_alu 0xfffe
	s_or_b32 exec_lo, exec_lo, s18
	v_lshlrev_b32_e32 v1, 8, v1
	v_lshl_add_u32 v46, v46, 10, 0x2000
	v_lshlrev_b32_e32 v38, 7, v38
	s_delay_alu instid0(VALU_DEP_3) | instskip(NEXT) | instid1(VALU_DEP_3)
	v_and_b32_e32 v1, 0x8000, v1
	v_and_b32_e32 v46, 0xfc00, v46
	s_delay_alu instid0(VALU_DEP_1)
	v_or3_b32 v38, v1, v46, v38
.LBB285_733:                            ;   in Loop: Header=BB285_678 Depth=1
	s_wait_alu 0xfffe
	s_or_b32 exec_lo, exec_lo, s17
.LBB285_734:                            ;   in Loop: Header=BB285_678 Depth=1
	s_wait_alu 0xfffe
	s_or_b32 exec_lo, exec_lo, s15
.LBB285_735:                            ;   in Loop: Header=BB285_678 Depth=1
	s_wait_alu 0xfffe
	s_or_b32 exec_lo, exec_lo, s0
	v_cmp_lt_u64_e32 vcc_lo, s[2:3], v[9:10]
	v_mov_b32_e32 v9, 0
	s_and_saveexec_b32 s0, vcc_lo
	s_cbranch_execz .LBB285_743
; %bb.736:                              ;   in Loop: Header=BB285_678 Depth=1
	v_lshrrev_b32_e32 v1, 24, v10
	v_bfrev_b32_e32 v9, 1
	s_mov_b32 s15, exec_lo
	s_delay_alu instid0(VALU_DEP_2)
	v_cmpx_ne_u32_e32 0x80, v1
	s_cbranch_execz .LBB285_742
; %bb.737:                              ;   in Loop: Header=BB285_678 Depth=1
	v_and_b32_e32 v46, 0x7f, v1
	v_mov_b32_e32 v9, 0x7c010000
	s_mov_b32 s17, exec_lo
	s_delay_alu instid0(VALU_DEP_2)
	v_cmpx_ne_u32_e32 0x7f, v46
	s_cbranch_execz .LBB285_741
; %bb.738:                              ;   in Loop: Header=BB285_678 Depth=1
	v_and_b32_e32 v9, 7, v1
	v_lshrrev_b32_e32 v10, 3, v46
	s_mov_b32 s18, exec_lo
	v_cmpx_gt_u32_e32 8, v46
; %bb.739:                              ;   in Loop: Header=BB285_678 Depth=1
	s_delay_alu instid0(VALU_DEP_3) | instskip(NEXT) | instid1(VALU_DEP_1)
	v_clz_i32_u32_e32 v9, v9
	v_min_u32_e32 v46, 32, v9
	s_delay_alu instid0(VALU_DEP_1) | instskip(NEXT) | instid1(VALU_DEP_1)
	v_subrev_nc_u32_e32 v9, 28, v46
	v_lshlrev_b64_e32 v[9:10], v9, v[1:2]
	v_sub_nc_u32_e32 v10, 29, v46
	s_delay_alu instid0(VALU_DEP_2)
	v_and_b32_e32 v9, 7, v9
; %bb.740:                              ;   in Loop: Header=BB285_678 Depth=1
	s_wait_alu 0xfffe
	s_or_b32 exec_lo, exec_lo, s18
	v_lshlrev_b32_e32 v1, 8, v1
	v_lshl_add_u32 v10, v10, 10, 0x2000
	v_lshlrev_b32_e32 v9, 23, v9
	s_delay_alu instid0(VALU_DEP_2) | instskip(NEXT) | instid1(VALU_DEP_1)
	v_and_or_b32 v1, 0x8000, v1, v10
	v_lshl_or_b32 v9, v1, 16, v9
.LBB285_741:                            ;   in Loop: Header=BB285_678 Depth=1
	s_wait_alu 0xfffe
	s_or_b32 exec_lo, exec_lo, s17
.LBB285_742:                            ;   in Loop: Header=BB285_678 Depth=1
	s_wait_alu 0xfffe
	s_or_b32 exec_lo, exec_lo, s15
.LBB285_743:                            ;   in Loop: Header=BB285_678 Depth=1
	s_wait_alu 0xfffe
	s_or_b32 exec_lo, exec_lo, s0
	v_or_b32_e32 v1, v36, v30
	s_wait_loadcnt 0x0
	v_fma_mixlo_f16 v10, v31, v36, 0 op_sel:[0,1,0] op_sel_hi:[0,1,0]
	v_or_b32_e32 v34, v32, v34
	v_fma_mixlo_f16 v32, v31, v32, 0 op_sel:[0,1,0] op_sel_hi:[0,1,0]
	v_or_b32_e32 v36, v42, v40
	v_fma_mixlo_f16 v1, v31, v1, 0 op_sel_hi:[0,1,0]
	v_or_b32_e32 v38, v9, v38
	v_fma_mixlo_f16 v9, v31, v9, 0 op_sel:[0,1,0] op_sel_hi:[0,1,0]
	v_lshlrev_b32_e32 v52, 16, v32
	v_fma_mixlo_f16 v32, v31, v42, 0 op_sel:[0,1,0] op_sel_hi:[0,1,0]
	v_and_b32_e32 v49, 0xffff, v1
	v_fma_mixlo_f16 v1, v31, v34, 0 op_sel_hi:[0,1,0]
	v_fma_mixlo_f16 v34, v31, v36, 0 op_sel_hi:[0,1,0]
	;; [unrolled: 1-line block ×3, first 2 shown]
	v_add_nc_u32_e32 v30, v15, v13
	v_lshlrev_b32_e32 v10, 16, v10
	v_and_b32_e32 v54, 0xffff, v1
	v_lshlrev_b32_e32 v50, 16, v32
	v_and_b32_e32 v53, 0xffff, v34
	;; [unrolled: 2-line block ×3, first 2 shown]
	v_cmp_eq_u32_e32 vcc_lo, s37, v14
	v_or_b32_e32 v1, v10, v49
	v_or_b32_e32 v9, v52, v54
	;; [unrolled: 1-line block ×4, first 2 shown]
	v_add_nc_u32_e32 v42, 1, v30
	v_add_nc_u32_e32 v40, 2, v30
	;; [unrolled: 1-line block ×7, first 2 shown]
	s_and_saveexec_b32 s15, vcc_lo
	s_cbranch_execz .LBB285_745
; %bb.744:                              ;   in Loop: Header=BB285_678 Depth=1
	v_cmp_gt_i32_e64 s0, s34, v30
	s_wait_alu 0xf1ff
	s_delay_alu instid0(VALU_DEP_1) | instskip(SKIP_2) | instid1(VALU_DEP_1)
	v_cndmask_b32_e64 v1, 0, v54, s0
	v_cmp_gt_i32_e64 s0, s34, v42
	s_wait_alu 0xf1ff
	v_cndmask_b32_e64 v9, 0, v52, s0
	v_cmp_gt_i32_e64 s0, s34, v40
	s_delay_alu instid0(VALU_DEP_2) | instskip(SKIP_1) | instid1(VALU_DEP_2)
	v_or_b32_e32 v9, v9, v1
	s_wait_alu 0xf1ff
	v_cndmask_b32_e64 v46, 0, v49, s0
	v_cmp_gt_i32_e64 s0, s34, v38
	s_wait_alu 0xf1ff
	s_delay_alu instid0(VALU_DEP_1) | instskip(SKIP_1) | instid1(VALU_DEP_2)
	v_cndmask_b32_e64 v10, 0, v10, s0
	v_cmp_gt_i32_e64 s0, s34, v36
	v_or_b32_e32 v1, v10, v46
	s_wait_alu 0xf1ff
	s_delay_alu instid0(VALU_DEP_2) | instskip(SKIP_2) | instid1(VALU_DEP_1)
	v_cndmask_b32_e64 v48, 0, v53, s0
	v_cmp_gt_i32_e64 s0, s34, v34
	s_wait_alu 0xf1ff
	v_cndmask_b32_e64 v49, 0, v50, s0
	v_cmp_gt_i32_e64 s0, s34, v32
	s_delay_alu instid0(VALU_DEP_2) | instskip(SKIP_1) | instid1(VALU_DEP_2)
	v_or_b32_e32 v46, v49, v48
	s_wait_alu 0xf1ff
	v_cndmask_b32_e64 v50, 0, v51, s0
	v_cmp_gt_i32_e64 s0, s34, v31
	s_wait_alu 0xf1ff
	s_delay_alu instid0(VALU_DEP_1) | instskip(NEXT) | instid1(VALU_DEP_1)
	v_cndmask_b32_e64 v47, 0, v47, s0
	v_or_b32_e32 v48, v47, v50
.LBB285_745:                            ;   in Loop: Header=BB285_678 Depth=1
	s_wait_alu 0xfffe
	s_or_b32 exec_lo, exec_lo, s15
	v_and_b32_e32 v10, 0xffff, v33
	v_and_b32_e32 v33, 0xffff, v41
	;; [unrolled: 1-line block ×4, first 2 shown]
	s_mov_b32 s15, exec_lo
	s_delay_alu instid0(VALU_DEP_3) | instskip(NEXT) | instid1(VALU_DEP_3)
	v_lshl_or_b32 v41, v37, 16, v33
	v_lshl_or_b32 v37, v44, 16, v45
	v_mov_b32_e32 v45, 0
	v_lshl_or_b32 v43, v35, 16, v10
	;;#ASMSTART
	v_pk_mul_f16 v9, v43, v9;

	;;#ASMEND
	;;#ASMSTART
	v_pk_mul_f16 v1, v41, v1;

	;;#ASMEND
	v_lshl_or_b32 v39, v39, 16, v47
	;;#ASMSTART
	v_pk_mul_f16 v10, v39, v46;

	;;#ASMEND
	;;#ASMSTART
	v_pk_mul_f16 v33, v37, v48;

	;;#ASMEND
	;;#ASMSTART
	v_pk_add_f16 v1, v9, v1;

	;;#ASMEND
	;;#ASMSTART
	v_pk_add_f16 v1, v1, v10;
	;; [unrolled: 4-line block ×3, first 2 shown]

	;;#ASMEND
	v_and_b32_e32 v9, 0xffff, v1
	v_lshrrev_b32_e32 v1, 16, v1
	;;#ASMSTART
	v_cvt_f32_f16 v33, v9;
	;;#ASMEND
	;;#ASMSTART
	v_cvt_f32_f16 v35, v1;
	;;#ASMEND
	global_load_b64 v[9:10], v[7:8], off offset:256
	global_load_b32 v44, v45, s[10:11]
	s_wait_loadcnt 0x1
	v_dual_mov_b32 v46, 0 :: v_dual_and_b32 v1, 0xff, v9
	s_delay_alu instid0(VALU_DEP_1)
	v_cmpx_ne_u16_e32 0, v1
	s_cbranch_execz .LBB285_753
; %bb.746:                              ;   in Loop: Header=BB285_678 Depth=1
	v_mov_b32_e32 v46, 0x8000
	s_mov_b32 s17, exec_lo
	v_cmpx_ne_u16_e32 0x80, v1
	s_cbranch_execz .LBB285_752
; %bb.747:                              ;   in Loop: Header=BB285_678 Depth=1
	v_and_b32_e32 v47, 0x7f, v9
	v_mov_b32_e32 v46, 0x7c01
	s_mov_b32 s18, exec_lo
	s_delay_alu instid0(VALU_DEP_2)
	v_cmpx_ne_u32_e32 0x7f, v47
	s_cbranch_execz .LBB285_751
; %bb.748:                              ;   in Loop: Header=BB285_678 Depth=1
	v_and_b32_e32 v1, 7, v9
	v_lshrrev_b32_e32 v46, 3, v47
	s_mov_b32 s19, exec_lo
	v_cmpx_gt_u32_e32 8, v47
; %bb.749:                              ;   in Loop: Header=BB285_678 Depth=1
	s_delay_alu instid0(VALU_DEP_3) | instskip(NEXT) | instid1(VALU_DEP_1)
	v_clz_i32_u32_e32 v1, v1
	v_min_u32_e32 v1, 32, v1
	s_delay_alu instid0(VALU_DEP_1) | instskip(NEXT) | instid1(VALU_DEP_1)
	v_subrev_nc_u32_e32 v46, 28, v1
	v_lshlrev_b64_e32 v[47:48], v46, v[9:10]
	v_sub_nc_u32_e32 v46, 29, v1
	s_delay_alu instid0(VALU_DEP_2)
	v_and_b32_e32 v1, 7, v47
; %bb.750:                              ;   in Loop: Header=BB285_678 Depth=1
	s_wait_alu 0xfffe
	s_or_b32 exec_lo, exec_lo, s19
	v_lshlrev_b32_e32 v47, 8, v9
	v_lshl_add_u32 v46, v46, 10, 0x2000
	v_lshlrev_b32_e32 v1, 7, v1
	s_delay_alu instid0(VALU_DEP_3) | instskip(NEXT) | instid1(VALU_DEP_3)
	v_and_b32_e32 v47, 0x8000, v47
	v_and_b32_e32 v46, 0xfc00, v46
	s_delay_alu instid0(VALU_DEP_1)
	v_or3_b32 v46, v47, v46, v1
.LBB285_751:                            ;   in Loop: Header=BB285_678 Depth=1
	s_wait_alu 0xfffe
	s_or_b32 exec_lo, exec_lo, s18
.LBB285_752:                            ;   in Loop: Header=BB285_678 Depth=1
	s_wait_alu 0xfffe
	s_or_b32 exec_lo, exec_lo, s17
.LBB285_753:                            ;   in Loop: Header=BB285_678 Depth=1
	s_wait_alu 0xfffe
	s_or_b32 exec_lo, exec_lo, s15
	v_lshrrev_b16 v1, 8, v9
	s_mov_b32 s15, exec_lo
	s_delay_alu instid0(VALU_DEP_1)
	v_cmpx_ne_u16_e32 0, v1
	s_cbranch_execz .LBB285_761
; %bb.754:                              ;   in Loop: Header=BB285_678 Depth=1
	v_bfrev_b32_e32 v45, 1
	s_mov_b32 s17, exec_lo
	v_cmpx_ne_u16_e32 0x80, v1
	s_cbranch_execz .LBB285_760
; %bb.755:                              ;   in Loop: Header=BB285_678 Depth=1
	v_and_b32_e32 v47, 0xffff, v1
	v_mov_b32_e32 v45, 0x7c010000
	s_mov_b32 s18, exec_lo
	s_delay_alu instid0(VALU_DEP_2) | instskip(NEXT) | instid1(VALU_DEP_1)
	v_and_b32_e32 v49, 0x7f, v47
	v_cmpx_ne_u32_e32 0x7f, v49
	s_cbranch_execz .LBB285_759
; %bb.756:                              ;   in Loop: Header=BB285_678 Depth=1
	v_and_b32_e32 v45, 7, v47
	v_lshrrev_b32_e32 v48, 3, v49
	s_mov_b32 s19, exec_lo
	v_cmpx_gt_u32_e32 8, v49
; %bb.757:                              ;   in Loop: Header=BB285_678 Depth=1
	s_delay_alu instid0(VALU_DEP_3) | instskip(NEXT) | instid1(VALU_DEP_1)
	v_clz_i32_u32_e32 v45, v45
	v_min_u32_e32 v45, 32, v45
	s_delay_alu instid0(VALU_DEP_1) | instskip(NEXT) | instid1(VALU_DEP_1)
	v_subrev_nc_u32_e32 v48, 28, v45
	v_lshlrev_b64_e32 v[49:50], v48, v[1:2]
	v_sub_nc_u32_e32 v48, 29, v45
	s_delay_alu instid0(VALU_DEP_2)
	v_and_b32_e32 v45, 7, v49
; %bb.758:                              ;   in Loop: Header=BB285_678 Depth=1
	s_wait_alu 0xfffe
	s_or_b32 exec_lo, exec_lo, s19
	v_lshlrev_b32_e32 v1, 8, v47
	v_lshl_add_u32 v47, v48, 10, 0x2000
	v_lshlrev_b32_e32 v45, 23, v45
	s_delay_alu instid0(VALU_DEP_2) | instskip(NEXT) | instid1(VALU_DEP_1)
	v_and_or_b32 v1, 0x8000, v1, v47
	v_lshl_or_b32 v45, v1, 16, v45
.LBB285_759:                            ;   in Loop: Header=BB285_678 Depth=1
	s_wait_alu 0xfffe
	s_or_b32 exec_lo, exec_lo, s18
.LBB285_760:                            ;   in Loop: Header=BB285_678 Depth=1
	s_wait_alu 0xfffe
	s_or_b32 exec_lo, exec_lo, s17
.LBB285_761:                            ;   in Loop: Header=BB285_678 Depth=1
	s_wait_alu 0xfffe
	s_or_b32 exec_lo, exec_lo, s15
	v_lshrrev_b32_e32 v1, 16, v9
	v_mov_b32_e32 v47, 0
	s_mov_b32 s15, exec_lo
	s_delay_alu instid0(VALU_DEP_2) | instskip(NEXT) | instid1(VALU_DEP_1)
	v_dual_mov_b32 v48, 0 :: v_dual_and_b32 v49, 0xff, v1
	v_cmpx_ne_u16_e32 0, v49
	s_cbranch_execz .LBB285_769
; %bb.762:                              ;   in Loop: Header=BB285_678 Depth=1
	v_mov_b32_e32 v48, 0x8000
	s_mov_b32 s17, exec_lo
	v_cmpx_ne_u16_e32 0x80, v49
	s_cbranch_execz .LBB285_768
; %bb.763:                              ;   in Loop: Header=BB285_678 Depth=1
	v_bfe_u32 v50, v9, 16, 7
	v_mov_b32_e32 v48, 0x7c01
	s_mov_b32 s18, exec_lo
	s_delay_alu instid0(VALU_DEP_2)
	v_cmpx_ne_u32_e32 0x7f, v50
	s_cbranch_execz .LBB285_767
; %bb.764:                              ;   in Loop: Header=BB285_678 Depth=1
	v_and_b32_e32 v48, 7, v1
	v_lshrrev_b32_e32 v49, 3, v50
	s_mov_b32 s19, exec_lo
	v_cmpx_gt_u32_e32 8, v50
; %bb.765:                              ;   in Loop: Header=BB285_678 Depth=1
	s_delay_alu instid0(VALU_DEP_3) | instskip(NEXT) | instid1(VALU_DEP_1)
	v_clz_i32_u32_e32 v48, v48
	v_min_u32_e32 v50, 32, v48
	s_delay_alu instid0(VALU_DEP_1) | instskip(NEXT) | instid1(VALU_DEP_1)
	v_subrev_nc_u32_e32 v48, 28, v50
	v_lshlrev_b64_e32 v[48:49], v48, v[1:2]
	v_sub_nc_u32_e32 v49, 29, v50
	s_delay_alu instid0(VALU_DEP_2)
	v_and_b32_e32 v48, 7, v48
; %bb.766:                              ;   in Loop: Header=BB285_678 Depth=1
	s_wait_alu 0xfffe
	s_or_b32 exec_lo, exec_lo, s19
	v_lshlrev_b32_e32 v1, 8, v1
	v_lshl_add_u32 v49, v49, 10, 0x2000
	v_lshlrev_b32_e32 v48, 7, v48
	s_delay_alu instid0(VALU_DEP_3) | instskip(NEXT) | instid1(VALU_DEP_3)
	v_and_b32_e32 v1, 0x8000, v1
	v_and_b32_e32 v49, 0xfc00, v49
	s_delay_alu instid0(VALU_DEP_1)
	v_or3_b32 v48, v1, v49, v48
.LBB285_767:                            ;   in Loop: Header=BB285_678 Depth=1
	s_wait_alu 0xfffe
	s_or_b32 exec_lo, exec_lo, s18
.LBB285_768:                            ;   in Loop: Header=BB285_678 Depth=1
	s_wait_alu 0xfffe
	s_or_b32 exec_lo, exec_lo, s17
.LBB285_769:                            ;   in Loop: Header=BB285_678 Depth=1
	s_wait_alu 0xfffe
	s_or_b32 exec_lo, exec_lo, s15
	s_delay_alu instid0(SALU_CYCLE_1)
	s_mov_b32 s15, exec_lo
	v_cmpx_lt_u32_e32 0xffffff, v9
	s_cbranch_execz .LBB285_777
; %bb.770:                              ;   in Loop: Header=BB285_678 Depth=1
	v_lshrrev_b32_e32 v1, 24, v9
	v_bfrev_b32_e32 v47, 1
	s_mov_b32 s17, exec_lo
	s_delay_alu instid0(VALU_DEP_2)
	v_cmpx_ne_u32_e32 0x80, v1
	s_cbranch_execz .LBB285_776
; %bb.771:                              ;   in Loop: Header=BB285_678 Depth=1
	v_and_b32_e32 v50, 0x7f, v1
	v_mov_b32_e32 v47, 0x7c010000
	s_mov_b32 s18, exec_lo
	s_delay_alu instid0(VALU_DEP_2)
	v_cmpx_ne_u32_e32 0x7f, v50
	s_cbranch_execz .LBB285_775
; %bb.772:                              ;   in Loop: Header=BB285_678 Depth=1
	v_and_b32_e32 v47, 7, v1
	v_lshrrev_b32_e32 v49, 3, v50
	s_mov_b32 s19, exec_lo
	v_cmpx_gt_u32_e32 8, v50
; %bb.773:                              ;   in Loop: Header=BB285_678 Depth=1
	s_delay_alu instid0(VALU_DEP_3) | instskip(NEXT) | instid1(VALU_DEP_1)
	v_clz_i32_u32_e32 v47, v47
	v_min_u32_e32 v47, 32, v47
	s_delay_alu instid0(VALU_DEP_1) | instskip(NEXT) | instid1(VALU_DEP_1)
	v_subrev_nc_u32_e32 v49, 28, v47
	v_lshlrev_b64_e32 v[50:51], v49, v[1:2]
	v_sub_nc_u32_e32 v49, 29, v47
	s_delay_alu instid0(VALU_DEP_2)
	v_and_b32_e32 v47, 7, v50
; %bb.774:                              ;   in Loop: Header=BB285_678 Depth=1
	s_wait_alu 0xfffe
	s_or_b32 exec_lo, exec_lo, s19
	v_lshlrev_b32_e32 v1, 8, v1
	v_lshl_add_u32 v49, v49, 10, 0x2000
	v_lshlrev_b32_e32 v47, 23, v47
	s_delay_alu instid0(VALU_DEP_2) | instskip(NEXT) | instid1(VALU_DEP_1)
	v_and_or_b32 v1, 0x8000, v1, v49
	v_lshl_or_b32 v47, v1, 16, v47
.LBB285_775:                            ;   in Loop: Header=BB285_678 Depth=1
	s_wait_alu 0xfffe
	s_or_b32 exec_lo, exec_lo, s18
.LBB285_776:                            ;   in Loop: Header=BB285_678 Depth=1
	s_wait_alu 0xfffe
	s_or_b32 exec_lo, exec_lo, s17
.LBB285_777:                            ;   in Loop: Header=BB285_678 Depth=1
	s_wait_alu 0xfffe
	s_or_b32 exec_lo, exec_lo, s15
	v_dual_mov_b32 v50, 0 :: v_dual_and_b32 v51, 0xff, v10
	v_mov_b32_e32 v1, v10
	v_mov_b32_e32 v49, 0
	s_mov_b32 s15, exec_lo
	s_delay_alu instid0(VALU_DEP_3)
	v_cmpx_ne_u16_e32 0, v51
	s_cbranch_execz .LBB285_785
; %bb.778:                              ;   in Loop: Header=BB285_678 Depth=1
	v_mov_b32_e32 v50, 0x8000
	s_mov_b32 s17, exec_lo
	v_cmpx_ne_u16_e32 0x80, v51
	s_cbranch_execz .LBB285_784
; %bb.779:                              ;   in Loop: Header=BB285_678 Depth=1
	v_and_b32_e32 v52, 0x7f, v10
	v_mov_b32_e32 v50, 0x7c01
	s_mov_b32 s18, exec_lo
	s_delay_alu instid0(VALU_DEP_2)
	v_cmpx_ne_u32_e32 0x7f, v52
	s_cbranch_execz .LBB285_783
; %bb.780:                              ;   in Loop: Header=BB285_678 Depth=1
	v_and_b32_e32 v50, 7, v10
	v_lshrrev_b32_e32 v51, 3, v52
	s_mov_b32 s19, exec_lo
	v_cmpx_gt_u32_e32 8, v52
; %bb.781:                              ;   in Loop: Header=BB285_678 Depth=1
	s_delay_alu instid0(VALU_DEP_3) | instskip(NEXT) | instid1(VALU_DEP_1)
	v_clz_i32_u32_e32 v50, v50
	v_min_u32_e32 v52, 32, v50
	s_delay_alu instid0(VALU_DEP_1) | instskip(NEXT) | instid1(VALU_DEP_1)
	v_subrev_nc_u32_e32 v50, 28, v52
	v_lshlrev_b64_e32 v[50:51], v50, v[1:2]
	v_sub_nc_u32_e32 v51, 29, v52
	s_delay_alu instid0(VALU_DEP_2)
	v_and_b32_e32 v50, 7, v50
; %bb.782:                              ;   in Loop: Header=BB285_678 Depth=1
	s_wait_alu 0xfffe
	s_or_b32 exec_lo, exec_lo, s19
	v_lshlrev_b32_e32 v52, 8, v10
	v_lshl_add_u32 v51, v51, 10, 0x2000
	v_lshlrev_b32_e32 v50, 7, v50
	s_delay_alu instid0(VALU_DEP_3) | instskip(NEXT) | instid1(VALU_DEP_3)
	v_and_b32_e32 v52, 0x8000, v52
	v_and_b32_e32 v51, 0xfc00, v51
	s_delay_alu instid0(VALU_DEP_1)
	v_or3_b32 v50, v52, v51, v50
.LBB285_783:                            ;   in Loop: Header=BB285_678 Depth=1
	s_wait_alu 0xfffe
	s_or_b32 exec_lo, exec_lo, s18
.LBB285_784:                            ;   in Loop: Header=BB285_678 Depth=1
	s_wait_alu 0xfffe
	s_or_b32 exec_lo, exec_lo, s17
.LBB285_785:                            ;   in Loop: Header=BB285_678 Depth=1
	s_wait_alu 0xfffe
	s_or_b32 exec_lo, exec_lo, s15
	v_lshrrev_b16 v1, 8, v1
	v_mov_b32_e32 v51, 0
	s_mov_b32 s15, exec_lo
	s_delay_alu instid0(VALU_DEP_2)
	v_cmpx_ne_u16_e32 0, v1
	s_cbranch_execz .LBB285_793
; %bb.786:                              ;   in Loop: Header=BB285_678 Depth=1
	v_bfrev_b32_e32 v51, 1
	s_mov_b32 s17, exec_lo
	v_cmpx_ne_u16_e32 0x80, v1
	s_cbranch_execz .LBB285_792
; %bb.787:                              ;   in Loop: Header=BB285_678 Depth=1
	v_and_b32_e32 v52, 0xffff, v1
	v_mov_b32_e32 v51, 0x7c010000
	s_mov_b32 s18, exec_lo
	s_delay_alu instid0(VALU_DEP_2) | instskip(NEXT) | instid1(VALU_DEP_1)
	v_and_b32_e32 v54, 0x7f, v52
	v_cmpx_ne_u32_e32 0x7f, v54
	s_cbranch_execz .LBB285_791
; %bb.788:                              ;   in Loop: Header=BB285_678 Depth=1
	v_and_b32_e32 v51, 7, v52
	v_lshrrev_b32_e32 v53, 3, v54
	s_mov_b32 s19, exec_lo
	v_cmpx_gt_u32_e32 8, v54
; %bb.789:                              ;   in Loop: Header=BB285_678 Depth=1
	s_delay_alu instid0(VALU_DEP_3) | instskip(NEXT) | instid1(VALU_DEP_1)
	v_clz_i32_u32_e32 v51, v51
	v_min_u32_e32 v51, 32, v51
	s_delay_alu instid0(VALU_DEP_1) | instskip(NEXT) | instid1(VALU_DEP_1)
	v_subrev_nc_u32_e32 v53, 28, v51
	v_lshlrev_b64_e32 v[54:55], v53, v[1:2]
	v_sub_nc_u32_e32 v53, 29, v51
	s_delay_alu instid0(VALU_DEP_2)
	v_and_b32_e32 v51, 7, v54
; %bb.790:                              ;   in Loop: Header=BB285_678 Depth=1
	s_wait_alu 0xfffe
	s_or_b32 exec_lo, exec_lo, s19
	v_lshlrev_b32_e32 v1, 8, v52
	v_lshl_add_u32 v52, v53, 10, 0x2000
	v_lshlrev_b32_e32 v51, 23, v51
	s_delay_alu instid0(VALU_DEP_2) | instskip(NEXT) | instid1(VALU_DEP_1)
	v_and_or_b32 v1, 0x8000, v1, v52
	v_lshl_or_b32 v51, v1, 16, v51
.LBB285_791:                            ;   in Loop: Header=BB285_678 Depth=1
	s_wait_alu 0xfffe
	s_or_b32 exec_lo, exec_lo, s18
.LBB285_792:                            ;   in Loop: Header=BB285_678 Depth=1
	s_wait_alu 0xfffe
	s_or_b32 exec_lo, exec_lo, s17
.LBB285_793:                            ;   in Loop: Header=BB285_678 Depth=1
	s_wait_alu 0xfffe
	s_or_b32 exec_lo, exec_lo, s15
	v_lshrrev_b32_e32 v1, 16, v10
	s_mov_b32 s15, exec_lo
	s_delay_alu instid0(VALU_DEP_1) | instskip(NEXT) | instid1(VALU_DEP_1)
	v_and_b32_e32 v52, 0xff, v1
	v_cmpx_ne_u16_e32 0, v52
	s_cbranch_execz .LBB285_801
; %bb.794:                              ;   in Loop: Header=BB285_678 Depth=1
	v_mov_b32_e32 v49, 0x8000
	s_mov_b32 s17, exec_lo
	v_cmpx_ne_u16_e32 0x80, v52
	s_cbranch_execz .LBB285_800
; %bb.795:                              ;   in Loop: Header=BB285_678 Depth=1
	v_bfe_u32 v53, v10, 16, 7
	v_mov_b32_e32 v49, 0x7c01
	s_mov_b32 s18, exec_lo
	s_delay_alu instid0(VALU_DEP_2)
	v_cmpx_ne_u32_e32 0x7f, v53
	s_cbranch_execz .LBB285_799
; %bb.796:                              ;   in Loop: Header=BB285_678 Depth=1
	v_and_b32_e32 v49, 7, v1
	v_lshrrev_b32_e32 v52, 3, v53
	s_mov_b32 s19, exec_lo
	v_cmpx_gt_u32_e32 8, v53
; %bb.797:                              ;   in Loop: Header=BB285_678 Depth=1
	s_delay_alu instid0(VALU_DEP_3) | instskip(NEXT) | instid1(VALU_DEP_1)
	v_clz_i32_u32_e32 v49, v49
	v_min_u32_e32 v49, 32, v49
	s_delay_alu instid0(VALU_DEP_1) | instskip(NEXT) | instid1(VALU_DEP_1)
	v_subrev_nc_u32_e32 v52, 28, v49
	v_lshlrev_b64_e32 v[53:54], v52, v[1:2]
	v_sub_nc_u32_e32 v52, 29, v49
	s_delay_alu instid0(VALU_DEP_2)
	v_and_b32_e32 v49, 7, v53
; %bb.798:                              ;   in Loop: Header=BB285_678 Depth=1
	s_wait_alu 0xfffe
	s_or_b32 exec_lo, exec_lo, s19
	v_lshlrev_b32_e32 v1, 8, v1
	v_lshl_add_u32 v52, v52, 10, 0x2000
	v_lshlrev_b32_e32 v49, 7, v49
	s_delay_alu instid0(VALU_DEP_3) | instskip(NEXT) | instid1(VALU_DEP_3)
	v_and_b32_e32 v1, 0x8000, v1
	v_and_b32_e32 v52, 0xfc00, v52
	s_delay_alu instid0(VALU_DEP_1)
	v_or3_b32 v49, v1, v52, v49
.LBB285_799:                            ;   in Loop: Header=BB285_678 Depth=1
	s_wait_alu 0xfffe
	s_or_b32 exec_lo, exec_lo, s18
.LBB285_800:                            ;   in Loop: Header=BB285_678 Depth=1
	s_wait_alu 0xfffe
	s_or_b32 exec_lo, exec_lo, s17
.LBB285_801:                            ;   in Loop: Header=BB285_678 Depth=1
	s_wait_alu 0xfffe
	s_or_b32 exec_lo, exec_lo, s15
	v_cmp_lt_u64_e64 s0, s[2:3], v[9:10]
	v_mov_b32_e32 v9, 0
	s_and_saveexec_b32 s15, s0
	s_cbranch_execz .LBB285_809
; %bb.802:                              ;   in Loop: Header=BB285_678 Depth=1
	v_lshrrev_b32_e32 v1, 24, v10
	v_bfrev_b32_e32 v9, 1
	s_mov_b32 s17, exec_lo
	s_delay_alu instid0(VALU_DEP_2)
	v_cmpx_ne_u32_e32 0x80, v1
	s_cbranch_execz .LBB285_808
; %bb.803:                              ;   in Loop: Header=BB285_678 Depth=1
	v_and_b32_e32 v52, 0x7f, v1
	v_mov_b32_e32 v9, 0x7c010000
	s_mov_b32 s18, exec_lo
	s_delay_alu instid0(VALU_DEP_2)
	v_cmpx_ne_u32_e32 0x7f, v52
	s_cbranch_execz .LBB285_807
; %bb.804:                              ;   in Loop: Header=BB285_678 Depth=1
	v_and_b32_e32 v9, 7, v1
	v_lshrrev_b32_e32 v10, 3, v52
	s_mov_b32 s19, exec_lo
	v_cmpx_gt_u32_e32 8, v52
; %bb.805:                              ;   in Loop: Header=BB285_678 Depth=1
	s_delay_alu instid0(VALU_DEP_3) | instskip(NEXT) | instid1(VALU_DEP_1)
	v_clz_i32_u32_e32 v9, v9
	v_min_u32_e32 v52, 32, v9
	s_delay_alu instid0(VALU_DEP_1) | instskip(NEXT) | instid1(VALU_DEP_1)
	v_subrev_nc_u32_e32 v9, 28, v52
	v_lshlrev_b64_e32 v[9:10], v9, v[1:2]
	v_sub_nc_u32_e32 v10, 29, v52
	s_delay_alu instid0(VALU_DEP_2)
	v_and_b32_e32 v9, 7, v9
; %bb.806:                              ;   in Loop: Header=BB285_678 Depth=1
	s_wait_alu 0xfffe
	s_or_b32 exec_lo, exec_lo, s19
	v_lshlrev_b32_e32 v1, 8, v1
	v_lshl_add_u32 v10, v10, 10, 0x2000
	v_lshlrev_b32_e32 v9, 23, v9
	s_delay_alu instid0(VALU_DEP_2) | instskip(NEXT) | instid1(VALU_DEP_1)
	v_and_or_b32 v1, 0x8000, v1, v10
	v_lshl_or_b32 v9, v1, 16, v9
.LBB285_807:                            ;   in Loop: Header=BB285_678 Depth=1
	s_wait_alu 0xfffe
	s_or_b32 exec_lo, exec_lo, s18
.LBB285_808:                            ;   in Loop: Header=BB285_678 Depth=1
	s_wait_alu 0xfffe
	s_or_b32 exec_lo, exec_lo, s17
.LBB285_809:                            ;   in Loop: Header=BB285_678 Depth=1
	s_wait_alu 0xfffe
	s_or_b32 exec_lo, exec_lo, s15
	v_or_b32_e32 v1, v47, v48
	s_wait_loadcnt 0x0
	v_fma_mixlo_f16 v10, v44, v47, 0 op_sel:[0,1,0] op_sel_hi:[0,1,0]
	v_or_b32_e32 v47, v45, v46
	v_fma_mixlo_f16 v45, v44, v45, 0 op_sel:[0,1,0] op_sel_hi:[0,1,0]
	v_or_b32_e32 v48, v51, v50
	v_or_b32_e32 v49, v9, v49
	v_fma_mixlo_f16 v50, v44, v1, 0 op_sel_hi:[0,1,0]
	v_fma_mixlo_f16 v9, v44, v9, 0 op_sel:[0,1,0] op_sel_hi:[0,1,0]
	v_lshlrev_b32_e32 v46, 16, v45
	v_fma_mixlo_f16 v45, v44, v47, 0 op_sel_hi:[0,1,0]
	v_fma_mixlo_f16 v47, v44, v51, 0 op_sel:[0,1,0] op_sel_hi:[0,1,0]
	v_fma_mixlo_f16 v48, v44, v48, 0 op_sel_hi:[0,1,0]
	v_fma_mixlo_f16 v49, v44, v49, 0 op_sel_hi:[0,1,0]
	v_lshlrev_b32_e32 v1, 16, v10
	v_and_b32_e32 v10, 0xffff, v50
	v_and_b32_e32 v52, 0xffff, v45
	v_lshlrev_b32_e32 v44, 16, v47
	v_and_b32_e32 v48, 0xffff, v48
	v_lshlrev_b32_e32 v9, 16, v9
	v_and_b32_e32 v45, 0xffff, v49
	v_or_b32_e32 v47, v1, v10
	v_or_b32_e32 v51, v46, v52
	;; [unrolled: 1-line block ×3, first 2 shown]
	s_delay_alu instid0(VALU_DEP_4)
	v_or_b32_e32 v49, v9, v45
	s_and_saveexec_b32 s15, vcc_lo
	s_cbranch_execz .LBB285_811
; %bb.810:                              ;   in Loop: Header=BB285_678 Depth=1
	v_cmp_gt_i32_e64 s0, s34, v30
	s_wait_alu 0xf1ff
	s_delay_alu instid0(VALU_DEP_1) | instskip(SKIP_2) | instid1(VALU_DEP_1)
	v_cndmask_b32_e64 v47, 0, v52, s0
	v_cmp_gt_i32_e64 s0, s34, v42
	s_wait_alu 0xf1ff
	v_cndmask_b32_e64 v46, 0, v46, s0
	v_cmp_gt_i32_e64 s0, s34, v40
	s_delay_alu instid0(VALU_DEP_2) | instskip(SKIP_1) | instid1(VALU_DEP_2)
	v_or_b32_e32 v51, v46, v47
	s_wait_alu 0xf1ff
	v_cndmask_b32_e64 v10, 0, v10, s0
	v_cmp_gt_i32_e64 s0, s34, v38
	s_wait_alu 0xf1ff
	s_delay_alu instid0(VALU_DEP_1) | instskip(SKIP_1) | instid1(VALU_DEP_2)
	v_cndmask_b32_e64 v1, 0, v1, s0
	v_cmp_gt_i32_e64 s0, s34, v36
	v_or_b32_e32 v47, v1, v10
	s_wait_alu 0xf1ff
	s_delay_alu instid0(VALU_DEP_2) | instskip(SKIP_2) | instid1(VALU_DEP_1)
	v_cndmask_b32_e64 v48, 0, v48, s0
	v_cmp_gt_i32_e64 s0, s34, v34
	s_wait_alu 0xf1ff
	v_cndmask_b32_e64 v44, 0, v44, s0
	v_cmp_gt_i32_e64 s0, s34, v32
	s_delay_alu instid0(VALU_DEP_2) | instskip(SKIP_1) | instid1(VALU_DEP_2)
	v_or_b32_e32 v50, v44, v48
	s_wait_alu 0xf1ff
	v_cndmask_b32_e64 v45, 0, v45, s0
	v_cmp_gt_i32_e64 s0, s34, v31
	s_wait_alu 0xf1ff
	s_delay_alu instid0(VALU_DEP_1) | instskip(NEXT) | instid1(VALU_DEP_1)
	v_cndmask_b32_e64 v9, 0, v9, s0
	v_or_b32_e32 v49, v9, v45
.LBB285_811:                            ;   in Loop: Header=BB285_678 Depth=1
	s_wait_alu 0xfffe
	s_or_b32 exec_lo, exec_lo, s15
	;;#ASMSTART
	v_pk_mul_f16 v1, v43, v51;

	;;#ASMEND
	;;#ASMSTART
	v_pk_mul_f16 v9, v41, v47;

	;;#ASMEND
	;; [unrolled: 4-line block ×4, first 2 shown]
	;;#ASMSTART
	v_pk_add_f16 v1, v1, v9;

	;;#ASMEND
	;;#ASMSTART
	v_pk_add_f16 v1, v1, v10;

	;;#ASMEND
	;; [unrolled: 4-line block ×3, first 2 shown]
	v_dual_mov_b32 v48, 0 :: v_dual_and_b32 v9, 0xffff, v1
	v_lshrrev_b32_e32 v1, 16, v1
	;;#ASMSTART
	v_cvt_f32_f16 v44, v9;
	;;#ASMEND
	;;#ASMSTART
	v_cvt_f32_f16 v45, v1;
	;;#ASMEND
	global_load_b64 v[9:10], v[7:8], off offset:512
	v_mov_b32_e32 v47, 0
	s_mov_b32 s15, exec_lo
	global_load_b32 v46, v47, s[10:11]
	s_wait_loadcnt 0x1
	v_and_b32_e32 v1, 0xff, v9
	s_delay_alu instid0(VALU_DEP_1)
	v_cmpx_ne_u16_e32 0, v1
	s_cbranch_execz .LBB285_819
; %bb.812:                              ;   in Loop: Header=BB285_678 Depth=1
	v_mov_b32_e32 v48, 0x8000
	s_mov_b32 s17, exec_lo
	v_cmpx_ne_u16_e32 0x80, v1
	s_cbranch_execz .LBB285_818
; %bb.813:                              ;   in Loop: Header=BB285_678 Depth=1
	v_and_b32_e32 v49, 0x7f, v9
	v_mov_b32_e32 v48, 0x7c01
	s_mov_b32 s18, exec_lo
	s_delay_alu instid0(VALU_DEP_2)
	v_cmpx_ne_u32_e32 0x7f, v49
	s_cbranch_execz .LBB285_817
; %bb.814:                              ;   in Loop: Header=BB285_678 Depth=1
	v_and_b32_e32 v1, 7, v9
	v_lshrrev_b32_e32 v48, 3, v49
	s_mov_b32 s19, exec_lo
	v_cmpx_gt_u32_e32 8, v49
; %bb.815:                              ;   in Loop: Header=BB285_678 Depth=1
	s_delay_alu instid0(VALU_DEP_3) | instskip(NEXT) | instid1(VALU_DEP_1)
	v_clz_i32_u32_e32 v1, v1
	v_min_u32_e32 v1, 32, v1
	s_delay_alu instid0(VALU_DEP_1) | instskip(NEXT) | instid1(VALU_DEP_1)
	v_subrev_nc_u32_e32 v48, 28, v1
	v_lshlrev_b64_e32 v[49:50], v48, v[9:10]
	v_sub_nc_u32_e32 v48, 29, v1
	s_delay_alu instid0(VALU_DEP_2)
	v_and_b32_e32 v1, 7, v49
; %bb.816:                              ;   in Loop: Header=BB285_678 Depth=1
	s_wait_alu 0xfffe
	s_or_b32 exec_lo, exec_lo, s19
	v_lshlrev_b32_e32 v49, 8, v9
	v_lshl_add_u32 v48, v48, 10, 0x2000
	v_lshlrev_b32_e32 v1, 7, v1
	s_delay_alu instid0(VALU_DEP_3) | instskip(NEXT) | instid1(VALU_DEP_3)
	v_and_b32_e32 v49, 0x8000, v49
	v_and_b32_e32 v48, 0xfc00, v48
	s_delay_alu instid0(VALU_DEP_1)
	v_or3_b32 v48, v49, v48, v1
.LBB285_817:                            ;   in Loop: Header=BB285_678 Depth=1
	s_wait_alu 0xfffe
	s_or_b32 exec_lo, exec_lo, s18
.LBB285_818:                            ;   in Loop: Header=BB285_678 Depth=1
	s_wait_alu 0xfffe
	s_or_b32 exec_lo, exec_lo, s17
.LBB285_819:                            ;   in Loop: Header=BB285_678 Depth=1
	s_wait_alu 0xfffe
	s_or_b32 exec_lo, exec_lo, s15
	v_lshrrev_b16 v1, 8, v9
	s_mov_b32 s15, exec_lo
	s_delay_alu instid0(VALU_DEP_1)
	v_cmpx_ne_u16_e32 0, v1
	s_cbranch_execz .LBB285_827
; %bb.820:                              ;   in Loop: Header=BB285_678 Depth=1
	v_bfrev_b32_e32 v47, 1
	s_mov_b32 s17, exec_lo
	v_cmpx_ne_u16_e32 0x80, v1
	s_cbranch_execz .LBB285_826
; %bb.821:                              ;   in Loop: Header=BB285_678 Depth=1
	v_and_b32_e32 v49, 0xffff, v1
	v_mov_b32_e32 v47, 0x7c010000
	s_mov_b32 s18, exec_lo
	s_delay_alu instid0(VALU_DEP_2) | instskip(NEXT) | instid1(VALU_DEP_1)
	v_and_b32_e32 v51, 0x7f, v49
	v_cmpx_ne_u32_e32 0x7f, v51
	s_cbranch_execz .LBB285_825
; %bb.822:                              ;   in Loop: Header=BB285_678 Depth=1
	v_and_b32_e32 v47, 7, v49
	v_lshrrev_b32_e32 v50, 3, v51
	s_mov_b32 s19, exec_lo
	v_cmpx_gt_u32_e32 8, v51
; %bb.823:                              ;   in Loop: Header=BB285_678 Depth=1
	s_delay_alu instid0(VALU_DEP_3) | instskip(NEXT) | instid1(VALU_DEP_1)
	v_clz_i32_u32_e32 v47, v47
	v_min_u32_e32 v47, 32, v47
	s_delay_alu instid0(VALU_DEP_1) | instskip(NEXT) | instid1(VALU_DEP_1)
	v_subrev_nc_u32_e32 v50, 28, v47
	v_lshlrev_b64_e32 v[51:52], v50, v[1:2]
	v_sub_nc_u32_e32 v50, 29, v47
	s_delay_alu instid0(VALU_DEP_2)
	v_and_b32_e32 v47, 7, v51
; %bb.824:                              ;   in Loop: Header=BB285_678 Depth=1
	s_wait_alu 0xfffe
	s_or_b32 exec_lo, exec_lo, s19
	v_lshlrev_b32_e32 v1, 8, v49
	v_lshl_add_u32 v49, v50, 10, 0x2000
	v_lshlrev_b32_e32 v47, 23, v47
	s_delay_alu instid0(VALU_DEP_2) | instskip(NEXT) | instid1(VALU_DEP_1)
	v_and_or_b32 v1, 0x8000, v1, v49
	v_lshl_or_b32 v47, v1, 16, v47
.LBB285_825:                            ;   in Loop: Header=BB285_678 Depth=1
	s_wait_alu 0xfffe
	s_or_b32 exec_lo, exec_lo, s18
.LBB285_826:                            ;   in Loop: Header=BB285_678 Depth=1
	s_wait_alu 0xfffe
	s_or_b32 exec_lo, exec_lo, s17
.LBB285_827:                            ;   in Loop: Header=BB285_678 Depth=1
	s_wait_alu 0xfffe
	s_or_b32 exec_lo, exec_lo, s15
	v_lshrrev_b32_e32 v1, 16, v9
	v_mov_b32_e32 v49, 0
	s_mov_b32 s15, exec_lo
	s_delay_alu instid0(VALU_DEP_2) | instskip(NEXT) | instid1(VALU_DEP_1)
	v_dual_mov_b32 v50, 0 :: v_dual_and_b32 v51, 0xff, v1
	v_cmpx_ne_u16_e32 0, v51
	s_cbranch_execz .LBB285_835
; %bb.828:                              ;   in Loop: Header=BB285_678 Depth=1
	v_mov_b32_e32 v50, 0x8000
	s_mov_b32 s17, exec_lo
	v_cmpx_ne_u16_e32 0x80, v51
	s_cbranch_execz .LBB285_834
; %bb.829:                              ;   in Loop: Header=BB285_678 Depth=1
	v_bfe_u32 v52, v9, 16, 7
	v_mov_b32_e32 v50, 0x7c01
	s_mov_b32 s18, exec_lo
	s_delay_alu instid0(VALU_DEP_2)
	v_cmpx_ne_u32_e32 0x7f, v52
	s_cbranch_execz .LBB285_833
; %bb.830:                              ;   in Loop: Header=BB285_678 Depth=1
	v_and_b32_e32 v50, 7, v1
	v_lshrrev_b32_e32 v51, 3, v52
	s_mov_b32 s19, exec_lo
	v_cmpx_gt_u32_e32 8, v52
; %bb.831:                              ;   in Loop: Header=BB285_678 Depth=1
	s_delay_alu instid0(VALU_DEP_3) | instskip(NEXT) | instid1(VALU_DEP_1)
	v_clz_i32_u32_e32 v50, v50
	v_min_u32_e32 v52, 32, v50
	s_delay_alu instid0(VALU_DEP_1) | instskip(NEXT) | instid1(VALU_DEP_1)
	v_subrev_nc_u32_e32 v50, 28, v52
	v_lshlrev_b64_e32 v[50:51], v50, v[1:2]
	v_sub_nc_u32_e32 v51, 29, v52
	s_delay_alu instid0(VALU_DEP_2)
	v_and_b32_e32 v50, 7, v50
; %bb.832:                              ;   in Loop: Header=BB285_678 Depth=1
	s_wait_alu 0xfffe
	s_or_b32 exec_lo, exec_lo, s19
	v_lshlrev_b32_e32 v1, 8, v1
	v_lshl_add_u32 v51, v51, 10, 0x2000
	v_lshlrev_b32_e32 v50, 7, v50
	s_delay_alu instid0(VALU_DEP_3) | instskip(NEXT) | instid1(VALU_DEP_3)
	v_and_b32_e32 v1, 0x8000, v1
	v_and_b32_e32 v51, 0xfc00, v51
	s_delay_alu instid0(VALU_DEP_1)
	v_or3_b32 v50, v1, v51, v50
.LBB285_833:                            ;   in Loop: Header=BB285_678 Depth=1
	s_wait_alu 0xfffe
	s_or_b32 exec_lo, exec_lo, s18
.LBB285_834:                            ;   in Loop: Header=BB285_678 Depth=1
	s_wait_alu 0xfffe
	s_or_b32 exec_lo, exec_lo, s17
.LBB285_835:                            ;   in Loop: Header=BB285_678 Depth=1
	s_wait_alu 0xfffe
	s_or_b32 exec_lo, exec_lo, s15
	s_delay_alu instid0(SALU_CYCLE_1)
	s_mov_b32 s15, exec_lo
	v_cmpx_lt_u32_e32 0xffffff, v9
	s_cbranch_execz .LBB285_843
; %bb.836:                              ;   in Loop: Header=BB285_678 Depth=1
	v_lshrrev_b32_e32 v1, 24, v9
	v_bfrev_b32_e32 v49, 1
	s_mov_b32 s17, exec_lo
	s_delay_alu instid0(VALU_DEP_2)
	v_cmpx_ne_u32_e32 0x80, v1
	s_cbranch_execz .LBB285_842
; %bb.837:                              ;   in Loop: Header=BB285_678 Depth=1
	v_and_b32_e32 v52, 0x7f, v1
	v_mov_b32_e32 v49, 0x7c010000
	s_mov_b32 s18, exec_lo
	s_delay_alu instid0(VALU_DEP_2)
	v_cmpx_ne_u32_e32 0x7f, v52
	s_cbranch_execz .LBB285_841
; %bb.838:                              ;   in Loop: Header=BB285_678 Depth=1
	v_and_b32_e32 v49, 7, v1
	v_lshrrev_b32_e32 v51, 3, v52
	s_mov_b32 s19, exec_lo
	v_cmpx_gt_u32_e32 8, v52
; %bb.839:                              ;   in Loop: Header=BB285_678 Depth=1
	s_delay_alu instid0(VALU_DEP_3) | instskip(NEXT) | instid1(VALU_DEP_1)
	v_clz_i32_u32_e32 v49, v49
	v_min_u32_e32 v49, 32, v49
	s_delay_alu instid0(VALU_DEP_1) | instskip(NEXT) | instid1(VALU_DEP_1)
	v_subrev_nc_u32_e32 v51, 28, v49
	v_lshlrev_b64_e32 v[52:53], v51, v[1:2]
	v_sub_nc_u32_e32 v51, 29, v49
	s_delay_alu instid0(VALU_DEP_2)
	v_and_b32_e32 v49, 7, v52
; %bb.840:                              ;   in Loop: Header=BB285_678 Depth=1
	s_wait_alu 0xfffe
	s_or_b32 exec_lo, exec_lo, s19
	v_lshlrev_b32_e32 v1, 8, v1
	v_lshl_add_u32 v51, v51, 10, 0x2000
	v_lshlrev_b32_e32 v49, 23, v49
	s_delay_alu instid0(VALU_DEP_2) | instskip(NEXT) | instid1(VALU_DEP_1)
	v_and_or_b32 v1, 0x8000, v1, v51
	v_lshl_or_b32 v49, v1, 16, v49
.LBB285_841:                            ;   in Loop: Header=BB285_678 Depth=1
	s_wait_alu 0xfffe
	s_or_b32 exec_lo, exec_lo, s18
.LBB285_842:                            ;   in Loop: Header=BB285_678 Depth=1
	s_wait_alu 0xfffe
	s_or_b32 exec_lo, exec_lo, s17
.LBB285_843:                            ;   in Loop: Header=BB285_678 Depth=1
	s_wait_alu 0xfffe
	s_or_b32 exec_lo, exec_lo, s15
	v_dual_mov_b32 v52, 0 :: v_dual_and_b32 v53, 0xff, v10
	v_mov_b32_e32 v1, v10
	v_mov_b32_e32 v51, 0
	s_mov_b32 s15, exec_lo
	s_delay_alu instid0(VALU_DEP_3)
	v_cmpx_ne_u16_e32 0, v53
	s_cbranch_execz .LBB285_851
; %bb.844:                              ;   in Loop: Header=BB285_678 Depth=1
	v_mov_b32_e32 v52, 0x8000
	s_mov_b32 s17, exec_lo
	v_cmpx_ne_u16_e32 0x80, v53
	s_cbranch_execz .LBB285_850
; %bb.845:                              ;   in Loop: Header=BB285_678 Depth=1
	v_and_b32_e32 v54, 0x7f, v10
	v_mov_b32_e32 v52, 0x7c01
	s_mov_b32 s18, exec_lo
	s_delay_alu instid0(VALU_DEP_2)
	v_cmpx_ne_u32_e32 0x7f, v54
	s_cbranch_execz .LBB285_849
; %bb.846:                              ;   in Loop: Header=BB285_678 Depth=1
	v_and_b32_e32 v52, 7, v10
	v_lshrrev_b32_e32 v53, 3, v54
	s_mov_b32 s19, exec_lo
	v_cmpx_gt_u32_e32 8, v54
; %bb.847:                              ;   in Loop: Header=BB285_678 Depth=1
	s_delay_alu instid0(VALU_DEP_3) | instskip(NEXT) | instid1(VALU_DEP_1)
	v_clz_i32_u32_e32 v52, v52
	v_min_u32_e32 v54, 32, v52
	s_delay_alu instid0(VALU_DEP_1) | instskip(NEXT) | instid1(VALU_DEP_1)
	v_subrev_nc_u32_e32 v52, 28, v54
	v_lshlrev_b64_e32 v[52:53], v52, v[1:2]
	v_sub_nc_u32_e32 v53, 29, v54
	s_delay_alu instid0(VALU_DEP_2)
	v_and_b32_e32 v52, 7, v52
; %bb.848:                              ;   in Loop: Header=BB285_678 Depth=1
	s_wait_alu 0xfffe
	s_or_b32 exec_lo, exec_lo, s19
	v_lshlrev_b32_e32 v54, 8, v10
	v_lshl_add_u32 v53, v53, 10, 0x2000
	v_lshlrev_b32_e32 v52, 7, v52
	s_delay_alu instid0(VALU_DEP_3) | instskip(NEXT) | instid1(VALU_DEP_3)
	v_and_b32_e32 v54, 0x8000, v54
	v_and_b32_e32 v53, 0xfc00, v53
	s_delay_alu instid0(VALU_DEP_1)
	v_or3_b32 v52, v54, v53, v52
.LBB285_849:                            ;   in Loop: Header=BB285_678 Depth=1
	s_wait_alu 0xfffe
	s_or_b32 exec_lo, exec_lo, s18
.LBB285_850:                            ;   in Loop: Header=BB285_678 Depth=1
	s_wait_alu 0xfffe
	s_or_b32 exec_lo, exec_lo, s17
.LBB285_851:                            ;   in Loop: Header=BB285_678 Depth=1
	s_wait_alu 0xfffe
	s_or_b32 exec_lo, exec_lo, s15
	v_lshrrev_b16 v1, 8, v1
	v_mov_b32_e32 v53, 0
	s_mov_b32 s15, exec_lo
	s_delay_alu instid0(VALU_DEP_2)
	v_cmpx_ne_u16_e32 0, v1
	s_cbranch_execz .LBB285_859
; %bb.852:                              ;   in Loop: Header=BB285_678 Depth=1
	v_bfrev_b32_e32 v53, 1
	s_mov_b32 s17, exec_lo
	v_cmpx_ne_u16_e32 0x80, v1
	s_cbranch_execz .LBB285_858
; %bb.853:                              ;   in Loop: Header=BB285_678 Depth=1
	v_and_b32_e32 v54, 0xffff, v1
	v_mov_b32_e32 v53, 0x7c010000
	s_mov_b32 s18, exec_lo
	s_delay_alu instid0(VALU_DEP_2) | instskip(NEXT) | instid1(VALU_DEP_1)
	v_and_b32_e32 v56, 0x7f, v54
	v_cmpx_ne_u32_e32 0x7f, v56
	s_cbranch_execz .LBB285_857
; %bb.854:                              ;   in Loop: Header=BB285_678 Depth=1
	v_and_b32_e32 v53, 7, v54
	v_lshrrev_b32_e32 v55, 3, v56
	s_mov_b32 s19, exec_lo
	v_cmpx_gt_u32_e32 8, v56
; %bb.855:                              ;   in Loop: Header=BB285_678 Depth=1
	s_delay_alu instid0(VALU_DEP_3) | instskip(NEXT) | instid1(VALU_DEP_1)
	v_clz_i32_u32_e32 v53, v53
	v_min_u32_e32 v53, 32, v53
	s_delay_alu instid0(VALU_DEP_1) | instskip(NEXT) | instid1(VALU_DEP_1)
	v_subrev_nc_u32_e32 v55, 28, v53
	v_lshlrev_b64_e32 v[56:57], v55, v[1:2]
	v_sub_nc_u32_e32 v55, 29, v53
	s_delay_alu instid0(VALU_DEP_2)
	v_and_b32_e32 v53, 7, v56
; %bb.856:                              ;   in Loop: Header=BB285_678 Depth=1
	s_wait_alu 0xfffe
	s_or_b32 exec_lo, exec_lo, s19
	v_lshlrev_b32_e32 v1, 8, v54
	v_lshl_add_u32 v54, v55, 10, 0x2000
	v_lshlrev_b32_e32 v53, 23, v53
	s_delay_alu instid0(VALU_DEP_2) | instskip(NEXT) | instid1(VALU_DEP_1)
	v_and_or_b32 v1, 0x8000, v1, v54
	v_lshl_or_b32 v53, v1, 16, v53
.LBB285_857:                            ;   in Loop: Header=BB285_678 Depth=1
	s_wait_alu 0xfffe
	s_or_b32 exec_lo, exec_lo, s18
.LBB285_858:                            ;   in Loop: Header=BB285_678 Depth=1
	s_wait_alu 0xfffe
	s_or_b32 exec_lo, exec_lo, s17
.LBB285_859:                            ;   in Loop: Header=BB285_678 Depth=1
	s_wait_alu 0xfffe
	s_or_b32 exec_lo, exec_lo, s15
	v_lshrrev_b32_e32 v1, 16, v10
	s_mov_b32 s15, exec_lo
	s_delay_alu instid0(VALU_DEP_1) | instskip(NEXT) | instid1(VALU_DEP_1)
	v_and_b32_e32 v54, 0xff, v1
	v_cmpx_ne_u16_e32 0, v54
	s_cbranch_execz .LBB285_867
; %bb.860:                              ;   in Loop: Header=BB285_678 Depth=1
	v_mov_b32_e32 v51, 0x8000
	s_mov_b32 s17, exec_lo
	v_cmpx_ne_u16_e32 0x80, v54
	s_cbranch_execz .LBB285_866
; %bb.861:                              ;   in Loop: Header=BB285_678 Depth=1
	v_bfe_u32 v55, v10, 16, 7
	v_mov_b32_e32 v51, 0x7c01
	s_mov_b32 s18, exec_lo
	s_delay_alu instid0(VALU_DEP_2)
	v_cmpx_ne_u32_e32 0x7f, v55
	s_cbranch_execz .LBB285_865
; %bb.862:                              ;   in Loop: Header=BB285_678 Depth=1
	v_and_b32_e32 v51, 7, v1
	v_lshrrev_b32_e32 v54, 3, v55
	s_mov_b32 s19, exec_lo
	v_cmpx_gt_u32_e32 8, v55
; %bb.863:                              ;   in Loop: Header=BB285_678 Depth=1
	s_delay_alu instid0(VALU_DEP_3) | instskip(NEXT) | instid1(VALU_DEP_1)
	v_clz_i32_u32_e32 v51, v51
	v_min_u32_e32 v51, 32, v51
	s_delay_alu instid0(VALU_DEP_1) | instskip(NEXT) | instid1(VALU_DEP_1)
	v_subrev_nc_u32_e32 v54, 28, v51
	v_lshlrev_b64_e32 v[55:56], v54, v[1:2]
	v_sub_nc_u32_e32 v54, 29, v51
	s_delay_alu instid0(VALU_DEP_2)
	v_and_b32_e32 v51, 7, v55
; %bb.864:                              ;   in Loop: Header=BB285_678 Depth=1
	s_wait_alu 0xfffe
	s_or_b32 exec_lo, exec_lo, s19
	v_lshlrev_b32_e32 v1, 8, v1
	v_lshl_add_u32 v54, v54, 10, 0x2000
	v_lshlrev_b32_e32 v51, 7, v51
	s_delay_alu instid0(VALU_DEP_3) | instskip(NEXT) | instid1(VALU_DEP_3)
	v_and_b32_e32 v1, 0x8000, v1
	v_and_b32_e32 v54, 0xfc00, v54
	s_delay_alu instid0(VALU_DEP_1)
	v_or3_b32 v51, v1, v54, v51
.LBB285_865:                            ;   in Loop: Header=BB285_678 Depth=1
	s_wait_alu 0xfffe
	s_or_b32 exec_lo, exec_lo, s18
.LBB285_866:                            ;   in Loop: Header=BB285_678 Depth=1
	s_wait_alu 0xfffe
	s_or_b32 exec_lo, exec_lo, s17
.LBB285_867:                            ;   in Loop: Header=BB285_678 Depth=1
	s_wait_alu 0xfffe
	s_or_b32 exec_lo, exec_lo, s15
	v_cmp_lt_u64_e64 s0, s[2:3], v[9:10]
	v_mov_b32_e32 v9, 0
	s_and_saveexec_b32 s15, s0
	s_cbranch_execz .LBB285_875
; %bb.868:                              ;   in Loop: Header=BB285_678 Depth=1
	v_lshrrev_b32_e32 v1, 24, v10
	v_bfrev_b32_e32 v9, 1
	s_mov_b32 s17, exec_lo
	s_delay_alu instid0(VALU_DEP_2)
	v_cmpx_ne_u32_e32 0x80, v1
	s_cbranch_execz .LBB285_874
; %bb.869:                              ;   in Loop: Header=BB285_678 Depth=1
	v_and_b32_e32 v54, 0x7f, v1
	v_mov_b32_e32 v9, 0x7c010000
	s_mov_b32 s18, exec_lo
	s_delay_alu instid0(VALU_DEP_2)
	v_cmpx_ne_u32_e32 0x7f, v54
	s_cbranch_execz .LBB285_873
; %bb.870:                              ;   in Loop: Header=BB285_678 Depth=1
	v_and_b32_e32 v9, 7, v1
	v_lshrrev_b32_e32 v10, 3, v54
	s_mov_b32 s19, exec_lo
	v_cmpx_gt_u32_e32 8, v54
; %bb.871:                              ;   in Loop: Header=BB285_678 Depth=1
	s_delay_alu instid0(VALU_DEP_3) | instskip(NEXT) | instid1(VALU_DEP_1)
	v_clz_i32_u32_e32 v9, v9
	v_min_u32_e32 v54, 32, v9
	s_delay_alu instid0(VALU_DEP_1) | instskip(NEXT) | instid1(VALU_DEP_1)
	v_subrev_nc_u32_e32 v9, 28, v54
	v_lshlrev_b64_e32 v[9:10], v9, v[1:2]
	v_sub_nc_u32_e32 v10, 29, v54
	s_delay_alu instid0(VALU_DEP_2)
	v_and_b32_e32 v9, 7, v9
; %bb.872:                              ;   in Loop: Header=BB285_678 Depth=1
	s_wait_alu 0xfffe
	s_or_b32 exec_lo, exec_lo, s19
	v_lshlrev_b32_e32 v1, 8, v1
	v_lshl_add_u32 v10, v10, 10, 0x2000
	v_lshlrev_b32_e32 v9, 23, v9
	s_delay_alu instid0(VALU_DEP_2) | instskip(NEXT) | instid1(VALU_DEP_1)
	v_and_or_b32 v1, 0x8000, v1, v10
	v_lshl_or_b32 v9, v1, 16, v9
.LBB285_873:                            ;   in Loop: Header=BB285_678 Depth=1
	s_wait_alu 0xfffe
	s_or_b32 exec_lo, exec_lo, s18
.LBB285_874:                            ;   in Loop: Header=BB285_678 Depth=1
	s_wait_alu 0xfffe
	s_or_b32 exec_lo, exec_lo, s17
.LBB285_875:                            ;   in Loop: Header=BB285_678 Depth=1
	s_wait_alu 0xfffe
	s_or_b32 exec_lo, exec_lo, s15
	v_or_b32_e32 v1, v49, v50
	s_wait_loadcnt 0x0
	v_fma_mixlo_f16 v10, v46, v49, 0 op_sel:[0,1,0] op_sel_hi:[0,1,0]
	v_or_b32_e32 v49, v47, v48
	v_fma_mixlo_f16 v47, v46, v47, 0 op_sel:[0,1,0] op_sel_hi:[0,1,0]
	v_or_b32_e32 v50, v53, v52
	v_or_b32_e32 v51, v9, v51
	v_fma_mixlo_f16 v52, v46, v1, 0 op_sel_hi:[0,1,0]
	v_fma_mixlo_f16 v9, v46, v9, 0 op_sel:[0,1,0] op_sel_hi:[0,1,0]
	v_lshlrev_b32_e32 v48, 16, v47
	v_fma_mixlo_f16 v47, v46, v49, 0 op_sel_hi:[0,1,0]
	v_fma_mixlo_f16 v49, v46, v53, 0 op_sel:[0,1,0] op_sel_hi:[0,1,0]
	v_fma_mixlo_f16 v50, v46, v50, 0 op_sel_hi:[0,1,0]
	v_fma_mixlo_f16 v51, v46, v51, 0 op_sel_hi:[0,1,0]
	v_lshlrev_b32_e32 v1, 16, v10
	v_and_b32_e32 v10, 0xffff, v52
	v_and_b32_e32 v54, 0xffff, v47
	v_lshlrev_b32_e32 v46, 16, v49
	v_and_b32_e32 v50, 0xffff, v50
	v_lshlrev_b32_e32 v9, 16, v9
	v_and_b32_e32 v47, 0xffff, v51
	v_or_b32_e32 v49, v1, v10
	v_or_b32_e32 v53, v48, v54
	;; [unrolled: 1-line block ×3, first 2 shown]
	s_delay_alu instid0(VALU_DEP_4)
	v_or_b32_e32 v51, v9, v47
	s_and_saveexec_b32 s15, vcc_lo
	s_cbranch_execz .LBB285_877
; %bb.876:                              ;   in Loop: Header=BB285_678 Depth=1
	v_cmp_gt_i32_e64 s0, s34, v30
	s_wait_alu 0xf1ff
	s_delay_alu instid0(VALU_DEP_1) | instskip(SKIP_2) | instid1(VALU_DEP_1)
	v_cndmask_b32_e64 v49, 0, v54, s0
	v_cmp_gt_i32_e64 s0, s34, v42
	s_wait_alu 0xf1ff
	v_cndmask_b32_e64 v48, 0, v48, s0
	v_cmp_gt_i32_e64 s0, s34, v40
	s_delay_alu instid0(VALU_DEP_2) | instskip(SKIP_1) | instid1(VALU_DEP_2)
	v_or_b32_e32 v53, v48, v49
	s_wait_alu 0xf1ff
	v_cndmask_b32_e64 v10, 0, v10, s0
	v_cmp_gt_i32_e64 s0, s34, v38
	s_wait_alu 0xf1ff
	s_delay_alu instid0(VALU_DEP_1) | instskip(SKIP_1) | instid1(VALU_DEP_2)
	v_cndmask_b32_e64 v1, 0, v1, s0
	v_cmp_gt_i32_e64 s0, s34, v36
	v_or_b32_e32 v49, v1, v10
	s_wait_alu 0xf1ff
	s_delay_alu instid0(VALU_DEP_2) | instskip(SKIP_2) | instid1(VALU_DEP_1)
	v_cndmask_b32_e64 v50, 0, v50, s0
	v_cmp_gt_i32_e64 s0, s34, v34
	s_wait_alu 0xf1ff
	v_cndmask_b32_e64 v46, 0, v46, s0
	v_cmp_gt_i32_e64 s0, s34, v32
	s_delay_alu instid0(VALU_DEP_2) | instskip(SKIP_1) | instid1(VALU_DEP_2)
	v_or_b32_e32 v52, v46, v50
	s_wait_alu 0xf1ff
	v_cndmask_b32_e64 v47, 0, v47, s0
	v_cmp_gt_i32_e64 s0, s34, v31
	s_wait_alu 0xf1ff
	s_delay_alu instid0(VALU_DEP_1) | instskip(NEXT) | instid1(VALU_DEP_1)
	v_cndmask_b32_e64 v9, 0, v9, s0
	v_or_b32_e32 v51, v9, v47
.LBB285_877:                            ;   in Loop: Header=BB285_678 Depth=1
	s_wait_alu 0xfffe
	s_or_b32 exec_lo, exec_lo, s15
	;;#ASMSTART
	v_pk_mul_f16 v1, v43, v53;

	;;#ASMEND
	;;#ASMSTART
	v_pk_mul_f16 v9, v41, v49;

	;;#ASMEND
	;; [unrolled: 4-line block ×4, first 2 shown]
	;;#ASMSTART
	v_pk_add_f16 v1, v1, v9;

	;;#ASMEND
	;;#ASMSTART
	v_pk_add_f16 v1, v1, v10;

	;;#ASMEND
	;; [unrolled: 4-line block ×3, first 2 shown]
	v_dual_mov_b32 v50, 0 :: v_dual_and_b32 v9, 0xffff, v1
	v_lshrrev_b32_e32 v1, 16, v1
	;;#ASMSTART
	v_cvt_f32_f16 v46, v9;
	;;#ASMEND
	;;#ASMSTART
	v_cvt_f32_f16 v47, v1;
	;;#ASMEND
	global_load_b64 v[9:10], v[7:8], off offset:768
	v_mov_b32_e32 v49, 0
	s_mov_b32 s15, exec_lo
	global_load_b32 v48, v49, s[10:11]
	s_wait_loadcnt 0x1
	v_and_b32_e32 v1, 0xff, v9
	s_delay_alu instid0(VALU_DEP_1)
	v_cmpx_ne_u16_e32 0, v1
	s_cbranch_execz .LBB285_885
; %bb.878:                              ;   in Loop: Header=BB285_678 Depth=1
	v_mov_b32_e32 v50, 0x8000
	s_mov_b32 s17, exec_lo
	v_cmpx_ne_u16_e32 0x80, v1
	s_cbranch_execz .LBB285_884
; %bb.879:                              ;   in Loop: Header=BB285_678 Depth=1
	v_and_b32_e32 v51, 0x7f, v9
	v_mov_b32_e32 v50, 0x7c01
	s_mov_b32 s18, exec_lo
	s_delay_alu instid0(VALU_DEP_2)
	v_cmpx_ne_u32_e32 0x7f, v51
	s_cbranch_execz .LBB285_883
; %bb.880:                              ;   in Loop: Header=BB285_678 Depth=1
	v_and_b32_e32 v1, 7, v9
	v_lshrrev_b32_e32 v50, 3, v51
	s_mov_b32 s19, exec_lo
	v_cmpx_gt_u32_e32 8, v51
; %bb.881:                              ;   in Loop: Header=BB285_678 Depth=1
	s_delay_alu instid0(VALU_DEP_3) | instskip(NEXT) | instid1(VALU_DEP_1)
	v_clz_i32_u32_e32 v1, v1
	v_min_u32_e32 v1, 32, v1
	s_delay_alu instid0(VALU_DEP_1) | instskip(NEXT) | instid1(VALU_DEP_1)
	v_subrev_nc_u32_e32 v50, 28, v1
	v_lshlrev_b64_e32 v[51:52], v50, v[9:10]
	v_sub_nc_u32_e32 v50, 29, v1
	s_delay_alu instid0(VALU_DEP_2)
	v_and_b32_e32 v1, 7, v51
; %bb.882:                              ;   in Loop: Header=BB285_678 Depth=1
	s_wait_alu 0xfffe
	s_or_b32 exec_lo, exec_lo, s19
	v_lshlrev_b32_e32 v51, 8, v9
	v_lshl_add_u32 v50, v50, 10, 0x2000
	v_lshlrev_b32_e32 v1, 7, v1
	s_delay_alu instid0(VALU_DEP_3) | instskip(NEXT) | instid1(VALU_DEP_3)
	v_and_b32_e32 v51, 0x8000, v51
	v_and_b32_e32 v50, 0xfc00, v50
	s_delay_alu instid0(VALU_DEP_1)
	v_or3_b32 v50, v51, v50, v1
.LBB285_883:                            ;   in Loop: Header=BB285_678 Depth=1
	s_wait_alu 0xfffe
	s_or_b32 exec_lo, exec_lo, s18
.LBB285_884:                            ;   in Loop: Header=BB285_678 Depth=1
	s_wait_alu 0xfffe
	s_or_b32 exec_lo, exec_lo, s17
.LBB285_885:                            ;   in Loop: Header=BB285_678 Depth=1
	s_wait_alu 0xfffe
	s_or_b32 exec_lo, exec_lo, s15
	v_lshrrev_b16 v1, 8, v9
	s_mov_b32 s15, exec_lo
	s_delay_alu instid0(VALU_DEP_1)
	v_cmpx_ne_u16_e32 0, v1
	s_cbranch_execz .LBB285_893
; %bb.886:                              ;   in Loop: Header=BB285_678 Depth=1
	v_bfrev_b32_e32 v49, 1
	s_mov_b32 s17, exec_lo
	v_cmpx_ne_u16_e32 0x80, v1
	s_cbranch_execz .LBB285_892
; %bb.887:                              ;   in Loop: Header=BB285_678 Depth=1
	v_and_b32_e32 v51, 0xffff, v1
	v_mov_b32_e32 v49, 0x7c010000
	s_mov_b32 s18, exec_lo
	s_delay_alu instid0(VALU_DEP_2) | instskip(NEXT) | instid1(VALU_DEP_1)
	v_and_b32_e32 v53, 0x7f, v51
	v_cmpx_ne_u32_e32 0x7f, v53
	s_cbranch_execz .LBB285_891
; %bb.888:                              ;   in Loop: Header=BB285_678 Depth=1
	v_and_b32_e32 v49, 7, v51
	v_lshrrev_b32_e32 v52, 3, v53
	s_mov_b32 s19, exec_lo
	v_cmpx_gt_u32_e32 8, v53
; %bb.889:                              ;   in Loop: Header=BB285_678 Depth=1
	s_delay_alu instid0(VALU_DEP_3) | instskip(NEXT) | instid1(VALU_DEP_1)
	v_clz_i32_u32_e32 v49, v49
	v_min_u32_e32 v49, 32, v49
	s_delay_alu instid0(VALU_DEP_1) | instskip(NEXT) | instid1(VALU_DEP_1)
	v_subrev_nc_u32_e32 v52, 28, v49
	v_lshlrev_b64_e32 v[53:54], v52, v[1:2]
	v_sub_nc_u32_e32 v52, 29, v49
	s_delay_alu instid0(VALU_DEP_2)
	v_and_b32_e32 v49, 7, v53
; %bb.890:                              ;   in Loop: Header=BB285_678 Depth=1
	s_wait_alu 0xfffe
	s_or_b32 exec_lo, exec_lo, s19
	v_lshlrev_b32_e32 v1, 8, v51
	v_lshl_add_u32 v51, v52, 10, 0x2000
	v_lshlrev_b32_e32 v49, 23, v49
	s_delay_alu instid0(VALU_DEP_2) | instskip(NEXT) | instid1(VALU_DEP_1)
	v_and_or_b32 v1, 0x8000, v1, v51
	v_lshl_or_b32 v49, v1, 16, v49
.LBB285_891:                            ;   in Loop: Header=BB285_678 Depth=1
	s_wait_alu 0xfffe
	s_or_b32 exec_lo, exec_lo, s18
.LBB285_892:                            ;   in Loop: Header=BB285_678 Depth=1
	s_wait_alu 0xfffe
	s_or_b32 exec_lo, exec_lo, s17
.LBB285_893:                            ;   in Loop: Header=BB285_678 Depth=1
	s_wait_alu 0xfffe
	s_or_b32 exec_lo, exec_lo, s15
	v_lshrrev_b32_e32 v1, 16, v9
	v_mov_b32_e32 v51, 0
	s_mov_b32 s15, exec_lo
	s_delay_alu instid0(VALU_DEP_2) | instskip(NEXT) | instid1(VALU_DEP_1)
	v_dual_mov_b32 v52, 0 :: v_dual_and_b32 v53, 0xff, v1
	v_cmpx_ne_u16_e32 0, v53
	s_cbranch_execz .LBB285_901
; %bb.894:                              ;   in Loop: Header=BB285_678 Depth=1
	v_mov_b32_e32 v52, 0x8000
	s_mov_b32 s17, exec_lo
	v_cmpx_ne_u16_e32 0x80, v53
	s_cbranch_execz .LBB285_900
; %bb.895:                              ;   in Loop: Header=BB285_678 Depth=1
	v_bfe_u32 v54, v9, 16, 7
	v_mov_b32_e32 v52, 0x7c01
	s_mov_b32 s18, exec_lo
	s_delay_alu instid0(VALU_DEP_2)
	v_cmpx_ne_u32_e32 0x7f, v54
	s_cbranch_execz .LBB285_899
; %bb.896:                              ;   in Loop: Header=BB285_678 Depth=1
	v_and_b32_e32 v52, 7, v1
	v_lshrrev_b32_e32 v53, 3, v54
	s_mov_b32 s19, exec_lo
	v_cmpx_gt_u32_e32 8, v54
; %bb.897:                              ;   in Loop: Header=BB285_678 Depth=1
	s_delay_alu instid0(VALU_DEP_3) | instskip(NEXT) | instid1(VALU_DEP_1)
	v_clz_i32_u32_e32 v52, v52
	v_min_u32_e32 v54, 32, v52
	s_delay_alu instid0(VALU_DEP_1) | instskip(NEXT) | instid1(VALU_DEP_1)
	v_subrev_nc_u32_e32 v52, 28, v54
	v_lshlrev_b64_e32 v[52:53], v52, v[1:2]
	v_sub_nc_u32_e32 v53, 29, v54
	s_delay_alu instid0(VALU_DEP_2)
	v_and_b32_e32 v52, 7, v52
; %bb.898:                              ;   in Loop: Header=BB285_678 Depth=1
	s_wait_alu 0xfffe
	s_or_b32 exec_lo, exec_lo, s19
	v_lshlrev_b32_e32 v1, 8, v1
	v_lshl_add_u32 v53, v53, 10, 0x2000
	v_lshlrev_b32_e32 v52, 7, v52
	s_delay_alu instid0(VALU_DEP_3) | instskip(NEXT) | instid1(VALU_DEP_3)
	v_and_b32_e32 v1, 0x8000, v1
	v_and_b32_e32 v53, 0xfc00, v53
	s_delay_alu instid0(VALU_DEP_1)
	v_or3_b32 v52, v1, v53, v52
.LBB285_899:                            ;   in Loop: Header=BB285_678 Depth=1
	s_wait_alu 0xfffe
	s_or_b32 exec_lo, exec_lo, s18
.LBB285_900:                            ;   in Loop: Header=BB285_678 Depth=1
	s_wait_alu 0xfffe
	s_or_b32 exec_lo, exec_lo, s17
.LBB285_901:                            ;   in Loop: Header=BB285_678 Depth=1
	s_wait_alu 0xfffe
	s_or_b32 exec_lo, exec_lo, s15
	s_delay_alu instid0(SALU_CYCLE_1)
	s_mov_b32 s15, exec_lo
	v_cmpx_lt_u32_e32 0xffffff, v9
	s_cbranch_execz .LBB285_909
; %bb.902:                              ;   in Loop: Header=BB285_678 Depth=1
	v_lshrrev_b32_e32 v1, 24, v9
	v_bfrev_b32_e32 v51, 1
	s_mov_b32 s17, exec_lo
	s_delay_alu instid0(VALU_DEP_2)
	v_cmpx_ne_u32_e32 0x80, v1
	s_cbranch_execz .LBB285_908
; %bb.903:                              ;   in Loop: Header=BB285_678 Depth=1
	v_and_b32_e32 v54, 0x7f, v1
	v_mov_b32_e32 v51, 0x7c010000
	s_mov_b32 s18, exec_lo
	s_delay_alu instid0(VALU_DEP_2)
	v_cmpx_ne_u32_e32 0x7f, v54
	s_cbranch_execz .LBB285_907
; %bb.904:                              ;   in Loop: Header=BB285_678 Depth=1
	v_and_b32_e32 v51, 7, v1
	v_lshrrev_b32_e32 v53, 3, v54
	s_mov_b32 s19, exec_lo
	v_cmpx_gt_u32_e32 8, v54
; %bb.905:                              ;   in Loop: Header=BB285_678 Depth=1
	s_delay_alu instid0(VALU_DEP_3) | instskip(NEXT) | instid1(VALU_DEP_1)
	v_clz_i32_u32_e32 v51, v51
	v_min_u32_e32 v51, 32, v51
	s_delay_alu instid0(VALU_DEP_1) | instskip(NEXT) | instid1(VALU_DEP_1)
	v_subrev_nc_u32_e32 v53, 28, v51
	v_lshlrev_b64_e32 v[54:55], v53, v[1:2]
	v_sub_nc_u32_e32 v53, 29, v51
	s_delay_alu instid0(VALU_DEP_2)
	v_and_b32_e32 v51, 7, v54
; %bb.906:                              ;   in Loop: Header=BB285_678 Depth=1
	s_wait_alu 0xfffe
	s_or_b32 exec_lo, exec_lo, s19
	v_lshlrev_b32_e32 v1, 8, v1
	v_lshl_add_u32 v53, v53, 10, 0x2000
	v_lshlrev_b32_e32 v51, 23, v51
	s_delay_alu instid0(VALU_DEP_2) | instskip(NEXT) | instid1(VALU_DEP_1)
	v_and_or_b32 v1, 0x8000, v1, v53
	v_lshl_or_b32 v51, v1, 16, v51
.LBB285_907:                            ;   in Loop: Header=BB285_678 Depth=1
	s_wait_alu 0xfffe
	s_or_b32 exec_lo, exec_lo, s18
.LBB285_908:                            ;   in Loop: Header=BB285_678 Depth=1
	s_wait_alu 0xfffe
	s_or_b32 exec_lo, exec_lo, s17
.LBB285_909:                            ;   in Loop: Header=BB285_678 Depth=1
	s_wait_alu 0xfffe
	s_or_b32 exec_lo, exec_lo, s15
	v_dual_mov_b32 v54, 0 :: v_dual_and_b32 v55, 0xff, v10
	v_mov_b32_e32 v1, v10
	v_mov_b32_e32 v53, 0
	s_mov_b32 s15, exec_lo
	s_delay_alu instid0(VALU_DEP_3)
	v_cmpx_ne_u16_e32 0, v55
	s_cbranch_execz .LBB285_917
; %bb.910:                              ;   in Loop: Header=BB285_678 Depth=1
	v_mov_b32_e32 v54, 0x8000
	s_mov_b32 s17, exec_lo
	v_cmpx_ne_u16_e32 0x80, v55
	s_cbranch_execz .LBB285_916
; %bb.911:                              ;   in Loop: Header=BB285_678 Depth=1
	v_and_b32_e32 v56, 0x7f, v10
	v_mov_b32_e32 v54, 0x7c01
	s_mov_b32 s18, exec_lo
	s_delay_alu instid0(VALU_DEP_2)
	v_cmpx_ne_u32_e32 0x7f, v56
	s_cbranch_execz .LBB285_915
; %bb.912:                              ;   in Loop: Header=BB285_678 Depth=1
	v_and_b32_e32 v54, 7, v10
	v_lshrrev_b32_e32 v55, 3, v56
	s_mov_b32 s19, exec_lo
	v_cmpx_gt_u32_e32 8, v56
; %bb.913:                              ;   in Loop: Header=BB285_678 Depth=1
	s_delay_alu instid0(VALU_DEP_3) | instskip(NEXT) | instid1(VALU_DEP_1)
	v_clz_i32_u32_e32 v54, v54
	v_min_u32_e32 v56, 32, v54
	s_delay_alu instid0(VALU_DEP_1) | instskip(NEXT) | instid1(VALU_DEP_1)
	v_subrev_nc_u32_e32 v54, 28, v56
	v_lshlrev_b64_e32 v[54:55], v54, v[1:2]
	v_sub_nc_u32_e32 v55, 29, v56
	s_delay_alu instid0(VALU_DEP_2)
	v_and_b32_e32 v54, 7, v54
; %bb.914:                              ;   in Loop: Header=BB285_678 Depth=1
	s_wait_alu 0xfffe
	s_or_b32 exec_lo, exec_lo, s19
	v_lshlrev_b32_e32 v56, 8, v10
	v_lshl_add_u32 v55, v55, 10, 0x2000
	v_lshlrev_b32_e32 v54, 7, v54
	s_delay_alu instid0(VALU_DEP_3) | instskip(NEXT) | instid1(VALU_DEP_3)
	v_and_b32_e32 v56, 0x8000, v56
	v_and_b32_e32 v55, 0xfc00, v55
	s_delay_alu instid0(VALU_DEP_1)
	v_or3_b32 v54, v56, v55, v54
.LBB285_915:                            ;   in Loop: Header=BB285_678 Depth=1
	s_wait_alu 0xfffe
	s_or_b32 exec_lo, exec_lo, s18
.LBB285_916:                            ;   in Loop: Header=BB285_678 Depth=1
	s_wait_alu 0xfffe
	s_or_b32 exec_lo, exec_lo, s17
.LBB285_917:                            ;   in Loop: Header=BB285_678 Depth=1
	s_wait_alu 0xfffe
	s_or_b32 exec_lo, exec_lo, s15
	v_lshrrev_b16 v1, 8, v1
	v_mov_b32_e32 v55, 0
	s_mov_b32 s15, exec_lo
	s_delay_alu instid0(VALU_DEP_2)
	v_cmpx_ne_u16_e32 0, v1
	s_cbranch_execz .LBB285_925
; %bb.918:                              ;   in Loop: Header=BB285_678 Depth=1
	v_bfrev_b32_e32 v55, 1
	s_mov_b32 s17, exec_lo
	v_cmpx_ne_u16_e32 0x80, v1
	s_cbranch_execz .LBB285_924
; %bb.919:                              ;   in Loop: Header=BB285_678 Depth=1
	v_and_b32_e32 v56, 0xffff, v1
	v_mov_b32_e32 v55, 0x7c010000
	s_mov_b32 s18, exec_lo
	s_delay_alu instid0(VALU_DEP_2) | instskip(NEXT) | instid1(VALU_DEP_1)
	v_and_b32_e32 v58, 0x7f, v56
	v_cmpx_ne_u32_e32 0x7f, v58
	s_cbranch_execz .LBB285_923
; %bb.920:                              ;   in Loop: Header=BB285_678 Depth=1
	v_and_b32_e32 v55, 7, v56
	v_lshrrev_b32_e32 v57, 3, v58
	s_mov_b32 s19, exec_lo
	v_cmpx_gt_u32_e32 8, v58
; %bb.921:                              ;   in Loop: Header=BB285_678 Depth=1
	s_delay_alu instid0(VALU_DEP_3) | instskip(NEXT) | instid1(VALU_DEP_1)
	v_clz_i32_u32_e32 v55, v55
	v_min_u32_e32 v55, 32, v55
	s_delay_alu instid0(VALU_DEP_1) | instskip(NEXT) | instid1(VALU_DEP_1)
	v_subrev_nc_u32_e32 v57, 28, v55
	v_lshlrev_b64_e32 v[58:59], v57, v[1:2]
	v_sub_nc_u32_e32 v57, 29, v55
	s_delay_alu instid0(VALU_DEP_2)
	v_and_b32_e32 v55, 7, v58
; %bb.922:                              ;   in Loop: Header=BB285_678 Depth=1
	s_wait_alu 0xfffe
	s_or_b32 exec_lo, exec_lo, s19
	v_lshlrev_b32_e32 v1, 8, v56
	v_lshl_add_u32 v56, v57, 10, 0x2000
	v_lshlrev_b32_e32 v55, 23, v55
	s_delay_alu instid0(VALU_DEP_2) | instskip(NEXT) | instid1(VALU_DEP_1)
	v_and_or_b32 v1, 0x8000, v1, v56
	v_lshl_or_b32 v55, v1, 16, v55
.LBB285_923:                            ;   in Loop: Header=BB285_678 Depth=1
	s_wait_alu 0xfffe
	s_or_b32 exec_lo, exec_lo, s18
.LBB285_924:                            ;   in Loop: Header=BB285_678 Depth=1
	s_wait_alu 0xfffe
	s_or_b32 exec_lo, exec_lo, s17
.LBB285_925:                            ;   in Loop: Header=BB285_678 Depth=1
	s_wait_alu 0xfffe
	s_or_b32 exec_lo, exec_lo, s15
	v_lshrrev_b32_e32 v1, 16, v10
	s_mov_b32 s15, exec_lo
	s_delay_alu instid0(VALU_DEP_1) | instskip(NEXT) | instid1(VALU_DEP_1)
	v_and_b32_e32 v56, 0xff, v1
	v_cmpx_ne_u16_e32 0, v56
	s_cbranch_execz .LBB285_933
; %bb.926:                              ;   in Loop: Header=BB285_678 Depth=1
	v_mov_b32_e32 v53, 0x8000
	s_mov_b32 s17, exec_lo
	v_cmpx_ne_u16_e32 0x80, v56
	s_cbranch_execz .LBB285_932
; %bb.927:                              ;   in Loop: Header=BB285_678 Depth=1
	v_bfe_u32 v57, v10, 16, 7
	v_mov_b32_e32 v53, 0x7c01
	s_mov_b32 s18, exec_lo
	s_delay_alu instid0(VALU_DEP_2)
	v_cmpx_ne_u32_e32 0x7f, v57
	s_cbranch_execz .LBB285_931
; %bb.928:                              ;   in Loop: Header=BB285_678 Depth=1
	v_and_b32_e32 v53, 7, v1
	v_lshrrev_b32_e32 v56, 3, v57
	s_mov_b32 s19, exec_lo
	v_cmpx_gt_u32_e32 8, v57
; %bb.929:                              ;   in Loop: Header=BB285_678 Depth=1
	s_delay_alu instid0(VALU_DEP_3) | instskip(NEXT) | instid1(VALU_DEP_1)
	v_clz_i32_u32_e32 v53, v53
	v_min_u32_e32 v53, 32, v53
	s_delay_alu instid0(VALU_DEP_1) | instskip(NEXT) | instid1(VALU_DEP_1)
	v_subrev_nc_u32_e32 v56, 28, v53
	v_lshlrev_b64_e32 v[57:58], v56, v[1:2]
	v_sub_nc_u32_e32 v56, 29, v53
	s_delay_alu instid0(VALU_DEP_2)
	v_and_b32_e32 v53, 7, v57
; %bb.930:                              ;   in Loop: Header=BB285_678 Depth=1
	s_wait_alu 0xfffe
	s_or_b32 exec_lo, exec_lo, s19
	v_lshlrev_b32_e32 v1, 8, v1
	v_lshl_add_u32 v56, v56, 10, 0x2000
	v_lshlrev_b32_e32 v53, 7, v53
	s_delay_alu instid0(VALU_DEP_3) | instskip(NEXT) | instid1(VALU_DEP_3)
	v_and_b32_e32 v1, 0x8000, v1
	v_and_b32_e32 v56, 0xfc00, v56
	s_delay_alu instid0(VALU_DEP_1)
	v_or3_b32 v53, v1, v56, v53
.LBB285_931:                            ;   in Loop: Header=BB285_678 Depth=1
	s_wait_alu 0xfffe
	s_or_b32 exec_lo, exec_lo, s18
.LBB285_932:                            ;   in Loop: Header=BB285_678 Depth=1
	s_wait_alu 0xfffe
	s_or_b32 exec_lo, exec_lo, s17
.LBB285_933:                            ;   in Loop: Header=BB285_678 Depth=1
	s_wait_alu 0xfffe
	s_or_b32 exec_lo, exec_lo, s15
	v_cmp_lt_u64_e64 s0, s[2:3], v[9:10]
	v_mov_b32_e32 v9, 0
	s_and_saveexec_b32 s15, s0
	s_cbranch_execz .LBB285_941
; %bb.934:                              ;   in Loop: Header=BB285_678 Depth=1
	v_lshrrev_b32_e32 v1, 24, v10
	v_bfrev_b32_e32 v9, 1
	s_mov_b32 s17, exec_lo
	s_delay_alu instid0(VALU_DEP_2)
	v_cmpx_ne_u32_e32 0x80, v1
	s_cbranch_execz .LBB285_940
; %bb.935:                              ;   in Loop: Header=BB285_678 Depth=1
	v_and_b32_e32 v56, 0x7f, v1
	v_mov_b32_e32 v9, 0x7c010000
	s_mov_b32 s18, exec_lo
	s_delay_alu instid0(VALU_DEP_2)
	v_cmpx_ne_u32_e32 0x7f, v56
	s_cbranch_execz .LBB285_939
; %bb.936:                              ;   in Loop: Header=BB285_678 Depth=1
	v_and_b32_e32 v9, 7, v1
	v_lshrrev_b32_e32 v10, 3, v56
	s_mov_b32 s19, exec_lo
	v_cmpx_gt_u32_e32 8, v56
; %bb.937:                              ;   in Loop: Header=BB285_678 Depth=1
	s_delay_alu instid0(VALU_DEP_3) | instskip(NEXT) | instid1(VALU_DEP_1)
	v_clz_i32_u32_e32 v9, v9
	v_min_u32_e32 v56, 32, v9
	s_delay_alu instid0(VALU_DEP_1) | instskip(NEXT) | instid1(VALU_DEP_1)
	v_subrev_nc_u32_e32 v9, 28, v56
	v_lshlrev_b64_e32 v[9:10], v9, v[1:2]
	v_sub_nc_u32_e32 v10, 29, v56
	s_delay_alu instid0(VALU_DEP_2)
	v_and_b32_e32 v9, 7, v9
; %bb.938:                              ;   in Loop: Header=BB285_678 Depth=1
	s_wait_alu 0xfffe
	s_or_b32 exec_lo, exec_lo, s19
	v_lshlrev_b32_e32 v1, 8, v1
	v_lshl_add_u32 v10, v10, 10, 0x2000
	v_lshlrev_b32_e32 v9, 23, v9
	s_delay_alu instid0(VALU_DEP_2) | instskip(NEXT) | instid1(VALU_DEP_1)
	v_and_or_b32 v1, 0x8000, v1, v10
	v_lshl_or_b32 v9, v1, 16, v9
.LBB285_939:                            ;   in Loop: Header=BB285_678 Depth=1
	s_wait_alu 0xfffe
	s_or_b32 exec_lo, exec_lo, s18
.LBB285_940:                            ;   in Loop: Header=BB285_678 Depth=1
	s_wait_alu 0xfffe
	s_or_b32 exec_lo, exec_lo, s17
.LBB285_941:                            ;   in Loop: Header=BB285_678 Depth=1
	s_wait_alu 0xfffe
	s_or_b32 exec_lo, exec_lo, s15
	v_or_b32_e32 v1, v51, v52
	s_wait_loadcnt 0x0
	v_fma_mixlo_f16 v10, v48, v51, 0 op_sel:[0,1,0] op_sel_hi:[0,1,0]
	v_or_b32_e32 v51, v49, v50
	v_fma_mixlo_f16 v49, v48, v49, 0 op_sel:[0,1,0] op_sel_hi:[0,1,0]
	v_or_b32_e32 v52, v55, v54
	v_or_b32_e32 v53, v9, v53
	v_fma_mixlo_f16 v54, v48, v1, 0 op_sel_hi:[0,1,0]
	v_fma_mixlo_f16 v9, v48, v9, 0 op_sel:[0,1,0] op_sel_hi:[0,1,0]
	v_lshlrev_b32_e32 v50, 16, v49
	v_fma_mixlo_f16 v49, v48, v51, 0 op_sel_hi:[0,1,0]
	v_fma_mixlo_f16 v51, v48, v55, 0 op_sel:[0,1,0] op_sel_hi:[0,1,0]
	v_fma_mixlo_f16 v52, v48, v52, 0 op_sel_hi:[0,1,0]
	v_fma_mixlo_f16 v53, v48, v53, 0 op_sel_hi:[0,1,0]
	v_lshlrev_b32_e32 v1, 16, v10
	v_and_b32_e32 v10, 0xffff, v54
	v_and_b32_e32 v56, 0xffff, v49
	v_lshlrev_b32_e32 v48, 16, v51
	v_and_b32_e32 v52, 0xffff, v52
	v_lshlrev_b32_e32 v9, 16, v9
	v_and_b32_e32 v49, 0xffff, v53
	v_or_b32_e32 v51, v1, v10
	v_or_b32_e32 v55, v50, v56
	;; [unrolled: 1-line block ×3, first 2 shown]
	s_delay_alu instid0(VALU_DEP_4)
	v_or_b32_e32 v53, v9, v49
	s_and_saveexec_b32 s15, vcc_lo
	s_cbranch_execz .LBB285_943
; %bb.942:                              ;   in Loop: Header=BB285_678 Depth=1
	v_cmp_gt_i32_e64 s0, s34, v30
	s_wait_alu 0xf1ff
	s_delay_alu instid0(VALU_DEP_1) | instskip(SKIP_2) | instid1(VALU_DEP_1)
	v_cndmask_b32_e64 v51, 0, v56, s0
	v_cmp_gt_i32_e64 s0, s34, v42
	s_wait_alu 0xf1ff
	v_cndmask_b32_e64 v50, 0, v50, s0
	v_cmp_gt_i32_e64 s0, s34, v40
	s_delay_alu instid0(VALU_DEP_2) | instskip(SKIP_1) | instid1(VALU_DEP_2)
	v_or_b32_e32 v55, v50, v51
	s_wait_alu 0xf1ff
	v_cndmask_b32_e64 v10, 0, v10, s0
	v_cmp_gt_i32_e64 s0, s34, v38
	s_wait_alu 0xf1ff
	s_delay_alu instid0(VALU_DEP_1) | instskip(SKIP_1) | instid1(VALU_DEP_2)
	v_cndmask_b32_e64 v1, 0, v1, s0
	v_cmp_gt_i32_e64 s0, s34, v36
	v_or_b32_e32 v51, v1, v10
	s_wait_alu 0xf1ff
	s_delay_alu instid0(VALU_DEP_2) | instskip(SKIP_2) | instid1(VALU_DEP_1)
	v_cndmask_b32_e64 v52, 0, v52, s0
	v_cmp_gt_i32_e64 s0, s34, v34
	s_wait_alu 0xf1ff
	v_cndmask_b32_e64 v48, 0, v48, s0
	v_cmp_gt_i32_e64 s0, s34, v32
	s_delay_alu instid0(VALU_DEP_2) | instskip(SKIP_1) | instid1(VALU_DEP_2)
	v_or_b32_e32 v54, v48, v52
	s_wait_alu 0xf1ff
	v_cndmask_b32_e64 v49, 0, v49, s0
	v_cmp_gt_i32_e64 s0, s34, v31
	s_wait_alu 0xf1ff
	s_delay_alu instid0(VALU_DEP_1) | instskip(NEXT) | instid1(VALU_DEP_1)
	v_cndmask_b32_e64 v9, 0, v9, s0
	v_or_b32_e32 v53, v9, v49
.LBB285_943:                            ;   in Loop: Header=BB285_678 Depth=1
	s_wait_alu 0xfffe
	s_or_b32 exec_lo, exec_lo, s15
	;;#ASMSTART
	v_pk_mul_f16 v1, v43, v55;

	;;#ASMEND
	;;#ASMSTART
	v_pk_mul_f16 v9, v41, v51;

	;;#ASMEND
	;; [unrolled: 4-line block ×4, first 2 shown]
	;;#ASMSTART
	v_pk_add_f16 v1, v1, v9;

	;;#ASMEND
	;;#ASMSTART
	v_pk_add_f16 v1, v1, v10;

	;;#ASMEND
	;; [unrolled: 4-line block ×3, first 2 shown]
	v_dual_mov_b32 v52, 0 :: v_dual_and_b32 v9, 0xffff, v1
	v_lshrrev_b32_e32 v1, 16, v1
	;;#ASMSTART
	v_cvt_f32_f16 v48, v9;
	;;#ASMEND
	;;#ASMSTART
	v_cvt_f32_f16 v49, v1;
	;;#ASMEND
	global_load_b64 v[9:10], v[7:8], off offset:1024
	v_mov_b32_e32 v51, 0
	s_mov_b32 s15, exec_lo
	global_load_b32 v50, v51, s[10:11]
	s_wait_loadcnt 0x1
	v_and_b32_e32 v1, 0xff, v9
	s_delay_alu instid0(VALU_DEP_1)
	v_cmpx_ne_u16_e32 0, v1
	s_cbranch_execz .LBB285_951
; %bb.944:                              ;   in Loop: Header=BB285_678 Depth=1
	v_mov_b32_e32 v52, 0x8000
	s_mov_b32 s17, exec_lo
	v_cmpx_ne_u16_e32 0x80, v1
	s_cbranch_execz .LBB285_950
; %bb.945:                              ;   in Loop: Header=BB285_678 Depth=1
	v_and_b32_e32 v53, 0x7f, v9
	v_mov_b32_e32 v52, 0x7c01
	s_mov_b32 s18, exec_lo
	s_delay_alu instid0(VALU_DEP_2)
	v_cmpx_ne_u32_e32 0x7f, v53
	s_cbranch_execz .LBB285_949
; %bb.946:                              ;   in Loop: Header=BB285_678 Depth=1
	v_and_b32_e32 v1, 7, v9
	v_lshrrev_b32_e32 v52, 3, v53
	s_mov_b32 s19, exec_lo
	v_cmpx_gt_u32_e32 8, v53
; %bb.947:                              ;   in Loop: Header=BB285_678 Depth=1
	s_delay_alu instid0(VALU_DEP_3) | instskip(NEXT) | instid1(VALU_DEP_1)
	v_clz_i32_u32_e32 v1, v1
	v_min_u32_e32 v1, 32, v1
	s_delay_alu instid0(VALU_DEP_1) | instskip(NEXT) | instid1(VALU_DEP_1)
	v_subrev_nc_u32_e32 v52, 28, v1
	v_lshlrev_b64_e32 v[53:54], v52, v[9:10]
	v_sub_nc_u32_e32 v52, 29, v1
	s_delay_alu instid0(VALU_DEP_2)
	v_and_b32_e32 v1, 7, v53
; %bb.948:                              ;   in Loop: Header=BB285_678 Depth=1
	s_wait_alu 0xfffe
	s_or_b32 exec_lo, exec_lo, s19
	v_lshlrev_b32_e32 v53, 8, v9
	v_lshl_add_u32 v52, v52, 10, 0x2000
	v_lshlrev_b32_e32 v1, 7, v1
	s_delay_alu instid0(VALU_DEP_3) | instskip(NEXT) | instid1(VALU_DEP_3)
	v_and_b32_e32 v53, 0x8000, v53
	v_and_b32_e32 v52, 0xfc00, v52
	s_delay_alu instid0(VALU_DEP_1)
	v_or3_b32 v52, v53, v52, v1
.LBB285_949:                            ;   in Loop: Header=BB285_678 Depth=1
	s_wait_alu 0xfffe
	s_or_b32 exec_lo, exec_lo, s18
.LBB285_950:                            ;   in Loop: Header=BB285_678 Depth=1
	s_wait_alu 0xfffe
	s_or_b32 exec_lo, exec_lo, s17
.LBB285_951:                            ;   in Loop: Header=BB285_678 Depth=1
	s_wait_alu 0xfffe
	s_or_b32 exec_lo, exec_lo, s15
	v_lshrrev_b16 v1, 8, v9
	s_mov_b32 s15, exec_lo
	s_delay_alu instid0(VALU_DEP_1)
	v_cmpx_ne_u16_e32 0, v1
	s_cbranch_execz .LBB285_959
; %bb.952:                              ;   in Loop: Header=BB285_678 Depth=1
	v_bfrev_b32_e32 v51, 1
	s_mov_b32 s17, exec_lo
	v_cmpx_ne_u16_e32 0x80, v1
	s_cbranch_execz .LBB285_958
; %bb.953:                              ;   in Loop: Header=BB285_678 Depth=1
	v_and_b32_e32 v53, 0xffff, v1
	v_mov_b32_e32 v51, 0x7c010000
	s_mov_b32 s18, exec_lo
	s_delay_alu instid0(VALU_DEP_2) | instskip(NEXT) | instid1(VALU_DEP_1)
	v_and_b32_e32 v55, 0x7f, v53
	v_cmpx_ne_u32_e32 0x7f, v55
	s_cbranch_execz .LBB285_957
; %bb.954:                              ;   in Loop: Header=BB285_678 Depth=1
	v_and_b32_e32 v51, 7, v53
	v_lshrrev_b32_e32 v54, 3, v55
	s_mov_b32 s19, exec_lo
	v_cmpx_gt_u32_e32 8, v55
; %bb.955:                              ;   in Loop: Header=BB285_678 Depth=1
	s_delay_alu instid0(VALU_DEP_3) | instskip(NEXT) | instid1(VALU_DEP_1)
	v_clz_i32_u32_e32 v51, v51
	v_min_u32_e32 v51, 32, v51
	s_delay_alu instid0(VALU_DEP_1) | instskip(NEXT) | instid1(VALU_DEP_1)
	v_subrev_nc_u32_e32 v54, 28, v51
	v_lshlrev_b64_e32 v[55:56], v54, v[1:2]
	v_sub_nc_u32_e32 v54, 29, v51
	s_delay_alu instid0(VALU_DEP_2)
	v_and_b32_e32 v51, 7, v55
; %bb.956:                              ;   in Loop: Header=BB285_678 Depth=1
	s_wait_alu 0xfffe
	s_or_b32 exec_lo, exec_lo, s19
	v_lshlrev_b32_e32 v1, 8, v53
	v_lshl_add_u32 v53, v54, 10, 0x2000
	v_lshlrev_b32_e32 v51, 23, v51
	s_delay_alu instid0(VALU_DEP_2) | instskip(NEXT) | instid1(VALU_DEP_1)
	v_and_or_b32 v1, 0x8000, v1, v53
	v_lshl_or_b32 v51, v1, 16, v51
.LBB285_957:                            ;   in Loop: Header=BB285_678 Depth=1
	s_wait_alu 0xfffe
	s_or_b32 exec_lo, exec_lo, s18
.LBB285_958:                            ;   in Loop: Header=BB285_678 Depth=1
	s_wait_alu 0xfffe
	s_or_b32 exec_lo, exec_lo, s17
.LBB285_959:                            ;   in Loop: Header=BB285_678 Depth=1
	s_wait_alu 0xfffe
	s_or_b32 exec_lo, exec_lo, s15
	v_lshrrev_b32_e32 v1, 16, v9
	v_mov_b32_e32 v53, 0
	s_mov_b32 s15, exec_lo
	s_delay_alu instid0(VALU_DEP_2) | instskip(NEXT) | instid1(VALU_DEP_1)
	v_dual_mov_b32 v54, 0 :: v_dual_and_b32 v55, 0xff, v1
	v_cmpx_ne_u16_e32 0, v55
	s_cbranch_execz .LBB285_967
; %bb.960:                              ;   in Loop: Header=BB285_678 Depth=1
	v_mov_b32_e32 v54, 0x8000
	s_mov_b32 s17, exec_lo
	v_cmpx_ne_u16_e32 0x80, v55
	s_cbranch_execz .LBB285_966
; %bb.961:                              ;   in Loop: Header=BB285_678 Depth=1
	v_bfe_u32 v56, v9, 16, 7
	v_mov_b32_e32 v54, 0x7c01
	s_mov_b32 s18, exec_lo
	s_delay_alu instid0(VALU_DEP_2)
	v_cmpx_ne_u32_e32 0x7f, v56
	s_cbranch_execz .LBB285_965
; %bb.962:                              ;   in Loop: Header=BB285_678 Depth=1
	v_and_b32_e32 v54, 7, v1
	v_lshrrev_b32_e32 v55, 3, v56
	s_mov_b32 s19, exec_lo
	v_cmpx_gt_u32_e32 8, v56
; %bb.963:                              ;   in Loop: Header=BB285_678 Depth=1
	s_delay_alu instid0(VALU_DEP_3) | instskip(NEXT) | instid1(VALU_DEP_1)
	v_clz_i32_u32_e32 v54, v54
	v_min_u32_e32 v56, 32, v54
	s_delay_alu instid0(VALU_DEP_1) | instskip(NEXT) | instid1(VALU_DEP_1)
	v_subrev_nc_u32_e32 v54, 28, v56
	v_lshlrev_b64_e32 v[54:55], v54, v[1:2]
	v_sub_nc_u32_e32 v55, 29, v56
	s_delay_alu instid0(VALU_DEP_2)
	v_and_b32_e32 v54, 7, v54
; %bb.964:                              ;   in Loop: Header=BB285_678 Depth=1
	s_wait_alu 0xfffe
	s_or_b32 exec_lo, exec_lo, s19
	v_lshlrev_b32_e32 v1, 8, v1
	v_lshl_add_u32 v55, v55, 10, 0x2000
	v_lshlrev_b32_e32 v54, 7, v54
	s_delay_alu instid0(VALU_DEP_3) | instskip(NEXT) | instid1(VALU_DEP_3)
	v_and_b32_e32 v1, 0x8000, v1
	v_and_b32_e32 v55, 0xfc00, v55
	s_delay_alu instid0(VALU_DEP_1)
	v_or3_b32 v54, v1, v55, v54
.LBB285_965:                            ;   in Loop: Header=BB285_678 Depth=1
	s_wait_alu 0xfffe
	s_or_b32 exec_lo, exec_lo, s18
.LBB285_966:                            ;   in Loop: Header=BB285_678 Depth=1
	s_wait_alu 0xfffe
	s_or_b32 exec_lo, exec_lo, s17
.LBB285_967:                            ;   in Loop: Header=BB285_678 Depth=1
	s_wait_alu 0xfffe
	s_or_b32 exec_lo, exec_lo, s15
	s_delay_alu instid0(SALU_CYCLE_1)
	s_mov_b32 s15, exec_lo
	v_cmpx_lt_u32_e32 0xffffff, v9
	s_cbranch_execz .LBB285_975
; %bb.968:                              ;   in Loop: Header=BB285_678 Depth=1
	v_lshrrev_b32_e32 v1, 24, v9
	v_bfrev_b32_e32 v53, 1
	s_mov_b32 s17, exec_lo
	s_delay_alu instid0(VALU_DEP_2)
	v_cmpx_ne_u32_e32 0x80, v1
	s_cbranch_execz .LBB285_974
; %bb.969:                              ;   in Loop: Header=BB285_678 Depth=1
	v_and_b32_e32 v56, 0x7f, v1
	v_mov_b32_e32 v53, 0x7c010000
	s_mov_b32 s18, exec_lo
	s_delay_alu instid0(VALU_DEP_2)
	v_cmpx_ne_u32_e32 0x7f, v56
	s_cbranch_execz .LBB285_973
; %bb.970:                              ;   in Loop: Header=BB285_678 Depth=1
	v_and_b32_e32 v53, 7, v1
	v_lshrrev_b32_e32 v55, 3, v56
	s_mov_b32 s19, exec_lo
	v_cmpx_gt_u32_e32 8, v56
; %bb.971:                              ;   in Loop: Header=BB285_678 Depth=1
	s_delay_alu instid0(VALU_DEP_3) | instskip(NEXT) | instid1(VALU_DEP_1)
	v_clz_i32_u32_e32 v53, v53
	v_min_u32_e32 v53, 32, v53
	s_delay_alu instid0(VALU_DEP_1) | instskip(NEXT) | instid1(VALU_DEP_1)
	v_subrev_nc_u32_e32 v55, 28, v53
	v_lshlrev_b64_e32 v[56:57], v55, v[1:2]
	v_sub_nc_u32_e32 v55, 29, v53
	s_delay_alu instid0(VALU_DEP_2)
	v_and_b32_e32 v53, 7, v56
; %bb.972:                              ;   in Loop: Header=BB285_678 Depth=1
	s_wait_alu 0xfffe
	s_or_b32 exec_lo, exec_lo, s19
	v_lshlrev_b32_e32 v1, 8, v1
	v_lshl_add_u32 v55, v55, 10, 0x2000
	v_lshlrev_b32_e32 v53, 23, v53
	s_delay_alu instid0(VALU_DEP_2) | instskip(NEXT) | instid1(VALU_DEP_1)
	v_and_or_b32 v1, 0x8000, v1, v55
	v_lshl_or_b32 v53, v1, 16, v53
.LBB285_973:                            ;   in Loop: Header=BB285_678 Depth=1
	s_wait_alu 0xfffe
	s_or_b32 exec_lo, exec_lo, s18
.LBB285_974:                            ;   in Loop: Header=BB285_678 Depth=1
	s_wait_alu 0xfffe
	s_or_b32 exec_lo, exec_lo, s17
.LBB285_975:                            ;   in Loop: Header=BB285_678 Depth=1
	s_wait_alu 0xfffe
	s_or_b32 exec_lo, exec_lo, s15
	v_dual_mov_b32 v56, 0 :: v_dual_and_b32 v57, 0xff, v10
	v_mov_b32_e32 v1, v10
	v_mov_b32_e32 v55, 0
	s_mov_b32 s15, exec_lo
	s_delay_alu instid0(VALU_DEP_3)
	v_cmpx_ne_u16_e32 0, v57
	s_cbranch_execz .LBB285_983
; %bb.976:                              ;   in Loop: Header=BB285_678 Depth=1
	v_mov_b32_e32 v56, 0x8000
	s_mov_b32 s17, exec_lo
	v_cmpx_ne_u16_e32 0x80, v57
	s_cbranch_execz .LBB285_982
; %bb.977:                              ;   in Loop: Header=BB285_678 Depth=1
	v_and_b32_e32 v58, 0x7f, v10
	v_mov_b32_e32 v56, 0x7c01
	s_mov_b32 s18, exec_lo
	s_delay_alu instid0(VALU_DEP_2)
	v_cmpx_ne_u32_e32 0x7f, v58
	s_cbranch_execz .LBB285_981
; %bb.978:                              ;   in Loop: Header=BB285_678 Depth=1
	v_and_b32_e32 v56, 7, v10
	v_lshrrev_b32_e32 v57, 3, v58
	s_mov_b32 s19, exec_lo
	v_cmpx_gt_u32_e32 8, v58
; %bb.979:                              ;   in Loop: Header=BB285_678 Depth=1
	s_delay_alu instid0(VALU_DEP_3) | instskip(NEXT) | instid1(VALU_DEP_1)
	v_clz_i32_u32_e32 v56, v56
	v_min_u32_e32 v58, 32, v56
	s_delay_alu instid0(VALU_DEP_1) | instskip(NEXT) | instid1(VALU_DEP_1)
	v_subrev_nc_u32_e32 v56, 28, v58
	v_lshlrev_b64_e32 v[56:57], v56, v[1:2]
	v_sub_nc_u32_e32 v57, 29, v58
	s_delay_alu instid0(VALU_DEP_2)
	v_and_b32_e32 v56, 7, v56
; %bb.980:                              ;   in Loop: Header=BB285_678 Depth=1
	s_wait_alu 0xfffe
	s_or_b32 exec_lo, exec_lo, s19
	v_lshlrev_b32_e32 v58, 8, v10
	v_lshl_add_u32 v57, v57, 10, 0x2000
	v_lshlrev_b32_e32 v56, 7, v56
	s_delay_alu instid0(VALU_DEP_3) | instskip(NEXT) | instid1(VALU_DEP_3)
	v_and_b32_e32 v58, 0x8000, v58
	v_and_b32_e32 v57, 0xfc00, v57
	s_delay_alu instid0(VALU_DEP_1)
	v_or3_b32 v56, v58, v57, v56
.LBB285_981:                            ;   in Loop: Header=BB285_678 Depth=1
	s_wait_alu 0xfffe
	s_or_b32 exec_lo, exec_lo, s18
.LBB285_982:                            ;   in Loop: Header=BB285_678 Depth=1
	s_wait_alu 0xfffe
	s_or_b32 exec_lo, exec_lo, s17
.LBB285_983:                            ;   in Loop: Header=BB285_678 Depth=1
	s_wait_alu 0xfffe
	s_or_b32 exec_lo, exec_lo, s15
	v_lshrrev_b16 v1, 8, v1
	v_mov_b32_e32 v57, 0
	s_mov_b32 s15, exec_lo
	s_delay_alu instid0(VALU_DEP_2)
	v_cmpx_ne_u16_e32 0, v1
	s_cbranch_execz .LBB285_991
; %bb.984:                              ;   in Loop: Header=BB285_678 Depth=1
	v_bfrev_b32_e32 v57, 1
	s_mov_b32 s17, exec_lo
	v_cmpx_ne_u16_e32 0x80, v1
	s_cbranch_execz .LBB285_990
; %bb.985:                              ;   in Loop: Header=BB285_678 Depth=1
	v_and_b32_e32 v58, 0xffff, v1
	v_mov_b32_e32 v57, 0x7c010000
	s_mov_b32 s18, exec_lo
	s_delay_alu instid0(VALU_DEP_2) | instskip(NEXT) | instid1(VALU_DEP_1)
	v_and_b32_e32 v60, 0x7f, v58
	v_cmpx_ne_u32_e32 0x7f, v60
	s_cbranch_execz .LBB285_989
; %bb.986:                              ;   in Loop: Header=BB285_678 Depth=1
	v_and_b32_e32 v57, 7, v58
	v_lshrrev_b32_e32 v59, 3, v60
	s_mov_b32 s19, exec_lo
	v_cmpx_gt_u32_e32 8, v60
; %bb.987:                              ;   in Loop: Header=BB285_678 Depth=1
	s_delay_alu instid0(VALU_DEP_3) | instskip(NEXT) | instid1(VALU_DEP_1)
	v_clz_i32_u32_e32 v57, v57
	v_min_u32_e32 v57, 32, v57
	s_delay_alu instid0(VALU_DEP_1) | instskip(NEXT) | instid1(VALU_DEP_1)
	v_subrev_nc_u32_e32 v59, 28, v57
	v_lshlrev_b64_e32 v[60:61], v59, v[1:2]
	v_sub_nc_u32_e32 v59, 29, v57
	s_delay_alu instid0(VALU_DEP_2)
	v_and_b32_e32 v57, 7, v60
; %bb.988:                              ;   in Loop: Header=BB285_678 Depth=1
	s_wait_alu 0xfffe
	s_or_b32 exec_lo, exec_lo, s19
	v_lshlrev_b32_e32 v1, 8, v58
	v_lshl_add_u32 v58, v59, 10, 0x2000
	v_lshlrev_b32_e32 v57, 23, v57
	s_delay_alu instid0(VALU_DEP_2) | instskip(NEXT) | instid1(VALU_DEP_1)
	v_and_or_b32 v1, 0x8000, v1, v58
	v_lshl_or_b32 v57, v1, 16, v57
.LBB285_989:                            ;   in Loop: Header=BB285_678 Depth=1
	s_wait_alu 0xfffe
	s_or_b32 exec_lo, exec_lo, s18
.LBB285_990:                            ;   in Loop: Header=BB285_678 Depth=1
	s_wait_alu 0xfffe
	s_or_b32 exec_lo, exec_lo, s17
.LBB285_991:                            ;   in Loop: Header=BB285_678 Depth=1
	s_wait_alu 0xfffe
	s_or_b32 exec_lo, exec_lo, s15
	v_lshrrev_b32_e32 v1, 16, v10
	s_mov_b32 s15, exec_lo
	s_delay_alu instid0(VALU_DEP_1) | instskip(NEXT) | instid1(VALU_DEP_1)
	v_and_b32_e32 v58, 0xff, v1
	v_cmpx_ne_u16_e32 0, v58
	s_cbranch_execz .LBB285_999
; %bb.992:                              ;   in Loop: Header=BB285_678 Depth=1
	v_mov_b32_e32 v55, 0x8000
	s_mov_b32 s17, exec_lo
	v_cmpx_ne_u16_e32 0x80, v58
	s_cbranch_execz .LBB285_998
; %bb.993:                              ;   in Loop: Header=BB285_678 Depth=1
	v_bfe_u32 v59, v10, 16, 7
	v_mov_b32_e32 v55, 0x7c01
	s_mov_b32 s18, exec_lo
	s_delay_alu instid0(VALU_DEP_2)
	v_cmpx_ne_u32_e32 0x7f, v59
	s_cbranch_execz .LBB285_997
; %bb.994:                              ;   in Loop: Header=BB285_678 Depth=1
	v_and_b32_e32 v55, 7, v1
	v_lshrrev_b32_e32 v58, 3, v59
	s_mov_b32 s19, exec_lo
	v_cmpx_gt_u32_e32 8, v59
; %bb.995:                              ;   in Loop: Header=BB285_678 Depth=1
	s_delay_alu instid0(VALU_DEP_3) | instskip(NEXT) | instid1(VALU_DEP_1)
	v_clz_i32_u32_e32 v55, v55
	v_min_u32_e32 v55, 32, v55
	s_delay_alu instid0(VALU_DEP_1) | instskip(NEXT) | instid1(VALU_DEP_1)
	v_subrev_nc_u32_e32 v58, 28, v55
	v_lshlrev_b64_e32 v[59:60], v58, v[1:2]
	v_sub_nc_u32_e32 v58, 29, v55
	s_delay_alu instid0(VALU_DEP_2)
	v_and_b32_e32 v55, 7, v59
; %bb.996:                              ;   in Loop: Header=BB285_678 Depth=1
	s_wait_alu 0xfffe
	s_or_b32 exec_lo, exec_lo, s19
	v_lshlrev_b32_e32 v1, 8, v1
	v_lshl_add_u32 v58, v58, 10, 0x2000
	v_lshlrev_b32_e32 v55, 7, v55
	s_delay_alu instid0(VALU_DEP_3) | instskip(NEXT) | instid1(VALU_DEP_3)
	v_and_b32_e32 v1, 0x8000, v1
	v_and_b32_e32 v58, 0xfc00, v58
	s_delay_alu instid0(VALU_DEP_1)
	v_or3_b32 v55, v1, v58, v55
.LBB285_997:                            ;   in Loop: Header=BB285_678 Depth=1
	s_wait_alu 0xfffe
	s_or_b32 exec_lo, exec_lo, s18
.LBB285_998:                            ;   in Loop: Header=BB285_678 Depth=1
	s_wait_alu 0xfffe
	s_or_b32 exec_lo, exec_lo, s17
.LBB285_999:                            ;   in Loop: Header=BB285_678 Depth=1
	s_wait_alu 0xfffe
	s_or_b32 exec_lo, exec_lo, s15
	v_cmp_lt_u64_e64 s0, s[2:3], v[9:10]
	v_mov_b32_e32 v9, 0
	s_and_saveexec_b32 s15, s0
	s_cbranch_execz .LBB285_1007
; %bb.1000:                             ;   in Loop: Header=BB285_678 Depth=1
	v_lshrrev_b32_e32 v1, 24, v10
	v_bfrev_b32_e32 v9, 1
	s_mov_b32 s17, exec_lo
	s_delay_alu instid0(VALU_DEP_2)
	v_cmpx_ne_u32_e32 0x80, v1
	s_cbranch_execz .LBB285_1006
; %bb.1001:                             ;   in Loop: Header=BB285_678 Depth=1
	v_and_b32_e32 v58, 0x7f, v1
	v_mov_b32_e32 v9, 0x7c010000
	s_mov_b32 s18, exec_lo
	s_delay_alu instid0(VALU_DEP_2)
	v_cmpx_ne_u32_e32 0x7f, v58
	s_cbranch_execz .LBB285_1005
; %bb.1002:                             ;   in Loop: Header=BB285_678 Depth=1
	v_and_b32_e32 v9, 7, v1
	v_lshrrev_b32_e32 v10, 3, v58
	s_mov_b32 s19, exec_lo
	v_cmpx_gt_u32_e32 8, v58
; %bb.1003:                             ;   in Loop: Header=BB285_678 Depth=1
	s_delay_alu instid0(VALU_DEP_3) | instskip(NEXT) | instid1(VALU_DEP_1)
	v_clz_i32_u32_e32 v9, v9
	v_min_u32_e32 v58, 32, v9
	s_delay_alu instid0(VALU_DEP_1) | instskip(NEXT) | instid1(VALU_DEP_1)
	v_subrev_nc_u32_e32 v9, 28, v58
	v_lshlrev_b64_e32 v[9:10], v9, v[1:2]
	v_sub_nc_u32_e32 v10, 29, v58
	s_delay_alu instid0(VALU_DEP_2)
	v_and_b32_e32 v9, 7, v9
; %bb.1004:                             ;   in Loop: Header=BB285_678 Depth=1
	s_wait_alu 0xfffe
	s_or_b32 exec_lo, exec_lo, s19
	v_lshlrev_b32_e32 v1, 8, v1
	v_lshl_add_u32 v10, v10, 10, 0x2000
	v_lshlrev_b32_e32 v9, 23, v9
	s_delay_alu instid0(VALU_DEP_2) | instskip(NEXT) | instid1(VALU_DEP_1)
	v_and_or_b32 v1, 0x8000, v1, v10
	v_lshl_or_b32 v9, v1, 16, v9
.LBB285_1005:                           ;   in Loop: Header=BB285_678 Depth=1
	s_wait_alu 0xfffe
	s_or_b32 exec_lo, exec_lo, s18
.LBB285_1006:                           ;   in Loop: Header=BB285_678 Depth=1
	s_wait_alu 0xfffe
	s_or_b32 exec_lo, exec_lo, s17
.LBB285_1007:                           ;   in Loop: Header=BB285_678 Depth=1
	s_wait_alu 0xfffe
	s_or_b32 exec_lo, exec_lo, s15
	v_or_b32_e32 v1, v53, v54
	s_wait_loadcnt 0x0
	v_fma_mixlo_f16 v10, v50, v53, 0 op_sel:[0,1,0] op_sel_hi:[0,1,0]
	v_or_b32_e32 v53, v51, v52
	v_fma_mixlo_f16 v51, v50, v51, 0 op_sel:[0,1,0] op_sel_hi:[0,1,0]
	v_or_b32_e32 v54, v57, v56
	v_or_b32_e32 v55, v9, v55
	v_fma_mixlo_f16 v56, v50, v1, 0 op_sel_hi:[0,1,0]
	v_fma_mixlo_f16 v9, v50, v9, 0 op_sel:[0,1,0] op_sel_hi:[0,1,0]
	v_lshlrev_b32_e32 v52, 16, v51
	v_fma_mixlo_f16 v51, v50, v53, 0 op_sel_hi:[0,1,0]
	v_fma_mixlo_f16 v53, v50, v57, 0 op_sel:[0,1,0] op_sel_hi:[0,1,0]
	v_fma_mixlo_f16 v54, v50, v54, 0 op_sel_hi:[0,1,0]
	v_fma_mixlo_f16 v55, v50, v55, 0 op_sel_hi:[0,1,0]
	v_lshlrev_b32_e32 v1, 16, v10
	v_and_b32_e32 v10, 0xffff, v56
	v_and_b32_e32 v58, 0xffff, v51
	v_lshlrev_b32_e32 v50, 16, v53
	v_and_b32_e32 v54, 0xffff, v54
	v_lshlrev_b32_e32 v9, 16, v9
	v_and_b32_e32 v51, 0xffff, v55
	v_or_b32_e32 v53, v1, v10
	v_or_b32_e32 v57, v52, v58
	;; [unrolled: 1-line block ×3, first 2 shown]
	s_delay_alu instid0(VALU_DEP_4)
	v_or_b32_e32 v55, v9, v51
	s_and_saveexec_b32 s15, vcc_lo
	s_cbranch_execz .LBB285_1009
; %bb.1008:                             ;   in Loop: Header=BB285_678 Depth=1
	v_cmp_gt_i32_e64 s0, s34, v30
	s_wait_alu 0xf1ff
	s_delay_alu instid0(VALU_DEP_1) | instskip(SKIP_2) | instid1(VALU_DEP_1)
	v_cndmask_b32_e64 v53, 0, v58, s0
	v_cmp_gt_i32_e64 s0, s34, v42
	s_wait_alu 0xf1ff
	v_cndmask_b32_e64 v52, 0, v52, s0
	v_cmp_gt_i32_e64 s0, s34, v40
	s_delay_alu instid0(VALU_DEP_2) | instskip(SKIP_1) | instid1(VALU_DEP_2)
	v_or_b32_e32 v57, v52, v53
	s_wait_alu 0xf1ff
	v_cndmask_b32_e64 v10, 0, v10, s0
	v_cmp_gt_i32_e64 s0, s34, v38
	s_wait_alu 0xf1ff
	s_delay_alu instid0(VALU_DEP_1) | instskip(SKIP_1) | instid1(VALU_DEP_2)
	v_cndmask_b32_e64 v1, 0, v1, s0
	v_cmp_gt_i32_e64 s0, s34, v36
	v_or_b32_e32 v53, v1, v10
	s_wait_alu 0xf1ff
	s_delay_alu instid0(VALU_DEP_2) | instskip(SKIP_2) | instid1(VALU_DEP_1)
	v_cndmask_b32_e64 v54, 0, v54, s0
	v_cmp_gt_i32_e64 s0, s34, v34
	s_wait_alu 0xf1ff
	v_cndmask_b32_e64 v50, 0, v50, s0
	v_cmp_gt_i32_e64 s0, s34, v32
	s_delay_alu instid0(VALU_DEP_2) | instskip(SKIP_1) | instid1(VALU_DEP_2)
	v_or_b32_e32 v56, v50, v54
	s_wait_alu 0xf1ff
	v_cndmask_b32_e64 v51, 0, v51, s0
	v_cmp_gt_i32_e64 s0, s34, v31
	s_wait_alu 0xf1ff
	s_delay_alu instid0(VALU_DEP_1) | instskip(NEXT) | instid1(VALU_DEP_1)
	v_cndmask_b32_e64 v9, 0, v9, s0
	v_or_b32_e32 v55, v9, v51
.LBB285_1009:                           ;   in Loop: Header=BB285_678 Depth=1
	s_wait_alu 0xfffe
	s_or_b32 exec_lo, exec_lo, s15
	;;#ASMSTART
	v_pk_mul_f16 v1, v43, v57;

	;;#ASMEND
	;;#ASMSTART
	v_pk_mul_f16 v9, v41, v53;

	;;#ASMEND
	;; [unrolled: 4-line block ×4, first 2 shown]
	;;#ASMSTART
	v_pk_add_f16 v1, v1, v9;

	;;#ASMEND
	;;#ASMSTART
	v_pk_add_f16 v1, v1, v10;

	;;#ASMEND
	;; [unrolled: 4-line block ×3, first 2 shown]
	v_dual_mov_b32 v54, 0 :: v_dual_and_b32 v9, 0xffff, v1
	v_lshrrev_b32_e32 v1, 16, v1
	;;#ASMSTART
	v_cvt_f32_f16 v50, v9;
	;;#ASMEND
	;;#ASMSTART
	v_cvt_f32_f16 v51, v1;
	;;#ASMEND
	global_load_b64 v[9:10], v[7:8], off offset:1280
	v_mov_b32_e32 v53, 0
	s_mov_b32 s15, exec_lo
	global_load_b32 v52, v53, s[10:11]
	s_wait_loadcnt 0x1
	v_and_b32_e32 v1, 0xff, v9
	s_delay_alu instid0(VALU_DEP_1)
	v_cmpx_ne_u16_e32 0, v1
	s_cbranch_execz .LBB285_1017
; %bb.1010:                             ;   in Loop: Header=BB285_678 Depth=1
	v_mov_b32_e32 v54, 0x8000
	s_mov_b32 s17, exec_lo
	v_cmpx_ne_u16_e32 0x80, v1
	s_cbranch_execz .LBB285_1016
; %bb.1011:                             ;   in Loop: Header=BB285_678 Depth=1
	v_and_b32_e32 v55, 0x7f, v9
	v_mov_b32_e32 v54, 0x7c01
	s_mov_b32 s18, exec_lo
	s_delay_alu instid0(VALU_DEP_2)
	v_cmpx_ne_u32_e32 0x7f, v55
	s_cbranch_execz .LBB285_1015
; %bb.1012:                             ;   in Loop: Header=BB285_678 Depth=1
	v_and_b32_e32 v1, 7, v9
	v_lshrrev_b32_e32 v54, 3, v55
	s_mov_b32 s19, exec_lo
	v_cmpx_gt_u32_e32 8, v55
; %bb.1013:                             ;   in Loop: Header=BB285_678 Depth=1
	s_delay_alu instid0(VALU_DEP_3) | instskip(NEXT) | instid1(VALU_DEP_1)
	v_clz_i32_u32_e32 v1, v1
	v_min_u32_e32 v1, 32, v1
	s_delay_alu instid0(VALU_DEP_1) | instskip(NEXT) | instid1(VALU_DEP_1)
	v_subrev_nc_u32_e32 v54, 28, v1
	v_lshlrev_b64_e32 v[55:56], v54, v[9:10]
	v_sub_nc_u32_e32 v54, 29, v1
	s_delay_alu instid0(VALU_DEP_2)
	v_and_b32_e32 v1, 7, v55
; %bb.1014:                             ;   in Loop: Header=BB285_678 Depth=1
	s_wait_alu 0xfffe
	s_or_b32 exec_lo, exec_lo, s19
	v_lshlrev_b32_e32 v55, 8, v9
	v_lshl_add_u32 v54, v54, 10, 0x2000
	v_lshlrev_b32_e32 v1, 7, v1
	s_delay_alu instid0(VALU_DEP_3) | instskip(NEXT) | instid1(VALU_DEP_3)
	v_and_b32_e32 v55, 0x8000, v55
	v_and_b32_e32 v54, 0xfc00, v54
	s_delay_alu instid0(VALU_DEP_1)
	v_or3_b32 v54, v55, v54, v1
.LBB285_1015:                           ;   in Loop: Header=BB285_678 Depth=1
	s_wait_alu 0xfffe
	s_or_b32 exec_lo, exec_lo, s18
.LBB285_1016:                           ;   in Loop: Header=BB285_678 Depth=1
	s_wait_alu 0xfffe
	s_or_b32 exec_lo, exec_lo, s17
.LBB285_1017:                           ;   in Loop: Header=BB285_678 Depth=1
	s_wait_alu 0xfffe
	s_or_b32 exec_lo, exec_lo, s15
	v_lshrrev_b16 v1, 8, v9
	s_mov_b32 s15, exec_lo
	s_delay_alu instid0(VALU_DEP_1)
	v_cmpx_ne_u16_e32 0, v1
	s_cbranch_execz .LBB285_1025
; %bb.1018:                             ;   in Loop: Header=BB285_678 Depth=1
	v_bfrev_b32_e32 v53, 1
	s_mov_b32 s17, exec_lo
	v_cmpx_ne_u16_e32 0x80, v1
	s_cbranch_execz .LBB285_1024
; %bb.1019:                             ;   in Loop: Header=BB285_678 Depth=1
	v_and_b32_e32 v55, 0xffff, v1
	v_mov_b32_e32 v53, 0x7c010000
	s_mov_b32 s18, exec_lo
	s_delay_alu instid0(VALU_DEP_2) | instskip(NEXT) | instid1(VALU_DEP_1)
	v_and_b32_e32 v57, 0x7f, v55
	v_cmpx_ne_u32_e32 0x7f, v57
	s_cbranch_execz .LBB285_1023
; %bb.1020:                             ;   in Loop: Header=BB285_678 Depth=1
	v_and_b32_e32 v53, 7, v55
	v_lshrrev_b32_e32 v56, 3, v57
	s_mov_b32 s19, exec_lo
	v_cmpx_gt_u32_e32 8, v57
; %bb.1021:                             ;   in Loop: Header=BB285_678 Depth=1
	s_delay_alu instid0(VALU_DEP_3) | instskip(NEXT) | instid1(VALU_DEP_1)
	v_clz_i32_u32_e32 v53, v53
	v_min_u32_e32 v53, 32, v53
	s_delay_alu instid0(VALU_DEP_1) | instskip(NEXT) | instid1(VALU_DEP_1)
	v_subrev_nc_u32_e32 v56, 28, v53
	v_lshlrev_b64_e32 v[57:58], v56, v[1:2]
	v_sub_nc_u32_e32 v56, 29, v53
	s_delay_alu instid0(VALU_DEP_2)
	v_and_b32_e32 v53, 7, v57
; %bb.1022:                             ;   in Loop: Header=BB285_678 Depth=1
	s_wait_alu 0xfffe
	s_or_b32 exec_lo, exec_lo, s19
	v_lshlrev_b32_e32 v1, 8, v55
	v_lshl_add_u32 v55, v56, 10, 0x2000
	v_lshlrev_b32_e32 v53, 23, v53
	s_delay_alu instid0(VALU_DEP_2) | instskip(NEXT) | instid1(VALU_DEP_1)
	v_and_or_b32 v1, 0x8000, v1, v55
	v_lshl_or_b32 v53, v1, 16, v53
.LBB285_1023:                           ;   in Loop: Header=BB285_678 Depth=1
	s_wait_alu 0xfffe
	s_or_b32 exec_lo, exec_lo, s18
.LBB285_1024:                           ;   in Loop: Header=BB285_678 Depth=1
	s_wait_alu 0xfffe
	s_or_b32 exec_lo, exec_lo, s17
.LBB285_1025:                           ;   in Loop: Header=BB285_678 Depth=1
	s_wait_alu 0xfffe
	s_or_b32 exec_lo, exec_lo, s15
	v_lshrrev_b32_e32 v1, 16, v9
	v_mov_b32_e32 v55, 0
	s_mov_b32 s15, exec_lo
	s_delay_alu instid0(VALU_DEP_2) | instskip(NEXT) | instid1(VALU_DEP_1)
	v_dual_mov_b32 v56, 0 :: v_dual_and_b32 v57, 0xff, v1
	v_cmpx_ne_u16_e32 0, v57
	s_cbranch_execz .LBB285_1033
; %bb.1026:                             ;   in Loop: Header=BB285_678 Depth=1
	v_mov_b32_e32 v56, 0x8000
	s_mov_b32 s17, exec_lo
	v_cmpx_ne_u16_e32 0x80, v57
	s_cbranch_execz .LBB285_1032
; %bb.1027:                             ;   in Loop: Header=BB285_678 Depth=1
	v_bfe_u32 v58, v9, 16, 7
	v_mov_b32_e32 v56, 0x7c01
	s_mov_b32 s18, exec_lo
	s_delay_alu instid0(VALU_DEP_2)
	v_cmpx_ne_u32_e32 0x7f, v58
	s_cbranch_execz .LBB285_1031
; %bb.1028:                             ;   in Loop: Header=BB285_678 Depth=1
	v_and_b32_e32 v56, 7, v1
	v_lshrrev_b32_e32 v57, 3, v58
	s_mov_b32 s19, exec_lo
	v_cmpx_gt_u32_e32 8, v58
; %bb.1029:                             ;   in Loop: Header=BB285_678 Depth=1
	s_delay_alu instid0(VALU_DEP_3) | instskip(NEXT) | instid1(VALU_DEP_1)
	v_clz_i32_u32_e32 v56, v56
	v_min_u32_e32 v58, 32, v56
	s_delay_alu instid0(VALU_DEP_1) | instskip(NEXT) | instid1(VALU_DEP_1)
	v_subrev_nc_u32_e32 v56, 28, v58
	v_lshlrev_b64_e32 v[56:57], v56, v[1:2]
	v_sub_nc_u32_e32 v57, 29, v58
	s_delay_alu instid0(VALU_DEP_2)
	v_and_b32_e32 v56, 7, v56
; %bb.1030:                             ;   in Loop: Header=BB285_678 Depth=1
	s_wait_alu 0xfffe
	s_or_b32 exec_lo, exec_lo, s19
	v_lshlrev_b32_e32 v1, 8, v1
	v_lshl_add_u32 v57, v57, 10, 0x2000
	v_lshlrev_b32_e32 v56, 7, v56
	s_delay_alu instid0(VALU_DEP_3) | instskip(NEXT) | instid1(VALU_DEP_3)
	v_and_b32_e32 v1, 0x8000, v1
	v_and_b32_e32 v57, 0xfc00, v57
	s_delay_alu instid0(VALU_DEP_1)
	v_or3_b32 v56, v1, v57, v56
.LBB285_1031:                           ;   in Loop: Header=BB285_678 Depth=1
	s_wait_alu 0xfffe
	s_or_b32 exec_lo, exec_lo, s18
.LBB285_1032:                           ;   in Loop: Header=BB285_678 Depth=1
	s_wait_alu 0xfffe
	s_or_b32 exec_lo, exec_lo, s17
.LBB285_1033:                           ;   in Loop: Header=BB285_678 Depth=1
	s_wait_alu 0xfffe
	s_or_b32 exec_lo, exec_lo, s15
	s_delay_alu instid0(SALU_CYCLE_1)
	s_mov_b32 s15, exec_lo
	v_cmpx_lt_u32_e32 0xffffff, v9
	s_cbranch_execz .LBB285_1041
; %bb.1034:                             ;   in Loop: Header=BB285_678 Depth=1
	v_lshrrev_b32_e32 v1, 24, v9
	v_bfrev_b32_e32 v55, 1
	s_mov_b32 s17, exec_lo
	s_delay_alu instid0(VALU_DEP_2)
	v_cmpx_ne_u32_e32 0x80, v1
	s_cbranch_execz .LBB285_1040
; %bb.1035:                             ;   in Loop: Header=BB285_678 Depth=1
	v_and_b32_e32 v58, 0x7f, v1
	v_mov_b32_e32 v55, 0x7c010000
	s_mov_b32 s18, exec_lo
	s_delay_alu instid0(VALU_DEP_2)
	v_cmpx_ne_u32_e32 0x7f, v58
	s_cbranch_execz .LBB285_1039
; %bb.1036:                             ;   in Loop: Header=BB285_678 Depth=1
	v_and_b32_e32 v55, 7, v1
	v_lshrrev_b32_e32 v57, 3, v58
	s_mov_b32 s19, exec_lo
	v_cmpx_gt_u32_e32 8, v58
; %bb.1037:                             ;   in Loop: Header=BB285_678 Depth=1
	s_delay_alu instid0(VALU_DEP_3) | instskip(NEXT) | instid1(VALU_DEP_1)
	v_clz_i32_u32_e32 v55, v55
	v_min_u32_e32 v55, 32, v55
	s_delay_alu instid0(VALU_DEP_1) | instskip(NEXT) | instid1(VALU_DEP_1)
	v_subrev_nc_u32_e32 v57, 28, v55
	v_lshlrev_b64_e32 v[58:59], v57, v[1:2]
	v_sub_nc_u32_e32 v57, 29, v55
	s_delay_alu instid0(VALU_DEP_2)
	v_and_b32_e32 v55, 7, v58
; %bb.1038:                             ;   in Loop: Header=BB285_678 Depth=1
	s_wait_alu 0xfffe
	s_or_b32 exec_lo, exec_lo, s19
	v_lshlrev_b32_e32 v1, 8, v1
	v_lshl_add_u32 v57, v57, 10, 0x2000
	v_lshlrev_b32_e32 v55, 23, v55
	s_delay_alu instid0(VALU_DEP_2) | instskip(NEXT) | instid1(VALU_DEP_1)
	v_and_or_b32 v1, 0x8000, v1, v57
	v_lshl_or_b32 v55, v1, 16, v55
.LBB285_1039:                           ;   in Loop: Header=BB285_678 Depth=1
	s_wait_alu 0xfffe
	s_or_b32 exec_lo, exec_lo, s18
.LBB285_1040:                           ;   in Loop: Header=BB285_678 Depth=1
	s_wait_alu 0xfffe
	s_or_b32 exec_lo, exec_lo, s17
.LBB285_1041:                           ;   in Loop: Header=BB285_678 Depth=1
	s_wait_alu 0xfffe
	s_or_b32 exec_lo, exec_lo, s15
	v_dual_mov_b32 v58, 0 :: v_dual_and_b32 v59, 0xff, v10
	v_mov_b32_e32 v1, v10
	v_mov_b32_e32 v57, 0
	s_mov_b32 s15, exec_lo
	s_delay_alu instid0(VALU_DEP_3)
	v_cmpx_ne_u16_e32 0, v59
	s_cbranch_execz .LBB285_1049
; %bb.1042:                             ;   in Loop: Header=BB285_678 Depth=1
	v_mov_b32_e32 v58, 0x8000
	s_mov_b32 s17, exec_lo
	v_cmpx_ne_u16_e32 0x80, v59
	s_cbranch_execz .LBB285_1048
; %bb.1043:                             ;   in Loop: Header=BB285_678 Depth=1
	v_and_b32_e32 v60, 0x7f, v10
	v_mov_b32_e32 v58, 0x7c01
	s_mov_b32 s18, exec_lo
	s_delay_alu instid0(VALU_DEP_2)
	v_cmpx_ne_u32_e32 0x7f, v60
	s_cbranch_execz .LBB285_1047
; %bb.1044:                             ;   in Loop: Header=BB285_678 Depth=1
	v_and_b32_e32 v58, 7, v10
	v_lshrrev_b32_e32 v59, 3, v60
	s_mov_b32 s19, exec_lo
	v_cmpx_gt_u32_e32 8, v60
; %bb.1045:                             ;   in Loop: Header=BB285_678 Depth=1
	s_delay_alu instid0(VALU_DEP_3) | instskip(NEXT) | instid1(VALU_DEP_1)
	v_clz_i32_u32_e32 v58, v58
	v_min_u32_e32 v60, 32, v58
	s_delay_alu instid0(VALU_DEP_1) | instskip(NEXT) | instid1(VALU_DEP_1)
	v_subrev_nc_u32_e32 v58, 28, v60
	v_lshlrev_b64_e32 v[58:59], v58, v[1:2]
	v_sub_nc_u32_e32 v59, 29, v60
	s_delay_alu instid0(VALU_DEP_2)
	v_and_b32_e32 v58, 7, v58
; %bb.1046:                             ;   in Loop: Header=BB285_678 Depth=1
	s_wait_alu 0xfffe
	s_or_b32 exec_lo, exec_lo, s19
	v_lshlrev_b32_e32 v60, 8, v10
	v_lshl_add_u32 v59, v59, 10, 0x2000
	v_lshlrev_b32_e32 v58, 7, v58
	s_delay_alu instid0(VALU_DEP_3) | instskip(NEXT) | instid1(VALU_DEP_3)
	v_and_b32_e32 v60, 0x8000, v60
	v_and_b32_e32 v59, 0xfc00, v59
	s_delay_alu instid0(VALU_DEP_1)
	v_or3_b32 v58, v60, v59, v58
.LBB285_1047:                           ;   in Loop: Header=BB285_678 Depth=1
	s_wait_alu 0xfffe
	s_or_b32 exec_lo, exec_lo, s18
.LBB285_1048:                           ;   in Loop: Header=BB285_678 Depth=1
	s_wait_alu 0xfffe
	s_or_b32 exec_lo, exec_lo, s17
.LBB285_1049:                           ;   in Loop: Header=BB285_678 Depth=1
	s_wait_alu 0xfffe
	s_or_b32 exec_lo, exec_lo, s15
	v_lshrrev_b16 v1, 8, v1
	v_mov_b32_e32 v59, 0
	s_mov_b32 s15, exec_lo
	s_delay_alu instid0(VALU_DEP_2)
	v_cmpx_ne_u16_e32 0, v1
	s_cbranch_execz .LBB285_1057
; %bb.1050:                             ;   in Loop: Header=BB285_678 Depth=1
	v_bfrev_b32_e32 v59, 1
	s_mov_b32 s17, exec_lo
	v_cmpx_ne_u16_e32 0x80, v1
	s_cbranch_execz .LBB285_1056
; %bb.1051:                             ;   in Loop: Header=BB285_678 Depth=1
	v_and_b32_e32 v60, 0xffff, v1
	v_mov_b32_e32 v59, 0x7c010000
	s_mov_b32 s18, exec_lo
	s_delay_alu instid0(VALU_DEP_2) | instskip(NEXT) | instid1(VALU_DEP_1)
	v_and_b32_e32 v62, 0x7f, v60
	v_cmpx_ne_u32_e32 0x7f, v62
	s_cbranch_execz .LBB285_1055
; %bb.1052:                             ;   in Loop: Header=BB285_678 Depth=1
	v_and_b32_e32 v59, 7, v60
	v_lshrrev_b32_e32 v61, 3, v62
	s_mov_b32 s19, exec_lo
	v_cmpx_gt_u32_e32 8, v62
; %bb.1053:                             ;   in Loop: Header=BB285_678 Depth=1
	s_delay_alu instid0(VALU_DEP_3) | instskip(NEXT) | instid1(VALU_DEP_1)
	v_clz_i32_u32_e32 v59, v59
	v_min_u32_e32 v59, 32, v59
	s_delay_alu instid0(VALU_DEP_1) | instskip(NEXT) | instid1(VALU_DEP_1)
	v_subrev_nc_u32_e32 v61, 28, v59
	v_lshlrev_b64_e32 v[62:63], v61, v[1:2]
	v_sub_nc_u32_e32 v61, 29, v59
	s_delay_alu instid0(VALU_DEP_2)
	v_and_b32_e32 v59, 7, v62
; %bb.1054:                             ;   in Loop: Header=BB285_678 Depth=1
	s_wait_alu 0xfffe
	s_or_b32 exec_lo, exec_lo, s19
	v_lshlrev_b32_e32 v1, 8, v60
	v_lshl_add_u32 v60, v61, 10, 0x2000
	v_lshlrev_b32_e32 v59, 23, v59
	s_delay_alu instid0(VALU_DEP_2) | instskip(NEXT) | instid1(VALU_DEP_1)
	v_and_or_b32 v1, 0x8000, v1, v60
	v_lshl_or_b32 v59, v1, 16, v59
.LBB285_1055:                           ;   in Loop: Header=BB285_678 Depth=1
	s_wait_alu 0xfffe
	s_or_b32 exec_lo, exec_lo, s18
.LBB285_1056:                           ;   in Loop: Header=BB285_678 Depth=1
	s_wait_alu 0xfffe
	s_or_b32 exec_lo, exec_lo, s17
.LBB285_1057:                           ;   in Loop: Header=BB285_678 Depth=1
	s_wait_alu 0xfffe
	s_or_b32 exec_lo, exec_lo, s15
	v_lshrrev_b32_e32 v1, 16, v10
	s_mov_b32 s15, exec_lo
	s_delay_alu instid0(VALU_DEP_1) | instskip(NEXT) | instid1(VALU_DEP_1)
	v_and_b32_e32 v60, 0xff, v1
	v_cmpx_ne_u16_e32 0, v60
	s_cbranch_execz .LBB285_1065
; %bb.1058:                             ;   in Loop: Header=BB285_678 Depth=1
	v_mov_b32_e32 v57, 0x8000
	s_mov_b32 s17, exec_lo
	v_cmpx_ne_u16_e32 0x80, v60
	s_cbranch_execz .LBB285_1064
; %bb.1059:                             ;   in Loop: Header=BB285_678 Depth=1
	v_bfe_u32 v61, v10, 16, 7
	v_mov_b32_e32 v57, 0x7c01
	s_mov_b32 s18, exec_lo
	s_delay_alu instid0(VALU_DEP_2)
	v_cmpx_ne_u32_e32 0x7f, v61
	s_cbranch_execz .LBB285_1063
; %bb.1060:                             ;   in Loop: Header=BB285_678 Depth=1
	v_and_b32_e32 v57, 7, v1
	v_lshrrev_b32_e32 v60, 3, v61
	s_mov_b32 s19, exec_lo
	v_cmpx_gt_u32_e32 8, v61
; %bb.1061:                             ;   in Loop: Header=BB285_678 Depth=1
	s_delay_alu instid0(VALU_DEP_3) | instskip(NEXT) | instid1(VALU_DEP_1)
	v_clz_i32_u32_e32 v57, v57
	v_min_u32_e32 v57, 32, v57
	s_delay_alu instid0(VALU_DEP_1) | instskip(NEXT) | instid1(VALU_DEP_1)
	v_subrev_nc_u32_e32 v60, 28, v57
	v_lshlrev_b64_e32 v[61:62], v60, v[1:2]
	v_sub_nc_u32_e32 v60, 29, v57
	s_delay_alu instid0(VALU_DEP_2)
	v_and_b32_e32 v57, 7, v61
; %bb.1062:                             ;   in Loop: Header=BB285_678 Depth=1
	s_wait_alu 0xfffe
	s_or_b32 exec_lo, exec_lo, s19
	v_lshlrev_b32_e32 v1, 8, v1
	v_lshl_add_u32 v60, v60, 10, 0x2000
	v_lshlrev_b32_e32 v57, 7, v57
	s_delay_alu instid0(VALU_DEP_3) | instskip(NEXT) | instid1(VALU_DEP_3)
	v_and_b32_e32 v1, 0x8000, v1
	v_and_b32_e32 v60, 0xfc00, v60
	s_delay_alu instid0(VALU_DEP_1)
	v_or3_b32 v57, v1, v60, v57
.LBB285_1063:                           ;   in Loop: Header=BB285_678 Depth=1
	s_wait_alu 0xfffe
	s_or_b32 exec_lo, exec_lo, s18
.LBB285_1064:                           ;   in Loop: Header=BB285_678 Depth=1
	s_wait_alu 0xfffe
	s_or_b32 exec_lo, exec_lo, s17
.LBB285_1065:                           ;   in Loop: Header=BB285_678 Depth=1
	s_wait_alu 0xfffe
	s_or_b32 exec_lo, exec_lo, s15
	v_cmp_lt_u64_e64 s0, s[2:3], v[9:10]
	v_mov_b32_e32 v9, 0
	s_and_saveexec_b32 s15, s0
	s_cbranch_execz .LBB285_1073
; %bb.1066:                             ;   in Loop: Header=BB285_678 Depth=1
	v_lshrrev_b32_e32 v1, 24, v10
	v_bfrev_b32_e32 v9, 1
	s_mov_b32 s17, exec_lo
	s_delay_alu instid0(VALU_DEP_2)
	v_cmpx_ne_u32_e32 0x80, v1
	s_cbranch_execz .LBB285_1072
; %bb.1067:                             ;   in Loop: Header=BB285_678 Depth=1
	v_and_b32_e32 v60, 0x7f, v1
	v_mov_b32_e32 v9, 0x7c010000
	s_mov_b32 s18, exec_lo
	s_delay_alu instid0(VALU_DEP_2)
	v_cmpx_ne_u32_e32 0x7f, v60
	s_cbranch_execz .LBB285_1071
; %bb.1068:                             ;   in Loop: Header=BB285_678 Depth=1
	v_and_b32_e32 v9, 7, v1
	v_lshrrev_b32_e32 v10, 3, v60
	s_mov_b32 s19, exec_lo
	v_cmpx_gt_u32_e32 8, v60
; %bb.1069:                             ;   in Loop: Header=BB285_678 Depth=1
	s_delay_alu instid0(VALU_DEP_3) | instskip(NEXT) | instid1(VALU_DEP_1)
	v_clz_i32_u32_e32 v9, v9
	v_min_u32_e32 v60, 32, v9
	s_delay_alu instid0(VALU_DEP_1) | instskip(NEXT) | instid1(VALU_DEP_1)
	v_subrev_nc_u32_e32 v9, 28, v60
	v_lshlrev_b64_e32 v[9:10], v9, v[1:2]
	v_sub_nc_u32_e32 v10, 29, v60
	s_delay_alu instid0(VALU_DEP_2)
	v_and_b32_e32 v9, 7, v9
; %bb.1070:                             ;   in Loop: Header=BB285_678 Depth=1
	s_wait_alu 0xfffe
	s_or_b32 exec_lo, exec_lo, s19
	v_lshlrev_b32_e32 v1, 8, v1
	v_lshl_add_u32 v10, v10, 10, 0x2000
	v_lshlrev_b32_e32 v9, 23, v9
	s_delay_alu instid0(VALU_DEP_2) | instskip(NEXT) | instid1(VALU_DEP_1)
	v_and_or_b32 v1, 0x8000, v1, v10
	v_lshl_or_b32 v9, v1, 16, v9
.LBB285_1071:                           ;   in Loop: Header=BB285_678 Depth=1
	s_wait_alu 0xfffe
	s_or_b32 exec_lo, exec_lo, s18
.LBB285_1072:                           ;   in Loop: Header=BB285_678 Depth=1
	s_wait_alu 0xfffe
	s_or_b32 exec_lo, exec_lo, s17
.LBB285_1073:                           ;   in Loop: Header=BB285_678 Depth=1
	s_wait_alu 0xfffe
	s_or_b32 exec_lo, exec_lo, s15
	v_or_b32_e32 v1, v55, v56
	s_wait_loadcnt 0x0
	v_fma_mixlo_f16 v10, v52, v55, 0 op_sel:[0,1,0] op_sel_hi:[0,1,0]
	v_or_b32_e32 v55, v53, v54
	v_fma_mixlo_f16 v53, v52, v53, 0 op_sel:[0,1,0] op_sel_hi:[0,1,0]
	v_or_b32_e32 v56, v59, v58
	v_or_b32_e32 v57, v9, v57
	v_fma_mixlo_f16 v58, v52, v1, 0 op_sel_hi:[0,1,0]
	v_fma_mixlo_f16 v9, v52, v9, 0 op_sel:[0,1,0] op_sel_hi:[0,1,0]
	v_lshlrev_b32_e32 v54, 16, v53
	v_fma_mixlo_f16 v53, v52, v55, 0 op_sel_hi:[0,1,0]
	v_fma_mixlo_f16 v55, v52, v59, 0 op_sel:[0,1,0] op_sel_hi:[0,1,0]
	v_fma_mixlo_f16 v56, v52, v56, 0 op_sel_hi:[0,1,0]
	v_fma_mixlo_f16 v57, v52, v57, 0 op_sel_hi:[0,1,0]
	v_lshlrev_b32_e32 v1, 16, v10
	v_and_b32_e32 v10, 0xffff, v58
	v_and_b32_e32 v60, 0xffff, v53
	v_lshlrev_b32_e32 v52, 16, v55
	v_and_b32_e32 v56, 0xffff, v56
	v_lshlrev_b32_e32 v9, 16, v9
	v_and_b32_e32 v53, 0xffff, v57
	v_or_b32_e32 v55, v1, v10
	v_or_b32_e32 v59, v54, v60
	;; [unrolled: 1-line block ×3, first 2 shown]
	s_delay_alu instid0(VALU_DEP_4)
	v_or_b32_e32 v57, v9, v53
	s_and_saveexec_b32 s15, vcc_lo
	s_cbranch_execz .LBB285_1075
; %bb.1074:                             ;   in Loop: Header=BB285_678 Depth=1
	v_cmp_gt_i32_e64 s0, s34, v30
	s_wait_alu 0xf1ff
	s_delay_alu instid0(VALU_DEP_1) | instskip(SKIP_2) | instid1(VALU_DEP_1)
	v_cndmask_b32_e64 v55, 0, v60, s0
	v_cmp_gt_i32_e64 s0, s34, v42
	s_wait_alu 0xf1ff
	v_cndmask_b32_e64 v54, 0, v54, s0
	v_cmp_gt_i32_e64 s0, s34, v40
	s_delay_alu instid0(VALU_DEP_2) | instskip(SKIP_1) | instid1(VALU_DEP_2)
	v_or_b32_e32 v59, v54, v55
	s_wait_alu 0xf1ff
	v_cndmask_b32_e64 v10, 0, v10, s0
	v_cmp_gt_i32_e64 s0, s34, v38
	s_wait_alu 0xf1ff
	s_delay_alu instid0(VALU_DEP_1) | instskip(SKIP_1) | instid1(VALU_DEP_2)
	v_cndmask_b32_e64 v1, 0, v1, s0
	v_cmp_gt_i32_e64 s0, s34, v36
	v_or_b32_e32 v55, v1, v10
	s_wait_alu 0xf1ff
	s_delay_alu instid0(VALU_DEP_2) | instskip(SKIP_2) | instid1(VALU_DEP_1)
	v_cndmask_b32_e64 v56, 0, v56, s0
	v_cmp_gt_i32_e64 s0, s34, v34
	s_wait_alu 0xf1ff
	v_cndmask_b32_e64 v52, 0, v52, s0
	v_cmp_gt_i32_e64 s0, s34, v32
	s_delay_alu instid0(VALU_DEP_2) | instskip(SKIP_1) | instid1(VALU_DEP_2)
	v_or_b32_e32 v58, v52, v56
	s_wait_alu 0xf1ff
	v_cndmask_b32_e64 v53, 0, v53, s0
	v_cmp_gt_i32_e64 s0, s34, v31
	s_wait_alu 0xf1ff
	s_delay_alu instid0(VALU_DEP_1) | instskip(NEXT) | instid1(VALU_DEP_1)
	v_cndmask_b32_e64 v9, 0, v9, s0
	v_or_b32_e32 v57, v9, v53
.LBB285_1075:                           ;   in Loop: Header=BB285_678 Depth=1
	s_wait_alu 0xfffe
	s_or_b32 exec_lo, exec_lo, s15
	;;#ASMSTART
	v_pk_mul_f16 v1, v43, v59;

	;;#ASMEND
	;;#ASMSTART
	v_pk_mul_f16 v9, v41, v55;

	;;#ASMEND
	;; [unrolled: 4-line block ×4, first 2 shown]
	;;#ASMSTART
	v_pk_add_f16 v1, v1, v9;

	;;#ASMEND
	;;#ASMSTART
	v_pk_add_f16 v1, v1, v10;

	;;#ASMEND
	;;#ASMSTART
	v_pk_add_f16 v1, v1, v52;

	;;#ASMEND
	v_dual_mov_b32 v56, 0 :: v_dual_and_b32 v9, 0xffff, v1
	v_lshrrev_b32_e32 v1, 16, v1
	;;#ASMSTART
	v_cvt_f32_f16 v52, v9;
	;;#ASMEND
	;;#ASMSTART
	v_cvt_f32_f16 v53, v1;
	;;#ASMEND
	global_load_b64 v[9:10], v[7:8], off offset:1536
	v_mov_b32_e32 v55, 0
	s_mov_b32 s15, exec_lo
	global_load_b32 v54, v55, s[10:11]
	s_wait_loadcnt 0x1
	v_and_b32_e32 v1, 0xff, v9
	s_delay_alu instid0(VALU_DEP_1)
	v_cmpx_ne_u16_e32 0, v1
	s_cbranch_execz .LBB285_1083
; %bb.1076:                             ;   in Loop: Header=BB285_678 Depth=1
	v_mov_b32_e32 v56, 0x8000
	s_mov_b32 s17, exec_lo
	v_cmpx_ne_u16_e32 0x80, v1
	s_cbranch_execz .LBB285_1082
; %bb.1077:                             ;   in Loop: Header=BB285_678 Depth=1
	v_and_b32_e32 v57, 0x7f, v9
	v_mov_b32_e32 v56, 0x7c01
	s_mov_b32 s18, exec_lo
	s_delay_alu instid0(VALU_DEP_2)
	v_cmpx_ne_u32_e32 0x7f, v57
	s_cbranch_execz .LBB285_1081
; %bb.1078:                             ;   in Loop: Header=BB285_678 Depth=1
	v_and_b32_e32 v1, 7, v9
	v_lshrrev_b32_e32 v56, 3, v57
	s_mov_b32 s19, exec_lo
	v_cmpx_gt_u32_e32 8, v57
; %bb.1079:                             ;   in Loop: Header=BB285_678 Depth=1
	s_delay_alu instid0(VALU_DEP_3) | instskip(NEXT) | instid1(VALU_DEP_1)
	v_clz_i32_u32_e32 v1, v1
	v_min_u32_e32 v1, 32, v1
	s_delay_alu instid0(VALU_DEP_1) | instskip(NEXT) | instid1(VALU_DEP_1)
	v_subrev_nc_u32_e32 v56, 28, v1
	v_lshlrev_b64_e32 v[57:58], v56, v[9:10]
	v_sub_nc_u32_e32 v56, 29, v1
	s_delay_alu instid0(VALU_DEP_2)
	v_and_b32_e32 v1, 7, v57
; %bb.1080:                             ;   in Loop: Header=BB285_678 Depth=1
	s_wait_alu 0xfffe
	s_or_b32 exec_lo, exec_lo, s19
	v_lshlrev_b32_e32 v57, 8, v9
	v_lshl_add_u32 v56, v56, 10, 0x2000
	v_lshlrev_b32_e32 v1, 7, v1
	s_delay_alu instid0(VALU_DEP_3) | instskip(NEXT) | instid1(VALU_DEP_3)
	v_and_b32_e32 v57, 0x8000, v57
	v_and_b32_e32 v56, 0xfc00, v56
	s_delay_alu instid0(VALU_DEP_1)
	v_or3_b32 v56, v57, v56, v1
.LBB285_1081:                           ;   in Loop: Header=BB285_678 Depth=1
	s_wait_alu 0xfffe
	s_or_b32 exec_lo, exec_lo, s18
.LBB285_1082:                           ;   in Loop: Header=BB285_678 Depth=1
	s_wait_alu 0xfffe
	s_or_b32 exec_lo, exec_lo, s17
.LBB285_1083:                           ;   in Loop: Header=BB285_678 Depth=1
	s_wait_alu 0xfffe
	s_or_b32 exec_lo, exec_lo, s15
	v_lshrrev_b16 v1, 8, v9
	s_mov_b32 s15, exec_lo
	s_delay_alu instid0(VALU_DEP_1)
	v_cmpx_ne_u16_e32 0, v1
	s_cbranch_execz .LBB285_1091
; %bb.1084:                             ;   in Loop: Header=BB285_678 Depth=1
	v_bfrev_b32_e32 v55, 1
	s_mov_b32 s17, exec_lo
	v_cmpx_ne_u16_e32 0x80, v1
	s_cbranch_execz .LBB285_1090
; %bb.1085:                             ;   in Loop: Header=BB285_678 Depth=1
	v_and_b32_e32 v57, 0xffff, v1
	v_mov_b32_e32 v55, 0x7c010000
	s_mov_b32 s18, exec_lo
	s_delay_alu instid0(VALU_DEP_2) | instskip(NEXT) | instid1(VALU_DEP_1)
	v_and_b32_e32 v59, 0x7f, v57
	v_cmpx_ne_u32_e32 0x7f, v59
	s_cbranch_execz .LBB285_1089
; %bb.1086:                             ;   in Loop: Header=BB285_678 Depth=1
	v_and_b32_e32 v55, 7, v57
	v_lshrrev_b32_e32 v58, 3, v59
	s_mov_b32 s19, exec_lo
	v_cmpx_gt_u32_e32 8, v59
; %bb.1087:                             ;   in Loop: Header=BB285_678 Depth=1
	s_delay_alu instid0(VALU_DEP_3) | instskip(NEXT) | instid1(VALU_DEP_1)
	v_clz_i32_u32_e32 v55, v55
	v_min_u32_e32 v55, 32, v55
	s_delay_alu instid0(VALU_DEP_1) | instskip(NEXT) | instid1(VALU_DEP_1)
	v_subrev_nc_u32_e32 v58, 28, v55
	v_lshlrev_b64_e32 v[59:60], v58, v[1:2]
	v_sub_nc_u32_e32 v58, 29, v55
	s_delay_alu instid0(VALU_DEP_2)
	v_and_b32_e32 v55, 7, v59
; %bb.1088:                             ;   in Loop: Header=BB285_678 Depth=1
	s_wait_alu 0xfffe
	s_or_b32 exec_lo, exec_lo, s19
	v_lshlrev_b32_e32 v1, 8, v57
	v_lshl_add_u32 v57, v58, 10, 0x2000
	v_lshlrev_b32_e32 v55, 23, v55
	s_delay_alu instid0(VALU_DEP_2) | instskip(NEXT) | instid1(VALU_DEP_1)
	v_and_or_b32 v1, 0x8000, v1, v57
	v_lshl_or_b32 v55, v1, 16, v55
.LBB285_1089:                           ;   in Loop: Header=BB285_678 Depth=1
	s_wait_alu 0xfffe
	s_or_b32 exec_lo, exec_lo, s18
.LBB285_1090:                           ;   in Loop: Header=BB285_678 Depth=1
	s_wait_alu 0xfffe
	s_or_b32 exec_lo, exec_lo, s17
.LBB285_1091:                           ;   in Loop: Header=BB285_678 Depth=1
	s_wait_alu 0xfffe
	s_or_b32 exec_lo, exec_lo, s15
	v_lshrrev_b32_e32 v1, 16, v9
	v_mov_b32_e32 v57, 0
	s_mov_b32 s15, exec_lo
	s_delay_alu instid0(VALU_DEP_2) | instskip(NEXT) | instid1(VALU_DEP_1)
	v_dual_mov_b32 v58, 0 :: v_dual_and_b32 v59, 0xff, v1
	v_cmpx_ne_u16_e32 0, v59
	s_cbranch_execz .LBB285_1099
; %bb.1092:                             ;   in Loop: Header=BB285_678 Depth=1
	v_mov_b32_e32 v58, 0x8000
	s_mov_b32 s17, exec_lo
	v_cmpx_ne_u16_e32 0x80, v59
	s_cbranch_execz .LBB285_1098
; %bb.1093:                             ;   in Loop: Header=BB285_678 Depth=1
	v_bfe_u32 v60, v9, 16, 7
	v_mov_b32_e32 v58, 0x7c01
	s_mov_b32 s18, exec_lo
	s_delay_alu instid0(VALU_DEP_2)
	v_cmpx_ne_u32_e32 0x7f, v60
	s_cbranch_execz .LBB285_1097
; %bb.1094:                             ;   in Loop: Header=BB285_678 Depth=1
	v_and_b32_e32 v58, 7, v1
	v_lshrrev_b32_e32 v59, 3, v60
	s_mov_b32 s19, exec_lo
	v_cmpx_gt_u32_e32 8, v60
; %bb.1095:                             ;   in Loop: Header=BB285_678 Depth=1
	s_delay_alu instid0(VALU_DEP_3) | instskip(NEXT) | instid1(VALU_DEP_1)
	v_clz_i32_u32_e32 v58, v58
	v_min_u32_e32 v60, 32, v58
	s_delay_alu instid0(VALU_DEP_1) | instskip(NEXT) | instid1(VALU_DEP_1)
	v_subrev_nc_u32_e32 v58, 28, v60
	v_lshlrev_b64_e32 v[58:59], v58, v[1:2]
	v_sub_nc_u32_e32 v59, 29, v60
	s_delay_alu instid0(VALU_DEP_2)
	v_and_b32_e32 v58, 7, v58
; %bb.1096:                             ;   in Loop: Header=BB285_678 Depth=1
	s_wait_alu 0xfffe
	s_or_b32 exec_lo, exec_lo, s19
	v_lshlrev_b32_e32 v1, 8, v1
	v_lshl_add_u32 v59, v59, 10, 0x2000
	v_lshlrev_b32_e32 v58, 7, v58
	s_delay_alu instid0(VALU_DEP_3) | instskip(NEXT) | instid1(VALU_DEP_3)
	v_and_b32_e32 v1, 0x8000, v1
	v_and_b32_e32 v59, 0xfc00, v59
	s_delay_alu instid0(VALU_DEP_1)
	v_or3_b32 v58, v1, v59, v58
.LBB285_1097:                           ;   in Loop: Header=BB285_678 Depth=1
	s_wait_alu 0xfffe
	s_or_b32 exec_lo, exec_lo, s18
.LBB285_1098:                           ;   in Loop: Header=BB285_678 Depth=1
	s_wait_alu 0xfffe
	s_or_b32 exec_lo, exec_lo, s17
.LBB285_1099:                           ;   in Loop: Header=BB285_678 Depth=1
	s_wait_alu 0xfffe
	s_or_b32 exec_lo, exec_lo, s15
	s_delay_alu instid0(SALU_CYCLE_1)
	s_mov_b32 s15, exec_lo
	v_cmpx_lt_u32_e32 0xffffff, v9
	s_cbranch_execz .LBB285_1107
; %bb.1100:                             ;   in Loop: Header=BB285_678 Depth=1
	v_lshrrev_b32_e32 v1, 24, v9
	v_bfrev_b32_e32 v57, 1
	s_mov_b32 s17, exec_lo
	s_delay_alu instid0(VALU_DEP_2)
	v_cmpx_ne_u32_e32 0x80, v1
	s_cbranch_execz .LBB285_1106
; %bb.1101:                             ;   in Loop: Header=BB285_678 Depth=1
	v_and_b32_e32 v60, 0x7f, v1
	v_mov_b32_e32 v57, 0x7c010000
	s_mov_b32 s18, exec_lo
	s_delay_alu instid0(VALU_DEP_2)
	v_cmpx_ne_u32_e32 0x7f, v60
	s_cbranch_execz .LBB285_1105
; %bb.1102:                             ;   in Loop: Header=BB285_678 Depth=1
	v_and_b32_e32 v57, 7, v1
	v_lshrrev_b32_e32 v59, 3, v60
	s_mov_b32 s19, exec_lo
	v_cmpx_gt_u32_e32 8, v60
; %bb.1103:                             ;   in Loop: Header=BB285_678 Depth=1
	s_delay_alu instid0(VALU_DEP_3) | instskip(NEXT) | instid1(VALU_DEP_1)
	v_clz_i32_u32_e32 v57, v57
	v_min_u32_e32 v57, 32, v57
	s_delay_alu instid0(VALU_DEP_1) | instskip(NEXT) | instid1(VALU_DEP_1)
	v_subrev_nc_u32_e32 v59, 28, v57
	v_lshlrev_b64_e32 v[60:61], v59, v[1:2]
	v_sub_nc_u32_e32 v59, 29, v57
	s_delay_alu instid0(VALU_DEP_2)
	v_and_b32_e32 v57, 7, v60
; %bb.1104:                             ;   in Loop: Header=BB285_678 Depth=1
	s_wait_alu 0xfffe
	s_or_b32 exec_lo, exec_lo, s19
	v_lshlrev_b32_e32 v1, 8, v1
	v_lshl_add_u32 v59, v59, 10, 0x2000
	v_lshlrev_b32_e32 v57, 23, v57
	s_delay_alu instid0(VALU_DEP_2) | instskip(NEXT) | instid1(VALU_DEP_1)
	v_and_or_b32 v1, 0x8000, v1, v59
	v_lshl_or_b32 v57, v1, 16, v57
.LBB285_1105:                           ;   in Loop: Header=BB285_678 Depth=1
	s_wait_alu 0xfffe
	s_or_b32 exec_lo, exec_lo, s18
.LBB285_1106:                           ;   in Loop: Header=BB285_678 Depth=1
	s_wait_alu 0xfffe
	s_or_b32 exec_lo, exec_lo, s17
.LBB285_1107:                           ;   in Loop: Header=BB285_678 Depth=1
	s_wait_alu 0xfffe
	s_or_b32 exec_lo, exec_lo, s15
	v_dual_mov_b32 v60, 0 :: v_dual_and_b32 v61, 0xff, v10
	v_mov_b32_e32 v1, v10
	v_mov_b32_e32 v59, 0
	s_mov_b32 s15, exec_lo
	s_delay_alu instid0(VALU_DEP_3)
	v_cmpx_ne_u16_e32 0, v61
	s_cbranch_execz .LBB285_1115
; %bb.1108:                             ;   in Loop: Header=BB285_678 Depth=1
	v_mov_b32_e32 v60, 0x8000
	s_mov_b32 s17, exec_lo
	v_cmpx_ne_u16_e32 0x80, v61
	s_cbranch_execz .LBB285_1114
; %bb.1109:                             ;   in Loop: Header=BB285_678 Depth=1
	v_and_b32_e32 v62, 0x7f, v10
	v_mov_b32_e32 v60, 0x7c01
	s_mov_b32 s18, exec_lo
	s_delay_alu instid0(VALU_DEP_2)
	v_cmpx_ne_u32_e32 0x7f, v62
	s_cbranch_execz .LBB285_1113
; %bb.1110:                             ;   in Loop: Header=BB285_678 Depth=1
	v_and_b32_e32 v60, 7, v10
	v_lshrrev_b32_e32 v61, 3, v62
	s_mov_b32 s19, exec_lo
	v_cmpx_gt_u32_e32 8, v62
; %bb.1111:                             ;   in Loop: Header=BB285_678 Depth=1
	s_delay_alu instid0(VALU_DEP_3) | instskip(NEXT) | instid1(VALU_DEP_1)
	v_clz_i32_u32_e32 v60, v60
	v_min_u32_e32 v62, 32, v60
	s_delay_alu instid0(VALU_DEP_1) | instskip(NEXT) | instid1(VALU_DEP_1)
	v_subrev_nc_u32_e32 v60, 28, v62
	v_lshlrev_b64_e32 v[60:61], v60, v[1:2]
	v_sub_nc_u32_e32 v61, 29, v62
	s_delay_alu instid0(VALU_DEP_2)
	v_and_b32_e32 v60, 7, v60
; %bb.1112:                             ;   in Loop: Header=BB285_678 Depth=1
	s_wait_alu 0xfffe
	s_or_b32 exec_lo, exec_lo, s19
	v_lshlrev_b32_e32 v62, 8, v10
	v_lshl_add_u32 v61, v61, 10, 0x2000
	v_lshlrev_b32_e32 v60, 7, v60
	s_delay_alu instid0(VALU_DEP_3) | instskip(NEXT) | instid1(VALU_DEP_3)
	v_and_b32_e32 v62, 0x8000, v62
	v_and_b32_e32 v61, 0xfc00, v61
	s_delay_alu instid0(VALU_DEP_1)
	v_or3_b32 v60, v62, v61, v60
.LBB285_1113:                           ;   in Loop: Header=BB285_678 Depth=1
	s_wait_alu 0xfffe
	s_or_b32 exec_lo, exec_lo, s18
.LBB285_1114:                           ;   in Loop: Header=BB285_678 Depth=1
	s_wait_alu 0xfffe
	s_or_b32 exec_lo, exec_lo, s17
.LBB285_1115:                           ;   in Loop: Header=BB285_678 Depth=1
	s_wait_alu 0xfffe
	s_or_b32 exec_lo, exec_lo, s15
	v_lshrrev_b16 v1, 8, v1
	v_mov_b32_e32 v61, 0
	s_mov_b32 s15, exec_lo
	s_delay_alu instid0(VALU_DEP_2)
	v_cmpx_ne_u16_e32 0, v1
	s_cbranch_execz .LBB285_1123
; %bb.1116:                             ;   in Loop: Header=BB285_678 Depth=1
	v_bfrev_b32_e32 v61, 1
	s_mov_b32 s17, exec_lo
	v_cmpx_ne_u16_e32 0x80, v1
	s_cbranch_execz .LBB285_1122
; %bb.1117:                             ;   in Loop: Header=BB285_678 Depth=1
	v_and_b32_e32 v62, 0xffff, v1
	v_mov_b32_e32 v61, 0x7c010000
	s_mov_b32 s18, exec_lo
	s_delay_alu instid0(VALU_DEP_2) | instskip(NEXT) | instid1(VALU_DEP_1)
	v_and_b32_e32 v64, 0x7f, v62
	v_cmpx_ne_u32_e32 0x7f, v64
	s_cbranch_execz .LBB285_1121
; %bb.1118:                             ;   in Loop: Header=BB285_678 Depth=1
	v_and_b32_e32 v61, 7, v62
	v_lshrrev_b32_e32 v63, 3, v64
	s_mov_b32 s19, exec_lo
	v_cmpx_gt_u32_e32 8, v64
; %bb.1119:                             ;   in Loop: Header=BB285_678 Depth=1
	s_delay_alu instid0(VALU_DEP_3) | instskip(NEXT) | instid1(VALU_DEP_1)
	v_clz_i32_u32_e32 v61, v61
	v_min_u32_e32 v61, 32, v61
	s_delay_alu instid0(VALU_DEP_1) | instskip(NEXT) | instid1(VALU_DEP_1)
	v_subrev_nc_u32_e32 v63, 28, v61
	v_lshlrev_b64_e32 v[64:65], v63, v[1:2]
	v_sub_nc_u32_e32 v63, 29, v61
	s_delay_alu instid0(VALU_DEP_2)
	v_and_b32_e32 v61, 7, v64
; %bb.1120:                             ;   in Loop: Header=BB285_678 Depth=1
	s_wait_alu 0xfffe
	s_or_b32 exec_lo, exec_lo, s19
	v_lshlrev_b32_e32 v1, 8, v62
	v_lshl_add_u32 v62, v63, 10, 0x2000
	v_lshlrev_b32_e32 v61, 23, v61
	s_delay_alu instid0(VALU_DEP_2) | instskip(NEXT) | instid1(VALU_DEP_1)
	v_and_or_b32 v1, 0x8000, v1, v62
	v_lshl_or_b32 v61, v1, 16, v61
.LBB285_1121:                           ;   in Loop: Header=BB285_678 Depth=1
	s_wait_alu 0xfffe
	s_or_b32 exec_lo, exec_lo, s18
.LBB285_1122:                           ;   in Loop: Header=BB285_678 Depth=1
	s_wait_alu 0xfffe
	s_or_b32 exec_lo, exec_lo, s17
.LBB285_1123:                           ;   in Loop: Header=BB285_678 Depth=1
	s_wait_alu 0xfffe
	s_or_b32 exec_lo, exec_lo, s15
	v_lshrrev_b32_e32 v1, 16, v10
	s_mov_b32 s15, exec_lo
	s_delay_alu instid0(VALU_DEP_1) | instskip(NEXT) | instid1(VALU_DEP_1)
	v_and_b32_e32 v62, 0xff, v1
	v_cmpx_ne_u16_e32 0, v62
	s_cbranch_execz .LBB285_1131
; %bb.1124:                             ;   in Loop: Header=BB285_678 Depth=1
	v_mov_b32_e32 v59, 0x8000
	s_mov_b32 s17, exec_lo
	v_cmpx_ne_u16_e32 0x80, v62
	s_cbranch_execz .LBB285_1130
; %bb.1125:                             ;   in Loop: Header=BB285_678 Depth=1
	v_bfe_u32 v63, v10, 16, 7
	v_mov_b32_e32 v59, 0x7c01
	s_mov_b32 s18, exec_lo
	s_delay_alu instid0(VALU_DEP_2)
	v_cmpx_ne_u32_e32 0x7f, v63
	s_cbranch_execz .LBB285_1129
; %bb.1126:                             ;   in Loop: Header=BB285_678 Depth=1
	v_and_b32_e32 v59, 7, v1
	v_lshrrev_b32_e32 v62, 3, v63
	s_mov_b32 s19, exec_lo
	v_cmpx_gt_u32_e32 8, v63
; %bb.1127:                             ;   in Loop: Header=BB285_678 Depth=1
	s_delay_alu instid0(VALU_DEP_3) | instskip(NEXT) | instid1(VALU_DEP_1)
	v_clz_i32_u32_e32 v59, v59
	v_min_u32_e32 v59, 32, v59
	s_delay_alu instid0(VALU_DEP_1) | instskip(NEXT) | instid1(VALU_DEP_1)
	v_subrev_nc_u32_e32 v62, 28, v59
	v_lshlrev_b64_e32 v[63:64], v62, v[1:2]
	v_sub_nc_u32_e32 v62, 29, v59
	s_delay_alu instid0(VALU_DEP_2)
	v_and_b32_e32 v59, 7, v63
; %bb.1128:                             ;   in Loop: Header=BB285_678 Depth=1
	s_wait_alu 0xfffe
	s_or_b32 exec_lo, exec_lo, s19
	v_lshlrev_b32_e32 v1, 8, v1
	v_lshl_add_u32 v62, v62, 10, 0x2000
	v_lshlrev_b32_e32 v59, 7, v59
	s_delay_alu instid0(VALU_DEP_3) | instskip(NEXT) | instid1(VALU_DEP_3)
	v_and_b32_e32 v1, 0x8000, v1
	v_and_b32_e32 v62, 0xfc00, v62
	s_delay_alu instid0(VALU_DEP_1)
	v_or3_b32 v59, v1, v62, v59
.LBB285_1129:                           ;   in Loop: Header=BB285_678 Depth=1
	s_wait_alu 0xfffe
	s_or_b32 exec_lo, exec_lo, s18
.LBB285_1130:                           ;   in Loop: Header=BB285_678 Depth=1
	s_wait_alu 0xfffe
	s_or_b32 exec_lo, exec_lo, s17
.LBB285_1131:                           ;   in Loop: Header=BB285_678 Depth=1
	s_wait_alu 0xfffe
	s_or_b32 exec_lo, exec_lo, s15
	v_cmp_lt_u64_e64 s0, s[2:3], v[9:10]
	v_mov_b32_e32 v9, 0
	s_and_saveexec_b32 s15, s0
	s_cbranch_execz .LBB285_1139
; %bb.1132:                             ;   in Loop: Header=BB285_678 Depth=1
	v_lshrrev_b32_e32 v1, 24, v10
	v_bfrev_b32_e32 v9, 1
	s_mov_b32 s17, exec_lo
	s_delay_alu instid0(VALU_DEP_2)
	v_cmpx_ne_u32_e32 0x80, v1
	s_cbranch_execz .LBB285_1138
; %bb.1133:                             ;   in Loop: Header=BB285_678 Depth=1
	v_and_b32_e32 v62, 0x7f, v1
	v_mov_b32_e32 v9, 0x7c010000
	s_mov_b32 s18, exec_lo
	s_delay_alu instid0(VALU_DEP_2)
	v_cmpx_ne_u32_e32 0x7f, v62
	s_cbranch_execz .LBB285_1137
; %bb.1134:                             ;   in Loop: Header=BB285_678 Depth=1
	v_and_b32_e32 v9, 7, v1
	v_lshrrev_b32_e32 v10, 3, v62
	s_mov_b32 s19, exec_lo
	v_cmpx_gt_u32_e32 8, v62
; %bb.1135:                             ;   in Loop: Header=BB285_678 Depth=1
	s_delay_alu instid0(VALU_DEP_3) | instskip(NEXT) | instid1(VALU_DEP_1)
	v_clz_i32_u32_e32 v9, v9
	v_min_u32_e32 v62, 32, v9
	s_delay_alu instid0(VALU_DEP_1) | instskip(NEXT) | instid1(VALU_DEP_1)
	v_subrev_nc_u32_e32 v9, 28, v62
	v_lshlrev_b64_e32 v[9:10], v9, v[1:2]
	v_sub_nc_u32_e32 v10, 29, v62
	s_delay_alu instid0(VALU_DEP_2)
	v_and_b32_e32 v9, 7, v9
; %bb.1136:                             ;   in Loop: Header=BB285_678 Depth=1
	s_wait_alu 0xfffe
	s_or_b32 exec_lo, exec_lo, s19
	v_lshlrev_b32_e32 v1, 8, v1
	v_lshl_add_u32 v10, v10, 10, 0x2000
	v_lshlrev_b32_e32 v9, 23, v9
	s_delay_alu instid0(VALU_DEP_2) | instskip(NEXT) | instid1(VALU_DEP_1)
	v_and_or_b32 v1, 0x8000, v1, v10
	v_lshl_or_b32 v9, v1, 16, v9
.LBB285_1137:                           ;   in Loop: Header=BB285_678 Depth=1
	s_wait_alu 0xfffe
	s_or_b32 exec_lo, exec_lo, s18
.LBB285_1138:                           ;   in Loop: Header=BB285_678 Depth=1
	s_wait_alu 0xfffe
	s_or_b32 exec_lo, exec_lo, s17
.LBB285_1139:                           ;   in Loop: Header=BB285_678 Depth=1
	s_wait_alu 0xfffe
	s_or_b32 exec_lo, exec_lo, s15
	v_or_b32_e32 v1, v57, v58
	s_wait_loadcnt 0x0
	v_fma_mixlo_f16 v10, v54, v57, 0 op_sel:[0,1,0] op_sel_hi:[0,1,0]
	v_or_b32_e32 v57, v55, v56
	v_fma_mixlo_f16 v55, v54, v55, 0 op_sel:[0,1,0] op_sel_hi:[0,1,0]
	v_or_b32_e32 v58, v61, v60
	v_or_b32_e32 v59, v9, v59
	v_fma_mixlo_f16 v60, v54, v1, 0 op_sel_hi:[0,1,0]
	v_fma_mixlo_f16 v9, v54, v9, 0 op_sel:[0,1,0] op_sel_hi:[0,1,0]
	v_lshlrev_b32_e32 v56, 16, v55
	v_fma_mixlo_f16 v55, v54, v57, 0 op_sel_hi:[0,1,0]
	v_fma_mixlo_f16 v57, v54, v61, 0 op_sel:[0,1,0] op_sel_hi:[0,1,0]
	v_fma_mixlo_f16 v58, v54, v58, 0 op_sel_hi:[0,1,0]
	v_fma_mixlo_f16 v59, v54, v59, 0 op_sel_hi:[0,1,0]
	v_lshlrev_b32_e32 v1, 16, v10
	v_and_b32_e32 v10, 0xffff, v60
	v_and_b32_e32 v62, 0xffff, v55
	v_lshlrev_b32_e32 v54, 16, v57
	v_and_b32_e32 v58, 0xffff, v58
	v_lshlrev_b32_e32 v9, 16, v9
	v_and_b32_e32 v55, 0xffff, v59
	v_or_b32_e32 v57, v1, v10
	v_or_b32_e32 v61, v56, v62
	;; [unrolled: 1-line block ×3, first 2 shown]
	s_delay_alu instid0(VALU_DEP_4)
	v_or_b32_e32 v59, v9, v55
	s_and_saveexec_b32 s15, vcc_lo
	s_cbranch_execz .LBB285_1141
; %bb.1140:                             ;   in Loop: Header=BB285_678 Depth=1
	v_cmp_gt_i32_e64 s0, s34, v30
	s_wait_alu 0xf1ff
	s_delay_alu instid0(VALU_DEP_1) | instskip(SKIP_2) | instid1(VALU_DEP_1)
	v_cndmask_b32_e64 v57, 0, v62, s0
	v_cmp_gt_i32_e64 s0, s34, v42
	s_wait_alu 0xf1ff
	v_cndmask_b32_e64 v56, 0, v56, s0
	v_cmp_gt_i32_e64 s0, s34, v40
	s_delay_alu instid0(VALU_DEP_2) | instskip(SKIP_1) | instid1(VALU_DEP_2)
	v_or_b32_e32 v61, v56, v57
	s_wait_alu 0xf1ff
	v_cndmask_b32_e64 v10, 0, v10, s0
	v_cmp_gt_i32_e64 s0, s34, v38
	s_wait_alu 0xf1ff
	s_delay_alu instid0(VALU_DEP_1) | instskip(SKIP_1) | instid1(VALU_DEP_2)
	v_cndmask_b32_e64 v1, 0, v1, s0
	v_cmp_gt_i32_e64 s0, s34, v36
	v_or_b32_e32 v57, v1, v10
	s_wait_alu 0xf1ff
	s_delay_alu instid0(VALU_DEP_2) | instskip(SKIP_2) | instid1(VALU_DEP_1)
	v_cndmask_b32_e64 v58, 0, v58, s0
	v_cmp_gt_i32_e64 s0, s34, v34
	s_wait_alu 0xf1ff
	v_cndmask_b32_e64 v54, 0, v54, s0
	v_cmp_gt_i32_e64 s0, s34, v32
	s_delay_alu instid0(VALU_DEP_2) | instskip(SKIP_1) | instid1(VALU_DEP_2)
	v_or_b32_e32 v60, v54, v58
	s_wait_alu 0xf1ff
	v_cndmask_b32_e64 v55, 0, v55, s0
	v_cmp_gt_i32_e64 s0, s34, v31
	s_wait_alu 0xf1ff
	s_delay_alu instid0(VALU_DEP_1) | instskip(NEXT) | instid1(VALU_DEP_1)
	v_cndmask_b32_e64 v9, 0, v9, s0
	v_or_b32_e32 v59, v9, v55
.LBB285_1141:                           ;   in Loop: Header=BB285_678 Depth=1
	s_wait_alu 0xfffe
	s_or_b32 exec_lo, exec_lo, s15
	;;#ASMSTART
	v_pk_mul_f16 v1, v43, v61;

	;;#ASMEND
	;;#ASMSTART
	v_pk_mul_f16 v9, v41, v57;

	;;#ASMEND
	;; [unrolled: 4-line block ×4, first 2 shown]
	;;#ASMSTART
	v_pk_add_f16 v1, v1, v9;

	;;#ASMEND
	;;#ASMSTART
	v_pk_add_f16 v1, v1, v10;

	;;#ASMEND
	;; [unrolled: 4-line block ×3, first 2 shown]
	v_dual_mov_b32 v58, 0 :: v_dual_and_b32 v9, 0xffff, v1
	v_lshrrev_b32_e32 v1, 16, v1
	;;#ASMSTART
	v_cvt_f32_f16 v54, v9;
	;;#ASMEND
	;;#ASMSTART
	v_cvt_f32_f16 v55, v1;
	;;#ASMEND
	global_load_b64 v[9:10], v[7:8], off offset:1792
	v_mov_b32_e32 v57, 0
	s_mov_b32 s15, exec_lo
	global_load_b32 v56, v57, s[10:11]
	s_wait_loadcnt 0x1
	v_and_b32_e32 v1, 0xff, v9
	s_delay_alu instid0(VALU_DEP_1)
	v_cmpx_ne_u16_e32 0, v1
	s_cbranch_execz .LBB285_1149
; %bb.1142:                             ;   in Loop: Header=BB285_678 Depth=1
	v_mov_b32_e32 v58, 0x8000
	s_mov_b32 s17, exec_lo
	v_cmpx_ne_u16_e32 0x80, v1
	s_cbranch_execz .LBB285_1148
; %bb.1143:                             ;   in Loop: Header=BB285_678 Depth=1
	v_and_b32_e32 v59, 0x7f, v9
	v_mov_b32_e32 v58, 0x7c01
	s_mov_b32 s18, exec_lo
	s_delay_alu instid0(VALU_DEP_2)
	v_cmpx_ne_u32_e32 0x7f, v59
	s_cbranch_execz .LBB285_1147
; %bb.1144:                             ;   in Loop: Header=BB285_678 Depth=1
	v_and_b32_e32 v1, 7, v9
	v_lshrrev_b32_e32 v58, 3, v59
	s_mov_b32 s19, exec_lo
	v_cmpx_gt_u32_e32 8, v59
; %bb.1145:                             ;   in Loop: Header=BB285_678 Depth=1
	s_delay_alu instid0(VALU_DEP_3) | instskip(NEXT) | instid1(VALU_DEP_1)
	v_clz_i32_u32_e32 v1, v1
	v_min_u32_e32 v1, 32, v1
	s_delay_alu instid0(VALU_DEP_1) | instskip(NEXT) | instid1(VALU_DEP_1)
	v_subrev_nc_u32_e32 v58, 28, v1
	v_lshlrev_b64_e32 v[59:60], v58, v[9:10]
	v_sub_nc_u32_e32 v58, 29, v1
	s_delay_alu instid0(VALU_DEP_2)
	v_and_b32_e32 v1, 7, v59
; %bb.1146:                             ;   in Loop: Header=BB285_678 Depth=1
	s_wait_alu 0xfffe
	s_or_b32 exec_lo, exec_lo, s19
	v_lshlrev_b32_e32 v59, 8, v9
	v_lshl_add_u32 v58, v58, 10, 0x2000
	v_lshlrev_b32_e32 v1, 7, v1
	s_delay_alu instid0(VALU_DEP_3) | instskip(NEXT) | instid1(VALU_DEP_3)
	v_and_b32_e32 v59, 0x8000, v59
	v_and_b32_e32 v58, 0xfc00, v58
	s_delay_alu instid0(VALU_DEP_1)
	v_or3_b32 v58, v59, v58, v1
.LBB285_1147:                           ;   in Loop: Header=BB285_678 Depth=1
	s_wait_alu 0xfffe
	s_or_b32 exec_lo, exec_lo, s18
.LBB285_1148:                           ;   in Loop: Header=BB285_678 Depth=1
	s_wait_alu 0xfffe
	s_or_b32 exec_lo, exec_lo, s17
.LBB285_1149:                           ;   in Loop: Header=BB285_678 Depth=1
	s_wait_alu 0xfffe
	s_or_b32 exec_lo, exec_lo, s15
	v_lshrrev_b16 v1, 8, v9
	s_mov_b32 s15, exec_lo
	s_delay_alu instid0(VALU_DEP_1)
	v_cmpx_ne_u16_e32 0, v1
	s_cbranch_execz .LBB285_1157
; %bb.1150:                             ;   in Loop: Header=BB285_678 Depth=1
	v_bfrev_b32_e32 v57, 1
	s_mov_b32 s17, exec_lo
	v_cmpx_ne_u16_e32 0x80, v1
	s_cbranch_execz .LBB285_1156
; %bb.1151:                             ;   in Loop: Header=BB285_678 Depth=1
	v_and_b32_e32 v59, 0xffff, v1
	v_mov_b32_e32 v57, 0x7c010000
	s_mov_b32 s18, exec_lo
	s_delay_alu instid0(VALU_DEP_2) | instskip(NEXT) | instid1(VALU_DEP_1)
	v_and_b32_e32 v61, 0x7f, v59
	v_cmpx_ne_u32_e32 0x7f, v61
	s_cbranch_execz .LBB285_1155
; %bb.1152:                             ;   in Loop: Header=BB285_678 Depth=1
	v_and_b32_e32 v57, 7, v59
	v_lshrrev_b32_e32 v60, 3, v61
	s_mov_b32 s19, exec_lo
	v_cmpx_gt_u32_e32 8, v61
; %bb.1153:                             ;   in Loop: Header=BB285_678 Depth=1
	s_delay_alu instid0(VALU_DEP_3) | instskip(NEXT) | instid1(VALU_DEP_1)
	v_clz_i32_u32_e32 v57, v57
	v_min_u32_e32 v57, 32, v57
	s_delay_alu instid0(VALU_DEP_1) | instskip(NEXT) | instid1(VALU_DEP_1)
	v_subrev_nc_u32_e32 v60, 28, v57
	v_lshlrev_b64_e32 v[61:62], v60, v[1:2]
	v_sub_nc_u32_e32 v60, 29, v57
	s_delay_alu instid0(VALU_DEP_2)
	v_and_b32_e32 v57, 7, v61
; %bb.1154:                             ;   in Loop: Header=BB285_678 Depth=1
	s_wait_alu 0xfffe
	s_or_b32 exec_lo, exec_lo, s19
	v_lshlrev_b32_e32 v1, 8, v59
	v_lshl_add_u32 v59, v60, 10, 0x2000
	v_lshlrev_b32_e32 v57, 23, v57
	s_delay_alu instid0(VALU_DEP_2) | instskip(NEXT) | instid1(VALU_DEP_1)
	v_and_or_b32 v1, 0x8000, v1, v59
	v_lshl_or_b32 v57, v1, 16, v57
.LBB285_1155:                           ;   in Loop: Header=BB285_678 Depth=1
	s_wait_alu 0xfffe
	s_or_b32 exec_lo, exec_lo, s18
.LBB285_1156:                           ;   in Loop: Header=BB285_678 Depth=1
	s_wait_alu 0xfffe
	s_or_b32 exec_lo, exec_lo, s17
.LBB285_1157:                           ;   in Loop: Header=BB285_678 Depth=1
	s_wait_alu 0xfffe
	s_or_b32 exec_lo, exec_lo, s15
	v_lshrrev_b32_e32 v1, 16, v9
	v_mov_b32_e32 v59, 0
	s_mov_b32 s15, exec_lo
	s_delay_alu instid0(VALU_DEP_2) | instskip(NEXT) | instid1(VALU_DEP_1)
	v_dual_mov_b32 v60, 0 :: v_dual_and_b32 v61, 0xff, v1
	v_cmpx_ne_u16_e32 0, v61
	s_cbranch_execz .LBB285_1165
; %bb.1158:                             ;   in Loop: Header=BB285_678 Depth=1
	v_mov_b32_e32 v60, 0x8000
	s_mov_b32 s17, exec_lo
	v_cmpx_ne_u16_e32 0x80, v61
	s_cbranch_execz .LBB285_1164
; %bb.1159:                             ;   in Loop: Header=BB285_678 Depth=1
	v_bfe_u32 v62, v9, 16, 7
	v_mov_b32_e32 v60, 0x7c01
	s_mov_b32 s18, exec_lo
	s_delay_alu instid0(VALU_DEP_2)
	v_cmpx_ne_u32_e32 0x7f, v62
	s_cbranch_execz .LBB285_1163
; %bb.1160:                             ;   in Loop: Header=BB285_678 Depth=1
	v_and_b32_e32 v60, 7, v1
	v_lshrrev_b32_e32 v61, 3, v62
	s_mov_b32 s19, exec_lo
	v_cmpx_gt_u32_e32 8, v62
; %bb.1161:                             ;   in Loop: Header=BB285_678 Depth=1
	s_delay_alu instid0(VALU_DEP_3) | instskip(NEXT) | instid1(VALU_DEP_1)
	v_clz_i32_u32_e32 v60, v60
	v_min_u32_e32 v62, 32, v60
	s_delay_alu instid0(VALU_DEP_1) | instskip(NEXT) | instid1(VALU_DEP_1)
	v_subrev_nc_u32_e32 v60, 28, v62
	v_lshlrev_b64_e32 v[60:61], v60, v[1:2]
	v_sub_nc_u32_e32 v61, 29, v62
	s_delay_alu instid0(VALU_DEP_2)
	v_and_b32_e32 v60, 7, v60
; %bb.1162:                             ;   in Loop: Header=BB285_678 Depth=1
	s_wait_alu 0xfffe
	s_or_b32 exec_lo, exec_lo, s19
	v_lshlrev_b32_e32 v1, 8, v1
	v_lshl_add_u32 v61, v61, 10, 0x2000
	v_lshlrev_b32_e32 v60, 7, v60
	s_delay_alu instid0(VALU_DEP_3) | instskip(NEXT) | instid1(VALU_DEP_3)
	v_and_b32_e32 v1, 0x8000, v1
	v_and_b32_e32 v61, 0xfc00, v61
	s_delay_alu instid0(VALU_DEP_1)
	v_or3_b32 v60, v1, v61, v60
.LBB285_1163:                           ;   in Loop: Header=BB285_678 Depth=1
	s_wait_alu 0xfffe
	s_or_b32 exec_lo, exec_lo, s18
.LBB285_1164:                           ;   in Loop: Header=BB285_678 Depth=1
	s_wait_alu 0xfffe
	s_or_b32 exec_lo, exec_lo, s17
.LBB285_1165:                           ;   in Loop: Header=BB285_678 Depth=1
	s_wait_alu 0xfffe
	s_or_b32 exec_lo, exec_lo, s15
	s_delay_alu instid0(SALU_CYCLE_1)
	s_mov_b32 s15, exec_lo
	v_cmpx_lt_u32_e32 0xffffff, v9
	s_cbranch_execz .LBB285_1173
; %bb.1166:                             ;   in Loop: Header=BB285_678 Depth=1
	v_lshrrev_b32_e32 v1, 24, v9
	v_bfrev_b32_e32 v59, 1
	s_mov_b32 s17, exec_lo
	s_delay_alu instid0(VALU_DEP_2)
	v_cmpx_ne_u32_e32 0x80, v1
	s_cbranch_execz .LBB285_1172
; %bb.1167:                             ;   in Loop: Header=BB285_678 Depth=1
	v_and_b32_e32 v62, 0x7f, v1
	v_mov_b32_e32 v59, 0x7c010000
	s_mov_b32 s18, exec_lo
	s_delay_alu instid0(VALU_DEP_2)
	v_cmpx_ne_u32_e32 0x7f, v62
	s_cbranch_execz .LBB285_1171
; %bb.1168:                             ;   in Loop: Header=BB285_678 Depth=1
	v_and_b32_e32 v59, 7, v1
	v_lshrrev_b32_e32 v61, 3, v62
	s_mov_b32 s19, exec_lo
	v_cmpx_gt_u32_e32 8, v62
; %bb.1169:                             ;   in Loop: Header=BB285_678 Depth=1
	s_delay_alu instid0(VALU_DEP_3) | instskip(NEXT) | instid1(VALU_DEP_1)
	v_clz_i32_u32_e32 v59, v59
	v_min_u32_e32 v59, 32, v59
	s_delay_alu instid0(VALU_DEP_1) | instskip(NEXT) | instid1(VALU_DEP_1)
	v_subrev_nc_u32_e32 v61, 28, v59
	v_lshlrev_b64_e32 v[62:63], v61, v[1:2]
	v_sub_nc_u32_e32 v61, 29, v59
	s_delay_alu instid0(VALU_DEP_2)
	v_and_b32_e32 v59, 7, v62
; %bb.1170:                             ;   in Loop: Header=BB285_678 Depth=1
	s_wait_alu 0xfffe
	s_or_b32 exec_lo, exec_lo, s19
	v_lshlrev_b32_e32 v1, 8, v1
	v_lshl_add_u32 v61, v61, 10, 0x2000
	v_lshlrev_b32_e32 v59, 23, v59
	s_delay_alu instid0(VALU_DEP_2) | instskip(NEXT) | instid1(VALU_DEP_1)
	v_and_or_b32 v1, 0x8000, v1, v61
	v_lshl_or_b32 v59, v1, 16, v59
.LBB285_1171:                           ;   in Loop: Header=BB285_678 Depth=1
	s_wait_alu 0xfffe
	s_or_b32 exec_lo, exec_lo, s18
.LBB285_1172:                           ;   in Loop: Header=BB285_678 Depth=1
	s_wait_alu 0xfffe
	s_or_b32 exec_lo, exec_lo, s17
.LBB285_1173:                           ;   in Loop: Header=BB285_678 Depth=1
	s_wait_alu 0xfffe
	s_or_b32 exec_lo, exec_lo, s15
	v_dual_mov_b32 v62, 0 :: v_dual_and_b32 v63, 0xff, v10
	v_mov_b32_e32 v1, v10
	v_mov_b32_e32 v61, 0
	s_mov_b32 s15, exec_lo
	s_delay_alu instid0(VALU_DEP_3)
	v_cmpx_ne_u16_e32 0, v63
	s_cbranch_execz .LBB285_1181
; %bb.1174:                             ;   in Loop: Header=BB285_678 Depth=1
	v_mov_b32_e32 v62, 0x8000
	s_mov_b32 s17, exec_lo
	v_cmpx_ne_u16_e32 0x80, v63
	s_cbranch_execz .LBB285_1180
; %bb.1175:                             ;   in Loop: Header=BB285_678 Depth=1
	v_and_b32_e32 v64, 0x7f, v10
	v_mov_b32_e32 v62, 0x7c01
	s_mov_b32 s18, exec_lo
	s_delay_alu instid0(VALU_DEP_2)
	v_cmpx_ne_u32_e32 0x7f, v64
	s_cbranch_execz .LBB285_1179
; %bb.1176:                             ;   in Loop: Header=BB285_678 Depth=1
	v_and_b32_e32 v62, 7, v10
	v_lshrrev_b32_e32 v63, 3, v64
	s_mov_b32 s19, exec_lo
	v_cmpx_gt_u32_e32 8, v64
; %bb.1177:                             ;   in Loop: Header=BB285_678 Depth=1
	s_delay_alu instid0(VALU_DEP_3) | instskip(NEXT) | instid1(VALU_DEP_1)
	v_clz_i32_u32_e32 v62, v62
	v_min_u32_e32 v64, 32, v62
	s_delay_alu instid0(VALU_DEP_1) | instskip(NEXT) | instid1(VALU_DEP_1)
	v_subrev_nc_u32_e32 v62, 28, v64
	v_lshlrev_b64_e32 v[62:63], v62, v[1:2]
	v_sub_nc_u32_e32 v63, 29, v64
	s_delay_alu instid0(VALU_DEP_2)
	v_and_b32_e32 v62, 7, v62
; %bb.1178:                             ;   in Loop: Header=BB285_678 Depth=1
	s_wait_alu 0xfffe
	s_or_b32 exec_lo, exec_lo, s19
	v_lshlrev_b32_e32 v64, 8, v10
	v_lshl_add_u32 v63, v63, 10, 0x2000
	v_lshlrev_b32_e32 v62, 7, v62
	s_delay_alu instid0(VALU_DEP_3) | instskip(NEXT) | instid1(VALU_DEP_3)
	v_and_b32_e32 v64, 0x8000, v64
	v_and_b32_e32 v63, 0xfc00, v63
	s_delay_alu instid0(VALU_DEP_1)
	v_or3_b32 v62, v64, v63, v62
.LBB285_1179:                           ;   in Loop: Header=BB285_678 Depth=1
	s_wait_alu 0xfffe
	s_or_b32 exec_lo, exec_lo, s18
.LBB285_1180:                           ;   in Loop: Header=BB285_678 Depth=1
	s_wait_alu 0xfffe
	s_or_b32 exec_lo, exec_lo, s17
.LBB285_1181:                           ;   in Loop: Header=BB285_678 Depth=1
	s_wait_alu 0xfffe
	s_or_b32 exec_lo, exec_lo, s15
	v_lshrrev_b16 v1, 8, v1
	v_mov_b32_e32 v63, 0
	s_mov_b32 s15, exec_lo
	s_delay_alu instid0(VALU_DEP_2)
	v_cmpx_ne_u16_e32 0, v1
	s_cbranch_execz .LBB285_1189
; %bb.1182:                             ;   in Loop: Header=BB285_678 Depth=1
	v_bfrev_b32_e32 v63, 1
	s_mov_b32 s17, exec_lo
	v_cmpx_ne_u16_e32 0x80, v1
	s_cbranch_execz .LBB285_1188
; %bb.1183:                             ;   in Loop: Header=BB285_678 Depth=1
	v_and_b32_e32 v64, 0xffff, v1
	v_mov_b32_e32 v63, 0x7c010000
	s_mov_b32 s18, exec_lo
	s_delay_alu instid0(VALU_DEP_2) | instskip(NEXT) | instid1(VALU_DEP_1)
	v_and_b32_e32 v66, 0x7f, v64
	v_cmpx_ne_u32_e32 0x7f, v66
	s_cbranch_execz .LBB285_1187
; %bb.1184:                             ;   in Loop: Header=BB285_678 Depth=1
	v_and_b32_e32 v63, 7, v64
	v_lshrrev_b32_e32 v65, 3, v66
	s_mov_b32 s19, exec_lo
	v_cmpx_gt_u32_e32 8, v66
; %bb.1185:                             ;   in Loop: Header=BB285_678 Depth=1
	s_delay_alu instid0(VALU_DEP_3) | instskip(NEXT) | instid1(VALU_DEP_1)
	v_clz_i32_u32_e32 v63, v63
	v_min_u32_e32 v63, 32, v63
	s_delay_alu instid0(VALU_DEP_1) | instskip(NEXT) | instid1(VALU_DEP_1)
	v_subrev_nc_u32_e32 v65, 28, v63
	v_lshlrev_b64_e32 v[66:67], v65, v[1:2]
	v_sub_nc_u32_e32 v65, 29, v63
	s_delay_alu instid0(VALU_DEP_2)
	v_and_b32_e32 v63, 7, v66
; %bb.1186:                             ;   in Loop: Header=BB285_678 Depth=1
	s_wait_alu 0xfffe
	s_or_b32 exec_lo, exec_lo, s19
	v_lshlrev_b32_e32 v1, 8, v64
	v_lshl_add_u32 v64, v65, 10, 0x2000
	v_lshlrev_b32_e32 v63, 23, v63
	s_delay_alu instid0(VALU_DEP_2) | instskip(NEXT) | instid1(VALU_DEP_1)
	v_and_or_b32 v1, 0x8000, v1, v64
	v_lshl_or_b32 v63, v1, 16, v63
.LBB285_1187:                           ;   in Loop: Header=BB285_678 Depth=1
	s_wait_alu 0xfffe
	s_or_b32 exec_lo, exec_lo, s18
.LBB285_1188:                           ;   in Loop: Header=BB285_678 Depth=1
	s_wait_alu 0xfffe
	s_or_b32 exec_lo, exec_lo, s17
.LBB285_1189:                           ;   in Loop: Header=BB285_678 Depth=1
	s_wait_alu 0xfffe
	s_or_b32 exec_lo, exec_lo, s15
	v_lshrrev_b32_e32 v1, 16, v10
	s_mov_b32 s15, exec_lo
	s_delay_alu instid0(VALU_DEP_1) | instskip(NEXT) | instid1(VALU_DEP_1)
	v_and_b32_e32 v64, 0xff, v1
	v_cmpx_ne_u16_e32 0, v64
	s_cbranch_execz .LBB285_1197
; %bb.1190:                             ;   in Loop: Header=BB285_678 Depth=1
	v_mov_b32_e32 v61, 0x8000
	s_mov_b32 s17, exec_lo
	v_cmpx_ne_u16_e32 0x80, v64
	s_cbranch_execz .LBB285_1196
; %bb.1191:                             ;   in Loop: Header=BB285_678 Depth=1
	v_bfe_u32 v65, v10, 16, 7
	v_mov_b32_e32 v61, 0x7c01
	s_mov_b32 s18, exec_lo
	s_delay_alu instid0(VALU_DEP_2)
	v_cmpx_ne_u32_e32 0x7f, v65
	s_cbranch_execz .LBB285_1195
; %bb.1192:                             ;   in Loop: Header=BB285_678 Depth=1
	v_and_b32_e32 v61, 7, v1
	v_lshrrev_b32_e32 v64, 3, v65
	s_mov_b32 s19, exec_lo
	v_cmpx_gt_u32_e32 8, v65
; %bb.1193:                             ;   in Loop: Header=BB285_678 Depth=1
	s_delay_alu instid0(VALU_DEP_3) | instskip(NEXT) | instid1(VALU_DEP_1)
	v_clz_i32_u32_e32 v61, v61
	v_min_u32_e32 v61, 32, v61
	s_delay_alu instid0(VALU_DEP_1) | instskip(NEXT) | instid1(VALU_DEP_1)
	v_subrev_nc_u32_e32 v64, 28, v61
	v_lshlrev_b64_e32 v[65:66], v64, v[1:2]
	v_sub_nc_u32_e32 v64, 29, v61
	s_delay_alu instid0(VALU_DEP_2)
	v_and_b32_e32 v61, 7, v65
; %bb.1194:                             ;   in Loop: Header=BB285_678 Depth=1
	s_wait_alu 0xfffe
	s_or_b32 exec_lo, exec_lo, s19
	v_lshlrev_b32_e32 v1, 8, v1
	v_lshl_add_u32 v64, v64, 10, 0x2000
	v_lshlrev_b32_e32 v61, 7, v61
	s_delay_alu instid0(VALU_DEP_3) | instskip(NEXT) | instid1(VALU_DEP_3)
	v_and_b32_e32 v1, 0x8000, v1
	v_and_b32_e32 v64, 0xfc00, v64
	s_delay_alu instid0(VALU_DEP_1)
	v_or3_b32 v61, v1, v64, v61
.LBB285_1195:                           ;   in Loop: Header=BB285_678 Depth=1
	s_wait_alu 0xfffe
	s_or_b32 exec_lo, exec_lo, s18
.LBB285_1196:                           ;   in Loop: Header=BB285_678 Depth=1
	s_wait_alu 0xfffe
	s_or_b32 exec_lo, exec_lo, s17
.LBB285_1197:                           ;   in Loop: Header=BB285_678 Depth=1
	s_wait_alu 0xfffe
	s_or_b32 exec_lo, exec_lo, s15
	v_cmp_lt_u64_e64 s0, s[2:3], v[9:10]
	v_mov_b32_e32 v9, 0
	s_and_saveexec_b32 s15, s0
	s_cbranch_execz .LBB285_1205
; %bb.1198:                             ;   in Loop: Header=BB285_678 Depth=1
	v_lshrrev_b32_e32 v1, 24, v10
	v_bfrev_b32_e32 v9, 1
	s_mov_b32 s17, exec_lo
	s_delay_alu instid0(VALU_DEP_2)
	v_cmpx_ne_u32_e32 0x80, v1
	s_cbranch_execz .LBB285_1204
; %bb.1199:                             ;   in Loop: Header=BB285_678 Depth=1
	v_and_b32_e32 v64, 0x7f, v1
	v_mov_b32_e32 v9, 0x7c010000
	s_mov_b32 s18, exec_lo
	s_delay_alu instid0(VALU_DEP_2)
	v_cmpx_ne_u32_e32 0x7f, v64
	s_cbranch_execz .LBB285_1203
; %bb.1200:                             ;   in Loop: Header=BB285_678 Depth=1
	v_and_b32_e32 v9, 7, v1
	v_lshrrev_b32_e32 v10, 3, v64
	s_mov_b32 s19, exec_lo
	v_cmpx_gt_u32_e32 8, v64
; %bb.1201:                             ;   in Loop: Header=BB285_678 Depth=1
	s_delay_alu instid0(VALU_DEP_3) | instskip(NEXT) | instid1(VALU_DEP_1)
	v_clz_i32_u32_e32 v9, v9
	v_min_u32_e32 v64, 32, v9
	s_delay_alu instid0(VALU_DEP_1) | instskip(NEXT) | instid1(VALU_DEP_1)
	v_subrev_nc_u32_e32 v9, 28, v64
	v_lshlrev_b64_e32 v[9:10], v9, v[1:2]
	v_sub_nc_u32_e32 v10, 29, v64
	s_delay_alu instid0(VALU_DEP_2)
	v_and_b32_e32 v9, 7, v9
; %bb.1202:                             ;   in Loop: Header=BB285_678 Depth=1
	s_wait_alu 0xfffe
	s_or_b32 exec_lo, exec_lo, s19
	v_lshlrev_b32_e32 v1, 8, v1
	v_lshl_add_u32 v10, v10, 10, 0x2000
	v_lshlrev_b32_e32 v9, 23, v9
	s_delay_alu instid0(VALU_DEP_2) | instskip(NEXT) | instid1(VALU_DEP_1)
	v_and_or_b32 v1, 0x8000, v1, v10
	v_lshl_or_b32 v9, v1, 16, v9
.LBB285_1203:                           ;   in Loop: Header=BB285_678 Depth=1
	s_wait_alu 0xfffe
	s_or_b32 exec_lo, exec_lo, s18
.LBB285_1204:                           ;   in Loop: Header=BB285_678 Depth=1
	s_wait_alu 0xfffe
	s_or_b32 exec_lo, exec_lo, s17
.LBB285_1205:                           ;   in Loop: Header=BB285_678 Depth=1
	s_wait_alu 0xfffe
	s_or_b32 exec_lo, exec_lo, s15
	v_or_b32_e32 v1, v59, v60
	s_wait_loadcnt 0x0
	v_fma_mixlo_f16 v10, v56, v59, 0 op_sel:[0,1,0] op_sel_hi:[0,1,0]
	v_or_b32_e32 v59, v57, v58
	v_fma_mixlo_f16 v57, v56, v57, 0 op_sel:[0,1,0] op_sel_hi:[0,1,0]
	v_or_b32_e32 v60, v63, v62
	v_or_b32_e32 v61, v9, v61
	v_fma_mixlo_f16 v62, v56, v1, 0 op_sel_hi:[0,1,0]
	v_fma_mixlo_f16 v9, v56, v9, 0 op_sel:[0,1,0] op_sel_hi:[0,1,0]
	v_lshlrev_b32_e32 v58, 16, v57
	v_fma_mixlo_f16 v57, v56, v59, 0 op_sel_hi:[0,1,0]
	v_fma_mixlo_f16 v59, v56, v63, 0 op_sel:[0,1,0] op_sel_hi:[0,1,0]
	v_fma_mixlo_f16 v60, v56, v60, 0 op_sel_hi:[0,1,0]
	v_fma_mixlo_f16 v61, v56, v61, 0 op_sel_hi:[0,1,0]
	v_lshlrev_b32_e32 v1, 16, v10
	v_and_b32_e32 v10, 0xffff, v62
	v_and_b32_e32 v64, 0xffff, v57
	v_lshlrev_b32_e32 v56, 16, v59
	v_and_b32_e32 v60, 0xffff, v60
	v_lshlrev_b32_e32 v9, 16, v9
	v_and_b32_e32 v57, 0xffff, v61
	v_or_b32_e32 v59, v1, v10
	v_or_b32_e32 v63, v58, v64
	v_or_b32_e32 v62, v56, v60
	s_delay_alu instid0(VALU_DEP_4)
	v_or_b32_e32 v61, v9, v57
	s_and_saveexec_b32 s15, vcc_lo
	s_cbranch_execz .LBB285_1207
; %bb.1206:                             ;   in Loop: Header=BB285_678 Depth=1
	v_cmp_gt_i32_e64 s0, s34, v30
	s_wait_alu 0xf1ff
	s_delay_alu instid0(VALU_DEP_1) | instskip(SKIP_2) | instid1(VALU_DEP_1)
	v_cndmask_b32_e64 v59, 0, v64, s0
	v_cmp_gt_i32_e64 s0, s34, v42
	s_wait_alu 0xf1ff
	v_cndmask_b32_e64 v58, 0, v58, s0
	v_cmp_gt_i32_e64 s0, s34, v40
	s_delay_alu instid0(VALU_DEP_2) | instskip(SKIP_1) | instid1(VALU_DEP_2)
	v_or_b32_e32 v63, v58, v59
	s_wait_alu 0xf1ff
	v_cndmask_b32_e64 v10, 0, v10, s0
	v_cmp_gt_i32_e64 s0, s34, v38
	s_wait_alu 0xf1ff
	s_delay_alu instid0(VALU_DEP_1) | instskip(SKIP_1) | instid1(VALU_DEP_2)
	v_cndmask_b32_e64 v1, 0, v1, s0
	v_cmp_gt_i32_e64 s0, s34, v36
	v_or_b32_e32 v59, v1, v10
	s_wait_alu 0xf1ff
	s_delay_alu instid0(VALU_DEP_2) | instskip(SKIP_2) | instid1(VALU_DEP_1)
	v_cndmask_b32_e64 v60, 0, v60, s0
	v_cmp_gt_i32_e64 s0, s34, v34
	s_wait_alu 0xf1ff
	v_cndmask_b32_e64 v56, 0, v56, s0
	v_cmp_gt_i32_e64 s0, s34, v32
	s_delay_alu instid0(VALU_DEP_2) | instskip(SKIP_1) | instid1(VALU_DEP_2)
	v_or_b32_e32 v62, v56, v60
	s_wait_alu 0xf1ff
	v_cndmask_b32_e64 v57, 0, v57, s0
	v_cmp_gt_i32_e64 s0, s34, v31
	s_wait_alu 0xf1ff
	s_delay_alu instid0(VALU_DEP_1) | instskip(NEXT) | instid1(VALU_DEP_1)
	v_cndmask_b32_e64 v9, 0, v9, s0
	v_or_b32_e32 v61, v9, v57
.LBB285_1207:                           ;   in Loop: Header=BB285_678 Depth=1
	s_wait_alu 0xfffe
	s_or_b32 exec_lo, exec_lo, s15
	;;#ASMSTART
	v_pk_mul_f16 v1, v43, v63;

	;;#ASMEND
	;;#ASMSTART
	v_pk_mul_f16 v9, v41, v59;

	;;#ASMEND
	;; [unrolled: 4-line block ×4, first 2 shown]
	;;#ASMSTART
	v_pk_add_f16 v1, v1, v9;

	;;#ASMEND
	;;#ASMSTART
	v_pk_add_f16 v1, v1, v10;

	;;#ASMEND
	;; [unrolled: 4-line block ×3, first 2 shown]
	v_dual_mov_b32 v60, 0 :: v_dual_and_b32 v9, 0xffff, v1
	v_lshrrev_b32_e32 v1, 16, v1
	;;#ASMSTART
	v_cvt_f32_f16 v56, v9;
	;;#ASMEND
	;;#ASMSTART
	v_cvt_f32_f16 v57, v1;
	;;#ASMEND
	global_load_b64 v[9:10], v[7:8], off offset:2048
	v_mov_b32_e32 v59, 0
	s_mov_b32 s15, exec_lo
	global_load_b32 v58, v59, s[10:11]
	s_wait_loadcnt 0x1
	v_and_b32_e32 v1, 0xff, v9
	s_delay_alu instid0(VALU_DEP_1)
	v_cmpx_ne_u16_e32 0, v1
	s_cbranch_execz .LBB285_1215
; %bb.1208:                             ;   in Loop: Header=BB285_678 Depth=1
	v_mov_b32_e32 v60, 0x8000
	s_mov_b32 s17, exec_lo
	v_cmpx_ne_u16_e32 0x80, v1
	s_cbranch_execz .LBB285_1214
; %bb.1209:                             ;   in Loop: Header=BB285_678 Depth=1
	v_and_b32_e32 v61, 0x7f, v9
	v_mov_b32_e32 v60, 0x7c01
	s_mov_b32 s18, exec_lo
	s_delay_alu instid0(VALU_DEP_2)
	v_cmpx_ne_u32_e32 0x7f, v61
	s_cbranch_execz .LBB285_1213
; %bb.1210:                             ;   in Loop: Header=BB285_678 Depth=1
	v_and_b32_e32 v1, 7, v9
	v_lshrrev_b32_e32 v60, 3, v61
	s_mov_b32 s19, exec_lo
	v_cmpx_gt_u32_e32 8, v61
; %bb.1211:                             ;   in Loop: Header=BB285_678 Depth=1
	s_delay_alu instid0(VALU_DEP_3) | instskip(NEXT) | instid1(VALU_DEP_1)
	v_clz_i32_u32_e32 v1, v1
	v_min_u32_e32 v1, 32, v1
	s_delay_alu instid0(VALU_DEP_1) | instskip(NEXT) | instid1(VALU_DEP_1)
	v_subrev_nc_u32_e32 v60, 28, v1
	v_lshlrev_b64_e32 v[61:62], v60, v[9:10]
	v_sub_nc_u32_e32 v60, 29, v1
	s_delay_alu instid0(VALU_DEP_2)
	v_and_b32_e32 v1, 7, v61
; %bb.1212:                             ;   in Loop: Header=BB285_678 Depth=1
	s_wait_alu 0xfffe
	s_or_b32 exec_lo, exec_lo, s19
	v_lshlrev_b32_e32 v61, 8, v9
	v_lshl_add_u32 v60, v60, 10, 0x2000
	v_lshlrev_b32_e32 v1, 7, v1
	s_delay_alu instid0(VALU_DEP_3) | instskip(NEXT) | instid1(VALU_DEP_3)
	v_and_b32_e32 v61, 0x8000, v61
	v_and_b32_e32 v60, 0xfc00, v60
	s_delay_alu instid0(VALU_DEP_1)
	v_or3_b32 v60, v61, v60, v1
.LBB285_1213:                           ;   in Loop: Header=BB285_678 Depth=1
	s_wait_alu 0xfffe
	s_or_b32 exec_lo, exec_lo, s18
.LBB285_1214:                           ;   in Loop: Header=BB285_678 Depth=1
	s_wait_alu 0xfffe
	s_or_b32 exec_lo, exec_lo, s17
.LBB285_1215:                           ;   in Loop: Header=BB285_678 Depth=1
	s_wait_alu 0xfffe
	s_or_b32 exec_lo, exec_lo, s15
	v_lshrrev_b16 v1, 8, v9
	s_mov_b32 s15, exec_lo
	s_delay_alu instid0(VALU_DEP_1)
	v_cmpx_ne_u16_e32 0, v1
	s_cbranch_execz .LBB285_1223
; %bb.1216:                             ;   in Loop: Header=BB285_678 Depth=1
	v_bfrev_b32_e32 v59, 1
	s_mov_b32 s17, exec_lo
	v_cmpx_ne_u16_e32 0x80, v1
	s_cbranch_execz .LBB285_1222
; %bb.1217:                             ;   in Loop: Header=BB285_678 Depth=1
	v_and_b32_e32 v61, 0xffff, v1
	v_mov_b32_e32 v59, 0x7c010000
	s_mov_b32 s18, exec_lo
	s_delay_alu instid0(VALU_DEP_2) | instskip(NEXT) | instid1(VALU_DEP_1)
	v_and_b32_e32 v63, 0x7f, v61
	v_cmpx_ne_u32_e32 0x7f, v63
	s_cbranch_execz .LBB285_1221
; %bb.1218:                             ;   in Loop: Header=BB285_678 Depth=1
	v_and_b32_e32 v59, 7, v61
	v_lshrrev_b32_e32 v62, 3, v63
	s_mov_b32 s19, exec_lo
	v_cmpx_gt_u32_e32 8, v63
; %bb.1219:                             ;   in Loop: Header=BB285_678 Depth=1
	s_delay_alu instid0(VALU_DEP_3) | instskip(NEXT) | instid1(VALU_DEP_1)
	v_clz_i32_u32_e32 v59, v59
	v_min_u32_e32 v59, 32, v59
	s_delay_alu instid0(VALU_DEP_1) | instskip(NEXT) | instid1(VALU_DEP_1)
	v_subrev_nc_u32_e32 v62, 28, v59
	v_lshlrev_b64_e32 v[63:64], v62, v[1:2]
	v_sub_nc_u32_e32 v62, 29, v59
	s_delay_alu instid0(VALU_DEP_2)
	v_and_b32_e32 v59, 7, v63
; %bb.1220:                             ;   in Loop: Header=BB285_678 Depth=1
	s_wait_alu 0xfffe
	s_or_b32 exec_lo, exec_lo, s19
	v_lshlrev_b32_e32 v1, 8, v61
	v_lshl_add_u32 v61, v62, 10, 0x2000
	v_lshlrev_b32_e32 v59, 23, v59
	s_delay_alu instid0(VALU_DEP_2) | instskip(NEXT) | instid1(VALU_DEP_1)
	v_and_or_b32 v1, 0x8000, v1, v61
	v_lshl_or_b32 v59, v1, 16, v59
.LBB285_1221:                           ;   in Loop: Header=BB285_678 Depth=1
	s_wait_alu 0xfffe
	s_or_b32 exec_lo, exec_lo, s18
.LBB285_1222:                           ;   in Loop: Header=BB285_678 Depth=1
	s_wait_alu 0xfffe
	s_or_b32 exec_lo, exec_lo, s17
.LBB285_1223:                           ;   in Loop: Header=BB285_678 Depth=1
	s_wait_alu 0xfffe
	s_or_b32 exec_lo, exec_lo, s15
	v_lshrrev_b32_e32 v1, 16, v9
	v_mov_b32_e32 v61, 0
	s_mov_b32 s15, exec_lo
	s_delay_alu instid0(VALU_DEP_2) | instskip(NEXT) | instid1(VALU_DEP_1)
	v_dual_mov_b32 v62, 0 :: v_dual_and_b32 v63, 0xff, v1
	v_cmpx_ne_u16_e32 0, v63
	s_cbranch_execz .LBB285_1231
; %bb.1224:                             ;   in Loop: Header=BB285_678 Depth=1
	v_mov_b32_e32 v62, 0x8000
	s_mov_b32 s17, exec_lo
	v_cmpx_ne_u16_e32 0x80, v63
	s_cbranch_execz .LBB285_1230
; %bb.1225:                             ;   in Loop: Header=BB285_678 Depth=1
	v_bfe_u32 v64, v9, 16, 7
	v_mov_b32_e32 v62, 0x7c01
	s_mov_b32 s18, exec_lo
	s_delay_alu instid0(VALU_DEP_2)
	v_cmpx_ne_u32_e32 0x7f, v64
	s_cbranch_execz .LBB285_1229
; %bb.1226:                             ;   in Loop: Header=BB285_678 Depth=1
	v_and_b32_e32 v62, 7, v1
	v_lshrrev_b32_e32 v63, 3, v64
	s_mov_b32 s19, exec_lo
	v_cmpx_gt_u32_e32 8, v64
; %bb.1227:                             ;   in Loop: Header=BB285_678 Depth=1
	s_delay_alu instid0(VALU_DEP_3) | instskip(NEXT) | instid1(VALU_DEP_1)
	v_clz_i32_u32_e32 v62, v62
	v_min_u32_e32 v64, 32, v62
	s_delay_alu instid0(VALU_DEP_1) | instskip(NEXT) | instid1(VALU_DEP_1)
	v_subrev_nc_u32_e32 v62, 28, v64
	v_lshlrev_b64_e32 v[62:63], v62, v[1:2]
	v_sub_nc_u32_e32 v63, 29, v64
	s_delay_alu instid0(VALU_DEP_2)
	v_and_b32_e32 v62, 7, v62
; %bb.1228:                             ;   in Loop: Header=BB285_678 Depth=1
	s_wait_alu 0xfffe
	s_or_b32 exec_lo, exec_lo, s19
	v_lshlrev_b32_e32 v1, 8, v1
	v_lshl_add_u32 v63, v63, 10, 0x2000
	v_lshlrev_b32_e32 v62, 7, v62
	s_delay_alu instid0(VALU_DEP_3) | instskip(NEXT) | instid1(VALU_DEP_3)
	v_and_b32_e32 v1, 0x8000, v1
	v_and_b32_e32 v63, 0xfc00, v63
	s_delay_alu instid0(VALU_DEP_1)
	v_or3_b32 v62, v1, v63, v62
.LBB285_1229:                           ;   in Loop: Header=BB285_678 Depth=1
	s_wait_alu 0xfffe
	s_or_b32 exec_lo, exec_lo, s18
.LBB285_1230:                           ;   in Loop: Header=BB285_678 Depth=1
	s_wait_alu 0xfffe
	s_or_b32 exec_lo, exec_lo, s17
.LBB285_1231:                           ;   in Loop: Header=BB285_678 Depth=1
	s_wait_alu 0xfffe
	s_or_b32 exec_lo, exec_lo, s15
	s_delay_alu instid0(SALU_CYCLE_1)
	s_mov_b32 s15, exec_lo
	v_cmpx_lt_u32_e32 0xffffff, v9
	s_cbranch_execz .LBB285_1239
; %bb.1232:                             ;   in Loop: Header=BB285_678 Depth=1
	v_lshrrev_b32_e32 v1, 24, v9
	v_bfrev_b32_e32 v61, 1
	s_mov_b32 s17, exec_lo
	s_delay_alu instid0(VALU_DEP_2)
	v_cmpx_ne_u32_e32 0x80, v1
	s_cbranch_execz .LBB285_1238
; %bb.1233:                             ;   in Loop: Header=BB285_678 Depth=1
	v_and_b32_e32 v64, 0x7f, v1
	v_mov_b32_e32 v61, 0x7c010000
	s_mov_b32 s18, exec_lo
	s_delay_alu instid0(VALU_DEP_2)
	v_cmpx_ne_u32_e32 0x7f, v64
	s_cbranch_execz .LBB285_1237
; %bb.1234:                             ;   in Loop: Header=BB285_678 Depth=1
	v_and_b32_e32 v61, 7, v1
	v_lshrrev_b32_e32 v63, 3, v64
	s_mov_b32 s19, exec_lo
	v_cmpx_gt_u32_e32 8, v64
; %bb.1235:                             ;   in Loop: Header=BB285_678 Depth=1
	s_delay_alu instid0(VALU_DEP_3) | instskip(NEXT) | instid1(VALU_DEP_1)
	v_clz_i32_u32_e32 v61, v61
	v_min_u32_e32 v61, 32, v61
	s_delay_alu instid0(VALU_DEP_1) | instskip(NEXT) | instid1(VALU_DEP_1)
	v_subrev_nc_u32_e32 v63, 28, v61
	v_lshlrev_b64_e32 v[64:65], v63, v[1:2]
	v_sub_nc_u32_e32 v63, 29, v61
	s_delay_alu instid0(VALU_DEP_2)
	v_and_b32_e32 v61, 7, v64
; %bb.1236:                             ;   in Loop: Header=BB285_678 Depth=1
	s_wait_alu 0xfffe
	s_or_b32 exec_lo, exec_lo, s19
	v_lshlrev_b32_e32 v1, 8, v1
	v_lshl_add_u32 v63, v63, 10, 0x2000
	v_lshlrev_b32_e32 v61, 23, v61
	s_delay_alu instid0(VALU_DEP_2) | instskip(NEXT) | instid1(VALU_DEP_1)
	v_and_or_b32 v1, 0x8000, v1, v63
	v_lshl_or_b32 v61, v1, 16, v61
.LBB285_1237:                           ;   in Loop: Header=BB285_678 Depth=1
	s_wait_alu 0xfffe
	s_or_b32 exec_lo, exec_lo, s18
.LBB285_1238:                           ;   in Loop: Header=BB285_678 Depth=1
	s_wait_alu 0xfffe
	s_or_b32 exec_lo, exec_lo, s17
.LBB285_1239:                           ;   in Loop: Header=BB285_678 Depth=1
	s_wait_alu 0xfffe
	s_or_b32 exec_lo, exec_lo, s15
	v_dual_mov_b32 v64, 0 :: v_dual_and_b32 v65, 0xff, v10
	v_mov_b32_e32 v1, v10
	v_mov_b32_e32 v63, 0
	s_mov_b32 s15, exec_lo
	s_delay_alu instid0(VALU_DEP_3)
	v_cmpx_ne_u16_e32 0, v65
	s_cbranch_execz .LBB285_1247
; %bb.1240:                             ;   in Loop: Header=BB285_678 Depth=1
	v_mov_b32_e32 v64, 0x8000
	s_mov_b32 s17, exec_lo
	v_cmpx_ne_u16_e32 0x80, v65
	s_cbranch_execz .LBB285_1246
; %bb.1241:                             ;   in Loop: Header=BB285_678 Depth=1
	v_and_b32_e32 v66, 0x7f, v10
	v_mov_b32_e32 v64, 0x7c01
	s_mov_b32 s18, exec_lo
	s_delay_alu instid0(VALU_DEP_2)
	v_cmpx_ne_u32_e32 0x7f, v66
	s_cbranch_execz .LBB285_1245
; %bb.1242:                             ;   in Loop: Header=BB285_678 Depth=1
	v_and_b32_e32 v64, 7, v10
	v_lshrrev_b32_e32 v65, 3, v66
	s_mov_b32 s19, exec_lo
	v_cmpx_gt_u32_e32 8, v66
; %bb.1243:                             ;   in Loop: Header=BB285_678 Depth=1
	s_delay_alu instid0(VALU_DEP_3) | instskip(NEXT) | instid1(VALU_DEP_1)
	v_clz_i32_u32_e32 v64, v64
	v_min_u32_e32 v66, 32, v64
	s_delay_alu instid0(VALU_DEP_1) | instskip(NEXT) | instid1(VALU_DEP_1)
	v_subrev_nc_u32_e32 v64, 28, v66
	v_lshlrev_b64_e32 v[64:65], v64, v[1:2]
	v_sub_nc_u32_e32 v65, 29, v66
	s_delay_alu instid0(VALU_DEP_2)
	v_and_b32_e32 v64, 7, v64
; %bb.1244:                             ;   in Loop: Header=BB285_678 Depth=1
	s_wait_alu 0xfffe
	s_or_b32 exec_lo, exec_lo, s19
	v_lshlrev_b32_e32 v66, 8, v10
	v_lshl_add_u32 v65, v65, 10, 0x2000
	v_lshlrev_b32_e32 v64, 7, v64
	s_delay_alu instid0(VALU_DEP_3) | instskip(NEXT) | instid1(VALU_DEP_3)
	v_and_b32_e32 v66, 0x8000, v66
	v_and_b32_e32 v65, 0xfc00, v65
	s_delay_alu instid0(VALU_DEP_1)
	v_or3_b32 v64, v66, v65, v64
.LBB285_1245:                           ;   in Loop: Header=BB285_678 Depth=1
	s_wait_alu 0xfffe
	s_or_b32 exec_lo, exec_lo, s18
.LBB285_1246:                           ;   in Loop: Header=BB285_678 Depth=1
	s_wait_alu 0xfffe
	s_or_b32 exec_lo, exec_lo, s17
.LBB285_1247:                           ;   in Loop: Header=BB285_678 Depth=1
	s_wait_alu 0xfffe
	s_or_b32 exec_lo, exec_lo, s15
	v_lshrrev_b16 v1, 8, v1
	v_mov_b32_e32 v65, 0
	s_mov_b32 s15, exec_lo
	s_delay_alu instid0(VALU_DEP_2)
	v_cmpx_ne_u16_e32 0, v1
	s_cbranch_execz .LBB285_1255
; %bb.1248:                             ;   in Loop: Header=BB285_678 Depth=1
	v_bfrev_b32_e32 v65, 1
	s_mov_b32 s17, exec_lo
	v_cmpx_ne_u16_e32 0x80, v1
	s_cbranch_execz .LBB285_1254
; %bb.1249:                             ;   in Loop: Header=BB285_678 Depth=1
	v_and_b32_e32 v66, 0xffff, v1
	v_mov_b32_e32 v65, 0x7c010000
	s_mov_b32 s18, exec_lo
	s_delay_alu instid0(VALU_DEP_2) | instskip(NEXT) | instid1(VALU_DEP_1)
	v_and_b32_e32 v68, 0x7f, v66
	v_cmpx_ne_u32_e32 0x7f, v68
	s_cbranch_execz .LBB285_1253
; %bb.1250:                             ;   in Loop: Header=BB285_678 Depth=1
	v_and_b32_e32 v65, 7, v66
	v_lshrrev_b32_e32 v67, 3, v68
	s_mov_b32 s19, exec_lo
	v_cmpx_gt_u32_e32 8, v68
; %bb.1251:                             ;   in Loop: Header=BB285_678 Depth=1
	s_delay_alu instid0(VALU_DEP_3) | instskip(NEXT) | instid1(VALU_DEP_1)
	v_clz_i32_u32_e32 v65, v65
	v_min_u32_e32 v65, 32, v65
	s_delay_alu instid0(VALU_DEP_1) | instskip(NEXT) | instid1(VALU_DEP_1)
	v_subrev_nc_u32_e32 v67, 28, v65
	v_lshlrev_b64_e32 v[68:69], v67, v[1:2]
	v_sub_nc_u32_e32 v67, 29, v65
	s_delay_alu instid0(VALU_DEP_2)
	v_and_b32_e32 v65, 7, v68
; %bb.1252:                             ;   in Loop: Header=BB285_678 Depth=1
	s_wait_alu 0xfffe
	s_or_b32 exec_lo, exec_lo, s19
	v_lshlrev_b32_e32 v1, 8, v66
	v_lshl_add_u32 v66, v67, 10, 0x2000
	v_lshlrev_b32_e32 v65, 23, v65
	s_delay_alu instid0(VALU_DEP_2) | instskip(NEXT) | instid1(VALU_DEP_1)
	v_and_or_b32 v1, 0x8000, v1, v66
	v_lshl_or_b32 v65, v1, 16, v65
.LBB285_1253:                           ;   in Loop: Header=BB285_678 Depth=1
	s_wait_alu 0xfffe
	s_or_b32 exec_lo, exec_lo, s18
.LBB285_1254:                           ;   in Loop: Header=BB285_678 Depth=1
	s_wait_alu 0xfffe
	s_or_b32 exec_lo, exec_lo, s17
.LBB285_1255:                           ;   in Loop: Header=BB285_678 Depth=1
	s_wait_alu 0xfffe
	s_or_b32 exec_lo, exec_lo, s15
	v_lshrrev_b32_e32 v1, 16, v10
	s_mov_b32 s15, exec_lo
	s_delay_alu instid0(VALU_DEP_1) | instskip(NEXT) | instid1(VALU_DEP_1)
	v_and_b32_e32 v66, 0xff, v1
	v_cmpx_ne_u16_e32 0, v66
	s_cbranch_execz .LBB285_1263
; %bb.1256:                             ;   in Loop: Header=BB285_678 Depth=1
	v_mov_b32_e32 v63, 0x8000
	s_mov_b32 s17, exec_lo
	v_cmpx_ne_u16_e32 0x80, v66
	s_cbranch_execz .LBB285_1262
; %bb.1257:                             ;   in Loop: Header=BB285_678 Depth=1
	v_bfe_u32 v67, v10, 16, 7
	v_mov_b32_e32 v63, 0x7c01
	s_mov_b32 s18, exec_lo
	s_delay_alu instid0(VALU_DEP_2)
	v_cmpx_ne_u32_e32 0x7f, v67
	s_cbranch_execz .LBB285_1261
; %bb.1258:                             ;   in Loop: Header=BB285_678 Depth=1
	v_and_b32_e32 v63, 7, v1
	v_lshrrev_b32_e32 v66, 3, v67
	s_mov_b32 s19, exec_lo
	v_cmpx_gt_u32_e32 8, v67
; %bb.1259:                             ;   in Loop: Header=BB285_678 Depth=1
	s_delay_alu instid0(VALU_DEP_3) | instskip(NEXT) | instid1(VALU_DEP_1)
	v_clz_i32_u32_e32 v63, v63
	v_min_u32_e32 v63, 32, v63
	s_delay_alu instid0(VALU_DEP_1) | instskip(NEXT) | instid1(VALU_DEP_1)
	v_subrev_nc_u32_e32 v66, 28, v63
	v_lshlrev_b64_e32 v[67:68], v66, v[1:2]
	v_sub_nc_u32_e32 v66, 29, v63
	s_delay_alu instid0(VALU_DEP_2)
	v_and_b32_e32 v63, 7, v67
; %bb.1260:                             ;   in Loop: Header=BB285_678 Depth=1
	s_wait_alu 0xfffe
	s_or_b32 exec_lo, exec_lo, s19
	v_lshlrev_b32_e32 v1, 8, v1
	v_lshl_add_u32 v66, v66, 10, 0x2000
	v_lshlrev_b32_e32 v63, 7, v63
	s_delay_alu instid0(VALU_DEP_3) | instskip(NEXT) | instid1(VALU_DEP_3)
	v_and_b32_e32 v1, 0x8000, v1
	v_and_b32_e32 v66, 0xfc00, v66
	s_delay_alu instid0(VALU_DEP_1)
	v_or3_b32 v63, v1, v66, v63
.LBB285_1261:                           ;   in Loop: Header=BB285_678 Depth=1
	s_wait_alu 0xfffe
	s_or_b32 exec_lo, exec_lo, s18
.LBB285_1262:                           ;   in Loop: Header=BB285_678 Depth=1
	s_wait_alu 0xfffe
	s_or_b32 exec_lo, exec_lo, s17
.LBB285_1263:                           ;   in Loop: Header=BB285_678 Depth=1
	s_wait_alu 0xfffe
	s_or_b32 exec_lo, exec_lo, s15
	v_cmp_lt_u64_e64 s0, s[2:3], v[9:10]
	v_mov_b32_e32 v9, 0
	s_and_saveexec_b32 s15, s0
	s_cbranch_execz .LBB285_1271
; %bb.1264:                             ;   in Loop: Header=BB285_678 Depth=1
	v_lshrrev_b32_e32 v1, 24, v10
	v_bfrev_b32_e32 v9, 1
	s_mov_b32 s17, exec_lo
	s_delay_alu instid0(VALU_DEP_2)
	v_cmpx_ne_u32_e32 0x80, v1
	s_cbranch_execz .LBB285_1270
; %bb.1265:                             ;   in Loop: Header=BB285_678 Depth=1
	v_and_b32_e32 v66, 0x7f, v1
	v_mov_b32_e32 v9, 0x7c010000
	s_mov_b32 s18, exec_lo
	s_delay_alu instid0(VALU_DEP_2)
	v_cmpx_ne_u32_e32 0x7f, v66
	s_cbranch_execz .LBB285_1269
; %bb.1266:                             ;   in Loop: Header=BB285_678 Depth=1
	v_and_b32_e32 v9, 7, v1
	v_lshrrev_b32_e32 v10, 3, v66
	s_mov_b32 s19, exec_lo
	v_cmpx_gt_u32_e32 8, v66
; %bb.1267:                             ;   in Loop: Header=BB285_678 Depth=1
	s_delay_alu instid0(VALU_DEP_3) | instskip(NEXT) | instid1(VALU_DEP_1)
	v_clz_i32_u32_e32 v9, v9
	v_min_u32_e32 v66, 32, v9
	s_delay_alu instid0(VALU_DEP_1) | instskip(NEXT) | instid1(VALU_DEP_1)
	v_subrev_nc_u32_e32 v9, 28, v66
	v_lshlrev_b64_e32 v[9:10], v9, v[1:2]
	v_sub_nc_u32_e32 v10, 29, v66
	s_delay_alu instid0(VALU_DEP_2)
	v_and_b32_e32 v9, 7, v9
; %bb.1268:                             ;   in Loop: Header=BB285_678 Depth=1
	s_wait_alu 0xfffe
	s_or_b32 exec_lo, exec_lo, s19
	v_lshlrev_b32_e32 v1, 8, v1
	v_lshl_add_u32 v10, v10, 10, 0x2000
	v_lshlrev_b32_e32 v9, 23, v9
	s_delay_alu instid0(VALU_DEP_2) | instskip(NEXT) | instid1(VALU_DEP_1)
	v_and_or_b32 v1, 0x8000, v1, v10
	v_lshl_or_b32 v9, v1, 16, v9
.LBB285_1269:                           ;   in Loop: Header=BB285_678 Depth=1
	s_wait_alu 0xfffe
	s_or_b32 exec_lo, exec_lo, s18
.LBB285_1270:                           ;   in Loop: Header=BB285_678 Depth=1
	s_wait_alu 0xfffe
	s_or_b32 exec_lo, exec_lo, s17
.LBB285_1271:                           ;   in Loop: Header=BB285_678 Depth=1
	s_wait_alu 0xfffe
	s_or_b32 exec_lo, exec_lo, s15
	v_or_b32_e32 v1, v61, v62
	s_wait_loadcnt 0x0
	v_fma_mixlo_f16 v10, v58, v61, 0 op_sel:[0,1,0] op_sel_hi:[0,1,0]
	v_or_b32_e32 v61, v59, v60
	v_fma_mixlo_f16 v59, v58, v59, 0 op_sel:[0,1,0] op_sel_hi:[0,1,0]
	v_or_b32_e32 v62, v65, v64
	v_or_b32_e32 v63, v9, v63
	v_fma_mixlo_f16 v64, v58, v1, 0 op_sel_hi:[0,1,0]
	v_fma_mixlo_f16 v9, v58, v9, 0 op_sel:[0,1,0] op_sel_hi:[0,1,0]
	v_lshlrev_b32_e32 v60, 16, v59
	v_fma_mixlo_f16 v59, v58, v61, 0 op_sel_hi:[0,1,0]
	v_fma_mixlo_f16 v61, v58, v65, 0 op_sel:[0,1,0] op_sel_hi:[0,1,0]
	v_fma_mixlo_f16 v62, v58, v62, 0 op_sel_hi:[0,1,0]
	v_fma_mixlo_f16 v63, v58, v63, 0 op_sel_hi:[0,1,0]
	v_lshlrev_b32_e32 v1, 16, v10
	v_and_b32_e32 v10, 0xffff, v64
	v_and_b32_e32 v66, 0xffff, v59
	v_lshlrev_b32_e32 v58, 16, v61
	v_and_b32_e32 v62, 0xffff, v62
	v_lshlrev_b32_e32 v9, 16, v9
	v_and_b32_e32 v59, 0xffff, v63
	v_or_b32_e32 v61, v1, v10
	v_or_b32_e32 v65, v60, v66
	;; [unrolled: 1-line block ×3, first 2 shown]
	s_delay_alu instid0(VALU_DEP_4)
	v_or_b32_e32 v63, v9, v59
	s_and_saveexec_b32 s15, vcc_lo
	s_cbranch_execz .LBB285_1273
; %bb.1272:                             ;   in Loop: Header=BB285_678 Depth=1
	v_cmp_gt_i32_e64 s0, s34, v30
	s_wait_alu 0xf1ff
	s_delay_alu instid0(VALU_DEP_1) | instskip(SKIP_2) | instid1(VALU_DEP_1)
	v_cndmask_b32_e64 v61, 0, v66, s0
	v_cmp_gt_i32_e64 s0, s34, v42
	s_wait_alu 0xf1ff
	v_cndmask_b32_e64 v60, 0, v60, s0
	v_cmp_gt_i32_e64 s0, s34, v40
	s_delay_alu instid0(VALU_DEP_2) | instskip(SKIP_1) | instid1(VALU_DEP_2)
	v_or_b32_e32 v65, v60, v61
	s_wait_alu 0xf1ff
	v_cndmask_b32_e64 v10, 0, v10, s0
	v_cmp_gt_i32_e64 s0, s34, v38
	s_wait_alu 0xf1ff
	s_delay_alu instid0(VALU_DEP_1) | instskip(SKIP_1) | instid1(VALU_DEP_2)
	v_cndmask_b32_e64 v1, 0, v1, s0
	v_cmp_gt_i32_e64 s0, s34, v36
	v_or_b32_e32 v61, v1, v10
	s_wait_alu 0xf1ff
	s_delay_alu instid0(VALU_DEP_2) | instskip(SKIP_2) | instid1(VALU_DEP_1)
	v_cndmask_b32_e64 v62, 0, v62, s0
	v_cmp_gt_i32_e64 s0, s34, v34
	s_wait_alu 0xf1ff
	v_cndmask_b32_e64 v58, 0, v58, s0
	v_cmp_gt_i32_e64 s0, s34, v32
	s_delay_alu instid0(VALU_DEP_2) | instskip(SKIP_1) | instid1(VALU_DEP_2)
	v_or_b32_e32 v64, v58, v62
	s_wait_alu 0xf1ff
	v_cndmask_b32_e64 v59, 0, v59, s0
	v_cmp_gt_i32_e64 s0, s34, v31
	s_wait_alu 0xf1ff
	s_delay_alu instid0(VALU_DEP_1) | instskip(NEXT) | instid1(VALU_DEP_1)
	v_cndmask_b32_e64 v9, 0, v9, s0
	v_or_b32_e32 v63, v9, v59
.LBB285_1273:                           ;   in Loop: Header=BB285_678 Depth=1
	s_wait_alu 0xfffe
	s_or_b32 exec_lo, exec_lo, s15
	;;#ASMSTART
	v_pk_mul_f16 v1, v43, v65;

	;;#ASMEND
	;;#ASMSTART
	v_pk_mul_f16 v9, v41, v61;

	;;#ASMEND
	;; [unrolled: 4-line block ×4, first 2 shown]
	;;#ASMSTART
	v_pk_add_f16 v1, v1, v9;

	;;#ASMEND
	;;#ASMSTART
	v_pk_add_f16 v1, v1, v10;

	;;#ASMEND
	;; [unrolled: 4-line block ×3, first 2 shown]
	v_dual_mov_b32 v60, 0 :: v_dual_and_b32 v9, 0xffff, v1
	v_lshrrev_b32_e32 v1, 16, v1
	;;#ASMSTART
	v_cvt_f32_f16 v9, v9;
	;;#ASMEND
	;;#ASMSTART
	v_cvt_f32_f16 v10, v1;
	;;#ASMEND
	global_load_b64 v[7:8], v[7:8], off offset:2304
	v_mov_b32_e32 v59, 0
	s_mov_b32 s15, exec_lo
	global_load_b32 v58, v59, s[10:11]
	s_wait_loadcnt 0x1
	v_and_b32_e32 v1, 0xff, v7
	s_delay_alu instid0(VALU_DEP_1)
	v_cmpx_ne_u16_e32 0, v1
	s_cbranch_execz .LBB285_1281
; %bb.1274:                             ;   in Loop: Header=BB285_678 Depth=1
	v_mov_b32_e32 v60, 0x8000
	s_mov_b32 s17, exec_lo
	v_cmpx_ne_u16_e32 0x80, v1
	s_cbranch_execz .LBB285_1280
; %bb.1275:                             ;   in Loop: Header=BB285_678 Depth=1
	v_and_b32_e32 v61, 0x7f, v7
	v_mov_b32_e32 v60, 0x7c01
	s_mov_b32 s18, exec_lo
	s_delay_alu instid0(VALU_DEP_2)
	v_cmpx_ne_u32_e32 0x7f, v61
	s_cbranch_execz .LBB285_1279
; %bb.1276:                             ;   in Loop: Header=BB285_678 Depth=1
	v_and_b32_e32 v1, 7, v7
	v_lshrrev_b32_e32 v60, 3, v61
	s_mov_b32 s19, exec_lo
	v_cmpx_gt_u32_e32 8, v61
; %bb.1277:                             ;   in Loop: Header=BB285_678 Depth=1
	s_delay_alu instid0(VALU_DEP_3) | instskip(NEXT) | instid1(VALU_DEP_1)
	v_clz_i32_u32_e32 v1, v1
	v_min_u32_e32 v1, 32, v1
	s_delay_alu instid0(VALU_DEP_1) | instskip(NEXT) | instid1(VALU_DEP_1)
	v_subrev_nc_u32_e32 v60, 28, v1
	v_lshlrev_b64_e32 v[61:62], v60, v[7:8]
	v_sub_nc_u32_e32 v60, 29, v1
	s_delay_alu instid0(VALU_DEP_2)
	v_and_b32_e32 v1, 7, v61
; %bb.1278:                             ;   in Loop: Header=BB285_678 Depth=1
	s_wait_alu 0xfffe
	s_or_b32 exec_lo, exec_lo, s19
	v_lshlrev_b32_e32 v61, 8, v7
	v_lshl_add_u32 v60, v60, 10, 0x2000
	v_lshlrev_b32_e32 v1, 7, v1
	s_delay_alu instid0(VALU_DEP_3) | instskip(NEXT) | instid1(VALU_DEP_3)
	v_and_b32_e32 v61, 0x8000, v61
	v_and_b32_e32 v60, 0xfc00, v60
	s_delay_alu instid0(VALU_DEP_1)
	v_or3_b32 v60, v61, v60, v1
.LBB285_1279:                           ;   in Loop: Header=BB285_678 Depth=1
	s_wait_alu 0xfffe
	s_or_b32 exec_lo, exec_lo, s18
.LBB285_1280:                           ;   in Loop: Header=BB285_678 Depth=1
	s_wait_alu 0xfffe
	s_or_b32 exec_lo, exec_lo, s17
.LBB285_1281:                           ;   in Loop: Header=BB285_678 Depth=1
	s_wait_alu 0xfffe
	s_or_b32 exec_lo, exec_lo, s15
	v_lshrrev_b16 v1, 8, v7
	s_mov_b32 s15, exec_lo
	s_delay_alu instid0(VALU_DEP_1)
	v_cmpx_ne_u16_e32 0, v1
	s_cbranch_execz .LBB285_1289
; %bb.1282:                             ;   in Loop: Header=BB285_678 Depth=1
	v_bfrev_b32_e32 v59, 1
	s_mov_b32 s17, exec_lo
	v_cmpx_ne_u16_e32 0x80, v1
	s_cbranch_execz .LBB285_1288
; %bb.1283:                             ;   in Loop: Header=BB285_678 Depth=1
	v_and_b32_e32 v61, 0xffff, v1
	v_mov_b32_e32 v59, 0x7c010000
	s_mov_b32 s18, exec_lo
	s_delay_alu instid0(VALU_DEP_2) | instskip(NEXT) | instid1(VALU_DEP_1)
	v_and_b32_e32 v63, 0x7f, v61
	v_cmpx_ne_u32_e32 0x7f, v63
	s_cbranch_execz .LBB285_1287
; %bb.1284:                             ;   in Loop: Header=BB285_678 Depth=1
	v_and_b32_e32 v59, 7, v61
	v_lshrrev_b32_e32 v62, 3, v63
	s_mov_b32 s19, exec_lo
	v_cmpx_gt_u32_e32 8, v63
; %bb.1285:                             ;   in Loop: Header=BB285_678 Depth=1
	s_delay_alu instid0(VALU_DEP_3) | instskip(NEXT) | instid1(VALU_DEP_1)
	v_clz_i32_u32_e32 v59, v59
	v_min_u32_e32 v59, 32, v59
	s_delay_alu instid0(VALU_DEP_1) | instskip(NEXT) | instid1(VALU_DEP_1)
	v_subrev_nc_u32_e32 v62, 28, v59
	v_lshlrev_b64_e32 v[63:64], v62, v[1:2]
	v_sub_nc_u32_e32 v62, 29, v59
	s_delay_alu instid0(VALU_DEP_2)
	v_and_b32_e32 v59, 7, v63
; %bb.1286:                             ;   in Loop: Header=BB285_678 Depth=1
	s_wait_alu 0xfffe
	s_or_b32 exec_lo, exec_lo, s19
	v_lshlrev_b32_e32 v1, 8, v61
	v_lshl_add_u32 v61, v62, 10, 0x2000
	v_lshlrev_b32_e32 v59, 23, v59
	s_delay_alu instid0(VALU_DEP_2) | instskip(NEXT) | instid1(VALU_DEP_1)
	v_and_or_b32 v1, 0x8000, v1, v61
	v_lshl_or_b32 v59, v1, 16, v59
.LBB285_1287:                           ;   in Loop: Header=BB285_678 Depth=1
	s_wait_alu 0xfffe
	s_or_b32 exec_lo, exec_lo, s18
.LBB285_1288:                           ;   in Loop: Header=BB285_678 Depth=1
	s_wait_alu 0xfffe
	s_or_b32 exec_lo, exec_lo, s17
.LBB285_1289:                           ;   in Loop: Header=BB285_678 Depth=1
	s_wait_alu 0xfffe
	s_or_b32 exec_lo, exec_lo, s15
	v_lshrrev_b32_e32 v1, 16, v7
	v_mov_b32_e32 v61, 0
	s_mov_b32 s15, exec_lo
	s_delay_alu instid0(VALU_DEP_2) | instskip(NEXT) | instid1(VALU_DEP_1)
	v_dual_mov_b32 v62, 0 :: v_dual_and_b32 v63, 0xff, v1
	v_cmpx_ne_u16_e32 0, v63
	s_cbranch_execz .LBB285_1297
; %bb.1290:                             ;   in Loop: Header=BB285_678 Depth=1
	v_mov_b32_e32 v62, 0x8000
	s_mov_b32 s17, exec_lo
	v_cmpx_ne_u16_e32 0x80, v63
	s_cbranch_execz .LBB285_1296
; %bb.1291:                             ;   in Loop: Header=BB285_678 Depth=1
	v_bfe_u32 v64, v7, 16, 7
	v_mov_b32_e32 v62, 0x7c01
	s_mov_b32 s18, exec_lo
	s_delay_alu instid0(VALU_DEP_2)
	v_cmpx_ne_u32_e32 0x7f, v64
	s_cbranch_execz .LBB285_1295
; %bb.1292:                             ;   in Loop: Header=BB285_678 Depth=1
	v_and_b32_e32 v62, 7, v1
	v_lshrrev_b32_e32 v63, 3, v64
	s_mov_b32 s19, exec_lo
	v_cmpx_gt_u32_e32 8, v64
; %bb.1293:                             ;   in Loop: Header=BB285_678 Depth=1
	s_delay_alu instid0(VALU_DEP_3) | instskip(NEXT) | instid1(VALU_DEP_1)
	v_clz_i32_u32_e32 v62, v62
	v_min_u32_e32 v64, 32, v62
	s_delay_alu instid0(VALU_DEP_1) | instskip(NEXT) | instid1(VALU_DEP_1)
	v_subrev_nc_u32_e32 v62, 28, v64
	v_lshlrev_b64_e32 v[62:63], v62, v[1:2]
	v_sub_nc_u32_e32 v63, 29, v64
	s_delay_alu instid0(VALU_DEP_2)
	v_and_b32_e32 v62, 7, v62
; %bb.1294:                             ;   in Loop: Header=BB285_678 Depth=1
	s_wait_alu 0xfffe
	s_or_b32 exec_lo, exec_lo, s19
	v_lshlrev_b32_e32 v1, 8, v1
	v_lshl_add_u32 v63, v63, 10, 0x2000
	v_lshlrev_b32_e32 v62, 7, v62
	s_delay_alu instid0(VALU_DEP_3) | instskip(NEXT) | instid1(VALU_DEP_3)
	v_and_b32_e32 v1, 0x8000, v1
	v_and_b32_e32 v63, 0xfc00, v63
	s_delay_alu instid0(VALU_DEP_1)
	v_or3_b32 v62, v1, v63, v62
.LBB285_1295:                           ;   in Loop: Header=BB285_678 Depth=1
	s_wait_alu 0xfffe
	s_or_b32 exec_lo, exec_lo, s18
.LBB285_1296:                           ;   in Loop: Header=BB285_678 Depth=1
	s_wait_alu 0xfffe
	s_or_b32 exec_lo, exec_lo, s17
.LBB285_1297:                           ;   in Loop: Header=BB285_678 Depth=1
	s_wait_alu 0xfffe
	s_or_b32 exec_lo, exec_lo, s15
	s_delay_alu instid0(SALU_CYCLE_1)
	s_mov_b32 s15, exec_lo
	v_cmpx_lt_u32_e32 0xffffff, v7
	s_cbranch_execz .LBB285_1305
; %bb.1298:                             ;   in Loop: Header=BB285_678 Depth=1
	v_lshrrev_b32_e32 v1, 24, v7
	v_bfrev_b32_e32 v61, 1
	s_mov_b32 s17, exec_lo
	s_delay_alu instid0(VALU_DEP_2)
	v_cmpx_ne_u32_e32 0x80, v1
	s_cbranch_execz .LBB285_1304
; %bb.1299:                             ;   in Loop: Header=BB285_678 Depth=1
	v_and_b32_e32 v64, 0x7f, v1
	v_mov_b32_e32 v61, 0x7c010000
	s_mov_b32 s18, exec_lo
	s_delay_alu instid0(VALU_DEP_2)
	v_cmpx_ne_u32_e32 0x7f, v64
	s_cbranch_execz .LBB285_1303
; %bb.1300:                             ;   in Loop: Header=BB285_678 Depth=1
	v_and_b32_e32 v61, 7, v1
	v_lshrrev_b32_e32 v63, 3, v64
	s_mov_b32 s19, exec_lo
	v_cmpx_gt_u32_e32 8, v64
; %bb.1301:                             ;   in Loop: Header=BB285_678 Depth=1
	s_delay_alu instid0(VALU_DEP_3) | instskip(NEXT) | instid1(VALU_DEP_1)
	v_clz_i32_u32_e32 v61, v61
	v_min_u32_e32 v61, 32, v61
	s_delay_alu instid0(VALU_DEP_1) | instskip(NEXT) | instid1(VALU_DEP_1)
	v_subrev_nc_u32_e32 v63, 28, v61
	v_lshlrev_b64_e32 v[64:65], v63, v[1:2]
	v_sub_nc_u32_e32 v63, 29, v61
	s_delay_alu instid0(VALU_DEP_2)
	v_and_b32_e32 v61, 7, v64
; %bb.1302:                             ;   in Loop: Header=BB285_678 Depth=1
	s_wait_alu 0xfffe
	s_or_b32 exec_lo, exec_lo, s19
	v_lshlrev_b32_e32 v1, 8, v1
	v_lshl_add_u32 v63, v63, 10, 0x2000
	v_lshlrev_b32_e32 v61, 23, v61
	s_delay_alu instid0(VALU_DEP_2) | instskip(NEXT) | instid1(VALU_DEP_1)
	v_and_or_b32 v1, 0x8000, v1, v63
	v_lshl_or_b32 v61, v1, 16, v61
.LBB285_1303:                           ;   in Loop: Header=BB285_678 Depth=1
	s_wait_alu 0xfffe
	s_or_b32 exec_lo, exec_lo, s18
.LBB285_1304:                           ;   in Loop: Header=BB285_678 Depth=1
	s_wait_alu 0xfffe
	s_or_b32 exec_lo, exec_lo, s17
.LBB285_1305:                           ;   in Loop: Header=BB285_678 Depth=1
	s_wait_alu 0xfffe
	s_or_b32 exec_lo, exec_lo, s15
	v_dual_mov_b32 v64, 0 :: v_dual_and_b32 v65, 0xff, v8
	v_mov_b32_e32 v1, v8
	v_mov_b32_e32 v63, 0
	s_mov_b32 s15, exec_lo
	s_delay_alu instid0(VALU_DEP_3)
	v_cmpx_ne_u16_e32 0, v65
	s_cbranch_execz .LBB285_1313
; %bb.1306:                             ;   in Loop: Header=BB285_678 Depth=1
	v_mov_b32_e32 v64, 0x8000
	s_mov_b32 s17, exec_lo
	v_cmpx_ne_u16_e32 0x80, v65
	s_cbranch_execz .LBB285_1312
; %bb.1307:                             ;   in Loop: Header=BB285_678 Depth=1
	v_and_b32_e32 v66, 0x7f, v8
	v_mov_b32_e32 v64, 0x7c01
	s_mov_b32 s18, exec_lo
	s_delay_alu instid0(VALU_DEP_2)
	v_cmpx_ne_u32_e32 0x7f, v66
	s_cbranch_execz .LBB285_1311
; %bb.1308:                             ;   in Loop: Header=BB285_678 Depth=1
	v_and_b32_e32 v64, 7, v8
	v_lshrrev_b32_e32 v65, 3, v66
	s_mov_b32 s19, exec_lo
	v_cmpx_gt_u32_e32 8, v66
; %bb.1309:                             ;   in Loop: Header=BB285_678 Depth=1
	s_delay_alu instid0(VALU_DEP_3) | instskip(NEXT) | instid1(VALU_DEP_1)
	v_clz_i32_u32_e32 v64, v64
	v_min_u32_e32 v66, 32, v64
	s_delay_alu instid0(VALU_DEP_1) | instskip(NEXT) | instid1(VALU_DEP_1)
	v_subrev_nc_u32_e32 v64, 28, v66
	v_lshlrev_b64_e32 v[64:65], v64, v[1:2]
	v_sub_nc_u32_e32 v65, 29, v66
	s_delay_alu instid0(VALU_DEP_2)
	v_and_b32_e32 v64, 7, v64
; %bb.1310:                             ;   in Loop: Header=BB285_678 Depth=1
	s_wait_alu 0xfffe
	s_or_b32 exec_lo, exec_lo, s19
	v_lshlrev_b32_e32 v66, 8, v8
	v_lshl_add_u32 v65, v65, 10, 0x2000
	v_lshlrev_b32_e32 v64, 7, v64
	s_delay_alu instid0(VALU_DEP_3) | instskip(NEXT) | instid1(VALU_DEP_3)
	v_and_b32_e32 v66, 0x8000, v66
	v_and_b32_e32 v65, 0xfc00, v65
	s_delay_alu instid0(VALU_DEP_1)
	v_or3_b32 v64, v66, v65, v64
.LBB285_1311:                           ;   in Loop: Header=BB285_678 Depth=1
	s_wait_alu 0xfffe
	s_or_b32 exec_lo, exec_lo, s18
.LBB285_1312:                           ;   in Loop: Header=BB285_678 Depth=1
	s_wait_alu 0xfffe
	s_or_b32 exec_lo, exec_lo, s17
.LBB285_1313:                           ;   in Loop: Header=BB285_678 Depth=1
	s_wait_alu 0xfffe
	s_or_b32 exec_lo, exec_lo, s15
	v_lshrrev_b16 v1, 8, v1
	v_mov_b32_e32 v65, 0
	s_mov_b32 s15, exec_lo
	s_delay_alu instid0(VALU_DEP_2)
	v_cmpx_ne_u16_e32 0, v1
	s_cbranch_execz .LBB285_1321
; %bb.1314:                             ;   in Loop: Header=BB285_678 Depth=1
	v_bfrev_b32_e32 v65, 1
	s_mov_b32 s17, exec_lo
	v_cmpx_ne_u16_e32 0x80, v1
	s_cbranch_execz .LBB285_1320
; %bb.1315:                             ;   in Loop: Header=BB285_678 Depth=1
	v_and_b32_e32 v66, 0xffff, v1
	v_mov_b32_e32 v65, 0x7c010000
	s_mov_b32 s18, exec_lo
	s_delay_alu instid0(VALU_DEP_2) | instskip(NEXT) | instid1(VALU_DEP_1)
	v_and_b32_e32 v68, 0x7f, v66
	v_cmpx_ne_u32_e32 0x7f, v68
	s_cbranch_execz .LBB285_1319
; %bb.1316:                             ;   in Loop: Header=BB285_678 Depth=1
	v_and_b32_e32 v65, 7, v66
	v_lshrrev_b32_e32 v67, 3, v68
	s_mov_b32 s19, exec_lo
	v_cmpx_gt_u32_e32 8, v68
; %bb.1317:                             ;   in Loop: Header=BB285_678 Depth=1
	s_delay_alu instid0(VALU_DEP_3) | instskip(NEXT) | instid1(VALU_DEP_1)
	v_clz_i32_u32_e32 v65, v65
	v_min_u32_e32 v65, 32, v65
	s_delay_alu instid0(VALU_DEP_1) | instskip(NEXT) | instid1(VALU_DEP_1)
	v_subrev_nc_u32_e32 v67, 28, v65
	v_lshlrev_b64_e32 v[68:69], v67, v[1:2]
	v_sub_nc_u32_e32 v67, 29, v65
	s_delay_alu instid0(VALU_DEP_2)
	v_and_b32_e32 v65, 7, v68
; %bb.1318:                             ;   in Loop: Header=BB285_678 Depth=1
	s_wait_alu 0xfffe
	s_or_b32 exec_lo, exec_lo, s19
	v_lshlrev_b32_e32 v1, 8, v66
	v_lshl_add_u32 v66, v67, 10, 0x2000
	v_lshlrev_b32_e32 v65, 23, v65
	s_delay_alu instid0(VALU_DEP_2) | instskip(NEXT) | instid1(VALU_DEP_1)
	v_and_or_b32 v1, 0x8000, v1, v66
	v_lshl_or_b32 v65, v1, 16, v65
.LBB285_1319:                           ;   in Loop: Header=BB285_678 Depth=1
	s_wait_alu 0xfffe
	s_or_b32 exec_lo, exec_lo, s18
.LBB285_1320:                           ;   in Loop: Header=BB285_678 Depth=1
	s_wait_alu 0xfffe
	s_or_b32 exec_lo, exec_lo, s17
.LBB285_1321:                           ;   in Loop: Header=BB285_678 Depth=1
	s_wait_alu 0xfffe
	s_or_b32 exec_lo, exec_lo, s15
	v_lshrrev_b32_e32 v1, 16, v8
	s_mov_b32 s15, exec_lo
	s_delay_alu instid0(VALU_DEP_1) | instskip(NEXT) | instid1(VALU_DEP_1)
	v_and_b32_e32 v66, 0xff, v1
	v_cmpx_ne_u16_e32 0, v66
	s_cbranch_execz .LBB285_1329
; %bb.1322:                             ;   in Loop: Header=BB285_678 Depth=1
	v_mov_b32_e32 v63, 0x8000
	s_mov_b32 s17, exec_lo
	v_cmpx_ne_u16_e32 0x80, v66
	s_cbranch_execz .LBB285_1328
; %bb.1323:                             ;   in Loop: Header=BB285_678 Depth=1
	v_bfe_u32 v67, v8, 16, 7
	v_mov_b32_e32 v63, 0x7c01
	s_mov_b32 s18, exec_lo
	s_delay_alu instid0(VALU_DEP_2)
	v_cmpx_ne_u32_e32 0x7f, v67
	s_cbranch_execz .LBB285_1327
; %bb.1324:                             ;   in Loop: Header=BB285_678 Depth=1
	v_and_b32_e32 v63, 7, v1
	v_lshrrev_b32_e32 v66, 3, v67
	s_mov_b32 s19, exec_lo
	v_cmpx_gt_u32_e32 8, v67
; %bb.1325:                             ;   in Loop: Header=BB285_678 Depth=1
	s_delay_alu instid0(VALU_DEP_3) | instskip(NEXT) | instid1(VALU_DEP_1)
	v_clz_i32_u32_e32 v63, v63
	v_min_u32_e32 v63, 32, v63
	s_delay_alu instid0(VALU_DEP_1) | instskip(NEXT) | instid1(VALU_DEP_1)
	v_subrev_nc_u32_e32 v66, 28, v63
	v_lshlrev_b64_e32 v[67:68], v66, v[1:2]
	v_sub_nc_u32_e32 v66, 29, v63
	s_delay_alu instid0(VALU_DEP_2)
	v_and_b32_e32 v63, 7, v67
; %bb.1326:                             ;   in Loop: Header=BB285_678 Depth=1
	s_wait_alu 0xfffe
	s_or_b32 exec_lo, exec_lo, s19
	v_lshlrev_b32_e32 v1, 8, v1
	v_lshl_add_u32 v66, v66, 10, 0x2000
	v_lshlrev_b32_e32 v63, 7, v63
	s_delay_alu instid0(VALU_DEP_3) | instskip(NEXT) | instid1(VALU_DEP_3)
	v_and_b32_e32 v1, 0x8000, v1
	v_and_b32_e32 v66, 0xfc00, v66
	s_delay_alu instid0(VALU_DEP_1)
	v_or3_b32 v63, v1, v66, v63
.LBB285_1327:                           ;   in Loop: Header=BB285_678 Depth=1
	s_wait_alu 0xfffe
	s_or_b32 exec_lo, exec_lo, s18
.LBB285_1328:                           ;   in Loop: Header=BB285_678 Depth=1
	s_wait_alu 0xfffe
	s_or_b32 exec_lo, exec_lo, s17
.LBB285_1329:                           ;   in Loop: Header=BB285_678 Depth=1
	s_wait_alu 0xfffe
	s_or_b32 exec_lo, exec_lo, s15
	v_cmp_lt_u64_e64 s0, s[2:3], v[7:8]
	v_mov_b32_e32 v7, 0
	s_and_saveexec_b32 s15, s0
	s_cbranch_execz .LBB285_1337
; %bb.1330:                             ;   in Loop: Header=BB285_678 Depth=1
	v_lshrrev_b32_e32 v1, 24, v8
	v_bfrev_b32_e32 v7, 1
	s_mov_b32 s17, exec_lo
	s_delay_alu instid0(VALU_DEP_2)
	v_cmpx_ne_u32_e32 0x80, v1
	s_cbranch_execz .LBB285_1336
; %bb.1331:                             ;   in Loop: Header=BB285_678 Depth=1
	v_and_b32_e32 v66, 0x7f, v1
	v_mov_b32_e32 v7, 0x7c010000
	s_mov_b32 s18, exec_lo
	s_delay_alu instid0(VALU_DEP_2)
	v_cmpx_ne_u32_e32 0x7f, v66
	s_cbranch_execz .LBB285_1335
; %bb.1332:                             ;   in Loop: Header=BB285_678 Depth=1
	v_and_b32_e32 v7, 7, v1
	v_lshrrev_b32_e32 v8, 3, v66
	s_mov_b32 s19, exec_lo
	v_cmpx_gt_u32_e32 8, v66
; %bb.1333:                             ;   in Loop: Header=BB285_678 Depth=1
	s_delay_alu instid0(VALU_DEP_3) | instskip(NEXT) | instid1(VALU_DEP_1)
	v_clz_i32_u32_e32 v7, v7
	v_min_u32_e32 v66, 32, v7
	s_delay_alu instid0(VALU_DEP_1) | instskip(NEXT) | instid1(VALU_DEP_1)
	v_subrev_nc_u32_e32 v7, 28, v66
	v_lshlrev_b64_e32 v[7:8], v7, v[1:2]
	v_sub_nc_u32_e32 v8, 29, v66
	s_delay_alu instid0(VALU_DEP_2)
	v_and_b32_e32 v7, 7, v7
; %bb.1334:                             ;   in Loop: Header=BB285_678 Depth=1
	s_wait_alu 0xfffe
	s_or_b32 exec_lo, exec_lo, s19
	v_lshlrev_b32_e32 v1, 8, v1
	v_lshl_add_u32 v8, v8, 10, 0x2000
	v_lshlrev_b32_e32 v7, 23, v7
	s_delay_alu instid0(VALU_DEP_2) | instskip(NEXT) | instid1(VALU_DEP_1)
	v_and_or_b32 v1, 0x8000, v1, v8
	v_lshl_or_b32 v7, v1, 16, v7
.LBB285_1335:                           ;   in Loop: Header=BB285_678 Depth=1
	s_wait_alu 0xfffe
	s_or_b32 exec_lo, exec_lo, s18
.LBB285_1336:                           ;   in Loop: Header=BB285_678 Depth=1
	s_wait_alu 0xfffe
	s_or_b32 exec_lo, exec_lo, s17
.LBB285_1337:                           ;   in Loop: Header=BB285_678 Depth=1
	s_wait_alu 0xfffe
	s_or_b32 exec_lo, exec_lo, s15
	v_or_b32_e32 v1, v61, v62
	s_wait_loadcnt 0x0
	v_fma_mixlo_f16 v8, v58, v61, 0 op_sel:[0,1,0] op_sel_hi:[0,1,0]
	v_or_b32_e32 v60, v59, v60
	v_fma_mixlo_f16 v61, v58, v59, 0 op_sel:[0,1,0] op_sel_hi:[0,1,0]
	v_or_b32_e32 v62, v65, v64
	v_fma_mixlo_f16 v1, v58, v1, 0 op_sel_hi:[0,1,0]
	v_or_b32_e32 v63, v7, v63
	v_lshlrev_b32_e32 v59, 16, v8
	v_lshlrev_b32_e32 v64, 16, v61
	v_fma_mixlo_f16 v8, v58, v60, 0 op_sel_hi:[0,1,0]
	v_and_b32_e32 v61, 0xffff, v1
	v_fma_mixlo_f16 v1, v58, v65, 0 op_sel:[0,1,0] op_sel_hi:[0,1,0]
	v_fma_mixlo_f16 v60, v58, v62, 0 op_sel_hi:[0,1,0]
	v_fma_mixlo_f16 v7, v58, v7, 0 op_sel:[0,1,0] op_sel_hi:[0,1,0]
	v_fma_mixlo_f16 v58, v58, v63, 0 op_sel_hi:[0,1,0]
	v_and_b32_e32 v66, 0xffff, v8
	v_lshlrev_b32_e32 v62, 16, v1
	v_and_b32_e32 v65, 0xffff, v60
	v_lshlrev_b32_e32 v60, 16, v7
	v_and_b32_e32 v63, 0xffff, v58
	v_or_b32_e32 v8, v59, v61
	v_or_b32_e32 v58, v64, v66
	;; [unrolled: 1-line block ×3, first 2 shown]
	s_delay_alu instid0(VALU_DEP_4)
	v_or_b32_e32 v1, v60, v63
	s_and_saveexec_b32 s0, vcc_lo
	s_cbranch_execz .LBB285_676
; %bb.1338:                             ;   in Loop: Header=BB285_678 Depth=1
	v_cmp_gt_i32_e32 vcc_lo, s34, v30
	s_wait_alu 0xfffd
	v_cndmask_b32_e32 v1, 0, v66, vcc_lo
	v_cmp_gt_i32_e32 vcc_lo, s34, v42
	s_wait_alu 0xfffd
	v_cndmask_b32_e32 v7, 0, v64, vcc_lo
	;; [unrolled: 3-line block ×4, first 2 shown]
	v_cmp_gt_i32_e32 vcc_lo, s34, v36
	v_or_b32_e32 v58, v7, v1
	s_delay_alu instid0(VALU_DEP_3)
	v_or_b32_e32 v8, v30, v8
	s_wait_alu 0xfffd
	v_cndmask_b32_e32 v36, 0, v65, vcc_lo
	v_cmp_gt_i32_e32 vcc_lo, s34, v34
	s_wait_alu 0xfffd
	v_cndmask_b32_e32 v34, 0, v62, vcc_lo
	v_cmp_gt_i32_e32 vcc_lo, s34, v32
	;; [unrolled: 3-line block ×3, first 2 shown]
	s_wait_alu 0xfffd
	v_cndmask_b32_e32 v31, 0, v60, vcc_lo
	v_or_b32_e32 v7, v34, v36
	s_delay_alu instid0(VALU_DEP_2)
	v_or_b32_e32 v1, v31, v32
	s_branch .LBB285_676
.LBB285_1339:
	s_or_b32 exec_lo, exec_lo, s12
.LBB285_1340:
	s_wait_alu 0xfffe
	s_or_b32 exec_lo, exec_lo, s1
	ds_bpermute_b32 v1, v18, v27
	ds_bpermute_b32 v2, v18, v28
	;; [unrolled: 1-line block ×10, first 2 shown]
	v_lshrrev_b32_e32 v13, 2, v12
	v_mul_u32_u24_e32 v11, 0x140, v11
	s_mov_b32 s0, exec_lo
	s_wait_storecnt 0x0
	s_wait_loadcnt_dscnt 0x0
	s_barrier_signal -1
	s_barrier_wait -1
	global_inv scope:SCOPE_SE
	v_dual_add_f32 v1, v27, v1 :: v_dual_add_f32 v2, v28, v2
	v_dual_add_f32 v3, v26, v3 :: v_dual_add_f32 v4, v25, v4
	v_dual_add_f32 v5, v24, v5 :: v_dual_add_f32 v14, v23, v6
	v_dual_add_f32 v15, v22, v7 :: v_dual_add_f32 v18, v21, v8
	v_dual_add_f32 v20, v20, v9 :: v_dual_add_f32 v19, v19, v10
	ds_bpermute_b32 v6, v17, v1
	ds_bpermute_b32 v7, v17, v2
	;; [unrolled: 1-line block ×10, first 2 shown]
	v_and_b32_e32 v9, 28, v12
	s_wait_dscnt 0x9
	v_dual_add_f32 v10, v1, v6 :: v_dual_and_b32 v27, 0x3c3, v0
	s_wait_dscnt 0x8
	s_delay_alu instid0(VALU_DEP_2)
	v_dual_add_f32 v9, v2, v7 :: v_dual_add_nc_u32 v12, 0xc0, v9
	s_wait_dscnt 0x6
	v_dual_add_f32 v8, v3, v8 :: v_dual_add_f32 v7, v4, v21
	s_wait_dscnt 0x4
	v_dual_add_f32 v6, v5, v22 :: v_dual_add_f32 v5, v14, v23
	;; [unrolled: 2-line block ×4, first 2 shown]
	v_cmpx_eq_u32_e32 64, v27
	s_cbranch_execz .LBB285_1342
; %bb.1341:
	v_add_nc_u32_e32 v14, v12, v11
	s_delay_alu instid0(VALU_DEP_1)
	v_add_nc_u32_e32 v15, 0xfffffd80, v14
	v_add_nc_u32_e32 v17, 0xfffffda0, v14
	v_add_nc_u32_e32 v18, 0xfffffdc0, v14
	v_add_nc_u32_e32 v19, 0xfffffde0, v14
	v_add_nc_u32_e32 v20, 0xfffffe00, v14
	v_add_nc_u32_e32 v21, 0xfffffe20, v14
	v_add_nc_u32_e32 v22, 0xfffffe40, v14
	v_add_nc_u32_e32 v23, 0xfffffe60, v14
	v_add_nc_u32_e32 v24, 0xfffffe80, v14
	v_add_nc_u32_e32 v14, 0xfffffea0, v14
	ds_store_b32 v15, v10
	ds_store_b32 v17, v9
	;; [unrolled: 1-line block ×10, first 2 shown]
.LBB285_1342:
	s_wait_alu 0xfffe
	s_or_b32 exec_lo, exec_lo, s0
	v_lshlrev_b32_e32 v13, 2, v13
	s_mov_b32 s1, exec_lo
	v_cmp_eq_u32_e32 vcc_lo, 0, v16
	s_wait_loadcnt_dscnt 0x0
	s_barrier_signal -1
	v_add3_u32 v11, 0xc0, v11, v13
	s_barrier_wait -1
	global_inv scope:SCOPE_SE
	v_cmpx_gt_u32_e32 64, v0
	s_cbranch_execz .LBB285_1355
; %bb.1343:
	s_and_saveexec_b32 s0, vcc_lo
	s_cbranch_execnz .LBB285_1373
; %bb.1344:
	s_wait_alu 0xfffe
	s_or_b32 exec_lo, exec_lo, s0
	s_and_saveexec_b32 s0, vcc_lo
	s_cbranch_execnz .LBB285_1374
.LBB285_1345:
	s_wait_alu 0xfffe
	s_or_b32 exec_lo, exec_lo, s0
	s_and_saveexec_b32 s0, vcc_lo
	s_cbranch_execnz .LBB285_1375
.LBB285_1346:
	s_wait_alu 0xfffe
	s_or_b32 exec_lo, exec_lo, s0
	s_and_saveexec_b32 s0, vcc_lo
	s_cbranch_execnz .LBB285_1376
.LBB285_1347:
	s_wait_alu 0xfffe
	s_or_b32 exec_lo, exec_lo, s0
	s_and_saveexec_b32 s0, vcc_lo
	s_cbranch_execnz .LBB285_1377
.LBB285_1348:
	s_wait_alu 0xfffe
	s_or_b32 exec_lo, exec_lo, s0
	s_and_saveexec_b32 s0, vcc_lo
	s_cbranch_execnz .LBB285_1378
.LBB285_1349:
	s_wait_alu 0xfffe
	s_or_b32 exec_lo, exec_lo, s0
	s_and_saveexec_b32 s0, vcc_lo
	s_cbranch_execnz .LBB285_1379
.LBB285_1350:
	s_wait_alu 0xfffe
	s_or_b32 exec_lo, exec_lo, s0
	s_and_saveexec_b32 s0, vcc_lo
	s_cbranch_execnz .LBB285_1380
.LBB285_1351:
	s_wait_alu 0xfffe
	s_or_b32 exec_lo, exec_lo, s0
	s_and_saveexec_b32 s0, vcc_lo
	s_cbranch_execnz .LBB285_1381
.LBB285_1352:
	s_wait_alu 0xfffe
	s_or_b32 exec_lo, exec_lo, s0
	s_and_saveexec_b32 s0, vcc_lo
	s_cbranch_execz .LBB285_1354
.LBB285_1353:
	ds_load_b32 v13, v11 offset:288
	s_wait_dscnt 0x0
	v_add_f32_e32 v1, v1, v13
.LBB285_1354:
	s_wait_alu 0xfffe
	s_or_b32 exec_lo, exec_lo, s0
.LBB285_1355:
	s_wait_alu 0xfffe
	s_or_b32 exec_lo, exec_lo, s1
	v_and_b32_e32 v13, 0x3e3, v0
	s_mov_b32 s1, exec_lo
	s_wait_loadcnt 0x0
	s_barrier_signal -1
	s_barrier_wait -1
	global_inv scope:SCOPE_SE
	v_cmpx_eq_u32_e32 32, v13
	s_cbranch_execz .LBB285_1357
; %bb.1356:
	ds_store_2addr_b32 v12, v10, v9 offset1:8
	ds_store_2addr_b32 v12, v8, v7 offset0:16 offset1:24
	ds_store_2addr_b32 v12, v6, v5 offset0:32 offset1:40
	;; [unrolled: 1-line block ×4, first 2 shown]
.LBB285_1357:
	s_wait_alu 0xfffe
	s_or_b32 exec_lo, exec_lo, s1
	s_delay_alu instid0(SALU_CYCLE_1)
	s_mov_b32 s1, exec_lo
	s_wait_loadcnt_dscnt 0x0
	s_barrier_signal -1
	s_barrier_wait -1
	global_inv scope:SCOPE_SE
	v_cmpx_gt_u32_e32 32, v0
	s_cbranch_execz .LBB285_1370
; %bb.1358:
	s_and_saveexec_b32 s0, vcc_lo
	s_cbranch_execnz .LBB285_1382
; %bb.1359:
	s_wait_alu 0xfffe
	s_or_b32 exec_lo, exec_lo, s0
	s_and_saveexec_b32 s0, vcc_lo
	s_cbranch_execnz .LBB285_1383
.LBB285_1360:
	s_wait_alu 0xfffe
	s_or_b32 exec_lo, exec_lo, s0
	s_and_saveexec_b32 s0, vcc_lo
	s_cbranch_execnz .LBB285_1384
.LBB285_1361:
	s_wait_alu 0xfffe
	s_or_b32 exec_lo, exec_lo, s0
	s_and_saveexec_b32 s0, vcc_lo
	s_cbranch_execnz .LBB285_1385
.LBB285_1362:
	s_wait_alu 0xfffe
	s_or_b32 exec_lo, exec_lo, s0
	s_and_saveexec_b32 s0, vcc_lo
	s_cbranch_execnz .LBB285_1386
.LBB285_1363:
	s_wait_alu 0xfffe
	s_or_b32 exec_lo, exec_lo, s0
	s_and_saveexec_b32 s0, vcc_lo
	s_cbranch_execnz .LBB285_1387
.LBB285_1364:
	s_wait_alu 0xfffe
	s_or_b32 exec_lo, exec_lo, s0
	s_and_saveexec_b32 s0, vcc_lo
	s_cbranch_execnz .LBB285_1388
.LBB285_1365:
	s_wait_alu 0xfffe
	s_or_b32 exec_lo, exec_lo, s0
	s_and_saveexec_b32 s0, vcc_lo
	s_cbranch_execnz .LBB285_1389
.LBB285_1366:
	s_wait_alu 0xfffe
	s_or_b32 exec_lo, exec_lo, s0
	s_and_saveexec_b32 s0, vcc_lo
	s_cbranch_execnz .LBB285_1390
.LBB285_1367:
	s_wait_alu 0xfffe
	s_or_b32 exec_lo, exec_lo, s0
	s_and_saveexec_b32 s0, vcc_lo
	s_cbranch_execz .LBB285_1369
.LBB285_1368:
	ds_load_b32 v11, v11 offset:288
	s_wait_dscnt 0x0
	v_add_f32_e32 v1, v1, v11
.LBB285_1369:
	s_wait_alu 0xfffe
	s_or_b32 exec_lo, exec_lo, s0
.LBB285_1370:
	s_wait_alu 0xfffe
	s_or_b32 exec_lo, exec_lo, s1
	s_mov_b32 s1, 0
	s_wait_loadcnt 0x0
	s_barrier_signal -1
	s_barrier_wait -1
	global_inv scope:SCOPE_SE
	s_mov_b32 s0, exec_lo
	v_cmpx_eq_u32_e32 0, v13
	s_cbranch_execz .LBB285_1372
; %bb.1371:
	s_mul_i32 s2, s28, 0x50
	s_mul_i32 s4, s7, s20
	s_wait_alu 0xfffe
	s_ashr_i32 s3, s2, 31
	s_ashr_i32 s5, s4, 31
	s_wait_alu 0xfffe
	s_lshl_b64 s[2:3], s[2:3], 1
	s_lshl_b64 s[4:5], s[4:5], 1
	s_wait_kmcnt 0x0
	s_wait_alu 0xfffe
	s_add_nc_u64 s[2:3], s[8:9], s[2:3]
	v_lshrrev_b32_e32 v0, 1, v0
	s_mul_i32 s0, s33, 0xa0
	s_wait_alu 0xfffe
	s_add_nc_u64 s[2:3], s[2:3], s[4:5]
	;;#ASMSTART
	v_cvt_f16_f32 v10, v10;

	;;#ASMEND
	s_wait_alu 0xfffe
	s_add_nc_u64 s[0:1], s[2:3], s[0:1]
	global_store_b16 v0, v10, s[0:1]
	;;#ASMSTART
	v_cvt_f16_f32 v9, v9;

	;;#ASMEND
	global_store_b16 v0, v9, s[0:1] offset:16
	;;#ASMSTART
	v_cvt_f16_f32 v8, v8;

	;;#ASMEND
	global_store_b16 v0, v8, s[0:1] offset:32
	;; [unrolled: 5-line block ×9, first 2 shown]
.LBB285_1372:
	s_nop 0
	s_sendmsg sendmsg(MSG_DEALLOC_VGPRS)
	s_endpgm
.LBB285_1373:
	ds_load_b32 v13, v11
	s_wait_dscnt 0x0
	v_add_f32_e32 v10, v10, v13
	s_wait_alu 0xfffe
	s_or_b32 exec_lo, exec_lo, s0
	s_and_saveexec_b32 s0, vcc_lo
	s_cbranch_execz .LBB285_1345
.LBB285_1374:
	ds_load_b32 v13, v11 offset:32
	s_wait_dscnt 0x0
	v_add_f32_e32 v9, v9, v13
	s_wait_alu 0xfffe
	s_or_b32 exec_lo, exec_lo, s0
	s_and_saveexec_b32 s0, vcc_lo
	s_cbranch_execz .LBB285_1346
.LBB285_1375:
	ds_load_b32 v13, v11 offset:64
	s_wait_dscnt 0x0
	v_add_f32_e32 v8, v8, v13
	s_wait_alu 0xfffe
	s_or_b32 exec_lo, exec_lo, s0
	s_and_saveexec_b32 s0, vcc_lo
	s_cbranch_execz .LBB285_1347
.LBB285_1376:
	ds_load_b32 v13, v11 offset:96
	s_wait_dscnt 0x0
	v_add_f32_e32 v7, v7, v13
	s_wait_alu 0xfffe
	s_or_b32 exec_lo, exec_lo, s0
	s_and_saveexec_b32 s0, vcc_lo
	s_cbranch_execz .LBB285_1348
.LBB285_1377:
	ds_load_b32 v13, v11 offset:128
	s_wait_dscnt 0x0
	v_add_f32_e32 v6, v6, v13
	s_wait_alu 0xfffe
	s_or_b32 exec_lo, exec_lo, s0
	s_and_saveexec_b32 s0, vcc_lo
	s_cbranch_execz .LBB285_1349
.LBB285_1378:
	ds_load_b32 v13, v11 offset:160
	s_wait_dscnt 0x0
	v_add_f32_e32 v5, v5, v13
	s_wait_alu 0xfffe
	s_or_b32 exec_lo, exec_lo, s0
	s_and_saveexec_b32 s0, vcc_lo
	s_cbranch_execz .LBB285_1350
.LBB285_1379:
	ds_load_b32 v13, v11 offset:192
	s_wait_dscnt 0x0
	v_add_f32_e32 v4, v4, v13
	s_wait_alu 0xfffe
	s_or_b32 exec_lo, exec_lo, s0
	s_and_saveexec_b32 s0, vcc_lo
	s_cbranch_execz .LBB285_1351
.LBB285_1380:
	ds_load_b32 v13, v11 offset:224
	s_wait_dscnt 0x0
	v_add_f32_e32 v3, v3, v13
	s_wait_alu 0xfffe
	s_or_b32 exec_lo, exec_lo, s0
	s_and_saveexec_b32 s0, vcc_lo
	s_cbranch_execz .LBB285_1352
.LBB285_1381:
	ds_load_b32 v13, v11 offset:256
	s_wait_dscnt 0x0
	v_add_f32_e32 v2, v2, v13
	s_wait_alu 0xfffe
	s_or_b32 exec_lo, exec_lo, s0
	s_and_saveexec_b32 s0, vcc_lo
	s_cbranch_execnz .LBB285_1353
	s_branch .LBB285_1354
.LBB285_1382:
	ds_load_b32 v12, v11
	s_wait_dscnt 0x0
	v_add_f32_e32 v10, v10, v12
	s_wait_alu 0xfffe
	s_or_b32 exec_lo, exec_lo, s0
	s_and_saveexec_b32 s0, vcc_lo
	s_cbranch_execz .LBB285_1360
.LBB285_1383:
	ds_load_b32 v12, v11 offset:32
	s_wait_dscnt 0x0
	v_add_f32_e32 v9, v9, v12
	s_wait_alu 0xfffe
	s_or_b32 exec_lo, exec_lo, s0
	s_and_saveexec_b32 s0, vcc_lo
	s_cbranch_execz .LBB285_1361
.LBB285_1384:
	ds_load_b32 v12, v11 offset:64
	s_wait_dscnt 0x0
	v_add_f32_e32 v8, v8, v12
	s_wait_alu 0xfffe
	s_or_b32 exec_lo, exec_lo, s0
	s_and_saveexec_b32 s0, vcc_lo
	s_cbranch_execz .LBB285_1362
.LBB285_1385:
	ds_load_b32 v12, v11 offset:96
	s_wait_dscnt 0x0
	v_add_f32_e32 v7, v7, v12
	s_wait_alu 0xfffe
	s_or_b32 exec_lo, exec_lo, s0
	s_and_saveexec_b32 s0, vcc_lo
	s_cbranch_execz .LBB285_1363
.LBB285_1386:
	ds_load_b32 v12, v11 offset:128
	s_wait_dscnt 0x0
	v_add_f32_e32 v6, v6, v12
	s_wait_alu 0xfffe
	s_or_b32 exec_lo, exec_lo, s0
	s_and_saveexec_b32 s0, vcc_lo
	s_cbranch_execz .LBB285_1364
.LBB285_1387:
	ds_load_b32 v12, v11 offset:160
	s_wait_dscnt 0x0
	v_add_f32_e32 v5, v5, v12
	s_wait_alu 0xfffe
	s_or_b32 exec_lo, exec_lo, s0
	s_and_saveexec_b32 s0, vcc_lo
	s_cbranch_execz .LBB285_1365
.LBB285_1388:
	ds_load_b32 v12, v11 offset:192
	s_wait_dscnt 0x0
	v_add_f32_e32 v4, v4, v12
	s_wait_alu 0xfffe
	s_or_b32 exec_lo, exec_lo, s0
	s_and_saveexec_b32 s0, vcc_lo
	s_cbranch_execz .LBB285_1366
.LBB285_1389:
	ds_load_b32 v12, v11 offset:224
	s_wait_dscnt 0x0
	v_add_f32_e32 v3, v3, v12
	s_wait_alu 0xfffe
	s_or_b32 exec_lo, exec_lo, s0
	s_and_saveexec_b32 s0, vcc_lo
	s_cbranch_execz .LBB285_1367
.LBB285_1390:
	ds_load_b32 v12, v11 offset:256
	s_wait_dscnt 0x0
	v_add_f32_e32 v2, v2, v12
	s_wait_alu 0xfffe
	s_or_b32 exec_lo, exec_lo, s0
	s_and_saveexec_b32 s0, vcc_lo
	s_cbranch_execnz .LBB285_1368
	s_branch .LBB285_1369
	.section	.rodata,"a",@progbits
	.p2align	6, 0x0
	.amdhsa_kernel _ZN4vllm25paged_attention_v2_kernelIthLi80ELi32ELi128ELNS_18Fp8KVCacheDataTypeE1ELb1ELi512EEEvPfS2_PT_PKS3_PKT0_S9_ifPKiSB_iPKfiiiSD_SD_iiiii
		.amdhsa_group_segment_fixed_size 192
		.amdhsa_private_segment_fixed_size 0
		.amdhsa_kernarg_size 400
		.amdhsa_user_sgpr_count 2
		.amdhsa_user_sgpr_dispatch_ptr 0
		.amdhsa_user_sgpr_queue_ptr 0
		.amdhsa_user_sgpr_kernarg_segment_ptr 1
		.amdhsa_user_sgpr_dispatch_id 0
		.amdhsa_user_sgpr_private_segment_size 0
		.amdhsa_wavefront_size32 1
		.amdhsa_uses_dynamic_stack 0
		.amdhsa_enable_private_segment 0
		.amdhsa_system_sgpr_workgroup_id_x 1
		.amdhsa_system_sgpr_workgroup_id_y 1
		.amdhsa_system_sgpr_workgroup_id_z 1
		.amdhsa_system_sgpr_workgroup_info 0
		.amdhsa_system_vgpr_workitem_id 0
		.amdhsa_next_free_vgpr 138
		.amdhsa_next_free_sgpr 47
		.amdhsa_reserve_vcc 1
		.amdhsa_float_round_mode_32 0
		.amdhsa_float_round_mode_16_64 0
		.amdhsa_float_denorm_mode_32 3
		.amdhsa_float_denorm_mode_16_64 3
		.amdhsa_fp16_overflow 0
		.amdhsa_workgroup_processor_mode 1
		.amdhsa_memory_ordered 1
		.amdhsa_forward_progress 1
		.amdhsa_inst_pref_size 255
		.amdhsa_round_robin_scheduling 0
		.amdhsa_exception_fp_ieee_invalid_op 0
		.amdhsa_exception_fp_denorm_src 0
		.amdhsa_exception_fp_ieee_div_zero 0
		.amdhsa_exception_fp_ieee_overflow 0
		.amdhsa_exception_fp_ieee_underflow 0
		.amdhsa_exception_fp_ieee_inexact 0
		.amdhsa_exception_int_div_zero 0
	.end_amdhsa_kernel
	.section	.text._ZN4vllm25paged_attention_v2_kernelIthLi80ELi32ELi128ELNS_18Fp8KVCacheDataTypeE1ELb1ELi512EEEvPfS2_PT_PKS3_PKT0_S9_ifPKiSB_iPKfiiiSD_SD_iiiii,"axG",@progbits,_ZN4vllm25paged_attention_v2_kernelIthLi80ELi32ELi128ELNS_18Fp8KVCacheDataTypeE1ELb1ELi512EEEvPfS2_PT_PKS3_PKT0_S9_ifPKiSB_iPKfiiiSD_SD_iiiii,comdat
.Lfunc_end285:
	.size	_ZN4vllm25paged_attention_v2_kernelIthLi80ELi32ELi128ELNS_18Fp8KVCacheDataTypeE1ELb1ELi512EEEvPfS2_PT_PKS3_PKT0_S9_ifPKiSB_iPKfiiiSD_SD_iiiii, .Lfunc_end285-_ZN4vllm25paged_attention_v2_kernelIthLi80ELi32ELi128ELNS_18Fp8KVCacheDataTypeE1ELb1ELi512EEEvPfS2_PT_PKS3_PKT0_S9_ifPKiSB_iPKfiiiSD_SD_iiiii
                                        ; -- End function
	.set _ZN4vllm25paged_attention_v2_kernelIthLi80ELi32ELi128ELNS_18Fp8KVCacheDataTypeE1ELb1ELi512EEEvPfS2_PT_PKS3_PKT0_S9_ifPKiSB_iPKfiiiSD_SD_iiiii.num_vgpr, 138
	.set _ZN4vllm25paged_attention_v2_kernelIthLi80ELi32ELi128ELNS_18Fp8KVCacheDataTypeE1ELb1ELi512EEEvPfS2_PT_PKS3_PKT0_S9_ifPKiSB_iPKfiiiSD_SD_iiiii.num_agpr, 0
	.set _ZN4vllm25paged_attention_v2_kernelIthLi80ELi32ELi128ELNS_18Fp8KVCacheDataTypeE1ELb1ELi512EEEvPfS2_PT_PKS3_PKT0_S9_ifPKiSB_iPKfiiiSD_SD_iiiii.numbered_sgpr, 47
	.set _ZN4vllm25paged_attention_v2_kernelIthLi80ELi32ELi128ELNS_18Fp8KVCacheDataTypeE1ELb1ELi512EEEvPfS2_PT_PKS3_PKT0_S9_ifPKiSB_iPKfiiiSD_SD_iiiii.num_named_barrier, 0
	.set _ZN4vllm25paged_attention_v2_kernelIthLi80ELi32ELi128ELNS_18Fp8KVCacheDataTypeE1ELb1ELi512EEEvPfS2_PT_PKS3_PKT0_S9_ifPKiSB_iPKfiiiSD_SD_iiiii.private_seg_size, 0
	.set _ZN4vllm25paged_attention_v2_kernelIthLi80ELi32ELi128ELNS_18Fp8KVCacheDataTypeE1ELb1ELi512EEEvPfS2_PT_PKS3_PKT0_S9_ifPKiSB_iPKfiiiSD_SD_iiiii.uses_vcc, 1
	.set _ZN4vllm25paged_attention_v2_kernelIthLi80ELi32ELi128ELNS_18Fp8KVCacheDataTypeE1ELb1ELi512EEEvPfS2_PT_PKS3_PKT0_S9_ifPKiSB_iPKfiiiSD_SD_iiiii.uses_flat_scratch, 0
	.set _ZN4vllm25paged_attention_v2_kernelIthLi80ELi32ELi128ELNS_18Fp8KVCacheDataTypeE1ELb1ELi512EEEvPfS2_PT_PKS3_PKT0_S9_ifPKiSB_iPKfiiiSD_SD_iiiii.has_dyn_sized_stack, 0
	.set _ZN4vllm25paged_attention_v2_kernelIthLi80ELi32ELi128ELNS_18Fp8KVCacheDataTypeE1ELb1ELi512EEEvPfS2_PT_PKS3_PKT0_S9_ifPKiSB_iPKfiiiSD_SD_iiiii.has_recursion, 0
	.set _ZN4vllm25paged_attention_v2_kernelIthLi80ELi32ELi128ELNS_18Fp8KVCacheDataTypeE1ELb1ELi512EEEvPfS2_PT_PKS3_PKT0_S9_ifPKiSB_iPKfiiiSD_SD_iiiii.has_indirect_call, 0
	.section	.AMDGPU.csdata,"",@progbits
; Kernel info:
; codeLenInByte = 47652
; TotalNumSgprs: 49
; NumVgprs: 138
; ScratchSize: 0
; MemoryBound: 0
; FloatMode: 240
; IeeeMode: 1
; LDSByteSize: 192 bytes/workgroup (compile time only)
; SGPRBlocks: 0
; VGPRBlocks: 17
; NumSGPRsForWavesPerEU: 49
; NumVGPRsForWavesPerEU: 138
; Occupancy: 10
; WaveLimiterHint : 1
; COMPUTE_PGM_RSRC2:SCRATCH_EN: 0
; COMPUTE_PGM_RSRC2:USER_SGPR: 2
; COMPUTE_PGM_RSRC2:TRAP_HANDLER: 0
; COMPUTE_PGM_RSRC2:TGID_X_EN: 1
; COMPUTE_PGM_RSRC2:TGID_Y_EN: 1
; COMPUTE_PGM_RSRC2:TGID_Z_EN: 1
; COMPUTE_PGM_RSRC2:TIDIG_COMP_CNT: 0
	.text
	.p2align	2                               ; -- Begin function _ZN4vllm22paged_attention_kernelIthLi96ELi32ELi128ELNS_18Fp8KVCacheDataTypeE1ELb1ELi512EEEvPfS2_PT_PKS3_PKT0_S9_ifPKiSB_iPKfiiiSD_SD_iiiii
	.type	_ZN4vllm22paged_attention_kernelIthLi96ELi32ELi128ELNS_18Fp8KVCacheDataTypeE1ELb1ELi512EEEvPfS2_PT_PKS3_PKT0_S9_ifPKiSB_iPKfiiiSD_SD_iiiii,@function
_ZN4vllm22paged_attention_kernelIthLi96ELi32ELi128ELNS_18Fp8KVCacheDataTypeE1ELb1ELi512EEEvPfS2_PT_PKS3_PKT0_S9_ifPKiSB_iPKfiiiSD_SD_iiiii: ; @_ZN4vllm22paged_attention_kernelIthLi96ELi32ELi128ELNS_18Fp8KVCacheDataTypeE1ELb1ELi512EEEvPfS2_PT_PKS3_PKT0_S9_ifPKiSB_iPKfiiiSD_SD_iiiii
; %bb.0:
	s_wait_loadcnt_dscnt 0x0
	s_wait_expcnt 0x0
	s_wait_samplecnt 0x0
	s_wait_bvhcnt 0x0
	s_wait_kmcnt 0x0
	s_clause 0x1f
	scratch_store_b32 off, v40, s32 offset:212
	; meta instruction
	scratch_store_b32 off, v41, s32 offset:208
	; meta instruction
	;; [unrolled: 2-line block ×31, first 2 shown]
	scratch_store_b32 off, v95, s32 offset:88
	s_clause 0x13
	scratch_store_b32 off, v104, s32 offset:84
	; meta instruction
	scratch_store_b32 off, v105, s32 offset:80
	; meta instruction
	;; [unrolled: 2-line block ×19, first 2 shown]
	scratch_store_b32 off, v139, s32 offset:8
	s_and_b32 s14, ttmp7, 0xffff
	s_lshr_b32 s13, ttmp7, 16
	s_wait_alu 0xfffe
	s_lshl_b32 s0, s14, 2
	s_lshl_b32 s3, s13, 9
	s_wait_alu 0xfffe
	v_add_co_u32 v16, vcc_lo, v16, s0
	s_wait_alu 0xfffd
	v_add_co_ci_u32_e64 v17, null, 0, v17, vcc_lo
	s_mov_b32 s12, exec_lo
	flat_load_b32 v34, v[16:17]
	s_clause 0x1
	scratch_load_b32 v32, off, s32 offset:4
	scratch_load_b32 v35, off, s32
	s_wait_loadcnt_dscnt 0x200
	v_cmpx_lt_i32_e64 s3, v34
	s_cbranch_execz .LBB286_1636
; %bb.1:
	v_mov_b32_e32 v55, 0
	v_sub_nc_u32_e32 v16, 0, v12
	s_clause 0x1
	s_load_u16 s0, s[8:9], 0x12
	s_load_b32 s1, s[8:9], 0x0
	s_mov_b32 s6, s15
	global_load_u16 v33, v55, s[8:9] offset:22
	v_max_i32_e32 v16, v12, v16
	s_delay_alu instid0(VALU_DEP_1) | instskip(SKIP_1) | instid1(VALU_DEP_2)
	v_cvt_f32_u32_e32 v17, v16
	v_sub_nc_u32_e32 v36, 0, v16
	v_rcp_iflag_f32_e32 v17, v17
	s_wait_kmcnt 0x0
	s_cmp_lg_u32 s0, 0
	s_cselect_b32 s0, -1, 0
	s_delay_alu instid0(TRANS32_DEP_1)
	v_mul_f32_e32 v17, 0x4f7ffffe, v17
	s_wait_alu 0xfffe
	s_cmp_lg_u32 s0, 0
	s_add_co_ci_u32 s15, s1, 0
	s_mov_b32 s1, exec_lo
	v_cvt_u32_f32_e32 v17, v17
	s_wait_alu 0xfffe
	s_abs_i32 s0, s15
	s_delay_alu instid0(VALU_DEP_1) | instskip(NEXT) | instid1(VALU_DEP_1)
	v_mul_lo_u32 v36, v36, v17
	v_mul_hi_u32 v36, v17, v36
	s_delay_alu instid0(VALU_DEP_1) | instskip(SKIP_1) | instid1(VALU_DEP_1)
	v_add_nc_u32_e32 v17, v17, v36
	s_wait_alu 0xfffe
	v_mul_hi_u32 v17, s0, v17
	s_delay_alu instid0(VALU_DEP_1) | instskip(SKIP_1) | instid1(VALU_DEP_2)
	v_mul_lo_u32 v36, v17, v16
	v_add_nc_u32_e32 v37, 1, v17
	v_sub_nc_u32_e32 v36, s0, v36
	s_abs_i32 s0, ttmp9
	s_delay_alu instid0(VALU_DEP_1) | instskip(SKIP_2) | instid1(VALU_DEP_2)
	v_sub_nc_u32_e32 v38, v36, v16
	v_cmp_ge_u32_e32 vcc_lo, v36, v16
	s_wait_alu 0xfffd
	v_dual_cndmask_b32 v17, v17, v37 :: v_dual_cndmask_b32 v36, v36, v38
	v_xor_b32_e32 v37, s15, v12
	s_delay_alu instid0(VALU_DEP_2) | instskip(NEXT) | instid1(VALU_DEP_3)
	v_add_nc_u32_e32 v38, 1, v17
	v_cmp_ge_u32_e32 vcc_lo, v36, v16
	s_delay_alu instid0(VALU_DEP_3) | instskip(SKIP_1) | instid1(VALU_DEP_3)
	v_ashrrev_i32_e32 v37, 31, v37
	s_wait_alu 0xfffd
	v_cndmask_b32_e32 v16, v17, v38, vcc_lo
	s_delay_alu instid0(VALU_DEP_1) | instskip(NEXT) | instid1(VALU_DEP_1)
	v_xor_b32_e32 v16, v16, v37
	v_sub_nc_u32_e32 v37, v16, v37
	s_delay_alu instid0(VALU_DEP_1) | instskip(NEXT) | instid1(VALU_DEP_1)
	v_sub_nc_u32_e32 v16, 0, v37
	v_max_i32_e32 v36, v37, v16
	s_delay_alu instid0(VALU_DEP_1) | instskip(SKIP_1) | instid1(VALU_DEP_2)
	v_cvt_f32_u32_e32 v16, v36
	v_sub_nc_u32_e32 v17, 0, v36
	v_rcp_iflag_f32_e32 v16, v16
	s_delay_alu instid0(TRANS32_DEP_1) | instskip(NEXT) | instid1(VALU_DEP_1)
	v_mul_f32_e32 v16, 0x4f7ffffe, v16
	v_cvt_u32_f32_e32 v16, v16
	s_delay_alu instid0(VALU_DEP_1) | instskip(NEXT) | instid1(VALU_DEP_1)
	v_mul_lo_u32 v17, v17, v16
	v_mul_hi_u32 v17, v16, v17
	s_delay_alu instid0(VALU_DEP_1) | instskip(SKIP_1) | instid1(VALU_DEP_1)
	v_add_nc_u32_e32 v16, v16, v17
	s_wait_alu 0xfffe
	v_mad_co_u64_u32 v[16:17], null, s0, v16, 0
	s_wait_loadcnt 0x0
	v_readfirstlane_b32 s16, v33
	v_cmpx_ne_u64_e32 0, v[19:20]
	s_cbranch_execz .LBB286_3
; %bb.2:
	s_mov_b32 s4, ttmp9
	s_ashr_i32 s5, ttmp9, 31
	s_wait_alu 0xfffe
	s_lshl_b64 s[4:5], s[4:5], 2
	s_wait_alu 0xfffe
	v_add_co_u32 v19, vcc_lo, v19, s4
	s_wait_alu 0xfffd
	v_add_co_ci_u32_e64 v20, null, s5, v20, vcc_lo
	flat_load_b32 v55, v[19:20]
.LBB286_3:
	s_or_b32 exec_lo, exec_lo, s1
	v_and_b32_e32 v33, 0x3ff, v31
	v_ashrrev_i32_e32 v16, 31, v37
	s_ashr_i32 s1, ttmp9, 31
	s_mul_i32 s4, ttmp9, 0x60
	s_mov_b32 s2, exec_lo
	v_cmpx_gt_u32_e32 12, v33
	s_cbranch_execz .LBB286_5
; %bb.4:
	v_mul_lo_u32 v19, v21, s14
	s_wait_alu 0xfffe
	s_ashr_i32 s5, s4, 31
	v_lshlrev_b32_e32 v21, 4, v33
	s_wait_alu 0xfffe
	s_lshl_b64 s[10:11], s[4:5], 1
	s_delay_alu instid0(VALU_DEP_2) | instskip(NEXT) | instid1(VALU_DEP_1)
	v_ashrrev_i32_e32 v20, 31, v19
	v_lshlrev_b64_e32 v[19:20], 1, v[19:20]
	s_delay_alu instid0(VALU_DEP_1) | instskip(SKIP_1) | instid1(VALU_DEP_2)
	v_add_co_u32 v6, vcc_lo, v6, v19
	s_wait_alu 0xfffd
	v_add_co_ci_u32_e64 v7, null, v7, v20, vcc_lo
	s_wait_alu 0xfffe
	s_delay_alu instid0(VALU_DEP_2) | instskip(SKIP_1) | instid1(VALU_DEP_2)
	v_add_co_u32 v6, vcc_lo, v6, s10
	s_wait_alu 0xfffd
	v_add_co_ci_u32_e64 v7, null, s11, v7, vcc_lo
	s_delay_alu instid0(VALU_DEP_2) | instskip(SKIP_1) | instid1(VALU_DEP_2)
	v_add_co_u32 v6, vcc_lo, v6, v21
	s_wait_alu 0xfffd
	v_add_co_ci_u32_e64 v7, null, 0, v7, vcc_lo
	flat_load_b128 v[48:51], v[6:7]
	s_wait_loadcnt_dscnt 0x0
	ds_store_b128 v21, v[48:51]
.LBB286_5:
	s_wait_alu 0xfffe
	s_or_b32 exec_lo, exec_lo, s2
	v_sub_nc_u32_e32 v6, 0, v35
	v_mul_lo_u32 v7, v17, v36
	v_add_nc_u32_e32 v20, 1, v17
	v_xor_b32_e32 v39, s1, v16
	s_wait_storecnt 0x0
	s_wait_loadcnt_dscnt 0x0
	v_max_i32_e32 v37, v35, v6
	s_barrier_signal -1
	s_barrier_wait -1
	global_inv scope:SCOPE_SE
	v_sub_nc_u32_e32 v19, s0, v7
	v_cvt_f32_u32_e32 v6, v37
	v_sub_nc_u32_e32 v7, 0, v37
	s_mov_b32 s0, exec_lo
	s_delay_alu instid0(VALU_DEP_3) | instskip(NEXT) | instid1(VALU_DEP_3)
	v_cmp_ge_u32_e32 vcc_lo, v19, v36
	v_rcp_iflag_f32_e32 v6, v6
	v_sub_nc_u32_e32 v21, v19, v36
	s_wait_alu 0xfffd
	v_cndmask_b32_e32 v17, v17, v20, vcc_lo
	s_delay_alu instid0(VALU_DEP_2) | instskip(NEXT) | instid1(VALU_DEP_2)
	v_cndmask_b32_e32 v19, v19, v21, vcc_lo
	v_add_nc_u32_e32 v20, 1, v17
	s_delay_alu instid0(TRANS32_DEP_1) | instskip(NEXT) | instid1(VALU_DEP_3)
	v_mul_f32_e32 v6, 0x4f7ffffe, v6
	v_cmp_ge_u32_e32 vcc_lo, v19, v36
	s_delay_alu instid0(VALU_DEP_2) | instskip(SKIP_2) | instid1(VALU_DEP_2)
	v_cvt_u32_f32_e32 v6, v6
	s_wait_alu 0xfffd
	v_cndmask_b32_e32 v16, v17, v20, vcc_lo
	v_mul_lo_u32 v31, v7, v6
	v_add_nc_u32_e32 v7, -1, v34
	s_delay_alu instid0(VALU_DEP_2) | instskip(NEXT) | instid1(VALU_DEP_2)
	v_mul_hi_u32 v21, v6, v31
	v_sub_nc_u32_e32 v31, 0, v7
	s_delay_alu instid0(VALU_DEP_1) | instskip(NEXT) | instid1(VALU_DEP_3)
	v_max_i32_e32 v19, v7, v31
	v_add_nc_u32_e32 v38, v6, v21
	v_xor_b32_e32 v6, v16, v39
	s_delay_alu instid0(VALU_DEP_2) | instskip(NEXT) | instid1(VALU_DEP_2)
	v_mad_co_u64_u32 v[16:17], null, v19, v38, 0
	v_sub_nc_u32_e32 v16, v6, v39
                                        ; implicit-def: $vgpr6
	v_cmpx_gt_i32_e32 0, v32
	s_wait_alu 0xfffe
	s_xor_b32 s0, exec_lo, s0
; %bb.6:
	s_delay_alu instid0(VALU_DEP_2) | instskip(NEXT) | instid1(VALU_DEP_1)
	v_mad_co_u64_u32 v[20:21], null, v28, v12, v[16:17]
                                        ; implicit-def: $vgpr28
	v_mul_lo_u32 v6, v20, v32
                                        ; implicit-def: $vgpr32
	s_delay_alu instid0(VALU_DEP_1)
	v_sub_nc_u32_e32 v6, 1, v6
; %bb.7:
	s_wait_alu 0xfffe
	s_or_saveexec_b32 s0, s0
	v_ashrrev_i32_e32 v12, 31, v7
	v_ashrrev_i32_e32 v39, 31, v35
	s_wait_alu 0xfffe
	s_xor_b32 exec_lo, exec_lo, s0
; %bb.8:
	s_mov_b32 s2, ttmp9
	s_wait_alu 0xfffe
	v_mad_co_u64_u32 v[6:7], null, s15, v28, s[2:3]
	s_delay_alu instid0(VALU_DEP_1)
	v_mad_co_u64_u32 v[6:7], null, v6, v32, 1
; %bb.9:
	s_or_b32 exec_lo, exec_lo, s0
	v_mul_lo_u32 v7, v17, v37
	s_load_b32 s5, s[8:9], 0x8
	v_xor_b32_e32 v12, v12, v39
	v_mul_lo_u32 v18, v18, s14
	v_lshrrev_b32_e32 v35, 5, v33
	s_lshl_b32 s17, s13, 4
	v_mul_lo_u32 v51, v16, v23
	s_wait_alu 0xfffe
	s_add_co_i32 s0, s17, 16
	v_sub_nc_u32_e32 v7, v19, v7
	v_add_nc_u32_e32 v19, 1, v17
	v_add_nc_u32_e32 v23, s17, v35
	v_mov_b32_e32 v65, 0xff7fffff
	v_sub_nc_u32_e32 v53, 0, v30
	v_sub_nc_u32_e32 v28, v7, v37
	v_cmp_ge_u32_e32 vcc_lo, v7, v37
	v_add_nc_u32_e32 v20, 31, v34
	v_lshl_add_u32 v48, v35, 5, s3
	v_ashrrev_i32_e32 v54, 31, v51
	s_wait_alu 0xfffd
	v_dual_cndmask_b32 v7, v7, v28 :: v_dual_and_b32 v36, 31, v33
	v_cndmask_b32_e32 v17, v17, v19, vcc_lo
	v_ashrrev_i32_e32 v21, 31, v20
	s_delay_alu instid0(VALU_DEP_3) | instskip(NEXT) | instid1(VALU_DEP_4)
	v_lshlrev_b32_e32 v64, 2, v36
	v_cmp_ge_u32_e32 vcc_lo, v7, v37
	s_delay_alu instid0(VALU_DEP_3) | instskip(SKIP_1) | instid1(VALU_DEP_2)
	v_lshrrev_b32_e32 v19, 27, v21
	v_add_nc_u32_e32 v21, 1, v17
	v_add_nc_u32_e32 v19, v20, v19
	s_wait_alu 0xfffd
	s_delay_alu instid0(VALU_DEP_2) | instskip(NEXT) | instid1(VALU_DEP_2)
	v_cndmask_b32_e32 v7, v17, v21, vcc_lo
	v_ashrrev_i32_e32 v52, 5, v19
	s_delay_alu instid0(VALU_DEP_2) | instskip(SKIP_2) | instid1(VALU_DEP_3)
	v_xor_b32_e32 v7, v7, v12
	v_ashrrev_i32_e32 v19, 31, v18
	s_wait_alu 0xfffe
	v_min_i32_e32 v49, s0, v52
	s_delay_alu instid0(VALU_DEP_3) | instskip(NEXT) | instid1(VALU_DEP_3)
	v_sub_nc_u32_e32 v7, v7, v12
	v_lshlrev_b64_e32 v[16:17], 2, v[18:19]
	v_lshlrev_b32_e32 v12, 2, v23
	s_delay_alu instid0(VALU_DEP_4) | instskip(NEXT) | instid1(VALU_DEP_4)
	v_cmp_lt_i32_e64 s0, v23, v49
	v_sub_nc_u32_e32 v50, v7, v29
	s_and_saveexec_b32 s18, s0
	s_cbranch_execz .LBB286_785
; %bb.10:
	v_max_i32_e32 v66, v30, v53
	v_add_co_u32 v18, vcc_lo, v8, v51
	s_wait_alu 0xfffd
	v_add_co_ci_u32_e64 v19, null, v9, v54, vcc_lo
	s_delay_alu instid0(VALU_DEP_3)
	v_cvt_f32_u32_e32 v7, v66
	s_ashr_i32 s7, s6, 31
	v_sub_nc_u32_e32 v9, 0, v66
	s_getpc_b64 s[8:9]
	s_wait_alu 0xfffe
	s_sext_i32_i16 s9, s9
	s_add_co_u32 s8, s8, llvm.amdgcn.dynlds.offset.table@rel32@lo+12
	s_wait_alu 0xfffe
	s_add_co_ci_u32 s9, s9, llvm.amdgcn.dynlds.offset.table@rel32@hi+24
	s_lshl_b64 s[10:11], s[6:7], 2
	v_rcp_iflag_f32_e32 v7, v7
	v_lshlrev_b32_e32 v20, 4, v36
	s_wait_alu 0xfffe
	s_add_nc_u64 s[8:9], s[8:9], s[10:11]
	v_add_co_u32 v21, s1, v16, v12
	s_load_b32 s7, s[8:9], 0x0
	v_add_co_ci_u32_e64 v28, null, 0, v17, s1
	v_sub_nc_u32_e32 v31, v36, v34
	v_dual_mov_b32 v8, 0 :: v_dual_mov_b32 v65, 0xff7fffff
	s_delay_alu instid0(TRANS32_DEP_1) | instskip(SKIP_3) | instid1(VALU_DEP_3)
	v_mul_f32_e32 v7, 0x4f7ffffe, v7
	v_add_co_u32 v18, s1, v18, v20
	s_wait_alu 0xf1ff
	v_add_co_ci_u32_e64 v19, null, 0, v19, s1
	v_cvt_u32_f32_e32 v7, v7
	v_add_co_u32 v20, s1, v14, v21
	v_lshl_or_b32 v67, v35, 7, v64
	v_dual_mov_b32 v68, 0xff7fffff :: v_dual_add_nc_u32 v69, 1, v31
	s_delay_alu instid0(VALU_DEP_4)
	v_mul_lo_u32 v29, v9, v7
	v_lshl_add_u32 v9, v35, 5, s3
	s_wait_alu 0xf1ff
	v_add_co_ci_u32_e64 v21, null, v15, v28, s1
	v_mov_b32_e32 v71, v23
	s_mov_b32 s10, -1
	s_mov_b32 s19, 0
	s_mov_b32 s11, 0xffffff
	v_mul_hi_u32 v29, v7, v29
	v_cmp_neq_f32_e32 vcc_lo, 0, v55
	s_delay_alu instid0(VALU_DEP_2)
	v_add_nc_u32_e32 v70, v7, v29
	s_branch .LBB286_16
.LBB286_11:                             ;   in Loop: Header=BB286_16 Depth=1
	s_wait_alu 0xfffe
	s_or_b32 exec_lo, exec_lo, s23
	v_lshlrev_b32_e32 v7, 8, v7
	v_lshl_add_u32 v29, v29, 10, 0x2000
	v_lshlrev_b32_e32 v28, 23, v28
	s_delay_alu instid0(VALU_DEP_2) | instskip(NEXT) | instid1(VALU_DEP_1)
	v_and_or_b32 v7, 0x8000, v7, v29
	v_lshl_or_b32 v28, v7, 16, v28
.LBB286_12:                             ;   in Loop: Header=BB286_16 Depth=1
	s_wait_alu 0xfffe
	s_or_b32 exec_lo, exec_lo, s22
.LBB286_13:                             ;   in Loop: Header=BB286_16 Depth=1
	s_wait_alu 0xfffe
	s_or_b32 exec_lo, exec_lo, s21
.LBB286_14:                             ;   in Loop: Header=BB286_16 Depth=1
	s_wait_alu 0xfffe
	s_or_b32 exec_lo, exec_lo, s20
	v_or_b32_e32 v7, v44, v42
	v_fma_mixlo_f16 v47, v80, v183, 0 op_sel:[0,1,0] op_sel_hi:[0,1,0]
	v_fma_mixlo_f16 v42, v80, v74, 0 op_sel:[0,1,0] op_sel_hi:[0,1,0]
	v_or_b32_e32 v29, v121, v108
	v_fma_mixlo_f16 v110, v80, v81, 0 op_sel:[0,1,0] op_sel_hi:[0,1,0]
	v_fma_mixlo_f16 v45, v80, v7, 0 op_sel_hi:[0,1,0]
	v_or_b32_e32 v7, v183, v182
	v_fma_mixlo_f16 v182, v80, v75, 0 op_sel:[0,1,0] op_sel_hi:[0,1,0]
	v_fma_mixlo_f16 v44, v80, v44, 0 op_sel:[0,1,0] op_sel_hi:[0,1,0]
	s_load_b32 s20, s[8:9], 0x0
	s_delay_alu instid0(VALU_DEP_3) | instskip(SKIP_2) | instid1(VALU_DEP_2)
	v_fma_mixlo_f16 v56, v80, v7, 0 op_sel_hi:[0,1,0]
	v_or_b32_e32 v7, v74, v43
	v_fma_mixlo_f16 v74, v80, v59, 0 op_sel:[0,1,0] op_sel_hi:[0,1,0]
	v_fma_mixlo_f16 v43, v80, v7, 0 op_sel_hi:[0,1,0]
	v_or_b32_e32 v7, v75, v73
	s_delay_alu instid0(VALU_DEP_1) | instskip(SKIP_3) | instid1(VALU_DEP_3)
	v_fma_mixlo_f16 v183, v80, v7, 0 op_sel_hi:[0,1,0]
	v_or_b32_e32 v7, v72, v62
	v_fma_mixlo_f16 v62, v80, v94, 0 op_sel:[0,1,0] op_sel_hi:[0,1,0]
	v_fma_mixlo_f16 v72, v80, v72, 0 op_sel:[0,1,0] op_sel_hi:[0,1,0]
	v_fma_mixlo_f16 v73, v80, v7, 0 op_sel_hi:[0,1,0]
	v_or_b32_e32 v7, v59, v58
	v_fma_mixlo_f16 v58, v80, v95, 0 op_sel:[0,1,0] op_sel_hi:[0,1,0]
	s_delay_alu instid0(VALU_DEP_2) | instskip(SKIP_2) | instid1(VALU_DEP_2)
	v_fma_mixlo_f16 v75, v80, v7, 0 op_sel_hi:[0,1,0]
	v_or_b32_e32 v7, v94, v63
	v_fma_mixlo_f16 v94, v80, v79, 0 op_sel:[0,1,0] op_sel_hi:[0,1,0]
	v_fma_mixlo_f16 v63, v80, v7, 0 op_sel_hi:[0,1,0]
	v_or_b32_e32 v7, v95, v93
	s_delay_alu instid0(VALU_DEP_1) | instskip(SKIP_3) | instid1(VALU_DEP_3)
	v_fma_mixlo_f16 v59, v80, v7, 0 op_sel_hi:[0,1,0]
	v_or_b32_e32 v7, v92, v88
	v_fma_mixlo_f16 v88, v80, v106, 0 op_sel:[0,1,0] op_sel_hi:[0,1,0]
	v_fma_mixlo_f16 v92, v80, v92, 0 op_sel:[0,1,0] op_sel_hi:[0,1,0]
	v_fma_mixlo_f16 v93, v80, v7, 0 op_sel_hi:[0,1,0]
	v_or_b32_e32 v7, v79, v78
	v_fma_mixlo_f16 v78, v80, v107, 0 op_sel:[0,1,0] op_sel_hi:[0,1,0]
	s_delay_alu instid0(VALU_DEP_2) | instskip(SKIP_2) | instid1(VALU_DEP_2)
	;; [unrolled: 14-line block ×8, first 2 shown]
	v_fma_mixlo_f16 v144, v80, v7, 0 op_sel_hi:[0,1,0]
	v_or_b32_e32 v7, v119, v116
	v_fma_mixlo_f16 v119, v80, v98, 0 op_sel:[0,1,0] op_sel_hi:[0,1,0]
	v_fma_mixlo_f16 v116, v80, v7, 0 op_sel_hi:[0,1,0]
	v_or_b32_e32 v7, v128, v118
	s_delay_alu instid0(VALU_DEP_1) | instskip(SKIP_3) | instid1(VALU_DEP_3)
	v_fma_mixlo_f16 v114, v80, v7, 0 op_sel_hi:[0,1,0]
	v_or_b32_e32 v7, v101, v99
	v_fma_mixlo_f16 v99, v80, v112, 0 op_sel:[0,1,0] op_sel_hi:[0,1,0]
	v_fma_mixlo_f16 v101, v80, v101, 0 op_sel:[0,1,0] op_sel_hi:[0,1,0]
	v_fma_mixlo_f16 v118, v80, v7, 0 op_sel_hi:[0,1,0]
	v_or_b32_e32 v7, v98, v97
	v_fma_mixlo_f16 v97, v80, v103, 0 op_sel:[0,1,0] op_sel_hi:[0,1,0]
	s_delay_alu instid0(VALU_DEP_2) | instskip(SKIP_1) | instid1(VALU_DEP_1)
	v_fma_mixlo_f16 v128, v80, v7, 0 op_sel_hi:[0,1,0]
	v_or_b32_e32 v7, v103, v100
	v_fma_mixlo_f16 v98, v80, v7, 0 op_sel_hi:[0,1,0]
	v_or_b32_e32 v7, v112, v102
	v_fma_mixlo_f16 v112, v80, v83, 0 op_sel:[0,1,0] op_sel_hi:[0,1,0]
	v_fma_mixlo_f16 v102, v80, v87, 0 op_sel:[0,1,0] op_sel_hi:[0,1,0]
	s_delay_alu instid0(VALU_DEP_4) | instskip(NEXT) | instid1(VALU_DEP_4)
	v_and_b32_e32 v98, 0xffff, v98
	v_fma_mixlo_f16 v100, v80, v7, 0 op_sel_hi:[0,1,0]
	v_or_b32_e32 v7, v83, v84
	v_fma_mixlo_f16 v83, v80, v29, 0 op_sel_hi:[0,1,0]
	v_or_b32_e32 v29, v32, v31
	v_fma_mixlo_f16 v84, v80, v32, 0 op_sel:[0,1,0] op_sel_hi:[0,1,0]
	v_fma_mixlo_f16 v32, v80, v123, 0 op_sel:[0,1,0] op_sel_hi:[0,1,0]
	v_fma_mixlo_f16 v109, v80, v7, 0 op_sel_hi:[0,1,0]
	v_or_b32_e32 v7, v81, v82
	v_fma_mixlo_f16 v82, v80, v121, 0 op_sel:[0,1,0] op_sel_hi:[0,1,0]
	v_and_b32_e32 v100, 0xffff, v100
	v_and_b32_e32 v84, 0xffff, v84
	;; [unrolled: 1-line block ×3, first 2 shown]
	v_fma_mixlo_f16 v111, v80, v7, 0 op_sel_hi:[0,1,0]
	v_or_b32_e32 v7, v87, v86
	v_fma_mixlo_f16 v86, v80, v96, 0 op_sel:[0,1,0] op_sel_hi:[0,1,0]
	v_and_b32_e32 v82, 0xffff, v82
	v_and_b32_e32 v32, 0xffff, v32
	s_delay_alu instid0(VALU_DEP_4) | instskip(SKIP_3) | instid1(VALU_DEP_3)
	v_fma_mixlo_f16 v103, v80, v7, 0 op_sel_hi:[0,1,0]
	v_or_b32_e32 v7, v96, v85
	v_fma_mixlo_f16 v85, v80, v29, 0 op_sel_hi:[0,1,0]
	v_or_b32_e32 v29, v123, v120
	v_fma_mixlo_f16 v87, v80, v7, 0 op_sel_hi:[0,1,0]
	v_add_nc_u32_e32 v7, v69, v9
	s_delay_alu instid0(VALU_DEP_3)
	v_fma_mixlo_f16 v81, v80, v29, 0 op_sel_hi:[0,1,0]
	v_or_b32_e32 v29, v28, v122
	ds_load_b128 v[120:123], v8
	v_and_b32_e32 v85, 0xffff, v85
	v_cvt_f32_i32_e32 v7, v7
	v_add_nc_u32_e32 v96, v36, v9
	v_fma_mixlo_f16 v31, v80, v29, 0 op_sel_hi:[0,1,0]
	v_fma_mixlo_f16 v29, v80, v28, 0 op_sel:[0,1,0] op_sel_hi:[0,1,0]
	v_and_b32_e32 v81, 0xffff, v81
	v_mul_f32_e32 v7, v55, v7
	v_cmp_lt_i32_e64 s1, v96, v34
	v_and_b32_e32 v31, 0xffff, v31
	v_and_b32_e32 v29, 0xffff, v29
	s_wait_dscnt 0x0
	v_dual_cndmask_b32 v7, 0, v7 :: v_dual_and_b32 v96, 0xffff, v120
	v_lshrrev_b32_e32 v80, 16, v120
	;;#ASMSTART
	v_cvt_f32_f16 v96, v96;
	;;#ASMEND
	;;#ASMSTART
	v_cvt_f32_f16 v120, v80;
	;;#ASMEND
	v_and_b32_e32 v80, 0xffff, v111
	;;#ASMSTART
	v_cvt_f32_f16 v124, v80;
	;;#ASMEND
	v_and_b32_e32 v80, 0xffff, v110
	;;#ASMSTART
	v_cvt_f32_f16 v125, v80;
	;;#ASMEND
	v_lshrrev_b32_e32 v80, 16, v121
	v_and_b32_e32 v108, 0xffff, v121
	;;#ASMSTART
	v_cvt_f32_f16 v121, v108;
	;;#ASMEND
	;;#ASMSTART
	v_cvt_f32_f16 v126, v80;
	;;#ASMEND
	v_and_b32_e32 v80, 0xffff, v109
	;;#ASMSTART
	v_cvt_f32_f16 v127, v80;
	;;#ASMEND
	v_and_b32_e32 v80, 0xffff, v112
	;;#ASMSTART
	v_cvt_f32_f16 v112, v80;
	;;#ASMEND
	v_lshrrev_b32_e32 v80, 16, v122
	v_and_b32_e32 v108, 0xffff, v122
	;; [unrolled: 16-line block ×3, first 2 shown]
	;;#ASMSTART
	v_cvt_f32_f16 v123, v108;
	;;#ASMEND
	;;#ASMSTART
	v_cvt_f32_f16 v137, v80;
	;;#ASMEND
	v_and_b32_e32 v80, 0xffff, v87
	;;#ASMSTART
	v_cvt_f32_f16 v138, v80;
	;;#ASMEND
	v_and_b32_e32 v80, 0xffff, v86
	;;#ASMSTART
	v_cvt_f32_f16 v139, v80;
	;;#ASMEND
	ds_load_b128 v[108:111], v8 offset:16
	s_wait_dscnt 0x0
	v_lshrrev_b32_e32 v86, 16, v108
	v_and_b32_e32 v80, 0xffff, v108
	;;#ASMSTART
	v_cvt_f32_f16 v80, v80;
	;;#ASMEND
	;;#ASMSTART
	v_cvt_f32_f16 v86, v86;
	;;#ASMEND
	v_and_b32_e32 v87, 0xffff, v128
	;;#ASMSTART
	v_cvt_f32_f16 v87, v87;
	;;#ASMEND
	s_delay_alu instid0(VALU_DEP_1) | instskip(SKIP_1) | instid1(VALU_DEP_2)
	v_mul_f32_e32 v80, v80, v87
	v_and_b32_e32 v119, 0xffff, v119
	v_dual_fmac_f32 v80, v96, v124 :: v_dual_and_b32 v87, 0xffff, v109
	;;#ASMSTART
	v_cvt_f32_f16 v119, v119;
	;;#ASMEND
	v_lshrrev_b32_e32 v96, 16, v109
	s_delay_alu instid0(VALU_DEP_3) | instskip(SKIP_4) | instid1(VALU_DEP_1)
	v_mul_f32_e32 v86, v86, v119
	;;#ASMSTART
	v_cvt_f32_f16 v87, v87;
	;;#ASMEND
	;;#ASMSTART
	v_cvt_f32_f16 v119, v96;
	;;#ASMEND
	v_and_b32_e32 v96, 0xffff, v118
	;;#ASMSTART
	v_cvt_f32_f16 v96, v96;
	;;#ASMEND
	v_dual_mul_f32 v96, v87, v96 :: v_dual_and_b32 v101, 0xffff, v101
	;;#ASMSTART
	v_cvt_f32_f16 v101, v101;
	;;#ASMEND
	s_wait_kmcnt 0x0
	s_delay_alu instid0(VALU_DEP_1) | instskip(SKIP_2) | instid1(VALU_DEP_2)
	v_dual_mul_f32 v87, v119, v101 :: v_dual_add_nc_u32 v28, s20, v67
	v_dual_fmac_f32 v86, v120, v125 :: v_dual_and_b32 v101, 0xffff, v110
	;;#ASMSTART
	v_cvt_f32_f16 v101, v101;
	;;#ASMEND
	v_dual_fmac_f32 v96, v121, v127 :: v_dual_fmac_f32 v87, v126, v112
	v_lshrrev_b32_e32 v112, 16, v110
	;;#ASMSTART
	v_cvt_f32_f16 v112, v112;
	;;#ASMEND
	;;#ASMSTART
	v_cvt_f32_f16 v98, v98;
	;;#ASMEND
	v_dual_mul_f32 v98, v101, v98 :: v_dual_and_b32 v97, 0xffff, v97
	;;#ASMSTART
	v_cvt_f32_f16 v97, v97;
	;;#ASMEND
	s_delay_alu instid0(VALU_DEP_1) | instskip(SKIP_2) | instid1(VALU_DEP_2)
	v_mul_f32_e32 v97, v112, v97
	v_and_b32_e32 v101, 0xffff, v111
	;;#ASMSTART
	v_cvt_f32_f16 v101, v101;
	;;#ASMEND
	v_dual_fmac_f32 v97, v136, v102 :: v_dual_and_b32 v112, 0xffff, v135
	v_lshrrev_b32_e32 v102, 16, v111
	;;#ASMSTART
	v_cvt_f32_f16 v102, v102;
	;;#ASMEND
	;;#ASMSTART
	v_cvt_f32_f16 v100, v100;
	;;#ASMEND
	v_dual_mul_f32 v100, v101, v100 :: v_dual_and_b32 v99, 0xffff, v99
	;;#ASMSTART
	v_cvt_f32_f16 v99, v99;
	;;#ASMEND
	ds_load_b128 v[108:111], v8 offset:32
	v_mul_f32_e32 v99, v102, v99
	v_dual_fmac_f32 v98, v122, v103 :: v_dual_and_b32 v103, 0xffff, v144
	s_delay_alu instid0(VALU_DEP_2)
	v_dual_fmac_f32 v100, v123, v138 :: v_dual_fmac_f32 v99, v137, v139
	s_wait_dscnt 0x0
	v_lshrrev_b32_e32 v102, 16, v108
	v_and_b32_e32 v101, 0xffff, v108
	;;#ASMSTART
	v_cvt_f32_f16 v101, v101;
	;;#ASMEND
	;;#ASMSTART
	v_cvt_f32_f16 v102, v102;
	;;#ASMEND
	;; [unrolled: 3-line block ×4, first 2 shown]
	v_dual_fmac_f32 v80, v101, v103 :: v_dual_and_b32 v101, 0xffff, v109
	v_dual_fmac_f32 v86, v102, v112 :: v_dual_and_b32 v103, 0xffff, v134
	v_lshrrev_b32_e32 v102, 16, v109
	v_and_b32_e32 v112, 0xffff, v117
	;;#ASMSTART
	v_cvt_f32_f16 v101, v101;
	;;#ASMEND
	;;#ASMSTART
	v_cvt_f32_f16 v102, v102;
	;;#ASMEND
	;; [unrolled: 3-line block ×4, first 2 shown]
	v_dual_fmac_f32 v96, v101, v103 :: v_dual_and_b32 v101, 0xffff, v110
	v_fmac_f32_e32 v87, v102, v112
	v_lshrrev_b32_e32 v102, 16, v110
	v_and_b32_e32 v103, 0xffff, v116
	v_and_b32_e32 v112, 0xffff, v115
	;;#ASMSTART
	v_cvt_f32_f16 v101, v101;
	;;#ASMEND
	;;#ASMSTART
	v_cvt_f32_f16 v102, v102;
	;;#ASMEND
	;; [unrolled: 3-line block ×4, first 2 shown]
	v_dual_fmac_f32 v98, v101, v103 :: v_dual_and_b32 v103, 0xffff, v114
	v_fmac_f32_e32 v97, v102, v112
	v_lshrrev_b32_e32 v102, 16, v111
	v_and_b32_e32 v101, 0xffff, v111
	v_and_b32_e32 v112, 0xffff, v113
	;;#ASMSTART
	v_cvt_f32_f16 v101, v101;
	;;#ASMEND
	;;#ASMSTART
	v_cvt_f32_f16 v102, v102;
	;;#ASMEND
	;; [unrolled: 3-line block ×4, first 2 shown]
	v_fmac_f32_e32 v99, v102, v112
	ds_load_b128 v[112:115], v8 offset:48
	v_dual_fmac_f32 v100, v101, v103 :: v_dual_and_b32 v103, 0xffff, v160
	s_wait_dscnt 0x0
	v_lshrrev_b32_e32 v102, 16, v112
	v_and_b32_e32 v101, 0xffff, v112
	v_and_b32_e32 v112, 0xffff, v151
	;;#ASMSTART
	v_cvt_f32_f16 v101, v101;
	;;#ASMEND
	;;#ASMSTART
	v_cvt_f32_f16 v102, v102;
	;;#ASMEND
	;;#ASMSTART
	v_cvt_f32_f16 v103, v103;
	;;#ASMEND
	;;#ASMSTART
	v_cvt_f32_f16 v112, v112;
	;;#ASMEND
	v_dual_fmac_f32 v80, v101, v103 :: v_dual_and_b32 v101, 0xffff, v113
	v_fmac_f32_e32 v86, v102, v112
	v_lshrrev_b32_e32 v102, 16, v113
	v_and_b32_e32 v103, 0xffff, v150
	v_and_b32_e32 v112, 0xffff, v133
	;;#ASMSTART
	v_cvt_f32_f16 v101, v101;
	;;#ASMEND
	;;#ASMSTART
	v_cvt_f32_f16 v102, v102;
	;;#ASMEND
	;;#ASMSTART
	v_cvt_f32_f16 v103, v103;
	;;#ASMEND
	;;#ASMSTART
	v_cvt_f32_f16 v112, v112;
	;;#ASMEND
	v_dual_fmac_f32 v96, v101, v103 :: v_dual_and_b32 v101, 0xffff, v114
	v_fmac_f32_e32 v87, v102, v112
	;; [unrolled: 17-line block ×3, first 2 shown]
	v_lshrrev_b32_e32 v102, 16, v115
	v_and_b32_e32 v101, 0xffff, v115
	v_and_b32_e32 v112, 0xffff, v129
	;;#ASMSTART
	v_cvt_f32_f16 v101, v101;
	;;#ASMEND
	;;#ASMSTART
	v_cvt_f32_f16 v102, v102;
	;;#ASMEND
	;; [unrolled: 3-line block ×4, first 2 shown]
	v_fmac_f32_e32 v99, v102, v112
	ds_load_b128 v[112:115], v8 offset:64
	v_dual_fmac_f32 v100, v101, v103 :: v_dual_and_b32 v103, 0xffff, v176
	s_wait_dscnt 0x0
	v_lshrrev_b32_e32 v102, 16, v112
	v_and_b32_e32 v101, 0xffff, v112
	v_and_b32_e32 v112, 0xffff, v167
	;;#ASMSTART
	v_cvt_f32_f16 v101, v101;
	;;#ASMEND
	;;#ASMSTART
	v_cvt_f32_f16 v102, v102;
	;;#ASMEND
	;;#ASMSTART
	v_cvt_f32_f16 v103, v103;
	;;#ASMEND
	;;#ASMSTART
	v_cvt_f32_f16 v112, v112;
	;;#ASMEND
	v_dual_fmac_f32 v80, v101, v103 :: v_dual_and_b32 v101, 0xffff, v113
	v_fmac_f32_e32 v86, v102, v112
	v_lshrrev_b32_e32 v102, 16, v113
	v_and_b32_e32 v103, 0xffff, v166
	v_and_b32_e32 v112, 0xffff, v149
	;;#ASMSTART
	v_cvt_f32_f16 v101, v101;
	;;#ASMEND
	;;#ASMSTART
	v_cvt_f32_f16 v102, v102;
	;;#ASMEND
	;;#ASMSTART
	v_cvt_f32_f16 v103, v103;
	;;#ASMEND
	;;#ASMSTART
	v_cvt_f32_f16 v112, v112;
	;;#ASMEND
	v_dual_fmac_f32 v96, v101, v103 :: v_dual_and_b32 v101, 0xffff, v114
	v_fmac_f32_e32 v87, v102, v112
	;; [unrolled: 17-line block ×3, first 2 shown]
	v_lshrrev_b32_e32 v102, 16, v115
	v_and_b32_e32 v101, 0xffff, v115
	v_and_b32_e32 v112, 0xffff, v145
	;;#ASMSTART
	v_cvt_f32_f16 v101, v101;
	;;#ASMEND
	;;#ASMSTART
	v_cvt_f32_f16 v102, v102;
	;;#ASMEND
	;; [unrolled: 3-line block ×4, first 2 shown]
	v_dual_fmac_f32 v100, v101, v103 :: v_dual_fmac_f32 v99, v102, v112
	ds_load_b128 v[112:115], v8 offset:80
	v_and_b32_e32 v103, 0xffff, v46
	s_wait_dscnt 0x0
	v_lshrrev_b32_e32 v102, 16, v112
	v_and_b32_e32 v101, 0xffff, v112
	v_and_b32_e32 v112, 0xffff, v41
	;;#ASMSTART
	v_cvt_f32_f16 v101, v101;
	;;#ASMEND
	;;#ASMSTART
	v_cvt_f32_f16 v102, v102;
	;;#ASMEND
	;; [unrolled: 3-line block ×4, first 2 shown]
	v_dual_fmac_f32 v80, v101, v103 :: v_dual_and_b32 v101, 0xffff, v113
	v_fmac_f32_e32 v86, v102, v112
	v_lshrrev_b32_e32 v102, 16, v113
	v_and_b32_e32 v103, 0xffff, v40
	v_and_b32_e32 v112, 0xffff, v165
	;;#ASMSTART
	v_cvt_f32_f16 v101, v101;
	;;#ASMEND
	;;#ASMSTART
	v_cvt_f32_f16 v102, v102;
	;;#ASMEND
	;; [unrolled: 3-line block ×4, first 2 shown]
	v_dual_fmac_f32 v96, v101, v103 :: v_dual_fmac_f32 v87, v102, v112
	v_lshrrev_b32_e32 v102, 16, v114
	v_and_b32_e32 v101, 0xffff, v114
	v_and_b32_e32 v103, 0xffff, v164
	;; [unrolled: 1-line block ×3, first 2 shown]
	;;#ASMSTART
	v_cvt_f32_f16 v101, v101;
	;;#ASMEND
	;;#ASMSTART
	v_cvt_f32_f16 v102, v102;
	;;#ASMEND
	;; [unrolled: 3-line block ×4, first 2 shown]
	v_dual_fmac_f32 v98, v101, v103 :: v_dual_fmac_f32 v97, v102, v112
	v_lshrrev_b32_e32 v102, 16, v115
	v_and_b32_e32 v101, 0xffff, v115
	v_and_b32_e32 v103, 0xffff, v162
	;; [unrolled: 1-line block ×3, first 2 shown]
	;;#ASMSTART
	v_cvt_f32_f16 v101, v101;
	;;#ASMEND
	;;#ASMSTART
	v_cvt_f32_f16 v102, v102;
	;;#ASMEND
	;; [unrolled: 3-line block ×4, first 2 shown]
	v_dual_fmac_f32 v100, v101, v103 :: v_dual_fmac_f32 v99, v102, v112
	ds_load_b128 v[112:115], v8 offset:96
	v_and_b32_e32 v103, 0xffff, v104
	s_wait_dscnt 0x0
	v_lshrrev_b32_e32 v102, 16, v112
	v_and_b32_e32 v101, 0xffff, v112
	v_and_b32_e32 v112, 0xffff, v91
	;;#ASMSTART
	v_cvt_f32_f16 v101, v101;
	;;#ASMEND
	;;#ASMSTART
	v_cvt_f32_f16 v102, v102;
	;;#ASMEND
	;; [unrolled: 3-line block ×4, first 2 shown]
	v_dual_fmac_f32 v80, v101, v103 :: v_dual_and_b32 v101, 0xffff, v113
	v_fmac_f32_e32 v86, v102, v112
	v_lshrrev_b32_e32 v102, 16, v113
	v_and_b32_e32 v103, 0xffff, v90
	v_and_b32_e32 v112, 0xffff, v181
	;;#ASMSTART
	v_cvt_f32_f16 v101, v101;
	;;#ASMEND
	;;#ASMSTART
	v_cvt_f32_f16 v102, v102;
	;;#ASMEND
	;; [unrolled: 3-line block ×4, first 2 shown]
	v_dual_fmac_f32 v96, v101, v103 :: v_dual_fmac_f32 v87, v102, v112
	v_lshrrev_b32_e32 v102, 16, v114
	v_and_b32_e32 v101, 0xffff, v114
	v_and_b32_e32 v103, 0xffff, v180
	;; [unrolled: 1-line block ×3, first 2 shown]
	;;#ASMSTART
	v_cvt_f32_f16 v101, v101;
	;;#ASMEND
	;;#ASMSTART
	v_cvt_f32_f16 v102, v102;
	;;#ASMEND
	;; [unrolled: 3-line block ×4, first 2 shown]
	v_dual_fmac_f32 v98, v101, v103 :: v_dual_fmac_f32 v97, v102, v112
	v_lshrrev_b32_e32 v102, 16, v115
	v_and_b32_e32 v101, 0xffff, v115
	v_and_b32_e32 v103, 0xffff, v178
	;; [unrolled: 1-line block ×3, first 2 shown]
	;;#ASMSTART
	v_cvt_f32_f16 v101, v101;
	;;#ASMEND
	;;#ASMSTART
	v_cvt_f32_f16 v102, v102;
	;;#ASMEND
	;; [unrolled: 3-line block ×4, first 2 shown]
	v_dual_fmac_f32 v100, v101, v103 :: v_dual_fmac_f32 v99, v102, v112
	ds_load_b128 v[112:115], v8 offset:112
	v_and_b32_e32 v103, 0xffff, v107
	s_wait_dscnt 0x0
	v_lshrrev_b32_e32 v102, 16, v112
	v_and_b32_e32 v101, 0xffff, v112
	v_and_b32_e32 v112, 0xffff, v106
	;;#ASMSTART
	v_cvt_f32_f16 v101, v101;
	;;#ASMEND
	;;#ASMSTART
	v_cvt_f32_f16 v102, v102;
	;;#ASMEND
	;; [unrolled: 3-line block ×4, first 2 shown]
	v_dual_fmac_f32 v80, v101, v103 :: v_dual_and_b32 v101, 0xffff, v113
	v_fmac_f32_e32 v86, v102, v112
	v_lshrrev_b32_e32 v102, 16, v113
	v_and_b32_e32 v103, 0xffff, v105
	v_and_b32_e32 v112, 0xffff, v77
	;;#ASMSTART
	v_cvt_f32_f16 v101, v101;
	;;#ASMEND
	;;#ASMSTART
	v_cvt_f32_f16 v102, v102;
	;;#ASMEND
	;; [unrolled: 3-line block ×4, first 2 shown]
	v_dual_fmac_f32 v96, v101, v103 :: v_dual_fmac_f32 v87, v102, v112
	v_lshrrev_b32_e32 v102, 16, v114
	v_and_b32_e32 v101, 0xffff, v114
	v_and_b32_e32 v103, 0xffff, v76
	;; [unrolled: 1-line block ×3, first 2 shown]
	;;#ASMSTART
	v_cvt_f32_f16 v101, v101;
	;;#ASMEND
	;;#ASMSTART
	v_cvt_f32_f16 v102, v102;
	;;#ASMEND
	;;#ASMSTART
	v_cvt_f32_f16 v103, v103;
	;;#ASMEND
	;;#ASMSTART
	v_cvt_f32_f16 v112, v112;
	;;#ASMEND
	v_dual_fmac_f32 v98, v101, v103 :: v_dual_fmac_f32 v97, v102, v112
	v_lshrrev_b32_e32 v102, 16, v115
	v_and_b32_e32 v101, 0xffff, v115
	v_and_b32_e32 v103, 0xffff, v60
	;; [unrolled: 1-line block ×3, first 2 shown]
	;;#ASMSTART
	v_cvt_f32_f16 v101, v101;
	;;#ASMEND
	;;#ASMSTART
	v_cvt_f32_f16 v102, v102;
	;;#ASMEND
	;; [unrolled: 3-line block ×4, first 2 shown]
	v_dual_fmac_f32 v100, v101, v103 :: v_dual_fmac_f32 v99, v102, v112
	ds_load_b128 v[112:115], v8 offset:128
	v_and_b32_e32 v103, 0xffff, v95
	s_wait_dscnt 0x0
	v_lshrrev_b32_e32 v102, 16, v112
	v_and_b32_e32 v101, 0xffff, v112
	v_and_b32_e32 v112, 0xffff, v94
	;;#ASMSTART
	v_cvt_f32_f16 v101, v101;
	;;#ASMEND
	;;#ASMSTART
	v_cvt_f32_f16 v102, v102;
	;;#ASMEND
	;; [unrolled: 3-line block ×4, first 2 shown]
	v_dual_fmac_f32 v80, v101, v103 :: v_dual_and_b32 v101, 0xffff, v113
	v_fmac_f32_e32 v86, v102, v112
	v_lshrrev_b32_e32 v102, 16, v113
	v_and_b32_e32 v103, 0xffff, v93
	v_and_b32_e32 v112, 0xffff, v92
	;;#ASMSTART
	v_cvt_f32_f16 v101, v101;
	;;#ASMEND
	;;#ASMSTART
	v_cvt_f32_f16 v102, v102;
	;;#ASMEND
	;; [unrolled: 3-line block ×4, first 2 shown]
	v_dual_fmac_f32 v96, v101, v103 :: v_dual_fmac_f32 v87, v102, v112
	v_lshrrev_b32_e32 v102, 16, v114
	v_and_b32_e32 v101, 0xffff, v114
	v_and_b32_e32 v103, 0xffff, v89
	;; [unrolled: 1-line block ×3, first 2 shown]
	;;#ASMSTART
	v_cvt_f32_f16 v101, v101;
	;;#ASMEND
	;;#ASMSTART
	v_cvt_f32_f16 v102, v102;
	;;#ASMEND
	;; [unrolled: 3-line block ×4, first 2 shown]
	v_dual_fmac_f32 v98, v101, v103 :: v_dual_fmac_f32 v97, v102, v112
	v_lshrrev_b32_e32 v102, 16, v115
	v_and_b32_e32 v101, 0xffff, v115
	v_and_b32_e32 v103, 0xffff, v79
	;; [unrolled: 1-line block ×3, first 2 shown]
	;;#ASMSTART
	v_cvt_f32_f16 v101, v101;
	;;#ASMEND
	;;#ASMSTART
	v_cvt_f32_f16 v102, v102;
	;;#ASMEND
	;; [unrolled: 3-line block ×4, first 2 shown]
	v_dual_fmac_f32 v100, v101, v103 :: v_dual_fmac_f32 v99, v102, v112
	ds_load_b128 v[112:115], v8 offset:144
	v_and_b32_e32 v103, 0xffff, v75
	s_wait_dscnt 0x0
	v_lshrrev_b32_e32 v102, 16, v112
	v_and_b32_e32 v101, 0xffff, v112
	v_and_b32_e32 v112, 0xffff, v74
	;;#ASMSTART
	v_cvt_f32_f16 v101, v101;
	;;#ASMEND
	;;#ASMSTART
	v_cvt_f32_f16 v102, v102;
	;;#ASMEND
	;; [unrolled: 3-line block ×4, first 2 shown]
	v_dual_fmac_f32 v80, v101, v103 :: v_dual_and_b32 v101, 0xffff, v113
	v_fmac_f32_e32 v86, v102, v112
	v_lshrrev_b32_e32 v102, 16, v113
	v_and_b32_e32 v103, 0xffff, v73
	v_and_b32_e32 v112, 0xffff, v72
	;;#ASMSTART
	v_cvt_f32_f16 v101, v101;
	;;#ASMEND
	;;#ASMSTART
	v_cvt_f32_f16 v102, v102;
	;;#ASMEND
	;; [unrolled: 3-line block ×4, first 2 shown]
	v_dual_fmac_f32 v96, v101, v103 :: v_dual_fmac_f32 v87, v102, v112
	v_lshrrev_b32_e32 v102, 16, v114
	v_and_b32_e32 v101, 0xffff, v114
	v_and_b32_e32 v103, 0xffff, v63
	;; [unrolled: 1-line block ×3, first 2 shown]
	;;#ASMSTART
	v_cvt_f32_f16 v101, v101;
	;;#ASMEND
	;;#ASMSTART
	v_cvt_f32_f16 v102, v102;
	;;#ASMEND
	;; [unrolled: 3-line block ×4, first 2 shown]
	v_dual_fmac_f32 v98, v101, v103 :: v_dual_fmac_f32 v97, v102, v112
	v_lshrrev_b32_e32 v102, 16, v115
	v_and_b32_e32 v101, 0xffff, v115
	v_and_b32_e32 v103, 0xffff, v59
	;; [unrolled: 1-line block ×3, first 2 shown]
	;;#ASMSTART
	v_cvt_f32_f16 v101, v101;
	;;#ASMEND
	;;#ASMSTART
	v_cvt_f32_f16 v102, v102;
	;;#ASMEND
	;; [unrolled: 3-line block ×4, first 2 shown]
	v_dual_fmac_f32 v100, v101, v103 :: v_dual_fmac_f32 v99, v102, v112
	ds_load_b128 v[112:115], v8 offset:160
	v_and_b32_e32 v103, 0xffff, v56
	s_wait_dscnt 0x0
	v_lshrrev_b32_e32 v102, 16, v112
	v_and_b32_e32 v101, 0xffff, v112
	v_and_b32_e32 v112, 0xffff, v47
	;;#ASMSTART
	v_cvt_f32_f16 v101, v101;
	;;#ASMEND
	;;#ASMSTART
	v_cvt_f32_f16 v102, v102;
	;;#ASMEND
	;; [unrolled: 3-line block ×4, first 2 shown]
	v_dual_fmac_f32 v80, v101, v103 :: v_dual_and_b32 v101, 0xffff, v113
	v_fmac_f32_e32 v86, v102, v112
	v_lshrrev_b32_e32 v102, 16, v113
	v_and_b32_e32 v103, 0xffff, v45
	v_and_b32_e32 v112, 0xffff, v44
	;;#ASMSTART
	v_cvt_f32_f16 v101, v101;
	;;#ASMEND
	;;#ASMSTART
	v_cvt_f32_f16 v102, v102;
	;;#ASMEND
	;; [unrolled: 3-line block ×4, first 2 shown]
	v_dual_fmac_f32 v96, v101, v103 :: v_dual_fmac_f32 v87, v102, v112
	v_lshrrev_b32_e32 v102, 16, v114
	v_and_b32_e32 v101, 0xffff, v114
	v_and_b32_e32 v103, 0xffff, v43
	;; [unrolled: 1-line block ×3, first 2 shown]
	;;#ASMSTART
	v_cvt_f32_f16 v101, v101;
	;;#ASMEND
	;;#ASMSTART
	v_cvt_f32_f16 v102, v102;
	;;#ASMEND
	;; [unrolled: 3-line block ×4, first 2 shown]
	v_dual_fmac_f32 v98, v101, v103 :: v_dual_fmac_f32 v97, v102, v112
	v_lshrrev_b32_e32 v102, 16, v115
	v_and_b32_e32 v101, 0xffff, v115
	v_and_b32_e32 v103, 0xffff, v183
	;; [unrolled: 1-line block ×3, first 2 shown]
	;;#ASMSTART
	v_cvt_f32_f16 v101, v101;
	;;#ASMEND
	;;#ASMSTART
	v_cvt_f32_f16 v102, v102;
	;;#ASMEND
	;; [unrolled: 3-line block ×4, first 2 shown]
	v_dual_fmac_f32 v100, v101, v103 :: v_dual_fmac_f32 v99, v102, v112
	ds_load_b128 v[112:115], v8 offset:176
	s_wait_dscnt 0x0
	v_lshrrev_b32_e32 v102, 16, v112
	v_and_b32_e32 v101, 0xffff, v112
	;;#ASMSTART
	v_cvt_f32_f16 v101, v101;
	;;#ASMEND
	;;#ASMSTART
	v_cvt_f32_f16 v102, v102;
	;;#ASMEND
	;; [unrolled: 3-line block ×4, first 2 shown]
	v_fmac_f32_e32 v80, v101, v85
	v_fmac_f32_e32 v86, v102, v84
	v_lshrrev_b32_e32 v85, 16, v113
	v_and_b32_e32 v84, 0xffff, v113
	;;#ASMSTART
	v_cvt_f32_f16 v84, v84;
	;;#ASMEND
	;;#ASMSTART
	v_cvt_f32_f16 v85, v85;
	;;#ASMEND
	;; [unrolled: 3-line block ×4, first 2 shown]
	v_dual_fmac_f32 v96, v84, v83 :: v_dual_fmac_f32 v87, v85, v82
	v_lshrrev_b32_e32 v83, 16, v114
	v_and_b32_e32 v82, 0xffff, v114
	;;#ASMSTART
	v_cvt_f32_f16 v82, v82;
	;;#ASMEND
	;;#ASMSTART
	v_cvt_f32_f16 v83, v83;
	;;#ASMEND
	;;#ASMSTART
	v_cvt_f32_f16 v81, v81;
	;;#ASMEND
	;;#ASMSTART
	v_cvt_f32_f16 v32, v32;
	;;#ASMEND
	v_dual_fmac_f32 v98, v82, v81 :: v_dual_fmac_f32 v97, v83, v32
	v_lshrrev_b32_e32 v81, 16, v115
	v_and_b32_e32 v32, 0xffff, v115
	;;#ASMSTART
	v_cvt_f32_f16 v32, v32;
	;;#ASMEND
	;;#ASMSTART
	v_cvt_f32_f16 v81, v81;
	;;#ASMEND
	;; [unrolled: 3-line block ×4, first 2 shown]
	v_fmac_f32_e32 v99, v81, v29
	v_add_f32_e32 v29, v80, v86
	s_delay_alu instid0(VALU_DEP_1) | instskip(NEXT) | instid1(VALU_DEP_1)
	v_dual_fmac_f32 v100, v32, v31 :: v_dual_add_f32 v29, v29, v96
	v_add_f32_e32 v29, v87, v29
	s_delay_alu instid0(VALU_DEP_1) | instskip(NEXT) | instid1(VALU_DEP_1)
	v_add_f32_e32 v29, v29, v98
	v_add_f32_e32 v29, v97, v29
	s_delay_alu instid0(VALU_DEP_1) | instskip(NEXT) | instid1(VALU_DEP_1)
	v_add_f32_e32 v29, v29, v100
	v_add_f32_e32 v29, v99, v29
	s_delay_alu instid0(VALU_DEP_1) | instskip(SKIP_1) | instid1(VALU_DEP_1)
	v_fmac_f32_e32 v7, v13, v29
	s_wait_alu 0xf1ff
	v_cndmask_b32_e64 v29, 0, v7, s1
	ds_store_b32 v28, v29
	v_max_num_f32_e32 v28, v65, v65
	s_delay_alu instid0(VALU_DEP_1) | instskip(NEXT) | instid1(VALU_DEP_1)
	v_max_num_f32_e32 v7, v28, v7
	v_cndmask_b32_e64 v65, v65, v7, s1
.LBB286_15:                             ;   in Loop: Header=BB286_16 Depth=1
	s_wait_alu 0xfffe
	s_or_b32 exec_lo, exec_lo, s2
	v_add_nc_u32_e32 v71, 4, v71
	v_add_co_u32 v20, s2, v20, 16
	s_wait_alu 0xf1ff
	v_add_co_ci_u32_e64 v21, null, 0, v21, s2
	s_delay_alu instid0(VALU_DEP_3)
	v_cmp_ge_i32_e64 s1, v71, v49
	v_add_nc_u32_e32 v9, 0x80, v9
	v_add_nc_u32_e32 v67, 0x200, v67
	s_or_b32 s19, s1, s19
	s_wait_alu 0xfffe
	s_and_not1_b32 exec_lo, exec_lo, s19
	s_cbranch_execz .LBB286_784
.LBB286_16:                             ; =>This Inner Loop Header: Depth=1
	v_sub_nc_u32_e32 v7, 0, v9
	s_delay_alu instid0(VALU_DEP_1) | instskip(NEXT) | instid1(VALU_DEP_1)
	v_max_i32_e32 v7, v9, v7
	v_mul_hi_u32 v28, v7, v38
	s_delay_alu instid0(VALU_DEP_1) | instskip(NEXT) | instid1(VALU_DEP_1)
	v_mul_lo_u32 v29, v28, v37
	v_sub_nc_u32_e32 v7, v7, v29
	v_add_nc_u32_e32 v29, 1, v28
	s_delay_alu instid0(VALU_DEP_2) | instskip(SKIP_2) | instid1(VALU_DEP_1)
	v_sub_nc_u32_e32 v31, v7, v37
	v_cmp_ge_u32_e64 s1, v7, v37
	s_wait_alu 0xf1ff
	v_cndmask_b32_e64 v28, v28, v29, s1
	s_delay_alu instid0(VALU_DEP_3) | instskip(SKIP_1) | instid1(VALU_DEP_3)
	v_cndmask_b32_e64 v7, v7, v31, s1
	v_ashrrev_i32_e32 v29, 31, v9
	v_add_nc_u32_e32 v31, 1, v28
	s_delay_alu instid0(VALU_DEP_3) | instskip(NEXT) | instid1(VALU_DEP_3)
	v_cmp_ge_u32_e64 s1, v7, v37
	v_xor_b32_e32 v29, v29, v39
	s_wait_alu 0xf1ff
	s_delay_alu instid0(VALU_DEP_2) | instskip(NEXT) | instid1(VALU_DEP_1)
	v_cndmask_b32_e64 v7, v28, v31, s1
	v_xor_b32_e32 v7, v7, v29
	s_delay_alu instid0(VALU_DEP_1) | instskip(NEXT) | instid1(VALU_DEP_1)
	v_sub_nc_u32_e32 v7, v7, v29
	v_add_nc_u32_e32 v28, v7, v6
	v_cmp_le_i32_e64 s2, v7, v50
	s_delay_alu instid0(VALU_DEP_2) | instskip(NEXT) | instid1(VALU_DEP_1)
	v_sub_nc_u32_e32 v29, 0, v28
	v_max_i32_e32 v29, v28, v29
	v_ashrrev_i32_e32 v28, 31, v28
	s_delay_alu instid0(VALU_DEP_2) | instskip(NEXT) | instid1(VALU_DEP_1)
	v_mul_hi_u32 v31, v29, v70
	v_mul_lo_u32 v31, v31, v66
	s_delay_alu instid0(VALU_DEP_1) | instskip(NEXT) | instid1(VALU_DEP_1)
	v_sub_nc_u32_e32 v29, v29, v31
	v_sub_nc_u32_e32 v31, v29, v66
	v_cmp_ge_u32_e64 s1, v29, v66
	s_wait_alu 0xf1ff
	s_delay_alu instid0(VALU_DEP_1) | instskip(NEXT) | instid1(VALU_DEP_1)
	v_cndmask_b32_e64 v29, v29, v31, s1
	v_sub_nc_u32_e32 v31, v29, v66
	v_cmp_ge_u32_e64 s1, v29, v66
	s_wait_alu 0xf1ff
	s_delay_alu instid0(VALU_DEP_1) | instskip(NEXT) | instid1(VALU_DEP_1)
	v_cndmask_b32_e64 v29, v29, v31, s1
	v_xor_b32_e32 v29, v29, v28
	s_delay_alu instid0(VALU_DEP_1) | instskip(NEXT) | instid1(VALU_DEP_1)
	v_sub_nc_u32_e32 v28, v29, v28
	v_cmp_ne_u32_e64 s1, 0, v28
	s_and_b32 s1, s1, s2
	s_wait_alu 0xfffe
	s_and_saveexec_b32 s2, s1
	s_wait_alu 0xfffe
	s_xor_b32 s1, exec_lo, s2
	s_cbranch_execz .LBB286_18
; %bb.17:                               ;   in Loop: Header=BB286_16 Depth=1
	s_wait_kmcnt 0x0
	v_add_nc_u32_e32 v7, s7, v67
	ds_store_b32 v7, v68
.LBB286_18:                             ;   in Loop: Header=BB286_16 Depth=1
	s_wait_alu 0xfffe
	s_and_not1_saveexec_b32 s2, s1
	s_cbranch_execz .LBB286_15
; %bb.19:                               ;   in Loop: Header=BB286_16 Depth=1
	flat_load_b32 v7, v[20:21]
	v_mov_b32_e32 v81, 0
	s_mov_b32 s20, exec_lo
	v_mov_b32_e32 v82, 0
	s_wait_loadcnt_dscnt 0x0
	v_mad_co_i64_i32 v[28:29], null, v7, v22, v[18:19]
	flat_load_b64 v[31:32], v[28:29]
	flat_load_b32 v80, v[24:25]
	s_wait_loadcnt_dscnt 0x101
	v_and_b32_e32 v7, 0xff, v31
	s_delay_alu instid0(VALU_DEP_1)
	v_cmpx_ne_u16_e32 0, v7
	s_cbranch_execz .LBB286_27
; %bb.20:                               ;   in Loop: Header=BB286_16 Depth=1
	v_mov_b32_e32 v82, 0x8000
	s_mov_b32 s21, exec_lo
	v_cmpx_ne_u16_e32 0x80, v7
	s_cbranch_execz .LBB286_26
; %bb.21:                               ;   in Loop: Header=BB286_16 Depth=1
	v_and_b32_e32 v83, 0x7f, v31
	v_mov_b32_e32 v82, 0x7c01
	s_mov_b32 s22, exec_lo
	s_delay_alu instid0(VALU_DEP_2)
	v_cmpx_ne_u32_e32 0x7f, v83
	s_cbranch_execz .LBB286_25
; %bb.22:                               ;   in Loop: Header=BB286_16 Depth=1
	v_and_b32_e32 v7, 7, v31
	v_lshrrev_b32_e32 v82, 3, v83
	s_mov_b32 s23, exec_lo
	v_cmpx_gt_u32_e32 8, v83
; %bb.23:                               ;   in Loop: Header=BB286_16 Depth=1
	s_delay_alu instid0(VALU_DEP_3) | instskip(NEXT) | instid1(VALU_DEP_1)
	v_clz_i32_u32_e32 v7, v7
	v_min_u32_e32 v7, 32, v7
	s_delay_alu instid0(VALU_DEP_1) | instskip(NEXT) | instid1(VALU_DEP_1)
	v_subrev_nc_u32_e32 v82, 28, v7
	v_lshlrev_b64_e32 v[83:84], v82, v[31:32]
	v_sub_nc_u32_e32 v82, 29, v7
	s_delay_alu instid0(VALU_DEP_2)
	v_and_b32_e32 v7, 7, v83
; %bb.24:                               ;   in Loop: Header=BB286_16 Depth=1
	s_wait_alu 0xfffe
	s_or_b32 exec_lo, exec_lo, s23
	v_lshlrev_b32_e32 v83, 8, v31
	v_lshl_add_u32 v82, v82, 10, 0x2000
	v_lshlrev_b32_e32 v7, 7, v7
	s_delay_alu instid0(VALU_DEP_3) | instskip(NEXT) | instid1(VALU_DEP_3)
	v_and_b32_e32 v83, 0x8000, v83
	v_and_b32_e32 v82, 0xfc00, v82
	s_delay_alu instid0(VALU_DEP_1)
	v_or3_b32 v82, v83, v82, v7
.LBB286_25:                             ;   in Loop: Header=BB286_16 Depth=1
	s_wait_alu 0xfffe
	s_or_b32 exec_lo, exec_lo, s22
.LBB286_26:                             ;   in Loop: Header=BB286_16 Depth=1
	s_wait_alu 0xfffe
	s_or_b32 exec_lo, exec_lo, s21
.LBB286_27:                             ;   in Loop: Header=BB286_16 Depth=1
	s_wait_alu 0xfffe
	s_or_b32 exec_lo, exec_lo, s20
	v_lshrrev_b16 v7, 8, v31
	s_mov_b32 s20, exec_lo
	s_delay_alu instid0(VALU_DEP_1)
	v_cmpx_ne_u16_e32 0, v7
	s_cbranch_execz .LBB286_35
; %bb.28:                               ;   in Loop: Header=BB286_16 Depth=1
	v_bfrev_b32_e32 v81, 1
	s_mov_b32 s21, exec_lo
	v_cmpx_ne_u16_e32 0x80, v7
	s_cbranch_execz .LBB286_34
; %bb.29:                               ;   in Loop: Header=BB286_16 Depth=1
	v_and_b32_e32 v83, 0xffff, v7
	v_mov_b32_e32 v81, 0x7c010000
	s_mov_b32 s22, exec_lo
	s_delay_alu instid0(VALU_DEP_2) | instskip(NEXT) | instid1(VALU_DEP_1)
	v_and_b32_e32 v85, 0x7f, v83
	v_cmpx_ne_u32_e32 0x7f, v85
	s_cbranch_execz .LBB286_33
; %bb.30:                               ;   in Loop: Header=BB286_16 Depth=1
	v_and_b32_e32 v81, 7, v83
	v_lshrrev_b32_e32 v84, 3, v85
	s_mov_b32 s23, exec_lo
	v_cmpx_gt_u32_e32 8, v85
; %bb.31:                               ;   in Loop: Header=BB286_16 Depth=1
	s_delay_alu instid0(VALU_DEP_3) | instskip(NEXT) | instid1(VALU_DEP_1)
	v_clz_i32_u32_e32 v81, v81
	v_min_u32_e32 v81, 32, v81
	s_delay_alu instid0(VALU_DEP_1) | instskip(NEXT) | instid1(VALU_DEP_1)
	v_subrev_nc_u32_e32 v84, 28, v81
	v_lshlrev_b64_e32 v[85:86], v84, v[7:8]
	v_sub_nc_u32_e32 v84, 29, v81
	s_delay_alu instid0(VALU_DEP_2)
	v_and_b32_e32 v81, 7, v85
; %bb.32:                               ;   in Loop: Header=BB286_16 Depth=1
	s_wait_alu 0xfffe
	s_or_b32 exec_lo, exec_lo, s23
	v_lshlrev_b32_e32 v7, 8, v83
	v_lshl_add_u32 v83, v84, 10, 0x2000
	v_lshlrev_b32_e32 v81, 23, v81
	s_delay_alu instid0(VALU_DEP_2) | instskip(NEXT) | instid1(VALU_DEP_1)
	v_and_or_b32 v7, 0x8000, v7, v83
	v_lshl_or_b32 v81, v7, 16, v81
.LBB286_33:                             ;   in Loop: Header=BB286_16 Depth=1
	s_wait_alu 0xfffe
	s_or_b32 exec_lo, exec_lo, s22
.LBB286_34:                             ;   in Loop: Header=BB286_16 Depth=1
	s_wait_alu 0xfffe
	s_or_b32 exec_lo, exec_lo, s21
.LBB286_35:                             ;   in Loop: Header=BB286_16 Depth=1
	s_wait_alu 0xfffe
	s_or_b32 exec_lo, exec_lo, s20
	v_lshrrev_b32_e32 v7, 16, v31
	v_mov_b32_e32 v83, 0
	s_mov_b32 s20, exec_lo
	s_delay_alu instid0(VALU_DEP_2) | instskip(NEXT) | instid1(VALU_DEP_1)
	v_dual_mov_b32 v84, 0 :: v_dual_and_b32 v85, 0xff, v7
	v_cmpx_ne_u16_e32 0, v85
	s_cbranch_execz .LBB286_43
; %bb.36:                               ;   in Loop: Header=BB286_16 Depth=1
	v_mov_b32_e32 v84, 0x8000
	s_mov_b32 s21, exec_lo
	v_cmpx_ne_u16_e32 0x80, v85
	s_cbranch_execz .LBB286_42
; %bb.37:                               ;   in Loop: Header=BB286_16 Depth=1
	v_bfe_u32 v86, v31, 16, 7
	v_mov_b32_e32 v84, 0x7c01
	s_mov_b32 s22, exec_lo
	s_delay_alu instid0(VALU_DEP_2)
	v_cmpx_ne_u32_e32 0x7f, v86
	s_cbranch_execz .LBB286_41
; %bb.38:                               ;   in Loop: Header=BB286_16 Depth=1
	v_and_b32_e32 v84, 7, v7
	v_lshrrev_b32_e32 v85, 3, v86
	s_mov_b32 s23, exec_lo
	v_cmpx_gt_u32_e32 8, v86
; %bb.39:                               ;   in Loop: Header=BB286_16 Depth=1
	s_delay_alu instid0(VALU_DEP_3) | instskip(NEXT) | instid1(VALU_DEP_1)
	v_clz_i32_u32_e32 v84, v84
	v_min_u32_e32 v86, 32, v84
	s_delay_alu instid0(VALU_DEP_1) | instskip(NEXT) | instid1(VALU_DEP_1)
	v_subrev_nc_u32_e32 v84, 28, v86
	v_lshlrev_b64_e32 v[84:85], v84, v[7:8]
	v_sub_nc_u32_e32 v85, 29, v86
	s_delay_alu instid0(VALU_DEP_2)
	v_and_b32_e32 v84, 7, v84
; %bb.40:                               ;   in Loop: Header=BB286_16 Depth=1
	s_wait_alu 0xfffe
	s_or_b32 exec_lo, exec_lo, s23
	v_lshlrev_b32_e32 v7, 8, v7
	v_lshl_add_u32 v85, v85, 10, 0x2000
	v_lshlrev_b32_e32 v84, 7, v84
	s_delay_alu instid0(VALU_DEP_3) | instskip(NEXT) | instid1(VALU_DEP_3)
	v_and_b32_e32 v7, 0x8000, v7
	v_and_b32_e32 v85, 0xfc00, v85
	s_delay_alu instid0(VALU_DEP_1)
	v_or3_b32 v84, v7, v85, v84
.LBB286_41:                             ;   in Loop: Header=BB286_16 Depth=1
	s_wait_alu 0xfffe
	s_or_b32 exec_lo, exec_lo, s22
.LBB286_42:                             ;   in Loop: Header=BB286_16 Depth=1
	s_wait_alu 0xfffe
	s_or_b32 exec_lo, exec_lo, s21
.LBB286_43:                             ;   in Loop: Header=BB286_16 Depth=1
	s_wait_alu 0xfffe
	s_or_b32 exec_lo, exec_lo, s20
	s_delay_alu instid0(SALU_CYCLE_1)
	s_mov_b32 s20, exec_lo
	v_cmpx_lt_u32_e32 0xffffff, v31
	s_cbranch_execz .LBB286_51
; %bb.44:                               ;   in Loop: Header=BB286_16 Depth=1
	v_lshrrev_b32_e32 v7, 24, v31
	v_bfrev_b32_e32 v83, 1
	s_mov_b32 s21, exec_lo
	s_delay_alu instid0(VALU_DEP_2)
	v_cmpx_ne_u32_e32 0x80, v7
	s_cbranch_execz .LBB286_50
; %bb.45:                               ;   in Loop: Header=BB286_16 Depth=1
	v_and_b32_e32 v86, 0x7f, v7
	v_mov_b32_e32 v83, 0x7c010000
	s_mov_b32 s22, exec_lo
	s_delay_alu instid0(VALU_DEP_2)
	v_cmpx_ne_u32_e32 0x7f, v86
	s_cbranch_execz .LBB286_49
; %bb.46:                               ;   in Loop: Header=BB286_16 Depth=1
	v_and_b32_e32 v83, 7, v7
	v_lshrrev_b32_e32 v85, 3, v86
	s_mov_b32 s23, exec_lo
	v_cmpx_gt_u32_e32 8, v86
; %bb.47:                               ;   in Loop: Header=BB286_16 Depth=1
	s_delay_alu instid0(VALU_DEP_3) | instskip(NEXT) | instid1(VALU_DEP_1)
	v_clz_i32_u32_e32 v83, v83
	v_min_u32_e32 v83, 32, v83
	s_delay_alu instid0(VALU_DEP_1) | instskip(NEXT) | instid1(VALU_DEP_1)
	v_subrev_nc_u32_e32 v85, 28, v83
	v_lshlrev_b64_e32 v[86:87], v85, v[7:8]
	v_sub_nc_u32_e32 v85, 29, v83
	s_delay_alu instid0(VALU_DEP_2)
	v_and_b32_e32 v83, 7, v86
; %bb.48:                               ;   in Loop: Header=BB286_16 Depth=1
	s_wait_alu 0xfffe
	s_or_b32 exec_lo, exec_lo, s23
	v_lshlrev_b32_e32 v7, 8, v7
	v_lshl_add_u32 v85, v85, 10, 0x2000
	v_lshlrev_b32_e32 v83, 23, v83
	s_delay_alu instid0(VALU_DEP_2) | instskip(NEXT) | instid1(VALU_DEP_1)
	v_and_or_b32 v7, 0x8000, v7, v85
	v_lshl_or_b32 v83, v7, 16, v83
.LBB286_49:                             ;   in Loop: Header=BB286_16 Depth=1
	s_wait_alu 0xfffe
	s_or_b32 exec_lo, exec_lo, s22
.LBB286_50:                             ;   in Loop: Header=BB286_16 Depth=1
	s_wait_alu 0xfffe
	s_or_b32 exec_lo, exec_lo, s21
.LBB286_51:                             ;   in Loop: Header=BB286_16 Depth=1
	s_wait_alu 0xfffe
	s_or_b32 exec_lo, exec_lo, s20
	v_dual_mov_b32 v86, 0 :: v_dual_and_b32 v87, 0xff, v32
	v_mov_b32_e32 v7, v32
	v_mov_b32_e32 v85, 0
	s_mov_b32 s20, exec_lo
	s_delay_alu instid0(VALU_DEP_3)
	v_cmpx_ne_u16_e32 0, v87
	s_cbranch_execz .LBB286_59
; %bb.52:                               ;   in Loop: Header=BB286_16 Depth=1
	v_mov_b32_e32 v86, 0x8000
	s_mov_b32 s21, exec_lo
	v_cmpx_ne_u16_e32 0x80, v87
	s_cbranch_execz .LBB286_58
; %bb.53:                               ;   in Loop: Header=BB286_16 Depth=1
	v_and_b32_e32 v96, 0x7f, v32
	v_mov_b32_e32 v86, 0x7c01
	s_mov_b32 s22, exec_lo
	s_delay_alu instid0(VALU_DEP_2)
	v_cmpx_ne_u32_e32 0x7f, v96
	s_cbranch_execz .LBB286_57
; %bb.54:                               ;   in Loop: Header=BB286_16 Depth=1
	v_and_b32_e32 v86, 7, v32
	v_lshrrev_b32_e32 v87, 3, v96
	s_mov_b32 s23, exec_lo
	v_cmpx_gt_u32_e32 8, v96
; %bb.55:                               ;   in Loop: Header=BB286_16 Depth=1
	s_delay_alu instid0(VALU_DEP_3) | instskip(NEXT) | instid1(VALU_DEP_1)
	v_clz_i32_u32_e32 v86, v86
	v_min_u32_e32 v96, 32, v86
	s_delay_alu instid0(VALU_DEP_1) | instskip(NEXT) | instid1(VALU_DEP_1)
	v_subrev_nc_u32_e32 v86, 28, v96
	v_lshlrev_b64_e32 v[86:87], v86, v[7:8]
	v_sub_nc_u32_e32 v87, 29, v96
	s_delay_alu instid0(VALU_DEP_2)
	v_and_b32_e32 v86, 7, v86
; %bb.56:                               ;   in Loop: Header=BB286_16 Depth=1
	s_wait_alu 0xfffe
	s_or_b32 exec_lo, exec_lo, s23
	v_lshlrev_b32_e32 v96, 8, v32
	v_lshl_add_u32 v87, v87, 10, 0x2000
	v_lshlrev_b32_e32 v86, 7, v86
	s_delay_alu instid0(VALU_DEP_3) | instskip(NEXT) | instid1(VALU_DEP_3)
	v_and_b32_e32 v96, 0x8000, v96
	v_and_b32_e32 v87, 0xfc00, v87
	s_delay_alu instid0(VALU_DEP_1)
	v_or3_b32 v86, v96, v87, v86
.LBB286_57:                             ;   in Loop: Header=BB286_16 Depth=1
	s_wait_alu 0xfffe
	s_or_b32 exec_lo, exec_lo, s22
.LBB286_58:                             ;   in Loop: Header=BB286_16 Depth=1
	s_wait_alu 0xfffe
	s_or_b32 exec_lo, exec_lo, s21
.LBB286_59:                             ;   in Loop: Header=BB286_16 Depth=1
	s_wait_alu 0xfffe
	s_or_b32 exec_lo, exec_lo, s20
	v_lshrrev_b16 v7, 8, v7
	v_mov_b32_e32 v87, 0
	s_mov_b32 s20, exec_lo
	s_delay_alu instid0(VALU_DEP_2)
	v_cmpx_ne_u16_e32 0, v7
	s_cbranch_execz .LBB286_67
; %bb.60:                               ;   in Loop: Header=BB286_16 Depth=1
	v_bfrev_b32_e32 v87, 1
	s_mov_b32 s21, exec_lo
	v_cmpx_ne_u16_e32 0x80, v7
	s_cbranch_execz .LBB286_66
; %bb.61:                               ;   in Loop: Header=BB286_16 Depth=1
	v_and_b32_e32 v96, 0xffff, v7
	v_mov_b32_e32 v87, 0x7c010000
	s_mov_b32 s22, exec_lo
	s_delay_alu instid0(VALU_DEP_2) | instskip(NEXT) | instid1(VALU_DEP_1)
	v_and_b32_e32 v98, 0x7f, v96
	v_cmpx_ne_u32_e32 0x7f, v98
	s_cbranch_execz .LBB286_65
; %bb.62:                               ;   in Loop: Header=BB286_16 Depth=1
	v_and_b32_e32 v87, 7, v96
	v_lshrrev_b32_e32 v97, 3, v98
	s_mov_b32 s23, exec_lo
	v_cmpx_gt_u32_e32 8, v98
; %bb.63:                               ;   in Loop: Header=BB286_16 Depth=1
	s_delay_alu instid0(VALU_DEP_3) | instskip(NEXT) | instid1(VALU_DEP_1)
	v_clz_i32_u32_e32 v87, v87
	v_min_u32_e32 v87, 32, v87
	s_delay_alu instid0(VALU_DEP_1) | instskip(NEXT) | instid1(VALU_DEP_1)
	v_subrev_nc_u32_e32 v97, 28, v87
	v_lshlrev_b64_e32 v[98:99], v97, v[7:8]
	v_sub_nc_u32_e32 v97, 29, v87
	s_delay_alu instid0(VALU_DEP_2)
	v_and_b32_e32 v87, 7, v98
; %bb.64:                               ;   in Loop: Header=BB286_16 Depth=1
	s_wait_alu 0xfffe
	s_or_b32 exec_lo, exec_lo, s23
	v_lshlrev_b32_e32 v7, 8, v96
	v_lshl_add_u32 v96, v97, 10, 0x2000
	v_lshlrev_b32_e32 v87, 23, v87
	s_delay_alu instid0(VALU_DEP_2) | instskip(NEXT) | instid1(VALU_DEP_1)
	v_and_or_b32 v7, 0x8000, v7, v96
	v_lshl_or_b32 v87, v7, 16, v87
.LBB286_65:                             ;   in Loop: Header=BB286_16 Depth=1
	s_wait_alu 0xfffe
	s_or_b32 exec_lo, exec_lo, s22
.LBB286_66:                             ;   in Loop: Header=BB286_16 Depth=1
	s_wait_alu 0xfffe
	s_or_b32 exec_lo, exec_lo, s21
.LBB286_67:                             ;   in Loop: Header=BB286_16 Depth=1
	s_wait_alu 0xfffe
	s_or_b32 exec_lo, exec_lo, s20
	v_lshrrev_b32_e32 v7, 16, v32
	s_mov_b32 s20, exec_lo
	s_delay_alu instid0(VALU_DEP_1) | instskip(NEXT) | instid1(VALU_DEP_1)
	v_and_b32_e32 v96, 0xff, v7
	v_cmpx_ne_u16_e32 0, v96
	s_cbranch_execz .LBB286_75
; %bb.68:                               ;   in Loop: Header=BB286_16 Depth=1
	v_mov_b32_e32 v85, 0x8000
	s_mov_b32 s21, exec_lo
	v_cmpx_ne_u16_e32 0x80, v96
	s_cbranch_execz .LBB286_74
; %bb.69:                               ;   in Loop: Header=BB286_16 Depth=1
	v_bfe_u32 v97, v32, 16, 7
	v_mov_b32_e32 v85, 0x7c01
	s_mov_b32 s22, exec_lo
	s_delay_alu instid0(VALU_DEP_2)
	v_cmpx_ne_u32_e32 0x7f, v97
	s_cbranch_execz .LBB286_73
; %bb.70:                               ;   in Loop: Header=BB286_16 Depth=1
	v_and_b32_e32 v85, 7, v7
	v_lshrrev_b32_e32 v96, 3, v97
	s_mov_b32 s23, exec_lo
	v_cmpx_gt_u32_e32 8, v97
; %bb.71:                               ;   in Loop: Header=BB286_16 Depth=1
	s_delay_alu instid0(VALU_DEP_3) | instskip(NEXT) | instid1(VALU_DEP_1)
	v_clz_i32_u32_e32 v85, v85
	v_min_u32_e32 v85, 32, v85
	s_delay_alu instid0(VALU_DEP_1) | instskip(NEXT) | instid1(VALU_DEP_1)
	v_subrev_nc_u32_e32 v96, 28, v85
	v_lshlrev_b64_e32 v[97:98], v96, v[7:8]
	v_sub_nc_u32_e32 v96, 29, v85
	s_delay_alu instid0(VALU_DEP_2)
	v_and_b32_e32 v85, 7, v97
; %bb.72:                               ;   in Loop: Header=BB286_16 Depth=1
	s_wait_alu 0xfffe
	s_or_b32 exec_lo, exec_lo, s23
	v_lshlrev_b32_e32 v7, 8, v7
	v_lshl_add_u32 v96, v96, 10, 0x2000
	v_lshlrev_b32_e32 v85, 7, v85
	s_delay_alu instid0(VALU_DEP_3) | instskip(NEXT) | instid1(VALU_DEP_3)
	v_and_b32_e32 v7, 0x8000, v7
	v_and_b32_e32 v96, 0xfc00, v96
	s_delay_alu instid0(VALU_DEP_1)
	v_or3_b32 v85, v7, v96, v85
.LBB286_73:                             ;   in Loop: Header=BB286_16 Depth=1
	s_wait_alu 0xfffe
	s_or_b32 exec_lo, exec_lo, s22
.LBB286_74:                             ;   in Loop: Header=BB286_16 Depth=1
	s_wait_alu 0xfffe
	s_or_b32 exec_lo, exec_lo, s21
.LBB286_75:                             ;   in Loop: Header=BB286_16 Depth=1
	s_wait_alu 0xfffe
	s_or_b32 exec_lo, exec_lo, s20
	v_dual_mov_b32 v97, 0 :: v_dual_mov_b32 v96, 0
	s_mov_b32 s20, exec_lo
	v_cmpx_lt_u64_e64 s[10:11], v[31:32]
	s_cbranch_execz .LBB286_83
; %bb.76:                               ;   in Loop: Header=BB286_16 Depth=1
	v_lshrrev_b32_e32 v7, 24, v32
	v_bfrev_b32_e32 v96, 1
	s_mov_b32 s21, exec_lo
	s_delay_alu instid0(VALU_DEP_2)
	v_cmpx_ne_u32_e32 0x80, v7
	s_cbranch_execz .LBB286_82
; %bb.77:                               ;   in Loop: Header=BB286_16 Depth=1
	v_and_b32_e32 v98, 0x7f, v7
	v_mov_b32_e32 v96, 0x7c010000
	s_mov_b32 s22, exec_lo
	s_delay_alu instid0(VALU_DEP_2)
	v_cmpx_ne_u32_e32 0x7f, v98
	s_cbranch_execz .LBB286_81
; %bb.78:                               ;   in Loop: Header=BB286_16 Depth=1
	v_and_b32_e32 v31, 7, v7
	v_lshrrev_b32_e32 v32, 3, v98
	s_mov_b32 s23, exec_lo
	v_cmpx_gt_u32_e32 8, v98
; %bb.79:                               ;   in Loop: Header=BB286_16 Depth=1
	s_delay_alu instid0(VALU_DEP_3) | instskip(NEXT) | instid1(VALU_DEP_1)
	v_clz_i32_u32_e32 v31, v31
	v_min_u32_e32 v96, 32, v31
	s_delay_alu instid0(VALU_DEP_1) | instskip(NEXT) | instid1(VALU_DEP_1)
	v_subrev_nc_u32_e32 v31, 28, v96
	v_lshlrev_b64_e32 v[31:32], v31, v[7:8]
	v_sub_nc_u32_e32 v32, 29, v96
	s_delay_alu instid0(VALU_DEP_2)
	v_and_b32_e32 v31, 7, v31
; %bb.80:                               ;   in Loop: Header=BB286_16 Depth=1
	s_wait_alu 0xfffe
	s_or_b32 exec_lo, exec_lo, s23
	v_lshlrev_b32_e32 v7, 8, v7
	v_lshl_add_u32 v32, v32, 10, 0x2000
	v_lshlrev_b32_e32 v31, 23, v31
	s_delay_alu instid0(VALU_DEP_2) | instskip(NEXT) | instid1(VALU_DEP_1)
	v_and_or_b32 v7, 0x8000, v7, v32
	v_lshl_or_b32 v96, v7, 16, v31
.LBB286_81:                             ;   in Loop: Header=BB286_16 Depth=1
	s_wait_alu 0xfffe
	s_or_b32 exec_lo, exec_lo, s22
.LBB286_82:                             ;   in Loop: Header=BB286_16 Depth=1
	s_wait_alu 0xfffe
	s_or_b32 exec_lo, exec_lo, s21
.LBB286_83:                             ;   in Loop: Header=BB286_16 Depth=1
	s_wait_alu 0xfffe
	s_or_b32 exec_lo, exec_lo, s20
	flat_load_b64 v[31:32], v[28:29] offset:8
	s_mov_b32 s20, exec_lo
	s_wait_loadcnt_dscnt 0x0
	v_and_b32_e32 v7, 0xff, v31
	s_delay_alu instid0(VALU_DEP_1)
	v_cmpx_ne_u16_e32 0, v7
	s_cbranch_execz .LBB286_91
; %bb.84:                               ;   in Loop: Header=BB286_16 Depth=1
	v_mov_b32_e32 v97, 0x8000
	s_mov_b32 s21, exec_lo
	v_cmpx_ne_u16_e32 0x80, v7
	s_cbranch_execz .LBB286_90
; %bb.85:                               ;   in Loop: Header=BB286_16 Depth=1
	v_and_b32_e32 v98, 0x7f, v31
	v_mov_b32_e32 v97, 0x7c01
	s_mov_b32 s22, exec_lo
	s_delay_alu instid0(VALU_DEP_2)
	v_cmpx_ne_u32_e32 0x7f, v98
	s_cbranch_execz .LBB286_89
; %bb.86:                               ;   in Loop: Header=BB286_16 Depth=1
	v_and_b32_e32 v7, 7, v31
	v_lshrrev_b32_e32 v97, 3, v98
	s_mov_b32 s23, exec_lo
	v_cmpx_gt_u32_e32 8, v98
; %bb.87:                               ;   in Loop: Header=BB286_16 Depth=1
	s_delay_alu instid0(VALU_DEP_3) | instskip(NEXT) | instid1(VALU_DEP_1)
	v_clz_i32_u32_e32 v7, v7
	v_min_u32_e32 v7, 32, v7
	s_delay_alu instid0(VALU_DEP_1) | instskip(NEXT) | instid1(VALU_DEP_1)
	v_subrev_nc_u32_e32 v97, 28, v7
	v_lshlrev_b64_e32 v[98:99], v97, v[31:32]
	v_sub_nc_u32_e32 v97, 29, v7
	s_delay_alu instid0(VALU_DEP_2)
	v_and_b32_e32 v7, 7, v98
; %bb.88:                               ;   in Loop: Header=BB286_16 Depth=1
	s_wait_alu 0xfffe
	s_or_b32 exec_lo, exec_lo, s23
	v_lshlrev_b32_e32 v98, 8, v31
	v_lshl_add_u32 v97, v97, 10, 0x2000
	v_lshlrev_b32_e32 v7, 7, v7
	s_delay_alu instid0(VALU_DEP_3) | instskip(NEXT) | instid1(VALU_DEP_3)
	v_and_b32_e32 v98, 0x8000, v98
	v_and_b32_e32 v97, 0xfc00, v97
	s_delay_alu instid0(VALU_DEP_1)
	v_or3_b32 v97, v98, v97, v7
.LBB286_89:                             ;   in Loop: Header=BB286_16 Depth=1
	s_wait_alu 0xfffe
	s_or_b32 exec_lo, exec_lo, s22
.LBB286_90:                             ;   in Loop: Header=BB286_16 Depth=1
	s_wait_alu 0xfffe
	s_or_b32 exec_lo, exec_lo, s21
.LBB286_91:                             ;   in Loop: Header=BB286_16 Depth=1
	s_wait_alu 0xfffe
	s_or_b32 exec_lo, exec_lo, s20
	v_lshrrev_b16 v7, 8, v31
	v_dual_mov_b32 v99, 0 :: v_dual_mov_b32 v98, 0
	s_mov_b32 s20, exec_lo
	s_delay_alu instid0(VALU_DEP_2)
	v_cmpx_ne_u16_e32 0, v7
	s_cbranch_execz .LBB286_99
; %bb.92:                               ;   in Loop: Header=BB286_16 Depth=1
	v_bfrev_b32_e32 v98, 1
	s_mov_b32 s21, exec_lo
	v_cmpx_ne_u16_e32 0x80, v7
	s_cbranch_execz .LBB286_98
; %bb.93:                               ;   in Loop: Header=BB286_16 Depth=1
	v_and_b32_e32 v100, 0xffff, v7
	v_mov_b32_e32 v98, 0x7c010000
	s_mov_b32 s22, exec_lo
	s_delay_alu instid0(VALU_DEP_2) | instskip(NEXT) | instid1(VALU_DEP_1)
	v_and_b32_e32 v102, 0x7f, v100
	v_cmpx_ne_u32_e32 0x7f, v102
	s_cbranch_execz .LBB286_97
; %bb.94:                               ;   in Loop: Header=BB286_16 Depth=1
	v_and_b32_e32 v98, 7, v100
	v_lshrrev_b32_e32 v101, 3, v102
	s_mov_b32 s23, exec_lo
	v_cmpx_gt_u32_e32 8, v102
; %bb.95:                               ;   in Loop: Header=BB286_16 Depth=1
	s_delay_alu instid0(VALU_DEP_3) | instskip(NEXT) | instid1(VALU_DEP_1)
	v_clz_i32_u32_e32 v98, v98
	v_min_u32_e32 v98, 32, v98
	s_delay_alu instid0(VALU_DEP_1) | instskip(NEXT) | instid1(VALU_DEP_1)
	v_subrev_nc_u32_e32 v101, 28, v98
	v_lshlrev_b64_e32 v[102:103], v101, v[7:8]
	v_sub_nc_u32_e32 v101, 29, v98
	s_delay_alu instid0(VALU_DEP_2)
	v_and_b32_e32 v98, 7, v102
; %bb.96:                               ;   in Loop: Header=BB286_16 Depth=1
	s_wait_alu 0xfffe
	s_or_b32 exec_lo, exec_lo, s23
	v_lshlrev_b32_e32 v7, 8, v100
	v_lshl_add_u32 v100, v101, 10, 0x2000
	v_lshlrev_b32_e32 v98, 23, v98
	s_delay_alu instid0(VALU_DEP_2) | instskip(NEXT) | instid1(VALU_DEP_1)
	v_and_or_b32 v7, 0x8000, v7, v100
	v_lshl_or_b32 v98, v7, 16, v98
.LBB286_97:                             ;   in Loop: Header=BB286_16 Depth=1
	s_wait_alu 0xfffe
	s_or_b32 exec_lo, exec_lo, s22
.LBB286_98:                             ;   in Loop: Header=BB286_16 Depth=1
	s_wait_alu 0xfffe
	s_or_b32 exec_lo, exec_lo, s21
.LBB286_99:                             ;   in Loop: Header=BB286_16 Depth=1
	s_wait_alu 0xfffe
	s_or_b32 exec_lo, exec_lo, s20
	v_lshrrev_b32_e32 v7, 16, v31
	s_mov_b32 s20, exec_lo
	s_delay_alu instid0(VALU_DEP_1) | instskip(NEXT) | instid1(VALU_DEP_1)
	v_and_b32_e32 v100, 0xff, v7
	v_cmpx_ne_u16_e32 0, v100
	s_cbranch_execz .LBB286_107
; %bb.100:                              ;   in Loop: Header=BB286_16 Depth=1
	v_mov_b32_e32 v99, 0x8000
	s_mov_b32 s21, exec_lo
	v_cmpx_ne_u16_e32 0x80, v100
	s_cbranch_execz .LBB286_106
; %bb.101:                              ;   in Loop: Header=BB286_16 Depth=1
	v_bfe_u32 v101, v31, 16, 7
	v_mov_b32_e32 v99, 0x7c01
	s_mov_b32 s22, exec_lo
	s_delay_alu instid0(VALU_DEP_2)
	v_cmpx_ne_u32_e32 0x7f, v101
	s_cbranch_execz .LBB286_105
; %bb.102:                              ;   in Loop: Header=BB286_16 Depth=1
	v_and_b32_e32 v99, 7, v7
	v_lshrrev_b32_e32 v100, 3, v101
	s_mov_b32 s23, exec_lo
	v_cmpx_gt_u32_e32 8, v101
; %bb.103:                              ;   in Loop: Header=BB286_16 Depth=1
	s_delay_alu instid0(VALU_DEP_3) | instskip(NEXT) | instid1(VALU_DEP_1)
	v_clz_i32_u32_e32 v99, v99
	v_min_u32_e32 v101, 32, v99
	s_delay_alu instid0(VALU_DEP_1) | instskip(NEXT) | instid1(VALU_DEP_1)
	v_subrev_nc_u32_e32 v99, 28, v101
	v_lshlrev_b64_e32 v[99:100], v99, v[7:8]
	v_sub_nc_u32_e32 v100, 29, v101
	s_delay_alu instid0(VALU_DEP_2)
	v_and_b32_e32 v99, 7, v99
; %bb.104:                              ;   in Loop: Header=BB286_16 Depth=1
	s_wait_alu 0xfffe
	s_or_b32 exec_lo, exec_lo, s23
	v_lshlrev_b32_e32 v7, 8, v7
	v_lshl_add_u32 v100, v100, 10, 0x2000
	v_lshlrev_b32_e32 v99, 7, v99
	s_delay_alu instid0(VALU_DEP_3) | instskip(NEXT) | instid1(VALU_DEP_3)
	v_and_b32_e32 v7, 0x8000, v7
	v_and_b32_e32 v100, 0xfc00, v100
	s_delay_alu instid0(VALU_DEP_1)
	v_or3_b32 v99, v7, v100, v99
.LBB286_105:                            ;   in Loop: Header=BB286_16 Depth=1
	s_wait_alu 0xfffe
	s_or_b32 exec_lo, exec_lo, s22
.LBB286_106:                            ;   in Loop: Header=BB286_16 Depth=1
	s_wait_alu 0xfffe
	s_or_b32 exec_lo, exec_lo, s21
.LBB286_107:                            ;   in Loop: Header=BB286_16 Depth=1
	s_wait_alu 0xfffe
	s_or_b32 exec_lo, exec_lo, s20
	v_dual_mov_b32 v100, 0 :: v_dual_mov_b32 v101, 0
	s_mov_b32 s20, exec_lo
	v_cmpx_lt_u32_e32 0xffffff, v31
	s_cbranch_execz .LBB286_115
; %bb.108:                              ;   in Loop: Header=BB286_16 Depth=1
	v_lshrrev_b32_e32 v7, 24, v31
	v_bfrev_b32_e32 v101, 1
	s_mov_b32 s21, exec_lo
	s_delay_alu instid0(VALU_DEP_2)
	v_cmpx_ne_u32_e32 0x80, v7
	s_cbranch_execz .LBB286_114
; %bb.109:                              ;   in Loop: Header=BB286_16 Depth=1
	v_and_b32_e32 v103, 0x7f, v7
	v_mov_b32_e32 v101, 0x7c010000
	s_mov_b32 s22, exec_lo
	s_delay_alu instid0(VALU_DEP_2)
	v_cmpx_ne_u32_e32 0x7f, v103
	s_cbranch_execz .LBB286_113
; %bb.110:                              ;   in Loop: Header=BB286_16 Depth=1
	v_and_b32_e32 v101, 7, v7
	v_lshrrev_b32_e32 v102, 3, v103
	s_mov_b32 s23, exec_lo
	v_cmpx_gt_u32_e32 8, v103
; %bb.111:                              ;   in Loop: Header=BB286_16 Depth=1
	s_delay_alu instid0(VALU_DEP_3) | instskip(NEXT) | instid1(VALU_DEP_1)
	v_clz_i32_u32_e32 v101, v101
	v_min_u32_e32 v103, 32, v101
	s_delay_alu instid0(VALU_DEP_1) | instskip(NEXT) | instid1(VALU_DEP_1)
	v_subrev_nc_u32_e32 v101, 28, v103
	v_lshlrev_b64_e32 v[101:102], v101, v[7:8]
	v_sub_nc_u32_e32 v102, 29, v103
	s_delay_alu instid0(VALU_DEP_2)
	v_and_b32_e32 v101, 7, v101
; %bb.112:                              ;   in Loop: Header=BB286_16 Depth=1
	s_wait_alu 0xfffe
	s_or_b32 exec_lo, exec_lo, s23
	v_lshlrev_b32_e32 v7, 8, v7
	v_lshl_add_u32 v102, v102, 10, 0x2000
	v_lshlrev_b32_e32 v101, 23, v101
	s_delay_alu instid0(VALU_DEP_2) | instskip(NEXT) | instid1(VALU_DEP_1)
	v_and_or_b32 v7, 0x8000, v7, v102
	v_lshl_or_b32 v101, v7, 16, v101
.LBB286_113:                            ;   in Loop: Header=BB286_16 Depth=1
	s_wait_alu 0xfffe
	s_or_b32 exec_lo, exec_lo, s22
.LBB286_114:                            ;   in Loop: Header=BB286_16 Depth=1
	s_wait_alu 0xfffe
	s_or_b32 exec_lo, exec_lo, s21
.LBB286_115:                            ;   in Loop: Header=BB286_16 Depth=1
	s_wait_alu 0xfffe
	s_or_b32 exec_lo, exec_lo, s20
	v_dual_mov_b32 v7, v32 :: v_dual_and_b32 v102, 0xff, v32
	s_mov_b32 s20, exec_lo
	s_delay_alu instid0(VALU_DEP_1)
	v_cmpx_ne_u16_e32 0, v102
	s_cbranch_execz .LBB286_123
; %bb.116:                              ;   in Loop: Header=BB286_16 Depth=1
	v_mov_b32_e32 v100, 0x8000
	s_mov_b32 s21, exec_lo
	v_cmpx_ne_u16_e32 0x80, v102
	s_cbranch_execz .LBB286_122
; %bb.117:                              ;   in Loop: Header=BB286_16 Depth=1
	v_and_b32_e32 v103, 0x7f, v32
	v_mov_b32_e32 v100, 0x7c01
	s_mov_b32 s22, exec_lo
	s_delay_alu instid0(VALU_DEP_2)
	v_cmpx_ne_u32_e32 0x7f, v103
	s_cbranch_execz .LBB286_121
; %bb.118:                              ;   in Loop: Header=BB286_16 Depth=1
	v_and_b32_e32 v100, 7, v32
	v_lshrrev_b32_e32 v102, 3, v103
	s_mov_b32 s23, exec_lo
	v_cmpx_gt_u32_e32 8, v103
; %bb.119:                              ;   in Loop: Header=BB286_16 Depth=1
	s_delay_alu instid0(VALU_DEP_3) | instskip(NEXT) | instid1(VALU_DEP_1)
	v_clz_i32_u32_e32 v100, v100
	v_min_u32_e32 v100, 32, v100
	s_delay_alu instid0(VALU_DEP_1) | instskip(NEXT) | instid1(VALU_DEP_1)
	v_subrev_nc_u32_e32 v102, 28, v100
	v_lshlrev_b64_e32 v[112:113], v102, v[7:8]
	v_sub_nc_u32_e32 v102, 29, v100
	s_delay_alu instid0(VALU_DEP_2)
	v_and_b32_e32 v100, 7, v112
; %bb.120:                              ;   in Loop: Header=BB286_16 Depth=1
	s_wait_alu 0xfffe
	s_or_b32 exec_lo, exec_lo, s23
	v_lshlrev_b32_e32 v103, 8, v32
	v_lshl_add_u32 v102, v102, 10, 0x2000
	v_lshlrev_b32_e32 v100, 7, v100
	s_delay_alu instid0(VALU_DEP_3) | instskip(NEXT) | instid1(VALU_DEP_3)
	v_and_b32_e32 v103, 0x8000, v103
	v_and_b32_e32 v102, 0xfc00, v102
	s_delay_alu instid0(VALU_DEP_1)
	v_or3_b32 v100, v103, v102, v100
.LBB286_121:                            ;   in Loop: Header=BB286_16 Depth=1
	s_wait_alu 0xfffe
	s_or_b32 exec_lo, exec_lo, s22
.LBB286_122:                            ;   in Loop: Header=BB286_16 Depth=1
	s_wait_alu 0xfffe
	s_or_b32 exec_lo, exec_lo, s21
.LBB286_123:                            ;   in Loop: Header=BB286_16 Depth=1
	s_wait_alu 0xfffe
	s_or_b32 exec_lo, exec_lo, s20
	v_lshrrev_b16 v7, 8, v7
	v_dual_mov_b32 v102, 0 :: v_dual_mov_b32 v103, 0
	s_mov_b32 s20, exec_lo
	s_delay_alu instid0(VALU_DEP_2)
	v_cmpx_ne_u16_e32 0, v7
	s_cbranch_execz .LBB286_131
; %bb.124:                              ;   in Loop: Header=BB286_16 Depth=1
	v_bfrev_b32_e32 v103, 1
	s_mov_b32 s21, exec_lo
	v_cmpx_ne_u16_e32 0x80, v7
	s_cbranch_execz .LBB286_130
; %bb.125:                              ;   in Loop: Header=BB286_16 Depth=1
	v_and_b32_e32 v112, 0xffff, v7
	v_mov_b32_e32 v103, 0x7c010000
	s_mov_b32 s22, exec_lo
	s_delay_alu instid0(VALU_DEP_2) | instskip(NEXT) | instid1(VALU_DEP_1)
	v_and_b32_e32 v114, 0x7f, v112
	v_cmpx_ne_u32_e32 0x7f, v114
	s_cbranch_execz .LBB286_129
; %bb.126:                              ;   in Loop: Header=BB286_16 Depth=1
	v_and_b32_e32 v103, 7, v112
	v_lshrrev_b32_e32 v113, 3, v114
	s_mov_b32 s23, exec_lo
	v_cmpx_gt_u32_e32 8, v114
; %bb.127:                              ;   in Loop: Header=BB286_16 Depth=1
	s_delay_alu instid0(VALU_DEP_3) | instskip(NEXT) | instid1(VALU_DEP_1)
	v_clz_i32_u32_e32 v103, v103
	v_min_u32_e32 v103, 32, v103
	s_delay_alu instid0(VALU_DEP_1) | instskip(NEXT) | instid1(VALU_DEP_1)
	v_subrev_nc_u32_e32 v113, 28, v103
	v_lshlrev_b64_e32 v[114:115], v113, v[7:8]
	v_sub_nc_u32_e32 v113, 29, v103
	s_delay_alu instid0(VALU_DEP_2)
	v_and_b32_e32 v103, 7, v114
; %bb.128:                              ;   in Loop: Header=BB286_16 Depth=1
	s_wait_alu 0xfffe
	s_or_b32 exec_lo, exec_lo, s23
	v_lshlrev_b32_e32 v7, 8, v112
	v_lshl_add_u32 v112, v113, 10, 0x2000
	v_lshlrev_b32_e32 v103, 23, v103
	s_delay_alu instid0(VALU_DEP_2) | instskip(NEXT) | instid1(VALU_DEP_1)
	v_and_or_b32 v7, 0x8000, v7, v112
	v_lshl_or_b32 v103, v7, 16, v103
.LBB286_129:                            ;   in Loop: Header=BB286_16 Depth=1
	s_wait_alu 0xfffe
	s_or_b32 exec_lo, exec_lo, s22
.LBB286_130:                            ;   in Loop: Header=BB286_16 Depth=1
	s_wait_alu 0xfffe
	s_or_b32 exec_lo, exec_lo, s21
.LBB286_131:                            ;   in Loop: Header=BB286_16 Depth=1
	s_wait_alu 0xfffe
	s_or_b32 exec_lo, exec_lo, s20
	v_lshrrev_b32_e32 v7, 16, v32
	s_mov_b32 s20, exec_lo
	s_delay_alu instid0(VALU_DEP_1) | instskip(NEXT) | instid1(VALU_DEP_1)
	v_and_b32_e32 v112, 0xff, v7
	v_cmpx_ne_u16_e32 0, v112
	s_cbranch_execz .LBB286_139
; %bb.132:                              ;   in Loop: Header=BB286_16 Depth=1
	v_mov_b32_e32 v102, 0x8000
	s_mov_b32 s21, exec_lo
	v_cmpx_ne_u16_e32 0x80, v112
	s_cbranch_execz .LBB286_138
; %bb.133:                              ;   in Loop: Header=BB286_16 Depth=1
	v_bfe_u32 v113, v32, 16, 7
	v_mov_b32_e32 v102, 0x7c01
	s_mov_b32 s22, exec_lo
	s_delay_alu instid0(VALU_DEP_2)
	v_cmpx_ne_u32_e32 0x7f, v113
	s_cbranch_execz .LBB286_137
; %bb.134:                              ;   in Loop: Header=BB286_16 Depth=1
	v_and_b32_e32 v102, 7, v7
	v_lshrrev_b32_e32 v112, 3, v113
	s_mov_b32 s23, exec_lo
	v_cmpx_gt_u32_e32 8, v113
; %bb.135:                              ;   in Loop: Header=BB286_16 Depth=1
	s_delay_alu instid0(VALU_DEP_3) | instskip(NEXT) | instid1(VALU_DEP_1)
	v_clz_i32_u32_e32 v102, v102
	v_min_u32_e32 v102, 32, v102
	s_delay_alu instid0(VALU_DEP_1) | instskip(NEXT) | instid1(VALU_DEP_1)
	v_subrev_nc_u32_e32 v112, 28, v102
	v_lshlrev_b64_e32 v[113:114], v112, v[7:8]
	v_sub_nc_u32_e32 v112, 29, v102
	s_delay_alu instid0(VALU_DEP_2)
	v_and_b32_e32 v102, 7, v113
; %bb.136:                              ;   in Loop: Header=BB286_16 Depth=1
	s_wait_alu 0xfffe
	s_or_b32 exec_lo, exec_lo, s23
	v_lshlrev_b32_e32 v7, 8, v7
	v_lshl_add_u32 v112, v112, 10, 0x2000
	v_lshlrev_b32_e32 v102, 7, v102
	s_delay_alu instid0(VALU_DEP_3) | instskip(NEXT) | instid1(VALU_DEP_3)
	v_and_b32_e32 v7, 0x8000, v7
	v_and_b32_e32 v112, 0xfc00, v112
	s_delay_alu instid0(VALU_DEP_1)
	v_or3_b32 v102, v7, v112, v102
.LBB286_137:                            ;   in Loop: Header=BB286_16 Depth=1
	s_wait_alu 0xfffe
	s_or_b32 exec_lo, exec_lo, s22
.LBB286_138:                            ;   in Loop: Header=BB286_16 Depth=1
	s_wait_alu 0xfffe
	s_or_b32 exec_lo, exec_lo, s21
.LBB286_139:                            ;   in Loop: Header=BB286_16 Depth=1
	s_wait_alu 0xfffe
	s_or_b32 exec_lo, exec_lo, s20
	v_dual_mov_b32 v113, 0 :: v_dual_mov_b32 v112, 0
	s_mov_b32 s20, exec_lo
	v_cmpx_lt_u64_e64 s[10:11], v[31:32]
	s_cbranch_execz .LBB286_147
; %bb.140:                              ;   in Loop: Header=BB286_16 Depth=1
	v_lshrrev_b32_e32 v7, 24, v32
	v_bfrev_b32_e32 v112, 1
	s_mov_b32 s21, exec_lo
	s_delay_alu instid0(VALU_DEP_2)
	v_cmpx_ne_u32_e32 0x80, v7
	s_cbranch_execz .LBB286_146
; %bb.141:                              ;   in Loop: Header=BB286_16 Depth=1
	v_and_b32_e32 v114, 0x7f, v7
	v_mov_b32_e32 v112, 0x7c010000
	s_mov_b32 s22, exec_lo
	s_delay_alu instid0(VALU_DEP_2)
	v_cmpx_ne_u32_e32 0x7f, v114
	s_cbranch_execz .LBB286_145
; %bb.142:                              ;   in Loop: Header=BB286_16 Depth=1
	v_and_b32_e32 v31, 7, v7
	v_lshrrev_b32_e32 v32, 3, v114
	s_mov_b32 s23, exec_lo
	v_cmpx_gt_u32_e32 8, v114
; %bb.143:                              ;   in Loop: Header=BB286_16 Depth=1
	s_delay_alu instid0(VALU_DEP_3) | instskip(NEXT) | instid1(VALU_DEP_1)
	v_clz_i32_u32_e32 v31, v31
	v_min_u32_e32 v112, 32, v31
	s_delay_alu instid0(VALU_DEP_1) | instskip(NEXT) | instid1(VALU_DEP_1)
	v_subrev_nc_u32_e32 v31, 28, v112
	v_lshlrev_b64_e32 v[31:32], v31, v[7:8]
	v_sub_nc_u32_e32 v32, 29, v112
	s_delay_alu instid0(VALU_DEP_2)
	v_and_b32_e32 v31, 7, v31
; %bb.144:                              ;   in Loop: Header=BB286_16 Depth=1
	s_wait_alu 0xfffe
	s_or_b32 exec_lo, exec_lo, s23
	v_lshlrev_b32_e32 v7, 8, v7
	v_lshl_add_u32 v32, v32, 10, 0x2000
	v_lshlrev_b32_e32 v31, 23, v31
	s_delay_alu instid0(VALU_DEP_2) | instskip(NEXT) | instid1(VALU_DEP_1)
	v_and_or_b32 v7, 0x8000, v7, v32
	v_lshl_or_b32 v112, v7, 16, v31
.LBB286_145:                            ;   in Loop: Header=BB286_16 Depth=1
	s_wait_alu 0xfffe
	s_or_b32 exec_lo, exec_lo, s22
.LBB286_146:                            ;   in Loop: Header=BB286_16 Depth=1
	s_wait_alu 0xfffe
	s_or_b32 exec_lo, exec_lo, s21
.LBB286_147:                            ;   in Loop: Header=BB286_16 Depth=1
	s_wait_alu 0xfffe
	s_or_b32 exec_lo, exec_lo, s20
	flat_load_b64 v[31:32], v[28:29] offset:512
	s_mov_b32 s20, exec_lo
	s_wait_loadcnt_dscnt 0x0
	v_and_b32_e32 v7, 0xff, v31
	s_delay_alu instid0(VALU_DEP_1)
	v_cmpx_ne_u16_e32 0, v7
	s_cbranch_execz .LBB286_155
; %bb.148:                              ;   in Loop: Header=BB286_16 Depth=1
	v_mov_b32_e32 v113, 0x8000
	s_mov_b32 s21, exec_lo
	v_cmpx_ne_u16_e32 0x80, v7
	s_cbranch_execz .LBB286_154
; %bb.149:                              ;   in Loop: Header=BB286_16 Depth=1
	v_and_b32_e32 v114, 0x7f, v31
	v_mov_b32_e32 v113, 0x7c01
	s_mov_b32 s22, exec_lo
	s_delay_alu instid0(VALU_DEP_2)
	v_cmpx_ne_u32_e32 0x7f, v114
	s_cbranch_execz .LBB286_153
; %bb.150:                              ;   in Loop: Header=BB286_16 Depth=1
	v_and_b32_e32 v7, 7, v31
	v_lshrrev_b32_e32 v113, 3, v114
	s_mov_b32 s23, exec_lo
	v_cmpx_gt_u32_e32 8, v114
; %bb.151:                              ;   in Loop: Header=BB286_16 Depth=1
	s_delay_alu instid0(VALU_DEP_3) | instskip(NEXT) | instid1(VALU_DEP_1)
	v_clz_i32_u32_e32 v7, v7
	v_min_u32_e32 v7, 32, v7
	s_delay_alu instid0(VALU_DEP_1) | instskip(NEXT) | instid1(VALU_DEP_1)
	v_subrev_nc_u32_e32 v113, 28, v7
	v_lshlrev_b64_e32 v[114:115], v113, v[31:32]
	v_sub_nc_u32_e32 v113, 29, v7
	s_delay_alu instid0(VALU_DEP_2)
	v_and_b32_e32 v7, 7, v114
; %bb.152:                              ;   in Loop: Header=BB286_16 Depth=1
	s_wait_alu 0xfffe
	s_or_b32 exec_lo, exec_lo, s23
	v_lshlrev_b32_e32 v114, 8, v31
	v_lshl_add_u32 v113, v113, 10, 0x2000
	v_lshlrev_b32_e32 v7, 7, v7
	s_delay_alu instid0(VALU_DEP_3) | instskip(NEXT) | instid1(VALU_DEP_3)
	v_and_b32_e32 v114, 0x8000, v114
	v_and_b32_e32 v113, 0xfc00, v113
	s_delay_alu instid0(VALU_DEP_1)
	v_or3_b32 v113, v114, v113, v7
.LBB286_153:                            ;   in Loop: Header=BB286_16 Depth=1
	s_wait_alu 0xfffe
	s_or_b32 exec_lo, exec_lo, s22
.LBB286_154:                            ;   in Loop: Header=BB286_16 Depth=1
	s_wait_alu 0xfffe
	s_or_b32 exec_lo, exec_lo, s21
.LBB286_155:                            ;   in Loop: Header=BB286_16 Depth=1
	s_wait_alu 0xfffe
	s_or_b32 exec_lo, exec_lo, s20
	v_lshrrev_b16 v7, 8, v31
	v_dual_mov_b32 v115, 0 :: v_dual_mov_b32 v114, 0
	s_mov_b32 s20, exec_lo
	s_delay_alu instid0(VALU_DEP_2)
	v_cmpx_ne_u16_e32 0, v7
	s_cbranch_execz .LBB286_163
; %bb.156:                              ;   in Loop: Header=BB286_16 Depth=1
	v_bfrev_b32_e32 v114, 1
	s_mov_b32 s21, exec_lo
	v_cmpx_ne_u16_e32 0x80, v7
	s_cbranch_execz .LBB286_162
; %bb.157:                              ;   in Loop: Header=BB286_16 Depth=1
	v_and_b32_e32 v116, 0xffff, v7
	v_mov_b32_e32 v114, 0x7c010000
	s_mov_b32 s22, exec_lo
	s_delay_alu instid0(VALU_DEP_2) | instskip(NEXT) | instid1(VALU_DEP_1)
	v_and_b32_e32 v118, 0x7f, v116
	v_cmpx_ne_u32_e32 0x7f, v118
	s_cbranch_execz .LBB286_161
; %bb.158:                              ;   in Loop: Header=BB286_16 Depth=1
	v_and_b32_e32 v114, 7, v116
	v_lshrrev_b32_e32 v117, 3, v118
	s_mov_b32 s23, exec_lo
	v_cmpx_gt_u32_e32 8, v118
; %bb.159:                              ;   in Loop: Header=BB286_16 Depth=1
	s_delay_alu instid0(VALU_DEP_3) | instskip(NEXT) | instid1(VALU_DEP_1)
	v_clz_i32_u32_e32 v114, v114
	v_min_u32_e32 v114, 32, v114
	s_delay_alu instid0(VALU_DEP_1) | instskip(NEXT) | instid1(VALU_DEP_1)
	v_subrev_nc_u32_e32 v117, 28, v114
	v_lshlrev_b64_e32 v[118:119], v117, v[7:8]
	v_sub_nc_u32_e32 v117, 29, v114
	s_delay_alu instid0(VALU_DEP_2)
	v_and_b32_e32 v114, 7, v118
; %bb.160:                              ;   in Loop: Header=BB286_16 Depth=1
	s_wait_alu 0xfffe
	s_or_b32 exec_lo, exec_lo, s23
	v_lshlrev_b32_e32 v7, 8, v116
	v_lshl_add_u32 v116, v117, 10, 0x2000
	v_lshlrev_b32_e32 v114, 23, v114
	s_delay_alu instid0(VALU_DEP_2) | instskip(NEXT) | instid1(VALU_DEP_1)
	v_and_or_b32 v7, 0x8000, v7, v116
	v_lshl_or_b32 v114, v7, 16, v114
.LBB286_161:                            ;   in Loop: Header=BB286_16 Depth=1
	s_wait_alu 0xfffe
	s_or_b32 exec_lo, exec_lo, s22
.LBB286_162:                            ;   in Loop: Header=BB286_16 Depth=1
	s_wait_alu 0xfffe
	s_or_b32 exec_lo, exec_lo, s21
.LBB286_163:                            ;   in Loop: Header=BB286_16 Depth=1
	s_wait_alu 0xfffe
	s_or_b32 exec_lo, exec_lo, s20
	v_lshrrev_b32_e32 v7, 16, v31
	s_mov_b32 s20, exec_lo
	s_delay_alu instid0(VALU_DEP_1) | instskip(NEXT) | instid1(VALU_DEP_1)
	v_and_b32_e32 v116, 0xff, v7
	v_cmpx_ne_u16_e32 0, v116
	s_cbranch_execz .LBB286_171
; %bb.164:                              ;   in Loop: Header=BB286_16 Depth=1
	v_mov_b32_e32 v115, 0x8000
	s_mov_b32 s21, exec_lo
	v_cmpx_ne_u16_e32 0x80, v116
	s_cbranch_execz .LBB286_170
; %bb.165:                              ;   in Loop: Header=BB286_16 Depth=1
	v_bfe_u32 v117, v31, 16, 7
	v_mov_b32_e32 v115, 0x7c01
	s_mov_b32 s22, exec_lo
	s_delay_alu instid0(VALU_DEP_2)
	v_cmpx_ne_u32_e32 0x7f, v117
	s_cbranch_execz .LBB286_169
; %bb.166:                              ;   in Loop: Header=BB286_16 Depth=1
	v_and_b32_e32 v115, 7, v7
	v_lshrrev_b32_e32 v116, 3, v117
	s_mov_b32 s23, exec_lo
	v_cmpx_gt_u32_e32 8, v117
; %bb.167:                              ;   in Loop: Header=BB286_16 Depth=1
	s_delay_alu instid0(VALU_DEP_3) | instskip(NEXT) | instid1(VALU_DEP_1)
	v_clz_i32_u32_e32 v115, v115
	v_min_u32_e32 v117, 32, v115
	s_delay_alu instid0(VALU_DEP_1) | instskip(NEXT) | instid1(VALU_DEP_1)
	v_subrev_nc_u32_e32 v115, 28, v117
	v_lshlrev_b64_e32 v[115:116], v115, v[7:8]
	v_sub_nc_u32_e32 v116, 29, v117
	s_delay_alu instid0(VALU_DEP_2)
	v_and_b32_e32 v115, 7, v115
; %bb.168:                              ;   in Loop: Header=BB286_16 Depth=1
	s_wait_alu 0xfffe
	s_or_b32 exec_lo, exec_lo, s23
	v_lshlrev_b32_e32 v7, 8, v7
	v_lshl_add_u32 v116, v116, 10, 0x2000
	v_lshlrev_b32_e32 v115, 7, v115
	s_delay_alu instid0(VALU_DEP_3) | instskip(NEXT) | instid1(VALU_DEP_3)
	v_and_b32_e32 v7, 0x8000, v7
	v_and_b32_e32 v116, 0xfc00, v116
	s_delay_alu instid0(VALU_DEP_1)
	v_or3_b32 v115, v7, v116, v115
.LBB286_169:                            ;   in Loop: Header=BB286_16 Depth=1
	s_wait_alu 0xfffe
	s_or_b32 exec_lo, exec_lo, s22
.LBB286_170:                            ;   in Loop: Header=BB286_16 Depth=1
	s_wait_alu 0xfffe
	s_or_b32 exec_lo, exec_lo, s21
.LBB286_171:                            ;   in Loop: Header=BB286_16 Depth=1
	s_wait_alu 0xfffe
	s_or_b32 exec_lo, exec_lo, s20
	v_dual_mov_b32 v116, 0 :: v_dual_mov_b32 v117, 0
	s_mov_b32 s20, exec_lo
	v_cmpx_lt_u32_e32 0xffffff, v31
	s_cbranch_execz .LBB286_179
; %bb.172:                              ;   in Loop: Header=BB286_16 Depth=1
	v_lshrrev_b32_e32 v7, 24, v31
	v_bfrev_b32_e32 v117, 1
	s_mov_b32 s21, exec_lo
	s_delay_alu instid0(VALU_DEP_2)
	v_cmpx_ne_u32_e32 0x80, v7
	s_cbranch_execz .LBB286_178
; %bb.173:                              ;   in Loop: Header=BB286_16 Depth=1
	v_and_b32_e32 v119, 0x7f, v7
	v_mov_b32_e32 v117, 0x7c010000
	s_mov_b32 s22, exec_lo
	s_delay_alu instid0(VALU_DEP_2)
	v_cmpx_ne_u32_e32 0x7f, v119
	s_cbranch_execz .LBB286_177
; %bb.174:                              ;   in Loop: Header=BB286_16 Depth=1
	v_and_b32_e32 v117, 7, v7
	v_lshrrev_b32_e32 v118, 3, v119
	s_mov_b32 s23, exec_lo
	v_cmpx_gt_u32_e32 8, v119
; %bb.175:                              ;   in Loop: Header=BB286_16 Depth=1
	s_delay_alu instid0(VALU_DEP_3) | instskip(NEXT) | instid1(VALU_DEP_1)
	v_clz_i32_u32_e32 v117, v117
	v_min_u32_e32 v119, 32, v117
	s_delay_alu instid0(VALU_DEP_1) | instskip(NEXT) | instid1(VALU_DEP_1)
	v_subrev_nc_u32_e32 v117, 28, v119
	v_lshlrev_b64_e32 v[117:118], v117, v[7:8]
	v_sub_nc_u32_e32 v118, 29, v119
	s_delay_alu instid0(VALU_DEP_2)
	v_and_b32_e32 v117, 7, v117
; %bb.176:                              ;   in Loop: Header=BB286_16 Depth=1
	s_wait_alu 0xfffe
	s_or_b32 exec_lo, exec_lo, s23
	v_lshlrev_b32_e32 v7, 8, v7
	v_lshl_add_u32 v118, v118, 10, 0x2000
	v_lshlrev_b32_e32 v117, 23, v117
	s_delay_alu instid0(VALU_DEP_2) | instskip(NEXT) | instid1(VALU_DEP_1)
	v_and_or_b32 v7, 0x8000, v7, v118
	v_lshl_or_b32 v117, v7, 16, v117
.LBB286_177:                            ;   in Loop: Header=BB286_16 Depth=1
	s_wait_alu 0xfffe
	s_or_b32 exec_lo, exec_lo, s22
.LBB286_178:                            ;   in Loop: Header=BB286_16 Depth=1
	s_wait_alu 0xfffe
	s_or_b32 exec_lo, exec_lo, s21
.LBB286_179:                            ;   in Loop: Header=BB286_16 Depth=1
	s_wait_alu 0xfffe
	s_or_b32 exec_lo, exec_lo, s20
	v_dual_mov_b32 v7, v32 :: v_dual_and_b32 v118, 0xff, v32
	s_mov_b32 s20, exec_lo
	s_delay_alu instid0(VALU_DEP_1)
	v_cmpx_ne_u16_e32 0, v118
	s_cbranch_execz .LBB286_187
; %bb.180:                              ;   in Loop: Header=BB286_16 Depth=1
	v_mov_b32_e32 v116, 0x8000
	s_mov_b32 s21, exec_lo
	v_cmpx_ne_u16_e32 0x80, v118
	s_cbranch_execz .LBB286_186
; %bb.181:                              ;   in Loop: Header=BB286_16 Depth=1
	v_and_b32_e32 v119, 0x7f, v32
	v_mov_b32_e32 v116, 0x7c01
	s_mov_b32 s22, exec_lo
	s_delay_alu instid0(VALU_DEP_2)
	v_cmpx_ne_u32_e32 0x7f, v119
	s_cbranch_execz .LBB286_185
; %bb.182:                              ;   in Loop: Header=BB286_16 Depth=1
	v_and_b32_e32 v116, 7, v32
	v_lshrrev_b32_e32 v118, 3, v119
	s_mov_b32 s23, exec_lo
	v_cmpx_gt_u32_e32 8, v119
; %bb.183:                              ;   in Loop: Header=BB286_16 Depth=1
	s_delay_alu instid0(VALU_DEP_3) | instskip(NEXT) | instid1(VALU_DEP_1)
	v_clz_i32_u32_e32 v116, v116
	v_min_u32_e32 v116, 32, v116
	s_delay_alu instid0(VALU_DEP_1) | instskip(NEXT) | instid1(VALU_DEP_1)
	v_subrev_nc_u32_e32 v118, 28, v116
	v_lshlrev_b64_e32 v[128:129], v118, v[7:8]
	v_sub_nc_u32_e32 v118, 29, v116
	s_delay_alu instid0(VALU_DEP_2)
	v_and_b32_e32 v116, 7, v128
; %bb.184:                              ;   in Loop: Header=BB286_16 Depth=1
	s_wait_alu 0xfffe
	s_or_b32 exec_lo, exec_lo, s23
	v_lshlrev_b32_e32 v119, 8, v32
	v_lshl_add_u32 v118, v118, 10, 0x2000
	v_lshlrev_b32_e32 v116, 7, v116
	s_delay_alu instid0(VALU_DEP_3) | instskip(NEXT) | instid1(VALU_DEP_3)
	v_and_b32_e32 v119, 0x8000, v119
	v_and_b32_e32 v118, 0xfc00, v118
	s_delay_alu instid0(VALU_DEP_1)
	v_or3_b32 v116, v119, v118, v116
.LBB286_185:                            ;   in Loop: Header=BB286_16 Depth=1
	s_wait_alu 0xfffe
	s_or_b32 exec_lo, exec_lo, s22
.LBB286_186:                            ;   in Loop: Header=BB286_16 Depth=1
	s_wait_alu 0xfffe
	s_or_b32 exec_lo, exec_lo, s21
.LBB286_187:                            ;   in Loop: Header=BB286_16 Depth=1
	s_wait_alu 0xfffe
	s_or_b32 exec_lo, exec_lo, s20
	v_lshrrev_b16 v7, 8, v7
	v_dual_mov_b32 v118, 0 :: v_dual_mov_b32 v119, 0
	s_mov_b32 s20, exec_lo
	s_delay_alu instid0(VALU_DEP_2)
	v_cmpx_ne_u16_e32 0, v7
	s_cbranch_execz .LBB286_195
; %bb.188:                              ;   in Loop: Header=BB286_16 Depth=1
	v_bfrev_b32_e32 v119, 1
	s_mov_b32 s21, exec_lo
	v_cmpx_ne_u16_e32 0x80, v7
	s_cbranch_execz .LBB286_194
; %bb.189:                              ;   in Loop: Header=BB286_16 Depth=1
	v_and_b32_e32 v128, 0xffff, v7
	v_mov_b32_e32 v119, 0x7c010000
	s_mov_b32 s22, exec_lo
	s_delay_alu instid0(VALU_DEP_2) | instskip(NEXT) | instid1(VALU_DEP_1)
	v_and_b32_e32 v130, 0x7f, v128
	v_cmpx_ne_u32_e32 0x7f, v130
	s_cbranch_execz .LBB286_193
; %bb.190:                              ;   in Loop: Header=BB286_16 Depth=1
	v_and_b32_e32 v119, 7, v128
	v_lshrrev_b32_e32 v129, 3, v130
	s_mov_b32 s23, exec_lo
	v_cmpx_gt_u32_e32 8, v130
; %bb.191:                              ;   in Loop: Header=BB286_16 Depth=1
	s_delay_alu instid0(VALU_DEP_3) | instskip(NEXT) | instid1(VALU_DEP_1)
	v_clz_i32_u32_e32 v119, v119
	v_min_u32_e32 v119, 32, v119
	s_delay_alu instid0(VALU_DEP_1) | instskip(NEXT) | instid1(VALU_DEP_1)
	v_subrev_nc_u32_e32 v129, 28, v119
	v_lshlrev_b64_e32 v[130:131], v129, v[7:8]
	v_sub_nc_u32_e32 v129, 29, v119
	s_delay_alu instid0(VALU_DEP_2)
	v_and_b32_e32 v119, 7, v130
; %bb.192:                              ;   in Loop: Header=BB286_16 Depth=1
	s_wait_alu 0xfffe
	s_or_b32 exec_lo, exec_lo, s23
	v_lshlrev_b32_e32 v7, 8, v128
	v_lshl_add_u32 v128, v129, 10, 0x2000
	v_lshlrev_b32_e32 v119, 23, v119
	s_delay_alu instid0(VALU_DEP_2) | instskip(NEXT) | instid1(VALU_DEP_1)
	v_and_or_b32 v7, 0x8000, v7, v128
	v_lshl_or_b32 v119, v7, 16, v119
.LBB286_193:                            ;   in Loop: Header=BB286_16 Depth=1
	s_wait_alu 0xfffe
	s_or_b32 exec_lo, exec_lo, s22
.LBB286_194:                            ;   in Loop: Header=BB286_16 Depth=1
	s_wait_alu 0xfffe
	s_or_b32 exec_lo, exec_lo, s21
.LBB286_195:                            ;   in Loop: Header=BB286_16 Depth=1
	s_wait_alu 0xfffe
	s_or_b32 exec_lo, exec_lo, s20
	v_lshrrev_b32_e32 v7, 16, v32
	s_mov_b32 s20, exec_lo
	s_delay_alu instid0(VALU_DEP_1) | instskip(NEXT) | instid1(VALU_DEP_1)
	v_and_b32_e32 v128, 0xff, v7
	v_cmpx_ne_u16_e64 0, v128
	s_cbranch_execz .LBB286_203
; %bb.196:                              ;   in Loop: Header=BB286_16 Depth=1
	v_mov_b32_e32 v118, 0x8000
	s_mov_b32 s21, exec_lo
	v_cmpx_ne_u16_e64 0x80, v128
	s_cbranch_execz .LBB286_202
; %bb.197:                              ;   in Loop: Header=BB286_16 Depth=1
	v_bfe_u32 v129, v32, 16, 7
	v_mov_b32_e32 v118, 0x7c01
	s_mov_b32 s22, exec_lo
	s_delay_alu instid0(VALU_DEP_2)
	v_cmpx_ne_u32_e32 0x7f, v129
	s_cbranch_execz .LBB286_201
; %bb.198:                              ;   in Loop: Header=BB286_16 Depth=1
	v_and_b32_e32 v118, 7, v7
	v_lshrrev_b32_e32 v128, 3, v129
	s_mov_b32 s23, exec_lo
	v_cmpx_gt_u32_e32 8, v129
; %bb.199:                              ;   in Loop: Header=BB286_16 Depth=1
	s_delay_alu instid0(VALU_DEP_3) | instskip(NEXT) | instid1(VALU_DEP_1)
	v_clz_i32_u32_e32 v118, v118
	v_min_u32_e32 v118, 32, v118
	s_delay_alu instid0(VALU_DEP_1) | instskip(NEXT) | instid1(VALU_DEP_1)
	v_subrev_nc_u32_e32 v128, 28, v118
	v_lshlrev_b64_e32 v[129:130], v128, v[7:8]
	v_sub_nc_u32_e32 v128, 29, v118
	s_delay_alu instid0(VALU_DEP_2)
	v_and_b32_e32 v118, 7, v129
; %bb.200:                              ;   in Loop: Header=BB286_16 Depth=1
	s_wait_alu 0xfffe
	s_or_b32 exec_lo, exec_lo, s23
	v_lshlrev_b32_e32 v7, 8, v7
	v_lshl_add_u32 v128, v128, 10, 0x2000
	v_lshlrev_b32_e32 v118, 7, v118
	s_delay_alu instid0(VALU_DEP_3) | instskip(NEXT) | instid1(VALU_DEP_3)
	v_and_b32_e32 v7, 0x8000, v7
	v_and_b32_e32 v128, 0xfc00, v128
	s_delay_alu instid0(VALU_DEP_1)
	v_or3_b32 v118, v7, v128, v118
.LBB286_201:                            ;   in Loop: Header=BB286_16 Depth=1
	s_wait_alu 0xfffe
	s_or_b32 exec_lo, exec_lo, s22
.LBB286_202:                            ;   in Loop: Header=BB286_16 Depth=1
	s_wait_alu 0xfffe
	s_or_b32 exec_lo, exec_lo, s21
.LBB286_203:                            ;   in Loop: Header=BB286_16 Depth=1
	s_wait_alu 0xfffe
	s_or_b32 exec_lo, exec_lo, s20
	v_dual_mov_b32 v129, 0 :: v_dual_mov_b32 v128, 0
	s_mov_b32 s20, exec_lo
	v_cmpx_lt_u64_e64 s[10:11], v[31:32]
	s_cbranch_execz .LBB286_211
; %bb.204:                              ;   in Loop: Header=BB286_16 Depth=1
	v_lshrrev_b32_e32 v7, 24, v32
	v_bfrev_b32_e32 v128, 1
	s_mov_b32 s21, exec_lo
	s_delay_alu instid0(VALU_DEP_2)
	v_cmpx_ne_u32_e32 0x80, v7
	s_cbranch_execz .LBB286_210
; %bb.205:                              ;   in Loop: Header=BB286_16 Depth=1
	v_and_b32_e32 v130, 0x7f, v7
	v_mov_b32_e32 v128, 0x7c010000
	s_mov_b32 s22, exec_lo
	s_delay_alu instid0(VALU_DEP_2)
	v_cmpx_ne_u32_e32 0x7f, v130
	s_cbranch_execz .LBB286_209
; %bb.206:                              ;   in Loop: Header=BB286_16 Depth=1
	v_and_b32_e32 v31, 7, v7
	v_lshrrev_b32_e32 v32, 3, v130
	s_mov_b32 s23, exec_lo
	v_cmpx_gt_u32_e32 8, v130
; %bb.207:                              ;   in Loop: Header=BB286_16 Depth=1
	s_delay_alu instid0(VALU_DEP_3) | instskip(NEXT) | instid1(VALU_DEP_1)
	v_clz_i32_u32_e32 v31, v31
	v_min_u32_e32 v128, 32, v31
	s_delay_alu instid0(VALU_DEP_1) | instskip(NEXT) | instid1(VALU_DEP_1)
	v_subrev_nc_u32_e32 v31, 28, v128
	v_lshlrev_b64_e32 v[31:32], v31, v[7:8]
	v_sub_nc_u32_e32 v32, 29, v128
	s_delay_alu instid0(VALU_DEP_2)
	v_and_b32_e32 v31, 7, v31
; %bb.208:                              ;   in Loop: Header=BB286_16 Depth=1
	s_wait_alu 0xfffe
	s_or_b32 exec_lo, exec_lo, s23
	v_lshlrev_b32_e32 v7, 8, v7
	v_lshl_add_u32 v32, v32, 10, 0x2000
	v_lshlrev_b32_e32 v31, 23, v31
	s_delay_alu instid0(VALU_DEP_2) | instskip(NEXT) | instid1(VALU_DEP_1)
	v_and_or_b32 v7, 0x8000, v7, v32
	v_lshl_or_b32 v128, v7, 16, v31
.LBB286_209:                            ;   in Loop: Header=BB286_16 Depth=1
	s_wait_alu 0xfffe
	s_or_b32 exec_lo, exec_lo, s22
.LBB286_210:                            ;   in Loop: Header=BB286_16 Depth=1
	s_wait_alu 0xfffe
	s_or_b32 exec_lo, exec_lo, s21
.LBB286_211:                            ;   in Loop: Header=BB286_16 Depth=1
	s_wait_alu 0xfffe
	s_or_b32 exec_lo, exec_lo, s20
	flat_load_b64 v[31:32], v[28:29] offset:520
	s_mov_b32 s20, exec_lo
	s_wait_loadcnt_dscnt 0x0
	v_and_b32_e32 v7, 0xff, v31
	s_delay_alu instid0(VALU_DEP_1)
	v_cmpx_ne_u16_e32 0, v7
	s_cbranch_execz .LBB286_219
; %bb.212:                              ;   in Loop: Header=BB286_16 Depth=1
	v_mov_b32_e32 v129, 0x8000
	s_mov_b32 s21, exec_lo
	v_cmpx_ne_u16_e32 0x80, v7
	s_cbranch_execz .LBB286_218
; %bb.213:                              ;   in Loop: Header=BB286_16 Depth=1
	v_and_b32_e32 v130, 0x7f, v31
	v_mov_b32_e32 v129, 0x7c01
	s_mov_b32 s22, exec_lo
	s_delay_alu instid0(VALU_DEP_2)
	v_cmpx_ne_u32_e32 0x7f, v130
	s_cbranch_execz .LBB286_217
; %bb.214:                              ;   in Loop: Header=BB286_16 Depth=1
	v_and_b32_e32 v7, 7, v31
	v_lshrrev_b32_e32 v129, 3, v130
	s_mov_b32 s23, exec_lo
	v_cmpx_gt_u32_e32 8, v130
; %bb.215:                              ;   in Loop: Header=BB286_16 Depth=1
	s_delay_alu instid0(VALU_DEP_3) | instskip(NEXT) | instid1(VALU_DEP_1)
	v_clz_i32_u32_e32 v7, v7
	v_min_u32_e32 v7, 32, v7
	s_delay_alu instid0(VALU_DEP_1) | instskip(NEXT) | instid1(VALU_DEP_1)
	v_subrev_nc_u32_e32 v129, 28, v7
	v_lshlrev_b64_e32 v[130:131], v129, v[31:32]
	v_sub_nc_u32_e32 v129, 29, v7
	s_delay_alu instid0(VALU_DEP_2)
	v_and_b32_e32 v7, 7, v130
; %bb.216:                              ;   in Loop: Header=BB286_16 Depth=1
	s_wait_alu 0xfffe
	s_or_b32 exec_lo, exec_lo, s23
	v_lshlrev_b32_e32 v130, 8, v31
	v_lshl_add_u32 v129, v129, 10, 0x2000
	v_lshlrev_b32_e32 v7, 7, v7
	s_delay_alu instid0(VALU_DEP_3) | instskip(NEXT) | instid1(VALU_DEP_3)
	v_and_b32_e32 v130, 0x8000, v130
	v_and_b32_e32 v129, 0xfc00, v129
	s_delay_alu instid0(VALU_DEP_1)
	v_or3_b32 v129, v130, v129, v7
.LBB286_217:                            ;   in Loop: Header=BB286_16 Depth=1
	s_wait_alu 0xfffe
	s_or_b32 exec_lo, exec_lo, s22
.LBB286_218:                            ;   in Loop: Header=BB286_16 Depth=1
	s_wait_alu 0xfffe
	s_or_b32 exec_lo, exec_lo, s21
.LBB286_219:                            ;   in Loop: Header=BB286_16 Depth=1
	s_wait_alu 0xfffe
	s_or_b32 exec_lo, exec_lo, s20
	v_lshrrev_b16 v7, 8, v31
	v_dual_mov_b32 v131, 0 :: v_dual_mov_b32 v130, 0
	s_mov_b32 s20, exec_lo
	s_delay_alu instid0(VALU_DEP_2)
	v_cmpx_ne_u16_e32 0, v7
	s_cbranch_execz .LBB286_227
; %bb.220:                              ;   in Loop: Header=BB286_16 Depth=1
	v_bfrev_b32_e32 v130, 1
	s_mov_b32 s21, exec_lo
	v_cmpx_ne_u16_e32 0x80, v7
	s_cbranch_execz .LBB286_226
; %bb.221:                              ;   in Loop: Header=BB286_16 Depth=1
	v_and_b32_e32 v132, 0xffff, v7
	v_mov_b32_e32 v130, 0x7c010000
	s_mov_b32 s22, exec_lo
	s_delay_alu instid0(VALU_DEP_2) | instskip(NEXT) | instid1(VALU_DEP_1)
	v_and_b32_e32 v134, 0x7f, v132
	v_cmpx_ne_u32_e32 0x7f, v134
	s_cbranch_execz .LBB286_225
; %bb.222:                              ;   in Loop: Header=BB286_16 Depth=1
	v_and_b32_e32 v130, 7, v132
	v_lshrrev_b32_e32 v133, 3, v134
	s_mov_b32 s23, exec_lo
	v_cmpx_gt_u32_e32 8, v134
; %bb.223:                              ;   in Loop: Header=BB286_16 Depth=1
	s_delay_alu instid0(VALU_DEP_3) | instskip(NEXT) | instid1(VALU_DEP_1)
	v_clz_i32_u32_e32 v130, v130
	v_min_u32_e32 v130, 32, v130
	s_delay_alu instid0(VALU_DEP_1) | instskip(NEXT) | instid1(VALU_DEP_1)
	v_subrev_nc_u32_e32 v133, 28, v130
	v_lshlrev_b64_e32 v[134:135], v133, v[7:8]
	v_sub_nc_u32_e32 v133, 29, v130
	s_delay_alu instid0(VALU_DEP_2)
	v_and_b32_e32 v130, 7, v134
; %bb.224:                              ;   in Loop: Header=BB286_16 Depth=1
	s_wait_alu 0xfffe
	s_or_b32 exec_lo, exec_lo, s23
	v_lshlrev_b32_e32 v7, 8, v132
	v_lshl_add_u32 v132, v133, 10, 0x2000
	v_lshlrev_b32_e32 v130, 23, v130
	s_delay_alu instid0(VALU_DEP_2) | instskip(NEXT) | instid1(VALU_DEP_1)
	v_and_or_b32 v7, 0x8000, v7, v132
	v_lshl_or_b32 v130, v7, 16, v130
.LBB286_225:                            ;   in Loop: Header=BB286_16 Depth=1
	s_wait_alu 0xfffe
	s_or_b32 exec_lo, exec_lo, s22
.LBB286_226:                            ;   in Loop: Header=BB286_16 Depth=1
	s_wait_alu 0xfffe
	s_or_b32 exec_lo, exec_lo, s21
.LBB286_227:                            ;   in Loop: Header=BB286_16 Depth=1
	s_wait_alu 0xfffe
	s_or_b32 exec_lo, exec_lo, s20
	v_lshrrev_b32_e32 v7, 16, v31
	s_mov_b32 s20, exec_lo
	s_delay_alu instid0(VALU_DEP_1) | instskip(NEXT) | instid1(VALU_DEP_1)
	v_and_b32_e32 v132, 0xff, v7
	v_cmpx_ne_u16_e64 0, v132
	s_cbranch_execz .LBB286_235
; %bb.228:                              ;   in Loop: Header=BB286_16 Depth=1
	v_mov_b32_e32 v131, 0x8000
	s_mov_b32 s21, exec_lo
	v_cmpx_ne_u16_e64 0x80, v132
	s_cbranch_execz .LBB286_234
; %bb.229:                              ;   in Loop: Header=BB286_16 Depth=1
	v_bfe_u32 v133, v31, 16, 7
	v_mov_b32_e32 v131, 0x7c01
	s_mov_b32 s22, exec_lo
	s_delay_alu instid0(VALU_DEP_2)
	v_cmpx_ne_u32_e32 0x7f, v133
	s_cbranch_execz .LBB286_233
; %bb.230:                              ;   in Loop: Header=BB286_16 Depth=1
	v_and_b32_e32 v131, 7, v7
	v_lshrrev_b32_e32 v132, 3, v133
	s_mov_b32 s23, exec_lo
	v_cmpx_gt_u32_e32 8, v133
; %bb.231:                              ;   in Loop: Header=BB286_16 Depth=1
	s_delay_alu instid0(VALU_DEP_3) | instskip(NEXT) | instid1(VALU_DEP_1)
	v_clz_i32_u32_e32 v131, v131
	v_min_u32_e32 v133, 32, v131
	s_delay_alu instid0(VALU_DEP_1) | instskip(NEXT) | instid1(VALU_DEP_1)
	v_subrev_nc_u32_e32 v131, 28, v133
	v_lshlrev_b64_e32 v[131:132], v131, v[7:8]
	v_sub_nc_u32_e32 v132, 29, v133
	s_delay_alu instid0(VALU_DEP_2)
	v_and_b32_e32 v131, 7, v131
; %bb.232:                              ;   in Loop: Header=BB286_16 Depth=1
	s_wait_alu 0xfffe
	s_or_b32 exec_lo, exec_lo, s23
	v_lshlrev_b32_e32 v7, 8, v7
	v_lshl_add_u32 v132, v132, 10, 0x2000
	v_lshlrev_b32_e32 v131, 7, v131
	s_delay_alu instid0(VALU_DEP_3) | instskip(NEXT) | instid1(VALU_DEP_3)
	v_and_b32_e32 v7, 0x8000, v7
	v_and_b32_e32 v132, 0xfc00, v132
	s_delay_alu instid0(VALU_DEP_1)
	v_or3_b32 v131, v7, v132, v131
.LBB286_233:                            ;   in Loop: Header=BB286_16 Depth=1
	s_wait_alu 0xfffe
	s_or_b32 exec_lo, exec_lo, s22
.LBB286_234:                            ;   in Loop: Header=BB286_16 Depth=1
	s_wait_alu 0xfffe
	s_or_b32 exec_lo, exec_lo, s21
.LBB286_235:                            ;   in Loop: Header=BB286_16 Depth=1
	s_wait_alu 0xfffe
	s_or_b32 exec_lo, exec_lo, s20
	v_dual_mov_b32 v132, 0 :: v_dual_mov_b32 v133, 0
	s_mov_b32 s20, exec_lo
	v_cmpx_lt_u32_e32 0xffffff, v31
	s_cbranch_execz .LBB286_243
; %bb.236:                              ;   in Loop: Header=BB286_16 Depth=1
	v_lshrrev_b32_e32 v7, 24, v31
	v_bfrev_b32_e32 v133, 1
	s_mov_b32 s21, exec_lo
	s_delay_alu instid0(VALU_DEP_2)
	v_cmpx_ne_u32_e32 0x80, v7
	s_cbranch_execz .LBB286_242
; %bb.237:                              ;   in Loop: Header=BB286_16 Depth=1
	v_and_b32_e32 v135, 0x7f, v7
	v_mov_b32_e32 v133, 0x7c010000
	s_mov_b32 s22, exec_lo
	s_delay_alu instid0(VALU_DEP_2)
	v_cmpx_ne_u32_e32 0x7f, v135
	s_cbranch_execz .LBB286_241
; %bb.238:                              ;   in Loop: Header=BB286_16 Depth=1
	v_and_b32_e32 v133, 7, v7
	v_lshrrev_b32_e32 v134, 3, v135
	s_mov_b32 s23, exec_lo
	v_cmpx_gt_u32_e32 8, v135
; %bb.239:                              ;   in Loop: Header=BB286_16 Depth=1
	s_delay_alu instid0(VALU_DEP_3) | instskip(NEXT) | instid1(VALU_DEP_1)
	v_clz_i32_u32_e32 v133, v133
	v_min_u32_e32 v135, 32, v133
	s_delay_alu instid0(VALU_DEP_1) | instskip(NEXT) | instid1(VALU_DEP_1)
	v_subrev_nc_u32_e32 v133, 28, v135
	v_lshlrev_b64_e32 v[133:134], v133, v[7:8]
	v_sub_nc_u32_e32 v134, 29, v135
	s_delay_alu instid0(VALU_DEP_2)
	v_and_b32_e32 v133, 7, v133
; %bb.240:                              ;   in Loop: Header=BB286_16 Depth=1
	s_wait_alu 0xfffe
	s_or_b32 exec_lo, exec_lo, s23
	v_lshlrev_b32_e32 v7, 8, v7
	v_lshl_add_u32 v134, v134, 10, 0x2000
	v_lshlrev_b32_e32 v133, 23, v133
	s_delay_alu instid0(VALU_DEP_2) | instskip(NEXT) | instid1(VALU_DEP_1)
	v_and_or_b32 v7, 0x8000, v7, v134
	v_lshl_or_b32 v133, v7, 16, v133
.LBB286_241:                            ;   in Loop: Header=BB286_16 Depth=1
	s_wait_alu 0xfffe
	s_or_b32 exec_lo, exec_lo, s22
.LBB286_242:                            ;   in Loop: Header=BB286_16 Depth=1
	s_wait_alu 0xfffe
	s_or_b32 exec_lo, exec_lo, s21
.LBB286_243:                            ;   in Loop: Header=BB286_16 Depth=1
	s_wait_alu 0xfffe
	s_or_b32 exec_lo, exec_lo, s20
	v_dual_mov_b32 v7, v32 :: v_dual_and_b32 v134, 0xff, v32
	s_mov_b32 s20, exec_lo
	s_delay_alu instid0(VALU_DEP_1)
	v_cmpx_ne_u16_e64 0, v134
	s_cbranch_execz .LBB286_251
; %bb.244:                              ;   in Loop: Header=BB286_16 Depth=1
	v_mov_b32_e32 v132, 0x8000
	s_mov_b32 s21, exec_lo
	v_cmpx_ne_u16_e64 0x80, v134
	s_cbranch_execz .LBB286_250
; %bb.245:                              ;   in Loop: Header=BB286_16 Depth=1
	v_and_b32_e32 v135, 0x7f, v32
	v_mov_b32_e32 v132, 0x7c01
	s_mov_b32 s22, exec_lo
	s_delay_alu instid0(VALU_DEP_2)
	v_cmpx_ne_u32_e32 0x7f, v135
	s_cbranch_execz .LBB286_249
; %bb.246:                              ;   in Loop: Header=BB286_16 Depth=1
	v_and_b32_e32 v132, 7, v32
	v_lshrrev_b32_e32 v134, 3, v135
	s_mov_b32 s23, exec_lo
	v_cmpx_gt_u32_e32 8, v135
; %bb.247:                              ;   in Loop: Header=BB286_16 Depth=1
	s_delay_alu instid0(VALU_DEP_3) | instskip(NEXT) | instid1(VALU_DEP_1)
	v_clz_i32_u32_e32 v132, v132
	v_min_u32_e32 v132, 32, v132
	s_delay_alu instid0(VALU_DEP_1) | instskip(NEXT) | instid1(VALU_DEP_1)
	v_subrev_nc_u32_e32 v134, 28, v132
	v_lshlrev_b64_e32 v[144:145], v134, v[7:8]
	v_sub_nc_u32_e32 v134, 29, v132
	s_delay_alu instid0(VALU_DEP_2)
	v_and_b32_e32 v132, 7, v144
; %bb.248:                              ;   in Loop: Header=BB286_16 Depth=1
	s_wait_alu 0xfffe
	s_or_b32 exec_lo, exec_lo, s23
	v_lshlrev_b32_e32 v135, 8, v32
	v_lshl_add_u32 v134, v134, 10, 0x2000
	v_lshlrev_b32_e32 v132, 7, v132
	s_delay_alu instid0(VALU_DEP_3) | instskip(NEXT) | instid1(VALU_DEP_3)
	v_and_b32_e32 v135, 0x8000, v135
	v_and_b32_e32 v134, 0xfc00, v134
	s_delay_alu instid0(VALU_DEP_1)
	v_or3_b32 v132, v135, v134, v132
.LBB286_249:                            ;   in Loop: Header=BB286_16 Depth=1
	s_wait_alu 0xfffe
	s_or_b32 exec_lo, exec_lo, s22
.LBB286_250:                            ;   in Loop: Header=BB286_16 Depth=1
	s_wait_alu 0xfffe
	s_or_b32 exec_lo, exec_lo, s21
.LBB286_251:                            ;   in Loop: Header=BB286_16 Depth=1
	s_wait_alu 0xfffe
	s_or_b32 exec_lo, exec_lo, s20
	v_lshrrev_b16 v7, 8, v7
	v_dual_mov_b32 v134, 0 :: v_dual_mov_b32 v135, 0
	s_mov_b32 s20, exec_lo
	s_delay_alu instid0(VALU_DEP_2)
	v_cmpx_ne_u16_e32 0, v7
	s_cbranch_execz .LBB286_259
; %bb.252:                              ;   in Loop: Header=BB286_16 Depth=1
	v_bfrev_b32_e32 v135, 1
	s_mov_b32 s21, exec_lo
	v_cmpx_ne_u16_e32 0x80, v7
	s_cbranch_execz .LBB286_258
; %bb.253:                              ;   in Loop: Header=BB286_16 Depth=1
	v_and_b32_e32 v144, 0xffff, v7
	v_mov_b32_e32 v135, 0x7c010000
	s_mov_b32 s22, exec_lo
	s_delay_alu instid0(VALU_DEP_2) | instskip(NEXT) | instid1(VALU_DEP_1)
	v_and_b32_e32 v146, 0x7f, v144
	v_cmpx_ne_u32_e32 0x7f, v146
	s_cbranch_execz .LBB286_257
; %bb.254:                              ;   in Loop: Header=BB286_16 Depth=1
	v_and_b32_e32 v135, 7, v144
	v_lshrrev_b32_e32 v145, 3, v146
	s_mov_b32 s23, exec_lo
	v_cmpx_gt_u32_e32 8, v146
; %bb.255:                              ;   in Loop: Header=BB286_16 Depth=1
	s_delay_alu instid0(VALU_DEP_3) | instskip(NEXT) | instid1(VALU_DEP_1)
	v_clz_i32_u32_e32 v135, v135
	v_min_u32_e32 v135, 32, v135
	s_delay_alu instid0(VALU_DEP_1) | instskip(NEXT) | instid1(VALU_DEP_1)
	v_subrev_nc_u32_e32 v145, 28, v135
	v_lshlrev_b64_e32 v[146:147], v145, v[7:8]
	v_sub_nc_u32_e32 v145, 29, v135
	s_delay_alu instid0(VALU_DEP_2)
	v_and_b32_e32 v135, 7, v146
; %bb.256:                              ;   in Loop: Header=BB286_16 Depth=1
	s_wait_alu 0xfffe
	s_or_b32 exec_lo, exec_lo, s23
	v_lshlrev_b32_e32 v7, 8, v144
	v_lshl_add_u32 v144, v145, 10, 0x2000
	v_lshlrev_b32_e32 v135, 23, v135
	s_delay_alu instid0(VALU_DEP_2) | instskip(NEXT) | instid1(VALU_DEP_1)
	v_and_or_b32 v7, 0x8000, v7, v144
	v_lshl_or_b32 v135, v7, 16, v135
.LBB286_257:                            ;   in Loop: Header=BB286_16 Depth=1
	s_wait_alu 0xfffe
	s_or_b32 exec_lo, exec_lo, s22
.LBB286_258:                            ;   in Loop: Header=BB286_16 Depth=1
	s_wait_alu 0xfffe
	s_or_b32 exec_lo, exec_lo, s21
.LBB286_259:                            ;   in Loop: Header=BB286_16 Depth=1
	s_wait_alu 0xfffe
	s_or_b32 exec_lo, exec_lo, s20
	v_lshrrev_b32_e32 v7, 16, v32
	s_mov_b32 s20, exec_lo
	s_delay_alu instid0(VALU_DEP_1) | instskip(NEXT) | instid1(VALU_DEP_1)
	v_and_b32_e32 v144, 0xff, v7
	v_cmpx_ne_u16_e64 0, v144
	s_cbranch_execz .LBB286_267
; %bb.260:                              ;   in Loop: Header=BB286_16 Depth=1
	v_mov_b32_e32 v134, 0x8000
	s_mov_b32 s21, exec_lo
	v_cmpx_ne_u16_e64 0x80, v144
	s_cbranch_execz .LBB286_266
; %bb.261:                              ;   in Loop: Header=BB286_16 Depth=1
	v_bfe_u32 v145, v32, 16, 7
	v_mov_b32_e32 v134, 0x7c01
	s_mov_b32 s22, exec_lo
	s_delay_alu instid0(VALU_DEP_2)
	v_cmpx_ne_u32_e32 0x7f, v145
	s_cbranch_execz .LBB286_265
; %bb.262:                              ;   in Loop: Header=BB286_16 Depth=1
	v_and_b32_e32 v134, 7, v7
	v_lshrrev_b32_e32 v144, 3, v145
	s_mov_b32 s23, exec_lo
	v_cmpx_gt_u32_e32 8, v145
; %bb.263:                              ;   in Loop: Header=BB286_16 Depth=1
	s_delay_alu instid0(VALU_DEP_3) | instskip(NEXT) | instid1(VALU_DEP_1)
	v_clz_i32_u32_e32 v134, v134
	v_min_u32_e32 v134, 32, v134
	s_delay_alu instid0(VALU_DEP_1) | instskip(NEXT) | instid1(VALU_DEP_1)
	v_subrev_nc_u32_e32 v144, 28, v134
	v_lshlrev_b64_e32 v[145:146], v144, v[7:8]
	v_sub_nc_u32_e32 v144, 29, v134
	s_delay_alu instid0(VALU_DEP_2)
	v_and_b32_e32 v134, 7, v145
; %bb.264:                              ;   in Loop: Header=BB286_16 Depth=1
	s_wait_alu 0xfffe
	s_or_b32 exec_lo, exec_lo, s23
	v_lshlrev_b32_e32 v7, 8, v7
	v_lshl_add_u32 v144, v144, 10, 0x2000
	v_lshlrev_b32_e32 v134, 7, v134
	s_delay_alu instid0(VALU_DEP_3) | instskip(NEXT) | instid1(VALU_DEP_3)
	v_and_b32_e32 v7, 0x8000, v7
	v_and_b32_e32 v144, 0xfc00, v144
	s_delay_alu instid0(VALU_DEP_1)
	v_or3_b32 v134, v7, v144, v134
.LBB286_265:                            ;   in Loop: Header=BB286_16 Depth=1
	s_wait_alu 0xfffe
	s_or_b32 exec_lo, exec_lo, s22
.LBB286_266:                            ;   in Loop: Header=BB286_16 Depth=1
	s_wait_alu 0xfffe
	s_or_b32 exec_lo, exec_lo, s21
.LBB286_267:                            ;   in Loop: Header=BB286_16 Depth=1
	s_wait_alu 0xfffe
	s_or_b32 exec_lo, exec_lo, s20
	v_dual_mov_b32 v145, 0 :: v_dual_mov_b32 v144, 0
	s_mov_b32 s20, exec_lo
	v_cmpx_lt_u64_e64 s[10:11], v[31:32]
	s_cbranch_execz .LBB286_275
; %bb.268:                              ;   in Loop: Header=BB286_16 Depth=1
	v_lshrrev_b32_e32 v7, 24, v32
	v_bfrev_b32_e32 v144, 1
	s_mov_b32 s21, exec_lo
	s_delay_alu instid0(VALU_DEP_2)
	v_cmpx_ne_u32_e32 0x80, v7
	s_cbranch_execz .LBB286_274
; %bb.269:                              ;   in Loop: Header=BB286_16 Depth=1
	v_and_b32_e32 v146, 0x7f, v7
	v_mov_b32_e32 v144, 0x7c010000
	s_mov_b32 s22, exec_lo
	s_delay_alu instid0(VALU_DEP_2)
	v_cmpx_ne_u32_e32 0x7f, v146
	s_cbranch_execz .LBB286_273
; %bb.270:                              ;   in Loop: Header=BB286_16 Depth=1
	v_and_b32_e32 v31, 7, v7
	v_lshrrev_b32_e32 v32, 3, v146
	s_mov_b32 s23, exec_lo
	v_cmpx_gt_u32_e32 8, v146
; %bb.271:                              ;   in Loop: Header=BB286_16 Depth=1
	s_delay_alu instid0(VALU_DEP_3) | instskip(NEXT) | instid1(VALU_DEP_1)
	v_clz_i32_u32_e32 v31, v31
	v_min_u32_e32 v144, 32, v31
	s_delay_alu instid0(VALU_DEP_1) | instskip(NEXT) | instid1(VALU_DEP_1)
	v_subrev_nc_u32_e32 v31, 28, v144
	v_lshlrev_b64_e32 v[31:32], v31, v[7:8]
	v_sub_nc_u32_e32 v32, 29, v144
	s_delay_alu instid0(VALU_DEP_2)
	v_and_b32_e32 v31, 7, v31
; %bb.272:                              ;   in Loop: Header=BB286_16 Depth=1
	s_wait_alu 0xfffe
	s_or_b32 exec_lo, exec_lo, s23
	v_lshlrev_b32_e32 v7, 8, v7
	v_lshl_add_u32 v32, v32, 10, 0x2000
	v_lshlrev_b32_e32 v31, 23, v31
	s_delay_alu instid0(VALU_DEP_2) | instskip(NEXT) | instid1(VALU_DEP_1)
	v_and_or_b32 v7, 0x8000, v7, v32
	v_lshl_or_b32 v144, v7, 16, v31
.LBB286_273:                            ;   in Loop: Header=BB286_16 Depth=1
	s_wait_alu 0xfffe
	s_or_b32 exec_lo, exec_lo, s22
.LBB286_274:                            ;   in Loop: Header=BB286_16 Depth=1
	s_wait_alu 0xfffe
	s_or_b32 exec_lo, exec_lo, s21
.LBB286_275:                            ;   in Loop: Header=BB286_16 Depth=1
	s_wait_alu 0xfffe
	s_or_b32 exec_lo, exec_lo, s20
	flat_load_b64 v[31:32], v[28:29] offset:1024
	s_mov_b32 s20, exec_lo
	s_wait_loadcnt_dscnt 0x0
	v_and_b32_e32 v7, 0xff, v31
	s_delay_alu instid0(VALU_DEP_1)
	v_cmpx_ne_u16_e32 0, v7
	s_cbranch_execz .LBB286_283
; %bb.276:                              ;   in Loop: Header=BB286_16 Depth=1
	v_mov_b32_e32 v145, 0x8000
	s_mov_b32 s21, exec_lo
	v_cmpx_ne_u16_e32 0x80, v7
	s_cbranch_execz .LBB286_282
; %bb.277:                              ;   in Loop: Header=BB286_16 Depth=1
	v_and_b32_e32 v146, 0x7f, v31
	v_mov_b32_e32 v145, 0x7c01
	s_mov_b32 s22, exec_lo
	s_delay_alu instid0(VALU_DEP_2)
	v_cmpx_ne_u32_e32 0x7f, v146
	s_cbranch_execz .LBB286_281
; %bb.278:                              ;   in Loop: Header=BB286_16 Depth=1
	v_and_b32_e32 v7, 7, v31
	v_lshrrev_b32_e32 v145, 3, v146
	s_mov_b32 s23, exec_lo
	v_cmpx_gt_u32_e32 8, v146
; %bb.279:                              ;   in Loop: Header=BB286_16 Depth=1
	s_delay_alu instid0(VALU_DEP_3) | instskip(NEXT) | instid1(VALU_DEP_1)
	v_clz_i32_u32_e32 v7, v7
	v_min_u32_e32 v7, 32, v7
	s_delay_alu instid0(VALU_DEP_1) | instskip(NEXT) | instid1(VALU_DEP_1)
	v_subrev_nc_u32_e32 v145, 28, v7
	v_lshlrev_b64_e32 v[146:147], v145, v[31:32]
	v_sub_nc_u32_e32 v145, 29, v7
	s_delay_alu instid0(VALU_DEP_2)
	v_and_b32_e32 v7, 7, v146
; %bb.280:                              ;   in Loop: Header=BB286_16 Depth=1
	s_wait_alu 0xfffe
	s_or_b32 exec_lo, exec_lo, s23
	v_lshlrev_b32_e32 v146, 8, v31
	v_lshl_add_u32 v145, v145, 10, 0x2000
	v_lshlrev_b32_e32 v7, 7, v7
	s_delay_alu instid0(VALU_DEP_3) | instskip(NEXT) | instid1(VALU_DEP_3)
	v_and_b32_e32 v146, 0x8000, v146
	v_and_b32_e32 v145, 0xfc00, v145
	s_delay_alu instid0(VALU_DEP_1)
	v_or3_b32 v145, v146, v145, v7
.LBB286_281:                            ;   in Loop: Header=BB286_16 Depth=1
	s_wait_alu 0xfffe
	s_or_b32 exec_lo, exec_lo, s22
.LBB286_282:                            ;   in Loop: Header=BB286_16 Depth=1
	s_wait_alu 0xfffe
	s_or_b32 exec_lo, exec_lo, s21
.LBB286_283:                            ;   in Loop: Header=BB286_16 Depth=1
	s_wait_alu 0xfffe
	s_or_b32 exec_lo, exec_lo, s20
	v_lshrrev_b16 v7, 8, v31
	v_dual_mov_b32 v147, 0 :: v_dual_mov_b32 v146, 0
	s_mov_b32 s20, exec_lo
	s_delay_alu instid0(VALU_DEP_2)
	v_cmpx_ne_u16_e32 0, v7
	s_cbranch_execz .LBB286_291
; %bb.284:                              ;   in Loop: Header=BB286_16 Depth=1
	v_bfrev_b32_e32 v146, 1
	s_mov_b32 s21, exec_lo
	v_cmpx_ne_u16_e32 0x80, v7
	s_cbranch_execz .LBB286_290
; %bb.285:                              ;   in Loop: Header=BB286_16 Depth=1
	v_and_b32_e32 v148, 0xffff, v7
	v_mov_b32_e32 v146, 0x7c010000
	s_mov_b32 s22, exec_lo
	s_delay_alu instid0(VALU_DEP_2) | instskip(NEXT) | instid1(VALU_DEP_1)
	v_and_b32_e32 v150, 0x7f, v148
	v_cmpx_ne_u32_e32 0x7f, v150
	s_cbranch_execz .LBB286_289
; %bb.286:                              ;   in Loop: Header=BB286_16 Depth=1
	v_and_b32_e32 v146, 7, v148
	v_lshrrev_b32_e32 v149, 3, v150
	s_mov_b32 s23, exec_lo
	v_cmpx_gt_u32_e32 8, v150
; %bb.287:                              ;   in Loop: Header=BB286_16 Depth=1
	s_delay_alu instid0(VALU_DEP_3) | instskip(NEXT) | instid1(VALU_DEP_1)
	v_clz_i32_u32_e32 v146, v146
	v_min_u32_e32 v146, 32, v146
	s_delay_alu instid0(VALU_DEP_1) | instskip(NEXT) | instid1(VALU_DEP_1)
	v_subrev_nc_u32_e32 v149, 28, v146
	v_lshlrev_b64_e32 v[150:151], v149, v[7:8]
	v_sub_nc_u32_e32 v149, 29, v146
	s_delay_alu instid0(VALU_DEP_2)
	v_and_b32_e32 v146, 7, v150
; %bb.288:                              ;   in Loop: Header=BB286_16 Depth=1
	s_wait_alu 0xfffe
	s_or_b32 exec_lo, exec_lo, s23
	v_lshlrev_b32_e32 v7, 8, v148
	v_lshl_add_u32 v148, v149, 10, 0x2000
	v_lshlrev_b32_e32 v146, 23, v146
	s_delay_alu instid0(VALU_DEP_2) | instskip(NEXT) | instid1(VALU_DEP_1)
	v_and_or_b32 v7, 0x8000, v7, v148
	v_lshl_or_b32 v146, v7, 16, v146
.LBB286_289:                            ;   in Loop: Header=BB286_16 Depth=1
	s_wait_alu 0xfffe
	s_or_b32 exec_lo, exec_lo, s22
.LBB286_290:                            ;   in Loop: Header=BB286_16 Depth=1
	s_wait_alu 0xfffe
	s_or_b32 exec_lo, exec_lo, s21
.LBB286_291:                            ;   in Loop: Header=BB286_16 Depth=1
	s_wait_alu 0xfffe
	s_or_b32 exec_lo, exec_lo, s20
	v_lshrrev_b32_e32 v7, 16, v31
	s_mov_b32 s20, exec_lo
	s_delay_alu instid0(VALU_DEP_1) | instskip(NEXT) | instid1(VALU_DEP_1)
	v_and_b32_e32 v148, 0xff, v7
	v_cmpx_ne_u16_e64 0, v148
	s_cbranch_execz .LBB286_299
; %bb.292:                              ;   in Loop: Header=BB286_16 Depth=1
	v_mov_b32_e32 v147, 0x8000
	s_mov_b32 s21, exec_lo
	v_cmpx_ne_u16_e64 0x80, v148
	s_cbranch_execz .LBB286_298
; %bb.293:                              ;   in Loop: Header=BB286_16 Depth=1
	v_bfe_u32 v149, v31, 16, 7
	v_mov_b32_e32 v147, 0x7c01
	s_mov_b32 s22, exec_lo
	s_delay_alu instid0(VALU_DEP_2)
	v_cmpx_ne_u32_e32 0x7f, v149
	s_cbranch_execz .LBB286_297
; %bb.294:                              ;   in Loop: Header=BB286_16 Depth=1
	v_and_b32_e32 v147, 7, v7
	v_lshrrev_b32_e32 v148, 3, v149
	s_mov_b32 s23, exec_lo
	v_cmpx_gt_u32_e32 8, v149
; %bb.295:                              ;   in Loop: Header=BB286_16 Depth=1
	s_delay_alu instid0(VALU_DEP_3) | instskip(NEXT) | instid1(VALU_DEP_1)
	v_clz_i32_u32_e32 v147, v147
	v_min_u32_e32 v149, 32, v147
	s_delay_alu instid0(VALU_DEP_1) | instskip(NEXT) | instid1(VALU_DEP_1)
	v_subrev_nc_u32_e32 v147, 28, v149
	v_lshlrev_b64_e32 v[147:148], v147, v[7:8]
	v_sub_nc_u32_e32 v148, 29, v149
	s_delay_alu instid0(VALU_DEP_2)
	v_and_b32_e32 v147, 7, v147
; %bb.296:                              ;   in Loop: Header=BB286_16 Depth=1
	s_wait_alu 0xfffe
	s_or_b32 exec_lo, exec_lo, s23
	v_lshlrev_b32_e32 v7, 8, v7
	v_lshl_add_u32 v148, v148, 10, 0x2000
	v_lshlrev_b32_e32 v147, 7, v147
	s_delay_alu instid0(VALU_DEP_3) | instskip(NEXT) | instid1(VALU_DEP_3)
	v_and_b32_e32 v7, 0x8000, v7
	v_and_b32_e32 v148, 0xfc00, v148
	s_delay_alu instid0(VALU_DEP_1)
	v_or3_b32 v147, v7, v148, v147
.LBB286_297:                            ;   in Loop: Header=BB286_16 Depth=1
	s_wait_alu 0xfffe
	s_or_b32 exec_lo, exec_lo, s22
.LBB286_298:                            ;   in Loop: Header=BB286_16 Depth=1
	s_wait_alu 0xfffe
	s_or_b32 exec_lo, exec_lo, s21
.LBB286_299:                            ;   in Loop: Header=BB286_16 Depth=1
	s_wait_alu 0xfffe
	s_or_b32 exec_lo, exec_lo, s20
	v_dual_mov_b32 v148, 0 :: v_dual_mov_b32 v149, 0
	s_mov_b32 s20, exec_lo
	v_cmpx_lt_u32_e32 0xffffff, v31
	s_cbranch_execz .LBB286_307
; %bb.300:                              ;   in Loop: Header=BB286_16 Depth=1
	v_lshrrev_b32_e32 v7, 24, v31
	v_bfrev_b32_e32 v149, 1
	s_mov_b32 s21, exec_lo
	s_delay_alu instid0(VALU_DEP_2)
	v_cmpx_ne_u32_e32 0x80, v7
	s_cbranch_execz .LBB286_306
; %bb.301:                              ;   in Loop: Header=BB286_16 Depth=1
	v_and_b32_e32 v151, 0x7f, v7
	v_mov_b32_e32 v149, 0x7c010000
	s_mov_b32 s22, exec_lo
	s_delay_alu instid0(VALU_DEP_2)
	v_cmpx_ne_u32_e32 0x7f, v151
	s_cbranch_execz .LBB286_305
; %bb.302:                              ;   in Loop: Header=BB286_16 Depth=1
	v_and_b32_e32 v149, 7, v7
	v_lshrrev_b32_e32 v150, 3, v151
	s_mov_b32 s23, exec_lo
	v_cmpx_gt_u32_e32 8, v151
; %bb.303:                              ;   in Loop: Header=BB286_16 Depth=1
	s_delay_alu instid0(VALU_DEP_3) | instskip(NEXT) | instid1(VALU_DEP_1)
	v_clz_i32_u32_e32 v149, v149
	v_min_u32_e32 v151, 32, v149
	s_delay_alu instid0(VALU_DEP_1) | instskip(NEXT) | instid1(VALU_DEP_1)
	v_subrev_nc_u32_e32 v149, 28, v151
	v_lshlrev_b64_e32 v[149:150], v149, v[7:8]
	v_sub_nc_u32_e32 v150, 29, v151
	s_delay_alu instid0(VALU_DEP_2)
	v_and_b32_e32 v149, 7, v149
; %bb.304:                              ;   in Loop: Header=BB286_16 Depth=1
	s_wait_alu 0xfffe
	s_or_b32 exec_lo, exec_lo, s23
	v_lshlrev_b32_e32 v7, 8, v7
	v_lshl_add_u32 v150, v150, 10, 0x2000
	v_lshlrev_b32_e32 v149, 23, v149
	s_delay_alu instid0(VALU_DEP_2) | instskip(NEXT) | instid1(VALU_DEP_1)
	v_and_or_b32 v7, 0x8000, v7, v150
	v_lshl_or_b32 v149, v7, 16, v149
.LBB286_305:                            ;   in Loop: Header=BB286_16 Depth=1
	s_wait_alu 0xfffe
	s_or_b32 exec_lo, exec_lo, s22
.LBB286_306:                            ;   in Loop: Header=BB286_16 Depth=1
	s_wait_alu 0xfffe
	s_or_b32 exec_lo, exec_lo, s21
.LBB286_307:                            ;   in Loop: Header=BB286_16 Depth=1
	s_wait_alu 0xfffe
	s_or_b32 exec_lo, exec_lo, s20
	v_dual_mov_b32 v7, v32 :: v_dual_and_b32 v150, 0xff, v32
	s_mov_b32 s20, exec_lo
	s_delay_alu instid0(VALU_DEP_1)
	v_cmpx_ne_u16_e64 0, v150
	s_cbranch_execz .LBB286_315
; %bb.308:                              ;   in Loop: Header=BB286_16 Depth=1
	v_mov_b32_e32 v148, 0x8000
	s_mov_b32 s21, exec_lo
	v_cmpx_ne_u16_e64 0x80, v150
	s_cbranch_execz .LBB286_314
; %bb.309:                              ;   in Loop: Header=BB286_16 Depth=1
	v_and_b32_e32 v151, 0x7f, v32
	v_mov_b32_e32 v148, 0x7c01
	s_mov_b32 s22, exec_lo
	s_delay_alu instid0(VALU_DEP_2)
	v_cmpx_ne_u32_e32 0x7f, v151
	s_cbranch_execz .LBB286_313
; %bb.310:                              ;   in Loop: Header=BB286_16 Depth=1
	v_and_b32_e32 v148, 7, v32
	v_lshrrev_b32_e32 v150, 3, v151
	s_mov_b32 s23, exec_lo
	v_cmpx_gt_u32_e32 8, v151
; %bb.311:                              ;   in Loop: Header=BB286_16 Depth=1
	s_delay_alu instid0(VALU_DEP_3) | instskip(NEXT) | instid1(VALU_DEP_1)
	v_clz_i32_u32_e32 v148, v148
	v_min_u32_e32 v148, 32, v148
	s_delay_alu instid0(VALU_DEP_1) | instskip(NEXT) | instid1(VALU_DEP_1)
	v_subrev_nc_u32_e32 v150, 28, v148
	v_lshlrev_b64_e32 v[160:161], v150, v[7:8]
	v_sub_nc_u32_e32 v150, 29, v148
	s_delay_alu instid0(VALU_DEP_2)
	v_and_b32_e32 v148, 7, v160
; %bb.312:                              ;   in Loop: Header=BB286_16 Depth=1
	s_wait_alu 0xfffe
	s_or_b32 exec_lo, exec_lo, s23
	v_lshlrev_b32_e32 v151, 8, v32
	v_lshl_add_u32 v150, v150, 10, 0x2000
	v_lshlrev_b32_e32 v148, 7, v148
	s_delay_alu instid0(VALU_DEP_3) | instskip(NEXT) | instid1(VALU_DEP_3)
	v_and_b32_e32 v151, 0x8000, v151
	v_and_b32_e32 v150, 0xfc00, v150
	s_delay_alu instid0(VALU_DEP_1)
	v_or3_b32 v148, v151, v150, v148
.LBB286_313:                            ;   in Loop: Header=BB286_16 Depth=1
	s_wait_alu 0xfffe
	s_or_b32 exec_lo, exec_lo, s22
.LBB286_314:                            ;   in Loop: Header=BB286_16 Depth=1
	s_wait_alu 0xfffe
	s_or_b32 exec_lo, exec_lo, s21
.LBB286_315:                            ;   in Loop: Header=BB286_16 Depth=1
	s_wait_alu 0xfffe
	s_or_b32 exec_lo, exec_lo, s20
	v_lshrrev_b16 v7, 8, v7
	v_dual_mov_b32 v150, 0 :: v_dual_mov_b32 v151, 0
	s_mov_b32 s20, exec_lo
	s_delay_alu instid0(VALU_DEP_2)
	v_cmpx_ne_u16_e32 0, v7
	s_cbranch_execz .LBB286_323
; %bb.316:                              ;   in Loop: Header=BB286_16 Depth=1
	v_bfrev_b32_e32 v151, 1
	s_mov_b32 s21, exec_lo
	v_cmpx_ne_u16_e32 0x80, v7
	s_cbranch_execz .LBB286_322
; %bb.317:                              ;   in Loop: Header=BB286_16 Depth=1
	v_and_b32_e32 v160, 0xffff, v7
	v_mov_b32_e32 v151, 0x7c010000
	s_mov_b32 s22, exec_lo
	s_delay_alu instid0(VALU_DEP_2) | instskip(NEXT) | instid1(VALU_DEP_1)
	v_and_b32_e32 v162, 0x7f, v160
	v_cmpx_ne_u32_e32 0x7f, v162
	s_cbranch_execz .LBB286_321
; %bb.318:                              ;   in Loop: Header=BB286_16 Depth=1
	v_and_b32_e32 v151, 7, v160
	v_lshrrev_b32_e32 v161, 3, v162
	s_mov_b32 s23, exec_lo
	v_cmpx_gt_u32_e32 8, v162
; %bb.319:                              ;   in Loop: Header=BB286_16 Depth=1
	s_delay_alu instid0(VALU_DEP_3) | instskip(NEXT) | instid1(VALU_DEP_1)
	v_clz_i32_u32_e32 v151, v151
	v_min_u32_e32 v151, 32, v151
	s_delay_alu instid0(VALU_DEP_1) | instskip(NEXT) | instid1(VALU_DEP_1)
	v_subrev_nc_u32_e32 v161, 28, v151
	v_lshlrev_b64_e32 v[162:163], v161, v[7:8]
	v_sub_nc_u32_e32 v161, 29, v151
	s_delay_alu instid0(VALU_DEP_2)
	v_and_b32_e32 v151, 7, v162
; %bb.320:                              ;   in Loop: Header=BB286_16 Depth=1
	s_wait_alu 0xfffe
	s_or_b32 exec_lo, exec_lo, s23
	v_lshlrev_b32_e32 v7, 8, v160
	v_lshl_add_u32 v160, v161, 10, 0x2000
	v_lshlrev_b32_e32 v151, 23, v151
	s_delay_alu instid0(VALU_DEP_2) | instskip(NEXT) | instid1(VALU_DEP_1)
	v_and_or_b32 v7, 0x8000, v7, v160
	v_lshl_or_b32 v151, v7, 16, v151
.LBB286_321:                            ;   in Loop: Header=BB286_16 Depth=1
	s_wait_alu 0xfffe
	s_or_b32 exec_lo, exec_lo, s22
.LBB286_322:                            ;   in Loop: Header=BB286_16 Depth=1
	s_wait_alu 0xfffe
	s_or_b32 exec_lo, exec_lo, s21
.LBB286_323:                            ;   in Loop: Header=BB286_16 Depth=1
	s_wait_alu 0xfffe
	s_or_b32 exec_lo, exec_lo, s20
	v_lshrrev_b32_e32 v7, 16, v32
	s_mov_b32 s20, exec_lo
	s_delay_alu instid0(VALU_DEP_1) | instskip(NEXT) | instid1(VALU_DEP_1)
	v_and_b32_e32 v160, 0xff, v7
	v_cmpx_ne_u16_e64 0, v160
	s_cbranch_execz .LBB286_331
; %bb.324:                              ;   in Loop: Header=BB286_16 Depth=1
	v_mov_b32_e32 v150, 0x8000
	s_mov_b32 s21, exec_lo
	v_cmpx_ne_u16_e64 0x80, v160
	s_cbranch_execz .LBB286_330
; %bb.325:                              ;   in Loop: Header=BB286_16 Depth=1
	v_bfe_u32 v161, v32, 16, 7
	v_mov_b32_e32 v150, 0x7c01
	s_mov_b32 s22, exec_lo
	s_delay_alu instid0(VALU_DEP_2)
	v_cmpx_ne_u32_e32 0x7f, v161
	s_cbranch_execz .LBB286_329
; %bb.326:                              ;   in Loop: Header=BB286_16 Depth=1
	v_and_b32_e32 v150, 7, v7
	v_lshrrev_b32_e32 v160, 3, v161
	s_mov_b32 s23, exec_lo
	v_cmpx_gt_u32_e32 8, v161
; %bb.327:                              ;   in Loop: Header=BB286_16 Depth=1
	s_delay_alu instid0(VALU_DEP_3) | instskip(NEXT) | instid1(VALU_DEP_1)
	v_clz_i32_u32_e32 v150, v150
	v_min_u32_e32 v150, 32, v150
	s_delay_alu instid0(VALU_DEP_1) | instskip(NEXT) | instid1(VALU_DEP_1)
	v_subrev_nc_u32_e32 v160, 28, v150
	v_lshlrev_b64_e32 v[161:162], v160, v[7:8]
	v_sub_nc_u32_e32 v160, 29, v150
	s_delay_alu instid0(VALU_DEP_2)
	v_and_b32_e32 v150, 7, v161
; %bb.328:                              ;   in Loop: Header=BB286_16 Depth=1
	s_wait_alu 0xfffe
	s_or_b32 exec_lo, exec_lo, s23
	v_lshlrev_b32_e32 v7, 8, v7
	v_lshl_add_u32 v160, v160, 10, 0x2000
	v_lshlrev_b32_e32 v150, 7, v150
	s_delay_alu instid0(VALU_DEP_3) | instskip(NEXT) | instid1(VALU_DEP_3)
	v_and_b32_e32 v7, 0x8000, v7
	v_and_b32_e32 v160, 0xfc00, v160
	s_delay_alu instid0(VALU_DEP_1)
	v_or3_b32 v150, v7, v160, v150
.LBB286_329:                            ;   in Loop: Header=BB286_16 Depth=1
	s_wait_alu 0xfffe
	s_or_b32 exec_lo, exec_lo, s22
.LBB286_330:                            ;   in Loop: Header=BB286_16 Depth=1
	s_wait_alu 0xfffe
	s_or_b32 exec_lo, exec_lo, s21
.LBB286_331:                            ;   in Loop: Header=BB286_16 Depth=1
	s_wait_alu 0xfffe
	s_or_b32 exec_lo, exec_lo, s20
	v_dual_mov_b32 v161, 0 :: v_dual_mov_b32 v160, 0
	s_mov_b32 s20, exec_lo
	v_cmpx_lt_u64_e64 s[10:11], v[31:32]
	s_cbranch_execz .LBB286_339
; %bb.332:                              ;   in Loop: Header=BB286_16 Depth=1
	v_lshrrev_b32_e32 v7, 24, v32
	v_bfrev_b32_e32 v160, 1
	s_mov_b32 s21, exec_lo
	s_delay_alu instid0(VALU_DEP_2)
	v_cmpx_ne_u32_e32 0x80, v7
	s_cbranch_execz .LBB286_338
; %bb.333:                              ;   in Loop: Header=BB286_16 Depth=1
	v_and_b32_e32 v162, 0x7f, v7
	v_mov_b32_e32 v160, 0x7c010000
	s_mov_b32 s22, exec_lo
	s_delay_alu instid0(VALU_DEP_2)
	v_cmpx_ne_u32_e32 0x7f, v162
	s_cbranch_execz .LBB286_337
; %bb.334:                              ;   in Loop: Header=BB286_16 Depth=1
	v_and_b32_e32 v31, 7, v7
	v_lshrrev_b32_e32 v32, 3, v162
	s_mov_b32 s23, exec_lo
	v_cmpx_gt_u32_e32 8, v162
; %bb.335:                              ;   in Loop: Header=BB286_16 Depth=1
	s_delay_alu instid0(VALU_DEP_3) | instskip(NEXT) | instid1(VALU_DEP_1)
	v_clz_i32_u32_e32 v31, v31
	v_min_u32_e32 v160, 32, v31
	s_delay_alu instid0(VALU_DEP_1) | instskip(NEXT) | instid1(VALU_DEP_1)
	v_subrev_nc_u32_e32 v31, 28, v160
	v_lshlrev_b64_e32 v[31:32], v31, v[7:8]
	v_sub_nc_u32_e32 v32, 29, v160
	s_delay_alu instid0(VALU_DEP_2)
	v_and_b32_e32 v31, 7, v31
; %bb.336:                              ;   in Loop: Header=BB286_16 Depth=1
	s_wait_alu 0xfffe
	s_or_b32 exec_lo, exec_lo, s23
	v_lshlrev_b32_e32 v7, 8, v7
	v_lshl_add_u32 v32, v32, 10, 0x2000
	v_lshlrev_b32_e32 v31, 23, v31
	s_delay_alu instid0(VALU_DEP_2) | instskip(NEXT) | instid1(VALU_DEP_1)
	v_and_or_b32 v7, 0x8000, v7, v32
	v_lshl_or_b32 v160, v7, 16, v31
.LBB286_337:                            ;   in Loop: Header=BB286_16 Depth=1
	s_wait_alu 0xfffe
	s_or_b32 exec_lo, exec_lo, s22
.LBB286_338:                            ;   in Loop: Header=BB286_16 Depth=1
	s_wait_alu 0xfffe
	s_or_b32 exec_lo, exec_lo, s21
.LBB286_339:                            ;   in Loop: Header=BB286_16 Depth=1
	s_wait_alu 0xfffe
	s_or_b32 exec_lo, exec_lo, s20
	flat_load_b64 v[31:32], v[28:29] offset:1032
	s_mov_b32 s20, exec_lo
	s_wait_loadcnt_dscnt 0x0
	v_and_b32_e32 v7, 0xff, v31
	s_delay_alu instid0(VALU_DEP_1)
	v_cmpx_ne_u16_e32 0, v7
	s_cbranch_execz .LBB286_347
; %bb.340:                              ;   in Loop: Header=BB286_16 Depth=1
	v_mov_b32_e32 v161, 0x8000
	s_mov_b32 s21, exec_lo
	v_cmpx_ne_u16_e32 0x80, v7
	s_cbranch_execz .LBB286_346
; %bb.341:                              ;   in Loop: Header=BB286_16 Depth=1
	v_and_b32_e32 v162, 0x7f, v31
	v_mov_b32_e32 v161, 0x7c01
	s_mov_b32 s22, exec_lo
	s_delay_alu instid0(VALU_DEP_2)
	v_cmpx_ne_u32_e32 0x7f, v162
	s_cbranch_execz .LBB286_345
; %bb.342:                              ;   in Loop: Header=BB286_16 Depth=1
	v_and_b32_e32 v7, 7, v31
	v_lshrrev_b32_e32 v161, 3, v162
	s_mov_b32 s23, exec_lo
	v_cmpx_gt_u32_e32 8, v162
; %bb.343:                              ;   in Loop: Header=BB286_16 Depth=1
	s_delay_alu instid0(VALU_DEP_3) | instskip(NEXT) | instid1(VALU_DEP_1)
	v_clz_i32_u32_e32 v7, v7
	v_min_u32_e32 v7, 32, v7
	s_delay_alu instid0(VALU_DEP_1) | instskip(NEXT) | instid1(VALU_DEP_1)
	v_subrev_nc_u32_e32 v161, 28, v7
	v_lshlrev_b64_e32 v[162:163], v161, v[31:32]
	v_sub_nc_u32_e32 v161, 29, v7
	s_delay_alu instid0(VALU_DEP_2)
	v_and_b32_e32 v7, 7, v162
; %bb.344:                              ;   in Loop: Header=BB286_16 Depth=1
	s_wait_alu 0xfffe
	s_or_b32 exec_lo, exec_lo, s23
	v_lshlrev_b32_e32 v162, 8, v31
	v_lshl_add_u32 v161, v161, 10, 0x2000
	v_lshlrev_b32_e32 v7, 7, v7
	s_delay_alu instid0(VALU_DEP_3) | instskip(NEXT) | instid1(VALU_DEP_3)
	v_and_b32_e32 v162, 0x8000, v162
	v_and_b32_e32 v161, 0xfc00, v161
	s_delay_alu instid0(VALU_DEP_1)
	v_or3_b32 v161, v162, v161, v7
.LBB286_345:                            ;   in Loop: Header=BB286_16 Depth=1
	s_wait_alu 0xfffe
	s_or_b32 exec_lo, exec_lo, s22
.LBB286_346:                            ;   in Loop: Header=BB286_16 Depth=1
	s_wait_alu 0xfffe
	s_or_b32 exec_lo, exec_lo, s21
.LBB286_347:                            ;   in Loop: Header=BB286_16 Depth=1
	s_wait_alu 0xfffe
	s_or_b32 exec_lo, exec_lo, s20
	v_lshrrev_b16 v7, 8, v31
	v_dual_mov_b32 v163, 0 :: v_dual_mov_b32 v162, 0
	s_mov_b32 s20, exec_lo
	s_delay_alu instid0(VALU_DEP_2)
	v_cmpx_ne_u16_e32 0, v7
	s_cbranch_execz .LBB286_355
; %bb.348:                              ;   in Loop: Header=BB286_16 Depth=1
	v_bfrev_b32_e32 v162, 1
	s_mov_b32 s21, exec_lo
	v_cmpx_ne_u16_e32 0x80, v7
	s_cbranch_execz .LBB286_354
; %bb.349:                              ;   in Loop: Header=BB286_16 Depth=1
	v_and_b32_e32 v164, 0xffff, v7
	v_mov_b32_e32 v162, 0x7c010000
	s_mov_b32 s22, exec_lo
	s_delay_alu instid0(VALU_DEP_2) | instskip(NEXT) | instid1(VALU_DEP_1)
	v_and_b32_e32 v166, 0x7f, v164
	v_cmpx_ne_u32_e32 0x7f, v166
	s_cbranch_execz .LBB286_353
; %bb.350:                              ;   in Loop: Header=BB286_16 Depth=1
	v_and_b32_e32 v162, 7, v164
	v_lshrrev_b32_e32 v165, 3, v166
	s_mov_b32 s23, exec_lo
	v_cmpx_gt_u32_e32 8, v166
; %bb.351:                              ;   in Loop: Header=BB286_16 Depth=1
	s_delay_alu instid0(VALU_DEP_3) | instskip(NEXT) | instid1(VALU_DEP_1)
	v_clz_i32_u32_e32 v162, v162
	v_min_u32_e32 v162, 32, v162
	s_delay_alu instid0(VALU_DEP_1) | instskip(NEXT) | instid1(VALU_DEP_1)
	v_subrev_nc_u32_e32 v165, 28, v162
	v_lshlrev_b64_e32 v[166:167], v165, v[7:8]
	v_sub_nc_u32_e32 v165, 29, v162
	s_delay_alu instid0(VALU_DEP_2)
	v_and_b32_e32 v162, 7, v166
; %bb.352:                              ;   in Loop: Header=BB286_16 Depth=1
	s_wait_alu 0xfffe
	s_or_b32 exec_lo, exec_lo, s23
	v_lshlrev_b32_e32 v7, 8, v164
	v_lshl_add_u32 v164, v165, 10, 0x2000
	v_lshlrev_b32_e32 v162, 23, v162
	s_delay_alu instid0(VALU_DEP_2) | instskip(NEXT) | instid1(VALU_DEP_1)
	v_and_or_b32 v7, 0x8000, v7, v164
	v_lshl_or_b32 v162, v7, 16, v162
.LBB286_353:                            ;   in Loop: Header=BB286_16 Depth=1
	s_wait_alu 0xfffe
	s_or_b32 exec_lo, exec_lo, s22
.LBB286_354:                            ;   in Loop: Header=BB286_16 Depth=1
	s_wait_alu 0xfffe
	s_or_b32 exec_lo, exec_lo, s21
.LBB286_355:                            ;   in Loop: Header=BB286_16 Depth=1
	s_wait_alu 0xfffe
	s_or_b32 exec_lo, exec_lo, s20
	v_lshrrev_b32_e32 v7, 16, v31
	s_mov_b32 s20, exec_lo
	s_delay_alu instid0(VALU_DEP_1) | instskip(NEXT) | instid1(VALU_DEP_1)
	v_and_b32_e32 v164, 0xff, v7
	v_cmpx_ne_u16_e64 0, v164
	s_cbranch_execz .LBB286_363
; %bb.356:                              ;   in Loop: Header=BB286_16 Depth=1
	v_mov_b32_e32 v163, 0x8000
	s_mov_b32 s21, exec_lo
	v_cmpx_ne_u16_e64 0x80, v164
	s_cbranch_execz .LBB286_362
; %bb.357:                              ;   in Loop: Header=BB286_16 Depth=1
	v_bfe_u32 v165, v31, 16, 7
	v_mov_b32_e32 v163, 0x7c01
	s_mov_b32 s22, exec_lo
	s_delay_alu instid0(VALU_DEP_2)
	v_cmpx_ne_u32_e32 0x7f, v165
	s_cbranch_execz .LBB286_361
; %bb.358:                              ;   in Loop: Header=BB286_16 Depth=1
	v_and_b32_e32 v163, 7, v7
	v_lshrrev_b32_e32 v164, 3, v165
	s_mov_b32 s23, exec_lo
	v_cmpx_gt_u32_e32 8, v165
; %bb.359:                              ;   in Loop: Header=BB286_16 Depth=1
	s_delay_alu instid0(VALU_DEP_3) | instskip(NEXT) | instid1(VALU_DEP_1)
	v_clz_i32_u32_e32 v163, v163
	v_min_u32_e32 v165, 32, v163
	s_delay_alu instid0(VALU_DEP_1) | instskip(NEXT) | instid1(VALU_DEP_1)
	v_subrev_nc_u32_e32 v163, 28, v165
	v_lshlrev_b64_e32 v[163:164], v163, v[7:8]
	v_sub_nc_u32_e32 v164, 29, v165
	s_delay_alu instid0(VALU_DEP_2)
	v_and_b32_e32 v163, 7, v163
; %bb.360:                              ;   in Loop: Header=BB286_16 Depth=1
	s_wait_alu 0xfffe
	s_or_b32 exec_lo, exec_lo, s23
	v_lshlrev_b32_e32 v7, 8, v7
	v_lshl_add_u32 v164, v164, 10, 0x2000
	v_lshlrev_b32_e32 v163, 7, v163
	s_delay_alu instid0(VALU_DEP_3) | instskip(NEXT) | instid1(VALU_DEP_3)
	v_and_b32_e32 v7, 0x8000, v7
	v_and_b32_e32 v164, 0xfc00, v164
	s_delay_alu instid0(VALU_DEP_1)
	v_or3_b32 v163, v7, v164, v163
.LBB286_361:                            ;   in Loop: Header=BB286_16 Depth=1
	s_wait_alu 0xfffe
	s_or_b32 exec_lo, exec_lo, s22
.LBB286_362:                            ;   in Loop: Header=BB286_16 Depth=1
	s_wait_alu 0xfffe
	s_or_b32 exec_lo, exec_lo, s21
.LBB286_363:                            ;   in Loop: Header=BB286_16 Depth=1
	s_wait_alu 0xfffe
	s_or_b32 exec_lo, exec_lo, s20
	v_dual_mov_b32 v164, 0 :: v_dual_mov_b32 v165, 0
	s_mov_b32 s20, exec_lo
	v_cmpx_lt_u32_e32 0xffffff, v31
	s_cbranch_execz .LBB286_371
; %bb.364:                              ;   in Loop: Header=BB286_16 Depth=1
	v_lshrrev_b32_e32 v7, 24, v31
	v_bfrev_b32_e32 v165, 1
	s_mov_b32 s21, exec_lo
	s_delay_alu instid0(VALU_DEP_2)
	v_cmpx_ne_u32_e32 0x80, v7
	s_cbranch_execz .LBB286_370
; %bb.365:                              ;   in Loop: Header=BB286_16 Depth=1
	v_and_b32_e32 v167, 0x7f, v7
	v_mov_b32_e32 v165, 0x7c010000
	s_mov_b32 s22, exec_lo
	s_delay_alu instid0(VALU_DEP_2)
	v_cmpx_ne_u32_e32 0x7f, v167
	s_cbranch_execz .LBB286_369
; %bb.366:                              ;   in Loop: Header=BB286_16 Depth=1
	v_and_b32_e32 v165, 7, v7
	v_lshrrev_b32_e32 v166, 3, v167
	s_mov_b32 s23, exec_lo
	v_cmpx_gt_u32_e32 8, v167
; %bb.367:                              ;   in Loop: Header=BB286_16 Depth=1
	s_delay_alu instid0(VALU_DEP_3) | instskip(NEXT) | instid1(VALU_DEP_1)
	v_clz_i32_u32_e32 v165, v165
	v_min_u32_e32 v167, 32, v165
	s_delay_alu instid0(VALU_DEP_1) | instskip(NEXT) | instid1(VALU_DEP_1)
	v_subrev_nc_u32_e32 v165, 28, v167
	v_lshlrev_b64_e32 v[165:166], v165, v[7:8]
	v_sub_nc_u32_e32 v166, 29, v167
	s_delay_alu instid0(VALU_DEP_2)
	v_and_b32_e32 v165, 7, v165
; %bb.368:                              ;   in Loop: Header=BB286_16 Depth=1
	s_wait_alu 0xfffe
	s_or_b32 exec_lo, exec_lo, s23
	v_lshlrev_b32_e32 v7, 8, v7
	v_lshl_add_u32 v166, v166, 10, 0x2000
	v_lshlrev_b32_e32 v165, 23, v165
	s_delay_alu instid0(VALU_DEP_2) | instskip(NEXT) | instid1(VALU_DEP_1)
	v_and_or_b32 v7, 0x8000, v7, v166
	v_lshl_or_b32 v165, v7, 16, v165
.LBB286_369:                            ;   in Loop: Header=BB286_16 Depth=1
	s_wait_alu 0xfffe
	s_or_b32 exec_lo, exec_lo, s22
.LBB286_370:                            ;   in Loop: Header=BB286_16 Depth=1
	s_wait_alu 0xfffe
	s_or_b32 exec_lo, exec_lo, s21
.LBB286_371:                            ;   in Loop: Header=BB286_16 Depth=1
	s_wait_alu 0xfffe
	s_or_b32 exec_lo, exec_lo, s20
	v_dual_mov_b32 v7, v32 :: v_dual_and_b32 v166, 0xff, v32
	s_mov_b32 s20, exec_lo
	s_delay_alu instid0(VALU_DEP_1)
	v_cmpx_ne_u16_e64 0, v166
	s_cbranch_execz .LBB286_379
; %bb.372:                              ;   in Loop: Header=BB286_16 Depth=1
	v_mov_b32_e32 v164, 0x8000
	s_mov_b32 s21, exec_lo
	v_cmpx_ne_u16_e64 0x80, v166
	s_cbranch_execz .LBB286_378
; %bb.373:                              ;   in Loop: Header=BB286_16 Depth=1
	v_and_b32_e32 v167, 0x7f, v32
	v_mov_b32_e32 v164, 0x7c01
	s_mov_b32 s22, exec_lo
	s_delay_alu instid0(VALU_DEP_2)
	v_cmpx_ne_u32_e32 0x7f, v167
	s_cbranch_execz .LBB286_377
; %bb.374:                              ;   in Loop: Header=BB286_16 Depth=1
	v_and_b32_e32 v164, 7, v32
	v_lshrrev_b32_e32 v166, 3, v167
	s_mov_b32 s23, exec_lo
	v_cmpx_gt_u32_e32 8, v167
; %bb.375:                              ;   in Loop: Header=BB286_16 Depth=1
	s_delay_alu instid0(VALU_DEP_3) | instskip(NEXT) | instid1(VALU_DEP_1)
	v_clz_i32_u32_e32 v164, v164
	v_min_u32_e32 v164, 32, v164
	s_delay_alu instid0(VALU_DEP_1) | instskip(NEXT) | instid1(VALU_DEP_1)
	v_subrev_nc_u32_e32 v166, 28, v164
	v_lshlrev_b64_e32 v[176:177], v166, v[7:8]
	v_sub_nc_u32_e32 v166, 29, v164
	s_delay_alu instid0(VALU_DEP_2)
	v_and_b32_e32 v164, 7, v176
; %bb.376:                              ;   in Loop: Header=BB286_16 Depth=1
	s_wait_alu 0xfffe
	s_or_b32 exec_lo, exec_lo, s23
	v_lshlrev_b32_e32 v167, 8, v32
	v_lshl_add_u32 v166, v166, 10, 0x2000
	v_lshlrev_b32_e32 v164, 7, v164
	s_delay_alu instid0(VALU_DEP_3) | instskip(NEXT) | instid1(VALU_DEP_3)
	v_and_b32_e32 v167, 0x8000, v167
	v_and_b32_e32 v166, 0xfc00, v166
	s_delay_alu instid0(VALU_DEP_1)
	v_or3_b32 v164, v167, v166, v164
.LBB286_377:                            ;   in Loop: Header=BB286_16 Depth=1
	s_wait_alu 0xfffe
	s_or_b32 exec_lo, exec_lo, s22
.LBB286_378:                            ;   in Loop: Header=BB286_16 Depth=1
	s_wait_alu 0xfffe
	s_or_b32 exec_lo, exec_lo, s21
.LBB286_379:                            ;   in Loop: Header=BB286_16 Depth=1
	s_wait_alu 0xfffe
	s_or_b32 exec_lo, exec_lo, s20
	v_lshrrev_b16 v7, 8, v7
	v_dual_mov_b32 v166, 0 :: v_dual_mov_b32 v167, 0
	s_mov_b32 s20, exec_lo
	s_delay_alu instid0(VALU_DEP_2)
	v_cmpx_ne_u16_e32 0, v7
	s_cbranch_execz .LBB286_387
; %bb.380:                              ;   in Loop: Header=BB286_16 Depth=1
	v_bfrev_b32_e32 v167, 1
	s_mov_b32 s21, exec_lo
	v_cmpx_ne_u16_e32 0x80, v7
	s_cbranch_execz .LBB286_386
; %bb.381:                              ;   in Loop: Header=BB286_16 Depth=1
	v_and_b32_e32 v176, 0xffff, v7
	v_mov_b32_e32 v167, 0x7c010000
	s_mov_b32 s22, exec_lo
	s_delay_alu instid0(VALU_DEP_2) | instskip(NEXT) | instid1(VALU_DEP_1)
	v_and_b32_e32 v178, 0x7f, v176
	v_cmpx_ne_u32_e32 0x7f, v178
	s_cbranch_execz .LBB286_385
; %bb.382:                              ;   in Loop: Header=BB286_16 Depth=1
	v_and_b32_e32 v167, 7, v176
	v_lshrrev_b32_e32 v177, 3, v178
	s_mov_b32 s23, exec_lo
	v_cmpx_gt_u32_e32 8, v178
; %bb.383:                              ;   in Loop: Header=BB286_16 Depth=1
	s_delay_alu instid0(VALU_DEP_3) | instskip(NEXT) | instid1(VALU_DEP_1)
	v_clz_i32_u32_e32 v167, v167
	v_min_u32_e32 v167, 32, v167
	s_delay_alu instid0(VALU_DEP_1) | instskip(NEXT) | instid1(VALU_DEP_1)
	v_subrev_nc_u32_e32 v177, 28, v167
	v_lshlrev_b64_e32 v[178:179], v177, v[7:8]
	v_sub_nc_u32_e32 v177, 29, v167
	s_delay_alu instid0(VALU_DEP_2)
	v_and_b32_e32 v167, 7, v178
; %bb.384:                              ;   in Loop: Header=BB286_16 Depth=1
	s_wait_alu 0xfffe
	s_or_b32 exec_lo, exec_lo, s23
	v_lshlrev_b32_e32 v7, 8, v176
	v_lshl_add_u32 v176, v177, 10, 0x2000
	v_lshlrev_b32_e32 v167, 23, v167
	s_delay_alu instid0(VALU_DEP_2) | instskip(NEXT) | instid1(VALU_DEP_1)
	v_and_or_b32 v7, 0x8000, v7, v176
	v_lshl_or_b32 v167, v7, 16, v167
.LBB286_385:                            ;   in Loop: Header=BB286_16 Depth=1
	s_wait_alu 0xfffe
	s_or_b32 exec_lo, exec_lo, s22
.LBB286_386:                            ;   in Loop: Header=BB286_16 Depth=1
	s_wait_alu 0xfffe
	s_or_b32 exec_lo, exec_lo, s21
.LBB286_387:                            ;   in Loop: Header=BB286_16 Depth=1
	s_wait_alu 0xfffe
	s_or_b32 exec_lo, exec_lo, s20
	v_lshrrev_b32_e32 v7, 16, v32
	s_mov_b32 s20, exec_lo
	s_delay_alu instid0(VALU_DEP_1) | instskip(NEXT) | instid1(VALU_DEP_1)
	v_and_b32_e32 v176, 0xff, v7
	v_cmpx_ne_u16_e64 0, v176
	s_cbranch_execz .LBB286_395
; %bb.388:                              ;   in Loop: Header=BB286_16 Depth=1
	v_mov_b32_e32 v166, 0x8000
	s_mov_b32 s21, exec_lo
	v_cmpx_ne_u16_e64 0x80, v176
	s_cbranch_execz .LBB286_394
; %bb.389:                              ;   in Loop: Header=BB286_16 Depth=1
	v_bfe_u32 v177, v32, 16, 7
	v_mov_b32_e32 v166, 0x7c01
	s_mov_b32 s22, exec_lo
	s_delay_alu instid0(VALU_DEP_2)
	v_cmpx_ne_u32_e32 0x7f, v177
	s_cbranch_execz .LBB286_393
; %bb.390:                              ;   in Loop: Header=BB286_16 Depth=1
	v_and_b32_e32 v166, 7, v7
	v_lshrrev_b32_e32 v176, 3, v177
	s_mov_b32 s23, exec_lo
	v_cmpx_gt_u32_e32 8, v177
; %bb.391:                              ;   in Loop: Header=BB286_16 Depth=1
	s_delay_alu instid0(VALU_DEP_3) | instskip(NEXT) | instid1(VALU_DEP_1)
	v_clz_i32_u32_e32 v166, v166
	v_min_u32_e32 v166, 32, v166
	s_delay_alu instid0(VALU_DEP_1) | instskip(NEXT) | instid1(VALU_DEP_1)
	v_subrev_nc_u32_e32 v176, 28, v166
	v_lshlrev_b64_e32 v[177:178], v176, v[7:8]
	v_sub_nc_u32_e32 v176, 29, v166
	s_delay_alu instid0(VALU_DEP_2)
	v_and_b32_e32 v166, 7, v177
; %bb.392:                              ;   in Loop: Header=BB286_16 Depth=1
	s_wait_alu 0xfffe
	s_or_b32 exec_lo, exec_lo, s23
	v_lshlrev_b32_e32 v7, 8, v7
	v_lshl_add_u32 v176, v176, 10, 0x2000
	v_lshlrev_b32_e32 v166, 7, v166
	s_delay_alu instid0(VALU_DEP_3) | instskip(NEXT) | instid1(VALU_DEP_3)
	v_and_b32_e32 v7, 0x8000, v7
	v_and_b32_e32 v176, 0xfc00, v176
	s_delay_alu instid0(VALU_DEP_1)
	v_or3_b32 v166, v7, v176, v166
.LBB286_393:                            ;   in Loop: Header=BB286_16 Depth=1
	s_wait_alu 0xfffe
	s_or_b32 exec_lo, exec_lo, s22
.LBB286_394:                            ;   in Loop: Header=BB286_16 Depth=1
	s_wait_alu 0xfffe
	s_or_b32 exec_lo, exec_lo, s21
.LBB286_395:                            ;   in Loop: Header=BB286_16 Depth=1
	s_wait_alu 0xfffe
	s_or_b32 exec_lo, exec_lo, s20
	v_dual_mov_b32 v177, 0 :: v_dual_mov_b32 v176, 0
	s_mov_b32 s20, exec_lo
	v_cmpx_lt_u64_e64 s[10:11], v[31:32]
	s_cbranch_execz .LBB286_403
; %bb.396:                              ;   in Loop: Header=BB286_16 Depth=1
	v_lshrrev_b32_e32 v7, 24, v32
	v_bfrev_b32_e32 v176, 1
	s_mov_b32 s21, exec_lo
	s_delay_alu instid0(VALU_DEP_2)
	v_cmpx_ne_u32_e32 0x80, v7
	s_cbranch_execz .LBB286_402
; %bb.397:                              ;   in Loop: Header=BB286_16 Depth=1
	v_and_b32_e32 v178, 0x7f, v7
	v_mov_b32_e32 v176, 0x7c010000
	s_mov_b32 s22, exec_lo
	s_delay_alu instid0(VALU_DEP_2)
	v_cmpx_ne_u32_e32 0x7f, v178
	s_cbranch_execz .LBB286_401
; %bb.398:                              ;   in Loop: Header=BB286_16 Depth=1
	v_and_b32_e32 v31, 7, v7
	v_lshrrev_b32_e32 v32, 3, v178
	s_mov_b32 s23, exec_lo
	v_cmpx_gt_u32_e32 8, v178
; %bb.399:                              ;   in Loop: Header=BB286_16 Depth=1
	s_delay_alu instid0(VALU_DEP_3) | instskip(NEXT) | instid1(VALU_DEP_1)
	v_clz_i32_u32_e32 v31, v31
	v_min_u32_e32 v176, 32, v31
	s_delay_alu instid0(VALU_DEP_1) | instskip(NEXT) | instid1(VALU_DEP_1)
	v_subrev_nc_u32_e32 v31, 28, v176
	v_lshlrev_b64_e32 v[31:32], v31, v[7:8]
	v_sub_nc_u32_e32 v32, 29, v176
	s_delay_alu instid0(VALU_DEP_2)
	v_and_b32_e32 v31, 7, v31
; %bb.400:                              ;   in Loop: Header=BB286_16 Depth=1
	s_wait_alu 0xfffe
	s_or_b32 exec_lo, exec_lo, s23
	v_lshlrev_b32_e32 v7, 8, v7
	v_lshl_add_u32 v32, v32, 10, 0x2000
	v_lshlrev_b32_e32 v31, 23, v31
	s_delay_alu instid0(VALU_DEP_2) | instskip(NEXT) | instid1(VALU_DEP_1)
	v_and_or_b32 v7, 0x8000, v7, v32
	v_lshl_or_b32 v176, v7, 16, v31
.LBB286_401:                            ;   in Loop: Header=BB286_16 Depth=1
	s_wait_alu 0xfffe
	s_or_b32 exec_lo, exec_lo, s22
.LBB286_402:                            ;   in Loop: Header=BB286_16 Depth=1
	s_wait_alu 0xfffe
	s_or_b32 exec_lo, exec_lo, s21
.LBB286_403:                            ;   in Loop: Header=BB286_16 Depth=1
	s_wait_alu 0xfffe
	s_or_b32 exec_lo, exec_lo, s20
	flat_load_b64 v[31:32], v[28:29] offset:1536
	s_mov_b32 s20, exec_lo
	s_wait_loadcnt_dscnt 0x0
	v_and_b32_e32 v7, 0xff, v31
	s_delay_alu instid0(VALU_DEP_1)
	v_cmpx_ne_u16_e32 0, v7
	s_cbranch_execz .LBB286_411
; %bb.404:                              ;   in Loop: Header=BB286_16 Depth=1
	v_mov_b32_e32 v177, 0x8000
	s_mov_b32 s21, exec_lo
	v_cmpx_ne_u16_e32 0x80, v7
	s_cbranch_execz .LBB286_410
; %bb.405:                              ;   in Loop: Header=BB286_16 Depth=1
	v_and_b32_e32 v178, 0x7f, v31
	v_mov_b32_e32 v177, 0x7c01
	s_mov_b32 s22, exec_lo
	s_delay_alu instid0(VALU_DEP_2)
	v_cmpx_ne_u32_e32 0x7f, v178
	s_cbranch_execz .LBB286_409
; %bb.406:                              ;   in Loop: Header=BB286_16 Depth=1
	v_and_b32_e32 v7, 7, v31
	v_lshrrev_b32_e32 v177, 3, v178
	s_mov_b32 s23, exec_lo
	v_cmpx_gt_u32_e32 8, v178
; %bb.407:                              ;   in Loop: Header=BB286_16 Depth=1
	s_delay_alu instid0(VALU_DEP_3) | instskip(NEXT) | instid1(VALU_DEP_1)
	v_clz_i32_u32_e32 v7, v7
	v_min_u32_e32 v7, 32, v7
	s_delay_alu instid0(VALU_DEP_1) | instskip(NEXT) | instid1(VALU_DEP_1)
	v_subrev_nc_u32_e32 v177, 28, v7
	v_lshlrev_b64_e32 v[178:179], v177, v[31:32]
	v_sub_nc_u32_e32 v177, 29, v7
	s_delay_alu instid0(VALU_DEP_2)
	v_and_b32_e32 v7, 7, v178
; %bb.408:                              ;   in Loop: Header=BB286_16 Depth=1
	s_wait_alu 0xfffe
	s_or_b32 exec_lo, exec_lo, s23
	v_lshlrev_b32_e32 v178, 8, v31
	v_lshl_add_u32 v177, v177, 10, 0x2000
	v_lshlrev_b32_e32 v7, 7, v7
	s_delay_alu instid0(VALU_DEP_3) | instskip(NEXT) | instid1(VALU_DEP_3)
	v_and_b32_e32 v178, 0x8000, v178
	v_and_b32_e32 v177, 0xfc00, v177
	s_delay_alu instid0(VALU_DEP_1)
	v_or3_b32 v177, v178, v177, v7
.LBB286_409:                            ;   in Loop: Header=BB286_16 Depth=1
	s_wait_alu 0xfffe
	s_or_b32 exec_lo, exec_lo, s22
.LBB286_410:                            ;   in Loop: Header=BB286_16 Depth=1
	s_wait_alu 0xfffe
	s_or_b32 exec_lo, exec_lo, s21
.LBB286_411:                            ;   in Loop: Header=BB286_16 Depth=1
	s_wait_alu 0xfffe
	s_or_b32 exec_lo, exec_lo, s20
	v_lshrrev_b16 v7, 8, v31
	v_dual_mov_b32 v179, 0 :: v_dual_mov_b32 v178, 0
	s_mov_b32 s20, exec_lo
	s_delay_alu instid0(VALU_DEP_2)
	v_cmpx_ne_u16_e32 0, v7
	s_cbranch_execz .LBB286_419
; %bb.412:                              ;   in Loop: Header=BB286_16 Depth=1
	v_bfrev_b32_e32 v178, 1
	s_mov_b32 s21, exec_lo
	v_cmpx_ne_u16_e32 0x80, v7
	s_cbranch_execz .LBB286_418
; %bb.413:                              ;   in Loop: Header=BB286_16 Depth=1
	v_and_b32_e32 v180, 0xffff, v7
	v_mov_b32_e32 v178, 0x7c010000
	s_mov_b32 s22, exec_lo
	s_delay_alu instid0(VALU_DEP_2) | instskip(NEXT) | instid1(VALU_DEP_1)
	v_and_b32_e32 v182, 0x7f, v180
	v_cmpx_ne_u32_e32 0x7f, v182
	s_cbranch_execz .LBB286_417
; %bb.414:                              ;   in Loop: Header=BB286_16 Depth=1
	v_and_b32_e32 v178, 7, v180
	v_lshrrev_b32_e32 v181, 3, v182
	s_mov_b32 s23, exec_lo
	v_cmpx_gt_u32_e32 8, v182
; %bb.415:                              ;   in Loop: Header=BB286_16 Depth=1
	s_delay_alu instid0(VALU_DEP_3) | instskip(NEXT) | instid1(VALU_DEP_1)
	v_clz_i32_u32_e32 v178, v178
	v_min_u32_e32 v178, 32, v178
	s_delay_alu instid0(VALU_DEP_1) | instskip(NEXT) | instid1(VALU_DEP_1)
	v_subrev_nc_u32_e32 v181, 28, v178
	v_lshlrev_b64_e32 v[182:183], v181, v[7:8]
	v_sub_nc_u32_e32 v181, 29, v178
	s_delay_alu instid0(VALU_DEP_2)
	v_and_b32_e32 v178, 7, v182
; %bb.416:                              ;   in Loop: Header=BB286_16 Depth=1
	s_wait_alu 0xfffe
	s_or_b32 exec_lo, exec_lo, s23
	v_lshlrev_b32_e32 v7, 8, v180
	v_lshl_add_u32 v180, v181, 10, 0x2000
	v_lshlrev_b32_e32 v178, 23, v178
	s_delay_alu instid0(VALU_DEP_2) | instskip(NEXT) | instid1(VALU_DEP_1)
	v_and_or_b32 v7, 0x8000, v7, v180
	v_lshl_or_b32 v178, v7, 16, v178
.LBB286_417:                            ;   in Loop: Header=BB286_16 Depth=1
	s_wait_alu 0xfffe
	s_or_b32 exec_lo, exec_lo, s22
.LBB286_418:                            ;   in Loop: Header=BB286_16 Depth=1
	s_wait_alu 0xfffe
	s_or_b32 exec_lo, exec_lo, s21
.LBB286_419:                            ;   in Loop: Header=BB286_16 Depth=1
	s_wait_alu 0xfffe
	s_or_b32 exec_lo, exec_lo, s20
	v_lshrrev_b32_e32 v7, 16, v31
	s_mov_b32 s20, exec_lo
	s_delay_alu instid0(VALU_DEP_1) | instskip(NEXT) | instid1(VALU_DEP_1)
	v_and_b32_e32 v180, 0xff, v7
	v_cmpx_ne_u16_e64 0, v180
	s_cbranch_execz .LBB286_427
; %bb.420:                              ;   in Loop: Header=BB286_16 Depth=1
	v_mov_b32_e32 v179, 0x8000
	s_mov_b32 s21, exec_lo
	v_cmpx_ne_u16_e64 0x80, v180
	s_cbranch_execz .LBB286_426
; %bb.421:                              ;   in Loop: Header=BB286_16 Depth=1
	v_bfe_u32 v181, v31, 16, 7
	v_mov_b32_e32 v179, 0x7c01
	s_mov_b32 s22, exec_lo
	s_delay_alu instid0(VALU_DEP_2)
	v_cmpx_ne_u32_e32 0x7f, v181
	s_cbranch_execz .LBB286_425
; %bb.422:                              ;   in Loop: Header=BB286_16 Depth=1
	v_and_b32_e32 v179, 7, v7
	v_lshrrev_b32_e32 v180, 3, v181
	s_mov_b32 s23, exec_lo
	v_cmpx_gt_u32_e32 8, v181
; %bb.423:                              ;   in Loop: Header=BB286_16 Depth=1
	s_delay_alu instid0(VALU_DEP_3) | instskip(NEXT) | instid1(VALU_DEP_1)
	v_clz_i32_u32_e32 v179, v179
	v_min_u32_e32 v181, 32, v179
	s_delay_alu instid0(VALU_DEP_1) | instskip(NEXT) | instid1(VALU_DEP_1)
	v_subrev_nc_u32_e32 v179, 28, v181
	v_lshlrev_b64_e32 v[179:180], v179, v[7:8]
	v_sub_nc_u32_e32 v180, 29, v181
	s_delay_alu instid0(VALU_DEP_2)
	v_and_b32_e32 v179, 7, v179
; %bb.424:                              ;   in Loop: Header=BB286_16 Depth=1
	s_wait_alu 0xfffe
	s_or_b32 exec_lo, exec_lo, s23
	v_lshlrev_b32_e32 v7, 8, v7
	v_lshl_add_u32 v180, v180, 10, 0x2000
	v_lshlrev_b32_e32 v179, 7, v179
	s_delay_alu instid0(VALU_DEP_3) | instskip(NEXT) | instid1(VALU_DEP_3)
	v_and_b32_e32 v7, 0x8000, v7
	v_and_b32_e32 v180, 0xfc00, v180
	s_delay_alu instid0(VALU_DEP_1)
	v_or3_b32 v179, v7, v180, v179
.LBB286_425:                            ;   in Loop: Header=BB286_16 Depth=1
	s_wait_alu 0xfffe
	s_or_b32 exec_lo, exec_lo, s22
.LBB286_426:                            ;   in Loop: Header=BB286_16 Depth=1
	s_wait_alu 0xfffe
	s_or_b32 exec_lo, exec_lo, s21
.LBB286_427:                            ;   in Loop: Header=BB286_16 Depth=1
	s_wait_alu 0xfffe
	s_or_b32 exec_lo, exec_lo, s20
	v_dual_mov_b32 v180, 0 :: v_dual_mov_b32 v181, 0
	s_mov_b32 s20, exec_lo
	v_cmpx_lt_u32_e32 0xffffff, v31
	s_cbranch_execz .LBB286_435
; %bb.428:                              ;   in Loop: Header=BB286_16 Depth=1
	v_lshrrev_b32_e32 v7, 24, v31
	v_bfrev_b32_e32 v181, 1
	s_mov_b32 s21, exec_lo
	s_delay_alu instid0(VALU_DEP_2)
	v_cmpx_ne_u32_e32 0x80, v7
	s_cbranch_execz .LBB286_434
; %bb.429:                              ;   in Loop: Header=BB286_16 Depth=1
	v_and_b32_e32 v183, 0x7f, v7
	v_mov_b32_e32 v181, 0x7c010000
	s_mov_b32 s22, exec_lo
	s_delay_alu instid0(VALU_DEP_2)
	v_cmpx_ne_u32_e32 0x7f, v183
	s_cbranch_execz .LBB286_433
; %bb.430:                              ;   in Loop: Header=BB286_16 Depth=1
	v_and_b32_e32 v181, 7, v7
	v_lshrrev_b32_e32 v182, 3, v183
	s_mov_b32 s23, exec_lo
	v_cmpx_gt_u32_e32 8, v183
; %bb.431:                              ;   in Loop: Header=BB286_16 Depth=1
	s_delay_alu instid0(VALU_DEP_3) | instskip(NEXT) | instid1(VALU_DEP_1)
	v_clz_i32_u32_e32 v181, v181
	v_min_u32_e32 v183, 32, v181
	s_delay_alu instid0(VALU_DEP_1) | instskip(NEXT) | instid1(VALU_DEP_1)
	v_subrev_nc_u32_e32 v181, 28, v183
	v_lshlrev_b64_e32 v[181:182], v181, v[7:8]
	v_sub_nc_u32_e32 v182, 29, v183
	s_delay_alu instid0(VALU_DEP_2)
	v_and_b32_e32 v181, 7, v181
; %bb.432:                              ;   in Loop: Header=BB286_16 Depth=1
	s_wait_alu 0xfffe
	s_or_b32 exec_lo, exec_lo, s23
	v_lshlrev_b32_e32 v7, 8, v7
	v_lshl_add_u32 v182, v182, 10, 0x2000
	v_lshlrev_b32_e32 v181, 23, v181
	s_delay_alu instid0(VALU_DEP_2) | instskip(NEXT) | instid1(VALU_DEP_1)
	v_and_or_b32 v7, 0x8000, v7, v182
	v_lshl_or_b32 v181, v7, 16, v181
.LBB286_433:                            ;   in Loop: Header=BB286_16 Depth=1
	s_wait_alu 0xfffe
	s_or_b32 exec_lo, exec_lo, s22
.LBB286_434:                            ;   in Loop: Header=BB286_16 Depth=1
	s_wait_alu 0xfffe
	s_or_b32 exec_lo, exec_lo, s21
.LBB286_435:                            ;   in Loop: Header=BB286_16 Depth=1
	s_wait_alu 0xfffe
	s_or_b32 exec_lo, exec_lo, s20
	v_dual_mov_b32 v7, v32 :: v_dual_and_b32 v182, 0xff, v32
	s_mov_b32 s20, exec_lo
	s_delay_alu instid0(VALU_DEP_1)
	v_cmpx_ne_u16_e64 0, v182
	s_cbranch_execz .LBB286_443
; %bb.436:                              ;   in Loop: Header=BB286_16 Depth=1
	v_mov_b32_e32 v180, 0x8000
	s_mov_b32 s21, exec_lo
	v_cmpx_ne_u16_e64 0x80, v182
	s_cbranch_execz .LBB286_442
; %bb.437:                              ;   in Loop: Header=BB286_16 Depth=1
	v_and_b32_e32 v183, 0x7f, v32
	v_mov_b32_e32 v180, 0x7c01
	s_mov_b32 s22, exec_lo
	s_delay_alu instid0(VALU_DEP_2)
	v_cmpx_ne_u32_e32 0x7f, v183
	s_cbranch_execz .LBB286_441
; %bb.438:                              ;   in Loop: Header=BB286_16 Depth=1
	v_and_b32_e32 v180, 7, v32
	v_lshrrev_b32_e32 v182, 3, v183
	s_mov_b32 s23, exec_lo
	v_cmpx_gt_u32_e32 8, v183
; %bb.439:                              ;   in Loop: Header=BB286_16 Depth=1
	s_delay_alu instid0(VALU_DEP_3) | instskip(NEXT) | instid1(VALU_DEP_1)
	v_clz_i32_u32_e32 v180, v180
	v_min_u32_e32 v180, 32, v180
	s_delay_alu instid0(VALU_DEP_1) | instskip(NEXT) | instid1(VALU_DEP_1)
	v_subrev_nc_u32_e32 v182, 28, v180
	v_lshlrev_b64_e32 v[40:41], v182, v[7:8]
	v_sub_nc_u32_e32 v182, 29, v180
	s_delay_alu instid0(VALU_DEP_2)
	v_and_b32_e32 v180, 7, v40
; %bb.440:                              ;   in Loop: Header=BB286_16 Depth=1
	s_wait_alu 0xfffe
	s_or_b32 exec_lo, exec_lo, s23
	v_lshlrev_b32_e32 v183, 8, v32
	v_lshl_add_u32 v182, v182, 10, 0x2000
	v_lshlrev_b32_e32 v180, 7, v180
	s_delay_alu instid0(VALU_DEP_3) | instskip(NEXT) | instid1(VALU_DEP_3)
	v_and_b32_e32 v183, 0x8000, v183
	v_and_b32_e32 v182, 0xfc00, v182
	s_delay_alu instid0(VALU_DEP_1)
	v_or3_b32 v180, v183, v182, v180
.LBB286_441:                            ;   in Loop: Header=BB286_16 Depth=1
	s_wait_alu 0xfffe
	s_or_b32 exec_lo, exec_lo, s22
.LBB286_442:                            ;   in Loop: Header=BB286_16 Depth=1
	s_wait_alu 0xfffe
	s_or_b32 exec_lo, exec_lo, s21
.LBB286_443:                            ;   in Loop: Header=BB286_16 Depth=1
	s_wait_alu 0xfffe
	s_or_b32 exec_lo, exec_lo, s20
	v_lshrrev_b16 v7, 8, v7
	v_dual_mov_b32 v40, 0 :: v_dual_mov_b32 v41, 0
	s_mov_b32 s20, exec_lo
	s_delay_alu instid0(VALU_DEP_2)
	v_cmpx_ne_u16_e32 0, v7
	s_cbranch_execz .LBB286_451
; %bb.444:                              ;   in Loop: Header=BB286_16 Depth=1
	v_bfrev_b32_e32 v41, 1
	s_mov_b32 s21, exec_lo
	v_cmpx_ne_u16_e32 0x80, v7
	s_cbranch_execz .LBB286_450
; %bb.445:                              ;   in Loop: Header=BB286_16 Depth=1
	v_and_b32_e32 v182, 0xffff, v7
	v_mov_b32_e32 v41, 0x7c010000
	s_mov_b32 s22, exec_lo
	s_delay_alu instid0(VALU_DEP_2) | instskip(NEXT) | instid1(VALU_DEP_1)
	v_and_b32_e32 v42, 0x7f, v182
	v_cmpx_ne_u32_e32 0x7f, v42
	s_cbranch_execz .LBB286_449
; %bb.446:                              ;   in Loop: Header=BB286_16 Depth=1
	v_and_b32_e32 v183, 7, v182
	v_lshrrev_b32_e32 v41, 3, v42
	s_mov_b32 s23, exec_lo
	v_cmpx_gt_u32_e32 8, v42
; %bb.447:                              ;   in Loop: Header=BB286_16 Depth=1
	s_delay_alu instid0(VALU_DEP_3) | instskip(NEXT) | instid1(VALU_DEP_1)
	v_clz_i32_u32_e32 v183, v183
	v_min_u32_e32 v183, 32, v183
	s_delay_alu instid0(VALU_DEP_1) | instskip(NEXT) | instid1(VALU_DEP_1)
	v_subrev_nc_u32_e32 v41, 28, v183
	v_lshlrev_b64_e32 v[42:43], v41, v[7:8]
	v_sub_nc_u32_e32 v41, 29, v183
	s_delay_alu instid0(VALU_DEP_2)
	v_and_b32_e32 v183, 7, v42
; %bb.448:                              ;   in Loop: Header=BB286_16 Depth=1
	s_wait_alu 0xfffe
	s_or_b32 exec_lo, exec_lo, s23
	v_lshlrev_b32_e32 v7, 8, v182
	v_lshl_add_u32 v182, v41, 10, 0x2000
	s_delay_alu instid0(VALU_DEP_1) | instskip(SKIP_1) | instid1(VALU_DEP_1)
	v_and_or_b32 v7, 0x8000, v7, v182
	v_lshlrev_b32_e32 v182, 23, v183
	v_lshl_or_b32 v41, v7, 16, v182
.LBB286_449:                            ;   in Loop: Header=BB286_16 Depth=1
	s_wait_alu 0xfffe
	s_or_b32 exec_lo, exec_lo, s22
.LBB286_450:                            ;   in Loop: Header=BB286_16 Depth=1
	s_wait_alu 0xfffe
	s_or_b32 exec_lo, exec_lo, s21
.LBB286_451:                            ;   in Loop: Header=BB286_16 Depth=1
	s_wait_alu 0xfffe
	s_or_b32 exec_lo, exec_lo, s20
	v_lshrrev_b32_e32 v7, 16, v32
	s_mov_b32 s20, exec_lo
	s_delay_alu instid0(VALU_DEP_1) | instskip(NEXT) | instid1(VALU_DEP_1)
	v_and_b32_e32 v182, 0xff, v7
	v_cmpx_ne_u16_e64 0, v182
	s_cbranch_execz .LBB286_459
; %bb.452:                              ;   in Loop: Header=BB286_16 Depth=1
	v_mov_b32_e32 v40, 0x8000
	s_mov_b32 s21, exec_lo
	v_cmpx_ne_u16_e64 0x80, v182
	s_cbranch_execz .LBB286_458
; %bb.453:                              ;   in Loop: Header=BB286_16 Depth=1
	v_bfe_u32 v42, v32, 16, 7
	v_mov_b32_e32 v40, 0x7c01
	s_mov_b32 s22, exec_lo
	s_delay_alu instid0(VALU_DEP_2)
	v_cmpx_ne_u32_e32 0x7f, v42
	s_cbranch_execz .LBB286_457
; %bb.454:                              ;   in Loop: Header=BB286_16 Depth=1
	v_and_b32_e32 v182, 7, v7
	v_lshrrev_b32_e32 v183, 3, v42
	s_mov_b32 s23, exec_lo
	v_cmpx_gt_u32_e32 8, v42
; %bb.455:                              ;   in Loop: Header=BB286_16 Depth=1
	s_delay_alu instid0(VALU_DEP_3) | instskip(NEXT) | instid1(VALU_DEP_1)
	v_clz_i32_u32_e32 v182, v182
	v_min_u32_e32 v40, 32, v182
	s_delay_alu instid0(VALU_DEP_1) | instskip(NEXT) | instid1(VALU_DEP_1)
	v_subrev_nc_u32_e32 v182, 28, v40
	v_lshlrev_b64_e32 v[182:183], v182, v[7:8]
	v_sub_nc_u32_e32 v183, 29, v40
	s_delay_alu instid0(VALU_DEP_2)
	v_and_b32_e32 v182, 7, v182
; %bb.456:                              ;   in Loop: Header=BB286_16 Depth=1
	s_wait_alu 0xfffe
	s_or_b32 exec_lo, exec_lo, s23
	v_lshlrev_b32_e32 v7, 8, v7
	v_lshl_add_u32 v183, v183, 10, 0x2000
	v_lshlrev_b32_e32 v182, 7, v182
	s_delay_alu instid0(VALU_DEP_3) | instskip(NEXT) | instid1(VALU_DEP_3)
	v_and_b32_e32 v7, 0x8000, v7
	v_and_b32_e32 v183, 0xfc00, v183
	s_delay_alu instid0(VALU_DEP_1)
	v_or3_b32 v40, v7, v183, v182
.LBB286_457:                            ;   in Loop: Header=BB286_16 Depth=1
	s_wait_alu 0xfffe
	s_or_b32 exec_lo, exec_lo, s22
.LBB286_458:                            ;   in Loop: Header=BB286_16 Depth=1
	s_wait_alu 0xfffe
	s_or_b32 exec_lo, exec_lo, s21
.LBB286_459:                            ;   in Loop: Header=BB286_16 Depth=1
	s_wait_alu 0xfffe
	s_or_b32 exec_lo, exec_lo, s20
	v_dual_mov_b32 v57, 0 :: v_dual_mov_b32 v46, 0
	s_mov_b32 s20, exec_lo
	v_cmpx_lt_u64_e64 s[10:11], v[31:32]
	s_cbranch_execz .LBB286_467
; %bb.460:                              ;   in Loop: Header=BB286_16 Depth=1
	v_lshrrev_b32_e32 v7, 24, v32
	v_bfrev_b32_e32 v46, 1
	s_mov_b32 s21, exec_lo
	s_delay_alu instid0(VALU_DEP_2)
	v_cmpx_ne_u32_e32 0x80, v7
	s_cbranch_execz .LBB286_466
; %bb.461:                              ;   in Loop: Header=BB286_16 Depth=1
	v_and_b32_e32 v182, 0x7f, v7
	v_mov_b32_e32 v46, 0x7c010000
	s_mov_b32 s22, exec_lo
	s_delay_alu instid0(VALU_DEP_2)
	v_cmpx_ne_u32_e32 0x7f, v182
	s_cbranch_execz .LBB286_465
; %bb.462:                              ;   in Loop: Header=BB286_16 Depth=1
	v_and_b32_e32 v31, 7, v7
	v_lshrrev_b32_e32 v32, 3, v182
	s_mov_b32 s23, exec_lo
	v_cmpx_gt_u32_e32 8, v182
; %bb.463:                              ;   in Loop: Header=BB286_16 Depth=1
	s_delay_alu instid0(VALU_DEP_3) | instskip(NEXT) | instid1(VALU_DEP_1)
	v_clz_i32_u32_e32 v31, v31
	v_min_u32_e32 v182, 32, v31
	s_delay_alu instid0(VALU_DEP_1) | instskip(NEXT) | instid1(VALU_DEP_1)
	v_subrev_nc_u32_e32 v31, 28, v182
	v_lshlrev_b64_e32 v[31:32], v31, v[7:8]
	v_sub_nc_u32_e32 v32, 29, v182
	s_delay_alu instid0(VALU_DEP_2)
	v_and_b32_e32 v31, 7, v31
; %bb.464:                              ;   in Loop: Header=BB286_16 Depth=1
	s_wait_alu 0xfffe
	s_or_b32 exec_lo, exec_lo, s23
	v_lshlrev_b32_e32 v7, 8, v7
	v_lshl_add_u32 v32, v32, 10, 0x2000
	v_lshlrev_b32_e32 v31, 23, v31
	s_delay_alu instid0(VALU_DEP_2) | instskip(NEXT) | instid1(VALU_DEP_1)
	v_and_or_b32 v7, 0x8000, v7, v32
	v_lshl_or_b32 v46, v7, 16, v31
.LBB286_465:                            ;   in Loop: Header=BB286_16 Depth=1
	s_wait_alu 0xfffe
	s_or_b32 exec_lo, exec_lo, s22
.LBB286_466:                            ;   in Loop: Header=BB286_16 Depth=1
	s_wait_alu 0xfffe
	s_or_b32 exec_lo, exec_lo, s21
.LBB286_467:                            ;   in Loop: Header=BB286_16 Depth=1
	s_wait_alu 0xfffe
	s_or_b32 exec_lo, exec_lo, s20
	flat_load_b64 v[31:32], v[28:29] offset:1544
	s_mov_b32 s20, exec_lo
	s_wait_loadcnt_dscnt 0x0
	v_and_b32_e32 v7, 0xff, v31
	s_delay_alu instid0(VALU_DEP_1)
	v_cmpx_ne_u16_e32 0, v7
	s_cbranch_execz .LBB286_475
; %bb.468:                              ;   in Loop: Header=BB286_16 Depth=1
	v_mov_b32_e32 v57, 0x8000
	s_mov_b32 s21, exec_lo
	v_cmpx_ne_u16_e32 0x80, v7
	s_cbranch_execz .LBB286_474
; %bb.469:                              ;   in Loop: Header=BB286_16 Depth=1
	v_and_b32_e32 v183, 0x7f, v31
	v_mov_b32_e32 v57, 0x7c01
	s_mov_b32 s22, exec_lo
	s_delay_alu instid0(VALU_DEP_2)
	v_cmpx_ne_u32_e32 0x7f, v183
	s_cbranch_execz .LBB286_473
; %bb.470:                              ;   in Loop: Header=BB286_16 Depth=1
	v_and_b32_e32 v7, 7, v31
	v_lshrrev_b32_e32 v182, 3, v183
	s_mov_b32 s23, exec_lo
	v_cmpx_gt_u32_e32 8, v183
; %bb.471:                              ;   in Loop: Header=BB286_16 Depth=1
	s_delay_alu instid0(VALU_DEP_3) | instskip(NEXT) | instid1(VALU_DEP_1)
	v_clz_i32_u32_e32 v7, v7
	v_min_u32_e32 v7, 32, v7
	s_delay_alu instid0(VALU_DEP_1) | instskip(NEXT) | instid1(VALU_DEP_1)
	v_subrev_nc_u32_e32 v182, 28, v7
	v_lshlrev_b64_e32 v[42:43], v182, v[31:32]
	v_sub_nc_u32_e32 v182, 29, v7
	s_delay_alu instid0(VALU_DEP_2)
	v_and_b32_e32 v7, 7, v42
; %bb.472:                              ;   in Loop: Header=BB286_16 Depth=1
	s_wait_alu 0xfffe
	s_or_b32 exec_lo, exec_lo, s23
	v_lshlrev_b32_e32 v183, 8, v31
	v_lshl_add_u32 v182, v182, 10, 0x2000
	v_lshlrev_b32_e32 v7, 7, v7
	s_delay_alu instid0(VALU_DEP_3) | instskip(NEXT) | instid1(VALU_DEP_3)
	v_and_b32_e32 v183, 0x8000, v183
	v_and_b32_e32 v182, 0xfc00, v182
	s_delay_alu instid0(VALU_DEP_1)
	v_or3_b32 v57, v183, v182, v7
.LBB286_473:                            ;   in Loop: Header=BB286_16 Depth=1
	s_wait_alu 0xfffe
	s_or_b32 exec_lo, exec_lo, s22
.LBB286_474:                            ;   in Loop: Header=BB286_16 Depth=1
	s_wait_alu 0xfffe
	s_or_b32 exec_lo, exec_lo, s21
.LBB286_475:                            ;   in Loop: Header=BB286_16 Depth=1
	s_wait_alu 0xfffe
	s_or_b32 exec_lo, exec_lo, s20
	v_lshrrev_b16 v7, 8, v31
	v_dual_mov_b32 v61, 0 :: v_dual_mov_b32 v60, 0
	s_mov_b32 s20, exec_lo
	s_delay_alu instid0(VALU_DEP_2)
	v_cmpx_ne_u16_e32 0, v7
	s_cbranch_execz .LBB286_483
; %bb.476:                              ;   in Loop: Header=BB286_16 Depth=1
	v_bfrev_b32_e32 v60, 1
	s_mov_b32 s21, exec_lo
	v_cmpx_ne_u16_e32 0x80, v7
	s_cbranch_execz .LBB286_482
; %bb.477:                              ;   in Loop: Header=BB286_16 Depth=1
	v_and_b32_e32 v182, 0xffff, v7
	v_mov_b32_e32 v60, 0x7c010000
	s_mov_b32 s22, exec_lo
	s_delay_alu instid0(VALU_DEP_2) | instskip(NEXT) | instid1(VALU_DEP_1)
	v_and_b32_e32 v43, 0x7f, v182
	v_cmpx_ne_u32_e32 0x7f, v43
	s_cbranch_execz .LBB286_481
; %bb.478:                              ;   in Loop: Header=BB286_16 Depth=1
	v_and_b32_e32 v183, 7, v182
	v_lshrrev_b32_e32 v42, 3, v43
	s_mov_b32 s23, exec_lo
	v_cmpx_gt_u32_e32 8, v43
; %bb.479:                              ;   in Loop: Header=BB286_16 Depth=1
	s_delay_alu instid0(VALU_DEP_3) | instskip(NEXT) | instid1(VALU_DEP_1)
	v_clz_i32_u32_e32 v183, v183
	v_min_u32_e32 v183, 32, v183
	s_delay_alu instid0(VALU_DEP_1) | instskip(NEXT) | instid1(VALU_DEP_1)
	v_subrev_nc_u32_e32 v42, 28, v183
	v_lshlrev_b64_e32 v[43:44], v42, v[7:8]
	v_sub_nc_u32_e32 v42, 29, v183
	s_delay_alu instid0(VALU_DEP_2)
	v_and_b32_e32 v183, 7, v43
; %bb.480:                              ;   in Loop: Header=BB286_16 Depth=1
	s_wait_alu 0xfffe
	s_or_b32 exec_lo, exec_lo, s23
	v_lshlrev_b32_e32 v7, 8, v182
	v_lshl_add_u32 v182, v42, 10, 0x2000
	s_delay_alu instid0(VALU_DEP_1) | instskip(SKIP_1) | instid1(VALU_DEP_1)
	v_and_or_b32 v7, 0x8000, v7, v182
	v_lshlrev_b32_e32 v182, 23, v183
	v_lshl_or_b32 v60, v7, 16, v182
.LBB286_481:                            ;   in Loop: Header=BB286_16 Depth=1
	s_wait_alu 0xfffe
	s_or_b32 exec_lo, exec_lo, s22
.LBB286_482:                            ;   in Loop: Header=BB286_16 Depth=1
	s_wait_alu 0xfffe
	s_or_b32 exec_lo, exec_lo, s21
.LBB286_483:                            ;   in Loop: Header=BB286_16 Depth=1
	s_wait_alu 0xfffe
	s_or_b32 exec_lo, exec_lo, s20
	v_lshrrev_b32_e32 v7, 16, v31
	s_mov_b32 s20, exec_lo
	s_delay_alu instid0(VALU_DEP_1) | instskip(NEXT) | instid1(VALU_DEP_1)
	v_and_b32_e32 v182, 0xff, v7
	v_cmpx_ne_u16_e64 0, v182
	s_cbranch_execz .LBB286_491
; %bb.484:                              ;   in Loop: Header=BB286_16 Depth=1
	v_mov_b32_e32 v61, 0x8000
	s_mov_b32 s21, exec_lo
	v_cmpx_ne_u16_e64 0x80, v182
	s_cbranch_execz .LBB286_490
; %bb.485:                              ;   in Loop: Header=BB286_16 Depth=1
	v_bfe_u32 v42, v31, 16, 7
	v_mov_b32_e32 v61, 0x7c01
	s_mov_b32 s22, exec_lo
	s_delay_alu instid0(VALU_DEP_2)
	v_cmpx_ne_u32_e32 0x7f, v42
	s_cbranch_execz .LBB286_489
; %bb.486:                              ;   in Loop: Header=BB286_16 Depth=1
	v_and_b32_e32 v182, 7, v7
	v_lshrrev_b32_e32 v183, 3, v42
	s_mov_b32 s23, exec_lo
	v_cmpx_gt_u32_e32 8, v42
; %bb.487:                              ;   in Loop: Header=BB286_16 Depth=1
	s_delay_alu instid0(VALU_DEP_3) | instskip(NEXT) | instid1(VALU_DEP_1)
	v_clz_i32_u32_e32 v182, v182
	v_min_u32_e32 v42, 32, v182
	s_delay_alu instid0(VALU_DEP_1) | instskip(NEXT) | instid1(VALU_DEP_1)
	v_subrev_nc_u32_e32 v182, 28, v42
	v_lshlrev_b64_e32 v[182:183], v182, v[7:8]
	v_sub_nc_u32_e32 v183, 29, v42
	s_delay_alu instid0(VALU_DEP_2)
	v_and_b32_e32 v182, 7, v182
; %bb.488:                              ;   in Loop: Header=BB286_16 Depth=1
	s_wait_alu 0xfffe
	s_or_b32 exec_lo, exec_lo, s23
	v_lshlrev_b32_e32 v7, 8, v7
	v_lshl_add_u32 v183, v183, 10, 0x2000
	v_lshlrev_b32_e32 v182, 7, v182
	s_delay_alu instid0(VALU_DEP_3) | instskip(NEXT) | instid1(VALU_DEP_3)
	v_and_b32_e32 v7, 0x8000, v7
	v_and_b32_e32 v183, 0xfc00, v183
	s_delay_alu instid0(VALU_DEP_1)
	v_or3_b32 v61, v7, v183, v182
.LBB286_489:                            ;   in Loop: Header=BB286_16 Depth=1
	s_wait_alu 0xfffe
	s_or_b32 exec_lo, exec_lo, s22
.LBB286_490:                            ;   in Loop: Header=BB286_16 Depth=1
	s_wait_alu 0xfffe
	s_or_b32 exec_lo, exec_lo, s21
.LBB286_491:                            ;   in Loop: Header=BB286_16 Depth=1
	s_wait_alu 0xfffe
	s_or_b32 exec_lo, exec_lo, s20
	v_dual_mov_b32 v76, 0 :: v_dual_mov_b32 v77, 0
	s_mov_b32 s20, exec_lo
	v_cmpx_lt_u32_e32 0xffffff, v31
	s_cbranch_execz .LBB286_499
; %bb.492:                              ;   in Loop: Header=BB286_16 Depth=1
	v_lshrrev_b32_e32 v7, 24, v31
	v_bfrev_b32_e32 v77, 1
	s_mov_b32 s21, exec_lo
	s_delay_alu instid0(VALU_DEP_2)
	v_cmpx_ne_u32_e32 0x80, v7
	s_cbranch_execz .LBB286_498
; %bb.493:                              ;   in Loop: Header=BB286_16 Depth=1
	v_and_b32_e32 v42, 0x7f, v7
	v_mov_b32_e32 v77, 0x7c010000
	s_mov_b32 s22, exec_lo
	s_delay_alu instid0(VALU_DEP_2)
	v_cmpx_ne_u32_e32 0x7f, v42
	s_cbranch_execz .LBB286_497
; %bb.494:                              ;   in Loop: Header=BB286_16 Depth=1
	v_and_b32_e32 v182, 7, v7
	v_lshrrev_b32_e32 v183, 3, v42
	s_mov_b32 s23, exec_lo
	v_cmpx_gt_u32_e32 8, v42
; %bb.495:                              ;   in Loop: Header=BB286_16 Depth=1
	s_delay_alu instid0(VALU_DEP_3) | instskip(NEXT) | instid1(VALU_DEP_1)
	v_clz_i32_u32_e32 v182, v182
	v_min_u32_e32 v42, 32, v182
	s_delay_alu instid0(VALU_DEP_1) | instskip(NEXT) | instid1(VALU_DEP_1)
	v_subrev_nc_u32_e32 v182, 28, v42
	v_lshlrev_b64_e32 v[182:183], v182, v[7:8]
	v_sub_nc_u32_e32 v183, 29, v42
	s_delay_alu instid0(VALU_DEP_2)
	v_and_b32_e32 v182, 7, v182
; %bb.496:                              ;   in Loop: Header=BB286_16 Depth=1
	s_wait_alu 0xfffe
	s_or_b32 exec_lo, exec_lo, s23
	v_lshlrev_b32_e32 v7, 8, v7
	v_lshl_add_u32 v183, v183, 10, 0x2000
	v_lshlrev_b32_e32 v182, 23, v182
	s_delay_alu instid0(VALU_DEP_2) | instskip(NEXT) | instid1(VALU_DEP_1)
	v_and_or_b32 v7, 0x8000, v7, v183
	v_lshl_or_b32 v77, v7, 16, v182
.LBB286_497:                            ;   in Loop: Header=BB286_16 Depth=1
	s_wait_alu 0xfffe
	s_or_b32 exec_lo, exec_lo, s22
.LBB286_498:                            ;   in Loop: Header=BB286_16 Depth=1
	s_wait_alu 0xfffe
	s_or_b32 exec_lo, exec_lo, s21
.LBB286_499:                            ;   in Loop: Header=BB286_16 Depth=1
	s_wait_alu 0xfffe
	s_or_b32 exec_lo, exec_lo, s20
	v_dual_mov_b32 v7, v32 :: v_dual_and_b32 v182, 0xff, v32
	s_mov_b32 s20, exec_lo
	s_delay_alu instid0(VALU_DEP_1)
	v_cmpx_ne_u16_e64 0, v182
	s_cbranch_execz .LBB286_507
; %bb.500:                              ;   in Loop: Header=BB286_16 Depth=1
	v_mov_b32_e32 v76, 0x8000
	s_mov_b32 s21, exec_lo
	v_cmpx_ne_u16_e64 0x80, v182
	s_cbranch_execz .LBB286_506
; %bb.501:                              ;   in Loop: Header=BB286_16 Depth=1
	v_and_b32_e32 v42, 0x7f, v32
	v_mov_b32_e32 v76, 0x7c01
	s_mov_b32 s22, exec_lo
	s_delay_alu instid0(VALU_DEP_2)
	v_cmpx_ne_u32_e32 0x7f, v42
	s_cbranch_execz .LBB286_505
; %bb.502:                              ;   in Loop: Header=BB286_16 Depth=1
	v_and_b32_e32 v182, 7, v32
	v_lshrrev_b32_e32 v183, 3, v42
	s_mov_b32 s23, exec_lo
	v_cmpx_gt_u32_e32 8, v42
; %bb.503:                              ;   in Loop: Header=BB286_16 Depth=1
	s_delay_alu instid0(VALU_DEP_3) | instskip(NEXT) | instid1(VALU_DEP_1)
	v_clz_i32_u32_e32 v182, v182
	v_min_u32_e32 v42, 32, v182
	s_delay_alu instid0(VALU_DEP_1) | instskip(NEXT) | instid1(VALU_DEP_1)
	v_subrev_nc_u32_e32 v182, 28, v42
	v_lshlrev_b64_e32 v[182:183], v182, v[7:8]
	v_sub_nc_u32_e32 v183, 29, v42
	s_delay_alu instid0(VALU_DEP_2)
	v_and_b32_e32 v182, 7, v182
; %bb.504:                              ;   in Loop: Header=BB286_16 Depth=1
	s_wait_alu 0xfffe
	s_or_b32 exec_lo, exec_lo, s23
	v_lshlrev_b32_e32 v42, 8, v32
	v_lshl_add_u32 v183, v183, 10, 0x2000
	v_lshlrev_b32_e32 v182, 7, v182
	s_delay_alu instid0(VALU_DEP_3) | instskip(NEXT) | instid1(VALU_DEP_3)
	v_and_b32_e32 v42, 0x8000, v42
	v_and_b32_e32 v183, 0xfc00, v183
	s_delay_alu instid0(VALU_DEP_1)
	v_or3_b32 v76, v42, v183, v182
.LBB286_505:                            ;   in Loop: Header=BB286_16 Depth=1
	s_wait_alu 0xfffe
	s_or_b32 exec_lo, exec_lo, s22
.LBB286_506:                            ;   in Loop: Header=BB286_16 Depth=1
	s_wait_alu 0xfffe
	s_or_b32 exec_lo, exec_lo, s21
.LBB286_507:                            ;   in Loop: Header=BB286_16 Depth=1
	s_wait_alu 0xfffe
	s_or_b32 exec_lo, exec_lo, s20
	v_lshrrev_b16 v7, 8, v7
	v_dual_mov_b32 v90, 0 :: v_dual_mov_b32 v91, 0
	s_mov_b32 s20, exec_lo
	s_delay_alu instid0(VALU_DEP_2)
	v_cmpx_ne_u16_e32 0, v7
	s_cbranch_execz .LBB286_515
; %bb.508:                              ;   in Loop: Header=BB286_16 Depth=1
	v_bfrev_b32_e32 v91, 1
	s_mov_b32 s21, exec_lo
	v_cmpx_ne_u16_e32 0x80, v7
	s_cbranch_execz .LBB286_514
; %bb.509:                              ;   in Loop: Header=BB286_16 Depth=1
	v_and_b32_e32 v182, 0xffff, v7
	v_mov_b32_e32 v91, 0x7c010000
	s_mov_b32 s22, exec_lo
	s_delay_alu instid0(VALU_DEP_2) | instskip(NEXT) | instid1(VALU_DEP_1)
	v_and_b32_e32 v43, 0x7f, v182
	v_cmpx_ne_u32_e32 0x7f, v43
	s_cbranch_execz .LBB286_513
; %bb.510:                              ;   in Loop: Header=BB286_16 Depth=1
	v_and_b32_e32 v183, 7, v182
	v_lshrrev_b32_e32 v42, 3, v43
	s_mov_b32 s23, exec_lo
	v_cmpx_gt_u32_e32 8, v43
; %bb.511:                              ;   in Loop: Header=BB286_16 Depth=1
	s_delay_alu instid0(VALU_DEP_3) | instskip(NEXT) | instid1(VALU_DEP_1)
	v_clz_i32_u32_e32 v183, v183
	v_min_u32_e32 v183, 32, v183
	s_delay_alu instid0(VALU_DEP_1) | instskip(NEXT) | instid1(VALU_DEP_1)
	v_subrev_nc_u32_e32 v42, 28, v183
	v_lshlrev_b64_e32 v[43:44], v42, v[7:8]
	v_sub_nc_u32_e32 v42, 29, v183
	s_delay_alu instid0(VALU_DEP_2)
	v_and_b32_e32 v183, 7, v43
; %bb.512:                              ;   in Loop: Header=BB286_16 Depth=1
	s_wait_alu 0xfffe
	s_or_b32 exec_lo, exec_lo, s23
	v_lshlrev_b32_e32 v7, 8, v182
	v_lshl_add_u32 v182, v42, 10, 0x2000
	s_delay_alu instid0(VALU_DEP_1) | instskip(SKIP_1) | instid1(VALU_DEP_1)
	v_and_or_b32 v7, 0x8000, v7, v182
	v_lshlrev_b32_e32 v182, 23, v183
	v_lshl_or_b32 v91, v7, 16, v182
.LBB286_513:                            ;   in Loop: Header=BB286_16 Depth=1
	s_wait_alu 0xfffe
	s_or_b32 exec_lo, exec_lo, s22
.LBB286_514:                            ;   in Loop: Header=BB286_16 Depth=1
	s_wait_alu 0xfffe
	s_or_b32 exec_lo, exec_lo, s21
.LBB286_515:                            ;   in Loop: Header=BB286_16 Depth=1
	s_wait_alu 0xfffe
	s_or_b32 exec_lo, exec_lo, s20
	v_lshrrev_b32_e32 v7, 16, v32
	s_mov_b32 s20, exec_lo
	s_delay_alu instid0(VALU_DEP_1) | instskip(NEXT) | instid1(VALU_DEP_1)
	v_and_b32_e32 v182, 0xff, v7
	v_cmpx_ne_u16_e64 0, v182
	s_cbranch_execz .LBB286_523
; %bb.516:                              ;   in Loop: Header=BB286_16 Depth=1
	v_mov_b32_e32 v90, 0x8000
	s_mov_b32 s21, exec_lo
	v_cmpx_ne_u16_e64 0x80, v182
	s_cbranch_execz .LBB286_522
; %bb.517:                              ;   in Loop: Header=BB286_16 Depth=1
	v_bfe_u32 v42, v32, 16, 7
	v_mov_b32_e32 v90, 0x7c01
	s_mov_b32 s22, exec_lo
	s_delay_alu instid0(VALU_DEP_2)
	v_cmpx_ne_u32_e32 0x7f, v42
	s_cbranch_execz .LBB286_521
; %bb.518:                              ;   in Loop: Header=BB286_16 Depth=1
	v_and_b32_e32 v182, 7, v7
	v_lshrrev_b32_e32 v183, 3, v42
	s_mov_b32 s23, exec_lo
	v_cmpx_gt_u32_e32 8, v42
; %bb.519:                              ;   in Loop: Header=BB286_16 Depth=1
	s_delay_alu instid0(VALU_DEP_3) | instskip(NEXT) | instid1(VALU_DEP_1)
	v_clz_i32_u32_e32 v182, v182
	v_min_u32_e32 v42, 32, v182
	s_delay_alu instid0(VALU_DEP_1) | instskip(NEXT) | instid1(VALU_DEP_1)
	v_subrev_nc_u32_e32 v182, 28, v42
	v_lshlrev_b64_e32 v[182:183], v182, v[7:8]
	v_sub_nc_u32_e32 v183, 29, v42
	s_delay_alu instid0(VALU_DEP_2)
	v_and_b32_e32 v182, 7, v182
; %bb.520:                              ;   in Loop: Header=BB286_16 Depth=1
	s_wait_alu 0xfffe
	s_or_b32 exec_lo, exec_lo, s23
	v_lshlrev_b32_e32 v7, 8, v7
	v_lshl_add_u32 v183, v183, 10, 0x2000
	v_lshlrev_b32_e32 v182, 7, v182
	s_delay_alu instid0(VALU_DEP_3) | instskip(NEXT) | instid1(VALU_DEP_3)
	v_and_b32_e32 v7, 0x8000, v7
	v_and_b32_e32 v183, 0xfc00, v183
	s_delay_alu instid0(VALU_DEP_1)
	v_or3_b32 v90, v7, v183, v182
.LBB286_521:                            ;   in Loop: Header=BB286_16 Depth=1
	s_wait_alu 0xfffe
	s_or_b32 exec_lo, exec_lo, s22
.LBB286_522:                            ;   in Loop: Header=BB286_16 Depth=1
	s_wait_alu 0xfffe
	s_or_b32 exec_lo, exec_lo, s21
.LBB286_523:                            ;   in Loop: Header=BB286_16 Depth=1
	s_wait_alu 0xfffe
	s_or_b32 exec_lo, exec_lo, s20
	v_mov_b32_e32 v78, 0
	v_mov_b32_e32 v104, 0
	s_mov_b32 s20, exec_lo
	v_cmpx_lt_u64_e64 s[10:11], v[31:32]
	s_cbranch_execz .LBB286_531
; %bb.524:                              ;   in Loop: Header=BB286_16 Depth=1
	v_lshrrev_b32_e32 v7, 24, v32
	v_bfrev_b32_e32 v104, 1
	s_mov_b32 s21, exec_lo
	s_delay_alu instid0(VALU_DEP_2)
	v_cmpx_ne_u32_e32 0x80, v7
	s_cbranch_execz .LBB286_530
; %bb.525:                              ;   in Loop: Header=BB286_16 Depth=1
	v_and_b32_e32 v182, 0x7f, v7
	v_mov_b32_e32 v104, 0x7c010000
	s_mov_b32 s22, exec_lo
	s_delay_alu instid0(VALU_DEP_2)
	v_cmpx_ne_u32_e32 0x7f, v182
	s_cbranch_execz .LBB286_529
; %bb.526:                              ;   in Loop: Header=BB286_16 Depth=1
	v_and_b32_e32 v31, 7, v7
	v_lshrrev_b32_e32 v32, 3, v182
	s_mov_b32 s23, exec_lo
	v_cmpx_gt_u32_e32 8, v182
; %bb.527:                              ;   in Loop: Header=BB286_16 Depth=1
	s_delay_alu instid0(VALU_DEP_3) | instskip(NEXT) | instid1(VALU_DEP_1)
	v_clz_i32_u32_e32 v31, v31
	v_min_u32_e32 v182, 32, v31
	s_delay_alu instid0(VALU_DEP_1) | instskip(NEXT) | instid1(VALU_DEP_1)
	v_subrev_nc_u32_e32 v31, 28, v182
	v_lshlrev_b64_e32 v[31:32], v31, v[7:8]
	v_sub_nc_u32_e32 v32, 29, v182
	s_delay_alu instid0(VALU_DEP_2)
	v_and_b32_e32 v31, 7, v31
; %bb.528:                              ;   in Loop: Header=BB286_16 Depth=1
	s_wait_alu 0xfffe
	s_or_b32 exec_lo, exec_lo, s23
	v_lshlrev_b32_e32 v7, 8, v7
	v_lshl_add_u32 v32, v32, 10, 0x2000
	v_lshlrev_b32_e32 v31, 23, v31
	s_delay_alu instid0(VALU_DEP_2) | instskip(NEXT) | instid1(VALU_DEP_1)
	v_and_or_b32 v7, 0x8000, v7, v32
	v_lshl_or_b32 v104, v7, 16, v31
.LBB286_529:                            ;   in Loop: Header=BB286_16 Depth=1
	s_wait_alu 0xfffe
	s_or_b32 exec_lo, exec_lo, s22
.LBB286_530:                            ;   in Loop: Header=BB286_16 Depth=1
	s_wait_alu 0xfffe
	s_or_b32 exec_lo, exec_lo, s21
.LBB286_531:                            ;   in Loop: Header=BB286_16 Depth=1
	s_wait_alu 0xfffe
	s_or_b32 exec_lo, exec_lo, s20
	flat_load_b64 v[31:32], v[28:29] offset:2048
	s_mov_b32 s20, exec_lo
	s_wait_loadcnt_dscnt 0x0
	v_and_b32_e32 v7, 0xff, v31
	s_delay_alu instid0(VALU_DEP_1)
	v_cmpx_ne_u16_e32 0, v7
	s_cbranch_execz .LBB286_539
; %bb.532:                              ;   in Loop: Header=BB286_16 Depth=1
	v_mov_b32_e32 v78, 0x8000
	s_mov_b32 s21, exec_lo
	v_cmpx_ne_u16_e32 0x80, v7
	s_cbranch_execz .LBB286_538
; %bb.533:                              ;   in Loop: Header=BB286_16 Depth=1
	v_and_b32_e32 v183, 0x7f, v31
	v_mov_b32_e32 v78, 0x7c01
	s_mov_b32 s22, exec_lo
	s_delay_alu instid0(VALU_DEP_2)
	v_cmpx_ne_u32_e32 0x7f, v183
	s_cbranch_execz .LBB286_537
; %bb.534:                              ;   in Loop: Header=BB286_16 Depth=1
	v_and_b32_e32 v7, 7, v31
	v_lshrrev_b32_e32 v182, 3, v183
	s_mov_b32 s23, exec_lo
	v_cmpx_gt_u32_e32 8, v183
; %bb.535:                              ;   in Loop: Header=BB286_16 Depth=1
	s_delay_alu instid0(VALU_DEP_3) | instskip(NEXT) | instid1(VALU_DEP_1)
	v_clz_i32_u32_e32 v7, v7
	v_min_u32_e32 v7, 32, v7
	s_delay_alu instid0(VALU_DEP_1) | instskip(NEXT) | instid1(VALU_DEP_1)
	v_subrev_nc_u32_e32 v182, 28, v7
	v_lshlrev_b64_e32 v[42:43], v182, v[31:32]
	v_sub_nc_u32_e32 v182, 29, v7
	s_delay_alu instid0(VALU_DEP_2)
	v_and_b32_e32 v7, 7, v42
; %bb.536:                              ;   in Loop: Header=BB286_16 Depth=1
	s_wait_alu 0xfffe
	s_or_b32 exec_lo, exec_lo, s23
	v_lshlrev_b32_e32 v183, 8, v31
	v_lshl_add_u32 v182, v182, 10, 0x2000
	v_lshlrev_b32_e32 v7, 7, v7
	s_delay_alu instid0(VALU_DEP_3) | instskip(NEXT) | instid1(VALU_DEP_3)
	v_and_b32_e32 v183, 0x8000, v183
	v_and_b32_e32 v182, 0xfc00, v182
	s_delay_alu instid0(VALU_DEP_1)
	v_or3_b32 v78, v183, v182, v7
.LBB286_537:                            ;   in Loop: Header=BB286_16 Depth=1
	s_wait_alu 0xfffe
	s_or_b32 exec_lo, exec_lo, s22
.LBB286_538:                            ;   in Loop: Header=BB286_16 Depth=1
	s_wait_alu 0xfffe
	s_or_b32 exec_lo, exec_lo, s21
.LBB286_539:                            ;   in Loop: Header=BB286_16 Depth=1
	s_wait_alu 0xfffe
	s_or_b32 exec_lo, exec_lo, s20
	v_lshrrev_b16 v7, 8, v31
	v_dual_mov_b32 v88, 0 :: v_dual_mov_b32 v79, 0
	s_mov_b32 s20, exec_lo
	s_delay_alu instid0(VALU_DEP_2)
	v_cmpx_ne_u16_e32 0, v7
	s_cbranch_execz .LBB286_547
; %bb.540:                              ;   in Loop: Header=BB286_16 Depth=1
	v_bfrev_b32_e32 v79, 1
	s_mov_b32 s21, exec_lo
	v_cmpx_ne_u16_e32 0x80, v7
	s_cbranch_execz .LBB286_546
; %bb.541:                              ;   in Loop: Header=BB286_16 Depth=1
	v_and_b32_e32 v182, 0xffff, v7
	v_mov_b32_e32 v79, 0x7c010000
	s_mov_b32 s22, exec_lo
	s_delay_alu instid0(VALU_DEP_2) | instskip(NEXT) | instid1(VALU_DEP_1)
	v_and_b32_e32 v43, 0x7f, v182
	v_cmpx_ne_u32_e32 0x7f, v43
	s_cbranch_execz .LBB286_545
; %bb.542:                              ;   in Loop: Header=BB286_16 Depth=1
	v_and_b32_e32 v183, 7, v182
	v_lshrrev_b32_e32 v42, 3, v43
	s_mov_b32 s23, exec_lo
	v_cmpx_gt_u32_e32 8, v43
; %bb.543:                              ;   in Loop: Header=BB286_16 Depth=1
	s_delay_alu instid0(VALU_DEP_3) | instskip(NEXT) | instid1(VALU_DEP_1)
	v_clz_i32_u32_e32 v183, v183
	v_min_u32_e32 v183, 32, v183
	s_delay_alu instid0(VALU_DEP_1) | instskip(NEXT) | instid1(VALU_DEP_1)
	v_subrev_nc_u32_e32 v42, 28, v183
	v_lshlrev_b64_e32 v[43:44], v42, v[7:8]
	v_sub_nc_u32_e32 v42, 29, v183
	s_delay_alu instid0(VALU_DEP_2)
	v_and_b32_e32 v183, 7, v43
; %bb.544:                              ;   in Loop: Header=BB286_16 Depth=1
	s_wait_alu 0xfffe
	s_or_b32 exec_lo, exec_lo, s23
	v_lshlrev_b32_e32 v7, 8, v182
	v_lshl_add_u32 v182, v42, 10, 0x2000
	s_delay_alu instid0(VALU_DEP_1) | instskip(SKIP_1) | instid1(VALU_DEP_1)
	v_and_or_b32 v7, 0x8000, v7, v182
	v_lshlrev_b32_e32 v182, 23, v183
	v_lshl_or_b32 v79, v7, 16, v182
.LBB286_545:                            ;   in Loop: Header=BB286_16 Depth=1
	s_wait_alu 0xfffe
	s_or_b32 exec_lo, exec_lo, s22
.LBB286_546:                            ;   in Loop: Header=BB286_16 Depth=1
	s_wait_alu 0xfffe
	s_or_b32 exec_lo, exec_lo, s21
.LBB286_547:                            ;   in Loop: Header=BB286_16 Depth=1
	s_wait_alu 0xfffe
	s_or_b32 exec_lo, exec_lo, s20
	v_lshrrev_b32_e32 v7, 16, v31
	s_mov_b32 s20, exec_lo
	s_delay_alu instid0(VALU_DEP_1) | instskip(NEXT) | instid1(VALU_DEP_1)
	v_and_b32_e32 v182, 0xff, v7
	v_cmpx_ne_u16_e64 0, v182
	s_cbranch_execz .LBB286_555
; %bb.548:                              ;   in Loop: Header=BB286_16 Depth=1
	v_mov_b32_e32 v88, 0x8000
	s_mov_b32 s21, exec_lo
	v_cmpx_ne_u16_e64 0x80, v182
	s_cbranch_execz .LBB286_554
; %bb.549:                              ;   in Loop: Header=BB286_16 Depth=1
	v_bfe_u32 v42, v31, 16, 7
	v_mov_b32_e32 v88, 0x7c01
	s_mov_b32 s22, exec_lo
	s_delay_alu instid0(VALU_DEP_2)
	v_cmpx_ne_u32_e32 0x7f, v42
	s_cbranch_execz .LBB286_553
; %bb.550:                              ;   in Loop: Header=BB286_16 Depth=1
	v_and_b32_e32 v182, 7, v7
	v_lshrrev_b32_e32 v183, 3, v42
	s_mov_b32 s23, exec_lo
	v_cmpx_gt_u32_e32 8, v42
; %bb.551:                              ;   in Loop: Header=BB286_16 Depth=1
	s_delay_alu instid0(VALU_DEP_3) | instskip(NEXT) | instid1(VALU_DEP_1)
	v_clz_i32_u32_e32 v182, v182
	v_min_u32_e32 v42, 32, v182
	s_delay_alu instid0(VALU_DEP_1) | instskip(NEXT) | instid1(VALU_DEP_1)
	v_subrev_nc_u32_e32 v182, 28, v42
	v_lshlrev_b64_e32 v[182:183], v182, v[7:8]
	v_sub_nc_u32_e32 v183, 29, v42
	s_delay_alu instid0(VALU_DEP_2)
	v_and_b32_e32 v182, 7, v182
; %bb.552:                              ;   in Loop: Header=BB286_16 Depth=1
	s_wait_alu 0xfffe
	s_or_b32 exec_lo, exec_lo, s23
	v_lshlrev_b32_e32 v7, 8, v7
	v_lshl_add_u32 v183, v183, 10, 0x2000
	v_lshlrev_b32_e32 v182, 7, v182
	s_delay_alu instid0(VALU_DEP_3) | instskip(NEXT) | instid1(VALU_DEP_3)
	v_and_b32_e32 v7, 0x8000, v7
	v_and_b32_e32 v183, 0xfc00, v183
	s_delay_alu instid0(VALU_DEP_1)
	v_or3_b32 v88, v7, v183, v182
.LBB286_553:                            ;   in Loop: Header=BB286_16 Depth=1
	s_wait_alu 0xfffe
	s_or_b32 exec_lo, exec_lo, s22
.LBB286_554:                            ;   in Loop: Header=BB286_16 Depth=1
	s_wait_alu 0xfffe
	s_or_b32 exec_lo, exec_lo, s21
.LBB286_555:                            ;   in Loop: Header=BB286_16 Depth=1
	s_wait_alu 0xfffe
	s_or_b32 exec_lo, exec_lo, s20
	v_dual_mov_b32 v89, 0 :: v_dual_mov_b32 v92, 0
	s_mov_b32 s20, exec_lo
	v_cmpx_lt_u32_e32 0xffffff, v31
	s_cbranch_execz .LBB286_563
; %bb.556:                              ;   in Loop: Header=BB286_16 Depth=1
	v_lshrrev_b32_e32 v7, 24, v31
	v_bfrev_b32_e32 v92, 1
	s_mov_b32 s21, exec_lo
	s_delay_alu instid0(VALU_DEP_2)
	v_cmpx_ne_u32_e32 0x80, v7
	s_cbranch_execz .LBB286_562
; %bb.557:                              ;   in Loop: Header=BB286_16 Depth=1
	v_and_b32_e32 v42, 0x7f, v7
	v_mov_b32_e32 v92, 0x7c010000
	s_mov_b32 s22, exec_lo
	s_delay_alu instid0(VALU_DEP_2)
	v_cmpx_ne_u32_e32 0x7f, v42
	s_cbranch_execz .LBB286_561
; %bb.558:                              ;   in Loop: Header=BB286_16 Depth=1
	v_and_b32_e32 v182, 7, v7
	v_lshrrev_b32_e32 v183, 3, v42
	s_mov_b32 s23, exec_lo
	v_cmpx_gt_u32_e32 8, v42
; %bb.559:                              ;   in Loop: Header=BB286_16 Depth=1
	s_delay_alu instid0(VALU_DEP_3) | instskip(NEXT) | instid1(VALU_DEP_1)
	v_clz_i32_u32_e32 v182, v182
	v_min_u32_e32 v42, 32, v182
	s_delay_alu instid0(VALU_DEP_1) | instskip(NEXT) | instid1(VALU_DEP_1)
	v_subrev_nc_u32_e32 v182, 28, v42
	v_lshlrev_b64_e32 v[182:183], v182, v[7:8]
	v_sub_nc_u32_e32 v183, 29, v42
	s_delay_alu instid0(VALU_DEP_2)
	v_and_b32_e32 v182, 7, v182
; %bb.560:                              ;   in Loop: Header=BB286_16 Depth=1
	s_wait_alu 0xfffe
	s_or_b32 exec_lo, exec_lo, s23
	v_lshlrev_b32_e32 v7, 8, v7
	v_lshl_add_u32 v183, v183, 10, 0x2000
	v_lshlrev_b32_e32 v182, 23, v182
	s_delay_alu instid0(VALU_DEP_2) | instskip(NEXT) | instid1(VALU_DEP_1)
	v_and_or_b32 v7, 0x8000, v7, v183
	v_lshl_or_b32 v92, v7, 16, v182
.LBB286_561:                            ;   in Loop: Header=BB286_16 Depth=1
	s_wait_alu 0xfffe
	s_or_b32 exec_lo, exec_lo, s22
.LBB286_562:                            ;   in Loop: Header=BB286_16 Depth=1
	s_wait_alu 0xfffe
	s_or_b32 exec_lo, exec_lo, s21
.LBB286_563:                            ;   in Loop: Header=BB286_16 Depth=1
	s_wait_alu 0xfffe
	s_or_b32 exec_lo, exec_lo, s20
	v_dual_mov_b32 v7, v32 :: v_dual_and_b32 v182, 0xff, v32
	s_mov_b32 s20, exec_lo
	s_delay_alu instid0(VALU_DEP_1)
	v_cmpx_ne_u16_e64 0, v182
	s_cbranch_execz .LBB286_571
; %bb.564:                              ;   in Loop: Header=BB286_16 Depth=1
	v_mov_b32_e32 v89, 0x8000
	s_mov_b32 s21, exec_lo
	v_cmpx_ne_u16_e64 0x80, v182
	s_cbranch_execz .LBB286_570
; %bb.565:                              ;   in Loop: Header=BB286_16 Depth=1
	v_and_b32_e32 v42, 0x7f, v32
	v_mov_b32_e32 v89, 0x7c01
	s_mov_b32 s22, exec_lo
	s_delay_alu instid0(VALU_DEP_2)
	v_cmpx_ne_u32_e32 0x7f, v42
	s_cbranch_execz .LBB286_569
; %bb.566:                              ;   in Loop: Header=BB286_16 Depth=1
	v_and_b32_e32 v182, 7, v32
	v_lshrrev_b32_e32 v183, 3, v42
	s_mov_b32 s23, exec_lo
	v_cmpx_gt_u32_e32 8, v42
; %bb.567:                              ;   in Loop: Header=BB286_16 Depth=1
	s_delay_alu instid0(VALU_DEP_3) | instskip(NEXT) | instid1(VALU_DEP_1)
	v_clz_i32_u32_e32 v182, v182
	v_min_u32_e32 v42, 32, v182
	s_delay_alu instid0(VALU_DEP_1) | instskip(NEXT) | instid1(VALU_DEP_1)
	v_subrev_nc_u32_e32 v182, 28, v42
	v_lshlrev_b64_e32 v[182:183], v182, v[7:8]
	v_sub_nc_u32_e32 v183, 29, v42
	s_delay_alu instid0(VALU_DEP_2)
	v_and_b32_e32 v182, 7, v182
; %bb.568:                              ;   in Loop: Header=BB286_16 Depth=1
	s_wait_alu 0xfffe
	s_or_b32 exec_lo, exec_lo, s23
	v_lshlrev_b32_e32 v42, 8, v32
	v_lshl_add_u32 v183, v183, 10, 0x2000
	v_lshlrev_b32_e32 v182, 7, v182
	s_delay_alu instid0(VALU_DEP_3) | instskip(NEXT) | instid1(VALU_DEP_3)
	v_and_b32_e32 v42, 0x8000, v42
	v_and_b32_e32 v183, 0xfc00, v183
	s_delay_alu instid0(VALU_DEP_1)
	v_or3_b32 v89, v42, v183, v182
.LBB286_569:                            ;   in Loop: Header=BB286_16 Depth=1
	s_wait_alu 0xfffe
	s_or_b32 exec_lo, exec_lo, s22
.LBB286_570:                            ;   in Loop: Header=BB286_16 Depth=1
	s_wait_alu 0xfffe
	s_or_b32 exec_lo, exec_lo, s21
.LBB286_571:                            ;   in Loop: Header=BB286_16 Depth=1
	s_wait_alu 0xfffe
	s_or_b32 exec_lo, exec_lo, s20
	v_lshrrev_b16 v7, 8, v7
	v_dual_mov_b32 v105, 0 :: v_dual_mov_b32 v106, 0
	s_mov_b32 s20, exec_lo
	s_delay_alu instid0(VALU_DEP_2)
	v_cmpx_ne_u16_e32 0, v7
	s_cbranch_execz .LBB286_579
; %bb.572:                              ;   in Loop: Header=BB286_16 Depth=1
	v_bfrev_b32_e32 v106, 1
	s_mov_b32 s21, exec_lo
	v_cmpx_ne_u16_e32 0x80, v7
	s_cbranch_execz .LBB286_578
; %bb.573:                              ;   in Loop: Header=BB286_16 Depth=1
	v_and_b32_e32 v182, 0xffff, v7
	v_mov_b32_e32 v106, 0x7c010000
	s_mov_b32 s22, exec_lo
	s_delay_alu instid0(VALU_DEP_2) | instskip(NEXT) | instid1(VALU_DEP_1)
	v_and_b32_e32 v43, 0x7f, v182
	v_cmpx_ne_u32_e32 0x7f, v43
	s_cbranch_execz .LBB286_577
; %bb.574:                              ;   in Loop: Header=BB286_16 Depth=1
	v_and_b32_e32 v183, 7, v182
	v_lshrrev_b32_e32 v42, 3, v43
	s_mov_b32 s23, exec_lo
	v_cmpx_gt_u32_e32 8, v43
; %bb.575:                              ;   in Loop: Header=BB286_16 Depth=1
	s_delay_alu instid0(VALU_DEP_3) | instskip(NEXT) | instid1(VALU_DEP_1)
	v_clz_i32_u32_e32 v183, v183
	v_min_u32_e32 v183, 32, v183
	s_delay_alu instid0(VALU_DEP_1) | instskip(NEXT) | instid1(VALU_DEP_1)
	v_subrev_nc_u32_e32 v42, 28, v183
	v_lshlrev_b64_e32 v[43:44], v42, v[7:8]
	v_sub_nc_u32_e32 v42, 29, v183
	s_delay_alu instid0(VALU_DEP_2)
	v_and_b32_e32 v183, 7, v43
; %bb.576:                              ;   in Loop: Header=BB286_16 Depth=1
	s_wait_alu 0xfffe
	s_or_b32 exec_lo, exec_lo, s23
	v_lshlrev_b32_e32 v7, 8, v182
	v_lshl_add_u32 v182, v42, 10, 0x2000
	s_delay_alu instid0(VALU_DEP_1) | instskip(SKIP_1) | instid1(VALU_DEP_1)
	v_and_or_b32 v7, 0x8000, v7, v182
	v_lshlrev_b32_e32 v182, 23, v183
	v_lshl_or_b32 v106, v7, 16, v182
.LBB286_577:                            ;   in Loop: Header=BB286_16 Depth=1
	s_wait_alu 0xfffe
	s_or_b32 exec_lo, exec_lo, s22
.LBB286_578:                            ;   in Loop: Header=BB286_16 Depth=1
	s_wait_alu 0xfffe
	s_or_b32 exec_lo, exec_lo, s21
.LBB286_579:                            ;   in Loop: Header=BB286_16 Depth=1
	s_wait_alu 0xfffe
	s_or_b32 exec_lo, exec_lo, s20
	v_lshrrev_b32_e32 v7, 16, v32
	s_mov_b32 s20, exec_lo
	s_delay_alu instid0(VALU_DEP_1) | instskip(NEXT) | instid1(VALU_DEP_1)
	v_and_b32_e32 v182, 0xff, v7
	v_cmpx_ne_u16_e64 0, v182
	s_cbranch_execz .LBB286_587
; %bb.580:                              ;   in Loop: Header=BB286_16 Depth=1
	v_mov_b32_e32 v105, 0x8000
	s_mov_b32 s21, exec_lo
	v_cmpx_ne_u16_e64 0x80, v182
	s_cbranch_execz .LBB286_586
; %bb.581:                              ;   in Loop: Header=BB286_16 Depth=1
	v_bfe_u32 v42, v32, 16, 7
	v_mov_b32_e32 v105, 0x7c01
	s_mov_b32 s22, exec_lo
	s_delay_alu instid0(VALU_DEP_2)
	v_cmpx_ne_u32_e32 0x7f, v42
	s_cbranch_execz .LBB286_585
; %bb.582:                              ;   in Loop: Header=BB286_16 Depth=1
	v_and_b32_e32 v182, 7, v7
	v_lshrrev_b32_e32 v183, 3, v42
	s_mov_b32 s23, exec_lo
	v_cmpx_gt_u32_e32 8, v42
; %bb.583:                              ;   in Loop: Header=BB286_16 Depth=1
	s_delay_alu instid0(VALU_DEP_3) | instskip(NEXT) | instid1(VALU_DEP_1)
	v_clz_i32_u32_e32 v182, v182
	v_min_u32_e32 v42, 32, v182
	s_delay_alu instid0(VALU_DEP_1) | instskip(NEXT) | instid1(VALU_DEP_1)
	v_subrev_nc_u32_e32 v182, 28, v42
	v_lshlrev_b64_e32 v[182:183], v182, v[7:8]
	v_sub_nc_u32_e32 v183, 29, v42
	s_delay_alu instid0(VALU_DEP_2)
	v_and_b32_e32 v182, 7, v182
; %bb.584:                              ;   in Loop: Header=BB286_16 Depth=1
	s_wait_alu 0xfffe
	s_or_b32 exec_lo, exec_lo, s23
	v_lshlrev_b32_e32 v7, 8, v7
	v_lshl_add_u32 v183, v183, 10, 0x2000
	v_lshlrev_b32_e32 v182, 7, v182
	s_delay_alu instid0(VALU_DEP_3) | instskip(NEXT) | instid1(VALU_DEP_3)
	v_and_b32_e32 v7, 0x8000, v7
	v_and_b32_e32 v183, 0xfc00, v183
	s_delay_alu instid0(VALU_DEP_1)
	v_or3_b32 v105, v7, v183, v182
.LBB286_585:                            ;   in Loop: Header=BB286_16 Depth=1
	s_wait_alu 0xfffe
	s_or_b32 exec_lo, exec_lo, s22
.LBB286_586:                            ;   in Loop: Header=BB286_16 Depth=1
	s_wait_alu 0xfffe
	s_or_b32 exec_lo, exec_lo, s21
.LBB286_587:                            ;   in Loop: Header=BB286_16 Depth=1
	s_wait_alu 0xfffe
	s_or_b32 exec_lo, exec_lo, s20
	v_dual_mov_b32 v58, 0 :: v_dual_mov_b32 v107, 0
	s_mov_b32 s20, exec_lo
	v_cmpx_lt_u64_e64 s[10:11], v[31:32]
	s_cbranch_execz .LBB286_595
; %bb.588:                              ;   in Loop: Header=BB286_16 Depth=1
	v_lshrrev_b32_e32 v7, 24, v32
	v_bfrev_b32_e32 v107, 1
	s_mov_b32 s21, exec_lo
	s_delay_alu instid0(VALU_DEP_2)
	v_cmpx_ne_u32_e32 0x80, v7
	s_cbranch_execz .LBB286_594
; %bb.589:                              ;   in Loop: Header=BB286_16 Depth=1
	v_and_b32_e32 v182, 0x7f, v7
	v_mov_b32_e32 v107, 0x7c010000
	s_mov_b32 s22, exec_lo
	s_delay_alu instid0(VALU_DEP_2)
	v_cmpx_ne_u32_e32 0x7f, v182
	s_cbranch_execz .LBB286_593
; %bb.590:                              ;   in Loop: Header=BB286_16 Depth=1
	v_and_b32_e32 v31, 7, v7
	v_lshrrev_b32_e32 v32, 3, v182
	s_mov_b32 s23, exec_lo
	v_cmpx_gt_u32_e32 8, v182
; %bb.591:                              ;   in Loop: Header=BB286_16 Depth=1
	s_delay_alu instid0(VALU_DEP_3) | instskip(NEXT) | instid1(VALU_DEP_1)
	v_clz_i32_u32_e32 v31, v31
	v_min_u32_e32 v182, 32, v31
	s_delay_alu instid0(VALU_DEP_1) | instskip(NEXT) | instid1(VALU_DEP_1)
	v_subrev_nc_u32_e32 v31, 28, v182
	v_lshlrev_b64_e32 v[31:32], v31, v[7:8]
	v_sub_nc_u32_e32 v32, 29, v182
	s_delay_alu instid0(VALU_DEP_2)
	v_and_b32_e32 v31, 7, v31
; %bb.592:                              ;   in Loop: Header=BB286_16 Depth=1
	s_wait_alu 0xfffe
	s_or_b32 exec_lo, exec_lo, s23
	v_lshlrev_b32_e32 v7, 8, v7
	v_lshl_add_u32 v32, v32, 10, 0x2000
	v_lshlrev_b32_e32 v31, 23, v31
	s_delay_alu instid0(VALU_DEP_2) | instskip(NEXT) | instid1(VALU_DEP_1)
	v_and_or_b32 v7, 0x8000, v7, v32
	v_lshl_or_b32 v107, v7, 16, v31
.LBB286_593:                            ;   in Loop: Header=BB286_16 Depth=1
	s_wait_alu 0xfffe
	s_or_b32 exec_lo, exec_lo, s22
.LBB286_594:                            ;   in Loop: Header=BB286_16 Depth=1
	s_wait_alu 0xfffe
	s_or_b32 exec_lo, exec_lo, s21
.LBB286_595:                            ;   in Loop: Header=BB286_16 Depth=1
	s_wait_alu 0xfffe
	s_or_b32 exec_lo, exec_lo, s20
	flat_load_b64 v[31:32], v[28:29] offset:2056
	s_mov_b32 s20, exec_lo
	s_wait_loadcnt_dscnt 0x0
	v_and_b32_e32 v7, 0xff, v31
	s_delay_alu instid0(VALU_DEP_1)
	v_cmpx_ne_u16_e32 0, v7
	s_cbranch_execz .LBB286_603
; %bb.596:                              ;   in Loop: Header=BB286_16 Depth=1
	v_mov_b32_e32 v58, 0x8000
	s_mov_b32 s21, exec_lo
	v_cmpx_ne_u16_e32 0x80, v7
	s_cbranch_execz .LBB286_602
; %bb.597:                              ;   in Loop: Header=BB286_16 Depth=1
	v_and_b32_e32 v183, 0x7f, v31
	v_mov_b32_e32 v58, 0x7c01
	s_mov_b32 s22, exec_lo
	s_delay_alu instid0(VALU_DEP_2)
	v_cmpx_ne_u32_e32 0x7f, v183
	s_cbranch_execz .LBB286_601
; %bb.598:                              ;   in Loop: Header=BB286_16 Depth=1
	v_and_b32_e32 v7, 7, v31
	v_lshrrev_b32_e32 v182, 3, v183
	s_mov_b32 s23, exec_lo
	v_cmpx_gt_u32_e32 8, v183
; %bb.599:                              ;   in Loop: Header=BB286_16 Depth=1
	s_delay_alu instid0(VALU_DEP_3) | instskip(NEXT) | instid1(VALU_DEP_1)
	v_clz_i32_u32_e32 v7, v7
	v_min_u32_e32 v7, 32, v7
	s_delay_alu instid0(VALU_DEP_1) | instskip(NEXT) | instid1(VALU_DEP_1)
	v_subrev_nc_u32_e32 v182, 28, v7
	v_lshlrev_b64_e32 v[42:43], v182, v[31:32]
	v_sub_nc_u32_e32 v182, 29, v7
	s_delay_alu instid0(VALU_DEP_2)
	v_and_b32_e32 v7, 7, v42
; %bb.600:                              ;   in Loop: Header=BB286_16 Depth=1
	s_wait_alu 0xfffe
	s_or_b32 exec_lo, exec_lo, s23
	v_lshlrev_b32_e32 v183, 8, v31
	v_lshl_add_u32 v182, v182, 10, 0x2000
	v_lshlrev_b32_e32 v7, 7, v7
	s_delay_alu instid0(VALU_DEP_3) | instskip(NEXT) | instid1(VALU_DEP_3)
	v_and_b32_e32 v183, 0x8000, v183
	v_and_b32_e32 v182, 0xfc00, v182
	s_delay_alu instid0(VALU_DEP_1)
	v_or3_b32 v58, v183, v182, v7
.LBB286_601:                            ;   in Loop: Header=BB286_16 Depth=1
	s_wait_alu 0xfffe
	s_or_b32 exec_lo, exec_lo, s22
.LBB286_602:                            ;   in Loop: Header=BB286_16 Depth=1
	s_wait_alu 0xfffe
	s_or_b32 exec_lo, exec_lo, s21
.LBB286_603:                            ;   in Loop: Header=BB286_16 Depth=1
	s_wait_alu 0xfffe
	s_or_b32 exec_lo, exec_lo, s20
	v_lshrrev_b16 v7, 8, v31
	v_dual_mov_b32 v62, 0 :: v_dual_mov_b32 v59, 0
	s_mov_b32 s20, exec_lo
	s_delay_alu instid0(VALU_DEP_2)
	v_cmpx_ne_u16_e32 0, v7
	s_cbranch_execz .LBB286_611
; %bb.604:                              ;   in Loop: Header=BB286_16 Depth=1
	v_bfrev_b32_e32 v59, 1
	s_mov_b32 s21, exec_lo
	v_cmpx_ne_u16_e32 0x80, v7
	s_cbranch_execz .LBB286_610
; %bb.605:                              ;   in Loop: Header=BB286_16 Depth=1
	v_and_b32_e32 v182, 0xffff, v7
	v_mov_b32_e32 v59, 0x7c010000
	s_mov_b32 s22, exec_lo
	s_delay_alu instid0(VALU_DEP_2) | instskip(NEXT) | instid1(VALU_DEP_1)
	v_and_b32_e32 v43, 0x7f, v182
	v_cmpx_ne_u32_e32 0x7f, v43
	s_cbranch_execz .LBB286_609
; %bb.606:                              ;   in Loop: Header=BB286_16 Depth=1
	v_and_b32_e32 v183, 7, v182
	v_lshrrev_b32_e32 v42, 3, v43
	s_mov_b32 s23, exec_lo
	v_cmpx_gt_u32_e32 8, v43
; %bb.607:                              ;   in Loop: Header=BB286_16 Depth=1
	s_delay_alu instid0(VALU_DEP_3) | instskip(NEXT) | instid1(VALU_DEP_1)
	v_clz_i32_u32_e32 v183, v183
	v_min_u32_e32 v183, 32, v183
	s_delay_alu instid0(VALU_DEP_1) | instskip(NEXT) | instid1(VALU_DEP_1)
	v_subrev_nc_u32_e32 v42, 28, v183
	v_lshlrev_b64_e32 v[43:44], v42, v[7:8]
	v_sub_nc_u32_e32 v42, 29, v183
	s_delay_alu instid0(VALU_DEP_2)
	v_and_b32_e32 v183, 7, v43
; %bb.608:                              ;   in Loop: Header=BB286_16 Depth=1
	s_wait_alu 0xfffe
	s_or_b32 exec_lo, exec_lo, s23
	v_lshlrev_b32_e32 v7, 8, v182
	v_lshl_add_u32 v182, v42, 10, 0x2000
	s_delay_alu instid0(VALU_DEP_1) | instskip(SKIP_1) | instid1(VALU_DEP_1)
	v_and_or_b32 v7, 0x8000, v7, v182
	v_lshlrev_b32_e32 v182, 23, v183
	v_lshl_or_b32 v59, v7, 16, v182
.LBB286_609:                            ;   in Loop: Header=BB286_16 Depth=1
	s_wait_alu 0xfffe
	s_or_b32 exec_lo, exec_lo, s22
.LBB286_610:                            ;   in Loop: Header=BB286_16 Depth=1
	s_wait_alu 0xfffe
	s_or_b32 exec_lo, exec_lo, s21
.LBB286_611:                            ;   in Loop: Header=BB286_16 Depth=1
	s_wait_alu 0xfffe
	s_or_b32 exec_lo, exec_lo, s20
	v_lshrrev_b32_e32 v7, 16, v31
	s_mov_b32 s20, exec_lo
	s_delay_alu instid0(VALU_DEP_1) | instskip(NEXT) | instid1(VALU_DEP_1)
	v_and_b32_e32 v182, 0xff, v7
	v_cmpx_ne_u16_e64 0, v182
	s_cbranch_execz .LBB286_619
; %bb.612:                              ;   in Loop: Header=BB286_16 Depth=1
	v_mov_b32_e32 v62, 0x8000
	s_mov_b32 s21, exec_lo
	v_cmpx_ne_u16_e64 0x80, v182
	s_cbranch_execz .LBB286_618
; %bb.613:                              ;   in Loop: Header=BB286_16 Depth=1
	v_bfe_u32 v42, v31, 16, 7
	v_mov_b32_e32 v62, 0x7c01
	s_mov_b32 s22, exec_lo
	s_delay_alu instid0(VALU_DEP_2)
	v_cmpx_ne_u32_e32 0x7f, v42
	s_cbranch_execz .LBB286_617
; %bb.614:                              ;   in Loop: Header=BB286_16 Depth=1
	v_and_b32_e32 v182, 7, v7
	v_lshrrev_b32_e32 v183, 3, v42
	s_mov_b32 s23, exec_lo
	v_cmpx_gt_u32_e32 8, v42
; %bb.615:                              ;   in Loop: Header=BB286_16 Depth=1
	s_delay_alu instid0(VALU_DEP_3) | instskip(NEXT) | instid1(VALU_DEP_1)
	v_clz_i32_u32_e32 v182, v182
	v_min_u32_e32 v42, 32, v182
	s_delay_alu instid0(VALU_DEP_1) | instskip(NEXT) | instid1(VALU_DEP_1)
	v_subrev_nc_u32_e32 v182, 28, v42
	v_lshlrev_b64_e32 v[182:183], v182, v[7:8]
	v_sub_nc_u32_e32 v183, 29, v42
	s_delay_alu instid0(VALU_DEP_2)
	v_and_b32_e32 v182, 7, v182
; %bb.616:                              ;   in Loop: Header=BB286_16 Depth=1
	s_wait_alu 0xfffe
	s_or_b32 exec_lo, exec_lo, s23
	v_lshlrev_b32_e32 v7, 8, v7
	v_lshl_add_u32 v183, v183, 10, 0x2000
	v_lshlrev_b32_e32 v182, 7, v182
	s_delay_alu instid0(VALU_DEP_3) | instskip(NEXT) | instid1(VALU_DEP_3)
	v_and_b32_e32 v7, 0x8000, v7
	v_and_b32_e32 v183, 0xfc00, v183
	s_delay_alu instid0(VALU_DEP_1)
	v_or3_b32 v62, v7, v183, v182
.LBB286_617:                            ;   in Loop: Header=BB286_16 Depth=1
	s_wait_alu 0xfffe
	s_or_b32 exec_lo, exec_lo, s22
.LBB286_618:                            ;   in Loop: Header=BB286_16 Depth=1
	s_wait_alu 0xfffe
	s_or_b32 exec_lo, exec_lo, s21
.LBB286_619:                            ;   in Loop: Header=BB286_16 Depth=1
	s_wait_alu 0xfffe
	s_or_b32 exec_lo, exec_lo, s20
	v_dual_mov_b32 v63, 0 :: v_dual_mov_b32 v72, 0
	s_mov_b32 s20, exec_lo
	v_cmpx_lt_u32_e32 0xffffff, v31
	s_cbranch_execz .LBB286_627
; %bb.620:                              ;   in Loop: Header=BB286_16 Depth=1
	v_lshrrev_b32_e32 v7, 24, v31
	v_bfrev_b32_e32 v72, 1
	s_mov_b32 s21, exec_lo
	s_delay_alu instid0(VALU_DEP_2)
	v_cmpx_ne_u32_e32 0x80, v7
	s_cbranch_execz .LBB286_626
; %bb.621:                              ;   in Loop: Header=BB286_16 Depth=1
	v_and_b32_e32 v42, 0x7f, v7
	v_mov_b32_e32 v72, 0x7c010000
	s_mov_b32 s22, exec_lo
	s_delay_alu instid0(VALU_DEP_2)
	v_cmpx_ne_u32_e32 0x7f, v42
	s_cbranch_execz .LBB286_625
; %bb.622:                              ;   in Loop: Header=BB286_16 Depth=1
	v_and_b32_e32 v182, 7, v7
	v_lshrrev_b32_e32 v183, 3, v42
	s_mov_b32 s23, exec_lo
	v_cmpx_gt_u32_e32 8, v42
; %bb.623:                              ;   in Loop: Header=BB286_16 Depth=1
	s_delay_alu instid0(VALU_DEP_3) | instskip(NEXT) | instid1(VALU_DEP_1)
	v_clz_i32_u32_e32 v182, v182
	v_min_u32_e32 v42, 32, v182
	s_delay_alu instid0(VALU_DEP_1) | instskip(NEXT) | instid1(VALU_DEP_1)
	v_subrev_nc_u32_e32 v182, 28, v42
	v_lshlrev_b64_e32 v[182:183], v182, v[7:8]
	v_sub_nc_u32_e32 v183, 29, v42
	s_delay_alu instid0(VALU_DEP_2)
	v_and_b32_e32 v182, 7, v182
; %bb.624:                              ;   in Loop: Header=BB286_16 Depth=1
	s_wait_alu 0xfffe
	s_or_b32 exec_lo, exec_lo, s23
	v_lshlrev_b32_e32 v7, 8, v7
	v_lshl_add_u32 v183, v183, 10, 0x2000
	v_lshlrev_b32_e32 v182, 23, v182
	s_delay_alu instid0(VALU_DEP_2) | instskip(NEXT) | instid1(VALU_DEP_1)
	v_and_or_b32 v7, 0x8000, v7, v183
	v_lshl_or_b32 v72, v7, 16, v182
.LBB286_625:                            ;   in Loop: Header=BB286_16 Depth=1
	s_wait_alu 0xfffe
	s_or_b32 exec_lo, exec_lo, s22
.LBB286_626:                            ;   in Loop: Header=BB286_16 Depth=1
	s_wait_alu 0xfffe
	s_or_b32 exec_lo, exec_lo, s21
.LBB286_627:                            ;   in Loop: Header=BB286_16 Depth=1
	s_wait_alu 0xfffe
	s_or_b32 exec_lo, exec_lo, s20
	v_dual_mov_b32 v7, v32 :: v_dual_and_b32 v182, 0xff, v32
	s_mov_b32 s20, exec_lo
	s_delay_alu instid0(VALU_DEP_1)
	v_cmpx_ne_u16_e64 0, v182
	s_cbranch_execz .LBB286_635
; %bb.628:                              ;   in Loop: Header=BB286_16 Depth=1
	v_mov_b32_e32 v63, 0x8000
	s_mov_b32 s21, exec_lo
	v_cmpx_ne_u16_e64 0x80, v182
	s_cbranch_execz .LBB286_634
; %bb.629:                              ;   in Loop: Header=BB286_16 Depth=1
	v_and_b32_e32 v42, 0x7f, v32
	v_mov_b32_e32 v63, 0x7c01
	s_mov_b32 s22, exec_lo
	s_delay_alu instid0(VALU_DEP_2)
	v_cmpx_ne_u32_e32 0x7f, v42
	s_cbranch_execz .LBB286_633
; %bb.630:                              ;   in Loop: Header=BB286_16 Depth=1
	v_and_b32_e32 v182, 7, v32
	v_lshrrev_b32_e32 v183, 3, v42
	s_mov_b32 s23, exec_lo
	v_cmpx_gt_u32_e32 8, v42
; %bb.631:                              ;   in Loop: Header=BB286_16 Depth=1
	s_delay_alu instid0(VALU_DEP_3) | instskip(NEXT) | instid1(VALU_DEP_1)
	v_clz_i32_u32_e32 v182, v182
	v_min_u32_e32 v42, 32, v182
	s_delay_alu instid0(VALU_DEP_1) | instskip(NEXT) | instid1(VALU_DEP_1)
	v_subrev_nc_u32_e32 v182, 28, v42
	v_lshlrev_b64_e32 v[182:183], v182, v[7:8]
	v_sub_nc_u32_e32 v183, 29, v42
	s_delay_alu instid0(VALU_DEP_2)
	v_and_b32_e32 v182, 7, v182
; %bb.632:                              ;   in Loop: Header=BB286_16 Depth=1
	s_wait_alu 0xfffe
	s_or_b32 exec_lo, exec_lo, s23
	v_lshlrev_b32_e32 v42, 8, v32
	v_lshl_add_u32 v183, v183, 10, 0x2000
	v_lshlrev_b32_e32 v182, 7, v182
	s_delay_alu instid0(VALU_DEP_3) | instskip(NEXT) | instid1(VALU_DEP_3)
	v_and_b32_e32 v42, 0x8000, v42
	v_and_b32_e32 v183, 0xfc00, v183
	s_delay_alu instid0(VALU_DEP_1)
	v_or3_b32 v63, v42, v183, v182
.LBB286_633:                            ;   in Loop: Header=BB286_16 Depth=1
	s_wait_alu 0xfffe
	s_or_b32 exec_lo, exec_lo, s22
.LBB286_634:                            ;   in Loop: Header=BB286_16 Depth=1
	s_wait_alu 0xfffe
	s_or_b32 exec_lo, exec_lo, s21
.LBB286_635:                            ;   in Loop: Header=BB286_16 Depth=1
	s_wait_alu 0xfffe
	s_or_b32 exec_lo, exec_lo, s20
	v_lshrrev_b16 v7, 8, v7
	v_dual_mov_b32 v93, 0 :: v_dual_mov_b32 v94, 0
	s_mov_b32 s20, exec_lo
	s_delay_alu instid0(VALU_DEP_2)
	v_cmpx_ne_u16_e32 0, v7
	s_cbranch_execz .LBB286_643
; %bb.636:                              ;   in Loop: Header=BB286_16 Depth=1
	v_bfrev_b32_e32 v94, 1
	s_mov_b32 s21, exec_lo
	v_cmpx_ne_u16_e32 0x80, v7
	s_cbranch_execz .LBB286_642
; %bb.637:                              ;   in Loop: Header=BB286_16 Depth=1
	v_and_b32_e32 v182, 0xffff, v7
	v_mov_b32_e32 v94, 0x7c010000
	s_mov_b32 s22, exec_lo
	s_delay_alu instid0(VALU_DEP_2) | instskip(NEXT) | instid1(VALU_DEP_1)
	v_and_b32_e32 v43, 0x7f, v182
	v_cmpx_ne_u32_e32 0x7f, v43
	s_cbranch_execz .LBB286_641
; %bb.638:                              ;   in Loop: Header=BB286_16 Depth=1
	v_and_b32_e32 v183, 7, v182
	v_lshrrev_b32_e32 v42, 3, v43
	s_mov_b32 s23, exec_lo
	v_cmpx_gt_u32_e32 8, v43
; %bb.639:                              ;   in Loop: Header=BB286_16 Depth=1
	s_delay_alu instid0(VALU_DEP_3) | instskip(NEXT) | instid1(VALU_DEP_1)
	v_clz_i32_u32_e32 v183, v183
	v_min_u32_e32 v183, 32, v183
	s_delay_alu instid0(VALU_DEP_1) | instskip(NEXT) | instid1(VALU_DEP_1)
	v_subrev_nc_u32_e32 v42, 28, v183
	v_lshlrev_b64_e32 v[43:44], v42, v[7:8]
	v_sub_nc_u32_e32 v42, 29, v183
	s_delay_alu instid0(VALU_DEP_2)
	v_and_b32_e32 v183, 7, v43
; %bb.640:                              ;   in Loop: Header=BB286_16 Depth=1
	s_wait_alu 0xfffe
	s_or_b32 exec_lo, exec_lo, s23
	v_lshlrev_b32_e32 v7, 8, v182
	v_lshl_add_u32 v182, v42, 10, 0x2000
	s_delay_alu instid0(VALU_DEP_1) | instskip(SKIP_1) | instid1(VALU_DEP_1)
	v_and_or_b32 v7, 0x8000, v7, v182
	v_lshlrev_b32_e32 v182, 23, v183
	v_lshl_or_b32 v94, v7, 16, v182
.LBB286_641:                            ;   in Loop: Header=BB286_16 Depth=1
	s_wait_alu 0xfffe
	s_or_b32 exec_lo, exec_lo, s22
.LBB286_642:                            ;   in Loop: Header=BB286_16 Depth=1
	s_wait_alu 0xfffe
	s_or_b32 exec_lo, exec_lo, s21
.LBB286_643:                            ;   in Loop: Header=BB286_16 Depth=1
	s_wait_alu 0xfffe
	s_or_b32 exec_lo, exec_lo, s20
	v_lshrrev_b32_e32 v7, 16, v32
	s_mov_b32 s20, exec_lo
	s_delay_alu instid0(VALU_DEP_1) | instskip(NEXT) | instid1(VALU_DEP_1)
	v_and_b32_e32 v182, 0xff, v7
	v_cmpx_ne_u16_e64 0, v182
	s_cbranch_execz .LBB286_651
; %bb.644:                              ;   in Loop: Header=BB286_16 Depth=1
	v_mov_b32_e32 v93, 0x8000
	s_mov_b32 s21, exec_lo
	v_cmpx_ne_u16_e64 0x80, v182
	s_cbranch_execz .LBB286_650
; %bb.645:                              ;   in Loop: Header=BB286_16 Depth=1
	v_bfe_u32 v42, v32, 16, 7
	v_mov_b32_e32 v93, 0x7c01
	s_mov_b32 s22, exec_lo
	s_delay_alu instid0(VALU_DEP_2)
	v_cmpx_ne_u32_e32 0x7f, v42
	s_cbranch_execz .LBB286_649
; %bb.646:                              ;   in Loop: Header=BB286_16 Depth=1
	v_and_b32_e32 v182, 7, v7
	v_lshrrev_b32_e32 v183, 3, v42
	s_mov_b32 s23, exec_lo
	v_cmpx_gt_u32_e32 8, v42
; %bb.647:                              ;   in Loop: Header=BB286_16 Depth=1
	s_delay_alu instid0(VALU_DEP_3) | instskip(NEXT) | instid1(VALU_DEP_1)
	v_clz_i32_u32_e32 v182, v182
	v_min_u32_e32 v42, 32, v182
	s_delay_alu instid0(VALU_DEP_1) | instskip(NEXT) | instid1(VALU_DEP_1)
	v_subrev_nc_u32_e32 v182, 28, v42
	v_lshlrev_b64_e32 v[182:183], v182, v[7:8]
	v_sub_nc_u32_e32 v183, 29, v42
	s_delay_alu instid0(VALU_DEP_2)
	v_and_b32_e32 v182, 7, v182
; %bb.648:                              ;   in Loop: Header=BB286_16 Depth=1
	s_wait_alu 0xfffe
	s_or_b32 exec_lo, exec_lo, s23
	v_lshlrev_b32_e32 v7, 8, v7
	v_lshl_add_u32 v183, v183, 10, 0x2000
	v_lshlrev_b32_e32 v182, 7, v182
	s_delay_alu instid0(VALU_DEP_3) | instskip(NEXT) | instid1(VALU_DEP_3)
	v_and_b32_e32 v7, 0x8000, v7
	v_and_b32_e32 v183, 0xfc00, v183
	s_delay_alu instid0(VALU_DEP_1)
	v_or3_b32 v93, v7, v183, v182
.LBB286_649:                            ;   in Loop: Header=BB286_16 Depth=1
	s_wait_alu 0xfffe
	s_or_b32 exec_lo, exec_lo, s22
.LBB286_650:                            ;   in Loop: Header=BB286_16 Depth=1
	s_wait_alu 0xfffe
	s_or_b32 exec_lo, exec_lo, s21
.LBB286_651:                            ;   in Loop: Header=BB286_16 Depth=1
	s_wait_alu 0xfffe
	s_or_b32 exec_lo, exec_lo, s20
	v_dual_mov_b32 v182, 0 :: v_dual_mov_b32 v95, 0
	s_mov_b32 s20, exec_lo
	v_cmpx_lt_u64_e64 s[10:11], v[31:32]
	s_cbranch_execz .LBB286_659
; %bb.652:                              ;   in Loop: Header=BB286_16 Depth=1
	v_lshrrev_b32_e32 v7, 24, v32
	v_bfrev_b32_e32 v95, 1
	s_mov_b32 s21, exec_lo
	s_delay_alu instid0(VALU_DEP_2)
	v_cmpx_ne_u32_e32 0x80, v7
	s_cbranch_execz .LBB286_658
; %bb.653:                              ;   in Loop: Header=BB286_16 Depth=1
	v_and_b32_e32 v183, 0x7f, v7
	v_mov_b32_e32 v95, 0x7c010000
	s_mov_b32 s22, exec_lo
	s_delay_alu instid0(VALU_DEP_2)
	v_cmpx_ne_u32_e32 0x7f, v183
	s_cbranch_execz .LBB286_657
; %bb.654:                              ;   in Loop: Header=BB286_16 Depth=1
	v_and_b32_e32 v31, 7, v7
	v_lshrrev_b32_e32 v32, 3, v183
	s_mov_b32 s23, exec_lo
	v_cmpx_gt_u32_e32 8, v183
; %bb.655:                              ;   in Loop: Header=BB286_16 Depth=1
	s_delay_alu instid0(VALU_DEP_3) | instskip(NEXT) | instid1(VALU_DEP_1)
	v_clz_i32_u32_e32 v31, v31
	v_min_u32_e32 v183, 32, v31
	s_delay_alu instid0(VALU_DEP_1) | instskip(NEXT) | instid1(VALU_DEP_1)
	v_subrev_nc_u32_e32 v31, 28, v183
	v_lshlrev_b64_e32 v[31:32], v31, v[7:8]
	v_sub_nc_u32_e32 v32, 29, v183
	s_delay_alu instid0(VALU_DEP_2)
	v_and_b32_e32 v31, 7, v31
; %bb.656:                              ;   in Loop: Header=BB286_16 Depth=1
	s_wait_alu 0xfffe
	s_or_b32 exec_lo, exec_lo, s23
	v_lshlrev_b32_e32 v7, 8, v7
	v_lshl_add_u32 v32, v32, 10, 0x2000
	v_lshlrev_b32_e32 v31, 23, v31
	s_delay_alu instid0(VALU_DEP_2) | instskip(NEXT) | instid1(VALU_DEP_1)
	v_and_or_b32 v7, 0x8000, v7, v32
	v_lshl_or_b32 v95, v7, 16, v31
.LBB286_657:                            ;   in Loop: Header=BB286_16 Depth=1
	s_wait_alu 0xfffe
	s_or_b32 exec_lo, exec_lo, s22
.LBB286_658:                            ;   in Loop: Header=BB286_16 Depth=1
	s_wait_alu 0xfffe
	s_or_b32 exec_lo, exec_lo, s21
.LBB286_659:                            ;   in Loop: Header=BB286_16 Depth=1
	s_wait_alu 0xfffe
	s_or_b32 exec_lo, exec_lo, s20
	flat_load_b64 v[31:32], v[28:29] offset:2560
	s_mov_b32 s20, exec_lo
	s_wait_loadcnt_dscnt 0x0
	v_and_b32_e32 v7, 0xff, v31
	s_delay_alu instid0(VALU_DEP_1)
	v_cmpx_ne_u16_e32 0, v7
	s_cbranch_execz .LBB286_667
; %bb.660:                              ;   in Loop: Header=BB286_16 Depth=1
	v_mov_b32_e32 v182, 0x8000
	s_mov_b32 s21, exec_lo
	v_cmpx_ne_u16_e32 0x80, v7
	s_cbranch_execz .LBB286_666
; %bb.661:                              ;   in Loop: Header=BB286_16 Depth=1
	v_and_b32_e32 v183, 0x7f, v31
	v_mov_b32_e32 v182, 0x7c01
	s_mov_b32 s22, exec_lo
	s_delay_alu instid0(VALU_DEP_2)
	v_cmpx_ne_u32_e32 0x7f, v183
	s_cbranch_execz .LBB286_665
; %bb.662:                              ;   in Loop: Header=BB286_16 Depth=1
	v_and_b32_e32 v7, 7, v31
	v_lshrrev_b32_e32 v182, 3, v183
	s_mov_b32 s23, exec_lo
	v_cmpx_gt_u32_e32 8, v183
; %bb.663:                              ;   in Loop: Header=BB286_16 Depth=1
	s_delay_alu instid0(VALU_DEP_3) | instskip(NEXT) | instid1(VALU_DEP_1)
	v_clz_i32_u32_e32 v7, v7
	v_min_u32_e32 v7, 32, v7
	s_delay_alu instid0(VALU_DEP_1) | instskip(NEXT) | instid1(VALU_DEP_1)
	v_subrev_nc_u32_e32 v182, 28, v7
	v_lshlrev_b64_e32 v[42:43], v182, v[31:32]
	v_sub_nc_u32_e32 v182, 29, v7
	s_delay_alu instid0(VALU_DEP_2)
	v_and_b32_e32 v7, 7, v42
; %bb.664:                              ;   in Loop: Header=BB286_16 Depth=1
	s_wait_alu 0xfffe
	s_or_b32 exec_lo, exec_lo, s23
	v_lshlrev_b32_e32 v183, 8, v31
	v_lshl_add_u32 v182, v182, 10, 0x2000
	v_lshlrev_b32_e32 v7, 7, v7
	s_delay_alu instid0(VALU_DEP_3) | instskip(NEXT) | instid1(VALU_DEP_3)
	v_and_b32_e32 v183, 0x8000, v183
	v_and_b32_e32 v182, 0xfc00, v182
	s_delay_alu instid0(VALU_DEP_1)
	v_or3_b32 v182, v183, v182, v7
.LBB286_665:                            ;   in Loop: Header=BB286_16 Depth=1
	s_wait_alu 0xfffe
	s_or_b32 exec_lo, exec_lo, s22
.LBB286_666:                            ;   in Loop: Header=BB286_16 Depth=1
	s_wait_alu 0xfffe
	s_or_b32 exec_lo, exec_lo, s21
.LBB286_667:                            ;   in Loop: Header=BB286_16 Depth=1
	s_wait_alu 0xfffe
	s_or_b32 exec_lo, exec_lo, s20
	v_lshrrev_b16 v7, 8, v31
	v_dual_mov_b32 v42, 0 :: v_dual_mov_b32 v183, 0
	s_mov_b32 s20, exec_lo
	s_delay_alu instid0(VALU_DEP_2)
	v_cmpx_ne_u16_e32 0, v7
	s_cbranch_execz .LBB286_675
; %bb.668:                              ;   in Loop: Header=BB286_16 Depth=1
	v_bfrev_b32_e32 v183, 1
	s_mov_b32 s21, exec_lo
	v_cmpx_ne_u16_e32 0x80, v7
	s_cbranch_execz .LBB286_674
; %bb.669:                              ;   in Loop: Header=BB286_16 Depth=1
	v_and_b32_e32 v43, 0xffff, v7
	v_mov_b32_e32 v183, 0x7c010000
	s_mov_b32 s22, exec_lo
	s_delay_alu instid0(VALU_DEP_2) | instskip(NEXT) | instid1(VALU_DEP_1)
	v_and_b32_e32 v45, 0x7f, v43
	v_cmpx_ne_u32_e32 0x7f, v45
	s_cbranch_execz .LBB286_673
; %bb.670:                              ;   in Loop: Header=BB286_16 Depth=1
	v_and_b32_e32 v183, 7, v43
	v_lshrrev_b32_e32 v44, 3, v45
	s_mov_b32 s23, exec_lo
	v_cmpx_gt_u32_e32 8, v45
; %bb.671:                              ;   in Loop: Header=BB286_16 Depth=1
	s_delay_alu instid0(VALU_DEP_3) | instskip(NEXT) | instid1(VALU_DEP_1)
	v_clz_i32_u32_e32 v183, v183
	v_min_u32_e32 v183, 32, v183
	s_delay_alu instid0(VALU_DEP_1) | instskip(NEXT) | instid1(VALU_DEP_1)
	v_subrev_nc_u32_e32 v44, 28, v183
	v_lshlrev_b64_e32 v[73:74], v44, v[7:8]
	v_sub_nc_u32_e32 v44, 29, v183
	s_delay_alu instid0(VALU_DEP_2)
	v_and_b32_e32 v183, 7, v73
; %bb.672:                              ;   in Loop: Header=BB286_16 Depth=1
	s_wait_alu 0xfffe
	s_or_b32 exec_lo, exec_lo, s23
	v_lshlrev_b32_e32 v7, 8, v43
	v_lshl_add_u32 v43, v44, 10, 0x2000
	v_lshlrev_b32_e32 v183, 23, v183
	s_delay_alu instid0(VALU_DEP_2) | instskip(NEXT) | instid1(VALU_DEP_1)
	v_and_or_b32 v7, 0x8000, v7, v43
	v_lshl_or_b32 v183, v7, 16, v183
.LBB286_673:                            ;   in Loop: Header=BB286_16 Depth=1
	s_wait_alu 0xfffe
	s_or_b32 exec_lo, exec_lo, s22
.LBB286_674:                            ;   in Loop: Header=BB286_16 Depth=1
	s_wait_alu 0xfffe
	s_or_b32 exec_lo, exec_lo, s21
.LBB286_675:                            ;   in Loop: Header=BB286_16 Depth=1
	s_wait_alu 0xfffe
	s_or_b32 exec_lo, exec_lo, s20
	v_lshrrev_b32_e32 v7, 16, v31
	s_mov_b32 s20, exec_lo
	s_delay_alu instid0(VALU_DEP_1) | instskip(NEXT) | instid1(VALU_DEP_1)
	v_and_b32_e32 v43, 0xff, v7
	v_cmpx_ne_u16_e32 0, v43
	s_cbranch_execz .LBB286_683
; %bb.676:                              ;   in Loop: Header=BB286_16 Depth=1
	v_mov_b32_e32 v42, 0x8000
	s_mov_b32 s21, exec_lo
	v_cmpx_ne_u16_e32 0x80, v43
	s_cbranch_execz .LBB286_682
; %bb.677:                              ;   in Loop: Header=BB286_16 Depth=1
	v_bfe_u32 v44, v31, 16, 7
	v_mov_b32_e32 v42, 0x7c01
	s_mov_b32 s22, exec_lo
	s_delay_alu instid0(VALU_DEP_2)
	v_cmpx_ne_u32_e32 0x7f, v44
	s_cbranch_execz .LBB286_681
; %bb.678:                              ;   in Loop: Header=BB286_16 Depth=1
	v_and_b32_e32 v42, 7, v7
	v_lshrrev_b32_e32 v43, 3, v44
	s_mov_b32 s23, exec_lo
	v_cmpx_gt_u32_e32 8, v44
; %bb.679:                              ;   in Loop: Header=BB286_16 Depth=1
	s_delay_alu instid0(VALU_DEP_3) | instskip(NEXT) | instid1(VALU_DEP_1)
	v_clz_i32_u32_e32 v42, v42
	v_min_u32_e32 v44, 32, v42
	s_delay_alu instid0(VALU_DEP_1) | instskip(NEXT) | instid1(VALU_DEP_1)
	v_subrev_nc_u32_e32 v42, 28, v44
	v_lshlrev_b64_e32 v[42:43], v42, v[7:8]
	v_sub_nc_u32_e32 v43, 29, v44
	s_delay_alu instid0(VALU_DEP_2)
	v_and_b32_e32 v42, 7, v42
; %bb.680:                              ;   in Loop: Header=BB286_16 Depth=1
	s_wait_alu 0xfffe
	s_or_b32 exec_lo, exec_lo, s23
	v_lshlrev_b32_e32 v7, 8, v7
	v_lshl_add_u32 v43, v43, 10, 0x2000
	v_lshlrev_b32_e32 v42, 7, v42
	s_delay_alu instid0(VALU_DEP_3) | instskip(NEXT) | instid1(VALU_DEP_3)
	v_and_b32_e32 v7, 0x8000, v7
	v_and_b32_e32 v43, 0xfc00, v43
	s_delay_alu instid0(VALU_DEP_1)
	v_or3_b32 v42, v7, v43, v42
.LBB286_681:                            ;   in Loop: Header=BB286_16 Depth=1
	s_wait_alu 0xfffe
	s_or_b32 exec_lo, exec_lo, s22
.LBB286_682:                            ;   in Loop: Header=BB286_16 Depth=1
	s_wait_alu 0xfffe
	s_or_b32 exec_lo, exec_lo, s21
.LBB286_683:                            ;   in Loop: Header=BB286_16 Depth=1
	s_wait_alu 0xfffe
	s_or_b32 exec_lo, exec_lo, s20
	v_dual_mov_b32 v43, 0 :: v_dual_mov_b32 v44, 0
	s_mov_b32 s20, exec_lo
	v_cmpx_lt_u32_e32 0xffffff, v31
	s_cbranch_execz .LBB286_691
; %bb.684:                              ;   in Loop: Header=BB286_16 Depth=1
	v_lshrrev_b32_e32 v7, 24, v31
	v_bfrev_b32_e32 v44, 1
	s_mov_b32 s21, exec_lo
	s_delay_alu instid0(VALU_DEP_2)
	v_cmpx_ne_u32_e32 0x80, v7
	s_cbranch_execz .LBB286_690
; %bb.685:                              ;   in Loop: Header=BB286_16 Depth=1
	v_and_b32_e32 v47, 0x7f, v7
	v_mov_b32_e32 v44, 0x7c010000
	s_mov_b32 s22, exec_lo
	s_delay_alu instid0(VALU_DEP_2)
	v_cmpx_ne_u32_e32 0x7f, v47
	s_cbranch_execz .LBB286_689
; %bb.686:                              ;   in Loop: Header=BB286_16 Depth=1
	v_and_b32_e32 v44, 7, v7
	v_lshrrev_b32_e32 v45, 3, v47
	s_mov_b32 s23, exec_lo
	v_cmpx_gt_u32_e32 8, v47
; %bb.687:                              ;   in Loop: Header=BB286_16 Depth=1
	s_delay_alu instid0(VALU_DEP_3) | instskip(NEXT) | instid1(VALU_DEP_1)
	v_clz_i32_u32_e32 v44, v44
	v_min_u32_e32 v47, 32, v44
	s_delay_alu instid0(VALU_DEP_1) | instskip(NEXT) | instid1(VALU_DEP_1)
	v_subrev_nc_u32_e32 v44, 28, v47
	v_lshlrev_b64_e32 v[44:45], v44, v[7:8]
	v_sub_nc_u32_e32 v45, 29, v47
	s_delay_alu instid0(VALU_DEP_2)
	v_and_b32_e32 v44, 7, v44
; %bb.688:                              ;   in Loop: Header=BB286_16 Depth=1
	s_wait_alu 0xfffe
	s_or_b32 exec_lo, exec_lo, s23
	v_lshlrev_b32_e32 v7, 8, v7
	v_lshl_add_u32 v45, v45, 10, 0x2000
	v_lshlrev_b32_e32 v44, 23, v44
	s_delay_alu instid0(VALU_DEP_2) | instskip(NEXT) | instid1(VALU_DEP_1)
	v_and_or_b32 v7, 0x8000, v7, v45
	v_lshl_or_b32 v44, v7, 16, v44
.LBB286_689:                            ;   in Loop: Header=BB286_16 Depth=1
	s_wait_alu 0xfffe
	s_or_b32 exec_lo, exec_lo, s22
.LBB286_690:                            ;   in Loop: Header=BB286_16 Depth=1
	s_wait_alu 0xfffe
	s_or_b32 exec_lo, exec_lo, s21
.LBB286_691:                            ;   in Loop: Header=BB286_16 Depth=1
	s_wait_alu 0xfffe
	s_or_b32 exec_lo, exec_lo, s20
	v_and_b32_e32 v45, 0xff, v32
	v_mov_b32_e32 v7, v32
	s_mov_b32 s20, exec_lo
	s_delay_alu instid0(VALU_DEP_2)
	v_cmpx_ne_u16_e32 0, v45
	s_cbranch_execz .LBB286_699
; %bb.692:                              ;   in Loop: Header=BB286_16 Depth=1
	v_mov_b32_e32 v43, 0x8000
	s_mov_b32 s21, exec_lo
	v_cmpx_ne_u16_e32 0x80, v45
	s_cbranch_execz .LBB286_698
; %bb.693:                              ;   in Loop: Header=BB286_16 Depth=1
	v_and_b32_e32 v47, 0x7f, v32
	v_mov_b32_e32 v43, 0x7c01
	s_mov_b32 s22, exec_lo
	s_delay_alu instid0(VALU_DEP_2)
	v_cmpx_ne_u32_e32 0x7f, v47
	s_cbranch_execz .LBB286_697
; %bb.694:                              ;   in Loop: Header=BB286_16 Depth=1
	v_and_b32_e32 v43, 7, v32
	v_lshrrev_b32_e32 v45, 3, v47
	s_mov_b32 s23, exec_lo
	v_cmpx_gt_u32_e32 8, v47
; %bb.695:                              ;   in Loop: Header=BB286_16 Depth=1
	s_delay_alu instid0(VALU_DEP_3) | instskip(NEXT) | instid1(VALU_DEP_1)
	v_clz_i32_u32_e32 v43, v43
	v_min_u32_e32 v43, 32, v43
	s_delay_alu instid0(VALU_DEP_1) | instskip(NEXT) | instid1(VALU_DEP_1)
	v_subrev_nc_u32_e32 v45, 28, v43
	v_lshlrev_b64_e32 v[73:74], v45, v[7:8]
	v_sub_nc_u32_e32 v45, 29, v43
	s_delay_alu instid0(VALU_DEP_2)
	v_and_b32_e32 v43, 7, v73
; %bb.696:                              ;   in Loop: Header=BB286_16 Depth=1
	s_wait_alu 0xfffe
	s_or_b32 exec_lo, exec_lo, s23
	v_lshlrev_b32_e32 v47, 8, v32
	v_lshl_add_u32 v45, v45, 10, 0x2000
	v_lshlrev_b32_e32 v43, 7, v43
	s_delay_alu instid0(VALU_DEP_3) | instskip(NEXT) | instid1(VALU_DEP_3)
	v_and_b32_e32 v47, 0x8000, v47
	v_and_b32_e32 v45, 0xfc00, v45
	s_delay_alu instid0(VALU_DEP_1)
	v_or3_b32 v43, v47, v45, v43
.LBB286_697:                            ;   in Loop: Header=BB286_16 Depth=1
	s_wait_alu 0xfffe
	s_or_b32 exec_lo, exec_lo, s22
.LBB286_698:                            ;   in Loop: Header=BB286_16 Depth=1
	s_wait_alu 0xfffe
	s_or_b32 exec_lo, exec_lo, s21
.LBB286_699:                            ;   in Loop: Header=BB286_16 Depth=1
	s_wait_alu 0xfffe
	s_or_b32 exec_lo, exec_lo, s20
	v_lshrrev_b16 v7, 8, v7
	v_dual_mov_b32 v73, 0 :: v_dual_mov_b32 v74, 0
	s_mov_b32 s20, exec_lo
	s_delay_alu instid0(VALU_DEP_2)
	v_cmpx_ne_u16_e32 0, v7
	s_cbranch_execz .LBB286_707
; %bb.700:                              ;   in Loop: Header=BB286_16 Depth=1
	v_bfrev_b32_e32 v74, 1
	s_mov_b32 s21, exec_lo
	v_cmpx_ne_u16_e32 0x80, v7
	s_cbranch_execz .LBB286_706
; %bb.701:                              ;   in Loop: Header=BB286_16 Depth=1
	v_and_b32_e32 v45, 0xffff, v7
	v_mov_b32_e32 v74, 0x7c010000
	s_mov_b32 s22, exec_lo
	s_delay_alu instid0(VALU_DEP_2) | instskip(NEXT) | instid1(VALU_DEP_1)
	v_and_b32_e32 v75, 0x7f, v45
	v_cmpx_ne_u32_e32 0x7f, v75
	s_cbranch_execz .LBB286_705
; %bb.702:                              ;   in Loop: Header=BB286_16 Depth=1
	v_and_b32_e32 v47, 7, v45
	v_lshrrev_b32_e32 v56, 3, v75
	s_mov_b32 s23, exec_lo
	v_cmpx_gt_u32_e32 8, v75
; %bb.703:                              ;   in Loop: Header=BB286_16 Depth=1
	s_delay_alu instid0(VALU_DEP_3) | instskip(NEXT) | instid1(VALU_DEP_1)
	v_clz_i32_u32_e32 v47, v47
	v_min_u32_e32 v47, 32, v47
	s_delay_alu instid0(VALU_DEP_1) | instskip(NEXT) | instid1(VALU_DEP_1)
	v_subrev_nc_u32_e32 v56, 28, v47
	v_lshlrev_b64_e32 v[74:75], v56, v[7:8]
	v_sub_nc_u32_e32 v56, 29, v47
	s_delay_alu instid0(VALU_DEP_2)
	v_and_b32_e32 v47, 7, v74
; %bb.704:                              ;   in Loop: Header=BB286_16 Depth=1
	s_wait_alu 0xfffe
	s_or_b32 exec_lo, exec_lo, s23
	v_lshlrev_b32_e32 v7, 8, v45
	v_lshl_add_u32 v45, v56, 10, 0x2000
	s_delay_alu instid0(VALU_DEP_1) | instskip(SKIP_1) | instid1(VALU_DEP_1)
	v_and_or_b32 v7, 0x8000, v7, v45
	v_lshlrev_b32_e32 v45, 23, v47
	v_lshl_or_b32 v74, v7, 16, v45
.LBB286_705:                            ;   in Loop: Header=BB286_16 Depth=1
	s_wait_alu 0xfffe
	s_or_b32 exec_lo, exec_lo, s22
.LBB286_706:                            ;   in Loop: Header=BB286_16 Depth=1
	s_wait_alu 0xfffe
	s_or_b32 exec_lo, exec_lo, s21
.LBB286_707:                            ;   in Loop: Header=BB286_16 Depth=1
	s_wait_alu 0xfffe
	s_or_b32 exec_lo, exec_lo, s20
	v_lshrrev_b32_e32 v7, 16, v32
	s_mov_b32 s20, exec_lo
	s_delay_alu instid0(VALU_DEP_1) | instskip(NEXT) | instid1(VALU_DEP_1)
	v_and_b32_e32 v45, 0xff, v7
	v_cmpx_ne_u16_e32 0, v45
	s_cbranch_execz .LBB286_715
; %bb.708:                              ;   in Loop: Header=BB286_16 Depth=1
	v_mov_b32_e32 v73, 0x8000
	s_mov_b32 s21, exec_lo
	v_cmpx_ne_u16_e32 0x80, v45
	s_cbranch_execz .LBB286_714
; %bb.709:                              ;   in Loop: Header=BB286_16 Depth=1
	v_bfe_u32 v56, v32, 16, 7
	v_mov_b32_e32 v73, 0x7c01
	s_mov_b32 s22, exec_lo
	s_delay_alu instid0(VALU_DEP_2)
	v_cmpx_ne_u32_e32 0x7f, v56
	s_cbranch_execz .LBB286_713
; %bb.710:                              ;   in Loop: Header=BB286_16 Depth=1
	v_and_b32_e32 v45, 7, v7
	v_lshrrev_b32_e32 v47, 3, v56
	s_mov_b32 s23, exec_lo
	v_cmpx_gt_u32_e32 8, v56
; %bb.711:                              ;   in Loop: Header=BB286_16 Depth=1
	s_delay_alu instid0(VALU_DEP_3) | instskip(NEXT) | instid1(VALU_DEP_1)
	v_clz_i32_u32_e32 v45, v45
	v_min_u32_e32 v45, 32, v45
	s_delay_alu instid0(VALU_DEP_1) | instskip(NEXT) | instid1(VALU_DEP_1)
	v_subrev_nc_u32_e32 v47, 28, v45
	v_lshlrev_b64_e32 v[108:109], v47, v[7:8]
	v_sub_nc_u32_e32 v47, 29, v45
	s_delay_alu instid0(VALU_DEP_2)
	v_and_b32_e32 v45, 7, v108
; %bb.712:                              ;   in Loop: Header=BB286_16 Depth=1
	s_wait_alu 0xfffe
	s_or_b32 exec_lo, exec_lo, s23
	v_lshlrev_b32_e32 v7, 8, v7
	v_lshl_add_u32 v47, v47, 10, 0x2000
	v_lshlrev_b32_e32 v45, 7, v45
	s_delay_alu instid0(VALU_DEP_3) | instskip(NEXT) | instid1(VALU_DEP_3)
	v_and_b32_e32 v7, 0x8000, v7
	v_and_b32_e32 v47, 0xfc00, v47
	s_delay_alu instid0(VALU_DEP_1)
	v_or3_b32 v73, v7, v47, v45
.LBB286_713:                            ;   in Loop: Header=BB286_16 Depth=1
	s_wait_alu 0xfffe
	s_or_b32 exec_lo, exec_lo, s22
.LBB286_714:                            ;   in Loop: Header=BB286_16 Depth=1
	s_wait_alu 0xfffe
	s_or_b32 exec_lo, exec_lo, s21
.LBB286_715:                            ;   in Loop: Header=BB286_16 Depth=1
	s_wait_alu 0xfffe
	s_or_b32 exec_lo, exec_lo, s20
	v_cmp_lt_u64_e64 s1, s[10:11], v[31:32]
	v_mov_b32_e32 v31, 0
	v_mov_b32_e32 v75, 0
	s_and_saveexec_b32 s20, s1
	s_cbranch_execz .LBB286_723
; %bb.716:                              ;   in Loop: Header=BB286_16 Depth=1
	v_lshrrev_b32_e32 v7, 24, v32
	v_bfrev_b32_e32 v75, 1
	s_mov_b32 s21, exec_lo
	s_delay_alu instid0(VALU_DEP_2)
	v_cmpx_ne_u32_e32 0x80, v7
	s_cbranch_execz .LBB286_722
; %bb.717:                              ;   in Loop: Header=BB286_16 Depth=1
	v_and_b32_e32 v47, 0x7f, v7
	v_mov_b32_e32 v75, 0x7c010000
	s_mov_b32 s22, exec_lo
	s_delay_alu instid0(VALU_DEP_2)
	v_cmpx_ne_u32_e32 0x7f, v47
	s_cbranch_execz .LBB286_721
; %bb.718:                              ;   in Loop: Header=BB286_16 Depth=1
	v_and_b32_e32 v32, 7, v7
	v_lshrrev_b32_e32 v45, 3, v47
	s_mov_b32 s23, exec_lo
	v_cmpx_gt_u32_e32 8, v47
; %bb.719:                              ;   in Loop: Header=BB286_16 Depth=1
	s_delay_alu instid0(VALU_DEP_3) | instskip(NEXT) | instid1(VALU_DEP_1)
	v_clz_i32_u32_e32 v32, v32
	v_min_u32_e32 v32, 32, v32
	s_delay_alu instid0(VALU_DEP_1) | instskip(NEXT) | instid1(VALU_DEP_1)
	v_subrev_nc_u32_e32 v45, 28, v32
	v_lshlrev_b64_e32 v[108:109], v45, v[7:8]
	v_sub_nc_u32_e32 v45, 29, v32
	s_delay_alu instid0(VALU_DEP_2)
	v_and_b32_e32 v32, 7, v108
; %bb.720:                              ;   in Loop: Header=BB286_16 Depth=1
	s_wait_alu 0xfffe
	s_or_b32 exec_lo, exec_lo, s23
	v_lshlrev_b32_e32 v7, 8, v7
	v_lshl_add_u32 v45, v45, 10, 0x2000
	v_lshlrev_b32_e32 v32, 23, v32
	s_delay_alu instid0(VALU_DEP_2) | instskip(NEXT) | instid1(VALU_DEP_1)
	v_and_or_b32 v7, 0x8000, v7, v45
	v_lshl_or_b32 v75, v7, 16, v32
.LBB286_721:                            ;   in Loop: Header=BB286_16 Depth=1
	s_wait_alu 0xfffe
	s_or_b32 exec_lo, exec_lo, s22
.LBB286_722:                            ;   in Loop: Header=BB286_16 Depth=1
	s_wait_alu 0xfffe
	s_or_b32 exec_lo, exec_lo, s21
.LBB286_723:                            ;   in Loop: Header=BB286_16 Depth=1
	s_wait_alu 0xfffe
	s_or_b32 exec_lo, exec_lo, s20
	flat_load_b64 v[28:29], v[28:29] offset:2568
	s_mov_b32 s20, exec_lo
	s_wait_loadcnt_dscnt 0x0
	v_and_b32_e32 v7, 0xff, v28
	s_delay_alu instid0(VALU_DEP_1)
	v_cmpx_ne_u16_e32 0, v7
	s_cbranch_execz .LBB286_731
; %bb.724:                              ;   in Loop: Header=BB286_16 Depth=1
	v_mov_b32_e32 v31, 0x8000
	s_mov_b32 s21, exec_lo
	v_cmpx_ne_u16_e32 0x80, v7
	s_cbranch_execz .LBB286_730
; %bb.725:                              ;   in Loop: Header=BB286_16 Depth=1
	v_and_b32_e32 v32, 0x7f, v28
	v_mov_b32_e32 v31, 0x7c01
	s_mov_b32 s22, exec_lo
	s_delay_alu instid0(VALU_DEP_2)
	v_cmpx_ne_u32_e32 0x7f, v32
	s_cbranch_execz .LBB286_729
; %bb.726:                              ;   in Loop: Header=BB286_16 Depth=1
	v_and_b32_e32 v7, 7, v28
	v_lshrrev_b32_e32 v31, 3, v32
	s_mov_b32 s23, exec_lo
	v_cmpx_gt_u32_e32 8, v32
; %bb.727:                              ;   in Loop: Header=BB286_16 Depth=1
	s_delay_alu instid0(VALU_DEP_3) | instskip(NEXT) | instid1(VALU_DEP_1)
	v_clz_i32_u32_e32 v7, v7
	v_min_u32_e32 v7, 32, v7
	s_delay_alu instid0(VALU_DEP_1) | instskip(NEXT) | instid1(VALU_DEP_1)
	v_subrev_nc_u32_e32 v31, 28, v7
	v_lshlrev_b64_e32 v[108:109], v31, v[28:29]
	v_sub_nc_u32_e32 v31, 29, v7
	s_delay_alu instid0(VALU_DEP_2)
	v_and_b32_e32 v7, 7, v108
; %bb.728:                              ;   in Loop: Header=BB286_16 Depth=1
	s_wait_alu 0xfffe
	s_or_b32 exec_lo, exec_lo, s23
	v_lshlrev_b32_e32 v32, 8, v28
	v_lshl_add_u32 v31, v31, 10, 0x2000
	v_lshlrev_b32_e32 v7, 7, v7
	s_delay_alu instid0(VALU_DEP_3) | instskip(NEXT) | instid1(VALU_DEP_3)
	v_and_b32_e32 v32, 0x8000, v32
	v_and_b32_e32 v31, 0xfc00, v31
	s_delay_alu instid0(VALU_DEP_1)
	v_or3_b32 v31, v32, v31, v7
.LBB286_729:                            ;   in Loop: Header=BB286_16 Depth=1
	s_wait_alu 0xfffe
	s_or_b32 exec_lo, exec_lo, s22
.LBB286_730:                            ;   in Loop: Header=BB286_16 Depth=1
	s_wait_alu 0xfffe
	s_or_b32 exec_lo, exec_lo, s21
.LBB286_731:                            ;   in Loop: Header=BB286_16 Depth=1
	s_wait_alu 0xfffe
	s_or_b32 exec_lo, exec_lo, s20
	v_lshrrev_b16 v7, 8, v28
	v_mov_b32_e32 v108, 0
	v_mov_b32_e32 v32, 0
	s_mov_b32 s20, exec_lo
	s_delay_alu instid0(VALU_DEP_3)
	v_cmpx_ne_u16_e32 0, v7
	s_cbranch_execz .LBB286_739
; %bb.732:                              ;   in Loop: Header=BB286_16 Depth=1
	v_bfrev_b32_e32 v32, 1
	s_mov_b32 s21, exec_lo
	v_cmpx_ne_u16_e32 0x80, v7
	s_cbranch_execz .LBB286_738
; %bb.733:                              ;   in Loop: Header=BB286_16 Depth=1
	v_and_b32_e32 v45, 0xffff, v7
	v_mov_b32_e32 v32, 0x7c010000
	s_mov_b32 s22, exec_lo
	s_delay_alu instid0(VALU_DEP_2) | instskip(NEXT) | instid1(VALU_DEP_1)
	v_and_b32_e32 v56, 0x7f, v45
	v_cmpx_ne_u32_e32 0x7f, v56
	s_cbranch_execz .LBB286_737
; %bb.734:                              ;   in Loop: Header=BB286_16 Depth=1
	v_and_b32_e32 v32, 7, v45
	v_lshrrev_b32_e32 v47, 3, v56
	s_mov_b32 s23, exec_lo
	v_cmpx_gt_u32_e32 8, v56
; %bb.735:                              ;   in Loop: Header=BB286_16 Depth=1
	s_delay_alu instid0(VALU_DEP_3) | instskip(NEXT) | instid1(VALU_DEP_1)
	v_clz_i32_u32_e32 v32, v32
	v_min_u32_e32 v32, 32, v32
	s_delay_alu instid0(VALU_DEP_1) | instskip(NEXT) | instid1(VALU_DEP_1)
	v_subrev_nc_u32_e32 v47, 28, v32
	v_lshlrev_b64_e32 v[109:110], v47, v[7:8]
	v_sub_nc_u32_e32 v47, 29, v32
	s_delay_alu instid0(VALU_DEP_2)
	v_and_b32_e32 v32, 7, v109
; %bb.736:                              ;   in Loop: Header=BB286_16 Depth=1
	s_wait_alu 0xfffe
	s_or_b32 exec_lo, exec_lo, s23
	v_lshlrev_b32_e32 v7, 8, v45
	v_lshl_add_u32 v45, v47, 10, 0x2000
	v_lshlrev_b32_e32 v32, 23, v32
	s_delay_alu instid0(VALU_DEP_2) | instskip(NEXT) | instid1(VALU_DEP_1)
	v_and_or_b32 v7, 0x8000, v7, v45
	v_lshl_or_b32 v32, v7, 16, v32
.LBB286_737:                            ;   in Loop: Header=BB286_16 Depth=1
	s_wait_alu 0xfffe
	s_or_b32 exec_lo, exec_lo, s22
.LBB286_738:                            ;   in Loop: Header=BB286_16 Depth=1
	s_wait_alu 0xfffe
	s_or_b32 exec_lo, exec_lo, s21
.LBB286_739:                            ;   in Loop: Header=BB286_16 Depth=1
	s_wait_alu 0xfffe
	s_or_b32 exec_lo, exec_lo, s20
	v_lshrrev_b32_e32 v7, 16, v28
	s_mov_b32 s20, exec_lo
	s_delay_alu instid0(VALU_DEP_1) | instskip(NEXT) | instid1(VALU_DEP_1)
	v_and_b32_e32 v45, 0xff, v7
	v_cmpx_ne_u16_e32 0, v45
	s_cbranch_execz .LBB286_747
; %bb.740:                              ;   in Loop: Header=BB286_16 Depth=1
	v_mov_b32_e32 v108, 0x8000
	s_mov_b32 s21, exec_lo
	v_cmpx_ne_u16_e32 0x80, v45
	s_cbranch_execz .LBB286_746
; %bb.741:                              ;   in Loop: Header=BB286_16 Depth=1
	v_bfe_u32 v56, v28, 16, 7
	v_mov_b32_e32 v108, 0x7c01
	s_mov_b32 s22, exec_lo
	s_delay_alu instid0(VALU_DEP_2)
	v_cmpx_ne_u32_e32 0x7f, v56
	s_cbranch_execz .LBB286_745
; %bb.742:                              ;   in Loop: Header=BB286_16 Depth=1
	v_and_b32_e32 v45, 7, v7
	v_lshrrev_b32_e32 v47, 3, v56
	s_mov_b32 s23, exec_lo
	v_cmpx_gt_u32_e32 8, v56
; %bb.743:                              ;   in Loop: Header=BB286_16 Depth=1
	s_delay_alu instid0(VALU_DEP_3) | instskip(NEXT) | instid1(VALU_DEP_1)
	v_clz_i32_u32_e32 v45, v45
	v_min_u32_e32 v45, 32, v45
	s_delay_alu instid0(VALU_DEP_1) | instskip(NEXT) | instid1(VALU_DEP_1)
	v_subrev_nc_u32_e32 v47, 28, v45
	v_lshlrev_b64_e32 v[108:109], v47, v[7:8]
	v_sub_nc_u32_e32 v47, 29, v45
	s_delay_alu instid0(VALU_DEP_2)
	v_and_b32_e32 v45, 7, v108
; %bb.744:                              ;   in Loop: Header=BB286_16 Depth=1
	s_wait_alu 0xfffe
	s_or_b32 exec_lo, exec_lo, s23
	v_lshlrev_b32_e32 v7, 8, v7
	v_lshl_add_u32 v47, v47, 10, 0x2000
	v_lshlrev_b32_e32 v45, 7, v45
	s_delay_alu instid0(VALU_DEP_3) | instskip(NEXT) | instid1(VALU_DEP_3)
	v_and_b32_e32 v7, 0x8000, v7
	v_and_b32_e32 v47, 0xfc00, v47
	s_delay_alu instid0(VALU_DEP_1)
	v_or3_b32 v108, v7, v47, v45
.LBB286_745:                            ;   in Loop: Header=BB286_16 Depth=1
	s_wait_alu 0xfffe
	s_or_b32 exec_lo, exec_lo, s22
.LBB286_746:                            ;   in Loop: Header=BB286_16 Depth=1
	s_wait_alu 0xfffe
	s_or_b32 exec_lo, exec_lo, s21
.LBB286_747:                            ;   in Loop: Header=BB286_16 Depth=1
	s_wait_alu 0xfffe
	s_or_b32 exec_lo, exec_lo, s20
	v_dual_mov_b32 v120, 0 :: v_dual_mov_b32 v121, 0
	s_mov_b32 s20, exec_lo
	v_cmpx_lt_u32_e32 0xffffff, v28
	s_cbranch_execz .LBB286_755
; %bb.748:                              ;   in Loop: Header=BB286_16 Depth=1
	v_lshrrev_b32_e32 v7, 24, v28
	v_bfrev_b32_e32 v121, 1
	s_mov_b32 s21, exec_lo
	s_delay_alu instid0(VALU_DEP_2)
	v_cmpx_ne_u32_e32 0x80, v7
	s_cbranch_execz .LBB286_754
; %bb.749:                              ;   in Loop: Header=BB286_16 Depth=1
	v_and_b32_e32 v56, 0x7f, v7
	v_mov_b32_e32 v121, 0x7c010000
	s_mov_b32 s22, exec_lo
	s_delay_alu instid0(VALU_DEP_2)
	v_cmpx_ne_u32_e32 0x7f, v56
	s_cbranch_execz .LBB286_753
; %bb.750:                              ;   in Loop: Header=BB286_16 Depth=1
	v_and_b32_e32 v45, 7, v7
	v_lshrrev_b32_e32 v47, 3, v56
	s_mov_b32 s23, exec_lo
	v_cmpx_gt_u32_e32 8, v56
; %bb.751:                              ;   in Loop: Header=BB286_16 Depth=1
	s_delay_alu instid0(VALU_DEP_3) | instskip(NEXT) | instid1(VALU_DEP_1)
	v_clz_i32_u32_e32 v45, v45
	v_min_u32_e32 v45, 32, v45
	s_delay_alu instid0(VALU_DEP_1) | instskip(NEXT) | instid1(VALU_DEP_1)
	v_subrev_nc_u32_e32 v47, 28, v45
	v_lshlrev_b64_e32 v[109:110], v47, v[7:8]
	v_sub_nc_u32_e32 v47, 29, v45
	s_delay_alu instid0(VALU_DEP_2)
	v_and_b32_e32 v45, 7, v109
; %bb.752:                              ;   in Loop: Header=BB286_16 Depth=1
	s_wait_alu 0xfffe
	s_or_b32 exec_lo, exec_lo, s23
	v_lshlrev_b32_e32 v7, 8, v7
	v_lshl_add_u32 v47, v47, 10, 0x2000
	v_lshlrev_b32_e32 v45, 23, v45
	s_delay_alu instid0(VALU_DEP_2) | instskip(NEXT) | instid1(VALU_DEP_1)
	v_and_or_b32 v7, 0x8000, v7, v47
	v_lshl_or_b32 v121, v7, 16, v45
.LBB286_753:                            ;   in Loop: Header=BB286_16 Depth=1
	s_wait_alu 0xfffe
	s_or_b32 exec_lo, exec_lo, s22
.LBB286_754:                            ;   in Loop: Header=BB286_16 Depth=1
	s_wait_alu 0xfffe
	s_or_b32 exec_lo, exec_lo, s21
.LBB286_755:                            ;   in Loop: Header=BB286_16 Depth=1
	s_wait_alu 0xfffe
	s_or_b32 exec_lo, exec_lo, s20
	v_and_b32_e32 v45, 0xff, v29
	v_mov_b32_e32 v7, v29
	s_mov_b32 s20, exec_lo
	s_delay_alu instid0(VALU_DEP_2)
	v_cmpx_ne_u16_e32 0, v45
	s_cbranch_execz .LBB286_763
; %bb.756:                              ;   in Loop: Header=BB286_16 Depth=1
	v_mov_b32_e32 v120, 0x8000
	s_mov_b32 s21, exec_lo
	v_cmpx_ne_u16_e32 0x80, v45
	s_cbranch_execz .LBB286_762
; %bb.757:                              ;   in Loop: Header=BB286_16 Depth=1
	v_and_b32_e32 v56, 0x7f, v29
	v_mov_b32_e32 v120, 0x7c01
	s_mov_b32 s22, exec_lo
	s_delay_alu instid0(VALU_DEP_2)
	v_cmpx_ne_u32_e32 0x7f, v56
	s_cbranch_execz .LBB286_761
; %bb.758:                              ;   in Loop: Header=BB286_16 Depth=1
	v_and_b32_e32 v45, 7, v29
	v_lshrrev_b32_e32 v47, 3, v56
	s_mov_b32 s23, exec_lo
	v_cmpx_gt_u32_e32 8, v56
; %bb.759:                              ;   in Loop: Header=BB286_16 Depth=1
	s_delay_alu instid0(VALU_DEP_3) | instskip(NEXT) | instid1(VALU_DEP_1)
	v_clz_i32_u32_e32 v45, v45
	v_min_u32_e32 v45, 32, v45
	s_delay_alu instid0(VALU_DEP_1) | instskip(NEXT) | instid1(VALU_DEP_1)
	v_subrev_nc_u32_e32 v47, 28, v45
	v_lshlrev_b64_e32 v[109:110], v47, v[7:8]
	v_sub_nc_u32_e32 v47, 29, v45
	s_delay_alu instid0(VALU_DEP_2)
	v_and_b32_e32 v45, 7, v109
; %bb.760:                              ;   in Loop: Header=BB286_16 Depth=1
	s_wait_alu 0xfffe
	s_or_b32 exec_lo, exec_lo, s23
	v_lshlrev_b32_e32 v56, 8, v29
	v_lshl_add_u32 v47, v47, 10, 0x2000
	v_lshlrev_b32_e32 v45, 7, v45
	s_delay_alu instid0(VALU_DEP_3) | instskip(NEXT) | instid1(VALU_DEP_3)
	v_and_b32_e32 v56, 0x8000, v56
	v_and_b32_e32 v47, 0xfc00, v47
	s_delay_alu instid0(VALU_DEP_1)
	v_or3_b32 v120, v56, v47, v45
.LBB286_761:                            ;   in Loop: Header=BB286_16 Depth=1
	s_wait_alu 0xfffe
	s_or_b32 exec_lo, exec_lo, s22
.LBB286_762:                            ;   in Loop: Header=BB286_16 Depth=1
	s_wait_alu 0xfffe
	s_or_b32 exec_lo, exec_lo, s21
.LBB286_763:                            ;   in Loop: Header=BB286_16 Depth=1
	s_wait_alu 0xfffe
	s_or_b32 exec_lo, exec_lo, s20
	v_lshrrev_b16 v7, 8, v7
	v_dual_mov_b32 v122, 0 :: v_dual_mov_b32 v123, 0
	s_mov_b32 s20, exec_lo
	s_delay_alu instid0(VALU_DEP_2)
	v_cmpx_ne_u16_e32 0, v7
	s_cbranch_execz .LBB286_771
; %bb.764:                              ;   in Loop: Header=BB286_16 Depth=1
	v_bfrev_b32_e32 v123, 1
	s_mov_b32 s21, exec_lo
	v_cmpx_ne_u16_e32 0x80, v7
	s_cbranch_execz .LBB286_770
; %bb.765:                              ;   in Loop: Header=BB286_16 Depth=1
	v_and_b32_e32 v45, 0xffff, v7
	v_mov_b32_e32 v123, 0x7c010000
	s_mov_b32 s22, exec_lo
	s_delay_alu instid0(VALU_DEP_2) | instskip(NEXT) | instid1(VALU_DEP_1)
	v_and_b32_e32 v109, 0x7f, v45
	v_cmpx_ne_u32_e32 0x7f, v109
	s_cbranch_execz .LBB286_769
; %bb.766:                              ;   in Loop: Header=BB286_16 Depth=1
	v_and_b32_e32 v47, 7, v45
	v_lshrrev_b32_e32 v56, 3, v109
	s_mov_b32 s23, exec_lo
	v_cmpx_gt_u32_e32 8, v109
; %bb.767:                              ;   in Loop: Header=BB286_16 Depth=1
	s_delay_alu instid0(VALU_DEP_3) | instskip(NEXT) | instid1(VALU_DEP_1)
	v_clz_i32_u32_e32 v47, v47
	v_min_u32_e32 v47, 32, v47
	s_delay_alu instid0(VALU_DEP_1) | instskip(NEXT) | instid1(VALU_DEP_1)
	v_subrev_nc_u32_e32 v56, 28, v47
	v_lshlrev_b64_e32 v[109:110], v56, v[7:8]
	v_sub_nc_u32_e32 v56, 29, v47
	s_delay_alu instid0(VALU_DEP_2)
	v_and_b32_e32 v47, 7, v109
; %bb.768:                              ;   in Loop: Header=BB286_16 Depth=1
	s_wait_alu 0xfffe
	s_or_b32 exec_lo, exec_lo, s23
	v_lshlrev_b32_e32 v7, 8, v45
	v_lshl_add_u32 v45, v56, 10, 0x2000
	s_delay_alu instid0(VALU_DEP_1) | instskip(SKIP_1) | instid1(VALU_DEP_1)
	v_and_or_b32 v7, 0x8000, v7, v45
	v_lshlrev_b32_e32 v45, 23, v47
	v_lshl_or_b32 v123, v7, 16, v45
.LBB286_769:                            ;   in Loop: Header=BB286_16 Depth=1
	s_wait_alu 0xfffe
	s_or_b32 exec_lo, exec_lo, s22
.LBB286_770:                            ;   in Loop: Header=BB286_16 Depth=1
	s_wait_alu 0xfffe
	s_or_b32 exec_lo, exec_lo, s21
.LBB286_771:                            ;   in Loop: Header=BB286_16 Depth=1
	s_wait_alu 0xfffe
	s_or_b32 exec_lo, exec_lo, s20
	v_lshrrev_b32_e32 v7, 16, v29
	s_mov_b32 s20, exec_lo
	s_delay_alu instid0(VALU_DEP_1) | instskip(NEXT) | instid1(VALU_DEP_1)
	v_and_b32_e32 v45, 0xff, v7
	v_cmpx_ne_u16_e32 0, v45
	s_cbranch_execz .LBB286_779
; %bb.772:                              ;   in Loop: Header=BB286_16 Depth=1
	v_mov_b32_e32 v122, 0x8000
	s_mov_b32 s21, exec_lo
	v_cmpx_ne_u16_e32 0x80, v45
	s_cbranch_execz .LBB286_778
; %bb.773:                              ;   in Loop: Header=BB286_16 Depth=1
	v_bfe_u32 v56, v29, 16, 7
	v_mov_b32_e32 v122, 0x7c01
	s_mov_b32 s22, exec_lo
	s_delay_alu instid0(VALU_DEP_2)
	v_cmpx_ne_u32_e32 0x7f, v56
	s_cbranch_execz .LBB286_777
; %bb.774:                              ;   in Loop: Header=BB286_16 Depth=1
	v_and_b32_e32 v45, 7, v7
	v_lshrrev_b32_e32 v47, 3, v56
	s_mov_b32 s23, exec_lo
	v_cmpx_gt_u32_e32 8, v56
; %bb.775:                              ;   in Loop: Header=BB286_16 Depth=1
	s_delay_alu instid0(VALU_DEP_3) | instskip(NEXT) | instid1(VALU_DEP_1)
	v_clz_i32_u32_e32 v45, v45
	v_min_u32_e32 v45, 32, v45
	s_delay_alu instid0(VALU_DEP_1) | instskip(NEXT) | instid1(VALU_DEP_1)
	v_subrev_nc_u32_e32 v47, 28, v45
	v_lshlrev_b64_e32 v[109:110], v47, v[7:8]
	v_sub_nc_u32_e32 v47, 29, v45
	s_delay_alu instid0(VALU_DEP_2)
	v_and_b32_e32 v45, 7, v109
; %bb.776:                              ;   in Loop: Header=BB286_16 Depth=1
	s_wait_alu 0xfffe
	s_or_b32 exec_lo, exec_lo, s23
	v_lshlrev_b32_e32 v7, 8, v7
	v_lshl_add_u32 v47, v47, 10, 0x2000
	v_lshlrev_b32_e32 v45, 7, v45
	s_delay_alu instid0(VALU_DEP_3) | instskip(NEXT) | instid1(VALU_DEP_3)
	v_and_b32_e32 v7, 0x8000, v7
	v_and_b32_e32 v47, 0xfc00, v47
	s_delay_alu instid0(VALU_DEP_1)
	v_or3_b32 v122, v7, v47, v45
.LBB286_777:                            ;   in Loop: Header=BB286_16 Depth=1
	s_wait_alu 0xfffe
	s_or_b32 exec_lo, exec_lo, s22
.LBB286_778:                            ;   in Loop: Header=BB286_16 Depth=1
	s_wait_alu 0xfffe
	s_or_b32 exec_lo, exec_lo, s21
.LBB286_779:                            ;   in Loop: Header=BB286_16 Depth=1
	s_wait_alu 0xfffe
	s_or_b32 exec_lo, exec_lo, s20
	v_cmp_lt_u64_e64 s1, s[10:11], v[28:29]
	v_mov_b32_e32 v28, 0
	s_and_saveexec_b32 s20, s1
	s_cbranch_execz .LBB286_14
; %bb.780:                              ;   in Loop: Header=BB286_16 Depth=1
	v_lshrrev_b32_e32 v7, 24, v29
	v_bfrev_b32_e32 v28, 1
	s_mov_b32 s21, exec_lo
	s_delay_alu instid0(VALU_DEP_2)
	v_cmpx_ne_u32_e32 0x80, v7
	s_cbranch_execz .LBB286_13
; %bb.781:                              ;   in Loop: Header=BB286_16 Depth=1
	v_and_b32_e32 v45, 0x7f, v7
	v_mov_b32_e32 v28, 0x7c010000
	s_mov_b32 s22, exec_lo
	s_delay_alu instid0(VALU_DEP_2)
	v_cmpx_ne_u32_e32 0x7f, v45
	s_cbranch_execz .LBB286_12
; %bb.782:                              ;   in Loop: Header=BB286_16 Depth=1
	v_and_b32_e32 v28, 7, v7
	v_lshrrev_b32_e32 v29, 3, v45
	s_mov_b32 s23, exec_lo
	v_cmpx_gt_u32_e32 8, v45
	s_cbranch_execz .LBB286_11
; %bb.783:                              ;   in Loop: Header=BB286_16 Depth=1
	v_clz_i32_u32_e32 v28, v28
	s_delay_alu instid0(VALU_DEP_1) | instskip(NEXT) | instid1(VALU_DEP_1)
	v_min_u32_e32 v45, 32, v28
	v_subrev_nc_u32_e32 v28, 28, v45
	s_delay_alu instid0(VALU_DEP_1) | instskip(SKIP_1) | instid1(VALU_DEP_2)
	v_lshlrev_b64_e32 v[28:29], v28, v[7:8]
	v_sub_nc_u32_e32 v29, 29, v45
	v_and_b32_e32 v28, 7, v28
	s_branch .LBB286_11
.LBB286_784:
	s_or_b32 exec_lo, exec_lo, s19
.LBB286_785:
	s_wait_alu 0xfffe
	s_or_b32 exec_lo, exec_lo, s18
	v_mbcnt_lo_u32_b32 v7, -1, 0
	v_max_num_f32_e32 v18, v65, v65
	s_delay_alu instid0(VALU_DEP_2) | instskip(SKIP_2) | instid1(VALU_DEP_3)
	v_xor_b32_e32 v8, 16, v7
	v_xor_b32_e32 v13, 8, v7
	;; [unrolled: 1-line block ×3, first 2 shown]
	v_cmp_gt_i32_e32 vcc_lo, 32, v8
	s_wait_alu 0xfffd
	v_cndmask_b32_e32 v8, v7, v8, vcc_lo
	v_cmp_gt_i32_e32 vcc_lo, 32, v13
	s_wait_alu 0xfffd
	v_cndmask_b32_e32 v13, v7, v13, vcc_lo
	s_delay_alu instid0(VALU_DEP_1) | instskip(SKIP_4) | instid1(VALU_DEP_1)
	v_lshlrev_b32_e32 v19, 2, v13
	v_lshlrev_b32_e32 v9, 2, v8
	ds_bpermute_b32 v8, v9, v65
	s_wait_dscnt 0x0
	v_max_num_f32_e32 v8, v8, v8
	v_max_num_f32_e32 v8, v18, v8
	v_xor_b32_e32 v18, 4, v7
	ds_bpermute_b32 v13, v19, v8
	v_cmp_gt_i32_e32 vcc_lo, 32, v18
	s_wait_alu 0xfffd
	v_cndmask_b32_e32 v18, v7, v18, vcc_lo
	s_delay_alu instid0(VALU_DEP_1) | instskip(SKIP_1) | instid1(VALU_DEP_1)
	v_lshlrev_b32_e32 v20, 2, v18
	v_xor_b32_e32 v18, 2, v7
	v_cmp_gt_i32_e32 vcc_lo, 32, v18
	s_wait_dscnt 0x0
	v_max_num_f32_e32 v13, v13, v13
	s_delay_alu instid0(VALU_DEP_1) | instskip(SKIP_3) | instid1(VALU_DEP_1)
	v_max_num_f32_e32 v8, v8, v13
	ds_bpermute_b32 v13, v20, v8
	s_wait_dscnt 0x0
	v_max_num_f32_e32 v13, v13, v13
	v_max_num_f32_e32 v8, v8, v13
	s_wait_alu 0xfffd
	v_cndmask_b32_e32 v18, v7, v18, vcc_lo
	v_cmp_gt_i32_e32 vcc_lo, 32, v21
	s_wait_alu 0xfffd
	s_delay_alu instid0(VALU_DEP_2) | instskip(SKIP_4) | instid1(VALU_DEP_1)
	v_dual_cndmask_b32 v21, v7, v21 :: v_dual_lshlrev_b32 v18, 2, v18
	v_cmp_eq_u32_e32 vcc_lo, 0, v36
	ds_bpermute_b32 v13, v18, v8
	s_wait_dscnt 0x0
	v_max_num_f32_e32 v13, v13, v13
	v_max_num_f32_e32 v7, v8, v13
	v_lshlrev_b32_e32 v13, 2, v21
	v_lshlrev_b32_e32 v21, 2, v35
	ds_bpermute_b32 v8, v13, v7
	s_and_saveexec_b32 s1, vcc_lo
	s_cbranch_execz .LBB286_787
; %bb.786:
	s_wait_dscnt 0x0
	v_dual_max_num_f32 v8, v8, v8 :: v_dual_max_num_f32 v7, v7, v7
	s_delay_alu instid0(VALU_DEP_1)
	v_max_num_f32_e32 v7, v7, v8
	ds_store_b32 v21, v7 offset:192
.LBB286_787:
	s_wait_alu 0xfffe
	s_or_b32 exec_lo, exec_lo, s1
	v_cmp_gt_u32_e64 s1, 4, v36
	v_mov_b32_e32 v7, 0xff7fffff
	s_wait_loadcnt_dscnt 0x0
	s_barrier_signal -1
	s_barrier_wait -1
	global_inv scope:SCOPE_SE
	s_and_saveexec_b32 s2, s1
; %bb.788:
	ds_load_b32 v7, v64 offset:192
; %bb.789:
	s_wait_alu 0xfffe
	s_or_b32 exec_lo, exec_lo, s2
	s_wait_dscnt 0x0
	ds_bpermute_b32 v8, v18, v7
	v_max_num_f32_e32 v7, v7, v7
	v_subrev_nc_u32_e32 v25, s17, v49
	v_mov_b32_e32 v24, 0
	s_wait_dscnt 0x0
	v_max_num_f32_e32 v8, v8, v8
	s_delay_alu instid0(VALU_DEP_1) | instskip(SKIP_3) | instid1(VALU_DEP_1)
	v_max_num_f32_e32 v7, v7, v8
	ds_bpermute_b32 v8, v13, v7
	s_wait_dscnt 0x0
	v_max_num_f32_e32 v8, v8, v8
	v_max_num_f32_e32 v7, v7, v8
	v_lshl_add_u32 v8, v25, 5, s3
	ds_bpermute_b32 v7, v24, v7
	v_min_i32_e32 v8, v8, v34
	s_delay_alu instid0(VALU_DEP_1) | instskip(NEXT) | instid1(VALU_DEP_1)
	v_subrev_nc_u32_e32 v8, s3, v8
	v_cmp_lt_i32_e64 s2, v33, v8
	s_and_saveexec_b32 s8, s2
	s_cbranch_execz .LBB286_793
; %bb.790:
	s_getpc_b64 s[10:11]
	s_wait_alu 0xfffe
	s_sext_i32_i16 s11, s11
	s_add_co_u32 s10, s10, llvm.amdgcn.dynlds.offset.table@rel32@lo+12
	s_wait_alu 0xfffe
	s_add_co_ci_u32 s11, s11, llvm.amdgcn.dynlds.offset.table@rel32@hi+24
	s_wait_kmcnt 0x0
	s_ashr_i32 s7, s6, 31
	v_mov_b32_e32 v24, 0
	s_wait_alu 0xfffe
	s_lshl_b64 s[18:19], s[6:7], 2
	v_mov_b32_e32 v28, v33
	s_wait_alu 0xfffe
	s_add_nc_u64 s[10:11], s[10:11], s[18:19]
	s_mov_b32 s7, 0
	s_load_b32 s3, s[10:11], 0x0
	s_wait_kmcnt 0x0
	v_lshl_add_u32 v25, v33, 2, s3
.LBB286_791:                            ; =>This Inner Loop Header: Depth=1
	ds_load_b32 v29, v25
	v_add_nc_u32_e32 v28, 0x80, v28
	s_delay_alu instid0(VALU_DEP_1) | instskip(SKIP_3) | instid1(VALU_DEP_1)
	v_cmp_ge_i32_e64 s3, v28, v8
	s_or_b32 s7, s3, s7
	s_wait_dscnt 0x0
	v_sub_f32_e32 v29, v29, v7
	v_mul_f32_e32 v29, 0x3fb8aa3b, v29
	s_delay_alu instid0(VALU_DEP_1)
	v_exp_f32_e32 v29, v29
	ds_store_b32 v25, v29
	v_add_f32_e32 v24, v24, v29
	v_add_nc_u32_e32 v25, 0x200, v25
	s_wait_alu 0xfffe
	s_and_not1_b32 exec_lo, exec_lo, s7
	s_cbranch_execnz .LBB286_791
; %bb.792:
	s_or_b32 exec_lo, exec_lo, s7
.LBB286_793:
	s_wait_alu 0xfffe
	s_or_b32 exec_lo, exec_lo, s8
	ds_bpermute_b32 v9, v9, v24
	s_wait_dscnt 0x0
	v_add_f32_e32 v9, v24, v9
	ds_bpermute_b32 v19, v19, v9
	s_wait_dscnt 0x0
	v_add_f32_e32 v9, v9, v19
	;; [unrolled: 3-line block ×5, first 2 shown]
	s_and_saveexec_b32 s3, vcc_lo
; %bb.794:
	ds_store_b32 v21, v9 offset:208
; %bb.795:
	s_wait_alu 0xfffe
	s_or_b32 exec_lo, exec_lo, s3
	s_wait_loadcnt_dscnt 0x0
	s_barrier_signal -1
	s_barrier_wait -1
	global_inv scope:SCOPE_SE
	s_and_saveexec_b32 s3, s1
; %bb.796:
	ds_load_b32 v9, v64 offset:208
; %bb.797:
	s_wait_alu 0xfffe
	s_or_b32 exec_lo, exec_lo, s3
	s_wait_dscnt 0x0
	ds_bpermute_b32 v19, v18, v9
	s_wait_dscnt 0x0
	v_add_f32_e32 v9, v9, v19
	ds_bpermute_b32 v19, v13, v9
	s_wait_dscnt 0x0
	v_add_f32_e32 v9, v9, v19
	v_mov_b32_e32 v19, 0
	ds_bpermute_b32 v9, v19, v9
	s_and_saveexec_b32 s1, s2
	s_cbranch_execz .LBB286_800
; %bb.798:
	s_wait_dscnt 0x0
	v_add_f32_e32 v20, 0x358637bd, v9
	s_wait_kmcnt 0x0
	s_ashr_i32 s7, s6, 31
	s_getpc_b64 s[2:3]
	s_wait_alu 0xfffe
	s_sext_i32_i16 s3, s3
	s_add_co_u32 s2, s2, llvm.amdgcn.dynlds.offset.table@rel32@lo+12
	s_wait_alu 0xfffe
	s_add_co_ci_u32 s3, s3, llvm.amdgcn.dynlds.offset.table@rel32@hi+24
	s_lshl_b64 s[8:9], s[6:7], 2
	s_wait_alu 0xfffe
	s_add_nc_u64 s[2:3], s[2:3], s[8:9]
	v_div_scale_f32 v19, null, v20, v20, 1.0
	v_div_scale_f32 v25, vcc_lo, 1.0, v20, 1.0
	s_load_b32 s2, s[2:3], 0x0
	v_rcp_f32_e32 v21, v19
	s_delay_alu instid0(TRANS32_DEP_1) | instskip(NEXT) | instid1(VALU_DEP_1)
	v_fma_f32 v24, -v19, v21, 1.0
	v_fmac_f32_e32 v21, v24, v21
	s_delay_alu instid0(VALU_DEP_1) | instskip(NEXT) | instid1(VALU_DEP_1)
	v_mul_f32_e32 v24, v25, v21
	v_fma_f32 v28, -v19, v24, v25
	s_delay_alu instid0(VALU_DEP_1) | instskip(NEXT) | instid1(VALU_DEP_1)
	v_fmac_f32_e32 v24, v28, v21
	v_fma_f32 v19, -v19, v24, v25
	s_delay_alu instid0(VALU_DEP_1) | instskip(SKIP_3) | instid1(VALU_DEP_2)
	v_div_fmas_f32 v21, v19, v21, v24
	s_wait_kmcnt 0x0
	v_lshl_add_u32 v19, v33, 2, s2
	s_mov_b32 s2, 0
	v_div_fixup_f32 v20, v21, v20, 1.0
	v_mov_b32_e32 v21, v33
.LBB286_799:                            ; =>This Inner Loop Header: Depth=1
	ds_load_b32 v24, v19
	s_wait_dscnt 0x0
	v_dual_mul_f32 v24, v20, v24 :: v_dual_add_nc_u32 v21, 0x80, v21
	s_delay_alu instid0(VALU_DEP_1)
	v_cmp_ge_i32_e32 vcc_lo, v21, v8
	ds_store_b32 v19, v24
	v_add_nc_u32_e32 v19, 0x200, v19
	s_wait_alu 0xfffe
	s_or_b32 s2, vcc_lo, s2
	s_wait_alu 0xfffe
	s_and_not1_b32 exec_lo, exec_lo, s2
	s_cbranch_execnz .LBB286_799
.LBB286_800:
	s_wait_alu 0xfffe
	s_or_b32 exec_lo, exec_lo, s1
	s_and_b32 s1, 0xffff, s16
	s_wait_loadcnt_dscnt 0x0
	s_wait_alu 0xfffe
	s_cmp_lg_u32 s1, 0
	s_barrier_signal -1
	s_cselect_b32 s1, -1, 0
	s_barrier_wait -1
	s_wait_alu 0xfffe
	s_cmp_lg_u32 s1, 0
	global_inv scope:SCOPE_SE
	s_wait_kmcnt 0x0
	s_add_co_ci_u32 s1, s5, 0
	s_mov_b32 s5, exec_lo
	s_wait_alu 0xfffe
	s_mul_i32 s2, s1, s14
	s_wait_alu 0xfffe
	s_mul_i32 s2, s2, s15
	v_cmpx_eq_u32_e32 0, v33
	s_cbranch_execz .LBB286_802
; %bb.801:
	s_wait_alu 0xfffe
	s_ashr_i32 s3, s2, 31
	s_mul_i32 s8, s1, ttmp9
	s_wait_alu 0xfffe
	s_lshl_b64 s[10:11], s[2:3], 2
	s_ashr_i32 s9, s8, 31
	s_wait_alu 0xfffe
	v_add_co_u32 v2, vcc_lo, v2, s10
	s_wait_alu 0xfffd
	v_add_co_ci_u32_e64 v3, null, s11, v3, vcc_lo
	s_lshl_b64 s[8:9], s[8:9], 2
	s_lshl_b32 s3, s13, 2
	s_wait_alu 0xfffe
	v_add_co_u32 v2, vcc_lo, v2, s8
	s_wait_alu 0xfffd
	v_add_co_ci_u32_e64 v3, null, s9, v3, vcc_lo
	v_add_co_u32 v0, vcc_lo, v0, s10
	s_wait_alu 0xfffd
	v_add_co_ci_u32_e64 v1, null, s11, v1, vcc_lo
	s_delay_alu instid0(VALU_DEP_2) | instskip(SKIP_1) | instid1(VALU_DEP_2)
	v_add_co_u32 v8, vcc_lo, v0, s8
	s_wait_alu 0xfffd
	v_add_co_ci_u32_e64 v19, null, s9, v1, vcc_lo
	v_add_co_u32 v0, vcc_lo, v2, s3
	s_wait_alu 0xfffd
	v_add_co_ci_u32_e64 v1, null, 0, v3, vcc_lo
	;; [unrolled: 3-line block ×3, first 2 shown]
	flat_store_b32 v[0:1], v7
	flat_store_b32 v[2:3], v9
.LBB286_802:
	s_or_b32 exec_lo, exec_lo, s5
	s_ashr_i32 s7, s6, 31
	s_getpc_b64 s[8:9]
	s_wait_alu 0xfffe
	s_sext_i32_i16 s9, s9
	s_add_co_u32 s8, s8, llvm.amdgcn.dynlds.offset.table@rel32@lo+12
	s_wait_alu 0xfffe
	s_add_co_ci_u32 s9, s9, llvm.amdgcn.dynlds.offset.table@rel32@hi+24
	v_dual_mov_b32 v66, 0 :: v_dual_and_b32 v19, 3, v33
	v_dual_mov_b32 v65, 0 :: v_dual_mov_b32 v64, 0
	v_dual_mov_b32 v55, 0 :: v_dual_mov_b32 v32, 0
	v_dual_mov_b32 v31, 0 :: v_dual_mov_b32 v28, 0
	v_dual_mov_b32 v29, 0 :: v_dual_mov_b32 v24, 0
	v_dual_mov_b32 v25, 0 :: v_dual_mov_b32 v20, 0
	v_mov_b32_e32 v21, 0
	s_lshl_b64 s[6:7], s[6:7], 2
	s_wait_alu 0xfffe
	s_add_nc_u64 s[6:7], s[8:9], s[6:7]
	s_and_saveexec_b32 s3, s0
	s_cbranch_execz .LBB286_1600
; %bb.803:
	v_max_i32_e32 v30, v30, v53
	v_add_co_u32 v7, vcc_lo, v10, v51
	s_wait_alu 0xfffd
	v_add_co_ci_u32_e64 v8, null, v11, v54, vcc_lo
	s_delay_alu instid0(VALU_DEP_3) | instskip(SKIP_3) | instid1(VALU_DEP_3)
	v_cvt_f32_u32_e32 v0, v30
	v_sub_nc_u32_e32 v11, 0, v30
	s_load_b32 s0, s[6:7], 0x0
	v_dual_mov_b32 v1, 0 :: v_dual_lshlrev_b32 v2, 3, v33
	v_rcp_iflag_f32_e32 v0, v0
	v_add_co_u32 v3, vcc_lo, v16, v12
	s_wait_alu 0xfffd
	v_add_co_ci_u32_e64 v9, null, 0, v17, vcc_lo
	v_dual_mov_b32 v25, 0 :: v_dual_lshlrev_b32 v10, 5, v19
	v_and_b32_e32 v16, 24, v2
	v_and_b32_e32 v12, 0xf8, v2
	v_add_co_u32 v2, vcc_lo, v14, v3
	s_delay_alu instid0(TRANS32_DEP_1) | instskip(SKIP_3) | instid1(VALU_DEP_3)
	v_dual_mul_f32 v0, 0x4f7ffffe, v0 :: v_dual_mov_b32 v21, 0
	s_wait_alu 0xfffd
	v_add_co_ci_u32_e64 v3, null, v15, v9, vcc_lo
	v_lshl_or_b32 v9, v35, 7, v10
	v_cvt_u32_f32_e32 v0, v0
	v_add_co_u32 v7, vcc_lo, v7, v12
	v_dual_mov_b32 v20, 0 :: v_dual_add_nc_u32 v51, -1, v52
	s_delay_alu instid0(VALU_DEP_3)
	v_mul_lo_u32 v11, v11, v0
	v_dual_mov_b32 v24, 0 :: v_dual_mov_b32 v29, 0
	v_dual_mov_b32 v28, 0 :: v_dual_mov_b32 v31, 0
	;; [unrolled: 1-line block ×4, first 2 shown]
	v_mul_hi_u32 v11, v0, v11
	s_wait_alu 0xfffd
	v_add_co_ci_u32_e64 v8, null, 0, v8, vcc_lo
	s_wait_kmcnt 0x0
	v_add_nc_u32_e32 v14, s0, v9
	s_mov_b32 s8, -1
	s_mov_b32 s9, 0xffffff
	v_mov_b32_e32 v66, 0
	s_mov_b32 s5, 0
	v_add_nc_u32_e32 v15, v0, v11
	s_branch .LBB286_806
.LBB286_804:                            ;   in Loop: Header=BB286_806 Depth=1
	s_wait_alu 0xfffe
	s_or_b32 exec_lo, exec_lo, s0
	v_dual_add_f32 v11, v11, v12 :: v_dual_add_f32 v12, v117, v118
	v_add_f32_e32 v17, v115, v116
	v_add_f32_e32 v67, v113, v114
	;; [unrolled: 1-line block ×3, first 2 shown]
	s_delay_alu instid0(VALU_DEP_4) | instskip(SKIP_1) | instid1(VALU_DEP_1)
	v_add_f32_e32 v24, v24, v12
	v_add_f32_e32 v12, v101, v102
	v_dual_add_f32 v28, v28, v67 :: v_dual_add_f32 v31, v31, v12
	;;#ASMSTART
	v_pk_mul_f16 v12, v81, v119;

	;;#ASMEND
	;;#ASMSTART
	v_pk_mul_f16 v10, v70, v10;

	;;#ASMEND
	;; [unrolled: 4-line block ×4, first 2 shown]
	;;#ASMSTART
	v_pk_add_f16 v10, v12, v10;

	;;#ASMEND
	;;#ASMSTART
	v_pk_add_f16 v9, v10, v9;

	;;#ASMEND
	v_dual_add_f32 v10, v52, v53 :: v_dual_add_f32 v21, v21, v11
	v_dual_add_f32 v32, v32, v69 :: v_dual_add_f32 v11, v103, v112
	;;#ASMSTART
	v_pk_add_f16 v0, v9, v0;

	;;#ASMEND
	v_dual_add_f32 v25, v25, v17 :: v_dual_and_b32 v12, 0xffff, v0
	v_lshrrev_b32_e32 v17, 16, v0
	;;#ASMSTART
	v_cvt_f32_f16 v12, v12;
	;;#ASMEND
	v_dual_add_f32 v29, v29, v11 :: v_dual_add_f32 v0, v87, v96
	v_add_f32_e32 v11, v97, v98
	;;#ASMSTART
	v_cvt_f32_f16 v17, v17;
	;;#ASMEND
	v_dual_add_f32 v12, v12, v17 :: v_dual_add_f32 v9, v85, v86
	s_delay_alu instid0(VALU_DEP_2) | instskip(SKIP_1) | instid1(VALU_DEP_3)
	v_dual_add_f32 v64, v64, v0 :: v_dual_add_f32 v55, v55, v11
	v_add_f32_e32 v66, v66, v10
	v_dual_add_f32 v20, v20, v12 :: v_dual_add_f32 v65, v65, v9
.LBB286_805:                            ;   in Loop: Header=BB286_806 Depth=1
	s_wait_alu 0xfffe
	s_or_b32 exec_lo, exec_lo, s10
	v_add_nc_u32_e32 v23, 4, v23
	v_add_co_u32 v2, s0, v2, 16
	s_wait_alu 0xf1ff
	v_add_co_ci_u32_e64 v3, null, 0, v3, s0
	s_delay_alu instid0(VALU_DEP_3)
	v_cmp_ge_i32_e32 vcc_lo, v23, v49
	v_add_nc_u32_e32 v48, 0x80, v48
	v_add_nc_u32_e32 v14, 0x200, v14
	s_or_b32 s5, vcc_lo, s5
	s_wait_alu 0xfffe
	s_and_not1_b32 exec_lo, exec_lo, s5
	s_cbranch_execz .LBB286_1599
.LBB286_806:                            ; =>This Inner Loop Header: Depth=1
	v_sub_nc_u32_e32 v0, 0, v48
	s_delay_alu instid0(VALU_DEP_1) | instskip(NEXT) | instid1(VALU_DEP_1)
	v_max_i32_e32 v0, v48, v0
	v_mul_hi_u32 v9, v0, v38
	s_delay_alu instid0(VALU_DEP_1) | instskip(NEXT) | instid1(VALU_DEP_1)
	v_mul_lo_u32 v10, v9, v37
	v_sub_nc_u32_e32 v0, v0, v10
	v_add_nc_u32_e32 v10, 1, v9
	s_delay_alu instid0(VALU_DEP_2) | instskip(SKIP_2) | instid1(VALU_DEP_2)
	v_sub_nc_u32_e32 v11, v0, v37
	v_cmp_ge_u32_e32 vcc_lo, v0, v37
	s_wait_alu 0xfffd
	v_dual_cndmask_b32 v9, v9, v10 :: v_dual_cndmask_b32 v0, v0, v11
	v_ashrrev_i32_e32 v10, 31, v48
	s_delay_alu instid0(VALU_DEP_2) | instskip(NEXT) | instid1(VALU_DEP_3)
	v_add_nc_u32_e32 v11, 1, v9
	v_cmp_ge_u32_e32 vcc_lo, v0, v37
	s_delay_alu instid0(VALU_DEP_3) | instskip(SKIP_1) | instid1(VALU_DEP_3)
	v_xor_b32_e32 v10, v10, v39
	s_wait_alu 0xfffd
	v_cndmask_b32_e32 v0, v9, v11, vcc_lo
	s_delay_alu instid0(VALU_DEP_1) | instskip(NEXT) | instid1(VALU_DEP_1)
	v_xor_b32_e32 v0, v0, v10
	v_sub_nc_u32_e32 v0, v0, v10
	s_delay_alu instid0(VALU_DEP_1) | instskip(SKIP_1) | instid1(VALU_DEP_2)
	v_add_nc_u32_e32 v9, v0, v6
	v_cmp_gt_i32_e64 s0, v0, v50
	v_sub_nc_u32_e32 v10, 0, v9
	s_delay_alu instid0(VALU_DEP_1) | instskip(NEXT) | instid1(VALU_DEP_1)
	v_max_i32_e32 v10, v9, v10
	v_mul_hi_u32 v11, v10, v15
	s_delay_alu instid0(VALU_DEP_1) | instskip(NEXT) | instid1(VALU_DEP_1)
	v_mul_lo_u32 v11, v11, v30
	v_sub_nc_u32_e32 v10, v10, v11
	s_delay_alu instid0(VALU_DEP_1) | instskip(SKIP_2) | instid1(VALU_DEP_2)
	v_sub_nc_u32_e32 v11, v10, v30
	v_cmp_ge_u32_e32 vcc_lo, v10, v30
	s_wait_alu 0xfffd
	v_cndmask_b32_e32 v10, v10, v11, vcc_lo
	v_ashrrev_i32_e32 v9, 31, v9
	s_delay_alu instid0(VALU_DEP_2) | instskip(SKIP_2) | instid1(VALU_DEP_2)
	v_sub_nc_u32_e32 v11, v10, v30
	v_cmp_ge_u32_e32 vcc_lo, v10, v30
	s_wait_alu 0xfffd
	v_cndmask_b32_e32 v10, v10, v11, vcc_lo
	s_delay_alu instid0(VALU_DEP_1) | instskip(NEXT) | instid1(VALU_DEP_1)
	v_xor_b32_e32 v10, v10, v9
	v_sub_nc_u32_e32 v9, v10, v9
	s_delay_alu instid0(VALU_DEP_1)
	v_cmp_eq_u32_e32 vcc_lo, 0, v9
	s_or_b32 s0, vcc_lo, s0
	s_wait_alu 0xfffe
	s_and_saveexec_b32 s10, s0
	s_cbranch_execz .LBB286_805
; %bb.807:                              ;   in Loop: Header=BB286_806 Depth=1
	flat_load_b32 v0, v[2:3]
	ds_load_2addr_b64 v[68:71], v14 offset1:1
	ds_load_2addr_b64 v[81:84], v14 offset0:2 offset1:3
	s_mov_b32 s0, exec_lo
	s_wait_dscnt 0x1
	;;#ASMSTART
	v_cvt_f16_f32 v52, v68;

	;;#ASMEND
	;;#ASMSTART
	v_cvt_f16_f32 v53, v69;

	;;#ASMEND
	;; [unrolled: 4-line block ×4, first 2 shown]
	s_wait_dscnt 0x0
	;;#ASMSTART
	v_cvt_f16_f32 v81, v81;

	;;#ASMEND
	;;#ASMSTART
	v_cvt_f16_f32 v68, v82;

	;;#ASMEND
	;;#ASMSTART
	v_cvt_f16_f32 v86, v83;

	;;#ASMEND
	;;#ASMSTART
	v_cvt_f16_f32 v85, v84;

	;;#ASMEND
	v_mov_b32_e32 v71, 0
	v_mov_b32_e32 v69, 0
	s_wait_loadcnt 0x0
	v_mad_co_i64_i32 v[9:10], null, v0, v22, v[7:8]
	flat_load_b64 v[11:12], v[9:10]
	flat_load_b32 v67, v[26:27]
	s_wait_loadcnt_dscnt 0x101
	v_and_b32_e32 v0, 0xff, v11
	s_delay_alu instid0(VALU_DEP_1)
	v_cmpx_ne_u16_e32 0, v0
	s_cbranch_execz .LBB286_815
; %bb.808:                              ;   in Loop: Header=BB286_806 Depth=1
	v_mov_b32_e32 v71, 0x8000
	s_mov_b32 s11, exec_lo
	v_cmpx_ne_u16_e32 0x80, v0
	s_cbranch_execz .LBB286_814
; %bb.809:                              ;   in Loop: Header=BB286_806 Depth=1
	v_and_b32_e32 v80, 0x7f, v11
	v_mov_b32_e32 v71, 0x7c01
	s_mov_b32 s14, exec_lo
	s_delay_alu instid0(VALU_DEP_2)
	v_cmpx_ne_u32_e32 0x7f, v80
	s_cbranch_execz .LBB286_813
; %bb.810:                              ;   in Loop: Header=BB286_806 Depth=1
	v_and_b32_e32 v0, 7, v11
	v_lshrrev_b32_e32 v17, 3, v80
	s_mov_b32 s15, exec_lo
	v_cmpx_gt_u32_e32 8, v80
; %bb.811:                              ;   in Loop: Header=BB286_806 Depth=1
	s_delay_alu instid0(VALU_DEP_3) | instskip(NEXT) | instid1(VALU_DEP_1)
	v_clz_i32_u32_e32 v0, v0
	v_min_u32_e32 v0, 32, v0
	s_delay_alu instid0(VALU_DEP_1) | instskip(NEXT) | instid1(VALU_DEP_1)
	v_subrev_nc_u32_e32 v17, 28, v0
	v_lshlrev_b64_e32 v[82:83], v17, v[11:12]
	v_sub_nc_u32_e32 v17, 29, v0
	s_delay_alu instid0(VALU_DEP_2)
	v_and_b32_e32 v0, 7, v82
; %bb.812:                              ;   in Loop: Header=BB286_806 Depth=1
	s_wait_alu 0xfffe
	s_or_b32 exec_lo, exec_lo, s15
	v_lshlrev_b32_e32 v71, 8, v11
	v_lshl_add_u32 v17, v17, 10, 0x2000
	v_lshlrev_b32_e32 v0, 7, v0
	s_delay_alu instid0(VALU_DEP_3) | instskip(NEXT) | instid1(VALU_DEP_3)
	v_and_b32_e32 v71, 0x8000, v71
	v_and_b32_e32 v17, 0xfc00, v17
	s_delay_alu instid0(VALU_DEP_1)
	v_or3_b32 v71, v71, v17, v0
.LBB286_813:                            ;   in Loop: Header=BB286_806 Depth=1
	s_wait_alu 0xfffe
	s_or_b32 exec_lo, exec_lo, s14
.LBB286_814:                            ;   in Loop: Header=BB286_806 Depth=1
	s_wait_alu 0xfffe
	s_or_b32 exec_lo, exec_lo, s11
.LBB286_815:                            ;   in Loop: Header=BB286_806 Depth=1
	s_wait_alu 0xfffe
	s_or_b32 exec_lo, exec_lo, s0
	v_lshrrev_b16 v0, 8, v11
	s_mov_b32 s0, exec_lo
	s_delay_alu instid0(VALU_DEP_1)
	v_cmpx_ne_u16_e32 0, v0
	s_cbranch_execz .LBB286_823
; %bb.816:                              ;   in Loop: Header=BB286_806 Depth=1
	v_bfrev_b32_e32 v69, 1
	s_mov_b32 s11, exec_lo
	v_cmpx_ne_u16_e32 0x80, v0
	s_cbranch_execz .LBB286_822
; %bb.817:                              ;   in Loop: Header=BB286_806 Depth=1
	v_and_b32_e32 v17, 0xffff, v0
	v_mov_b32_e32 v69, 0x7c010000
	s_mov_b32 s14, exec_lo
	s_delay_alu instid0(VALU_DEP_2) | instskip(NEXT) | instid1(VALU_DEP_1)
	v_and_b32_e32 v82, 0x7f, v17
	v_cmpx_ne_u32_e32 0x7f, v82
	s_cbranch_execz .LBB286_821
; %bb.818:                              ;   in Loop: Header=BB286_806 Depth=1
	v_and_b32_e32 v69, 7, v17
	v_lshrrev_b32_e32 v80, 3, v82
	s_mov_b32 s15, exec_lo
	v_cmpx_gt_u32_e32 8, v82
; %bb.819:                              ;   in Loop: Header=BB286_806 Depth=1
	s_delay_alu instid0(VALU_DEP_3) | instskip(NEXT) | instid1(VALU_DEP_1)
	v_clz_i32_u32_e32 v69, v69
	v_min_u32_e32 v69, 32, v69
	s_delay_alu instid0(VALU_DEP_1) | instskip(NEXT) | instid1(VALU_DEP_1)
	v_subrev_nc_u32_e32 v80, 28, v69
	v_lshlrev_b64_e32 v[82:83], v80, v[0:1]
	v_sub_nc_u32_e32 v80, 29, v69
	s_delay_alu instid0(VALU_DEP_2)
	v_and_b32_e32 v69, 7, v82
; %bb.820:                              ;   in Loop: Header=BB286_806 Depth=1
	s_wait_alu 0xfffe
	s_or_b32 exec_lo, exec_lo, s15
	v_lshlrev_b32_e32 v0, 8, v17
	v_lshl_add_u32 v17, v80, 10, 0x2000
	s_delay_alu instid0(VALU_DEP_1) | instskip(SKIP_1) | instid1(VALU_DEP_1)
	v_and_or_b32 v0, 0x8000, v0, v17
	v_lshlrev_b32_e32 v17, 23, v69
	v_lshl_or_b32 v69, v0, 16, v17
.LBB286_821:                            ;   in Loop: Header=BB286_806 Depth=1
	s_wait_alu 0xfffe
	s_or_b32 exec_lo, exec_lo, s14
.LBB286_822:                            ;   in Loop: Header=BB286_806 Depth=1
	s_wait_alu 0xfffe
	s_or_b32 exec_lo, exec_lo, s11
.LBB286_823:                            ;   in Loop: Header=BB286_806 Depth=1
	s_wait_alu 0xfffe
	s_or_b32 exec_lo, exec_lo, s0
	v_lshrrev_b32_e32 v0, 16, v11
	v_mov_b32_e32 v80, 0
	s_mov_b32 s0, exec_lo
	s_delay_alu instid0(VALU_DEP_2) | instskip(NEXT) | instid1(VALU_DEP_1)
	v_dual_mov_b32 v17, 0 :: v_dual_and_b32 v82, 0xff, v0
	v_cmpx_ne_u16_e32 0, v82
	s_cbranch_execz .LBB286_831
; %bb.824:                              ;   in Loop: Header=BB286_806 Depth=1
	v_mov_b32_e32 v17, 0x8000
	s_mov_b32 s11, exec_lo
	v_cmpx_ne_u16_e32 0x80, v82
	s_cbranch_execz .LBB286_830
; %bb.825:                              ;   in Loop: Header=BB286_806 Depth=1
	v_bfe_u32 v83, v11, 16, 7
	v_mov_b32_e32 v17, 0x7c01
	s_mov_b32 s14, exec_lo
	s_delay_alu instid0(VALU_DEP_2)
	v_cmpx_ne_u32_e32 0x7f, v83
	s_cbranch_execz .LBB286_829
; %bb.826:                              ;   in Loop: Header=BB286_806 Depth=1
	v_and_b32_e32 v17, 7, v0
	v_lshrrev_b32_e32 v82, 3, v83
	s_mov_b32 s15, exec_lo
	v_cmpx_gt_u32_e32 8, v83
; %bb.827:                              ;   in Loop: Header=BB286_806 Depth=1
	s_delay_alu instid0(VALU_DEP_3) | instskip(NEXT) | instid1(VALU_DEP_1)
	v_clz_i32_u32_e32 v17, v17
	v_min_u32_e32 v17, 32, v17
	s_delay_alu instid0(VALU_DEP_1) | instskip(NEXT) | instid1(VALU_DEP_1)
	v_subrev_nc_u32_e32 v82, 28, v17
	v_lshlrev_b64_e32 v[83:84], v82, v[0:1]
	v_sub_nc_u32_e32 v82, 29, v17
	s_delay_alu instid0(VALU_DEP_2)
	v_and_b32_e32 v17, 7, v83
; %bb.828:                              ;   in Loop: Header=BB286_806 Depth=1
	s_wait_alu 0xfffe
	s_or_b32 exec_lo, exec_lo, s15
	v_lshlrev_b32_e32 v0, 8, v0
	v_lshl_add_u32 v82, v82, 10, 0x2000
	v_lshlrev_b32_e32 v17, 7, v17
	s_delay_alu instid0(VALU_DEP_3) | instskip(NEXT) | instid1(VALU_DEP_3)
	v_and_b32_e32 v0, 0x8000, v0
	v_and_b32_e32 v82, 0xfc00, v82
	s_delay_alu instid0(VALU_DEP_1)
	v_or3_b32 v17, v0, v82, v17
.LBB286_829:                            ;   in Loop: Header=BB286_806 Depth=1
	s_wait_alu 0xfffe
	s_or_b32 exec_lo, exec_lo, s14
.LBB286_830:                            ;   in Loop: Header=BB286_806 Depth=1
	s_wait_alu 0xfffe
	s_or_b32 exec_lo, exec_lo, s11
.LBB286_831:                            ;   in Loop: Header=BB286_806 Depth=1
	s_wait_alu 0xfffe
	s_or_b32 exec_lo, exec_lo, s0
	s_delay_alu instid0(SALU_CYCLE_1)
	s_mov_b32 s0, exec_lo
	v_cmpx_lt_u32_e32 0xffffff, v11
	s_cbranch_execz .LBB286_839
; %bb.832:                              ;   in Loop: Header=BB286_806 Depth=1
	v_lshrrev_b32_e32 v0, 24, v11
	v_bfrev_b32_e32 v80, 1
	s_mov_b32 s11, exec_lo
	s_delay_alu instid0(VALU_DEP_2)
	v_cmpx_ne_u32_e32 0x80, v0
	s_cbranch_execz .LBB286_838
; %bb.833:                              ;   in Loop: Header=BB286_806 Depth=1
	v_and_b32_e32 v83, 0x7f, v0
	v_mov_b32_e32 v80, 0x7c010000
	s_mov_b32 s14, exec_lo
	s_delay_alu instid0(VALU_DEP_2)
	v_cmpx_ne_u32_e32 0x7f, v83
	s_cbranch_execz .LBB286_837
; %bb.834:                              ;   in Loop: Header=BB286_806 Depth=1
	v_and_b32_e32 v80, 7, v0
	v_lshrrev_b32_e32 v82, 3, v83
	s_mov_b32 s15, exec_lo
	v_cmpx_gt_u32_e32 8, v83
; %bb.835:                              ;   in Loop: Header=BB286_806 Depth=1
	s_delay_alu instid0(VALU_DEP_3) | instskip(NEXT) | instid1(VALU_DEP_1)
	v_clz_i32_u32_e32 v80, v80
	v_min_u32_e32 v80, 32, v80
	s_delay_alu instid0(VALU_DEP_1) | instskip(NEXT) | instid1(VALU_DEP_1)
	v_subrev_nc_u32_e32 v82, 28, v80
	v_lshlrev_b64_e32 v[83:84], v82, v[0:1]
	v_sub_nc_u32_e32 v82, 29, v80
	s_delay_alu instid0(VALU_DEP_2)
	v_and_b32_e32 v80, 7, v83
; %bb.836:                              ;   in Loop: Header=BB286_806 Depth=1
	s_wait_alu 0xfffe
	s_or_b32 exec_lo, exec_lo, s15
	v_lshlrev_b32_e32 v0, 8, v0
	v_lshl_add_u32 v82, v82, 10, 0x2000
	v_lshlrev_b32_e32 v80, 23, v80
	s_delay_alu instid0(VALU_DEP_2) | instskip(NEXT) | instid1(VALU_DEP_1)
	v_and_or_b32 v0, 0x8000, v0, v82
	v_lshl_or_b32 v80, v0, 16, v80
.LBB286_837:                            ;   in Loop: Header=BB286_806 Depth=1
	s_wait_alu 0xfffe
	s_or_b32 exec_lo, exec_lo, s14
.LBB286_838:                            ;   in Loop: Header=BB286_806 Depth=1
	s_wait_alu 0xfffe
	s_or_b32 exec_lo, exec_lo, s11
.LBB286_839:                            ;   in Loop: Header=BB286_806 Depth=1
	s_wait_alu 0xfffe
	s_or_b32 exec_lo, exec_lo, s0
	v_dual_mov_b32 v83, 0 :: v_dual_and_b32 v84, 0xff, v12
	v_mov_b32_e32 v0, v12
	v_mov_b32_e32 v82, 0
	s_mov_b32 s0, exec_lo
	s_delay_alu instid0(VALU_DEP_3)
	v_cmpx_ne_u16_e32 0, v84
	s_cbranch_execz .LBB286_847
; %bb.840:                              ;   in Loop: Header=BB286_806 Depth=1
	v_mov_b32_e32 v83, 0x8000
	s_mov_b32 s11, exec_lo
	v_cmpx_ne_u16_e32 0x80, v84
	s_cbranch_execz .LBB286_846
; %bb.841:                              ;   in Loop: Header=BB286_806 Depth=1
	v_and_b32_e32 v87, 0x7f, v12
	v_mov_b32_e32 v83, 0x7c01
	s_mov_b32 s14, exec_lo
	s_delay_alu instid0(VALU_DEP_2)
	v_cmpx_ne_u32_e32 0x7f, v87
	s_cbranch_execz .LBB286_845
; %bb.842:                              ;   in Loop: Header=BB286_806 Depth=1
	v_and_b32_e32 v83, 7, v12
	v_lshrrev_b32_e32 v84, 3, v87
	s_mov_b32 s15, exec_lo
	v_cmpx_gt_u32_e32 8, v87
; %bb.843:                              ;   in Loop: Header=BB286_806 Depth=1
	s_delay_alu instid0(VALU_DEP_3) | instskip(NEXT) | instid1(VALU_DEP_1)
	v_clz_i32_u32_e32 v83, v83
	v_min_u32_e32 v87, 32, v83
	s_delay_alu instid0(VALU_DEP_1) | instskip(NEXT) | instid1(VALU_DEP_1)
	v_subrev_nc_u32_e32 v83, 28, v87
	v_lshlrev_b64_e32 v[83:84], v83, v[0:1]
	v_sub_nc_u32_e32 v84, 29, v87
	s_delay_alu instid0(VALU_DEP_2)
	v_and_b32_e32 v83, 7, v83
; %bb.844:                              ;   in Loop: Header=BB286_806 Depth=1
	s_wait_alu 0xfffe
	s_or_b32 exec_lo, exec_lo, s15
	v_lshlrev_b32_e32 v87, 8, v12
	v_lshl_add_u32 v84, v84, 10, 0x2000
	v_lshlrev_b32_e32 v83, 7, v83
	s_delay_alu instid0(VALU_DEP_3) | instskip(NEXT) | instid1(VALU_DEP_3)
	v_and_b32_e32 v87, 0x8000, v87
	v_and_b32_e32 v84, 0xfc00, v84
	s_delay_alu instid0(VALU_DEP_1)
	v_or3_b32 v83, v87, v84, v83
.LBB286_845:                            ;   in Loop: Header=BB286_806 Depth=1
	s_wait_alu 0xfffe
	s_or_b32 exec_lo, exec_lo, s14
.LBB286_846:                            ;   in Loop: Header=BB286_806 Depth=1
	s_wait_alu 0xfffe
	s_or_b32 exec_lo, exec_lo, s11
.LBB286_847:                            ;   in Loop: Header=BB286_806 Depth=1
	s_wait_alu 0xfffe
	s_or_b32 exec_lo, exec_lo, s0
	v_lshrrev_b16 v0, 8, v0
	v_mov_b32_e32 v84, 0
	s_mov_b32 s0, exec_lo
	s_delay_alu instid0(VALU_DEP_2)
	v_cmpx_ne_u16_e32 0, v0
	s_cbranch_execz .LBB286_855
; %bb.848:                              ;   in Loop: Header=BB286_806 Depth=1
	v_bfrev_b32_e32 v84, 1
	s_mov_b32 s11, exec_lo
	v_cmpx_ne_u16_e32 0x80, v0
	s_cbranch_execz .LBB286_854
; %bb.849:                              ;   in Loop: Header=BB286_806 Depth=1
	v_and_b32_e32 v87, 0xffff, v0
	v_mov_b32_e32 v84, 0x7c010000
	s_mov_b32 s14, exec_lo
	s_delay_alu instid0(VALU_DEP_2) | instskip(NEXT) | instid1(VALU_DEP_1)
	v_and_b32_e32 v97, 0x7f, v87
	v_cmpx_ne_u32_e32 0x7f, v97
	s_cbranch_execz .LBB286_853
; %bb.850:                              ;   in Loop: Header=BB286_806 Depth=1
	v_and_b32_e32 v84, 7, v87
	v_lshrrev_b32_e32 v96, 3, v97
	s_mov_b32 s15, exec_lo
	v_cmpx_gt_u32_e32 8, v97
; %bb.851:                              ;   in Loop: Header=BB286_806 Depth=1
	s_delay_alu instid0(VALU_DEP_3) | instskip(NEXT) | instid1(VALU_DEP_1)
	v_clz_i32_u32_e32 v84, v84
	v_min_u32_e32 v84, 32, v84
	s_delay_alu instid0(VALU_DEP_1) | instskip(NEXT) | instid1(VALU_DEP_1)
	v_subrev_nc_u32_e32 v96, 28, v84
	v_lshlrev_b64_e32 v[97:98], v96, v[0:1]
	v_sub_nc_u32_e32 v96, 29, v84
	s_delay_alu instid0(VALU_DEP_2)
	v_and_b32_e32 v84, 7, v97
; %bb.852:                              ;   in Loop: Header=BB286_806 Depth=1
	s_wait_alu 0xfffe
	s_or_b32 exec_lo, exec_lo, s15
	v_lshlrev_b32_e32 v0, 8, v87
	v_lshl_add_u32 v87, v96, 10, 0x2000
	v_lshlrev_b32_e32 v84, 23, v84
	s_delay_alu instid0(VALU_DEP_2) | instskip(NEXT) | instid1(VALU_DEP_1)
	v_and_or_b32 v0, 0x8000, v0, v87
	v_lshl_or_b32 v84, v0, 16, v84
.LBB286_853:                            ;   in Loop: Header=BB286_806 Depth=1
	s_wait_alu 0xfffe
	s_or_b32 exec_lo, exec_lo, s14
.LBB286_854:                            ;   in Loop: Header=BB286_806 Depth=1
	s_wait_alu 0xfffe
	s_or_b32 exec_lo, exec_lo, s11
.LBB286_855:                            ;   in Loop: Header=BB286_806 Depth=1
	s_wait_alu 0xfffe
	s_or_b32 exec_lo, exec_lo, s0
	v_lshrrev_b32_e32 v0, 16, v12
	s_mov_b32 s0, exec_lo
	s_delay_alu instid0(VALU_DEP_1) | instskip(NEXT) | instid1(VALU_DEP_1)
	v_and_b32_e32 v87, 0xff, v0
	v_cmpx_ne_u16_e32 0, v87
	s_cbranch_execz .LBB286_863
; %bb.856:                              ;   in Loop: Header=BB286_806 Depth=1
	v_mov_b32_e32 v82, 0x8000
	s_mov_b32 s11, exec_lo
	v_cmpx_ne_u16_e32 0x80, v87
	s_cbranch_execz .LBB286_862
; %bb.857:                              ;   in Loop: Header=BB286_806 Depth=1
	v_bfe_u32 v96, v12, 16, 7
	v_mov_b32_e32 v82, 0x7c01
	s_mov_b32 s14, exec_lo
	s_delay_alu instid0(VALU_DEP_2)
	v_cmpx_ne_u32_e32 0x7f, v96
	s_cbranch_execz .LBB286_861
; %bb.858:                              ;   in Loop: Header=BB286_806 Depth=1
	v_and_b32_e32 v82, 7, v0
	v_lshrrev_b32_e32 v87, 3, v96
	s_mov_b32 s15, exec_lo
	v_cmpx_gt_u32_e32 8, v96
; %bb.859:                              ;   in Loop: Header=BB286_806 Depth=1
	s_delay_alu instid0(VALU_DEP_3) | instskip(NEXT) | instid1(VALU_DEP_1)
	v_clz_i32_u32_e32 v82, v82
	v_min_u32_e32 v82, 32, v82
	s_delay_alu instid0(VALU_DEP_1) | instskip(NEXT) | instid1(VALU_DEP_1)
	v_subrev_nc_u32_e32 v87, 28, v82
	v_lshlrev_b64_e32 v[96:97], v87, v[0:1]
	v_sub_nc_u32_e32 v87, 29, v82
	s_delay_alu instid0(VALU_DEP_2)
	v_and_b32_e32 v82, 7, v96
; %bb.860:                              ;   in Loop: Header=BB286_806 Depth=1
	s_wait_alu 0xfffe
	s_or_b32 exec_lo, exec_lo, s15
	v_lshlrev_b32_e32 v0, 8, v0
	v_lshl_add_u32 v87, v87, 10, 0x2000
	v_lshlrev_b32_e32 v82, 7, v82
	s_delay_alu instid0(VALU_DEP_3) | instskip(NEXT) | instid1(VALU_DEP_3)
	v_and_b32_e32 v0, 0x8000, v0
	v_and_b32_e32 v87, 0xfc00, v87
	s_delay_alu instid0(VALU_DEP_1)
	v_or3_b32 v82, v0, v87, v82
.LBB286_861:                            ;   in Loop: Header=BB286_806 Depth=1
	s_wait_alu 0xfffe
	s_or_b32 exec_lo, exec_lo, s14
.LBB286_862:                            ;   in Loop: Header=BB286_806 Depth=1
	s_wait_alu 0xfffe
	s_or_b32 exec_lo, exec_lo, s11
.LBB286_863:                            ;   in Loop: Header=BB286_806 Depth=1
	s_wait_alu 0xfffe
	s_or_b32 exec_lo, exec_lo, s0
	v_cmp_lt_u64_e32 vcc_lo, s[8:9], v[11:12]
	v_mov_b32_e32 v11, 0
	s_and_saveexec_b32 s0, vcc_lo
	s_cbranch_execz .LBB286_871
; %bb.864:                              ;   in Loop: Header=BB286_806 Depth=1
	v_lshrrev_b32_e32 v0, 24, v12
	v_bfrev_b32_e32 v11, 1
	s_mov_b32 s11, exec_lo
	s_delay_alu instid0(VALU_DEP_2)
	v_cmpx_ne_u32_e32 0x80, v0
	s_cbranch_execz .LBB286_870
; %bb.865:                              ;   in Loop: Header=BB286_806 Depth=1
	v_and_b32_e32 v87, 0x7f, v0
	v_mov_b32_e32 v11, 0x7c010000
	s_mov_b32 s14, exec_lo
	s_delay_alu instid0(VALU_DEP_2)
	v_cmpx_ne_u32_e32 0x7f, v87
	s_cbranch_execz .LBB286_869
; %bb.866:                              ;   in Loop: Header=BB286_806 Depth=1
	v_and_b32_e32 v11, 7, v0
	v_lshrrev_b32_e32 v12, 3, v87
	s_mov_b32 s15, exec_lo
	v_cmpx_gt_u32_e32 8, v87
; %bb.867:                              ;   in Loop: Header=BB286_806 Depth=1
	s_delay_alu instid0(VALU_DEP_3) | instskip(NEXT) | instid1(VALU_DEP_1)
	v_clz_i32_u32_e32 v11, v11
	v_min_u32_e32 v87, 32, v11
	s_delay_alu instid0(VALU_DEP_1) | instskip(NEXT) | instid1(VALU_DEP_1)
	v_subrev_nc_u32_e32 v11, 28, v87
	v_lshlrev_b64_e32 v[11:12], v11, v[0:1]
	v_sub_nc_u32_e32 v12, 29, v87
	s_delay_alu instid0(VALU_DEP_2)
	v_and_b32_e32 v11, 7, v11
; %bb.868:                              ;   in Loop: Header=BB286_806 Depth=1
	s_wait_alu 0xfffe
	s_or_b32 exec_lo, exec_lo, s15
	v_lshlrev_b32_e32 v0, 8, v0
	v_lshl_add_u32 v12, v12, 10, 0x2000
	v_lshlrev_b32_e32 v11, 23, v11
	s_delay_alu instid0(VALU_DEP_2) | instskip(NEXT) | instid1(VALU_DEP_1)
	v_and_or_b32 v0, 0x8000, v0, v12
	v_lshl_or_b32 v11, v0, 16, v11
.LBB286_869:                            ;   in Loop: Header=BB286_806 Depth=1
	s_wait_alu 0xfffe
	s_or_b32 exec_lo, exec_lo, s14
.LBB286_870:                            ;   in Loop: Header=BB286_806 Depth=1
	s_wait_alu 0xfffe
	s_or_b32 exec_lo, exec_lo, s11
.LBB286_871:                            ;   in Loop: Header=BB286_806 Depth=1
	s_wait_alu 0xfffe
	s_or_b32 exec_lo, exec_lo, s0
	v_or_b32_e32 v0, v80, v17
	s_wait_loadcnt_dscnt 0x0
	v_fma_mixlo_f16 v12, v67, v80, 0 op_sel:[0,1,0] op_sel_hi:[0,1,0]
	v_or_b32_e32 v71, v69, v71
	v_fma_mixlo_f16 v69, v67, v69, 0 op_sel:[0,1,0] op_sel_hi:[0,1,0]
	v_or_b32_e32 v80, v84, v83
	v_fma_mixlo_f16 v0, v67, v0, 0 op_sel_hi:[0,1,0]
	v_or_b32_e32 v82, v11, v82
	v_fma_mixlo_f16 v11, v67, v11, 0 op_sel:[0,1,0] op_sel_hi:[0,1,0]
	v_lshlrev_b32_e32 v101, 16, v69
	v_fma_mixlo_f16 v69, v67, v84, 0 op_sel:[0,1,0] op_sel_hi:[0,1,0]
	v_and_b32_e32 v98, 0xffff, v0
	v_fma_mixlo_f16 v0, v67, v71, 0 op_sel_hi:[0,1,0]
	v_fma_mixlo_f16 v71, v67, v80, 0 op_sel_hi:[0,1,0]
	;; [unrolled: 1-line block ×3, first 2 shown]
	v_add_nc_u32_e32 v17, v16, v48
	v_lshlrev_b32_e32 v12, 16, v12
	v_and_b32_e32 v103, 0xffff, v0
	v_lshlrev_b32_e32 v99, 16, v69
	v_and_b32_e32 v102, 0xffff, v71
	;; [unrolled: 2-line block ×3, first 2 shown]
	v_cmp_eq_u32_e32 vcc_lo, v51, v23
	v_or_b32_e32 v0, v12, v98
	v_or_b32_e32 v11, v101, v103
	;; [unrolled: 1-line block ×4, first 2 shown]
	v_add_nc_u32_e32 v84, 1, v17
	v_add_nc_u32_e32 v83, 2, v17
	;; [unrolled: 1-line block ×7, first 2 shown]
	s_and_saveexec_b32 s11, vcc_lo
	s_cbranch_execz .LBB286_873
; %bb.872:                              ;   in Loop: Header=BB286_806 Depth=1
	v_cmp_lt_i32_e64 s0, v17, v34
	s_wait_alu 0xf1ff
	s_delay_alu instid0(VALU_DEP_1) | instskip(SKIP_2) | instid1(VALU_DEP_1)
	v_cndmask_b32_e64 v0, 0, v103, s0
	v_cmp_lt_i32_e64 s0, v84, v34
	s_wait_alu 0xf1ff
	v_cndmask_b32_e64 v11, 0, v101, s0
	v_cmp_lt_i32_e64 s0, v83, v34
	s_delay_alu instid0(VALU_DEP_2) | instskip(SKIP_1) | instid1(VALU_DEP_2)
	v_or_b32_e32 v11, v0, v11
	s_wait_alu 0xf1ff
	v_cndmask_b32_e64 v87, 0, v98, s0
	v_cmp_lt_i32_e64 s0, v82, v34
	s_wait_alu 0xf1ff
	s_delay_alu instid0(VALU_DEP_1) | instskip(SKIP_1) | instid1(VALU_DEP_2)
	v_cndmask_b32_e64 v12, 0, v12, s0
	v_cmp_lt_i32_e64 s0, v80, v34
	v_or_b32_e32 v0, v87, v12
	s_wait_alu 0xf1ff
	s_delay_alu instid0(VALU_DEP_2) | instskip(SKIP_2) | instid1(VALU_DEP_1)
	v_cndmask_b32_e64 v97, 0, v102, s0
	v_cmp_lt_i32_e64 s0, v71, v34
	s_wait_alu 0xf1ff
	v_cndmask_b32_e64 v98, 0, v99, s0
	v_cmp_lt_i32_e64 s0, v69, v34
	s_delay_alu instid0(VALU_DEP_2) | instskip(SKIP_1) | instid1(VALU_DEP_2)
	v_or_b32_e32 v87, v97, v98
	s_wait_alu 0xf1ff
	v_cndmask_b32_e64 v99, 0, v100, s0
	v_cmp_lt_i32_e64 s0, v67, v34
	s_wait_alu 0xf1ff
	s_delay_alu instid0(VALU_DEP_1) | instskip(NEXT) | instid1(VALU_DEP_1)
	v_cndmask_b32_e64 v96, 0, v96, s0
	v_or_b32_e32 v97, v99, v96
.LBB286_873:                            ;   in Loop: Header=BB286_806 Depth=1
	s_wait_alu 0xfffe
	s_or_b32 exec_lo, exec_lo, s11
	v_and_b32_e32 v12, 0xffff, v52
	v_and_b32_e32 v52, 0xffff, v70
	;; [unrolled: 1-line block ×4, first 2 shown]
	s_mov_b32 s11, exec_lo
	v_lshl_or_b32 v81, v53, 16, v12
	v_lshl_or_b32 v70, v54, 16, v52
	;;#ASMSTART
	v_pk_mul_f16 v11, v81, v11;

	;;#ASMEND
	;;#ASMSTART
	v_pk_mul_f16 v0, v70, v0;

	;;#ASMEND
	v_lshl_or_b32 v68, v68, 16, v96
	v_lshl_or_b32 v54, v85, 16, v86
	;;#ASMSTART
	v_pk_mul_f16 v12, v68, v87;

	;;#ASMEND
	;;#ASMSTART
	v_pk_mul_f16 v52, v54, v97;

	;;#ASMEND
	;;#ASMSTART
	v_pk_add_f16 v0, v11, v0;

	;;#ASMEND
	;;#ASMSTART
	v_pk_add_f16 v0, v0, v12;
	;; [unrolled: 4-line block ×3, first 2 shown]

	;;#ASMEND
	v_dual_mov_b32 v86, 0 :: v_dual_and_b32 v11, 0xffff, v0
	v_lshrrev_b32_e32 v0, 16, v0
	;;#ASMSTART
	v_cvt_f32_f16 v52, v11;
	;;#ASMEND
	;;#ASMSTART
	v_cvt_f32_f16 v53, v0;
	;;#ASMEND
	flat_load_b64 v[11:12], v[9:10] offset:256
	flat_load_b32 v85, v[26:27]
	s_wait_loadcnt_dscnt 0x101
	v_dual_mov_b32 v87, 0 :: v_dual_and_b32 v0, 0xff, v11
	s_delay_alu instid0(VALU_DEP_1)
	v_cmpx_ne_u16_e32 0, v0
	s_cbranch_execz .LBB286_881
; %bb.874:                              ;   in Loop: Header=BB286_806 Depth=1
	v_mov_b32_e32 v87, 0x8000
	s_mov_b32 s14, exec_lo
	v_cmpx_ne_u16_e32 0x80, v0
	s_cbranch_execz .LBB286_880
; %bb.875:                              ;   in Loop: Header=BB286_806 Depth=1
	v_and_b32_e32 v96, 0x7f, v11
	v_mov_b32_e32 v87, 0x7c01
	s_mov_b32 s15, exec_lo
	s_delay_alu instid0(VALU_DEP_2)
	v_cmpx_ne_u32_e32 0x7f, v96
	s_cbranch_execz .LBB286_879
; %bb.876:                              ;   in Loop: Header=BB286_806 Depth=1
	v_and_b32_e32 v0, 7, v11
	v_lshrrev_b32_e32 v87, 3, v96
	s_mov_b32 s16, exec_lo
	v_cmpx_gt_u32_e32 8, v96
; %bb.877:                              ;   in Loop: Header=BB286_806 Depth=1
	s_delay_alu instid0(VALU_DEP_3) | instskip(NEXT) | instid1(VALU_DEP_1)
	v_clz_i32_u32_e32 v0, v0
	v_min_u32_e32 v0, 32, v0
	s_delay_alu instid0(VALU_DEP_1) | instskip(NEXT) | instid1(VALU_DEP_1)
	v_subrev_nc_u32_e32 v87, 28, v0
	v_lshlrev_b64_e32 v[96:97], v87, v[11:12]
	v_sub_nc_u32_e32 v87, 29, v0
	s_delay_alu instid0(VALU_DEP_2)
	v_and_b32_e32 v0, 7, v96
; %bb.878:                              ;   in Loop: Header=BB286_806 Depth=1
	s_wait_alu 0xfffe
	s_or_b32 exec_lo, exec_lo, s16
	v_lshlrev_b32_e32 v96, 8, v11
	v_lshl_add_u32 v87, v87, 10, 0x2000
	v_lshlrev_b32_e32 v0, 7, v0
	s_delay_alu instid0(VALU_DEP_3) | instskip(NEXT) | instid1(VALU_DEP_3)
	v_and_b32_e32 v96, 0x8000, v96
	v_and_b32_e32 v87, 0xfc00, v87
	s_delay_alu instid0(VALU_DEP_1)
	v_or3_b32 v87, v96, v87, v0
.LBB286_879:                            ;   in Loop: Header=BB286_806 Depth=1
	s_wait_alu 0xfffe
	s_or_b32 exec_lo, exec_lo, s15
.LBB286_880:                            ;   in Loop: Header=BB286_806 Depth=1
	s_wait_alu 0xfffe
	s_or_b32 exec_lo, exec_lo, s14
.LBB286_881:                            ;   in Loop: Header=BB286_806 Depth=1
	s_wait_alu 0xfffe
	s_or_b32 exec_lo, exec_lo, s11
	v_lshrrev_b16 v0, 8, v11
	s_mov_b32 s11, exec_lo
	s_delay_alu instid0(VALU_DEP_1)
	v_cmpx_ne_u16_e32 0, v0
	s_cbranch_execz .LBB286_889
; %bb.882:                              ;   in Loop: Header=BB286_806 Depth=1
	v_bfrev_b32_e32 v86, 1
	s_mov_b32 s14, exec_lo
	v_cmpx_ne_u16_e32 0x80, v0
	s_cbranch_execz .LBB286_888
; %bb.883:                              ;   in Loop: Header=BB286_806 Depth=1
	v_and_b32_e32 v96, 0xffff, v0
	v_mov_b32_e32 v86, 0x7c010000
	s_mov_b32 s15, exec_lo
	s_delay_alu instid0(VALU_DEP_2) | instskip(NEXT) | instid1(VALU_DEP_1)
	v_and_b32_e32 v98, 0x7f, v96
	v_cmpx_ne_u32_e32 0x7f, v98
	s_cbranch_execz .LBB286_887
; %bb.884:                              ;   in Loop: Header=BB286_806 Depth=1
	v_and_b32_e32 v86, 7, v96
	v_lshrrev_b32_e32 v97, 3, v98
	s_mov_b32 s16, exec_lo
	v_cmpx_gt_u32_e32 8, v98
; %bb.885:                              ;   in Loop: Header=BB286_806 Depth=1
	s_delay_alu instid0(VALU_DEP_3) | instskip(NEXT) | instid1(VALU_DEP_1)
	v_clz_i32_u32_e32 v86, v86
	v_min_u32_e32 v86, 32, v86
	s_delay_alu instid0(VALU_DEP_1) | instskip(NEXT) | instid1(VALU_DEP_1)
	v_subrev_nc_u32_e32 v97, 28, v86
	v_lshlrev_b64_e32 v[98:99], v97, v[0:1]
	v_sub_nc_u32_e32 v97, 29, v86
	s_delay_alu instid0(VALU_DEP_2)
	v_and_b32_e32 v86, 7, v98
; %bb.886:                              ;   in Loop: Header=BB286_806 Depth=1
	s_wait_alu 0xfffe
	s_or_b32 exec_lo, exec_lo, s16
	v_lshlrev_b32_e32 v0, 8, v96
	v_lshl_add_u32 v96, v97, 10, 0x2000
	v_lshlrev_b32_e32 v86, 23, v86
	s_delay_alu instid0(VALU_DEP_2) | instskip(NEXT) | instid1(VALU_DEP_1)
	v_and_or_b32 v0, 0x8000, v0, v96
	v_lshl_or_b32 v86, v0, 16, v86
.LBB286_887:                            ;   in Loop: Header=BB286_806 Depth=1
	s_wait_alu 0xfffe
	s_or_b32 exec_lo, exec_lo, s15
.LBB286_888:                            ;   in Loop: Header=BB286_806 Depth=1
	s_wait_alu 0xfffe
	s_or_b32 exec_lo, exec_lo, s14
.LBB286_889:                            ;   in Loop: Header=BB286_806 Depth=1
	s_wait_alu 0xfffe
	s_or_b32 exec_lo, exec_lo, s11
	v_lshrrev_b32_e32 v0, 16, v11
	v_mov_b32_e32 v96, 0
	s_mov_b32 s11, exec_lo
	s_delay_alu instid0(VALU_DEP_2) | instskip(NEXT) | instid1(VALU_DEP_1)
	v_dual_mov_b32 v97, 0 :: v_dual_and_b32 v98, 0xff, v0
	v_cmpx_ne_u16_e32 0, v98
	s_cbranch_execz .LBB286_897
; %bb.890:                              ;   in Loop: Header=BB286_806 Depth=1
	v_mov_b32_e32 v97, 0x8000
	s_mov_b32 s14, exec_lo
	v_cmpx_ne_u16_e32 0x80, v98
	s_cbranch_execz .LBB286_896
; %bb.891:                              ;   in Loop: Header=BB286_806 Depth=1
	v_bfe_u32 v99, v11, 16, 7
	v_mov_b32_e32 v97, 0x7c01
	s_mov_b32 s15, exec_lo
	s_delay_alu instid0(VALU_DEP_2)
	v_cmpx_ne_u32_e32 0x7f, v99
	s_cbranch_execz .LBB286_895
; %bb.892:                              ;   in Loop: Header=BB286_806 Depth=1
	v_and_b32_e32 v97, 7, v0
	v_lshrrev_b32_e32 v98, 3, v99
	s_mov_b32 s16, exec_lo
	v_cmpx_gt_u32_e32 8, v99
; %bb.893:                              ;   in Loop: Header=BB286_806 Depth=1
	s_delay_alu instid0(VALU_DEP_3) | instskip(NEXT) | instid1(VALU_DEP_1)
	v_clz_i32_u32_e32 v97, v97
	v_min_u32_e32 v99, 32, v97
	s_delay_alu instid0(VALU_DEP_1) | instskip(NEXT) | instid1(VALU_DEP_1)
	v_subrev_nc_u32_e32 v97, 28, v99
	v_lshlrev_b64_e32 v[97:98], v97, v[0:1]
	v_sub_nc_u32_e32 v98, 29, v99
	s_delay_alu instid0(VALU_DEP_2)
	v_and_b32_e32 v97, 7, v97
; %bb.894:                              ;   in Loop: Header=BB286_806 Depth=1
	s_wait_alu 0xfffe
	s_or_b32 exec_lo, exec_lo, s16
	v_lshlrev_b32_e32 v0, 8, v0
	v_lshl_add_u32 v98, v98, 10, 0x2000
	v_lshlrev_b32_e32 v97, 7, v97
	s_delay_alu instid0(VALU_DEP_3) | instskip(NEXT) | instid1(VALU_DEP_3)
	v_and_b32_e32 v0, 0x8000, v0
	v_and_b32_e32 v98, 0xfc00, v98
	s_delay_alu instid0(VALU_DEP_1)
	v_or3_b32 v97, v0, v98, v97
.LBB286_895:                            ;   in Loop: Header=BB286_806 Depth=1
	s_wait_alu 0xfffe
	s_or_b32 exec_lo, exec_lo, s15
.LBB286_896:                            ;   in Loop: Header=BB286_806 Depth=1
	s_wait_alu 0xfffe
	s_or_b32 exec_lo, exec_lo, s14
.LBB286_897:                            ;   in Loop: Header=BB286_806 Depth=1
	s_wait_alu 0xfffe
	s_or_b32 exec_lo, exec_lo, s11
	s_delay_alu instid0(SALU_CYCLE_1)
	s_mov_b32 s11, exec_lo
	v_cmpx_lt_u32_e32 0xffffff, v11
	s_cbranch_execz .LBB286_905
; %bb.898:                              ;   in Loop: Header=BB286_806 Depth=1
	v_lshrrev_b32_e32 v0, 24, v11
	v_bfrev_b32_e32 v96, 1
	s_mov_b32 s14, exec_lo
	s_delay_alu instid0(VALU_DEP_2)
	v_cmpx_ne_u32_e32 0x80, v0
	s_cbranch_execz .LBB286_904
; %bb.899:                              ;   in Loop: Header=BB286_806 Depth=1
	v_and_b32_e32 v99, 0x7f, v0
	v_mov_b32_e32 v96, 0x7c010000
	s_mov_b32 s15, exec_lo
	s_delay_alu instid0(VALU_DEP_2)
	v_cmpx_ne_u32_e32 0x7f, v99
	s_cbranch_execz .LBB286_903
; %bb.900:                              ;   in Loop: Header=BB286_806 Depth=1
	v_and_b32_e32 v96, 7, v0
	v_lshrrev_b32_e32 v98, 3, v99
	s_mov_b32 s16, exec_lo
	v_cmpx_gt_u32_e32 8, v99
; %bb.901:                              ;   in Loop: Header=BB286_806 Depth=1
	s_delay_alu instid0(VALU_DEP_3) | instskip(NEXT) | instid1(VALU_DEP_1)
	v_clz_i32_u32_e32 v96, v96
	v_min_u32_e32 v96, 32, v96
	s_delay_alu instid0(VALU_DEP_1) | instskip(NEXT) | instid1(VALU_DEP_1)
	v_subrev_nc_u32_e32 v98, 28, v96
	v_lshlrev_b64_e32 v[99:100], v98, v[0:1]
	v_sub_nc_u32_e32 v98, 29, v96
	s_delay_alu instid0(VALU_DEP_2)
	v_and_b32_e32 v96, 7, v99
; %bb.902:                              ;   in Loop: Header=BB286_806 Depth=1
	s_wait_alu 0xfffe
	s_or_b32 exec_lo, exec_lo, s16
	v_lshlrev_b32_e32 v0, 8, v0
	v_lshl_add_u32 v98, v98, 10, 0x2000
	v_lshlrev_b32_e32 v96, 23, v96
	s_delay_alu instid0(VALU_DEP_2) | instskip(NEXT) | instid1(VALU_DEP_1)
	v_and_or_b32 v0, 0x8000, v0, v98
	v_lshl_or_b32 v96, v0, 16, v96
.LBB286_903:                            ;   in Loop: Header=BB286_806 Depth=1
	s_wait_alu 0xfffe
	s_or_b32 exec_lo, exec_lo, s15
.LBB286_904:                            ;   in Loop: Header=BB286_806 Depth=1
	s_wait_alu 0xfffe
	s_or_b32 exec_lo, exec_lo, s14
.LBB286_905:                            ;   in Loop: Header=BB286_806 Depth=1
	s_wait_alu 0xfffe
	s_or_b32 exec_lo, exec_lo, s11
	v_dual_mov_b32 v99, 0 :: v_dual_and_b32 v100, 0xff, v12
	v_mov_b32_e32 v0, v12
	v_mov_b32_e32 v98, 0
	s_mov_b32 s11, exec_lo
	s_delay_alu instid0(VALU_DEP_3)
	v_cmpx_ne_u16_e32 0, v100
	s_cbranch_execz .LBB286_913
; %bb.906:                              ;   in Loop: Header=BB286_806 Depth=1
	v_mov_b32_e32 v99, 0x8000
	s_mov_b32 s14, exec_lo
	v_cmpx_ne_u16_e32 0x80, v100
	s_cbranch_execz .LBB286_912
; %bb.907:                              ;   in Loop: Header=BB286_806 Depth=1
	v_and_b32_e32 v101, 0x7f, v12
	v_mov_b32_e32 v99, 0x7c01
	s_mov_b32 s15, exec_lo
	s_delay_alu instid0(VALU_DEP_2)
	v_cmpx_ne_u32_e32 0x7f, v101
	s_cbranch_execz .LBB286_911
; %bb.908:                              ;   in Loop: Header=BB286_806 Depth=1
	v_and_b32_e32 v99, 7, v12
	v_lshrrev_b32_e32 v100, 3, v101
	s_mov_b32 s16, exec_lo
	v_cmpx_gt_u32_e32 8, v101
; %bb.909:                              ;   in Loop: Header=BB286_806 Depth=1
	s_delay_alu instid0(VALU_DEP_3) | instskip(NEXT) | instid1(VALU_DEP_1)
	v_clz_i32_u32_e32 v99, v99
	v_min_u32_e32 v101, 32, v99
	s_delay_alu instid0(VALU_DEP_1) | instskip(NEXT) | instid1(VALU_DEP_1)
	v_subrev_nc_u32_e32 v99, 28, v101
	v_lshlrev_b64_e32 v[99:100], v99, v[0:1]
	v_sub_nc_u32_e32 v100, 29, v101
	s_delay_alu instid0(VALU_DEP_2)
	v_and_b32_e32 v99, 7, v99
; %bb.910:                              ;   in Loop: Header=BB286_806 Depth=1
	s_wait_alu 0xfffe
	s_or_b32 exec_lo, exec_lo, s16
	v_lshlrev_b32_e32 v101, 8, v12
	v_lshl_add_u32 v100, v100, 10, 0x2000
	v_lshlrev_b32_e32 v99, 7, v99
	s_delay_alu instid0(VALU_DEP_3) | instskip(NEXT) | instid1(VALU_DEP_3)
	v_and_b32_e32 v101, 0x8000, v101
	v_and_b32_e32 v100, 0xfc00, v100
	s_delay_alu instid0(VALU_DEP_1)
	v_or3_b32 v99, v101, v100, v99
.LBB286_911:                            ;   in Loop: Header=BB286_806 Depth=1
	s_wait_alu 0xfffe
	s_or_b32 exec_lo, exec_lo, s15
.LBB286_912:                            ;   in Loop: Header=BB286_806 Depth=1
	s_wait_alu 0xfffe
	s_or_b32 exec_lo, exec_lo, s14
.LBB286_913:                            ;   in Loop: Header=BB286_806 Depth=1
	s_wait_alu 0xfffe
	s_or_b32 exec_lo, exec_lo, s11
	v_lshrrev_b16 v0, 8, v0
	v_mov_b32_e32 v100, 0
	s_mov_b32 s11, exec_lo
	s_delay_alu instid0(VALU_DEP_2)
	v_cmpx_ne_u16_e32 0, v0
	s_cbranch_execz .LBB286_921
; %bb.914:                              ;   in Loop: Header=BB286_806 Depth=1
	v_bfrev_b32_e32 v100, 1
	s_mov_b32 s14, exec_lo
	v_cmpx_ne_u16_e32 0x80, v0
	s_cbranch_execz .LBB286_920
; %bb.915:                              ;   in Loop: Header=BB286_806 Depth=1
	v_and_b32_e32 v101, 0xffff, v0
	v_mov_b32_e32 v100, 0x7c010000
	s_mov_b32 s15, exec_lo
	s_delay_alu instid0(VALU_DEP_2) | instskip(NEXT) | instid1(VALU_DEP_1)
	v_and_b32_e32 v103, 0x7f, v101
	v_cmpx_ne_u32_e32 0x7f, v103
	s_cbranch_execz .LBB286_919
; %bb.916:                              ;   in Loop: Header=BB286_806 Depth=1
	v_and_b32_e32 v100, 7, v101
	v_lshrrev_b32_e32 v102, 3, v103
	s_mov_b32 s16, exec_lo
	v_cmpx_gt_u32_e32 8, v103
; %bb.917:                              ;   in Loop: Header=BB286_806 Depth=1
	s_delay_alu instid0(VALU_DEP_3) | instskip(NEXT) | instid1(VALU_DEP_1)
	v_clz_i32_u32_e32 v100, v100
	v_min_u32_e32 v100, 32, v100
	s_delay_alu instid0(VALU_DEP_1) | instskip(NEXT) | instid1(VALU_DEP_1)
	v_subrev_nc_u32_e32 v102, 28, v100
	v_lshlrev_b64_e32 v[112:113], v102, v[0:1]
	v_sub_nc_u32_e32 v102, 29, v100
	s_delay_alu instid0(VALU_DEP_2)
	v_and_b32_e32 v100, 7, v112
; %bb.918:                              ;   in Loop: Header=BB286_806 Depth=1
	s_wait_alu 0xfffe
	s_or_b32 exec_lo, exec_lo, s16
	v_lshlrev_b32_e32 v0, 8, v101
	v_lshl_add_u32 v101, v102, 10, 0x2000
	v_lshlrev_b32_e32 v100, 23, v100
	s_delay_alu instid0(VALU_DEP_2) | instskip(NEXT) | instid1(VALU_DEP_1)
	v_and_or_b32 v0, 0x8000, v0, v101
	v_lshl_or_b32 v100, v0, 16, v100
.LBB286_919:                            ;   in Loop: Header=BB286_806 Depth=1
	s_wait_alu 0xfffe
	s_or_b32 exec_lo, exec_lo, s15
.LBB286_920:                            ;   in Loop: Header=BB286_806 Depth=1
	s_wait_alu 0xfffe
	s_or_b32 exec_lo, exec_lo, s14
.LBB286_921:                            ;   in Loop: Header=BB286_806 Depth=1
	s_wait_alu 0xfffe
	s_or_b32 exec_lo, exec_lo, s11
	v_lshrrev_b32_e32 v0, 16, v12
	s_mov_b32 s11, exec_lo
	s_delay_alu instid0(VALU_DEP_1) | instskip(NEXT) | instid1(VALU_DEP_1)
	v_and_b32_e32 v101, 0xff, v0
	v_cmpx_ne_u16_e32 0, v101
	s_cbranch_execz .LBB286_929
; %bb.922:                              ;   in Loop: Header=BB286_806 Depth=1
	v_mov_b32_e32 v98, 0x8000
	s_mov_b32 s14, exec_lo
	v_cmpx_ne_u16_e32 0x80, v101
	s_cbranch_execz .LBB286_928
; %bb.923:                              ;   in Loop: Header=BB286_806 Depth=1
	v_bfe_u32 v102, v12, 16, 7
	v_mov_b32_e32 v98, 0x7c01
	s_mov_b32 s15, exec_lo
	s_delay_alu instid0(VALU_DEP_2)
	v_cmpx_ne_u32_e32 0x7f, v102
	s_cbranch_execz .LBB286_927
; %bb.924:                              ;   in Loop: Header=BB286_806 Depth=1
	v_and_b32_e32 v98, 7, v0
	v_lshrrev_b32_e32 v101, 3, v102
	s_mov_b32 s16, exec_lo
	v_cmpx_gt_u32_e32 8, v102
; %bb.925:                              ;   in Loop: Header=BB286_806 Depth=1
	s_delay_alu instid0(VALU_DEP_3) | instskip(NEXT) | instid1(VALU_DEP_1)
	v_clz_i32_u32_e32 v98, v98
	v_min_u32_e32 v98, 32, v98
	s_delay_alu instid0(VALU_DEP_1) | instskip(NEXT) | instid1(VALU_DEP_1)
	v_subrev_nc_u32_e32 v101, 28, v98
	v_lshlrev_b64_e32 v[102:103], v101, v[0:1]
	v_sub_nc_u32_e32 v101, 29, v98
	s_delay_alu instid0(VALU_DEP_2)
	v_and_b32_e32 v98, 7, v102
; %bb.926:                              ;   in Loop: Header=BB286_806 Depth=1
	s_wait_alu 0xfffe
	s_or_b32 exec_lo, exec_lo, s16
	v_lshlrev_b32_e32 v0, 8, v0
	v_lshl_add_u32 v101, v101, 10, 0x2000
	v_lshlrev_b32_e32 v98, 7, v98
	s_delay_alu instid0(VALU_DEP_3) | instskip(NEXT) | instid1(VALU_DEP_3)
	v_and_b32_e32 v0, 0x8000, v0
	v_and_b32_e32 v101, 0xfc00, v101
	s_delay_alu instid0(VALU_DEP_1)
	v_or3_b32 v98, v0, v101, v98
.LBB286_927:                            ;   in Loop: Header=BB286_806 Depth=1
	s_wait_alu 0xfffe
	s_or_b32 exec_lo, exec_lo, s15
.LBB286_928:                            ;   in Loop: Header=BB286_806 Depth=1
	s_wait_alu 0xfffe
	s_or_b32 exec_lo, exec_lo, s14
.LBB286_929:                            ;   in Loop: Header=BB286_806 Depth=1
	s_wait_alu 0xfffe
	s_or_b32 exec_lo, exec_lo, s11
	v_cmp_lt_u64_e64 s0, s[8:9], v[11:12]
	v_mov_b32_e32 v11, 0
	s_and_saveexec_b32 s11, s0
	s_cbranch_execz .LBB286_937
; %bb.930:                              ;   in Loop: Header=BB286_806 Depth=1
	v_lshrrev_b32_e32 v0, 24, v12
	v_bfrev_b32_e32 v11, 1
	s_mov_b32 s14, exec_lo
	s_delay_alu instid0(VALU_DEP_2)
	v_cmpx_ne_u32_e32 0x80, v0
	s_cbranch_execz .LBB286_936
; %bb.931:                              ;   in Loop: Header=BB286_806 Depth=1
	v_and_b32_e32 v101, 0x7f, v0
	v_mov_b32_e32 v11, 0x7c010000
	s_mov_b32 s15, exec_lo
	s_delay_alu instid0(VALU_DEP_2)
	v_cmpx_ne_u32_e32 0x7f, v101
	s_cbranch_execz .LBB286_935
; %bb.932:                              ;   in Loop: Header=BB286_806 Depth=1
	v_and_b32_e32 v11, 7, v0
	v_lshrrev_b32_e32 v12, 3, v101
	s_mov_b32 s16, exec_lo
	v_cmpx_gt_u32_e32 8, v101
; %bb.933:                              ;   in Loop: Header=BB286_806 Depth=1
	s_delay_alu instid0(VALU_DEP_3) | instskip(NEXT) | instid1(VALU_DEP_1)
	v_clz_i32_u32_e32 v11, v11
	v_min_u32_e32 v101, 32, v11
	s_delay_alu instid0(VALU_DEP_1) | instskip(NEXT) | instid1(VALU_DEP_1)
	v_subrev_nc_u32_e32 v11, 28, v101
	v_lshlrev_b64_e32 v[11:12], v11, v[0:1]
	v_sub_nc_u32_e32 v12, 29, v101
	s_delay_alu instid0(VALU_DEP_2)
	v_and_b32_e32 v11, 7, v11
; %bb.934:                              ;   in Loop: Header=BB286_806 Depth=1
	s_wait_alu 0xfffe
	s_or_b32 exec_lo, exec_lo, s16
	v_lshlrev_b32_e32 v0, 8, v0
	v_lshl_add_u32 v12, v12, 10, 0x2000
	v_lshlrev_b32_e32 v11, 23, v11
	s_delay_alu instid0(VALU_DEP_2) | instskip(NEXT) | instid1(VALU_DEP_1)
	v_and_or_b32 v0, 0x8000, v0, v12
	v_lshl_or_b32 v11, v0, 16, v11
.LBB286_935:                            ;   in Loop: Header=BB286_806 Depth=1
	s_wait_alu 0xfffe
	s_or_b32 exec_lo, exec_lo, s15
.LBB286_936:                            ;   in Loop: Header=BB286_806 Depth=1
	s_wait_alu 0xfffe
	s_or_b32 exec_lo, exec_lo, s14
.LBB286_937:                            ;   in Loop: Header=BB286_806 Depth=1
	s_wait_alu 0xfffe
	s_or_b32 exec_lo, exec_lo, s11
	v_or_b32_e32 v0, v96, v97
	s_wait_loadcnt_dscnt 0x0
	v_fma_mixlo_f16 v12, v85, v96, 0 op_sel:[0,1,0] op_sel_hi:[0,1,0]
	v_or_b32_e32 v96, v86, v87
	v_fma_mixlo_f16 v86, v85, v86, 0 op_sel:[0,1,0] op_sel_hi:[0,1,0]
	v_or_b32_e32 v97, v100, v99
	v_or_b32_e32 v98, v11, v98
	v_fma_mixlo_f16 v99, v85, v0, 0 op_sel_hi:[0,1,0]
	v_fma_mixlo_f16 v11, v85, v11, 0 op_sel:[0,1,0] op_sel_hi:[0,1,0]
	v_lshlrev_b32_e32 v87, 16, v86
	v_fma_mixlo_f16 v86, v85, v96, 0 op_sel_hi:[0,1,0]
	v_fma_mixlo_f16 v96, v85, v100, 0 op_sel:[0,1,0] op_sel_hi:[0,1,0]
	v_fma_mixlo_f16 v97, v85, v97, 0 op_sel_hi:[0,1,0]
	v_fma_mixlo_f16 v98, v85, v98, 0 op_sel_hi:[0,1,0]
	v_lshlrev_b32_e32 v0, 16, v12
	v_and_b32_e32 v12, 0xffff, v99
	v_and_b32_e32 v101, 0xffff, v86
	v_lshlrev_b32_e32 v85, 16, v96
	v_and_b32_e32 v97, 0xffff, v97
	v_lshlrev_b32_e32 v11, 16, v11
	v_and_b32_e32 v86, 0xffff, v98
	v_or_b32_e32 v96, v0, v12
	v_or_b32_e32 v100, v87, v101
	v_or_b32_e32 v99, v85, v97
	s_delay_alu instid0(VALU_DEP_4)
	v_or_b32_e32 v98, v11, v86
	s_and_saveexec_b32 s11, vcc_lo
	s_cbranch_execz .LBB286_939
; %bb.938:                              ;   in Loop: Header=BB286_806 Depth=1
	v_cmp_lt_i32_e64 s0, v17, v34
	s_wait_alu 0xf1ff
	s_delay_alu instid0(VALU_DEP_1) | instskip(SKIP_2) | instid1(VALU_DEP_1)
	v_cndmask_b32_e64 v96, 0, v101, s0
	v_cmp_lt_i32_e64 s0, v84, v34
	s_wait_alu 0xf1ff
	v_cndmask_b32_e64 v87, 0, v87, s0
	v_cmp_lt_i32_e64 s0, v83, v34
	s_delay_alu instid0(VALU_DEP_2) | instskip(SKIP_1) | instid1(VALU_DEP_2)
	v_or_b32_e32 v100, v96, v87
	s_wait_alu 0xf1ff
	v_cndmask_b32_e64 v12, 0, v12, s0
	v_cmp_lt_i32_e64 s0, v82, v34
	s_wait_alu 0xf1ff
	s_delay_alu instid0(VALU_DEP_1) | instskip(SKIP_1) | instid1(VALU_DEP_2)
	v_cndmask_b32_e64 v0, 0, v0, s0
	v_cmp_lt_i32_e64 s0, v80, v34
	v_or_b32_e32 v96, v12, v0
	s_wait_alu 0xf1ff
	s_delay_alu instid0(VALU_DEP_2) | instskip(SKIP_2) | instid1(VALU_DEP_1)
	v_cndmask_b32_e64 v97, 0, v97, s0
	v_cmp_lt_i32_e64 s0, v71, v34
	s_wait_alu 0xf1ff
	v_cndmask_b32_e64 v85, 0, v85, s0
	v_cmp_lt_i32_e64 s0, v69, v34
	s_delay_alu instid0(VALU_DEP_2) | instskip(SKIP_1) | instid1(VALU_DEP_2)
	v_or_b32_e32 v99, v97, v85
	s_wait_alu 0xf1ff
	v_cndmask_b32_e64 v86, 0, v86, s0
	v_cmp_lt_i32_e64 s0, v67, v34
	s_wait_alu 0xf1ff
	s_delay_alu instid0(VALU_DEP_1) | instskip(NEXT) | instid1(VALU_DEP_1)
	v_cndmask_b32_e64 v11, 0, v11, s0
	v_or_b32_e32 v98, v86, v11
.LBB286_939:                            ;   in Loop: Header=BB286_806 Depth=1
	s_wait_alu 0xfffe
	s_or_b32 exec_lo, exec_lo, s11
	;;#ASMSTART
	v_pk_mul_f16 v0, v81, v100;

	;;#ASMEND
	;;#ASMSTART
	v_pk_mul_f16 v11, v70, v96;

	;;#ASMEND
	;; [unrolled: 4-line block ×4, first 2 shown]
	;;#ASMSTART
	v_pk_add_f16 v0, v0, v11;

	;;#ASMEND
	;;#ASMSTART
	v_pk_add_f16 v0, v0, v12;

	;;#ASMEND
	;; [unrolled: 4-line block ×3, first 2 shown]
	v_dual_mov_b32 v96, 0 :: v_dual_and_b32 v11, 0xffff, v0
	v_lshrrev_b32_e32 v0, 16, v0
	;;#ASMSTART
	v_cvt_f32_f16 v85, v11;
	;;#ASMEND
	;;#ASMSTART
	v_cvt_f32_f16 v86, v0;
	;;#ASMEND
	flat_load_b64 v[11:12], v[9:10] offset:512
	flat_load_b32 v87, v[26:27]
	s_mov_b32 s11, exec_lo
	s_wait_loadcnt_dscnt 0x101
	v_dual_mov_b32 v97, 0 :: v_dual_and_b32 v0, 0xff, v11
	s_delay_alu instid0(VALU_DEP_1)
	v_cmpx_ne_u16_e32 0, v0
	s_cbranch_execz .LBB286_947
; %bb.940:                              ;   in Loop: Header=BB286_806 Depth=1
	v_mov_b32_e32 v97, 0x8000
	s_mov_b32 s14, exec_lo
	v_cmpx_ne_u16_e32 0x80, v0
	s_cbranch_execz .LBB286_946
; %bb.941:                              ;   in Loop: Header=BB286_806 Depth=1
	v_and_b32_e32 v98, 0x7f, v11
	v_mov_b32_e32 v97, 0x7c01
	s_mov_b32 s15, exec_lo
	s_delay_alu instid0(VALU_DEP_2)
	v_cmpx_ne_u32_e32 0x7f, v98
	s_cbranch_execz .LBB286_945
; %bb.942:                              ;   in Loop: Header=BB286_806 Depth=1
	v_and_b32_e32 v0, 7, v11
	v_lshrrev_b32_e32 v97, 3, v98
	s_mov_b32 s16, exec_lo
	v_cmpx_gt_u32_e32 8, v98
; %bb.943:                              ;   in Loop: Header=BB286_806 Depth=1
	s_delay_alu instid0(VALU_DEP_3) | instskip(NEXT) | instid1(VALU_DEP_1)
	v_clz_i32_u32_e32 v0, v0
	v_min_u32_e32 v0, 32, v0
	s_delay_alu instid0(VALU_DEP_1) | instskip(NEXT) | instid1(VALU_DEP_1)
	v_subrev_nc_u32_e32 v97, 28, v0
	v_lshlrev_b64_e32 v[98:99], v97, v[11:12]
	v_sub_nc_u32_e32 v97, 29, v0
	s_delay_alu instid0(VALU_DEP_2)
	v_and_b32_e32 v0, 7, v98
; %bb.944:                              ;   in Loop: Header=BB286_806 Depth=1
	s_wait_alu 0xfffe
	s_or_b32 exec_lo, exec_lo, s16
	v_lshlrev_b32_e32 v98, 8, v11
	v_lshl_add_u32 v97, v97, 10, 0x2000
	v_lshlrev_b32_e32 v0, 7, v0
	s_delay_alu instid0(VALU_DEP_3) | instskip(NEXT) | instid1(VALU_DEP_3)
	v_and_b32_e32 v98, 0x8000, v98
	v_and_b32_e32 v97, 0xfc00, v97
	s_delay_alu instid0(VALU_DEP_1)
	v_or3_b32 v97, v98, v97, v0
.LBB286_945:                            ;   in Loop: Header=BB286_806 Depth=1
	s_wait_alu 0xfffe
	s_or_b32 exec_lo, exec_lo, s15
.LBB286_946:                            ;   in Loop: Header=BB286_806 Depth=1
	s_wait_alu 0xfffe
	s_or_b32 exec_lo, exec_lo, s14
.LBB286_947:                            ;   in Loop: Header=BB286_806 Depth=1
	s_wait_alu 0xfffe
	s_or_b32 exec_lo, exec_lo, s11
	v_lshrrev_b16 v0, 8, v11
	s_mov_b32 s11, exec_lo
	s_delay_alu instid0(VALU_DEP_1)
	v_cmpx_ne_u16_e32 0, v0
	s_cbranch_execz .LBB286_955
; %bb.948:                              ;   in Loop: Header=BB286_806 Depth=1
	v_bfrev_b32_e32 v96, 1
	s_mov_b32 s14, exec_lo
	v_cmpx_ne_u16_e32 0x80, v0
	s_cbranch_execz .LBB286_954
; %bb.949:                              ;   in Loop: Header=BB286_806 Depth=1
	v_and_b32_e32 v98, 0xffff, v0
	v_mov_b32_e32 v96, 0x7c010000
	s_mov_b32 s15, exec_lo
	s_delay_alu instid0(VALU_DEP_2) | instskip(NEXT) | instid1(VALU_DEP_1)
	v_and_b32_e32 v100, 0x7f, v98
	v_cmpx_ne_u32_e32 0x7f, v100
	s_cbranch_execz .LBB286_953
; %bb.950:                              ;   in Loop: Header=BB286_806 Depth=1
	v_and_b32_e32 v96, 7, v98
	v_lshrrev_b32_e32 v99, 3, v100
	s_mov_b32 s16, exec_lo
	v_cmpx_gt_u32_e32 8, v100
; %bb.951:                              ;   in Loop: Header=BB286_806 Depth=1
	s_delay_alu instid0(VALU_DEP_3) | instskip(NEXT) | instid1(VALU_DEP_1)
	v_clz_i32_u32_e32 v96, v96
	v_min_u32_e32 v96, 32, v96
	s_delay_alu instid0(VALU_DEP_1) | instskip(NEXT) | instid1(VALU_DEP_1)
	v_subrev_nc_u32_e32 v99, 28, v96
	v_lshlrev_b64_e32 v[100:101], v99, v[0:1]
	v_sub_nc_u32_e32 v99, 29, v96
	s_delay_alu instid0(VALU_DEP_2)
	v_and_b32_e32 v96, 7, v100
; %bb.952:                              ;   in Loop: Header=BB286_806 Depth=1
	s_wait_alu 0xfffe
	s_or_b32 exec_lo, exec_lo, s16
	v_lshlrev_b32_e32 v0, 8, v98
	v_lshl_add_u32 v98, v99, 10, 0x2000
	v_lshlrev_b32_e32 v96, 23, v96
	s_delay_alu instid0(VALU_DEP_2) | instskip(NEXT) | instid1(VALU_DEP_1)
	v_and_or_b32 v0, 0x8000, v0, v98
	v_lshl_or_b32 v96, v0, 16, v96
.LBB286_953:                            ;   in Loop: Header=BB286_806 Depth=1
	s_wait_alu 0xfffe
	s_or_b32 exec_lo, exec_lo, s15
.LBB286_954:                            ;   in Loop: Header=BB286_806 Depth=1
	s_wait_alu 0xfffe
	s_or_b32 exec_lo, exec_lo, s14
.LBB286_955:                            ;   in Loop: Header=BB286_806 Depth=1
	s_wait_alu 0xfffe
	s_or_b32 exec_lo, exec_lo, s11
	v_lshrrev_b32_e32 v0, 16, v11
	v_mov_b32_e32 v98, 0
	s_mov_b32 s11, exec_lo
	s_delay_alu instid0(VALU_DEP_2) | instskip(NEXT) | instid1(VALU_DEP_1)
	v_dual_mov_b32 v99, 0 :: v_dual_and_b32 v100, 0xff, v0
	v_cmpx_ne_u16_e32 0, v100
	s_cbranch_execz .LBB286_963
; %bb.956:                              ;   in Loop: Header=BB286_806 Depth=1
	v_mov_b32_e32 v99, 0x8000
	s_mov_b32 s14, exec_lo
	v_cmpx_ne_u16_e32 0x80, v100
	s_cbranch_execz .LBB286_962
; %bb.957:                              ;   in Loop: Header=BB286_806 Depth=1
	v_bfe_u32 v101, v11, 16, 7
	v_mov_b32_e32 v99, 0x7c01
	s_mov_b32 s15, exec_lo
	s_delay_alu instid0(VALU_DEP_2)
	v_cmpx_ne_u32_e32 0x7f, v101
	s_cbranch_execz .LBB286_961
; %bb.958:                              ;   in Loop: Header=BB286_806 Depth=1
	v_and_b32_e32 v99, 7, v0
	v_lshrrev_b32_e32 v100, 3, v101
	s_mov_b32 s16, exec_lo
	v_cmpx_gt_u32_e32 8, v101
; %bb.959:                              ;   in Loop: Header=BB286_806 Depth=1
	s_delay_alu instid0(VALU_DEP_3) | instskip(NEXT) | instid1(VALU_DEP_1)
	v_clz_i32_u32_e32 v99, v99
	v_min_u32_e32 v101, 32, v99
	s_delay_alu instid0(VALU_DEP_1) | instskip(NEXT) | instid1(VALU_DEP_1)
	v_subrev_nc_u32_e32 v99, 28, v101
	v_lshlrev_b64_e32 v[99:100], v99, v[0:1]
	v_sub_nc_u32_e32 v100, 29, v101
	s_delay_alu instid0(VALU_DEP_2)
	v_and_b32_e32 v99, 7, v99
; %bb.960:                              ;   in Loop: Header=BB286_806 Depth=1
	s_wait_alu 0xfffe
	s_or_b32 exec_lo, exec_lo, s16
	v_lshlrev_b32_e32 v0, 8, v0
	v_lshl_add_u32 v100, v100, 10, 0x2000
	v_lshlrev_b32_e32 v99, 7, v99
	s_delay_alu instid0(VALU_DEP_3) | instskip(NEXT) | instid1(VALU_DEP_3)
	v_and_b32_e32 v0, 0x8000, v0
	v_and_b32_e32 v100, 0xfc00, v100
	s_delay_alu instid0(VALU_DEP_1)
	v_or3_b32 v99, v0, v100, v99
.LBB286_961:                            ;   in Loop: Header=BB286_806 Depth=1
	s_wait_alu 0xfffe
	s_or_b32 exec_lo, exec_lo, s15
.LBB286_962:                            ;   in Loop: Header=BB286_806 Depth=1
	s_wait_alu 0xfffe
	s_or_b32 exec_lo, exec_lo, s14
.LBB286_963:                            ;   in Loop: Header=BB286_806 Depth=1
	s_wait_alu 0xfffe
	s_or_b32 exec_lo, exec_lo, s11
	s_delay_alu instid0(SALU_CYCLE_1)
	s_mov_b32 s11, exec_lo
	v_cmpx_lt_u32_e32 0xffffff, v11
	s_cbranch_execz .LBB286_971
; %bb.964:                              ;   in Loop: Header=BB286_806 Depth=1
	v_lshrrev_b32_e32 v0, 24, v11
	v_bfrev_b32_e32 v98, 1
	s_mov_b32 s14, exec_lo
	s_delay_alu instid0(VALU_DEP_2)
	v_cmpx_ne_u32_e32 0x80, v0
	s_cbranch_execz .LBB286_970
; %bb.965:                              ;   in Loop: Header=BB286_806 Depth=1
	v_and_b32_e32 v101, 0x7f, v0
	v_mov_b32_e32 v98, 0x7c010000
	s_mov_b32 s15, exec_lo
	s_delay_alu instid0(VALU_DEP_2)
	v_cmpx_ne_u32_e32 0x7f, v101
	s_cbranch_execz .LBB286_969
; %bb.966:                              ;   in Loop: Header=BB286_806 Depth=1
	v_and_b32_e32 v98, 7, v0
	v_lshrrev_b32_e32 v100, 3, v101
	s_mov_b32 s16, exec_lo
	v_cmpx_gt_u32_e32 8, v101
; %bb.967:                              ;   in Loop: Header=BB286_806 Depth=1
	s_delay_alu instid0(VALU_DEP_3) | instskip(NEXT) | instid1(VALU_DEP_1)
	v_clz_i32_u32_e32 v98, v98
	v_min_u32_e32 v98, 32, v98
	s_delay_alu instid0(VALU_DEP_1) | instskip(NEXT) | instid1(VALU_DEP_1)
	v_subrev_nc_u32_e32 v100, 28, v98
	v_lshlrev_b64_e32 v[101:102], v100, v[0:1]
	v_sub_nc_u32_e32 v100, 29, v98
	s_delay_alu instid0(VALU_DEP_2)
	v_and_b32_e32 v98, 7, v101
; %bb.968:                              ;   in Loop: Header=BB286_806 Depth=1
	s_wait_alu 0xfffe
	s_or_b32 exec_lo, exec_lo, s16
	v_lshlrev_b32_e32 v0, 8, v0
	v_lshl_add_u32 v100, v100, 10, 0x2000
	v_lshlrev_b32_e32 v98, 23, v98
	s_delay_alu instid0(VALU_DEP_2) | instskip(NEXT) | instid1(VALU_DEP_1)
	v_and_or_b32 v0, 0x8000, v0, v100
	v_lshl_or_b32 v98, v0, 16, v98
.LBB286_969:                            ;   in Loop: Header=BB286_806 Depth=1
	s_wait_alu 0xfffe
	s_or_b32 exec_lo, exec_lo, s15
.LBB286_970:                            ;   in Loop: Header=BB286_806 Depth=1
	s_wait_alu 0xfffe
	s_or_b32 exec_lo, exec_lo, s14
.LBB286_971:                            ;   in Loop: Header=BB286_806 Depth=1
	s_wait_alu 0xfffe
	s_or_b32 exec_lo, exec_lo, s11
	v_dual_mov_b32 v101, 0 :: v_dual_and_b32 v102, 0xff, v12
	v_mov_b32_e32 v0, v12
	v_mov_b32_e32 v100, 0
	s_mov_b32 s11, exec_lo
	s_delay_alu instid0(VALU_DEP_3)
	v_cmpx_ne_u16_e32 0, v102
	s_cbranch_execz .LBB286_979
; %bb.972:                              ;   in Loop: Header=BB286_806 Depth=1
	v_mov_b32_e32 v101, 0x8000
	s_mov_b32 s14, exec_lo
	v_cmpx_ne_u16_e32 0x80, v102
	s_cbranch_execz .LBB286_978
; %bb.973:                              ;   in Loop: Header=BB286_806 Depth=1
	v_and_b32_e32 v103, 0x7f, v12
	v_mov_b32_e32 v101, 0x7c01
	s_mov_b32 s15, exec_lo
	s_delay_alu instid0(VALU_DEP_2)
	v_cmpx_ne_u32_e32 0x7f, v103
	s_cbranch_execz .LBB286_977
; %bb.974:                              ;   in Loop: Header=BB286_806 Depth=1
	v_and_b32_e32 v101, 7, v12
	v_lshrrev_b32_e32 v102, 3, v103
	s_mov_b32 s16, exec_lo
	v_cmpx_gt_u32_e32 8, v103
; %bb.975:                              ;   in Loop: Header=BB286_806 Depth=1
	s_delay_alu instid0(VALU_DEP_3) | instskip(NEXT) | instid1(VALU_DEP_1)
	v_clz_i32_u32_e32 v101, v101
	v_min_u32_e32 v103, 32, v101
	s_delay_alu instid0(VALU_DEP_1) | instskip(NEXT) | instid1(VALU_DEP_1)
	v_subrev_nc_u32_e32 v101, 28, v103
	v_lshlrev_b64_e32 v[101:102], v101, v[0:1]
	v_sub_nc_u32_e32 v102, 29, v103
	s_delay_alu instid0(VALU_DEP_2)
	v_and_b32_e32 v101, 7, v101
; %bb.976:                              ;   in Loop: Header=BB286_806 Depth=1
	s_wait_alu 0xfffe
	s_or_b32 exec_lo, exec_lo, s16
	v_lshlrev_b32_e32 v103, 8, v12
	v_lshl_add_u32 v102, v102, 10, 0x2000
	v_lshlrev_b32_e32 v101, 7, v101
	s_delay_alu instid0(VALU_DEP_3) | instskip(NEXT) | instid1(VALU_DEP_3)
	v_and_b32_e32 v103, 0x8000, v103
	v_and_b32_e32 v102, 0xfc00, v102
	s_delay_alu instid0(VALU_DEP_1)
	v_or3_b32 v101, v103, v102, v101
.LBB286_977:                            ;   in Loop: Header=BB286_806 Depth=1
	s_wait_alu 0xfffe
	s_or_b32 exec_lo, exec_lo, s15
.LBB286_978:                            ;   in Loop: Header=BB286_806 Depth=1
	s_wait_alu 0xfffe
	s_or_b32 exec_lo, exec_lo, s14
.LBB286_979:                            ;   in Loop: Header=BB286_806 Depth=1
	s_wait_alu 0xfffe
	s_or_b32 exec_lo, exec_lo, s11
	v_lshrrev_b16 v0, 8, v0
	v_mov_b32_e32 v102, 0
	s_mov_b32 s11, exec_lo
	s_delay_alu instid0(VALU_DEP_2)
	v_cmpx_ne_u16_e32 0, v0
	s_cbranch_execz .LBB286_987
; %bb.980:                              ;   in Loop: Header=BB286_806 Depth=1
	v_bfrev_b32_e32 v102, 1
	s_mov_b32 s14, exec_lo
	v_cmpx_ne_u16_e32 0x80, v0
	s_cbranch_execz .LBB286_986
; %bb.981:                              ;   in Loop: Header=BB286_806 Depth=1
	v_and_b32_e32 v103, 0xffff, v0
	v_mov_b32_e32 v102, 0x7c010000
	s_mov_b32 s15, exec_lo
	s_delay_alu instid0(VALU_DEP_2) | instskip(NEXT) | instid1(VALU_DEP_1)
	v_and_b32_e32 v113, 0x7f, v103
	v_cmpx_ne_u32_e32 0x7f, v113
	s_cbranch_execz .LBB286_985
; %bb.982:                              ;   in Loop: Header=BB286_806 Depth=1
	v_and_b32_e32 v102, 7, v103
	v_lshrrev_b32_e32 v112, 3, v113
	s_mov_b32 s16, exec_lo
	v_cmpx_gt_u32_e32 8, v113
; %bb.983:                              ;   in Loop: Header=BB286_806 Depth=1
	s_delay_alu instid0(VALU_DEP_3) | instskip(NEXT) | instid1(VALU_DEP_1)
	v_clz_i32_u32_e32 v102, v102
	v_min_u32_e32 v102, 32, v102
	s_delay_alu instid0(VALU_DEP_1) | instskip(NEXT) | instid1(VALU_DEP_1)
	v_subrev_nc_u32_e32 v112, 28, v102
	v_lshlrev_b64_e32 v[113:114], v112, v[0:1]
	v_sub_nc_u32_e32 v112, 29, v102
	s_delay_alu instid0(VALU_DEP_2)
	v_and_b32_e32 v102, 7, v113
; %bb.984:                              ;   in Loop: Header=BB286_806 Depth=1
	s_wait_alu 0xfffe
	s_or_b32 exec_lo, exec_lo, s16
	v_lshlrev_b32_e32 v0, 8, v103
	v_lshl_add_u32 v103, v112, 10, 0x2000
	v_lshlrev_b32_e32 v102, 23, v102
	s_delay_alu instid0(VALU_DEP_2) | instskip(NEXT) | instid1(VALU_DEP_1)
	v_and_or_b32 v0, 0x8000, v0, v103
	v_lshl_or_b32 v102, v0, 16, v102
.LBB286_985:                            ;   in Loop: Header=BB286_806 Depth=1
	s_wait_alu 0xfffe
	s_or_b32 exec_lo, exec_lo, s15
.LBB286_986:                            ;   in Loop: Header=BB286_806 Depth=1
	s_wait_alu 0xfffe
	s_or_b32 exec_lo, exec_lo, s14
.LBB286_987:                            ;   in Loop: Header=BB286_806 Depth=1
	s_wait_alu 0xfffe
	s_or_b32 exec_lo, exec_lo, s11
	v_lshrrev_b32_e32 v0, 16, v12
	s_mov_b32 s11, exec_lo
	s_delay_alu instid0(VALU_DEP_1) | instskip(NEXT) | instid1(VALU_DEP_1)
	v_and_b32_e32 v103, 0xff, v0
	v_cmpx_ne_u16_e32 0, v103
	s_cbranch_execz .LBB286_995
; %bb.988:                              ;   in Loop: Header=BB286_806 Depth=1
	v_mov_b32_e32 v100, 0x8000
	s_mov_b32 s14, exec_lo
	v_cmpx_ne_u16_e32 0x80, v103
	s_cbranch_execz .LBB286_994
; %bb.989:                              ;   in Loop: Header=BB286_806 Depth=1
	v_bfe_u32 v112, v12, 16, 7
	v_mov_b32_e32 v100, 0x7c01
	s_mov_b32 s15, exec_lo
	s_delay_alu instid0(VALU_DEP_2)
	v_cmpx_ne_u32_e32 0x7f, v112
	s_cbranch_execz .LBB286_993
; %bb.990:                              ;   in Loop: Header=BB286_806 Depth=1
	v_and_b32_e32 v100, 7, v0
	v_lshrrev_b32_e32 v103, 3, v112
	s_mov_b32 s16, exec_lo
	v_cmpx_gt_u32_e32 8, v112
; %bb.991:                              ;   in Loop: Header=BB286_806 Depth=1
	s_delay_alu instid0(VALU_DEP_3) | instskip(NEXT) | instid1(VALU_DEP_1)
	v_clz_i32_u32_e32 v100, v100
	v_min_u32_e32 v100, 32, v100
	s_delay_alu instid0(VALU_DEP_1) | instskip(NEXT) | instid1(VALU_DEP_1)
	v_subrev_nc_u32_e32 v103, 28, v100
	v_lshlrev_b64_e32 v[112:113], v103, v[0:1]
	v_sub_nc_u32_e32 v103, 29, v100
	s_delay_alu instid0(VALU_DEP_2)
	v_and_b32_e32 v100, 7, v112
; %bb.992:                              ;   in Loop: Header=BB286_806 Depth=1
	s_wait_alu 0xfffe
	s_or_b32 exec_lo, exec_lo, s16
	v_lshlrev_b32_e32 v0, 8, v0
	v_lshl_add_u32 v103, v103, 10, 0x2000
	v_lshlrev_b32_e32 v100, 7, v100
	s_delay_alu instid0(VALU_DEP_3) | instskip(NEXT) | instid1(VALU_DEP_3)
	v_and_b32_e32 v0, 0x8000, v0
	v_and_b32_e32 v103, 0xfc00, v103
	s_delay_alu instid0(VALU_DEP_1)
	v_or3_b32 v100, v0, v103, v100
.LBB286_993:                            ;   in Loop: Header=BB286_806 Depth=1
	s_wait_alu 0xfffe
	s_or_b32 exec_lo, exec_lo, s15
.LBB286_994:                            ;   in Loop: Header=BB286_806 Depth=1
	s_wait_alu 0xfffe
	s_or_b32 exec_lo, exec_lo, s14
.LBB286_995:                            ;   in Loop: Header=BB286_806 Depth=1
	s_wait_alu 0xfffe
	s_or_b32 exec_lo, exec_lo, s11
	v_cmp_lt_u64_e64 s0, s[8:9], v[11:12]
	v_mov_b32_e32 v11, 0
	s_and_saveexec_b32 s11, s0
	s_cbranch_execz .LBB286_1003
; %bb.996:                              ;   in Loop: Header=BB286_806 Depth=1
	v_lshrrev_b32_e32 v0, 24, v12
	v_bfrev_b32_e32 v11, 1
	s_mov_b32 s14, exec_lo
	s_delay_alu instid0(VALU_DEP_2)
	v_cmpx_ne_u32_e32 0x80, v0
	s_cbranch_execz .LBB286_1002
; %bb.997:                              ;   in Loop: Header=BB286_806 Depth=1
	v_and_b32_e32 v103, 0x7f, v0
	v_mov_b32_e32 v11, 0x7c010000
	s_mov_b32 s15, exec_lo
	s_delay_alu instid0(VALU_DEP_2)
	v_cmpx_ne_u32_e32 0x7f, v103
	s_cbranch_execz .LBB286_1001
; %bb.998:                              ;   in Loop: Header=BB286_806 Depth=1
	v_and_b32_e32 v11, 7, v0
	v_lshrrev_b32_e32 v12, 3, v103
	s_mov_b32 s16, exec_lo
	v_cmpx_gt_u32_e32 8, v103
; %bb.999:                              ;   in Loop: Header=BB286_806 Depth=1
	s_delay_alu instid0(VALU_DEP_3) | instskip(NEXT) | instid1(VALU_DEP_1)
	v_clz_i32_u32_e32 v11, v11
	v_min_u32_e32 v103, 32, v11
	s_delay_alu instid0(VALU_DEP_1) | instskip(NEXT) | instid1(VALU_DEP_1)
	v_subrev_nc_u32_e32 v11, 28, v103
	v_lshlrev_b64_e32 v[11:12], v11, v[0:1]
	v_sub_nc_u32_e32 v12, 29, v103
	s_delay_alu instid0(VALU_DEP_2)
	v_and_b32_e32 v11, 7, v11
; %bb.1000:                             ;   in Loop: Header=BB286_806 Depth=1
	s_wait_alu 0xfffe
	s_or_b32 exec_lo, exec_lo, s16
	v_lshlrev_b32_e32 v0, 8, v0
	v_lshl_add_u32 v12, v12, 10, 0x2000
	v_lshlrev_b32_e32 v11, 23, v11
	s_delay_alu instid0(VALU_DEP_2) | instskip(NEXT) | instid1(VALU_DEP_1)
	v_and_or_b32 v0, 0x8000, v0, v12
	v_lshl_or_b32 v11, v0, 16, v11
.LBB286_1001:                           ;   in Loop: Header=BB286_806 Depth=1
	s_wait_alu 0xfffe
	s_or_b32 exec_lo, exec_lo, s15
.LBB286_1002:                           ;   in Loop: Header=BB286_806 Depth=1
	s_wait_alu 0xfffe
	s_or_b32 exec_lo, exec_lo, s14
.LBB286_1003:                           ;   in Loop: Header=BB286_806 Depth=1
	s_wait_alu 0xfffe
	s_or_b32 exec_lo, exec_lo, s11
	v_or_b32_e32 v0, v98, v99
	s_wait_loadcnt_dscnt 0x0
	v_fma_mixlo_f16 v12, v87, v98, 0 op_sel:[0,1,0] op_sel_hi:[0,1,0]
	v_or_b32_e32 v98, v96, v97
	v_fma_mixlo_f16 v96, v87, v96, 0 op_sel:[0,1,0] op_sel_hi:[0,1,0]
	v_or_b32_e32 v99, v102, v101
	v_or_b32_e32 v100, v11, v100
	v_fma_mixlo_f16 v101, v87, v0, 0 op_sel_hi:[0,1,0]
	v_fma_mixlo_f16 v11, v87, v11, 0 op_sel:[0,1,0] op_sel_hi:[0,1,0]
	v_lshlrev_b32_e32 v97, 16, v96
	v_fma_mixlo_f16 v96, v87, v98, 0 op_sel_hi:[0,1,0]
	v_fma_mixlo_f16 v98, v87, v102, 0 op_sel:[0,1,0] op_sel_hi:[0,1,0]
	v_fma_mixlo_f16 v99, v87, v99, 0 op_sel_hi:[0,1,0]
	v_fma_mixlo_f16 v100, v87, v100, 0 op_sel_hi:[0,1,0]
	v_lshlrev_b32_e32 v0, 16, v12
	v_and_b32_e32 v12, 0xffff, v101
	v_and_b32_e32 v103, 0xffff, v96
	v_lshlrev_b32_e32 v87, 16, v98
	v_and_b32_e32 v99, 0xffff, v99
	v_lshlrev_b32_e32 v11, 16, v11
	v_and_b32_e32 v96, 0xffff, v100
	v_or_b32_e32 v98, v0, v12
	v_or_b32_e32 v102, v97, v103
	;; [unrolled: 1-line block ×3, first 2 shown]
	s_delay_alu instid0(VALU_DEP_4)
	v_or_b32_e32 v100, v11, v96
	s_and_saveexec_b32 s11, vcc_lo
	s_cbranch_execz .LBB286_1005
; %bb.1004:                             ;   in Loop: Header=BB286_806 Depth=1
	v_cmp_lt_i32_e64 s0, v17, v34
	s_wait_alu 0xf1ff
	s_delay_alu instid0(VALU_DEP_1) | instskip(SKIP_2) | instid1(VALU_DEP_1)
	v_cndmask_b32_e64 v98, 0, v103, s0
	v_cmp_lt_i32_e64 s0, v84, v34
	s_wait_alu 0xf1ff
	v_cndmask_b32_e64 v97, 0, v97, s0
	v_cmp_lt_i32_e64 s0, v83, v34
	s_delay_alu instid0(VALU_DEP_2) | instskip(SKIP_1) | instid1(VALU_DEP_2)
	v_or_b32_e32 v102, v98, v97
	s_wait_alu 0xf1ff
	v_cndmask_b32_e64 v12, 0, v12, s0
	v_cmp_lt_i32_e64 s0, v82, v34
	s_wait_alu 0xf1ff
	s_delay_alu instid0(VALU_DEP_1) | instskip(SKIP_1) | instid1(VALU_DEP_2)
	v_cndmask_b32_e64 v0, 0, v0, s0
	v_cmp_lt_i32_e64 s0, v80, v34
	v_or_b32_e32 v98, v12, v0
	s_wait_alu 0xf1ff
	s_delay_alu instid0(VALU_DEP_2) | instskip(SKIP_2) | instid1(VALU_DEP_1)
	v_cndmask_b32_e64 v99, 0, v99, s0
	v_cmp_lt_i32_e64 s0, v71, v34
	s_wait_alu 0xf1ff
	v_cndmask_b32_e64 v87, 0, v87, s0
	v_cmp_lt_i32_e64 s0, v69, v34
	s_delay_alu instid0(VALU_DEP_2) | instskip(SKIP_1) | instid1(VALU_DEP_2)
	v_or_b32_e32 v101, v99, v87
	s_wait_alu 0xf1ff
	v_cndmask_b32_e64 v96, 0, v96, s0
	v_cmp_lt_i32_e64 s0, v67, v34
	s_wait_alu 0xf1ff
	s_delay_alu instid0(VALU_DEP_1) | instskip(NEXT) | instid1(VALU_DEP_1)
	v_cndmask_b32_e64 v11, 0, v11, s0
	v_or_b32_e32 v100, v96, v11
.LBB286_1005:                           ;   in Loop: Header=BB286_806 Depth=1
	s_wait_alu 0xfffe
	s_or_b32 exec_lo, exec_lo, s11
	;;#ASMSTART
	v_pk_mul_f16 v0, v81, v102;

	;;#ASMEND
	;;#ASMSTART
	v_pk_mul_f16 v11, v70, v98;

	;;#ASMEND
	;; [unrolled: 4-line block ×4, first 2 shown]
	;;#ASMSTART
	v_pk_add_f16 v0, v0, v11;

	;;#ASMEND
	;;#ASMSTART
	v_pk_add_f16 v0, v0, v12;

	;;#ASMEND
	;; [unrolled: 4-line block ×3, first 2 shown]
	v_dual_mov_b32 v98, 0 :: v_dual_and_b32 v11, 0xffff, v0
	v_lshrrev_b32_e32 v0, 16, v0
	;;#ASMSTART
	v_cvt_f32_f16 v87, v11;
	;;#ASMEND
	;;#ASMSTART
	v_cvt_f32_f16 v96, v0;
	;;#ASMEND
	flat_load_b64 v[11:12], v[9:10] offset:768
	flat_load_b32 v97, v[26:27]
	s_mov_b32 s11, exec_lo
	s_wait_loadcnt_dscnt 0x101
	v_dual_mov_b32 v99, 0 :: v_dual_and_b32 v0, 0xff, v11
	s_delay_alu instid0(VALU_DEP_1)
	v_cmpx_ne_u16_e32 0, v0
	s_cbranch_execz .LBB286_1013
; %bb.1006:                             ;   in Loop: Header=BB286_806 Depth=1
	v_mov_b32_e32 v99, 0x8000
	s_mov_b32 s14, exec_lo
	v_cmpx_ne_u16_e32 0x80, v0
	s_cbranch_execz .LBB286_1012
; %bb.1007:                             ;   in Loop: Header=BB286_806 Depth=1
	v_and_b32_e32 v100, 0x7f, v11
	v_mov_b32_e32 v99, 0x7c01
	s_mov_b32 s15, exec_lo
	s_delay_alu instid0(VALU_DEP_2)
	v_cmpx_ne_u32_e32 0x7f, v100
	s_cbranch_execz .LBB286_1011
; %bb.1008:                             ;   in Loop: Header=BB286_806 Depth=1
	v_and_b32_e32 v0, 7, v11
	v_lshrrev_b32_e32 v99, 3, v100
	s_mov_b32 s16, exec_lo
	v_cmpx_gt_u32_e32 8, v100
; %bb.1009:                             ;   in Loop: Header=BB286_806 Depth=1
	s_delay_alu instid0(VALU_DEP_3) | instskip(NEXT) | instid1(VALU_DEP_1)
	v_clz_i32_u32_e32 v0, v0
	v_min_u32_e32 v0, 32, v0
	s_delay_alu instid0(VALU_DEP_1) | instskip(NEXT) | instid1(VALU_DEP_1)
	v_subrev_nc_u32_e32 v99, 28, v0
	v_lshlrev_b64_e32 v[100:101], v99, v[11:12]
	v_sub_nc_u32_e32 v99, 29, v0
	s_delay_alu instid0(VALU_DEP_2)
	v_and_b32_e32 v0, 7, v100
; %bb.1010:                             ;   in Loop: Header=BB286_806 Depth=1
	s_wait_alu 0xfffe
	s_or_b32 exec_lo, exec_lo, s16
	v_lshlrev_b32_e32 v100, 8, v11
	v_lshl_add_u32 v99, v99, 10, 0x2000
	v_lshlrev_b32_e32 v0, 7, v0
	s_delay_alu instid0(VALU_DEP_3) | instskip(NEXT) | instid1(VALU_DEP_3)
	v_and_b32_e32 v100, 0x8000, v100
	v_and_b32_e32 v99, 0xfc00, v99
	s_delay_alu instid0(VALU_DEP_1)
	v_or3_b32 v99, v100, v99, v0
.LBB286_1011:                           ;   in Loop: Header=BB286_806 Depth=1
	s_wait_alu 0xfffe
	s_or_b32 exec_lo, exec_lo, s15
.LBB286_1012:                           ;   in Loop: Header=BB286_806 Depth=1
	s_wait_alu 0xfffe
	s_or_b32 exec_lo, exec_lo, s14
.LBB286_1013:                           ;   in Loop: Header=BB286_806 Depth=1
	s_wait_alu 0xfffe
	s_or_b32 exec_lo, exec_lo, s11
	v_lshrrev_b16 v0, 8, v11
	s_mov_b32 s11, exec_lo
	s_delay_alu instid0(VALU_DEP_1)
	v_cmpx_ne_u16_e32 0, v0
	s_cbranch_execz .LBB286_1021
; %bb.1014:                             ;   in Loop: Header=BB286_806 Depth=1
	v_bfrev_b32_e32 v98, 1
	s_mov_b32 s14, exec_lo
	v_cmpx_ne_u16_e32 0x80, v0
	s_cbranch_execz .LBB286_1020
; %bb.1015:                             ;   in Loop: Header=BB286_806 Depth=1
	v_and_b32_e32 v100, 0xffff, v0
	v_mov_b32_e32 v98, 0x7c010000
	s_mov_b32 s15, exec_lo
	s_delay_alu instid0(VALU_DEP_2) | instskip(NEXT) | instid1(VALU_DEP_1)
	v_and_b32_e32 v102, 0x7f, v100
	v_cmpx_ne_u32_e32 0x7f, v102
	s_cbranch_execz .LBB286_1019
; %bb.1016:                             ;   in Loop: Header=BB286_806 Depth=1
	v_and_b32_e32 v98, 7, v100
	v_lshrrev_b32_e32 v101, 3, v102
	s_mov_b32 s16, exec_lo
	v_cmpx_gt_u32_e32 8, v102
; %bb.1017:                             ;   in Loop: Header=BB286_806 Depth=1
	s_delay_alu instid0(VALU_DEP_3) | instskip(NEXT) | instid1(VALU_DEP_1)
	v_clz_i32_u32_e32 v98, v98
	v_min_u32_e32 v98, 32, v98
	s_delay_alu instid0(VALU_DEP_1) | instskip(NEXT) | instid1(VALU_DEP_1)
	v_subrev_nc_u32_e32 v101, 28, v98
	v_lshlrev_b64_e32 v[102:103], v101, v[0:1]
	v_sub_nc_u32_e32 v101, 29, v98
	s_delay_alu instid0(VALU_DEP_2)
	v_and_b32_e32 v98, 7, v102
; %bb.1018:                             ;   in Loop: Header=BB286_806 Depth=1
	s_wait_alu 0xfffe
	s_or_b32 exec_lo, exec_lo, s16
	v_lshlrev_b32_e32 v0, 8, v100
	v_lshl_add_u32 v100, v101, 10, 0x2000
	v_lshlrev_b32_e32 v98, 23, v98
	s_delay_alu instid0(VALU_DEP_2) | instskip(NEXT) | instid1(VALU_DEP_1)
	v_and_or_b32 v0, 0x8000, v0, v100
	v_lshl_or_b32 v98, v0, 16, v98
.LBB286_1019:                           ;   in Loop: Header=BB286_806 Depth=1
	s_wait_alu 0xfffe
	s_or_b32 exec_lo, exec_lo, s15
.LBB286_1020:                           ;   in Loop: Header=BB286_806 Depth=1
	s_wait_alu 0xfffe
	s_or_b32 exec_lo, exec_lo, s14
.LBB286_1021:                           ;   in Loop: Header=BB286_806 Depth=1
	s_wait_alu 0xfffe
	s_or_b32 exec_lo, exec_lo, s11
	v_lshrrev_b32_e32 v0, 16, v11
	v_mov_b32_e32 v100, 0
	s_mov_b32 s11, exec_lo
	s_delay_alu instid0(VALU_DEP_2) | instskip(NEXT) | instid1(VALU_DEP_1)
	v_dual_mov_b32 v101, 0 :: v_dual_and_b32 v102, 0xff, v0
	v_cmpx_ne_u16_e32 0, v102
	s_cbranch_execz .LBB286_1029
; %bb.1022:                             ;   in Loop: Header=BB286_806 Depth=1
	v_mov_b32_e32 v101, 0x8000
	s_mov_b32 s14, exec_lo
	v_cmpx_ne_u16_e32 0x80, v102
	s_cbranch_execz .LBB286_1028
; %bb.1023:                             ;   in Loop: Header=BB286_806 Depth=1
	v_bfe_u32 v103, v11, 16, 7
	v_mov_b32_e32 v101, 0x7c01
	s_mov_b32 s15, exec_lo
	s_delay_alu instid0(VALU_DEP_2)
	v_cmpx_ne_u32_e32 0x7f, v103
	s_cbranch_execz .LBB286_1027
; %bb.1024:                             ;   in Loop: Header=BB286_806 Depth=1
	v_and_b32_e32 v101, 7, v0
	v_lshrrev_b32_e32 v102, 3, v103
	s_mov_b32 s16, exec_lo
	v_cmpx_gt_u32_e32 8, v103
; %bb.1025:                             ;   in Loop: Header=BB286_806 Depth=1
	s_delay_alu instid0(VALU_DEP_3) | instskip(NEXT) | instid1(VALU_DEP_1)
	v_clz_i32_u32_e32 v101, v101
	v_min_u32_e32 v103, 32, v101
	s_delay_alu instid0(VALU_DEP_1) | instskip(NEXT) | instid1(VALU_DEP_1)
	v_subrev_nc_u32_e32 v101, 28, v103
	v_lshlrev_b64_e32 v[101:102], v101, v[0:1]
	v_sub_nc_u32_e32 v102, 29, v103
	s_delay_alu instid0(VALU_DEP_2)
	v_and_b32_e32 v101, 7, v101
; %bb.1026:                             ;   in Loop: Header=BB286_806 Depth=1
	s_wait_alu 0xfffe
	s_or_b32 exec_lo, exec_lo, s16
	v_lshlrev_b32_e32 v0, 8, v0
	v_lshl_add_u32 v102, v102, 10, 0x2000
	v_lshlrev_b32_e32 v101, 7, v101
	s_delay_alu instid0(VALU_DEP_3) | instskip(NEXT) | instid1(VALU_DEP_3)
	v_and_b32_e32 v0, 0x8000, v0
	v_and_b32_e32 v102, 0xfc00, v102
	s_delay_alu instid0(VALU_DEP_1)
	v_or3_b32 v101, v0, v102, v101
.LBB286_1027:                           ;   in Loop: Header=BB286_806 Depth=1
	s_wait_alu 0xfffe
	s_or_b32 exec_lo, exec_lo, s15
.LBB286_1028:                           ;   in Loop: Header=BB286_806 Depth=1
	s_wait_alu 0xfffe
	s_or_b32 exec_lo, exec_lo, s14
.LBB286_1029:                           ;   in Loop: Header=BB286_806 Depth=1
	s_wait_alu 0xfffe
	s_or_b32 exec_lo, exec_lo, s11
	s_delay_alu instid0(SALU_CYCLE_1)
	s_mov_b32 s11, exec_lo
	v_cmpx_lt_u32_e32 0xffffff, v11
	s_cbranch_execz .LBB286_1037
; %bb.1030:                             ;   in Loop: Header=BB286_806 Depth=1
	v_lshrrev_b32_e32 v0, 24, v11
	v_bfrev_b32_e32 v100, 1
	s_mov_b32 s14, exec_lo
	s_delay_alu instid0(VALU_DEP_2)
	v_cmpx_ne_u32_e32 0x80, v0
	s_cbranch_execz .LBB286_1036
; %bb.1031:                             ;   in Loop: Header=BB286_806 Depth=1
	v_and_b32_e32 v103, 0x7f, v0
	v_mov_b32_e32 v100, 0x7c010000
	s_mov_b32 s15, exec_lo
	s_delay_alu instid0(VALU_DEP_2)
	v_cmpx_ne_u32_e32 0x7f, v103
	s_cbranch_execz .LBB286_1035
; %bb.1032:                             ;   in Loop: Header=BB286_806 Depth=1
	v_and_b32_e32 v100, 7, v0
	v_lshrrev_b32_e32 v102, 3, v103
	s_mov_b32 s16, exec_lo
	v_cmpx_gt_u32_e32 8, v103
; %bb.1033:                             ;   in Loop: Header=BB286_806 Depth=1
	s_delay_alu instid0(VALU_DEP_3) | instskip(NEXT) | instid1(VALU_DEP_1)
	v_clz_i32_u32_e32 v100, v100
	v_min_u32_e32 v100, 32, v100
	s_delay_alu instid0(VALU_DEP_1) | instskip(NEXT) | instid1(VALU_DEP_1)
	v_subrev_nc_u32_e32 v102, 28, v100
	v_lshlrev_b64_e32 v[112:113], v102, v[0:1]
	v_sub_nc_u32_e32 v102, 29, v100
	s_delay_alu instid0(VALU_DEP_2)
	v_and_b32_e32 v100, 7, v112
; %bb.1034:                             ;   in Loop: Header=BB286_806 Depth=1
	s_wait_alu 0xfffe
	s_or_b32 exec_lo, exec_lo, s16
	v_lshlrev_b32_e32 v0, 8, v0
	v_lshl_add_u32 v102, v102, 10, 0x2000
	v_lshlrev_b32_e32 v100, 23, v100
	s_delay_alu instid0(VALU_DEP_2) | instskip(NEXT) | instid1(VALU_DEP_1)
	v_and_or_b32 v0, 0x8000, v0, v102
	v_lshl_or_b32 v100, v0, 16, v100
.LBB286_1035:                           ;   in Loop: Header=BB286_806 Depth=1
	s_wait_alu 0xfffe
	s_or_b32 exec_lo, exec_lo, s15
.LBB286_1036:                           ;   in Loop: Header=BB286_806 Depth=1
	s_wait_alu 0xfffe
	s_or_b32 exec_lo, exec_lo, s14
.LBB286_1037:                           ;   in Loop: Header=BB286_806 Depth=1
	s_wait_alu 0xfffe
	s_or_b32 exec_lo, exec_lo, s11
	v_dual_mov_b32 v103, 0 :: v_dual_and_b32 v112, 0xff, v12
	v_mov_b32_e32 v0, v12
	v_mov_b32_e32 v102, 0
	s_mov_b32 s11, exec_lo
	s_delay_alu instid0(VALU_DEP_3)
	v_cmpx_ne_u16_e32 0, v112
	s_cbranch_execz .LBB286_1045
; %bb.1038:                             ;   in Loop: Header=BB286_806 Depth=1
	v_mov_b32_e32 v103, 0x8000
	s_mov_b32 s14, exec_lo
	v_cmpx_ne_u16_e32 0x80, v112
	s_cbranch_execz .LBB286_1044
; %bb.1039:                             ;   in Loop: Header=BB286_806 Depth=1
	v_and_b32_e32 v113, 0x7f, v12
	v_mov_b32_e32 v103, 0x7c01
	s_mov_b32 s15, exec_lo
	s_delay_alu instid0(VALU_DEP_2)
	v_cmpx_ne_u32_e32 0x7f, v113
	s_cbranch_execz .LBB286_1043
; %bb.1040:                             ;   in Loop: Header=BB286_806 Depth=1
	v_and_b32_e32 v103, 7, v12
	v_lshrrev_b32_e32 v112, 3, v113
	s_mov_b32 s16, exec_lo
	v_cmpx_gt_u32_e32 8, v113
; %bb.1041:                             ;   in Loop: Header=BB286_806 Depth=1
	s_delay_alu instid0(VALU_DEP_3) | instskip(NEXT) | instid1(VALU_DEP_1)
	v_clz_i32_u32_e32 v103, v103
	v_min_u32_e32 v103, 32, v103
	s_delay_alu instid0(VALU_DEP_1) | instskip(NEXT) | instid1(VALU_DEP_1)
	v_subrev_nc_u32_e32 v112, 28, v103
	v_lshlrev_b64_e32 v[113:114], v112, v[0:1]
	v_sub_nc_u32_e32 v112, 29, v103
	s_delay_alu instid0(VALU_DEP_2)
	v_and_b32_e32 v103, 7, v113
; %bb.1042:                             ;   in Loop: Header=BB286_806 Depth=1
	s_wait_alu 0xfffe
	s_or_b32 exec_lo, exec_lo, s16
	v_lshlrev_b32_e32 v113, 8, v12
	v_lshl_add_u32 v112, v112, 10, 0x2000
	v_lshlrev_b32_e32 v103, 7, v103
	s_delay_alu instid0(VALU_DEP_3) | instskip(NEXT) | instid1(VALU_DEP_3)
	v_and_b32_e32 v113, 0x8000, v113
	v_and_b32_e32 v112, 0xfc00, v112
	s_delay_alu instid0(VALU_DEP_1)
	v_or3_b32 v103, v113, v112, v103
.LBB286_1043:                           ;   in Loop: Header=BB286_806 Depth=1
	s_wait_alu 0xfffe
	s_or_b32 exec_lo, exec_lo, s15
.LBB286_1044:                           ;   in Loop: Header=BB286_806 Depth=1
	s_wait_alu 0xfffe
	s_or_b32 exec_lo, exec_lo, s14
.LBB286_1045:                           ;   in Loop: Header=BB286_806 Depth=1
	s_wait_alu 0xfffe
	s_or_b32 exec_lo, exec_lo, s11
	v_lshrrev_b16 v0, 8, v0
	v_mov_b32_e32 v112, 0
	s_mov_b32 s11, exec_lo
	s_delay_alu instid0(VALU_DEP_2)
	v_cmpx_ne_u16_e32 0, v0
	s_cbranch_execz .LBB286_1053
; %bb.1046:                             ;   in Loop: Header=BB286_806 Depth=1
	v_bfrev_b32_e32 v112, 1
	s_mov_b32 s14, exec_lo
	v_cmpx_ne_u16_e32 0x80, v0
	s_cbranch_execz .LBB286_1052
; %bb.1047:                             ;   in Loop: Header=BB286_806 Depth=1
	v_and_b32_e32 v113, 0xffff, v0
	v_mov_b32_e32 v112, 0x7c010000
	s_mov_b32 s15, exec_lo
	s_delay_alu instid0(VALU_DEP_2) | instskip(NEXT) | instid1(VALU_DEP_1)
	v_and_b32_e32 v115, 0x7f, v113
	v_cmpx_ne_u32_e32 0x7f, v115
	s_cbranch_execz .LBB286_1051
; %bb.1048:                             ;   in Loop: Header=BB286_806 Depth=1
	v_and_b32_e32 v112, 7, v113
	v_lshrrev_b32_e32 v114, 3, v115
	s_mov_b32 s16, exec_lo
	v_cmpx_gt_u32_e32 8, v115
; %bb.1049:                             ;   in Loop: Header=BB286_806 Depth=1
	s_delay_alu instid0(VALU_DEP_3) | instskip(NEXT) | instid1(VALU_DEP_1)
	v_clz_i32_u32_e32 v112, v112
	v_min_u32_e32 v112, 32, v112
	s_delay_alu instid0(VALU_DEP_1) | instskip(NEXT) | instid1(VALU_DEP_1)
	v_subrev_nc_u32_e32 v114, 28, v112
	v_lshlrev_b64_e32 v[115:116], v114, v[0:1]
	v_sub_nc_u32_e32 v114, 29, v112
	s_delay_alu instid0(VALU_DEP_2)
	v_and_b32_e32 v112, 7, v115
; %bb.1050:                             ;   in Loop: Header=BB286_806 Depth=1
	s_wait_alu 0xfffe
	s_or_b32 exec_lo, exec_lo, s16
	v_lshlrev_b32_e32 v0, 8, v113
	v_lshl_add_u32 v113, v114, 10, 0x2000
	v_lshlrev_b32_e32 v112, 23, v112
	s_delay_alu instid0(VALU_DEP_2) | instskip(NEXT) | instid1(VALU_DEP_1)
	v_and_or_b32 v0, 0x8000, v0, v113
	v_lshl_or_b32 v112, v0, 16, v112
.LBB286_1051:                           ;   in Loop: Header=BB286_806 Depth=1
	s_wait_alu 0xfffe
	s_or_b32 exec_lo, exec_lo, s15
.LBB286_1052:                           ;   in Loop: Header=BB286_806 Depth=1
	s_wait_alu 0xfffe
	s_or_b32 exec_lo, exec_lo, s14
.LBB286_1053:                           ;   in Loop: Header=BB286_806 Depth=1
	s_wait_alu 0xfffe
	s_or_b32 exec_lo, exec_lo, s11
	v_lshrrev_b32_e32 v0, 16, v12
	s_mov_b32 s11, exec_lo
	s_delay_alu instid0(VALU_DEP_1) | instskip(NEXT) | instid1(VALU_DEP_1)
	v_and_b32_e32 v113, 0xff, v0
	v_cmpx_ne_u16_e32 0, v113
	s_cbranch_execz .LBB286_1061
; %bb.1054:                             ;   in Loop: Header=BB286_806 Depth=1
	v_mov_b32_e32 v102, 0x8000
	s_mov_b32 s14, exec_lo
	v_cmpx_ne_u16_e32 0x80, v113
	s_cbranch_execz .LBB286_1060
; %bb.1055:                             ;   in Loop: Header=BB286_806 Depth=1
	v_bfe_u32 v114, v12, 16, 7
	v_mov_b32_e32 v102, 0x7c01
	s_mov_b32 s15, exec_lo
	s_delay_alu instid0(VALU_DEP_2)
	v_cmpx_ne_u32_e32 0x7f, v114
	s_cbranch_execz .LBB286_1059
; %bb.1056:                             ;   in Loop: Header=BB286_806 Depth=1
	v_and_b32_e32 v102, 7, v0
	v_lshrrev_b32_e32 v113, 3, v114
	s_mov_b32 s16, exec_lo
	v_cmpx_gt_u32_e32 8, v114
; %bb.1057:                             ;   in Loop: Header=BB286_806 Depth=1
	s_delay_alu instid0(VALU_DEP_3) | instskip(NEXT) | instid1(VALU_DEP_1)
	v_clz_i32_u32_e32 v102, v102
	v_min_u32_e32 v102, 32, v102
	s_delay_alu instid0(VALU_DEP_1) | instskip(NEXT) | instid1(VALU_DEP_1)
	v_subrev_nc_u32_e32 v113, 28, v102
	v_lshlrev_b64_e32 v[114:115], v113, v[0:1]
	v_sub_nc_u32_e32 v113, 29, v102
	s_delay_alu instid0(VALU_DEP_2)
	v_and_b32_e32 v102, 7, v114
; %bb.1058:                             ;   in Loop: Header=BB286_806 Depth=1
	s_wait_alu 0xfffe
	s_or_b32 exec_lo, exec_lo, s16
	v_lshlrev_b32_e32 v0, 8, v0
	v_lshl_add_u32 v113, v113, 10, 0x2000
	v_lshlrev_b32_e32 v102, 7, v102
	s_delay_alu instid0(VALU_DEP_3) | instskip(NEXT) | instid1(VALU_DEP_3)
	v_and_b32_e32 v0, 0x8000, v0
	v_and_b32_e32 v113, 0xfc00, v113
	s_delay_alu instid0(VALU_DEP_1)
	v_or3_b32 v102, v0, v113, v102
.LBB286_1059:                           ;   in Loop: Header=BB286_806 Depth=1
	s_wait_alu 0xfffe
	s_or_b32 exec_lo, exec_lo, s15
.LBB286_1060:                           ;   in Loop: Header=BB286_806 Depth=1
	s_wait_alu 0xfffe
	s_or_b32 exec_lo, exec_lo, s14
.LBB286_1061:                           ;   in Loop: Header=BB286_806 Depth=1
	s_wait_alu 0xfffe
	s_or_b32 exec_lo, exec_lo, s11
	v_cmp_lt_u64_e64 s0, s[8:9], v[11:12]
	v_mov_b32_e32 v11, 0
	s_and_saveexec_b32 s11, s0
	s_cbranch_execz .LBB286_1069
; %bb.1062:                             ;   in Loop: Header=BB286_806 Depth=1
	v_lshrrev_b32_e32 v0, 24, v12
	v_bfrev_b32_e32 v11, 1
	s_mov_b32 s14, exec_lo
	s_delay_alu instid0(VALU_DEP_2)
	v_cmpx_ne_u32_e32 0x80, v0
	s_cbranch_execz .LBB286_1068
; %bb.1063:                             ;   in Loop: Header=BB286_806 Depth=1
	v_and_b32_e32 v113, 0x7f, v0
	v_mov_b32_e32 v11, 0x7c010000
	s_mov_b32 s15, exec_lo
	s_delay_alu instid0(VALU_DEP_2)
	v_cmpx_ne_u32_e32 0x7f, v113
	s_cbranch_execz .LBB286_1067
; %bb.1064:                             ;   in Loop: Header=BB286_806 Depth=1
	v_and_b32_e32 v11, 7, v0
	v_lshrrev_b32_e32 v12, 3, v113
	s_mov_b32 s16, exec_lo
	v_cmpx_gt_u32_e32 8, v113
; %bb.1065:                             ;   in Loop: Header=BB286_806 Depth=1
	s_delay_alu instid0(VALU_DEP_3) | instskip(NEXT) | instid1(VALU_DEP_1)
	v_clz_i32_u32_e32 v11, v11
	v_min_u32_e32 v113, 32, v11
	s_delay_alu instid0(VALU_DEP_1) | instskip(NEXT) | instid1(VALU_DEP_1)
	v_subrev_nc_u32_e32 v11, 28, v113
	v_lshlrev_b64_e32 v[11:12], v11, v[0:1]
	v_sub_nc_u32_e32 v12, 29, v113
	s_delay_alu instid0(VALU_DEP_2)
	v_and_b32_e32 v11, 7, v11
; %bb.1066:                             ;   in Loop: Header=BB286_806 Depth=1
	s_wait_alu 0xfffe
	s_or_b32 exec_lo, exec_lo, s16
	v_lshlrev_b32_e32 v0, 8, v0
	v_lshl_add_u32 v12, v12, 10, 0x2000
	v_lshlrev_b32_e32 v11, 23, v11
	s_delay_alu instid0(VALU_DEP_2) | instskip(NEXT) | instid1(VALU_DEP_1)
	v_and_or_b32 v0, 0x8000, v0, v12
	v_lshl_or_b32 v11, v0, 16, v11
.LBB286_1067:                           ;   in Loop: Header=BB286_806 Depth=1
	s_wait_alu 0xfffe
	s_or_b32 exec_lo, exec_lo, s15
.LBB286_1068:                           ;   in Loop: Header=BB286_806 Depth=1
	s_wait_alu 0xfffe
	s_or_b32 exec_lo, exec_lo, s14
.LBB286_1069:                           ;   in Loop: Header=BB286_806 Depth=1
	s_wait_alu 0xfffe
	s_or_b32 exec_lo, exec_lo, s11
	v_or_b32_e32 v0, v100, v101
	s_wait_loadcnt_dscnt 0x0
	v_fma_mixlo_f16 v12, v97, v100, 0 op_sel:[0,1,0] op_sel_hi:[0,1,0]
	v_or_b32_e32 v100, v98, v99
	v_fma_mixlo_f16 v98, v97, v98, 0 op_sel:[0,1,0] op_sel_hi:[0,1,0]
	v_or_b32_e32 v101, v112, v103
	v_or_b32_e32 v102, v11, v102
	v_fma_mixlo_f16 v103, v97, v0, 0 op_sel_hi:[0,1,0]
	v_fma_mixlo_f16 v11, v97, v11, 0 op_sel:[0,1,0] op_sel_hi:[0,1,0]
	v_lshlrev_b32_e32 v99, 16, v98
	v_fma_mixlo_f16 v98, v97, v100, 0 op_sel_hi:[0,1,0]
	v_fma_mixlo_f16 v100, v97, v112, 0 op_sel:[0,1,0] op_sel_hi:[0,1,0]
	v_fma_mixlo_f16 v101, v97, v101, 0 op_sel_hi:[0,1,0]
	v_fma_mixlo_f16 v102, v97, v102, 0 op_sel_hi:[0,1,0]
	v_lshlrev_b32_e32 v0, 16, v12
	v_and_b32_e32 v12, 0xffff, v103
	v_and_b32_e32 v113, 0xffff, v98
	v_lshlrev_b32_e32 v97, 16, v100
	v_and_b32_e32 v101, 0xffff, v101
	v_lshlrev_b32_e32 v11, 16, v11
	v_and_b32_e32 v98, 0xffff, v102
	v_or_b32_e32 v100, v0, v12
	v_or_b32_e32 v112, v99, v113
	;; [unrolled: 1-line block ×3, first 2 shown]
	s_delay_alu instid0(VALU_DEP_4)
	v_or_b32_e32 v102, v11, v98
	s_and_saveexec_b32 s11, vcc_lo
	s_cbranch_execz .LBB286_1071
; %bb.1070:                             ;   in Loop: Header=BB286_806 Depth=1
	v_cmp_lt_i32_e64 s0, v17, v34
	s_wait_alu 0xf1ff
	s_delay_alu instid0(VALU_DEP_1) | instskip(SKIP_2) | instid1(VALU_DEP_1)
	v_cndmask_b32_e64 v100, 0, v113, s0
	v_cmp_lt_i32_e64 s0, v84, v34
	s_wait_alu 0xf1ff
	v_cndmask_b32_e64 v99, 0, v99, s0
	v_cmp_lt_i32_e64 s0, v83, v34
	s_delay_alu instid0(VALU_DEP_2) | instskip(SKIP_1) | instid1(VALU_DEP_2)
	v_or_b32_e32 v112, v100, v99
	s_wait_alu 0xf1ff
	v_cndmask_b32_e64 v12, 0, v12, s0
	v_cmp_lt_i32_e64 s0, v82, v34
	s_wait_alu 0xf1ff
	s_delay_alu instid0(VALU_DEP_1) | instskip(SKIP_1) | instid1(VALU_DEP_2)
	v_cndmask_b32_e64 v0, 0, v0, s0
	v_cmp_lt_i32_e64 s0, v80, v34
	v_or_b32_e32 v100, v12, v0
	s_wait_alu 0xf1ff
	s_delay_alu instid0(VALU_DEP_2) | instskip(SKIP_2) | instid1(VALU_DEP_1)
	v_cndmask_b32_e64 v101, 0, v101, s0
	v_cmp_lt_i32_e64 s0, v71, v34
	s_wait_alu 0xf1ff
	v_cndmask_b32_e64 v97, 0, v97, s0
	v_cmp_lt_i32_e64 s0, v69, v34
	s_delay_alu instid0(VALU_DEP_2) | instskip(SKIP_1) | instid1(VALU_DEP_2)
	v_or_b32_e32 v103, v101, v97
	s_wait_alu 0xf1ff
	v_cndmask_b32_e64 v98, 0, v98, s0
	v_cmp_lt_i32_e64 s0, v67, v34
	s_wait_alu 0xf1ff
	s_delay_alu instid0(VALU_DEP_1) | instskip(NEXT) | instid1(VALU_DEP_1)
	v_cndmask_b32_e64 v11, 0, v11, s0
	v_or_b32_e32 v102, v98, v11
.LBB286_1071:                           ;   in Loop: Header=BB286_806 Depth=1
	s_wait_alu 0xfffe
	s_or_b32 exec_lo, exec_lo, s11
	;;#ASMSTART
	v_pk_mul_f16 v0, v81, v112;

	;;#ASMEND
	;;#ASMSTART
	v_pk_mul_f16 v11, v70, v100;

	;;#ASMEND
	;;#ASMSTART
	v_pk_mul_f16 v12, v68, v103;

	;;#ASMEND
	;;#ASMSTART
	v_pk_mul_f16 v97, v54, v102;

	;;#ASMEND
	;;#ASMSTART
	v_pk_add_f16 v0, v0, v11;

	;;#ASMEND
	;;#ASMSTART
	v_pk_add_f16 v0, v0, v12;

	;;#ASMEND
	;;#ASMSTART
	v_pk_add_f16 v0, v0, v97;

	;;#ASMEND
	v_dual_mov_b32 v100, 0 :: v_dual_and_b32 v11, 0xffff, v0
	v_lshrrev_b32_e32 v0, 16, v0
	;;#ASMSTART
	v_cvt_f32_f16 v97, v11;
	;;#ASMEND
	;;#ASMSTART
	v_cvt_f32_f16 v98, v0;
	;;#ASMEND
	flat_load_b64 v[11:12], v[9:10] offset:1024
	flat_load_b32 v99, v[26:27]
	s_mov_b32 s11, exec_lo
	s_wait_loadcnt_dscnt 0x101
	v_dual_mov_b32 v101, 0 :: v_dual_and_b32 v0, 0xff, v11
	s_delay_alu instid0(VALU_DEP_1)
	v_cmpx_ne_u16_e32 0, v0
	s_cbranch_execz .LBB286_1079
; %bb.1072:                             ;   in Loop: Header=BB286_806 Depth=1
	v_mov_b32_e32 v101, 0x8000
	s_mov_b32 s14, exec_lo
	v_cmpx_ne_u16_e32 0x80, v0
	s_cbranch_execz .LBB286_1078
; %bb.1073:                             ;   in Loop: Header=BB286_806 Depth=1
	v_and_b32_e32 v102, 0x7f, v11
	v_mov_b32_e32 v101, 0x7c01
	s_mov_b32 s15, exec_lo
	s_delay_alu instid0(VALU_DEP_2)
	v_cmpx_ne_u32_e32 0x7f, v102
	s_cbranch_execz .LBB286_1077
; %bb.1074:                             ;   in Loop: Header=BB286_806 Depth=1
	v_and_b32_e32 v0, 7, v11
	v_lshrrev_b32_e32 v101, 3, v102
	s_mov_b32 s16, exec_lo
	v_cmpx_gt_u32_e32 8, v102
; %bb.1075:                             ;   in Loop: Header=BB286_806 Depth=1
	s_delay_alu instid0(VALU_DEP_3) | instskip(NEXT) | instid1(VALU_DEP_1)
	v_clz_i32_u32_e32 v0, v0
	v_min_u32_e32 v0, 32, v0
	s_delay_alu instid0(VALU_DEP_1) | instskip(NEXT) | instid1(VALU_DEP_1)
	v_subrev_nc_u32_e32 v101, 28, v0
	v_lshlrev_b64_e32 v[102:103], v101, v[11:12]
	v_sub_nc_u32_e32 v101, 29, v0
	s_delay_alu instid0(VALU_DEP_2)
	v_and_b32_e32 v0, 7, v102
; %bb.1076:                             ;   in Loop: Header=BB286_806 Depth=1
	s_wait_alu 0xfffe
	s_or_b32 exec_lo, exec_lo, s16
	v_lshlrev_b32_e32 v102, 8, v11
	v_lshl_add_u32 v101, v101, 10, 0x2000
	v_lshlrev_b32_e32 v0, 7, v0
	s_delay_alu instid0(VALU_DEP_3) | instskip(NEXT) | instid1(VALU_DEP_3)
	v_and_b32_e32 v102, 0x8000, v102
	v_and_b32_e32 v101, 0xfc00, v101
	s_delay_alu instid0(VALU_DEP_1)
	v_or3_b32 v101, v102, v101, v0
.LBB286_1077:                           ;   in Loop: Header=BB286_806 Depth=1
	s_wait_alu 0xfffe
	s_or_b32 exec_lo, exec_lo, s15
.LBB286_1078:                           ;   in Loop: Header=BB286_806 Depth=1
	s_wait_alu 0xfffe
	s_or_b32 exec_lo, exec_lo, s14
.LBB286_1079:                           ;   in Loop: Header=BB286_806 Depth=1
	s_wait_alu 0xfffe
	s_or_b32 exec_lo, exec_lo, s11
	v_lshrrev_b16 v0, 8, v11
	s_mov_b32 s11, exec_lo
	s_delay_alu instid0(VALU_DEP_1)
	v_cmpx_ne_u16_e32 0, v0
	s_cbranch_execz .LBB286_1087
; %bb.1080:                             ;   in Loop: Header=BB286_806 Depth=1
	v_bfrev_b32_e32 v100, 1
	s_mov_b32 s14, exec_lo
	v_cmpx_ne_u16_e32 0x80, v0
	s_cbranch_execz .LBB286_1086
; %bb.1081:                             ;   in Loop: Header=BB286_806 Depth=1
	v_and_b32_e32 v102, 0xffff, v0
	v_mov_b32_e32 v100, 0x7c010000
	s_mov_b32 s15, exec_lo
	s_delay_alu instid0(VALU_DEP_2) | instskip(NEXT) | instid1(VALU_DEP_1)
	v_and_b32_e32 v112, 0x7f, v102
	v_cmpx_ne_u32_e32 0x7f, v112
	s_cbranch_execz .LBB286_1085
; %bb.1082:                             ;   in Loop: Header=BB286_806 Depth=1
	v_and_b32_e32 v100, 7, v102
	v_lshrrev_b32_e32 v103, 3, v112
	s_mov_b32 s16, exec_lo
	v_cmpx_gt_u32_e32 8, v112
; %bb.1083:                             ;   in Loop: Header=BB286_806 Depth=1
	s_delay_alu instid0(VALU_DEP_3) | instskip(NEXT) | instid1(VALU_DEP_1)
	v_clz_i32_u32_e32 v100, v100
	v_min_u32_e32 v100, 32, v100
	s_delay_alu instid0(VALU_DEP_1) | instskip(NEXT) | instid1(VALU_DEP_1)
	v_subrev_nc_u32_e32 v103, 28, v100
	v_lshlrev_b64_e32 v[112:113], v103, v[0:1]
	v_sub_nc_u32_e32 v103, 29, v100
	s_delay_alu instid0(VALU_DEP_2)
	v_and_b32_e32 v100, 7, v112
; %bb.1084:                             ;   in Loop: Header=BB286_806 Depth=1
	s_wait_alu 0xfffe
	s_or_b32 exec_lo, exec_lo, s16
	v_lshlrev_b32_e32 v0, 8, v102
	v_lshl_add_u32 v102, v103, 10, 0x2000
	v_lshlrev_b32_e32 v100, 23, v100
	s_delay_alu instid0(VALU_DEP_2) | instskip(NEXT) | instid1(VALU_DEP_1)
	v_and_or_b32 v0, 0x8000, v0, v102
	v_lshl_or_b32 v100, v0, 16, v100
.LBB286_1085:                           ;   in Loop: Header=BB286_806 Depth=1
	s_wait_alu 0xfffe
	s_or_b32 exec_lo, exec_lo, s15
.LBB286_1086:                           ;   in Loop: Header=BB286_806 Depth=1
	s_wait_alu 0xfffe
	s_or_b32 exec_lo, exec_lo, s14
.LBB286_1087:                           ;   in Loop: Header=BB286_806 Depth=1
	s_wait_alu 0xfffe
	s_or_b32 exec_lo, exec_lo, s11
	v_lshrrev_b32_e32 v0, 16, v11
	v_mov_b32_e32 v102, 0
	s_mov_b32 s11, exec_lo
	s_delay_alu instid0(VALU_DEP_2) | instskip(NEXT) | instid1(VALU_DEP_1)
	v_dual_mov_b32 v103, 0 :: v_dual_and_b32 v112, 0xff, v0
	v_cmpx_ne_u16_e32 0, v112
	s_cbranch_execz .LBB286_1095
; %bb.1088:                             ;   in Loop: Header=BB286_806 Depth=1
	v_mov_b32_e32 v103, 0x8000
	s_mov_b32 s14, exec_lo
	v_cmpx_ne_u16_e32 0x80, v112
	s_cbranch_execz .LBB286_1094
; %bb.1089:                             ;   in Loop: Header=BB286_806 Depth=1
	v_bfe_u32 v113, v11, 16, 7
	v_mov_b32_e32 v103, 0x7c01
	s_mov_b32 s15, exec_lo
	s_delay_alu instid0(VALU_DEP_2)
	v_cmpx_ne_u32_e32 0x7f, v113
	s_cbranch_execz .LBB286_1093
; %bb.1090:                             ;   in Loop: Header=BB286_806 Depth=1
	v_and_b32_e32 v103, 7, v0
	v_lshrrev_b32_e32 v112, 3, v113
	s_mov_b32 s16, exec_lo
	v_cmpx_gt_u32_e32 8, v113
; %bb.1091:                             ;   in Loop: Header=BB286_806 Depth=1
	s_delay_alu instid0(VALU_DEP_3) | instskip(NEXT) | instid1(VALU_DEP_1)
	v_clz_i32_u32_e32 v103, v103
	v_min_u32_e32 v103, 32, v103
	s_delay_alu instid0(VALU_DEP_1) | instskip(NEXT) | instid1(VALU_DEP_1)
	v_subrev_nc_u32_e32 v112, 28, v103
	v_lshlrev_b64_e32 v[113:114], v112, v[0:1]
	v_sub_nc_u32_e32 v112, 29, v103
	s_delay_alu instid0(VALU_DEP_2)
	v_and_b32_e32 v103, 7, v113
; %bb.1092:                             ;   in Loop: Header=BB286_806 Depth=1
	s_wait_alu 0xfffe
	s_or_b32 exec_lo, exec_lo, s16
	v_lshlrev_b32_e32 v0, 8, v0
	v_lshl_add_u32 v112, v112, 10, 0x2000
	v_lshlrev_b32_e32 v103, 7, v103
	s_delay_alu instid0(VALU_DEP_3) | instskip(NEXT) | instid1(VALU_DEP_3)
	v_and_b32_e32 v0, 0x8000, v0
	v_and_b32_e32 v112, 0xfc00, v112
	s_delay_alu instid0(VALU_DEP_1)
	v_or3_b32 v103, v0, v112, v103
.LBB286_1093:                           ;   in Loop: Header=BB286_806 Depth=1
	s_wait_alu 0xfffe
	s_or_b32 exec_lo, exec_lo, s15
.LBB286_1094:                           ;   in Loop: Header=BB286_806 Depth=1
	s_wait_alu 0xfffe
	s_or_b32 exec_lo, exec_lo, s14
.LBB286_1095:                           ;   in Loop: Header=BB286_806 Depth=1
	s_wait_alu 0xfffe
	s_or_b32 exec_lo, exec_lo, s11
	s_delay_alu instid0(SALU_CYCLE_1)
	s_mov_b32 s11, exec_lo
	v_cmpx_lt_u32_e32 0xffffff, v11
	s_cbranch_execz .LBB286_1103
; %bb.1096:                             ;   in Loop: Header=BB286_806 Depth=1
	v_lshrrev_b32_e32 v0, 24, v11
	v_bfrev_b32_e32 v102, 1
	s_mov_b32 s14, exec_lo
	s_delay_alu instid0(VALU_DEP_2)
	v_cmpx_ne_u32_e32 0x80, v0
	s_cbranch_execz .LBB286_1102
; %bb.1097:                             ;   in Loop: Header=BB286_806 Depth=1
	v_and_b32_e32 v113, 0x7f, v0
	v_mov_b32_e32 v102, 0x7c010000
	s_mov_b32 s15, exec_lo
	s_delay_alu instid0(VALU_DEP_2)
	v_cmpx_ne_u32_e32 0x7f, v113
	s_cbranch_execz .LBB286_1101
; %bb.1098:                             ;   in Loop: Header=BB286_806 Depth=1
	v_and_b32_e32 v102, 7, v0
	v_lshrrev_b32_e32 v112, 3, v113
	s_mov_b32 s16, exec_lo
	v_cmpx_gt_u32_e32 8, v113
; %bb.1099:                             ;   in Loop: Header=BB286_806 Depth=1
	s_delay_alu instid0(VALU_DEP_3) | instskip(NEXT) | instid1(VALU_DEP_1)
	v_clz_i32_u32_e32 v102, v102
	v_min_u32_e32 v102, 32, v102
	s_delay_alu instid0(VALU_DEP_1) | instskip(NEXT) | instid1(VALU_DEP_1)
	v_subrev_nc_u32_e32 v112, 28, v102
	v_lshlrev_b64_e32 v[113:114], v112, v[0:1]
	v_sub_nc_u32_e32 v112, 29, v102
	s_delay_alu instid0(VALU_DEP_2)
	v_and_b32_e32 v102, 7, v113
; %bb.1100:                             ;   in Loop: Header=BB286_806 Depth=1
	s_wait_alu 0xfffe
	s_or_b32 exec_lo, exec_lo, s16
	v_lshlrev_b32_e32 v0, 8, v0
	v_lshl_add_u32 v112, v112, 10, 0x2000
	v_lshlrev_b32_e32 v102, 23, v102
	s_delay_alu instid0(VALU_DEP_2) | instskip(NEXT) | instid1(VALU_DEP_1)
	v_and_or_b32 v0, 0x8000, v0, v112
	v_lshl_or_b32 v102, v0, 16, v102
.LBB286_1101:                           ;   in Loop: Header=BB286_806 Depth=1
	s_wait_alu 0xfffe
	s_or_b32 exec_lo, exec_lo, s15
.LBB286_1102:                           ;   in Loop: Header=BB286_806 Depth=1
	s_wait_alu 0xfffe
	s_or_b32 exec_lo, exec_lo, s14
.LBB286_1103:                           ;   in Loop: Header=BB286_806 Depth=1
	s_wait_alu 0xfffe
	s_or_b32 exec_lo, exec_lo, s11
	v_dual_mov_b32 v113, 0 :: v_dual_and_b32 v114, 0xff, v12
	v_mov_b32_e32 v0, v12
	v_mov_b32_e32 v112, 0
	s_mov_b32 s11, exec_lo
	s_delay_alu instid0(VALU_DEP_3)
	v_cmpx_ne_u16_e32 0, v114
	s_cbranch_execz .LBB286_1111
; %bb.1104:                             ;   in Loop: Header=BB286_806 Depth=1
	v_mov_b32_e32 v113, 0x8000
	s_mov_b32 s14, exec_lo
	v_cmpx_ne_u16_e32 0x80, v114
	s_cbranch_execz .LBB286_1110
; %bb.1105:                             ;   in Loop: Header=BB286_806 Depth=1
	v_and_b32_e32 v115, 0x7f, v12
	v_mov_b32_e32 v113, 0x7c01
	s_mov_b32 s15, exec_lo
	s_delay_alu instid0(VALU_DEP_2)
	v_cmpx_ne_u32_e32 0x7f, v115
	s_cbranch_execz .LBB286_1109
; %bb.1106:                             ;   in Loop: Header=BB286_806 Depth=1
	v_and_b32_e32 v113, 7, v12
	v_lshrrev_b32_e32 v114, 3, v115
	s_mov_b32 s16, exec_lo
	v_cmpx_gt_u32_e32 8, v115
; %bb.1107:                             ;   in Loop: Header=BB286_806 Depth=1
	s_delay_alu instid0(VALU_DEP_3) | instskip(NEXT) | instid1(VALU_DEP_1)
	v_clz_i32_u32_e32 v113, v113
	v_min_u32_e32 v115, 32, v113
	s_delay_alu instid0(VALU_DEP_1) | instskip(NEXT) | instid1(VALU_DEP_1)
	v_subrev_nc_u32_e32 v113, 28, v115
	v_lshlrev_b64_e32 v[113:114], v113, v[0:1]
	v_sub_nc_u32_e32 v114, 29, v115
	s_delay_alu instid0(VALU_DEP_2)
	v_and_b32_e32 v113, 7, v113
; %bb.1108:                             ;   in Loop: Header=BB286_806 Depth=1
	s_wait_alu 0xfffe
	s_or_b32 exec_lo, exec_lo, s16
	v_lshlrev_b32_e32 v115, 8, v12
	v_lshl_add_u32 v114, v114, 10, 0x2000
	v_lshlrev_b32_e32 v113, 7, v113
	s_delay_alu instid0(VALU_DEP_3) | instskip(NEXT) | instid1(VALU_DEP_3)
	v_and_b32_e32 v115, 0x8000, v115
	v_and_b32_e32 v114, 0xfc00, v114
	s_delay_alu instid0(VALU_DEP_1)
	v_or3_b32 v113, v115, v114, v113
.LBB286_1109:                           ;   in Loop: Header=BB286_806 Depth=1
	s_wait_alu 0xfffe
	s_or_b32 exec_lo, exec_lo, s15
.LBB286_1110:                           ;   in Loop: Header=BB286_806 Depth=1
	s_wait_alu 0xfffe
	s_or_b32 exec_lo, exec_lo, s14
.LBB286_1111:                           ;   in Loop: Header=BB286_806 Depth=1
	s_wait_alu 0xfffe
	s_or_b32 exec_lo, exec_lo, s11
	v_lshrrev_b16 v0, 8, v0
	v_mov_b32_e32 v114, 0
	s_mov_b32 s11, exec_lo
	s_delay_alu instid0(VALU_DEP_2)
	v_cmpx_ne_u16_e32 0, v0
	s_cbranch_execz .LBB286_1119
; %bb.1112:                             ;   in Loop: Header=BB286_806 Depth=1
	v_bfrev_b32_e32 v114, 1
	s_mov_b32 s14, exec_lo
	v_cmpx_ne_u16_e32 0x80, v0
	s_cbranch_execz .LBB286_1118
; %bb.1113:                             ;   in Loop: Header=BB286_806 Depth=1
	v_and_b32_e32 v115, 0xffff, v0
	v_mov_b32_e32 v114, 0x7c010000
	s_mov_b32 s15, exec_lo
	s_delay_alu instid0(VALU_DEP_2) | instskip(NEXT) | instid1(VALU_DEP_1)
	v_and_b32_e32 v117, 0x7f, v115
	v_cmpx_ne_u32_e32 0x7f, v117
	s_cbranch_execz .LBB286_1117
; %bb.1114:                             ;   in Loop: Header=BB286_806 Depth=1
	v_and_b32_e32 v114, 7, v115
	v_lshrrev_b32_e32 v116, 3, v117
	s_mov_b32 s16, exec_lo
	v_cmpx_gt_u32_e32 8, v117
; %bb.1115:                             ;   in Loop: Header=BB286_806 Depth=1
	s_delay_alu instid0(VALU_DEP_3) | instskip(NEXT) | instid1(VALU_DEP_1)
	v_clz_i32_u32_e32 v114, v114
	v_min_u32_e32 v114, 32, v114
	s_delay_alu instid0(VALU_DEP_1) | instskip(NEXT) | instid1(VALU_DEP_1)
	v_subrev_nc_u32_e32 v116, 28, v114
	v_lshlrev_b64_e32 v[117:118], v116, v[0:1]
	v_sub_nc_u32_e32 v116, 29, v114
	s_delay_alu instid0(VALU_DEP_2)
	v_and_b32_e32 v114, 7, v117
; %bb.1116:                             ;   in Loop: Header=BB286_806 Depth=1
	s_wait_alu 0xfffe
	s_or_b32 exec_lo, exec_lo, s16
	v_lshlrev_b32_e32 v0, 8, v115
	v_lshl_add_u32 v115, v116, 10, 0x2000
	v_lshlrev_b32_e32 v114, 23, v114
	s_delay_alu instid0(VALU_DEP_2) | instskip(NEXT) | instid1(VALU_DEP_1)
	v_and_or_b32 v0, 0x8000, v0, v115
	v_lshl_or_b32 v114, v0, 16, v114
.LBB286_1117:                           ;   in Loop: Header=BB286_806 Depth=1
	s_wait_alu 0xfffe
	s_or_b32 exec_lo, exec_lo, s15
.LBB286_1118:                           ;   in Loop: Header=BB286_806 Depth=1
	s_wait_alu 0xfffe
	s_or_b32 exec_lo, exec_lo, s14
.LBB286_1119:                           ;   in Loop: Header=BB286_806 Depth=1
	s_wait_alu 0xfffe
	s_or_b32 exec_lo, exec_lo, s11
	v_lshrrev_b32_e32 v0, 16, v12
	s_mov_b32 s11, exec_lo
	s_delay_alu instid0(VALU_DEP_1) | instskip(NEXT) | instid1(VALU_DEP_1)
	v_and_b32_e32 v115, 0xff, v0
	v_cmpx_ne_u16_e32 0, v115
	s_cbranch_execz .LBB286_1127
; %bb.1120:                             ;   in Loop: Header=BB286_806 Depth=1
	v_mov_b32_e32 v112, 0x8000
	s_mov_b32 s14, exec_lo
	v_cmpx_ne_u16_e32 0x80, v115
	s_cbranch_execz .LBB286_1126
; %bb.1121:                             ;   in Loop: Header=BB286_806 Depth=1
	v_bfe_u32 v116, v12, 16, 7
	v_mov_b32_e32 v112, 0x7c01
	s_mov_b32 s15, exec_lo
	s_delay_alu instid0(VALU_DEP_2)
	v_cmpx_ne_u32_e32 0x7f, v116
	s_cbranch_execz .LBB286_1125
; %bb.1122:                             ;   in Loop: Header=BB286_806 Depth=1
	v_and_b32_e32 v112, 7, v0
	v_lshrrev_b32_e32 v115, 3, v116
	s_mov_b32 s16, exec_lo
	v_cmpx_gt_u32_e32 8, v116
; %bb.1123:                             ;   in Loop: Header=BB286_806 Depth=1
	s_delay_alu instid0(VALU_DEP_3) | instskip(NEXT) | instid1(VALU_DEP_1)
	v_clz_i32_u32_e32 v112, v112
	v_min_u32_e32 v112, 32, v112
	s_delay_alu instid0(VALU_DEP_1) | instskip(NEXT) | instid1(VALU_DEP_1)
	v_subrev_nc_u32_e32 v115, 28, v112
	v_lshlrev_b64_e32 v[116:117], v115, v[0:1]
	v_sub_nc_u32_e32 v115, 29, v112
	s_delay_alu instid0(VALU_DEP_2)
	v_and_b32_e32 v112, 7, v116
; %bb.1124:                             ;   in Loop: Header=BB286_806 Depth=1
	s_wait_alu 0xfffe
	s_or_b32 exec_lo, exec_lo, s16
	v_lshlrev_b32_e32 v0, 8, v0
	v_lshl_add_u32 v115, v115, 10, 0x2000
	v_lshlrev_b32_e32 v112, 7, v112
	s_delay_alu instid0(VALU_DEP_3) | instskip(NEXT) | instid1(VALU_DEP_3)
	v_and_b32_e32 v0, 0x8000, v0
	v_and_b32_e32 v115, 0xfc00, v115
	s_delay_alu instid0(VALU_DEP_1)
	v_or3_b32 v112, v0, v115, v112
.LBB286_1125:                           ;   in Loop: Header=BB286_806 Depth=1
	s_wait_alu 0xfffe
	s_or_b32 exec_lo, exec_lo, s15
.LBB286_1126:                           ;   in Loop: Header=BB286_806 Depth=1
	s_wait_alu 0xfffe
	s_or_b32 exec_lo, exec_lo, s14
.LBB286_1127:                           ;   in Loop: Header=BB286_806 Depth=1
	s_wait_alu 0xfffe
	s_or_b32 exec_lo, exec_lo, s11
	v_cmp_lt_u64_e64 s0, s[8:9], v[11:12]
	v_mov_b32_e32 v11, 0
	s_and_saveexec_b32 s11, s0
	s_cbranch_execz .LBB286_1135
; %bb.1128:                             ;   in Loop: Header=BB286_806 Depth=1
	v_lshrrev_b32_e32 v0, 24, v12
	v_bfrev_b32_e32 v11, 1
	s_mov_b32 s14, exec_lo
	s_delay_alu instid0(VALU_DEP_2)
	v_cmpx_ne_u32_e32 0x80, v0
	s_cbranch_execz .LBB286_1134
; %bb.1129:                             ;   in Loop: Header=BB286_806 Depth=1
	v_and_b32_e32 v115, 0x7f, v0
	v_mov_b32_e32 v11, 0x7c010000
	s_mov_b32 s15, exec_lo
	s_delay_alu instid0(VALU_DEP_2)
	v_cmpx_ne_u32_e32 0x7f, v115
	s_cbranch_execz .LBB286_1133
; %bb.1130:                             ;   in Loop: Header=BB286_806 Depth=1
	v_and_b32_e32 v11, 7, v0
	v_lshrrev_b32_e32 v12, 3, v115
	s_mov_b32 s16, exec_lo
	v_cmpx_gt_u32_e32 8, v115
; %bb.1131:                             ;   in Loop: Header=BB286_806 Depth=1
	s_delay_alu instid0(VALU_DEP_3) | instskip(NEXT) | instid1(VALU_DEP_1)
	v_clz_i32_u32_e32 v11, v11
	v_min_u32_e32 v115, 32, v11
	s_delay_alu instid0(VALU_DEP_1) | instskip(NEXT) | instid1(VALU_DEP_1)
	v_subrev_nc_u32_e32 v11, 28, v115
	v_lshlrev_b64_e32 v[11:12], v11, v[0:1]
	v_sub_nc_u32_e32 v12, 29, v115
	s_delay_alu instid0(VALU_DEP_2)
	v_and_b32_e32 v11, 7, v11
; %bb.1132:                             ;   in Loop: Header=BB286_806 Depth=1
	s_wait_alu 0xfffe
	s_or_b32 exec_lo, exec_lo, s16
	v_lshlrev_b32_e32 v0, 8, v0
	v_lshl_add_u32 v12, v12, 10, 0x2000
	v_lshlrev_b32_e32 v11, 23, v11
	s_delay_alu instid0(VALU_DEP_2) | instskip(NEXT) | instid1(VALU_DEP_1)
	v_and_or_b32 v0, 0x8000, v0, v12
	v_lshl_or_b32 v11, v0, 16, v11
.LBB286_1133:                           ;   in Loop: Header=BB286_806 Depth=1
	s_wait_alu 0xfffe
	s_or_b32 exec_lo, exec_lo, s15
.LBB286_1134:                           ;   in Loop: Header=BB286_806 Depth=1
	s_wait_alu 0xfffe
	s_or_b32 exec_lo, exec_lo, s14
.LBB286_1135:                           ;   in Loop: Header=BB286_806 Depth=1
	s_wait_alu 0xfffe
	s_or_b32 exec_lo, exec_lo, s11
	v_or_b32_e32 v0, v102, v103
	s_wait_loadcnt_dscnt 0x0
	v_fma_mixlo_f16 v12, v99, v102, 0 op_sel:[0,1,0] op_sel_hi:[0,1,0]
	v_or_b32_e32 v102, v100, v101
	v_fma_mixlo_f16 v100, v99, v100, 0 op_sel:[0,1,0] op_sel_hi:[0,1,0]
	v_or_b32_e32 v103, v114, v113
	v_or_b32_e32 v112, v11, v112
	v_fma_mixlo_f16 v113, v99, v0, 0 op_sel_hi:[0,1,0]
	v_fma_mixlo_f16 v11, v99, v11, 0 op_sel:[0,1,0] op_sel_hi:[0,1,0]
	v_lshlrev_b32_e32 v101, 16, v100
	v_fma_mixlo_f16 v100, v99, v102, 0 op_sel_hi:[0,1,0]
	v_fma_mixlo_f16 v102, v99, v114, 0 op_sel:[0,1,0] op_sel_hi:[0,1,0]
	v_fma_mixlo_f16 v103, v99, v103, 0 op_sel_hi:[0,1,0]
	v_fma_mixlo_f16 v112, v99, v112, 0 op_sel_hi:[0,1,0]
	v_lshlrev_b32_e32 v0, 16, v12
	v_and_b32_e32 v12, 0xffff, v113
	v_and_b32_e32 v115, 0xffff, v100
	v_lshlrev_b32_e32 v99, 16, v102
	v_and_b32_e32 v103, 0xffff, v103
	v_lshlrev_b32_e32 v11, 16, v11
	v_and_b32_e32 v100, 0xffff, v112
	v_or_b32_e32 v102, v0, v12
	v_or_b32_e32 v114, v101, v115
	;; [unrolled: 1-line block ×3, first 2 shown]
	s_delay_alu instid0(VALU_DEP_4)
	v_or_b32_e32 v112, v11, v100
	s_and_saveexec_b32 s11, vcc_lo
	s_cbranch_execz .LBB286_1137
; %bb.1136:                             ;   in Loop: Header=BB286_806 Depth=1
	v_cmp_lt_i32_e64 s0, v17, v34
	s_wait_alu 0xf1ff
	s_delay_alu instid0(VALU_DEP_1) | instskip(SKIP_2) | instid1(VALU_DEP_1)
	v_cndmask_b32_e64 v102, 0, v115, s0
	v_cmp_lt_i32_e64 s0, v84, v34
	s_wait_alu 0xf1ff
	v_cndmask_b32_e64 v101, 0, v101, s0
	v_cmp_lt_i32_e64 s0, v83, v34
	s_delay_alu instid0(VALU_DEP_2) | instskip(SKIP_1) | instid1(VALU_DEP_2)
	v_or_b32_e32 v114, v102, v101
	s_wait_alu 0xf1ff
	v_cndmask_b32_e64 v12, 0, v12, s0
	v_cmp_lt_i32_e64 s0, v82, v34
	s_wait_alu 0xf1ff
	s_delay_alu instid0(VALU_DEP_1) | instskip(SKIP_1) | instid1(VALU_DEP_2)
	v_cndmask_b32_e64 v0, 0, v0, s0
	v_cmp_lt_i32_e64 s0, v80, v34
	v_or_b32_e32 v102, v12, v0
	s_wait_alu 0xf1ff
	s_delay_alu instid0(VALU_DEP_2) | instskip(SKIP_2) | instid1(VALU_DEP_1)
	v_cndmask_b32_e64 v103, 0, v103, s0
	v_cmp_lt_i32_e64 s0, v71, v34
	s_wait_alu 0xf1ff
	v_cndmask_b32_e64 v99, 0, v99, s0
	v_cmp_lt_i32_e64 s0, v69, v34
	s_delay_alu instid0(VALU_DEP_2) | instskip(SKIP_1) | instid1(VALU_DEP_2)
	v_or_b32_e32 v113, v103, v99
	s_wait_alu 0xf1ff
	v_cndmask_b32_e64 v100, 0, v100, s0
	v_cmp_lt_i32_e64 s0, v67, v34
	s_wait_alu 0xf1ff
	s_delay_alu instid0(VALU_DEP_1) | instskip(NEXT) | instid1(VALU_DEP_1)
	v_cndmask_b32_e64 v11, 0, v11, s0
	v_or_b32_e32 v112, v100, v11
.LBB286_1137:                           ;   in Loop: Header=BB286_806 Depth=1
	s_wait_alu 0xfffe
	s_or_b32 exec_lo, exec_lo, s11
	;;#ASMSTART
	v_pk_mul_f16 v0, v81, v114;

	;;#ASMEND
	;;#ASMSTART
	v_pk_mul_f16 v11, v70, v102;

	;;#ASMEND
	;; [unrolled: 4-line block ×4, first 2 shown]
	;;#ASMSTART
	v_pk_add_f16 v0, v0, v11;

	;;#ASMEND
	;;#ASMSTART
	v_pk_add_f16 v0, v0, v12;

	;;#ASMEND
	;; [unrolled: 4-line block ×3, first 2 shown]
	v_dual_mov_b32 v102, 0 :: v_dual_and_b32 v11, 0xffff, v0
	v_lshrrev_b32_e32 v0, 16, v0
	;;#ASMSTART
	v_cvt_f32_f16 v99, v11;
	;;#ASMEND
	;;#ASMSTART
	v_cvt_f32_f16 v100, v0;
	;;#ASMEND
	flat_load_b64 v[11:12], v[9:10] offset:1280
	flat_load_b32 v101, v[26:27]
	s_mov_b32 s11, exec_lo
	s_wait_loadcnt_dscnt 0x101
	v_dual_mov_b32 v103, 0 :: v_dual_and_b32 v0, 0xff, v11
	s_delay_alu instid0(VALU_DEP_1)
	v_cmpx_ne_u16_e32 0, v0
	s_cbranch_execz .LBB286_1145
; %bb.1138:                             ;   in Loop: Header=BB286_806 Depth=1
	v_mov_b32_e32 v103, 0x8000
	s_mov_b32 s14, exec_lo
	v_cmpx_ne_u16_e32 0x80, v0
	s_cbranch_execz .LBB286_1144
; %bb.1139:                             ;   in Loop: Header=BB286_806 Depth=1
	v_and_b32_e32 v112, 0x7f, v11
	v_mov_b32_e32 v103, 0x7c01
	s_mov_b32 s15, exec_lo
	s_delay_alu instid0(VALU_DEP_2)
	v_cmpx_ne_u32_e32 0x7f, v112
	s_cbranch_execz .LBB286_1143
; %bb.1140:                             ;   in Loop: Header=BB286_806 Depth=1
	v_and_b32_e32 v0, 7, v11
	v_lshrrev_b32_e32 v103, 3, v112
	s_mov_b32 s16, exec_lo
	v_cmpx_gt_u32_e32 8, v112
; %bb.1141:                             ;   in Loop: Header=BB286_806 Depth=1
	s_delay_alu instid0(VALU_DEP_3) | instskip(NEXT) | instid1(VALU_DEP_1)
	v_clz_i32_u32_e32 v0, v0
	v_min_u32_e32 v0, 32, v0
	s_delay_alu instid0(VALU_DEP_1) | instskip(NEXT) | instid1(VALU_DEP_1)
	v_subrev_nc_u32_e32 v103, 28, v0
	v_lshlrev_b64_e32 v[112:113], v103, v[11:12]
	v_sub_nc_u32_e32 v103, 29, v0
	s_delay_alu instid0(VALU_DEP_2)
	v_and_b32_e32 v0, 7, v112
; %bb.1142:                             ;   in Loop: Header=BB286_806 Depth=1
	s_wait_alu 0xfffe
	s_or_b32 exec_lo, exec_lo, s16
	v_lshlrev_b32_e32 v112, 8, v11
	v_lshl_add_u32 v103, v103, 10, 0x2000
	v_lshlrev_b32_e32 v0, 7, v0
	s_delay_alu instid0(VALU_DEP_3) | instskip(NEXT) | instid1(VALU_DEP_3)
	v_and_b32_e32 v112, 0x8000, v112
	v_and_b32_e32 v103, 0xfc00, v103
	s_delay_alu instid0(VALU_DEP_1)
	v_or3_b32 v103, v112, v103, v0
.LBB286_1143:                           ;   in Loop: Header=BB286_806 Depth=1
	s_wait_alu 0xfffe
	s_or_b32 exec_lo, exec_lo, s15
.LBB286_1144:                           ;   in Loop: Header=BB286_806 Depth=1
	s_wait_alu 0xfffe
	s_or_b32 exec_lo, exec_lo, s14
.LBB286_1145:                           ;   in Loop: Header=BB286_806 Depth=1
	s_wait_alu 0xfffe
	s_or_b32 exec_lo, exec_lo, s11
	v_lshrrev_b16 v0, 8, v11
	s_mov_b32 s11, exec_lo
	s_delay_alu instid0(VALU_DEP_1)
	v_cmpx_ne_u16_e32 0, v0
	s_cbranch_execz .LBB286_1153
; %bb.1146:                             ;   in Loop: Header=BB286_806 Depth=1
	v_bfrev_b32_e32 v102, 1
	s_mov_b32 s14, exec_lo
	v_cmpx_ne_u16_e32 0x80, v0
	s_cbranch_execz .LBB286_1152
; %bb.1147:                             ;   in Loop: Header=BB286_806 Depth=1
	v_and_b32_e32 v112, 0xffff, v0
	v_mov_b32_e32 v102, 0x7c010000
	s_mov_b32 s15, exec_lo
	s_delay_alu instid0(VALU_DEP_2) | instskip(NEXT) | instid1(VALU_DEP_1)
	v_and_b32_e32 v114, 0x7f, v112
	v_cmpx_ne_u32_e32 0x7f, v114
	s_cbranch_execz .LBB286_1151
; %bb.1148:                             ;   in Loop: Header=BB286_806 Depth=1
	v_and_b32_e32 v102, 7, v112
	v_lshrrev_b32_e32 v113, 3, v114
	s_mov_b32 s16, exec_lo
	v_cmpx_gt_u32_e32 8, v114
; %bb.1149:                             ;   in Loop: Header=BB286_806 Depth=1
	s_delay_alu instid0(VALU_DEP_3) | instskip(NEXT) | instid1(VALU_DEP_1)
	v_clz_i32_u32_e32 v102, v102
	v_min_u32_e32 v102, 32, v102
	s_delay_alu instid0(VALU_DEP_1) | instskip(NEXT) | instid1(VALU_DEP_1)
	v_subrev_nc_u32_e32 v113, 28, v102
	v_lshlrev_b64_e32 v[114:115], v113, v[0:1]
	v_sub_nc_u32_e32 v113, 29, v102
	s_delay_alu instid0(VALU_DEP_2)
	v_and_b32_e32 v102, 7, v114
; %bb.1150:                             ;   in Loop: Header=BB286_806 Depth=1
	s_wait_alu 0xfffe
	s_or_b32 exec_lo, exec_lo, s16
	v_lshlrev_b32_e32 v0, 8, v112
	v_lshl_add_u32 v112, v113, 10, 0x2000
	v_lshlrev_b32_e32 v102, 23, v102
	s_delay_alu instid0(VALU_DEP_2) | instskip(NEXT) | instid1(VALU_DEP_1)
	v_and_or_b32 v0, 0x8000, v0, v112
	v_lshl_or_b32 v102, v0, 16, v102
.LBB286_1151:                           ;   in Loop: Header=BB286_806 Depth=1
	s_wait_alu 0xfffe
	s_or_b32 exec_lo, exec_lo, s15
.LBB286_1152:                           ;   in Loop: Header=BB286_806 Depth=1
	s_wait_alu 0xfffe
	s_or_b32 exec_lo, exec_lo, s14
.LBB286_1153:                           ;   in Loop: Header=BB286_806 Depth=1
	s_wait_alu 0xfffe
	s_or_b32 exec_lo, exec_lo, s11
	v_lshrrev_b32_e32 v0, 16, v11
	v_mov_b32_e32 v112, 0
	s_mov_b32 s11, exec_lo
	s_delay_alu instid0(VALU_DEP_2) | instskip(NEXT) | instid1(VALU_DEP_1)
	v_dual_mov_b32 v113, 0 :: v_dual_and_b32 v114, 0xff, v0
	v_cmpx_ne_u16_e32 0, v114
	s_cbranch_execz .LBB286_1161
; %bb.1154:                             ;   in Loop: Header=BB286_806 Depth=1
	v_mov_b32_e32 v113, 0x8000
	s_mov_b32 s14, exec_lo
	v_cmpx_ne_u16_e32 0x80, v114
	s_cbranch_execz .LBB286_1160
; %bb.1155:                             ;   in Loop: Header=BB286_806 Depth=1
	v_bfe_u32 v115, v11, 16, 7
	v_mov_b32_e32 v113, 0x7c01
	s_mov_b32 s15, exec_lo
	s_delay_alu instid0(VALU_DEP_2)
	v_cmpx_ne_u32_e32 0x7f, v115
	s_cbranch_execz .LBB286_1159
; %bb.1156:                             ;   in Loop: Header=BB286_806 Depth=1
	v_and_b32_e32 v113, 7, v0
	v_lshrrev_b32_e32 v114, 3, v115
	s_mov_b32 s16, exec_lo
	v_cmpx_gt_u32_e32 8, v115
; %bb.1157:                             ;   in Loop: Header=BB286_806 Depth=1
	s_delay_alu instid0(VALU_DEP_3) | instskip(NEXT) | instid1(VALU_DEP_1)
	v_clz_i32_u32_e32 v113, v113
	v_min_u32_e32 v115, 32, v113
	s_delay_alu instid0(VALU_DEP_1) | instskip(NEXT) | instid1(VALU_DEP_1)
	v_subrev_nc_u32_e32 v113, 28, v115
	v_lshlrev_b64_e32 v[113:114], v113, v[0:1]
	v_sub_nc_u32_e32 v114, 29, v115
	s_delay_alu instid0(VALU_DEP_2)
	v_and_b32_e32 v113, 7, v113
; %bb.1158:                             ;   in Loop: Header=BB286_806 Depth=1
	s_wait_alu 0xfffe
	s_or_b32 exec_lo, exec_lo, s16
	v_lshlrev_b32_e32 v0, 8, v0
	v_lshl_add_u32 v114, v114, 10, 0x2000
	v_lshlrev_b32_e32 v113, 7, v113
	s_delay_alu instid0(VALU_DEP_3) | instskip(NEXT) | instid1(VALU_DEP_3)
	v_and_b32_e32 v0, 0x8000, v0
	v_and_b32_e32 v114, 0xfc00, v114
	s_delay_alu instid0(VALU_DEP_1)
	v_or3_b32 v113, v0, v114, v113
.LBB286_1159:                           ;   in Loop: Header=BB286_806 Depth=1
	s_wait_alu 0xfffe
	s_or_b32 exec_lo, exec_lo, s15
.LBB286_1160:                           ;   in Loop: Header=BB286_806 Depth=1
	s_wait_alu 0xfffe
	s_or_b32 exec_lo, exec_lo, s14
.LBB286_1161:                           ;   in Loop: Header=BB286_806 Depth=1
	s_wait_alu 0xfffe
	s_or_b32 exec_lo, exec_lo, s11
	s_delay_alu instid0(SALU_CYCLE_1)
	s_mov_b32 s11, exec_lo
	v_cmpx_lt_u32_e32 0xffffff, v11
	s_cbranch_execz .LBB286_1169
; %bb.1162:                             ;   in Loop: Header=BB286_806 Depth=1
	v_lshrrev_b32_e32 v0, 24, v11
	v_bfrev_b32_e32 v112, 1
	s_mov_b32 s14, exec_lo
	s_delay_alu instid0(VALU_DEP_2)
	v_cmpx_ne_u32_e32 0x80, v0
	s_cbranch_execz .LBB286_1168
; %bb.1163:                             ;   in Loop: Header=BB286_806 Depth=1
	v_and_b32_e32 v115, 0x7f, v0
	v_mov_b32_e32 v112, 0x7c010000
	s_mov_b32 s15, exec_lo
	s_delay_alu instid0(VALU_DEP_2)
	v_cmpx_ne_u32_e32 0x7f, v115
	s_cbranch_execz .LBB286_1167
; %bb.1164:                             ;   in Loop: Header=BB286_806 Depth=1
	v_and_b32_e32 v112, 7, v0
	v_lshrrev_b32_e32 v114, 3, v115
	s_mov_b32 s16, exec_lo
	v_cmpx_gt_u32_e32 8, v115
; %bb.1165:                             ;   in Loop: Header=BB286_806 Depth=1
	s_delay_alu instid0(VALU_DEP_3) | instskip(NEXT) | instid1(VALU_DEP_1)
	v_clz_i32_u32_e32 v112, v112
	v_min_u32_e32 v112, 32, v112
	s_delay_alu instid0(VALU_DEP_1) | instskip(NEXT) | instid1(VALU_DEP_1)
	v_subrev_nc_u32_e32 v114, 28, v112
	v_lshlrev_b64_e32 v[115:116], v114, v[0:1]
	v_sub_nc_u32_e32 v114, 29, v112
	s_delay_alu instid0(VALU_DEP_2)
	v_and_b32_e32 v112, 7, v115
; %bb.1166:                             ;   in Loop: Header=BB286_806 Depth=1
	s_wait_alu 0xfffe
	s_or_b32 exec_lo, exec_lo, s16
	v_lshlrev_b32_e32 v0, 8, v0
	v_lshl_add_u32 v114, v114, 10, 0x2000
	v_lshlrev_b32_e32 v112, 23, v112
	s_delay_alu instid0(VALU_DEP_2) | instskip(NEXT) | instid1(VALU_DEP_1)
	v_and_or_b32 v0, 0x8000, v0, v114
	v_lshl_or_b32 v112, v0, 16, v112
.LBB286_1167:                           ;   in Loop: Header=BB286_806 Depth=1
	s_wait_alu 0xfffe
	s_or_b32 exec_lo, exec_lo, s15
.LBB286_1168:                           ;   in Loop: Header=BB286_806 Depth=1
	s_wait_alu 0xfffe
	s_or_b32 exec_lo, exec_lo, s14
.LBB286_1169:                           ;   in Loop: Header=BB286_806 Depth=1
	s_wait_alu 0xfffe
	s_or_b32 exec_lo, exec_lo, s11
	v_dual_mov_b32 v115, 0 :: v_dual_and_b32 v116, 0xff, v12
	v_mov_b32_e32 v0, v12
	v_mov_b32_e32 v114, 0
	s_mov_b32 s11, exec_lo
	s_delay_alu instid0(VALU_DEP_3)
	v_cmpx_ne_u16_e32 0, v116
	s_cbranch_execz .LBB286_1177
; %bb.1170:                             ;   in Loop: Header=BB286_806 Depth=1
	v_mov_b32_e32 v115, 0x8000
	s_mov_b32 s14, exec_lo
	v_cmpx_ne_u16_e32 0x80, v116
	s_cbranch_execz .LBB286_1176
; %bb.1171:                             ;   in Loop: Header=BB286_806 Depth=1
	v_and_b32_e32 v117, 0x7f, v12
	v_mov_b32_e32 v115, 0x7c01
	s_mov_b32 s15, exec_lo
	s_delay_alu instid0(VALU_DEP_2)
	v_cmpx_ne_u32_e32 0x7f, v117
	s_cbranch_execz .LBB286_1175
; %bb.1172:                             ;   in Loop: Header=BB286_806 Depth=1
	v_and_b32_e32 v115, 7, v12
	v_lshrrev_b32_e32 v116, 3, v117
	s_mov_b32 s16, exec_lo
	v_cmpx_gt_u32_e32 8, v117
; %bb.1173:                             ;   in Loop: Header=BB286_806 Depth=1
	s_delay_alu instid0(VALU_DEP_3) | instskip(NEXT) | instid1(VALU_DEP_1)
	v_clz_i32_u32_e32 v115, v115
	v_min_u32_e32 v117, 32, v115
	s_delay_alu instid0(VALU_DEP_1) | instskip(NEXT) | instid1(VALU_DEP_1)
	v_subrev_nc_u32_e32 v115, 28, v117
	v_lshlrev_b64_e32 v[115:116], v115, v[0:1]
	v_sub_nc_u32_e32 v116, 29, v117
	s_delay_alu instid0(VALU_DEP_2)
	v_and_b32_e32 v115, 7, v115
; %bb.1174:                             ;   in Loop: Header=BB286_806 Depth=1
	s_wait_alu 0xfffe
	s_or_b32 exec_lo, exec_lo, s16
	v_lshlrev_b32_e32 v117, 8, v12
	v_lshl_add_u32 v116, v116, 10, 0x2000
	v_lshlrev_b32_e32 v115, 7, v115
	s_delay_alu instid0(VALU_DEP_3) | instskip(NEXT) | instid1(VALU_DEP_3)
	v_and_b32_e32 v117, 0x8000, v117
	v_and_b32_e32 v116, 0xfc00, v116
	s_delay_alu instid0(VALU_DEP_1)
	v_or3_b32 v115, v117, v116, v115
.LBB286_1175:                           ;   in Loop: Header=BB286_806 Depth=1
	s_wait_alu 0xfffe
	s_or_b32 exec_lo, exec_lo, s15
.LBB286_1176:                           ;   in Loop: Header=BB286_806 Depth=1
	s_wait_alu 0xfffe
	s_or_b32 exec_lo, exec_lo, s14
.LBB286_1177:                           ;   in Loop: Header=BB286_806 Depth=1
	s_wait_alu 0xfffe
	s_or_b32 exec_lo, exec_lo, s11
	v_lshrrev_b16 v0, 8, v0
	v_mov_b32_e32 v116, 0
	s_mov_b32 s11, exec_lo
	s_delay_alu instid0(VALU_DEP_2)
	v_cmpx_ne_u16_e32 0, v0
	s_cbranch_execz .LBB286_1185
; %bb.1178:                             ;   in Loop: Header=BB286_806 Depth=1
	v_bfrev_b32_e32 v116, 1
	s_mov_b32 s14, exec_lo
	v_cmpx_ne_u16_e32 0x80, v0
	s_cbranch_execz .LBB286_1184
; %bb.1179:                             ;   in Loop: Header=BB286_806 Depth=1
	v_and_b32_e32 v117, 0xffff, v0
	v_mov_b32_e32 v116, 0x7c010000
	s_mov_b32 s15, exec_lo
	s_delay_alu instid0(VALU_DEP_2) | instskip(NEXT) | instid1(VALU_DEP_1)
	v_and_b32_e32 v119, 0x7f, v117
	v_cmpx_ne_u32_e32 0x7f, v119
	s_cbranch_execz .LBB286_1183
; %bb.1180:                             ;   in Loop: Header=BB286_806 Depth=1
	v_and_b32_e32 v116, 7, v117
	v_lshrrev_b32_e32 v118, 3, v119
	s_mov_b32 s16, exec_lo
	v_cmpx_gt_u32_e32 8, v119
; %bb.1181:                             ;   in Loop: Header=BB286_806 Depth=1
	s_delay_alu instid0(VALU_DEP_3) | instskip(NEXT) | instid1(VALU_DEP_1)
	v_clz_i32_u32_e32 v116, v116
	v_min_u32_e32 v116, 32, v116
	s_delay_alu instid0(VALU_DEP_1) | instskip(NEXT) | instid1(VALU_DEP_1)
	v_subrev_nc_u32_e32 v118, 28, v116
	v_lshlrev_b64_e32 v[128:129], v118, v[0:1]
	v_sub_nc_u32_e32 v118, 29, v116
	s_delay_alu instid0(VALU_DEP_2)
	v_and_b32_e32 v116, 7, v128
; %bb.1182:                             ;   in Loop: Header=BB286_806 Depth=1
	s_wait_alu 0xfffe
	s_or_b32 exec_lo, exec_lo, s16
	v_lshlrev_b32_e32 v0, 8, v117
	v_lshl_add_u32 v117, v118, 10, 0x2000
	v_lshlrev_b32_e32 v116, 23, v116
	s_delay_alu instid0(VALU_DEP_2) | instskip(NEXT) | instid1(VALU_DEP_1)
	v_and_or_b32 v0, 0x8000, v0, v117
	v_lshl_or_b32 v116, v0, 16, v116
.LBB286_1183:                           ;   in Loop: Header=BB286_806 Depth=1
	s_wait_alu 0xfffe
	s_or_b32 exec_lo, exec_lo, s15
.LBB286_1184:                           ;   in Loop: Header=BB286_806 Depth=1
	s_wait_alu 0xfffe
	s_or_b32 exec_lo, exec_lo, s14
.LBB286_1185:                           ;   in Loop: Header=BB286_806 Depth=1
	s_wait_alu 0xfffe
	s_or_b32 exec_lo, exec_lo, s11
	v_lshrrev_b32_e32 v0, 16, v12
	s_mov_b32 s11, exec_lo
	s_delay_alu instid0(VALU_DEP_1) | instskip(NEXT) | instid1(VALU_DEP_1)
	v_and_b32_e32 v117, 0xff, v0
	v_cmpx_ne_u16_e32 0, v117
	s_cbranch_execz .LBB286_1193
; %bb.1186:                             ;   in Loop: Header=BB286_806 Depth=1
	v_mov_b32_e32 v114, 0x8000
	s_mov_b32 s14, exec_lo
	v_cmpx_ne_u16_e32 0x80, v117
	s_cbranch_execz .LBB286_1192
; %bb.1187:                             ;   in Loop: Header=BB286_806 Depth=1
	v_bfe_u32 v118, v12, 16, 7
	v_mov_b32_e32 v114, 0x7c01
	s_mov_b32 s15, exec_lo
	s_delay_alu instid0(VALU_DEP_2)
	v_cmpx_ne_u32_e32 0x7f, v118
	s_cbranch_execz .LBB286_1191
; %bb.1188:                             ;   in Loop: Header=BB286_806 Depth=1
	v_and_b32_e32 v114, 7, v0
	v_lshrrev_b32_e32 v117, 3, v118
	s_mov_b32 s16, exec_lo
	v_cmpx_gt_u32_e32 8, v118
; %bb.1189:                             ;   in Loop: Header=BB286_806 Depth=1
	s_delay_alu instid0(VALU_DEP_3) | instskip(NEXT) | instid1(VALU_DEP_1)
	v_clz_i32_u32_e32 v114, v114
	v_min_u32_e32 v114, 32, v114
	s_delay_alu instid0(VALU_DEP_1) | instskip(NEXT) | instid1(VALU_DEP_1)
	v_subrev_nc_u32_e32 v117, 28, v114
	v_lshlrev_b64_e32 v[118:119], v117, v[0:1]
	v_sub_nc_u32_e32 v117, 29, v114
	s_delay_alu instid0(VALU_DEP_2)
	v_and_b32_e32 v114, 7, v118
; %bb.1190:                             ;   in Loop: Header=BB286_806 Depth=1
	s_wait_alu 0xfffe
	s_or_b32 exec_lo, exec_lo, s16
	v_lshlrev_b32_e32 v0, 8, v0
	v_lshl_add_u32 v117, v117, 10, 0x2000
	v_lshlrev_b32_e32 v114, 7, v114
	s_delay_alu instid0(VALU_DEP_3) | instskip(NEXT) | instid1(VALU_DEP_3)
	v_and_b32_e32 v0, 0x8000, v0
	v_and_b32_e32 v117, 0xfc00, v117
	s_delay_alu instid0(VALU_DEP_1)
	v_or3_b32 v114, v0, v117, v114
.LBB286_1191:                           ;   in Loop: Header=BB286_806 Depth=1
	s_wait_alu 0xfffe
	s_or_b32 exec_lo, exec_lo, s15
.LBB286_1192:                           ;   in Loop: Header=BB286_806 Depth=1
	s_wait_alu 0xfffe
	s_or_b32 exec_lo, exec_lo, s14
.LBB286_1193:                           ;   in Loop: Header=BB286_806 Depth=1
	s_wait_alu 0xfffe
	s_or_b32 exec_lo, exec_lo, s11
	v_cmp_lt_u64_e64 s0, s[8:9], v[11:12]
	v_mov_b32_e32 v11, 0
	s_and_saveexec_b32 s11, s0
	s_cbranch_execz .LBB286_1201
; %bb.1194:                             ;   in Loop: Header=BB286_806 Depth=1
	v_lshrrev_b32_e32 v0, 24, v12
	v_bfrev_b32_e32 v11, 1
	s_mov_b32 s14, exec_lo
	s_delay_alu instid0(VALU_DEP_2)
	v_cmpx_ne_u32_e32 0x80, v0
	s_cbranch_execz .LBB286_1200
; %bb.1195:                             ;   in Loop: Header=BB286_806 Depth=1
	v_and_b32_e32 v117, 0x7f, v0
	v_mov_b32_e32 v11, 0x7c010000
	s_mov_b32 s15, exec_lo
	s_delay_alu instid0(VALU_DEP_2)
	v_cmpx_ne_u32_e32 0x7f, v117
	s_cbranch_execz .LBB286_1199
; %bb.1196:                             ;   in Loop: Header=BB286_806 Depth=1
	v_and_b32_e32 v11, 7, v0
	v_lshrrev_b32_e32 v12, 3, v117
	s_mov_b32 s16, exec_lo
	v_cmpx_gt_u32_e32 8, v117
; %bb.1197:                             ;   in Loop: Header=BB286_806 Depth=1
	s_delay_alu instid0(VALU_DEP_3) | instskip(NEXT) | instid1(VALU_DEP_1)
	v_clz_i32_u32_e32 v11, v11
	v_min_u32_e32 v117, 32, v11
	s_delay_alu instid0(VALU_DEP_1) | instskip(NEXT) | instid1(VALU_DEP_1)
	v_subrev_nc_u32_e32 v11, 28, v117
	v_lshlrev_b64_e32 v[11:12], v11, v[0:1]
	v_sub_nc_u32_e32 v12, 29, v117
	s_delay_alu instid0(VALU_DEP_2)
	v_and_b32_e32 v11, 7, v11
; %bb.1198:                             ;   in Loop: Header=BB286_806 Depth=1
	s_wait_alu 0xfffe
	s_or_b32 exec_lo, exec_lo, s16
	v_lshlrev_b32_e32 v0, 8, v0
	v_lshl_add_u32 v12, v12, 10, 0x2000
	v_lshlrev_b32_e32 v11, 23, v11
	s_delay_alu instid0(VALU_DEP_2) | instskip(NEXT) | instid1(VALU_DEP_1)
	v_and_or_b32 v0, 0x8000, v0, v12
	v_lshl_or_b32 v11, v0, 16, v11
.LBB286_1199:                           ;   in Loop: Header=BB286_806 Depth=1
	s_wait_alu 0xfffe
	s_or_b32 exec_lo, exec_lo, s15
.LBB286_1200:                           ;   in Loop: Header=BB286_806 Depth=1
	s_wait_alu 0xfffe
	s_or_b32 exec_lo, exec_lo, s14
.LBB286_1201:                           ;   in Loop: Header=BB286_806 Depth=1
	s_wait_alu 0xfffe
	s_or_b32 exec_lo, exec_lo, s11
	v_or_b32_e32 v0, v112, v113
	s_wait_loadcnt_dscnt 0x0
	v_fma_mixlo_f16 v12, v101, v112, 0 op_sel:[0,1,0] op_sel_hi:[0,1,0]
	v_or_b32_e32 v112, v102, v103
	v_fma_mixlo_f16 v102, v101, v102, 0 op_sel:[0,1,0] op_sel_hi:[0,1,0]
	v_or_b32_e32 v113, v116, v115
	v_or_b32_e32 v114, v11, v114
	v_fma_mixlo_f16 v115, v101, v0, 0 op_sel_hi:[0,1,0]
	v_fma_mixlo_f16 v11, v101, v11, 0 op_sel:[0,1,0] op_sel_hi:[0,1,0]
	v_lshlrev_b32_e32 v103, 16, v102
	v_fma_mixlo_f16 v102, v101, v112, 0 op_sel_hi:[0,1,0]
	v_fma_mixlo_f16 v112, v101, v116, 0 op_sel:[0,1,0] op_sel_hi:[0,1,0]
	v_fma_mixlo_f16 v113, v101, v113, 0 op_sel_hi:[0,1,0]
	v_fma_mixlo_f16 v114, v101, v114, 0 op_sel_hi:[0,1,0]
	v_lshlrev_b32_e32 v0, 16, v12
	v_and_b32_e32 v12, 0xffff, v115
	v_and_b32_e32 v117, 0xffff, v102
	v_lshlrev_b32_e32 v101, 16, v112
	v_and_b32_e32 v113, 0xffff, v113
	v_lshlrev_b32_e32 v11, 16, v11
	v_and_b32_e32 v102, 0xffff, v114
	v_or_b32_e32 v112, v0, v12
	v_or_b32_e32 v116, v103, v117
	v_or_b32_e32 v115, v101, v113
	s_delay_alu instid0(VALU_DEP_4)
	v_or_b32_e32 v114, v11, v102
	s_and_saveexec_b32 s11, vcc_lo
	s_cbranch_execz .LBB286_1203
; %bb.1202:                             ;   in Loop: Header=BB286_806 Depth=1
	v_cmp_lt_i32_e64 s0, v17, v34
	s_wait_alu 0xf1ff
	s_delay_alu instid0(VALU_DEP_1) | instskip(SKIP_2) | instid1(VALU_DEP_1)
	v_cndmask_b32_e64 v112, 0, v117, s0
	v_cmp_lt_i32_e64 s0, v84, v34
	s_wait_alu 0xf1ff
	v_cndmask_b32_e64 v103, 0, v103, s0
	v_cmp_lt_i32_e64 s0, v83, v34
	s_delay_alu instid0(VALU_DEP_2) | instskip(SKIP_1) | instid1(VALU_DEP_2)
	v_or_b32_e32 v116, v112, v103
	s_wait_alu 0xf1ff
	v_cndmask_b32_e64 v12, 0, v12, s0
	v_cmp_lt_i32_e64 s0, v82, v34
	s_wait_alu 0xf1ff
	s_delay_alu instid0(VALU_DEP_1) | instskip(SKIP_1) | instid1(VALU_DEP_2)
	v_cndmask_b32_e64 v0, 0, v0, s0
	v_cmp_lt_i32_e64 s0, v80, v34
	v_or_b32_e32 v112, v12, v0
	s_wait_alu 0xf1ff
	s_delay_alu instid0(VALU_DEP_2) | instskip(SKIP_2) | instid1(VALU_DEP_1)
	v_cndmask_b32_e64 v113, 0, v113, s0
	v_cmp_lt_i32_e64 s0, v71, v34
	s_wait_alu 0xf1ff
	v_cndmask_b32_e64 v101, 0, v101, s0
	v_cmp_lt_i32_e64 s0, v69, v34
	s_delay_alu instid0(VALU_DEP_2) | instskip(SKIP_1) | instid1(VALU_DEP_2)
	v_or_b32_e32 v115, v113, v101
	s_wait_alu 0xf1ff
	v_cndmask_b32_e64 v102, 0, v102, s0
	v_cmp_lt_i32_e64 s0, v67, v34
	s_wait_alu 0xf1ff
	s_delay_alu instid0(VALU_DEP_1) | instskip(NEXT) | instid1(VALU_DEP_1)
	v_cndmask_b32_e64 v11, 0, v11, s0
	v_or_b32_e32 v114, v102, v11
.LBB286_1203:                           ;   in Loop: Header=BB286_806 Depth=1
	s_wait_alu 0xfffe
	s_or_b32 exec_lo, exec_lo, s11
	;;#ASMSTART
	v_pk_mul_f16 v0, v81, v116;

	;;#ASMEND
	;;#ASMSTART
	v_pk_mul_f16 v11, v70, v112;

	;;#ASMEND
	;; [unrolled: 4-line block ×4, first 2 shown]
	;;#ASMSTART
	v_pk_add_f16 v0, v0, v11;

	;;#ASMEND
	;;#ASMSTART
	v_pk_add_f16 v0, v0, v12;

	;;#ASMEND
	;; [unrolled: 4-line block ×3, first 2 shown]
	v_dual_mov_b32 v112, 0 :: v_dual_and_b32 v11, 0xffff, v0
	v_lshrrev_b32_e32 v0, 16, v0
	;;#ASMSTART
	v_cvt_f32_f16 v101, v11;
	;;#ASMEND
	;;#ASMSTART
	v_cvt_f32_f16 v102, v0;
	;;#ASMEND
	flat_load_b64 v[11:12], v[9:10] offset:1536
	flat_load_b32 v103, v[26:27]
	s_mov_b32 s11, exec_lo
	s_wait_loadcnt_dscnt 0x101
	v_dual_mov_b32 v113, 0 :: v_dual_and_b32 v0, 0xff, v11
	s_delay_alu instid0(VALU_DEP_1)
	v_cmpx_ne_u16_e32 0, v0
	s_cbranch_execz .LBB286_1211
; %bb.1204:                             ;   in Loop: Header=BB286_806 Depth=1
	v_mov_b32_e32 v113, 0x8000
	s_mov_b32 s14, exec_lo
	v_cmpx_ne_u16_e32 0x80, v0
	s_cbranch_execz .LBB286_1210
; %bb.1205:                             ;   in Loop: Header=BB286_806 Depth=1
	v_and_b32_e32 v114, 0x7f, v11
	v_mov_b32_e32 v113, 0x7c01
	s_mov_b32 s15, exec_lo
	s_delay_alu instid0(VALU_DEP_2)
	v_cmpx_ne_u32_e32 0x7f, v114
	s_cbranch_execz .LBB286_1209
; %bb.1206:                             ;   in Loop: Header=BB286_806 Depth=1
	v_and_b32_e32 v0, 7, v11
	v_lshrrev_b32_e32 v113, 3, v114
	s_mov_b32 s16, exec_lo
	v_cmpx_gt_u32_e32 8, v114
; %bb.1207:                             ;   in Loop: Header=BB286_806 Depth=1
	s_delay_alu instid0(VALU_DEP_3) | instskip(NEXT) | instid1(VALU_DEP_1)
	v_clz_i32_u32_e32 v0, v0
	v_min_u32_e32 v0, 32, v0
	s_delay_alu instid0(VALU_DEP_1) | instskip(NEXT) | instid1(VALU_DEP_1)
	v_subrev_nc_u32_e32 v113, 28, v0
	v_lshlrev_b64_e32 v[114:115], v113, v[11:12]
	v_sub_nc_u32_e32 v113, 29, v0
	s_delay_alu instid0(VALU_DEP_2)
	v_and_b32_e32 v0, 7, v114
; %bb.1208:                             ;   in Loop: Header=BB286_806 Depth=1
	s_wait_alu 0xfffe
	s_or_b32 exec_lo, exec_lo, s16
	v_lshlrev_b32_e32 v114, 8, v11
	v_lshl_add_u32 v113, v113, 10, 0x2000
	v_lshlrev_b32_e32 v0, 7, v0
	s_delay_alu instid0(VALU_DEP_3) | instskip(NEXT) | instid1(VALU_DEP_3)
	v_and_b32_e32 v114, 0x8000, v114
	v_and_b32_e32 v113, 0xfc00, v113
	s_delay_alu instid0(VALU_DEP_1)
	v_or3_b32 v113, v114, v113, v0
.LBB286_1209:                           ;   in Loop: Header=BB286_806 Depth=1
	s_wait_alu 0xfffe
	s_or_b32 exec_lo, exec_lo, s15
.LBB286_1210:                           ;   in Loop: Header=BB286_806 Depth=1
	s_wait_alu 0xfffe
	s_or_b32 exec_lo, exec_lo, s14
.LBB286_1211:                           ;   in Loop: Header=BB286_806 Depth=1
	s_wait_alu 0xfffe
	s_or_b32 exec_lo, exec_lo, s11
	v_lshrrev_b16 v0, 8, v11
	s_mov_b32 s11, exec_lo
	s_delay_alu instid0(VALU_DEP_1)
	v_cmpx_ne_u16_e32 0, v0
	s_cbranch_execz .LBB286_1219
; %bb.1212:                             ;   in Loop: Header=BB286_806 Depth=1
	v_bfrev_b32_e32 v112, 1
	s_mov_b32 s14, exec_lo
	v_cmpx_ne_u16_e32 0x80, v0
	s_cbranch_execz .LBB286_1218
; %bb.1213:                             ;   in Loop: Header=BB286_806 Depth=1
	v_and_b32_e32 v114, 0xffff, v0
	v_mov_b32_e32 v112, 0x7c010000
	s_mov_b32 s15, exec_lo
	s_delay_alu instid0(VALU_DEP_2) | instskip(NEXT) | instid1(VALU_DEP_1)
	v_and_b32_e32 v116, 0x7f, v114
	v_cmpx_ne_u32_e32 0x7f, v116
	s_cbranch_execz .LBB286_1217
; %bb.1214:                             ;   in Loop: Header=BB286_806 Depth=1
	v_and_b32_e32 v112, 7, v114
	v_lshrrev_b32_e32 v115, 3, v116
	s_mov_b32 s16, exec_lo
	v_cmpx_gt_u32_e32 8, v116
; %bb.1215:                             ;   in Loop: Header=BB286_806 Depth=1
	s_delay_alu instid0(VALU_DEP_3) | instskip(NEXT) | instid1(VALU_DEP_1)
	v_clz_i32_u32_e32 v112, v112
	v_min_u32_e32 v112, 32, v112
	s_delay_alu instid0(VALU_DEP_1) | instskip(NEXT) | instid1(VALU_DEP_1)
	v_subrev_nc_u32_e32 v115, 28, v112
	v_lshlrev_b64_e32 v[116:117], v115, v[0:1]
	v_sub_nc_u32_e32 v115, 29, v112
	s_delay_alu instid0(VALU_DEP_2)
	v_and_b32_e32 v112, 7, v116
; %bb.1216:                             ;   in Loop: Header=BB286_806 Depth=1
	s_wait_alu 0xfffe
	s_or_b32 exec_lo, exec_lo, s16
	v_lshlrev_b32_e32 v0, 8, v114
	v_lshl_add_u32 v114, v115, 10, 0x2000
	v_lshlrev_b32_e32 v112, 23, v112
	s_delay_alu instid0(VALU_DEP_2) | instskip(NEXT) | instid1(VALU_DEP_1)
	v_and_or_b32 v0, 0x8000, v0, v114
	v_lshl_or_b32 v112, v0, 16, v112
.LBB286_1217:                           ;   in Loop: Header=BB286_806 Depth=1
	s_wait_alu 0xfffe
	s_or_b32 exec_lo, exec_lo, s15
.LBB286_1218:                           ;   in Loop: Header=BB286_806 Depth=1
	s_wait_alu 0xfffe
	s_or_b32 exec_lo, exec_lo, s14
.LBB286_1219:                           ;   in Loop: Header=BB286_806 Depth=1
	s_wait_alu 0xfffe
	s_or_b32 exec_lo, exec_lo, s11
	v_lshrrev_b32_e32 v0, 16, v11
	v_mov_b32_e32 v114, 0
	s_mov_b32 s11, exec_lo
	s_delay_alu instid0(VALU_DEP_2) | instskip(NEXT) | instid1(VALU_DEP_1)
	v_dual_mov_b32 v115, 0 :: v_dual_and_b32 v116, 0xff, v0
	v_cmpx_ne_u16_e32 0, v116
	s_cbranch_execz .LBB286_1227
; %bb.1220:                             ;   in Loop: Header=BB286_806 Depth=1
	v_mov_b32_e32 v115, 0x8000
	s_mov_b32 s14, exec_lo
	v_cmpx_ne_u16_e32 0x80, v116
	s_cbranch_execz .LBB286_1226
; %bb.1221:                             ;   in Loop: Header=BB286_806 Depth=1
	v_bfe_u32 v117, v11, 16, 7
	v_mov_b32_e32 v115, 0x7c01
	s_mov_b32 s15, exec_lo
	s_delay_alu instid0(VALU_DEP_2)
	v_cmpx_ne_u32_e32 0x7f, v117
	s_cbranch_execz .LBB286_1225
; %bb.1222:                             ;   in Loop: Header=BB286_806 Depth=1
	v_and_b32_e32 v115, 7, v0
	v_lshrrev_b32_e32 v116, 3, v117
	s_mov_b32 s16, exec_lo
	v_cmpx_gt_u32_e32 8, v117
; %bb.1223:                             ;   in Loop: Header=BB286_806 Depth=1
	s_delay_alu instid0(VALU_DEP_3) | instskip(NEXT) | instid1(VALU_DEP_1)
	v_clz_i32_u32_e32 v115, v115
	v_min_u32_e32 v117, 32, v115
	s_delay_alu instid0(VALU_DEP_1) | instskip(NEXT) | instid1(VALU_DEP_1)
	v_subrev_nc_u32_e32 v115, 28, v117
	v_lshlrev_b64_e32 v[115:116], v115, v[0:1]
	v_sub_nc_u32_e32 v116, 29, v117
	s_delay_alu instid0(VALU_DEP_2)
	v_and_b32_e32 v115, 7, v115
; %bb.1224:                             ;   in Loop: Header=BB286_806 Depth=1
	s_wait_alu 0xfffe
	s_or_b32 exec_lo, exec_lo, s16
	v_lshlrev_b32_e32 v0, 8, v0
	v_lshl_add_u32 v116, v116, 10, 0x2000
	v_lshlrev_b32_e32 v115, 7, v115
	s_delay_alu instid0(VALU_DEP_3) | instskip(NEXT) | instid1(VALU_DEP_3)
	v_and_b32_e32 v0, 0x8000, v0
	v_and_b32_e32 v116, 0xfc00, v116
	s_delay_alu instid0(VALU_DEP_1)
	v_or3_b32 v115, v0, v116, v115
.LBB286_1225:                           ;   in Loop: Header=BB286_806 Depth=1
	s_wait_alu 0xfffe
	s_or_b32 exec_lo, exec_lo, s15
.LBB286_1226:                           ;   in Loop: Header=BB286_806 Depth=1
	s_wait_alu 0xfffe
	s_or_b32 exec_lo, exec_lo, s14
.LBB286_1227:                           ;   in Loop: Header=BB286_806 Depth=1
	s_wait_alu 0xfffe
	s_or_b32 exec_lo, exec_lo, s11
	s_delay_alu instid0(SALU_CYCLE_1)
	s_mov_b32 s11, exec_lo
	v_cmpx_lt_u32_e32 0xffffff, v11
	s_cbranch_execz .LBB286_1235
; %bb.1228:                             ;   in Loop: Header=BB286_806 Depth=1
	v_lshrrev_b32_e32 v0, 24, v11
	v_bfrev_b32_e32 v114, 1
	s_mov_b32 s14, exec_lo
	s_delay_alu instid0(VALU_DEP_2)
	v_cmpx_ne_u32_e32 0x80, v0
	s_cbranch_execz .LBB286_1234
; %bb.1229:                             ;   in Loop: Header=BB286_806 Depth=1
	v_and_b32_e32 v117, 0x7f, v0
	v_mov_b32_e32 v114, 0x7c010000
	s_mov_b32 s15, exec_lo
	s_delay_alu instid0(VALU_DEP_2)
	v_cmpx_ne_u32_e32 0x7f, v117
	s_cbranch_execz .LBB286_1233
; %bb.1230:                             ;   in Loop: Header=BB286_806 Depth=1
	v_and_b32_e32 v114, 7, v0
	v_lshrrev_b32_e32 v116, 3, v117
	s_mov_b32 s16, exec_lo
	v_cmpx_gt_u32_e32 8, v117
; %bb.1231:                             ;   in Loop: Header=BB286_806 Depth=1
	s_delay_alu instid0(VALU_DEP_3) | instskip(NEXT) | instid1(VALU_DEP_1)
	v_clz_i32_u32_e32 v114, v114
	v_min_u32_e32 v114, 32, v114
	s_delay_alu instid0(VALU_DEP_1) | instskip(NEXT) | instid1(VALU_DEP_1)
	v_subrev_nc_u32_e32 v116, 28, v114
	v_lshlrev_b64_e32 v[117:118], v116, v[0:1]
	v_sub_nc_u32_e32 v116, 29, v114
	s_delay_alu instid0(VALU_DEP_2)
	v_and_b32_e32 v114, 7, v117
; %bb.1232:                             ;   in Loop: Header=BB286_806 Depth=1
	s_wait_alu 0xfffe
	s_or_b32 exec_lo, exec_lo, s16
	v_lshlrev_b32_e32 v0, 8, v0
	v_lshl_add_u32 v116, v116, 10, 0x2000
	v_lshlrev_b32_e32 v114, 23, v114
	s_delay_alu instid0(VALU_DEP_2) | instskip(NEXT) | instid1(VALU_DEP_1)
	v_and_or_b32 v0, 0x8000, v0, v116
	v_lshl_or_b32 v114, v0, 16, v114
.LBB286_1233:                           ;   in Loop: Header=BB286_806 Depth=1
	s_wait_alu 0xfffe
	s_or_b32 exec_lo, exec_lo, s15
.LBB286_1234:                           ;   in Loop: Header=BB286_806 Depth=1
	s_wait_alu 0xfffe
	s_or_b32 exec_lo, exec_lo, s14
.LBB286_1235:                           ;   in Loop: Header=BB286_806 Depth=1
	s_wait_alu 0xfffe
	s_or_b32 exec_lo, exec_lo, s11
	v_dual_mov_b32 v117, 0 :: v_dual_and_b32 v118, 0xff, v12
	v_mov_b32_e32 v0, v12
	v_mov_b32_e32 v116, 0
	s_mov_b32 s11, exec_lo
	s_delay_alu instid0(VALU_DEP_3)
	v_cmpx_ne_u16_e32 0, v118
	s_cbranch_execz .LBB286_1243
; %bb.1236:                             ;   in Loop: Header=BB286_806 Depth=1
	v_mov_b32_e32 v117, 0x8000
	s_mov_b32 s14, exec_lo
	v_cmpx_ne_u16_e32 0x80, v118
	s_cbranch_execz .LBB286_1242
; %bb.1237:                             ;   in Loop: Header=BB286_806 Depth=1
	v_and_b32_e32 v119, 0x7f, v12
	v_mov_b32_e32 v117, 0x7c01
	s_mov_b32 s15, exec_lo
	s_delay_alu instid0(VALU_DEP_2)
	v_cmpx_ne_u32_e32 0x7f, v119
	s_cbranch_execz .LBB286_1241
; %bb.1238:                             ;   in Loop: Header=BB286_806 Depth=1
	v_and_b32_e32 v117, 7, v12
	v_lshrrev_b32_e32 v118, 3, v119
	s_mov_b32 s16, exec_lo
	v_cmpx_gt_u32_e32 8, v119
; %bb.1239:                             ;   in Loop: Header=BB286_806 Depth=1
	s_delay_alu instid0(VALU_DEP_3) | instskip(NEXT) | instid1(VALU_DEP_1)
	v_clz_i32_u32_e32 v117, v117
	v_min_u32_e32 v119, 32, v117
	s_delay_alu instid0(VALU_DEP_1) | instskip(NEXT) | instid1(VALU_DEP_1)
	v_subrev_nc_u32_e32 v117, 28, v119
	v_lshlrev_b64_e32 v[117:118], v117, v[0:1]
	v_sub_nc_u32_e32 v118, 29, v119
	s_delay_alu instid0(VALU_DEP_2)
	v_and_b32_e32 v117, 7, v117
; %bb.1240:                             ;   in Loop: Header=BB286_806 Depth=1
	s_wait_alu 0xfffe
	s_or_b32 exec_lo, exec_lo, s16
	v_lshlrev_b32_e32 v119, 8, v12
	v_lshl_add_u32 v118, v118, 10, 0x2000
	v_lshlrev_b32_e32 v117, 7, v117
	s_delay_alu instid0(VALU_DEP_3) | instskip(NEXT) | instid1(VALU_DEP_3)
	v_and_b32_e32 v119, 0x8000, v119
	v_and_b32_e32 v118, 0xfc00, v118
	s_delay_alu instid0(VALU_DEP_1)
	v_or3_b32 v117, v119, v118, v117
.LBB286_1241:                           ;   in Loop: Header=BB286_806 Depth=1
	s_wait_alu 0xfffe
	s_or_b32 exec_lo, exec_lo, s15
.LBB286_1242:                           ;   in Loop: Header=BB286_806 Depth=1
	s_wait_alu 0xfffe
	s_or_b32 exec_lo, exec_lo, s14
.LBB286_1243:                           ;   in Loop: Header=BB286_806 Depth=1
	s_wait_alu 0xfffe
	s_or_b32 exec_lo, exec_lo, s11
	v_lshrrev_b16 v0, 8, v0
	v_mov_b32_e32 v118, 0
	s_mov_b32 s11, exec_lo
	s_delay_alu instid0(VALU_DEP_2)
	v_cmpx_ne_u16_e32 0, v0
	s_cbranch_execz .LBB286_1251
; %bb.1244:                             ;   in Loop: Header=BB286_806 Depth=1
	v_bfrev_b32_e32 v118, 1
	s_mov_b32 s14, exec_lo
	v_cmpx_ne_u16_e32 0x80, v0
	s_cbranch_execz .LBB286_1250
; %bb.1245:                             ;   in Loop: Header=BB286_806 Depth=1
	v_and_b32_e32 v119, 0xffff, v0
	v_mov_b32_e32 v118, 0x7c010000
	s_mov_b32 s15, exec_lo
	s_delay_alu instid0(VALU_DEP_2) | instskip(NEXT) | instid1(VALU_DEP_1)
	v_and_b32_e32 v129, 0x7f, v119
	v_cmpx_ne_u32_e32 0x7f, v129
	s_cbranch_execz .LBB286_1249
; %bb.1246:                             ;   in Loop: Header=BB286_806 Depth=1
	v_and_b32_e32 v118, 7, v119
	v_lshrrev_b32_e32 v128, 3, v129
	s_mov_b32 s16, exec_lo
	v_cmpx_gt_u32_e32 8, v129
; %bb.1247:                             ;   in Loop: Header=BB286_806 Depth=1
	s_delay_alu instid0(VALU_DEP_3) | instskip(NEXT) | instid1(VALU_DEP_1)
	v_clz_i32_u32_e32 v118, v118
	v_min_u32_e32 v118, 32, v118
	s_delay_alu instid0(VALU_DEP_1) | instskip(NEXT) | instid1(VALU_DEP_1)
	v_subrev_nc_u32_e32 v128, 28, v118
	v_lshlrev_b64_e32 v[129:130], v128, v[0:1]
	v_sub_nc_u32_e32 v128, 29, v118
	s_delay_alu instid0(VALU_DEP_2)
	v_and_b32_e32 v118, 7, v129
; %bb.1248:                             ;   in Loop: Header=BB286_806 Depth=1
	s_wait_alu 0xfffe
	s_or_b32 exec_lo, exec_lo, s16
	v_lshlrev_b32_e32 v0, 8, v119
	v_lshl_add_u32 v119, v128, 10, 0x2000
	v_lshlrev_b32_e32 v118, 23, v118
	s_delay_alu instid0(VALU_DEP_2) | instskip(NEXT) | instid1(VALU_DEP_1)
	v_and_or_b32 v0, 0x8000, v0, v119
	v_lshl_or_b32 v118, v0, 16, v118
.LBB286_1249:                           ;   in Loop: Header=BB286_806 Depth=1
	s_wait_alu 0xfffe
	s_or_b32 exec_lo, exec_lo, s15
.LBB286_1250:                           ;   in Loop: Header=BB286_806 Depth=1
	s_wait_alu 0xfffe
	s_or_b32 exec_lo, exec_lo, s14
.LBB286_1251:                           ;   in Loop: Header=BB286_806 Depth=1
	s_wait_alu 0xfffe
	s_or_b32 exec_lo, exec_lo, s11
	v_lshrrev_b32_e32 v0, 16, v12
	s_mov_b32 s11, exec_lo
	s_delay_alu instid0(VALU_DEP_1) | instskip(NEXT) | instid1(VALU_DEP_1)
	v_and_b32_e32 v119, 0xff, v0
	v_cmpx_ne_u16_e32 0, v119
	s_cbranch_execz .LBB286_1259
; %bb.1252:                             ;   in Loop: Header=BB286_806 Depth=1
	v_mov_b32_e32 v116, 0x8000
	s_mov_b32 s14, exec_lo
	v_cmpx_ne_u16_e32 0x80, v119
	s_cbranch_execz .LBB286_1258
; %bb.1253:                             ;   in Loop: Header=BB286_806 Depth=1
	v_bfe_u32 v128, v12, 16, 7
	v_mov_b32_e32 v116, 0x7c01
	s_mov_b32 s15, exec_lo
	s_delay_alu instid0(VALU_DEP_2)
	v_cmpx_ne_u32_e32 0x7f, v128
	s_cbranch_execz .LBB286_1257
; %bb.1254:                             ;   in Loop: Header=BB286_806 Depth=1
	v_and_b32_e32 v116, 7, v0
	v_lshrrev_b32_e32 v119, 3, v128
	s_mov_b32 s16, exec_lo
	v_cmpx_gt_u32_e32 8, v128
; %bb.1255:                             ;   in Loop: Header=BB286_806 Depth=1
	s_delay_alu instid0(VALU_DEP_3) | instskip(NEXT) | instid1(VALU_DEP_1)
	v_clz_i32_u32_e32 v116, v116
	v_min_u32_e32 v116, 32, v116
	s_delay_alu instid0(VALU_DEP_1) | instskip(NEXT) | instid1(VALU_DEP_1)
	v_subrev_nc_u32_e32 v119, 28, v116
	v_lshlrev_b64_e32 v[128:129], v119, v[0:1]
	v_sub_nc_u32_e32 v119, 29, v116
	s_delay_alu instid0(VALU_DEP_2)
	v_and_b32_e32 v116, 7, v128
; %bb.1256:                             ;   in Loop: Header=BB286_806 Depth=1
	s_wait_alu 0xfffe
	s_or_b32 exec_lo, exec_lo, s16
	v_lshlrev_b32_e32 v0, 8, v0
	v_lshl_add_u32 v119, v119, 10, 0x2000
	v_lshlrev_b32_e32 v116, 7, v116
	s_delay_alu instid0(VALU_DEP_3) | instskip(NEXT) | instid1(VALU_DEP_3)
	v_and_b32_e32 v0, 0x8000, v0
	v_and_b32_e32 v119, 0xfc00, v119
	s_delay_alu instid0(VALU_DEP_1)
	v_or3_b32 v116, v0, v119, v116
.LBB286_1257:                           ;   in Loop: Header=BB286_806 Depth=1
	s_wait_alu 0xfffe
	s_or_b32 exec_lo, exec_lo, s15
.LBB286_1258:                           ;   in Loop: Header=BB286_806 Depth=1
	s_wait_alu 0xfffe
	s_or_b32 exec_lo, exec_lo, s14
.LBB286_1259:                           ;   in Loop: Header=BB286_806 Depth=1
	s_wait_alu 0xfffe
	s_or_b32 exec_lo, exec_lo, s11
	v_cmp_lt_u64_e64 s0, s[8:9], v[11:12]
	v_mov_b32_e32 v11, 0
	s_and_saveexec_b32 s11, s0
	s_cbranch_execz .LBB286_1267
; %bb.1260:                             ;   in Loop: Header=BB286_806 Depth=1
	v_lshrrev_b32_e32 v0, 24, v12
	v_bfrev_b32_e32 v11, 1
	s_mov_b32 s14, exec_lo
	s_delay_alu instid0(VALU_DEP_2)
	v_cmpx_ne_u32_e32 0x80, v0
	s_cbranch_execz .LBB286_1266
; %bb.1261:                             ;   in Loop: Header=BB286_806 Depth=1
	v_and_b32_e32 v119, 0x7f, v0
	v_mov_b32_e32 v11, 0x7c010000
	s_mov_b32 s15, exec_lo
	s_delay_alu instid0(VALU_DEP_2)
	v_cmpx_ne_u32_e32 0x7f, v119
	s_cbranch_execz .LBB286_1265
; %bb.1262:                             ;   in Loop: Header=BB286_806 Depth=1
	v_and_b32_e32 v11, 7, v0
	v_lshrrev_b32_e32 v12, 3, v119
	s_mov_b32 s16, exec_lo
	v_cmpx_gt_u32_e32 8, v119
; %bb.1263:                             ;   in Loop: Header=BB286_806 Depth=1
	s_delay_alu instid0(VALU_DEP_3) | instskip(NEXT) | instid1(VALU_DEP_1)
	v_clz_i32_u32_e32 v11, v11
	v_min_u32_e32 v119, 32, v11
	s_delay_alu instid0(VALU_DEP_1) | instskip(NEXT) | instid1(VALU_DEP_1)
	v_subrev_nc_u32_e32 v11, 28, v119
	v_lshlrev_b64_e32 v[11:12], v11, v[0:1]
	v_sub_nc_u32_e32 v12, 29, v119
	s_delay_alu instid0(VALU_DEP_2)
	v_and_b32_e32 v11, 7, v11
; %bb.1264:                             ;   in Loop: Header=BB286_806 Depth=1
	s_wait_alu 0xfffe
	s_or_b32 exec_lo, exec_lo, s16
	v_lshlrev_b32_e32 v0, 8, v0
	v_lshl_add_u32 v12, v12, 10, 0x2000
	v_lshlrev_b32_e32 v11, 23, v11
	s_delay_alu instid0(VALU_DEP_2) | instskip(NEXT) | instid1(VALU_DEP_1)
	v_and_or_b32 v0, 0x8000, v0, v12
	v_lshl_or_b32 v11, v0, 16, v11
.LBB286_1265:                           ;   in Loop: Header=BB286_806 Depth=1
	s_wait_alu 0xfffe
	s_or_b32 exec_lo, exec_lo, s15
.LBB286_1266:                           ;   in Loop: Header=BB286_806 Depth=1
	s_wait_alu 0xfffe
	s_or_b32 exec_lo, exec_lo, s14
.LBB286_1267:                           ;   in Loop: Header=BB286_806 Depth=1
	s_wait_alu 0xfffe
	s_or_b32 exec_lo, exec_lo, s11
	v_or_b32_e32 v0, v114, v115
	s_wait_loadcnt_dscnt 0x0
	v_fma_mixlo_f16 v12, v103, v114, 0 op_sel:[0,1,0] op_sel_hi:[0,1,0]
	v_or_b32_e32 v114, v112, v113
	v_fma_mixlo_f16 v112, v103, v112, 0 op_sel:[0,1,0] op_sel_hi:[0,1,0]
	v_or_b32_e32 v115, v118, v117
	v_or_b32_e32 v116, v11, v116
	v_fma_mixlo_f16 v117, v103, v0, 0 op_sel_hi:[0,1,0]
	v_fma_mixlo_f16 v11, v103, v11, 0 op_sel:[0,1,0] op_sel_hi:[0,1,0]
	v_lshlrev_b32_e32 v113, 16, v112
	v_fma_mixlo_f16 v112, v103, v114, 0 op_sel_hi:[0,1,0]
	v_fma_mixlo_f16 v114, v103, v118, 0 op_sel:[0,1,0] op_sel_hi:[0,1,0]
	v_fma_mixlo_f16 v115, v103, v115, 0 op_sel_hi:[0,1,0]
	v_fma_mixlo_f16 v116, v103, v116, 0 op_sel_hi:[0,1,0]
	v_lshlrev_b32_e32 v0, 16, v12
	v_and_b32_e32 v12, 0xffff, v117
	v_and_b32_e32 v119, 0xffff, v112
	v_lshlrev_b32_e32 v103, 16, v114
	v_and_b32_e32 v115, 0xffff, v115
	v_lshlrev_b32_e32 v11, 16, v11
	v_and_b32_e32 v112, 0xffff, v116
	v_or_b32_e32 v114, v0, v12
	v_or_b32_e32 v118, v113, v119
	;; [unrolled: 1-line block ×3, first 2 shown]
	s_delay_alu instid0(VALU_DEP_4)
	v_or_b32_e32 v116, v11, v112
	s_and_saveexec_b32 s11, vcc_lo
	s_cbranch_execz .LBB286_1269
; %bb.1268:                             ;   in Loop: Header=BB286_806 Depth=1
	v_cmp_lt_i32_e64 s0, v17, v34
	s_wait_alu 0xf1ff
	s_delay_alu instid0(VALU_DEP_1) | instskip(SKIP_2) | instid1(VALU_DEP_1)
	v_cndmask_b32_e64 v114, 0, v119, s0
	v_cmp_lt_i32_e64 s0, v84, v34
	s_wait_alu 0xf1ff
	v_cndmask_b32_e64 v113, 0, v113, s0
	v_cmp_lt_i32_e64 s0, v83, v34
	s_delay_alu instid0(VALU_DEP_2) | instskip(SKIP_1) | instid1(VALU_DEP_2)
	v_or_b32_e32 v118, v114, v113
	s_wait_alu 0xf1ff
	v_cndmask_b32_e64 v12, 0, v12, s0
	v_cmp_lt_i32_e64 s0, v82, v34
	s_wait_alu 0xf1ff
	s_delay_alu instid0(VALU_DEP_1) | instskip(SKIP_1) | instid1(VALU_DEP_2)
	v_cndmask_b32_e64 v0, 0, v0, s0
	v_cmp_lt_i32_e64 s0, v80, v34
	v_or_b32_e32 v114, v12, v0
	s_wait_alu 0xf1ff
	s_delay_alu instid0(VALU_DEP_2) | instskip(SKIP_2) | instid1(VALU_DEP_1)
	v_cndmask_b32_e64 v115, 0, v115, s0
	v_cmp_lt_i32_e64 s0, v71, v34
	s_wait_alu 0xf1ff
	v_cndmask_b32_e64 v103, 0, v103, s0
	v_cmp_lt_i32_e64 s0, v69, v34
	s_delay_alu instid0(VALU_DEP_2) | instskip(SKIP_1) | instid1(VALU_DEP_2)
	v_or_b32_e32 v117, v115, v103
	s_wait_alu 0xf1ff
	v_cndmask_b32_e64 v112, 0, v112, s0
	v_cmp_lt_i32_e64 s0, v67, v34
	s_wait_alu 0xf1ff
	s_delay_alu instid0(VALU_DEP_1) | instskip(NEXT) | instid1(VALU_DEP_1)
	v_cndmask_b32_e64 v11, 0, v11, s0
	v_or_b32_e32 v116, v112, v11
.LBB286_1269:                           ;   in Loop: Header=BB286_806 Depth=1
	s_wait_alu 0xfffe
	s_or_b32 exec_lo, exec_lo, s11
	;;#ASMSTART
	v_pk_mul_f16 v0, v81, v118;

	;;#ASMEND
	;;#ASMSTART
	v_pk_mul_f16 v11, v70, v114;

	;;#ASMEND
	;; [unrolled: 4-line block ×4, first 2 shown]
	;;#ASMSTART
	v_pk_add_f16 v0, v0, v11;

	;;#ASMEND
	;;#ASMSTART
	v_pk_add_f16 v0, v0, v12;

	;;#ASMEND
	;; [unrolled: 4-line block ×3, first 2 shown]
	v_dual_mov_b32 v114, 0 :: v_dual_and_b32 v11, 0xffff, v0
	v_lshrrev_b32_e32 v0, 16, v0
	;;#ASMSTART
	v_cvt_f32_f16 v103, v11;
	;;#ASMEND
	;;#ASMSTART
	v_cvt_f32_f16 v112, v0;
	;;#ASMEND
	flat_load_b64 v[11:12], v[9:10] offset:1792
	flat_load_b32 v113, v[26:27]
	s_mov_b32 s11, exec_lo
	s_wait_loadcnt_dscnt 0x101
	v_dual_mov_b32 v115, 0 :: v_dual_and_b32 v0, 0xff, v11
	s_delay_alu instid0(VALU_DEP_1)
	v_cmpx_ne_u16_e32 0, v0
	s_cbranch_execz .LBB286_1277
; %bb.1270:                             ;   in Loop: Header=BB286_806 Depth=1
	v_mov_b32_e32 v115, 0x8000
	s_mov_b32 s14, exec_lo
	v_cmpx_ne_u16_e32 0x80, v0
	s_cbranch_execz .LBB286_1276
; %bb.1271:                             ;   in Loop: Header=BB286_806 Depth=1
	v_and_b32_e32 v116, 0x7f, v11
	v_mov_b32_e32 v115, 0x7c01
	s_mov_b32 s15, exec_lo
	s_delay_alu instid0(VALU_DEP_2)
	v_cmpx_ne_u32_e32 0x7f, v116
	s_cbranch_execz .LBB286_1275
; %bb.1272:                             ;   in Loop: Header=BB286_806 Depth=1
	v_and_b32_e32 v0, 7, v11
	v_lshrrev_b32_e32 v115, 3, v116
	s_mov_b32 s16, exec_lo
	v_cmpx_gt_u32_e32 8, v116
; %bb.1273:                             ;   in Loop: Header=BB286_806 Depth=1
	s_delay_alu instid0(VALU_DEP_3) | instskip(NEXT) | instid1(VALU_DEP_1)
	v_clz_i32_u32_e32 v0, v0
	v_min_u32_e32 v0, 32, v0
	s_delay_alu instid0(VALU_DEP_1) | instskip(NEXT) | instid1(VALU_DEP_1)
	v_subrev_nc_u32_e32 v115, 28, v0
	v_lshlrev_b64_e32 v[116:117], v115, v[11:12]
	v_sub_nc_u32_e32 v115, 29, v0
	s_delay_alu instid0(VALU_DEP_2)
	v_and_b32_e32 v0, 7, v116
; %bb.1274:                             ;   in Loop: Header=BB286_806 Depth=1
	s_wait_alu 0xfffe
	s_or_b32 exec_lo, exec_lo, s16
	v_lshlrev_b32_e32 v116, 8, v11
	v_lshl_add_u32 v115, v115, 10, 0x2000
	v_lshlrev_b32_e32 v0, 7, v0
	s_delay_alu instid0(VALU_DEP_3) | instskip(NEXT) | instid1(VALU_DEP_3)
	v_and_b32_e32 v116, 0x8000, v116
	v_and_b32_e32 v115, 0xfc00, v115
	s_delay_alu instid0(VALU_DEP_1)
	v_or3_b32 v115, v116, v115, v0
.LBB286_1275:                           ;   in Loop: Header=BB286_806 Depth=1
	s_wait_alu 0xfffe
	s_or_b32 exec_lo, exec_lo, s15
.LBB286_1276:                           ;   in Loop: Header=BB286_806 Depth=1
	s_wait_alu 0xfffe
	s_or_b32 exec_lo, exec_lo, s14
.LBB286_1277:                           ;   in Loop: Header=BB286_806 Depth=1
	s_wait_alu 0xfffe
	s_or_b32 exec_lo, exec_lo, s11
	v_lshrrev_b16 v0, 8, v11
	s_mov_b32 s11, exec_lo
	s_delay_alu instid0(VALU_DEP_1)
	v_cmpx_ne_u16_e32 0, v0
	s_cbranch_execz .LBB286_1285
; %bb.1278:                             ;   in Loop: Header=BB286_806 Depth=1
	v_bfrev_b32_e32 v114, 1
	s_mov_b32 s14, exec_lo
	v_cmpx_ne_u16_e32 0x80, v0
	s_cbranch_execz .LBB286_1284
; %bb.1279:                             ;   in Loop: Header=BB286_806 Depth=1
	v_and_b32_e32 v116, 0xffff, v0
	v_mov_b32_e32 v114, 0x7c010000
	s_mov_b32 s15, exec_lo
	s_delay_alu instid0(VALU_DEP_2) | instskip(NEXT) | instid1(VALU_DEP_1)
	v_and_b32_e32 v118, 0x7f, v116
	v_cmpx_ne_u32_e32 0x7f, v118
	s_cbranch_execz .LBB286_1283
; %bb.1280:                             ;   in Loop: Header=BB286_806 Depth=1
	v_and_b32_e32 v114, 7, v116
	v_lshrrev_b32_e32 v117, 3, v118
	s_mov_b32 s16, exec_lo
	v_cmpx_gt_u32_e32 8, v118
; %bb.1281:                             ;   in Loop: Header=BB286_806 Depth=1
	s_delay_alu instid0(VALU_DEP_3) | instskip(NEXT) | instid1(VALU_DEP_1)
	v_clz_i32_u32_e32 v114, v114
	v_min_u32_e32 v114, 32, v114
	s_delay_alu instid0(VALU_DEP_1) | instskip(NEXT) | instid1(VALU_DEP_1)
	v_subrev_nc_u32_e32 v117, 28, v114
	v_lshlrev_b64_e32 v[118:119], v117, v[0:1]
	v_sub_nc_u32_e32 v117, 29, v114
	s_delay_alu instid0(VALU_DEP_2)
	v_and_b32_e32 v114, 7, v118
; %bb.1282:                             ;   in Loop: Header=BB286_806 Depth=1
	s_wait_alu 0xfffe
	s_or_b32 exec_lo, exec_lo, s16
	v_lshlrev_b32_e32 v0, 8, v116
	v_lshl_add_u32 v116, v117, 10, 0x2000
	v_lshlrev_b32_e32 v114, 23, v114
	s_delay_alu instid0(VALU_DEP_2) | instskip(NEXT) | instid1(VALU_DEP_1)
	v_and_or_b32 v0, 0x8000, v0, v116
	v_lshl_or_b32 v114, v0, 16, v114
.LBB286_1283:                           ;   in Loop: Header=BB286_806 Depth=1
	s_wait_alu 0xfffe
	s_or_b32 exec_lo, exec_lo, s15
.LBB286_1284:                           ;   in Loop: Header=BB286_806 Depth=1
	s_wait_alu 0xfffe
	s_or_b32 exec_lo, exec_lo, s14
.LBB286_1285:                           ;   in Loop: Header=BB286_806 Depth=1
	s_wait_alu 0xfffe
	s_or_b32 exec_lo, exec_lo, s11
	v_lshrrev_b32_e32 v0, 16, v11
	v_mov_b32_e32 v116, 0
	s_mov_b32 s11, exec_lo
	s_delay_alu instid0(VALU_DEP_2) | instskip(NEXT) | instid1(VALU_DEP_1)
	v_dual_mov_b32 v117, 0 :: v_dual_and_b32 v118, 0xff, v0
	v_cmpx_ne_u16_e32 0, v118
	s_cbranch_execz .LBB286_1293
; %bb.1286:                             ;   in Loop: Header=BB286_806 Depth=1
	v_mov_b32_e32 v117, 0x8000
	s_mov_b32 s14, exec_lo
	v_cmpx_ne_u16_e32 0x80, v118
	s_cbranch_execz .LBB286_1292
; %bb.1287:                             ;   in Loop: Header=BB286_806 Depth=1
	v_bfe_u32 v119, v11, 16, 7
	v_mov_b32_e32 v117, 0x7c01
	s_mov_b32 s15, exec_lo
	s_delay_alu instid0(VALU_DEP_2)
	v_cmpx_ne_u32_e32 0x7f, v119
	s_cbranch_execz .LBB286_1291
; %bb.1288:                             ;   in Loop: Header=BB286_806 Depth=1
	v_and_b32_e32 v117, 7, v0
	v_lshrrev_b32_e32 v118, 3, v119
	s_mov_b32 s16, exec_lo
	v_cmpx_gt_u32_e32 8, v119
; %bb.1289:                             ;   in Loop: Header=BB286_806 Depth=1
	s_delay_alu instid0(VALU_DEP_3) | instskip(NEXT) | instid1(VALU_DEP_1)
	v_clz_i32_u32_e32 v117, v117
	v_min_u32_e32 v119, 32, v117
	s_delay_alu instid0(VALU_DEP_1) | instskip(NEXT) | instid1(VALU_DEP_1)
	v_subrev_nc_u32_e32 v117, 28, v119
	v_lshlrev_b64_e32 v[117:118], v117, v[0:1]
	v_sub_nc_u32_e32 v118, 29, v119
	s_delay_alu instid0(VALU_DEP_2)
	v_and_b32_e32 v117, 7, v117
; %bb.1290:                             ;   in Loop: Header=BB286_806 Depth=1
	s_wait_alu 0xfffe
	s_or_b32 exec_lo, exec_lo, s16
	v_lshlrev_b32_e32 v0, 8, v0
	v_lshl_add_u32 v118, v118, 10, 0x2000
	v_lshlrev_b32_e32 v117, 7, v117
	s_delay_alu instid0(VALU_DEP_3) | instskip(NEXT) | instid1(VALU_DEP_3)
	v_and_b32_e32 v0, 0x8000, v0
	v_and_b32_e32 v118, 0xfc00, v118
	s_delay_alu instid0(VALU_DEP_1)
	v_or3_b32 v117, v0, v118, v117
.LBB286_1291:                           ;   in Loop: Header=BB286_806 Depth=1
	s_wait_alu 0xfffe
	s_or_b32 exec_lo, exec_lo, s15
.LBB286_1292:                           ;   in Loop: Header=BB286_806 Depth=1
	s_wait_alu 0xfffe
	s_or_b32 exec_lo, exec_lo, s14
.LBB286_1293:                           ;   in Loop: Header=BB286_806 Depth=1
	s_wait_alu 0xfffe
	s_or_b32 exec_lo, exec_lo, s11
	s_delay_alu instid0(SALU_CYCLE_1)
	s_mov_b32 s11, exec_lo
	v_cmpx_lt_u32_e32 0xffffff, v11
	s_cbranch_execz .LBB286_1301
; %bb.1294:                             ;   in Loop: Header=BB286_806 Depth=1
	v_lshrrev_b32_e32 v0, 24, v11
	v_bfrev_b32_e32 v116, 1
	s_mov_b32 s14, exec_lo
	s_delay_alu instid0(VALU_DEP_2)
	v_cmpx_ne_u32_e32 0x80, v0
	s_cbranch_execz .LBB286_1300
; %bb.1295:                             ;   in Loop: Header=BB286_806 Depth=1
	v_and_b32_e32 v119, 0x7f, v0
	v_mov_b32_e32 v116, 0x7c010000
	s_mov_b32 s15, exec_lo
	s_delay_alu instid0(VALU_DEP_2)
	v_cmpx_ne_u32_e32 0x7f, v119
	s_cbranch_execz .LBB286_1299
; %bb.1296:                             ;   in Loop: Header=BB286_806 Depth=1
	v_and_b32_e32 v116, 7, v0
	v_lshrrev_b32_e32 v118, 3, v119
	s_mov_b32 s16, exec_lo
	v_cmpx_gt_u32_e32 8, v119
; %bb.1297:                             ;   in Loop: Header=BB286_806 Depth=1
	s_delay_alu instid0(VALU_DEP_3) | instskip(NEXT) | instid1(VALU_DEP_1)
	v_clz_i32_u32_e32 v116, v116
	v_min_u32_e32 v116, 32, v116
	s_delay_alu instid0(VALU_DEP_1) | instskip(NEXT) | instid1(VALU_DEP_1)
	v_subrev_nc_u32_e32 v118, 28, v116
	v_lshlrev_b64_e32 v[128:129], v118, v[0:1]
	v_sub_nc_u32_e32 v118, 29, v116
	s_delay_alu instid0(VALU_DEP_2)
	v_and_b32_e32 v116, 7, v128
; %bb.1298:                             ;   in Loop: Header=BB286_806 Depth=1
	s_wait_alu 0xfffe
	s_or_b32 exec_lo, exec_lo, s16
	v_lshlrev_b32_e32 v0, 8, v0
	v_lshl_add_u32 v118, v118, 10, 0x2000
	v_lshlrev_b32_e32 v116, 23, v116
	s_delay_alu instid0(VALU_DEP_2) | instskip(NEXT) | instid1(VALU_DEP_1)
	v_and_or_b32 v0, 0x8000, v0, v118
	v_lshl_or_b32 v116, v0, 16, v116
.LBB286_1299:                           ;   in Loop: Header=BB286_806 Depth=1
	s_wait_alu 0xfffe
	s_or_b32 exec_lo, exec_lo, s15
.LBB286_1300:                           ;   in Loop: Header=BB286_806 Depth=1
	s_wait_alu 0xfffe
	s_or_b32 exec_lo, exec_lo, s14
.LBB286_1301:                           ;   in Loop: Header=BB286_806 Depth=1
	s_wait_alu 0xfffe
	s_or_b32 exec_lo, exec_lo, s11
	v_dual_mov_b32 v119, 0 :: v_dual_and_b32 v128, 0xff, v12
	v_mov_b32_e32 v0, v12
	v_mov_b32_e32 v118, 0
	s_mov_b32 s11, exec_lo
	s_delay_alu instid0(VALU_DEP_3)
	v_cmpx_ne_u16_e64 0, v128
	s_cbranch_execz .LBB286_1309
; %bb.1302:                             ;   in Loop: Header=BB286_806 Depth=1
	v_mov_b32_e32 v119, 0x8000
	s_mov_b32 s14, exec_lo
	v_cmpx_ne_u16_e64 0x80, v128
	s_cbranch_execz .LBB286_1308
; %bb.1303:                             ;   in Loop: Header=BB286_806 Depth=1
	v_and_b32_e32 v129, 0x7f, v12
	v_mov_b32_e32 v119, 0x7c01
	s_mov_b32 s15, exec_lo
	s_delay_alu instid0(VALU_DEP_2)
	v_cmpx_ne_u32_e32 0x7f, v129
	s_cbranch_execz .LBB286_1307
; %bb.1304:                             ;   in Loop: Header=BB286_806 Depth=1
	v_and_b32_e32 v119, 7, v12
	v_lshrrev_b32_e32 v128, 3, v129
	s_mov_b32 s16, exec_lo
	v_cmpx_gt_u32_e32 8, v129
; %bb.1305:                             ;   in Loop: Header=BB286_806 Depth=1
	s_delay_alu instid0(VALU_DEP_3) | instskip(NEXT) | instid1(VALU_DEP_1)
	v_clz_i32_u32_e32 v119, v119
	v_min_u32_e32 v119, 32, v119
	s_delay_alu instid0(VALU_DEP_1) | instskip(NEXT) | instid1(VALU_DEP_1)
	v_subrev_nc_u32_e32 v128, 28, v119
	v_lshlrev_b64_e32 v[129:130], v128, v[0:1]
	v_sub_nc_u32_e32 v128, 29, v119
	s_delay_alu instid0(VALU_DEP_2)
	v_and_b32_e32 v119, 7, v129
; %bb.1306:                             ;   in Loop: Header=BB286_806 Depth=1
	s_wait_alu 0xfffe
	s_or_b32 exec_lo, exec_lo, s16
	v_lshlrev_b32_e32 v129, 8, v12
	v_lshl_add_u32 v128, v128, 10, 0x2000
	v_lshlrev_b32_e32 v119, 7, v119
	s_delay_alu instid0(VALU_DEP_3) | instskip(NEXT) | instid1(VALU_DEP_3)
	v_and_b32_e32 v129, 0x8000, v129
	v_and_b32_e32 v128, 0xfc00, v128
	s_delay_alu instid0(VALU_DEP_1)
	v_or3_b32 v119, v129, v128, v119
.LBB286_1307:                           ;   in Loop: Header=BB286_806 Depth=1
	s_wait_alu 0xfffe
	s_or_b32 exec_lo, exec_lo, s15
.LBB286_1308:                           ;   in Loop: Header=BB286_806 Depth=1
	s_wait_alu 0xfffe
	s_or_b32 exec_lo, exec_lo, s14
.LBB286_1309:                           ;   in Loop: Header=BB286_806 Depth=1
	s_wait_alu 0xfffe
	s_or_b32 exec_lo, exec_lo, s11
	v_lshrrev_b16 v0, 8, v0
	v_mov_b32_e32 v128, 0
	s_mov_b32 s11, exec_lo
	s_delay_alu instid0(VALU_DEP_2)
	v_cmpx_ne_u16_e32 0, v0
	s_cbranch_execz .LBB286_1317
; %bb.1310:                             ;   in Loop: Header=BB286_806 Depth=1
	v_bfrev_b32_e32 v128, 1
	s_mov_b32 s14, exec_lo
	v_cmpx_ne_u16_e32 0x80, v0
	s_cbranch_execz .LBB286_1316
; %bb.1311:                             ;   in Loop: Header=BB286_806 Depth=1
	v_and_b32_e32 v129, 0xffff, v0
	v_mov_b32_e32 v128, 0x7c010000
	s_mov_b32 s15, exec_lo
	s_delay_alu instid0(VALU_DEP_2) | instskip(NEXT) | instid1(VALU_DEP_1)
	v_and_b32_e32 v131, 0x7f, v129
	v_cmpx_ne_u32_e32 0x7f, v131
	s_cbranch_execz .LBB286_1315
; %bb.1312:                             ;   in Loop: Header=BB286_806 Depth=1
	v_and_b32_e32 v128, 7, v129
	v_lshrrev_b32_e32 v130, 3, v131
	s_mov_b32 s16, exec_lo
	v_cmpx_gt_u32_e32 8, v131
; %bb.1313:                             ;   in Loop: Header=BB286_806 Depth=1
	s_delay_alu instid0(VALU_DEP_3) | instskip(NEXT) | instid1(VALU_DEP_1)
	v_clz_i32_u32_e32 v128, v128
	v_min_u32_e32 v128, 32, v128
	s_delay_alu instid0(VALU_DEP_1) | instskip(NEXT) | instid1(VALU_DEP_1)
	v_subrev_nc_u32_e32 v130, 28, v128
	v_lshlrev_b64_e32 v[131:132], v130, v[0:1]
	v_sub_nc_u32_e32 v130, 29, v128
	s_delay_alu instid0(VALU_DEP_2)
	v_and_b32_e32 v128, 7, v131
; %bb.1314:                             ;   in Loop: Header=BB286_806 Depth=1
	s_wait_alu 0xfffe
	s_or_b32 exec_lo, exec_lo, s16
	v_lshlrev_b32_e32 v0, 8, v129
	v_lshl_add_u32 v129, v130, 10, 0x2000
	v_lshlrev_b32_e32 v128, 23, v128
	s_delay_alu instid0(VALU_DEP_2) | instskip(NEXT) | instid1(VALU_DEP_1)
	v_and_or_b32 v0, 0x8000, v0, v129
	v_lshl_or_b32 v128, v0, 16, v128
.LBB286_1315:                           ;   in Loop: Header=BB286_806 Depth=1
	s_wait_alu 0xfffe
	s_or_b32 exec_lo, exec_lo, s15
.LBB286_1316:                           ;   in Loop: Header=BB286_806 Depth=1
	s_wait_alu 0xfffe
	s_or_b32 exec_lo, exec_lo, s14
.LBB286_1317:                           ;   in Loop: Header=BB286_806 Depth=1
	s_wait_alu 0xfffe
	s_or_b32 exec_lo, exec_lo, s11
	v_lshrrev_b32_e32 v0, 16, v12
	s_mov_b32 s11, exec_lo
	s_delay_alu instid0(VALU_DEP_1) | instskip(NEXT) | instid1(VALU_DEP_1)
	v_and_b32_e32 v129, 0xff, v0
	v_cmpx_ne_u16_e64 0, v129
	s_cbranch_execz .LBB286_1325
; %bb.1318:                             ;   in Loop: Header=BB286_806 Depth=1
	v_mov_b32_e32 v118, 0x8000
	s_mov_b32 s14, exec_lo
	v_cmpx_ne_u16_e64 0x80, v129
	s_cbranch_execz .LBB286_1324
; %bb.1319:                             ;   in Loop: Header=BB286_806 Depth=1
	v_bfe_u32 v130, v12, 16, 7
	v_mov_b32_e32 v118, 0x7c01
	s_mov_b32 s15, exec_lo
	s_delay_alu instid0(VALU_DEP_2)
	v_cmpx_ne_u32_e32 0x7f, v130
	s_cbranch_execz .LBB286_1323
; %bb.1320:                             ;   in Loop: Header=BB286_806 Depth=1
	v_and_b32_e32 v118, 7, v0
	v_lshrrev_b32_e32 v129, 3, v130
	s_mov_b32 s16, exec_lo
	v_cmpx_gt_u32_e32 8, v130
; %bb.1321:                             ;   in Loop: Header=BB286_806 Depth=1
	s_delay_alu instid0(VALU_DEP_3) | instskip(NEXT) | instid1(VALU_DEP_1)
	v_clz_i32_u32_e32 v118, v118
	v_min_u32_e32 v118, 32, v118
	s_delay_alu instid0(VALU_DEP_1) | instskip(NEXT) | instid1(VALU_DEP_1)
	v_subrev_nc_u32_e32 v129, 28, v118
	v_lshlrev_b64_e32 v[130:131], v129, v[0:1]
	v_sub_nc_u32_e32 v129, 29, v118
	s_delay_alu instid0(VALU_DEP_2)
	v_and_b32_e32 v118, 7, v130
; %bb.1322:                             ;   in Loop: Header=BB286_806 Depth=1
	s_wait_alu 0xfffe
	s_or_b32 exec_lo, exec_lo, s16
	v_lshlrev_b32_e32 v0, 8, v0
	v_lshl_add_u32 v129, v129, 10, 0x2000
	v_lshlrev_b32_e32 v118, 7, v118
	s_delay_alu instid0(VALU_DEP_3) | instskip(NEXT) | instid1(VALU_DEP_3)
	v_and_b32_e32 v0, 0x8000, v0
	v_and_b32_e32 v129, 0xfc00, v129
	s_delay_alu instid0(VALU_DEP_1)
	v_or3_b32 v118, v0, v129, v118
.LBB286_1323:                           ;   in Loop: Header=BB286_806 Depth=1
	s_wait_alu 0xfffe
	s_or_b32 exec_lo, exec_lo, s15
.LBB286_1324:                           ;   in Loop: Header=BB286_806 Depth=1
	s_wait_alu 0xfffe
	s_or_b32 exec_lo, exec_lo, s14
.LBB286_1325:                           ;   in Loop: Header=BB286_806 Depth=1
	s_wait_alu 0xfffe
	s_or_b32 exec_lo, exec_lo, s11
	v_cmp_lt_u64_e64 s0, s[8:9], v[11:12]
	v_mov_b32_e32 v11, 0
	s_and_saveexec_b32 s11, s0
	s_cbranch_execz .LBB286_1333
; %bb.1326:                             ;   in Loop: Header=BB286_806 Depth=1
	v_lshrrev_b32_e32 v0, 24, v12
	v_bfrev_b32_e32 v11, 1
	s_mov_b32 s14, exec_lo
	s_delay_alu instid0(VALU_DEP_2)
	v_cmpx_ne_u32_e32 0x80, v0
	s_cbranch_execz .LBB286_1332
; %bb.1327:                             ;   in Loop: Header=BB286_806 Depth=1
	v_and_b32_e32 v129, 0x7f, v0
	v_mov_b32_e32 v11, 0x7c010000
	s_mov_b32 s15, exec_lo
	s_delay_alu instid0(VALU_DEP_2)
	v_cmpx_ne_u32_e32 0x7f, v129
	s_cbranch_execz .LBB286_1331
; %bb.1328:                             ;   in Loop: Header=BB286_806 Depth=1
	v_and_b32_e32 v11, 7, v0
	v_lshrrev_b32_e32 v12, 3, v129
	s_mov_b32 s16, exec_lo
	v_cmpx_gt_u32_e32 8, v129
; %bb.1329:                             ;   in Loop: Header=BB286_806 Depth=1
	s_delay_alu instid0(VALU_DEP_3) | instskip(NEXT) | instid1(VALU_DEP_1)
	v_clz_i32_u32_e32 v11, v11
	v_min_u32_e32 v129, 32, v11
	s_delay_alu instid0(VALU_DEP_1) | instskip(NEXT) | instid1(VALU_DEP_1)
	v_subrev_nc_u32_e32 v11, 28, v129
	v_lshlrev_b64_e32 v[11:12], v11, v[0:1]
	v_sub_nc_u32_e32 v12, 29, v129
	s_delay_alu instid0(VALU_DEP_2)
	v_and_b32_e32 v11, 7, v11
; %bb.1330:                             ;   in Loop: Header=BB286_806 Depth=1
	s_wait_alu 0xfffe
	s_or_b32 exec_lo, exec_lo, s16
	v_lshlrev_b32_e32 v0, 8, v0
	v_lshl_add_u32 v12, v12, 10, 0x2000
	v_lshlrev_b32_e32 v11, 23, v11
	s_delay_alu instid0(VALU_DEP_2) | instskip(NEXT) | instid1(VALU_DEP_1)
	v_and_or_b32 v0, 0x8000, v0, v12
	v_lshl_or_b32 v11, v0, 16, v11
.LBB286_1331:                           ;   in Loop: Header=BB286_806 Depth=1
	s_wait_alu 0xfffe
	s_or_b32 exec_lo, exec_lo, s15
.LBB286_1332:                           ;   in Loop: Header=BB286_806 Depth=1
	s_wait_alu 0xfffe
	s_or_b32 exec_lo, exec_lo, s14
.LBB286_1333:                           ;   in Loop: Header=BB286_806 Depth=1
	s_wait_alu 0xfffe
	s_or_b32 exec_lo, exec_lo, s11
	v_or_b32_e32 v0, v116, v117
	s_wait_loadcnt_dscnt 0x0
	v_fma_mixlo_f16 v12, v113, v116, 0 op_sel:[0,1,0] op_sel_hi:[0,1,0]
	v_or_b32_e32 v116, v114, v115
	v_fma_mixlo_f16 v114, v113, v114, 0 op_sel:[0,1,0] op_sel_hi:[0,1,0]
	v_or_b32_e32 v117, v128, v119
	v_or_b32_e32 v118, v11, v118
	v_fma_mixlo_f16 v119, v113, v0, 0 op_sel_hi:[0,1,0]
	v_fma_mixlo_f16 v11, v113, v11, 0 op_sel:[0,1,0] op_sel_hi:[0,1,0]
	v_lshlrev_b32_e32 v115, 16, v114
	v_fma_mixlo_f16 v114, v113, v116, 0 op_sel_hi:[0,1,0]
	v_fma_mixlo_f16 v116, v113, v128, 0 op_sel:[0,1,0] op_sel_hi:[0,1,0]
	v_fma_mixlo_f16 v117, v113, v117, 0 op_sel_hi:[0,1,0]
	v_fma_mixlo_f16 v118, v113, v118, 0 op_sel_hi:[0,1,0]
	v_lshlrev_b32_e32 v0, 16, v12
	v_and_b32_e32 v12, 0xffff, v119
	v_and_b32_e32 v129, 0xffff, v114
	v_lshlrev_b32_e32 v113, 16, v116
	v_and_b32_e32 v117, 0xffff, v117
	v_lshlrev_b32_e32 v11, 16, v11
	v_and_b32_e32 v114, 0xffff, v118
	v_or_b32_e32 v116, v0, v12
	v_or_b32_e32 v128, v115, v129
	;; [unrolled: 1-line block ×3, first 2 shown]
	s_delay_alu instid0(VALU_DEP_4)
	v_or_b32_e32 v118, v11, v114
	s_and_saveexec_b32 s11, vcc_lo
	s_cbranch_execz .LBB286_1335
; %bb.1334:                             ;   in Loop: Header=BB286_806 Depth=1
	v_cmp_lt_i32_e64 s0, v17, v34
	s_wait_alu 0xf1ff
	s_delay_alu instid0(VALU_DEP_1) | instskip(SKIP_2) | instid1(VALU_DEP_1)
	v_cndmask_b32_e64 v116, 0, v129, s0
	v_cmp_lt_i32_e64 s0, v84, v34
	s_wait_alu 0xf1ff
	v_cndmask_b32_e64 v115, 0, v115, s0
	v_cmp_lt_i32_e64 s0, v83, v34
	s_delay_alu instid0(VALU_DEP_2) | instskip(SKIP_1) | instid1(VALU_DEP_2)
	v_or_b32_e32 v128, v116, v115
	s_wait_alu 0xf1ff
	v_cndmask_b32_e64 v12, 0, v12, s0
	v_cmp_lt_i32_e64 s0, v82, v34
	s_wait_alu 0xf1ff
	s_delay_alu instid0(VALU_DEP_1) | instskip(SKIP_1) | instid1(VALU_DEP_2)
	v_cndmask_b32_e64 v0, 0, v0, s0
	v_cmp_lt_i32_e64 s0, v80, v34
	v_or_b32_e32 v116, v12, v0
	s_wait_alu 0xf1ff
	s_delay_alu instid0(VALU_DEP_2) | instskip(SKIP_2) | instid1(VALU_DEP_1)
	v_cndmask_b32_e64 v117, 0, v117, s0
	v_cmp_lt_i32_e64 s0, v71, v34
	s_wait_alu 0xf1ff
	v_cndmask_b32_e64 v113, 0, v113, s0
	v_cmp_lt_i32_e64 s0, v69, v34
	s_delay_alu instid0(VALU_DEP_2) | instskip(SKIP_1) | instid1(VALU_DEP_2)
	v_or_b32_e32 v119, v117, v113
	s_wait_alu 0xf1ff
	v_cndmask_b32_e64 v114, 0, v114, s0
	v_cmp_lt_i32_e64 s0, v67, v34
	s_wait_alu 0xf1ff
	s_delay_alu instid0(VALU_DEP_1) | instskip(NEXT) | instid1(VALU_DEP_1)
	v_cndmask_b32_e64 v11, 0, v11, s0
	v_or_b32_e32 v118, v114, v11
.LBB286_1335:                           ;   in Loop: Header=BB286_806 Depth=1
	s_wait_alu 0xfffe
	s_or_b32 exec_lo, exec_lo, s11
	;;#ASMSTART
	v_pk_mul_f16 v0, v81, v128;

	;;#ASMEND
	;;#ASMSTART
	v_pk_mul_f16 v11, v70, v116;

	;;#ASMEND
	;; [unrolled: 4-line block ×4, first 2 shown]
	;;#ASMSTART
	v_pk_add_f16 v0, v0, v11;

	;;#ASMEND
	;;#ASMSTART
	v_pk_add_f16 v0, v0, v12;

	;;#ASMEND
	;; [unrolled: 4-line block ×3, first 2 shown]
	v_dual_mov_b32 v116, 0 :: v_dual_and_b32 v11, 0xffff, v0
	v_lshrrev_b32_e32 v0, 16, v0
	;;#ASMSTART
	v_cvt_f32_f16 v113, v11;
	;;#ASMEND
	;;#ASMSTART
	v_cvt_f32_f16 v114, v0;
	;;#ASMEND
	flat_load_b64 v[11:12], v[9:10] offset:2048
	flat_load_b32 v115, v[26:27]
	s_mov_b32 s11, exec_lo
	s_wait_loadcnt_dscnt 0x101
	v_dual_mov_b32 v117, 0 :: v_dual_and_b32 v0, 0xff, v11
	s_delay_alu instid0(VALU_DEP_1)
	v_cmpx_ne_u16_e32 0, v0
	s_cbranch_execz .LBB286_1343
; %bb.1336:                             ;   in Loop: Header=BB286_806 Depth=1
	v_mov_b32_e32 v117, 0x8000
	s_mov_b32 s14, exec_lo
	v_cmpx_ne_u16_e32 0x80, v0
	s_cbranch_execz .LBB286_1342
; %bb.1337:                             ;   in Loop: Header=BB286_806 Depth=1
	v_and_b32_e32 v118, 0x7f, v11
	v_mov_b32_e32 v117, 0x7c01
	s_mov_b32 s15, exec_lo
	s_delay_alu instid0(VALU_DEP_2)
	v_cmpx_ne_u32_e32 0x7f, v118
	s_cbranch_execz .LBB286_1341
; %bb.1338:                             ;   in Loop: Header=BB286_806 Depth=1
	v_and_b32_e32 v0, 7, v11
	v_lshrrev_b32_e32 v117, 3, v118
	s_mov_b32 s16, exec_lo
	v_cmpx_gt_u32_e32 8, v118
; %bb.1339:                             ;   in Loop: Header=BB286_806 Depth=1
	s_delay_alu instid0(VALU_DEP_3) | instskip(NEXT) | instid1(VALU_DEP_1)
	v_clz_i32_u32_e32 v0, v0
	v_min_u32_e32 v0, 32, v0
	s_delay_alu instid0(VALU_DEP_1) | instskip(NEXT) | instid1(VALU_DEP_1)
	v_subrev_nc_u32_e32 v117, 28, v0
	v_lshlrev_b64_e32 v[118:119], v117, v[11:12]
	v_sub_nc_u32_e32 v117, 29, v0
	s_delay_alu instid0(VALU_DEP_2)
	v_and_b32_e32 v0, 7, v118
; %bb.1340:                             ;   in Loop: Header=BB286_806 Depth=1
	s_wait_alu 0xfffe
	s_or_b32 exec_lo, exec_lo, s16
	v_lshlrev_b32_e32 v118, 8, v11
	v_lshl_add_u32 v117, v117, 10, 0x2000
	v_lshlrev_b32_e32 v0, 7, v0
	s_delay_alu instid0(VALU_DEP_3) | instskip(NEXT) | instid1(VALU_DEP_3)
	v_and_b32_e32 v118, 0x8000, v118
	v_and_b32_e32 v117, 0xfc00, v117
	s_delay_alu instid0(VALU_DEP_1)
	v_or3_b32 v117, v118, v117, v0
.LBB286_1341:                           ;   in Loop: Header=BB286_806 Depth=1
	s_wait_alu 0xfffe
	s_or_b32 exec_lo, exec_lo, s15
.LBB286_1342:                           ;   in Loop: Header=BB286_806 Depth=1
	s_wait_alu 0xfffe
	s_or_b32 exec_lo, exec_lo, s14
.LBB286_1343:                           ;   in Loop: Header=BB286_806 Depth=1
	s_wait_alu 0xfffe
	s_or_b32 exec_lo, exec_lo, s11
	v_lshrrev_b16 v0, 8, v11
	s_mov_b32 s11, exec_lo
	s_delay_alu instid0(VALU_DEP_1)
	v_cmpx_ne_u16_e32 0, v0
	s_cbranch_execz .LBB286_1351
; %bb.1344:                             ;   in Loop: Header=BB286_806 Depth=1
	v_bfrev_b32_e32 v116, 1
	s_mov_b32 s14, exec_lo
	v_cmpx_ne_u16_e32 0x80, v0
	s_cbranch_execz .LBB286_1350
; %bb.1345:                             ;   in Loop: Header=BB286_806 Depth=1
	v_and_b32_e32 v118, 0xffff, v0
	v_mov_b32_e32 v116, 0x7c010000
	s_mov_b32 s15, exec_lo
	s_delay_alu instid0(VALU_DEP_2) | instskip(NEXT) | instid1(VALU_DEP_1)
	v_and_b32_e32 v128, 0x7f, v118
	v_cmpx_ne_u32_e32 0x7f, v128
	s_cbranch_execz .LBB286_1349
; %bb.1346:                             ;   in Loop: Header=BB286_806 Depth=1
	v_and_b32_e32 v116, 7, v118
	v_lshrrev_b32_e32 v119, 3, v128
	s_mov_b32 s16, exec_lo
	v_cmpx_gt_u32_e32 8, v128
; %bb.1347:                             ;   in Loop: Header=BB286_806 Depth=1
	s_delay_alu instid0(VALU_DEP_3) | instskip(NEXT) | instid1(VALU_DEP_1)
	v_clz_i32_u32_e32 v116, v116
	v_min_u32_e32 v116, 32, v116
	s_delay_alu instid0(VALU_DEP_1) | instskip(NEXT) | instid1(VALU_DEP_1)
	v_subrev_nc_u32_e32 v119, 28, v116
	v_lshlrev_b64_e32 v[128:129], v119, v[0:1]
	v_sub_nc_u32_e32 v119, 29, v116
	s_delay_alu instid0(VALU_DEP_2)
	v_and_b32_e32 v116, 7, v128
; %bb.1348:                             ;   in Loop: Header=BB286_806 Depth=1
	s_wait_alu 0xfffe
	s_or_b32 exec_lo, exec_lo, s16
	v_lshlrev_b32_e32 v0, 8, v118
	v_lshl_add_u32 v118, v119, 10, 0x2000
	v_lshlrev_b32_e32 v116, 23, v116
	s_delay_alu instid0(VALU_DEP_2) | instskip(NEXT) | instid1(VALU_DEP_1)
	v_and_or_b32 v0, 0x8000, v0, v118
	v_lshl_or_b32 v116, v0, 16, v116
.LBB286_1349:                           ;   in Loop: Header=BB286_806 Depth=1
	s_wait_alu 0xfffe
	s_or_b32 exec_lo, exec_lo, s15
.LBB286_1350:                           ;   in Loop: Header=BB286_806 Depth=1
	s_wait_alu 0xfffe
	s_or_b32 exec_lo, exec_lo, s14
.LBB286_1351:                           ;   in Loop: Header=BB286_806 Depth=1
	s_wait_alu 0xfffe
	s_or_b32 exec_lo, exec_lo, s11
	v_lshrrev_b32_e32 v0, 16, v11
	v_mov_b32_e32 v118, 0
	s_mov_b32 s11, exec_lo
	s_delay_alu instid0(VALU_DEP_2) | instskip(NEXT) | instid1(VALU_DEP_1)
	v_dual_mov_b32 v119, 0 :: v_dual_and_b32 v128, 0xff, v0
	v_cmpx_ne_u16_e64 0, v128
	s_cbranch_execz .LBB286_1359
; %bb.1352:                             ;   in Loop: Header=BB286_806 Depth=1
	v_mov_b32_e32 v119, 0x8000
	s_mov_b32 s14, exec_lo
	v_cmpx_ne_u16_e64 0x80, v128
	s_cbranch_execz .LBB286_1358
; %bb.1353:                             ;   in Loop: Header=BB286_806 Depth=1
	v_bfe_u32 v129, v11, 16, 7
	v_mov_b32_e32 v119, 0x7c01
	s_mov_b32 s15, exec_lo
	s_delay_alu instid0(VALU_DEP_2)
	v_cmpx_ne_u32_e32 0x7f, v129
	s_cbranch_execz .LBB286_1357
; %bb.1354:                             ;   in Loop: Header=BB286_806 Depth=1
	v_and_b32_e32 v119, 7, v0
	v_lshrrev_b32_e32 v128, 3, v129
	s_mov_b32 s16, exec_lo
	v_cmpx_gt_u32_e32 8, v129
; %bb.1355:                             ;   in Loop: Header=BB286_806 Depth=1
	s_delay_alu instid0(VALU_DEP_3) | instskip(NEXT) | instid1(VALU_DEP_1)
	v_clz_i32_u32_e32 v119, v119
	v_min_u32_e32 v119, 32, v119
	s_delay_alu instid0(VALU_DEP_1) | instskip(NEXT) | instid1(VALU_DEP_1)
	v_subrev_nc_u32_e32 v128, 28, v119
	v_lshlrev_b64_e32 v[129:130], v128, v[0:1]
	v_sub_nc_u32_e32 v128, 29, v119
	s_delay_alu instid0(VALU_DEP_2)
	v_and_b32_e32 v119, 7, v129
; %bb.1356:                             ;   in Loop: Header=BB286_806 Depth=1
	s_wait_alu 0xfffe
	s_or_b32 exec_lo, exec_lo, s16
	v_lshlrev_b32_e32 v0, 8, v0
	v_lshl_add_u32 v128, v128, 10, 0x2000
	v_lshlrev_b32_e32 v119, 7, v119
	s_delay_alu instid0(VALU_DEP_3) | instskip(NEXT) | instid1(VALU_DEP_3)
	v_and_b32_e32 v0, 0x8000, v0
	v_and_b32_e32 v128, 0xfc00, v128
	s_delay_alu instid0(VALU_DEP_1)
	v_or3_b32 v119, v0, v128, v119
.LBB286_1357:                           ;   in Loop: Header=BB286_806 Depth=1
	s_wait_alu 0xfffe
	s_or_b32 exec_lo, exec_lo, s15
.LBB286_1358:                           ;   in Loop: Header=BB286_806 Depth=1
	s_wait_alu 0xfffe
	s_or_b32 exec_lo, exec_lo, s14
.LBB286_1359:                           ;   in Loop: Header=BB286_806 Depth=1
	s_wait_alu 0xfffe
	s_or_b32 exec_lo, exec_lo, s11
	s_delay_alu instid0(SALU_CYCLE_1)
	s_mov_b32 s11, exec_lo
	v_cmpx_lt_u32_e32 0xffffff, v11
	s_cbranch_execz .LBB286_1367
; %bb.1360:                             ;   in Loop: Header=BB286_806 Depth=1
	v_lshrrev_b32_e32 v0, 24, v11
	v_bfrev_b32_e32 v118, 1
	s_mov_b32 s14, exec_lo
	s_delay_alu instid0(VALU_DEP_2)
	v_cmpx_ne_u32_e32 0x80, v0
	s_cbranch_execz .LBB286_1366
; %bb.1361:                             ;   in Loop: Header=BB286_806 Depth=1
	v_and_b32_e32 v129, 0x7f, v0
	v_mov_b32_e32 v118, 0x7c010000
	s_mov_b32 s15, exec_lo
	s_delay_alu instid0(VALU_DEP_2)
	v_cmpx_ne_u32_e32 0x7f, v129
	s_cbranch_execz .LBB286_1365
; %bb.1362:                             ;   in Loop: Header=BB286_806 Depth=1
	v_and_b32_e32 v118, 7, v0
	v_lshrrev_b32_e32 v128, 3, v129
	s_mov_b32 s16, exec_lo
	v_cmpx_gt_u32_e32 8, v129
; %bb.1363:                             ;   in Loop: Header=BB286_806 Depth=1
	s_delay_alu instid0(VALU_DEP_3) | instskip(NEXT) | instid1(VALU_DEP_1)
	v_clz_i32_u32_e32 v118, v118
	v_min_u32_e32 v118, 32, v118
	s_delay_alu instid0(VALU_DEP_1) | instskip(NEXT) | instid1(VALU_DEP_1)
	v_subrev_nc_u32_e32 v128, 28, v118
	v_lshlrev_b64_e32 v[129:130], v128, v[0:1]
	v_sub_nc_u32_e32 v128, 29, v118
	s_delay_alu instid0(VALU_DEP_2)
	v_and_b32_e32 v118, 7, v129
; %bb.1364:                             ;   in Loop: Header=BB286_806 Depth=1
	s_wait_alu 0xfffe
	s_or_b32 exec_lo, exec_lo, s16
	v_lshlrev_b32_e32 v0, 8, v0
	v_lshl_add_u32 v128, v128, 10, 0x2000
	v_lshlrev_b32_e32 v118, 23, v118
	s_delay_alu instid0(VALU_DEP_2) | instskip(NEXT) | instid1(VALU_DEP_1)
	v_and_or_b32 v0, 0x8000, v0, v128
	v_lshl_or_b32 v118, v0, 16, v118
.LBB286_1365:                           ;   in Loop: Header=BB286_806 Depth=1
	s_wait_alu 0xfffe
	s_or_b32 exec_lo, exec_lo, s15
.LBB286_1366:                           ;   in Loop: Header=BB286_806 Depth=1
	s_wait_alu 0xfffe
	s_or_b32 exec_lo, exec_lo, s14
.LBB286_1367:                           ;   in Loop: Header=BB286_806 Depth=1
	s_wait_alu 0xfffe
	s_or_b32 exec_lo, exec_lo, s11
	v_dual_mov_b32 v129, 0 :: v_dual_and_b32 v130, 0xff, v12
	v_mov_b32_e32 v0, v12
	v_mov_b32_e32 v128, 0
	s_mov_b32 s11, exec_lo
	s_delay_alu instid0(VALU_DEP_3)
	v_cmpx_ne_u16_e64 0, v130
	s_cbranch_execz .LBB286_1375
; %bb.1368:                             ;   in Loop: Header=BB286_806 Depth=1
	v_mov_b32_e32 v129, 0x8000
	s_mov_b32 s14, exec_lo
	v_cmpx_ne_u16_e64 0x80, v130
	s_cbranch_execz .LBB286_1374
; %bb.1369:                             ;   in Loop: Header=BB286_806 Depth=1
	v_and_b32_e32 v131, 0x7f, v12
	v_mov_b32_e32 v129, 0x7c01
	s_mov_b32 s15, exec_lo
	s_delay_alu instid0(VALU_DEP_2)
	v_cmpx_ne_u32_e32 0x7f, v131
	s_cbranch_execz .LBB286_1373
; %bb.1370:                             ;   in Loop: Header=BB286_806 Depth=1
	v_and_b32_e32 v129, 7, v12
	v_lshrrev_b32_e32 v130, 3, v131
	s_mov_b32 s16, exec_lo
	v_cmpx_gt_u32_e32 8, v131
; %bb.1371:                             ;   in Loop: Header=BB286_806 Depth=1
	s_delay_alu instid0(VALU_DEP_3) | instskip(NEXT) | instid1(VALU_DEP_1)
	v_clz_i32_u32_e32 v129, v129
	v_min_u32_e32 v131, 32, v129
	s_delay_alu instid0(VALU_DEP_1) | instskip(NEXT) | instid1(VALU_DEP_1)
	v_subrev_nc_u32_e32 v129, 28, v131
	v_lshlrev_b64_e32 v[129:130], v129, v[0:1]
	v_sub_nc_u32_e32 v130, 29, v131
	s_delay_alu instid0(VALU_DEP_2)
	v_and_b32_e32 v129, 7, v129
; %bb.1372:                             ;   in Loop: Header=BB286_806 Depth=1
	s_wait_alu 0xfffe
	s_or_b32 exec_lo, exec_lo, s16
	v_lshlrev_b32_e32 v131, 8, v12
	v_lshl_add_u32 v130, v130, 10, 0x2000
	v_lshlrev_b32_e32 v129, 7, v129
	s_delay_alu instid0(VALU_DEP_3) | instskip(NEXT) | instid1(VALU_DEP_3)
	v_and_b32_e32 v131, 0x8000, v131
	v_and_b32_e32 v130, 0xfc00, v130
	s_delay_alu instid0(VALU_DEP_1)
	v_or3_b32 v129, v131, v130, v129
.LBB286_1373:                           ;   in Loop: Header=BB286_806 Depth=1
	s_wait_alu 0xfffe
	s_or_b32 exec_lo, exec_lo, s15
.LBB286_1374:                           ;   in Loop: Header=BB286_806 Depth=1
	s_wait_alu 0xfffe
	s_or_b32 exec_lo, exec_lo, s14
.LBB286_1375:                           ;   in Loop: Header=BB286_806 Depth=1
	s_wait_alu 0xfffe
	s_or_b32 exec_lo, exec_lo, s11
	v_lshrrev_b16 v0, 8, v0
	v_mov_b32_e32 v130, 0
	s_mov_b32 s11, exec_lo
	s_delay_alu instid0(VALU_DEP_2)
	v_cmpx_ne_u16_e32 0, v0
	s_cbranch_execz .LBB286_1383
; %bb.1376:                             ;   in Loop: Header=BB286_806 Depth=1
	v_bfrev_b32_e32 v130, 1
	s_mov_b32 s14, exec_lo
	v_cmpx_ne_u16_e32 0x80, v0
	s_cbranch_execz .LBB286_1382
; %bb.1377:                             ;   in Loop: Header=BB286_806 Depth=1
	v_and_b32_e32 v131, 0xffff, v0
	v_mov_b32_e32 v130, 0x7c010000
	s_mov_b32 s15, exec_lo
	s_delay_alu instid0(VALU_DEP_2) | instskip(NEXT) | instid1(VALU_DEP_1)
	v_and_b32_e32 v133, 0x7f, v131
	v_cmpx_ne_u32_e32 0x7f, v133
	s_cbranch_execz .LBB286_1381
; %bb.1378:                             ;   in Loop: Header=BB286_806 Depth=1
	v_and_b32_e32 v130, 7, v131
	v_lshrrev_b32_e32 v132, 3, v133
	s_mov_b32 s16, exec_lo
	v_cmpx_gt_u32_e32 8, v133
; %bb.1379:                             ;   in Loop: Header=BB286_806 Depth=1
	s_delay_alu instid0(VALU_DEP_3) | instskip(NEXT) | instid1(VALU_DEP_1)
	v_clz_i32_u32_e32 v130, v130
	v_min_u32_e32 v130, 32, v130
	s_delay_alu instid0(VALU_DEP_1) | instskip(NEXT) | instid1(VALU_DEP_1)
	v_subrev_nc_u32_e32 v132, 28, v130
	v_lshlrev_b64_e32 v[133:134], v132, v[0:1]
	v_sub_nc_u32_e32 v132, 29, v130
	s_delay_alu instid0(VALU_DEP_2)
	v_and_b32_e32 v130, 7, v133
; %bb.1380:                             ;   in Loop: Header=BB286_806 Depth=1
	s_wait_alu 0xfffe
	s_or_b32 exec_lo, exec_lo, s16
	v_lshlrev_b32_e32 v0, 8, v131
	v_lshl_add_u32 v131, v132, 10, 0x2000
	v_lshlrev_b32_e32 v130, 23, v130
	s_delay_alu instid0(VALU_DEP_2) | instskip(NEXT) | instid1(VALU_DEP_1)
	v_and_or_b32 v0, 0x8000, v0, v131
	v_lshl_or_b32 v130, v0, 16, v130
.LBB286_1381:                           ;   in Loop: Header=BB286_806 Depth=1
	s_wait_alu 0xfffe
	s_or_b32 exec_lo, exec_lo, s15
.LBB286_1382:                           ;   in Loop: Header=BB286_806 Depth=1
	s_wait_alu 0xfffe
	s_or_b32 exec_lo, exec_lo, s14
.LBB286_1383:                           ;   in Loop: Header=BB286_806 Depth=1
	s_wait_alu 0xfffe
	s_or_b32 exec_lo, exec_lo, s11
	v_lshrrev_b32_e32 v0, 16, v12
	s_mov_b32 s11, exec_lo
	s_delay_alu instid0(VALU_DEP_1) | instskip(NEXT) | instid1(VALU_DEP_1)
	v_and_b32_e32 v131, 0xff, v0
	v_cmpx_ne_u16_e64 0, v131
	s_cbranch_execz .LBB286_1391
; %bb.1384:                             ;   in Loop: Header=BB286_806 Depth=1
	v_mov_b32_e32 v128, 0x8000
	s_mov_b32 s14, exec_lo
	v_cmpx_ne_u16_e64 0x80, v131
	s_cbranch_execz .LBB286_1390
; %bb.1385:                             ;   in Loop: Header=BB286_806 Depth=1
	v_bfe_u32 v132, v12, 16, 7
	v_mov_b32_e32 v128, 0x7c01
	s_mov_b32 s15, exec_lo
	s_delay_alu instid0(VALU_DEP_2)
	v_cmpx_ne_u32_e32 0x7f, v132
	s_cbranch_execz .LBB286_1389
; %bb.1386:                             ;   in Loop: Header=BB286_806 Depth=1
	v_and_b32_e32 v128, 7, v0
	v_lshrrev_b32_e32 v131, 3, v132
	s_mov_b32 s16, exec_lo
	v_cmpx_gt_u32_e32 8, v132
; %bb.1387:                             ;   in Loop: Header=BB286_806 Depth=1
	s_delay_alu instid0(VALU_DEP_3) | instskip(NEXT) | instid1(VALU_DEP_1)
	v_clz_i32_u32_e32 v128, v128
	v_min_u32_e32 v128, 32, v128
	s_delay_alu instid0(VALU_DEP_1) | instskip(NEXT) | instid1(VALU_DEP_1)
	v_subrev_nc_u32_e32 v131, 28, v128
	v_lshlrev_b64_e32 v[132:133], v131, v[0:1]
	v_sub_nc_u32_e32 v131, 29, v128
	s_delay_alu instid0(VALU_DEP_2)
	v_and_b32_e32 v128, 7, v132
; %bb.1388:                             ;   in Loop: Header=BB286_806 Depth=1
	s_wait_alu 0xfffe
	s_or_b32 exec_lo, exec_lo, s16
	v_lshlrev_b32_e32 v0, 8, v0
	v_lshl_add_u32 v131, v131, 10, 0x2000
	v_lshlrev_b32_e32 v128, 7, v128
	s_delay_alu instid0(VALU_DEP_3) | instskip(NEXT) | instid1(VALU_DEP_3)
	v_and_b32_e32 v0, 0x8000, v0
	v_and_b32_e32 v131, 0xfc00, v131
	s_delay_alu instid0(VALU_DEP_1)
	v_or3_b32 v128, v0, v131, v128
.LBB286_1389:                           ;   in Loop: Header=BB286_806 Depth=1
	s_wait_alu 0xfffe
	s_or_b32 exec_lo, exec_lo, s15
.LBB286_1390:                           ;   in Loop: Header=BB286_806 Depth=1
	s_wait_alu 0xfffe
	s_or_b32 exec_lo, exec_lo, s14
.LBB286_1391:                           ;   in Loop: Header=BB286_806 Depth=1
	s_wait_alu 0xfffe
	s_or_b32 exec_lo, exec_lo, s11
	v_cmp_lt_u64_e64 s0, s[8:9], v[11:12]
	v_mov_b32_e32 v11, 0
	s_and_saveexec_b32 s11, s0
	s_cbranch_execz .LBB286_1399
; %bb.1392:                             ;   in Loop: Header=BB286_806 Depth=1
	v_lshrrev_b32_e32 v0, 24, v12
	v_bfrev_b32_e32 v11, 1
	s_mov_b32 s14, exec_lo
	s_delay_alu instid0(VALU_DEP_2)
	v_cmpx_ne_u32_e32 0x80, v0
	s_cbranch_execz .LBB286_1398
; %bb.1393:                             ;   in Loop: Header=BB286_806 Depth=1
	v_and_b32_e32 v131, 0x7f, v0
	v_mov_b32_e32 v11, 0x7c010000
	s_mov_b32 s15, exec_lo
	s_delay_alu instid0(VALU_DEP_2)
	v_cmpx_ne_u32_e32 0x7f, v131
	s_cbranch_execz .LBB286_1397
; %bb.1394:                             ;   in Loop: Header=BB286_806 Depth=1
	v_and_b32_e32 v11, 7, v0
	v_lshrrev_b32_e32 v12, 3, v131
	s_mov_b32 s16, exec_lo
	v_cmpx_gt_u32_e32 8, v131
; %bb.1395:                             ;   in Loop: Header=BB286_806 Depth=1
	s_delay_alu instid0(VALU_DEP_3) | instskip(NEXT) | instid1(VALU_DEP_1)
	v_clz_i32_u32_e32 v11, v11
	v_min_u32_e32 v131, 32, v11
	s_delay_alu instid0(VALU_DEP_1) | instskip(NEXT) | instid1(VALU_DEP_1)
	v_subrev_nc_u32_e32 v11, 28, v131
	v_lshlrev_b64_e32 v[11:12], v11, v[0:1]
	v_sub_nc_u32_e32 v12, 29, v131
	s_delay_alu instid0(VALU_DEP_2)
	v_and_b32_e32 v11, 7, v11
; %bb.1396:                             ;   in Loop: Header=BB286_806 Depth=1
	s_wait_alu 0xfffe
	s_or_b32 exec_lo, exec_lo, s16
	v_lshlrev_b32_e32 v0, 8, v0
	v_lshl_add_u32 v12, v12, 10, 0x2000
	v_lshlrev_b32_e32 v11, 23, v11
	s_delay_alu instid0(VALU_DEP_2) | instskip(NEXT) | instid1(VALU_DEP_1)
	v_and_or_b32 v0, 0x8000, v0, v12
	v_lshl_or_b32 v11, v0, 16, v11
.LBB286_1397:                           ;   in Loop: Header=BB286_806 Depth=1
	s_wait_alu 0xfffe
	s_or_b32 exec_lo, exec_lo, s15
.LBB286_1398:                           ;   in Loop: Header=BB286_806 Depth=1
	s_wait_alu 0xfffe
	s_or_b32 exec_lo, exec_lo, s14
.LBB286_1399:                           ;   in Loop: Header=BB286_806 Depth=1
	s_wait_alu 0xfffe
	s_or_b32 exec_lo, exec_lo, s11
	v_or_b32_e32 v0, v118, v119
	s_wait_loadcnt_dscnt 0x0
	v_fma_mixlo_f16 v12, v115, v118, 0 op_sel:[0,1,0] op_sel_hi:[0,1,0]
	v_or_b32_e32 v118, v116, v117
	v_fma_mixlo_f16 v116, v115, v116, 0 op_sel:[0,1,0] op_sel_hi:[0,1,0]
	v_or_b32_e32 v119, v130, v129
	v_or_b32_e32 v128, v11, v128
	v_fma_mixlo_f16 v129, v115, v0, 0 op_sel_hi:[0,1,0]
	v_fma_mixlo_f16 v11, v115, v11, 0 op_sel:[0,1,0] op_sel_hi:[0,1,0]
	v_lshlrev_b32_e32 v117, 16, v116
	v_fma_mixlo_f16 v116, v115, v118, 0 op_sel_hi:[0,1,0]
	v_fma_mixlo_f16 v118, v115, v130, 0 op_sel:[0,1,0] op_sel_hi:[0,1,0]
	v_fma_mixlo_f16 v119, v115, v119, 0 op_sel_hi:[0,1,0]
	v_fma_mixlo_f16 v128, v115, v128, 0 op_sel_hi:[0,1,0]
	v_lshlrev_b32_e32 v0, 16, v12
	v_and_b32_e32 v12, 0xffff, v129
	v_and_b32_e32 v131, 0xffff, v116
	v_lshlrev_b32_e32 v115, 16, v118
	v_and_b32_e32 v119, 0xffff, v119
	v_lshlrev_b32_e32 v11, 16, v11
	v_and_b32_e32 v116, 0xffff, v128
	v_or_b32_e32 v118, v0, v12
	v_or_b32_e32 v130, v117, v131
	;; [unrolled: 1-line block ×3, first 2 shown]
	s_delay_alu instid0(VALU_DEP_4)
	v_or_b32_e32 v128, v11, v116
	s_and_saveexec_b32 s11, vcc_lo
	s_cbranch_execz .LBB286_1401
; %bb.1400:                             ;   in Loop: Header=BB286_806 Depth=1
	v_cmp_lt_i32_e64 s0, v17, v34
	s_wait_alu 0xf1ff
	s_delay_alu instid0(VALU_DEP_1) | instskip(SKIP_2) | instid1(VALU_DEP_1)
	v_cndmask_b32_e64 v118, 0, v131, s0
	v_cmp_lt_i32_e64 s0, v84, v34
	s_wait_alu 0xf1ff
	v_cndmask_b32_e64 v117, 0, v117, s0
	v_cmp_lt_i32_e64 s0, v83, v34
	s_delay_alu instid0(VALU_DEP_2) | instskip(SKIP_1) | instid1(VALU_DEP_2)
	v_or_b32_e32 v130, v118, v117
	s_wait_alu 0xf1ff
	v_cndmask_b32_e64 v12, 0, v12, s0
	v_cmp_lt_i32_e64 s0, v82, v34
	s_wait_alu 0xf1ff
	s_delay_alu instid0(VALU_DEP_1) | instskip(SKIP_1) | instid1(VALU_DEP_2)
	v_cndmask_b32_e64 v0, 0, v0, s0
	v_cmp_lt_i32_e64 s0, v80, v34
	v_or_b32_e32 v118, v12, v0
	s_wait_alu 0xf1ff
	s_delay_alu instid0(VALU_DEP_2) | instskip(SKIP_2) | instid1(VALU_DEP_1)
	v_cndmask_b32_e64 v119, 0, v119, s0
	v_cmp_lt_i32_e64 s0, v71, v34
	s_wait_alu 0xf1ff
	v_cndmask_b32_e64 v115, 0, v115, s0
	v_cmp_lt_i32_e64 s0, v69, v34
	s_delay_alu instid0(VALU_DEP_2) | instskip(SKIP_1) | instid1(VALU_DEP_2)
	v_or_b32_e32 v129, v119, v115
	s_wait_alu 0xf1ff
	v_cndmask_b32_e64 v116, 0, v116, s0
	v_cmp_lt_i32_e64 s0, v67, v34
	s_wait_alu 0xf1ff
	s_delay_alu instid0(VALU_DEP_1) | instskip(NEXT) | instid1(VALU_DEP_1)
	v_cndmask_b32_e64 v11, 0, v11, s0
	v_or_b32_e32 v128, v116, v11
.LBB286_1401:                           ;   in Loop: Header=BB286_806 Depth=1
	s_wait_alu 0xfffe
	s_or_b32 exec_lo, exec_lo, s11
	;;#ASMSTART
	v_pk_mul_f16 v0, v81, v130;

	;;#ASMEND
	;;#ASMSTART
	v_pk_mul_f16 v11, v70, v118;

	;;#ASMEND
	;; [unrolled: 4-line block ×4, first 2 shown]
	;;#ASMSTART
	v_pk_add_f16 v0, v0, v11;

	;;#ASMEND
	;;#ASMSTART
	v_pk_add_f16 v0, v0, v12;

	;;#ASMEND
	;; [unrolled: 4-line block ×3, first 2 shown]
	v_dual_mov_b32 v118, 0 :: v_dual_and_b32 v11, 0xffff, v0
	v_lshrrev_b32_e32 v0, 16, v0
	;;#ASMSTART
	v_cvt_f32_f16 v115, v11;
	;;#ASMEND
	;;#ASMSTART
	v_cvt_f32_f16 v116, v0;
	;;#ASMEND
	flat_load_b64 v[11:12], v[9:10] offset:2304
	flat_load_b32 v117, v[26:27]
	s_mov_b32 s11, exec_lo
	s_wait_loadcnt_dscnt 0x101
	v_dual_mov_b32 v119, 0 :: v_dual_and_b32 v0, 0xff, v11
	s_delay_alu instid0(VALU_DEP_1)
	v_cmpx_ne_u16_e32 0, v0
	s_cbranch_execz .LBB286_1409
; %bb.1402:                             ;   in Loop: Header=BB286_806 Depth=1
	v_mov_b32_e32 v119, 0x8000
	s_mov_b32 s14, exec_lo
	v_cmpx_ne_u16_e32 0x80, v0
	s_cbranch_execz .LBB286_1408
; %bb.1403:                             ;   in Loop: Header=BB286_806 Depth=1
	v_and_b32_e32 v128, 0x7f, v11
	v_mov_b32_e32 v119, 0x7c01
	s_mov_b32 s15, exec_lo
	s_delay_alu instid0(VALU_DEP_2)
	v_cmpx_ne_u32_e32 0x7f, v128
	s_cbranch_execz .LBB286_1407
; %bb.1404:                             ;   in Loop: Header=BB286_806 Depth=1
	v_and_b32_e32 v0, 7, v11
	v_lshrrev_b32_e32 v119, 3, v128
	s_mov_b32 s16, exec_lo
	v_cmpx_gt_u32_e32 8, v128
; %bb.1405:                             ;   in Loop: Header=BB286_806 Depth=1
	s_delay_alu instid0(VALU_DEP_3) | instskip(NEXT) | instid1(VALU_DEP_1)
	v_clz_i32_u32_e32 v0, v0
	v_min_u32_e32 v0, 32, v0
	s_delay_alu instid0(VALU_DEP_1) | instskip(NEXT) | instid1(VALU_DEP_1)
	v_subrev_nc_u32_e32 v119, 28, v0
	v_lshlrev_b64_e32 v[128:129], v119, v[11:12]
	v_sub_nc_u32_e32 v119, 29, v0
	s_delay_alu instid0(VALU_DEP_2)
	v_and_b32_e32 v0, 7, v128
; %bb.1406:                             ;   in Loop: Header=BB286_806 Depth=1
	s_wait_alu 0xfffe
	s_or_b32 exec_lo, exec_lo, s16
	v_lshlrev_b32_e32 v128, 8, v11
	v_lshl_add_u32 v119, v119, 10, 0x2000
	v_lshlrev_b32_e32 v0, 7, v0
	s_delay_alu instid0(VALU_DEP_3) | instskip(NEXT) | instid1(VALU_DEP_3)
	v_and_b32_e32 v128, 0x8000, v128
	v_and_b32_e32 v119, 0xfc00, v119
	s_delay_alu instid0(VALU_DEP_1)
	v_or3_b32 v119, v128, v119, v0
.LBB286_1407:                           ;   in Loop: Header=BB286_806 Depth=1
	s_wait_alu 0xfffe
	s_or_b32 exec_lo, exec_lo, s15
.LBB286_1408:                           ;   in Loop: Header=BB286_806 Depth=1
	s_wait_alu 0xfffe
	s_or_b32 exec_lo, exec_lo, s14
.LBB286_1409:                           ;   in Loop: Header=BB286_806 Depth=1
	s_wait_alu 0xfffe
	s_or_b32 exec_lo, exec_lo, s11
	v_lshrrev_b16 v0, 8, v11
	s_mov_b32 s11, exec_lo
	s_delay_alu instid0(VALU_DEP_1)
	v_cmpx_ne_u16_e32 0, v0
	s_cbranch_execz .LBB286_1417
; %bb.1410:                             ;   in Loop: Header=BB286_806 Depth=1
	v_bfrev_b32_e32 v118, 1
	s_mov_b32 s14, exec_lo
	v_cmpx_ne_u16_e32 0x80, v0
	s_cbranch_execz .LBB286_1416
; %bb.1411:                             ;   in Loop: Header=BB286_806 Depth=1
	v_and_b32_e32 v128, 0xffff, v0
	v_mov_b32_e32 v118, 0x7c010000
	s_mov_b32 s15, exec_lo
	s_delay_alu instid0(VALU_DEP_2) | instskip(NEXT) | instid1(VALU_DEP_1)
	v_and_b32_e32 v130, 0x7f, v128
	v_cmpx_ne_u32_e32 0x7f, v130
	s_cbranch_execz .LBB286_1415
; %bb.1412:                             ;   in Loop: Header=BB286_806 Depth=1
	v_and_b32_e32 v118, 7, v128
	v_lshrrev_b32_e32 v129, 3, v130
	s_mov_b32 s16, exec_lo
	v_cmpx_gt_u32_e32 8, v130
; %bb.1413:                             ;   in Loop: Header=BB286_806 Depth=1
	s_delay_alu instid0(VALU_DEP_3) | instskip(NEXT) | instid1(VALU_DEP_1)
	v_clz_i32_u32_e32 v118, v118
	v_min_u32_e32 v118, 32, v118
	s_delay_alu instid0(VALU_DEP_1) | instskip(NEXT) | instid1(VALU_DEP_1)
	v_subrev_nc_u32_e32 v129, 28, v118
	v_lshlrev_b64_e32 v[130:131], v129, v[0:1]
	v_sub_nc_u32_e32 v129, 29, v118
	s_delay_alu instid0(VALU_DEP_2)
	v_and_b32_e32 v118, 7, v130
; %bb.1414:                             ;   in Loop: Header=BB286_806 Depth=1
	s_wait_alu 0xfffe
	s_or_b32 exec_lo, exec_lo, s16
	v_lshlrev_b32_e32 v0, 8, v128
	v_lshl_add_u32 v128, v129, 10, 0x2000
	v_lshlrev_b32_e32 v118, 23, v118
	s_delay_alu instid0(VALU_DEP_2) | instskip(NEXT) | instid1(VALU_DEP_1)
	v_and_or_b32 v0, 0x8000, v0, v128
	v_lshl_or_b32 v118, v0, 16, v118
.LBB286_1415:                           ;   in Loop: Header=BB286_806 Depth=1
	s_wait_alu 0xfffe
	s_or_b32 exec_lo, exec_lo, s15
.LBB286_1416:                           ;   in Loop: Header=BB286_806 Depth=1
	s_wait_alu 0xfffe
	s_or_b32 exec_lo, exec_lo, s14
.LBB286_1417:                           ;   in Loop: Header=BB286_806 Depth=1
	s_wait_alu 0xfffe
	s_or_b32 exec_lo, exec_lo, s11
	v_lshrrev_b32_e32 v0, 16, v11
	v_mov_b32_e32 v128, 0
	s_mov_b32 s11, exec_lo
	s_delay_alu instid0(VALU_DEP_2) | instskip(NEXT) | instid1(VALU_DEP_1)
	v_dual_mov_b32 v129, 0 :: v_dual_and_b32 v130, 0xff, v0
	v_cmpx_ne_u16_e64 0, v130
	s_cbranch_execz .LBB286_1425
; %bb.1418:                             ;   in Loop: Header=BB286_806 Depth=1
	v_mov_b32_e32 v129, 0x8000
	s_mov_b32 s14, exec_lo
	v_cmpx_ne_u16_e64 0x80, v130
	s_cbranch_execz .LBB286_1424
; %bb.1419:                             ;   in Loop: Header=BB286_806 Depth=1
	v_bfe_u32 v131, v11, 16, 7
	v_mov_b32_e32 v129, 0x7c01
	s_mov_b32 s15, exec_lo
	s_delay_alu instid0(VALU_DEP_2)
	v_cmpx_ne_u32_e32 0x7f, v131
	s_cbranch_execz .LBB286_1423
; %bb.1420:                             ;   in Loop: Header=BB286_806 Depth=1
	v_and_b32_e32 v129, 7, v0
	v_lshrrev_b32_e32 v130, 3, v131
	s_mov_b32 s16, exec_lo
	v_cmpx_gt_u32_e32 8, v131
; %bb.1421:                             ;   in Loop: Header=BB286_806 Depth=1
	s_delay_alu instid0(VALU_DEP_3) | instskip(NEXT) | instid1(VALU_DEP_1)
	v_clz_i32_u32_e32 v129, v129
	v_min_u32_e32 v131, 32, v129
	s_delay_alu instid0(VALU_DEP_1) | instskip(NEXT) | instid1(VALU_DEP_1)
	v_subrev_nc_u32_e32 v129, 28, v131
	v_lshlrev_b64_e32 v[129:130], v129, v[0:1]
	v_sub_nc_u32_e32 v130, 29, v131
	s_delay_alu instid0(VALU_DEP_2)
	v_and_b32_e32 v129, 7, v129
; %bb.1422:                             ;   in Loop: Header=BB286_806 Depth=1
	s_wait_alu 0xfffe
	s_or_b32 exec_lo, exec_lo, s16
	v_lshlrev_b32_e32 v0, 8, v0
	v_lshl_add_u32 v130, v130, 10, 0x2000
	v_lshlrev_b32_e32 v129, 7, v129
	s_delay_alu instid0(VALU_DEP_3) | instskip(NEXT) | instid1(VALU_DEP_3)
	v_and_b32_e32 v0, 0x8000, v0
	v_and_b32_e32 v130, 0xfc00, v130
	s_delay_alu instid0(VALU_DEP_1)
	v_or3_b32 v129, v0, v130, v129
.LBB286_1423:                           ;   in Loop: Header=BB286_806 Depth=1
	s_wait_alu 0xfffe
	s_or_b32 exec_lo, exec_lo, s15
.LBB286_1424:                           ;   in Loop: Header=BB286_806 Depth=1
	s_wait_alu 0xfffe
	s_or_b32 exec_lo, exec_lo, s14
.LBB286_1425:                           ;   in Loop: Header=BB286_806 Depth=1
	s_wait_alu 0xfffe
	s_or_b32 exec_lo, exec_lo, s11
	s_delay_alu instid0(SALU_CYCLE_1)
	s_mov_b32 s11, exec_lo
	v_cmpx_lt_u32_e32 0xffffff, v11
	s_cbranch_execz .LBB286_1433
; %bb.1426:                             ;   in Loop: Header=BB286_806 Depth=1
	v_lshrrev_b32_e32 v0, 24, v11
	v_bfrev_b32_e32 v128, 1
	s_mov_b32 s14, exec_lo
	s_delay_alu instid0(VALU_DEP_2)
	v_cmpx_ne_u32_e32 0x80, v0
	s_cbranch_execz .LBB286_1432
; %bb.1427:                             ;   in Loop: Header=BB286_806 Depth=1
	v_and_b32_e32 v131, 0x7f, v0
	v_mov_b32_e32 v128, 0x7c010000
	s_mov_b32 s15, exec_lo
	s_delay_alu instid0(VALU_DEP_2)
	v_cmpx_ne_u32_e32 0x7f, v131
	s_cbranch_execz .LBB286_1431
; %bb.1428:                             ;   in Loop: Header=BB286_806 Depth=1
	v_and_b32_e32 v128, 7, v0
	v_lshrrev_b32_e32 v130, 3, v131
	s_mov_b32 s16, exec_lo
	v_cmpx_gt_u32_e32 8, v131
; %bb.1429:                             ;   in Loop: Header=BB286_806 Depth=1
	s_delay_alu instid0(VALU_DEP_3) | instskip(NEXT) | instid1(VALU_DEP_1)
	v_clz_i32_u32_e32 v128, v128
	v_min_u32_e32 v128, 32, v128
	s_delay_alu instid0(VALU_DEP_1) | instskip(NEXT) | instid1(VALU_DEP_1)
	v_subrev_nc_u32_e32 v130, 28, v128
	v_lshlrev_b64_e32 v[131:132], v130, v[0:1]
	v_sub_nc_u32_e32 v130, 29, v128
	s_delay_alu instid0(VALU_DEP_2)
	v_and_b32_e32 v128, 7, v131
; %bb.1430:                             ;   in Loop: Header=BB286_806 Depth=1
	s_wait_alu 0xfffe
	s_or_b32 exec_lo, exec_lo, s16
	v_lshlrev_b32_e32 v0, 8, v0
	v_lshl_add_u32 v130, v130, 10, 0x2000
	v_lshlrev_b32_e32 v128, 23, v128
	s_delay_alu instid0(VALU_DEP_2) | instskip(NEXT) | instid1(VALU_DEP_1)
	v_and_or_b32 v0, 0x8000, v0, v130
	v_lshl_or_b32 v128, v0, 16, v128
.LBB286_1431:                           ;   in Loop: Header=BB286_806 Depth=1
	s_wait_alu 0xfffe
	s_or_b32 exec_lo, exec_lo, s15
.LBB286_1432:                           ;   in Loop: Header=BB286_806 Depth=1
	s_wait_alu 0xfffe
	s_or_b32 exec_lo, exec_lo, s14
.LBB286_1433:                           ;   in Loop: Header=BB286_806 Depth=1
	s_wait_alu 0xfffe
	s_or_b32 exec_lo, exec_lo, s11
	v_dual_mov_b32 v131, 0 :: v_dual_and_b32 v132, 0xff, v12
	v_mov_b32_e32 v0, v12
	v_mov_b32_e32 v130, 0
	s_mov_b32 s11, exec_lo
	s_delay_alu instid0(VALU_DEP_3)
	v_cmpx_ne_u16_e64 0, v132
	s_cbranch_execz .LBB286_1441
; %bb.1434:                             ;   in Loop: Header=BB286_806 Depth=1
	v_mov_b32_e32 v131, 0x8000
	s_mov_b32 s14, exec_lo
	v_cmpx_ne_u16_e64 0x80, v132
	s_cbranch_execz .LBB286_1440
; %bb.1435:                             ;   in Loop: Header=BB286_806 Depth=1
	v_and_b32_e32 v133, 0x7f, v12
	v_mov_b32_e32 v131, 0x7c01
	s_mov_b32 s15, exec_lo
	s_delay_alu instid0(VALU_DEP_2)
	v_cmpx_ne_u32_e32 0x7f, v133
	s_cbranch_execz .LBB286_1439
; %bb.1436:                             ;   in Loop: Header=BB286_806 Depth=1
	v_and_b32_e32 v131, 7, v12
	v_lshrrev_b32_e32 v132, 3, v133
	s_mov_b32 s16, exec_lo
	v_cmpx_gt_u32_e32 8, v133
; %bb.1437:                             ;   in Loop: Header=BB286_806 Depth=1
	s_delay_alu instid0(VALU_DEP_3) | instskip(NEXT) | instid1(VALU_DEP_1)
	v_clz_i32_u32_e32 v131, v131
	v_min_u32_e32 v133, 32, v131
	s_delay_alu instid0(VALU_DEP_1) | instskip(NEXT) | instid1(VALU_DEP_1)
	v_subrev_nc_u32_e32 v131, 28, v133
	v_lshlrev_b64_e32 v[131:132], v131, v[0:1]
	v_sub_nc_u32_e32 v132, 29, v133
	s_delay_alu instid0(VALU_DEP_2)
	v_and_b32_e32 v131, 7, v131
; %bb.1438:                             ;   in Loop: Header=BB286_806 Depth=1
	s_wait_alu 0xfffe
	s_or_b32 exec_lo, exec_lo, s16
	v_lshlrev_b32_e32 v133, 8, v12
	v_lshl_add_u32 v132, v132, 10, 0x2000
	v_lshlrev_b32_e32 v131, 7, v131
	s_delay_alu instid0(VALU_DEP_3) | instskip(NEXT) | instid1(VALU_DEP_3)
	v_and_b32_e32 v133, 0x8000, v133
	v_and_b32_e32 v132, 0xfc00, v132
	s_delay_alu instid0(VALU_DEP_1)
	v_or3_b32 v131, v133, v132, v131
.LBB286_1439:                           ;   in Loop: Header=BB286_806 Depth=1
	s_wait_alu 0xfffe
	s_or_b32 exec_lo, exec_lo, s15
.LBB286_1440:                           ;   in Loop: Header=BB286_806 Depth=1
	s_wait_alu 0xfffe
	s_or_b32 exec_lo, exec_lo, s14
.LBB286_1441:                           ;   in Loop: Header=BB286_806 Depth=1
	s_wait_alu 0xfffe
	s_or_b32 exec_lo, exec_lo, s11
	v_lshrrev_b16 v0, 8, v0
	v_mov_b32_e32 v132, 0
	s_mov_b32 s11, exec_lo
	s_delay_alu instid0(VALU_DEP_2)
	v_cmpx_ne_u16_e32 0, v0
	s_cbranch_execz .LBB286_1449
; %bb.1442:                             ;   in Loop: Header=BB286_806 Depth=1
	v_bfrev_b32_e32 v132, 1
	s_mov_b32 s14, exec_lo
	v_cmpx_ne_u16_e32 0x80, v0
	s_cbranch_execz .LBB286_1448
; %bb.1443:                             ;   in Loop: Header=BB286_806 Depth=1
	v_and_b32_e32 v133, 0xffff, v0
	v_mov_b32_e32 v132, 0x7c010000
	s_mov_b32 s15, exec_lo
	s_delay_alu instid0(VALU_DEP_2) | instskip(NEXT) | instid1(VALU_DEP_1)
	v_and_b32_e32 v135, 0x7f, v133
	v_cmpx_ne_u32_e32 0x7f, v135
	s_cbranch_execz .LBB286_1447
; %bb.1444:                             ;   in Loop: Header=BB286_806 Depth=1
	v_and_b32_e32 v132, 7, v133
	v_lshrrev_b32_e32 v134, 3, v135
	s_mov_b32 s16, exec_lo
	v_cmpx_gt_u32_e32 8, v135
; %bb.1445:                             ;   in Loop: Header=BB286_806 Depth=1
	s_delay_alu instid0(VALU_DEP_3) | instskip(NEXT) | instid1(VALU_DEP_1)
	v_clz_i32_u32_e32 v132, v132
	v_min_u32_e32 v132, 32, v132
	s_delay_alu instid0(VALU_DEP_1) | instskip(NEXT) | instid1(VALU_DEP_1)
	v_subrev_nc_u32_e32 v134, 28, v132
	v_lshlrev_b64_e32 v[144:145], v134, v[0:1]
	v_sub_nc_u32_e32 v134, 29, v132
	s_delay_alu instid0(VALU_DEP_2)
	v_and_b32_e32 v132, 7, v144
; %bb.1446:                             ;   in Loop: Header=BB286_806 Depth=1
	s_wait_alu 0xfffe
	s_or_b32 exec_lo, exec_lo, s16
	v_lshlrev_b32_e32 v0, 8, v133
	v_lshl_add_u32 v133, v134, 10, 0x2000
	v_lshlrev_b32_e32 v132, 23, v132
	s_delay_alu instid0(VALU_DEP_2) | instskip(NEXT) | instid1(VALU_DEP_1)
	v_and_or_b32 v0, 0x8000, v0, v133
	v_lshl_or_b32 v132, v0, 16, v132
.LBB286_1447:                           ;   in Loop: Header=BB286_806 Depth=1
	s_wait_alu 0xfffe
	s_or_b32 exec_lo, exec_lo, s15
.LBB286_1448:                           ;   in Loop: Header=BB286_806 Depth=1
	s_wait_alu 0xfffe
	s_or_b32 exec_lo, exec_lo, s14
.LBB286_1449:                           ;   in Loop: Header=BB286_806 Depth=1
	s_wait_alu 0xfffe
	s_or_b32 exec_lo, exec_lo, s11
	v_lshrrev_b32_e32 v0, 16, v12
	s_mov_b32 s11, exec_lo
	s_delay_alu instid0(VALU_DEP_1) | instskip(NEXT) | instid1(VALU_DEP_1)
	v_and_b32_e32 v133, 0xff, v0
	v_cmpx_ne_u16_e64 0, v133
	s_cbranch_execz .LBB286_1457
; %bb.1450:                             ;   in Loop: Header=BB286_806 Depth=1
	v_mov_b32_e32 v130, 0x8000
	s_mov_b32 s14, exec_lo
	v_cmpx_ne_u16_e64 0x80, v133
	s_cbranch_execz .LBB286_1456
; %bb.1451:                             ;   in Loop: Header=BB286_806 Depth=1
	v_bfe_u32 v134, v12, 16, 7
	v_mov_b32_e32 v130, 0x7c01
	s_mov_b32 s15, exec_lo
	s_delay_alu instid0(VALU_DEP_2)
	v_cmpx_ne_u32_e32 0x7f, v134
	s_cbranch_execz .LBB286_1455
; %bb.1452:                             ;   in Loop: Header=BB286_806 Depth=1
	v_and_b32_e32 v130, 7, v0
	v_lshrrev_b32_e32 v133, 3, v134
	s_mov_b32 s16, exec_lo
	v_cmpx_gt_u32_e32 8, v134
; %bb.1453:                             ;   in Loop: Header=BB286_806 Depth=1
	s_delay_alu instid0(VALU_DEP_3) | instskip(NEXT) | instid1(VALU_DEP_1)
	v_clz_i32_u32_e32 v130, v130
	v_min_u32_e32 v130, 32, v130
	s_delay_alu instid0(VALU_DEP_1) | instskip(NEXT) | instid1(VALU_DEP_1)
	v_subrev_nc_u32_e32 v133, 28, v130
	v_lshlrev_b64_e32 v[134:135], v133, v[0:1]
	v_sub_nc_u32_e32 v133, 29, v130
	s_delay_alu instid0(VALU_DEP_2)
	v_and_b32_e32 v130, 7, v134
; %bb.1454:                             ;   in Loop: Header=BB286_806 Depth=1
	s_wait_alu 0xfffe
	s_or_b32 exec_lo, exec_lo, s16
	v_lshlrev_b32_e32 v0, 8, v0
	v_lshl_add_u32 v133, v133, 10, 0x2000
	v_lshlrev_b32_e32 v130, 7, v130
	s_delay_alu instid0(VALU_DEP_3) | instskip(NEXT) | instid1(VALU_DEP_3)
	v_and_b32_e32 v0, 0x8000, v0
	v_and_b32_e32 v133, 0xfc00, v133
	s_delay_alu instid0(VALU_DEP_1)
	v_or3_b32 v130, v0, v133, v130
.LBB286_1455:                           ;   in Loop: Header=BB286_806 Depth=1
	s_wait_alu 0xfffe
	s_or_b32 exec_lo, exec_lo, s15
.LBB286_1456:                           ;   in Loop: Header=BB286_806 Depth=1
	s_wait_alu 0xfffe
	s_or_b32 exec_lo, exec_lo, s14
.LBB286_1457:                           ;   in Loop: Header=BB286_806 Depth=1
	s_wait_alu 0xfffe
	s_or_b32 exec_lo, exec_lo, s11
	v_cmp_lt_u64_e64 s0, s[8:9], v[11:12]
	v_mov_b32_e32 v11, 0
	s_and_saveexec_b32 s11, s0
	s_cbranch_execz .LBB286_1465
; %bb.1458:                             ;   in Loop: Header=BB286_806 Depth=1
	v_lshrrev_b32_e32 v0, 24, v12
	v_bfrev_b32_e32 v11, 1
	s_mov_b32 s14, exec_lo
	s_delay_alu instid0(VALU_DEP_2)
	v_cmpx_ne_u32_e32 0x80, v0
	s_cbranch_execz .LBB286_1464
; %bb.1459:                             ;   in Loop: Header=BB286_806 Depth=1
	v_and_b32_e32 v133, 0x7f, v0
	v_mov_b32_e32 v11, 0x7c010000
	s_mov_b32 s15, exec_lo
	s_delay_alu instid0(VALU_DEP_2)
	v_cmpx_ne_u32_e32 0x7f, v133
	s_cbranch_execz .LBB286_1463
; %bb.1460:                             ;   in Loop: Header=BB286_806 Depth=1
	v_and_b32_e32 v11, 7, v0
	v_lshrrev_b32_e32 v12, 3, v133
	s_mov_b32 s16, exec_lo
	v_cmpx_gt_u32_e32 8, v133
; %bb.1461:                             ;   in Loop: Header=BB286_806 Depth=1
	s_delay_alu instid0(VALU_DEP_3) | instskip(NEXT) | instid1(VALU_DEP_1)
	v_clz_i32_u32_e32 v11, v11
	v_min_u32_e32 v133, 32, v11
	s_delay_alu instid0(VALU_DEP_1) | instskip(NEXT) | instid1(VALU_DEP_1)
	v_subrev_nc_u32_e32 v11, 28, v133
	v_lshlrev_b64_e32 v[11:12], v11, v[0:1]
	v_sub_nc_u32_e32 v12, 29, v133
	s_delay_alu instid0(VALU_DEP_2)
	v_and_b32_e32 v11, 7, v11
; %bb.1462:                             ;   in Loop: Header=BB286_806 Depth=1
	s_wait_alu 0xfffe
	s_or_b32 exec_lo, exec_lo, s16
	v_lshlrev_b32_e32 v0, 8, v0
	v_lshl_add_u32 v12, v12, 10, 0x2000
	v_lshlrev_b32_e32 v11, 23, v11
	s_delay_alu instid0(VALU_DEP_2) | instskip(NEXT) | instid1(VALU_DEP_1)
	v_and_or_b32 v0, 0x8000, v0, v12
	v_lshl_or_b32 v11, v0, 16, v11
.LBB286_1463:                           ;   in Loop: Header=BB286_806 Depth=1
	s_wait_alu 0xfffe
	s_or_b32 exec_lo, exec_lo, s15
.LBB286_1464:                           ;   in Loop: Header=BB286_806 Depth=1
	s_wait_alu 0xfffe
	s_or_b32 exec_lo, exec_lo, s14
.LBB286_1465:                           ;   in Loop: Header=BB286_806 Depth=1
	s_wait_alu 0xfffe
	s_or_b32 exec_lo, exec_lo, s11
	v_or_b32_e32 v0, v128, v129
	s_wait_loadcnt_dscnt 0x0
	v_fma_mixlo_f16 v12, v117, v128, 0 op_sel:[0,1,0] op_sel_hi:[0,1,0]
	v_or_b32_e32 v128, v118, v119
	v_fma_mixlo_f16 v118, v117, v118, 0 op_sel:[0,1,0] op_sel_hi:[0,1,0]
	v_or_b32_e32 v129, v132, v131
	v_or_b32_e32 v130, v11, v130
	v_fma_mixlo_f16 v131, v117, v0, 0 op_sel_hi:[0,1,0]
	v_fma_mixlo_f16 v11, v117, v11, 0 op_sel:[0,1,0] op_sel_hi:[0,1,0]
	v_lshlrev_b32_e32 v119, 16, v118
	v_fma_mixlo_f16 v118, v117, v128, 0 op_sel_hi:[0,1,0]
	v_fma_mixlo_f16 v128, v117, v132, 0 op_sel:[0,1,0] op_sel_hi:[0,1,0]
	v_fma_mixlo_f16 v129, v117, v129, 0 op_sel_hi:[0,1,0]
	v_fma_mixlo_f16 v130, v117, v130, 0 op_sel_hi:[0,1,0]
	v_lshlrev_b32_e32 v0, 16, v12
	v_and_b32_e32 v12, 0xffff, v131
	v_and_b32_e32 v133, 0xffff, v118
	v_lshlrev_b32_e32 v117, 16, v128
	v_and_b32_e32 v129, 0xffff, v129
	v_lshlrev_b32_e32 v11, 16, v11
	v_and_b32_e32 v118, 0xffff, v130
	v_or_b32_e32 v128, v0, v12
	v_or_b32_e32 v132, v119, v133
	;; [unrolled: 1-line block ×3, first 2 shown]
	s_delay_alu instid0(VALU_DEP_4)
	v_or_b32_e32 v130, v11, v118
	s_and_saveexec_b32 s11, vcc_lo
	s_cbranch_execz .LBB286_1467
; %bb.1466:                             ;   in Loop: Header=BB286_806 Depth=1
	v_cmp_lt_i32_e64 s0, v17, v34
	s_wait_alu 0xf1ff
	s_delay_alu instid0(VALU_DEP_1) | instskip(SKIP_2) | instid1(VALU_DEP_1)
	v_cndmask_b32_e64 v128, 0, v133, s0
	v_cmp_lt_i32_e64 s0, v84, v34
	s_wait_alu 0xf1ff
	v_cndmask_b32_e64 v119, 0, v119, s0
	v_cmp_lt_i32_e64 s0, v83, v34
	s_delay_alu instid0(VALU_DEP_2) | instskip(SKIP_1) | instid1(VALU_DEP_2)
	v_or_b32_e32 v132, v128, v119
	s_wait_alu 0xf1ff
	v_cndmask_b32_e64 v12, 0, v12, s0
	v_cmp_lt_i32_e64 s0, v82, v34
	s_wait_alu 0xf1ff
	s_delay_alu instid0(VALU_DEP_1) | instskip(SKIP_1) | instid1(VALU_DEP_2)
	v_cndmask_b32_e64 v0, 0, v0, s0
	v_cmp_lt_i32_e64 s0, v80, v34
	v_or_b32_e32 v128, v12, v0
	s_wait_alu 0xf1ff
	s_delay_alu instid0(VALU_DEP_2) | instskip(SKIP_2) | instid1(VALU_DEP_1)
	v_cndmask_b32_e64 v129, 0, v129, s0
	v_cmp_lt_i32_e64 s0, v71, v34
	s_wait_alu 0xf1ff
	v_cndmask_b32_e64 v117, 0, v117, s0
	v_cmp_lt_i32_e64 s0, v69, v34
	s_delay_alu instid0(VALU_DEP_2) | instskip(SKIP_1) | instid1(VALU_DEP_2)
	v_or_b32_e32 v131, v129, v117
	s_wait_alu 0xf1ff
	v_cndmask_b32_e64 v118, 0, v118, s0
	v_cmp_lt_i32_e64 s0, v67, v34
	s_wait_alu 0xf1ff
	s_delay_alu instid0(VALU_DEP_1) | instskip(NEXT) | instid1(VALU_DEP_1)
	v_cndmask_b32_e64 v11, 0, v11, s0
	v_or_b32_e32 v130, v118, v11
.LBB286_1467:                           ;   in Loop: Header=BB286_806 Depth=1
	s_wait_alu 0xfffe
	s_or_b32 exec_lo, exec_lo, s11
	;;#ASMSTART
	v_pk_mul_f16 v0, v81, v132;

	;;#ASMEND
	;;#ASMSTART
	v_pk_mul_f16 v11, v70, v128;

	;;#ASMEND
	;; [unrolled: 4-line block ×4, first 2 shown]
	;;#ASMSTART
	v_pk_add_f16 v0, v0, v11;

	;;#ASMEND
	;;#ASMSTART
	v_pk_add_f16 v0, v0, v12;

	;;#ASMEND
	;; [unrolled: 4-line block ×3, first 2 shown]
	v_dual_mov_b32 v128, 0 :: v_dual_and_b32 v11, 0xffff, v0
	v_lshrrev_b32_e32 v0, 16, v0
	;;#ASMSTART
	v_cvt_f32_f16 v117, v11;
	;;#ASMEND
	;;#ASMSTART
	v_cvt_f32_f16 v118, v0;
	;;#ASMEND
	flat_load_b64 v[11:12], v[9:10] offset:2560
	flat_load_b32 v119, v[26:27]
	s_mov_b32 s11, exec_lo
	s_wait_loadcnt_dscnt 0x101
	v_dual_mov_b32 v129, 0 :: v_dual_and_b32 v0, 0xff, v11
	s_delay_alu instid0(VALU_DEP_1)
	v_cmpx_ne_u16_e32 0, v0
	s_cbranch_execz .LBB286_1475
; %bb.1468:                             ;   in Loop: Header=BB286_806 Depth=1
	v_mov_b32_e32 v129, 0x8000
	s_mov_b32 s14, exec_lo
	v_cmpx_ne_u16_e32 0x80, v0
	s_cbranch_execz .LBB286_1474
; %bb.1469:                             ;   in Loop: Header=BB286_806 Depth=1
	v_and_b32_e32 v130, 0x7f, v11
	v_mov_b32_e32 v129, 0x7c01
	s_mov_b32 s15, exec_lo
	s_delay_alu instid0(VALU_DEP_2)
	v_cmpx_ne_u32_e32 0x7f, v130
	s_cbranch_execz .LBB286_1473
; %bb.1470:                             ;   in Loop: Header=BB286_806 Depth=1
	v_and_b32_e32 v0, 7, v11
	v_lshrrev_b32_e32 v129, 3, v130
	s_mov_b32 s16, exec_lo
	v_cmpx_gt_u32_e32 8, v130
; %bb.1471:                             ;   in Loop: Header=BB286_806 Depth=1
	s_delay_alu instid0(VALU_DEP_3) | instskip(NEXT) | instid1(VALU_DEP_1)
	v_clz_i32_u32_e32 v0, v0
	v_min_u32_e32 v0, 32, v0
	s_delay_alu instid0(VALU_DEP_1) | instskip(NEXT) | instid1(VALU_DEP_1)
	v_subrev_nc_u32_e32 v129, 28, v0
	v_lshlrev_b64_e32 v[130:131], v129, v[11:12]
	v_sub_nc_u32_e32 v129, 29, v0
	s_delay_alu instid0(VALU_DEP_2)
	v_and_b32_e32 v0, 7, v130
; %bb.1472:                             ;   in Loop: Header=BB286_806 Depth=1
	s_wait_alu 0xfffe
	s_or_b32 exec_lo, exec_lo, s16
	v_lshlrev_b32_e32 v130, 8, v11
	v_lshl_add_u32 v129, v129, 10, 0x2000
	v_lshlrev_b32_e32 v0, 7, v0
	s_delay_alu instid0(VALU_DEP_3) | instskip(NEXT) | instid1(VALU_DEP_3)
	v_and_b32_e32 v130, 0x8000, v130
	v_and_b32_e32 v129, 0xfc00, v129
	s_delay_alu instid0(VALU_DEP_1)
	v_or3_b32 v129, v130, v129, v0
.LBB286_1473:                           ;   in Loop: Header=BB286_806 Depth=1
	s_wait_alu 0xfffe
	s_or_b32 exec_lo, exec_lo, s15
.LBB286_1474:                           ;   in Loop: Header=BB286_806 Depth=1
	s_wait_alu 0xfffe
	s_or_b32 exec_lo, exec_lo, s14
.LBB286_1475:                           ;   in Loop: Header=BB286_806 Depth=1
	s_wait_alu 0xfffe
	s_or_b32 exec_lo, exec_lo, s11
	v_lshrrev_b16 v0, 8, v11
	s_mov_b32 s11, exec_lo
	s_delay_alu instid0(VALU_DEP_1)
	v_cmpx_ne_u16_e32 0, v0
	s_cbranch_execz .LBB286_1483
; %bb.1476:                             ;   in Loop: Header=BB286_806 Depth=1
	v_bfrev_b32_e32 v128, 1
	s_mov_b32 s14, exec_lo
	v_cmpx_ne_u16_e32 0x80, v0
	s_cbranch_execz .LBB286_1482
; %bb.1477:                             ;   in Loop: Header=BB286_806 Depth=1
	v_and_b32_e32 v130, 0xffff, v0
	v_mov_b32_e32 v128, 0x7c010000
	s_mov_b32 s15, exec_lo
	s_delay_alu instid0(VALU_DEP_2) | instskip(NEXT) | instid1(VALU_DEP_1)
	v_and_b32_e32 v132, 0x7f, v130
	v_cmpx_ne_u32_e32 0x7f, v132
	s_cbranch_execz .LBB286_1481
; %bb.1478:                             ;   in Loop: Header=BB286_806 Depth=1
	v_and_b32_e32 v128, 7, v130
	v_lshrrev_b32_e32 v131, 3, v132
	s_mov_b32 s16, exec_lo
	v_cmpx_gt_u32_e32 8, v132
; %bb.1479:                             ;   in Loop: Header=BB286_806 Depth=1
	s_delay_alu instid0(VALU_DEP_3) | instskip(NEXT) | instid1(VALU_DEP_1)
	v_clz_i32_u32_e32 v128, v128
	v_min_u32_e32 v128, 32, v128
	s_delay_alu instid0(VALU_DEP_1) | instskip(NEXT) | instid1(VALU_DEP_1)
	v_subrev_nc_u32_e32 v131, 28, v128
	v_lshlrev_b64_e32 v[132:133], v131, v[0:1]
	v_sub_nc_u32_e32 v131, 29, v128
	s_delay_alu instid0(VALU_DEP_2)
	v_and_b32_e32 v128, 7, v132
; %bb.1480:                             ;   in Loop: Header=BB286_806 Depth=1
	s_wait_alu 0xfffe
	s_or_b32 exec_lo, exec_lo, s16
	v_lshlrev_b32_e32 v0, 8, v130
	v_lshl_add_u32 v130, v131, 10, 0x2000
	v_lshlrev_b32_e32 v128, 23, v128
	s_delay_alu instid0(VALU_DEP_2) | instskip(NEXT) | instid1(VALU_DEP_1)
	v_and_or_b32 v0, 0x8000, v0, v130
	v_lshl_or_b32 v128, v0, 16, v128
.LBB286_1481:                           ;   in Loop: Header=BB286_806 Depth=1
	s_wait_alu 0xfffe
	s_or_b32 exec_lo, exec_lo, s15
.LBB286_1482:                           ;   in Loop: Header=BB286_806 Depth=1
	s_wait_alu 0xfffe
	s_or_b32 exec_lo, exec_lo, s14
.LBB286_1483:                           ;   in Loop: Header=BB286_806 Depth=1
	s_wait_alu 0xfffe
	s_or_b32 exec_lo, exec_lo, s11
	v_lshrrev_b32_e32 v0, 16, v11
	v_mov_b32_e32 v130, 0
	s_mov_b32 s11, exec_lo
	s_delay_alu instid0(VALU_DEP_2) | instskip(NEXT) | instid1(VALU_DEP_1)
	v_dual_mov_b32 v131, 0 :: v_dual_and_b32 v132, 0xff, v0
	v_cmpx_ne_u16_e64 0, v132
	s_cbranch_execz .LBB286_1491
; %bb.1484:                             ;   in Loop: Header=BB286_806 Depth=1
	v_mov_b32_e32 v131, 0x8000
	s_mov_b32 s14, exec_lo
	v_cmpx_ne_u16_e64 0x80, v132
	s_cbranch_execz .LBB286_1490
; %bb.1485:                             ;   in Loop: Header=BB286_806 Depth=1
	v_bfe_u32 v133, v11, 16, 7
	v_mov_b32_e32 v131, 0x7c01
	s_mov_b32 s15, exec_lo
	s_delay_alu instid0(VALU_DEP_2)
	v_cmpx_ne_u32_e32 0x7f, v133
	s_cbranch_execz .LBB286_1489
; %bb.1486:                             ;   in Loop: Header=BB286_806 Depth=1
	v_and_b32_e32 v131, 7, v0
	v_lshrrev_b32_e32 v132, 3, v133
	s_mov_b32 s16, exec_lo
	v_cmpx_gt_u32_e32 8, v133
; %bb.1487:                             ;   in Loop: Header=BB286_806 Depth=1
	s_delay_alu instid0(VALU_DEP_3) | instskip(NEXT) | instid1(VALU_DEP_1)
	v_clz_i32_u32_e32 v131, v131
	v_min_u32_e32 v133, 32, v131
	s_delay_alu instid0(VALU_DEP_1) | instskip(NEXT) | instid1(VALU_DEP_1)
	v_subrev_nc_u32_e32 v131, 28, v133
	v_lshlrev_b64_e32 v[131:132], v131, v[0:1]
	v_sub_nc_u32_e32 v132, 29, v133
	s_delay_alu instid0(VALU_DEP_2)
	v_and_b32_e32 v131, 7, v131
; %bb.1488:                             ;   in Loop: Header=BB286_806 Depth=1
	s_wait_alu 0xfffe
	s_or_b32 exec_lo, exec_lo, s16
	v_lshlrev_b32_e32 v0, 8, v0
	v_lshl_add_u32 v132, v132, 10, 0x2000
	v_lshlrev_b32_e32 v131, 7, v131
	s_delay_alu instid0(VALU_DEP_3) | instskip(NEXT) | instid1(VALU_DEP_3)
	v_and_b32_e32 v0, 0x8000, v0
	v_and_b32_e32 v132, 0xfc00, v132
	s_delay_alu instid0(VALU_DEP_1)
	v_or3_b32 v131, v0, v132, v131
.LBB286_1489:                           ;   in Loop: Header=BB286_806 Depth=1
	s_wait_alu 0xfffe
	s_or_b32 exec_lo, exec_lo, s15
.LBB286_1490:                           ;   in Loop: Header=BB286_806 Depth=1
	s_wait_alu 0xfffe
	s_or_b32 exec_lo, exec_lo, s14
.LBB286_1491:                           ;   in Loop: Header=BB286_806 Depth=1
	s_wait_alu 0xfffe
	s_or_b32 exec_lo, exec_lo, s11
	s_delay_alu instid0(SALU_CYCLE_1)
	s_mov_b32 s11, exec_lo
	v_cmpx_lt_u32_e32 0xffffff, v11
	s_cbranch_execz .LBB286_1499
; %bb.1492:                             ;   in Loop: Header=BB286_806 Depth=1
	v_lshrrev_b32_e32 v0, 24, v11
	v_bfrev_b32_e32 v130, 1
	s_mov_b32 s14, exec_lo
	s_delay_alu instid0(VALU_DEP_2)
	v_cmpx_ne_u32_e32 0x80, v0
	s_cbranch_execz .LBB286_1498
; %bb.1493:                             ;   in Loop: Header=BB286_806 Depth=1
	v_and_b32_e32 v133, 0x7f, v0
	v_mov_b32_e32 v130, 0x7c010000
	s_mov_b32 s15, exec_lo
	s_delay_alu instid0(VALU_DEP_2)
	v_cmpx_ne_u32_e32 0x7f, v133
	s_cbranch_execz .LBB286_1497
; %bb.1494:                             ;   in Loop: Header=BB286_806 Depth=1
	v_and_b32_e32 v130, 7, v0
	v_lshrrev_b32_e32 v132, 3, v133
	s_mov_b32 s16, exec_lo
	v_cmpx_gt_u32_e32 8, v133
; %bb.1495:                             ;   in Loop: Header=BB286_806 Depth=1
	s_delay_alu instid0(VALU_DEP_3) | instskip(NEXT) | instid1(VALU_DEP_1)
	v_clz_i32_u32_e32 v130, v130
	v_min_u32_e32 v130, 32, v130
	s_delay_alu instid0(VALU_DEP_1) | instskip(NEXT) | instid1(VALU_DEP_1)
	v_subrev_nc_u32_e32 v132, 28, v130
	v_lshlrev_b64_e32 v[133:134], v132, v[0:1]
	v_sub_nc_u32_e32 v132, 29, v130
	s_delay_alu instid0(VALU_DEP_2)
	v_and_b32_e32 v130, 7, v133
; %bb.1496:                             ;   in Loop: Header=BB286_806 Depth=1
	s_wait_alu 0xfffe
	s_or_b32 exec_lo, exec_lo, s16
	v_lshlrev_b32_e32 v0, 8, v0
	v_lshl_add_u32 v132, v132, 10, 0x2000
	v_lshlrev_b32_e32 v130, 23, v130
	s_delay_alu instid0(VALU_DEP_2) | instskip(NEXT) | instid1(VALU_DEP_1)
	v_and_or_b32 v0, 0x8000, v0, v132
	v_lshl_or_b32 v130, v0, 16, v130
.LBB286_1497:                           ;   in Loop: Header=BB286_806 Depth=1
	s_wait_alu 0xfffe
	s_or_b32 exec_lo, exec_lo, s15
.LBB286_1498:                           ;   in Loop: Header=BB286_806 Depth=1
	s_wait_alu 0xfffe
	s_or_b32 exec_lo, exec_lo, s14
.LBB286_1499:                           ;   in Loop: Header=BB286_806 Depth=1
	s_wait_alu 0xfffe
	s_or_b32 exec_lo, exec_lo, s11
	v_dual_mov_b32 v133, 0 :: v_dual_and_b32 v134, 0xff, v12
	v_mov_b32_e32 v0, v12
	v_mov_b32_e32 v132, 0
	s_mov_b32 s11, exec_lo
	s_delay_alu instid0(VALU_DEP_3)
	v_cmpx_ne_u16_e64 0, v134
	s_cbranch_execz .LBB286_1507
; %bb.1500:                             ;   in Loop: Header=BB286_806 Depth=1
	v_mov_b32_e32 v133, 0x8000
	s_mov_b32 s14, exec_lo
	v_cmpx_ne_u16_e64 0x80, v134
	s_cbranch_execz .LBB286_1506
; %bb.1501:                             ;   in Loop: Header=BB286_806 Depth=1
	v_and_b32_e32 v135, 0x7f, v12
	v_mov_b32_e32 v133, 0x7c01
	s_mov_b32 s15, exec_lo
	s_delay_alu instid0(VALU_DEP_2)
	v_cmpx_ne_u32_e32 0x7f, v135
	s_cbranch_execz .LBB286_1505
; %bb.1502:                             ;   in Loop: Header=BB286_806 Depth=1
	v_and_b32_e32 v133, 7, v12
	v_lshrrev_b32_e32 v134, 3, v135
	s_mov_b32 s16, exec_lo
	v_cmpx_gt_u32_e32 8, v135
; %bb.1503:                             ;   in Loop: Header=BB286_806 Depth=1
	s_delay_alu instid0(VALU_DEP_3) | instskip(NEXT) | instid1(VALU_DEP_1)
	v_clz_i32_u32_e32 v133, v133
	v_min_u32_e32 v135, 32, v133
	s_delay_alu instid0(VALU_DEP_1) | instskip(NEXT) | instid1(VALU_DEP_1)
	v_subrev_nc_u32_e32 v133, 28, v135
	v_lshlrev_b64_e32 v[133:134], v133, v[0:1]
	v_sub_nc_u32_e32 v134, 29, v135
	s_delay_alu instid0(VALU_DEP_2)
	v_and_b32_e32 v133, 7, v133
; %bb.1504:                             ;   in Loop: Header=BB286_806 Depth=1
	s_wait_alu 0xfffe
	s_or_b32 exec_lo, exec_lo, s16
	v_lshlrev_b32_e32 v135, 8, v12
	v_lshl_add_u32 v134, v134, 10, 0x2000
	v_lshlrev_b32_e32 v133, 7, v133
	s_delay_alu instid0(VALU_DEP_3) | instskip(NEXT) | instid1(VALU_DEP_3)
	v_and_b32_e32 v135, 0x8000, v135
	v_and_b32_e32 v134, 0xfc00, v134
	s_delay_alu instid0(VALU_DEP_1)
	v_or3_b32 v133, v135, v134, v133
.LBB286_1505:                           ;   in Loop: Header=BB286_806 Depth=1
	s_wait_alu 0xfffe
	s_or_b32 exec_lo, exec_lo, s15
.LBB286_1506:                           ;   in Loop: Header=BB286_806 Depth=1
	s_wait_alu 0xfffe
	s_or_b32 exec_lo, exec_lo, s14
.LBB286_1507:                           ;   in Loop: Header=BB286_806 Depth=1
	s_wait_alu 0xfffe
	s_or_b32 exec_lo, exec_lo, s11
	v_lshrrev_b16 v0, 8, v0
	v_mov_b32_e32 v134, 0
	s_mov_b32 s11, exec_lo
	s_delay_alu instid0(VALU_DEP_2)
	v_cmpx_ne_u16_e32 0, v0
	s_cbranch_execz .LBB286_1515
; %bb.1508:                             ;   in Loop: Header=BB286_806 Depth=1
	v_bfrev_b32_e32 v134, 1
	s_mov_b32 s14, exec_lo
	v_cmpx_ne_u16_e32 0x80, v0
	s_cbranch_execz .LBB286_1514
; %bb.1509:                             ;   in Loop: Header=BB286_806 Depth=1
	v_and_b32_e32 v135, 0xffff, v0
	v_mov_b32_e32 v134, 0x7c010000
	s_mov_b32 s15, exec_lo
	s_delay_alu instid0(VALU_DEP_2) | instskip(NEXT) | instid1(VALU_DEP_1)
	v_and_b32_e32 v145, 0x7f, v135
	v_cmpx_ne_u32_e32 0x7f, v145
	s_cbranch_execz .LBB286_1513
; %bb.1510:                             ;   in Loop: Header=BB286_806 Depth=1
	v_and_b32_e32 v134, 7, v135
	v_lshrrev_b32_e32 v144, 3, v145
	s_mov_b32 s16, exec_lo
	v_cmpx_gt_u32_e32 8, v145
; %bb.1511:                             ;   in Loop: Header=BB286_806 Depth=1
	s_delay_alu instid0(VALU_DEP_3) | instskip(NEXT) | instid1(VALU_DEP_1)
	v_clz_i32_u32_e32 v134, v134
	v_min_u32_e32 v134, 32, v134
	s_delay_alu instid0(VALU_DEP_1) | instskip(NEXT) | instid1(VALU_DEP_1)
	v_subrev_nc_u32_e32 v144, 28, v134
	v_lshlrev_b64_e32 v[145:146], v144, v[0:1]
	v_sub_nc_u32_e32 v144, 29, v134
	s_delay_alu instid0(VALU_DEP_2)
	v_and_b32_e32 v134, 7, v145
; %bb.1512:                             ;   in Loop: Header=BB286_806 Depth=1
	s_wait_alu 0xfffe
	s_or_b32 exec_lo, exec_lo, s16
	v_lshlrev_b32_e32 v0, 8, v135
	v_lshl_add_u32 v135, v144, 10, 0x2000
	v_lshlrev_b32_e32 v134, 23, v134
	s_delay_alu instid0(VALU_DEP_2) | instskip(NEXT) | instid1(VALU_DEP_1)
	v_and_or_b32 v0, 0x8000, v0, v135
	v_lshl_or_b32 v134, v0, 16, v134
.LBB286_1513:                           ;   in Loop: Header=BB286_806 Depth=1
	s_wait_alu 0xfffe
	s_or_b32 exec_lo, exec_lo, s15
.LBB286_1514:                           ;   in Loop: Header=BB286_806 Depth=1
	s_wait_alu 0xfffe
	s_or_b32 exec_lo, exec_lo, s14
.LBB286_1515:                           ;   in Loop: Header=BB286_806 Depth=1
	s_wait_alu 0xfffe
	s_or_b32 exec_lo, exec_lo, s11
	v_lshrrev_b32_e32 v0, 16, v12
	s_mov_b32 s11, exec_lo
	s_delay_alu instid0(VALU_DEP_1) | instskip(NEXT) | instid1(VALU_DEP_1)
	v_and_b32_e32 v135, 0xff, v0
	v_cmpx_ne_u16_e64 0, v135
	s_cbranch_execz .LBB286_1523
; %bb.1516:                             ;   in Loop: Header=BB286_806 Depth=1
	v_mov_b32_e32 v132, 0x8000
	s_mov_b32 s14, exec_lo
	v_cmpx_ne_u16_e64 0x80, v135
	s_cbranch_execz .LBB286_1522
; %bb.1517:                             ;   in Loop: Header=BB286_806 Depth=1
	v_bfe_u32 v144, v12, 16, 7
	v_mov_b32_e32 v132, 0x7c01
	s_mov_b32 s15, exec_lo
	s_delay_alu instid0(VALU_DEP_2)
	v_cmpx_ne_u32_e32 0x7f, v144
	s_cbranch_execz .LBB286_1521
; %bb.1518:                             ;   in Loop: Header=BB286_806 Depth=1
	v_and_b32_e32 v132, 7, v0
	v_lshrrev_b32_e32 v135, 3, v144
	s_mov_b32 s16, exec_lo
	v_cmpx_gt_u32_e32 8, v144
; %bb.1519:                             ;   in Loop: Header=BB286_806 Depth=1
	s_delay_alu instid0(VALU_DEP_3) | instskip(NEXT) | instid1(VALU_DEP_1)
	v_clz_i32_u32_e32 v132, v132
	v_min_u32_e32 v132, 32, v132
	s_delay_alu instid0(VALU_DEP_1) | instskip(NEXT) | instid1(VALU_DEP_1)
	v_subrev_nc_u32_e32 v135, 28, v132
	v_lshlrev_b64_e32 v[144:145], v135, v[0:1]
	v_sub_nc_u32_e32 v135, 29, v132
	s_delay_alu instid0(VALU_DEP_2)
	v_and_b32_e32 v132, 7, v144
; %bb.1520:                             ;   in Loop: Header=BB286_806 Depth=1
	s_wait_alu 0xfffe
	s_or_b32 exec_lo, exec_lo, s16
	v_lshlrev_b32_e32 v0, 8, v0
	v_lshl_add_u32 v135, v135, 10, 0x2000
	v_lshlrev_b32_e32 v132, 7, v132
	s_delay_alu instid0(VALU_DEP_3) | instskip(NEXT) | instid1(VALU_DEP_3)
	v_and_b32_e32 v0, 0x8000, v0
	v_and_b32_e32 v135, 0xfc00, v135
	s_delay_alu instid0(VALU_DEP_1)
	v_or3_b32 v132, v0, v135, v132
.LBB286_1521:                           ;   in Loop: Header=BB286_806 Depth=1
	s_wait_alu 0xfffe
	s_or_b32 exec_lo, exec_lo, s15
.LBB286_1522:                           ;   in Loop: Header=BB286_806 Depth=1
	s_wait_alu 0xfffe
	s_or_b32 exec_lo, exec_lo, s14
.LBB286_1523:                           ;   in Loop: Header=BB286_806 Depth=1
	s_wait_alu 0xfffe
	s_or_b32 exec_lo, exec_lo, s11
	v_cmp_lt_u64_e64 s0, s[8:9], v[11:12]
	v_mov_b32_e32 v11, 0
	s_and_saveexec_b32 s11, s0
	s_cbranch_execz .LBB286_1531
; %bb.1524:                             ;   in Loop: Header=BB286_806 Depth=1
	v_lshrrev_b32_e32 v0, 24, v12
	v_bfrev_b32_e32 v11, 1
	s_mov_b32 s14, exec_lo
	s_delay_alu instid0(VALU_DEP_2)
	v_cmpx_ne_u32_e32 0x80, v0
	s_cbranch_execz .LBB286_1530
; %bb.1525:                             ;   in Loop: Header=BB286_806 Depth=1
	v_and_b32_e32 v135, 0x7f, v0
	v_mov_b32_e32 v11, 0x7c010000
	s_mov_b32 s15, exec_lo
	s_delay_alu instid0(VALU_DEP_2)
	v_cmpx_ne_u32_e32 0x7f, v135
	s_cbranch_execz .LBB286_1529
; %bb.1526:                             ;   in Loop: Header=BB286_806 Depth=1
	v_and_b32_e32 v11, 7, v0
	v_lshrrev_b32_e32 v12, 3, v135
	s_mov_b32 s16, exec_lo
	v_cmpx_gt_u32_e32 8, v135
; %bb.1527:                             ;   in Loop: Header=BB286_806 Depth=1
	s_delay_alu instid0(VALU_DEP_3) | instskip(NEXT) | instid1(VALU_DEP_1)
	v_clz_i32_u32_e32 v11, v11
	v_min_u32_e32 v135, 32, v11
	s_delay_alu instid0(VALU_DEP_1) | instskip(NEXT) | instid1(VALU_DEP_1)
	v_subrev_nc_u32_e32 v11, 28, v135
	v_lshlrev_b64_e32 v[11:12], v11, v[0:1]
	v_sub_nc_u32_e32 v12, 29, v135
	s_delay_alu instid0(VALU_DEP_2)
	v_and_b32_e32 v11, 7, v11
; %bb.1528:                             ;   in Loop: Header=BB286_806 Depth=1
	s_wait_alu 0xfffe
	s_or_b32 exec_lo, exec_lo, s16
	v_lshlrev_b32_e32 v0, 8, v0
	v_lshl_add_u32 v12, v12, 10, 0x2000
	v_lshlrev_b32_e32 v11, 23, v11
	s_delay_alu instid0(VALU_DEP_2) | instskip(NEXT) | instid1(VALU_DEP_1)
	v_and_or_b32 v0, 0x8000, v0, v12
	v_lshl_or_b32 v11, v0, 16, v11
.LBB286_1529:                           ;   in Loop: Header=BB286_806 Depth=1
	s_wait_alu 0xfffe
	s_or_b32 exec_lo, exec_lo, s15
.LBB286_1530:                           ;   in Loop: Header=BB286_806 Depth=1
	s_wait_alu 0xfffe
	s_or_b32 exec_lo, exec_lo, s14
.LBB286_1531:                           ;   in Loop: Header=BB286_806 Depth=1
	s_wait_alu 0xfffe
	s_or_b32 exec_lo, exec_lo, s11
	v_or_b32_e32 v0, v130, v131
	s_wait_loadcnt_dscnt 0x0
	v_fma_mixlo_f16 v12, v119, v130, 0 op_sel:[0,1,0] op_sel_hi:[0,1,0]
	v_or_b32_e32 v130, v128, v129
	v_fma_mixlo_f16 v128, v119, v128, 0 op_sel:[0,1,0] op_sel_hi:[0,1,0]
	v_or_b32_e32 v131, v134, v133
	v_or_b32_e32 v132, v11, v132
	v_fma_mixlo_f16 v133, v119, v0, 0 op_sel_hi:[0,1,0]
	v_fma_mixlo_f16 v11, v119, v11, 0 op_sel:[0,1,0] op_sel_hi:[0,1,0]
	v_lshlrev_b32_e32 v129, 16, v128
	v_fma_mixlo_f16 v128, v119, v130, 0 op_sel_hi:[0,1,0]
	v_fma_mixlo_f16 v130, v119, v134, 0 op_sel:[0,1,0] op_sel_hi:[0,1,0]
	v_fma_mixlo_f16 v131, v119, v131, 0 op_sel_hi:[0,1,0]
	v_fma_mixlo_f16 v132, v119, v132, 0 op_sel_hi:[0,1,0]
	v_lshlrev_b32_e32 v0, 16, v12
	v_and_b32_e32 v12, 0xffff, v133
	v_and_b32_e32 v135, 0xffff, v128
	v_lshlrev_b32_e32 v119, 16, v130
	v_and_b32_e32 v131, 0xffff, v131
	v_lshlrev_b32_e32 v11, 16, v11
	v_and_b32_e32 v128, 0xffff, v132
	v_or_b32_e32 v130, v0, v12
	v_or_b32_e32 v134, v129, v135
	;; [unrolled: 1-line block ×3, first 2 shown]
	s_delay_alu instid0(VALU_DEP_4)
	v_or_b32_e32 v132, v11, v128
	s_and_saveexec_b32 s11, vcc_lo
	s_cbranch_execz .LBB286_1533
; %bb.1532:                             ;   in Loop: Header=BB286_806 Depth=1
	v_cmp_lt_i32_e64 s0, v17, v34
	s_wait_alu 0xf1ff
	s_delay_alu instid0(VALU_DEP_1) | instskip(SKIP_2) | instid1(VALU_DEP_1)
	v_cndmask_b32_e64 v130, 0, v135, s0
	v_cmp_lt_i32_e64 s0, v84, v34
	s_wait_alu 0xf1ff
	v_cndmask_b32_e64 v129, 0, v129, s0
	v_cmp_lt_i32_e64 s0, v83, v34
	s_delay_alu instid0(VALU_DEP_2) | instskip(SKIP_1) | instid1(VALU_DEP_2)
	v_or_b32_e32 v134, v130, v129
	s_wait_alu 0xf1ff
	v_cndmask_b32_e64 v12, 0, v12, s0
	v_cmp_lt_i32_e64 s0, v82, v34
	s_wait_alu 0xf1ff
	s_delay_alu instid0(VALU_DEP_1) | instskip(SKIP_1) | instid1(VALU_DEP_2)
	v_cndmask_b32_e64 v0, 0, v0, s0
	v_cmp_lt_i32_e64 s0, v80, v34
	v_or_b32_e32 v130, v12, v0
	s_wait_alu 0xf1ff
	s_delay_alu instid0(VALU_DEP_2) | instskip(SKIP_2) | instid1(VALU_DEP_1)
	v_cndmask_b32_e64 v131, 0, v131, s0
	v_cmp_lt_i32_e64 s0, v71, v34
	s_wait_alu 0xf1ff
	v_cndmask_b32_e64 v119, 0, v119, s0
	v_cmp_lt_i32_e64 s0, v69, v34
	s_delay_alu instid0(VALU_DEP_2) | instskip(SKIP_1) | instid1(VALU_DEP_2)
	v_or_b32_e32 v133, v131, v119
	s_wait_alu 0xf1ff
	v_cndmask_b32_e64 v128, 0, v128, s0
	v_cmp_lt_i32_e64 s0, v67, v34
	s_wait_alu 0xf1ff
	s_delay_alu instid0(VALU_DEP_1) | instskip(NEXT) | instid1(VALU_DEP_1)
	v_cndmask_b32_e64 v11, 0, v11, s0
	v_or_b32_e32 v132, v128, v11
.LBB286_1533:                           ;   in Loop: Header=BB286_806 Depth=1
	s_wait_alu 0xfffe
	s_or_b32 exec_lo, exec_lo, s11
	;;#ASMSTART
	v_pk_mul_f16 v0, v81, v134;

	;;#ASMEND
	;;#ASMSTART
	v_pk_mul_f16 v11, v70, v130;

	;;#ASMEND
	;;#ASMSTART
	v_pk_mul_f16 v12, v68, v133;

	;;#ASMEND
	;;#ASMSTART
	v_pk_mul_f16 v119, v54, v132;

	;;#ASMEND
	;;#ASMSTART
	v_pk_add_f16 v0, v0, v11;

	;;#ASMEND
	;;#ASMSTART
	v_pk_add_f16 v0, v0, v12;

	;;#ASMEND
	;; [unrolled: 4-line block ×3, first 2 shown]
	v_dual_mov_b32 v128, 0 :: v_dual_and_b32 v11, 0xffff, v0
	v_lshrrev_b32_e32 v0, 16, v0
	;;#ASMSTART
	v_cvt_f32_f16 v11, v11;
	;;#ASMEND
	;;#ASMSTART
	v_cvt_f32_f16 v12, v0;
	;;#ASMEND
	flat_load_b64 v[9:10], v[9:10] offset:2816
	flat_load_b32 v119, v[26:27]
	s_mov_b32 s11, exec_lo
	s_wait_loadcnt_dscnt 0x101
	v_dual_mov_b32 v129, 0 :: v_dual_and_b32 v0, 0xff, v9
	s_delay_alu instid0(VALU_DEP_1)
	v_cmpx_ne_u16_e32 0, v0
	s_cbranch_execz .LBB286_1541
; %bb.1534:                             ;   in Loop: Header=BB286_806 Depth=1
	v_mov_b32_e32 v129, 0x8000
	s_mov_b32 s14, exec_lo
	v_cmpx_ne_u16_e32 0x80, v0
	s_cbranch_execz .LBB286_1540
; %bb.1535:                             ;   in Loop: Header=BB286_806 Depth=1
	v_and_b32_e32 v130, 0x7f, v9
	v_mov_b32_e32 v129, 0x7c01
	s_mov_b32 s15, exec_lo
	s_delay_alu instid0(VALU_DEP_2)
	v_cmpx_ne_u32_e32 0x7f, v130
	s_cbranch_execz .LBB286_1539
; %bb.1536:                             ;   in Loop: Header=BB286_806 Depth=1
	v_and_b32_e32 v0, 7, v9
	v_lshrrev_b32_e32 v129, 3, v130
	s_mov_b32 s16, exec_lo
	v_cmpx_gt_u32_e32 8, v130
; %bb.1537:                             ;   in Loop: Header=BB286_806 Depth=1
	s_delay_alu instid0(VALU_DEP_3) | instskip(NEXT) | instid1(VALU_DEP_1)
	v_clz_i32_u32_e32 v0, v0
	v_min_u32_e32 v0, 32, v0
	s_delay_alu instid0(VALU_DEP_1) | instskip(NEXT) | instid1(VALU_DEP_1)
	v_subrev_nc_u32_e32 v129, 28, v0
	v_lshlrev_b64_e32 v[130:131], v129, v[9:10]
	v_sub_nc_u32_e32 v129, 29, v0
	s_delay_alu instid0(VALU_DEP_2)
	v_and_b32_e32 v0, 7, v130
; %bb.1538:                             ;   in Loop: Header=BB286_806 Depth=1
	s_wait_alu 0xfffe
	s_or_b32 exec_lo, exec_lo, s16
	v_lshlrev_b32_e32 v130, 8, v9
	v_lshl_add_u32 v129, v129, 10, 0x2000
	v_lshlrev_b32_e32 v0, 7, v0
	s_delay_alu instid0(VALU_DEP_3) | instskip(NEXT) | instid1(VALU_DEP_3)
	v_and_b32_e32 v130, 0x8000, v130
	v_and_b32_e32 v129, 0xfc00, v129
	s_delay_alu instid0(VALU_DEP_1)
	v_or3_b32 v129, v130, v129, v0
.LBB286_1539:                           ;   in Loop: Header=BB286_806 Depth=1
	s_wait_alu 0xfffe
	s_or_b32 exec_lo, exec_lo, s15
.LBB286_1540:                           ;   in Loop: Header=BB286_806 Depth=1
	s_wait_alu 0xfffe
	s_or_b32 exec_lo, exec_lo, s14
.LBB286_1541:                           ;   in Loop: Header=BB286_806 Depth=1
	s_wait_alu 0xfffe
	s_or_b32 exec_lo, exec_lo, s11
	v_lshrrev_b16 v0, 8, v9
	s_mov_b32 s11, exec_lo
	s_delay_alu instid0(VALU_DEP_1)
	v_cmpx_ne_u16_e32 0, v0
	s_cbranch_execz .LBB286_1549
; %bb.1542:                             ;   in Loop: Header=BB286_806 Depth=1
	v_bfrev_b32_e32 v128, 1
	s_mov_b32 s14, exec_lo
	v_cmpx_ne_u16_e32 0x80, v0
	s_cbranch_execz .LBB286_1548
; %bb.1543:                             ;   in Loop: Header=BB286_806 Depth=1
	v_and_b32_e32 v130, 0xffff, v0
	v_mov_b32_e32 v128, 0x7c010000
	s_mov_b32 s15, exec_lo
	s_delay_alu instid0(VALU_DEP_2) | instskip(NEXT) | instid1(VALU_DEP_1)
	v_and_b32_e32 v132, 0x7f, v130
	v_cmpx_ne_u32_e32 0x7f, v132
	s_cbranch_execz .LBB286_1547
; %bb.1544:                             ;   in Loop: Header=BB286_806 Depth=1
	v_and_b32_e32 v128, 7, v130
	v_lshrrev_b32_e32 v131, 3, v132
	s_mov_b32 s16, exec_lo
	v_cmpx_gt_u32_e32 8, v132
; %bb.1545:                             ;   in Loop: Header=BB286_806 Depth=1
	s_delay_alu instid0(VALU_DEP_3) | instskip(NEXT) | instid1(VALU_DEP_1)
	v_clz_i32_u32_e32 v128, v128
	v_min_u32_e32 v128, 32, v128
	s_delay_alu instid0(VALU_DEP_1) | instskip(NEXT) | instid1(VALU_DEP_1)
	v_subrev_nc_u32_e32 v131, 28, v128
	v_lshlrev_b64_e32 v[132:133], v131, v[0:1]
	v_sub_nc_u32_e32 v131, 29, v128
	s_delay_alu instid0(VALU_DEP_2)
	v_and_b32_e32 v128, 7, v132
; %bb.1546:                             ;   in Loop: Header=BB286_806 Depth=1
	s_wait_alu 0xfffe
	s_or_b32 exec_lo, exec_lo, s16
	v_lshlrev_b32_e32 v0, 8, v130
	v_lshl_add_u32 v130, v131, 10, 0x2000
	v_lshlrev_b32_e32 v128, 23, v128
	s_delay_alu instid0(VALU_DEP_2) | instskip(NEXT) | instid1(VALU_DEP_1)
	v_and_or_b32 v0, 0x8000, v0, v130
	v_lshl_or_b32 v128, v0, 16, v128
.LBB286_1547:                           ;   in Loop: Header=BB286_806 Depth=1
	s_wait_alu 0xfffe
	s_or_b32 exec_lo, exec_lo, s15
.LBB286_1548:                           ;   in Loop: Header=BB286_806 Depth=1
	s_wait_alu 0xfffe
	s_or_b32 exec_lo, exec_lo, s14
.LBB286_1549:                           ;   in Loop: Header=BB286_806 Depth=1
	s_wait_alu 0xfffe
	s_or_b32 exec_lo, exec_lo, s11
	v_lshrrev_b32_e32 v0, 16, v9
	v_mov_b32_e32 v130, 0
	s_mov_b32 s11, exec_lo
	s_delay_alu instid0(VALU_DEP_2) | instskip(NEXT) | instid1(VALU_DEP_1)
	v_dual_mov_b32 v131, 0 :: v_dual_and_b32 v132, 0xff, v0
	v_cmpx_ne_u16_e64 0, v132
	s_cbranch_execz .LBB286_1557
; %bb.1550:                             ;   in Loop: Header=BB286_806 Depth=1
	v_mov_b32_e32 v131, 0x8000
	s_mov_b32 s14, exec_lo
	v_cmpx_ne_u16_e64 0x80, v132
	s_cbranch_execz .LBB286_1556
; %bb.1551:                             ;   in Loop: Header=BB286_806 Depth=1
	v_bfe_u32 v133, v9, 16, 7
	v_mov_b32_e32 v131, 0x7c01
	s_mov_b32 s15, exec_lo
	s_delay_alu instid0(VALU_DEP_2)
	v_cmpx_ne_u32_e32 0x7f, v133
	s_cbranch_execz .LBB286_1555
; %bb.1552:                             ;   in Loop: Header=BB286_806 Depth=1
	v_and_b32_e32 v131, 7, v0
	v_lshrrev_b32_e32 v132, 3, v133
	s_mov_b32 s16, exec_lo
	v_cmpx_gt_u32_e32 8, v133
; %bb.1553:                             ;   in Loop: Header=BB286_806 Depth=1
	s_delay_alu instid0(VALU_DEP_3) | instskip(NEXT) | instid1(VALU_DEP_1)
	v_clz_i32_u32_e32 v131, v131
	v_min_u32_e32 v133, 32, v131
	s_delay_alu instid0(VALU_DEP_1) | instskip(NEXT) | instid1(VALU_DEP_1)
	v_subrev_nc_u32_e32 v131, 28, v133
	v_lshlrev_b64_e32 v[131:132], v131, v[0:1]
	v_sub_nc_u32_e32 v132, 29, v133
	s_delay_alu instid0(VALU_DEP_2)
	v_and_b32_e32 v131, 7, v131
; %bb.1554:                             ;   in Loop: Header=BB286_806 Depth=1
	s_wait_alu 0xfffe
	s_or_b32 exec_lo, exec_lo, s16
	v_lshlrev_b32_e32 v0, 8, v0
	v_lshl_add_u32 v132, v132, 10, 0x2000
	v_lshlrev_b32_e32 v131, 7, v131
	s_delay_alu instid0(VALU_DEP_3) | instskip(NEXT) | instid1(VALU_DEP_3)
	v_and_b32_e32 v0, 0x8000, v0
	v_and_b32_e32 v132, 0xfc00, v132
	s_delay_alu instid0(VALU_DEP_1)
	v_or3_b32 v131, v0, v132, v131
.LBB286_1555:                           ;   in Loop: Header=BB286_806 Depth=1
	s_wait_alu 0xfffe
	s_or_b32 exec_lo, exec_lo, s15
.LBB286_1556:                           ;   in Loop: Header=BB286_806 Depth=1
	s_wait_alu 0xfffe
	s_or_b32 exec_lo, exec_lo, s14
.LBB286_1557:                           ;   in Loop: Header=BB286_806 Depth=1
	s_wait_alu 0xfffe
	s_or_b32 exec_lo, exec_lo, s11
	s_delay_alu instid0(SALU_CYCLE_1)
	s_mov_b32 s11, exec_lo
	v_cmpx_lt_u32_e32 0xffffff, v9
	s_cbranch_execz .LBB286_1565
; %bb.1558:                             ;   in Loop: Header=BB286_806 Depth=1
	v_lshrrev_b32_e32 v0, 24, v9
	v_bfrev_b32_e32 v130, 1
	s_mov_b32 s14, exec_lo
	s_delay_alu instid0(VALU_DEP_2)
	v_cmpx_ne_u32_e32 0x80, v0
	s_cbranch_execz .LBB286_1564
; %bb.1559:                             ;   in Loop: Header=BB286_806 Depth=1
	v_and_b32_e32 v133, 0x7f, v0
	v_mov_b32_e32 v130, 0x7c010000
	s_mov_b32 s15, exec_lo
	s_delay_alu instid0(VALU_DEP_2)
	v_cmpx_ne_u32_e32 0x7f, v133
	s_cbranch_execz .LBB286_1563
; %bb.1560:                             ;   in Loop: Header=BB286_806 Depth=1
	v_and_b32_e32 v130, 7, v0
	v_lshrrev_b32_e32 v132, 3, v133
	s_mov_b32 s16, exec_lo
	v_cmpx_gt_u32_e32 8, v133
; %bb.1561:                             ;   in Loop: Header=BB286_806 Depth=1
	s_delay_alu instid0(VALU_DEP_3) | instskip(NEXT) | instid1(VALU_DEP_1)
	v_clz_i32_u32_e32 v130, v130
	v_min_u32_e32 v130, 32, v130
	s_delay_alu instid0(VALU_DEP_1) | instskip(NEXT) | instid1(VALU_DEP_1)
	v_subrev_nc_u32_e32 v132, 28, v130
	v_lshlrev_b64_e32 v[133:134], v132, v[0:1]
	v_sub_nc_u32_e32 v132, 29, v130
	s_delay_alu instid0(VALU_DEP_2)
	v_and_b32_e32 v130, 7, v133
; %bb.1562:                             ;   in Loop: Header=BB286_806 Depth=1
	s_wait_alu 0xfffe
	s_or_b32 exec_lo, exec_lo, s16
	v_lshlrev_b32_e32 v0, 8, v0
	v_lshl_add_u32 v132, v132, 10, 0x2000
	v_lshlrev_b32_e32 v130, 23, v130
	s_delay_alu instid0(VALU_DEP_2) | instskip(NEXT) | instid1(VALU_DEP_1)
	v_and_or_b32 v0, 0x8000, v0, v132
	v_lshl_or_b32 v130, v0, 16, v130
.LBB286_1563:                           ;   in Loop: Header=BB286_806 Depth=1
	s_wait_alu 0xfffe
	s_or_b32 exec_lo, exec_lo, s15
.LBB286_1564:                           ;   in Loop: Header=BB286_806 Depth=1
	s_wait_alu 0xfffe
	s_or_b32 exec_lo, exec_lo, s14
.LBB286_1565:                           ;   in Loop: Header=BB286_806 Depth=1
	s_wait_alu 0xfffe
	s_or_b32 exec_lo, exec_lo, s11
	v_dual_mov_b32 v133, 0 :: v_dual_and_b32 v134, 0xff, v10
	v_mov_b32_e32 v0, v10
	v_mov_b32_e32 v132, 0
	s_mov_b32 s11, exec_lo
	s_delay_alu instid0(VALU_DEP_3)
	v_cmpx_ne_u16_e64 0, v134
	s_cbranch_execz .LBB286_1573
; %bb.1566:                             ;   in Loop: Header=BB286_806 Depth=1
	v_mov_b32_e32 v133, 0x8000
	s_mov_b32 s14, exec_lo
	v_cmpx_ne_u16_e64 0x80, v134
	s_cbranch_execz .LBB286_1572
; %bb.1567:                             ;   in Loop: Header=BB286_806 Depth=1
	v_and_b32_e32 v135, 0x7f, v10
	v_mov_b32_e32 v133, 0x7c01
	s_mov_b32 s15, exec_lo
	s_delay_alu instid0(VALU_DEP_2)
	v_cmpx_ne_u32_e32 0x7f, v135
	s_cbranch_execz .LBB286_1571
; %bb.1568:                             ;   in Loop: Header=BB286_806 Depth=1
	v_and_b32_e32 v133, 7, v10
	v_lshrrev_b32_e32 v134, 3, v135
	s_mov_b32 s16, exec_lo
	v_cmpx_gt_u32_e32 8, v135
; %bb.1569:                             ;   in Loop: Header=BB286_806 Depth=1
	s_delay_alu instid0(VALU_DEP_3) | instskip(NEXT) | instid1(VALU_DEP_1)
	v_clz_i32_u32_e32 v133, v133
	v_min_u32_e32 v135, 32, v133
	s_delay_alu instid0(VALU_DEP_1) | instskip(NEXT) | instid1(VALU_DEP_1)
	v_subrev_nc_u32_e32 v133, 28, v135
	v_lshlrev_b64_e32 v[133:134], v133, v[0:1]
	v_sub_nc_u32_e32 v134, 29, v135
	s_delay_alu instid0(VALU_DEP_2)
	v_and_b32_e32 v133, 7, v133
; %bb.1570:                             ;   in Loop: Header=BB286_806 Depth=1
	s_wait_alu 0xfffe
	s_or_b32 exec_lo, exec_lo, s16
	v_lshlrev_b32_e32 v135, 8, v10
	v_lshl_add_u32 v134, v134, 10, 0x2000
	v_lshlrev_b32_e32 v133, 7, v133
	s_delay_alu instid0(VALU_DEP_3) | instskip(NEXT) | instid1(VALU_DEP_3)
	v_and_b32_e32 v135, 0x8000, v135
	v_and_b32_e32 v134, 0xfc00, v134
	s_delay_alu instid0(VALU_DEP_1)
	v_or3_b32 v133, v135, v134, v133
.LBB286_1571:                           ;   in Loop: Header=BB286_806 Depth=1
	s_wait_alu 0xfffe
	s_or_b32 exec_lo, exec_lo, s15
.LBB286_1572:                           ;   in Loop: Header=BB286_806 Depth=1
	s_wait_alu 0xfffe
	s_or_b32 exec_lo, exec_lo, s14
.LBB286_1573:                           ;   in Loop: Header=BB286_806 Depth=1
	s_wait_alu 0xfffe
	s_or_b32 exec_lo, exec_lo, s11
	v_lshrrev_b16 v0, 8, v0
	v_mov_b32_e32 v134, 0
	s_mov_b32 s11, exec_lo
	s_delay_alu instid0(VALU_DEP_2)
	v_cmpx_ne_u16_e32 0, v0
	s_cbranch_execz .LBB286_1581
; %bb.1574:                             ;   in Loop: Header=BB286_806 Depth=1
	v_bfrev_b32_e32 v134, 1
	s_mov_b32 s14, exec_lo
	v_cmpx_ne_u16_e32 0x80, v0
	s_cbranch_execz .LBB286_1580
; %bb.1575:                             ;   in Loop: Header=BB286_806 Depth=1
	v_and_b32_e32 v135, 0xffff, v0
	v_mov_b32_e32 v134, 0x7c010000
	s_mov_b32 s15, exec_lo
	s_delay_alu instid0(VALU_DEP_2) | instskip(NEXT) | instid1(VALU_DEP_1)
	v_and_b32_e32 v145, 0x7f, v135
	v_cmpx_ne_u32_e32 0x7f, v145
	s_cbranch_execz .LBB286_1579
; %bb.1576:                             ;   in Loop: Header=BB286_806 Depth=1
	v_and_b32_e32 v134, 7, v135
	v_lshrrev_b32_e32 v144, 3, v145
	s_mov_b32 s16, exec_lo
	v_cmpx_gt_u32_e32 8, v145
; %bb.1577:                             ;   in Loop: Header=BB286_806 Depth=1
	s_delay_alu instid0(VALU_DEP_3) | instskip(NEXT) | instid1(VALU_DEP_1)
	v_clz_i32_u32_e32 v134, v134
	v_min_u32_e32 v134, 32, v134
	s_delay_alu instid0(VALU_DEP_1) | instskip(NEXT) | instid1(VALU_DEP_1)
	v_subrev_nc_u32_e32 v144, 28, v134
	v_lshlrev_b64_e32 v[145:146], v144, v[0:1]
	v_sub_nc_u32_e32 v144, 29, v134
	s_delay_alu instid0(VALU_DEP_2)
	v_and_b32_e32 v134, 7, v145
; %bb.1578:                             ;   in Loop: Header=BB286_806 Depth=1
	s_wait_alu 0xfffe
	s_or_b32 exec_lo, exec_lo, s16
	v_lshlrev_b32_e32 v0, 8, v135
	v_lshl_add_u32 v135, v144, 10, 0x2000
	v_lshlrev_b32_e32 v134, 23, v134
	s_delay_alu instid0(VALU_DEP_2) | instskip(NEXT) | instid1(VALU_DEP_1)
	v_and_or_b32 v0, 0x8000, v0, v135
	v_lshl_or_b32 v134, v0, 16, v134
.LBB286_1579:                           ;   in Loop: Header=BB286_806 Depth=1
	s_wait_alu 0xfffe
	s_or_b32 exec_lo, exec_lo, s15
.LBB286_1580:                           ;   in Loop: Header=BB286_806 Depth=1
	s_wait_alu 0xfffe
	s_or_b32 exec_lo, exec_lo, s14
.LBB286_1581:                           ;   in Loop: Header=BB286_806 Depth=1
	s_wait_alu 0xfffe
	s_or_b32 exec_lo, exec_lo, s11
	v_lshrrev_b32_e32 v0, 16, v10
	s_mov_b32 s11, exec_lo
	s_delay_alu instid0(VALU_DEP_1) | instskip(NEXT) | instid1(VALU_DEP_1)
	v_and_b32_e32 v135, 0xff, v0
	v_cmpx_ne_u16_e64 0, v135
	s_cbranch_execz .LBB286_1589
; %bb.1582:                             ;   in Loop: Header=BB286_806 Depth=1
	v_mov_b32_e32 v132, 0x8000
	s_mov_b32 s14, exec_lo
	v_cmpx_ne_u16_e64 0x80, v135
	s_cbranch_execz .LBB286_1588
; %bb.1583:                             ;   in Loop: Header=BB286_806 Depth=1
	v_bfe_u32 v144, v10, 16, 7
	v_mov_b32_e32 v132, 0x7c01
	s_mov_b32 s15, exec_lo
	s_delay_alu instid0(VALU_DEP_2)
	v_cmpx_ne_u32_e32 0x7f, v144
	s_cbranch_execz .LBB286_1587
; %bb.1584:                             ;   in Loop: Header=BB286_806 Depth=1
	v_and_b32_e32 v132, 7, v0
	v_lshrrev_b32_e32 v135, 3, v144
	s_mov_b32 s16, exec_lo
	v_cmpx_gt_u32_e32 8, v144
; %bb.1585:                             ;   in Loop: Header=BB286_806 Depth=1
	s_delay_alu instid0(VALU_DEP_3) | instskip(NEXT) | instid1(VALU_DEP_1)
	v_clz_i32_u32_e32 v132, v132
	v_min_u32_e32 v132, 32, v132
	s_delay_alu instid0(VALU_DEP_1) | instskip(NEXT) | instid1(VALU_DEP_1)
	v_subrev_nc_u32_e32 v135, 28, v132
	v_lshlrev_b64_e32 v[144:145], v135, v[0:1]
	v_sub_nc_u32_e32 v135, 29, v132
	s_delay_alu instid0(VALU_DEP_2)
	v_and_b32_e32 v132, 7, v144
; %bb.1586:                             ;   in Loop: Header=BB286_806 Depth=1
	s_wait_alu 0xfffe
	s_or_b32 exec_lo, exec_lo, s16
	v_lshlrev_b32_e32 v0, 8, v0
	v_lshl_add_u32 v135, v135, 10, 0x2000
	v_lshlrev_b32_e32 v132, 7, v132
	s_delay_alu instid0(VALU_DEP_3) | instskip(NEXT) | instid1(VALU_DEP_3)
	v_and_b32_e32 v0, 0x8000, v0
	v_and_b32_e32 v135, 0xfc00, v135
	s_delay_alu instid0(VALU_DEP_1)
	v_or3_b32 v132, v0, v135, v132
.LBB286_1587:                           ;   in Loop: Header=BB286_806 Depth=1
	s_wait_alu 0xfffe
	s_or_b32 exec_lo, exec_lo, s15
.LBB286_1588:                           ;   in Loop: Header=BB286_806 Depth=1
	s_wait_alu 0xfffe
	s_or_b32 exec_lo, exec_lo, s14
.LBB286_1589:                           ;   in Loop: Header=BB286_806 Depth=1
	s_wait_alu 0xfffe
	s_or_b32 exec_lo, exec_lo, s11
	v_cmp_lt_u64_e64 s0, s[8:9], v[9:10]
	v_mov_b32_e32 v9, 0
	s_and_saveexec_b32 s11, s0
	s_cbranch_execz .LBB286_1597
; %bb.1590:                             ;   in Loop: Header=BB286_806 Depth=1
	v_lshrrev_b32_e32 v0, 24, v10
	v_bfrev_b32_e32 v9, 1
	s_mov_b32 s14, exec_lo
	s_delay_alu instid0(VALU_DEP_2)
	v_cmpx_ne_u32_e32 0x80, v0
	s_cbranch_execz .LBB286_1596
; %bb.1591:                             ;   in Loop: Header=BB286_806 Depth=1
	v_and_b32_e32 v135, 0x7f, v0
	v_mov_b32_e32 v9, 0x7c010000
	s_mov_b32 s15, exec_lo
	s_delay_alu instid0(VALU_DEP_2)
	v_cmpx_ne_u32_e32 0x7f, v135
	s_cbranch_execz .LBB286_1595
; %bb.1592:                             ;   in Loop: Header=BB286_806 Depth=1
	v_and_b32_e32 v9, 7, v0
	v_lshrrev_b32_e32 v10, 3, v135
	s_mov_b32 s16, exec_lo
	v_cmpx_gt_u32_e32 8, v135
; %bb.1593:                             ;   in Loop: Header=BB286_806 Depth=1
	s_delay_alu instid0(VALU_DEP_3) | instskip(NEXT) | instid1(VALU_DEP_1)
	v_clz_i32_u32_e32 v9, v9
	v_min_u32_e32 v135, 32, v9
	s_delay_alu instid0(VALU_DEP_1) | instskip(NEXT) | instid1(VALU_DEP_1)
	v_subrev_nc_u32_e32 v9, 28, v135
	v_lshlrev_b64_e32 v[9:10], v9, v[0:1]
	v_sub_nc_u32_e32 v10, 29, v135
	s_delay_alu instid0(VALU_DEP_2)
	v_and_b32_e32 v9, 7, v9
; %bb.1594:                             ;   in Loop: Header=BB286_806 Depth=1
	s_wait_alu 0xfffe
	s_or_b32 exec_lo, exec_lo, s16
	v_lshlrev_b32_e32 v0, 8, v0
	v_lshl_add_u32 v10, v10, 10, 0x2000
	v_lshlrev_b32_e32 v9, 23, v9
	s_delay_alu instid0(VALU_DEP_2) | instskip(NEXT) | instid1(VALU_DEP_1)
	v_and_or_b32 v0, 0x8000, v0, v10
	v_lshl_or_b32 v9, v0, 16, v9
.LBB286_1595:                           ;   in Loop: Header=BB286_806 Depth=1
	s_wait_alu 0xfffe
	s_or_b32 exec_lo, exec_lo, s15
.LBB286_1596:                           ;   in Loop: Header=BB286_806 Depth=1
	s_wait_alu 0xfffe
	s_or_b32 exec_lo, exec_lo, s14
.LBB286_1597:                           ;   in Loop: Header=BB286_806 Depth=1
	s_wait_alu 0xfffe
	s_or_b32 exec_lo, exec_lo, s11
	v_or_b32_e32 v0, v130, v131
	s_wait_loadcnt_dscnt 0x0
	v_fma_mixlo_f16 v10, v119, v130, 0 op_sel:[0,1,0] op_sel_hi:[0,1,0]
	v_or_b32_e32 v129, v128, v129
	v_fma_mixlo_f16 v130, v119, v128, 0 op_sel:[0,1,0] op_sel_hi:[0,1,0]
	v_or_b32_e32 v131, v134, v133
	v_fma_mixlo_f16 v0, v119, v0, 0 op_sel_hi:[0,1,0]
	v_or_b32_e32 v132, v9, v132
	v_lshlrev_b32_e32 v128, 16, v10
	v_lshlrev_b32_e32 v133, 16, v130
	v_fma_mixlo_f16 v10, v119, v129, 0 op_sel_hi:[0,1,0]
	v_and_b32_e32 v130, 0xffff, v0
	v_fma_mixlo_f16 v0, v119, v134, 0 op_sel:[0,1,0] op_sel_hi:[0,1,0]
	v_fma_mixlo_f16 v129, v119, v131, 0 op_sel_hi:[0,1,0]
	v_fma_mixlo_f16 v9, v119, v9, 0 op_sel:[0,1,0] op_sel_hi:[0,1,0]
	v_fma_mixlo_f16 v119, v119, v132, 0 op_sel_hi:[0,1,0]
	v_and_b32_e32 v135, 0xffff, v10
	v_lshlrev_b32_e32 v131, 16, v0
	v_and_b32_e32 v134, 0xffff, v129
	v_lshlrev_b32_e32 v129, 16, v9
	v_and_b32_e32 v132, 0xffff, v119
	v_or_b32_e32 v10, v128, v130
	v_or_b32_e32 v119, v133, v135
	v_or_b32_e32 v9, v131, v134
	s_delay_alu instid0(VALU_DEP_4)
	v_or_b32_e32 v0, v129, v132
	s_and_saveexec_b32 s0, vcc_lo
	s_cbranch_execz .LBB286_804
; %bb.1598:                             ;   in Loop: Header=BB286_806 Depth=1
	v_cmp_lt_i32_e32 vcc_lo, v17, v34
	s_wait_alu 0xfffd
	v_cndmask_b32_e32 v0, 0, v135, vcc_lo
	v_cmp_lt_i32_e32 vcc_lo, v84, v34
	s_wait_alu 0xfffd
	v_cndmask_b32_e32 v9, 0, v133, vcc_lo
	v_cmp_lt_i32_e32 vcc_lo, v83, v34
	s_delay_alu instid0(VALU_DEP_2)
	v_or_b32_e32 v119, v0, v9
	s_wait_alu 0xfffd
	v_cndmask_b32_e32 v10, 0, v130, vcc_lo
	v_cmp_lt_i32_e32 vcc_lo, v82, v34
	s_wait_alu 0xfffd
	v_cndmask_b32_e32 v17, 0, v128, vcc_lo
	v_cmp_lt_i32_e32 vcc_lo, v80, v34
	s_delay_alu instid0(VALU_DEP_2)
	v_or_b32_e32 v10, v10, v17
	;; [unrolled: 8-line block ×3, first 2 shown]
	s_wait_alu 0xfffd
	v_cndmask_b32_e32 v69, 0, v132, vcc_lo
	v_cmp_lt_i32_e32 vcc_lo, v67, v34
	s_wait_alu 0xfffd
	v_cndmask_b32_e32 v67, 0, v129, vcc_lo
	s_delay_alu instid0(VALU_DEP_1)
	v_or_b32_e32 v0, v69, v67
	s_branch .LBB286_804
.LBB286_1599:
	s_or_b32 exec_lo, exec_lo, s5
.LBB286_1600:
	s_wait_alu 0xfffe
	s_or_b32 exec_lo, exec_lo, s3
	ds_bpermute_b32 v0, v18, v66
	ds_bpermute_b32 v1, v18, v65
	;; [unrolled: 1-line block ×12, first 2 shown]
	s_wait_storecnt 0x0
	s_wait_loadcnt_dscnt 0x0
	s_barrier_signal -1
	s_barrier_wait -1
	global_inv scope:SCOPE_SE
	s_load_b32 s0, s[6:7], 0x0
	s_mov_b32 s3, exec_lo
	v_dual_add_f32 v0, v66, v0 :: v_dual_add_f32 v1, v65, v1
	v_dual_add_f32 v6, v32, v6 :: v_dual_add_f32 v7, v31, v7
	;; [unrolled: 1-line block ×6, first 2 shown]
	ds_bpermute_b32 v8, v13, v0
	ds_bpermute_b32 v9, v13, v1
	;; [unrolled: 1-line block ×12, first 2 shown]
	s_wait_dscnt 0xa
	v_dual_add_f32 v13, v0, v8 :: v_dual_add_f32 v12, v1, v9
	s_wait_dscnt 0x8
	v_dual_add_f32 v9, v6, v22 :: v_dual_add_f32 v8, v7, v23
	s_wait_dscnt 0x7
	v_add_f32_e32 v7, v15, v24
	v_and_b32_e32 v15, 28, v36
	s_wait_dscnt 0x5
	v_dual_add_f32 v11, v2, v10 :: v_dual_add_f32 v10, v3, v20
	s_wait_dscnt 0x3
	v_dual_add_f32 v6, v16, v25 :: v_dual_add_f32 v3, v17, v26
	;; [unrolled: 2-line block ×3, first 2 shown]
	v_and_b32_e32 v17, 0x3c3, v33
	s_wait_dscnt 0x0
	v_add_f32_e32 v2, v14, v29
	v_lshrrev_b32_e32 v14, 2, v36
	s_wait_kmcnt 0x0
	v_add_nc_u32_e32 v15, s0, v15
	v_mul_u32_u24_e32 v16, 0x180, v35
	v_cmpx_eq_u32_e32 64, v17
	s_cbranch_execz .LBB286_1602
; %bb.1601:
	s_delay_alu instid0(VALU_DEP_2) | instskip(NEXT) | instid1(VALU_DEP_1)
	v_add_nc_u32_e32 v17, v15, v16
	v_add_nc_u32_e32 v18, 0xfffffd00, v17
	;; [unrolled: 1-line block ×13, first 2 shown]
	ds_store_b32 v18, v13
	ds_store_b32 v20, v12
	;; [unrolled: 1-line block ×12, first 2 shown]
.LBB286_1602:
	s_wait_alu 0xfffe
	s_or_b32 exec_lo, exec_lo, s3
	v_lshlrev_b32_e32 v14, 2, v14
	s_mov_b32 s3, exec_lo
	v_cmp_eq_u32_e32 vcc_lo, 0, v19
	s_wait_loadcnt_dscnt 0x0
	s_barrier_signal -1
	v_add3_u32 v14, s0, v16, v14
	s_barrier_wait -1
	global_inv scope:SCOPE_SE
	v_cmpx_gt_u32_e32 64, v33
	s_cbranch_execz .LBB286_1617
; %bb.1603:
	s_and_saveexec_b32 s0, vcc_lo
	s_cbranch_execnz .LBB286_1637
; %bb.1604:
	s_wait_alu 0xfffe
	s_or_b32 exec_lo, exec_lo, s0
	s_and_saveexec_b32 s0, vcc_lo
	s_cbranch_execnz .LBB286_1638
.LBB286_1605:
	s_wait_alu 0xfffe
	s_or_b32 exec_lo, exec_lo, s0
	s_and_saveexec_b32 s0, vcc_lo
	s_cbranch_execnz .LBB286_1639
.LBB286_1606:
	s_wait_alu 0xfffe
	s_or_b32 exec_lo, exec_lo, s0
	s_and_saveexec_b32 s0, vcc_lo
	s_cbranch_execnz .LBB286_1640
.LBB286_1607:
	s_wait_alu 0xfffe
	s_or_b32 exec_lo, exec_lo, s0
	s_and_saveexec_b32 s0, vcc_lo
	s_cbranch_execnz .LBB286_1641
.LBB286_1608:
	s_wait_alu 0xfffe
	s_or_b32 exec_lo, exec_lo, s0
	s_and_saveexec_b32 s0, vcc_lo
	s_cbranch_execnz .LBB286_1642
.LBB286_1609:
	s_wait_alu 0xfffe
	s_or_b32 exec_lo, exec_lo, s0
	s_and_saveexec_b32 s0, vcc_lo
	s_cbranch_execnz .LBB286_1643
.LBB286_1610:
	s_wait_alu 0xfffe
	s_or_b32 exec_lo, exec_lo, s0
	s_and_saveexec_b32 s0, vcc_lo
	s_cbranch_execnz .LBB286_1644
.LBB286_1611:
	s_wait_alu 0xfffe
	s_or_b32 exec_lo, exec_lo, s0
	s_and_saveexec_b32 s0, vcc_lo
	s_cbranch_execnz .LBB286_1645
.LBB286_1612:
	s_wait_alu 0xfffe
	s_or_b32 exec_lo, exec_lo, s0
	s_and_saveexec_b32 s0, vcc_lo
	s_cbranch_execnz .LBB286_1646
.LBB286_1613:
	s_wait_alu 0xfffe
	s_or_b32 exec_lo, exec_lo, s0
	s_and_saveexec_b32 s0, vcc_lo
	s_cbranch_execnz .LBB286_1647
.LBB286_1614:
	s_wait_alu 0xfffe
	s_or_b32 exec_lo, exec_lo, s0
	s_and_saveexec_b32 s0, vcc_lo
	s_cbranch_execz .LBB286_1616
.LBB286_1615:
	ds_load_b32 v16, v14 offset:352
	s_wait_dscnt 0x0
	v_add_f32_e32 v2, v16, v2
.LBB286_1616:
	s_wait_alu 0xfffe
	s_or_b32 exec_lo, exec_lo, s0
.LBB286_1617:
	s_wait_alu 0xfffe
	s_or_b32 exec_lo, exec_lo, s3
	v_and_b32_e32 v16, 0x3e3, v33
	s_mov_b32 s3, exec_lo
	s_wait_loadcnt 0x0
	s_barrier_signal -1
	s_barrier_wait -1
	global_inv scope:SCOPE_SE
	v_cmpx_eq_u32_e32 32, v16
	s_cbranch_execz .LBB286_1619
; %bb.1618:
	ds_store_2addr_b32 v15, v13, v12 offset1:8
	ds_store_2addr_b32 v15, v11, v10 offset0:16 offset1:24
	ds_store_2addr_b32 v15, v9, v8 offset0:32 offset1:40
	ds_store_2addr_b32 v15, v7, v6 offset0:48 offset1:56
	ds_store_2addr_b32 v15, v3, v1 offset0:64 offset1:72
	ds_store_2addr_b32 v15, v0, v2 offset0:80 offset1:88
.LBB286_1619:
	s_wait_alu 0xfffe
	s_or_b32 exec_lo, exec_lo, s3
	s_delay_alu instid0(SALU_CYCLE_1)
	s_mov_b32 s3, exec_lo
	s_wait_loadcnt_dscnt 0x0
	s_barrier_signal -1
	s_barrier_wait -1
	global_inv scope:SCOPE_SE
	v_cmpx_gt_u32_e32 32, v33
	s_cbranch_execz .LBB286_1634
; %bb.1620:
	s_and_saveexec_b32 s0, vcc_lo
	s_cbranch_execnz .LBB286_1648
; %bb.1621:
	s_wait_alu 0xfffe
	s_or_b32 exec_lo, exec_lo, s0
	s_and_saveexec_b32 s0, vcc_lo
	s_cbranch_execnz .LBB286_1649
.LBB286_1622:
	s_wait_alu 0xfffe
	s_or_b32 exec_lo, exec_lo, s0
	s_and_saveexec_b32 s0, vcc_lo
	s_cbranch_execnz .LBB286_1650
.LBB286_1623:
	s_wait_alu 0xfffe
	s_or_b32 exec_lo, exec_lo, s0
	s_and_saveexec_b32 s0, vcc_lo
	s_cbranch_execnz .LBB286_1651
.LBB286_1624:
	s_wait_alu 0xfffe
	s_or_b32 exec_lo, exec_lo, s0
	s_and_saveexec_b32 s0, vcc_lo
	s_cbranch_execnz .LBB286_1652
.LBB286_1625:
	s_wait_alu 0xfffe
	s_or_b32 exec_lo, exec_lo, s0
	s_and_saveexec_b32 s0, vcc_lo
	s_cbranch_execnz .LBB286_1653
.LBB286_1626:
	s_wait_alu 0xfffe
	s_or_b32 exec_lo, exec_lo, s0
	s_and_saveexec_b32 s0, vcc_lo
	s_cbranch_execnz .LBB286_1654
.LBB286_1627:
	s_wait_alu 0xfffe
	s_or_b32 exec_lo, exec_lo, s0
	s_and_saveexec_b32 s0, vcc_lo
	s_cbranch_execnz .LBB286_1655
.LBB286_1628:
	s_wait_alu 0xfffe
	s_or_b32 exec_lo, exec_lo, s0
	s_and_saveexec_b32 s0, vcc_lo
	s_cbranch_execnz .LBB286_1656
.LBB286_1629:
	s_wait_alu 0xfffe
	s_or_b32 exec_lo, exec_lo, s0
	s_and_saveexec_b32 s0, vcc_lo
	s_cbranch_execnz .LBB286_1657
.LBB286_1630:
	s_wait_alu 0xfffe
	s_or_b32 exec_lo, exec_lo, s0
	s_and_saveexec_b32 s0, vcc_lo
	s_cbranch_execnz .LBB286_1658
.LBB286_1631:
	s_wait_alu 0xfffe
	s_or_b32 exec_lo, exec_lo, s0
	s_and_saveexec_b32 s0, vcc_lo
	s_cbranch_execz .LBB286_1633
.LBB286_1632:
	ds_load_b32 v14, v14 offset:352
	s_wait_dscnt 0x0
	v_add_f32_e32 v2, v14, v2
.LBB286_1633:
	s_wait_alu 0xfffe
	s_or_b32 exec_lo, exec_lo, s0
.LBB286_1634:
	s_wait_alu 0xfffe
	s_or_b32 exec_lo, exec_lo, s3
	v_cmp_eq_u32_e32 vcc_lo, 0, v16
	s_wait_loadcnt 0x0
	s_barrier_signal -1
	s_barrier_wait -1
	global_inv scope:SCOPE_SE
	s_and_b32 exec_lo, exec_lo, vcc_lo
	s_cbranch_execz .LBB286_1636
; %bb.1635:
	s_mul_i32 s0, s2, 0x60
	s_mul_i32 s2, s4, s1
	s_wait_alu 0xfffe
	s_ashr_i32 s1, s0, 31
	s_ashr_i32 s3, s2, 31
	s_wait_alu 0xfffe
	s_lshl_b64 s[0:1], s[0:1], 1
	s_mulk_i32 s13, 0xc0
	s_wait_alu 0xfffe
	v_add_co_u32 v4, vcc_lo, v4, s0
	s_wait_alu 0xfffd
	v_add_co_ci_u32_e64 v5, null, s1, v5, vcc_lo
	s_lshl_b64 s[0:1], s[2:3], 1
	v_lshrrev_b32_e32 v14, 1, v33
	s_wait_alu 0xfffe
	v_add_co_u32 v4, vcc_lo, v4, s0
	s_wait_alu 0xfffd
	v_add_co_ci_u32_e64 v5, null, s1, v5, vcc_lo
	;;#ASMSTART
	v_cvt_f16_f32 v13, v13;

	;;#ASMEND
	s_delay_alu instid0(VALU_DEP_2) | instskip(SKIP_1) | instid1(VALU_DEP_2)
	v_add_co_u32 v4, vcc_lo, v4, s13
	s_wait_alu 0xfffd
	v_add_co_ci_u32_e64 v5, null, 0, v5, vcc_lo
	s_delay_alu instid0(VALU_DEP_2) | instskip(SKIP_1) | instid1(VALU_DEP_2)
	v_add_co_u32 v4, vcc_lo, v4, v14
	s_wait_alu 0xfffd
	v_add_co_ci_u32_e64 v5, null, 0, v5, vcc_lo
	flat_store_b16 v[4:5], v13
	;;#ASMSTART
	v_cvt_f16_f32 v12, v12;

	;;#ASMEND
	flat_store_b16 v[4:5], v12 offset:16
	;;#ASMSTART
	v_cvt_f16_f32 v11, v11;

	;;#ASMEND
	flat_store_b16 v[4:5], v11 offset:32
	;; [unrolled: 5-line block ×11, first 2 shown]
.LBB286_1636:
	s_wait_alu 0xfffe
	s_or_b32 exec_lo, exec_lo, s12
	s_clause 0x1f
	scratch_load_b32 v139, off, s32 offset:8
	scratch_load_b32 v138, off, s32 offset:12
	;; [unrolled: 1-line block ×32, first 2 shown]
	s_clause 0x13
	scratch_load_b32 v75, off, s32 offset:136
	scratch_load_b32 v74, off, s32 offset:140
	;; [unrolled: 1-line block ×20, first 2 shown]
	s_wait_loadcnt_dscnt 0x0
	s_setpc_b64 s[30:31]
.LBB286_1637:
	ds_load_b32 v16, v14
	s_wait_dscnt 0x0
	v_add_f32_e32 v13, v16, v13
	s_wait_alu 0xfffe
	s_or_b32 exec_lo, exec_lo, s0
	s_and_saveexec_b32 s0, vcc_lo
	s_cbranch_execz .LBB286_1605
.LBB286_1638:
	ds_load_b32 v16, v14 offset:32
	s_wait_dscnt 0x0
	v_add_f32_e32 v12, v16, v12
	s_wait_alu 0xfffe
	s_or_b32 exec_lo, exec_lo, s0
	s_and_saveexec_b32 s0, vcc_lo
	s_cbranch_execz .LBB286_1606
.LBB286_1639:
	ds_load_b32 v16, v14 offset:64
	s_wait_dscnt 0x0
	v_add_f32_e32 v11, v16, v11
	s_wait_alu 0xfffe
	s_or_b32 exec_lo, exec_lo, s0
	s_and_saveexec_b32 s0, vcc_lo
	s_cbranch_execz .LBB286_1607
.LBB286_1640:
	ds_load_b32 v16, v14 offset:96
	s_wait_dscnt 0x0
	v_add_f32_e32 v10, v16, v10
	s_wait_alu 0xfffe
	s_or_b32 exec_lo, exec_lo, s0
	s_and_saveexec_b32 s0, vcc_lo
	s_cbranch_execz .LBB286_1608
.LBB286_1641:
	ds_load_b32 v16, v14 offset:128
	s_wait_dscnt 0x0
	v_add_f32_e32 v9, v16, v9
	s_wait_alu 0xfffe
	s_or_b32 exec_lo, exec_lo, s0
	s_and_saveexec_b32 s0, vcc_lo
	s_cbranch_execz .LBB286_1609
.LBB286_1642:
	ds_load_b32 v16, v14 offset:160
	s_wait_dscnt 0x0
	v_add_f32_e32 v8, v16, v8
	s_wait_alu 0xfffe
	s_or_b32 exec_lo, exec_lo, s0
	s_and_saveexec_b32 s0, vcc_lo
	s_cbranch_execz .LBB286_1610
.LBB286_1643:
	ds_load_b32 v16, v14 offset:192
	s_wait_dscnt 0x0
	v_add_f32_e32 v7, v16, v7
	s_wait_alu 0xfffe
	s_or_b32 exec_lo, exec_lo, s0
	s_and_saveexec_b32 s0, vcc_lo
	s_cbranch_execz .LBB286_1611
.LBB286_1644:
	ds_load_b32 v16, v14 offset:224
	s_wait_dscnt 0x0
	v_add_f32_e32 v6, v16, v6
	s_wait_alu 0xfffe
	s_or_b32 exec_lo, exec_lo, s0
	s_and_saveexec_b32 s0, vcc_lo
	s_cbranch_execz .LBB286_1612
.LBB286_1645:
	ds_load_b32 v16, v14 offset:256
	s_wait_dscnt 0x0
	v_add_f32_e32 v3, v16, v3
	s_wait_alu 0xfffe
	s_or_b32 exec_lo, exec_lo, s0
	s_and_saveexec_b32 s0, vcc_lo
	s_cbranch_execz .LBB286_1613
.LBB286_1646:
	ds_load_b32 v16, v14 offset:288
	s_wait_dscnt 0x0
	v_add_f32_e32 v1, v16, v1
	s_wait_alu 0xfffe
	s_or_b32 exec_lo, exec_lo, s0
	s_and_saveexec_b32 s0, vcc_lo
	s_cbranch_execz .LBB286_1614
.LBB286_1647:
	ds_load_b32 v16, v14 offset:320
	s_wait_dscnt 0x0
	v_add_f32_e32 v0, v16, v0
	s_wait_alu 0xfffe
	s_or_b32 exec_lo, exec_lo, s0
	s_and_saveexec_b32 s0, vcc_lo
	s_cbranch_execnz .LBB286_1615
	s_branch .LBB286_1616
.LBB286_1648:
	ds_load_b32 v15, v14
	s_wait_dscnt 0x0
	v_add_f32_e32 v13, v15, v13
	s_wait_alu 0xfffe
	s_or_b32 exec_lo, exec_lo, s0
	s_and_saveexec_b32 s0, vcc_lo
	s_cbranch_execz .LBB286_1622
.LBB286_1649:
	ds_load_b32 v15, v14 offset:32
	s_wait_dscnt 0x0
	v_add_f32_e32 v12, v15, v12
	s_wait_alu 0xfffe
	s_or_b32 exec_lo, exec_lo, s0
	s_and_saveexec_b32 s0, vcc_lo
	s_cbranch_execz .LBB286_1623
.LBB286_1650:
	ds_load_b32 v15, v14 offset:64
	s_wait_dscnt 0x0
	v_add_f32_e32 v11, v15, v11
	s_wait_alu 0xfffe
	s_or_b32 exec_lo, exec_lo, s0
	s_and_saveexec_b32 s0, vcc_lo
	s_cbranch_execz .LBB286_1624
.LBB286_1651:
	ds_load_b32 v15, v14 offset:96
	s_wait_dscnt 0x0
	v_add_f32_e32 v10, v15, v10
	s_wait_alu 0xfffe
	s_or_b32 exec_lo, exec_lo, s0
	s_and_saveexec_b32 s0, vcc_lo
	s_cbranch_execz .LBB286_1625
.LBB286_1652:
	ds_load_b32 v15, v14 offset:128
	s_wait_dscnt 0x0
	v_add_f32_e32 v9, v15, v9
	s_wait_alu 0xfffe
	s_or_b32 exec_lo, exec_lo, s0
	s_and_saveexec_b32 s0, vcc_lo
	s_cbranch_execz .LBB286_1626
.LBB286_1653:
	ds_load_b32 v15, v14 offset:160
	s_wait_dscnt 0x0
	v_add_f32_e32 v8, v15, v8
	s_wait_alu 0xfffe
	s_or_b32 exec_lo, exec_lo, s0
	s_and_saveexec_b32 s0, vcc_lo
	s_cbranch_execz .LBB286_1627
.LBB286_1654:
	ds_load_b32 v15, v14 offset:192
	s_wait_dscnt 0x0
	v_add_f32_e32 v7, v15, v7
	s_wait_alu 0xfffe
	s_or_b32 exec_lo, exec_lo, s0
	s_and_saveexec_b32 s0, vcc_lo
	s_cbranch_execz .LBB286_1628
.LBB286_1655:
	ds_load_b32 v15, v14 offset:224
	s_wait_dscnt 0x0
	v_add_f32_e32 v6, v15, v6
	s_wait_alu 0xfffe
	s_or_b32 exec_lo, exec_lo, s0
	s_and_saveexec_b32 s0, vcc_lo
	s_cbranch_execz .LBB286_1629
.LBB286_1656:
	ds_load_b32 v15, v14 offset:256
	s_wait_dscnt 0x0
	v_add_f32_e32 v3, v15, v3
	s_wait_alu 0xfffe
	s_or_b32 exec_lo, exec_lo, s0
	s_and_saveexec_b32 s0, vcc_lo
	s_cbranch_execz .LBB286_1630
.LBB286_1657:
	ds_load_b32 v15, v14 offset:288
	s_wait_dscnt 0x0
	v_add_f32_e32 v1, v15, v1
	s_wait_alu 0xfffe
	s_or_b32 exec_lo, exec_lo, s0
	s_and_saveexec_b32 s0, vcc_lo
	s_cbranch_execz .LBB286_1631
.LBB286_1658:
	ds_load_b32 v15, v14 offset:320
	s_wait_dscnt 0x0
	v_add_f32_e32 v0, v15, v0
	s_wait_alu 0xfffe
	s_or_b32 exec_lo, exec_lo, s0
	s_and_saveexec_b32 s0, vcc_lo
	s_cbranch_execnz .LBB286_1632
	s_branch .LBB286_1633
.Lfunc_end286:
	.size	_ZN4vllm22paged_attention_kernelIthLi96ELi32ELi128ELNS_18Fp8KVCacheDataTypeE1ELb1ELi512EEEvPfS2_PT_PKS3_PKT0_S9_ifPKiSB_iPKfiiiSD_SD_iiiii, .Lfunc_end286-_ZN4vllm22paged_attention_kernelIthLi96ELi32ELi128ELNS_18Fp8KVCacheDataTypeE1ELb1ELi512EEEvPfS2_PT_PKS3_PKT0_S9_ifPKiSB_iPKfiiiSD_SD_iiiii
                                        ; -- End function
	.set .L_ZN4vllm22paged_attention_kernelIthLi96ELi32ELi128ELNS_18Fp8KVCacheDataTypeE1ELb1ELi512EEEvPfS2_PT_PKS3_PKT0_S9_ifPKiSB_iPKfiiiSD_SD_iiiii.num_vgpr, 184
	.set .L_ZN4vllm22paged_attention_kernelIthLi96ELi32ELi128ELNS_18Fp8KVCacheDataTypeE1ELb1ELi512EEEvPfS2_PT_PKS3_PKT0_S9_ifPKiSB_iPKfiiiSD_SD_iiiii.num_agpr, 0
	.set .L_ZN4vllm22paged_attention_kernelIthLi96ELi32ELi128ELNS_18Fp8KVCacheDataTypeE1ELb1ELi512EEEvPfS2_PT_PKS3_PKT0_S9_ifPKiSB_iPKfiiiSD_SD_iiiii.numbered_sgpr, 33
	.set .L_ZN4vllm22paged_attention_kernelIthLi96ELi32ELi128ELNS_18Fp8KVCacheDataTypeE1ELb1ELi512EEEvPfS2_PT_PKS3_PKT0_S9_ifPKiSB_iPKfiiiSD_SD_iiiii.num_named_barrier, 0
	.set .L_ZN4vllm22paged_attention_kernelIthLi96ELi32ELi128ELNS_18Fp8KVCacheDataTypeE1ELb1ELi512EEEvPfS2_PT_PKS3_PKT0_S9_ifPKiSB_iPKfiiiSD_SD_iiiii.private_seg_size, 220
	.set .L_ZN4vllm22paged_attention_kernelIthLi96ELi32ELi128ELNS_18Fp8KVCacheDataTypeE1ELb1ELi512EEEvPfS2_PT_PKS3_PKT0_S9_ifPKiSB_iPKfiiiSD_SD_iiiii.uses_vcc, 1
	.set .L_ZN4vllm22paged_attention_kernelIthLi96ELi32ELi128ELNS_18Fp8KVCacheDataTypeE1ELb1ELi512EEEvPfS2_PT_PKS3_PKT0_S9_ifPKiSB_iPKfiiiSD_SD_iiiii.uses_flat_scratch, 1
	.set .L_ZN4vllm22paged_attention_kernelIthLi96ELi32ELi128ELNS_18Fp8KVCacheDataTypeE1ELb1ELi512EEEvPfS2_PT_PKS3_PKT0_S9_ifPKiSB_iPKfiiiSD_SD_iiiii.has_dyn_sized_stack, 0
	.set .L_ZN4vllm22paged_attention_kernelIthLi96ELi32ELi128ELNS_18Fp8KVCacheDataTypeE1ELb1ELi512EEEvPfS2_PT_PKS3_PKT0_S9_ifPKiSB_iPKfiiiSD_SD_iiiii.has_recursion, 0
	.set .L_ZN4vllm22paged_attention_kernelIthLi96ELi32ELi128ELNS_18Fp8KVCacheDataTypeE1ELb1ELi512EEEvPfS2_PT_PKS3_PKT0_S9_ifPKiSB_iPKfiiiSD_SD_iiiii.has_indirect_call, 0
	.section	.AMDGPU.csdata,"",@progbits
; Function info:
; codeLenInByte = 65144
; TotalNumSgprs: 35
; NumVgprs: 184
; ScratchSize: 220
; MemoryBound: 0
	.section	.text._ZN4vllm25paged_attention_v2_kernelIthLi96ELi32ELi128ELNS_18Fp8KVCacheDataTypeE1ELb1ELi512EEEvPfS2_PT_PKS3_PKT0_S9_ifPKiSB_iPKfiiiSD_SD_iiiii,"axG",@progbits,_ZN4vllm25paged_attention_v2_kernelIthLi96ELi32ELi128ELNS_18Fp8KVCacheDataTypeE1ELb1ELi512EEEvPfS2_PT_PKS3_PKT0_S9_ifPKiSB_iPKfiiiSD_SD_iiiii,comdat
	.protected	_ZN4vllm25paged_attention_v2_kernelIthLi96ELi32ELi128ELNS_18Fp8KVCacheDataTypeE1ELb1ELi512EEEvPfS2_PT_PKS3_PKT0_S9_ifPKiSB_iPKfiiiSD_SD_iiiii ; -- Begin function _ZN4vllm25paged_attention_v2_kernelIthLi96ELi32ELi128ELNS_18Fp8KVCacheDataTypeE1ELb1ELi512EEEvPfS2_PT_PKS3_PKT0_S9_ifPKiSB_iPKfiiiSD_SD_iiiii
	.globl	_ZN4vllm25paged_attention_v2_kernelIthLi96ELi32ELi128ELNS_18Fp8KVCacheDataTypeE1ELb1ELi512EEEvPfS2_PT_PKS3_PKT0_S9_ifPKiSB_iPKfiiiSD_SD_iiiii
	.p2align	8
	.type	_ZN4vllm25paged_attention_v2_kernelIthLi96ELi32ELi128ELNS_18Fp8KVCacheDataTypeE1ELb1ELi512EEEvPfS2_PT_PKS3_PKT0_S9_ifPKiSB_iPKfiiiSD_SD_iiiii,@function
_ZN4vllm25paged_attention_v2_kernelIthLi96ELi32ELi128ELNS_18Fp8KVCacheDataTypeE1ELb1ELi512EEEvPfS2_PT_PKS3_PKT0_S9_ifPKiSB_iPKfiiiSD_SD_iiiii: ; @_ZN4vllm25paged_attention_v2_kernelIthLi96ELi32ELi128ELNS_18Fp8KVCacheDataTypeE1ELb1ELi512EEEvPfS2_PT_PKS3_PKT0_S9_ifPKiSB_iPKfiiiSD_SD_iiiii
; %bb.0:
	s_clause 0x3
	s_load_b256 s[12:19], s[0:1], 0x68
	s_load_b32 s4, s[0:1], 0x88
	s_load_b256 s[20:27], s[0:1], 0x0
	s_load_b256 s[36:43], s[0:1], 0x20
	s_mov_b32 s32, 0
	v_mov_b32_e32 v31, v0
	s_getpc_b64 s[2:3]
	s_sext_i32_i16 s3, s3
	s_add_co_u32 s2, s2, _ZN4vllm22paged_attention_kernelIthLi96ELi32ELi128ELNS_18Fp8KVCacheDataTypeE1ELb1ELi512EEEvPfS2_PT_PKS3_PKT0_S9_ifPKiSB_iPKfiiiSD_SD_iiiii@rel32@lo+8
	s_add_co_ci_u32 s3, s3, _ZN4vllm22paged_attention_kernelIthLi96ELi32ELi128ELNS_18Fp8KVCacheDataTypeE1ELb1ELi512EEEvPfS2_PT_PKS3_PKT0_S9_ifPKiSB_iPKfiiiSD_SD_iiiii@rel32@hi+16
	s_add_nc_u64 s[8:9], s[0:1], 0x90
	s_wait_kmcnt 0x0
	v_dual_mov_b32 v1, s19 :: v_dual_mov_b32 v2, s4
	s_clause 0x2
	s_load_b96 s[4:6], s[0:1], 0x40
	s_load_b64 s[10:11], s[0:1], 0x50
	s_load_b96 s[28:30], s[0:1], 0x58
	v_dual_mov_b32 v0, s20 :: v_dual_mov_b32 v3, s23
	v_mov_b32_e32 v4, s24
	scratch_store_b64 off, v[1:2], s32
	v_dual_mov_b32 v1, s21 :: v_dual_mov_b32 v2, s22
	v_dual_mov_b32 v5, s25 :: v_dual_mov_b32 v6, s26
	;; [unrolled: 1-line block ×6, first 2 shown]
	s_wait_kmcnt 0x0
	v_dual_mov_b32 v15, s43 :: v_dual_mov_b32 v16, s4
	v_dual_mov_b32 v17, s5 :: v_dual_mov_b32 v18, s6
	;; [unrolled: 1-line block ×8, first 2 shown]
	s_mov_b32 s15, 15
	s_wait_alu 0xfffe
	s_swappc_b64 s[30:31], s[2:3]
	s_endpgm
	.section	.rodata,"a",@progbits
	.p2align	6, 0x0
	.amdhsa_kernel _ZN4vllm25paged_attention_v2_kernelIthLi96ELi32ELi128ELNS_18Fp8KVCacheDataTypeE1ELb1ELi512EEEvPfS2_PT_PKS3_PKT0_S9_ifPKiSB_iPKfiiiSD_SD_iiiii
		.amdhsa_group_segment_fixed_size 224
		.amdhsa_private_segment_fixed_size 220
		.amdhsa_kernarg_size 400
		.amdhsa_user_sgpr_count 2
		.amdhsa_user_sgpr_dispatch_ptr 0
		.amdhsa_user_sgpr_queue_ptr 0
		.amdhsa_user_sgpr_kernarg_segment_ptr 1
		.amdhsa_user_sgpr_dispatch_id 0
		.amdhsa_user_sgpr_private_segment_size 0
		.amdhsa_wavefront_size32 1
		.amdhsa_uses_dynamic_stack 0
		.amdhsa_enable_private_segment 1
		.amdhsa_system_sgpr_workgroup_id_x 1
		.amdhsa_system_sgpr_workgroup_id_y 1
		.amdhsa_system_sgpr_workgroup_id_z 1
		.amdhsa_system_sgpr_workgroup_info 0
		.amdhsa_system_vgpr_workitem_id 0
		.amdhsa_next_free_vgpr 184
		.amdhsa_next_free_sgpr 44
		.amdhsa_reserve_vcc 1
		.amdhsa_float_round_mode_32 0
		.amdhsa_float_round_mode_16_64 0
		.amdhsa_float_denorm_mode_32 3
		.amdhsa_float_denorm_mode_16_64 3
		.amdhsa_fp16_overflow 0
		.amdhsa_workgroup_processor_mode 1
		.amdhsa_memory_ordered 1
		.amdhsa_forward_progress 1
		.amdhsa_inst_pref_size 3
		.amdhsa_round_robin_scheduling 0
		.amdhsa_exception_fp_ieee_invalid_op 0
		.amdhsa_exception_fp_denorm_src 0
		.amdhsa_exception_fp_ieee_div_zero 0
		.amdhsa_exception_fp_ieee_overflow 0
		.amdhsa_exception_fp_ieee_underflow 0
		.amdhsa_exception_fp_ieee_inexact 0
		.amdhsa_exception_int_div_zero 0
	.end_amdhsa_kernel
	.section	.text._ZN4vllm25paged_attention_v2_kernelIthLi96ELi32ELi128ELNS_18Fp8KVCacheDataTypeE1ELb1ELi512EEEvPfS2_PT_PKS3_PKT0_S9_ifPKiSB_iPKfiiiSD_SD_iiiii,"axG",@progbits,_ZN4vllm25paged_attention_v2_kernelIthLi96ELi32ELi128ELNS_18Fp8KVCacheDataTypeE1ELb1ELi512EEEvPfS2_PT_PKS3_PKT0_S9_ifPKiSB_iPKfiiiSD_SD_iiiii,comdat
.Lfunc_end287:
	.size	_ZN4vllm25paged_attention_v2_kernelIthLi96ELi32ELi128ELNS_18Fp8KVCacheDataTypeE1ELb1ELi512EEEvPfS2_PT_PKS3_PKT0_S9_ifPKiSB_iPKfiiiSD_SD_iiiii, .Lfunc_end287-_ZN4vllm25paged_attention_v2_kernelIthLi96ELi32ELi128ELNS_18Fp8KVCacheDataTypeE1ELb1ELi512EEEvPfS2_PT_PKS3_PKT0_S9_ifPKiSB_iPKfiiiSD_SD_iiiii
                                        ; -- End function
	.set _ZN4vllm25paged_attention_v2_kernelIthLi96ELi32ELi128ELNS_18Fp8KVCacheDataTypeE1ELb1ELi512EEEvPfS2_PT_PKS3_PKT0_S9_ifPKiSB_iPKfiiiSD_SD_iiiii.num_vgpr, max(32, .L_ZN4vllm22paged_attention_kernelIthLi96ELi32ELi128ELNS_18Fp8KVCacheDataTypeE1ELb1ELi512EEEvPfS2_PT_PKS3_PKT0_S9_ifPKiSB_iPKfiiiSD_SD_iiiii.num_vgpr)
	.set _ZN4vllm25paged_attention_v2_kernelIthLi96ELi32ELi128ELNS_18Fp8KVCacheDataTypeE1ELb1ELi512EEEvPfS2_PT_PKS3_PKT0_S9_ifPKiSB_iPKfiiiSD_SD_iiiii.num_agpr, max(0, .L_ZN4vllm22paged_attention_kernelIthLi96ELi32ELi128ELNS_18Fp8KVCacheDataTypeE1ELb1ELi512EEEvPfS2_PT_PKS3_PKT0_S9_ifPKiSB_iPKfiiiSD_SD_iiiii.num_agpr)
	.set _ZN4vllm25paged_attention_v2_kernelIthLi96ELi32ELi128ELNS_18Fp8KVCacheDataTypeE1ELb1ELi512EEEvPfS2_PT_PKS3_PKT0_S9_ifPKiSB_iPKfiiiSD_SD_iiiii.numbered_sgpr, max(44, .L_ZN4vllm22paged_attention_kernelIthLi96ELi32ELi128ELNS_18Fp8KVCacheDataTypeE1ELb1ELi512EEEvPfS2_PT_PKS3_PKT0_S9_ifPKiSB_iPKfiiiSD_SD_iiiii.numbered_sgpr)
	.set _ZN4vllm25paged_attention_v2_kernelIthLi96ELi32ELi128ELNS_18Fp8KVCacheDataTypeE1ELb1ELi512EEEvPfS2_PT_PKS3_PKT0_S9_ifPKiSB_iPKfiiiSD_SD_iiiii.num_named_barrier, max(0, .L_ZN4vllm22paged_attention_kernelIthLi96ELi32ELi128ELNS_18Fp8KVCacheDataTypeE1ELb1ELi512EEEvPfS2_PT_PKS3_PKT0_S9_ifPKiSB_iPKfiiiSD_SD_iiiii.num_named_barrier)
	.set _ZN4vllm25paged_attention_v2_kernelIthLi96ELi32ELi128ELNS_18Fp8KVCacheDataTypeE1ELb1ELi512EEEvPfS2_PT_PKS3_PKT0_S9_ifPKiSB_iPKfiiiSD_SD_iiiii.private_seg_size, 0+max(.L_ZN4vllm22paged_attention_kernelIthLi96ELi32ELi128ELNS_18Fp8KVCacheDataTypeE1ELb1ELi512EEEvPfS2_PT_PKS3_PKT0_S9_ifPKiSB_iPKfiiiSD_SD_iiiii.private_seg_size)
	.set _ZN4vllm25paged_attention_v2_kernelIthLi96ELi32ELi128ELNS_18Fp8KVCacheDataTypeE1ELb1ELi512EEEvPfS2_PT_PKS3_PKT0_S9_ifPKiSB_iPKfiiiSD_SD_iiiii.uses_vcc, or(1, .L_ZN4vllm22paged_attention_kernelIthLi96ELi32ELi128ELNS_18Fp8KVCacheDataTypeE1ELb1ELi512EEEvPfS2_PT_PKS3_PKT0_S9_ifPKiSB_iPKfiiiSD_SD_iiiii.uses_vcc)
	.set _ZN4vllm25paged_attention_v2_kernelIthLi96ELi32ELi128ELNS_18Fp8KVCacheDataTypeE1ELb1ELi512EEEvPfS2_PT_PKS3_PKT0_S9_ifPKiSB_iPKfiiiSD_SD_iiiii.uses_flat_scratch, or(0, .L_ZN4vllm22paged_attention_kernelIthLi96ELi32ELi128ELNS_18Fp8KVCacheDataTypeE1ELb1ELi512EEEvPfS2_PT_PKS3_PKT0_S9_ifPKiSB_iPKfiiiSD_SD_iiiii.uses_flat_scratch)
	.set _ZN4vllm25paged_attention_v2_kernelIthLi96ELi32ELi128ELNS_18Fp8KVCacheDataTypeE1ELb1ELi512EEEvPfS2_PT_PKS3_PKT0_S9_ifPKiSB_iPKfiiiSD_SD_iiiii.has_dyn_sized_stack, or(0, .L_ZN4vllm22paged_attention_kernelIthLi96ELi32ELi128ELNS_18Fp8KVCacheDataTypeE1ELb1ELi512EEEvPfS2_PT_PKS3_PKT0_S9_ifPKiSB_iPKfiiiSD_SD_iiiii.has_dyn_sized_stack)
	.set _ZN4vllm25paged_attention_v2_kernelIthLi96ELi32ELi128ELNS_18Fp8KVCacheDataTypeE1ELb1ELi512EEEvPfS2_PT_PKS3_PKT0_S9_ifPKiSB_iPKfiiiSD_SD_iiiii.has_recursion, or(0, .L_ZN4vllm22paged_attention_kernelIthLi96ELi32ELi128ELNS_18Fp8KVCacheDataTypeE1ELb1ELi512EEEvPfS2_PT_PKS3_PKT0_S9_ifPKiSB_iPKfiiiSD_SD_iiiii.has_recursion)
	.set _ZN4vllm25paged_attention_v2_kernelIthLi96ELi32ELi128ELNS_18Fp8KVCacheDataTypeE1ELb1ELi512EEEvPfS2_PT_PKS3_PKT0_S9_ifPKiSB_iPKfiiiSD_SD_iiiii.has_indirect_call, or(0, .L_ZN4vllm22paged_attention_kernelIthLi96ELi32ELi128ELNS_18Fp8KVCacheDataTypeE1ELb1ELi512EEEvPfS2_PT_PKS3_PKT0_S9_ifPKiSB_iPKfiiiSD_SD_iiiii.has_indirect_call)
	.section	.AMDGPU.csdata,"",@progbits
; Kernel info:
; codeLenInByte = 272
; TotalNumSgprs: 46
; NumVgprs: 184
; ScratchSize: 220
; MemoryBound: 0
; FloatMode: 240
; IeeeMode: 1
; LDSByteSize: 224 bytes/workgroup (compile time only)
; SGPRBlocks: 0
; VGPRBlocks: 22
; NumSGPRsForWavesPerEU: 46
; NumVGPRsForWavesPerEU: 184
; Occupancy: 8
; WaveLimiterHint : 1
; COMPUTE_PGM_RSRC2:SCRATCH_EN: 1
; COMPUTE_PGM_RSRC2:USER_SGPR: 2
; COMPUTE_PGM_RSRC2:TRAP_HANDLER: 0
; COMPUTE_PGM_RSRC2:TGID_X_EN: 1
; COMPUTE_PGM_RSRC2:TGID_Y_EN: 1
; COMPUTE_PGM_RSRC2:TGID_Z_EN: 1
; COMPUTE_PGM_RSRC2:TIDIG_COMP_CNT: 0
	.text
	.p2align	2                               ; -- Begin function _ZN4vllm22paged_attention_kernelIthLi112ELi32ELi128ELNS_18Fp8KVCacheDataTypeE1ELb1ELi512EEEvPfS2_PT_PKS3_PKT0_S9_ifPKiSB_iPKfiiiSD_SD_iiiii
	.type	_ZN4vllm22paged_attention_kernelIthLi112ELi32ELi128ELNS_18Fp8KVCacheDataTypeE1ELb1ELi512EEEvPfS2_PT_PKS3_PKT0_S9_ifPKiSB_iPKfiiiSD_SD_iiiii,@function
_ZN4vllm22paged_attention_kernelIthLi112ELi32ELi128ELNS_18Fp8KVCacheDataTypeE1ELb1ELi512EEEvPfS2_PT_PKS3_PKT0_S9_ifPKiSB_iPKfiiiSD_SD_iiiii: ; @_ZN4vllm22paged_attention_kernelIthLi112ELi32ELi128ELNS_18Fp8KVCacheDataTypeE1ELb1ELi512EEEvPfS2_PT_PKS3_PKT0_S9_ifPKiSB_iPKfiiiSD_SD_iiiii
; %bb.0:
	s_wait_loadcnt_dscnt 0x0
	s_wait_expcnt 0x0
	s_wait_samplecnt 0x0
	s_wait_bvhcnt 0x0
	s_wait_kmcnt 0x0
	s_clause 0x1f
	scratch_store_b32 off, v40, s32 offset:272
	; meta instruction
	scratch_store_b32 off, v41, s32 offset:268
	; meta instruction
	;; [unrolled: 2-line block ×31, first 2 shown]
	scratch_store_b32 off, v95, s32 offset:148
	s_clause 0x1f
	scratch_store_b32 off, v104, s32 offset:144
	; meta instruction
	scratch_store_b32 off, v105, s32 offset:140
	; meta instruction
	scratch_store_b32 off, v106, s32 offset:136
	; meta instruction
	scratch_store_b32 off, v107, s32 offset:132
	; meta instruction
	scratch_store_b32 off, v108, s32 offset:128
	; meta instruction
	scratch_store_b32 off, v109, s32 offset:124
	; meta instruction
	scratch_store_b32 off, v110, s32 offset:120
	; meta instruction
	scratch_store_b32 off, v111, s32 offset:116
	; meta instruction
	scratch_store_b32 off, v120, s32 offset:112
	; meta instruction
	scratch_store_b32 off, v121, s32 offset:108
	; meta instruction
	scratch_store_b32 off, v122, s32 offset:104
	; meta instruction
	scratch_store_b32 off, v123, s32 offset:100
	; meta instruction
	scratch_store_b32 off, v124, s32 offset:96
	; meta instruction
	scratch_store_b32 off, v125, s32 offset:92
	; meta instruction
	scratch_store_b32 off, v126, s32 offset:88
	; meta instruction
	scratch_store_b32 off, v127, s32 offset:84
	; meta instruction
	scratch_store_b32 off, v136, s32 offset:80
	; meta instruction
	scratch_store_b32 off, v137, s32 offset:76
	; meta instruction
	scratch_store_b32 off, v138, s32 offset:72
	; meta instruction
	scratch_store_b32 off, v139, s32 offset:68
	; meta instruction
	scratch_store_b32 off, v140, s32 offset:64
	; meta instruction
	scratch_store_b32 off, v141, s32 offset:60
	; meta instruction
	scratch_store_b32 off, v142, s32 offset:56
	; meta instruction
	scratch_store_b32 off, v143, s32 offset:52
	; meta instruction
	scratch_store_b32 off, v152, s32 offset:48
	; meta instruction
	scratch_store_b32 off, v153, s32 offset:44
	; meta instruction
	scratch_store_b32 off, v154, s32 offset:40
	; meta instruction
	scratch_store_b32 off, v155, s32 offset:36
	; meta instruction
	scratch_store_b32 off, v156, s32 offset:32
	; meta instruction
	scratch_store_b32 off, v157, s32 offset:28
	; meta instruction
	scratch_store_b32 off, v158, s32 offset:24
	; meta instruction
	scratch_store_b32 off, v159, s32 offset:20
	s_clause 0x2
	scratch_store_b32 off, v168, s32 offset:16
	; meta instruction
	scratch_store_b32 off, v169, s32 offset:12
	; meta instruction
	scratch_store_b32 off, v170, s32 offset:8
	s_and_b32 s14, ttmp7, 0xffff
	s_lshr_b32 s13, ttmp7, 16
	s_wait_alu 0xfffe
	s_lshl_b32 s0, s14, 2
	s_lshl_b32 s3, s13, 9
	s_wait_alu 0xfffe
	v_add_co_u32 v16, vcc_lo, v16, s0
	s_wait_alu 0xfffd
	v_add_co_ci_u32_e64 v17, null, 0, v17, vcc_lo
	s_mov_b32 s12, exec_lo
	flat_load_b32 v34, v[16:17]
	s_clause 0x1
	scratch_load_b32 v32, off, s32 offset:4
	scratch_load_b32 v35, off, s32
	s_wait_loadcnt_dscnt 0x200
	v_cmpx_lt_i32_e64 s3, v34
	s_cbranch_execz .LBB288_1900
; %bb.1:
	v_mov_b32_e32 v55, 0
	v_sub_nc_u32_e32 v16, 0, v12
	s_clause 0x1
	s_load_u16 s0, s[8:9], 0x12
	s_load_b32 s1, s[8:9], 0x0
	s_mov_b32 s6, s15
	global_load_u16 v33, v55, s[8:9] offset:22
	v_max_i32_e32 v16, v12, v16
	s_delay_alu instid0(VALU_DEP_1) | instskip(SKIP_1) | instid1(VALU_DEP_2)
	v_cvt_f32_u32_e32 v17, v16
	v_sub_nc_u32_e32 v36, 0, v16
	v_rcp_iflag_f32_e32 v17, v17
	s_wait_kmcnt 0x0
	s_cmp_lg_u32 s0, 0
	s_cselect_b32 s0, -1, 0
	s_delay_alu instid0(TRANS32_DEP_1)
	v_mul_f32_e32 v17, 0x4f7ffffe, v17
	s_wait_alu 0xfffe
	s_cmp_lg_u32 s0, 0
	s_add_co_ci_u32 s15, s1, 0
	s_mov_b32 s1, exec_lo
	v_cvt_u32_f32_e32 v17, v17
	s_wait_alu 0xfffe
	s_abs_i32 s0, s15
	s_delay_alu instid0(VALU_DEP_1) | instskip(NEXT) | instid1(VALU_DEP_1)
	v_mul_lo_u32 v36, v36, v17
	v_mul_hi_u32 v36, v17, v36
	s_delay_alu instid0(VALU_DEP_1) | instskip(SKIP_1) | instid1(VALU_DEP_1)
	v_add_nc_u32_e32 v17, v17, v36
	s_wait_alu 0xfffe
	v_mul_hi_u32 v17, s0, v17
	s_delay_alu instid0(VALU_DEP_1) | instskip(SKIP_1) | instid1(VALU_DEP_2)
	v_mul_lo_u32 v36, v17, v16
	v_add_nc_u32_e32 v37, 1, v17
	v_sub_nc_u32_e32 v36, s0, v36
	s_abs_i32 s0, ttmp9
	s_delay_alu instid0(VALU_DEP_1) | instskip(SKIP_2) | instid1(VALU_DEP_2)
	v_sub_nc_u32_e32 v38, v36, v16
	v_cmp_ge_u32_e32 vcc_lo, v36, v16
	s_wait_alu 0xfffd
	v_dual_cndmask_b32 v17, v17, v37 :: v_dual_cndmask_b32 v36, v36, v38
	v_xor_b32_e32 v37, s15, v12
	s_delay_alu instid0(VALU_DEP_2) | instskip(NEXT) | instid1(VALU_DEP_3)
	v_add_nc_u32_e32 v38, 1, v17
	v_cmp_ge_u32_e32 vcc_lo, v36, v16
	s_delay_alu instid0(VALU_DEP_3) | instskip(SKIP_1) | instid1(VALU_DEP_3)
	v_ashrrev_i32_e32 v37, 31, v37
	s_wait_alu 0xfffd
	v_cndmask_b32_e32 v16, v17, v38, vcc_lo
	s_delay_alu instid0(VALU_DEP_1) | instskip(NEXT) | instid1(VALU_DEP_1)
	v_xor_b32_e32 v16, v16, v37
	v_sub_nc_u32_e32 v37, v16, v37
	s_delay_alu instid0(VALU_DEP_1) | instskip(NEXT) | instid1(VALU_DEP_1)
	v_sub_nc_u32_e32 v16, 0, v37
	v_max_i32_e32 v36, v37, v16
	s_delay_alu instid0(VALU_DEP_1) | instskip(SKIP_1) | instid1(VALU_DEP_2)
	v_cvt_f32_u32_e32 v16, v36
	v_sub_nc_u32_e32 v17, 0, v36
	v_rcp_iflag_f32_e32 v16, v16
	s_delay_alu instid0(TRANS32_DEP_1) | instskip(NEXT) | instid1(VALU_DEP_1)
	v_mul_f32_e32 v16, 0x4f7ffffe, v16
	v_cvt_u32_f32_e32 v16, v16
	s_delay_alu instid0(VALU_DEP_1) | instskip(NEXT) | instid1(VALU_DEP_1)
	v_mul_lo_u32 v17, v17, v16
	v_mul_hi_u32 v17, v16, v17
	s_delay_alu instid0(VALU_DEP_1) | instskip(SKIP_1) | instid1(VALU_DEP_1)
	v_add_nc_u32_e32 v16, v16, v17
	s_wait_alu 0xfffe
	v_mad_co_u64_u32 v[16:17], null, s0, v16, 0
	s_wait_loadcnt 0x0
	v_readfirstlane_b32 s16, v33
	v_cmpx_ne_u64_e32 0, v[19:20]
	s_cbranch_execz .LBB288_3
; %bb.2:
	s_mov_b32 s4, ttmp9
	s_ashr_i32 s5, ttmp9, 31
	s_wait_alu 0xfffe
	s_lshl_b64 s[4:5], s[4:5], 2
	s_wait_alu 0xfffe
	v_add_co_u32 v19, vcc_lo, v19, s4
	s_wait_alu 0xfffd
	v_add_co_ci_u32_e64 v20, null, s5, v20, vcc_lo
	flat_load_b32 v55, v[19:20]
.LBB288_3:
	s_or_b32 exec_lo, exec_lo, s1
	v_and_b32_e32 v33, 0x3ff, v31
	v_ashrrev_i32_e32 v16, 31, v37
	s_ashr_i32 s1, ttmp9, 31
	s_mul_i32 s4, ttmp9, 0x70
	s_mov_b32 s2, exec_lo
	v_cmpx_gt_u32_e32 14, v33
	s_cbranch_execz .LBB288_5
; %bb.4:
	v_mul_lo_u32 v19, v21, s14
	s_wait_alu 0xfffe
	s_ashr_i32 s5, s4, 31
	v_lshlrev_b32_e32 v21, 4, v33
	s_wait_alu 0xfffe
	s_lshl_b64 s[10:11], s[4:5], 1
	s_delay_alu instid0(VALU_DEP_2) | instskip(NEXT) | instid1(VALU_DEP_1)
	v_ashrrev_i32_e32 v20, 31, v19
	v_lshlrev_b64_e32 v[19:20], 1, v[19:20]
	s_delay_alu instid0(VALU_DEP_1) | instskip(SKIP_1) | instid1(VALU_DEP_2)
	v_add_co_u32 v6, vcc_lo, v6, v19
	s_wait_alu 0xfffd
	v_add_co_ci_u32_e64 v7, null, v7, v20, vcc_lo
	s_wait_alu 0xfffe
	s_delay_alu instid0(VALU_DEP_2) | instskip(SKIP_1) | instid1(VALU_DEP_2)
	v_add_co_u32 v6, vcc_lo, v6, s10
	s_wait_alu 0xfffd
	v_add_co_ci_u32_e64 v7, null, s11, v7, vcc_lo
	s_delay_alu instid0(VALU_DEP_2) | instskip(SKIP_1) | instid1(VALU_DEP_2)
	v_add_co_u32 v6, vcc_lo, v6, v21
	s_wait_alu 0xfffd
	v_add_co_ci_u32_e64 v7, null, 0, v7, vcc_lo
	flat_load_b128 v[48:51], v[6:7]
	s_wait_loadcnt_dscnt 0x0
	ds_store_b128 v21, v[48:51]
.LBB288_5:
	s_wait_alu 0xfffe
	s_or_b32 exec_lo, exec_lo, s2
	v_sub_nc_u32_e32 v6, 0, v35
	v_mul_lo_u32 v7, v17, v36
	v_add_nc_u32_e32 v20, 1, v17
	v_xor_b32_e32 v39, s1, v16
	s_wait_storecnt 0x0
	s_wait_loadcnt_dscnt 0x0
	v_max_i32_e32 v37, v35, v6
	s_barrier_signal -1
	s_barrier_wait -1
	global_inv scope:SCOPE_SE
	v_sub_nc_u32_e32 v19, s0, v7
	v_cvt_f32_u32_e32 v6, v37
	v_sub_nc_u32_e32 v7, 0, v37
	s_mov_b32 s0, exec_lo
	s_delay_alu instid0(VALU_DEP_3) | instskip(NEXT) | instid1(VALU_DEP_3)
	v_cmp_ge_u32_e32 vcc_lo, v19, v36
	v_rcp_iflag_f32_e32 v6, v6
	v_sub_nc_u32_e32 v21, v19, v36
	s_wait_alu 0xfffd
	v_cndmask_b32_e32 v17, v17, v20, vcc_lo
	s_delay_alu instid0(VALU_DEP_2) | instskip(NEXT) | instid1(VALU_DEP_2)
	v_cndmask_b32_e32 v19, v19, v21, vcc_lo
	v_add_nc_u32_e32 v20, 1, v17
	s_delay_alu instid0(TRANS32_DEP_1) | instskip(NEXT) | instid1(VALU_DEP_3)
	v_mul_f32_e32 v6, 0x4f7ffffe, v6
	v_cmp_ge_u32_e32 vcc_lo, v19, v36
	s_delay_alu instid0(VALU_DEP_2) | instskip(SKIP_2) | instid1(VALU_DEP_2)
	v_cvt_u32_f32_e32 v6, v6
	s_wait_alu 0xfffd
	v_cndmask_b32_e32 v16, v17, v20, vcc_lo
	v_mul_lo_u32 v31, v7, v6
	v_add_nc_u32_e32 v7, -1, v34
	s_delay_alu instid0(VALU_DEP_2) | instskip(NEXT) | instid1(VALU_DEP_2)
	v_mul_hi_u32 v21, v6, v31
	v_sub_nc_u32_e32 v31, 0, v7
	s_delay_alu instid0(VALU_DEP_1) | instskip(NEXT) | instid1(VALU_DEP_3)
	v_max_i32_e32 v19, v7, v31
	v_add_nc_u32_e32 v38, v6, v21
	v_xor_b32_e32 v6, v16, v39
	s_delay_alu instid0(VALU_DEP_2) | instskip(NEXT) | instid1(VALU_DEP_2)
	v_mad_co_u64_u32 v[16:17], null, v19, v38, 0
	v_sub_nc_u32_e32 v16, v6, v39
                                        ; implicit-def: $vgpr6
	v_cmpx_gt_i32_e32 0, v32
	s_wait_alu 0xfffe
	s_xor_b32 s0, exec_lo, s0
; %bb.6:
	s_delay_alu instid0(VALU_DEP_2) | instskip(NEXT) | instid1(VALU_DEP_1)
	v_mad_co_u64_u32 v[20:21], null, v28, v12, v[16:17]
                                        ; implicit-def: $vgpr28
	v_mul_lo_u32 v6, v20, v32
                                        ; implicit-def: $vgpr32
	s_delay_alu instid0(VALU_DEP_1)
	v_sub_nc_u32_e32 v6, 1, v6
; %bb.7:
	s_wait_alu 0xfffe
	s_or_saveexec_b32 s0, s0
	v_ashrrev_i32_e32 v12, 31, v7
	v_ashrrev_i32_e32 v39, 31, v35
	s_wait_alu 0xfffe
	s_xor_b32 exec_lo, exec_lo, s0
; %bb.8:
	s_mov_b32 s2, ttmp9
	s_wait_alu 0xfffe
	v_mad_co_u64_u32 v[6:7], null, s15, v28, s[2:3]
	s_delay_alu instid0(VALU_DEP_1)
	v_mad_co_u64_u32 v[6:7], null, v6, v32, 1
; %bb.9:
	s_or_b32 exec_lo, exec_lo, s0
	v_mul_lo_u32 v7, v17, v37
	s_load_b32 s5, s[8:9], 0x8
	v_xor_b32_e32 v12, v12, v39
	v_mul_lo_u32 v18, v18, s14
	v_lshrrev_b32_e32 v35, 5, v33
	s_lshl_b32 s17, s13, 4
	v_mul_lo_u32 v51, v16, v23
	s_wait_alu 0xfffe
	s_add_co_i32 s0, s17, 16
	v_sub_nc_u32_e32 v7, v19, v7
	v_add_nc_u32_e32 v19, 1, v17
	v_add_nc_u32_e32 v23, s17, v35
	v_mov_b32_e32 v65, 0xff7fffff
	v_sub_nc_u32_e32 v53, 0, v30
	v_sub_nc_u32_e32 v28, v7, v37
	v_cmp_ge_u32_e32 vcc_lo, v7, v37
	v_add_nc_u32_e32 v20, 31, v34
	v_lshl_add_u32 v48, v35, 5, s3
	v_ashrrev_i32_e32 v54, 31, v51
	s_wait_alu 0xfffd
	v_dual_cndmask_b32 v7, v7, v28 :: v_dual_and_b32 v36, 31, v33
	v_cndmask_b32_e32 v17, v17, v19, vcc_lo
	v_ashrrev_i32_e32 v21, 31, v20
	s_delay_alu instid0(VALU_DEP_3) | instskip(NEXT) | instid1(VALU_DEP_4)
	v_lshlrev_b32_e32 v64, 2, v36
	v_cmp_ge_u32_e32 vcc_lo, v7, v37
	s_delay_alu instid0(VALU_DEP_3) | instskip(SKIP_1) | instid1(VALU_DEP_2)
	v_lshrrev_b32_e32 v19, 27, v21
	v_add_nc_u32_e32 v21, 1, v17
	v_add_nc_u32_e32 v19, v20, v19
	s_wait_alu 0xfffd
	s_delay_alu instid0(VALU_DEP_2) | instskip(NEXT) | instid1(VALU_DEP_2)
	v_cndmask_b32_e32 v7, v17, v21, vcc_lo
	v_ashrrev_i32_e32 v52, 5, v19
	s_delay_alu instid0(VALU_DEP_2) | instskip(SKIP_2) | instid1(VALU_DEP_3)
	v_xor_b32_e32 v7, v7, v12
	v_ashrrev_i32_e32 v19, 31, v18
	s_wait_alu 0xfffe
	v_min_i32_e32 v49, s0, v52
	s_delay_alu instid0(VALU_DEP_3) | instskip(NEXT) | instid1(VALU_DEP_3)
	v_sub_nc_u32_e32 v7, v7, v12
	v_lshlrev_b64_e32 v[16:17], 2, v[18:19]
	v_lshlrev_b32_e32 v12, 2, v23
	s_delay_alu instid0(VALU_DEP_4) | instskip(NEXT) | instid1(VALU_DEP_4)
	v_cmp_lt_i32_e64 s0, v23, v49
	v_sub_nc_u32_e32 v50, v7, v29
	s_and_saveexec_b32 s18, s0
	s_cbranch_execz .LBB288_913
; %bb.10:
	v_max_i32_e32 v66, v30, v53
	v_add_co_u32 v18, vcc_lo, v8, v51
	s_wait_alu 0xfffd
	v_add_co_ci_u32_e64 v19, null, v9, v54, vcc_lo
	s_delay_alu instid0(VALU_DEP_3)
	v_cvt_f32_u32_e32 v7, v66
	s_ashr_i32 s7, s6, 31
	v_sub_nc_u32_e32 v9, 0, v66
	s_getpc_b64 s[8:9]
	s_wait_alu 0xfffe
	s_sext_i32_i16 s9, s9
	s_add_co_u32 s8, s8, llvm.amdgcn.dynlds.offset.table@rel32@lo+12
	s_wait_alu 0xfffe
	s_add_co_ci_u32 s9, s9, llvm.amdgcn.dynlds.offset.table@rel32@hi+24
	s_lshl_b64 s[10:11], s[6:7], 2
	v_rcp_iflag_f32_e32 v7, v7
	v_lshlrev_b32_e32 v20, 4, v36
	s_wait_alu 0xfffe
	s_add_nc_u64 s[8:9], s[8:9], s[10:11]
	v_add_co_u32 v21, s1, v16, v12
	s_load_b32 s7, s[8:9], 0x0
	v_add_co_ci_u32_e64 v28, null, 0, v17, s1
	v_sub_nc_u32_e32 v31, v36, v34
	v_dual_mov_b32 v8, 0 :: v_dual_mov_b32 v65, 0xff7fffff
	s_delay_alu instid0(TRANS32_DEP_1) | instskip(SKIP_3) | instid1(VALU_DEP_3)
	v_mul_f32_e32 v7, 0x4f7ffffe, v7
	v_add_co_u32 v18, s1, v18, v20
	s_wait_alu 0xf1ff
	v_add_co_ci_u32_e64 v19, null, 0, v19, s1
	v_cvt_u32_f32_e32 v7, v7
	v_add_co_u32 v20, s1, v14, v21
	v_lshl_or_b32 v67, v35, 7, v64
	v_dual_mov_b32 v68, 0xff7fffff :: v_dual_add_nc_u32 v69, 1, v31
	s_delay_alu instid0(VALU_DEP_4)
	v_mul_lo_u32 v29, v9, v7
	v_lshl_add_u32 v9, v35, 5, s3
	s_wait_alu 0xf1ff
	v_add_co_ci_u32_e64 v21, null, v15, v28, s1
	v_mov_b32_e32 v71, v23
	s_mov_b32 s10, -1
	s_mov_b32 s19, 0
	s_mov_b32 s11, 0xffffff
	v_mul_hi_u32 v29, v7, v29
	v_cmp_neq_f32_e32 vcc_lo, 0, v55
	s_delay_alu instid0(VALU_DEP_2)
	v_add_nc_u32_e32 v70, v7, v29
	s_branch .LBB288_16
.LBB288_11:                             ;   in Loop: Header=BB288_16 Depth=1
	s_wait_alu 0xfffe
	s_or_b32 exec_lo, exec_lo, s23
	v_lshlrev_b32_e32 v7, 8, v7
	v_lshl_add_u32 v29, v29, 10, 0x2000
	v_lshlrev_b32_e32 v28, 23, v28
	s_delay_alu instid0(VALU_DEP_2) | instskip(NEXT) | instid1(VALU_DEP_1)
	v_and_or_b32 v7, 0x8000, v7, v29
	v_lshl_or_b32 v28, v7, 16, v28
.LBB288_12:                             ;   in Loop: Header=BB288_16 Depth=1
	s_wait_alu 0xfffe
	s_or_b32 exec_lo, exec_lo, s22
.LBB288_13:                             ;   in Loop: Header=BB288_16 Depth=1
	s_wait_alu 0xfffe
	s_or_b32 exec_lo, exec_lo, s21
.LBB288_14:                             ;   in Loop: Header=BB288_16 Depth=1
	s_wait_alu 0xfffe
	s_or_b32 exec_lo, exec_lo, s20
	v_or_b32_e32 v7, v59, v58
	v_fma_mixlo_f16 v63, v80, v57, 0 op_sel:[0,1,0] op_sel_hi:[0,1,0]
	v_or_b32_e32 v31, v32, v31
	v_fma_mixlo_f16 v142, v80, v81, 0 op_sel:[0,1,0] op_sel_hi:[0,1,0]
	v_fma_mixlo_f16 v29, v80, v140, 0 op_sel:[0,1,0] op_sel_hi:[0,1,0]
	v_fma_mixlo_f16 v60, v80, v7, 0 op_sel_hi:[0,1,0]
	v_or_b32_e32 v7, v57, v46
	v_fma_mixlo_f16 v57, v80, v90, 0 op_sel:[0,1,0] op_sel_hi:[0,1,0]
	v_fma_mixlo_f16 v59, v80, v59, 0 op_sel:[0,1,0] op_sel_hi:[0,1,0]
	s_load_b32 s20, s[8:9], 0x0
	v_and_b32_e32 v29, 0xffff, v29
	v_fma_mixlo_f16 v72, v80, v7, 0 op_sel_hi:[0,1,0]
	v_or_b32_e32 v7, v90, v88
	s_delay_alu instid0(VALU_DEP_1) | instskip(SKIP_3) | instid1(VALU_DEP_3)
	v_fma_mixlo_f16 v58, v80, v7, 0 op_sel_hi:[0,1,0]
	v_or_b32_e32 v7, v140, v89
	v_fma_mixlo_f16 v89, v80, v74, 0 op_sel:[0,1,0] op_sel_hi:[0,1,0]
	v_fma_mixlo_f16 v140, v80, v83, 0 op_sel:[0,1,0] op_sel_hi:[0,1,0]
	v_fma_mixlo_f16 v46, v80, v7, 0 op_sel_hi:[0,1,0]
	v_or_b32_e32 v7, v79, v77
	v_fma_mixlo_f16 v77, v80, v109, 0 op_sel:[0,1,0] op_sel_hi:[0,1,0]
	v_fma_mixlo_f16 v79, v80, v79, 0 op_sel:[0,1,0] op_sel_hi:[0,1,0]
	s_delay_alu instid0(VALU_DEP_3) | instskip(SKIP_2) | instid1(VALU_DEP_2)
	v_fma_mixlo_f16 v88, v80, v7, 0 op_sel_hi:[0,1,0]
	v_or_b32_e32 v7, v74, v73
	v_fma_mixlo_f16 v73, v80, v110, 0 op_sel:[0,1,0] op_sel_hi:[0,1,0]
	v_fma_mixlo_f16 v90, v80, v7, 0 op_sel_hi:[0,1,0]
	v_or_b32_e32 v7, v109, v78
	v_fma_mixlo_f16 v109, v80, v94, 0 op_sel:[0,1,0] op_sel_hi:[0,1,0]
	s_delay_alu instid0(VALU_DEP_2) | instskip(SKIP_1) | instid1(VALU_DEP_1)
	v_fma_mixlo_f16 v78, v80, v7, 0 op_sel_hi:[0,1,0]
	v_or_b32_e32 v7, v110, v108
	v_fma_mixlo_f16 v74, v80, v7, 0 op_sel_hi:[0,1,0]
	v_or_b32_e32 v7, v107, v105
	v_fma_mixlo_f16 v105, v80, v126, 0 op_sel:[0,1,0] op_sel_hi:[0,1,0]
	v_fma_mixlo_f16 v107, v80, v107, 0 op_sel:[0,1,0] op_sel_hi:[0,1,0]
	s_delay_alu instid0(VALU_DEP_3) | instskip(SKIP_2) | instid1(VALU_DEP_2)
	v_fma_mixlo_f16 v108, v80, v7, 0 op_sel_hi:[0,1,0]
	v_or_b32_e32 v7, v94, v93
	v_fma_mixlo_f16 v93, v80, v127, 0 op_sel:[0,1,0] op_sel_hi:[0,1,0]
	v_fma_mixlo_f16 v110, v80, v7, 0 op_sel_hi:[0,1,0]
	v_or_b32_e32 v7, v126, v106
	v_fma_mixlo_f16 v126, v80, v121, 0 op_sel:[0,1,0] op_sel_hi:[0,1,0]
	s_delay_alu instid0(VALU_DEP_2) | instskip(SKIP_1) | instid1(VALU_DEP_1)
	v_fma_mixlo_f16 v106, v80, v7, 0 op_sel_hi:[0,1,0]
	v_or_b32_e32 v7, v127, v125
	;; [unrolled: 14-line block ×9, first 2 shown]
	v_fma_mixlo_f16 v130, v80, v7, 0 op_sel_hi:[0,1,0]
	v_or_b32_e32 v7, v117, v115
	v_fma_mixlo_f16 v115, v80, v119, 0 op_sel:[0,1,0] op_sel_hi:[0,1,0]
	v_fma_mixlo_f16 v117, v80, v117, 0 op_sel:[0,1,0] op_sel_hi:[0,1,0]
	s_delay_alu instid0(VALU_DEP_3) | instskip(SKIP_3) | instid1(VALU_DEP_3)
	v_fma_mixlo_f16 v134, v80, v7, 0 op_sel_hi:[0,1,0]
	v_or_b32_e32 v7, v114, v113
	v_fma_mixlo_f16 v113, v80, v128, 0 op_sel:[0,1,0] op_sel_hi:[0,1,0]
	v_and_b32_e32 v115, 0xffff, v115
	v_fma_mixlo_f16 v144, v80, v7, 0 op_sel_hi:[0,1,0]
	v_or_b32_e32 v7, v119, v116
	s_delay_alu instid0(VALU_DEP_1) | instskip(SKIP_2) | instid1(VALU_DEP_2)
	v_fma_mixlo_f16 v116, v80, v7, 0 op_sel_hi:[0,1,0]
	v_or_b32_e32 v7, v128, v118
	v_fma_mixlo_f16 v118, v80, v101, 0 op_sel:[0,1,0] op_sel_hi:[0,1,0]
	v_fma_mixlo_f16 v114, v80, v7, 0 op_sel_hi:[0,1,0]
	v_or_b32_e32 v7, v101, v99
	s_delay_alu instid0(VALU_DEP_3) | instskip(NEXT) | instid1(VALU_DEP_2)
	v_and_b32_e32 v118, 0xffff, v118
	v_fma_mixlo_f16 v119, v80, v7, 0 op_sel_hi:[0,1,0]
	v_or_b32_e32 v7, v98, v97
	v_fma_mixlo_f16 v97, v80, v98, 0 op_sel:[0,1,0] op_sel_hi:[0,1,0]
	v_fma_mixlo_f16 v98, v80, v103, 0 op_sel:[0,1,0] op_sel_hi:[0,1,0]
	s_delay_alu instid0(VALU_DEP_3)
	v_fma_mixlo_f16 v128, v80, v7, 0 op_sel_hi:[0,1,0]
	v_or_b32_e32 v7, v103, v100
	v_fma_mixlo_f16 v100, v80, v112, 0 op_sel:[0,1,0] op_sel_hi:[0,1,0]
	v_fma_mixlo_f16 v103, v80, v87, 0 op_sel:[0,1,0] op_sel_hi:[0,1,0]
	v_and_b32_e32 v97, 0xffff, v97
	v_and_b32_e32 v128, 0xffff, v128
	v_fma_mixlo_f16 v99, v80, v7, 0 op_sel_hi:[0,1,0]
	v_or_b32_e32 v7, v112, v102
	v_and_b32_e32 v98, 0xffff, v98
	v_and_b32_e32 v100, 0xffff, v100
	s_delay_alu instid0(VALU_DEP_3) | instskip(SKIP_2) | instid1(VALU_DEP_2)
	v_fma_mixlo_f16 v101, v80, v7, 0 op_sel_hi:[0,1,0]
	v_or_b32_e32 v7, v83, v84
	v_fma_mixlo_f16 v83, v80, v153, 0 op_sel:[0,1,0] op_sel_hi:[0,1,0]
	v_fma_mixlo_f16 v141, v80, v7, 0 op_sel_hi:[0,1,0]
	v_or_b32_e32 v7, v81, v82
	v_or_b32_e32 v81, v153, v139
	s_delay_alu instid0(VALU_DEP_4) | instskip(NEXT) | instid1(VALU_DEP_3)
	v_and_b32_e32 v83, 0xffff, v83
	v_fma_mixlo_f16 v143, v80, v7, 0 op_sel_hi:[0,1,0]
	v_or_b32_e32 v7, v87, v86
	v_fma_mixlo_f16 v86, v80, v31, 0 op_sel_hi:[0,1,0]
	v_or_b32_e32 v31, v155, v152
	v_fma_mixlo_f16 v84, v80, v81, 0 op_sel_hi:[0,1,0]
	v_fma_mixlo_f16 v81, v80, v155, 0 op_sel:[0,1,0] op_sel_hi:[0,1,0]
	v_fma_mixlo_f16 v112, v80, v7, 0 op_sel_hi:[0,1,0]
	v_or_b32_e32 v7, v96, v85
	v_fma_mixlo_f16 v82, v80, v31, 0 op_sel_hi:[0,1,0]
	v_or_b32_e32 v31, v28, v154
	ds_load_b128 v[152:155], v8
	v_fma_mixlo_f16 v87, v80, v96, 0 op_sel:[0,1,0] op_sel_hi:[0,1,0]
	v_fma_mixlo_f16 v102, v80, v7, 0 op_sel_hi:[0,1,0]
	v_add_nc_u32_e32 v7, v69, v9
	v_fma_mixlo_f16 v85, v80, v32, 0 op_sel:[0,1,0] op_sel_hi:[0,1,0]
	v_fma_mixlo_f16 v32, v80, v31, 0 op_sel_hi:[0,1,0]
	v_fma_mixlo_f16 v31, v80, v28, 0 op_sel:[0,1,0] op_sel_hi:[0,1,0]
	v_and_b32_e32 v86, 0xffff, v86
	v_cvt_f32_i32_e32 v7, v7
	v_add_nc_u32_e32 v96, v36, v9
	v_and_b32_e32 v85, 0xffff, v85
	v_and_b32_e32 v84, 0xffff, v84
	s_delay_alu instid0(VALU_DEP_4) | instskip(NEXT) | instid1(VALU_DEP_4)
	v_dual_mul_f32 v7, v55, v7 :: v_dual_and_b32 v82, 0xffff, v82
	v_cmp_lt_i32_e64 s1, v96, v34
	v_and_b32_e32 v81, 0xffff, v81
	v_and_b32_e32 v32, 0xffff, v32
	;; [unrolled: 1-line block ×3, first 2 shown]
	s_wait_dscnt 0x0
	v_dual_cndmask_b32 v7, 0, v7 :: v_dual_and_b32 v96, 0xffff, v152
	v_lshrrev_b32_e32 v80, 16, v152
	;;#ASMSTART
	v_cvt_f32_f16 v96, v96;
	;;#ASMEND
	;;#ASMSTART
	v_cvt_f32_f16 v152, v80;
	;;#ASMEND
	v_and_b32_e32 v80, 0xffff, v143
	;;#ASMSTART
	v_cvt_f32_f16 v143, v80;
	;;#ASMEND
	v_and_b32_e32 v80, 0xffff, v142
	;;#ASMSTART
	v_cvt_f32_f16 v156, v80;
	;;#ASMEND
	v_lshrrev_b32_e32 v80, 16, v153
	v_and_b32_e32 v139, 0xffff, v153
	;;#ASMSTART
	v_cvt_f32_f16 v153, v139;
	;;#ASMEND
	;;#ASMSTART
	v_cvt_f32_f16 v157, v80;
	;;#ASMEND
	v_and_b32_e32 v80, 0xffff, v141
	;;#ASMSTART
	v_cvt_f32_f16 v158, v80;
	;;#ASMEND
	v_and_b32_e32 v80, 0xffff, v140
	;;#ASMSTART
	v_cvt_f32_f16 v159, v80;
	;;#ASMEND
	v_lshrrev_b32_e32 v80, 16, v154
	v_and_b32_e32 v139, 0xffff, v154
	;; [unrolled: 16-line block ×3, first 2 shown]
	;;#ASMSTART
	v_cvt_f32_f16 v155, v139;
	;;#ASMEND
	;;#ASMSTART
	v_cvt_f32_f16 v169, v80;
	;;#ASMEND
	v_and_b32_e32 v80, 0xffff, v102
	;;#ASMSTART
	v_cvt_f32_f16 v102, v80;
	;;#ASMEND
	v_and_b32_e32 v80, 0xffff, v87
	;;#ASMSTART
	v_cvt_f32_f16 v170, v80;
	;;#ASMEND
	ds_load_b128 v[139:142], v8 offset:16
	v_and_b32_e32 v99, 0xffff, v99
	s_wait_dscnt 0x0
	v_and_b32_e32 v80, 0xffff, v139
	v_lshrrev_b32_e32 v87, 16, v139
	;;#ASMSTART
	v_cvt_f32_f16 v80, v80;
	;;#ASMEND
	;;#ASMSTART
	v_cvt_f32_f16 v87, v87;
	;;#ASMEND
	;; [unrolled: 3-line block ×3, first 2 shown]
	v_mul_f32_e32 v80, v80, v128
	;;#ASMSTART
	v_cvt_f32_f16 v97, v97;
	;;#ASMEND
	s_wait_kmcnt 0x0
	v_dual_mul_f32 v87, v87, v97 :: v_dual_add_nc_u32 v28, s20, v67
	v_lshrrev_b32_e32 v97, 16, v140
	v_fmac_f32_e32 v80, v96, v143
	v_and_b32_e32 v96, 0xffff, v140
	;;#ASMSTART
	v_cvt_f32_f16 v96, v96;
	;;#ASMEND
	;;#ASMSTART
	v_cvt_f32_f16 v128, v97;
	;;#ASMEND
	v_and_b32_e32 v97, 0xffff, v119
	;;#ASMSTART
	v_cvt_f32_f16 v97, v97;
	;;#ASMEND
	;;#ASMSTART
	v_cvt_f32_f16 v118, v118;
	;;#ASMEND
	s_delay_alu instid0(VALU_DEP_1)
	v_mul_f32_e32 v97, v96, v97
	v_mul_f32_e32 v96, v128, v118
	v_lshrrev_b32_e32 v119, 16, v141
	v_and_b32_e32 v118, 0xffff, v141
	;;#ASMSTART
	v_cvt_f32_f16 v118, v118;
	;;#ASMEND
	;;#ASMSTART
	v_cvt_f32_f16 v119, v119;
	;;#ASMEND
	;; [unrolled: 3-line block ×4, first 2 shown]
	v_dual_mul_f32 v99, v118, v99 :: v_dual_mul_f32 v98, v119, v98
	v_and_b32_e32 v101, 0xffff, v101
	v_fmac_f32_e32 v87, v152, v156
	v_fmac_f32_e32 v97, v153, v158
	s_delay_alu instid0(VALU_DEP_4)
	v_dual_fmac_f32 v99, v154, v112 :: v_dual_fmac_f32 v98, v168, v103
	v_and_b32_e32 v103, 0xffff, v142
	v_lshrrev_b32_e32 v112, 16, v142
	;;#ASMSTART
	v_cvt_f32_f16 v103, v103;
	;;#ASMEND
	;;#ASMSTART
	v_cvt_f32_f16 v112, v112;
	;;#ASMEND
	;; [unrolled: 3-line block ×4, first 2 shown]
	ds_load_b128 v[139:142], v8 offset:32
	v_dual_mul_f32 v101, v103, v101 :: v_dual_mul_f32 v100, v112, v100
	v_fmac_f32_e32 v96, v157, v159
	v_and_b32_e32 v112, 0xffff, v144
	s_delay_alu instid0(VALU_DEP_3) | instskip(NEXT) | instid1(VALU_DEP_4)
	v_dual_fmac_f32 v101, v155, v102 :: v_dual_and_b32 v118, 0xffff, v135
	v_dual_fmac_f32 v100, v169, v170 :: v_dual_and_b32 v117, 0xffff, v117
	s_wait_dscnt 0x0
	v_lshrrev_b32_e32 v103, 16, v139
	v_and_b32_e32 v102, 0xffff, v139
	;;#ASMSTART
	v_cvt_f32_f16 v102, v102;
	;;#ASMEND
	;;#ASMSTART
	v_cvt_f32_f16 v103, v103;
	;;#ASMEND
	;;#ASMSTART
	v_cvt_f32_f16 v112, v112;
	;;#ASMEND
	;;#ASMSTART
	v_cvt_f32_f16 v118, v118;
	;;#ASMEND
	v_dual_fmac_f32 v80, v102, v112 :: v_dual_fmac_f32 v87, v103, v118
	v_lshrrev_b32_e32 v103, 16, v140
	v_and_b32_e32 v102, 0xffff, v140
	v_and_b32_e32 v112, 0xffff, v134
	;;#ASMSTART
	v_cvt_f32_f16 v102, v102;
	;;#ASMEND
	;;#ASMSTART
	v_cvt_f32_f16 v103, v103;
	;;#ASMEND
	;;#ASMSTART
	v_cvt_f32_f16 v112, v112;
	;;#ASMEND
	;;#ASMSTART
	v_cvt_f32_f16 v117, v117;
	;;#ASMEND
	v_dual_fmac_f32 v97, v102, v112 :: v_dual_fmac_f32 v96, v103, v117
	v_lshrrev_b32_e32 v103, 16, v141
	v_and_b32_e32 v102, 0xffff, v141
	;; [unrolled: 16-line block ×3, first 2 shown]
	v_and_b32_e32 v112, 0xffff, v114
	v_and_b32_e32 v113, 0xffff, v113
	;;#ASMSTART
	v_cvt_f32_f16 v102, v102;
	;;#ASMEND
	;;#ASMSTART
	v_cvt_f32_f16 v103, v103;
	;;#ASMEND
	;; [unrolled: 3-line block ×4, first 2 shown]
	v_dual_fmac_f32 v101, v102, v112 :: v_dual_fmac_f32 v100, v103, v113
	ds_load_b128 v[112:115], v8 offset:48
	v_and_b32_e32 v116, 0xffff, v151
	s_wait_dscnt 0x0
	v_lshrrev_b32_e32 v103, 16, v112
	v_and_b32_e32 v102, 0xffff, v112
	v_and_b32_e32 v112, 0xffff, v160
	;;#ASMSTART
	v_cvt_f32_f16 v102, v102;
	;;#ASMEND
	;;#ASMSTART
	v_cvt_f32_f16 v103, v103;
	;;#ASMEND
	;; [unrolled: 3-line block ×4, first 2 shown]
	v_fmac_f32_e32 v80, v102, v112
	v_fmac_f32_e32 v87, v103, v116
	v_lshrrev_b32_e32 v103, 16, v113
	v_and_b32_e32 v102, 0xffff, v113
	v_and_b32_e32 v112, 0xffff, v150
	v_and_b32_e32 v113, 0xffff, v133
	;;#ASMSTART
	v_cvt_f32_f16 v102, v102;
	;;#ASMEND
	;;#ASMSTART
	v_cvt_f32_f16 v103, v103;
	;;#ASMEND
	;;#ASMSTART
	v_cvt_f32_f16 v112, v112;
	;;#ASMEND
	;;#ASMSTART
	v_cvt_f32_f16 v113, v113;
	;;#ASMEND
	v_dual_fmac_f32 v97, v102, v112 :: v_dual_fmac_f32 v96, v103, v113
	v_lshrrev_b32_e32 v103, 16, v114
	v_and_b32_e32 v102, 0xffff, v114
	v_and_b32_e32 v112, 0xffff, v132
	v_and_b32_e32 v113, 0xffff, v131
	;;#ASMSTART
	v_cvt_f32_f16 v102, v102;
	;;#ASMEND
	;;#ASMSTART
	v_cvt_f32_f16 v103, v103;
	;;#ASMEND
	;;#ASMSTART
	v_cvt_f32_f16 v112, v112;
	;;#ASMEND
	;;#ASMSTART
	v_cvt_f32_f16 v113, v113;
	;;#ASMEND
	v_dual_fmac_f32 v99, v102, v112 :: v_dual_fmac_f32 v98, v103, v113
	;; [unrolled: 17-line block ×3, first 2 shown]
	ds_load_b128 v[112:115], v8 offset:64
	v_and_b32_e32 v116, 0xffff, v167
	s_wait_dscnt 0x0
	v_lshrrev_b32_e32 v103, 16, v112
	v_and_b32_e32 v102, 0xffff, v112
	v_and_b32_e32 v112, 0xffff, v176
	;;#ASMSTART
	v_cvt_f32_f16 v102, v102;
	;;#ASMEND
	;;#ASMSTART
	v_cvt_f32_f16 v103, v103;
	;;#ASMEND
	;; [unrolled: 3-line block ×4, first 2 shown]
	v_fmac_f32_e32 v80, v102, v112
	v_fmac_f32_e32 v87, v103, v116
	v_lshrrev_b32_e32 v103, 16, v113
	v_and_b32_e32 v102, 0xffff, v113
	v_and_b32_e32 v112, 0xffff, v166
	v_and_b32_e32 v113, 0xffff, v149
	;;#ASMSTART
	v_cvt_f32_f16 v102, v102;
	;;#ASMEND
	;;#ASMSTART
	v_cvt_f32_f16 v103, v103;
	;;#ASMEND
	;;#ASMSTART
	v_cvt_f32_f16 v112, v112;
	;;#ASMEND
	;;#ASMSTART
	v_cvt_f32_f16 v113, v113;
	;;#ASMEND
	v_dual_fmac_f32 v97, v102, v112 :: v_dual_fmac_f32 v96, v103, v113
	v_lshrrev_b32_e32 v103, 16, v114
	v_and_b32_e32 v102, 0xffff, v114
	v_and_b32_e32 v112, 0xffff, v148
	v_and_b32_e32 v113, 0xffff, v147
	;;#ASMSTART
	v_cvt_f32_f16 v102, v102;
	;;#ASMEND
	;;#ASMSTART
	v_cvt_f32_f16 v103, v103;
	;;#ASMEND
	;;#ASMSTART
	v_cvt_f32_f16 v112, v112;
	;;#ASMEND
	;;#ASMSTART
	v_cvt_f32_f16 v113, v113;
	;;#ASMEND
	v_dual_fmac_f32 v99, v102, v112 :: v_dual_fmac_f32 v98, v103, v113
	;; [unrolled: 17-line block ×3, first 2 shown]
	ds_load_b128 v[112:115], v8 offset:80
	v_and_b32_e32 v116, 0xffff, v183
	s_wait_dscnt 0x0
	v_lshrrev_b32_e32 v103, 16, v112
	v_and_b32_e32 v102, 0xffff, v112
	v_and_b32_e32 v112, 0xffff, v40
	;;#ASMSTART
	v_cvt_f32_f16 v102, v102;
	;;#ASMEND
	;;#ASMSTART
	v_cvt_f32_f16 v103, v103;
	;;#ASMEND
	;;#ASMSTART
	v_cvt_f32_f16 v112, v112;
	;;#ASMEND
	;;#ASMSTART
	v_cvt_f32_f16 v116, v116;
	;;#ASMEND
	v_fmac_f32_e32 v80, v102, v112
	v_fmac_f32_e32 v87, v103, v116
	v_lshrrev_b32_e32 v103, 16, v113
	v_and_b32_e32 v102, 0xffff, v113
	v_and_b32_e32 v112, 0xffff, v182
	v_and_b32_e32 v113, 0xffff, v165
	;;#ASMSTART
	v_cvt_f32_f16 v102, v102;
	;;#ASMEND
	;;#ASMSTART
	v_cvt_f32_f16 v103, v103;
	;;#ASMEND
	;;#ASMSTART
	v_cvt_f32_f16 v112, v112;
	;;#ASMEND
	;;#ASMSTART
	v_cvt_f32_f16 v113, v113;
	;;#ASMEND
	v_dual_fmac_f32 v97, v102, v112 :: v_dual_fmac_f32 v96, v103, v113
	v_lshrrev_b32_e32 v103, 16, v114
	v_and_b32_e32 v102, 0xffff, v114
	v_and_b32_e32 v112, 0xffff, v164
	v_and_b32_e32 v113, 0xffff, v163
	;;#ASMSTART
	v_cvt_f32_f16 v102, v102;
	;;#ASMEND
	;;#ASMSTART
	v_cvt_f32_f16 v103, v103;
	;;#ASMEND
	;;#ASMSTART
	v_cvt_f32_f16 v112, v112;
	;;#ASMEND
	;;#ASMSTART
	v_cvt_f32_f16 v113, v113;
	;;#ASMEND
	v_dual_fmac_f32 v99, v102, v112 :: v_dual_fmac_f32 v98, v103, v113
	;; [unrolled: 17-line block ×3, first 2 shown]
	ds_load_b128 v[112:115], v8 offset:96
	v_and_b32_e32 v116, 0xffff, v56
	s_wait_dscnt 0x0
	v_and_b32_e32 v102, 0xffff, v112
	v_lshrrev_b32_e32 v103, 16, v112
	;;#ASMSTART
	v_cvt_f32_f16 v102, v102;
	;;#ASMEND
	v_and_b32_e32 v112, 0xffff, v61
	;;#ASMSTART
	v_cvt_f32_f16 v103, v103;
	;;#ASMEND
	;;#ASMSTART
	v_cvt_f32_f16 v112, v112;
	;;#ASMEND
	s_delay_alu instid0(VALU_DEP_1)
	v_fmac_f32_e32 v80, v102, v112
	v_and_b32_e32 v102, 0xffff, v113
	;;#ASMSTART
	v_cvt_f32_f16 v116, v116;
	;;#ASMEND
	v_fmac_f32_e32 v87, v103, v116
	v_lshrrev_b32_e32 v103, 16, v113
	;;#ASMSTART
	v_cvt_f32_f16 v102, v102;
	;;#ASMEND
	v_and_b32_e32 v112, 0xffff, v47
	v_and_b32_e32 v113, 0xffff, v181
	;;#ASMSTART
	v_cvt_f32_f16 v103, v103;
	;;#ASMEND
	;;#ASMSTART
	v_cvt_f32_f16 v112, v112;
	;;#ASMEND
	;; [unrolled: 3-line block ×3, first 2 shown]
	v_dual_fmac_f32 v97, v102, v112 :: v_dual_and_b32 v102, 0xffff, v114
	;;#ASMSTART
	v_cvt_f32_f16 v102, v102;
	;;#ASMEND
	v_fmac_f32_e32 v96, v103, v113
	v_lshrrev_b32_e32 v103, 16, v114
	v_and_b32_e32 v112, 0xffff, v180
	v_and_b32_e32 v113, 0xffff, v179
	;;#ASMSTART
	v_cvt_f32_f16 v103, v103;
	;;#ASMEND
	;;#ASMSTART
	v_cvt_f32_f16 v112, v112;
	;;#ASMEND
	;; [unrolled: 3-line block ×3, first 2 shown]
	v_dual_fmac_f32 v99, v102, v112 :: v_dual_and_b32 v102, 0xffff, v115
	;;#ASMSTART
	v_cvt_f32_f16 v102, v102;
	;;#ASMEND
	v_fmac_f32_e32 v98, v103, v113
	v_lshrrev_b32_e32 v103, 16, v115
	v_and_b32_e32 v112, 0xffff, v178
	v_and_b32_e32 v113, 0xffff, v177
	;;#ASMSTART
	v_cvt_f32_f16 v103, v103;
	;;#ASMEND
	;;#ASMSTART
	v_cvt_f32_f16 v112, v112;
	;;#ASMEND
	;; [unrolled: 3-line block ×3, first 2 shown]
	s_delay_alu instid0(VALU_DEP_1)
	v_dual_fmac_f32 v101, v102, v112 :: v_dual_fmac_f32 v100, v103, v113
	ds_load_b128 v[112:115], v8 offset:112
	v_and_b32_e32 v116, 0xffff, v104
	s_wait_dscnt 0x0
	v_lshrrev_b32_e32 v103, 16, v112
	v_and_b32_e32 v102, 0xffff, v112
	v_and_b32_e32 v112, 0xffff, v111
	;;#ASMSTART
	v_cvt_f32_f16 v102, v102;
	;;#ASMEND
	;;#ASMSTART
	v_cvt_f32_f16 v103, v103;
	;;#ASMEND
	;; [unrolled: 3-line block ×4, first 2 shown]
	v_fmac_f32_e32 v80, v102, v112
	v_fmac_f32_e32 v87, v103, v116
	v_lshrrev_b32_e32 v103, 16, v113
	v_and_b32_e32 v102, 0xffff, v113
	v_and_b32_e32 v112, 0xffff, v95
	;; [unrolled: 1-line block ×3, first 2 shown]
	;;#ASMSTART
	v_cvt_f32_f16 v102, v102;
	;;#ASMEND
	;;#ASMSTART
	v_cvt_f32_f16 v103, v103;
	;;#ASMEND
	;; [unrolled: 3-line block ×4, first 2 shown]
	v_dual_fmac_f32 v97, v102, v112 :: v_dual_fmac_f32 v96, v103, v113
	v_and_b32_e32 v113, 0xffff, v43
	v_lshrrev_b32_e32 v103, 16, v114
	v_and_b32_e32 v102, 0xffff, v114
	v_and_b32_e32 v112, 0xffff, v44
	;;#ASMSTART
	v_cvt_f32_f16 v102, v102;
	;;#ASMEND
	;;#ASMSTART
	v_cvt_f32_f16 v103, v103;
	;;#ASMEND
	;; [unrolled: 3-line block ×4, first 2 shown]
	v_dual_fmac_f32 v99, v102, v112 :: v_dual_fmac_f32 v98, v103, v113
	v_lshrrev_b32_e32 v103, 16, v115
	v_and_b32_e32 v102, 0xffff, v115
	v_and_b32_e32 v112, 0xffff, v42
	;; [unrolled: 1-line block ×3, first 2 shown]
	;;#ASMSTART
	v_cvt_f32_f16 v102, v102;
	;;#ASMEND
	;;#ASMSTART
	v_cvt_f32_f16 v103, v103;
	;;#ASMEND
	;; [unrolled: 3-line block ×4, first 2 shown]
	v_dual_fmac_f32 v101, v102, v112 :: v_dual_fmac_f32 v100, v103, v113
	ds_load_b128 v[112:115], v8 offset:128
	v_and_b32_e32 v116, 0xffff, v137
	s_wait_dscnt 0x0
	v_lshrrev_b32_e32 v103, 16, v112
	v_and_b32_e32 v102, 0xffff, v112
	v_and_b32_e32 v112, 0xffff, v138
	;;#ASMSTART
	v_cvt_f32_f16 v102, v102;
	;;#ASMEND
	;;#ASMSTART
	v_cvt_f32_f16 v103, v103;
	;;#ASMEND
	;; [unrolled: 3-line block ×4, first 2 shown]
	v_fmac_f32_e32 v80, v102, v112
	v_fmac_f32_e32 v87, v103, v116
	v_lshrrev_b32_e32 v103, 16, v113
	v_and_b32_e32 v102, 0xffff, v113
	v_and_b32_e32 v112, 0xffff, v136
	;; [unrolled: 1-line block ×3, first 2 shown]
	;;#ASMSTART
	v_cvt_f32_f16 v102, v102;
	;;#ASMEND
	;;#ASMSTART
	v_cvt_f32_f16 v103, v103;
	;;#ASMEND
	;; [unrolled: 3-line block ×4, first 2 shown]
	v_dual_fmac_f32 v97, v102, v112 :: v_dual_fmac_f32 v96, v103, v113
	v_and_b32_e32 v113, 0xffff, v76
	v_lshrrev_b32_e32 v103, 16, v114
	v_and_b32_e32 v102, 0xffff, v114
	v_and_b32_e32 v112, 0xffff, v91
	;;#ASMSTART
	v_cvt_f32_f16 v102, v102;
	;;#ASMEND
	;;#ASMSTART
	v_cvt_f32_f16 v103, v103;
	;;#ASMEND
	;; [unrolled: 3-line block ×4, first 2 shown]
	v_dual_fmac_f32 v99, v102, v112 :: v_dual_fmac_f32 v98, v103, v113
	v_lshrrev_b32_e32 v103, 16, v115
	v_and_b32_e32 v102, 0xffff, v115
	v_and_b32_e32 v112, 0xffff, v75
	;; [unrolled: 1-line block ×3, first 2 shown]
	;;#ASMSTART
	v_cvt_f32_f16 v102, v102;
	;;#ASMEND
	;;#ASMSTART
	v_cvt_f32_f16 v103, v103;
	;;#ASMEND
	;; [unrolled: 3-line block ×4, first 2 shown]
	v_dual_fmac_f32 v101, v102, v112 :: v_dual_fmac_f32 v100, v103, v113
	ds_load_b128 v[112:115], v8 offset:144
	v_and_b32_e32 v116, 0xffff, v126
	s_wait_dscnt 0x0
	v_lshrrev_b32_e32 v103, 16, v112
	v_and_b32_e32 v102, 0xffff, v112
	v_and_b32_e32 v112, 0xffff, v127
	;;#ASMSTART
	v_cvt_f32_f16 v102, v102;
	;;#ASMEND
	;;#ASMSTART
	v_cvt_f32_f16 v103, v103;
	;;#ASMEND
	;; [unrolled: 3-line block ×4, first 2 shown]
	v_fmac_f32_e32 v80, v102, v112
	v_fmac_f32_e32 v87, v103, v116
	v_lshrrev_b32_e32 v103, 16, v113
	v_and_b32_e32 v102, 0xffff, v113
	v_and_b32_e32 v112, 0xffff, v125
	;; [unrolled: 1-line block ×3, first 2 shown]
	;;#ASMSTART
	v_cvt_f32_f16 v102, v102;
	;;#ASMEND
	;;#ASMSTART
	v_cvt_f32_f16 v103, v103;
	;;#ASMEND
	;; [unrolled: 3-line block ×4, first 2 shown]
	v_dual_fmac_f32 v97, v102, v112 :: v_dual_fmac_f32 v96, v103, v113
	v_and_b32_e32 v113, 0xffff, v122
	v_lshrrev_b32_e32 v103, 16, v114
	v_and_b32_e32 v102, 0xffff, v114
	v_and_b32_e32 v112, 0xffff, v123
	;;#ASMSTART
	v_cvt_f32_f16 v102, v102;
	;;#ASMEND
	;;#ASMSTART
	v_cvt_f32_f16 v103, v103;
	;;#ASMEND
	;; [unrolled: 3-line block ×4, first 2 shown]
	v_dual_fmac_f32 v99, v102, v112 :: v_dual_fmac_f32 v98, v103, v113
	v_lshrrev_b32_e32 v103, 16, v115
	v_and_b32_e32 v102, 0xffff, v115
	v_and_b32_e32 v112, 0xffff, v121
	v_and_b32_e32 v113, 0xffff, v120
	;;#ASMSTART
	v_cvt_f32_f16 v102, v102;
	;;#ASMEND
	;;#ASMSTART
	v_cvt_f32_f16 v103, v103;
	;;#ASMEND
	;; [unrolled: 3-line block ×4, first 2 shown]
	v_dual_fmac_f32 v101, v102, v112 :: v_dual_fmac_f32 v100, v103, v113
	ds_load_b128 v[112:115], v8 offset:160
	v_and_b32_e32 v116, 0xffff, v109
	s_wait_dscnt 0x0
	v_and_b32_e32 v102, 0xffff, v112
	v_lshrrev_b32_e32 v103, 16, v112
	;;#ASMSTART
	v_cvt_f32_f16 v102, v102;
	;;#ASMEND
	v_and_b32_e32 v112, 0xffff, v110
	;;#ASMSTART
	v_cvt_f32_f16 v103, v103;
	;;#ASMEND
	;;#ASMSTART
	v_cvt_f32_f16 v112, v112;
	;;#ASMEND
	s_delay_alu instid0(VALU_DEP_1)
	v_fmac_f32_e32 v80, v102, v112
	v_and_b32_e32 v102, 0xffff, v113
	;;#ASMSTART
	v_cvt_f32_f16 v116, v116;
	;;#ASMEND
	v_fmac_f32_e32 v87, v103, v116
	v_lshrrev_b32_e32 v103, 16, v113
	;;#ASMSTART
	v_cvt_f32_f16 v102, v102;
	;;#ASMEND
	v_and_b32_e32 v112, 0xffff, v108
	v_and_b32_e32 v113, 0xffff, v107
	;;#ASMSTART
	v_cvt_f32_f16 v103, v103;
	;;#ASMEND
	;;#ASMSTART
	v_cvt_f32_f16 v112, v112;
	;;#ASMEND
	;; [unrolled: 3-line block ×3, first 2 shown]
	v_dual_fmac_f32 v97, v102, v112 :: v_dual_and_b32 v102, 0xffff, v114
	;;#ASMSTART
	v_cvt_f32_f16 v102, v102;
	;;#ASMEND
	v_fmac_f32_e32 v96, v103, v113
	v_lshrrev_b32_e32 v103, 16, v114
	v_and_b32_e32 v112, 0xffff, v106
	v_and_b32_e32 v113, 0xffff, v105
	;;#ASMSTART
	v_cvt_f32_f16 v103, v103;
	;;#ASMEND
	;;#ASMSTART
	v_cvt_f32_f16 v112, v112;
	;;#ASMEND
	;; [unrolled: 3-line block ×3, first 2 shown]
	v_dual_fmac_f32 v99, v102, v112 :: v_dual_and_b32 v102, 0xffff, v115
	;;#ASMSTART
	v_cvt_f32_f16 v102, v102;
	;;#ASMEND
	v_fmac_f32_e32 v98, v103, v113
	v_lshrrev_b32_e32 v103, 16, v115
	v_and_b32_e32 v112, 0xffff, v94
	v_and_b32_e32 v113, 0xffff, v93
	;;#ASMSTART
	v_cvt_f32_f16 v103, v103;
	;;#ASMEND
	;;#ASMSTART
	v_cvt_f32_f16 v112, v112;
	;;#ASMEND
	;; [unrolled: 3-line block ×3, first 2 shown]
	s_delay_alu instid0(VALU_DEP_1)
	v_dual_fmac_f32 v101, v102, v112 :: v_dual_fmac_f32 v100, v103, v113
	ds_load_b128 v[112:115], v8 offset:176
	v_and_b32_e32 v116, 0xffff, v89
	s_wait_dscnt 0x0
	v_and_b32_e32 v102, 0xffff, v112
	v_lshrrev_b32_e32 v103, 16, v112
	;;#ASMSTART
	v_cvt_f32_f16 v102, v102;
	;;#ASMEND
	v_and_b32_e32 v112, 0xffff, v90
	;;#ASMSTART
	v_cvt_f32_f16 v103, v103;
	;;#ASMEND
	;;#ASMSTART
	v_cvt_f32_f16 v112, v112;
	;;#ASMEND
	s_delay_alu instid0(VALU_DEP_1)
	v_fmac_f32_e32 v80, v102, v112
	v_and_b32_e32 v102, 0xffff, v113
	;;#ASMSTART
	v_cvt_f32_f16 v116, v116;
	;;#ASMEND
	v_fmac_f32_e32 v87, v103, v116
	v_lshrrev_b32_e32 v103, 16, v113
	;;#ASMSTART
	v_cvt_f32_f16 v102, v102;
	;;#ASMEND
	v_and_b32_e32 v112, 0xffff, v88
	v_and_b32_e32 v113, 0xffff, v79
	;;#ASMSTART
	v_cvt_f32_f16 v103, v103;
	;;#ASMEND
	;;#ASMSTART
	v_cvt_f32_f16 v112, v112;
	;;#ASMEND
	;; [unrolled: 3-line block ×3, first 2 shown]
	v_dual_fmac_f32 v97, v102, v112 :: v_dual_and_b32 v102, 0xffff, v114
	;;#ASMSTART
	v_cvt_f32_f16 v102, v102;
	;;#ASMEND
	v_fmac_f32_e32 v96, v103, v113
	v_lshrrev_b32_e32 v103, 16, v114
	v_and_b32_e32 v112, 0xffff, v78
	v_and_b32_e32 v113, 0xffff, v77
	;;#ASMSTART
	v_cvt_f32_f16 v103, v103;
	;;#ASMEND
	;;#ASMSTART
	v_cvt_f32_f16 v112, v112;
	;;#ASMEND
	;; [unrolled: 3-line block ×3, first 2 shown]
	v_dual_fmac_f32 v99, v102, v112 :: v_dual_and_b32 v102, 0xffff, v115
	;;#ASMSTART
	v_cvt_f32_f16 v102, v102;
	;;#ASMEND
	v_fmac_f32_e32 v98, v103, v113
	v_lshrrev_b32_e32 v103, 16, v115
	v_and_b32_e32 v112, 0xffff, v74
	v_and_b32_e32 v113, 0xffff, v73
	;;#ASMSTART
	v_cvt_f32_f16 v103, v103;
	;;#ASMEND
	;;#ASMSTART
	v_cvt_f32_f16 v112, v112;
	;;#ASMEND
	;; [unrolled: 3-line block ×3, first 2 shown]
	s_delay_alu instid0(VALU_DEP_1)
	v_dual_fmac_f32 v101, v102, v112 :: v_dual_fmac_f32 v100, v103, v113
	ds_load_b128 v[112:115], v8 offset:192
	v_and_b32_e32 v116, 0xffff, v63
	s_wait_dscnt 0x0
	v_and_b32_e32 v102, 0xffff, v112
	v_lshrrev_b32_e32 v103, 16, v112
	;;#ASMSTART
	v_cvt_f32_f16 v102, v102;
	;;#ASMEND
	v_and_b32_e32 v112, 0xffff, v72
	;;#ASMSTART
	v_cvt_f32_f16 v103, v103;
	;;#ASMEND
	;;#ASMSTART
	v_cvt_f32_f16 v112, v112;
	;;#ASMEND
	s_delay_alu instid0(VALU_DEP_1)
	v_fmac_f32_e32 v80, v102, v112
	v_and_b32_e32 v102, 0xffff, v113
	;;#ASMSTART
	v_cvt_f32_f16 v116, v116;
	;;#ASMEND
	v_fmac_f32_e32 v87, v103, v116
	v_lshrrev_b32_e32 v103, 16, v113
	;;#ASMSTART
	v_cvt_f32_f16 v102, v102;
	;;#ASMEND
	v_and_b32_e32 v112, 0xffff, v60
	;;#ASMSTART
	v_cvt_f32_f16 v103, v103;
	;;#ASMEND
	;;#ASMSTART
	v_cvt_f32_f16 v112, v112;
	;;#ASMEND
	v_and_b32_e32 v113, 0xffff, v59
	s_delay_alu instid0(VALU_DEP_2) | instskip(SKIP_2) | instid1(VALU_DEP_2)
	v_dual_fmac_f32 v97, v102, v112 :: v_dual_and_b32 v102, 0xffff, v114
	;;#ASMSTART
	v_cvt_f32_f16 v113, v113;
	;;#ASMEND
	;;#ASMSTART
	v_cvt_f32_f16 v102, v102;
	;;#ASMEND
	v_fmac_f32_e32 v96, v103, v113
	v_lshrrev_b32_e32 v103, 16, v114
	v_and_b32_e32 v112, 0xffff, v58
	;;#ASMSTART
	v_cvt_f32_f16 v103, v103;
	;;#ASMEND
	;;#ASMSTART
	v_cvt_f32_f16 v112, v112;
	;;#ASMEND
	v_and_b32_e32 v113, 0xffff, v57
	s_delay_alu instid0(VALU_DEP_2) | instskip(SKIP_2) | instid1(VALU_DEP_2)
	v_dual_fmac_f32 v99, v102, v112 :: v_dual_and_b32 v102, 0xffff, v115
	;;#ASMSTART
	v_cvt_f32_f16 v113, v113;
	;;#ASMEND
	;;#ASMSTART
	v_cvt_f32_f16 v102, v102;
	;;#ASMEND
	v_fmac_f32_e32 v98, v103, v113
	v_lshrrev_b32_e32 v103, 16, v115
	v_and_b32_e32 v112, 0xffff, v46
	;;#ASMSTART
	v_cvt_f32_f16 v103, v103;
	;;#ASMEND
	;;#ASMSTART
	v_cvt_f32_f16 v112, v112;
	;;#ASMEND
	;; [unrolled: 3-line block ×3, first 2 shown]
	s_delay_alu instid0(VALU_DEP_1)
	v_fmac_f32_e32 v101, v102, v112
	ds_load_b128 v[112:115], v8 offset:208
	s_wait_dscnt 0x0
	v_dual_fmac_f32 v100, v103, v29 :: v_dual_and_b32 v29, 0xffff, v112
	v_lshrrev_b32_e32 v102, 16, v112
	;;#ASMSTART
	v_cvt_f32_f16 v29, v29;
	;;#ASMEND
	;;#ASMSTART
	v_cvt_f32_f16 v102, v102;
	;;#ASMEND
	;; [unrolled: 3-line block ×4, first 2 shown]
	v_dual_fmac_f32 v80, v29, v86 :: v_dual_and_b32 v29, 0xffff, v113
	v_fmac_f32_e32 v87, v102, v85
	v_lshrrev_b32_e32 v85, 16, v113
	;;#ASMSTART
	v_cvt_f32_f16 v29, v29;
	;;#ASMEND
	;;#ASMSTART
	v_cvt_f32_f16 v85, v85;
	;;#ASMEND
	;; [unrolled: 3-line block ×4, first 2 shown]
	v_fmac_f32_e32 v97, v29, v84
	v_dual_fmac_f32 v96, v85, v83 :: v_dual_and_b32 v29, 0xffff, v114
	v_lshrrev_b32_e32 v83, 16, v114
	;;#ASMSTART
	v_cvt_f32_f16 v29, v29;
	;;#ASMEND
	;;#ASMSTART
	v_cvt_f32_f16 v83, v83;
	;;#ASMEND
	;; [unrolled: 3-line block ×4, first 2 shown]
	v_fmac_f32_e32 v99, v29, v82
	v_dual_fmac_f32 v98, v83, v81 :: v_dual_and_b32 v29, 0xffff, v115
	v_lshrrev_b32_e32 v81, 16, v115
	;;#ASMSTART
	v_cvt_f32_f16 v29, v29;
	;;#ASMEND
	;;#ASMSTART
	v_cvt_f32_f16 v81, v81;
	;;#ASMEND
	;; [unrolled: 3-line block ×3, first 2 shown]
	v_fmac_f32_e32 v101, v29, v32
	v_add_f32_e32 v29, v80, v87
	;;#ASMSTART
	v_cvt_f32_f16 v31, v31;
	;;#ASMEND
	v_fmac_f32_e32 v100, v81, v31
	s_delay_alu instid0(VALU_DEP_2) | instskip(NEXT) | instid1(VALU_DEP_1)
	v_add_f32_e32 v29, v29, v97
	v_add_f32_e32 v29, v96, v29
	s_delay_alu instid0(VALU_DEP_1) | instskip(NEXT) | instid1(VALU_DEP_1)
	v_add_f32_e32 v29, v29, v99
	v_add_f32_e32 v29, v98, v29
	s_delay_alu instid0(VALU_DEP_1) | instskip(NEXT) | instid1(VALU_DEP_1)
	v_add_f32_e32 v29, v29, v101
	v_add_f32_e32 v29, v100, v29
	s_delay_alu instid0(VALU_DEP_1) | instskip(SKIP_1) | instid1(VALU_DEP_1)
	v_fmac_f32_e32 v7, v13, v29
	s_wait_alu 0xf1ff
	v_cndmask_b32_e64 v29, 0, v7, s1
	ds_store_b32 v28, v29
	v_max_num_f32_e32 v28, v65, v65
	s_delay_alu instid0(VALU_DEP_1) | instskip(NEXT) | instid1(VALU_DEP_1)
	v_max_num_f32_e32 v7, v28, v7
	v_cndmask_b32_e64 v65, v65, v7, s1
.LBB288_15:                             ;   in Loop: Header=BB288_16 Depth=1
	s_wait_alu 0xfffe
	s_or_b32 exec_lo, exec_lo, s2
	v_add_nc_u32_e32 v71, 4, v71
	v_add_co_u32 v20, s2, v20, 16
	s_wait_alu 0xf1ff
	v_add_co_ci_u32_e64 v21, null, 0, v21, s2
	s_delay_alu instid0(VALU_DEP_3)
	v_cmp_ge_i32_e64 s1, v71, v49
	v_add_nc_u32_e32 v9, 0x80, v9
	v_add_nc_u32_e32 v67, 0x200, v67
	s_or_b32 s19, s1, s19
	s_wait_alu 0xfffe
	s_and_not1_b32 exec_lo, exec_lo, s19
	s_cbranch_execz .LBB288_912
.LBB288_16:                             ; =>This Inner Loop Header: Depth=1
	v_sub_nc_u32_e32 v7, 0, v9
	s_delay_alu instid0(VALU_DEP_1) | instskip(NEXT) | instid1(VALU_DEP_1)
	v_max_i32_e32 v7, v9, v7
	v_mul_hi_u32 v28, v7, v38
	s_delay_alu instid0(VALU_DEP_1) | instskip(NEXT) | instid1(VALU_DEP_1)
	v_mul_lo_u32 v29, v28, v37
	v_sub_nc_u32_e32 v7, v7, v29
	v_add_nc_u32_e32 v29, 1, v28
	s_delay_alu instid0(VALU_DEP_2) | instskip(SKIP_2) | instid1(VALU_DEP_1)
	v_sub_nc_u32_e32 v31, v7, v37
	v_cmp_ge_u32_e64 s1, v7, v37
	s_wait_alu 0xf1ff
	v_cndmask_b32_e64 v28, v28, v29, s1
	s_delay_alu instid0(VALU_DEP_3) | instskip(SKIP_1) | instid1(VALU_DEP_3)
	v_cndmask_b32_e64 v7, v7, v31, s1
	v_ashrrev_i32_e32 v29, 31, v9
	v_add_nc_u32_e32 v31, 1, v28
	s_delay_alu instid0(VALU_DEP_3) | instskip(NEXT) | instid1(VALU_DEP_3)
	v_cmp_ge_u32_e64 s1, v7, v37
	v_xor_b32_e32 v29, v29, v39
	s_wait_alu 0xf1ff
	s_delay_alu instid0(VALU_DEP_2) | instskip(NEXT) | instid1(VALU_DEP_1)
	v_cndmask_b32_e64 v7, v28, v31, s1
	v_xor_b32_e32 v7, v7, v29
	s_delay_alu instid0(VALU_DEP_1) | instskip(NEXT) | instid1(VALU_DEP_1)
	v_sub_nc_u32_e32 v7, v7, v29
	v_add_nc_u32_e32 v28, v7, v6
	v_cmp_le_i32_e64 s2, v7, v50
	s_delay_alu instid0(VALU_DEP_2) | instskip(NEXT) | instid1(VALU_DEP_1)
	v_sub_nc_u32_e32 v29, 0, v28
	v_max_i32_e32 v29, v28, v29
	v_ashrrev_i32_e32 v28, 31, v28
	s_delay_alu instid0(VALU_DEP_2) | instskip(NEXT) | instid1(VALU_DEP_1)
	v_mul_hi_u32 v31, v29, v70
	v_mul_lo_u32 v31, v31, v66
	s_delay_alu instid0(VALU_DEP_1) | instskip(NEXT) | instid1(VALU_DEP_1)
	v_sub_nc_u32_e32 v29, v29, v31
	v_sub_nc_u32_e32 v31, v29, v66
	v_cmp_ge_u32_e64 s1, v29, v66
	s_wait_alu 0xf1ff
	s_delay_alu instid0(VALU_DEP_1) | instskip(NEXT) | instid1(VALU_DEP_1)
	v_cndmask_b32_e64 v29, v29, v31, s1
	v_sub_nc_u32_e32 v31, v29, v66
	v_cmp_ge_u32_e64 s1, v29, v66
	s_wait_alu 0xf1ff
	s_delay_alu instid0(VALU_DEP_1) | instskip(NEXT) | instid1(VALU_DEP_1)
	v_cndmask_b32_e64 v29, v29, v31, s1
	v_xor_b32_e32 v29, v29, v28
	s_delay_alu instid0(VALU_DEP_1) | instskip(NEXT) | instid1(VALU_DEP_1)
	v_sub_nc_u32_e32 v28, v29, v28
	v_cmp_ne_u32_e64 s1, 0, v28
	s_and_b32 s1, s1, s2
	s_wait_alu 0xfffe
	s_and_saveexec_b32 s2, s1
	s_wait_alu 0xfffe
	s_xor_b32 s1, exec_lo, s2
	s_cbranch_execz .LBB288_18
; %bb.17:                               ;   in Loop: Header=BB288_16 Depth=1
	s_wait_kmcnt 0x0
	v_add_nc_u32_e32 v7, s7, v67
	ds_store_b32 v7, v68
.LBB288_18:                             ;   in Loop: Header=BB288_16 Depth=1
	s_wait_alu 0xfffe
	s_and_not1_saveexec_b32 s2, s1
	s_cbranch_execz .LBB288_15
; %bb.19:                               ;   in Loop: Header=BB288_16 Depth=1
	flat_load_b32 v7, v[20:21]
	v_mov_b32_e32 v81, 0
	s_mov_b32 s20, exec_lo
	v_mov_b32_e32 v82, 0
	s_wait_loadcnt_dscnt 0x0
	v_mad_co_i64_i32 v[28:29], null, v7, v22, v[18:19]
	flat_load_b64 v[31:32], v[28:29]
	flat_load_b32 v80, v[24:25]
	s_wait_loadcnt_dscnt 0x101
	v_and_b32_e32 v7, 0xff, v31
	s_delay_alu instid0(VALU_DEP_1)
	v_cmpx_ne_u16_e32 0, v7
	s_cbranch_execz .LBB288_27
; %bb.20:                               ;   in Loop: Header=BB288_16 Depth=1
	v_mov_b32_e32 v82, 0x8000
	s_mov_b32 s21, exec_lo
	v_cmpx_ne_u16_e32 0x80, v7
	s_cbranch_execz .LBB288_26
; %bb.21:                               ;   in Loop: Header=BB288_16 Depth=1
	v_and_b32_e32 v83, 0x7f, v31
	v_mov_b32_e32 v82, 0x7c01
	s_mov_b32 s22, exec_lo
	s_delay_alu instid0(VALU_DEP_2)
	v_cmpx_ne_u32_e32 0x7f, v83
	s_cbranch_execz .LBB288_25
; %bb.22:                               ;   in Loop: Header=BB288_16 Depth=1
	v_and_b32_e32 v7, 7, v31
	v_lshrrev_b32_e32 v82, 3, v83
	s_mov_b32 s23, exec_lo
	v_cmpx_gt_u32_e32 8, v83
; %bb.23:                               ;   in Loop: Header=BB288_16 Depth=1
	s_delay_alu instid0(VALU_DEP_3) | instskip(NEXT) | instid1(VALU_DEP_1)
	v_clz_i32_u32_e32 v7, v7
	v_min_u32_e32 v7, 32, v7
	s_delay_alu instid0(VALU_DEP_1) | instskip(NEXT) | instid1(VALU_DEP_1)
	v_subrev_nc_u32_e32 v82, 28, v7
	v_lshlrev_b64_e32 v[83:84], v82, v[31:32]
	v_sub_nc_u32_e32 v82, 29, v7
	s_delay_alu instid0(VALU_DEP_2)
	v_and_b32_e32 v7, 7, v83
; %bb.24:                               ;   in Loop: Header=BB288_16 Depth=1
	s_wait_alu 0xfffe
	s_or_b32 exec_lo, exec_lo, s23
	v_lshlrev_b32_e32 v83, 8, v31
	v_lshl_add_u32 v82, v82, 10, 0x2000
	v_lshlrev_b32_e32 v7, 7, v7
	s_delay_alu instid0(VALU_DEP_3) | instskip(NEXT) | instid1(VALU_DEP_3)
	v_and_b32_e32 v83, 0x8000, v83
	v_and_b32_e32 v82, 0xfc00, v82
	s_delay_alu instid0(VALU_DEP_1)
	v_or3_b32 v82, v83, v82, v7
.LBB288_25:                             ;   in Loop: Header=BB288_16 Depth=1
	s_wait_alu 0xfffe
	s_or_b32 exec_lo, exec_lo, s22
.LBB288_26:                             ;   in Loop: Header=BB288_16 Depth=1
	s_wait_alu 0xfffe
	s_or_b32 exec_lo, exec_lo, s21
.LBB288_27:                             ;   in Loop: Header=BB288_16 Depth=1
	s_wait_alu 0xfffe
	s_or_b32 exec_lo, exec_lo, s20
	v_lshrrev_b16 v7, 8, v31
	s_mov_b32 s20, exec_lo
	s_delay_alu instid0(VALU_DEP_1)
	v_cmpx_ne_u16_e32 0, v7
	s_cbranch_execz .LBB288_35
; %bb.28:                               ;   in Loop: Header=BB288_16 Depth=1
	v_bfrev_b32_e32 v81, 1
	s_mov_b32 s21, exec_lo
	v_cmpx_ne_u16_e32 0x80, v7
	s_cbranch_execz .LBB288_34
; %bb.29:                               ;   in Loop: Header=BB288_16 Depth=1
	v_and_b32_e32 v83, 0xffff, v7
	v_mov_b32_e32 v81, 0x7c010000
	s_mov_b32 s22, exec_lo
	s_delay_alu instid0(VALU_DEP_2) | instskip(NEXT) | instid1(VALU_DEP_1)
	v_and_b32_e32 v85, 0x7f, v83
	v_cmpx_ne_u32_e32 0x7f, v85
	s_cbranch_execz .LBB288_33
; %bb.30:                               ;   in Loop: Header=BB288_16 Depth=1
	v_and_b32_e32 v81, 7, v83
	v_lshrrev_b32_e32 v84, 3, v85
	s_mov_b32 s23, exec_lo
	v_cmpx_gt_u32_e32 8, v85
; %bb.31:                               ;   in Loop: Header=BB288_16 Depth=1
	s_delay_alu instid0(VALU_DEP_3) | instskip(NEXT) | instid1(VALU_DEP_1)
	v_clz_i32_u32_e32 v81, v81
	v_min_u32_e32 v81, 32, v81
	s_delay_alu instid0(VALU_DEP_1) | instskip(NEXT) | instid1(VALU_DEP_1)
	v_subrev_nc_u32_e32 v84, 28, v81
	v_lshlrev_b64_e32 v[85:86], v84, v[7:8]
	v_sub_nc_u32_e32 v84, 29, v81
	s_delay_alu instid0(VALU_DEP_2)
	v_and_b32_e32 v81, 7, v85
; %bb.32:                               ;   in Loop: Header=BB288_16 Depth=1
	s_wait_alu 0xfffe
	s_or_b32 exec_lo, exec_lo, s23
	v_lshlrev_b32_e32 v7, 8, v83
	v_lshl_add_u32 v83, v84, 10, 0x2000
	v_lshlrev_b32_e32 v81, 23, v81
	s_delay_alu instid0(VALU_DEP_2) | instskip(NEXT) | instid1(VALU_DEP_1)
	v_and_or_b32 v7, 0x8000, v7, v83
	v_lshl_or_b32 v81, v7, 16, v81
.LBB288_33:                             ;   in Loop: Header=BB288_16 Depth=1
	s_wait_alu 0xfffe
	s_or_b32 exec_lo, exec_lo, s22
.LBB288_34:                             ;   in Loop: Header=BB288_16 Depth=1
	s_wait_alu 0xfffe
	s_or_b32 exec_lo, exec_lo, s21
.LBB288_35:                             ;   in Loop: Header=BB288_16 Depth=1
	s_wait_alu 0xfffe
	s_or_b32 exec_lo, exec_lo, s20
	v_lshrrev_b32_e32 v7, 16, v31
	v_mov_b32_e32 v83, 0
	s_mov_b32 s20, exec_lo
	s_delay_alu instid0(VALU_DEP_2) | instskip(NEXT) | instid1(VALU_DEP_1)
	v_dual_mov_b32 v84, 0 :: v_dual_and_b32 v85, 0xff, v7
	v_cmpx_ne_u16_e32 0, v85
	s_cbranch_execz .LBB288_43
; %bb.36:                               ;   in Loop: Header=BB288_16 Depth=1
	v_mov_b32_e32 v84, 0x8000
	s_mov_b32 s21, exec_lo
	v_cmpx_ne_u16_e32 0x80, v85
	s_cbranch_execz .LBB288_42
; %bb.37:                               ;   in Loop: Header=BB288_16 Depth=1
	v_bfe_u32 v86, v31, 16, 7
	v_mov_b32_e32 v84, 0x7c01
	s_mov_b32 s22, exec_lo
	s_delay_alu instid0(VALU_DEP_2)
	v_cmpx_ne_u32_e32 0x7f, v86
	s_cbranch_execz .LBB288_41
; %bb.38:                               ;   in Loop: Header=BB288_16 Depth=1
	v_and_b32_e32 v84, 7, v7
	v_lshrrev_b32_e32 v85, 3, v86
	s_mov_b32 s23, exec_lo
	v_cmpx_gt_u32_e32 8, v86
; %bb.39:                               ;   in Loop: Header=BB288_16 Depth=1
	s_delay_alu instid0(VALU_DEP_3) | instskip(NEXT) | instid1(VALU_DEP_1)
	v_clz_i32_u32_e32 v84, v84
	v_min_u32_e32 v86, 32, v84
	s_delay_alu instid0(VALU_DEP_1) | instskip(NEXT) | instid1(VALU_DEP_1)
	v_subrev_nc_u32_e32 v84, 28, v86
	v_lshlrev_b64_e32 v[84:85], v84, v[7:8]
	v_sub_nc_u32_e32 v85, 29, v86
	s_delay_alu instid0(VALU_DEP_2)
	v_and_b32_e32 v84, 7, v84
; %bb.40:                               ;   in Loop: Header=BB288_16 Depth=1
	s_wait_alu 0xfffe
	s_or_b32 exec_lo, exec_lo, s23
	v_lshlrev_b32_e32 v7, 8, v7
	v_lshl_add_u32 v85, v85, 10, 0x2000
	v_lshlrev_b32_e32 v84, 7, v84
	s_delay_alu instid0(VALU_DEP_3) | instskip(NEXT) | instid1(VALU_DEP_3)
	v_and_b32_e32 v7, 0x8000, v7
	v_and_b32_e32 v85, 0xfc00, v85
	s_delay_alu instid0(VALU_DEP_1)
	v_or3_b32 v84, v7, v85, v84
.LBB288_41:                             ;   in Loop: Header=BB288_16 Depth=1
	s_wait_alu 0xfffe
	s_or_b32 exec_lo, exec_lo, s22
.LBB288_42:                             ;   in Loop: Header=BB288_16 Depth=1
	s_wait_alu 0xfffe
	s_or_b32 exec_lo, exec_lo, s21
.LBB288_43:                             ;   in Loop: Header=BB288_16 Depth=1
	s_wait_alu 0xfffe
	s_or_b32 exec_lo, exec_lo, s20
	s_delay_alu instid0(SALU_CYCLE_1)
	s_mov_b32 s20, exec_lo
	v_cmpx_lt_u32_e32 0xffffff, v31
	s_cbranch_execz .LBB288_51
; %bb.44:                               ;   in Loop: Header=BB288_16 Depth=1
	v_lshrrev_b32_e32 v7, 24, v31
	v_bfrev_b32_e32 v83, 1
	s_mov_b32 s21, exec_lo
	s_delay_alu instid0(VALU_DEP_2)
	v_cmpx_ne_u32_e32 0x80, v7
	s_cbranch_execz .LBB288_50
; %bb.45:                               ;   in Loop: Header=BB288_16 Depth=1
	v_and_b32_e32 v86, 0x7f, v7
	v_mov_b32_e32 v83, 0x7c010000
	s_mov_b32 s22, exec_lo
	s_delay_alu instid0(VALU_DEP_2)
	v_cmpx_ne_u32_e32 0x7f, v86
	s_cbranch_execz .LBB288_49
; %bb.46:                               ;   in Loop: Header=BB288_16 Depth=1
	v_and_b32_e32 v83, 7, v7
	v_lshrrev_b32_e32 v85, 3, v86
	s_mov_b32 s23, exec_lo
	v_cmpx_gt_u32_e32 8, v86
; %bb.47:                               ;   in Loop: Header=BB288_16 Depth=1
	s_delay_alu instid0(VALU_DEP_3) | instskip(NEXT) | instid1(VALU_DEP_1)
	v_clz_i32_u32_e32 v83, v83
	v_min_u32_e32 v83, 32, v83
	s_delay_alu instid0(VALU_DEP_1) | instskip(NEXT) | instid1(VALU_DEP_1)
	v_subrev_nc_u32_e32 v85, 28, v83
	v_lshlrev_b64_e32 v[86:87], v85, v[7:8]
	v_sub_nc_u32_e32 v85, 29, v83
	s_delay_alu instid0(VALU_DEP_2)
	v_and_b32_e32 v83, 7, v86
; %bb.48:                               ;   in Loop: Header=BB288_16 Depth=1
	s_wait_alu 0xfffe
	s_or_b32 exec_lo, exec_lo, s23
	v_lshlrev_b32_e32 v7, 8, v7
	v_lshl_add_u32 v85, v85, 10, 0x2000
	v_lshlrev_b32_e32 v83, 23, v83
	s_delay_alu instid0(VALU_DEP_2) | instskip(NEXT) | instid1(VALU_DEP_1)
	v_and_or_b32 v7, 0x8000, v7, v85
	v_lshl_or_b32 v83, v7, 16, v83
.LBB288_49:                             ;   in Loop: Header=BB288_16 Depth=1
	s_wait_alu 0xfffe
	s_or_b32 exec_lo, exec_lo, s22
.LBB288_50:                             ;   in Loop: Header=BB288_16 Depth=1
	s_wait_alu 0xfffe
	s_or_b32 exec_lo, exec_lo, s21
.LBB288_51:                             ;   in Loop: Header=BB288_16 Depth=1
	s_wait_alu 0xfffe
	s_or_b32 exec_lo, exec_lo, s20
	v_dual_mov_b32 v86, 0 :: v_dual_and_b32 v87, 0xff, v32
	v_mov_b32_e32 v7, v32
	v_mov_b32_e32 v85, 0
	s_mov_b32 s20, exec_lo
	s_delay_alu instid0(VALU_DEP_3)
	v_cmpx_ne_u16_e32 0, v87
	s_cbranch_execz .LBB288_59
; %bb.52:                               ;   in Loop: Header=BB288_16 Depth=1
	v_mov_b32_e32 v86, 0x8000
	s_mov_b32 s21, exec_lo
	v_cmpx_ne_u16_e32 0x80, v87
	s_cbranch_execz .LBB288_58
; %bb.53:                               ;   in Loop: Header=BB288_16 Depth=1
	v_and_b32_e32 v96, 0x7f, v32
	v_mov_b32_e32 v86, 0x7c01
	s_mov_b32 s22, exec_lo
	s_delay_alu instid0(VALU_DEP_2)
	v_cmpx_ne_u32_e32 0x7f, v96
	s_cbranch_execz .LBB288_57
; %bb.54:                               ;   in Loop: Header=BB288_16 Depth=1
	v_and_b32_e32 v86, 7, v32
	v_lshrrev_b32_e32 v87, 3, v96
	s_mov_b32 s23, exec_lo
	v_cmpx_gt_u32_e32 8, v96
; %bb.55:                               ;   in Loop: Header=BB288_16 Depth=1
	s_delay_alu instid0(VALU_DEP_3) | instskip(NEXT) | instid1(VALU_DEP_1)
	v_clz_i32_u32_e32 v86, v86
	v_min_u32_e32 v96, 32, v86
	s_delay_alu instid0(VALU_DEP_1) | instskip(NEXT) | instid1(VALU_DEP_1)
	v_subrev_nc_u32_e32 v86, 28, v96
	v_lshlrev_b64_e32 v[86:87], v86, v[7:8]
	v_sub_nc_u32_e32 v87, 29, v96
	s_delay_alu instid0(VALU_DEP_2)
	v_and_b32_e32 v86, 7, v86
; %bb.56:                               ;   in Loop: Header=BB288_16 Depth=1
	s_wait_alu 0xfffe
	s_or_b32 exec_lo, exec_lo, s23
	v_lshlrev_b32_e32 v96, 8, v32
	v_lshl_add_u32 v87, v87, 10, 0x2000
	v_lshlrev_b32_e32 v86, 7, v86
	s_delay_alu instid0(VALU_DEP_3) | instskip(NEXT) | instid1(VALU_DEP_3)
	v_and_b32_e32 v96, 0x8000, v96
	v_and_b32_e32 v87, 0xfc00, v87
	s_delay_alu instid0(VALU_DEP_1)
	v_or3_b32 v86, v96, v87, v86
.LBB288_57:                             ;   in Loop: Header=BB288_16 Depth=1
	s_wait_alu 0xfffe
	s_or_b32 exec_lo, exec_lo, s22
.LBB288_58:                             ;   in Loop: Header=BB288_16 Depth=1
	s_wait_alu 0xfffe
	s_or_b32 exec_lo, exec_lo, s21
.LBB288_59:                             ;   in Loop: Header=BB288_16 Depth=1
	s_wait_alu 0xfffe
	s_or_b32 exec_lo, exec_lo, s20
	v_lshrrev_b16 v7, 8, v7
	v_mov_b32_e32 v87, 0
	s_mov_b32 s20, exec_lo
	s_delay_alu instid0(VALU_DEP_2)
	v_cmpx_ne_u16_e32 0, v7
	s_cbranch_execz .LBB288_67
; %bb.60:                               ;   in Loop: Header=BB288_16 Depth=1
	v_bfrev_b32_e32 v87, 1
	s_mov_b32 s21, exec_lo
	v_cmpx_ne_u16_e32 0x80, v7
	s_cbranch_execz .LBB288_66
; %bb.61:                               ;   in Loop: Header=BB288_16 Depth=1
	v_and_b32_e32 v96, 0xffff, v7
	v_mov_b32_e32 v87, 0x7c010000
	s_mov_b32 s22, exec_lo
	s_delay_alu instid0(VALU_DEP_2) | instskip(NEXT) | instid1(VALU_DEP_1)
	v_and_b32_e32 v98, 0x7f, v96
	v_cmpx_ne_u32_e32 0x7f, v98
	s_cbranch_execz .LBB288_65
; %bb.62:                               ;   in Loop: Header=BB288_16 Depth=1
	v_and_b32_e32 v87, 7, v96
	v_lshrrev_b32_e32 v97, 3, v98
	s_mov_b32 s23, exec_lo
	v_cmpx_gt_u32_e32 8, v98
; %bb.63:                               ;   in Loop: Header=BB288_16 Depth=1
	s_delay_alu instid0(VALU_DEP_3) | instskip(NEXT) | instid1(VALU_DEP_1)
	v_clz_i32_u32_e32 v87, v87
	v_min_u32_e32 v87, 32, v87
	s_delay_alu instid0(VALU_DEP_1) | instskip(NEXT) | instid1(VALU_DEP_1)
	v_subrev_nc_u32_e32 v97, 28, v87
	v_lshlrev_b64_e32 v[98:99], v97, v[7:8]
	v_sub_nc_u32_e32 v97, 29, v87
	s_delay_alu instid0(VALU_DEP_2)
	v_and_b32_e32 v87, 7, v98
; %bb.64:                               ;   in Loop: Header=BB288_16 Depth=1
	s_wait_alu 0xfffe
	s_or_b32 exec_lo, exec_lo, s23
	v_lshlrev_b32_e32 v7, 8, v96
	v_lshl_add_u32 v96, v97, 10, 0x2000
	v_lshlrev_b32_e32 v87, 23, v87
	s_delay_alu instid0(VALU_DEP_2) | instskip(NEXT) | instid1(VALU_DEP_1)
	v_and_or_b32 v7, 0x8000, v7, v96
	v_lshl_or_b32 v87, v7, 16, v87
.LBB288_65:                             ;   in Loop: Header=BB288_16 Depth=1
	s_wait_alu 0xfffe
	s_or_b32 exec_lo, exec_lo, s22
.LBB288_66:                             ;   in Loop: Header=BB288_16 Depth=1
	s_wait_alu 0xfffe
	s_or_b32 exec_lo, exec_lo, s21
.LBB288_67:                             ;   in Loop: Header=BB288_16 Depth=1
	s_wait_alu 0xfffe
	s_or_b32 exec_lo, exec_lo, s20
	v_lshrrev_b32_e32 v7, 16, v32
	s_mov_b32 s20, exec_lo
	s_delay_alu instid0(VALU_DEP_1) | instskip(NEXT) | instid1(VALU_DEP_1)
	v_and_b32_e32 v96, 0xff, v7
	v_cmpx_ne_u16_e32 0, v96
	s_cbranch_execz .LBB288_75
; %bb.68:                               ;   in Loop: Header=BB288_16 Depth=1
	v_mov_b32_e32 v85, 0x8000
	s_mov_b32 s21, exec_lo
	v_cmpx_ne_u16_e32 0x80, v96
	s_cbranch_execz .LBB288_74
; %bb.69:                               ;   in Loop: Header=BB288_16 Depth=1
	v_bfe_u32 v97, v32, 16, 7
	v_mov_b32_e32 v85, 0x7c01
	s_mov_b32 s22, exec_lo
	s_delay_alu instid0(VALU_DEP_2)
	v_cmpx_ne_u32_e32 0x7f, v97
	s_cbranch_execz .LBB288_73
; %bb.70:                               ;   in Loop: Header=BB288_16 Depth=1
	v_and_b32_e32 v85, 7, v7
	v_lshrrev_b32_e32 v96, 3, v97
	s_mov_b32 s23, exec_lo
	v_cmpx_gt_u32_e32 8, v97
; %bb.71:                               ;   in Loop: Header=BB288_16 Depth=1
	s_delay_alu instid0(VALU_DEP_3) | instskip(NEXT) | instid1(VALU_DEP_1)
	v_clz_i32_u32_e32 v85, v85
	v_min_u32_e32 v85, 32, v85
	s_delay_alu instid0(VALU_DEP_1) | instskip(NEXT) | instid1(VALU_DEP_1)
	v_subrev_nc_u32_e32 v96, 28, v85
	v_lshlrev_b64_e32 v[97:98], v96, v[7:8]
	v_sub_nc_u32_e32 v96, 29, v85
	s_delay_alu instid0(VALU_DEP_2)
	v_and_b32_e32 v85, 7, v97
; %bb.72:                               ;   in Loop: Header=BB288_16 Depth=1
	s_wait_alu 0xfffe
	s_or_b32 exec_lo, exec_lo, s23
	v_lshlrev_b32_e32 v7, 8, v7
	v_lshl_add_u32 v96, v96, 10, 0x2000
	v_lshlrev_b32_e32 v85, 7, v85
	s_delay_alu instid0(VALU_DEP_3) | instskip(NEXT) | instid1(VALU_DEP_3)
	v_and_b32_e32 v7, 0x8000, v7
	v_and_b32_e32 v96, 0xfc00, v96
	s_delay_alu instid0(VALU_DEP_1)
	v_or3_b32 v85, v7, v96, v85
.LBB288_73:                             ;   in Loop: Header=BB288_16 Depth=1
	s_wait_alu 0xfffe
	s_or_b32 exec_lo, exec_lo, s22
.LBB288_74:                             ;   in Loop: Header=BB288_16 Depth=1
	s_wait_alu 0xfffe
	s_or_b32 exec_lo, exec_lo, s21
.LBB288_75:                             ;   in Loop: Header=BB288_16 Depth=1
	s_wait_alu 0xfffe
	s_or_b32 exec_lo, exec_lo, s20
	v_dual_mov_b32 v97, 0 :: v_dual_mov_b32 v96, 0
	s_mov_b32 s20, exec_lo
	v_cmpx_lt_u64_e64 s[10:11], v[31:32]
	s_cbranch_execz .LBB288_83
; %bb.76:                               ;   in Loop: Header=BB288_16 Depth=1
	v_lshrrev_b32_e32 v7, 24, v32
	v_bfrev_b32_e32 v96, 1
	s_mov_b32 s21, exec_lo
	s_delay_alu instid0(VALU_DEP_2)
	v_cmpx_ne_u32_e32 0x80, v7
	s_cbranch_execz .LBB288_82
; %bb.77:                               ;   in Loop: Header=BB288_16 Depth=1
	v_and_b32_e32 v98, 0x7f, v7
	v_mov_b32_e32 v96, 0x7c010000
	s_mov_b32 s22, exec_lo
	s_delay_alu instid0(VALU_DEP_2)
	v_cmpx_ne_u32_e32 0x7f, v98
	s_cbranch_execz .LBB288_81
; %bb.78:                               ;   in Loop: Header=BB288_16 Depth=1
	v_and_b32_e32 v31, 7, v7
	v_lshrrev_b32_e32 v32, 3, v98
	s_mov_b32 s23, exec_lo
	v_cmpx_gt_u32_e32 8, v98
; %bb.79:                               ;   in Loop: Header=BB288_16 Depth=1
	s_delay_alu instid0(VALU_DEP_3) | instskip(NEXT) | instid1(VALU_DEP_1)
	v_clz_i32_u32_e32 v31, v31
	v_min_u32_e32 v96, 32, v31
	s_delay_alu instid0(VALU_DEP_1) | instskip(NEXT) | instid1(VALU_DEP_1)
	v_subrev_nc_u32_e32 v31, 28, v96
	v_lshlrev_b64_e32 v[31:32], v31, v[7:8]
	v_sub_nc_u32_e32 v32, 29, v96
	s_delay_alu instid0(VALU_DEP_2)
	v_and_b32_e32 v31, 7, v31
; %bb.80:                               ;   in Loop: Header=BB288_16 Depth=1
	s_wait_alu 0xfffe
	s_or_b32 exec_lo, exec_lo, s23
	v_lshlrev_b32_e32 v7, 8, v7
	v_lshl_add_u32 v32, v32, 10, 0x2000
	v_lshlrev_b32_e32 v31, 23, v31
	s_delay_alu instid0(VALU_DEP_2) | instskip(NEXT) | instid1(VALU_DEP_1)
	v_and_or_b32 v7, 0x8000, v7, v32
	v_lshl_or_b32 v96, v7, 16, v31
.LBB288_81:                             ;   in Loop: Header=BB288_16 Depth=1
	s_wait_alu 0xfffe
	s_or_b32 exec_lo, exec_lo, s22
.LBB288_82:                             ;   in Loop: Header=BB288_16 Depth=1
	s_wait_alu 0xfffe
	s_or_b32 exec_lo, exec_lo, s21
.LBB288_83:                             ;   in Loop: Header=BB288_16 Depth=1
	s_wait_alu 0xfffe
	s_or_b32 exec_lo, exec_lo, s20
	flat_load_b64 v[31:32], v[28:29] offset:8
	s_mov_b32 s20, exec_lo
	s_wait_loadcnt_dscnt 0x0
	v_and_b32_e32 v7, 0xff, v31
	s_delay_alu instid0(VALU_DEP_1)
	v_cmpx_ne_u16_e32 0, v7
	s_cbranch_execz .LBB288_91
; %bb.84:                               ;   in Loop: Header=BB288_16 Depth=1
	v_mov_b32_e32 v97, 0x8000
	s_mov_b32 s21, exec_lo
	v_cmpx_ne_u16_e32 0x80, v7
	s_cbranch_execz .LBB288_90
; %bb.85:                               ;   in Loop: Header=BB288_16 Depth=1
	v_and_b32_e32 v98, 0x7f, v31
	v_mov_b32_e32 v97, 0x7c01
	s_mov_b32 s22, exec_lo
	s_delay_alu instid0(VALU_DEP_2)
	v_cmpx_ne_u32_e32 0x7f, v98
	s_cbranch_execz .LBB288_89
; %bb.86:                               ;   in Loop: Header=BB288_16 Depth=1
	v_and_b32_e32 v7, 7, v31
	v_lshrrev_b32_e32 v97, 3, v98
	s_mov_b32 s23, exec_lo
	v_cmpx_gt_u32_e32 8, v98
; %bb.87:                               ;   in Loop: Header=BB288_16 Depth=1
	s_delay_alu instid0(VALU_DEP_3) | instskip(NEXT) | instid1(VALU_DEP_1)
	v_clz_i32_u32_e32 v7, v7
	v_min_u32_e32 v7, 32, v7
	s_delay_alu instid0(VALU_DEP_1) | instskip(NEXT) | instid1(VALU_DEP_1)
	v_subrev_nc_u32_e32 v97, 28, v7
	v_lshlrev_b64_e32 v[98:99], v97, v[31:32]
	v_sub_nc_u32_e32 v97, 29, v7
	s_delay_alu instid0(VALU_DEP_2)
	v_and_b32_e32 v7, 7, v98
; %bb.88:                               ;   in Loop: Header=BB288_16 Depth=1
	s_wait_alu 0xfffe
	s_or_b32 exec_lo, exec_lo, s23
	v_lshlrev_b32_e32 v98, 8, v31
	v_lshl_add_u32 v97, v97, 10, 0x2000
	v_lshlrev_b32_e32 v7, 7, v7
	s_delay_alu instid0(VALU_DEP_3) | instskip(NEXT) | instid1(VALU_DEP_3)
	v_and_b32_e32 v98, 0x8000, v98
	v_and_b32_e32 v97, 0xfc00, v97
	s_delay_alu instid0(VALU_DEP_1)
	v_or3_b32 v97, v98, v97, v7
.LBB288_89:                             ;   in Loop: Header=BB288_16 Depth=1
	s_wait_alu 0xfffe
	s_or_b32 exec_lo, exec_lo, s22
.LBB288_90:                             ;   in Loop: Header=BB288_16 Depth=1
	s_wait_alu 0xfffe
	s_or_b32 exec_lo, exec_lo, s21
.LBB288_91:                             ;   in Loop: Header=BB288_16 Depth=1
	s_wait_alu 0xfffe
	s_or_b32 exec_lo, exec_lo, s20
	v_lshrrev_b16 v7, 8, v31
	v_dual_mov_b32 v99, 0 :: v_dual_mov_b32 v98, 0
	s_mov_b32 s20, exec_lo
	s_delay_alu instid0(VALU_DEP_2)
	v_cmpx_ne_u16_e32 0, v7
	s_cbranch_execz .LBB288_99
; %bb.92:                               ;   in Loop: Header=BB288_16 Depth=1
	v_bfrev_b32_e32 v98, 1
	s_mov_b32 s21, exec_lo
	v_cmpx_ne_u16_e32 0x80, v7
	s_cbranch_execz .LBB288_98
; %bb.93:                               ;   in Loop: Header=BB288_16 Depth=1
	v_and_b32_e32 v100, 0xffff, v7
	v_mov_b32_e32 v98, 0x7c010000
	s_mov_b32 s22, exec_lo
	s_delay_alu instid0(VALU_DEP_2) | instskip(NEXT) | instid1(VALU_DEP_1)
	v_and_b32_e32 v102, 0x7f, v100
	v_cmpx_ne_u32_e32 0x7f, v102
	s_cbranch_execz .LBB288_97
; %bb.94:                               ;   in Loop: Header=BB288_16 Depth=1
	v_and_b32_e32 v98, 7, v100
	v_lshrrev_b32_e32 v101, 3, v102
	s_mov_b32 s23, exec_lo
	v_cmpx_gt_u32_e32 8, v102
; %bb.95:                               ;   in Loop: Header=BB288_16 Depth=1
	s_delay_alu instid0(VALU_DEP_3) | instskip(NEXT) | instid1(VALU_DEP_1)
	v_clz_i32_u32_e32 v98, v98
	v_min_u32_e32 v98, 32, v98
	s_delay_alu instid0(VALU_DEP_1) | instskip(NEXT) | instid1(VALU_DEP_1)
	v_subrev_nc_u32_e32 v101, 28, v98
	v_lshlrev_b64_e32 v[102:103], v101, v[7:8]
	v_sub_nc_u32_e32 v101, 29, v98
	s_delay_alu instid0(VALU_DEP_2)
	v_and_b32_e32 v98, 7, v102
; %bb.96:                               ;   in Loop: Header=BB288_16 Depth=1
	s_wait_alu 0xfffe
	s_or_b32 exec_lo, exec_lo, s23
	v_lshlrev_b32_e32 v7, 8, v100
	v_lshl_add_u32 v100, v101, 10, 0x2000
	v_lshlrev_b32_e32 v98, 23, v98
	s_delay_alu instid0(VALU_DEP_2) | instskip(NEXT) | instid1(VALU_DEP_1)
	v_and_or_b32 v7, 0x8000, v7, v100
	v_lshl_or_b32 v98, v7, 16, v98
.LBB288_97:                             ;   in Loop: Header=BB288_16 Depth=1
	s_wait_alu 0xfffe
	s_or_b32 exec_lo, exec_lo, s22
.LBB288_98:                             ;   in Loop: Header=BB288_16 Depth=1
	s_wait_alu 0xfffe
	s_or_b32 exec_lo, exec_lo, s21
.LBB288_99:                             ;   in Loop: Header=BB288_16 Depth=1
	s_wait_alu 0xfffe
	s_or_b32 exec_lo, exec_lo, s20
	v_lshrrev_b32_e32 v7, 16, v31
	s_mov_b32 s20, exec_lo
	s_delay_alu instid0(VALU_DEP_1) | instskip(NEXT) | instid1(VALU_DEP_1)
	v_and_b32_e32 v100, 0xff, v7
	v_cmpx_ne_u16_e32 0, v100
	s_cbranch_execz .LBB288_107
; %bb.100:                              ;   in Loop: Header=BB288_16 Depth=1
	v_mov_b32_e32 v99, 0x8000
	s_mov_b32 s21, exec_lo
	v_cmpx_ne_u16_e32 0x80, v100
	s_cbranch_execz .LBB288_106
; %bb.101:                              ;   in Loop: Header=BB288_16 Depth=1
	v_bfe_u32 v101, v31, 16, 7
	v_mov_b32_e32 v99, 0x7c01
	s_mov_b32 s22, exec_lo
	s_delay_alu instid0(VALU_DEP_2)
	v_cmpx_ne_u32_e32 0x7f, v101
	s_cbranch_execz .LBB288_105
; %bb.102:                              ;   in Loop: Header=BB288_16 Depth=1
	v_and_b32_e32 v99, 7, v7
	v_lshrrev_b32_e32 v100, 3, v101
	s_mov_b32 s23, exec_lo
	v_cmpx_gt_u32_e32 8, v101
; %bb.103:                              ;   in Loop: Header=BB288_16 Depth=1
	s_delay_alu instid0(VALU_DEP_3) | instskip(NEXT) | instid1(VALU_DEP_1)
	v_clz_i32_u32_e32 v99, v99
	v_min_u32_e32 v101, 32, v99
	s_delay_alu instid0(VALU_DEP_1) | instskip(NEXT) | instid1(VALU_DEP_1)
	v_subrev_nc_u32_e32 v99, 28, v101
	v_lshlrev_b64_e32 v[99:100], v99, v[7:8]
	v_sub_nc_u32_e32 v100, 29, v101
	s_delay_alu instid0(VALU_DEP_2)
	v_and_b32_e32 v99, 7, v99
; %bb.104:                              ;   in Loop: Header=BB288_16 Depth=1
	s_wait_alu 0xfffe
	s_or_b32 exec_lo, exec_lo, s23
	v_lshlrev_b32_e32 v7, 8, v7
	v_lshl_add_u32 v100, v100, 10, 0x2000
	v_lshlrev_b32_e32 v99, 7, v99
	s_delay_alu instid0(VALU_DEP_3) | instskip(NEXT) | instid1(VALU_DEP_3)
	v_and_b32_e32 v7, 0x8000, v7
	v_and_b32_e32 v100, 0xfc00, v100
	s_delay_alu instid0(VALU_DEP_1)
	v_or3_b32 v99, v7, v100, v99
.LBB288_105:                            ;   in Loop: Header=BB288_16 Depth=1
	s_wait_alu 0xfffe
	s_or_b32 exec_lo, exec_lo, s22
.LBB288_106:                            ;   in Loop: Header=BB288_16 Depth=1
	s_wait_alu 0xfffe
	s_or_b32 exec_lo, exec_lo, s21
.LBB288_107:                            ;   in Loop: Header=BB288_16 Depth=1
	s_wait_alu 0xfffe
	s_or_b32 exec_lo, exec_lo, s20
	v_dual_mov_b32 v100, 0 :: v_dual_mov_b32 v101, 0
	s_mov_b32 s20, exec_lo
	v_cmpx_lt_u32_e32 0xffffff, v31
	s_cbranch_execz .LBB288_115
; %bb.108:                              ;   in Loop: Header=BB288_16 Depth=1
	v_lshrrev_b32_e32 v7, 24, v31
	v_bfrev_b32_e32 v101, 1
	s_mov_b32 s21, exec_lo
	s_delay_alu instid0(VALU_DEP_2)
	v_cmpx_ne_u32_e32 0x80, v7
	s_cbranch_execz .LBB288_114
; %bb.109:                              ;   in Loop: Header=BB288_16 Depth=1
	v_and_b32_e32 v103, 0x7f, v7
	v_mov_b32_e32 v101, 0x7c010000
	s_mov_b32 s22, exec_lo
	s_delay_alu instid0(VALU_DEP_2)
	v_cmpx_ne_u32_e32 0x7f, v103
	s_cbranch_execz .LBB288_113
; %bb.110:                              ;   in Loop: Header=BB288_16 Depth=1
	v_and_b32_e32 v101, 7, v7
	v_lshrrev_b32_e32 v102, 3, v103
	s_mov_b32 s23, exec_lo
	v_cmpx_gt_u32_e32 8, v103
; %bb.111:                              ;   in Loop: Header=BB288_16 Depth=1
	s_delay_alu instid0(VALU_DEP_3) | instskip(NEXT) | instid1(VALU_DEP_1)
	v_clz_i32_u32_e32 v101, v101
	v_min_u32_e32 v103, 32, v101
	s_delay_alu instid0(VALU_DEP_1) | instskip(NEXT) | instid1(VALU_DEP_1)
	v_subrev_nc_u32_e32 v101, 28, v103
	v_lshlrev_b64_e32 v[101:102], v101, v[7:8]
	v_sub_nc_u32_e32 v102, 29, v103
	s_delay_alu instid0(VALU_DEP_2)
	v_and_b32_e32 v101, 7, v101
; %bb.112:                              ;   in Loop: Header=BB288_16 Depth=1
	s_wait_alu 0xfffe
	s_or_b32 exec_lo, exec_lo, s23
	v_lshlrev_b32_e32 v7, 8, v7
	v_lshl_add_u32 v102, v102, 10, 0x2000
	v_lshlrev_b32_e32 v101, 23, v101
	s_delay_alu instid0(VALU_DEP_2) | instskip(NEXT) | instid1(VALU_DEP_1)
	v_and_or_b32 v7, 0x8000, v7, v102
	v_lshl_or_b32 v101, v7, 16, v101
.LBB288_113:                            ;   in Loop: Header=BB288_16 Depth=1
	s_wait_alu 0xfffe
	s_or_b32 exec_lo, exec_lo, s22
.LBB288_114:                            ;   in Loop: Header=BB288_16 Depth=1
	s_wait_alu 0xfffe
	s_or_b32 exec_lo, exec_lo, s21
.LBB288_115:                            ;   in Loop: Header=BB288_16 Depth=1
	s_wait_alu 0xfffe
	s_or_b32 exec_lo, exec_lo, s20
	v_dual_mov_b32 v7, v32 :: v_dual_and_b32 v102, 0xff, v32
	s_mov_b32 s20, exec_lo
	s_delay_alu instid0(VALU_DEP_1)
	v_cmpx_ne_u16_e32 0, v102
	s_cbranch_execz .LBB288_123
; %bb.116:                              ;   in Loop: Header=BB288_16 Depth=1
	v_mov_b32_e32 v100, 0x8000
	s_mov_b32 s21, exec_lo
	v_cmpx_ne_u16_e32 0x80, v102
	s_cbranch_execz .LBB288_122
; %bb.117:                              ;   in Loop: Header=BB288_16 Depth=1
	v_and_b32_e32 v103, 0x7f, v32
	v_mov_b32_e32 v100, 0x7c01
	s_mov_b32 s22, exec_lo
	s_delay_alu instid0(VALU_DEP_2)
	v_cmpx_ne_u32_e32 0x7f, v103
	s_cbranch_execz .LBB288_121
; %bb.118:                              ;   in Loop: Header=BB288_16 Depth=1
	v_and_b32_e32 v100, 7, v32
	v_lshrrev_b32_e32 v102, 3, v103
	s_mov_b32 s23, exec_lo
	v_cmpx_gt_u32_e32 8, v103
; %bb.119:                              ;   in Loop: Header=BB288_16 Depth=1
	s_delay_alu instid0(VALU_DEP_3) | instskip(NEXT) | instid1(VALU_DEP_1)
	v_clz_i32_u32_e32 v100, v100
	v_min_u32_e32 v100, 32, v100
	s_delay_alu instid0(VALU_DEP_1) | instskip(NEXT) | instid1(VALU_DEP_1)
	v_subrev_nc_u32_e32 v102, 28, v100
	v_lshlrev_b64_e32 v[112:113], v102, v[7:8]
	v_sub_nc_u32_e32 v102, 29, v100
	s_delay_alu instid0(VALU_DEP_2)
	v_and_b32_e32 v100, 7, v112
; %bb.120:                              ;   in Loop: Header=BB288_16 Depth=1
	s_wait_alu 0xfffe
	s_or_b32 exec_lo, exec_lo, s23
	v_lshlrev_b32_e32 v103, 8, v32
	v_lshl_add_u32 v102, v102, 10, 0x2000
	v_lshlrev_b32_e32 v100, 7, v100
	s_delay_alu instid0(VALU_DEP_3) | instskip(NEXT) | instid1(VALU_DEP_3)
	v_and_b32_e32 v103, 0x8000, v103
	v_and_b32_e32 v102, 0xfc00, v102
	s_delay_alu instid0(VALU_DEP_1)
	v_or3_b32 v100, v103, v102, v100
.LBB288_121:                            ;   in Loop: Header=BB288_16 Depth=1
	s_wait_alu 0xfffe
	s_or_b32 exec_lo, exec_lo, s22
.LBB288_122:                            ;   in Loop: Header=BB288_16 Depth=1
	s_wait_alu 0xfffe
	s_or_b32 exec_lo, exec_lo, s21
.LBB288_123:                            ;   in Loop: Header=BB288_16 Depth=1
	s_wait_alu 0xfffe
	s_or_b32 exec_lo, exec_lo, s20
	v_lshrrev_b16 v7, 8, v7
	v_dual_mov_b32 v102, 0 :: v_dual_mov_b32 v103, 0
	s_mov_b32 s20, exec_lo
	s_delay_alu instid0(VALU_DEP_2)
	v_cmpx_ne_u16_e32 0, v7
	s_cbranch_execz .LBB288_131
; %bb.124:                              ;   in Loop: Header=BB288_16 Depth=1
	v_bfrev_b32_e32 v103, 1
	s_mov_b32 s21, exec_lo
	v_cmpx_ne_u16_e32 0x80, v7
	s_cbranch_execz .LBB288_130
; %bb.125:                              ;   in Loop: Header=BB288_16 Depth=1
	v_and_b32_e32 v112, 0xffff, v7
	v_mov_b32_e32 v103, 0x7c010000
	s_mov_b32 s22, exec_lo
	s_delay_alu instid0(VALU_DEP_2) | instskip(NEXT) | instid1(VALU_DEP_1)
	v_and_b32_e32 v114, 0x7f, v112
	v_cmpx_ne_u32_e32 0x7f, v114
	s_cbranch_execz .LBB288_129
; %bb.126:                              ;   in Loop: Header=BB288_16 Depth=1
	v_and_b32_e32 v103, 7, v112
	v_lshrrev_b32_e32 v113, 3, v114
	s_mov_b32 s23, exec_lo
	v_cmpx_gt_u32_e32 8, v114
; %bb.127:                              ;   in Loop: Header=BB288_16 Depth=1
	s_delay_alu instid0(VALU_DEP_3) | instskip(NEXT) | instid1(VALU_DEP_1)
	v_clz_i32_u32_e32 v103, v103
	v_min_u32_e32 v103, 32, v103
	s_delay_alu instid0(VALU_DEP_1) | instskip(NEXT) | instid1(VALU_DEP_1)
	v_subrev_nc_u32_e32 v113, 28, v103
	v_lshlrev_b64_e32 v[114:115], v113, v[7:8]
	v_sub_nc_u32_e32 v113, 29, v103
	s_delay_alu instid0(VALU_DEP_2)
	v_and_b32_e32 v103, 7, v114
; %bb.128:                              ;   in Loop: Header=BB288_16 Depth=1
	s_wait_alu 0xfffe
	s_or_b32 exec_lo, exec_lo, s23
	v_lshlrev_b32_e32 v7, 8, v112
	v_lshl_add_u32 v112, v113, 10, 0x2000
	v_lshlrev_b32_e32 v103, 23, v103
	s_delay_alu instid0(VALU_DEP_2) | instskip(NEXT) | instid1(VALU_DEP_1)
	v_and_or_b32 v7, 0x8000, v7, v112
	v_lshl_or_b32 v103, v7, 16, v103
.LBB288_129:                            ;   in Loop: Header=BB288_16 Depth=1
	s_wait_alu 0xfffe
	s_or_b32 exec_lo, exec_lo, s22
.LBB288_130:                            ;   in Loop: Header=BB288_16 Depth=1
	s_wait_alu 0xfffe
	s_or_b32 exec_lo, exec_lo, s21
.LBB288_131:                            ;   in Loop: Header=BB288_16 Depth=1
	s_wait_alu 0xfffe
	s_or_b32 exec_lo, exec_lo, s20
	v_lshrrev_b32_e32 v7, 16, v32
	s_mov_b32 s20, exec_lo
	s_delay_alu instid0(VALU_DEP_1) | instskip(NEXT) | instid1(VALU_DEP_1)
	v_and_b32_e32 v112, 0xff, v7
	v_cmpx_ne_u16_e32 0, v112
	s_cbranch_execz .LBB288_139
; %bb.132:                              ;   in Loop: Header=BB288_16 Depth=1
	v_mov_b32_e32 v102, 0x8000
	s_mov_b32 s21, exec_lo
	v_cmpx_ne_u16_e32 0x80, v112
	s_cbranch_execz .LBB288_138
; %bb.133:                              ;   in Loop: Header=BB288_16 Depth=1
	v_bfe_u32 v113, v32, 16, 7
	v_mov_b32_e32 v102, 0x7c01
	s_mov_b32 s22, exec_lo
	s_delay_alu instid0(VALU_DEP_2)
	v_cmpx_ne_u32_e32 0x7f, v113
	s_cbranch_execz .LBB288_137
; %bb.134:                              ;   in Loop: Header=BB288_16 Depth=1
	v_and_b32_e32 v102, 7, v7
	v_lshrrev_b32_e32 v112, 3, v113
	s_mov_b32 s23, exec_lo
	v_cmpx_gt_u32_e32 8, v113
; %bb.135:                              ;   in Loop: Header=BB288_16 Depth=1
	s_delay_alu instid0(VALU_DEP_3) | instskip(NEXT) | instid1(VALU_DEP_1)
	v_clz_i32_u32_e32 v102, v102
	v_min_u32_e32 v102, 32, v102
	s_delay_alu instid0(VALU_DEP_1) | instskip(NEXT) | instid1(VALU_DEP_1)
	v_subrev_nc_u32_e32 v112, 28, v102
	v_lshlrev_b64_e32 v[113:114], v112, v[7:8]
	v_sub_nc_u32_e32 v112, 29, v102
	s_delay_alu instid0(VALU_DEP_2)
	v_and_b32_e32 v102, 7, v113
; %bb.136:                              ;   in Loop: Header=BB288_16 Depth=1
	s_wait_alu 0xfffe
	s_or_b32 exec_lo, exec_lo, s23
	v_lshlrev_b32_e32 v7, 8, v7
	v_lshl_add_u32 v112, v112, 10, 0x2000
	v_lshlrev_b32_e32 v102, 7, v102
	s_delay_alu instid0(VALU_DEP_3) | instskip(NEXT) | instid1(VALU_DEP_3)
	v_and_b32_e32 v7, 0x8000, v7
	v_and_b32_e32 v112, 0xfc00, v112
	s_delay_alu instid0(VALU_DEP_1)
	v_or3_b32 v102, v7, v112, v102
.LBB288_137:                            ;   in Loop: Header=BB288_16 Depth=1
	s_wait_alu 0xfffe
	s_or_b32 exec_lo, exec_lo, s22
.LBB288_138:                            ;   in Loop: Header=BB288_16 Depth=1
	s_wait_alu 0xfffe
	s_or_b32 exec_lo, exec_lo, s21
.LBB288_139:                            ;   in Loop: Header=BB288_16 Depth=1
	s_wait_alu 0xfffe
	s_or_b32 exec_lo, exec_lo, s20
	v_dual_mov_b32 v113, 0 :: v_dual_mov_b32 v112, 0
	s_mov_b32 s20, exec_lo
	v_cmpx_lt_u64_e64 s[10:11], v[31:32]
	s_cbranch_execz .LBB288_147
; %bb.140:                              ;   in Loop: Header=BB288_16 Depth=1
	v_lshrrev_b32_e32 v7, 24, v32
	v_bfrev_b32_e32 v112, 1
	s_mov_b32 s21, exec_lo
	s_delay_alu instid0(VALU_DEP_2)
	v_cmpx_ne_u32_e32 0x80, v7
	s_cbranch_execz .LBB288_146
; %bb.141:                              ;   in Loop: Header=BB288_16 Depth=1
	v_and_b32_e32 v114, 0x7f, v7
	v_mov_b32_e32 v112, 0x7c010000
	s_mov_b32 s22, exec_lo
	s_delay_alu instid0(VALU_DEP_2)
	v_cmpx_ne_u32_e32 0x7f, v114
	s_cbranch_execz .LBB288_145
; %bb.142:                              ;   in Loop: Header=BB288_16 Depth=1
	v_and_b32_e32 v31, 7, v7
	v_lshrrev_b32_e32 v32, 3, v114
	s_mov_b32 s23, exec_lo
	v_cmpx_gt_u32_e32 8, v114
; %bb.143:                              ;   in Loop: Header=BB288_16 Depth=1
	s_delay_alu instid0(VALU_DEP_3) | instskip(NEXT) | instid1(VALU_DEP_1)
	v_clz_i32_u32_e32 v31, v31
	v_min_u32_e32 v112, 32, v31
	s_delay_alu instid0(VALU_DEP_1) | instskip(NEXT) | instid1(VALU_DEP_1)
	v_subrev_nc_u32_e32 v31, 28, v112
	v_lshlrev_b64_e32 v[31:32], v31, v[7:8]
	v_sub_nc_u32_e32 v32, 29, v112
	s_delay_alu instid0(VALU_DEP_2)
	v_and_b32_e32 v31, 7, v31
; %bb.144:                              ;   in Loop: Header=BB288_16 Depth=1
	s_wait_alu 0xfffe
	s_or_b32 exec_lo, exec_lo, s23
	v_lshlrev_b32_e32 v7, 8, v7
	v_lshl_add_u32 v32, v32, 10, 0x2000
	v_lshlrev_b32_e32 v31, 23, v31
	s_delay_alu instid0(VALU_DEP_2) | instskip(NEXT) | instid1(VALU_DEP_1)
	v_and_or_b32 v7, 0x8000, v7, v32
	v_lshl_or_b32 v112, v7, 16, v31
.LBB288_145:                            ;   in Loop: Header=BB288_16 Depth=1
	s_wait_alu 0xfffe
	s_or_b32 exec_lo, exec_lo, s22
.LBB288_146:                            ;   in Loop: Header=BB288_16 Depth=1
	s_wait_alu 0xfffe
	s_or_b32 exec_lo, exec_lo, s21
.LBB288_147:                            ;   in Loop: Header=BB288_16 Depth=1
	s_wait_alu 0xfffe
	s_or_b32 exec_lo, exec_lo, s20
	flat_load_b64 v[31:32], v[28:29] offset:512
	s_mov_b32 s20, exec_lo
	s_wait_loadcnt_dscnt 0x0
	v_and_b32_e32 v7, 0xff, v31
	s_delay_alu instid0(VALU_DEP_1)
	v_cmpx_ne_u16_e32 0, v7
	s_cbranch_execz .LBB288_155
; %bb.148:                              ;   in Loop: Header=BB288_16 Depth=1
	v_mov_b32_e32 v113, 0x8000
	s_mov_b32 s21, exec_lo
	v_cmpx_ne_u16_e32 0x80, v7
	s_cbranch_execz .LBB288_154
; %bb.149:                              ;   in Loop: Header=BB288_16 Depth=1
	v_and_b32_e32 v114, 0x7f, v31
	v_mov_b32_e32 v113, 0x7c01
	s_mov_b32 s22, exec_lo
	s_delay_alu instid0(VALU_DEP_2)
	v_cmpx_ne_u32_e32 0x7f, v114
	s_cbranch_execz .LBB288_153
; %bb.150:                              ;   in Loop: Header=BB288_16 Depth=1
	v_and_b32_e32 v7, 7, v31
	v_lshrrev_b32_e32 v113, 3, v114
	s_mov_b32 s23, exec_lo
	v_cmpx_gt_u32_e32 8, v114
; %bb.151:                              ;   in Loop: Header=BB288_16 Depth=1
	s_delay_alu instid0(VALU_DEP_3) | instskip(NEXT) | instid1(VALU_DEP_1)
	v_clz_i32_u32_e32 v7, v7
	v_min_u32_e32 v7, 32, v7
	s_delay_alu instid0(VALU_DEP_1) | instskip(NEXT) | instid1(VALU_DEP_1)
	v_subrev_nc_u32_e32 v113, 28, v7
	v_lshlrev_b64_e32 v[114:115], v113, v[31:32]
	v_sub_nc_u32_e32 v113, 29, v7
	s_delay_alu instid0(VALU_DEP_2)
	v_and_b32_e32 v7, 7, v114
; %bb.152:                              ;   in Loop: Header=BB288_16 Depth=1
	s_wait_alu 0xfffe
	s_or_b32 exec_lo, exec_lo, s23
	v_lshlrev_b32_e32 v114, 8, v31
	v_lshl_add_u32 v113, v113, 10, 0x2000
	v_lshlrev_b32_e32 v7, 7, v7
	s_delay_alu instid0(VALU_DEP_3) | instskip(NEXT) | instid1(VALU_DEP_3)
	v_and_b32_e32 v114, 0x8000, v114
	v_and_b32_e32 v113, 0xfc00, v113
	s_delay_alu instid0(VALU_DEP_1)
	v_or3_b32 v113, v114, v113, v7
.LBB288_153:                            ;   in Loop: Header=BB288_16 Depth=1
	s_wait_alu 0xfffe
	s_or_b32 exec_lo, exec_lo, s22
.LBB288_154:                            ;   in Loop: Header=BB288_16 Depth=1
	s_wait_alu 0xfffe
	s_or_b32 exec_lo, exec_lo, s21
.LBB288_155:                            ;   in Loop: Header=BB288_16 Depth=1
	s_wait_alu 0xfffe
	s_or_b32 exec_lo, exec_lo, s20
	v_lshrrev_b16 v7, 8, v31
	v_dual_mov_b32 v115, 0 :: v_dual_mov_b32 v114, 0
	s_mov_b32 s20, exec_lo
	s_delay_alu instid0(VALU_DEP_2)
	v_cmpx_ne_u16_e32 0, v7
	s_cbranch_execz .LBB288_163
; %bb.156:                              ;   in Loop: Header=BB288_16 Depth=1
	v_bfrev_b32_e32 v114, 1
	s_mov_b32 s21, exec_lo
	v_cmpx_ne_u16_e32 0x80, v7
	s_cbranch_execz .LBB288_162
; %bb.157:                              ;   in Loop: Header=BB288_16 Depth=1
	v_and_b32_e32 v116, 0xffff, v7
	v_mov_b32_e32 v114, 0x7c010000
	s_mov_b32 s22, exec_lo
	s_delay_alu instid0(VALU_DEP_2) | instskip(NEXT) | instid1(VALU_DEP_1)
	v_and_b32_e32 v118, 0x7f, v116
	v_cmpx_ne_u32_e32 0x7f, v118
	s_cbranch_execz .LBB288_161
; %bb.158:                              ;   in Loop: Header=BB288_16 Depth=1
	v_and_b32_e32 v114, 7, v116
	v_lshrrev_b32_e32 v117, 3, v118
	s_mov_b32 s23, exec_lo
	v_cmpx_gt_u32_e32 8, v118
; %bb.159:                              ;   in Loop: Header=BB288_16 Depth=1
	s_delay_alu instid0(VALU_DEP_3) | instskip(NEXT) | instid1(VALU_DEP_1)
	v_clz_i32_u32_e32 v114, v114
	v_min_u32_e32 v114, 32, v114
	s_delay_alu instid0(VALU_DEP_1) | instskip(NEXT) | instid1(VALU_DEP_1)
	v_subrev_nc_u32_e32 v117, 28, v114
	v_lshlrev_b64_e32 v[118:119], v117, v[7:8]
	v_sub_nc_u32_e32 v117, 29, v114
	s_delay_alu instid0(VALU_DEP_2)
	v_and_b32_e32 v114, 7, v118
; %bb.160:                              ;   in Loop: Header=BB288_16 Depth=1
	s_wait_alu 0xfffe
	s_or_b32 exec_lo, exec_lo, s23
	v_lshlrev_b32_e32 v7, 8, v116
	v_lshl_add_u32 v116, v117, 10, 0x2000
	v_lshlrev_b32_e32 v114, 23, v114
	s_delay_alu instid0(VALU_DEP_2) | instskip(NEXT) | instid1(VALU_DEP_1)
	v_and_or_b32 v7, 0x8000, v7, v116
	v_lshl_or_b32 v114, v7, 16, v114
.LBB288_161:                            ;   in Loop: Header=BB288_16 Depth=1
	s_wait_alu 0xfffe
	s_or_b32 exec_lo, exec_lo, s22
.LBB288_162:                            ;   in Loop: Header=BB288_16 Depth=1
	s_wait_alu 0xfffe
	s_or_b32 exec_lo, exec_lo, s21
.LBB288_163:                            ;   in Loop: Header=BB288_16 Depth=1
	s_wait_alu 0xfffe
	s_or_b32 exec_lo, exec_lo, s20
	v_lshrrev_b32_e32 v7, 16, v31
	s_mov_b32 s20, exec_lo
	s_delay_alu instid0(VALU_DEP_1) | instskip(NEXT) | instid1(VALU_DEP_1)
	v_and_b32_e32 v116, 0xff, v7
	v_cmpx_ne_u16_e32 0, v116
	s_cbranch_execz .LBB288_171
; %bb.164:                              ;   in Loop: Header=BB288_16 Depth=1
	v_mov_b32_e32 v115, 0x8000
	s_mov_b32 s21, exec_lo
	v_cmpx_ne_u16_e32 0x80, v116
	s_cbranch_execz .LBB288_170
; %bb.165:                              ;   in Loop: Header=BB288_16 Depth=1
	v_bfe_u32 v117, v31, 16, 7
	v_mov_b32_e32 v115, 0x7c01
	s_mov_b32 s22, exec_lo
	s_delay_alu instid0(VALU_DEP_2)
	v_cmpx_ne_u32_e32 0x7f, v117
	s_cbranch_execz .LBB288_169
; %bb.166:                              ;   in Loop: Header=BB288_16 Depth=1
	v_and_b32_e32 v115, 7, v7
	v_lshrrev_b32_e32 v116, 3, v117
	s_mov_b32 s23, exec_lo
	v_cmpx_gt_u32_e32 8, v117
; %bb.167:                              ;   in Loop: Header=BB288_16 Depth=1
	s_delay_alu instid0(VALU_DEP_3) | instskip(NEXT) | instid1(VALU_DEP_1)
	v_clz_i32_u32_e32 v115, v115
	v_min_u32_e32 v117, 32, v115
	s_delay_alu instid0(VALU_DEP_1) | instskip(NEXT) | instid1(VALU_DEP_1)
	v_subrev_nc_u32_e32 v115, 28, v117
	v_lshlrev_b64_e32 v[115:116], v115, v[7:8]
	v_sub_nc_u32_e32 v116, 29, v117
	s_delay_alu instid0(VALU_DEP_2)
	v_and_b32_e32 v115, 7, v115
; %bb.168:                              ;   in Loop: Header=BB288_16 Depth=1
	s_wait_alu 0xfffe
	s_or_b32 exec_lo, exec_lo, s23
	v_lshlrev_b32_e32 v7, 8, v7
	v_lshl_add_u32 v116, v116, 10, 0x2000
	v_lshlrev_b32_e32 v115, 7, v115
	s_delay_alu instid0(VALU_DEP_3) | instskip(NEXT) | instid1(VALU_DEP_3)
	v_and_b32_e32 v7, 0x8000, v7
	v_and_b32_e32 v116, 0xfc00, v116
	s_delay_alu instid0(VALU_DEP_1)
	v_or3_b32 v115, v7, v116, v115
.LBB288_169:                            ;   in Loop: Header=BB288_16 Depth=1
	s_wait_alu 0xfffe
	s_or_b32 exec_lo, exec_lo, s22
.LBB288_170:                            ;   in Loop: Header=BB288_16 Depth=1
	s_wait_alu 0xfffe
	s_or_b32 exec_lo, exec_lo, s21
.LBB288_171:                            ;   in Loop: Header=BB288_16 Depth=1
	s_wait_alu 0xfffe
	s_or_b32 exec_lo, exec_lo, s20
	v_dual_mov_b32 v116, 0 :: v_dual_mov_b32 v117, 0
	s_mov_b32 s20, exec_lo
	v_cmpx_lt_u32_e32 0xffffff, v31
	s_cbranch_execz .LBB288_179
; %bb.172:                              ;   in Loop: Header=BB288_16 Depth=1
	v_lshrrev_b32_e32 v7, 24, v31
	v_bfrev_b32_e32 v117, 1
	s_mov_b32 s21, exec_lo
	s_delay_alu instid0(VALU_DEP_2)
	v_cmpx_ne_u32_e32 0x80, v7
	s_cbranch_execz .LBB288_178
; %bb.173:                              ;   in Loop: Header=BB288_16 Depth=1
	v_and_b32_e32 v119, 0x7f, v7
	v_mov_b32_e32 v117, 0x7c010000
	s_mov_b32 s22, exec_lo
	s_delay_alu instid0(VALU_DEP_2)
	v_cmpx_ne_u32_e32 0x7f, v119
	s_cbranch_execz .LBB288_177
; %bb.174:                              ;   in Loop: Header=BB288_16 Depth=1
	v_and_b32_e32 v117, 7, v7
	v_lshrrev_b32_e32 v118, 3, v119
	s_mov_b32 s23, exec_lo
	v_cmpx_gt_u32_e32 8, v119
; %bb.175:                              ;   in Loop: Header=BB288_16 Depth=1
	s_delay_alu instid0(VALU_DEP_3) | instskip(NEXT) | instid1(VALU_DEP_1)
	v_clz_i32_u32_e32 v117, v117
	v_min_u32_e32 v119, 32, v117
	s_delay_alu instid0(VALU_DEP_1) | instskip(NEXT) | instid1(VALU_DEP_1)
	v_subrev_nc_u32_e32 v117, 28, v119
	v_lshlrev_b64_e32 v[117:118], v117, v[7:8]
	v_sub_nc_u32_e32 v118, 29, v119
	s_delay_alu instid0(VALU_DEP_2)
	v_and_b32_e32 v117, 7, v117
; %bb.176:                              ;   in Loop: Header=BB288_16 Depth=1
	s_wait_alu 0xfffe
	s_or_b32 exec_lo, exec_lo, s23
	v_lshlrev_b32_e32 v7, 8, v7
	v_lshl_add_u32 v118, v118, 10, 0x2000
	v_lshlrev_b32_e32 v117, 23, v117
	s_delay_alu instid0(VALU_DEP_2) | instskip(NEXT) | instid1(VALU_DEP_1)
	v_and_or_b32 v7, 0x8000, v7, v118
	v_lshl_or_b32 v117, v7, 16, v117
.LBB288_177:                            ;   in Loop: Header=BB288_16 Depth=1
	s_wait_alu 0xfffe
	s_or_b32 exec_lo, exec_lo, s22
.LBB288_178:                            ;   in Loop: Header=BB288_16 Depth=1
	s_wait_alu 0xfffe
	s_or_b32 exec_lo, exec_lo, s21
.LBB288_179:                            ;   in Loop: Header=BB288_16 Depth=1
	s_wait_alu 0xfffe
	s_or_b32 exec_lo, exec_lo, s20
	v_dual_mov_b32 v7, v32 :: v_dual_and_b32 v118, 0xff, v32
	s_mov_b32 s20, exec_lo
	s_delay_alu instid0(VALU_DEP_1)
	v_cmpx_ne_u16_e32 0, v118
	s_cbranch_execz .LBB288_187
; %bb.180:                              ;   in Loop: Header=BB288_16 Depth=1
	v_mov_b32_e32 v116, 0x8000
	s_mov_b32 s21, exec_lo
	v_cmpx_ne_u16_e32 0x80, v118
	s_cbranch_execz .LBB288_186
; %bb.181:                              ;   in Loop: Header=BB288_16 Depth=1
	v_and_b32_e32 v119, 0x7f, v32
	v_mov_b32_e32 v116, 0x7c01
	s_mov_b32 s22, exec_lo
	s_delay_alu instid0(VALU_DEP_2)
	v_cmpx_ne_u32_e32 0x7f, v119
	s_cbranch_execz .LBB288_185
; %bb.182:                              ;   in Loop: Header=BB288_16 Depth=1
	v_and_b32_e32 v116, 7, v32
	v_lshrrev_b32_e32 v118, 3, v119
	s_mov_b32 s23, exec_lo
	v_cmpx_gt_u32_e32 8, v119
; %bb.183:                              ;   in Loop: Header=BB288_16 Depth=1
	s_delay_alu instid0(VALU_DEP_3) | instskip(NEXT) | instid1(VALU_DEP_1)
	v_clz_i32_u32_e32 v116, v116
	v_min_u32_e32 v116, 32, v116
	s_delay_alu instid0(VALU_DEP_1) | instskip(NEXT) | instid1(VALU_DEP_1)
	v_subrev_nc_u32_e32 v118, 28, v116
	v_lshlrev_b64_e32 v[128:129], v118, v[7:8]
	v_sub_nc_u32_e32 v118, 29, v116
	s_delay_alu instid0(VALU_DEP_2)
	v_and_b32_e32 v116, 7, v128
; %bb.184:                              ;   in Loop: Header=BB288_16 Depth=1
	s_wait_alu 0xfffe
	s_or_b32 exec_lo, exec_lo, s23
	v_lshlrev_b32_e32 v119, 8, v32
	v_lshl_add_u32 v118, v118, 10, 0x2000
	v_lshlrev_b32_e32 v116, 7, v116
	s_delay_alu instid0(VALU_DEP_3) | instskip(NEXT) | instid1(VALU_DEP_3)
	v_and_b32_e32 v119, 0x8000, v119
	v_and_b32_e32 v118, 0xfc00, v118
	s_delay_alu instid0(VALU_DEP_1)
	v_or3_b32 v116, v119, v118, v116
.LBB288_185:                            ;   in Loop: Header=BB288_16 Depth=1
	s_wait_alu 0xfffe
	s_or_b32 exec_lo, exec_lo, s22
.LBB288_186:                            ;   in Loop: Header=BB288_16 Depth=1
	s_wait_alu 0xfffe
	s_or_b32 exec_lo, exec_lo, s21
.LBB288_187:                            ;   in Loop: Header=BB288_16 Depth=1
	s_wait_alu 0xfffe
	s_or_b32 exec_lo, exec_lo, s20
	v_lshrrev_b16 v7, 8, v7
	v_dual_mov_b32 v118, 0 :: v_dual_mov_b32 v119, 0
	s_mov_b32 s20, exec_lo
	s_delay_alu instid0(VALU_DEP_2)
	v_cmpx_ne_u16_e32 0, v7
	s_cbranch_execz .LBB288_195
; %bb.188:                              ;   in Loop: Header=BB288_16 Depth=1
	v_bfrev_b32_e32 v119, 1
	s_mov_b32 s21, exec_lo
	v_cmpx_ne_u16_e32 0x80, v7
	s_cbranch_execz .LBB288_194
; %bb.189:                              ;   in Loop: Header=BB288_16 Depth=1
	v_and_b32_e32 v128, 0xffff, v7
	v_mov_b32_e32 v119, 0x7c010000
	s_mov_b32 s22, exec_lo
	s_delay_alu instid0(VALU_DEP_2) | instskip(NEXT) | instid1(VALU_DEP_1)
	v_and_b32_e32 v130, 0x7f, v128
	v_cmpx_ne_u32_e32 0x7f, v130
	s_cbranch_execz .LBB288_193
; %bb.190:                              ;   in Loop: Header=BB288_16 Depth=1
	v_and_b32_e32 v119, 7, v128
	v_lshrrev_b32_e32 v129, 3, v130
	s_mov_b32 s23, exec_lo
	v_cmpx_gt_u32_e32 8, v130
; %bb.191:                              ;   in Loop: Header=BB288_16 Depth=1
	s_delay_alu instid0(VALU_DEP_3) | instskip(NEXT) | instid1(VALU_DEP_1)
	v_clz_i32_u32_e32 v119, v119
	v_min_u32_e32 v119, 32, v119
	s_delay_alu instid0(VALU_DEP_1) | instskip(NEXT) | instid1(VALU_DEP_1)
	v_subrev_nc_u32_e32 v129, 28, v119
	v_lshlrev_b64_e32 v[130:131], v129, v[7:8]
	v_sub_nc_u32_e32 v129, 29, v119
	s_delay_alu instid0(VALU_DEP_2)
	v_and_b32_e32 v119, 7, v130
; %bb.192:                              ;   in Loop: Header=BB288_16 Depth=1
	s_wait_alu 0xfffe
	s_or_b32 exec_lo, exec_lo, s23
	v_lshlrev_b32_e32 v7, 8, v128
	v_lshl_add_u32 v128, v129, 10, 0x2000
	v_lshlrev_b32_e32 v119, 23, v119
	s_delay_alu instid0(VALU_DEP_2) | instskip(NEXT) | instid1(VALU_DEP_1)
	v_and_or_b32 v7, 0x8000, v7, v128
	v_lshl_or_b32 v119, v7, 16, v119
.LBB288_193:                            ;   in Loop: Header=BB288_16 Depth=1
	s_wait_alu 0xfffe
	s_or_b32 exec_lo, exec_lo, s22
.LBB288_194:                            ;   in Loop: Header=BB288_16 Depth=1
	s_wait_alu 0xfffe
	s_or_b32 exec_lo, exec_lo, s21
.LBB288_195:                            ;   in Loop: Header=BB288_16 Depth=1
	s_wait_alu 0xfffe
	s_or_b32 exec_lo, exec_lo, s20
	v_lshrrev_b32_e32 v7, 16, v32
	s_mov_b32 s20, exec_lo
	s_delay_alu instid0(VALU_DEP_1) | instskip(NEXT) | instid1(VALU_DEP_1)
	v_and_b32_e32 v128, 0xff, v7
	v_cmpx_ne_u16_e64 0, v128
	s_cbranch_execz .LBB288_203
; %bb.196:                              ;   in Loop: Header=BB288_16 Depth=1
	v_mov_b32_e32 v118, 0x8000
	s_mov_b32 s21, exec_lo
	v_cmpx_ne_u16_e64 0x80, v128
	s_cbranch_execz .LBB288_202
; %bb.197:                              ;   in Loop: Header=BB288_16 Depth=1
	v_bfe_u32 v129, v32, 16, 7
	v_mov_b32_e32 v118, 0x7c01
	s_mov_b32 s22, exec_lo
	s_delay_alu instid0(VALU_DEP_2)
	v_cmpx_ne_u32_e32 0x7f, v129
	s_cbranch_execz .LBB288_201
; %bb.198:                              ;   in Loop: Header=BB288_16 Depth=1
	v_and_b32_e32 v118, 7, v7
	v_lshrrev_b32_e32 v128, 3, v129
	s_mov_b32 s23, exec_lo
	v_cmpx_gt_u32_e32 8, v129
; %bb.199:                              ;   in Loop: Header=BB288_16 Depth=1
	s_delay_alu instid0(VALU_DEP_3) | instskip(NEXT) | instid1(VALU_DEP_1)
	v_clz_i32_u32_e32 v118, v118
	v_min_u32_e32 v118, 32, v118
	s_delay_alu instid0(VALU_DEP_1) | instskip(NEXT) | instid1(VALU_DEP_1)
	v_subrev_nc_u32_e32 v128, 28, v118
	v_lshlrev_b64_e32 v[129:130], v128, v[7:8]
	v_sub_nc_u32_e32 v128, 29, v118
	s_delay_alu instid0(VALU_DEP_2)
	v_and_b32_e32 v118, 7, v129
; %bb.200:                              ;   in Loop: Header=BB288_16 Depth=1
	s_wait_alu 0xfffe
	s_or_b32 exec_lo, exec_lo, s23
	v_lshlrev_b32_e32 v7, 8, v7
	v_lshl_add_u32 v128, v128, 10, 0x2000
	v_lshlrev_b32_e32 v118, 7, v118
	s_delay_alu instid0(VALU_DEP_3) | instskip(NEXT) | instid1(VALU_DEP_3)
	v_and_b32_e32 v7, 0x8000, v7
	v_and_b32_e32 v128, 0xfc00, v128
	s_delay_alu instid0(VALU_DEP_1)
	v_or3_b32 v118, v7, v128, v118
.LBB288_201:                            ;   in Loop: Header=BB288_16 Depth=1
	s_wait_alu 0xfffe
	s_or_b32 exec_lo, exec_lo, s22
.LBB288_202:                            ;   in Loop: Header=BB288_16 Depth=1
	s_wait_alu 0xfffe
	s_or_b32 exec_lo, exec_lo, s21
.LBB288_203:                            ;   in Loop: Header=BB288_16 Depth=1
	s_wait_alu 0xfffe
	s_or_b32 exec_lo, exec_lo, s20
	v_dual_mov_b32 v129, 0 :: v_dual_mov_b32 v128, 0
	s_mov_b32 s20, exec_lo
	v_cmpx_lt_u64_e64 s[10:11], v[31:32]
	s_cbranch_execz .LBB288_211
; %bb.204:                              ;   in Loop: Header=BB288_16 Depth=1
	v_lshrrev_b32_e32 v7, 24, v32
	v_bfrev_b32_e32 v128, 1
	s_mov_b32 s21, exec_lo
	s_delay_alu instid0(VALU_DEP_2)
	v_cmpx_ne_u32_e32 0x80, v7
	s_cbranch_execz .LBB288_210
; %bb.205:                              ;   in Loop: Header=BB288_16 Depth=1
	v_and_b32_e32 v130, 0x7f, v7
	v_mov_b32_e32 v128, 0x7c010000
	s_mov_b32 s22, exec_lo
	s_delay_alu instid0(VALU_DEP_2)
	v_cmpx_ne_u32_e32 0x7f, v130
	s_cbranch_execz .LBB288_209
; %bb.206:                              ;   in Loop: Header=BB288_16 Depth=1
	v_and_b32_e32 v31, 7, v7
	v_lshrrev_b32_e32 v32, 3, v130
	s_mov_b32 s23, exec_lo
	v_cmpx_gt_u32_e32 8, v130
; %bb.207:                              ;   in Loop: Header=BB288_16 Depth=1
	s_delay_alu instid0(VALU_DEP_3) | instskip(NEXT) | instid1(VALU_DEP_1)
	v_clz_i32_u32_e32 v31, v31
	v_min_u32_e32 v128, 32, v31
	s_delay_alu instid0(VALU_DEP_1) | instskip(NEXT) | instid1(VALU_DEP_1)
	v_subrev_nc_u32_e32 v31, 28, v128
	v_lshlrev_b64_e32 v[31:32], v31, v[7:8]
	v_sub_nc_u32_e32 v32, 29, v128
	s_delay_alu instid0(VALU_DEP_2)
	v_and_b32_e32 v31, 7, v31
; %bb.208:                              ;   in Loop: Header=BB288_16 Depth=1
	s_wait_alu 0xfffe
	s_or_b32 exec_lo, exec_lo, s23
	v_lshlrev_b32_e32 v7, 8, v7
	v_lshl_add_u32 v32, v32, 10, 0x2000
	v_lshlrev_b32_e32 v31, 23, v31
	s_delay_alu instid0(VALU_DEP_2) | instskip(NEXT) | instid1(VALU_DEP_1)
	v_and_or_b32 v7, 0x8000, v7, v32
	v_lshl_or_b32 v128, v7, 16, v31
.LBB288_209:                            ;   in Loop: Header=BB288_16 Depth=1
	s_wait_alu 0xfffe
	s_or_b32 exec_lo, exec_lo, s22
.LBB288_210:                            ;   in Loop: Header=BB288_16 Depth=1
	s_wait_alu 0xfffe
	s_or_b32 exec_lo, exec_lo, s21
.LBB288_211:                            ;   in Loop: Header=BB288_16 Depth=1
	s_wait_alu 0xfffe
	s_or_b32 exec_lo, exec_lo, s20
	flat_load_b64 v[31:32], v[28:29] offset:520
	s_mov_b32 s20, exec_lo
	s_wait_loadcnt_dscnt 0x0
	v_and_b32_e32 v7, 0xff, v31
	s_delay_alu instid0(VALU_DEP_1)
	v_cmpx_ne_u16_e32 0, v7
	s_cbranch_execz .LBB288_219
; %bb.212:                              ;   in Loop: Header=BB288_16 Depth=1
	v_mov_b32_e32 v129, 0x8000
	s_mov_b32 s21, exec_lo
	v_cmpx_ne_u16_e32 0x80, v7
	s_cbranch_execz .LBB288_218
; %bb.213:                              ;   in Loop: Header=BB288_16 Depth=1
	v_and_b32_e32 v130, 0x7f, v31
	v_mov_b32_e32 v129, 0x7c01
	s_mov_b32 s22, exec_lo
	s_delay_alu instid0(VALU_DEP_2)
	v_cmpx_ne_u32_e32 0x7f, v130
	s_cbranch_execz .LBB288_217
; %bb.214:                              ;   in Loop: Header=BB288_16 Depth=1
	v_and_b32_e32 v7, 7, v31
	v_lshrrev_b32_e32 v129, 3, v130
	s_mov_b32 s23, exec_lo
	v_cmpx_gt_u32_e32 8, v130
; %bb.215:                              ;   in Loop: Header=BB288_16 Depth=1
	s_delay_alu instid0(VALU_DEP_3) | instskip(NEXT) | instid1(VALU_DEP_1)
	v_clz_i32_u32_e32 v7, v7
	v_min_u32_e32 v7, 32, v7
	s_delay_alu instid0(VALU_DEP_1) | instskip(NEXT) | instid1(VALU_DEP_1)
	v_subrev_nc_u32_e32 v129, 28, v7
	v_lshlrev_b64_e32 v[130:131], v129, v[31:32]
	v_sub_nc_u32_e32 v129, 29, v7
	s_delay_alu instid0(VALU_DEP_2)
	v_and_b32_e32 v7, 7, v130
; %bb.216:                              ;   in Loop: Header=BB288_16 Depth=1
	s_wait_alu 0xfffe
	s_or_b32 exec_lo, exec_lo, s23
	v_lshlrev_b32_e32 v130, 8, v31
	v_lshl_add_u32 v129, v129, 10, 0x2000
	v_lshlrev_b32_e32 v7, 7, v7
	s_delay_alu instid0(VALU_DEP_3) | instskip(NEXT) | instid1(VALU_DEP_3)
	v_and_b32_e32 v130, 0x8000, v130
	v_and_b32_e32 v129, 0xfc00, v129
	s_delay_alu instid0(VALU_DEP_1)
	v_or3_b32 v129, v130, v129, v7
.LBB288_217:                            ;   in Loop: Header=BB288_16 Depth=1
	s_wait_alu 0xfffe
	s_or_b32 exec_lo, exec_lo, s22
.LBB288_218:                            ;   in Loop: Header=BB288_16 Depth=1
	s_wait_alu 0xfffe
	s_or_b32 exec_lo, exec_lo, s21
.LBB288_219:                            ;   in Loop: Header=BB288_16 Depth=1
	s_wait_alu 0xfffe
	s_or_b32 exec_lo, exec_lo, s20
	v_lshrrev_b16 v7, 8, v31
	v_dual_mov_b32 v131, 0 :: v_dual_mov_b32 v130, 0
	s_mov_b32 s20, exec_lo
	s_delay_alu instid0(VALU_DEP_2)
	v_cmpx_ne_u16_e32 0, v7
	s_cbranch_execz .LBB288_227
; %bb.220:                              ;   in Loop: Header=BB288_16 Depth=1
	v_bfrev_b32_e32 v130, 1
	s_mov_b32 s21, exec_lo
	v_cmpx_ne_u16_e32 0x80, v7
	s_cbranch_execz .LBB288_226
; %bb.221:                              ;   in Loop: Header=BB288_16 Depth=1
	v_and_b32_e32 v132, 0xffff, v7
	v_mov_b32_e32 v130, 0x7c010000
	s_mov_b32 s22, exec_lo
	s_delay_alu instid0(VALU_DEP_2) | instskip(NEXT) | instid1(VALU_DEP_1)
	v_and_b32_e32 v134, 0x7f, v132
	v_cmpx_ne_u32_e32 0x7f, v134
	s_cbranch_execz .LBB288_225
; %bb.222:                              ;   in Loop: Header=BB288_16 Depth=1
	v_and_b32_e32 v130, 7, v132
	v_lshrrev_b32_e32 v133, 3, v134
	s_mov_b32 s23, exec_lo
	v_cmpx_gt_u32_e32 8, v134
; %bb.223:                              ;   in Loop: Header=BB288_16 Depth=1
	s_delay_alu instid0(VALU_DEP_3) | instskip(NEXT) | instid1(VALU_DEP_1)
	v_clz_i32_u32_e32 v130, v130
	v_min_u32_e32 v130, 32, v130
	s_delay_alu instid0(VALU_DEP_1) | instskip(NEXT) | instid1(VALU_DEP_1)
	v_subrev_nc_u32_e32 v133, 28, v130
	v_lshlrev_b64_e32 v[134:135], v133, v[7:8]
	v_sub_nc_u32_e32 v133, 29, v130
	s_delay_alu instid0(VALU_DEP_2)
	v_and_b32_e32 v130, 7, v134
; %bb.224:                              ;   in Loop: Header=BB288_16 Depth=1
	s_wait_alu 0xfffe
	s_or_b32 exec_lo, exec_lo, s23
	v_lshlrev_b32_e32 v7, 8, v132
	v_lshl_add_u32 v132, v133, 10, 0x2000
	v_lshlrev_b32_e32 v130, 23, v130
	s_delay_alu instid0(VALU_DEP_2) | instskip(NEXT) | instid1(VALU_DEP_1)
	v_and_or_b32 v7, 0x8000, v7, v132
	v_lshl_or_b32 v130, v7, 16, v130
.LBB288_225:                            ;   in Loop: Header=BB288_16 Depth=1
	s_wait_alu 0xfffe
	s_or_b32 exec_lo, exec_lo, s22
.LBB288_226:                            ;   in Loop: Header=BB288_16 Depth=1
	s_wait_alu 0xfffe
	s_or_b32 exec_lo, exec_lo, s21
.LBB288_227:                            ;   in Loop: Header=BB288_16 Depth=1
	s_wait_alu 0xfffe
	s_or_b32 exec_lo, exec_lo, s20
	v_lshrrev_b32_e32 v7, 16, v31
	s_mov_b32 s20, exec_lo
	s_delay_alu instid0(VALU_DEP_1) | instskip(NEXT) | instid1(VALU_DEP_1)
	v_and_b32_e32 v132, 0xff, v7
	v_cmpx_ne_u16_e64 0, v132
	s_cbranch_execz .LBB288_235
; %bb.228:                              ;   in Loop: Header=BB288_16 Depth=1
	v_mov_b32_e32 v131, 0x8000
	s_mov_b32 s21, exec_lo
	v_cmpx_ne_u16_e64 0x80, v132
	s_cbranch_execz .LBB288_234
; %bb.229:                              ;   in Loop: Header=BB288_16 Depth=1
	v_bfe_u32 v133, v31, 16, 7
	v_mov_b32_e32 v131, 0x7c01
	s_mov_b32 s22, exec_lo
	s_delay_alu instid0(VALU_DEP_2)
	v_cmpx_ne_u32_e32 0x7f, v133
	s_cbranch_execz .LBB288_233
; %bb.230:                              ;   in Loop: Header=BB288_16 Depth=1
	v_and_b32_e32 v131, 7, v7
	v_lshrrev_b32_e32 v132, 3, v133
	s_mov_b32 s23, exec_lo
	v_cmpx_gt_u32_e32 8, v133
; %bb.231:                              ;   in Loop: Header=BB288_16 Depth=1
	s_delay_alu instid0(VALU_DEP_3) | instskip(NEXT) | instid1(VALU_DEP_1)
	v_clz_i32_u32_e32 v131, v131
	v_min_u32_e32 v133, 32, v131
	s_delay_alu instid0(VALU_DEP_1) | instskip(NEXT) | instid1(VALU_DEP_1)
	v_subrev_nc_u32_e32 v131, 28, v133
	v_lshlrev_b64_e32 v[131:132], v131, v[7:8]
	v_sub_nc_u32_e32 v132, 29, v133
	s_delay_alu instid0(VALU_DEP_2)
	v_and_b32_e32 v131, 7, v131
; %bb.232:                              ;   in Loop: Header=BB288_16 Depth=1
	s_wait_alu 0xfffe
	s_or_b32 exec_lo, exec_lo, s23
	v_lshlrev_b32_e32 v7, 8, v7
	v_lshl_add_u32 v132, v132, 10, 0x2000
	v_lshlrev_b32_e32 v131, 7, v131
	s_delay_alu instid0(VALU_DEP_3) | instskip(NEXT) | instid1(VALU_DEP_3)
	v_and_b32_e32 v7, 0x8000, v7
	v_and_b32_e32 v132, 0xfc00, v132
	s_delay_alu instid0(VALU_DEP_1)
	v_or3_b32 v131, v7, v132, v131
.LBB288_233:                            ;   in Loop: Header=BB288_16 Depth=1
	s_wait_alu 0xfffe
	s_or_b32 exec_lo, exec_lo, s22
.LBB288_234:                            ;   in Loop: Header=BB288_16 Depth=1
	s_wait_alu 0xfffe
	s_or_b32 exec_lo, exec_lo, s21
.LBB288_235:                            ;   in Loop: Header=BB288_16 Depth=1
	s_wait_alu 0xfffe
	s_or_b32 exec_lo, exec_lo, s20
	v_dual_mov_b32 v132, 0 :: v_dual_mov_b32 v133, 0
	s_mov_b32 s20, exec_lo
	v_cmpx_lt_u32_e32 0xffffff, v31
	s_cbranch_execz .LBB288_243
; %bb.236:                              ;   in Loop: Header=BB288_16 Depth=1
	v_lshrrev_b32_e32 v7, 24, v31
	v_bfrev_b32_e32 v133, 1
	s_mov_b32 s21, exec_lo
	s_delay_alu instid0(VALU_DEP_2)
	v_cmpx_ne_u32_e32 0x80, v7
	s_cbranch_execz .LBB288_242
; %bb.237:                              ;   in Loop: Header=BB288_16 Depth=1
	v_and_b32_e32 v135, 0x7f, v7
	v_mov_b32_e32 v133, 0x7c010000
	s_mov_b32 s22, exec_lo
	s_delay_alu instid0(VALU_DEP_2)
	v_cmpx_ne_u32_e32 0x7f, v135
	s_cbranch_execz .LBB288_241
; %bb.238:                              ;   in Loop: Header=BB288_16 Depth=1
	v_and_b32_e32 v133, 7, v7
	v_lshrrev_b32_e32 v134, 3, v135
	s_mov_b32 s23, exec_lo
	v_cmpx_gt_u32_e32 8, v135
; %bb.239:                              ;   in Loop: Header=BB288_16 Depth=1
	s_delay_alu instid0(VALU_DEP_3) | instskip(NEXT) | instid1(VALU_DEP_1)
	v_clz_i32_u32_e32 v133, v133
	v_min_u32_e32 v135, 32, v133
	s_delay_alu instid0(VALU_DEP_1) | instskip(NEXT) | instid1(VALU_DEP_1)
	v_subrev_nc_u32_e32 v133, 28, v135
	v_lshlrev_b64_e32 v[133:134], v133, v[7:8]
	v_sub_nc_u32_e32 v134, 29, v135
	s_delay_alu instid0(VALU_DEP_2)
	v_and_b32_e32 v133, 7, v133
; %bb.240:                              ;   in Loop: Header=BB288_16 Depth=1
	s_wait_alu 0xfffe
	s_or_b32 exec_lo, exec_lo, s23
	v_lshlrev_b32_e32 v7, 8, v7
	v_lshl_add_u32 v134, v134, 10, 0x2000
	v_lshlrev_b32_e32 v133, 23, v133
	s_delay_alu instid0(VALU_DEP_2) | instskip(NEXT) | instid1(VALU_DEP_1)
	v_and_or_b32 v7, 0x8000, v7, v134
	v_lshl_or_b32 v133, v7, 16, v133
.LBB288_241:                            ;   in Loop: Header=BB288_16 Depth=1
	s_wait_alu 0xfffe
	s_or_b32 exec_lo, exec_lo, s22
.LBB288_242:                            ;   in Loop: Header=BB288_16 Depth=1
	s_wait_alu 0xfffe
	s_or_b32 exec_lo, exec_lo, s21
.LBB288_243:                            ;   in Loop: Header=BB288_16 Depth=1
	s_wait_alu 0xfffe
	s_or_b32 exec_lo, exec_lo, s20
	v_dual_mov_b32 v7, v32 :: v_dual_and_b32 v134, 0xff, v32
	s_mov_b32 s20, exec_lo
	s_delay_alu instid0(VALU_DEP_1)
	v_cmpx_ne_u16_e64 0, v134
	s_cbranch_execz .LBB288_251
; %bb.244:                              ;   in Loop: Header=BB288_16 Depth=1
	v_mov_b32_e32 v132, 0x8000
	s_mov_b32 s21, exec_lo
	v_cmpx_ne_u16_e64 0x80, v134
	s_cbranch_execz .LBB288_250
; %bb.245:                              ;   in Loop: Header=BB288_16 Depth=1
	v_and_b32_e32 v135, 0x7f, v32
	v_mov_b32_e32 v132, 0x7c01
	s_mov_b32 s22, exec_lo
	s_delay_alu instid0(VALU_DEP_2)
	v_cmpx_ne_u32_e32 0x7f, v135
	s_cbranch_execz .LBB288_249
; %bb.246:                              ;   in Loop: Header=BB288_16 Depth=1
	v_and_b32_e32 v132, 7, v32
	v_lshrrev_b32_e32 v134, 3, v135
	s_mov_b32 s23, exec_lo
	v_cmpx_gt_u32_e32 8, v135
; %bb.247:                              ;   in Loop: Header=BB288_16 Depth=1
	s_delay_alu instid0(VALU_DEP_3) | instskip(NEXT) | instid1(VALU_DEP_1)
	v_clz_i32_u32_e32 v132, v132
	v_min_u32_e32 v132, 32, v132
	s_delay_alu instid0(VALU_DEP_1) | instskip(NEXT) | instid1(VALU_DEP_1)
	v_subrev_nc_u32_e32 v134, 28, v132
	v_lshlrev_b64_e32 v[144:145], v134, v[7:8]
	v_sub_nc_u32_e32 v134, 29, v132
	s_delay_alu instid0(VALU_DEP_2)
	v_and_b32_e32 v132, 7, v144
; %bb.248:                              ;   in Loop: Header=BB288_16 Depth=1
	s_wait_alu 0xfffe
	s_or_b32 exec_lo, exec_lo, s23
	v_lshlrev_b32_e32 v135, 8, v32
	v_lshl_add_u32 v134, v134, 10, 0x2000
	v_lshlrev_b32_e32 v132, 7, v132
	s_delay_alu instid0(VALU_DEP_3) | instskip(NEXT) | instid1(VALU_DEP_3)
	v_and_b32_e32 v135, 0x8000, v135
	v_and_b32_e32 v134, 0xfc00, v134
	s_delay_alu instid0(VALU_DEP_1)
	v_or3_b32 v132, v135, v134, v132
.LBB288_249:                            ;   in Loop: Header=BB288_16 Depth=1
	s_wait_alu 0xfffe
	s_or_b32 exec_lo, exec_lo, s22
.LBB288_250:                            ;   in Loop: Header=BB288_16 Depth=1
	s_wait_alu 0xfffe
	s_or_b32 exec_lo, exec_lo, s21
.LBB288_251:                            ;   in Loop: Header=BB288_16 Depth=1
	s_wait_alu 0xfffe
	s_or_b32 exec_lo, exec_lo, s20
	v_lshrrev_b16 v7, 8, v7
	v_dual_mov_b32 v134, 0 :: v_dual_mov_b32 v135, 0
	s_mov_b32 s20, exec_lo
	s_delay_alu instid0(VALU_DEP_2)
	v_cmpx_ne_u16_e32 0, v7
	s_cbranch_execz .LBB288_259
; %bb.252:                              ;   in Loop: Header=BB288_16 Depth=1
	v_bfrev_b32_e32 v135, 1
	s_mov_b32 s21, exec_lo
	v_cmpx_ne_u16_e32 0x80, v7
	s_cbranch_execz .LBB288_258
; %bb.253:                              ;   in Loop: Header=BB288_16 Depth=1
	v_and_b32_e32 v144, 0xffff, v7
	v_mov_b32_e32 v135, 0x7c010000
	s_mov_b32 s22, exec_lo
	s_delay_alu instid0(VALU_DEP_2) | instskip(NEXT) | instid1(VALU_DEP_1)
	v_and_b32_e32 v146, 0x7f, v144
	v_cmpx_ne_u32_e32 0x7f, v146
	s_cbranch_execz .LBB288_257
; %bb.254:                              ;   in Loop: Header=BB288_16 Depth=1
	v_and_b32_e32 v135, 7, v144
	v_lshrrev_b32_e32 v145, 3, v146
	s_mov_b32 s23, exec_lo
	v_cmpx_gt_u32_e32 8, v146
; %bb.255:                              ;   in Loop: Header=BB288_16 Depth=1
	s_delay_alu instid0(VALU_DEP_3) | instskip(NEXT) | instid1(VALU_DEP_1)
	v_clz_i32_u32_e32 v135, v135
	v_min_u32_e32 v135, 32, v135
	s_delay_alu instid0(VALU_DEP_1) | instskip(NEXT) | instid1(VALU_DEP_1)
	v_subrev_nc_u32_e32 v145, 28, v135
	v_lshlrev_b64_e32 v[146:147], v145, v[7:8]
	v_sub_nc_u32_e32 v145, 29, v135
	s_delay_alu instid0(VALU_DEP_2)
	v_and_b32_e32 v135, 7, v146
; %bb.256:                              ;   in Loop: Header=BB288_16 Depth=1
	s_wait_alu 0xfffe
	s_or_b32 exec_lo, exec_lo, s23
	v_lshlrev_b32_e32 v7, 8, v144
	v_lshl_add_u32 v144, v145, 10, 0x2000
	v_lshlrev_b32_e32 v135, 23, v135
	s_delay_alu instid0(VALU_DEP_2) | instskip(NEXT) | instid1(VALU_DEP_1)
	v_and_or_b32 v7, 0x8000, v7, v144
	v_lshl_or_b32 v135, v7, 16, v135
.LBB288_257:                            ;   in Loop: Header=BB288_16 Depth=1
	s_wait_alu 0xfffe
	s_or_b32 exec_lo, exec_lo, s22
.LBB288_258:                            ;   in Loop: Header=BB288_16 Depth=1
	s_wait_alu 0xfffe
	s_or_b32 exec_lo, exec_lo, s21
.LBB288_259:                            ;   in Loop: Header=BB288_16 Depth=1
	s_wait_alu 0xfffe
	s_or_b32 exec_lo, exec_lo, s20
	v_lshrrev_b32_e32 v7, 16, v32
	s_mov_b32 s20, exec_lo
	s_delay_alu instid0(VALU_DEP_1) | instskip(NEXT) | instid1(VALU_DEP_1)
	v_and_b32_e32 v144, 0xff, v7
	v_cmpx_ne_u16_e64 0, v144
	s_cbranch_execz .LBB288_267
; %bb.260:                              ;   in Loop: Header=BB288_16 Depth=1
	v_mov_b32_e32 v134, 0x8000
	s_mov_b32 s21, exec_lo
	v_cmpx_ne_u16_e64 0x80, v144
	s_cbranch_execz .LBB288_266
; %bb.261:                              ;   in Loop: Header=BB288_16 Depth=1
	v_bfe_u32 v145, v32, 16, 7
	v_mov_b32_e32 v134, 0x7c01
	s_mov_b32 s22, exec_lo
	s_delay_alu instid0(VALU_DEP_2)
	v_cmpx_ne_u32_e32 0x7f, v145
	s_cbranch_execz .LBB288_265
; %bb.262:                              ;   in Loop: Header=BB288_16 Depth=1
	v_and_b32_e32 v134, 7, v7
	v_lshrrev_b32_e32 v144, 3, v145
	s_mov_b32 s23, exec_lo
	v_cmpx_gt_u32_e32 8, v145
; %bb.263:                              ;   in Loop: Header=BB288_16 Depth=1
	s_delay_alu instid0(VALU_DEP_3) | instskip(NEXT) | instid1(VALU_DEP_1)
	v_clz_i32_u32_e32 v134, v134
	v_min_u32_e32 v134, 32, v134
	s_delay_alu instid0(VALU_DEP_1) | instskip(NEXT) | instid1(VALU_DEP_1)
	v_subrev_nc_u32_e32 v144, 28, v134
	v_lshlrev_b64_e32 v[145:146], v144, v[7:8]
	v_sub_nc_u32_e32 v144, 29, v134
	s_delay_alu instid0(VALU_DEP_2)
	v_and_b32_e32 v134, 7, v145
; %bb.264:                              ;   in Loop: Header=BB288_16 Depth=1
	s_wait_alu 0xfffe
	s_or_b32 exec_lo, exec_lo, s23
	v_lshlrev_b32_e32 v7, 8, v7
	v_lshl_add_u32 v144, v144, 10, 0x2000
	v_lshlrev_b32_e32 v134, 7, v134
	s_delay_alu instid0(VALU_DEP_3) | instskip(NEXT) | instid1(VALU_DEP_3)
	v_and_b32_e32 v7, 0x8000, v7
	v_and_b32_e32 v144, 0xfc00, v144
	s_delay_alu instid0(VALU_DEP_1)
	v_or3_b32 v134, v7, v144, v134
.LBB288_265:                            ;   in Loop: Header=BB288_16 Depth=1
	s_wait_alu 0xfffe
	s_or_b32 exec_lo, exec_lo, s22
.LBB288_266:                            ;   in Loop: Header=BB288_16 Depth=1
	s_wait_alu 0xfffe
	s_or_b32 exec_lo, exec_lo, s21
.LBB288_267:                            ;   in Loop: Header=BB288_16 Depth=1
	s_wait_alu 0xfffe
	s_or_b32 exec_lo, exec_lo, s20
	v_dual_mov_b32 v145, 0 :: v_dual_mov_b32 v144, 0
	s_mov_b32 s20, exec_lo
	v_cmpx_lt_u64_e64 s[10:11], v[31:32]
	s_cbranch_execz .LBB288_275
; %bb.268:                              ;   in Loop: Header=BB288_16 Depth=1
	v_lshrrev_b32_e32 v7, 24, v32
	v_bfrev_b32_e32 v144, 1
	s_mov_b32 s21, exec_lo
	s_delay_alu instid0(VALU_DEP_2)
	v_cmpx_ne_u32_e32 0x80, v7
	s_cbranch_execz .LBB288_274
; %bb.269:                              ;   in Loop: Header=BB288_16 Depth=1
	v_and_b32_e32 v146, 0x7f, v7
	v_mov_b32_e32 v144, 0x7c010000
	s_mov_b32 s22, exec_lo
	s_delay_alu instid0(VALU_DEP_2)
	v_cmpx_ne_u32_e32 0x7f, v146
	s_cbranch_execz .LBB288_273
; %bb.270:                              ;   in Loop: Header=BB288_16 Depth=1
	v_and_b32_e32 v31, 7, v7
	v_lshrrev_b32_e32 v32, 3, v146
	s_mov_b32 s23, exec_lo
	v_cmpx_gt_u32_e32 8, v146
; %bb.271:                              ;   in Loop: Header=BB288_16 Depth=1
	s_delay_alu instid0(VALU_DEP_3) | instskip(NEXT) | instid1(VALU_DEP_1)
	v_clz_i32_u32_e32 v31, v31
	v_min_u32_e32 v144, 32, v31
	s_delay_alu instid0(VALU_DEP_1) | instskip(NEXT) | instid1(VALU_DEP_1)
	v_subrev_nc_u32_e32 v31, 28, v144
	v_lshlrev_b64_e32 v[31:32], v31, v[7:8]
	v_sub_nc_u32_e32 v32, 29, v144
	s_delay_alu instid0(VALU_DEP_2)
	v_and_b32_e32 v31, 7, v31
; %bb.272:                              ;   in Loop: Header=BB288_16 Depth=1
	s_wait_alu 0xfffe
	s_or_b32 exec_lo, exec_lo, s23
	v_lshlrev_b32_e32 v7, 8, v7
	v_lshl_add_u32 v32, v32, 10, 0x2000
	v_lshlrev_b32_e32 v31, 23, v31
	s_delay_alu instid0(VALU_DEP_2) | instskip(NEXT) | instid1(VALU_DEP_1)
	v_and_or_b32 v7, 0x8000, v7, v32
	v_lshl_or_b32 v144, v7, 16, v31
.LBB288_273:                            ;   in Loop: Header=BB288_16 Depth=1
	s_wait_alu 0xfffe
	s_or_b32 exec_lo, exec_lo, s22
.LBB288_274:                            ;   in Loop: Header=BB288_16 Depth=1
	s_wait_alu 0xfffe
	s_or_b32 exec_lo, exec_lo, s21
.LBB288_275:                            ;   in Loop: Header=BB288_16 Depth=1
	s_wait_alu 0xfffe
	s_or_b32 exec_lo, exec_lo, s20
	flat_load_b64 v[31:32], v[28:29] offset:1024
	s_mov_b32 s20, exec_lo
	s_wait_loadcnt_dscnt 0x0
	v_and_b32_e32 v7, 0xff, v31
	s_delay_alu instid0(VALU_DEP_1)
	v_cmpx_ne_u16_e32 0, v7
	s_cbranch_execz .LBB288_283
; %bb.276:                              ;   in Loop: Header=BB288_16 Depth=1
	v_mov_b32_e32 v145, 0x8000
	s_mov_b32 s21, exec_lo
	v_cmpx_ne_u16_e32 0x80, v7
	s_cbranch_execz .LBB288_282
; %bb.277:                              ;   in Loop: Header=BB288_16 Depth=1
	v_and_b32_e32 v146, 0x7f, v31
	v_mov_b32_e32 v145, 0x7c01
	s_mov_b32 s22, exec_lo
	s_delay_alu instid0(VALU_DEP_2)
	v_cmpx_ne_u32_e32 0x7f, v146
	s_cbranch_execz .LBB288_281
; %bb.278:                              ;   in Loop: Header=BB288_16 Depth=1
	v_and_b32_e32 v7, 7, v31
	v_lshrrev_b32_e32 v145, 3, v146
	s_mov_b32 s23, exec_lo
	v_cmpx_gt_u32_e32 8, v146
; %bb.279:                              ;   in Loop: Header=BB288_16 Depth=1
	s_delay_alu instid0(VALU_DEP_3) | instskip(NEXT) | instid1(VALU_DEP_1)
	v_clz_i32_u32_e32 v7, v7
	v_min_u32_e32 v7, 32, v7
	s_delay_alu instid0(VALU_DEP_1) | instskip(NEXT) | instid1(VALU_DEP_1)
	v_subrev_nc_u32_e32 v145, 28, v7
	v_lshlrev_b64_e32 v[146:147], v145, v[31:32]
	v_sub_nc_u32_e32 v145, 29, v7
	s_delay_alu instid0(VALU_DEP_2)
	v_and_b32_e32 v7, 7, v146
; %bb.280:                              ;   in Loop: Header=BB288_16 Depth=1
	s_wait_alu 0xfffe
	s_or_b32 exec_lo, exec_lo, s23
	v_lshlrev_b32_e32 v146, 8, v31
	v_lshl_add_u32 v145, v145, 10, 0x2000
	v_lshlrev_b32_e32 v7, 7, v7
	s_delay_alu instid0(VALU_DEP_3) | instskip(NEXT) | instid1(VALU_DEP_3)
	v_and_b32_e32 v146, 0x8000, v146
	v_and_b32_e32 v145, 0xfc00, v145
	s_delay_alu instid0(VALU_DEP_1)
	v_or3_b32 v145, v146, v145, v7
.LBB288_281:                            ;   in Loop: Header=BB288_16 Depth=1
	s_wait_alu 0xfffe
	s_or_b32 exec_lo, exec_lo, s22
.LBB288_282:                            ;   in Loop: Header=BB288_16 Depth=1
	s_wait_alu 0xfffe
	s_or_b32 exec_lo, exec_lo, s21
.LBB288_283:                            ;   in Loop: Header=BB288_16 Depth=1
	s_wait_alu 0xfffe
	s_or_b32 exec_lo, exec_lo, s20
	v_lshrrev_b16 v7, 8, v31
	v_dual_mov_b32 v147, 0 :: v_dual_mov_b32 v146, 0
	s_mov_b32 s20, exec_lo
	s_delay_alu instid0(VALU_DEP_2)
	v_cmpx_ne_u16_e32 0, v7
	s_cbranch_execz .LBB288_291
; %bb.284:                              ;   in Loop: Header=BB288_16 Depth=1
	v_bfrev_b32_e32 v146, 1
	s_mov_b32 s21, exec_lo
	v_cmpx_ne_u16_e32 0x80, v7
	s_cbranch_execz .LBB288_290
; %bb.285:                              ;   in Loop: Header=BB288_16 Depth=1
	v_and_b32_e32 v148, 0xffff, v7
	v_mov_b32_e32 v146, 0x7c010000
	s_mov_b32 s22, exec_lo
	s_delay_alu instid0(VALU_DEP_2) | instskip(NEXT) | instid1(VALU_DEP_1)
	v_and_b32_e32 v150, 0x7f, v148
	v_cmpx_ne_u32_e32 0x7f, v150
	s_cbranch_execz .LBB288_289
; %bb.286:                              ;   in Loop: Header=BB288_16 Depth=1
	v_and_b32_e32 v146, 7, v148
	v_lshrrev_b32_e32 v149, 3, v150
	s_mov_b32 s23, exec_lo
	v_cmpx_gt_u32_e32 8, v150
; %bb.287:                              ;   in Loop: Header=BB288_16 Depth=1
	s_delay_alu instid0(VALU_DEP_3) | instskip(NEXT) | instid1(VALU_DEP_1)
	v_clz_i32_u32_e32 v146, v146
	v_min_u32_e32 v146, 32, v146
	s_delay_alu instid0(VALU_DEP_1) | instskip(NEXT) | instid1(VALU_DEP_1)
	v_subrev_nc_u32_e32 v149, 28, v146
	v_lshlrev_b64_e32 v[150:151], v149, v[7:8]
	v_sub_nc_u32_e32 v149, 29, v146
	s_delay_alu instid0(VALU_DEP_2)
	v_and_b32_e32 v146, 7, v150
; %bb.288:                              ;   in Loop: Header=BB288_16 Depth=1
	s_wait_alu 0xfffe
	s_or_b32 exec_lo, exec_lo, s23
	v_lshlrev_b32_e32 v7, 8, v148
	v_lshl_add_u32 v148, v149, 10, 0x2000
	v_lshlrev_b32_e32 v146, 23, v146
	s_delay_alu instid0(VALU_DEP_2) | instskip(NEXT) | instid1(VALU_DEP_1)
	v_and_or_b32 v7, 0x8000, v7, v148
	v_lshl_or_b32 v146, v7, 16, v146
.LBB288_289:                            ;   in Loop: Header=BB288_16 Depth=1
	s_wait_alu 0xfffe
	s_or_b32 exec_lo, exec_lo, s22
.LBB288_290:                            ;   in Loop: Header=BB288_16 Depth=1
	s_wait_alu 0xfffe
	s_or_b32 exec_lo, exec_lo, s21
.LBB288_291:                            ;   in Loop: Header=BB288_16 Depth=1
	s_wait_alu 0xfffe
	s_or_b32 exec_lo, exec_lo, s20
	v_lshrrev_b32_e32 v7, 16, v31
	s_mov_b32 s20, exec_lo
	s_delay_alu instid0(VALU_DEP_1) | instskip(NEXT) | instid1(VALU_DEP_1)
	v_and_b32_e32 v148, 0xff, v7
	v_cmpx_ne_u16_e64 0, v148
	s_cbranch_execz .LBB288_299
; %bb.292:                              ;   in Loop: Header=BB288_16 Depth=1
	v_mov_b32_e32 v147, 0x8000
	s_mov_b32 s21, exec_lo
	v_cmpx_ne_u16_e64 0x80, v148
	s_cbranch_execz .LBB288_298
; %bb.293:                              ;   in Loop: Header=BB288_16 Depth=1
	v_bfe_u32 v149, v31, 16, 7
	v_mov_b32_e32 v147, 0x7c01
	s_mov_b32 s22, exec_lo
	s_delay_alu instid0(VALU_DEP_2)
	v_cmpx_ne_u32_e32 0x7f, v149
	s_cbranch_execz .LBB288_297
; %bb.294:                              ;   in Loop: Header=BB288_16 Depth=1
	v_and_b32_e32 v147, 7, v7
	v_lshrrev_b32_e32 v148, 3, v149
	s_mov_b32 s23, exec_lo
	v_cmpx_gt_u32_e32 8, v149
; %bb.295:                              ;   in Loop: Header=BB288_16 Depth=1
	s_delay_alu instid0(VALU_DEP_3) | instskip(NEXT) | instid1(VALU_DEP_1)
	v_clz_i32_u32_e32 v147, v147
	v_min_u32_e32 v149, 32, v147
	s_delay_alu instid0(VALU_DEP_1) | instskip(NEXT) | instid1(VALU_DEP_1)
	v_subrev_nc_u32_e32 v147, 28, v149
	v_lshlrev_b64_e32 v[147:148], v147, v[7:8]
	v_sub_nc_u32_e32 v148, 29, v149
	s_delay_alu instid0(VALU_DEP_2)
	v_and_b32_e32 v147, 7, v147
; %bb.296:                              ;   in Loop: Header=BB288_16 Depth=1
	s_wait_alu 0xfffe
	s_or_b32 exec_lo, exec_lo, s23
	v_lshlrev_b32_e32 v7, 8, v7
	v_lshl_add_u32 v148, v148, 10, 0x2000
	v_lshlrev_b32_e32 v147, 7, v147
	s_delay_alu instid0(VALU_DEP_3) | instskip(NEXT) | instid1(VALU_DEP_3)
	v_and_b32_e32 v7, 0x8000, v7
	v_and_b32_e32 v148, 0xfc00, v148
	s_delay_alu instid0(VALU_DEP_1)
	v_or3_b32 v147, v7, v148, v147
.LBB288_297:                            ;   in Loop: Header=BB288_16 Depth=1
	s_wait_alu 0xfffe
	s_or_b32 exec_lo, exec_lo, s22
.LBB288_298:                            ;   in Loop: Header=BB288_16 Depth=1
	s_wait_alu 0xfffe
	s_or_b32 exec_lo, exec_lo, s21
.LBB288_299:                            ;   in Loop: Header=BB288_16 Depth=1
	s_wait_alu 0xfffe
	s_or_b32 exec_lo, exec_lo, s20
	v_dual_mov_b32 v148, 0 :: v_dual_mov_b32 v149, 0
	s_mov_b32 s20, exec_lo
	v_cmpx_lt_u32_e32 0xffffff, v31
	s_cbranch_execz .LBB288_307
; %bb.300:                              ;   in Loop: Header=BB288_16 Depth=1
	v_lshrrev_b32_e32 v7, 24, v31
	v_bfrev_b32_e32 v149, 1
	s_mov_b32 s21, exec_lo
	s_delay_alu instid0(VALU_DEP_2)
	v_cmpx_ne_u32_e32 0x80, v7
	s_cbranch_execz .LBB288_306
; %bb.301:                              ;   in Loop: Header=BB288_16 Depth=1
	v_and_b32_e32 v151, 0x7f, v7
	v_mov_b32_e32 v149, 0x7c010000
	s_mov_b32 s22, exec_lo
	s_delay_alu instid0(VALU_DEP_2)
	v_cmpx_ne_u32_e32 0x7f, v151
	s_cbranch_execz .LBB288_305
; %bb.302:                              ;   in Loop: Header=BB288_16 Depth=1
	v_and_b32_e32 v149, 7, v7
	v_lshrrev_b32_e32 v150, 3, v151
	s_mov_b32 s23, exec_lo
	v_cmpx_gt_u32_e32 8, v151
; %bb.303:                              ;   in Loop: Header=BB288_16 Depth=1
	s_delay_alu instid0(VALU_DEP_3) | instskip(NEXT) | instid1(VALU_DEP_1)
	v_clz_i32_u32_e32 v149, v149
	v_min_u32_e32 v151, 32, v149
	s_delay_alu instid0(VALU_DEP_1) | instskip(NEXT) | instid1(VALU_DEP_1)
	v_subrev_nc_u32_e32 v149, 28, v151
	v_lshlrev_b64_e32 v[149:150], v149, v[7:8]
	v_sub_nc_u32_e32 v150, 29, v151
	s_delay_alu instid0(VALU_DEP_2)
	v_and_b32_e32 v149, 7, v149
; %bb.304:                              ;   in Loop: Header=BB288_16 Depth=1
	s_wait_alu 0xfffe
	s_or_b32 exec_lo, exec_lo, s23
	v_lshlrev_b32_e32 v7, 8, v7
	v_lshl_add_u32 v150, v150, 10, 0x2000
	v_lshlrev_b32_e32 v149, 23, v149
	s_delay_alu instid0(VALU_DEP_2) | instskip(NEXT) | instid1(VALU_DEP_1)
	v_and_or_b32 v7, 0x8000, v7, v150
	v_lshl_or_b32 v149, v7, 16, v149
.LBB288_305:                            ;   in Loop: Header=BB288_16 Depth=1
	s_wait_alu 0xfffe
	s_or_b32 exec_lo, exec_lo, s22
.LBB288_306:                            ;   in Loop: Header=BB288_16 Depth=1
	s_wait_alu 0xfffe
	s_or_b32 exec_lo, exec_lo, s21
.LBB288_307:                            ;   in Loop: Header=BB288_16 Depth=1
	s_wait_alu 0xfffe
	s_or_b32 exec_lo, exec_lo, s20
	v_dual_mov_b32 v7, v32 :: v_dual_and_b32 v150, 0xff, v32
	s_mov_b32 s20, exec_lo
	s_delay_alu instid0(VALU_DEP_1)
	v_cmpx_ne_u16_e64 0, v150
	s_cbranch_execz .LBB288_315
; %bb.308:                              ;   in Loop: Header=BB288_16 Depth=1
	v_mov_b32_e32 v148, 0x8000
	s_mov_b32 s21, exec_lo
	v_cmpx_ne_u16_e64 0x80, v150
	s_cbranch_execz .LBB288_314
; %bb.309:                              ;   in Loop: Header=BB288_16 Depth=1
	v_and_b32_e32 v151, 0x7f, v32
	v_mov_b32_e32 v148, 0x7c01
	s_mov_b32 s22, exec_lo
	s_delay_alu instid0(VALU_DEP_2)
	v_cmpx_ne_u32_e32 0x7f, v151
	s_cbranch_execz .LBB288_313
; %bb.310:                              ;   in Loop: Header=BB288_16 Depth=1
	v_and_b32_e32 v148, 7, v32
	v_lshrrev_b32_e32 v150, 3, v151
	s_mov_b32 s23, exec_lo
	v_cmpx_gt_u32_e32 8, v151
; %bb.311:                              ;   in Loop: Header=BB288_16 Depth=1
	s_delay_alu instid0(VALU_DEP_3) | instskip(NEXT) | instid1(VALU_DEP_1)
	v_clz_i32_u32_e32 v148, v148
	v_min_u32_e32 v148, 32, v148
	s_delay_alu instid0(VALU_DEP_1) | instskip(NEXT) | instid1(VALU_DEP_1)
	v_subrev_nc_u32_e32 v150, 28, v148
	v_lshlrev_b64_e32 v[160:161], v150, v[7:8]
	v_sub_nc_u32_e32 v150, 29, v148
	s_delay_alu instid0(VALU_DEP_2)
	v_and_b32_e32 v148, 7, v160
; %bb.312:                              ;   in Loop: Header=BB288_16 Depth=1
	s_wait_alu 0xfffe
	s_or_b32 exec_lo, exec_lo, s23
	v_lshlrev_b32_e32 v151, 8, v32
	v_lshl_add_u32 v150, v150, 10, 0x2000
	v_lshlrev_b32_e32 v148, 7, v148
	s_delay_alu instid0(VALU_DEP_3) | instskip(NEXT) | instid1(VALU_DEP_3)
	v_and_b32_e32 v151, 0x8000, v151
	v_and_b32_e32 v150, 0xfc00, v150
	s_delay_alu instid0(VALU_DEP_1)
	v_or3_b32 v148, v151, v150, v148
.LBB288_313:                            ;   in Loop: Header=BB288_16 Depth=1
	s_wait_alu 0xfffe
	s_or_b32 exec_lo, exec_lo, s22
.LBB288_314:                            ;   in Loop: Header=BB288_16 Depth=1
	s_wait_alu 0xfffe
	s_or_b32 exec_lo, exec_lo, s21
.LBB288_315:                            ;   in Loop: Header=BB288_16 Depth=1
	s_wait_alu 0xfffe
	s_or_b32 exec_lo, exec_lo, s20
	v_lshrrev_b16 v7, 8, v7
	v_dual_mov_b32 v150, 0 :: v_dual_mov_b32 v151, 0
	s_mov_b32 s20, exec_lo
	s_delay_alu instid0(VALU_DEP_2)
	v_cmpx_ne_u16_e32 0, v7
	s_cbranch_execz .LBB288_323
; %bb.316:                              ;   in Loop: Header=BB288_16 Depth=1
	v_bfrev_b32_e32 v151, 1
	s_mov_b32 s21, exec_lo
	v_cmpx_ne_u16_e32 0x80, v7
	s_cbranch_execz .LBB288_322
; %bb.317:                              ;   in Loop: Header=BB288_16 Depth=1
	v_and_b32_e32 v160, 0xffff, v7
	v_mov_b32_e32 v151, 0x7c010000
	s_mov_b32 s22, exec_lo
	s_delay_alu instid0(VALU_DEP_2) | instskip(NEXT) | instid1(VALU_DEP_1)
	v_and_b32_e32 v162, 0x7f, v160
	v_cmpx_ne_u32_e32 0x7f, v162
	s_cbranch_execz .LBB288_321
; %bb.318:                              ;   in Loop: Header=BB288_16 Depth=1
	v_and_b32_e32 v151, 7, v160
	v_lshrrev_b32_e32 v161, 3, v162
	s_mov_b32 s23, exec_lo
	v_cmpx_gt_u32_e32 8, v162
; %bb.319:                              ;   in Loop: Header=BB288_16 Depth=1
	s_delay_alu instid0(VALU_DEP_3) | instskip(NEXT) | instid1(VALU_DEP_1)
	v_clz_i32_u32_e32 v151, v151
	v_min_u32_e32 v151, 32, v151
	s_delay_alu instid0(VALU_DEP_1) | instskip(NEXT) | instid1(VALU_DEP_1)
	v_subrev_nc_u32_e32 v161, 28, v151
	v_lshlrev_b64_e32 v[162:163], v161, v[7:8]
	v_sub_nc_u32_e32 v161, 29, v151
	s_delay_alu instid0(VALU_DEP_2)
	v_and_b32_e32 v151, 7, v162
; %bb.320:                              ;   in Loop: Header=BB288_16 Depth=1
	s_wait_alu 0xfffe
	s_or_b32 exec_lo, exec_lo, s23
	v_lshlrev_b32_e32 v7, 8, v160
	v_lshl_add_u32 v160, v161, 10, 0x2000
	v_lshlrev_b32_e32 v151, 23, v151
	s_delay_alu instid0(VALU_DEP_2) | instskip(NEXT) | instid1(VALU_DEP_1)
	v_and_or_b32 v7, 0x8000, v7, v160
	v_lshl_or_b32 v151, v7, 16, v151
.LBB288_321:                            ;   in Loop: Header=BB288_16 Depth=1
	s_wait_alu 0xfffe
	s_or_b32 exec_lo, exec_lo, s22
.LBB288_322:                            ;   in Loop: Header=BB288_16 Depth=1
	s_wait_alu 0xfffe
	s_or_b32 exec_lo, exec_lo, s21
.LBB288_323:                            ;   in Loop: Header=BB288_16 Depth=1
	s_wait_alu 0xfffe
	s_or_b32 exec_lo, exec_lo, s20
	v_lshrrev_b32_e32 v7, 16, v32
	s_mov_b32 s20, exec_lo
	s_delay_alu instid0(VALU_DEP_1) | instskip(NEXT) | instid1(VALU_DEP_1)
	v_and_b32_e32 v160, 0xff, v7
	v_cmpx_ne_u16_e64 0, v160
	s_cbranch_execz .LBB288_331
; %bb.324:                              ;   in Loop: Header=BB288_16 Depth=1
	v_mov_b32_e32 v150, 0x8000
	s_mov_b32 s21, exec_lo
	v_cmpx_ne_u16_e64 0x80, v160
	s_cbranch_execz .LBB288_330
; %bb.325:                              ;   in Loop: Header=BB288_16 Depth=1
	v_bfe_u32 v161, v32, 16, 7
	v_mov_b32_e32 v150, 0x7c01
	s_mov_b32 s22, exec_lo
	s_delay_alu instid0(VALU_DEP_2)
	v_cmpx_ne_u32_e32 0x7f, v161
	s_cbranch_execz .LBB288_329
; %bb.326:                              ;   in Loop: Header=BB288_16 Depth=1
	v_and_b32_e32 v150, 7, v7
	v_lshrrev_b32_e32 v160, 3, v161
	s_mov_b32 s23, exec_lo
	v_cmpx_gt_u32_e32 8, v161
; %bb.327:                              ;   in Loop: Header=BB288_16 Depth=1
	s_delay_alu instid0(VALU_DEP_3) | instskip(NEXT) | instid1(VALU_DEP_1)
	v_clz_i32_u32_e32 v150, v150
	v_min_u32_e32 v150, 32, v150
	s_delay_alu instid0(VALU_DEP_1) | instskip(NEXT) | instid1(VALU_DEP_1)
	v_subrev_nc_u32_e32 v160, 28, v150
	v_lshlrev_b64_e32 v[161:162], v160, v[7:8]
	v_sub_nc_u32_e32 v160, 29, v150
	s_delay_alu instid0(VALU_DEP_2)
	v_and_b32_e32 v150, 7, v161
; %bb.328:                              ;   in Loop: Header=BB288_16 Depth=1
	s_wait_alu 0xfffe
	s_or_b32 exec_lo, exec_lo, s23
	v_lshlrev_b32_e32 v7, 8, v7
	v_lshl_add_u32 v160, v160, 10, 0x2000
	v_lshlrev_b32_e32 v150, 7, v150
	s_delay_alu instid0(VALU_DEP_3) | instskip(NEXT) | instid1(VALU_DEP_3)
	v_and_b32_e32 v7, 0x8000, v7
	v_and_b32_e32 v160, 0xfc00, v160
	s_delay_alu instid0(VALU_DEP_1)
	v_or3_b32 v150, v7, v160, v150
.LBB288_329:                            ;   in Loop: Header=BB288_16 Depth=1
	s_wait_alu 0xfffe
	s_or_b32 exec_lo, exec_lo, s22
.LBB288_330:                            ;   in Loop: Header=BB288_16 Depth=1
	s_wait_alu 0xfffe
	s_or_b32 exec_lo, exec_lo, s21
.LBB288_331:                            ;   in Loop: Header=BB288_16 Depth=1
	s_wait_alu 0xfffe
	s_or_b32 exec_lo, exec_lo, s20
	v_dual_mov_b32 v161, 0 :: v_dual_mov_b32 v160, 0
	s_mov_b32 s20, exec_lo
	v_cmpx_lt_u64_e64 s[10:11], v[31:32]
	s_cbranch_execz .LBB288_339
; %bb.332:                              ;   in Loop: Header=BB288_16 Depth=1
	v_lshrrev_b32_e32 v7, 24, v32
	v_bfrev_b32_e32 v160, 1
	s_mov_b32 s21, exec_lo
	s_delay_alu instid0(VALU_DEP_2)
	v_cmpx_ne_u32_e32 0x80, v7
	s_cbranch_execz .LBB288_338
; %bb.333:                              ;   in Loop: Header=BB288_16 Depth=1
	v_and_b32_e32 v162, 0x7f, v7
	v_mov_b32_e32 v160, 0x7c010000
	s_mov_b32 s22, exec_lo
	s_delay_alu instid0(VALU_DEP_2)
	v_cmpx_ne_u32_e32 0x7f, v162
	s_cbranch_execz .LBB288_337
; %bb.334:                              ;   in Loop: Header=BB288_16 Depth=1
	v_and_b32_e32 v31, 7, v7
	v_lshrrev_b32_e32 v32, 3, v162
	s_mov_b32 s23, exec_lo
	v_cmpx_gt_u32_e32 8, v162
; %bb.335:                              ;   in Loop: Header=BB288_16 Depth=1
	s_delay_alu instid0(VALU_DEP_3) | instskip(NEXT) | instid1(VALU_DEP_1)
	v_clz_i32_u32_e32 v31, v31
	v_min_u32_e32 v160, 32, v31
	s_delay_alu instid0(VALU_DEP_1) | instskip(NEXT) | instid1(VALU_DEP_1)
	v_subrev_nc_u32_e32 v31, 28, v160
	v_lshlrev_b64_e32 v[31:32], v31, v[7:8]
	v_sub_nc_u32_e32 v32, 29, v160
	s_delay_alu instid0(VALU_DEP_2)
	v_and_b32_e32 v31, 7, v31
; %bb.336:                              ;   in Loop: Header=BB288_16 Depth=1
	s_wait_alu 0xfffe
	s_or_b32 exec_lo, exec_lo, s23
	v_lshlrev_b32_e32 v7, 8, v7
	v_lshl_add_u32 v32, v32, 10, 0x2000
	v_lshlrev_b32_e32 v31, 23, v31
	s_delay_alu instid0(VALU_DEP_2) | instskip(NEXT) | instid1(VALU_DEP_1)
	v_and_or_b32 v7, 0x8000, v7, v32
	v_lshl_or_b32 v160, v7, 16, v31
.LBB288_337:                            ;   in Loop: Header=BB288_16 Depth=1
	s_wait_alu 0xfffe
	s_or_b32 exec_lo, exec_lo, s22
.LBB288_338:                            ;   in Loop: Header=BB288_16 Depth=1
	s_wait_alu 0xfffe
	s_or_b32 exec_lo, exec_lo, s21
.LBB288_339:                            ;   in Loop: Header=BB288_16 Depth=1
	s_wait_alu 0xfffe
	s_or_b32 exec_lo, exec_lo, s20
	flat_load_b64 v[31:32], v[28:29] offset:1032
	s_mov_b32 s20, exec_lo
	s_wait_loadcnt_dscnt 0x0
	v_and_b32_e32 v7, 0xff, v31
	s_delay_alu instid0(VALU_DEP_1)
	v_cmpx_ne_u16_e32 0, v7
	s_cbranch_execz .LBB288_347
; %bb.340:                              ;   in Loop: Header=BB288_16 Depth=1
	v_mov_b32_e32 v161, 0x8000
	s_mov_b32 s21, exec_lo
	v_cmpx_ne_u16_e32 0x80, v7
	s_cbranch_execz .LBB288_346
; %bb.341:                              ;   in Loop: Header=BB288_16 Depth=1
	v_and_b32_e32 v162, 0x7f, v31
	v_mov_b32_e32 v161, 0x7c01
	s_mov_b32 s22, exec_lo
	s_delay_alu instid0(VALU_DEP_2)
	v_cmpx_ne_u32_e32 0x7f, v162
	s_cbranch_execz .LBB288_345
; %bb.342:                              ;   in Loop: Header=BB288_16 Depth=1
	v_and_b32_e32 v7, 7, v31
	v_lshrrev_b32_e32 v161, 3, v162
	s_mov_b32 s23, exec_lo
	v_cmpx_gt_u32_e32 8, v162
; %bb.343:                              ;   in Loop: Header=BB288_16 Depth=1
	s_delay_alu instid0(VALU_DEP_3) | instskip(NEXT) | instid1(VALU_DEP_1)
	v_clz_i32_u32_e32 v7, v7
	v_min_u32_e32 v7, 32, v7
	s_delay_alu instid0(VALU_DEP_1) | instskip(NEXT) | instid1(VALU_DEP_1)
	v_subrev_nc_u32_e32 v161, 28, v7
	v_lshlrev_b64_e32 v[162:163], v161, v[31:32]
	v_sub_nc_u32_e32 v161, 29, v7
	s_delay_alu instid0(VALU_DEP_2)
	v_and_b32_e32 v7, 7, v162
; %bb.344:                              ;   in Loop: Header=BB288_16 Depth=1
	s_wait_alu 0xfffe
	s_or_b32 exec_lo, exec_lo, s23
	v_lshlrev_b32_e32 v162, 8, v31
	v_lshl_add_u32 v161, v161, 10, 0x2000
	v_lshlrev_b32_e32 v7, 7, v7
	s_delay_alu instid0(VALU_DEP_3) | instskip(NEXT) | instid1(VALU_DEP_3)
	v_and_b32_e32 v162, 0x8000, v162
	v_and_b32_e32 v161, 0xfc00, v161
	s_delay_alu instid0(VALU_DEP_1)
	v_or3_b32 v161, v162, v161, v7
.LBB288_345:                            ;   in Loop: Header=BB288_16 Depth=1
	s_wait_alu 0xfffe
	s_or_b32 exec_lo, exec_lo, s22
.LBB288_346:                            ;   in Loop: Header=BB288_16 Depth=1
	s_wait_alu 0xfffe
	s_or_b32 exec_lo, exec_lo, s21
.LBB288_347:                            ;   in Loop: Header=BB288_16 Depth=1
	s_wait_alu 0xfffe
	s_or_b32 exec_lo, exec_lo, s20
	v_lshrrev_b16 v7, 8, v31
	v_dual_mov_b32 v163, 0 :: v_dual_mov_b32 v162, 0
	s_mov_b32 s20, exec_lo
	s_delay_alu instid0(VALU_DEP_2)
	v_cmpx_ne_u16_e32 0, v7
	s_cbranch_execz .LBB288_355
; %bb.348:                              ;   in Loop: Header=BB288_16 Depth=1
	v_bfrev_b32_e32 v162, 1
	s_mov_b32 s21, exec_lo
	v_cmpx_ne_u16_e32 0x80, v7
	s_cbranch_execz .LBB288_354
; %bb.349:                              ;   in Loop: Header=BB288_16 Depth=1
	v_and_b32_e32 v164, 0xffff, v7
	v_mov_b32_e32 v162, 0x7c010000
	s_mov_b32 s22, exec_lo
	s_delay_alu instid0(VALU_DEP_2) | instskip(NEXT) | instid1(VALU_DEP_1)
	v_and_b32_e32 v166, 0x7f, v164
	v_cmpx_ne_u32_e32 0x7f, v166
	s_cbranch_execz .LBB288_353
; %bb.350:                              ;   in Loop: Header=BB288_16 Depth=1
	v_and_b32_e32 v162, 7, v164
	v_lshrrev_b32_e32 v165, 3, v166
	s_mov_b32 s23, exec_lo
	v_cmpx_gt_u32_e32 8, v166
; %bb.351:                              ;   in Loop: Header=BB288_16 Depth=1
	s_delay_alu instid0(VALU_DEP_3) | instskip(NEXT) | instid1(VALU_DEP_1)
	v_clz_i32_u32_e32 v162, v162
	v_min_u32_e32 v162, 32, v162
	s_delay_alu instid0(VALU_DEP_1) | instskip(NEXT) | instid1(VALU_DEP_1)
	v_subrev_nc_u32_e32 v165, 28, v162
	v_lshlrev_b64_e32 v[166:167], v165, v[7:8]
	v_sub_nc_u32_e32 v165, 29, v162
	s_delay_alu instid0(VALU_DEP_2)
	v_and_b32_e32 v162, 7, v166
; %bb.352:                              ;   in Loop: Header=BB288_16 Depth=1
	s_wait_alu 0xfffe
	s_or_b32 exec_lo, exec_lo, s23
	v_lshlrev_b32_e32 v7, 8, v164
	v_lshl_add_u32 v164, v165, 10, 0x2000
	v_lshlrev_b32_e32 v162, 23, v162
	s_delay_alu instid0(VALU_DEP_2) | instskip(NEXT) | instid1(VALU_DEP_1)
	v_and_or_b32 v7, 0x8000, v7, v164
	v_lshl_or_b32 v162, v7, 16, v162
.LBB288_353:                            ;   in Loop: Header=BB288_16 Depth=1
	s_wait_alu 0xfffe
	s_or_b32 exec_lo, exec_lo, s22
.LBB288_354:                            ;   in Loop: Header=BB288_16 Depth=1
	s_wait_alu 0xfffe
	s_or_b32 exec_lo, exec_lo, s21
.LBB288_355:                            ;   in Loop: Header=BB288_16 Depth=1
	s_wait_alu 0xfffe
	s_or_b32 exec_lo, exec_lo, s20
	v_lshrrev_b32_e32 v7, 16, v31
	s_mov_b32 s20, exec_lo
	s_delay_alu instid0(VALU_DEP_1) | instskip(NEXT) | instid1(VALU_DEP_1)
	v_and_b32_e32 v164, 0xff, v7
	v_cmpx_ne_u16_e64 0, v164
	s_cbranch_execz .LBB288_363
; %bb.356:                              ;   in Loop: Header=BB288_16 Depth=1
	v_mov_b32_e32 v163, 0x8000
	s_mov_b32 s21, exec_lo
	v_cmpx_ne_u16_e64 0x80, v164
	s_cbranch_execz .LBB288_362
; %bb.357:                              ;   in Loop: Header=BB288_16 Depth=1
	v_bfe_u32 v165, v31, 16, 7
	v_mov_b32_e32 v163, 0x7c01
	s_mov_b32 s22, exec_lo
	s_delay_alu instid0(VALU_DEP_2)
	v_cmpx_ne_u32_e32 0x7f, v165
	s_cbranch_execz .LBB288_361
; %bb.358:                              ;   in Loop: Header=BB288_16 Depth=1
	v_and_b32_e32 v163, 7, v7
	v_lshrrev_b32_e32 v164, 3, v165
	s_mov_b32 s23, exec_lo
	v_cmpx_gt_u32_e32 8, v165
; %bb.359:                              ;   in Loop: Header=BB288_16 Depth=1
	s_delay_alu instid0(VALU_DEP_3) | instskip(NEXT) | instid1(VALU_DEP_1)
	v_clz_i32_u32_e32 v163, v163
	v_min_u32_e32 v165, 32, v163
	s_delay_alu instid0(VALU_DEP_1) | instskip(NEXT) | instid1(VALU_DEP_1)
	v_subrev_nc_u32_e32 v163, 28, v165
	v_lshlrev_b64_e32 v[163:164], v163, v[7:8]
	v_sub_nc_u32_e32 v164, 29, v165
	s_delay_alu instid0(VALU_DEP_2)
	v_and_b32_e32 v163, 7, v163
; %bb.360:                              ;   in Loop: Header=BB288_16 Depth=1
	s_wait_alu 0xfffe
	s_or_b32 exec_lo, exec_lo, s23
	v_lshlrev_b32_e32 v7, 8, v7
	v_lshl_add_u32 v164, v164, 10, 0x2000
	v_lshlrev_b32_e32 v163, 7, v163
	s_delay_alu instid0(VALU_DEP_3) | instskip(NEXT) | instid1(VALU_DEP_3)
	v_and_b32_e32 v7, 0x8000, v7
	v_and_b32_e32 v164, 0xfc00, v164
	s_delay_alu instid0(VALU_DEP_1)
	v_or3_b32 v163, v7, v164, v163
.LBB288_361:                            ;   in Loop: Header=BB288_16 Depth=1
	s_wait_alu 0xfffe
	s_or_b32 exec_lo, exec_lo, s22
.LBB288_362:                            ;   in Loop: Header=BB288_16 Depth=1
	s_wait_alu 0xfffe
	s_or_b32 exec_lo, exec_lo, s21
.LBB288_363:                            ;   in Loop: Header=BB288_16 Depth=1
	s_wait_alu 0xfffe
	s_or_b32 exec_lo, exec_lo, s20
	v_dual_mov_b32 v164, 0 :: v_dual_mov_b32 v165, 0
	s_mov_b32 s20, exec_lo
	v_cmpx_lt_u32_e32 0xffffff, v31
	s_cbranch_execz .LBB288_371
; %bb.364:                              ;   in Loop: Header=BB288_16 Depth=1
	v_lshrrev_b32_e32 v7, 24, v31
	v_bfrev_b32_e32 v165, 1
	s_mov_b32 s21, exec_lo
	s_delay_alu instid0(VALU_DEP_2)
	v_cmpx_ne_u32_e32 0x80, v7
	s_cbranch_execz .LBB288_370
; %bb.365:                              ;   in Loop: Header=BB288_16 Depth=1
	v_and_b32_e32 v167, 0x7f, v7
	v_mov_b32_e32 v165, 0x7c010000
	s_mov_b32 s22, exec_lo
	s_delay_alu instid0(VALU_DEP_2)
	v_cmpx_ne_u32_e32 0x7f, v167
	s_cbranch_execz .LBB288_369
; %bb.366:                              ;   in Loop: Header=BB288_16 Depth=1
	v_and_b32_e32 v165, 7, v7
	v_lshrrev_b32_e32 v166, 3, v167
	s_mov_b32 s23, exec_lo
	v_cmpx_gt_u32_e32 8, v167
; %bb.367:                              ;   in Loop: Header=BB288_16 Depth=1
	s_delay_alu instid0(VALU_DEP_3) | instskip(NEXT) | instid1(VALU_DEP_1)
	v_clz_i32_u32_e32 v165, v165
	v_min_u32_e32 v167, 32, v165
	s_delay_alu instid0(VALU_DEP_1) | instskip(NEXT) | instid1(VALU_DEP_1)
	v_subrev_nc_u32_e32 v165, 28, v167
	v_lshlrev_b64_e32 v[165:166], v165, v[7:8]
	v_sub_nc_u32_e32 v166, 29, v167
	s_delay_alu instid0(VALU_DEP_2)
	v_and_b32_e32 v165, 7, v165
; %bb.368:                              ;   in Loop: Header=BB288_16 Depth=1
	s_wait_alu 0xfffe
	s_or_b32 exec_lo, exec_lo, s23
	v_lshlrev_b32_e32 v7, 8, v7
	v_lshl_add_u32 v166, v166, 10, 0x2000
	v_lshlrev_b32_e32 v165, 23, v165
	s_delay_alu instid0(VALU_DEP_2) | instskip(NEXT) | instid1(VALU_DEP_1)
	v_and_or_b32 v7, 0x8000, v7, v166
	v_lshl_or_b32 v165, v7, 16, v165
.LBB288_369:                            ;   in Loop: Header=BB288_16 Depth=1
	s_wait_alu 0xfffe
	s_or_b32 exec_lo, exec_lo, s22
.LBB288_370:                            ;   in Loop: Header=BB288_16 Depth=1
	s_wait_alu 0xfffe
	s_or_b32 exec_lo, exec_lo, s21
.LBB288_371:                            ;   in Loop: Header=BB288_16 Depth=1
	s_wait_alu 0xfffe
	s_or_b32 exec_lo, exec_lo, s20
	v_dual_mov_b32 v7, v32 :: v_dual_and_b32 v166, 0xff, v32
	s_mov_b32 s20, exec_lo
	s_delay_alu instid0(VALU_DEP_1)
	v_cmpx_ne_u16_e64 0, v166
	s_cbranch_execz .LBB288_379
; %bb.372:                              ;   in Loop: Header=BB288_16 Depth=1
	v_mov_b32_e32 v164, 0x8000
	s_mov_b32 s21, exec_lo
	v_cmpx_ne_u16_e64 0x80, v166
	s_cbranch_execz .LBB288_378
; %bb.373:                              ;   in Loop: Header=BB288_16 Depth=1
	v_and_b32_e32 v167, 0x7f, v32
	v_mov_b32_e32 v164, 0x7c01
	s_mov_b32 s22, exec_lo
	s_delay_alu instid0(VALU_DEP_2)
	v_cmpx_ne_u32_e32 0x7f, v167
	s_cbranch_execz .LBB288_377
; %bb.374:                              ;   in Loop: Header=BB288_16 Depth=1
	v_and_b32_e32 v164, 7, v32
	v_lshrrev_b32_e32 v166, 3, v167
	s_mov_b32 s23, exec_lo
	v_cmpx_gt_u32_e32 8, v167
; %bb.375:                              ;   in Loop: Header=BB288_16 Depth=1
	s_delay_alu instid0(VALU_DEP_3) | instskip(NEXT) | instid1(VALU_DEP_1)
	v_clz_i32_u32_e32 v164, v164
	v_min_u32_e32 v164, 32, v164
	s_delay_alu instid0(VALU_DEP_1) | instskip(NEXT) | instid1(VALU_DEP_1)
	v_subrev_nc_u32_e32 v166, 28, v164
	v_lshlrev_b64_e32 v[176:177], v166, v[7:8]
	v_sub_nc_u32_e32 v166, 29, v164
	s_delay_alu instid0(VALU_DEP_2)
	v_and_b32_e32 v164, 7, v176
; %bb.376:                              ;   in Loop: Header=BB288_16 Depth=1
	s_wait_alu 0xfffe
	s_or_b32 exec_lo, exec_lo, s23
	v_lshlrev_b32_e32 v167, 8, v32
	v_lshl_add_u32 v166, v166, 10, 0x2000
	v_lshlrev_b32_e32 v164, 7, v164
	s_delay_alu instid0(VALU_DEP_3) | instskip(NEXT) | instid1(VALU_DEP_3)
	v_and_b32_e32 v167, 0x8000, v167
	v_and_b32_e32 v166, 0xfc00, v166
	s_delay_alu instid0(VALU_DEP_1)
	v_or3_b32 v164, v167, v166, v164
.LBB288_377:                            ;   in Loop: Header=BB288_16 Depth=1
	s_wait_alu 0xfffe
	s_or_b32 exec_lo, exec_lo, s22
.LBB288_378:                            ;   in Loop: Header=BB288_16 Depth=1
	s_wait_alu 0xfffe
	s_or_b32 exec_lo, exec_lo, s21
.LBB288_379:                            ;   in Loop: Header=BB288_16 Depth=1
	s_wait_alu 0xfffe
	s_or_b32 exec_lo, exec_lo, s20
	v_lshrrev_b16 v7, 8, v7
	v_dual_mov_b32 v166, 0 :: v_dual_mov_b32 v167, 0
	s_mov_b32 s20, exec_lo
	s_delay_alu instid0(VALU_DEP_2)
	v_cmpx_ne_u16_e32 0, v7
	s_cbranch_execz .LBB288_387
; %bb.380:                              ;   in Loop: Header=BB288_16 Depth=1
	v_bfrev_b32_e32 v167, 1
	s_mov_b32 s21, exec_lo
	v_cmpx_ne_u16_e32 0x80, v7
	s_cbranch_execz .LBB288_386
; %bb.381:                              ;   in Loop: Header=BB288_16 Depth=1
	v_and_b32_e32 v176, 0xffff, v7
	v_mov_b32_e32 v167, 0x7c010000
	s_mov_b32 s22, exec_lo
	s_delay_alu instid0(VALU_DEP_2) | instskip(NEXT) | instid1(VALU_DEP_1)
	v_and_b32_e32 v178, 0x7f, v176
	v_cmpx_ne_u32_e32 0x7f, v178
	s_cbranch_execz .LBB288_385
; %bb.382:                              ;   in Loop: Header=BB288_16 Depth=1
	v_and_b32_e32 v167, 7, v176
	v_lshrrev_b32_e32 v177, 3, v178
	s_mov_b32 s23, exec_lo
	v_cmpx_gt_u32_e32 8, v178
; %bb.383:                              ;   in Loop: Header=BB288_16 Depth=1
	s_delay_alu instid0(VALU_DEP_3) | instskip(NEXT) | instid1(VALU_DEP_1)
	v_clz_i32_u32_e32 v167, v167
	v_min_u32_e32 v167, 32, v167
	s_delay_alu instid0(VALU_DEP_1) | instskip(NEXT) | instid1(VALU_DEP_1)
	v_subrev_nc_u32_e32 v177, 28, v167
	v_lshlrev_b64_e32 v[178:179], v177, v[7:8]
	v_sub_nc_u32_e32 v177, 29, v167
	s_delay_alu instid0(VALU_DEP_2)
	v_and_b32_e32 v167, 7, v178
; %bb.384:                              ;   in Loop: Header=BB288_16 Depth=1
	s_wait_alu 0xfffe
	s_or_b32 exec_lo, exec_lo, s23
	v_lshlrev_b32_e32 v7, 8, v176
	v_lshl_add_u32 v176, v177, 10, 0x2000
	v_lshlrev_b32_e32 v167, 23, v167
	s_delay_alu instid0(VALU_DEP_2) | instskip(NEXT) | instid1(VALU_DEP_1)
	v_and_or_b32 v7, 0x8000, v7, v176
	v_lshl_or_b32 v167, v7, 16, v167
.LBB288_385:                            ;   in Loop: Header=BB288_16 Depth=1
	s_wait_alu 0xfffe
	s_or_b32 exec_lo, exec_lo, s22
.LBB288_386:                            ;   in Loop: Header=BB288_16 Depth=1
	s_wait_alu 0xfffe
	s_or_b32 exec_lo, exec_lo, s21
.LBB288_387:                            ;   in Loop: Header=BB288_16 Depth=1
	s_wait_alu 0xfffe
	s_or_b32 exec_lo, exec_lo, s20
	v_lshrrev_b32_e32 v7, 16, v32
	s_mov_b32 s20, exec_lo
	s_delay_alu instid0(VALU_DEP_1) | instskip(NEXT) | instid1(VALU_DEP_1)
	v_and_b32_e32 v176, 0xff, v7
	v_cmpx_ne_u16_e64 0, v176
	s_cbranch_execz .LBB288_395
; %bb.388:                              ;   in Loop: Header=BB288_16 Depth=1
	v_mov_b32_e32 v166, 0x8000
	s_mov_b32 s21, exec_lo
	v_cmpx_ne_u16_e64 0x80, v176
	s_cbranch_execz .LBB288_394
; %bb.389:                              ;   in Loop: Header=BB288_16 Depth=1
	v_bfe_u32 v177, v32, 16, 7
	v_mov_b32_e32 v166, 0x7c01
	s_mov_b32 s22, exec_lo
	s_delay_alu instid0(VALU_DEP_2)
	v_cmpx_ne_u32_e32 0x7f, v177
	s_cbranch_execz .LBB288_393
; %bb.390:                              ;   in Loop: Header=BB288_16 Depth=1
	v_and_b32_e32 v166, 7, v7
	v_lshrrev_b32_e32 v176, 3, v177
	s_mov_b32 s23, exec_lo
	v_cmpx_gt_u32_e32 8, v177
; %bb.391:                              ;   in Loop: Header=BB288_16 Depth=1
	s_delay_alu instid0(VALU_DEP_3) | instskip(NEXT) | instid1(VALU_DEP_1)
	v_clz_i32_u32_e32 v166, v166
	v_min_u32_e32 v166, 32, v166
	s_delay_alu instid0(VALU_DEP_1) | instskip(NEXT) | instid1(VALU_DEP_1)
	v_subrev_nc_u32_e32 v176, 28, v166
	v_lshlrev_b64_e32 v[177:178], v176, v[7:8]
	v_sub_nc_u32_e32 v176, 29, v166
	s_delay_alu instid0(VALU_DEP_2)
	v_and_b32_e32 v166, 7, v177
; %bb.392:                              ;   in Loop: Header=BB288_16 Depth=1
	s_wait_alu 0xfffe
	s_or_b32 exec_lo, exec_lo, s23
	v_lshlrev_b32_e32 v7, 8, v7
	v_lshl_add_u32 v176, v176, 10, 0x2000
	v_lshlrev_b32_e32 v166, 7, v166
	s_delay_alu instid0(VALU_DEP_3) | instskip(NEXT) | instid1(VALU_DEP_3)
	v_and_b32_e32 v7, 0x8000, v7
	v_and_b32_e32 v176, 0xfc00, v176
	s_delay_alu instid0(VALU_DEP_1)
	v_or3_b32 v166, v7, v176, v166
.LBB288_393:                            ;   in Loop: Header=BB288_16 Depth=1
	s_wait_alu 0xfffe
	s_or_b32 exec_lo, exec_lo, s22
.LBB288_394:                            ;   in Loop: Header=BB288_16 Depth=1
	s_wait_alu 0xfffe
	s_or_b32 exec_lo, exec_lo, s21
.LBB288_395:                            ;   in Loop: Header=BB288_16 Depth=1
	s_wait_alu 0xfffe
	s_or_b32 exec_lo, exec_lo, s20
	v_dual_mov_b32 v177, 0 :: v_dual_mov_b32 v176, 0
	s_mov_b32 s20, exec_lo
	v_cmpx_lt_u64_e64 s[10:11], v[31:32]
	s_cbranch_execz .LBB288_403
; %bb.396:                              ;   in Loop: Header=BB288_16 Depth=1
	v_lshrrev_b32_e32 v7, 24, v32
	v_bfrev_b32_e32 v176, 1
	s_mov_b32 s21, exec_lo
	s_delay_alu instid0(VALU_DEP_2)
	v_cmpx_ne_u32_e32 0x80, v7
	s_cbranch_execz .LBB288_402
; %bb.397:                              ;   in Loop: Header=BB288_16 Depth=1
	v_and_b32_e32 v178, 0x7f, v7
	v_mov_b32_e32 v176, 0x7c010000
	s_mov_b32 s22, exec_lo
	s_delay_alu instid0(VALU_DEP_2)
	v_cmpx_ne_u32_e32 0x7f, v178
	s_cbranch_execz .LBB288_401
; %bb.398:                              ;   in Loop: Header=BB288_16 Depth=1
	v_and_b32_e32 v31, 7, v7
	v_lshrrev_b32_e32 v32, 3, v178
	s_mov_b32 s23, exec_lo
	v_cmpx_gt_u32_e32 8, v178
; %bb.399:                              ;   in Loop: Header=BB288_16 Depth=1
	s_delay_alu instid0(VALU_DEP_3) | instskip(NEXT) | instid1(VALU_DEP_1)
	v_clz_i32_u32_e32 v31, v31
	v_min_u32_e32 v176, 32, v31
	s_delay_alu instid0(VALU_DEP_1) | instskip(NEXT) | instid1(VALU_DEP_1)
	v_subrev_nc_u32_e32 v31, 28, v176
	v_lshlrev_b64_e32 v[31:32], v31, v[7:8]
	v_sub_nc_u32_e32 v32, 29, v176
	s_delay_alu instid0(VALU_DEP_2)
	v_and_b32_e32 v31, 7, v31
; %bb.400:                              ;   in Loop: Header=BB288_16 Depth=1
	s_wait_alu 0xfffe
	s_or_b32 exec_lo, exec_lo, s23
	v_lshlrev_b32_e32 v7, 8, v7
	v_lshl_add_u32 v32, v32, 10, 0x2000
	v_lshlrev_b32_e32 v31, 23, v31
	s_delay_alu instid0(VALU_DEP_2) | instskip(NEXT) | instid1(VALU_DEP_1)
	v_and_or_b32 v7, 0x8000, v7, v32
	v_lshl_or_b32 v176, v7, 16, v31
.LBB288_401:                            ;   in Loop: Header=BB288_16 Depth=1
	s_wait_alu 0xfffe
	s_or_b32 exec_lo, exec_lo, s22
.LBB288_402:                            ;   in Loop: Header=BB288_16 Depth=1
	s_wait_alu 0xfffe
	s_or_b32 exec_lo, exec_lo, s21
.LBB288_403:                            ;   in Loop: Header=BB288_16 Depth=1
	s_wait_alu 0xfffe
	s_or_b32 exec_lo, exec_lo, s20
	flat_load_b64 v[31:32], v[28:29] offset:1536
	s_mov_b32 s20, exec_lo
	s_wait_loadcnt_dscnt 0x0
	v_and_b32_e32 v7, 0xff, v31
	s_delay_alu instid0(VALU_DEP_1)
	v_cmpx_ne_u16_e32 0, v7
	s_cbranch_execz .LBB288_411
; %bb.404:                              ;   in Loop: Header=BB288_16 Depth=1
	v_mov_b32_e32 v177, 0x8000
	s_mov_b32 s21, exec_lo
	v_cmpx_ne_u16_e32 0x80, v7
	s_cbranch_execz .LBB288_410
; %bb.405:                              ;   in Loop: Header=BB288_16 Depth=1
	v_and_b32_e32 v178, 0x7f, v31
	v_mov_b32_e32 v177, 0x7c01
	s_mov_b32 s22, exec_lo
	s_delay_alu instid0(VALU_DEP_2)
	v_cmpx_ne_u32_e32 0x7f, v178
	s_cbranch_execz .LBB288_409
; %bb.406:                              ;   in Loop: Header=BB288_16 Depth=1
	v_and_b32_e32 v7, 7, v31
	v_lshrrev_b32_e32 v177, 3, v178
	s_mov_b32 s23, exec_lo
	v_cmpx_gt_u32_e32 8, v178
; %bb.407:                              ;   in Loop: Header=BB288_16 Depth=1
	s_delay_alu instid0(VALU_DEP_3) | instskip(NEXT) | instid1(VALU_DEP_1)
	v_clz_i32_u32_e32 v7, v7
	v_min_u32_e32 v7, 32, v7
	s_delay_alu instid0(VALU_DEP_1) | instskip(NEXT) | instid1(VALU_DEP_1)
	v_subrev_nc_u32_e32 v177, 28, v7
	v_lshlrev_b64_e32 v[178:179], v177, v[31:32]
	v_sub_nc_u32_e32 v177, 29, v7
	s_delay_alu instid0(VALU_DEP_2)
	v_and_b32_e32 v7, 7, v178
; %bb.408:                              ;   in Loop: Header=BB288_16 Depth=1
	s_wait_alu 0xfffe
	s_or_b32 exec_lo, exec_lo, s23
	v_lshlrev_b32_e32 v178, 8, v31
	v_lshl_add_u32 v177, v177, 10, 0x2000
	v_lshlrev_b32_e32 v7, 7, v7
	s_delay_alu instid0(VALU_DEP_3) | instskip(NEXT) | instid1(VALU_DEP_3)
	v_and_b32_e32 v178, 0x8000, v178
	v_and_b32_e32 v177, 0xfc00, v177
	s_delay_alu instid0(VALU_DEP_1)
	v_or3_b32 v177, v178, v177, v7
.LBB288_409:                            ;   in Loop: Header=BB288_16 Depth=1
	s_wait_alu 0xfffe
	s_or_b32 exec_lo, exec_lo, s22
.LBB288_410:                            ;   in Loop: Header=BB288_16 Depth=1
	s_wait_alu 0xfffe
	s_or_b32 exec_lo, exec_lo, s21
.LBB288_411:                            ;   in Loop: Header=BB288_16 Depth=1
	s_wait_alu 0xfffe
	s_or_b32 exec_lo, exec_lo, s20
	v_lshrrev_b16 v7, 8, v31
	v_dual_mov_b32 v179, 0 :: v_dual_mov_b32 v178, 0
	s_mov_b32 s20, exec_lo
	s_delay_alu instid0(VALU_DEP_2)
	v_cmpx_ne_u16_e32 0, v7
	s_cbranch_execz .LBB288_419
; %bb.412:                              ;   in Loop: Header=BB288_16 Depth=1
	v_bfrev_b32_e32 v178, 1
	s_mov_b32 s21, exec_lo
	v_cmpx_ne_u16_e32 0x80, v7
	s_cbranch_execz .LBB288_418
; %bb.413:                              ;   in Loop: Header=BB288_16 Depth=1
	v_and_b32_e32 v180, 0xffff, v7
	v_mov_b32_e32 v178, 0x7c010000
	s_mov_b32 s22, exec_lo
	s_delay_alu instid0(VALU_DEP_2) | instskip(NEXT) | instid1(VALU_DEP_1)
	v_and_b32_e32 v182, 0x7f, v180
	v_cmpx_ne_u32_e32 0x7f, v182
	s_cbranch_execz .LBB288_417
; %bb.414:                              ;   in Loop: Header=BB288_16 Depth=1
	v_and_b32_e32 v178, 7, v180
	v_lshrrev_b32_e32 v181, 3, v182
	s_mov_b32 s23, exec_lo
	v_cmpx_gt_u32_e32 8, v182
; %bb.415:                              ;   in Loop: Header=BB288_16 Depth=1
	s_delay_alu instid0(VALU_DEP_3) | instskip(NEXT) | instid1(VALU_DEP_1)
	v_clz_i32_u32_e32 v178, v178
	v_min_u32_e32 v178, 32, v178
	s_delay_alu instid0(VALU_DEP_1) | instskip(NEXT) | instid1(VALU_DEP_1)
	v_subrev_nc_u32_e32 v181, 28, v178
	v_lshlrev_b64_e32 v[182:183], v181, v[7:8]
	v_sub_nc_u32_e32 v181, 29, v178
	s_delay_alu instid0(VALU_DEP_2)
	v_and_b32_e32 v178, 7, v182
; %bb.416:                              ;   in Loop: Header=BB288_16 Depth=1
	s_wait_alu 0xfffe
	s_or_b32 exec_lo, exec_lo, s23
	v_lshlrev_b32_e32 v7, 8, v180
	v_lshl_add_u32 v180, v181, 10, 0x2000
	v_lshlrev_b32_e32 v178, 23, v178
	s_delay_alu instid0(VALU_DEP_2) | instskip(NEXT) | instid1(VALU_DEP_1)
	v_and_or_b32 v7, 0x8000, v7, v180
	v_lshl_or_b32 v178, v7, 16, v178
.LBB288_417:                            ;   in Loop: Header=BB288_16 Depth=1
	s_wait_alu 0xfffe
	s_or_b32 exec_lo, exec_lo, s22
.LBB288_418:                            ;   in Loop: Header=BB288_16 Depth=1
	s_wait_alu 0xfffe
	s_or_b32 exec_lo, exec_lo, s21
.LBB288_419:                            ;   in Loop: Header=BB288_16 Depth=1
	s_wait_alu 0xfffe
	s_or_b32 exec_lo, exec_lo, s20
	v_lshrrev_b32_e32 v7, 16, v31
	s_mov_b32 s20, exec_lo
	s_delay_alu instid0(VALU_DEP_1) | instskip(NEXT) | instid1(VALU_DEP_1)
	v_and_b32_e32 v180, 0xff, v7
	v_cmpx_ne_u16_e64 0, v180
	s_cbranch_execz .LBB288_427
; %bb.420:                              ;   in Loop: Header=BB288_16 Depth=1
	v_mov_b32_e32 v179, 0x8000
	s_mov_b32 s21, exec_lo
	v_cmpx_ne_u16_e64 0x80, v180
	s_cbranch_execz .LBB288_426
; %bb.421:                              ;   in Loop: Header=BB288_16 Depth=1
	v_bfe_u32 v181, v31, 16, 7
	v_mov_b32_e32 v179, 0x7c01
	s_mov_b32 s22, exec_lo
	s_delay_alu instid0(VALU_DEP_2)
	v_cmpx_ne_u32_e32 0x7f, v181
	s_cbranch_execz .LBB288_425
; %bb.422:                              ;   in Loop: Header=BB288_16 Depth=1
	v_and_b32_e32 v179, 7, v7
	v_lshrrev_b32_e32 v180, 3, v181
	s_mov_b32 s23, exec_lo
	v_cmpx_gt_u32_e32 8, v181
; %bb.423:                              ;   in Loop: Header=BB288_16 Depth=1
	s_delay_alu instid0(VALU_DEP_3) | instskip(NEXT) | instid1(VALU_DEP_1)
	v_clz_i32_u32_e32 v179, v179
	v_min_u32_e32 v181, 32, v179
	s_delay_alu instid0(VALU_DEP_1) | instskip(NEXT) | instid1(VALU_DEP_1)
	v_subrev_nc_u32_e32 v179, 28, v181
	v_lshlrev_b64_e32 v[179:180], v179, v[7:8]
	v_sub_nc_u32_e32 v180, 29, v181
	s_delay_alu instid0(VALU_DEP_2)
	v_and_b32_e32 v179, 7, v179
; %bb.424:                              ;   in Loop: Header=BB288_16 Depth=1
	s_wait_alu 0xfffe
	s_or_b32 exec_lo, exec_lo, s23
	v_lshlrev_b32_e32 v7, 8, v7
	v_lshl_add_u32 v180, v180, 10, 0x2000
	v_lshlrev_b32_e32 v179, 7, v179
	s_delay_alu instid0(VALU_DEP_3) | instskip(NEXT) | instid1(VALU_DEP_3)
	v_and_b32_e32 v7, 0x8000, v7
	v_and_b32_e32 v180, 0xfc00, v180
	s_delay_alu instid0(VALU_DEP_1)
	v_or3_b32 v179, v7, v180, v179
.LBB288_425:                            ;   in Loop: Header=BB288_16 Depth=1
	s_wait_alu 0xfffe
	s_or_b32 exec_lo, exec_lo, s22
.LBB288_426:                            ;   in Loop: Header=BB288_16 Depth=1
	s_wait_alu 0xfffe
	s_or_b32 exec_lo, exec_lo, s21
.LBB288_427:                            ;   in Loop: Header=BB288_16 Depth=1
	s_wait_alu 0xfffe
	s_or_b32 exec_lo, exec_lo, s20
	v_dual_mov_b32 v180, 0 :: v_dual_mov_b32 v181, 0
	s_mov_b32 s20, exec_lo
	v_cmpx_lt_u32_e32 0xffffff, v31
	s_cbranch_execz .LBB288_435
; %bb.428:                              ;   in Loop: Header=BB288_16 Depth=1
	v_lshrrev_b32_e32 v7, 24, v31
	v_bfrev_b32_e32 v181, 1
	s_mov_b32 s21, exec_lo
	s_delay_alu instid0(VALU_DEP_2)
	v_cmpx_ne_u32_e32 0x80, v7
	s_cbranch_execz .LBB288_434
; %bb.429:                              ;   in Loop: Header=BB288_16 Depth=1
	v_and_b32_e32 v183, 0x7f, v7
	v_mov_b32_e32 v181, 0x7c010000
	s_mov_b32 s22, exec_lo
	s_delay_alu instid0(VALU_DEP_2)
	v_cmpx_ne_u32_e32 0x7f, v183
	s_cbranch_execz .LBB288_433
; %bb.430:                              ;   in Loop: Header=BB288_16 Depth=1
	v_and_b32_e32 v181, 7, v7
	v_lshrrev_b32_e32 v182, 3, v183
	s_mov_b32 s23, exec_lo
	v_cmpx_gt_u32_e32 8, v183
; %bb.431:                              ;   in Loop: Header=BB288_16 Depth=1
	s_delay_alu instid0(VALU_DEP_3) | instskip(NEXT) | instid1(VALU_DEP_1)
	v_clz_i32_u32_e32 v181, v181
	v_min_u32_e32 v183, 32, v181
	s_delay_alu instid0(VALU_DEP_1) | instskip(NEXT) | instid1(VALU_DEP_1)
	v_subrev_nc_u32_e32 v181, 28, v183
	v_lshlrev_b64_e32 v[181:182], v181, v[7:8]
	v_sub_nc_u32_e32 v182, 29, v183
	s_delay_alu instid0(VALU_DEP_2)
	v_and_b32_e32 v181, 7, v181
; %bb.432:                              ;   in Loop: Header=BB288_16 Depth=1
	s_wait_alu 0xfffe
	s_or_b32 exec_lo, exec_lo, s23
	v_lshlrev_b32_e32 v7, 8, v7
	v_lshl_add_u32 v182, v182, 10, 0x2000
	v_lshlrev_b32_e32 v181, 23, v181
	s_delay_alu instid0(VALU_DEP_2) | instskip(NEXT) | instid1(VALU_DEP_1)
	v_and_or_b32 v7, 0x8000, v7, v182
	v_lshl_or_b32 v181, v7, 16, v181
.LBB288_433:                            ;   in Loop: Header=BB288_16 Depth=1
	s_wait_alu 0xfffe
	s_or_b32 exec_lo, exec_lo, s22
.LBB288_434:                            ;   in Loop: Header=BB288_16 Depth=1
	s_wait_alu 0xfffe
	s_or_b32 exec_lo, exec_lo, s21
.LBB288_435:                            ;   in Loop: Header=BB288_16 Depth=1
	s_wait_alu 0xfffe
	s_or_b32 exec_lo, exec_lo, s20
	v_dual_mov_b32 v7, v32 :: v_dual_and_b32 v182, 0xff, v32
	s_mov_b32 s20, exec_lo
	s_delay_alu instid0(VALU_DEP_1)
	v_cmpx_ne_u16_e64 0, v182
	s_cbranch_execz .LBB288_443
; %bb.436:                              ;   in Loop: Header=BB288_16 Depth=1
	v_mov_b32_e32 v180, 0x8000
	s_mov_b32 s21, exec_lo
	v_cmpx_ne_u16_e64 0x80, v182
	s_cbranch_execz .LBB288_442
; %bb.437:                              ;   in Loop: Header=BB288_16 Depth=1
	v_and_b32_e32 v183, 0x7f, v32
	v_mov_b32_e32 v180, 0x7c01
	s_mov_b32 s22, exec_lo
	s_delay_alu instid0(VALU_DEP_2)
	v_cmpx_ne_u32_e32 0x7f, v183
	s_cbranch_execz .LBB288_441
; %bb.438:                              ;   in Loop: Header=BB288_16 Depth=1
	v_and_b32_e32 v180, 7, v32
	v_lshrrev_b32_e32 v182, 3, v183
	s_mov_b32 s23, exec_lo
	v_cmpx_gt_u32_e32 8, v183
; %bb.439:                              ;   in Loop: Header=BB288_16 Depth=1
	s_delay_alu instid0(VALU_DEP_3) | instskip(NEXT) | instid1(VALU_DEP_1)
	v_clz_i32_u32_e32 v180, v180
	v_min_u32_e32 v180, 32, v180
	s_delay_alu instid0(VALU_DEP_1) | instskip(NEXT) | instid1(VALU_DEP_1)
	v_subrev_nc_u32_e32 v182, 28, v180
	v_lshlrev_b64_e32 v[40:41], v182, v[7:8]
	v_sub_nc_u32_e32 v182, 29, v180
	s_delay_alu instid0(VALU_DEP_2)
	v_and_b32_e32 v180, 7, v40
; %bb.440:                              ;   in Loop: Header=BB288_16 Depth=1
	s_wait_alu 0xfffe
	s_or_b32 exec_lo, exec_lo, s23
	v_lshlrev_b32_e32 v183, 8, v32
	v_lshl_add_u32 v182, v182, 10, 0x2000
	v_lshlrev_b32_e32 v180, 7, v180
	s_delay_alu instid0(VALU_DEP_3) | instskip(NEXT) | instid1(VALU_DEP_3)
	v_and_b32_e32 v183, 0x8000, v183
	v_and_b32_e32 v182, 0xfc00, v182
	s_delay_alu instid0(VALU_DEP_1)
	v_or3_b32 v180, v183, v182, v180
.LBB288_441:                            ;   in Loop: Header=BB288_16 Depth=1
	s_wait_alu 0xfffe
	s_or_b32 exec_lo, exec_lo, s22
.LBB288_442:                            ;   in Loop: Header=BB288_16 Depth=1
	s_wait_alu 0xfffe
	s_or_b32 exec_lo, exec_lo, s21
.LBB288_443:                            ;   in Loop: Header=BB288_16 Depth=1
	s_wait_alu 0xfffe
	s_or_b32 exec_lo, exec_lo, s20
	v_lshrrev_b16 v7, 8, v7
	v_dual_mov_b32 v182, 0 :: v_dual_mov_b32 v183, 0
	s_mov_b32 s20, exec_lo
	s_delay_alu instid0(VALU_DEP_2)
	v_cmpx_ne_u16_e32 0, v7
	s_cbranch_execz .LBB288_451
; %bb.444:                              ;   in Loop: Header=BB288_16 Depth=1
	v_bfrev_b32_e32 v183, 1
	s_mov_b32 s21, exec_lo
	v_cmpx_ne_u16_e32 0x80, v7
	s_cbranch_execz .LBB288_450
; %bb.445:                              ;   in Loop: Header=BB288_16 Depth=1
	v_and_b32_e32 v40, 0xffff, v7
	v_mov_b32_e32 v183, 0x7c010000
	s_mov_b32 s22, exec_lo
	s_delay_alu instid0(VALU_DEP_2) | instskip(NEXT) | instid1(VALU_DEP_1)
	v_and_b32_e32 v42, 0x7f, v40
	v_cmpx_ne_u32_e32 0x7f, v42
	s_cbranch_execz .LBB288_449
; %bb.446:                              ;   in Loop: Header=BB288_16 Depth=1
	v_and_b32_e32 v183, 7, v40
	v_lshrrev_b32_e32 v41, 3, v42
	s_mov_b32 s23, exec_lo
	v_cmpx_gt_u32_e32 8, v42
; %bb.447:                              ;   in Loop: Header=BB288_16 Depth=1
	s_delay_alu instid0(VALU_DEP_3) | instskip(NEXT) | instid1(VALU_DEP_1)
	v_clz_i32_u32_e32 v183, v183
	v_min_u32_e32 v183, 32, v183
	s_delay_alu instid0(VALU_DEP_1) | instskip(NEXT) | instid1(VALU_DEP_1)
	v_subrev_nc_u32_e32 v41, 28, v183
	v_lshlrev_b64_e32 v[42:43], v41, v[7:8]
	v_sub_nc_u32_e32 v41, 29, v183
	s_delay_alu instid0(VALU_DEP_2)
	v_and_b32_e32 v183, 7, v42
; %bb.448:                              ;   in Loop: Header=BB288_16 Depth=1
	s_wait_alu 0xfffe
	s_or_b32 exec_lo, exec_lo, s23
	v_lshlrev_b32_e32 v7, 8, v40
	v_lshl_add_u32 v40, v41, 10, 0x2000
	v_lshlrev_b32_e32 v183, 23, v183
	s_delay_alu instid0(VALU_DEP_2) | instskip(NEXT) | instid1(VALU_DEP_1)
	v_and_or_b32 v7, 0x8000, v7, v40
	v_lshl_or_b32 v183, v7, 16, v183
.LBB288_449:                            ;   in Loop: Header=BB288_16 Depth=1
	s_wait_alu 0xfffe
	s_or_b32 exec_lo, exec_lo, s22
.LBB288_450:                            ;   in Loop: Header=BB288_16 Depth=1
	s_wait_alu 0xfffe
	s_or_b32 exec_lo, exec_lo, s21
.LBB288_451:                            ;   in Loop: Header=BB288_16 Depth=1
	s_wait_alu 0xfffe
	s_or_b32 exec_lo, exec_lo, s20
	v_lshrrev_b32_e32 v7, 16, v32
	s_mov_b32 s20, exec_lo
	s_delay_alu instid0(VALU_DEP_1) | instskip(NEXT) | instid1(VALU_DEP_1)
	v_and_b32_e32 v40, 0xff, v7
	v_cmpx_ne_u16_e32 0, v40
	s_cbranch_execz .LBB288_459
; %bb.452:                              ;   in Loop: Header=BB288_16 Depth=1
	v_mov_b32_e32 v182, 0x8000
	s_mov_b32 s21, exec_lo
	v_cmpx_ne_u16_e32 0x80, v40
	s_cbranch_execz .LBB288_458
; %bb.453:                              ;   in Loop: Header=BB288_16 Depth=1
	v_bfe_u32 v41, v32, 16, 7
	v_mov_b32_e32 v182, 0x7c01
	s_mov_b32 s22, exec_lo
	s_delay_alu instid0(VALU_DEP_2)
	v_cmpx_ne_u32_e32 0x7f, v41
	s_cbranch_execz .LBB288_457
; %bb.454:                              ;   in Loop: Header=BB288_16 Depth=1
	v_and_b32_e32 v182, 7, v7
	v_lshrrev_b32_e32 v40, 3, v41
	s_mov_b32 s23, exec_lo
	v_cmpx_gt_u32_e32 8, v41
; %bb.455:                              ;   in Loop: Header=BB288_16 Depth=1
	s_delay_alu instid0(VALU_DEP_3) | instskip(NEXT) | instid1(VALU_DEP_1)
	v_clz_i32_u32_e32 v182, v182
	v_min_u32_e32 v182, 32, v182
	s_delay_alu instid0(VALU_DEP_1) | instskip(NEXT) | instid1(VALU_DEP_1)
	v_subrev_nc_u32_e32 v40, 28, v182
	v_lshlrev_b64_e32 v[41:42], v40, v[7:8]
	v_sub_nc_u32_e32 v40, 29, v182
	s_delay_alu instid0(VALU_DEP_2)
	v_and_b32_e32 v182, 7, v41
; %bb.456:                              ;   in Loop: Header=BB288_16 Depth=1
	s_wait_alu 0xfffe
	s_or_b32 exec_lo, exec_lo, s23
	v_lshlrev_b32_e32 v7, 8, v7
	v_lshl_add_u32 v40, v40, 10, 0x2000
	v_lshlrev_b32_e32 v182, 7, v182
	s_delay_alu instid0(VALU_DEP_3) | instskip(NEXT) | instid1(VALU_DEP_3)
	v_and_b32_e32 v7, 0x8000, v7
	v_and_b32_e32 v40, 0xfc00, v40
	s_delay_alu instid0(VALU_DEP_1)
	v_or3_b32 v182, v7, v40, v182
.LBB288_457:                            ;   in Loop: Header=BB288_16 Depth=1
	s_wait_alu 0xfffe
	s_or_b32 exec_lo, exec_lo, s22
.LBB288_458:                            ;   in Loop: Header=BB288_16 Depth=1
	s_wait_alu 0xfffe
	s_or_b32 exec_lo, exec_lo, s21
.LBB288_459:                            ;   in Loop: Header=BB288_16 Depth=1
	s_wait_alu 0xfffe
	s_or_b32 exec_lo, exec_lo, s20
	v_dual_mov_b32 v41, 0 :: v_dual_mov_b32 v40, 0
	s_mov_b32 s20, exec_lo
	v_cmpx_lt_u64_e64 s[10:11], v[31:32]
	s_cbranch_execz .LBB288_467
; %bb.460:                              ;   in Loop: Header=BB288_16 Depth=1
	v_lshrrev_b32_e32 v7, 24, v32
	v_bfrev_b32_e32 v40, 1
	s_mov_b32 s21, exec_lo
	s_delay_alu instid0(VALU_DEP_2)
	v_cmpx_ne_u32_e32 0x80, v7
	s_cbranch_execz .LBB288_466
; %bb.461:                              ;   in Loop: Header=BB288_16 Depth=1
	v_and_b32_e32 v42, 0x7f, v7
	v_mov_b32_e32 v40, 0x7c010000
	s_mov_b32 s22, exec_lo
	s_delay_alu instid0(VALU_DEP_2)
	v_cmpx_ne_u32_e32 0x7f, v42
	s_cbranch_execz .LBB288_465
; %bb.462:                              ;   in Loop: Header=BB288_16 Depth=1
	v_and_b32_e32 v31, 7, v7
	v_lshrrev_b32_e32 v32, 3, v42
	s_mov_b32 s23, exec_lo
	v_cmpx_gt_u32_e32 8, v42
; %bb.463:                              ;   in Loop: Header=BB288_16 Depth=1
	s_delay_alu instid0(VALU_DEP_3) | instskip(NEXT) | instid1(VALU_DEP_1)
	v_clz_i32_u32_e32 v31, v31
	v_min_u32_e32 v40, 32, v31
	s_delay_alu instid0(VALU_DEP_1) | instskip(NEXT) | instid1(VALU_DEP_1)
	v_subrev_nc_u32_e32 v31, 28, v40
	v_lshlrev_b64_e32 v[31:32], v31, v[7:8]
	v_sub_nc_u32_e32 v32, 29, v40
	s_delay_alu instid0(VALU_DEP_2)
	v_and_b32_e32 v31, 7, v31
; %bb.464:                              ;   in Loop: Header=BB288_16 Depth=1
	s_wait_alu 0xfffe
	s_or_b32 exec_lo, exec_lo, s23
	v_lshlrev_b32_e32 v7, 8, v7
	v_lshl_add_u32 v32, v32, 10, 0x2000
	v_lshlrev_b32_e32 v31, 23, v31
	s_delay_alu instid0(VALU_DEP_2) | instskip(NEXT) | instid1(VALU_DEP_1)
	v_and_or_b32 v7, 0x8000, v7, v32
	v_lshl_or_b32 v40, v7, 16, v31
.LBB288_465:                            ;   in Loop: Header=BB288_16 Depth=1
	s_wait_alu 0xfffe
	s_or_b32 exec_lo, exec_lo, s22
.LBB288_466:                            ;   in Loop: Header=BB288_16 Depth=1
	s_wait_alu 0xfffe
	s_or_b32 exec_lo, exec_lo, s21
.LBB288_467:                            ;   in Loop: Header=BB288_16 Depth=1
	s_wait_alu 0xfffe
	s_or_b32 exec_lo, exec_lo, s20
	flat_load_b64 v[31:32], v[28:29] offset:1544
	s_mov_b32 s20, exec_lo
	s_wait_loadcnt_dscnt 0x0
	v_and_b32_e32 v7, 0xff, v31
	s_delay_alu instid0(VALU_DEP_1)
	v_cmpx_ne_u16_e32 0, v7
	s_cbranch_execz .LBB288_475
; %bb.468:                              ;   in Loop: Header=BB288_16 Depth=1
	v_mov_b32_e32 v41, 0x8000
	s_mov_b32 s21, exec_lo
	v_cmpx_ne_u16_e32 0x80, v7
	s_cbranch_execz .LBB288_474
; %bb.469:                              ;   in Loop: Header=BB288_16 Depth=1
	v_and_b32_e32 v42, 0x7f, v31
	v_mov_b32_e32 v41, 0x7c01
	s_mov_b32 s22, exec_lo
	s_delay_alu instid0(VALU_DEP_2)
	v_cmpx_ne_u32_e32 0x7f, v42
	s_cbranch_execz .LBB288_473
; %bb.470:                              ;   in Loop: Header=BB288_16 Depth=1
	v_and_b32_e32 v7, 7, v31
	v_lshrrev_b32_e32 v41, 3, v42
	s_mov_b32 s23, exec_lo
	v_cmpx_gt_u32_e32 8, v42
; %bb.471:                              ;   in Loop: Header=BB288_16 Depth=1
	s_delay_alu instid0(VALU_DEP_3) | instskip(NEXT) | instid1(VALU_DEP_1)
	v_clz_i32_u32_e32 v7, v7
	v_min_u32_e32 v7, 32, v7
	s_delay_alu instid0(VALU_DEP_1) | instskip(NEXT) | instid1(VALU_DEP_1)
	v_subrev_nc_u32_e32 v41, 28, v7
	v_lshlrev_b64_e32 v[42:43], v41, v[31:32]
	v_sub_nc_u32_e32 v41, 29, v7
	s_delay_alu instid0(VALU_DEP_2)
	v_and_b32_e32 v7, 7, v42
; %bb.472:                              ;   in Loop: Header=BB288_16 Depth=1
	s_wait_alu 0xfffe
	s_or_b32 exec_lo, exec_lo, s23
	v_lshlrev_b32_e32 v42, 8, v31
	v_lshl_add_u32 v41, v41, 10, 0x2000
	v_lshlrev_b32_e32 v7, 7, v7
	s_delay_alu instid0(VALU_DEP_3) | instskip(NEXT) | instid1(VALU_DEP_3)
	v_and_b32_e32 v42, 0x8000, v42
	v_and_b32_e32 v41, 0xfc00, v41
	s_delay_alu instid0(VALU_DEP_1)
	v_or3_b32 v41, v42, v41, v7
.LBB288_473:                            ;   in Loop: Header=BB288_16 Depth=1
	s_wait_alu 0xfffe
	s_or_b32 exec_lo, exec_lo, s22
.LBB288_474:                            ;   in Loop: Header=BB288_16 Depth=1
	s_wait_alu 0xfffe
	s_or_b32 exec_lo, exec_lo, s21
.LBB288_475:                            ;   in Loop: Header=BB288_16 Depth=1
	s_wait_alu 0xfffe
	s_or_b32 exec_lo, exec_lo, s20
	v_lshrrev_b16 v7, 8, v31
	v_dual_mov_b32 v43, 0 :: v_dual_mov_b32 v42, 0
	s_mov_b32 s20, exec_lo
	s_delay_alu instid0(VALU_DEP_2)
	v_cmpx_ne_u16_e32 0, v7
	s_cbranch_execz .LBB288_483
; %bb.476:                              ;   in Loop: Header=BB288_16 Depth=1
	v_bfrev_b32_e32 v42, 1
	s_mov_b32 s21, exec_lo
	v_cmpx_ne_u16_e32 0x80, v7
	s_cbranch_execz .LBB288_482
; %bb.477:                              ;   in Loop: Header=BB288_16 Depth=1
	v_and_b32_e32 v44, 0xffff, v7
	v_mov_b32_e32 v42, 0x7c010000
	s_mov_b32 s22, exec_lo
	s_delay_alu instid0(VALU_DEP_2) | instskip(NEXT) | instid1(VALU_DEP_1)
	v_and_b32_e32 v46, 0x7f, v44
	v_cmpx_ne_u32_e32 0x7f, v46
	s_cbranch_execz .LBB288_481
; %bb.478:                              ;   in Loop: Header=BB288_16 Depth=1
	v_and_b32_e32 v42, 7, v44
	v_lshrrev_b32_e32 v45, 3, v46
	s_mov_b32 s23, exec_lo
	v_cmpx_gt_u32_e32 8, v46
; %bb.479:                              ;   in Loop: Header=BB288_16 Depth=1
	s_delay_alu instid0(VALU_DEP_3) | instskip(NEXT) | instid1(VALU_DEP_1)
	v_clz_i32_u32_e32 v42, v42
	v_min_u32_e32 v42, 32, v42
	s_delay_alu instid0(VALU_DEP_1) | instskip(NEXT) | instid1(VALU_DEP_1)
	v_subrev_nc_u32_e32 v45, 28, v42
	v_lshlrev_b64_e32 v[46:47], v45, v[7:8]
	v_sub_nc_u32_e32 v45, 29, v42
	s_delay_alu instid0(VALU_DEP_2)
	v_and_b32_e32 v42, 7, v46
; %bb.480:                              ;   in Loop: Header=BB288_16 Depth=1
	s_wait_alu 0xfffe
	s_or_b32 exec_lo, exec_lo, s23
	v_lshlrev_b32_e32 v7, 8, v44
	v_lshl_add_u32 v44, v45, 10, 0x2000
	v_lshlrev_b32_e32 v42, 23, v42
	s_delay_alu instid0(VALU_DEP_2) | instskip(NEXT) | instid1(VALU_DEP_1)
	v_and_or_b32 v7, 0x8000, v7, v44
	v_lshl_or_b32 v42, v7, 16, v42
.LBB288_481:                            ;   in Loop: Header=BB288_16 Depth=1
	s_wait_alu 0xfffe
	s_or_b32 exec_lo, exec_lo, s22
.LBB288_482:                            ;   in Loop: Header=BB288_16 Depth=1
	s_wait_alu 0xfffe
	s_or_b32 exec_lo, exec_lo, s21
.LBB288_483:                            ;   in Loop: Header=BB288_16 Depth=1
	s_wait_alu 0xfffe
	s_or_b32 exec_lo, exec_lo, s20
	v_lshrrev_b32_e32 v7, 16, v31
	s_mov_b32 s20, exec_lo
	s_delay_alu instid0(VALU_DEP_1) | instskip(NEXT) | instid1(VALU_DEP_1)
	v_and_b32_e32 v44, 0xff, v7
	v_cmpx_ne_u16_e32 0, v44
	s_cbranch_execz .LBB288_491
; %bb.484:                              ;   in Loop: Header=BB288_16 Depth=1
	v_mov_b32_e32 v43, 0x8000
	s_mov_b32 s21, exec_lo
	v_cmpx_ne_u16_e32 0x80, v44
	s_cbranch_execz .LBB288_490
; %bb.485:                              ;   in Loop: Header=BB288_16 Depth=1
	v_bfe_u32 v45, v31, 16, 7
	v_mov_b32_e32 v43, 0x7c01
	s_mov_b32 s22, exec_lo
	s_delay_alu instid0(VALU_DEP_2)
	v_cmpx_ne_u32_e32 0x7f, v45
	s_cbranch_execz .LBB288_489
; %bb.486:                              ;   in Loop: Header=BB288_16 Depth=1
	v_and_b32_e32 v43, 7, v7
	v_lshrrev_b32_e32 v44, 3, v45
	s_mov_b32 s23, exec_lo
	v_cmpx_gt_u32_e32 8, v45
; %bb.487:                              ;   in Loop: Header=BB288_16 Depth=1
	s_delay_alu instid0(VALU_DEP_3) | instskip(NEXT) | instid1(VALU_DEP_1)
	v_clz_i32_u32_e32 v43, v43
	v_min_u32_e32 v45, 32, v43
	s_delay_alu instid0(VALU_DEP_1) | instskip(NEXT) | instid1(VALU_DEP_1)
	v_subrev_nc_u32_e32 v43, 28, v45
	v_lshlrev_b64_e32 v[43:44], v43, v[7:8]
	v_sub_nc_u32_e32 v44, 29, v45
	s_delay_alu instid0(VALU_DEP_2)
	v_and_b32_e32 v43, 7, v43
; %bb.488:                              ;   in Loop: Header=BB288_16 Depth=1
	s_wait_alu 0xfffe
	s_or_b32 exec_lo, exec_lo, s23
	v_lshlrev_b32_e32 v7, 8, v7
	v_lshl_add_u32 v44, v44, 10, 0x2000
	v_lshlrev_b32_e32 v43, 7, v43
	s_delay_alu instid0(VALU_DEP_3) | instskip(NEXT) | instid1(VALU_DEP_3)
	v_and_b32_e32 v7, 0x8000, v7
	v_and_b32_e32 v44, 0xfc00, v44
	s_delay_alu instid0(VALU_DEP_1)
	v_or3_b32 v43, v7, v44, v43
.LBB288_489:                            ;   in Loop: Header=BB288_16 Depth=1
	s_wait_alu 0xfffe
	s_or_b32 exec_lo, exec_lo, s22
.LBB288_490:                            ;   in Loop: Header=BB288_16 Depth=1
	s_wait_alu 0xfffe
	s_or_b32 exec_lo, exec_lo, s21
.LBB288_491:                            ;   in Loop: Header=BB288_16 Depth=1
	s_wait_alu 0xfffe
	s_or_b32 exec_lo, exec_lo, s20
	v_dual_mov_b32 v44, 0 :: v_dual_mov_b32 v45, 0
	s_mov_b32 s20, exec_lo
	v_cmpx_lt_u32_e32 0xffffff, v31
	s_cbranch_execz .LBB288_499
; %bb.492:                              ;   in Loop: Header=BB288_16 Depth=1
	v_lshrrev_b32_e32 v7, 24, v31
	v_bfrev_b32_e32 v45, 1
	s_mov_b32 s21, exec_lo
	s_delay_alu instid0(VALU_DEP_2)
	v_cmpx_ne_u32_e32 0x80, v7
	s_cbranch_execz .LBB288_498
; %bb.493:                              ;   in Loop: Header=BB288_16 Depth=1
	v_and_b32_e32 v47, 0x7f, v7
	v_mov_b32_e32 v45, 0x7c010000
	s_mov_b32 s22, exec_lo
	s_delay_alu instid0(VALU_DEP_2)
	v_cmpx_ne_u32_e32 0x7f, v47
	s_cbranch_execz .LBB288_497
; %bb.494:                              ;   in Loop: Header=BB288_16 Depth=1
	v_and_b32_e32 v45, 7, v7
	v_lshrrev_b32_e32 v46, 3, v47
	s_mov_b32 s23, exec_lo
	v_cmpx_gt_u32_e32 8, v47
; %bb.495:                              ;   in Loop: Header=BB288_16 Depth=1
	s_delay_alu instid0(VALU_DEP_3) | instskip(NEXT) | instid1(VALU_DEP_1)
	v_clz_i32_u32_e32 v45, v45
	v_min_u32_e32 v47, 32, v45
	s_delay_alu instid0(VALU_DEP_1) | instskip(NEXT) | instid1(VALU_DEP_1)
	v_subrev_nc_u32_e32 v45, 28, v47
	v_lshlrev_b64_e32 v[45:46], v45, v[7:8]
	v_sub_nc_u32_e32 v46, 29, v47
	s_delay_alu instid0(VALU_DEP_2)
	v_and_b32_e32 v45, 7, v45
; %bb.496:                              ;   in Loop: Header=BB288_16 Depth=1
	s_wait_alu 0xfffe
	s_or_b32 exec_lo, exec_lo, s23
	v_lshlrev_b32_e32 v7, 8, v7
	v_lshl_add_u32 v46, v46, 10, 0x2000
	v_lshlrev_b32_e32 v45, 23, v45
	s_delay_alu instid0(VALU_DEP_2) | instskip(NEXT) | instid1(VALU_DEP_1)
	v_and_or_b32 v7, 0x8000, v7, v46
	v_lshl_or_b32 v45, v7, 16, v45
.LBB288_497:                            ;   in Loop: Header=BB288_16 Depth=1
	s_wait_alu 0xfffe
	s_or_b32 exec_lo, exec_lo, s22
.LBB288_498:                            ;   in Loop: Header=BB288_16 Depth=1
	s_wait_alu 0xfffe
	s_or_b32 exec_lo, exec_lo, s21
.LBB288_499:                            ;   in Loop: Header=BB288_16 Depth=1
	s_wait_alu 0xfffe
	s_or_b32 exec_lo, exec_lo, s20
	v_dual_mov_b32 v7, v32 :: v_dual_and_b32 v46, 0xff, v32
	s_mov_b32 s20, exec_lo
	s_delay_alu instid0(VALU_DEP_1)
	v_cmpx_ne_u16_e32 0, v46
	s_cbranch_execz .LBB288_507
; %bb.500:                              ;   in Loop: Header=BB288_16 Depth=1
	v_mov_b32_e32 v44, 0x8000
	s_mov_b32 s21, exec_lo
	v_cmpx_ne_u16_e32 0x80, v46
	s_cbranch_execz .LBB288_506
; %bb.501:                              ;   in Loop: Header=BB288_16 Depth=1
	v_and_b32_e32 v47, 0x7f, v32
	v_mov_b32_e32 v44, 0x7c01
	s_mov_b32 s22, exec_lo
	s_delay_alu instid0(VALU_DEP_2)
	v_cmpx_ne_u32_e32 0x7f, v47
	s_cbranch_execz .LBB288_505
; %bb.502:                              ;   in Loop: Header=BB288_16 Depth=1
	v_and_b32_e32 v44, 7, v32
	v_lshrrev_b32_e32 v46, 3, v47
	s_mov_b32 s23, exec_lo
	v_cmpx_gt_u32_e32 8, v47
; %bb.503:                              ;   in Loop: Header=BB288_16 Depth=1
	s_delay_alu instid0(VALU_DEP_3) | instskip(NEXT) | instid1(VALU_DEP_1)
	v_clz_i32_u32_e32 v44, v44
	v_min_u32_e32 v44, 32, v44
	s_delay_alu instid0(VALU_DEP_1) | instskip(NEXT) | instid1(VALU_DEP_1)
	v_subrev_nc_u32_e32 v46, 28, v44
	v_lshlrev_b64_e32 v[56:57], v46, v[7:8]
	v_sub_nc_u32_e32 v46, 29, v44
	s_delay_alu instid0(VALU_DEP_2)
	v_and_b32_e32 v44, 7, v56
; %bb.504:                              ;   in Loop: Header=BB288_16 Depth=1
	s_wait_alu 0xfffe
	s_or_b32 exec_lo, exec_lo, s23
	v_lshlrev_b32_e32 v47, 8, v32
	v_lshl_add_u32 v46, v46, 10, 0x2000
	v_lshlrev_b32_e32 v44, 7, v44
	s_delay_alu instid0(VALU_DEP_3) | instskip(NEXT) | instid1(VALU_DEP_3)
	v_and_b32_e32 v47, 0x8000, v47
	v_and_b32_e32 v46, 0xfc00, v46
	s_delay_alu instid0(VALU_DEP_1)
	v_or3_b32 v44, v47, v46, v44
.LBB288_505:                            ;   in Loop: Header=BB288_16 Depth=1
	s_wait_alu 0xfffe
	s_or_b32 exec_lo, exec_lo, s22
.LBB288_506:                            ;   in Loop: Header=BB288_16 Depth=1
	s_wait_alu 0xfffe
	s_or_b32 exec_lo, exec_lo, s21
.LBB288_507:                            ;   in Loop: Header=BB288_16 Depth=1
	s_wait_alu 0xfffe
	s_or_b32 exec_lo, exec_lo, s20
	v_lshrrev_b16 v7, 8, v7
	v_dual_mov_b32 v47, 0 :: v_dual_mov_b32 v56, 0
	s_mov_b32 s20, exec_lo
	s_delay_alu instid0(VALU_DEP_2)
	v_cmpx_ne_u16_e32 0, v7
	s_cbranch_execz .LBB288_515
; %bb.508:                              ;   in Loop: Header=BB288_16 Depth=1
	v_bfrev_b32_e32 v56, 1
	s_mov_b32 s21, exec_lo
	v_cmpx_ne_u16_e32 0x80, v7
	s_cbranch_execz .LBB288_514
; %bb.509:                              ;   in Loop: Header=BB288_16 Depth=1
	v_and_b32_e32 v46, 0xffff, v7
	v_mov_b32_e32 v56, 0x7c010000
	s_mov_b32 s22, exec_lo
	s_delay_alu instid0(VALU_DEP_2) | instskip(NEXT) | instid1(VALU_DEP_1)
	v_and_b32_e32 v58, 0x7f, v46
	v_cmpx_ne_u32_e32 0x7f, v58
	s_cbranch_execz .LBB288_513
; %bb.510:                              ;   in Loop: Header=BB288_16 Depth=1
	v_and_b32_e32 v56, 7, v46
	v_lshrrev_b32_e32 v57, 3, v58
	s_mov_b32 s23, exec_lo
	v_cmpx_gt_u32_e32 8, v58
; %bb.511:                              ;   in Loop: Header=BB288_16 Depth=1
	s_delay_alu instid0(VALU_DEP_3) | instskip(NEXT) | instid1(VALU_DEP_1)
	v_clz_i32_u32_e32 v56, v56
	v_min_u32_e32 v58, 32, v56
	s_delay_alu instid0(VALU_DEP_1) | instskip(NEXT) | instid1(VALU_DEP_1)
	v_subrev_nc_u32_e32 v56, 28, v58
	v_lshlrev_b64_e32 v[56:57], v56, v[7:8]
	v_sub_nc_u32_e32 v57, 29, v58
	s_delay_alu instid0(VALU_DEP_2)
	v_and_b32_e32 v56, 7, v56
; %bb.512:                              ;   in Loop: Header=BB288_16 Depth=1
	s_wait_alu 0xfffe
	s_or_b32 exec_lo, exec_lo, s23
	v_lshlrev_b32_e32 v7, 8, v46
	v_lshl_add_u32 v46, v57, 10, 0x2000
	s_delay_alu instid0(VALU_DEP_1) | instskip(SKIP_1) | instid1(VALU_DEP_1)
	v_and_or_b32 v7, 0x8000, v7, v46
	v_lshlrev_b32_e32 v46, 23, v56
	v_lshl_or_b32 v56, v7, 16, v46
.LBB288_513:                            ;   in Loop: Header=BB288_16 Depth=1
	s_wait_alu 0xfffe
	s_or_b32 exec_lo, exec_lo, s22
.LBB288_514:                            ;   in Loop: Header=BB288_16 Depth=1
	s_wait_alu 0xfffe
	s_or_b32 exec_lo, exec_lo, s21
.LBB288_515:                            ;   in Loop: Header=BB288_16 Depth=1
	s_wait_alu 0xfffe
	s_or_b32 exec_lo, exec_lo, s20
	v_lshrrev_b32_e32 v7, 16, v32
	s_mov_b32 s20, exec_lo
	s_delay_alu instid0(VALU_DEP_1) | instskip(NEXT) | instid1(VALU_DEP_1)
	v_and_b32_e32 v46, 0xff, v7
	v_cmpx_ne_u16_e32 0, v46
	s_cbranch_execz .LBB288_523
; %bb.516:                              ;   in Loop: Header=BB288_16 Depth=1
	v_mov_b32_e32 v47, 0x8000
	s_mov_b32 s21, exec_lo
	v_cmpx_ne_u16_e32 0x80, v46
	s_cbranch_execz .LBB288_522
; %bb.517:                              ;   in Loop: Header=BB288_16 Depth=1
	v_bfe_u32 v57, v32, 16, 7
	v_mov_b32_e32 v47, 0x7c01
	s_mov_b32 s22, exec_lo
	s_delay_alu instid0(VALU_DEP_2)
	v_cmpx_ne_u32_e32 0x7f, v57
	s_cbranch_execz .LBB288_521
; %bb.518:                              ;   in Loop: Header=BB288_16 Depth=1
	v_and_b32_e32 v46, 7, v7
	v_lshrrev_b32_e32 v47, 3, v57
	s_mov_b32 s23, exec_lo
	v_cmpx_gt_u32_e32 8, v57
; %bb.519:                              ;   in Loop: Header=BB288_16 Depth=1
	s_delay_alu instid0(VALU_DEP_3) | instskip(NEXT) | instid1(VALU_DEP_1)
	v_clz_i32_u32_e32 v46, v46
	v_min_u32_e32 v57, 32, v46
	s_delay_alu instid0(VALU_DEP_1) | instskip(NEXT) | instid1(VALU_DEP_1)
	v_subrev_nc_u32_e32 v46, 28, v57
	v_lshlrev_b64_e32 v[46:47], v46, v[7:8]
	v_sub_nc_u32_e32 v47, 29, v57
	s_delay_alu instid0(VALU_DEP_2)
	v_and_b32_e32 v46, 7, v46
; %bb.520:                              ;   in Loop: Header=BB288_16 Depth=1
	s_wait_alu 0xfffe
	s_or_b32 exec_lo, exec_lo, s23
	v_lshlrev_b32_e32 v7, 8, v7
	v_lshl_add_u32 v47, v47, 10, 0x2000
	v_lshlrev_b32_e32 v46, 7, v46
	s_delay_alu instid0(VALU_DEP_3) | instskip(NEXT) | instid1(VALU_DEP_3)
	v_and_b32_e32 v7, 0x8000, v7
	v_and_b32_e32 v47, 0xfc00, v47
	s_delay_alu instid0(VALU_DEP_1)
	v_or3_b32 v47, v7, v47, v46
.LBB288_521:                            ;   in Loop: Header=BB288_16 Depth=1
	s_wait_alu 0xfffe
	s_or_b32 exec_lo, exec_lo, s22
.LBB288_522:                            ;   in Loop: Header=BB288_16 Depth=1
	s_wait_alu 0xfffe
	s_or_b32 exec_lo, exec_lo, s21
.LBB288_523:                            ;   in Loop: Header=BB288_16 Depth=1
	s_wait_alu 0xfffe
	s_or_b32 exec_lo, exec_lo, s20
	v_dual_mov_b32 v62, 0 :: v_dual_mov_b32 v61, 0
	s_mov_b32 s20, exec_lo
	v_cmpx_lt_u64_e64 s[10:11], v[31:32]
	s_cbranch_execz .LBB288_531
; %bb.524:                              ;   in Loop: Header=BB288_16 Depth=1
	v_lshrrev_b32_e32 v7, 24, v32
	v_bfrev_b32_e32 v61, 1
	s_mov_b32 s21, exec_lo
	s_delay_alu instid0(VALU_DEP_2)
	v_cmpx_ne_u32_e32 0x80, v7
	s_cbranch_execz .LBB288_530
; %bb.525:                              ;   in Loop: Header=BB288_16 Depth=1
	v_and_b32_e32 v46, 0x7f, v7
	v_mov_b32_e32 v61, 0x7c010000
	s_mov_b32 s22, exec_lo
	s_delay_alu instid0(VALU_DEP_2)
	v_cmpx_ne_u32_e32 0x7f, v46
	s_cbranch_execz .LBB288_529
; %bb.526:                              ;   in Loop: Header=BB288_16 Depth=1
	v_and_b32_e32 v31, 7, v7
	v_lshrrev_b32_e32 v32, 3, v46
	s_mov_b32 s23, exec_lo
	v_cmpx_gt_u32_e32 8, v46
; %bb.527:                              ;   in Loop: Header=BB288_16 Depth=1
	s_delay_alu instid0(VALU_DEP_3) | instskip(NEXT) | instid1(VALU_DEP_1)
	v_clz_i32_u32_e32 v31, v31
	v_min_u32_e32 v46, 32, v31
	s_delay_alu instid0(VALU_DEP_1) | instskip(NEXT) | instid1(VALU_DEP_1)
	v_subrev_nc_u32_e32 v31, 28, v46
	v_lshlrev_b64_e32 v[31:32], v31, v[7:8]
	v_sub_nc_u32_e32 v32, 29, v46
	s_delay_alu instid0(VALU_DEP_2)
	v_and_b32_e32 v31, 7, v31
; %bb.528:                              ;   in Loop: Header=BB288_16 Depth=1
	s_wait_alu 0xfffe
	s_or_b32 exec_lo, exec_lo, s23
	v_lshlrev_b32_e32 v7, 8, v7
	v_lshl_add_u32 v32, v32, 10, 0x2000
	v_lshlrev_b32_e32 v31, 23, v31
	s_delay_alu instid0(VALU_DEP_2) | instskip(NEXT) | instid1(VALU_DEP_1)
	v_and_or_b32 v7, 0x8000, v7, v32
	v_lshl_or_b32 v61, v7, 16, v31
.LBB288_529:                            ;   in Loop: Header=BB288_16 Depth=1
	s_wait_alu 0xfffe
	s_or_b32 exec_lo, exec_lo, s22
.LBB288_530:                            ;   in Loop: Header=BB288_16 Depth=1
	s_wait_alu 0xfffe
	s_or_b32 exec_lo, exec_lo, s21
.LBB288_531:                            ;   in Loop: Header=BB288_16 Depth=1
	s_wait_alu 0xfffe
	s_or_b32 exec_lo, exec_lo, s20
	flat_load_b64 v[31:32], v[28:29] offset:2048
	s_mov_b32 s20, exec_lo
	s_wait_loadcnt_dscnt 0x0
	v_and_b32_e32 v7, 0xff, v31
	s_delay_alu instid0(VALU_DEP_1)
	v_cmpx_ne_u16_e32 0, v7
	s_cbranch_execz .LBB288_539
; %bb.532:                              ;   in Loop: Header=BB288_16 Depth=1
	v_mov_b32_e32 v62, 0x8000
	s_mov_b32 s21, exec_lo
	v_cmpx_ne_u16_e32 0x80, v7
	s_cbranch_execz .LBB288_538
; %bb.533:                              ;   in Loop: Header=BB288_16 Depth=1
	v_and_b32_e32 v57, 0x7f, v31
	v_mov_b32_e32 v62, 0x7c01
	s_mov_b32 s22, exec_lo
	s_delay_alu instid0(VALU_DEP_2)
	v_cmpx_ne_u32_e32 0x7f, v57
	s_cbranch_execz .LBB288_537
; %bb.534:                              ;   in Loop: Header=BB288_16 Depth=1
	v_and_b32_e32 v7, 7, v31
	v_lshrrev_b32_e32 v46, 3, v57
	s_mov_b32 s23, exec_lo
	v_cmpx_gt_u32_e32 8, v57
; %bb.535:                              ;   in Loop: Header=BB288_16 Depth=1
	s_delay_alu instid0(VALU_DEP_3) | instskip(NEXT) | instid1(VALU_DEP_1)
	v_clz_i32_u32_e32 v7, v7
	v_min_u32_e32 v7, 32, v7
	s_delay_alu instid0(VALU_DEP_1) | instskip(NEXT) | instid1(VALU_DEP_1)
	v_subrev_nc_u32_e32 v46, 28, v7
	v_lshlrev_b64_e32 v[57:58], v46, v[31:32]
	v_sub_nc_u32_e32 v46, 29, v7
	s_delay_alu instid0(VALU_DEP_2)
	v_and_b32_e32 v7, 7, v57
; %bb.536:                              ;   in Loop: Header=BB288_16 Depth=1
	s_wait_alu 0xfffe
	s_or_b32 exec_lo, exec_lo, s23
	v_lshlrev_b32_e32 v57, 8, v31
	v_lshl_add_u32 v46, v46, 10, 0x2000
	v_lshlrev_b32_e32 v7, 7, v7
	s_delay_alu instid0(VALU_DEP_3) | instskip(NEXT) | instid1(VALU_DEP_3)
	v_and_b32_e32 v57, 0x8000, v57
	v_and_b32_e32 v46, 0xfc00, v46
	s_delay_alu instid0(VALU_DEP_1)
	v_or3_b32 v62, v57, v46, v7
.LBB288_537:                            ;   in Loop: Header=BB288_16 Depth=1
	s_wait_alu 0xfffe
	s_or_b32 exec_lo, exec_lo, s22
.LBB288_538:                            ;   in Loop: Header=BB288_16 Depth=1
	s_wait_alu 0xfffe
	s_or_b32 exec_lo, exec_lo, s21
.LBB288_539:                            ;   in Loop: Header=BB288_16 Depth=1
	s_wait_alu 0xfffe
	s_or_b32 exec_lo, exec_lo, s20
	v_lshrrev_b16 v7, 8, v31
	v_dual_mov_b32 v76, 0 :: v_dual_mov_b32 v75, 0
	s_mov_b32 s20, exec_lo
	s_delay_alu instid0(VALU_DEP_2)
	v_cmpx_ne_u16_e32 0, v7
	s_cbranch_execz .LBB288_547
; %bb.540:                              ;   in Loop: Header=BB288_16 Depth=1
	v_bfrev_b32_e32 v75, 1
	s_mov_b32 s21, exec_lo
	v_cmpx_ne_u16_e32 0x80, v7
	s_cbranch_execz .LBB288_546
; %bb.541:                              ;   in Loop: Header=BB288_16 Depth=1
	v_and_b32_e32 v46, 0xffff, v7
	v_mov_b32_e32 v75, 0x7c010000
	s_mov_b32 s22, exec_lo
	s_delay_alu instid0(VALU_DEP_2) | instskip(NEXT) | instid1(VALU_DEP_1)
	v_and_b32_e32 v59, 0x7f, v46
	v_cmpx_ne_u32_e32 0x7f, v59
	s_cbranch_execz .LBB288_545
; %bb.542:                              ;   in Loop: Header=BB288_16 Depth=1
	v_and_b32_e32 v57, 7, v46
	v_lshrrev_b32_e32 v58, 3, v59
	s_mov_b32 s23, exec_lo
	v_cmpx_gt_u32_e32 8, v59
; %bb.543:                              ;   in Loop: Header=BB288_16 Depth=1
	s_delay_alu instid0(VALU_DEP_3) | instskip(NEXT) | instid1(VALU_DEP_1)
	v_clz_i32_u32_e32 v57, v57
	v_min_u32_e32 v59, 32, v57
	s_delay_alu instid0(VALU_DEP_1) | instskip(NEXT) | instid1(VALU_DEP_1)
	v_subrev_nc_u32_e32 v57, 28, v59
	v_lshlrev_b64_e32 v[57:58], v57, v[7:8]
	v_sub_nc_u32_e32 v58, 29, v59
	s_delay_alu instid0(VALU_DEP_2)
	v_and_b32_e32 v57, 7, v57
; %bb.544:                              ;   in Loop: Header=BB288_16 Depth=1
	s_wait_alu 0xfffe
	s_or_b32 exec_lo, exec_lo, s23
	v_lshlrev_b32_e32 v7, 8, v46
	v_lshl_add_u32 v46, v58, 10, 0x2000
	s_delay_alu instid0(VALU_DEP_1) | instskip(SKIP_1) | instid1(VALU_DEP_1)
	v_and_or_b32 v7, 0x8000, v7, v46
	v_lshlrev_b32_e32 v46, 23, v57
	v_lshl_or_b32 v75, v7, 16, v46
.LBB288_545:                            ;   in Loop: Header=BB288_16 Depth=1
	s_wait_alu 0xfffe
	s_or_b32 exec_lo, exec_lo, s22
.LBB288_546:                            ;   in Loop: Header=BB288_16 Depth=1
	s_wait_alu 0xfffe
	s_or_b32 exec_lo, exec_lo, s21
.LBB288_547:                            ;   in Loop: Header=BB288_16 Depth=1
	s_wait_alu 0xfffe
	s_or_b32 exec_lo, exec_lo, s20
	v_lshrrev_b32_e32 v7, 16, v31
	s_mov_b32 s20, exec_lo
	s_delay_alu instid0(VALU_DEP_1) | instskip(NEXT) | instid1(VALU_DEP_1)
	v_and_b32_e32 v46, 0xff, v7
	v_cmpx_ne_u16_e32 0, v46
	s_cbranch_execz .LBB288_555
; %bb.548:                              ;   in Loop: Header=BB288_16 Depth=1
	v_mov_b32_e32 v76, 0x8000
	s_mov_b32 s21, exec_lo
	v_cmpx_ne_u16_e32 0x80, v46
	s_cbranch_execz .LBB288_554
; %bb.549:                              ;   in Loop: Header=BB288_16 Depth=1
	v_bfe_u32 v58, v31, 16, 7
	v_mov_b32_e32 v76, 0x7c01
	s_mov_b32 s22, exec_lo
	s_delay_alu instid0(VALU_DEP_2)
	v_cmpx_ne_u32_e32 0x7f, v58
	s_cbranch_execz .LBB288_553
; %bb.550:                              ;   in Loop: Header=BB288_16 Depth=1
	v_and_b32_e32 v46, 7, v7
	v_lshrrev_b32_e32 v57, 3, v58
	s_mov_b32 s23, exec_lo
	v_cmpx_gt_u32_e32 8, v58
; %bb.551:                              ;   in Loop: Header=BB288_16 Depth=1
	s_delay_alu instid0(VALU_DEP_3) | instskip(NEXT) | instid1(VALU_DEP_1)
	v_clz_i32_u32_e32 v46, v46
	v_min_u32_e32 v46, 32, v46
	s_delay_alu instid0(VALU_DEP_1) | instskip(NEXT) | instid1(VALU_DEP_1)
	v_subrev_nc_u32_e32 v57, 28, v46
	v_lshlrev_b64_e32 v[58:59], v57, v[7:8]
	v_sub_nc_u32_e32 v57, 29, v46
	s_delay_alu instid0(VALU_DEP_2)
	v_and_b32_e32 v46, 7, v58
; %bb.552:                              ;   in Loop: Header=BB288_16 Depth=1
	s_wait_alu 0xfffe
	s_or_b32 exec_lo, exec_lo, s23
	v_lshlrev_b32_e32 v7, 8, v7
	v_lshl_add_u32 v57, v57, 10, 0x2000
	v_lshlrev_b32_e32 v46, 7, v46
	s_delay_alu instid0(VALU_DEP_3) | instskip(NEXT) | instid1(VALU_DEP_3)
	v_and_b32_e32 v7, 0x8000, v7
	v_and_b32_e32 v57, 0xfc00, v57
	s_delay_alu instid0(VALU_DEP_1)
	v_or3_b32 v76, v7, v57, v46
.LBB288_553:                            ;   in Loop: Header=BB288_16 Depth=1
	s_wait_alu 0xfffe
	s_or_b32 exec_lo, exec_lo, s22
.LBB288_554:                            ;   in Loop: Header=BB288_16 Depth=1
	s_wait_alu 0xfffe
	s_or_b32 exec_lo, exec_lo, s21
.LBB288_555:                            ;   in Loop: Header=BB288_16 Depth=1
	s_wait_alu 0xfffe
	s_or_b32 exec_lo, exec_lo, s20
	v_dual_mov_b32 v91, 0 :: v_dual_mov_b32 v92, 0
	s_mov_b32 s20, exec_lo
	v_cmpx_lt_u32_e32 0xffffff, v31
	s_cbranch_execz .LBB288_563
; %bb.556:                              ;   in Loop: Header=BB288_16 Depth=1
	v_lshrrev_b32_e32 v7, 24, v31
	v_bfrev_b32_e32 v92, 1
	s_mov_b32 s21, exec_lo
	s_delay_alu instid0(VALU_DEP_2)
	v_cmpx_ne_u32_e32 0x80, v7
	s_cbranch_execz .LBB288_562
; %bb.557:                              ;   in Loop: Header=BB288_16 Depth=1
	v_and_b32_e32 v58, 0x7f, v7
	v_mov_b32_e32 v92, 0x7c010000
	s_mov_b32 s22, exec_lo
	s_delay_alu instid0(VALU_DEP_2)
	v_cmpx_ne_u32_e32 0x7f, v58
	s_cbranch_execz .LBB288_561
; %bb.558:                              ;   in Loop: Header=BB288_16 Depth=1
	v_and_b32_e32 v46, 7, v7
	v_lshrrev_b32_e32 v57, 3, v58
	s_mov_b32 s23, exec_lo
	v_cmpx_gt_u32_e32 8, v58
; %bb.559:                              ;   in Loop: Header=BB288_16 Depth=1
	s_delay_alu instid0(VALU_DEP_3) | instskip(NEXT) | instid1(VALU_DEP_1)
	v_clz_i32_u32_e32 v46, v46
	v_min_u32_e32 v46, 32, v46
	s_delay_alu instid0(VALU_DEP_1) | instskip(NEXT) | instid1(VALU_DEP_1)
	v_subrev_nc_u32_e32 v57, 28, v46
	v_lshlrev_b64_e32 v[58:59], v57, v[7:8]
	v_sub_nc_u32_e32 v57, 29, v46
	s_delay_alu instid0(VALU_DEP_2)
	v_and_b32_e32 v46, 7, v58
; %bb.560:                              ;   in Loop: Header=BB288_16 Depth=1
	s_wait_alu 0xfffe
	s_or_b32 exec_lo, exec_lo, s23
	v_lshlrev_b32_e32 v7, 8, v7
	v_lshl_add_u32 v57, v57, 10, 0x2000
	v_lshlrev_b32_e32 v46, 23, v46
	s_delay_alu instid0(VALU_DEP_2) | instskip(NEXT) | instid1(VALU_DEP_1)
	v_and_or_b32 v7, 0x8000, v7, v57
	v_lshl_or_b32 v92, v7, 16, v46
.LBB288_561:                            ;   in Loop: Header=BB288_16 Depth=1
	s_wait_alu 0xfffe
	s_or_b32 exec_lo, exec_lo, s22
.LBB288_562:                            ;   in Loop: Header=BB288_16 Depth=1
	s_wait_alu 0xfffe
	s_or_b32 exec_lo, exec_lo, s21
.LBB288_563:                            ;   in Loop: Header=BB288_16 Depth=1
	s_wait_alu 0xfffe
	s_or_b32 exec_lo, exec_lo, s20
	v_dual_mov_b32 v7, v32 :: v_dual_and_b32 v46, 0xff, v32
	s_mov_b32 s20, exec_lo
	s_delay_alu instid0(VALU_DEP_1)
	v_cmpx_ne_u16_e32 0, v46
	s_cbranch_execz .LBB288_571
; %bb.564:                              ;   in Loop: Header=BB288_16 Depth=1
	v_mov_b32_e32 v91, 0x8000
	s_mov_b32 s21, exec_lo
	v_cmpx_ne_u16_e32 0x80, v46
	s_cbranch_execz .LBB288_570
; %bb.565:                              ;   in Loop: Header=BB288_16 Depth=1
	v_and_b32_e32 v58, 0x7f, v32
	v_mov_b32_e32 v91, 0x7c01
	s_mov_b32 s22, exec_lo
	s_delay_alu instid0(VALU_DEP_2)
	v_cmpx_ne_u32_e32 0x7f, v58
	s_cbranch_execz .LBB288_569
; %bb.566:                              ;   in Loop: Header=BB288_16 Depth=1
	v_and_b32_e32 v46, 7, v32
	v_lshrrev_b32_e32 v57, 3, v58
	s_mov_b32 s23, exec_lo
	v_cmpx_gt_u32_e32 8, v58
; %bb.567:                              ;   in Loop: Header=BB288_16 Depth=1
	s_delay_alu instid0(VALU_DEP_3) | instskip(NEXT) | instid1(VALU_DEP_1)
	v_clz_i32_u32_e32 v46, v46
	v_min_u32_e32 v46, 32, v46
	s_delay_alu instid0(VALU_DEP_1) | instskip(NEXT) | instid1(VALU_DEP_1)
	v_subrev_nc_u32_e32 v57, 28, v46
	v_lshlrev_b64_e32 v[58:59], v57, v[7:8]
	v_sub_nc_u32_e32 v57, 29, v46
	s_delay_alu instid0(VALU_DEP_2)
	v_and_b32_e32 v46, 7, v58
; %bb.568:                              ;   in Loop: Header=BB288_16 Depth=1
	s_wait_alu 0xfffe
	s_or_b32 exec_lo, exec_lo, s23
	v_lshlrev_b32_e32 v58, 8, v32
	v_lshl_add_u32 v57, v57, 10, 0x2000
	v_lshlrev_b32_e32 v46, 7, v46
	s_delay_alu instid0(VALU_DEP_3) | instskip(NEXT) | instid1(VALU_DEP_3)
	v_and_b32_e32 v58, 0x8000, v58
	v_and_b32_e32 v57, 0xfc00, v57
	s_delay_alu instid0(VALU_DEP_1)
	v_or3_b32 v91, v58, v57, v46
.LBB288_569:                            ;   in Loop: Header=BB288_16 Depth=1
	s_wait_alu 0xfffe
	s_or_b32 exec_lo, exec_lo, s22
.LBB288_570:                            ;   in Loop: Header=BB288_16 Depth=1
	s_wait_alu 0xfffe
	s_or_b32 exec_lo, exec_lo, s21
.LBB288_571:                            ;   in Loop: Header=BB288_16 Depth=1
	s_wait_alu 0xfffe
	s_or_b32 exec_lo, exec_lo, s20
	v_lshrrev_b16 v7, 8, v7
	v_dual_mov_b32 v95, 0 :: v_dual_mov_b32 v104, 0
	s_mov_b32 s20, exec_lo
	s_delay_alu instid0(VALU_DEP_2)
	v_cmpx_ne_u16_e32 0, v7
	s_cbranch_execz .LBB288_579
; %bb.572:                              ;   in Loop: Header=BB288_16 Depth=1
	v_bfrev_b32_e32 v104, 1
	s_mov_b32 s21, exec_lo
	v_cmpx_ne_u16_e32 0x80, v7
	s_cbranch_execz .LBB288_578
; %bb.573:                              ;   in Loop: Header=BB288_16 Depth=1
	v_and_b32_e32 v46, 0xffff, v7
	v_mov_b32_e32 v104, 0x7c010000
	s_mov_b32 s22, exec_lo
	s_delay_alu instid0(VALU_DEP_2) | instskip(NEXT) | instid1(VALU_DEP_1)
	v_and_b32_e32 v59, 0x7f, v46
	v_cmpx_ne_u32_e32 0x7f, v59
	s_cbranch_execz .LBB288_577
; %bb.574:                              ;   in Loop: Header=BB288_16 Depth=1
	v_and_b32_e32 v57, 7, v46
	v_lshrrev_b32_e32 v58, 3, v59
	s_mov_b32 s23, exec_lo
	v_cmpx_gt_u32_e32 8, v59
; %bb.575:                              ;   in Loop: Header=BB288_16 Depth=1
	s_delay_alu instid0(VALU_DEP_3) | instskip(NEXT) | instid1(VALU_DEP_1)
	v_clz_i32_u32_e32 v57, v57
	v_min_u32_e32 v59, 32, v57
	s_delay_alu instid0(VALU_DEP_1) | instskip(NEXT) | instid1(VALU_DEP_1)
	v_subrev_nc_u32_e32 v57, 28, v59
	v_lshlrev_b64_e32 v[57:58], v57, v[7:8]
	v_sub_nc_u32_e32 v58, 29, v59
	s_delay_alu instid0(VALU_DEP_2)
	v_and_b32_e32 v57, 7, v57
; %bb.576:                              ;   in Loop: Header=BB288_16 Depth=1
	s_wait_alu 0xfffe
	s_or_b32 exec_lo, exec_lo, s23
	v_lshlrev_b32_e32 v7, 8, v46
	v_lshl_add_u32 v46, v58, 10, 0x2000
	s_delay_alu instid0(VALU_DEP_1) | instskip(SKIP_1) | instid1(VALU_DEP_1)
	v_and_or_b32 v7, 0x8000, v7, v46
	v_lshlrev_b32_e32 v46, 23, v57
	v_lshl_or_b32 v104, v7, 16, v46
.LBB288_577:                            ;   in Loop: Header=BB288_16 Depth=1
	s_wait_alu 0xfffe
	s_or_b32 exec_lo, exec_lo, s22
.LBB288_578:                            ;   in Loop: Header=BB288_16 Depth=1
	s_wait_alu 0xfffe
	s_or_b32 exec_lo, exec_lo, s21
.LBB288_579:                            ;   in Loop: Header=BB288_16 Depth=1
	s_wait_alu 0xfffe
	s_or_b32 exec_lo, exec_lo, s20
	v_lshrrev_b32_e32 v7, 16, v32
	s_mov_b32 s20, exec_lo
	s_delay_alu instid0(VALU_DEP_1) | instskip(NEXT) | instid1(VALU_DEP_1)
	v_and_b32_e32 v46, 0xff, v7
	v_cmpx_ne_u16_e32 0, v46
	s_cbranch_execz .LBB288_587
; %bb.580:                              ;   in Loop: Header=BB288_16 Depth=1
	v_mov_b32_e32 v95, 0x8000
	s_mov_b32 s21, exec_lo
	v_cmpx_ne_u16_e32 0x80, v46
	s_cbranch_execz .LBB288_586
; %bb.581:                              ;   in Loop: Header=BB288_16 Depth=1
	v_bfe_u32 v58, v32, 16, 7
	v_mov_b32_e32 v95, 0x7c01
	s_mov_b32 s22, exec_lo
	s_delay_alu instid0(VALU_DEP_2)
	v_cmpx_ne_u32_e32 0x7f, v58
	s_cbranch_execz .LBB288_585
; %bb.582:                              ;   in Loop: Header=BB288_16 Depth=1
	v_and_b32_e32 v46, 7, v7
	v_lshrrev_b32_e32 v57, 3, v58
	s_mov_b32 s23, exec_lo
	v_cmpx_gt_u32_e32 8, v58
; %bb.583:                              ;   in Loop: Header=BB288_16 Depth=1
	s_delay_alu instid0(VALU_DEP_3) | instskip(NEXT) | instid1(VALU_DEP_1)
	v_clz_i32_u32_e32 v46, v46
	v_min_u32_e32 v46, 32, v46
	s_delay_alu instid0(VALU_DEP_1) | instskip(NEXT) | instid1(VALU_DEP_1)
	v_subrev_nc_u32_e32 v57, 28, v46
	v_lshlrev_b64_e32 v[58:59], v57, v[7:8]
	v_sub_nc_u32_e32 v57, 29, v46
	s_delay_alu instid0(VALU_DEP_2)
	v_and_b32_e32 v46, 7, v58
; %bb.584:                              ;   in Loop: Header=BB288_16 Depth=1
	s_wait_alu 0xfffe
	s_or_b32 exec_lo, exec_lo, s23
	v_lshlrev_b32_e32 v7, 8, v7
	v_lshl_add_u32 v57, v57, 10, 0x2000
	v_lshlrev_b32_e32 v46, 7, v46
	s_delay_alu instid0(VALU_DEP_3) | instskip(NEXT) | instid1(VALU_DEP_3)
	v_and_b32_e32 v7, 0x8000, v7
	v_and_b32_e32 v57, 0xfc00, v57
	s_delay_alu instid0(VALU_DEP_1)
	v_or3_b32 v95, v7, v57, v46
.LBB288_585:                            ;   in Loop: Header=BB288_16 Depth=1
	s_wait_alu 0xfffe
	s_or_b32 exec_lo, exec_lo, s22
.LBB288_586:                            ;   in Loop: Header=BB288_16 Depth=1
	s_wait_alu 0xfffe
	s_or_b32 exec_lo, exec_lo, s21
.LBB288_587:                            ;   in Loop: Header=BB288_16 Depth=1
	s_wait_alu 0xfffe
	s_or_b32 exec_lo, exec_lo, s20
	v_dual_mov_b32 v120, 0 :: v_dual_mov_b32 v111, 0
	s_mov_b32 s20, exec_lo
	v_cmpx_lt_u64_e64 s[10:11], v[31:32]
	s_cbranch_execz .LBB288_595
; %bb.588:                              ;   in Loop: Header=BB288_16 Depth=1
	v_lshrrev_b32_e32 v7, 24, v32
	v_bfrev_b32_e32 v111, 1
	s_mov_b32 s21, exec_lo
	s_delay_alu instid0(VALU_DEP_2)
	v_cmpx_ne_u32_e32 0x80, v7
	s_cbranch_execz .LBB288_594
; %bb.589:                              ;   in Loop: Header=BB288_16 Depth=1
	v_and_b32_e32 v46, 0x7f, v7
	v_mov_b32_e32 v111, 0x7c010000
	s_mov_b32 s22, exec_lo
	s_delay_alu instid0(VALU_DEP_2)
	v_cmpx_ne_u32_e32 0x7f, v46
	s_cbranch_execz .LBB288_593
; %bb.590:                              ;   in Loop: Header=BB288_16 Depth=1
	v_and_b32_e32 v31, 7, v7
	v_lshrrev_b32_e32 v32, 3, v46
	s_mov_b32 s23, exec_lo
	v_cmpx_gt_u32_e32 8, v46
; %bb.591:                              ;   in Loop: Header=BB288_16 Depth=1
	s_delay_alu instid0(VALU_DEP_3) | instskip(NEXT) | instid1(VALU_DEP_1)
	v_clz_i32_u32_e32 v31, v31
	v_min_u32_e32 v46, 32, v31
	s_delay_alu instid0(VALU_DEP_1) | instskip(NEXT) | instid1(VALU_DEP_1)
	v_subrev_nc_u32_e32 v31, 28, v46
	v_lshlrev_b64_e32 v[31:32], v31, v[7:8]
	v_sub_nc_u32_e32 v32, 29, v46
	s_delay_alu instid0(VALU_DEP_2)
	v_and_b32_e32 v31, 7, v31
; %bb.592:                              ;   in Loop: Header=BB288_16 Depth=1
	s_wait_alu 0xfffe
	s_or_b32 exec_lo, exec_lo, s23
	v_lshlrev_b32_e32 v7, 8, v7
	v_lshl_add_u32 v32, v32, 10, 0x2000
	v_lshlrev_b32_e32 v31, 23, v31
	s_delay_alu instid0(VALU_DEP_2) | instskip(NEXT) | instid1(VALU_DEP_1)
	v_and_or_b32 v7, 0x8000, v7, v32
	v_lshl_or_b32 v111, v7, 16, v31
.LBB288_593:                            ;   in Loop: Header=BB288_16 Depth=1
	s_wait_alu 0xfffe
	s_or_b32 exec_lo, exec_lo, s22
.LBB288_594:                            ;   in Loop: Header=BB288_16 Depth=1
	s_wait_alu 0xfffe
	s_or_b32 exec_lo, exec_lo, s21
.LBB288_595:                            ;   in Loop: Header=BB288_16 Depth=1
	s_wait_alu 0xfffe
	s_or_b32 exec_lo, exec_lo, s20
	flat_load_b64 v[31:32], v[28:29] offset:2056
	s_mov_b32 s20, exec_lo
	s_wait_loadcnt_dscnt 0x0
	v_and_b32_e32 v7, 0xff, v31
	s_delay_alu instid0(VALU_DEP_1)
	v_cmpx_ne_u16_e32 0, v7
	s_cbranch_execz .LBB288_603
; %bb.596:                              ;   in Loop: Header=BB288_16 Depth=1
	v_mov_b32_e32 v120, 0x8000
	s_mov_b32 s21, exec_lo
	v_cmpx_ne_u16_e32 0x80, v7
	s_cbranch_execz .LBB288_602
; %bb.597:                              ;   in Loop: Header=BB288_16 Depth=1
	v_and_b32_e32 v57, 0x7f, v31
	v_mov_b32_e32 v120, 0x7c01
	s_mov_b32 s22, exec_lo
	s_delay_alu instid0(VALU_DEP_2)
	v_cmpx_ne_u32_e32 0x7f, v57
	s_cbranch_execz .LBB288_601
; %bb.598:                              ;   in Loop: Header=BB288_16 Depth=1
	v_and_b32_e32 v7, 7, v31
	v_lshrrev_b32_e32 v46, 3, v57
	s_mov_b32 s23, exec_lo
	v_cmpx_gt_u32_e32 8, v57
; %bb.599:                              ;   in Loop: Header=BB288_16 Depth=1
	s_delay_alu instid0(VALU_DEP_3) | instskip(NEXT) | instid1(VALU_DEP_1)
	v_clz_i32_u32_e32 v7, v7
	v_min_u32_e32 v7, 32, v7
	s_delay_alu instid0(VALU_DEP_1) | instskip(NEXT) | instid1(VALU_DEP_1)
	v_subrev_nc_u32_e32 v46, 28, v7
	v_lshlrev_b64_e32 v[57:58], v46, v[31:32]
	v_sub_nc_u32_e32 v46, 29, v7
	s_delay_alu instid0(VALU_DEP_2)
	v_and_b32_e32 v7, 7, v57
; %bb.600:                              ;   in Loop: Header=BB288_16 Depth=1
	s_wait_alu 0xfffe
	s_or_b32 exec_lo, exec_lo, s23
	v_lshlrev_b32_e32 v57, 8, v31
	v_lshl_add_u32 v46, v46, 10, 0x2000
	v_lshlrev_b32_e32 v7, 7, v7
	s_delay_alu instid0(VALU_DEP_3) | instskip(NEXT) | instid1(VALU_DEP_3)
	v_and_b32_e32 v57, 0x8000, v57
	v_and_b32_e32 v46, 0xfc00, v46
	s_delay_alu instid0(VALU_DEP_1)
	v_or3_b32 v120, v57, v46, v7
.LBB288_601:                            ;   in Loop: Header=BB288_16 Depth=1
	s_wait_alu 0xfffe
	s_or_b32 exec_lo, exec_lo, s22
.LBB288_602:                            ;   in Loop: Header=BB288_16 Depth=1
	s_wait_alu 0xfffe
	s_or_b32 exec_lo, exec_lo, s21
.LBB288_603:                            ;   in Loop: Header=BB288_16 Depth=1
	s_wait_alu 0xfffe
	s_or_b32 exec_lo, exec_lo, s20
	v_lshrrev_b16 v7, 8, v31
	v_dual_mov_b32 v122, 0 :: v_dual_mov_b32 v121, 0
	s_mov_b32 s20, exec_lo
	s_delay_alu instid0(VALU_DEP_2)
	v_cmpx_ne_u16_e32 0, v7
	s_cbranch_execz .LBB288_611
; %bb.604:                              ;   in Loop: Header=BB288_16 Depth=1
	v_bfrev_b32_e32 v121, 1
	s_mov_b32 s21, exec_lo
	v_cmpx_ne_u16_e32 0x80, v7
	s_cbranch_execz .LBB288_610
; %bb.605:                              ;   in Loop: Header=BB288_16 Depth=1
	v_and_b32_e32 v46, 0xffff, v7
	v_mov_b32_e32 v121, 0x7c010000
	s_mov_b32 s22, exec_lo
	s_delay_alu instid0(VALU_DEP_2) | instskip(NEXT) | instid1(VALU_DEP_1)
	v_and_b32_e32 v59, 0x7f, v46
	v_cmpx_ne_u32_e32 0x7f, v59
	s_cbranch_execz .LBB288_609
; %bb.606:                              ;   in Loop: Header=BB288_16 Depth=1
	v_and_b32_e32 v57, 7, v46
	v_lshrrev_b32_e32 v58, 3, v59
	s_mov_b32 s23, exec_lo
	v_cmpx_gt_u32_e32 8, v59
; %bb.607:                              ;   in Loop: Header=BB288_16 Depth=1
	s_delay_alu instid0(VALU_DEP_3) | instskip(NEXT) | instid1(VALU_DEP_1)
	v_clz_i32_u32_e32 v57, v57
	v_min_u32_e32 v59, 32, v57
	s_delay_alu instid0(VALU_DEP_1) | instskip(NEXT) | instid1(VALU_DEP_1)
	v_subrev_nc_u32_e32 v57, 28, v59
	v_lshlrev_b64_e32 v[57:58], v57, v[7:8]
	v_sub_nc_u32_e32 v58, 29, v59
	s_delay_alu instid0(VALU_DEP_2)
	v_and_b32_e32 v57, 7, v57
; %bb.608:                              ;   in Loop: Header=BB288_16 Depth=1
	s_wait_alu 0xfffe
	s_or_b32 exec_lo, exec_lo, s23
	v_lshlrev_b32_e32 v7, 8, v46
	v_lshl_add_u32 v46, v58, 10, 0x2000
	s_delay_alu instid0(VALU_DEP_1) | instskip(SKIP_1) | instid1(VALU_DEP_1)
	v_and_or_b32 v7, 0x8000, v7, v46
	v_lshlrev_b32_e32 v46, 23, v57
	v_lshl_or_b32 v121, v7, 16, v46
.LBB288_609:                            ;   in Loop: Header=BB288_16 Depth=1
	s_wait_alu 0xfffe
	s_or_b32 exec_lo, exec_lo, s22
.LBB288_610:                            ;   in Loop: Header=BB288_16 Depth=1
	s_wait_alu 0xfffe
	s_or_b32 exec_lo, exec_lo, s21
.LBB288_611:                            ;   in Loop: Header=BB288_16 Depth=1
	s_wait_alu 0xfffe
	s_or_b32 exec_lo, exec_lo, s20
	v_lshrrev_b32_e32 v7, 16, v31
	s_mov_b32 s20, exec_lo
	s_delay_alu instid0(VALU_DEP_1) | instskip(NEXT) | instid1(VALU_DEP_1)
	v_and_b32_e32 v46, 0xff, v7
	v_cmpx_ne_u16_e32 0, v46
	s_cbranch_execz .LBB288_619
; %bb.612:                              ;   in Loop: Header=BB288_16 Depth=1
	v_mov_b32_e32 v122, 0x8000
	s_mov_b32 s21, exec_lo
	v_cmpx_ne_u16_e32 0x80, v46
	s_cbranch_execz .LBB288_618
; %bb.613:                              ;   in Loop: Header=BB288_16 Depth=1
	v_bfe_u32 v58, v31, 16, 7
	v_mov_b32_e32 v122, 0x7c01
	s_mov_b32 s22, exec_lo
	s_delay_alu instid0(VALU_DEP_2)
	v_cmpx_ne_u32_e32 0x7f, v58
	s_cbranch_execz .LBB288_617
; %bb.614:                              ;   in Loop: Header=BB288_16 Depth=1
	v_and_b32_e32 v46, 7, v7
	v_lshrrev_b32_e32 v57, 3, v58
	s_mov_b32 s23, exec_lo
	v_cmpx_gt_u32_e32 8, v58
; %bb.615:                              ;   in Loop: Header=BB288_16 Depth=1
	s_delay_alu instid0(VALU_DEP_3) | instskip(NEXT) | instid1(VALU_DEP_1)
	v_clz_i32_u32_e32 v46, v46
	v_min_u32_e32 v46, 32, v46
	s_delay_alu instid0(VALU_DEP_1) | instskip(NEXT) | instid1(VALU_DEP_1)
	v_subrev_nc_u32_e32 v57, 28, v46
	v_lshlrev_b64_e32 v[58:59], v57, v[7:8]
	v_sub_nc_u32_e32 v57, 29, v46
	s_delay_alu instid0(VALU_DEP_2)
	v_and_b32_e32 v46, 7, v58
; %bb.616:                              ;   in Loop: Header=BB288_16 Depth=1
	s_wait_alu 0xfffe
	s_or_b32 exec_lo, exec_lo, s23
	v_lshlrev_b32_e32 v7, 8, v7
	v_lshl_add_u32 v57, v57, 10, 0x2000
	v_lshlrev_b32_e32 v46, 7, v46
	s_delay_alu instid0(VALU_DEP_3) | instskip(NEXT) | instid1(VALU_DEP_3)
	v_and_b32_e32 v7, 0x8000, v7
	v_and_b32_e32 v57, 0xfc00, v57
	s_delay_alu instid0(VALU_DEP_1)
	v_or3_b32 v122, v7, v57, v46
.LBB288_617:                            ;   in Loop: Header=BB288_16 Depth=1
	s_wait_alu 0xfffe
	s_or_b32 exec_lo, exec_lo, s22
.LBB288_618:                            ;   in Loop: Header=BB288_16 Depth=1
	s_wait_alu 0xfffe
	s_or_b32 exec_lo, exec_lo, s21
.LBB288_619:                            ;   in Loop: Header=BB288_16 Depth=1
	s_wait_alu 0xfffe
	s_or_b32 exec_lo, exec_lo, s20
	v_dual_mov_b32 v123, 0 :: v_dual_mov_b32 v124, 0
	s_mov_b32 s20, exec_lo
	v_cmpx_lt_u32_e32 0xffffff, v31
	s_cbranch_execz .LBB288_627
; %bb.620:                              ;   in Loop: Header=BB288_16 Depth=1
	v_lshrrev_b32_e32 v7, 24, v31
	v_bfrev_b32_e32 v124, 1
	s_mov_b32 s21, exec_lo
	s_delay_alu instid0(VALU_DEP_2)
	v_cmpx_ne_u32_e32 0x80, v7
	s_cbranch_execz .LBB288_626
; %bb.621:                              ;   in Loop: Header=BB288_16 Depth=1
	v_and_b32_e32 v58, 0x7f, v7
	v_mov_b32_e32 v124, 0x7c010000
	s_mov_b32 s22, exec_lo
	s_delay_alu instid0(VALU_DEP_2)
	v_cmpx_ne_u32_e32 0x7f, v58
	s_cbranch_execz .LBB288_625
; %bb.622:                              ;   in Loop: Header=BB288_16 Depth=1
	v_and_b32_e32 v46, 7, v7
	v_lshrrev_b32_e32 v57, 3, v58
	s_mov_b32 s23, exec_lo
	v_cmpx_gt_u32_e32 8, v58
; %bb.623:                              ;   in Loop: Header=BB288_16 Depth=1
	s_delay_alu instid0(VALU_DEP_3) | instskip(NEXT) | instid1(VALU_DEP_1)
	v_clz_i32_u32_e32 v46, v46
	v_min_u32_e32 v46, 32, v46
	s_delay_alu instid0(VALU_DEP_1) | instskip(NEXT) | instid1(VALU_DEP_1)
	v_subrev_nc_u32_e32 v57, 28, v46
	v_lshlrev_b64_e32 v[58:59], v57, v[7:8]
	v_sub_nc_u32_e32 v57, 29, v46
	s_delay_alu instid0(VALU_DEP_2)
	v_and_b32_e32 v46, 7, v58
; %bb.624:                              ;   in Loop: Header=BB288_16 Depth=1
	s_wait_alu 0xfffe
	s_or_b32 exec_lo, exec_lo, s23
	v_lshlrev_b32_e32 v7, 8, v7
	v_lshl_add_u32 v57, v57, 10, 0x2000
	v_lshlrev_b32_e32 v46, 23, v46
	s_delay_alu instid0(VALU_DEP_2) | instskip(NEXT) | instid1(VALU_DEP_1)
	v_and_or_b32 v7, 0x8000, v7, v57
	v_lshl_or_b32 v124, v7, 16, v46
.LBB288_625:                            ;   in Loop: Header=BB288_16 Depth=1
	s_wait_alu 0xfffe
	s_or_b32 exec_lo, exec_lo, s22
.LBB288_626:                            ;   in Loop: Header=BB288_16 Depth=1
	s_wait_alu 0xfffe
	s_or_b32 exec_lo, exec_lo, s21
.LBB288_627:                            ;   in Loop: Header=BB288_16 Depth=1
	s_wait_alu 0xfffe
	s_or_b32 exec_lo, exec_lo, s20
	v_dual_mov_b32 v7, v32 :: v_dual_and_b32 v46, 0xff, v32
	s_mov_b32 s20, exec_lo
	s_delay_alu instid0(VALU_DEP_1)
	v_cmpx_ne_u16_e32 0, v46
	s_cbranch_execz .LBB288_635
; %bb.628:                              ;   in Loop: Header=BB288_16 Depth=1
	v_mov_b32_e32 v123, 0x8000
	s_mov_b32 s21, exec_lo
	v_cmpx_ne_u16_e32 0x80, v46
	s_cbranch_execz .LBB288_634
; %bb.629:                              ;   in Loop: Header=BB288_16 Depth=1
	v_and_b32_e32 v58, 0x7f, v32
	v_mov_b32_e32 v123, 0x7c01
	s_mov_b32 s22, exec_lo
	s_delay_alu instid0(VALU_DEP_2)
	v_cmpx_ne_u32_e32 0x7f, v58
	s_cbranch_execz .LBB288_633
; %bb.630:                              ;   in Loop: Header=BB288_16 Depth=1
	v_and_b32_e32 v46, 7, v32
	v_lshrrev_b32_e32 v57, 3, v58
	s_mov_b32 s23, exec_lo
	v_cmpx_gt_u32_e32 8, v58
; %bb.631:                              ;   in Loop: Header=BB288_16 Depth=1
	s_delay_alu instid0(VALU_DEP_3) | instskip(NEXT) | instid1(VALU_DEP_1)
	v_clz_i32_u32_e32 v46, v46
	v_min_u32_e32 v46, 32, v46
	s_delay_alu instid0(VALU_DEP_1) | instskip(NEXT) | instid1(VALU_DEP_1)
	v_subrev_nc_u32_e32 v57, 28, v46
	v_lshlrev_b64_e32 v[58:59], v57, v[7:8]
	v_sub_nc_u32_e32 v57, 29, v46
	s_delay_alu instid0(VALU_DEP_2)
	v_and_b32_e32 v46, 7, v58
; %bb.632:                              ;   in Loop: Header=BB288_16 Depth=1
	s_wait_alu 0xfffe
	s_or_b32 exec_lo, exec_lo, s23
	v_lshlrev_b32_e32 v58, 8, v32
	v_lshl_add_u32 v57, v57, 10, 0x2000
	v_lshlrev_b32_e32 v46, 7, v46
	s_delay_alu instid0(VALU_DEP_3) | instskip(NEXT) | instid1(VALU_DEP_3)
	v_and_b32_e32 v58, 0x8000, v58
	v_and_b32_e32 v57, 0xfc00, v57
	s_delay_alu instid0(VALU_DEP_1)
	v_or3_b32 v123, v58, v57, v46
.LBB288_633:                            ;   in Loop: Header=BB288_16 Depth=1
	s_wait_alu 0xfffe
	s_or_b32 exec_lo, exec_lo, s22
.LBB288_634:                            ;   in Loop: Header=BB288_16 Depth=1
	s_wait_alu 0xfffe
	s_or_b32 exec_lo, exec_lo, s21
.LBB288_635:                            ;   in Loop: Header=BB288_16 Depth=1
	s_wait_alu 0xfffe
	s_or_b32 exec_lo, exec_lo, s20
	v_lshrrev_b16 v7, 8, v7
	v_dual_mov_b32 v136, 0 :: v_dual_mov_b32 v137, 0
	s_mov_b32 s20, exec_lo
	s_delay_alu instid0(VALU_DEP_2)
	v_cmpx_ne_u16_e32 0, v7
	s_cbranch_execz .LBB288_643
; %bb.636:                              ;   in Loop: Header=BB288_16 Depth=1
	v_bfrev_b32_e32 v137, 1
	s_mov_b32 s21, exec_lo
	v_cmpx_ne_u16_e32 0x80, v7
	s_cbranch_execz .LBB288_642
; %bb.637:                              ;   in Loop: Header=BB288_16 Depth=1
	v_and_b32_e32 v46, 0xffff, v7
	v_mov_b32_e32 v137, 0x7c010000
	s_mov_b32 s22, exec_lo
	s_delay_alu instid0(VALU_DEP_2) | instskip(NEXT) | instid1(VALU_DEP_1)
	v_and_b32_e32 v59, 0x7f, v46
	v_cmpx_ne_u32_e32 0x7f, v59
	s_cbranch_execz .LBB288_641
; %bb.638:                              ;   in Loop: Header=BB288_16 Depth=1
	v_and_b32_e32 v57, 7, v46
	v_lshrrev_b32_e32 v58, 3, v59
	s_mov_b32 s23, exec_lo
	v_cmpx_gt_u32_e32 8, v59
; %bb.639:                              ;   in Loop: Header=BB288_16 Depth=1
	s_delay_alu instid0(VALU_DEP_3) | instskip(NEXT) | instid1(VALU_DEP_1)
	v_clz_i32_u32_e32 v57, v57
	v_min_u32_e32 v59, 32, v57
	s_delay_alu instid0(VALU_DEP_1) | instskip(NEXT) | instid1(VALU_DEP_1)
	v_subrev_nc_u32_e32 v57, 28, v59
	v_lshlrev_b64_e32 v[57:58], v57, v[7:8]
	v_sub_nc_u32_e32 v58, 29, v59
	s_delay_alu instid0(VALU_DEP_2)
	v_and_b32_e32 v57, 7, v57
; %bb.640:                              ;   in Loop: Header=BB288_16 Depth=1
	s_wait_alu 0xfffe
	s_or_b32 exec_lo, exec_lo, s23
	v_lshlrev_b32_e32 v7, 8, v46
	v_lshl_add_u32 v46, v58, 10, 0x2000
	s_delay_alu instid0(VALU_DEP_1) | instskip(SKIP_1) | instid1(VALU_DEP_1)
	v_and_or_b32 v7, 0x8000, v7, v46
	v_lshlrev_b32_e32 v46, 23, v57
	v_lshl_or_b32 v137, v7, 16, v46
.LBB288_641:                            ;   in Loop: Header=BB288_16 Depth=1
	s_wait_alu 0xfffe
	s_or_b32 exec_lo, exec_lo, s22
.LBB288_642:                            ;   in Loop: Header=BB288_16 Depth=1
	s_wait_alu 0xfffe
	s_or_b32 exec_lo, exec_lo, s21
.LBB288_643:                            ;   in Loop: Header=BB288_16 Depth=1
	s_wait_alu 0xfffe
	s_or_b32 exec_lo, exec_lo, s20
	v_lshrrev_b32_e32 v7, 16, v32
	s_mov_b32 s20, exec_lo
	s_delay_alu instid0(VALU_DEP_1) | instskip(NEXT) | instid1(VALU_DEP_1)
	v_and_b32_e32 v46, 0xff, v7
	v_cmpx_ne_u16_e32 0, v46
	s_cbranch_execz .LBB288_651
; %bb.644:                              ;   in Loop: Header=BB288_16 Depth=1
	v_mov_b32_e32 v136, 0x8000
	s_mov_b32 s21, exec_lo
	v_cmpx_ne_u16_e32 0x80, v46
	s_cbranch_execz .LBB288_650
; %bb.645:                              ;   in Loop: Header=BB288_16 Depth=1
	v_bfe_u32 v58, v32, 16, 7
	v_mov_b32_e32 v136, 0x7c01
	s_mov_b32 s22, exec_lo
	s_delay_alu instid0(VALU_DEP_2)
	v_cmpx_ne_u32_e32 0x7f, v58
	s_cbranch_execz .LBB288_649
; %bb.646:                              ;   in Loop: Header=BB288_16 Depth=1
	v_and_b32_e32 v46, 7, v7
	v_lshrrev_b32_e32 v57, 3, v58
	s_mov_b32 s23, exec_lo
	v_cmpx_gt_u32_e32 8, v58
; %bb.647:                              ;   in Loop: Header=BB288_16 Depth=1
	s_delay_alu instid0(VALU_DEP_3) | instskip(NEXT) | instid1(VALU_DEP_1)
	v_clz_i32_u32_e32 v46, v46
	v_min_u32_e32 v46, 32, v46
	s_delay_alu instid0(VALU_DEP_1) | instskip(NEXT) | instid1(VALU_DEP_1)
	v_subrev_nc_u32_e32 v57, 28, v46
	v_lshlrev_b64_e32 v[58:59], v57, v[7:8]
	v_sub_nc_u32_e32 v57, 29, v46
	s_delay_alu instid0(VALU_DEP_2)
	v_and_b32_e32 v46, 7, v58
; %bb.648:                              ;   in Loop: Header=BB288_16 Depth=1
	s_wait_alu 0xfffe
	s_or_b32 exec_lo, exec_lo, s23
	v_lshlrev_b32_e32 v7, 8, v7
	v_lshl_add_u32 v57, v57, 10, 0x2000
	v_lshlrev_b32_e32 v46, 7, v46
	s_delay_alu instid0(VALU_DEP_3) | instskip(NEXT) | instid1(VALU_DEP_3)
	v_and_b32_e32 v7, 0x8000, v7
	v_and_b32_e32 v57, 0xfc00, v57
	s_delay_alu instid0(VALU_DEP_1)
	v_or3_b32 v136, v7, v57, v46
.LBB288_649:                            ;   in Loop: Header=BB288_16 Depth=1
	s_wait_alu 0xfffe
	s_or_b32 exec_lo, exec_lo, s22
.LBB288_650:                            ;   in Loop: Header=BB288_16 Depth=1
	s_wait_alu 0xfffe
	s_or_b32 exec_lo, exec_lo, s21
.LBB288_651:                            ;   in Loop: Header=BB288_16 Depth=1
	s_wait_alu 0xfffe
	s_or_b32 exec_lo, exec_lo, s20
	v_dual_mov_b32 v93, 0 :: v_dual_mov_b32 v138, 0
	s_mov_b32 s20, exec_lo
	v_cmpx_lt_u64_e64 s[10:11], v[31:32]
	s_cbranch_execz .LBB288_659
; %bb.652:                              ;   in Loop: Header=BB288_16 Depth=1
	v_lshrrev_b32_e32 v7, 24, v32
	v_bfrev_b32_e32 v138, 1
	s_mov_b32 s21, exec_lo
	s_delay_alu instid0(VALU_DEP_2)
	v_cmpx_ne_u32_e32 0x80, v7
	s_cbranch_execz .LBB288_658
; %bb.653:                              ;   in Loop: Header=BB288_16 Depth=1
	v_and_b32_e32 v46, 0x7f, v7
	v_mov_b32_e32 v138, 0x7c010000
	s_mov_b32 s22, exec_lo
	s_delay_alu instid0(VALU_DEP_2)
	v_cmpx_ne_u32_e32 0x7f, v46
	s_cbranch_execz .LBB288_657
; %bb.654:                              ;   in Loop: Header=BB288_16 Depth=1
	v_and_b32_e32 v31, 7, v7
	v_lshrrev_b32_e32 v32, 3, v46
	s_mov_b32 s23, exec_lo
	v_cmpx_gt_u32_e32 8, v46
; %bb.655:                              ;   in Loop: Header=BB288_16 Depth=1
	s_delay_alu instid0(VALU_DEP_3) | instskip(NEXT) | instid1(VALU_DEP_1)
	v_clz_i32_u32_e32 v31, v31
	v_min_u32_e32 v46, 32, v31
	s_delay_alu instid0(VALU_DEP_1) | instskip(NEXT) | instid1(VALU_DEP_1)
	v_subrev_nc_u32_e32 v31, 28, v46
	v_lshlrev_b64_e32 v[31:32], v31, v[7:8]
	v_sub_nc_u32_e32 v32, 29, v46
	s_delay_alu instid0(VALU_DEP_2)
	v_and_b32_e32 v31, 7, v31
; %bb.656:                              ;   in Loop: Header=BB288_16 Depth=1
	s_wait_alu 0xfffe
	s_or_b32 exec_lo, exec_lo, s23
	v_lshlrev_b32_e32 v7, 8, v7
	v_lshl_add_u32 v32, v32, 10, 0x2000
	v_lshlrev_b32_e32 v31, 23, v31
	s_delay_alu instid0(VALU_DEP_2) | instskip(NEXT) | instid1(VALU_DEP_1)
	v_and_or_b32 v7, 0x8000, v7, v32
	v_lshl_or_b32 v138, v7, 16, v31
.LBB288_657:                            ;   in Loop: Header=BB288_16 Depth=1
	s_wait_alu 0xfffe
	s_or_b32 exec_lo, exec_lo, s22
.LBB288_658:                            ;   in Loop: Header=BB288_16 Depth=1
	s_wait_alu 0xfffe
	s_or_b32 exec_lo, exec_lo, s21
.LBB288_659:                            ;   in Loop: Header=BB288_16 Depth=1
	s_wait_alu 0xfffe
	s_or_b32 exec_lo, exec_lo, s20
	flat_load_b64 v[31:32], v[28:29] offset:2560
	s_mov_b32 s20, exec_lo
	s_wait_loadcnt_dscnt 0x0
	v_and_b32_e32 v7, 0xff, v31
	s_delay_alu instid0(VALU_DEP_1)
	v_cmpx_ne_u16_e32 0, v7
	s_cbranch_execz .LBB288_667
; %bb.660:                              ;   in Loop: Header=BB288_16 Depth=1
	v_mov_b32_e32 v93, 0x8000
	s_mov_b32 s21, exec_lo
	v_cmpx_ne_u16_e32 0x80, v7
	s_cbranch_execz .LBB288_666
; %bb.661:                              ;   in Loop: Header=BB288_16 Depth=1
	v_and_b32_e32 v57, 0x7f, v31
	v_mov_b32_e32 v93, 0x7c01
	s_mov_b32 s22, exec_lo
	s_delay_alu instid0(VALU_DEP_2)
	v_cmpx_ne_u32_e32 0x7f, v57
	s_cbranch_execz .LBB288_665
; %bb.662:                              ;   in Loop: Header=BB288_16 Depth=1
	v_and_b32_e32 v7, 7, v31
	v_lshrrev_b32_e32 v46, 3, v57
	s_mov_b32 s23, exec_lo
	v_cmpx_gt_u32_e32 8, v57
; %bb.663:                              ;   in Loop: Header=BB288_16 Depth=1
	s_delay_alu instid0(VALU_DEP_3) | instskip(NEXT) | instid1(VALU_DEP_1)
	v_clz_i32_u32_e32 v7, v7
	v_min_u32_e32 v7, 32, v7
	s_delay_alu instid0(VALU_DEP_1) | instskip(NEXT) | instid1(VALU_DEP_1)
	v_subrev_nc_u32_e32 v46, 28, v7
	v_lshlrev_b64_e32 v[57:58], v46, v[31:32]
	v_sub_nc_u32_e32 v46, 29, v7
	s_delay_alu instid0(VALU_DEP_2)
	v_and_b32_e32 v7, 7, v57
; %bb.664:                              ;   in Loop: Header=BB288_16 Depth=1
	s_wait_alu 0xfffe
	s_or_b32 exec_lo, exec_lo, s23
	v_lshlrev_b32_e32 v57, 8, v31
	v_lshl_add_u32 v46, v46, 10, 0x2000
	v_lshlrev_b32_e32 v7, 7, v7
	s_delay_alu instid0(VALU_DEP_3) | instskip(NEXT) | instid1(VALU_DEP_3)
	v_and_b32_e32 v57, 0x8000, v57
	v_and_b32_e32 v46, 0xfc00, v46
	s_delay_alu instid0(VALU_DEP_1)
	v_or3_b32 v93, v57, v46, v7
.LBB288_665:                            ;   in Loop: Header=BB288_16 Depth=1
	s_wait_alu 0xfffe
	s_or_b32 exec_lo, exec_lo, s22
.LBB288_666:                            ;   in Loop: Header=BB288_16 Depth=1
	s_wait_alu 0xfffe
	s_or_b32 exec_lo, exec_lo, s21
.LBB288_667:                            ;   in Loop: Header=BB288_16 Depth=1
	s_wait_alu 0xfffe
	s_or_b32 exec_lo, exec_lo, s20
	v_lshrrev_b16 v7, 8, v31
	v_dual_mov_b32 v105, 0 :: v_dual_mov_b32 v94, 0
	s_mov_b32 s20, exec_lo
	s_delay_alu instid0(VALU_DEP_2)
	v_cmpx_ne_u16_e32 0, v7
	s_cbranch_execz .LBB288_675
; %bb.668:                              ;   in Loop: Header=BB288_16 Depth=1
	v_bfrev_b32_e32 v94, 1
	s_mov_b32 s21, exec_lo
	v_cmpx_ne_u16_e32 0x80, v7
	s_cbranch_execz .LBB288_674
; %bb.669:                              ;   in Loop: Header=BB288_16 Depth=1
	v_and_b32_e32 v46, 0xffff, v7
	v_mov_b32_e32 v94, 0x7c010000
	s_mov_b32 s22, exec_lo
	s_delay_alu instid0(VALU_DEP_2) | instskip(NEXT) | instid1(VALU_DEP_1)
	v_and_b32_e32 v59, 0x7f, v46
	v_cmpx_ne_u32_e32 0x7f, v59
	s_cbranch_execz .LBB288_673
; %bb.670:                              ;   in Loop: Header=BB288_16 Depth=1
	v_and_b32_e32 v57, 7, v46
	v_lshrrev_b32_e32 v58, 3, v59
	s_mov_b32 s23, exec_lo
	v_cmpx_gt_u32_e32 8, v59
; %bb.671:                              ;   in Loop: Header=BB288_16 Depth=1
	s_delay_alu instid0(VALU_DEP_3) | instskip(NEXT) | instid1(VALU_DEP_1)
	v_clz_i32_u32_e32 v57, v57
	v_min_u32_e32 v59, 32, v57
	s_delay_alu instid0(VALU_DEP_1) | instskip(NEXT) | instid1(VALU_DEP_1)
	v_subrev_nc_u32_e32 v57, 28, v59
	v_lshlrev_b64_e32 v[57:58], v57, v[7:8]
	v_sub_nc_u32_e32 v58, 29, v59
	s_delay_alu instid0(VALU_DEP_2)
	v_and_b32_e32 v57, 7, v57
; %bb.672:                              ;   in Loop: Header=BB288_16 Depth=1
	s_wait_alu 0xfffe
	s_or_b32 exec_lo, exec_lo, s23
	v_lshlrev_b32_e32 v7, 8, v46
	v_lshl_add_u32 v46, v58, 10, 0x2000
	s_delay_alu instid0(VALU_DEP_1) | instskip(SKIP_1) | instid1(VALU_DEP_1)
	v_and_or_b32 v7, 0x8000, v7, v46
	v_lshlrev_b32_e32 v46, 23, v57
	v_lshl_or_b32 v94, v7, 16, v46
.LBB288_673:                            ;   in Loop: Header=BB288_16 Depth=1
	s_wait_alu 0xfffe
	s_or_b32 exec_lo, exec_lo, s22
.LBB288_674:                            ;   in Loop: Header=BB288_16 Depth=1
	s_wait_alu 0xfffe
	s_or_b32 exec_lo, exec_lo, s21
.LBB288_675:                            ;   in Loop: Header=BB288_16 Depth=1
	s_wait_alu 0xfffe
	s_or_b32 exec_lo, exec_lo, s20
	v_lshrrev_b32_e32 v7, 16, v31
	s_mov_b32 s20, exec_lo
	s_delay_alu instid0(VALU_DEP_1) | instskip(NEXT) | instid1(VALU_DEP_1)
	v_and_b32_e32 v46, 0xff, v7
	v_cmpx_ne_u16_e32 0, v46
	s_cbranch_execz .LBB288_683
; %bb.676:                              ;   in Loop: Header=BB288_16 Depth=1
	v_mov_b32_e32 v105, 0x8000
	s_mov_b32 s21, exec_lo
	v_cmpx_ne_u16_e32 0x80, v46
	s_cbranch_execz .LBB288_682
; %bb.677:                              ;   in Loop: Header=BB288_16 Depth=1
	v_bfe_u32 v58, v31, 16, 7
	v_mov_b32_e32 v105, 0x7c01
	s_mov_b32 s22, exec_lo
	s_delay_alu instid0(VALU_DEP_2)
	v_cmpx_ne_u32_e32 0x7f, v58
	s_cbranch_execz .LBB288_681
; %bb.678:                              ;   in Loop: Header=BB288_16 Depth=1
	v_and_b32_e32 v46, 7, v7
	v_lshrrev_b32_e32 v57, 3, v58
	s_mov_b32 s23, exec_lo
	v_cmpx_gt_u32_e32 8, v58
; %bb.679:                              ;   in Loop: Header=BB288_16 Depth=1
	s_delay_alu instid0(VALU_DEP_3) | instskip(NEXT) | instid1(VALU_DEP_1)
	v_clz_i32_u32_e32 v46, v46
	v_min_u32_e32 v46, 32, v46
	s_delay_alu instid0(VALU_DEP_1) | instskip(NEXT) | instid1(VALU_DEP_1)
	v_subrev_nc_u32_e32 v57, 28, v46
	v_lshlrev_b64_e32 v[58:59], v57, v[7:8]
	v_sub_nc_u32_e32 v57, 29, v46
	s_delay_alu instid0(VALU_DEP_2)
	v_and_b32_e32 v46, 7, v58
; %bb.680:                              ;   in Loop: Header=BB288_16 Depth=1
	s_wait_alu 0xfffe
	s_or_b32 exec_lo, exec_lo, s23
	v_lshlrev_b32_e32 v7, 8, v7
	v_lshl_add_u32 v57, v57, 10, 0x2000
	v_lshlrev_b32_e32 v46, 7, v46
	s_delay_alu instid0(VALU_DEP_3) | instskip(NEXT) | instid1(VALU_DEP_3)
	v_and_b32_e32 v7, 0x8000, v7
	v_and_b32_e32 v57, 0xfc00, v57
	s_delay_alu instid0(VALU_DEP_1)
	v_or3_b32 v105, v7, v57, v46
.LBB288_681:                            ;   in Loop: Header=BB288_16 Depth=1
	s_wait_alu 0xfffe
	s_or_b32 exec_lo, exec_lo, s22
.LBB288_682:                            ;   in Loop: Header=BB288_16 Depth=1
	s_wait_alu 0xfffe
	s_or_b32 exec_lo, exec_lo, s21
.LBB288_683:                            ;   in Loop: Header=BB288_16 Depth=1
	s_wait_alu 0xfffe
	s_or_b32 exec_lo, exec_lo, s20
	v_dual_mov_b32 v106, 0 :: v_dual_mov_b32 v107, 0
	s_mov_b32 s20, exec_lo
	v_cmpx_lt_u32_e32 0xffffff, v31
	s_cbranch_execz .LBB288_691
; %bb.684:                              ;   in Loop: Header=BB288_16 Depth=1
	v_lshrrev_b32_e32 v7, 24, v31
	v_bfrev_b32_e32 v107, 1
	s_mov_b32 s21, exec_lo
	s_delay_alu instid0(VALU_DEP_2)
	v_cmpx_ne_u32_e32 0x80, v7
	s_cbranch_execz .LBB288_690
; %bb.685:                              ;   in Loop: Header=BB288_16 Depth=1
	v_and_b32_e32 v58, 0x7f, v7
	v_mov_b32_e32 v107, 0x7c010000
	s_mov_b32 s22, exec_lo
	s_delay_alu instid0(VALU_DEP_2)
	v_cmpx_ne_u32_e32 0x7f, v58
	s_cbranch_execz .LBB288_689
; %bb.686:                              ;   in Loop: Header=BB288_16 Depth=1
	v_and_b32_e32 v46, 7, v7
	v_lshrrev_b32_e32 v57, 3, v58
	s_mov_b32 s23, exec_lo
	v_cmpx_gt_u32_e32 8, v58
; %bb.687:                              ;   in Loop: Header=BB288_16 Depth=1
	s_delay_alu instid0(VALU_DEP_3) | instskip(NEXT) | instid1(VALU_DEP_1)
	v_clz_i32_u32_e32 v46, v46
	v_min_u32_e32 v46, 32, v46
	s_delay_alu instid0(VALU_DEP_1) | instskip(NEXT) | instid1(VALU_DEP_1)
	v_subrev_nc_u32_e32 v57, 28, v46
	v_lshlrev_b64_e32 v[58:59], v57, v[7:8]
	v_sub_nc_u32_e32 v57, 29, v46
	s_delay_alu instid0(VALU_DEP_2)
	v_and_b32_e32 v46, 7, v58
; %bb.688:                              ;   in Loop: Header=BB288_16 Depth=1
	s_wait_alu 0xfffe
	s_or_b32 exec_lo, exec_lo, s23
	v_lshlrev_b32_e32 v7, 8, v7
	v_lshl_add_u32 v57, v57, 10, 0x2000
	v_lshlrev_b32_e32 v46, 23, v46
	s_delay_alu instid0(VALU_DEP_2) | instskip(NEXT) | instid1(VALU_DEP_1)
	v_and_or_b32 v7, 0x8000, v7, v57
	v_lshl_or_b32 v107, v7, 16, v46
.LBB288_689:                            ;   in Loop: Header=BB288_16 Depth=1
	s_wait_alu 0xfffe
	s_or_b32 exec_lo, exec_lo, s22
.LBB288_690:                            ;   in Loop: Header=BB288_16 Depth=1
	s_wait_alu 0xfffe
	s_or_b32 exec_lo, exec_lo, s21
.LBB288_691:                            ;   in Loop: Header=BB288_16 Depth=1
	s_wait_alu 0xfffe
	s_or_b32 exec_lo, exec_lo, s20
	v_dual_mov_b32 v7, v32 :: v_dual_and_b32 v46, 0xff, v32
	s_mov_b32 s20, exec_lo
	s_delay_alu instid0(VALU_DEP_1)
	v_cmpx_ne_u16_e32 0, v46
	s_cbranch_execz .LBB288_699
; %bb.692:                              ;   in Loop: Header=BB288_16 Depth=1
	v_mov_b32_e32 v106, 0x8000
	s_mov_b32 s21, exec_lo
	v_cmpx_ne_u16_e32 0x80, v46
	s_cbranch_execz .LBB288_698
; %bb.693:                              ;   in Loop: Header=BB288_16 Depth=1
	v_and_b32_e32 v58, 0x7f, v32
	v_mov_b32_e32 v106, 0x7c01
	s_mov_b32 s22, exec_lo
	s_delay_alu instid0(VALU_DEP_2)
	v_cmpx_ne_u32_e32 0x7f, v58
	s_cbranch_execz .LBB288_697
; %bb.694:                              ;   in Loop: Header=BB288_16 Depth=1
	v_and_b32_e32 v46, 7, v32
	v_lshrrev_b32_e32 v57, 3, v58
	s_mov_b32 s23, exec_lo
	v_cmpx_gt_u32_e32 8, v58
; %bb.695:                              ;   in Loop: Header=BB288_16 Depth=1
	s_delay_alu instid0(VALU_DEP_3) | instskip(NEXT) | instid1(VALU_DEP_1)
	v_clz_i32_u32_e32 v46, v46
	v_min_u32_e32 v46, 32, v46
	s_delay_alu instid0(VALU_DEP_1) | instskip(NEXT) | instid1(VALU_DEP_1)
	v_subrev_nc_u32_e32 v57, 28, v46
	v_lshlrev_b64_e32 v[58:59], v57, v[7:8]
	v_sub_nc_u32_e32 v57, 29, v46
	s_delay_alu instid0(VALU_DEP_2)
	v_and_b32_e32 v46, 7, v58
; %bb.696:                              ;   in Loop: Header=BB288_16 Depth=1
	s_wait_alu 0xfffe
	s_or_b32 exec_lo, exec_lo, s23
	v_lshlrev_b32_e32 v58, 8, v32
	v_lshl_add_u32 v57, v57, 10, 0x2000
	v_lshlrev_b32_e32 v46, 7, v46
	s_delay_alu instid0(VALU_DEP_3) | instskip(NEXT) | instid1(VALU_DEP_3)
	v_and_b32_e32 v58, 0x8000, v58
	v_and_b32_e32 v57, 0xfc00, v57
	s_delay_alu instid0(VALU_DEP_1)
	v_or3_b32 v106, v58, v57, v46
.LBB288_697:                            ;   in Loop: Header=BB288_16 Depth=1
	s_wait_alu 0xfffe
	s_or_b32 exec_lo, exec_lo, s22
.LBB288_698:                            ;   in Loop: Header=BB288_16 Depth=1
	s_wait_alu 0xfffe
	s_or_b32 exec_lo, exec_lo, s21
.LBB288_699:                            ;   in Loop: Header=BB288_16 Depth=1
	s_wait_alu 0xfffe
	s_or_b32 exec_lo, exec_lo, s20
	v_lshrrev_b16 v7, 8, v7
	v_dual_mov_b32 v125, 0 :: v_dual_mov_b32 v126, 0
	s_mov_b32 s20, exec_lo
	s_delay_alu instid0(VALU_DEP_2)
	v_cmpx_ne_u16_e32 0, v7
	s_cbranch_execz .LBB288_707
; %bb.700:                              ;   in Loop: Header=BB288_16 Depth=1
	v_bfrev_b32_e32 v126, 1
	s_mov_b32 s21, exec_lo
	v_cmpx_ne_u16_e32 0x80, v7
	s_cbranch_execz .LBB288_706
; %bb.701:                              ;   in Loop: Header=BB288_16 Depth=1
	v_and_b32_e32 v46, 0xffff, v7
	v_mov_b32_e32 v126, 0x7c010000
	s_mov_b32 s22, exec_lo
	s_delay_alu instid0(VALU_DEP_2) | instskip(NEXT) | instid1(VALU_DEP_1)
	v_and_b32_e32 v59, 0x7f, v46
	v_cmpx_ne_u32_e32 0x7f, v59
	s_cbranch_execz .LBB288_705
; %bb.702:                              ;   in Loop: Header=BB288_16 Depth=1
	v_and_b32_e32 v57, 7, v46
	v_lshrrev_b32_e32 v58, 3, v59
	s_mov_b32 s23, exec_lo
	v_cmpx_gt_u32_e32 8, v59
; %bb.703:                              ;   in Loop: Header=BB288_16 Depth=1
	s_delay_alu instid0(VALU_DEP_3) | instskip(NEXT) | instid1(VALU_DEP_1)
	v_clz_i32_u32_e32 v57, v57
	v_min_u32_e32 v59, 32, v57
	s_delay_alu instid0(VALU_DEP_1) | instskip(NEXT) | instid1(VALU_DEP_1)
	v_subrev_nc_u32_e32 v57, 28, v59
	v_lshlrev_b64_e32 v[57:58], v57, v[7:8]
	v_sub_nc_u32_e32 v58, 29, v59
	s_delay_alu instid0(VALU_DEP_2)
	v_and_b32_e32 v57, 7, v57
; %bb.704:                              ;   in Loop: Header=BB288_16 Depth=1
	s_wait_alu 0xfffe
	s_or_b32 exec_lo, exec_lo, s23
	v_lshlrev_b32_e32 v7, 8, v46
	v_lshl_add_u32 v46, v58, 10, 0x2000
	s_delay_alu instid0(VALU_DEP_1) | instskip(SKIP_1) | instid1(VALU_DEP_1)
	v_and_or_b32 v7, 0x8000, v7, v46
	v_lshlrev_b32_e32 v46, 23, v57
	v_lshl_or_b32 v126, v7, 16, v46
.LBB288_705:                            ;   in Loop: Header=BB288_16 Depth=1
	s_wait_alu 0xfffe
	s_or_b32 exec_lo, exec_lo, s22
.LBB288_706:                            ;   in Loop: Header=BB288_16 Depth=1
	s_wait_alu 0xfffe
	s_or_b32 exec_lo, exec_lo, s21
.LBB288_707:                            ;   in Loop: Header=BB288_16 Depth=1
	s_wait_alu 0xfffe
	s_or_b32 exec_lo, exec_lo, s20
	v_lshrrev_b32_e32 v7, 16, v32
	s_mov_b32 s20, exec_lo
	s_delay_alu instid0(VALU_DEP_1) | instskip(NEXT) | instid1(VALU_DEP_1)
	v_and_b32_e32 v46, 0xff, v7
	v_cmpx_ne_u16_e32 0, v46
	s_cbranch_execz .LBB288_715
; %bb.708:                              ;   in Loop: Header=BB288_16 Depth=1
	v_mov_b32_e32 v125, 0x8000
	s_mov_b32 s21, exec_lo
	v_cmpx_ne_u16_e32 0x80, v46
	s_cbranch_execz .LBB288_714
; %bb.709:                              ;   in Loop: Header=BB288_16 Depth=1
	v_bfe_u32 v58, v32, 16, 7
	v_mov_b32_e32 v125, 0x7c01
	s_mov_b32 s22, exec_lo
	s_delay_alu instid0(VALU_DEP_2)
	v_cmpx_ne_u32_e32 0x7f, v58
	s_cbranch_execz .LBB288_713
; %bb.710:                              ;   in Loop: Header=BB288_16 Depth=1
	v_and_b32_e32 v46, 7, v7
	v_lshrrev_b32_e32 v57, 3, v58
	s_mov_b32 s23, exec_lo
	v_cmpx_gt_u32_e32 8, v58
; %bb.711:                              ;   in Loop: Header=BB288_16 Depth=1
	s_delay_alu instid0(VALU_DEP_3) | instskip(NEXT) | instid1(VALU_DEP_1)
	v_clz_i32_u32_e32 v46, v46
	v_min_u32_e32 v46, 32, v46
	s_delay_alu instid0(VALU_DEP_1) | instskip(NEXT) | instid1(VALU_DEP_1)
	v_subrev_nc_u32_e32 v57, 28, v46
	v_lshlrev_b64_e32 v[58:59], v57, v[7:8]
	v_sub_nc_u32_e32 v57, 29, v46
	s_delay_alu instid0(VALU_DEP_2)
	v_and_b32_e32 v46, 7, v58
; %bb.712:                              ;   in Loop: Header=BB288_16 Depth=1
	s_wait_alu 0xfffe
	s_or_b32 exec_lo, exec_lo, s23
	v_lshlrev_b32_e32 v7, 8, v7
	v_lshl_add_u32 v57, v57, 10, 0x2000
	v_lshlrev_b32_e32 v46, 7, v46
	s_delay_alu instid0(VALU_DEP_3) | instskip(NEXT) | instid1(VALU_DEP_3)
	v_and_b32_e32 v7, 0x8000, v7
	v_and_b32_e32 v57, 0xfc00, v57
	s_delay_alu instid0(VALU_DEP_1)
	v_or3_b32 v125, v7, v57, v46
.LBB288_713:                            ;   in Loop: Header=BB288_16 Depth=1
	s_wait_alu 0xfffe
	s_or_b32 exec_lo, exec_lo, s22
.LBB288_714:                            ;   in Loop: Header=BB288_16 Depth=1
	s_wait_alu 0xfffe
	s_or_b32 exec_lo, exec_lo, s21
.LBB288_715:                            ;   in Loop: Header=BB288_16 Depth=1
	s_wait_alu 0xfffe
	s_or_b32 exec_lo, exec_lo, s20
	v_mov_b32_e32 v73, 0
	v_mov_b32_e32 v127, 0
	s_mov_b32 s20, exec_lo
	v_cmpx_lt_u64_e64 s[10:11], v[31:32]
	s_cbranch_execz .LBB288_723
; %bb.716:                              ;   in Loop: Header=BB288_16 Depth=1
	v_lshrrev_b32_e32 v7, 24, v32
	v_bfrev_b32_e32 v127, 1
	s_mov_b32 s21, exec_lo
	s_delay_alu instid0(VALU_DEP_2)
	v_cmpx_ne_u32_e32 0x80, v7
	s_cbranch_execz .LBB288_722
; %bb.717:                              ;   in Loop: Header=BB288_16 Depth=1
	v_and_b32_e32 v46, 0x7f, v7
	v_mov_b32_e32 v127, 0x7c010000
	s_mov_b32 s22, exec_lo
	s_delay_alu instid0(VALU_DEP_2)
	v_cmpx_ne_u32_e32 0x7f, v46
	s_cbranch_execz .LBB288_721
; %bb.718:                              ;   in Loop: Header=BB288_16 Depth=1
	v_and_b32_e32 v31, 7, v7
	v_lshrrev_b32_e32 v32, 3, v46
	s_mov_b32 s23, exec_lo
	v_cmpx_gt_u32_e32 8, v46
; %bb.719:                              ;   in Loop: Header=BB288_16 Depth=1
	s_delay_alu instid0(VALU_DEP_3) | instskip(NEXT) | instid1(VALU_DEP_1)
	v_clz_i32_u32_e32 v31, v31
	v_min_u32_e32 v46, 32, v31
	s_delay_alu instid0(VALU_DEP_1) | instskip(NEXT) | instid1(VALU_DEP_1)
	v_subrev_nc_u32_e32 v31, 28, v46
	v_lshlrev_b64_e32 v[31:32], v31, v[7:8]
	v_sub_nc_u32_e32 v32, 29, v46
	s_delay_alu instid0(VALU_DEP_2)
	v_and_b32_e32 v31, 7, v31
; %bb.720:                              ;   in Loop: Header=BB288_16 Depth=1
	s_wait_alu 0xfffe
	s_or_b32 exec_lo, exec_lo, s23
	v_lshlrev_b32_e32 v7, 8, v7
	v_lshl_add_u32 v32, v32, 10, 0x2000
	v_lshlrev_b32_e32 v31, 23, v31
	s_delay_alu instid0(VALU_DEP_2) | instskip(NEXT) | instid1(VALU_DEP_1)
	v_and_or_b32 v7, 0x8000, v7, v32
	v_lshl_or_b32 v127, v7, 16, v31
.LBB288_721:                            ;   in Loop: Header=BB288_16 Depth=1
	s_wait_alu 0xfffe
	s_or_b32 exec_lo, exec_lo, s22
.LBB288_722:                            ;   in Loop: Header=BB288_16 Depth=1
	s_wait_alu 0xfffe
	s_or_b32 exec_lo, exec_lo, s21
.LBB288_723:                            ;   in Loop: Header=BB288_16 Depth=1
	s_wait_alu 0xfffe
	s_or_b32 exec_lo, exec_lo, s20
	flat_load_b64 v[31:32], v[28:29] offset:2568
	s_mov_b32 s20, exec_lo
	s_wait_loadcnt_dscnt 0x0
	v_and_b32_e32 v7, 0xff, v31
	s_delay_alu instid0(VALU_DEP_1)
	v_cmpx_ne_u16_e32 0, v7
	s_cbranch_execz .LBB288_731
; %bb.724:                              ;   in Loop: Header=BB288_16 Depth=1
	v_mov_b32_e32 v73, 0x8000
	s_mov_b32 s21, exec_lo
	v_cmpx_ne_u16_e32 0x80, v7
	s_cbranch_execz .LBB288_730
; %bb.725:                              ;   in Loop: Header=BB288_16 Depth=1
	v_and_b32_e32 v57, 0x7f, v31
	v_mov_b32_e32 v73, 0x7c01
	s_mov_b32 s22, exec_lo
	s_delay_alu instid0(VALU_DEP_2)
	v_cmpx_ne_u32_e32 0x7f, v57
	s_cbranch_execz .LBB288_729
; %bb.726:                              ;   in Loop: Header=BB288_16 Depth=1
	v_and_b32_e32 v7, 7, v31
	v_lshrrev_b32_e32 v46, 3, v57
	s_mov_b32 s23, exec_lo
	v_cmpx_gt_u32_e32 8, v57
; %bb.727:                              ;   in Loop: Header=BB288_16 Depth=1
	s_delay_alu instid0(VALU_DEP_3) | instskip(NEXT) | instid1(VALU_DEP_1)
	v_clz_i32_u32_e32 v7, v7
	v_min_u32_e32 v7, 32, v7
	s_delay_alu instid0(VALU_DEP_1) | instskip(NEXT) | instid1(VALU_DEP_1)
	v_subrev_nc_u32_e32 v46, 28, v7
	v_lshlrev_b64_e32 v[57:58], v46, v[31:32]
	v_sub_nc_u32_e32 v46, 29, v7
	s_delay_alu instid0(VALU_DEP_2)
	v_and_b32_e32 v7, 7, v57
; %bb.728:                              ;   in Loop: Header=BB288_16 Depth=1
	s_wait_alu 0xfffe
	s_or_b32 exec_lo, exec_lo, s23
	v_lshlrev_b32_e32 v57, 8, v31
	v_lshl_add_u32 v46, v46, 10, 0x2000
	v_lshlrev_b32_e32 v7, 7, v7
	s_delay_alu instid0(VALU_DEP_3) | instskip(NEXT) | instid1(VALU_DEP_3)
	v_and_b32_e32 v57, 0x8000, v57
	v_and_b32_e32 v46, 0xfc00, v46
	s_delay_alu instid0(VALU_DEP_1)
	v_or3_b32 v73, v57, v46, v7
.LBB288_729:                            ;   in Loop: Header=BB288_16 Depth=1
	s_wait_alu 0xfffe
	s_or_b32 exec_lo, exec_lo, s22
.LBB288_730:                            ;   in Loop: Header=BB288_16 Depth=1
	s_wait_alu 0xfffe
	s_or_b32 exec_lo, exec_lo, s21
.LBB288_731:                            ;   in Loop: Header=BB288_16 Depth=1
	s_wait_alu 0xfffe
	s_or_b32 exec_lo, exec_lo, s20
	v_lshrrev_b16 v7, 8, v31
	v_dual_mov_b32 v77, 0 :: v_dual_mov_b32 v74, 0
	s_mov_b32 s20, exec_lo
	s_delay_alu instid0(VALU_DEP_2)
	v_cmpx_ne_u16_e32 0, v7
	s_cbranch_execz .LBB288_739
; %bb.732:                              ;   in Loop: Header=BB288_16 Depth=1
	v_bfrev_b32_e32 v74, 1
	s_mov_b32 s21, exec_lo
	v_cmpx_ne_u16_e32 0x80, v7
	s_cbranch_execz .LBB288_738
; %bb.733:                              ;   in Loop: Header=BB288_16 Depth=1
	v_and_b32_e32 v46, 0xffff, v7
	v_mov_b32_e32 v74, 0x7c010000
	s_mov_b32 s22, exec_lo
	s_delay_alu instid0(VALU_DEP_2) | instskip(NEXT) | instid1(VALU_DEP_1)
	v_and_b32_e32 v59, 0x7f, v46
	v_cmpx_ne_u32_e32 0x7f, v59
	s_cbranch_execz .LBB288_737
; %bb.734:                              ;   in Loop: Header=BB288_16 Depth=1
	v_and_b32_e32 v57, 7, v46
	v_lshrrev_b32_e32 v58, 3, v59
	s_mov_b32 s23, exec_lo
	v_cmpx_gt_u32_e32 8, v59
; %bb.735:                              ;   in Loop: Header=BB288_16 Depth=1
	s_delay_alu instid0(VALU_DEP_3) | instskip(NEXT) | instid1(VALU_DEP_1)
	v_clz_i32_u32_e32 v57, v57
	v_min_u32_e32 v59, 32, v57
	s_delay_alu instid0(VALU_DEP_1) | instskip(NEXT) | instid1(VALU_DEP_1)
	v_subrev_nc_u32_e32 v57, 28, v59
	v_lshlrev_b64_e32 v[57:58], v57, v[7:8]
	v_sub_nc_u32_e32 v58, 29, v59
	s_delay_alu instid0(VALU_DEP_2)
	v_and_b32_e32 v57, 7, v57
; %bb.736:                              ;   in Loop: Header=BB288_16 Depth=1
	s_wait_alu 0xfffe
	s_or_b32 exec_lo, exec_lo, s23
	v_lshlrev_b32_e32 v7, 8, v46
	v_lshl_add_u32 v46, v58, 10, 0x2000
	s_delay_alu instid0(VALU_DEP_1) | instskip(SKIP_1) | instid1(VALU_DEP_1)
	v_and_or_b32 v7, 0x8000, v7, v46
	v_lshlrev_b32_e32 v46, 23, v57
	v_lshl_or_b32 v74, v7, 16, v46
.LBB288_737:                            ;   in Loop: Header=BB288_16 Depth=1
	s_wait_alu 0xfffe
	s_or_b32 exec_lo, exec_lo, s22
.LBB288_738:                            ;   in Loop: Header=BB288_16 Depth=1
	s_wait_alu 0xfffe
	s_or_b32 exec_lo, exec_lo, s21
.LBB288_739:                            ;   in Loop: Header=BB288_16 Depth=1
	s_wait_alu 0xfffe
	s_or_b32 exec_lo, exec_lo, s20
	v_lshrrev_b32_e32 v7, 16, v31
	s_mov_b32 s20, exec_lo
	s_delay_alu instid0(VALU_DEP_1) | instskip(NEXT) | instid1(VALU_DEP_1)
	v_and_b32_e32 v46, 0xff, v7
	v_cmpx_ne_u16_e32 0, v46
	s_cbranch_execz .LBB288_747
; %bb.740:                              ;   in Loop: Header=BB288_16 Depth=1
	v_mov_b32_e32 v77, 0x8000
	s_mov_b32 s21, exec_lo
	v_cmpx_ne_u16_e32 0x80, v46
	s_cbranch_execz .LBB288_746
; %bb.741:                              ;   in Loop: Header=BB288_16 Depth=1
	v_bfe_u32 v58, v31, 16, 7
	v_mov_b32_e32 v77, 0x7c01
	s_mov_b32 s22, exec_lo
	s_delay_alu instid0(VALU_DEP_2)
	v_cmpx_ne_u32_e32 0x7f, v58
	s_cbranch_execz .LBB288_745
; %bb.742:                              ;   in Loop: Header=BB288_16 Depth=1
	v_and_b32_e32 v46, 7, v7
	v_lshrrev_b32_e32 v57, 3, v58
	s_mov_b32 s23, exec_lo
	v_cmpx_gt_u32_e32 8, v58
; %bb.743:                              ;   in Loop: Header=BB288_16 Depth=1
	s_delay_alu instid0(VALU_DEP_3) | instskip(NEXT) | instid1(VALU_DEP_1)
	v_clz_i32_u32_e32 v46, v46
	v_min_u32_e32 v46, 32, v46
	s_delay_alu instid0(VALU_DEP_1) | instskip(NEXT) | instid1(VALU_DEP_1)
	v_subrev_nc_u32_e32 v57, 28, v46
	v_lshlrev_b64_e32 v[58:59], v57, v[7:8]
	v_sub_nc_u32_e32 v57, 29, v46
	s_delay_alu instid0(VALU_DEP_2)
	v_and_b32_e32 v46, 7, v58
; %bb.744:                              ;   in Loop: Header=BB288_16 Depth=1
	s_wait_alu 0xfffe
	s_or_b32 exec_lo, exec_lo, s23
	v_lshlrev_b32_e32 v7, 8, v7
	v_lshl_add_u32 v57, v57, 10, 0x2000
	v_lshlrev_b32_e32 v46, 7, v46
	s_delay_alu instid0(VALU_DEP_3) | instskip(NEXT) | instid1(VALU_DEP_3)
	v_and_b32_e32 v7, 0x8000, v7
	v_and_b32_e32 v57, 0xfc00, v57
	s_delay_alu instid0(VALU_DEP_1)
	v_or3_b32 v77, v7, v57, v46
.LBB288_745:                            ;   in Loop: Header=BB288_16 Depth=1
	s_wait_alu 0xfffe
	s_or_b32 exec_lo, exec_lo, s22
.LBB288_746:                            ;   in Loop: Header=BB288_16 Depth=1
	s_wait_alu 0xfffe
	s_or_b32 exec_lo, exec_lo, s21
.LBB288_747:                            ;   in Loop: Header=BB288_16 Depth=1
	s_wait_alu 0xfffe
	s_or_b32 exec_lo, exec_lo, s20
	v_dual_mov_b32 v78, 0 :: v_dual_mov_b32 v79, 0
	s_mov_b32 s20, exec_lo
	v_cmpx_lt_u32_e32 0xffffff, v31
	s_cbranch_execz .LBB288_755
; %bb.748:                              ;   in Loop: Header=BB288_16 Depth=1
	v_lshrrev_b32_e32 v7, 24, v31
	v_bfrev_b32_e32 v79, 1
	s_mov_b32 s21, exec_lo
	s_delay_alu instid0(VALU_DEP_2)
	v_cmpx_ne_u32_e32 0x80, v7
	s_cbranch_execz .LBB288_754
; %bb.749:                              ;   in Loop: Header=BB288_16 Depth=1
	v_and_b32_e32 v58, 0x7f, v7
	v_mov_b32_e32 v79, 0x7c010000
	s_mov_b32 s22, exec_lo
	s_delay_alu instid0(VALU_DEP_2)
	v_cmpx_ne_u32_e32 0x7f, v58
	s_cbranch_execz .LBB288_753
; %bb.750:                              ;   in Loop: Header=BB288_16 Depth=1
	v_and_b32_e32 v46, 7, v7
	v_lshrrev_b32_e32 v57, 3, v58
	s_mov_b32 s23, exec_lo
	v_cmpx_gt_u32_e32 8, v58
; %bb.751:                              ;   in Loop: Header=BB288_16 Depth=1
	s_delay_alu instid0(VALU_DEP_3) | instskip(NEXT) | instid1(VALU_DEP_1)
	v_clz_i32_u32_e32 v46, v46
	v_min_u32_e32 v46, 32, v46
	s_delay_alu instid0(VALU_DEP_1) | instskip(NEXT) | instid1(VALU_DEP_1)
	v_subrev_nc_u32_e32 v57, 28, v46
	v_lshlrev_b64_e32 v[58:59], v57, v[7:8]
	v_sub_nc_u32_e32 v57, 29, v46
	s_delay_alu instid0(VALU_DEP_2)
	v_and_b32_e32 v46, 7, v58
; %bb.752:                              ;   in Loop: Header=BB288_16 Depth=1
	s_wait_alu 0xfffe
	s_or_b32 exec_lo, exec_lo, s23
	v_lshlrev_b32_e32 v7, 8, v7
	v_lshl_add_u32 v57, v57, 10, 0x2000
	v_lshlrev_b32_e32 v46, 23, v46
	s_delay_alu instid0(VALU_DEP_2) | instskip(NEXT) | instid1(VALU_DEP_1)
	v_and_or_b32 v7, 0x8000, v7, v57
	v_lshl_or_b32 v79, v7, 16, v46
.LBB288_753:                            ;   in Loop: Header=BB288_16 Depth=1
	s_wait_alu 0xfffe
	s_or_b32 exec_lo, exec_lo, s22
.LBB288_754:                            ;   in Loop: Header=BB288_16 Depth=1
	s_wait_alu 0xfffe
	s_or_b32 exec_lo, exec_lo, s21
.LBB288_755:                            ;   in Loop: Header=BB288_16 Depth=1
	s_wait_alu 0xfffe
	s_or_b32 exec_lo, exec_lo, s20
	v_dual_mov_b32 v7, v32 :: v_dual_and_b32 v46, 0xff, v32
	s_mov_b32 s20, exec_lo
	s_delay_alu instid0(VALU_DEP_1)
	v_cmpx_ne_u16_e32 0, v46
	s_cbranch_execz .LBB288_763
; %bb.756:                              ;   in Loop: Header=BB288_16 Depth=1
	v_mov_b32_e32 v78, 0x8000
	s_mov_b32 s21, exec_lo
	v_cmpx_ne_u16_e32 0x80, v46
	s_cbranch_execz .LBB288_762
; %bb.757:                              ;   in Loop: Header=BB288_16 Depth=1
	v_and_b32_e32 v58, 0x7f, v32
	v_mov_b32_e32 v78, 0x7c01
	s_mov_b32 s22, exec_lo
	s_delay_alu instid0(VALU_DEP_2)
	v_cmpx_ne_u32_e32 0x7f, v58
	s_cbranch_execz .LBB288_761
; %bb.758:                              ;   in Loop: Header=BB288_16 Depth=1
	v_and_b32_e32 v46, 7, v32
	v_lshrrev_b32_e32 v57, 3, v58
	s_mov_b32 s23, exec_lo
	v_cmpx_gt_u32_e32 8, v58
; %bb.759:                              ;   in Loop: Header=BB288_16 Depth=1
	s_delay_alu instid0(VALU_DEP_3) | instskip(NEXT) | instid1(VALU_DEP_1)
	v_clz_i32_u32_e32 v46, v46
	v_min_u32_e32 v46, 32, v46
	s_delay_alu instid0(VALU_DEP_1) | instskip(NEXT) | instid1(VALU_DEP_1)
	v_subrev_nc_u32_e32 v57, 28, v46
	v_lshlrev_b64_e32 v[58:59], v57, v[7:8]
	v_sub_nc_u32_e32 v57, 29, v46
	s_delay_alu instid0(VALU_DEP_2)
	v_and_b32_e32 v46, 7, v58
; %bb.760:                              ;   in Loop: Header=BB288_16 Depth=1
	s_wait_alu 0xfffe
	s_or_b32 exec_lo, exec_lo, s23
	v_lshlrev_b32_e32 v58, 8, v32
	v_lshl_add_u32 v57, v57, 10, 0x2000
	v_lshlrev_b32_e32 v46, 7, v46
	s_delay_alu instid0(VALU_DEP_3) | instskip(NEXT) | instid1(VALU_DEP_3)
	v_and_b32_e32 v58, 0x8000, v58
	v_and_b32_e32 v57, 0xfc00, v57
	s_delay_alu instid0(VALU_DEP_1)
	v_or3_b32 v78, v58, v57, v46
.LBB288_761:                            ;   in Loop: Header=BB288_16 Depth=1
	s_wait_alu 0xfffe
	s_or_b32 exec_lo, exec_lo, s22
.LBB288_762:                            ;   in Loop: Header=BB288_16 Depth=1
	s_wait_alu 0xfffe
	s_or_b32 exec_lo, exec_lo, s21
.LBB288_763:                            ;   in Loop: Header=BB288_16 Depth=1
	s_wait_alu 0xfffe
	s_or_b32 exec_lo, exec_lo, s20
	v_lshrrev_b16 v7, 8, v7
	v_dual_mov_b32 v108, 0 :: v_dual_mov_b32 v109, 0
	s_mov_b32 s20, exec_lo
	s_delay_alu instid0(VALU_DEP_2)
	v_cmpx_ne_u16_e32 0, v7
	s_cbranch_execz .LBB288_771
; %bb.764:                              ;   in Loop: Header=BB288_16 Depth=1
	v_bfrev_b32_e32 v109, 1
	s_mov_b32 s21, exec_lo
	v_cmpx_ne_u16_e32 0x80, v7
	s_cbranch_execz .LBB288_770
; %bb.765:                              ;   in Loop: Header=BB288_16 Depth=1
	v_and_b32_e32 v46, 0xffff, v7
	v_mov_b32_e32 v109, 0x7c010000
	s_mov_b32 s22, exec_lo
	s_delay_alu instid0(VALU_DEP_2) | instskip(NEXT) | instid1(VALU_DEP_1)
	v_and_b32_e32 v59, 0x7f, v46
	v_cmpx_ne_u32_e32 0x7f, v59
	s_cbranch_execz .LBB288_769
; %bb.766:                              ;   in Loop: Header=BB288_16 Depth=1
	v_and_b32_e32 v57, 7, v46
	v_lshrrev_b32_e32 v58, 3, v59
	s_mov_b32 s23, exec_lo
	v_cmpx_gt_u32_e32 8, v59
; %bb.767:                              ;   in Loop: Header=BB288_16 Depth=1
	s_delay_alu instid0(VALU_DEP_3) | instskip(NEXT) | instid1(VALU_DEP_1)
	v_clz_i32_u32_e32 v57, v57
	v_min_u32_e32 v59, 32, v57
	s_delay_alu instid0(VALU_DEP_1) | instskip(NEXT) | instid1(VALU_DEP_1)
	v_subrev_nc_u32_e32 v57, 28, v59
	v_lshlrev_b64_e32 v[57:58], v57, v[7:8]
	v_sub_nc_u32_e32 v58, 29, v59
	s_delay_alu instid0(VALU_DEP_2)
	v_and_b32_e32 v57, 7, v57
; %bb.768:                              ;   in Loop: Header=BB288_16 Depth=1
	s_wait_alu 0xfffe
	s_or_b32 exec_lo, exec_lo, s23
	v_lshlrev_b32_e32 v7, 8, v46
	v_lshl_add_u32 v46, v58, 10, 0x2000
	s_delay_alu instid0(VALU_DEP_1) | instskip(SKIP_1) | instid1(VALU_DEP_1)
	v_and_or_b32 v7, 0x8000, v7, v46
	v_lshlrev_b32_e32 v46, 23, v57
	v_lshl_or_b32 v109, v7, 16, v46
.LBB288_769:                            ;   in Loop: Header=BB288_16 Depth=1
	s_wait_alu 0xfffe
	s_or_b32 exec_lo, exec_lo, s22
.LBB288_770:                            ;   in Loop: Header=BB288_16 Depth=1
	s_wait_alu 0xfffe
	s_or_b32 exec_lo, exec_lo, s21
.LBB288_771:                            ;   in Loop: Header=BB288_16 Depth=1
	s_wait_alu 0xfffe
	s_or_b32 exec_lo, exec_lo, s20
	v_lshrrev_b32_e32 v7, 16, v32
	s_mov_b32 s20, exec_lo
	s_delay_alu instid0(VALU_DEP_1) | instskip(NEXT) | instid1(VALU_DEP_1)
	v_and_b32_e32 v46, 0xff, v7
	v_cmpx_ne_u16_e32 0, v46
	s_cbranch_execz .LBB288_779
; %bb.772:                              ;   in Loop: Header=BB288_16 Depth=1
	v_mov_b32_e32 v108, 0x8000
	s_mov_b32 s21, exec_lo
	v_cmpx_ne_u16_e32 0x80, v46
	s_cbranch_execz .LBB288_778
; %bb.773:                              ;   in Loop: Header=BB288_16 Depth=1
	v_bfe_u32 v58, v32, 16, 7
	v_mov_b32_e32 v108, 0x7c01
	s_mov_b32 s22, exec_lo
	s_delay_alu instid0(VALU_DEP_2)
	v_cmpx_ne_u32_e32 0x7f, v58
	s_cbranch_execz .LBB288_777
; %bb.774:                              ;   in Loop: Header=BB288_16 Depth=1
	v_and_b32_e32 v46, 7, v7
	v_lshrrev_b32_e32 v57, 3, v58
	s_mov_b32 s23, exec_lo
	v_cmpx_gt_u32_e32 8, v58
; %bb.775:                              ;   in Loop: Header=BB288_16 Depth=1
	s_delay_alu instid0(VALU_DEP_3) | instskip(NEXT) | instid1(VALU_DEP_1)
	v_clz_i32_u32_e32 v46, v46
	v_min_u32_e32 v46, 32, v46
	s_delay_alu instid0(VALU_DEP_1) | instskip(NEXT) | instid1(VALU_DEP_1)
	v_subrev_nc_u32_e32 v57, 28, v46
	v_lshlrev_b64_e32 v[58:59], v57, v[7:8]
	v_sub_nc_u32_e32 v57, 29, v46
	s_delay_alu instid0(VALU_DEP_2)
	v_and_b32_e32 v46, 7, v58
; %bb.776:                              ;   in Loop: Header=BB288_16 Depth=1
	s_wait_alu 0xfffe
	s_or_b32 exec_lo, exec_lo, s23
	v_lshlrev_b32_e32 v7, 8, v7
	v_lshl_add_u32 v57, v57, 10, 0x2000
	v_lshlrev_b32_e32 v46, 7, v46
	s_delay_alu instid0(VALU_DEP_3) | instskip(NEXT) | instid1(VALU_DEP_3)
	v_and_b32_e32 v7, 0x8000, v7
	v_and_b32_e32 v57, 0xfc00, v57
	s_delay_alu instid0(VALU_DEP_1)
	v_or3_b32 v108, v7, v57, v46
.LBB288_777:                            ;   in Loop: Header=BB288_16 Depth=1
	s_wait_alu 0xfffe
	s_or_b32 exec_lo, exec_lo, s22
.LBB288_778:                            ;   in Loop: Header=BB288_16 Depth=1
	s_wait_alu 0xfffe
	s_or_b32 exec_lo, exec_lo, s21
.LBB288_779:                            ;   in Loop: Header=BB288_16 Depth=1
	s_wait_alu 0xfffe
	s_or_b32 exec_lo, exec_lo, s20
	v_mov_b32_e32 v46, 0
	v_mov_b32_e32 v110, 0
	s_mov_b32 s20, exec_lo
	v_cmpx_lt_u64_e64 s[10:11], v[31:32]
	s_cbranch_execz .LBB288_787
; %bb.780:                              ;   in Loop: Header=BB288_16 Depth=1
	v_lshrrev_b32_e32 v7, 24, v32
	v_bfrev_b32_e32 v110, 1
	s_mov_b32 s21, exec_lo
	s_delay_alu instid0(VALU_DEP_2)
	v_cmpx_ne_u32_e32 0x80, v7
	s_cbranch_execz .LBB288_786
; %bb.781:                              ;   in Loop: Header=BB288_16 Depth=1
	v_and_b32_e32 v57, 0x7f, v7
	v_mov_b32_e32 v110, 0x7c010000
	s_mov_b32 s22, exec_lo
	s_delay_alu instid0(VALU_DEP_2)
	v_cmpx_ne_u32_e32 0x7f, v57
	s_cbranch_execz .LBB288_785
; %bb.782:                              ;   in Loop: Header=BB288_16 Depth=1
	v_and_b32_e32 v31, 7, v7
	v_lshrrev_b32_e32 v32, 3, v57
	s_mov_b32 s23, exec_lo
	v_cmpx_gt_u32_e32 8, v57
; %bb.783:                              ;   in Loop: Header=BB288_16 Depth=1
	s_delay_alu instid0(VALU_DEP_3) | instskip(NEXT) | instid1(VALU_DEP_1)
	v_clz_i32_u32_e32 v31, v31
	v_min_u32_e32 v57, 32, v31
	s_delay_alu instid0(VALU_DEP_1) | instskip(NEXT) | instid1(VALU_DEP_1)
	v_subrev_nc_u32_e32 v31, 28, v57
	v_lshlrev_b64_e32 v[31:32], v31, v[7:8]
	v_sub_nc_u32_e32 v32, 29, v57
	s_delay_alu instid0(VALU_DEP_2)
	v_and_b32_e32 v31, 7, v31
; %bb.784:                              ;   in Loop: Header=BB288_16 Depth=1
	s_wait_alu 0xfffe
	s_or_b32 exec_lo, exec_lo, s23
	v_lshlrev_b32_e32 v7, 8, v7
	v_lshl_add_u32 v32, v32, 10, 0x2000
	v_lshlrev_b32_e32 v31, 23, v31
	s_delay_alu instid0(VALU_DEP_2) | instskip(NEXT) | instid1(VALU_DEP_1)
	v_and_or_b32 v7, 0x8000, v7, v32
	v_lshl_or_b32 v110, v7, 16, v31
.LBB288_785:                            ;   in Loop: Header=BB288_16 Depth=1
	s_wait_alu 0xfffe
	s_or_b32 exec_lo, exec_lo, s22
.LBB288_786:                            ;   in Loop: Header=BB288_16 Depth=1
	s_wait_alu 0xfffe
	s_or_b32 exec_lo, exec_lo, s21
.LBB288_787:                            ;   in Loop: Header=BB288_16 Depth=1
	s_wait_alu 0xfffe
	s_or_b32 exec_lo, exec_lo, s20
	flat_load_b64 v[31:32], v[28:29] offset:3072
	s_mov_b32 s20, exec_lo
	s_wait_loadcnt_dscnt 0x0
	v_and_b32_e32 v7, 0xff, v31
	s_delay_alu instid0(VALU_DEP_1)
	v_cmpx_ne_u16_e32 0, v7
	s_cbranch_execz .LBB288_795
; %bb.788:                              ;   in Loop: Header=BB288_16 Depth=1
	v_mov_b32_e32 v46, 0x8000
	s_mov_b32 s21, exec_lo
	v_cmpx_ne_u16_e32 0x80, v7
	s_cbranch_execz .LBB288_794
; %bb.789:                              ;   in Loop: Header=BB288_16 Depth=1
	v_and_b32_e32 v57, 0x7f, v31
	v_mov_b32_e32 v46, 0x7c01
	s_mov_b32 s22, exec_lo
	s_delay_alu instid0(VALU_DEP_2)
	v_cmpx_ne_u32_e32 0x7f, v57
	s_cbranch_execz .LBB288_793
; %bb.790:                              ;   in Loop: Header=BB288_16 Depth=1
	v_and_b32_e32 v7, 7, v31
	v_lshrrev_b32_e32 v46, 3, v57
	s_mov_b32 s23, exec_lo
	v_cmpx_gt_u32_e32 8, v57
; %bb.791:                              ;   in Loop: Header=BB288_16 Depth=1
	s_delay_alu instid0(VALU_DEP_3) | instskip(NEXT) | instid1(VALU_DEP_1)
	v_clz_i32_u32_e32 v7, v7
	v_min_u32_e32 v7, 32, v7
	s_delay_alu instid0(VALU_DEP_1) | instskip(NEXT) | instid1(VALU_DEP_1)
	v_subrev_nc_u32_e32 v46, 28, v7
	v_lshlrev_b64_e32 v[57:58], v46, v[31:32]
	v_sub_nc_u32_e32 v46, 29, v7
	s_delay_alu instid0(VALU_DEP_2)
	v_and_b32_e32 v7, 7, v57
; %bb.792:                              ;   in Loop: Header=BB288_16 Depth=1
	s_wait_alu 0xfffe
	s_or_b32 exec_lo, exec_lo, s23
	v_lshlrev_b32_e32 v57, 8, v31
	v_lshl_add_u32 v46, v46, 10, 0x2000
	v_lshlrev_b32_e32 v7, 7, v7
	s_delay_alu instid0(VALU_DEP_3) | instskip(NEXT) | instid1(VALU_DEP_3)
	v_and_b32_e32 v57, 0x8000, v57
	v_and_b32_e32 v46, 0xfc00, v46
	s_delay_alu instid0(VALU_DEP_1)
	v_or3_b32 v46, v57, v46, v7
.LBB288_793:                            ;   in Loop: Header=BB288_16 Depth=1
	s_wait_alu 0xfffe
	s_or_b32 exec_lo, exec_lo, s22
.LBB288_794:                            ;   in Loop: Header=BB288_16 Depth=1
	s_wait_alu 0xfffe
	s_or_b32 exec_lo, exec_lo, s21
.LBB288_795:                            ;   in Loop: Header=BB288_16 Depth=1
	s_wait_alu 0xfffe
	s_or_b32 exec_lo, exec_lo, s20
	v_lshrrev_b16 v7, 8, v31
	v_dual_mov_b32 v58, 0 :: v_dual_mov_b32 v57, 0
	s_mov_b32 s20, exec_lo
	s_delay_alu instid0(VALU_DEP_2)
	v_cmpx_ne_u16_e32 0, v7
	s_cbranch_execz .LBB288_803
; %bb.796:                              ;   in Loop: Header=BB288_16 Depth=1
	v_bfrev_b32_e32 v57, 1
	s_mov_b32 s21, exec_lo
	v_cmpx_ne_u16_e32 0x80, v7
	s_cbranch_execz .LBB288_802
; %bb.797:                              ;   in Loop: Header=BB288_16 Depth=1
	v_and_b32_e32 v59, 0xffff, v7
	v_mov_b32_e32 v57, 0x7c010000
	s_mov_b32 s22, exec_lo
	s_delay_alu instid0(VALU_DEP_2) | instskip(NEXT) | instid1(VALU_DEP_1)
	v_and_b32_e32 v63, 0x7f, v59
	v_cmpx_ne_u32_e32 0x7f, v63
	s_cbranch_execz .LBB288_801
; %bb.798:                              ;   in Loop: Header=BB288_16 Depth=1
	v_and_b32_e32 v57, 7, v59
	v_lshrrev_b32_e32 v60, 3, v63
	s_mov_b32 s23, exec_lo
	v_cmpx_gt_u32_e32 8, v63
; %bb.799:                              ;   in Loop: Header=BB288_16 Depth=1
	s_delay_alu instid0(VALU_DEP_3) | instskip(NEXT) | instid1(VALU_DEP_1)
	v_clz_i32_u32_e32 v57, v57
	v_min_u32_e32 v57, 32, v57
	s_delay_alu instid0(VALU_DEP_1) | instskip(NEXT) | instid1(VALU_DEP_1)
	v_subrev_nc_u32_e32 v60, 28, v57
	v_lshlrev_b64_e32 v[88:89], v60, v[7:8]
	v_sub_nc_u32_e32 v60, 29, v57
	s_delay_alu instid0(VALU_DEP_2)
	v_and_b32_e32 v57, 7, v88
; %bb.800:                              ;   in Loop: Header=BB288_16 Depth=1
	s_wait_alu 0xfffe
	s_or_b32 exec_lo, exec_lo, s23
	v_lshlrev_b32_e32 v7, 8, v59
	v_lshl_add_u32 v59, v60, 10, 0x2000
	v_lshlrev_b32_e32 v57, 23, v57
	s_delay_alu instid0(VALU_DEP_2) | instskip(NEXT) | instid1(VALU_DEP_1)
	v_and_or_b32 v7, 0x8000, v7, v59
	v_lshl_or_b32 v57, v7, 16, v57
.LBB288_801:                            ;   in Loop: Header=BB288_16 Depth=1
	s_wait_alu 0xfffe
	s_or_b32 exec_lo, exec_lo, s22
.LBB288_802:                            ;   in Loop: Header=BB288_16 Depth=1
	s_wait_alu 0xfffe
	s_or_b32 exec_lo, exec_lo, s21
.LBB288_803:                            ;   in Loop: Header=BB288_16 Depth=1
	s_wait_alu 0xfffe
	s_or_b32 exec_lo, exec_lo, s20
	v_lshrrev_b32_e32 v7, 16, v31
	s_mov_b32 s20, exec_lo
	s_delay_alu instid0(VALU_DEP_1) | instskip(NEXT) | instid1(VALU_DEP_1)
	v_and_b32_e32 v59, 0xff, v7
	v_cmpx_ne_u16_e32 0, v59
	s_cbranch_execz .LBB288_811
; %bb.804:                              ;   in Loop: Header=BB288_16 Depth=1
	v_mov_b32_e32 v58, 0x8000
	s_mov_b32 s21, exec_lo
	v_cmpx_ne_u16_e32 0x80, v59
	s_cbranch_execz .LBB288_810
; %bb.805:                              ;   in Loop: Header=BB288_16 Depth=1
	v_bfe_u32 v60, v31, 16, 7
	v_mov_b32_e32 v58, 0x7c01
	s_mov_b32 s22, exec_lo
	s_delay_alu instid0(VALU_DEP_2)
	v_cmpx_ne_u32_e32 0x7f, v60
	s_cbranch_execz .LBB288_809
; %bb.806:                              ;   in Loop: Header=BB288_16 Depth=1
	v_and_b32_e32 v58, 7, v7
	v_lshrrev_b32_e32 v59, 3, v60
	s_mov_b32 s23, exec_lo
	v_cmpx_gt_u32_e32 8, v60
; %bb.807:                              ;   in Loop: Header=BB288_16 Depth=1
	s_delay_alu instid0(VALU_DEP_3) | instskip(NEXT) | instid1(VALU_DEP_1)
	v_clz_i32_u32_e32 v58, v58
	v_min_u32_e32 v60, 32, v58
	s_delay_alu instid0(VALU_DEP_1) | instskip(NEXT) | instid1(VALU_DEP_1)
	v_subrev_nc_u32_e32 v58, 28, v60
	v_lshlrev_b64_e32 v[58:59], v58, v[7:8]
	v_sub_nc_u32_e32 v59, 29, v60
	s_delay_alu instid0(VALU_DEP_2)
	v_and_b32_e32 v58, 7, v58
; %bb.808:                              ;   in Loop: Header=BB288_16 Depth=1
	s_wait_alu 0xfffe
	s_or_b32 exec_lo, exec_lo, s23
	v_lshlrev_b32_e32 v7, 8, v7
	v_lshl_add_u32 v59, v59, 10, 0x2000
	v_lshlrev_b32_e32 v58, 7, v58
	s_delay_alu instid0(VALU_DEP_3) | instskip(NEXT) | instid1(VALU_DEP_3)
	v_and_b32_e32 v7, 0x8000, v7
	v_and_b32_e32 v59, 0xfc00, v59
	s_delay_alu instid0(VALU_DEP_1)
	v_or3_b32 v58, v7, v59, v58
.LBB288_809:                            ;   in Loop: Header=BB288_16 Depth=1
	s_wait_alu 0xfffe
	s_or_b32 exec_lo, exec_lo, s22
.LBB288_810:                            ;   in Loop: Header=BB288_16 Depth=1
	s_wait_alu 0xfffe
	s_or_b32 exec_lo, exec_lo, s21
.LBB288_811:                            ;   in Loop: Header=BB288_16 Depth=1
	s_wait_alu 0xfffe
	s_or_b32 exec_lo, exec_lo, s20
	v_dual_mov_b32 v88, 0 :: v_dual_mov_b32 v59, 0
	s_mov_b32 s20, exec_lo
	v_cmpx_lt_u32_e32 0xffffff, v31
	s_cbranch_execz .LBB288_819
; %bb.812:                              ;   in Loop: Header=BB288_16 Depth=1
	v_lshrrev_b32_e32 v7, 24, v31
	v_bfrev_b32_e32 v59, 1
	s_mov_b32 s21, exec_lo
	s_delay_alu instid0(VALU_DEP_2)
	v_cmpx_ne_u32_e32 0x80, v7
	s_cbranch_execz .LBB288_818
; %bb.813:                              ;   in Loop: Header=BB288_16 Depth=1
	v_and_b32_e32 v63, 0x7f, v7
	v_mov_b32_e32 v59, 0x7c010000
	s_mov_b32 s22, exec_lo
	s_delay_alu instid0(VALU_DEP_2)
	v_cmpx_ne_u32_e32 0x7f, v63
	s_cbranch_execz .LBB288_817
; %bb.814:                              ;   in Loop: Header=BB288_16 Depth=1
	v_and_b32_e32 v59, 7, v7
	v_lshrrev_b32_e32 v60, 3, v63
	s_mov_b32 s23, exec_lo
	v_cmpx_gt_u32_e32 8, v63
; %bb.815:                              ;   in Loop: Header=BB288_16 Depth=1
	s_delay_alu instid0(VALU_DEP_3) | instskip(NEXT) | instid1(VALU_DEP_1)
	v_clz_i32_u32_e32 v59, v59
	v_min_u32_e32 v63, 32, v59
	s_delay_alu instid0(VALU_DEP_1) | instskip(NEXT) | instid1(VALU_DEP_1)
	v_subrev_nc_u32_e32 v59, 28, v63
	v_lshlrev_b64_e32 v[59:60], v59, v[7:8]
	v_sub_nc_u32_e32 v60, 29, v63
	s_delay_alu instid0(VALU_DEP_2)
	v_and_b32_e32 v59, 7, v59
; %bb.816:                              ;   in Loop: Header=BB288_16 Depth=1
	s_wait_alu 0xfffe
	s_or_b32 exec_lo, exec_lo, s23
	v_lshlrev_b32_e32 v7, 8, v7
	v_lshl_add_u32 v60, v60, 10, 0x2000
	v_lshlrev_b32_e32 v59, 23, v59
	s_delay_alu instid0(VALU_DEP_2) | instskip(NEXT) | instid1(VALU_DEP_1)
	v_and_or_b32 v7, 0x8000, v7, v60
	v_lshl_or_b32 v59, v7, 16, v59
.LBB288_817:                            ;   in Loop: Header=BB288_16 Depth=1
	s_wait_alu 0xfffe
	s_or_b32 exec_lo, exec_lo, s22
.LBB288_818:                            ;   in Loop: Header=BB288_16 Depth=1
	s_wait_alu 0xfffe
	s_or_b32 exec_lo, exec_lo, s21
.LBB288_819:                            ;   in Loop: Header=BB288_16 Depth=1
	s_wait_alu 0xfffe
	s_or_b32 exec_lo, exec_lo, s20
	v_dual_mov_b32 v7, v32 :: v_dual_and_b32 v60, 0xff, v32
	s_mov_b32 s20, exec_lo
	s_delay_alu instid0(VALU_DEP_1)
	v_cmpx_ne_u16_e32 0, v60
	s_cbranch_execz .LBB288_827
; %bb.820:                              ;   in Loop: Header=BB288_16 Depth=1
	v_mov_b32_e32 v88, 0x8000
	s_mov_b32 s21, exec_lo
	v_cmpx_ne_u16_e32 0x80, v60
	s_cbranch_execz .LBB288_826
; %bb.821:                              ;   in Loop: Header=BB288_16 Depth=1
	v_and_b32_e32 v72, 0x7f, v32
	v_mov_b32_e32 v88, 0x7c01
	s_mov_b32 s22, exec_lo
	s_delay_alu instid0(VALU_DEP_2)
	v_cmpx_ne_u32_e32 0x7f, v72
	s_cbranch_execz .LBB288_825
; %bb.822:                              ;   in Loop: Header=BB288_16 Depth=1
	v_and_b32_e32 v60, 7, v32
	v_lshrrev_b32_e32 v63, 3, v72
	s_mov_b32 s23, exec_lo
	v_cmpx_gt_u32_e32 8, v72
; %bb.823:                              ;   in Loop: Header=BB288_16 Depth=1
	s_delay_alu instid0(VALU_DEP_3) | instskip(NEXT) | instid1(VALU_DEP_1)
	v_clz_i32_u32_e32 v60, v60
	v_min_u32_e32 v60, 32, v60
	s_delay_alu instid0(VALU_DEP_1) | instskip(NEXT) | instid1(VALU_DEP_1)
	v_subrev_nc_u32_e32 v63, 28, v60
	v_lshlrev_b64_e32 v[88:89], v63, v[7:8]
	v_sub_nc_u32_e32 v63, 29, v60
	s_delay_alu instid0(VALU_DEP_2)
	v_and_b32_e32 v60, 7, v88
; %bb.824:                              ;   in Loop: Header=BB288_16 Depth=1
	s_wait_alu 0xfffe
	s_or_b32 exec_lo, exec_lo, s23
	v_lshlrev_b32_e32 v72, 8, v32
	v_lshl_add_u32 v63, v63, 10, 0x2000
	v_lshlrev_b32_e32 v60, 7, v60
	s_delay_alu instid0(VALU_DEP_3) | instskip(NEXT) | instid1(VALU_DEP_3)
	v_and_b32_e32 v72, 0x8000, v72
	v_and_b32_e32 v63, 0xfc00, v63
	s_delay_alu instid0(VALU_DEP_1)
	v_or3_b32 v88, v72, v63, v60
.LBB288_825:                            ;   in Loop: Header=BB288_16 Depth=1
	s_wait_alu 0xfffe
	s_or_b32 exec_lo, exec_lo, s22
.LBB288_826:                            ;   in Loop: Header=BB288_16 Depth=1
	s_wait_alu 0xfffe
	s_or_b32 exec_lo, exec_lo, s21
.LBB288_827:                            ;   in Loop: Header=BB288_16 Depth=1
	s_wait_alu 0xfffe
	s_or_b32 exec_lo, exec_lo, s20
	v_lshrrev_b16 v7, 8, v7
	v_dual_mov_b32 v89, 0 :: v_dual_mov_b32 v90, 0
	s_mov_b32 s20, exec_lo
	s_delay_alu instid0(VALU_DEP_2)
	v_cmpx_ne_u16_e32 0, v7
	s_cbranch_execz .LBB288_835
; %bb.828:                              ;   in Loop: Header=BB288_16 Depth=1
	v_bfrev_b32_e32 v90, 1
	s_mov_b32 s21, exec_lo
	v_cmpx_ne_u16_e32 0x80, v7
	s_cbranch_execz .LBB288_834
; %bb.829:                              ;   in Loop: Header=BB288_16 Depth=1
	v_and_b32_e32 v60, 0xffff, v7
	v_mov_b32_e32 v90, 0x7c010000
	s_mov_b32 s22, exec_lo
	s_delay_alu instid0(VALU_DEP_2) | instskip(NEXT) | instid1(VALU_DEP_1)
	v_and_b32_e32 v139, 0x7f, v60
	v_cmpx_ne_u32_e32 0x7f, v139
	s_cbranch_execz .LBB288_833
; %bb.830:                              ;   in Loop: Header=BB288_16 Depth=1
	v_and_b32_e32 v63, 7, v60
	v_lshrrev_b32_e32 v72, 3, v139
	s_mov_b32 s23, exec_lo
	v_cmpx_gt_u32_e32 8, v139
; %bb.831:                              ;   in Loop: Header=BB288_16 Depth=1
	s_delay_alu instid0(VALU_DEP_3) | instskip(NEXT) | instid1(VALU_DEP_1)
	v_clz_i32_u32_e32 v63, v63
	v_min_u32_e32 v63, 32, v63
	s_delay_alu instid0(VALU_DEP_1) | instskip(NEXT) | instid1(VALU_DEP_1)
	v_subrev_nc_u32_e32 v72, 28, v63
	v_lshlrev_b64_e32 v[139:140], v72, v[7:8]
	v_sub_nc_u32_e32 v72, 29, v63
	s_delay_alu instid0(VALU_DEP_2)
	v_and_b32_e32 v63, 7, v139
; %bb.832:                              ;   in Loop: Header=BB288_16 Depth=1
	s_wait_alu 0xfffe
	s_or_b32 exec_lo, exec_lo, s23
	v_lshlrev_b32_e32 v7, 8, v60
	v_lshl_add_u32 v60, v72, 10, 0x2000
	s_delay_alu instid0(VALU_DEP_1) | instskip(SKIP_1) | instid1(VALU_DEP_1)
	v_and_or_b32 v7, 0x8000, v7, v60
	v_lshlrev_b32_e32 v60, 23, v63
	v_lshl_or_b32 v90, v7, 16, v60
.LBB288_833:                            ;   in Loop: Header=BB288_16 Depth=1
	s_wait_alu 0xfffe
	s_or_b32 exec_lo, exec_lo, s22
.LBB288_834:                            ;   in Loop: Header=BB288_16 Depth=1
	s_wait_alu 0xfffe
	s_or_b32 exec_lo, exec_lo, s21
.LBB288_835:                            ;   in Loop: Header=BB288_16 Depth=1
	s_wait_alu 0xfffe
	s_or_b32 exec_lo, exec_lo, s20
	v_lshrrev_b32_e32 v7, 16, v32
	s_mov_b32 s20, exec_lo
	s_delay_alu instid0(VALU_DEP_1) | instskip(NEXT) | instid1(VALU_DEP_1)
	v_and_b32_e32 v60, 0xff, v7
	v_cmpx_ne_u16_e32 0, v60
	s_cbranch_execz .LBB288_843
; %bb.836:                              ;   in Loop: Header=BB288_16 Depth=1
	v_mov_b32_e32 v89, 0x8000
	s_mov_b32 s21, exec_lo
	v_cmpx_ne_u16_e32 0x80, v60
	s_cbranch_execz .LBB288_842
; %bb.837:                              ;   in Loop: Header=BB288_16 Depth=1
	v_bfe_u32 v72, v32, 16, 7
	v_mov_b32_e32 v89, 0x7c01
	s_mov_b32 s22, exec_lo
	s_delay_alu instid0(VALU_DEP_2)
	v_cmpx_ne_u32_e32 0x7f, v72
	s_cbranch_execz .LBB288_841
; %bb.838:                              ;   in Loop: Header=BB288_16 Depth=1
	v_and_b32_e32 v60, 7, v7
	v_lshrrev_b32_e32 v63, 3, v72
	s_mov_b32 s23, exec_lo
	v_cmpx_gt_u32_e32 8, v72
; %bb.839:                              ;   in Loop: Header=BB288_16 Depth=1
	s_delay_alu instid0(VALU_DEP_3) | instskip(NEXT) | instid1(VALU_DEP_1)
	v_clz_i32_u32_e32 v60, v60
	v_min_u32_e32 v60, 32, v60
	s_delay_alu instid0(VALU_DEP_1) | instskip(NEXT) | instid1(VALU_DEP_1)
	v_subrev_nc_u32_e32 v63, 28, v60
	v_lshlrev_b64_e32 v[139:140], v63, v[7:8]
	v_sub_nc_u32_e32 v63, 29, v60
	s_delay_alu instid0(VALU_DEP_2)
	v_and_b32_e32 v60, 7, v139
; %bb.840:                              ;   in Loop: Header=BB288_16 Depth=1
	s_wait_alu 0xfffe
	s_or_b32 exec_lo, exec_lo, s23
	v_lshlrev_b32_e32 v7, 8, v7
	v_lshl_add_u32 v63, v63, 10, 0x2000
	v_lshlrev_b32_e32 v60, 7, v60
	s_delay_alu instid0(VALU_DEP_3) | instskip(NEXT) | instid1(VALU_DEP_3)
	v_and_b32_e32 v7, 0x8000, v7
	v_and_b32_e32 v63, 0xfc00, v63
	s_delay_alu instid0(VALU_DEP_1)
	v_or3_b32 v89, v7, v63, v60
.LBB288_841:                            ;   in Loop: Header=BB288_16 Depth=1
	s_wait_alu 0xfffe
	s_or_b32 exec_lo, exec_lo, s22
.LBB288_842:                            ;   in Loop: Header=BB288_16 Depth=1
	s_wait_alu 0xfffe
	s_or_b32 exec_lo, exec_lo, s21
.LBB288_843:                            ;   in Loop: Header=BB288_16 Depth=1
	s_wait_alu 0xfffe
	s_or_b32 exec_lo, exec_lo, s20
	v_cmp_lt_u64_e64 s1, s[10:11], v[31:32]
	v_dual_mov_b32 v31, 0 :: v_dual_mov_b32 v140, 0
	s_and_saveexec_b32 s20, s1
	s_cbranch_execz .LBB288_851
; %bb.844:                              ;   in Loop: Header=BB288_16 Depth=1
	v_lshrrev_b32_e32 v7, 24, v32
	v_bfrev_b32_e32 v140, 1
	s_mov_b32 s21, exec_lo
	s_delay_alu instid0(VALU_DEP_2)
	v_cmpx_ne_u32_e32 0x80, v7
	s_cbranch_execz .LBB288_850
; %bb.845:                              ;   in Loop: Header=BB288_16 Depth=1
	v_and_b32_e32 v63, 0x7f, v7
	v_mov_b32_e32 v140, 0x7c010000
	s_mov_b32 s22, exec_lo
	s_delay_alu instid0(VALU_DEP_2)
	v_cmpx_ne_u32_e32 0x7f, v63
	s_cbranch_execz .LBB288_849
; %bb.846:                              ;   in Loop: Header=BB288_16 Depth=1
	v_and_b32_e32 v32, 7, v7
	v_lshrrev_b32_e32 v60, 3, v63
	s_mov_b32 s23, exec_lo
	v_cmpx_gt_u32_e32 8, v63
; %bb.847:                              ;   in Loop: Header=BB288_16 Depth=1
	s_delay_alu instid0(VALU_DEP_3) | instskip(NEXT) | instid1(VALU_DEP_1)
	v_clz_i32_u32_e32 v32, v32
	v_min_u32_e32 v32, 32, v32
	s_delay_alu instid0(VALU_DEP_1) | instskip(NEXT) | instid1(VALU_DEP_1)
	v_subrev_nc_u32_e32 v60, 28, v32
	v_lshlrev_b64_e32 v[139:140], v60, v[7:8]
	v_sub_nc_u32_e32 v60, 29, v32
	s_delay_alu instid0(VALU_DEP_2)
	v_and_b32_e32 v32, 7, v139
; %bb.848:                              ;   in Loop: Header=BB288_16 Depth=1
	s_wait_alu 0xfffe
	s_or_b32 exec_lo, exec_lo, s23
	v_lshlrev_b32_e32 v7, 8, v7
	v_lshl_add_u32 v60, v60, 10, 0x2000
	v_lshlrev_b32_e32 v32, 23, v32
	s_delay_alu instid0(VALU_DEP_2) | instskip(NEXT) | instid1(VALU_DEP_1)
	v_and_or_b32 v7, 0x8000, v7, v60
	v_lshl_or_b32 v140, v7, 16, v32
.LBB288_849:                            ;   in Loop: Header=BB288_16 Depth=1
	s_wait_alu 0xfffe
	s_or_b32 exec_lo, exec_lo, s22
.LBB288_850:                            ;   in Loop: Header=BB288_16 Depth=1
	s_wait_alu 0xfffe
	s_or_b32 exec_lo, exec_lo, s21
.LBB288_851:                            ;   in Loop: Header=BB288_16 Depth=1
	s_wait_alu 0xfffe
	s_or_b32 exec_lo, exec_lo, s20
	flat_load_b64 v[28:29], v[28:29] offset:3080
	s_mov_b32 s20, exec_lo
	s_wait_loadcnt_dscnt 0x0
	v_and_b32_e32 v7, 0xff, v28
	s_delay_alu instid0(VALU_DEP_1)
	v_cmpx_ne_u16_e32 0, v7
	s_cbranch_execz .LBB288_859
; %bb.852:                              ;   in Loop: Header=BB288_16 Depth=1
	v_mov_b32_e32 v31, 0x8000
	s_mov_b32 s21, exec_lo
	v_cmpx_ne_u16_e32 0x80, v7
	s_cbranch_execz .LBB288_858
; %bb.853:                              ;   in Loop: Header=BB288_16 Depth=1
	v_and_b32_e32 v32, 0x7f, v28
	v_mov_b32_e32 v31, 0x7c01
	s_mov_b32 s22, exec_lo
	s_delay_alu instid0(VALU_DEP_2)
	v_cmpx_ne_u32_e32 0x7f, v32
	s_cbranch_execz .LBB288_857
; %bb.854:                              ;   in Loop: Header=BB288_16 Depth=1
	v_and_b32_e32 v7, 7, v28
	v_lshrrev_b32_e32 v31, 3, v32
	s_mov_b32 s23, exec_lo
	v_cmpx_gt_u32_e32 8, v32
; %bb.855:                              ;   in Loop: Header=BB288_16 Depth=1
	s_delay_alu instid0(VALU_DEP_3) | instskip(NEXT) | instid1(VALU_DEP_1)
	v_clz_i32_u32_e32 v7, v7
	v_min_u32_e32 v7, 32, v7
	s_delay_alu instid0(VALU_DEP_1) | instskip(NEXT) | instid1(VALU_DEP_1)
	v_subrev_nc_u32_e32 v31, 28, v7
	v_lshlrev_b64_e32 v[141:142], v31, v[28:29]
	v_sub_nc_u32_e32 v31, 29, v7
	s_delay_alu instid0(VALU_DEP_2)
	v_and_b32_e32 v7, 7, v141
; %bb.856:                              ;   in Loop: Header=BB288_16 Depth=1
	s_wait_alu 0xfffe
	s_or_b32 exec_lo, exec_lo, s23
	v_lshlrev_b32_e32 v32, 8, v28
	v_lshl_add_u32 v31, v31, 10, 0x2000
	v_lshlrev_b32_e32 v7, 7, v7
	s_delay_alu instid0(VALU_DEP_3) | instskip(NEXT) | instid1(VALU_DEP_3)
	v_and_b32_e32 v32, 0x8000, v32
	v_and_b32_e32 v31, 0xfc00, v31
	s_delay_alu instid0(VALU_DEP_1)
	v_or3_b32 v31, v32, v31, v7
.LBB288_857:                            ;   in Loop: Header=BB288_16 Depth=1
	s_wait_alu 0xfffe
	s_or_b32 exec_lo, exec_lo, s22
.LBB288_858:                            ;   in Loop: Header=BB288_16 Depth=1
	s_wait_alu 0xfffe
	s_or_b32 exec_lo, exec_lo, s21
.LBB288_859:                            ;   in Loop: Header=BB288_16 Depth=1
	s_wait_alu 0xfffe
	s_or_b32 exec_lo, exec_lo, s20
	v_lshrrev_b16 v7, 8, v28
	v_dual_mov_b32 v139, 0 :: v_dual_mov_b32 v32, 0
	s_mov_b32 s20, exec_lo
	s_delay_alu instid0(VALU_DEP_2)
	v_cmpx_ne_u16_e32 0, v7
	s_cbranch_execz .LBB288_867
; %bb.860:                              ;   in Loop: Header=BB288_16 Depth=1
	v_bfrev_b32_e32 v32, 1
	s_mov_b32 s21, exec_lo
	v_cmpx_ne_u16_e32 0x80, v7
	s_cbranch_execz .LBB288_866
; %bb.861:                              ;   in Loop: Header=BB288_16 Depth=1
	v_and_b32_e32 v60, 0xffff, v7
	v_mov_b32_e32 v32, 0x7c010000
	s_mov_b32 s22, exec_lo
	s_delay_alu instid0(VALU_DEP_2) | instskip(NEXT) | instid1(VALU_DEP_1)
	v_and_b32_e32 v72, 0x7f, v60
	v_cmpx_ne_u32_e32 0x7f, v72
	s_cbranch_execz .LBB288_865
; %bb.862:                              ;   in Loop: Header=BB288_16 Depth=1
	v_and_b32_e32 v32, 7, v60
	v_lshrrev_b32_e32 v63, 3, v72
	s_mov_b32 s23, exec_lo
	v_cmpx_gt_u32_e32 8, v72
; %bb.863:                              ;   in Loop: Header=BB288_16 Depth=1
	s_delay_alu instid0(VALU_DEP_3) | instskip(NEXT) | instid1(VALU_DEP_1)
	v_clz_i32_u32_e32 v32, v32
	v_min_u32_e32 v32, 32, v32
	s_delay_alu instid0(VALU_DEP_1) | instskip(NEXT) | instid1(VALU_DEP_1)
	v_subrev_nc_u32_e32 v63, 28, v32
	v_lshlrev_b64_e32 v[141:142], v63, v[7:8]
	v_sub_nc_u32_e32 v63, 29, v32
	s_delay_alu instid0(VALU_DEP_2)
	v_and_b32_e32 v32, 7, v141
; %bb.864:                              ;   in Loop: Header=BB288_16 Depth=1
	s_wait_alu 0xfffe
	s_or_b32 exec_lo, exec_lo, s23
	v_lshlrev_b32_e32 v7, 8, v60
	v_lshl_add_u32 v60, v63, 10, 0x2000
	v_lshlrev_b32_e32 v32, 23, v32
	s_delay_alu instid0(VALU_DEP_2) | instskip(NEXT) | instid1(VALU_DEP_1)
	v_and_or_b32 v7, 0x8000, v7, v60
	v_lshl_or_b32 v32, v7, 16, v32
.LBB288_865:                            ;   in Loop: Header=BB288_16 Depth=1
	s_wait_alu 0xfffe
	s_or_b32 exec_lo, exec_lo, s22
.LBB288_866:                            ;   in Loop: Header=BB288_16 Depth=1
	s_wait_alu 0xfffe
	s_or_b32 exec_lo, exec_lo, s21
.LBB288_867:                            ;   in Loop: Header=BB288_16 Depth=1
	s_wait_alu 0xfffe
	s_or_b32 exec_lo, exec_lo, s20
	v_lshrrev_b32_e32 v7, 16, v28
	s_mov_b32 s20, exec_lo
	s_delay_alu instid0(VALU_DEP_1) | instskip(NEXT) | instid1(VALU_DEP_1)
	v_and_b32_e32 v60, 0xff, v7
	v_cmpx_ne_u16_e32 0, v60
	s_cbranch_execz .LBB288_875
; %bb.868:                              ;   in Loop: Header=BB288_16 Depth=1
	v_mov_b32_e32 v139, 0x8000
	s_mov_b32 s21, exec_lo
	v_cmpx_ne_u16_e32 0x80, v60
	s_cbranch_execz .LBB288_874
; %bb.869:                              ;   in Loop: Header=BB288_16 Depth=1
	v_bfe_u32 v72, v28, 16, 7
	v_mov_b32_e32 v139, 0x7c01
	s_mov_b32 s22, exec_lo
	s_delay_alu instid0(VALU_DEP_2)
	v_cmpx_ne_u32_e32 0x7f, v72
	s_cbranch_execz .LBB288_873
; %bb.870:                              ;   in Loop: Header=BB288_16 Depth=1
	v_and_b32_e32 v60, 7, v7
	v_lshrrev_b32_e32 v63, 3, v72
	s_mov_b32 s23, exec_lo
	v_cmpx_gt_u32_e32 8, v72
; %bb.871:                              ;   in Loop: Header=BB288_16 Depth=1
	s_delay_alu instid0(VALU_DEP_3) | instskip(NEXT) | instid1(VALU_DEP_1)
	v_clz_i32_u32_e32 v60, v60
	v_min_u32_e32 v60, 32, v60
	s_delay_alu instid0(VALU_DEP_1) | instskip(NEXT) | instid1(VALU_DEP_1)
	v_subrev_nc_u32_e32 v63, 28, v60
	v_lshlrev_b64_e32 v[141:142], v63, v[7:8]
	v_sub_nc_u32_e32 v63, 29, v60
	s_delay_alu instid0(VALU_DEP_2)
	v_and_b32_e32 v60, 7, v141
; %bb.872:                              ;   in Loop: Header=BB288_16 Depth=1
	s_wait_alu 0xfffe
	s_or_b32 exec_lo, exec_lo, s23
	v_lshlrev_b32_e32 v7, 8, v7
	v_lshl_add_u32 v63, v63, 10, 0x2000
	v_lshlrev_b32_e32 v60, 7, v60
	s_delay_alu instid0(VALU_DEP_3) | instskip(NEXT) | instid1(VALU_DEP_3)
	v_and_b32_e32 v7, 0x8000, v7
	v_and_b32_e32 v63, 0xfc00, v63
	s_delay_alu instid0(VALU_DEP_1)
	v_or3_b32 v139, v7, v63, v60
.LBB288_873:                            ;   in Loop: Header=BB288_16 Depth=1
	s_wait_alu 0xfffe
	s_or_b32 exec_lo, exec_lo, s22
.LBB288_874:                            ;   in Loop: Header=BB288_16 Depth=1
	s_wait_alu 0xfffe
	s_or_b32 exec_lo, exec_lo, s21
.LBB288_875:                            ;   in Loop: Header=BB288_16 Depth=1
	s_wait_alu 0xfffe
	s_or_b32 exec_lo, exec_lo, s20
	v_dual_mov_b32 v152, 0 :: v_dual_mov_b32 v153, 0
	s_mov_b32 s20, exec_lo
	v_cmpx_lt_u32_e32 0xffffff, v28
	s_cbranch_execz .LBB288_883
; %bb.876:                              ;   in Loop: Header=BB288_16 Depth=1
	v_lshrrev_b32_e32 v7, 24, v28
	v_bfrev_b32_e32 v153, 1
	s_mov_b32 s21, exec_lo
	s_delay_alu instid0(VALU_DEP_2)
	v_cmpx_ne_u32_e32 0x80, v7
	s_cbranch_execz .LBB288_882
; %bb.877:                              ;   in Loop: Header=BB288_16 Depth=1
	v_and_b32_e32 v72, 0x7f, v7
	v_mov_b32_e32 v153, 0x7c010000
	s_mov_b32 s22, exec_lo
	s_delay_alu instid0(VALU_DEP_2)
	v_cmpx_ne_u32_e32 0x7f, v72
	s_cbranch_execz .LBB288_881
; %bb.878:                              ;   in Loop: Header=BB288_16 Depth=1
	v_and_b32_e32 v60, 7, v7
	v_lshrrev_b32_e32 v63, 3, v72
	s_mov_b32 s23, exec_lo
	v_cmpx_gt_u32_e32 8, v72
; %bb.879:                              ;   in Loop: Header=BB288_16 Depth=1
	s_delay_alu instid0(VALU_DEP_3) | instskip(NEXT) | instid1(VALU_DEP_1)
	v_clz_i32_u32_e32 v60, v60
	v_min_u32_e32 v60, 32, v60
	s_delay_alu instid0(VALU_DEP_1) | instskip(NEXT) | instid1(VALU_DEP_1)
	v_subrev_nc_u32_e32 v63, 28, v60
	v_lshlrev_b64_e32 v[141:142], v63, v[7:8]
	v_sub_nc_u32_e32 v63, 29, v60
	s_delay_alu instid0(VALU_DEP_2)
	v_and_b32_e32 v60, 7, v141
; %bb.880:                              ;   in Loop: Header=BB288_16 Depth=1
	s_wait_alu 0xfffe
	s_or_b32 exec_lo, exec_lo, s23
	v_lshlrev_b32_e32 v7, 8, v7
	v_lshl_add_u32 v63, v63, 10, 0x2000
	v_lshlrev_b32_e32 v60, 23, v60
	s_delay_alu instid0(VALU_DEP_2) | instskip(NEXT) | instid1(VALU_DEP_1)
	v_and_or_b32 v7, 0x8000, v7, v63
	v_lshl_or_b32 v153, v7, 16, v60
.LBB288_881:                            ;   in Loop: Header=BB288_16 Depth=1
	s_wait_alu 0xfffe
	s_or_b32 exec_lo, exec_lo, s22
.LBB288_882:                            ;   in Loop: Header=BB288_16 Depth=1
	s_wait_alu 0xfffe
	s_or_b32 exec_lo, exec_lo, s21
.LBB288_883:                            ;   in Loop: Header=BB288_16 Depth=1
	s_wait_alu 0xfffe
	s_or_b32 exec_lo, exec_lo, s20
	v_dual_mov_b32 v7, v29 :: v_dual_and_b32 v60, 0xff, v29
	s_mov_b32 s20, exec_lo
	s_delay_alu instid0(VALU_DEP_1)
	v_cmpx_ne_u16_e32 0, v60
	s_cbranch_execz .LBB288_891
; %bb.884:                              ;   in Loop: Header=BB288_16 Depth=1
	v_mov_b32_e32 v152, 0x8000
	s_mov_b32 s21, exec_lo
	v_cmpx_ne_u16_e32 0x80, v60
	s_cbranch_execz .LBB288_890
; %bb.885:                              ;   in Loop: Header=BB288_16 Depth=1
	v_and_b32_e32 v72, 0x7f, v29
	v_mov_b32_e32 v152, 0x7c01
	s_mov_b32 s22, exec_lo
	s_delay_alu instid0(VALU_DEP_2)
	v_cmpx_ne_u32_e32 0x7f, v72
	s_cbranch_execz .LBB288_889
; %bb.886:                              ;   in Loop: Header=BB288_16 Depth=1
	v_and_b32_e32 v60, 7, v29
	v_lshrrev_b32_e32 v63, 3, v72
	s_mov_b32 s23, exec_lo
	v_cmpx_gt_u32_e32 8, v72
; %bb.887:                              ;   in Loop: Header=BB288_16 Depth=1
	s_delay_alu instid0(VALU_DEP_3) | instskip(NEXT) | instid1(VALU_DEP_1)
	v_clz_i32_u32_e32 v60, v60
	v_min_u32_e32 v60, 32, v60
	s_delay_alu instid0(VALU_DEP_1) | instskip(NEXT) | instid1(VALU_DEP_1)
	v_subrev_nc_u32_e32 v63, 28, v60
	v_lshlrev_b64_e32 v[141:142], v63, v[7:8]
	v_sub_nc_u32_e32 v63, 29, v60
	s_delay_alu instid0(VALU_DEP_2)
	v_and_b32_e32 v60, 7, v141
; %bb.888:                              ;   in Loop: Header=BB288_16 Depth=1
	s_wait_alu 0xfffe
	s_or_b32 exec_lo, exec_lo, s23
	v_lshlrev_b32_e32 v72, 8, v29
	v_lshl_add_u32 v63, v63, 10, 0x2000
	v_lshlrev_b32_e32 v60, 7, v60
	s_delay_alu instid0(VALU_DEP_3) | instskip(NEXT) | instid1(VALU_DEP_3)
	v_and_b32_e32 v72, 0x8000, v72
	v_and_b32_e32 v63, 0xfc00, v63
	s_delay_alu instid0(VALU_DEP_1)
	v_or3_b32 v152, v72, v63, v60
.LBB288_889:                            ;   in Loop: Header=BB288_16 Depth=1
	s_wait_alu 0xfffe
	s_or_b32 exec_lo, exec_lo, s22
.LBB288_890:                            ;   in Loop: Header=BB288_16 Depth=1
	s_wait_alu 0xfffe
	s_or_b32 exec_lo, exec_lo, s21
.LBB288_891:                            ;   in Loop: Header=BB288_16 Depth=1
	s_wait_alu 0xfffe
	s_or_b32 exec_lo, exec_lo, s20
	v_lshrrev_b16 v7, 8, v7
	v_dual_mov_b32 v154, 0 :: v_dual_mov_b32 v155, 0
	s_mov_b32 s20, exec_lo
	s_delay_alu instid0(VALU_DEP_2)
	v_cmpx_ne_u16_e32 0, v7
	s_cbranch_execz .LBB288_899
; %bb.892:                              ;   in Loop: Header=BB288_16 Depth=1
	v_bfrev_b32_e32 v155, 1
	s_mov_b32 s21, exec_lo
	v_cmpx_ne_u16_e32 0x80, v7
	s_cbranch_execz .LBB288_898
; %bb.893:                              ;   in Loop: Header=BB288_16 Depth=1
	v_and_b32_e32 v60, 0xffff, v7
	v_mov_b32_e32 v155, 0x7c010000
	s_mov_b32 s22, exec_lo
	s_delay_alu instid0(VALU_DEP_2) | instskip(NEXT) | instid1(VALU_DEP_1)
	v_and_b32_e32 v141, 0x7f, v60
	v_cmpx_ne_u32_e32 0x7f, v141
	s_cbranch_execz .LBB288_897
; %bb.894:                              ;   in Loop: Header=BB288_16 Depth=1
	v_and_b32_e32 v63, 7, v60
	v_lshrrev_b32_e32 v72, 3, v141
	s_mov_b32 s23, exec_lo
	v_cmpx_gt_u32_e32 8, v141
; %bb.895:                              ;   in Loop: Header=BB288_16 Depth=1
	s_delay_alu instid0(VALU_DEP_3) | instskip(NEXT) | instid1(VALU_DEP_1)
	v_clz_i32_u32_e32 v63, v63
	v_min_u32_e32 v63, 32, v63
	s_delay_alu instid0(VALU_DEP_1) | instskip(NEXT) | instid1(VALU_DEP_1)
	v_subrev_nc_u32_e32 v72, 28, v63
	v_lshlrev_b64_e32 v[141:142], v72, v[7:8]
	v_sub_nc_u32_e32 v72, 29, v63
	s_delay_alu instid0(VALU_DEP_2)
	v_and_b32_e32 v63, 7, v141
; %bb.896:                              ;   in Loop: Header=BB288_16 Depth=1
	s_wait_alu 0xfffe
	s_or_b32 exec_lo, exec_lo, s23
	v_lshlrev_b32_e32 v7, 8, v60
	v_lshl_add_u32 v60, v72, 10, 0x2000
	s_delay_alu instid0(VALU_DEP_1) | instskip(SKIP_1) | instid1(VALU_DEP_1)
	v_and_or_b32 v7, 0x8000, v7, v60
	v_lshlrev_b32_e32 v60, 23, v63
	v_lshl_or_b32 v155, v7, 16, v60
.LBB288_897:                            ;   in Loop: Header=BB288_16 Depth=1
	s_wait_alu 0xfffe
	s_or_b32 exec_lo, exec_lo, s22
.LBB288_898:                            ;   in Loop: Header=BB288_16 Depth=1
	s_wait_alu 0xfffe
	s_or_b32 exec_lo, exec_lo, s21
.LBB288_899:                            ;   in Loop: Header=BB288_16 Depth=1
	s_wait_alu 0xfffe
	s_or_b32 exec_lo, exec_lo, s20
	v_lshrrev_b32_e32 v7, 16, v29
	s_mov_b32 s20, exec_lo
	s_delay_alu instid0(VALU_DEP_1) | instskip(NEXT) | instid1(VALU_DEP_1)
	v_and_b32_e32 v60, 0xff, v7
	v_cmpx_ne_u16_e32 0, v60
	s_cbranch_execz .LBB288_907
; %bb.900:                              ;   in Loop: Header=BB288_16 Depth=1
	v_mov_b32_e32 v154, 0x8000
	s_mov_b32 s21, exec_lo
	v_cmpx_ne_u16_e32 0x80, v60
	s_cbranch_execz .LBB288_906
; %bb.901:                              ;   in Loop: Header=BB288_16 Depth=1
	v_bfe_u32 v72, v29, 16, 7
	v_mov_b32_e32 v154, 0x7c01
	s_mov_b32 s22, exec_lo
	s_delay_alu instid0(VALU_DEP_2)
	v_cmpx_ne_u32_e32 0x7f, v72
	s_cbranch_execz .LBB288_905
; %bb.902:                              ;   in Loop: Header=BB288_16 Depth=1
	v_and_b32_e32 v60, 7, v7
	v_lshrrev_b32_e32 v63, 3, v72
	s_mov_b32 s23, exec_lo
	v_cmpx_gt_u32_e32 8, v72
; %bb.903:                              ;   in Loop: Header=BB288_16 Depth=1
	s_delay_alu instid0(VALU_DEP_3) | instskip(NEXT) | instid1(VALU_DEP_1)
	v_clz_i32_u32_e32 v60, v60
	v_min_u32_e32 v60, 32, v60
	s_delay_alu instid0(VALU_DEP_1) | instskip(NEXT) | instid1(VALU_DEP_1)
	v_subrev_nc_u32_e32 v63, 28, v60
	v_lshlrev_b64_e32 v[141:142], v63, v[7:8]
	v_sub_nc_u32_e32 v63, 29, v60
	s_delay_alu instid0(VALU_DEP_2)
	v_and_b32_e32 v60, 7, v141
; %bb.904:                              ;   in Loop: Header=BB288_16 Depth=1
	s_wait_alu 0xfffe
	s_or_b32 exec_lo, exec_lo, s23
	v_lshlrev_b32_e32 v7, 8, v7
	v_lshl_add_u32 v63, v63, 10, 0x2000
	v_lshlrev_b32_e32 v60, 7, v60
	s_delay_alu instid0(VALU_DEP_3) | instskip(NEXT) | instid1(VALU_DEP_3)
	v_and_b32_e32 v7, 0x8000, v7
	v_and_b32_e32 v63, 0xfc00, v63
	s_delay_alu instid0(VALU_DEP_1)
	v_or3_b32 v154, v7, v63, v60
.LBB288_905:                            ;   in Loop: Header=BB288_16 Depth=1
	s_wait_alu 0xfffe
	s_or_b32 exec_lo, exec_lo, s22
.LBB288_906:                            ;   in Loop: Header=BB288_16 Depth=1
	s_wait_alu 0xfffe
	s_or_b32 exec_lo, exec_lo, s21
.LBB288_907:                            ;   in Loop: Header=BB288_16 Depth=1
	s_wait_alu 0xfffe
	s_or_b32 exec_lo, exec_lo, s20
	v_cmp_lt_u64_e64 s1, s[10:11], v[28:29]
	v_mov_b32_e32 v28, 0
	s_and_saveexec_b32 s20, s1
	s_cbranch_execz .LBB288_14
; %bb.908:                              ;   in Loop: Header=BB288_16 Depth=1
	v_lshrrev_b32_e32 v7, 24, v29
	v_bfrev_b32_e32 v28, 1
	s_mov_b32 s21, exec_lo
	s_delay_alu instid0(VALU_DEP_2)
	v_cmpx_ne_u32_e32 0x80, v7
	s_cbranch_execz .LBB288_13
; %bb.909:                              ;   in Loop: Header=BB288_16 Depth=1
	v_and_b32_e32 v60, 0x7f, v7
	v_mov_b32_e32 v28, 0x7c010000
	s_mov_b32 s22, exec_lo
	s_delay_alu instid0(VALU_DEP_2)
	v_cmpx_ne_u32_e32 0x7f, v60
	s_cbranch_execz .LBB288_12
; %bb.910:                              ;   in Loop: Header=BB288_16 Depth=1
	v_and_b32_e32 v28, 7, v7
	v_lshrrev_b32_e32 v29, 3, v60
	s_mov_b32 s23, exec_lo
	v_cmpx_gt_u32_e32 8, v60
	s_cbranch_execz .LBB288_11
; %bb.911:                              ;   in Loop: Header=BB288_16 Depth=1
	v_clz_i32_u32_e32 v28, v28
	s_delay_alu instid0(VALU_DEP_1) | instskip(NEXT) | instid1(VALU_DEP_1)
	v_min_u32_e32 v60, 32, v28
	v_subrev_nc_u32_e32 v28, 28, v60
	s_delay_alu instid0(VALU_DEP_1) | instskip(SKIP_1) | instid1(VALU_DEP_2)
	v_lshlrev_b64_e32 v[28:29], v28, v[7:8]
	v_sub_nc_u32_e32 v29, 29, v60
	v_and_b32_e32 v28, 7, v28
	s_branch .LBB288_11
.LBB288_912:
	s_or_b32 exec_lo, exec_lo, s19
.LBB288_913:
	s_wait_alu 0xfffe
	s_or_b32 exec_lo, exec_lo, s18
	v_mbcnt_lo_u32_b32 v7, -1, 0
	v_max_num_f32_e32 v18, v65, v65
	s_delay_alu instid0(VALU_DEP_2) | instskip(SKIP_2) | instid1(VALU_DEP_3)
	v_xor_b32_e32 v8, 16, v7
	v_xor_b32_e32 v13, 8, v7
	;; [unrolled: 1-line block ×3, first 2 shown]
	v_cmp_gt_i32_e32 vcc_lo, 32, v8
	s_wait_alu 0xfffd
	v_cndmask_b32_e32 v8, v7, v8, vcc_lo
	v_cmp_gt_i32_e32 vcc_lo, 32, v13
	s_wait_alu 0xfffd
	v_cndmask_b32_e32 v13, v7, v13, vcc_lo
	s_delay_alu instid0(VALU_DEP_1) | instskip(SKIP_4) | instid1(VALU_DEP_1)
	v_lshlrev_b32_e32 v19, 2, v13
	v_lshlrev_b32_e32 v9, 2, v8
	ds_bpermute_b32 v8, v9, v65
	s_wait_dscnt 0x0
	v_max_num_f32_e32 v8, v8, v8
	v_max_num_f32_e32 v8, v18, v8
	v_xor_b32_e32 v18, 4, v7
	ds_bpermute_b32 v13, v19, v8
	v_cmp_gt_i32_e32 vcc_lo, 32, v18
	s_wait_alu 0xfffd
	v_cndmask_b32_e32 v18, v7, v18, vcc_lo
	s_delay_alu instid0(VALU_DEP_1) | instskip(SKIP_1) | instid1(VALU_DEP_1)
	v_lshlrev_b32_e32 v20, 2, v18
	v_xor_b32_e32 v18, 2, v7
	v_cmp_gt_i32_e32 vcc_lo, 32, v18
	s_wait_dscnt 0x0
	v_max_num_f32_e32 v13, v13, v13
	s_delay_alu instid0(VALU_DEP_1) | instskip(SKIP_3) | instid1(VALU_DEP_1)
	v_max_num_f32_e32 v8, v8, v13
	ds_bpermute_b32 v13, v20, v8
	s_wait_dscnt 0x0
	v_max_num_f32_e32 v13, v13, v13
	v_max_num_f32_e32 v8, v8, v13
	s_wait_alu 0xfffd
	v_cndmask_b32_e32 v18, v7, v18, vcc_lo
	v_cmp_gt_i32_e32 vcc_lo, 32, v21
	s_wait_alu 0xfffd
	s_delay_alu instid0(VALU_DEP_2) | instskip(SKIP_4) | instid1(VALU_DEP_1)
	v_dual_cndmask_b32 v21, v7, v21 :: v_dual_lshlrev_b32 v18, 2, v18
	v_cmp_eq_u32_e32 vcc_lo, 0, v36
	ds_bpermute_b32 v13, v18, v8
	s_wait_dscnt 0x0
	v_max_num_f32_e32 v13, v13, v13
	v_max_num_f32_e32 v7, v8, v13
	v_lshlrev_b32_e32 v13, 2, v21
	v_lshlrev_b32_e32 v21, 2, v35
	ds_bpermute_b32 v8, v13, v7
	s_and_saveexec_b32 s1, vcc_lo
	s_cbranch_execz .LBB288_915
; %bb.914:
	s_wait_dscnt 0x0
	v_dual_max_num_f32 v8, v8, v8 :: v_dual_max_num_f32 v7, v7, v7
	s_delay_alu instid0(VALU_DEP_1)
	v_max_num_f32_e32 v7, v7, v8
	ds_store_b32 v21, v7 offset:224
.LBB288_915:
	s_wait_alu 0xfffe
	s_or_b32 exec_lo, exec_lo, s1
	v_cmp_gt_u32_e64 s1, 4, v36
	v_mov_b32_e32 v7, 0xff7fffff
	s_wait_loadcnt_dscnt 0x0
	s_barrier_signal -1
	s_barrier_wait -1
	global_inv scope:SCOPE_SE
	s_and_saveexec_b32 s2, s1
; %bb.916:
	ds_load_b32 v7, v64 offset:224
; %bb.917:
	s_wait_alu 0xfffe
	s_or_b32 exec_lo, exec_lo, s2
	s_wait_dscnt 0x0
	ds_bpermute_b32 v8, v18, v7
	v_max_num_f32_e32 v7, v7, v7
	v_subrev_nc_u32_e32 v25, s17, v49
	v_mov_b32_e32 v24, 0
	s_wait_dscnt 0x0
	v_max_num_f32_e32 v8, v8, v8
	s_delay_alu instid0(VALU_DEP_1) | instskip(SKIP_3) | instid1(VALU_DEP_1)
	v_max_num_f32_e32 v7, v7, v8
	ds_bpermute_b32 v8, v13, v7
	s_wait_dscnt 0x0
	v_max_num_f32_e32 v8, v8, v8
	v_max_num_f32_e32 v7, v7, v8
	v_lshl_add_u32 v8, v25, 5, s3
	ds_bpermute_b32 v7, v24, v7
	v_min_i32_e32 v8, v8, v34
	s_delay_alu instid0(VALU_DEP_1) | instskip(NEXT) | instid1(VALU_DEP_1)
	v_subrev_nc_u32_e32 v8, s3, v8
	v_cmp_lt_i32_e64 s2, v33, v8
	s_and_saveexec_b32 s8, s2
	s_cbranch_execz .LBB288_921
; %bb.918:
	s_getpc_b64 s[10:11]
	s_wait_alu 0xfffe
	s_sext_i32_i16 s11, s11
	s_add_co_u32 s10, s10, llvm.amdgcn.dynlds.offset.table@rel32@lo+12
	s_wait_alu 0xfffe
	s_add_co_ci_u32 s11, s11, llvm.amdgcn.dynlds.offset.table@rel32@hi+24
	s_wait_kmcnt 0x0
	s_ashr_i32 s7, s6, 31
	v_mov_b32_e32 v24, 0
	s_wait_alu 0xfffe
	s_lshl_b64 s[18:19], s[6:7], 2
	v_mov_b32_e32 v28, v33
	s_wait_alu 0xfffe
	s_add_nc_u64 s[10:11], s[10:11], s[18:19]
	s_mov_b32 s7, 0
	s_load_b32 s3, s[10:11], 0x0
	s_wait_kmcnt 0x0
	v_lshl_add_u32 v25, v33, 2, s3
.LBB288_919:                            ; =>This Inner Loop Header: Depth=1
	ds_load_b32 v29, v25
	v_add_nc_u32_e32 v28, 0x80, v28
	s_delay_alu instid0(VALU_DEP_1) | instskip(SKIP_3) | instid1(VALU_DEP_1)
	v_cmp_ge_i32_e64 s3, v28, v8
	s_or_b32 s7, s3, s7
	s_wait_dscnt 0x0
	v_sub_f32_e32 v29, v29, v7
	v_mul_f32_e32 v29, 0x3fb8aa3b, v29
	s_delay_alu instid0(VALU_DEP_1)
	v_exp_f32_e32 v29, v29
	ds_store_b32 v25, v29
	v_add_f32_e32 v24, v24, v29
	v_add_nc_u32_e32 v25, 0x200, v25
	s_wait_alu 0xfffe
	s_and_not1_b32 exec_lo, exec_lo, s7
	s_cbranch_execnz .LBB288_919
; %bb.920:
	s_or_b32 exec_lo, exec_lo, s7
.LBB288_921:
	s_wait_alu 0xfffe
	s_or_b32 exec_lo, exec_lo, s8
	ds_bpermute_b32 v9, v9, v24
	s_wait_dscnt 0x0
	v_add_f32_e32 v9, v24, v9
	ds_bpermute_b32 v19, v19, v9
	s_wait_dscnt 0x0
	v_add_f32_e32 v9, v9, v19
	;; [unrolled: 3-line block ×5, first 2 shown]
	s_and_saveexec_b32 s3, vcc_lo
; %bb.922:
	ds_store_b32 v21, v9 offset:240
; %bb.923:
	s_wait_alu 0xfffe
	s_or_b32 exec_lo, exec_lo, s3
	s_wait_loadcnt_dscnt 0x0
	s_barrier_signal -1
	s_barrier_wait -1
	global_inv scope:SCOPE_SE
	s_and_saveexec_b32 s3, s1
; %bb.924:
	ds_load_b32 v9, v64 offset:240
; %bb.925:
	s_wait_alu 0xfffe
	s_or_b32 exec_lo, exec_lo, s3
	s_wait_dscnt 0x0
	ds_bpermute_b32 v19, v18, v9
	s_wait_dscnt 0x0
	v_add_f32_e32 v9, v9, v19
	ds_bpermute_b32 v19, v13, v9
	s_wait_dscnt 0x0
	v_add_f32_e32 v9, v9, v19
	v_mov_b32_e32 v19, 0
	ds_bpermute_b32 v9, v19, v9
	s_and_saveexec_b32 s1, s2
	s_cbranch_execz .LBB288_928
; %bb.926:
	s_wait_dscnt 0x0
	v_add_f32_e32 v20, 0x358637bd, v9
	s_wait_kmcnt 0x0
	s_ashr_i32 s7, s6, 31
	s_getpc_b64 s[2:3]
	s_wait_alu 0xfffe
	s_sext_i32_i16 s3, s3
	s_add_co_u32 s2, s2, llvm.amdgcn.dynlds.offset.table@rel32@lo+12
	s_wait_alu 0xfffe
	s_add_co_ci_u32 s3, s3, llvm.amdgcn.dynlds.offset.table@rel32@hi+24
	s_lshl_b64 s[8:9], s[6:7], 2
	s_wait_alu 0xfffe
	s_add_nc_u64 s[2:3], s[2:3], s[8:9]
	v_div_scale_f32 v19, null, v20, v20, 1.0
	v_div_scale_f32 v25, vcc_lo, 1.0, v20, 1.0
	s_load_b32 s2, s[2:3], 0x0
	v_rcp_f32_e32 v21, v19
	s_delay_alu instid0(TRANS32_DEP_1) | instskip(NEXT) | instid1(VALU_DEP_1)
	v_fma_f32 v24, -v19, v21, 1.0
	v_fmac_f32_e32 v21, v24, v21
	s_delay_alu instid0(VALU_DEP_1) | instskip(NEXT) | instid1(VALU_DEP_1)
	v_mul_f32_e32 v24, v25, v21
	v_fma_f32 v28, -v19, v24, v25
	s_delay_alu instid0(VALU_DEP_1) | instskip(NEXT) | instid1(VALU_DEP_1)
	v_fmac_f32_e32 v24, v28, v21
	v_fma_f32 v19, -v19, v24, v25
	s_delay_alu instid0(VALU_DEP_1) | instskip(SKIP_3) | instid1(VALU_DEP_2)
	v_div_fmas_f32 v21, v19, v21, v24
	s_wait_kmcnt 0x0
	v_lshl_add_u32 v19, v33, 2, s2
	s_mov_b32 s2, 0
	v_div_fixup_f32 v20, v21, v20, 1.0
	v_mov_b32_e32 v21, v33
.LBB288_927:                            ; =>This Inner Loop Header: Depth=1
	ds_load_b32 v24, v19
	s_wait_dscnt 0x0
	v_dual_mul_f32 v24, v20, v24 :: v_dual_add_nc_u32 v21, 0x80, v21
	s_delay_alu instid0(VALU_DEP_1)
	v_cmp_ge_i32_e32 vcc_lo, v21, v8
	ds_store_b32 v19, v24
	v_add_nc_u32_e32 v19, 0x200, v19
	s_wait_alu 0xfffe
	s_or_b32 s2, vcc_lo, s2
	s_wait_alu 0xfffe
	s_and_not1_b32 exec_lo, exec_lo, s2
	s_cbranch_execnz .LBB288_927
.LBB288_928:
	s_wait_alu 0xfffe
	s_or_b32 exec_lo, exec_lo, s1
	s_and_b32 s1, 0xffff, s16
	s_wait_loadcnt_dscnt 0x0
	s_wait_alu 0xfffe
	s_cmp_lg_u32 s1, 0
	s_barrier_signal -1
	s_cselect_b32 s1, -1, 0
	s_barrier_wait -1
	s_wait_alu 0xfffe
	s_cmp_lg_u32 s1, 0
	global_inv scope:SCOPE_SE
	s_wait_kmcnt 0x0
	s_add_co_ci_u32 s1, s5, 0
	s_mov_b32 s5, exec_lo
	s_wait_alu 0xfffe
	s_mul_i32 s2, s1, s14
	s_wait_alu 0xfffe
	s_mul_i32 s2, s2, s15
	v_cmpx_eq_u32_e32 0, v33
	s_cbranch_execz .LBB288_930
; %bb.929:
	s_wait_alu 0xfffe
	s_ashr_i32 s3, s2, 31
	s_mul_i32 s8, s1, ttmp9
	s_wait_alu 0xfffe
	s_lshl_b64 s[10:11], s[2:3], 2
	s_ashr_i32 s9, s8, 31
	s_wait_alu 0xfffe
	v_add_co_u32 v2, vcc_lo, v2, s10
	s_wait_alu 0xfffd
	v_add_co_ci_u32_e64 v3, null, s11, v3, vcc_lo
	s_lshl_b64 s[8:9], s[8:9], 2
	s_lshl_b32 s3, s13, 2
	s_wait_alu 0xfffe
	v_add_co_u32 v2, vcc_lo, v2, s8
	s_wait_alu 0xfffd
	v_add_co_ci_u32_e64 v3, null, s9, v3, vcc_lo
	v_add_co_u32 v0, vcc_lo, v0, s10
	s_wait_alu 0xfffd
	v_add_co_ci_u32_e64 v1, null, s11, v1, vcc_lo
	s_delay_alu instid0(VALU_DEP_2) | instskip(SKIP_1) | instid1(VALU_DEP_2)
	v_add_co_u32 v8, vcc_lo, v0, s8
	s_wait_alu 0xfffd
	v_add_co_ci_u32_e64 v19, null, s9, v1, vcc_lo
	v_add_co_u32 v0, vcc_lo, v2, s3
	s_wait_alu 0xfffd
	v_add_co_ci_u32_e64 v1, null, 0, v3, vcc_lo
	;; [unrolled: 3-line block ×3, first 2 shown]
	flat_store_b32 v[0:1], v7
	flat_store_b32 v[2:3], v9
.LBB288_930:
	s_or_b32 exec_lo, exec_lo, s5
	s_ashr_i32 s7, s6, 31
	s_getpc_b64 s[8:9]
	s_wait_alu 0xfffe
	s_sext_i32_i16 s9, s9
	s_add_co_u32 s8, s8, llvm.amdgcn.dynlds.offset.table@rel32@lo+12
	s_wait_alu 0xfffe
	s_add_co_ci_u32 s9, s9, llvm.amdgcn.dynlds.offset.table@rel32@hi+24
	v_dual_mov_b32 v68, 0 :: v_dual_and_b32 v19, 3, v33
	v_dual_mov_b32 v67, 0 :: v_dual_mov_b32 v66, 0
	v_dual_mov_b32 v65, 0 :: v_dual_mov_b32 v64, 0
	v_dual_mov_b32 v55, 0 :: v_dual_mov_b32 v32, 0
	v_dual_mov_b32 v31, 0 :: v_dual_mov_b32 v28, 0
	v_dual_mov_b32 v29, 0 :: v_dual_mov_b32 v24, 0
	v_dual_mov_b32 v25, 0 :: v_dual_mov_b32 v20, 0
	v_mov_b32_e32 v21, 0
	s_lshl_b64 s[6:7], s[6:7], 2
	s_wait_alu 0xfffe
	s_add_nc_u64 s[6:7], s[8:9], s[6:7]
	s_and_saveexec_b32 s3, s0
	s_cbranch_execz .LBB288_1860
; %bb.931:
	v_max_i32_e32 v30, v30, v53
	v_add_co_u32 v7, vcc_lo, v10, v51
	s_wait_alu 0xfffd
	v_add_co_ci_u32_e64 v8, null, v11, v54, vcc_lo
	s_delay_alu instid0(VALU_DEP_3) | instskip(SKIP_3) | instid1(VALU_DEP_3)
	v_cvt_f32_u32_e32 v0, v30
	v_sub_nc_u32_e32 v11, 0, v30
	s_load_b32 s0, s[6:7], 0x0
	v_dual_mov_b32 v1, 0 :: v_dual_lshlrev_b32 v2, 3, v33
	v_rcp_iflag_f32_e32 v0, v0
	v_add_co_u32 v3, vcc_lo, v16, v12
	s_wait_alu 0xfffd
	v_add_co_ci_u32_e64 v9, null, 0, v17, vcc_lo
	v_dual_mov_b32 v21, 0 :: v_dual_lshlrev_b32 v10, 5, v19
	v_and_b32_e32 v16, 24, v2
	v_and_b32_e32 v12, 0xf8, v2
	v_add_co_u32 v2, vcc_lo, v14, v3
	s_delay_alu instid0(TRANS32_DEP_1) | instskip(SKIP_3) | instid1(VALU_DEP_3)
	v_dual_mul_f32 v0, 0x4f7ffffe, v0 :: v_dual_mov_b32 v25, 0
	s_wait_alu 0xfffd
	v_add_co_ci_u32_e64 v3, null, v15, v9, vcc_lo
	v_lshl_or_b32 v9, v35, 7, v10
	v_cvt_u32_f32_e32 v0, v0
	v_add_co_u32 v7, vcc_lo, v7, v12
	v_dual_mov_b32 v20, 0 :: v_dual_add_nc_u32 v51, -1, v52
	s_delay_alu instid0(VALU_DEP_3)
	v_mul_lo_u32 v11, v11, v0
	v_dual_mov_b32 v24, 0 :: v_dual_mov_b32 v29, 0
	v_dual_mov_b32 v28, 0 :: v_dual_mov_b32 v31, 0
	v_dual_mov_b32 v32, 0 :: v_dual_mov_b32 v55, 0
	v_dual_mov_b32 v64, 0 :: v_dual_mov_b32 v65, 0
	v_mul_hi_u32 v11, v0, v11
	v_dual_mov_b32 v66, 0 :: v_dual_mov_b32 v67, 0
	s_wait_alu 0xfffd
	v_add_co_ci_u32_e64 v8, null, 0, v8, vcc_lo
	s_wait_kmcnt 0x0
	v_add_nc_u32_e32 v14, s0, v9
	v_mov_b32_e32 v68, 0
	s_mov_b32 s8, -1
	v_add_nc_u32_e32 v15, v0, v11
	s_mov_b32 s9, 0xffffff
	s_mov_b32 s5, 0
	s_branch .LBB288_934
.LBB288_932:                            ;   in Loop: Header=BB288_934 Depth=1
	s_wait_alu 0xfffe
	s_or_b32 exec_lo, exec_lo, s0
	v_dual_add_f32 v17, v129, v130 :: v_dual_add_f32 v80, v119, v128
	v_add_f32_e32 v81, v101, v102
	s_delay_alu instid0(VALU_DEP_2) | instskip(SKIP_1) | instid1(VALU_DEP_3)
	v_dual_add_f32 v25, v25, v17 :: v_dual_add_f32 v28, v28, v80
	v_dual_add_f32 v17, v113, v114 :: v_dual_add_f32 v80, v103, v112
	;; [unrolled: 1-line block ×3, first 2 shown]
	s_delay_alu instid0(VALU_DEP_2) | instskip(NEXT) | instid1(VALU_DEP_2)
	v_add_f32_e32 v32, v32, v17
	v_dual_add_f32 v12, v131, v132 :: v_dual_add_f32 v21, v21, v11
	v_add_f32_e32 v11, v117, v118
	v_add_f32_e32 v55, v55, v80
	s_delay_alu instid0(VALU_DEP_3) | instskip(NEXT) | instid1(VALU_DEP_3)
	v_add_f32_e32 v24, v24, v12
	v_dual_add_f32 v12, v115, v116 :: v_dual_add_f32 v29, v29, v11
	s_delay_alu instid0(VALU_DEP_1)
	v_add_f32_e32 v31, v31, v12
	;;#ASMSTART
	v_pk_mul_f16 v12, v71, v133;

	;;#ASMEND
	;;#ASMSTART
	v_pk_mul_f16 v10, v70, v10;

	;;#ASMEND
	;; [unrolled: 4-line block ×4, first 2 shown]
	;;#ASMSTART
	v_pk_add_f16 v10, v12, v10;

	;;#ASMEND
	;;#ASMSTART
	v_pk_add_f16 v9, v10, v9;

	;;#ASMEND
	;; [unrolled: 4-line block ×3, first 2 shown]
	v_and_b32_e32 v12, 0xffff, v0
	v_lshrrev_b32_e32 v17, 16, v0
	;;#ASMSTART
	v_cvt_f32_f16 v12, v12;
	;;#ASMEND
	v_add_f32_e32 v0, v97, v98
	v_dual_add_f32 v10, v52, v53 :: v_dual_add_f32 v9, v87, v96
	;;#ASMSTART
	v_cvt_f32_f16 v17, v17;
	;;#ASMEND
	v_dual_add_f32 v11, v99, v100 :: v_dual_add_f32 v12, v12, v17
	s_delay_alu instid0(VALU_DEP_2) | instskip(NEXT) | instid1(VALU_DEP_3)
	v_add_f32_e32 v68, v68, v10
	v_dual_add_f32 v66, v66, v0 :: v_dual_add_f32 v67, v67, v9
	s_delay_alu instid0(VALU_DEP_3)
	v_dual_add_f32 v65, v65, v11 :: v_dual_add_f32 v20, v20, v12
.LBB288_933:                            ;   in Loop: Header=BB288_934 Depth=1
	s_wait_alu 0xfffe
	s_or_b32 exec_lo, exec_lo, s10
	v_add_nc_u32_e32 v23, 4, v23
	v_add_co_u32 v2, s0, v2, 16
	s_wait_alu 0xf1ff
	v_add_co_ci_u32_e64 v3, null, 0, v3, s0
	s_delay_alu instid0(VALU_DEP_3)
	v_cmp_ge_i32_e32 vcc_lo, v23, v49
	v_add_nc_u32_e32 v48, 0x80, v48
	v_add_nc_u32_e32 v14, 0x200, v14
	s_or_b32 s5, vcc_lo, s5
	s_wait_alu 0xfffe
	s_and_not1_b32 exec_lo, exec_lo, s5
	s_cbranch_execz .LBB288_1859
.LBB288_934:                            ; =>This Inner Loop Header: Depth=1
	v_sub_nc_u32_e32 v0, 0, v48
	s_delay_alu instid0(VALU_DEP_1) | instskip(NEXT) | instid1(VALU_DEP_1)
	v_max_i32_e32 v0, v48, v0
	v_mul_hi_u32 v9, v0, v38
	s_delay_alu instid0(VALU_DEP_1) | instskip(NEXT) | instid1(VALU_DEP_1)
	v_mul_lo_u32 v10, v9, v37
	v_sub_nc_u32_e32 v0, v0, v10
	v_add_nc_u32_e32 v10, 1, v9
	s_delay_alu instid0(VALU_DEP_2) | instskip(SKIP_2) | instid1(VALU_DEP_2)
	v_sub_nc_u32_e32 v11, v0, v37
	v_cmp_ge_u32_e32 vcc_lo, v0, v37
	s_wait_alu 0xfffd
	v_dual_cndmask_b32 v9, v9, v10 :: v_dual_cndmask_b32 v0, v0, v11
	v_ashrrev_i32_e32 v10, 31, v48
	s_delay_alu instid0(VALU_DEP_2) | instskip(NEXT) | instid1(VALU_DEP_3)
	v_add_nc_u32_e32 v11, 1, v9
	v_cmp_ge_u32_e32 vcc_lo, v0, v37
	s_delay_alu instid0(VALU_DEP_3) | instskip(SKIP_1) | instid1(VALU_DEP_3)
	v_xor_b32_e32 v10, v10, v39
	s_wait_alu 0xfffd
	v_cndmask_b32_e32 v0, v9, v11, vcc_lo
	s_delay_alu instid0(VALU_DEP_1) | instskip(NEXT) | instid1(VALU_DEP_1)
	v_xor_b32_e32 v0, v0, v10
	v_sub_nc_u32_e32 v0, v0, v10
	s_delay_alu instid0(VALU_DEP_1) | instskip(SKIP_1) | instid1(VALU_DEP_2)
	v_add_nc_u32_e32 v9, v0, v6
	v_cmp_gt_i32_e64 s0, v0, v50
	v_sub_nc_u32_e32 v10, 0, v9
	s_delay_alu instid0(VALU_DEP_1) | instskip(NEXT) | instid1(VALU_DEP_1)
	v_max_i32_e32 v10, v9, v10
	v_mul_hi_u32 v11, v10, v15
	s_delay_alu instid0(VALU_DEP_1) | instskip(NEXT) | instid1(VALU_DEP_1)
	v_mul_lo_u32 v11, v11, v30
	v_sub_nc_u32_e32 v10, v10, v11
	s_delay_alu instid0(VALU_DEP_1) | instskip(SKIP_2) | instid1(VALU_DEP_2)
	v_sub_nc_u32_e32 v11, v10, v30
	v_cmp_ge_u32_e32 vcc_lo, v10, v30
	s_wait_alu 0xfffd
	v_cndmask_b32_e32 v10, v10, v11, vcc_lo
	v_ashrrev_i32_e32 v9, 31, v9
	s_delay_alu instid0(VALU_DEP_2) | instskip(SKIP_2) | instid1(VALU_DEP_2)
	v_sub_nc_u32_e32 v11, v10, v30
	v_cmp_ge_u32_e32 vcc_lo, v10, v30
	s_wait_alu 0xfffd
	v_cndmask_b32_e32 v10, v10, v11, vcc_lo
	s_delay_alu instid0(VALU_DEP_1) | instskip(NEXT) | instid1(VALU_DEP_1)
	v_xor_b32_e32 v10, v10, v9
	v_sub_nc_u32_e32 v9, v10, v9
	s_delay_alu instid0(VALU_DEP_1)
	v_cmp_eq_u32_e32 vcc_lo, 0, v9
	s_or_b32 s0, vcc_lo, s0
	s_wait_alu 0xfffe
	s_and_saveexec_b32 s10, s0
	s_cbranch_execz .LBB288_933
; %bb.935:                              ;   in Loop: Header=BB288_934 Depth=1
	flat_load_b32 v0, v[2:3]
	ds_load_2addr_b64 v[80:83], v14 offset1:1
	ds_load_2addr_b64 v[84:87], v14 offset0:2 offset1:3
	s_mov_b32 s0, exec_lo
	s_wait_dscnt 0x1
	;;#ASMSTART
	v_cvt_f16_f32 v52, v80;

	;;#ASMEND
	;;#ASMSTART
	v_cvt_f16_f32 v53, v81;

	;;#ASMEND
	;; [unrolled: 4-line block ×4, first 2 shown]
	s_wait_dscnt 0x0
	;;#ASMSTART
	v_cvt_f16_f32 v71, v84;

	;;#ASMEND
	;;#ASMSTART
	v_cvt_f16_f32 v69, v85;

	;;#ASMEND
	;; [unrolled: 4-line block ×4, first 2 shown]
	v_dual_mov_b32 v82, 0 :: v_dual_mov_b32 v81, 0
	s_wait_loadcnt 0x0
	v_mad_co_i64_i32 v[9:10], null, v0, v22, v[7:8]
	flat_load_b64 v[11:12], v[9:10]
	flat_load_b32 v80, v[26:27]
	s_wait_loadcnt_dscnt 0x101
	v_and_b32_e32 v0, 0xff, v11
	s_delay_alu instid0(VALU_DEP_1)
	v_cmpx_ne_u16_e32 0, v0
	s_cbranch_execz .LBB288_943
; %bb.936:                              ;   in Loop: Header=BB288_934 Depth=1
	v_mov_b32_e32 v82, 0x8000
	s_mov_b32 s11, exec_lo
	v_cmpx_ne_u16_e32 0x80, v0
	s_cbranch_execz .LBB288_942
; %bb.937:                              ;   in Loop: Header=BB288_934 Depth=1
	v_and_b32_e32 v83, 0x7f, v11
	v_mov_b32_e32 v82, 0x7c01
	s_mov_b32 s14, exec_lo
	s_delay_alu instid0(VALU_DEP_2)
	v_cmpx_ne_u32_e32 0x7f, v83
	s_cbranch_execz .LBB288_941
; %bb.938:                              ;   in Loop: Header=BB288_934 Depth=1
	v_and_b32_e32 v0, 7, v11
	v_lshrrev_b32_e32 v17, 3, v83
	s_mov_b32 s15, exec_lo
	v_cmpx_gt_u32_e32 8, v83
; %bb.939:                              ;   in Loop: Header=BB288_934 Depth=1
	s_delay_alu instid0(VALU_DEP_3) | instskip(NEXT) | instid1(VALU_DEP_1)
	v_clz_i32_u32_e32 v0, v0
	v_min_u32_e32 v0, 32, v0
	s_delay_alu instid0(VALU_DEP_1) | instskip(NEXT) | instid1(VALU_DEP_1)
	v_subrev_nc_u32_e32 v17, 28, v0
	v_lshlrev_b64_e32 v[82:83], v17, v[11:12]
	v_sub_nc_u32_e32 v17, 29, v0
	s_delay_alu instid0(VALU_DEP_2)
	v_and_b32_e32 v0, 7, v82
; %bb.940:                              ;   in Loop: Header=BB288_934 Depth=1
	s_wait_alu 0xfffe
	s_or_b32 exec_lo, exec_lo, s15
	v_lshlrev_b32_e32 v82, 8, v11
	v_lshl_add_u32 v17, v17, 10, 0x2000
	v_lshlrev_b32_e32 v0, 7, v0
	s_delay_alu instid0(VALU_DEP_3) | instskip(NEXT) | instid1(VALU_DEP_3)
	v_and_b32_e32 v82, 0x8000, v82
	v_and_b32_e32 v17, 0xfc00, v17
	s_delay_alu instid0(VALU_DEP_1)
	v_or3_b32 v82, v82, v17, v0
.LBB288_941:                            ;   in Loop: Header=BB288_934 Depth=1
	s_wait_alu 0xfffe
	s_or_b32 exec_lo, exec_lo, s14
.LBB288_942:                            ;   in Loop: Header=BB288_934 Depth=1
	s_wait_alu 0xfffe
	s_or_b32 exec_lo, exec_lo, s11
.LBB288_943:                            ;   in Loop: Header=BB288_934 Depth=1
	s_wait_alu 0xfffe
	s_or_b32 exec_lo, exec_lo, s0
	v_lshrrev_b16 v0, 8, v11
	s_mov_b32 s0, exec_lo
	s_delay_alu instid0(VALU_DEP_1)
	v_cmpx_ne_u16_e32 0, v0
	s_cbranch_execz .LBB288_951
; %bb.944:                              ;   in Loop: Header=BB288_934 Depth=1
	v_bfrev_b32_e32 v81, 1
	s_mov_b32 s11, exec_lo
	v_cmpx_ne_u16_e32 0x80, v0
	s_cbranch_execz .LBB288_950
; %bb.945:                              ;   in Loop: Header=BB288_934 Depth=1
	v_and_b32_e32 v17, 0xffff, v0
	v_mov_b32_e32 v81, 0x7c010000
	s_mov_b32 s14, exec_lo
	s_delay_alu instid0(VALU_DEP_2) | instskip(NEXT) | instid1(VALU_DEP_1)
	v_and_b32_e32 v84, 0x7f, v17
	v_cmpx_ne_u32_e32 0x7f, v84
	s_cbranch_execz .LBB288_949
; %bb.946:                              ;   in Loop: Header=BB288_934 Depth=1
	v_and_b32_e32 v81, 7, v17
	v_lshrrev_b32_e32 v83, 3, v84
	s_mov_b32 s15, exec_lo
	v_cmpx_gt_u32_e32 8, v84
; %bb.947:                              ;   in Loop: Header=BB288_934 Depth=1
	s_delay_alu instid0(VALU_DEP_3) | instskip(NEXT) | instid1(VALU_DEP_1)
	v_clz_i32_u32_e32 v81, v81
	v_min_u32_e32 v81, 32, v81
	s_delay_alu instid0(VALU_DEP_1) | instskip(NEXT) | instid1(VALU_DEP_1)
	v_subrev_nc_u32_e32 v83, 28, v81
	v_lshlrev_b64_e32 v[84:85], v83, v[0:1]
	v_sub_nc_u32_e32 v83, 29, v81
	s_delay_alu instid0(VALU_DEP_2)
	v_and_b32_e32 v81, 7, v84
; %bb.948:                              ;   in Loop: Header=BB288_934 Depth=1
	s_wait_alu 0xfffe
	s_or_b32 exec_lo, exec_lo, s15
	v_lshlrev_b32_e32 v0, 8, v17
	v_lshl_add_u32 v17, v83, 10, 0x2000
	s_delay_alu instid0(VALU_DEP_1) | instskip(SKIP_1) | instid1(VALU_DEP_1)
	v_and_or_b32 v0, 0x8000, v0, v17
	v_lshlrev_b32_e32 v17, 23, v81
	v_lshl_or_b32 v81, v0, 16, v17
.LBB288_949:                            ;   in Loop: Header=BB288_934 Depth=1
	s_wait_alu 0xfffe
	s_or_b32 exec_lo, exec_lo, s14
.LBB288_950:                            ;   in Loop: Header=BB288_934 Depth=1
	s_wait_alu 0xfffe
	s_or_b32 exec_lo, exec_lo, s11
.LBB288_951:                            ;   in Loop: Header=BB288_934 Depth=1
	s_wait_alu 0xfffe
	s_or_b32 exec_lo, exec_lo, s0
	v_lshrrev_b32_e32 v0, 16, v11
	v_mov_b32_e32 v17, 0
	s_mov_b32 s0, exec_lo
	s_delay_alu instid0(VALU_DEP_2) | instskip(NEXT) | instid1(VALU_DEP_1)
	v_dual_mov_b32 v83, 0 :: v_dual_and_b32 v84, 0xff, v0
	v_cmpx_ne_u16_e32 0, v84
	s_cbranch_execz .LBB288_959
; %bb.952:                              ;   in Loop: Header=BB288_934 Depth=1
	v_mov_b32_e32 v17, 0x8000
	s_mov_b32 s11, exec_lo
	v_cmpx_ne_u16_e32 0x80, v84
	s_cbranch_execz .LBB288_958
; %bb.953:                              ;   in Loop: Header=BB288_934 Depth=1
	v_bfe_u32 v85, v11, 16, 7
	v_mov_b32_e32 v17, 0x7c01
	s_mov_b32 s14, exec_lo
	s_delay_alu instid0(VALU_DEP_2)
	v_cmpx_ne_u32_e32 0x7f, v85
	s_cbranch_execz .LBB288_957
; %bb.954:                              ;   in Loop: Header=BB288_934 Depth=1
	v_and_b32_e32 v17, 7, v0
	v_lshrrev_b32_e32 v84, 3, v85
	s_mov_b32 s15, exec_lo
	v_cmpx_gt_u32_e32 8, v85
; %bb.955:                              ;   in Loop: Header=BB288_934 Depth=1
	s_delay_alu instid0(VALU_DEP_3) | instskip(NEXT) | instid1(VALU_DEP_1)
	v_clz_i32_u32_e32 v17, v17
	v_min_u32_e32 v17, 32, v17
	s_delay_alu instid0(VALU_DEP_1) | instskip(NEXT) | instid1(VALU_DEP_1)
	v_subrev_nc_u32_e32 v84, 28, v17
	v_lshlrev_b64_e32 v[85:86], v84, v[0:1]
	v_sub_nc_u32_e32 v84, 29, v17
	s_delay_alu instid0(VALU_DEP_2)
	v_and_b32_e32 v17, 7, v85
; %bb.956:                              ;   in Loop: Header=BB288_934 Depth=1
	s_wait_alu 0xfffe
	s_or_b32 exec_lo, exec_lo, s15
	v_lshlrev_b32_e32 v0, 8, v0
	v_lshl_add_u32 v84, v84, 10, 0x2000
	v_lshlrev_b32_e32 v17, 7, v17
	s_delay_alu instid0(VALU_DEP_3) | instskip(NEXT) | instid1(VALU_DEP_3)
	v_and_b32_e32 v0, 0x8000, v0
	v_and_b32_e32 v84, 0xfc00, v84
	s_delay_alu instid0(VALU_DEP_1)
	v_or3_b32 v17, v0, v84, v17
.LBB288_957:                            ;   in Loop: Header=BB288_934 Depth=1
	s_wait_alu 0xfffe
	s_or_b32 exec_lo, exec_lo, s14
.LBB288_958:                            ;   in Loop: Header=BB288_934 Depth=1
	s_wait_alu 0xfffe
	s_or_b32 exec_lo, exec_lo, s11
.LBB288_959:                            ;   in Loop: Header=BB288_934 Depth=1
	s_wait_alu 0xfffe
	s_or_b32 exec_lo, exec_lo, s0
	s_delay_alu instid0(SALU_CYCLE_1)
	s_mov_b32 s0, exec_lo
	v_cmpx_lt_u32_e32 0xffffff, v11
	s_cbranch_execz .LBB288_967
; %bb.960:                              ;   in Loop: Header=BB288_934 Depth=1
	v_lshrrev_b32_e32 v0, 24, v11
	v_bfrev_b32_e32 v83, 1
	s_mov_b32 s11, exec_lo
	s_delay_alu instid0(VALU_DEP_2)
	v_cmpx_ne_u32_e32 0x80, v0
	s_cbranch_execz .LBB288_966
; %bb.961:                              ;   in Loop: Header=BB288_934 Depth=1
	v_and_b32_e32 v85, 0x7f, v0
	v_mov_b32_e32 v83, 0x7c010000
	s_mov_b32 s14, exec_lo
	s_delay_alu instid0(VALU_DEP_2)
	v_cmpx_ne_u32_e32 0x7f, v85
	s_cbranch_execz .LBB288_965
; %bb.962:                              ;   in Loop: Header=BB288_934 Depth=1
	v_and_b32_e32 v83, 7, v0
	v_lshrrev_b32_e32 v84, 3, v85
	s_mov_b32 s15, exec_lo
	v_cmpx_gt_u32_e32 8, v85
; %bb.963:                              ;   in Loop: Header=BB288_934 Depth=1
	s_delay_alu instid0(VALU_DEP_3) | instskip(NEXT) | instid1(VALU_DEP_1)
	v_clz_i32_u32_e32 v83, v83
	v_min_u32_e32 v85, 32, v83
	s_delay_alu instid0(VALU_DEP_1) | instskip(NEXT) | instid1(VALU_DEP_1)
	v_subrev_nc_u32_e32 v83, 28, v85
	v_lshlrev_b64_e32 v[83:84], v83, v[0:1]
	v_sub_nc_u32_e32 v84, 29, v85
	s_delay_alu instid0(VALU_DEP_2)
	v_and_b32_e32 v83, 7, v83
; %bb.964:                              ;   in Loop: Header=BB288_934 Depth=1
	s_wait_alu 0xfffe
	s_or_b32 exec_lo, exec_lo, s15
	v_lshlrev_b32_e32 v0, 8, v0
	v_lshl_add_u32 v84, v84, 10, 0x2000
	v_lshlrev_b32_e32 v83, 23, v83
	s_delay_alu instid0(VALU_DEP_2) | instskip(NEXT) | instid1(VALU_DEP_1)
	v_and_or_b32 v0, 0x8000, v0, v84
	v_lshl_or_b32 v83, v0, 16, v83
.LBB288_965:                            ;   in Loop: Header=BB288_934 Depth=1
	s_wait_alu 0xfffe
	s_or_b32 exec_lo, exec_lo, s14
.LBB288_966:                            ;   in Loop: Header=BB288_934 Depth=1
	s_wait_alu 0xfffe
	s_or_b32 exec_lo, exec_lo, s11
.LBB288_967:                            ;   in Loop: Header=BB288_934 Depth=1
	s_wait_alu 0xfffe
	s_or_b32 exec_lo, exec_lo, s0
	v_dual_mov_b32 v85, 0 :: v_dual_and_b32 v86, 0xff, v12
	v_mov_b32_e32 v0, v12
	v_mov_b32_e32 v84, 0
	s_mov_b32 s0, exec_lo
	s_delay_alu instid0(VALU_DEP_3)
	v_cmpx_ne_u16_e32 0, v86
	s_cbranch_execz .LBB288_975
; %bb.968:                              ;   in Loop: Header=BB288_934 Depth=1
	v_mov_b32_e32 v85, 0x8000
	s_mov_b32 s11, exec_lo
	v_cmpx_ne_u16_e32 0x80, v86
	s_cbranch_execz .LBB288_974
; %bb.969:                              ;   in Loop: Header=BB288_934 Depth=1
	v_and_b32_e32 v97, 0x7f, v12
	v_mov_b32_e32 v85, 0x7c01
	s_mov_b32 s14, exec_lo
	s_delay_alu instid0(VALU_DEP_2)
	v_cmpx_ne_u32_e32 0x7f, v97
	s_cbranch_execz .LBB288_973
; %bb.970:                              ;   in Loop: Header=BB288_934 Depth=1
	v_and_b32_e32 v85, 7, v12
	v_lshrrev_b32_e32 v86, 3, v97
	s_mov_b32 s15, exec_lo
	v_cmpx_gt_u32_e32 8, v97
; %bb.971:                              ;   in Loop: Header=BB288_934 Depth=1
	s_delay_alu instid0(VALU_DEP_3) | instskip(NEXT) | instid1(VALU_DEP_1)
	v_clz_i32_u32_e32 v85, v85
	v_min_u32_e32 v97, 32, v85
	s_delay_alu instid0(VALU_DEP_1) | instskip(NEXT) | instid1(VALU_DEP_1)
	v_subrev_nc_u32_e32 v85, 28, v97
	v_lshlrev_b64_e32 v[85:86], v85, v[0:1]
	v_sub_nc_u32_e32 v86, 29, v97
	s_delay_alu instid0(VALU_DEP_2)
	v_and_b32_e32 v85, 7, v85
; %bb.972:                              ;   in Loop: Header=BB288_934 Depth=1
	s_wait_alu 0xfffe
	s_or_b32 exec_lo, exec_lo, s15
	v_lshlrev_b32_e32 v97, 8, v12
	v_lshl_add_u32 v86, v86, 10, 0x2000
	v_lshlrev_b32_e32 v85, 7, v85
	s_delay_alu instid0(VALU_DEP_3) | instskip(NEXT) | instid1(VALU_DEP_3)
	v_and_b32_e32 v97, 0x8000, v97
	v_and_b32_e32 v86, 0xfc00, v86
	s_delay_alu instid0(VALU_DEP_1)
	v_or3_b32 v85, v97, v86, v85
.LBB288_973:                            ;   in Loop: Header=BB288_934 Depth=1
	s_wait_alu 0xfffe
	s_or_b32 exec_lo, exec_lo, s14
.LBB288_974:                            ;   in Loop: Header=BB288_934 Depth=1
	s_wait_alu 0xfffe
	s_or_b32 exec_lo, exec_lo, s11
.LBB288_975:                            ;   in Loop: Header=BB288_934 Depth=1
	s_wait_alu 0xfffe
	s_or_b32 exec_lo, exec_lo, s0
	v_lshrrev_b16 v0, 8, v0
	v_mov_b32_e32 v86, 0
	s_mov_b32 s0, exec_lo
	s_delay_alu instid0(VALU_DEP_2)
	v_cmpx_ne_u16_e32 0, v0
	s_cbranch_execz .LBB288_983
; %bb.976:                              ;   in Loop: Header=BB288_934 Depth=1
	v_bfrev_b32_e32 v86, 1
	s_mov_b32 s11, exec_lo
	v_cmpx_ne_u16_e32 0x80, v0
	s_cbranch_execz .LBB288_982
; %bb.977:                              ;   in Loop: Header=BB288_934 Depth=1
	v_and_b32_e32 v97, 0xffff, v0
	v_mov_b32_e32 v86, 0x7c010000
	s_mov_b32 s14, exec_lo
	s_delay_alu instid0(VALU_DEP_2) | instskip(NEXT) | instid1(VALU_DEP_1)
	v_and_b32_e32 v99, 0x7f, v97
	v_cmpx_ne_u32_e32 0x7f, v99
	s_cbranch_execz .LBB288_981
; %bb.978:                              ;   in Loop: Header=BB288_934 Depth=1
	v_and_b32_e32 v86, 7, v97
	v_lshrrev_b32_e32 v98, 3, v99
	s_mov_b32 s15, exec_lo
	v_cmpx_gt_u32_e32 8, v99
; %bb.979:                              ;   in Loop: Header=BB288_934 Depth=1
	s_delay_alu instid0(VALU_DEP_3) | instskip(NEXT) | instid1(VALU_DEP_1)
	v_clz_i32_u32_e32 v86, v86
	v_min_u32_e32 v86, 32, v86
	s_delay_alu instid0(VALU_DEP_1) | instskip(NEXT) | instid1(VALU_DEP_1)
	v_subrev_nc_u32_e32 v98, 28, v86
	v_lshlrev_b64_e32 v[99:100], v98, v[0:1]
	v_sub_nc_u32_e32 v98, 29, v86
	s_delay_alu instid0(VALU_DEP_2)
	v_and_b32_e32 v86, 7, v99
; %bb.980:                              ;   in Loop: Header=BB288_934 Depth=1
	s_wait_alu 0xfffe
	s_or_b32 exec_lo, exec_lo, s15
	v_lshlrev_b32_e32 v0, 8, v97
	v_lshl_add_u32 v97, v98, 10, 0x2000
	v_lshlrev_b32_e32 v86, 23, v86
	s_delay_alu instid0(VALU_DEP_2) | instskip(NEXT) | instid1(VALU_DEP_1)
	v_and_or_b32 v0, 0x8000, v0, v97
	v_lshl_or_b32 v86, v0, 16, v86
.LBB288_981:                            ;   in Loop: Header=BB288_934 Depth=1
	s_wait_alu 0xfffe
	s_or_b32 exec_lo, exec_lo, s14
.LBB288_982:                            ;   in Loop: Header=BB288_934 Depth=1
	s_wait_alu 0xfffe
	s_or_b32 exec_lo, exec_lo, s11
.LBB288_983:                            ;   in Loop: Header=BB288_934 Depth=1
	s_wait_alu 0xfffe
	s_or_b32 exec_lo, exec_lo, s0
	v_lshrrev_b32_e32 v0, 16, v12
	s_mov_b32 s0, exec_lo
	s_delay_alu instid0(VALU_DEP_1) | instskip(NEXT) | instid1(VALU_DEP_1)
	v_and_b32_e32 v97, 0xff, v0
	v_cmpx_ne_u16_e32 0, v97
	s_cbranch_execz .LBB288_991
; %bb.984:                              ;   in Loop: Header=BB288_934 Depth=1
	v_mov_b32_e32 v84, 0x8000
	s_mov_b32 s11, exec_lo
	v_cmpx_ne_u16_e32 0x80, v97
	s_cbranch_execz .LBB288_990
; %bb.985:                              ;   in Loop: Header=BB288_934 Depth=1
	v_bfe_u32 v98, v12, 16, 7
	v_mov_b32_e32 v84, 0x7c01
	s_mov_b32 s14, exec_lo
	s_delay_alu instid0(VALU_DEP_2)
	v_cmpx_ne_u32_e32 0x7f, v98
	s_cbranch_execz .LBB288_989
; %bb.986:                              ;   in Loop: Header=BB288_934 Depth=1
	v_and_b32_e32 v84, 7, v0
	v_lshrrev_b32_e32 v97, 3, v98
	s_mov_b32 s15, exec_lo
	v_cmpx_gt_u32_e32 8, v98
; %bb.987:                              ;   in Loop: Header=BB288_934 Depth=1
	s_delay_alu instid0(VALU_DEP_3) | instskip(NEXT) | instid1(VALU_DEP_1)
	v_clz_i32_u32_e32 v84, v84
	v_min_u32_e32 v84, 32, v84
	s_delay_alu instid0(VALU_DEP_1) | instskip(NEXT) | instid1(VALU_DEP_1)
	v_subrev_nc_u32_e32 v97, 28, v84
	v_lshlrev_b64_e32 v[98:99], v97, v[0:1]
	v_sub_nc_u32_e32 v97, 29, v84
	s_delay_alu instid0(VALU_DEP_2)
	v_and_b32_e32 v84, 7, v98
; %bb.988:                              ;   in Loop: Header=BB288_934 Depth=1
	s_wait_alu 0xfffe
	s_or_b32 exec_lo, exec_lo, s15
	v_lshlrev_b32_e32 v0, 8, v0
	v_lshl_add_u32 v97, v97, 10, 0x2000
	v_lshlrev_b32_e32 v84, 7, v84
	s_delay_alu instid0(VALU_DEP_3) | instskip(NEXT) | instid1(VALU_DEP_3)
	v_and_b32_e32 v0, 0x8000, v0
	v_and_b32_e32 v97, 0xfc00, v97
	s_delay_alu instid0(VALU_DEP_1)
	v_or3_b32 v84, v0, v97, v84
.LBB288_989:                            ;   in Loop: Header=BB288_934 Depth=1
	s_wait_alu 0xfffe
	s_or_b32 exec_lo, exec_lo, s14
.LBB288_990:                            ;   in Loop: Header=BB288_934 Depth=1
	s_wait_alu 0xfffe
	s_or_b32 exec_lo, exec_lo, s11
.LBB288_991:                            ;   in Loop: Header=BB288_934 Depth=1
	s_wait_alu 0xfffe
	s_or_b32 exec_lo, exec_lo, s0
	v_cmp_lt_u64_e32 vcc_lo, s[8:9], v[11:12]
	v_mov_b32_e32 v11, 0
	s_and_saveexec_b32 s0, vcc_lo
	s_cbranch_execz .LBB288_999
; %bb.992:                              ;   in Loop: Header=BB288_934 Depth=1
	v_lshrrev_b32_e32 v0, 24, v12
	v_bfrev_b32_e32 v11, 1
	s_mov_b32 s11, exec_lo
	s_delay_alu instid0(VALU_DEP_2)
	v_cmpx_ne_u32_e32 0x80, v0
	s_cbranch_execz .LBB288_998
; %bb.993:                              ;   in Loop: Header=BB288_934 Depth=1
	v_and_b32_e32 v97, 0x7f, v0
	v_mov_b32_e32 v11, 0x7c010000
	s_mov_b32 s14, exec_lo
	s_delay_alu instid0(VALU_DEP_2)
	v_cmpx_ne_u32_e32 0x7f, v97
	s_cbranch_execz .LBB288_997
; %bb.994:                              ;   in Loop: Header=BB288_934 Depth=1
	v_and_b32_e32 v11, 7, v0
	v_lshrrev_b32_e32 v12, 3, v97
	s_mov_b32 s15, exec_lo
	v_cmpx_gt_u32_e32 8, v97
; %bb.995:                              ;   in Loop: Header=BB288_934 Depth=1
	s_delay_alu instid0(VALU_DEP_3) | instskip(NEXT) | instid1(VALU_DEP_1)
	v_clz_i32_u32_e32 v11, v11
	v_min_u32_e32 v97, 32, v11
	s_delay_alu instid0(VALU_DEP_1) | instskip(NEXT) | instid1(VALU_DEP_1)
	v_subrev_nc_u32_e32 v11, 28, v97
	v_lshlrev_b64_e32 v[11:12], v11, v[0:1]
	v_sub_nc_u32_e32 v12, 29, v97
	s_delay_alu instid0(VALU_DEP_2)
	v_and_b32_e32 v11, 7, v11
; %bb.996:                              ;   in Loop: Header=BB288_934 Depth=1
	s_wait_alu 0xfffe
	s_or_b32 exec_lo, exec_lo, s15
	v_lshlrev_b32_e32 v0, 8, v0
	v_lshl_add_u32 v12, v12, 10, 0x2000
	v_lshlrev_b32_e32 v11, 23, v11
	s_delay_alu instid0(VALU_DEP_2) | instskip(NEXT) | instid1(VALU_DEP_1)
	v_and_or_b32 v0, 0x8000, v0, v12
	v_lshl_or_b32 v11, v0, 16, v11
.LBB288_997:                            ;   in Loop: Header=BB288_934 Depth=1
	s_wait_alu 0xfffe
	s_or_b32 exec_lo, exec_lo, s14
.LBB288_998:                            ;   in Loop: Header=BB288_934 Depth=1
	s_wait_alu 0xfffe
	s_or_b32 exec_lo, exec_lo, s11
.LBB288_999:                            ;   in Loop: Header=BB288_934 Depth=1
	s_wait_alu 0xfffe
	s_or_b32 exec_lo, exec_lo, s0
	v_or_b32_e32 v0, v83, v17
	s_wait_loadcnt_dscnt 0x0
	v_fma_mixlo_f16 v12, v80, v83, 0 op_sel:[0,1,0] op_sel_hi:[0,1,0]
	v_or_b32_e32 v82, v81, v82
	v_fma_mixlo_f16 v81, v80, v81, 0 op_sel:[0,1,0] op_sel_hi:[0,1,0]
	v_or_b32_e32 v83, v86, v85
	v_fma_mixlo_f16 v0, v80, v0, 0 op_sel_hi:[0,1,0]
	v_or_b32_e32 v84, v11, v84
	v_fma_mixlo_f16 v11, v80, v11, 0 op_sel:[0,1,0] op_sel_hi:[0,1,0]
	v_lshlrev_b32_e32 v103, 16, v81
	v_fma_mixlo_f16 v81, v80, v86, 0 op_sel:[0,1,0] op_sel_hi:[0,1,0]
	v_and_b32_e32 v100, 0xffff, v0
	v_fma_mixlo_f16 v0, v80, v82, 0 op_sel_hi:[0,1,0]
	v_fma_mixlo_f16 v82, v80, v83, 0 op_sel_hi:[0,1,0]
	;; [unrolled: 1-line block ×3, first 2 shown]
	v_add_nc_u32_e32 v17, v16, v48
	v_lshlrev_b32_e32 v12, 16, v12
	v_and_b32_e32 v113, 0xffff, v0
	v_lshlrev_b32_e32 v101, 16, v81
	v_and_b32_e32 v112, 0xffff, v82
	;; [unrolled: 2-line block ×3, first 2 shown]
	v_cmp_eq_u32_e32 vcc_lo, v51, v23
	v_or_b32_e32 v0, v12, v100
	v_or_b32_e32 v11, v103, v113
	;; [unrolled: 1-line block ×4, first 2 shown]
	v_add_nc_u32_e32 v86, 1, v17
	v_add_nc_u32_e32 v85, 2, v17
	;; [unrolled: 1-line block ×7, first 2 shown]
	s_and_saveexec_b32 s11, vcc_lo
	s_cbranch_execz .LBB288_1001
; %bb.1000:                             ;   in Loop: Header=BB288_934 Depth=1
	v_cmp_lt_i32_e64 s0, v17, v34
	s_wait_alu 0xf1ff
	s_delay_alu instid0(VALU_DEP_1) | instskip(SKIP_2) | instid1(VALU_DEP_1)
	v_cndmask_b32_e64 v0, 0, v113, s0
	v_cmp_lt_i32_e64 s0, v86, v34
	s_wait_alu 0xf1ff
	v_cndmask_b32_e64 v11, 0, v103, s0
	v_cmp_lt_i32_e64 s0, v85, v34
	s_delay_alu instid0(VALU_DEP_2) | instskip(SKIP_1) | instid1(VALU_DEP_2)
	v_or_b32_e32 v11, v0, v11
	s_wait_alu 0xf1ff
	v_cndmask_b32_e64 v97, 0, v100, s0
	v_cmp_lt_i32_e64 s0, v84, v34
	s_wait_alu 0xf1ff
	s_delay_alu instid0(VALU_DEP_1) | instskip(SKIP_1) | instid1(VALU_DEP_2)
	v_cndmask_b32_e64 v12, 0, v12, s0
	v_cmp_lt_i32_e64 s0, v83, v34
	v_or_b32_e32 v0, v97, v12
	s_wait_alu 0xf1ff
	s_delay_alu instid0(VALU_DEP_2) | instskip(SKIP_2) | instid1(VALU_DEP_1)
	v_cndmask_b32_e64 v99, 0, v112, s0
	v_cmp_lt_i32_e64 s0, v82, v34
	s_wait_alu 0xf1ff
	v_cndmask_b32_e64 v100, 0, v101, s0
	v_cmp_lt_i32_e64 s0, v81, v34
	s_delay_alu instid0(VALU_DEP_2) | instskip(SKIP_1) | instid1(VALU_DEP_2)
	v_or_b32_e32 v97, v99, v100
	s_wait_alu 0xf1ff
	v_cndmask_b32_e64 v101, 0, v102, s0
	v_cmp_lt_i32_e64 s0, v80, v34
	s_wait_alu 0xf1ff
	s_delay_alu instid0(VALU_DEP_1) | instskip(NEXT) | instid1(VALU_DEP_1)
	v_cndmask_b32_e64 v98, 0, v98, s0
	v_or_b32_e32 v99, v101, v98
.LBB288_1001:                           ;   in Loop: Header=BB288_934 Depth=1
	s_wait_alu 0xfffe
	s_or_b32 exec_lo, exec_lo, s11
	v_and_b32_e32 v12, 0xffff, v52
	v_and_b32_e32 v52, 0xffff, v70
	;; [unrolled: 1-line block ×4, first 2 shown]
	s_mov_b32 s11, exec_lo
	v_lshl_or_b32 v71, v53, 16, v12
	v_lshl_or_b32 v70, v54, 16, v52
	;;#ASMSTART
	v_pk_mul_f16 v11, v71, v11;

	;;#ASMEND
	;;#ASMSTART
	v_pk_mul_f16 v0, v70, v0;

	;;#ASMEND
	v_lshl_or_b32 v69, v69, 16, v98
	v_lshl_or_b32 v54, v87, 16, v96
	;;#ASMSTART
	v_pk_mul_f16 v12, v69, v97;

	;;#ASMEND
	;;#ASMSTART
	v_pk_mul_f16 v52, v54, v99;

	;;#ASMEND
	;;#ASMSTART
	v_pk_add_f16 v0, v11, v0;

	;;#ASMEND
	;;#ASMSTART
	v_pk_add_f16 v0, v0, v12;
	;; [unrolled: 4-line block ×3, first 2 shown]

	;;#ASMEND
	v_dual_mov_b32 v96, 0 :: v_dual_and_b32 v11, 0xffff, v0
	v_lshrrev_b32_e32 v0, 16, v0
	;;#ASMSTART
	v_cvt_f32_f16 v52, v11;
	;;#ASMEND
	;;#ASMSTART
	v_cvt_f32_f16 v53, v0;
	;;#ASMEND
	flat_load_b64 v[11:12], v[9:10] offset:256
	flat_load_b32 v87, v[26:27]
	s_wait_loadcnt_dscnt 0x101
	v_dual_mov_b32 v97, 0 :: v_dual_and_b32 v0, 0xff, v11
	s_delay_alu instid0(VALU_DEP_1)
	v_cmpx_ne_u16_e32 0, v0
	s_cbranch_execz .LBB288_1009
; %bb.1002:                             ;   in Loop: Header=BB288_934 Depth=1
	v_mov_b32_e32 v97, 0x8000
	s_mov_b32 s14, exec_lo
	v_cmpx_ne_u16_e32 0x80, v0
	s_cbranch_execz .LBB288_1008
; %bb.1003:                             ;   in Loop: Header=BB288_934 Depth=1
	v_and_b32_e32 v98, 0x7f, v11
	v_mov_b32_e32 v97, 0x7c01
	s_mov_b32 s15, exec_lo
	s_delay_alu instid0(VALU_DEP_2)
	v_cmpx_ne_u32_e32 0x7f, v98
	s_cbranch_execz .LBB288_1007
; %bb.1004:                             ;   in Loop: Header=BB288_934 Depth=1
	v_and_b32_e32 v0, 7, v11
	v_lshrrev_b32_e32 v97, 3, v98
	s_mov_b32 s16, exec_lo
	v_cmpx_gt_u32_e32 8, v98
; %bb.1005:                             ;   in Loop: Header=BB288_934 Depth=1
	s_delay_alu instid0(VALU_DEP_3) | instskip(NEXT) | instid1(VALU_DEP_1)
	v_clz_i32_u32_e32 v0, v0
	v_min_u32_e32 v0, 32, v0
	s_delay_alu instid0(VALU_DEP_1) | instskip(NEXT) | instid1(VALU_DEP_1)
	v_subrev_nc_u32_e32 v97, 28, v0
	v_lshlrev_b64_e32 v[98:99], v97, v[11:12]
	v_sub_nc_u32_e32 v97, 29, v0
	s_delay_alu instid0(VALU_DEP_2)
	v_and_b32_e32 v0, 7, v98
; %bb.1006:                             ;   in Loop: Header=BB288_934 Depth=1
	s_wait_alu 0xfffe
	s_or_b32 exec_lo, exec_lo, s16
	v_lshlrev_b32_e32 v98, 8, v11
	v_lshl_add_u32 v97, v97, 10, 0x2000
	v_lshlrev_b32_e32 v0, 7, v0
	s_delay_alu instid0(VALU_DEP_3) | instskip(NEXT) | instid1(VALU_DEP_3)
	v_and_b32_e32 v98, 0x8000, v98
	v_and_b32_e32 v97, 0xfc00, v97
	s_delay_alu instid0(VALU_DEP_1)
	v_or3_b32 v97, v98, v97, v0
.LBB288_1007:                           ;   in Loop: Header=BB288_934 Depth=1
	s_wait_alu 0xfffe
	s_or_b32 exec_lo, exec_lo, s15
.LBB288_1008:                           ;   in Loop: Header=BB288_934 Depth=1
	s_wait_alu 0xfffe
	s_or_b32 exec_lo, exec_lo, s14
.LBB288_1009:                           ;   in Loop: Header=BB288_934 Depth=1
	s_wait_alu 0xfffe
	s_or_b32 exec_lo, exec_lo, s11
	v_lshrrev_b16 v0, 8, v11
	s_mov_b32 s11, exec_lo
	s_delay_alu instid0(VALU_DEP_1)
	v_cmpx_ne_u16_e32 0, v0
	s_cbranch_execz .LBB288_1017
; %bb.1010:                             ;   in Loop: Header=BB288_934 Depth=1
	v_bfrev_b32_e32 v96, 1
	s_mov_b32 s14, exec_lo
	v_cmpx_ne_u16_e32 0x80, v0
	s_cbranch_execz .LBB288_1016
; %bb.1011:                             ;   in Loop: Header=BB288_934 Depth=1
	v_and_b32_e32 v98, 0xffff, v0
	v_mov_b32_e32 v96, 0x7c010000
	s_mov_b32 s15, exec_lo
	s_delay_alu instid0(VALU_DEP_2) | instskip(NEXT) | instid1(VALU_DEP_1)
	v_and_b32_e32 v100, 0x7f, v98
	v_cmpx_ne_u32_e32 0x7f, v100
	s_cbranch_execz .LBB288_1015
; %bb.1012:                             ;   in Loop: Header=BB288_934 Depth=1
	v_and_b32_e32 v96, 7, v98
	v_lshrrev_b32_e32 v99, 3, v100
	s_mov_b32 s16, exec_lo
	v_cmpx_gt_u32_e32 8, v100
; %bb.1013:                             ;   in Loop: Header=BB288_934 Depth=1
	s_delay_alu instid0(VALU_DEP_3) | instskip(NEXT) | instid1(VALU_DEP_1)
	v_clz_i32_u32_e32 v96, v96
	v_min_u32_e32 v96, 32, v96
	s_delay_alu instid0(VALU_DEP_1) | instskip(NEXT) | instid1(VALU_DEP_1)
	v_subrev_nc_u32_e32 v99, 28, v96
	v_lshlrev_b64_e32 v[100:101], v99, v[0:1]
	v_sub_nc_u32_e32 v99, 29, v96
	s_delay_alu instid0(VALU_DEP_2)
	v_and_b32_e32 v96, 7, v100
; %bb.1014:                             ;   in Loop: Header=BB288_934 Depth=1
	s_wait_alu 0xfffe
	s_or_b32 exec_lo, exec_lo, s16
	v_lshlrev_b32_e32 v0, 8, v98
	v_lshl_add_u32 v98, v99, 10, 0x2000
	v_lshlrev_b32_e32 v96, 23, v96
	s_delay_alu instid0(VALU_DEP_2) | instskip(NEXT) | instid1(VALU_DEP_1)
	v_and_or_b32 v0, 0x8000, v0, v98
	v_lshl_or_b32 v96, v0, 16, v96
.LBB288_1015:                           ;   in Loop: Header=BB288_934 Depth=1
	s_wait_alu 0xfffe
	s_or_b32 exec_lo, exec_lo, s15
.LBB288_1016:                           ;   in Loop: Header=BB288_934 Depth=1
	s_wait_alu 0xfffe
	s_or_b32 exec_lo, exec_lo, s14
.LBB288_1017:                           ;   in Loop: Header=BB288_934 Depth=1
	s_wait_alu 0xfffe
	s_or_b32 exec_lo, exec_lo, s11
	v_lshrrev_b32_e32 v0, 16, v11
	v_mov_b32_e32 v98, 0
	s_mov_b32 s11, exec_lo
	s_delay_alu instid0(VALU_DEP_2) | instskip(NEXT) | instid1(VALU_DEP_1)
	v_dual_mov_b32 v99, 0 :: v_dual_and_b32 v100, 0xff, v0
	v_cmpx_ne_u16_e32 0, v100
	s_cbranch_execz .LBB288_1025
; %bb.1018:                             ;   in Loop: Header=BB288_934 Depth=1
	v_mov_b32_e32 v99, 0x8000
	s_mov_b32 s14, exec_lo
	v_cmpx_ne_u16_e32 0x80, v100
	s_cbranch_execz .LBB288_1024
; %bb.1019:                             ;   in Loop: Header=BB288_934 Depth=1
	v_bfe_u32 v101, v11, 16, 7
	v_mov_b32_e32 v99, 0x7c01
	s_mov_b32 s15, exec_lo
	s_delay_alu instid0(VALU_DEP_2)
	v_cmpx_ne_u32_e32 0x7f, v101
	s_cbranch_execz .LBB288_1023
; %bb.1020:                             ;   in Loop: Header=BB288_934 Depth=1
	v_and_b32_e32 v99, 7, v0
	v_lshrrev_b32_e32 v100, 3, v101
	s_mov_b32 s16, exec_lo
	v_cmpx_gt_u32_e32 8, v101
; %bb.1021:                             ;   in Loop: Header=BB288_934 Depth=1
	s_delay_alu instid0(VALU_DEP_3) | instskip(NEXT) | instid1(VALU_DEP_1)
	v_clz_i32_u32_e32 v99, v99
	v_min_u32_e32 v101, 32, v99
	s_delay_alu instid0(VALU_DEP_1) | instskip(NEXT) | instid1(VALU_DEP_1)
	v_subrev_nc_u32_e32 v99, 28, v101
	v_lshlrev_b64_e32 v[99:100], v99, v[0:1]
	v_sub_nc_u32_e32 v100, 29, v101
	s_delay_alu instid0(VALU_DEP_2)
	v_and_b32_e32 v99, 7, v99
; %bb.1022:                             ;   in Loop: Header=BB288_934 Depth=1
	s_wait_alu 0xfffe
	s_or_b32 exec_lo, exec_lo, s16
	v_lshlrev_b32_e32 v0, 8, v0
	v_lshl_add_u32 v100, v100, 10, 0x2000
	v_lshlrev_b32_e32 v99, 7, v99
	s_delay_alu instid0(VALU_DEP_3) | instskip(NEXT) | instid1(VALU_DEP_3)
	v_and_b32_e32 v0, 0x8000, v0
	v_and_b32_e32 v100, 0xfc00, v100
	s_delay_alu instid0(VALU_DEP_1)
	v_or3_b32 v99, v0, v100, v99
.LBB288_1023:                           ;   in Loop: Header=BB288_934 Depth=1
	s_wait_alu 0xfffe
	s_or_b32 exec_lo, exec_lo, s15
.LBB288_1024:                           ;   in Loop: Header=BB288_934 Depth=1
	s_wait_alu 0xfffe
	s_or_b32 exec_lo, exec_lo, s14
.LBB288_1025:                           ;   in Loop: Header=BB288_934 Depth=1
	s_wait_alu 0xfffe
	s_or_b32 exec_lo, exec_lo, s11
	s_delay_alu instid0(SALU_CYCLE_1)
	s_mov_b32 s11, exec_lo
	v_cmpx_lt_u32_e32 0xffffff, v11
	s_cbranch_execz .LBB288_1033
; %bb.1026:                             ;   in Loop: Header=BB288_934 Depth=1
	v_lshrrev_b32_e32 v0, 24, v11
	v_bfrev_b32_e32 v98, 1
	s_mov_b32 s14, exec_lo
	s_delay_alu instid0(VALU_DEP_2)
	v_cmpx_ne_u32_e32 0x80, v0
	s_cbranch_execz .LBB288_1032
; %bb.1027:                             ;   in Loop: Header=BB288_934 Depth=1
	v_and_b32_e32 v101, 0x7f, v0
	v_mov_b32_e32 v98, 0x7c010000
	s_mov_b32 s15, exec_lo
	s_delay_alu instid0(VALU_DEP_2)
	v_cmpx_ne_u32_e32 0x7f, v101
	s_cbranch_execz .LBB288_1031
; %bb.1028:                             ;   in Loop: Header=BB288_934 Depth=1
	v_and_b32_e32 v98, 7, v0
	v_lshrrev_b32_e32 v100, 3, v101
	s_mov_b32 s16, exec_lo
	v_cmpx_gt_u32_e32 8, v101
; %bb.1029:                             ;   in Loop: Header=BB288_934 Depth=1
	s_delay_alu instid0(VALU_DEP_3) | instskip(NEXT) | instid1(VALU_DEP_1)
	v_clz_i32_u32_e32 v98, v98
	v_min_u32_e32 v98, 32, v98
	s_delay_alu instid0(VALU_DEP_1) | instskip(NEXT) | instid1(VALU_DEP_1)
	v_subrev_nc_u32_e32 v100, 28, v98
	v_lshlrev_b64_e32 v[101:102], v100, v[0:1]
	v_sub_nc_u32_e32 v100, 29, v98
	s_delay_alu instid0(VALU_DEP_2)
	v_and_b32_e32 v98, 7, v101
; %bb.1030:                             ;   in Loop: Header=BB288_934 Depth=1
	s_wait_alu 0xfffe
	s_or_b32 exec_lo, exec_lo, s16
	v_lshlrev_b32_e32 v0, 8, v0
	v_lshl_add_u32 v100, v100, 10, 0x2000
	v_lshlrev_b32_e32 v98, 23, v98
	s_delay_alu instid0(VALU_DEP_2) | instskip(NEXT) | instid1(VALU_DEP_1)
	v_and_or_b32 v0, 0x8000, v0, v100
	v_lshl_or_b32 v98, v0, 16, v98
.LBB288_1031:                           ;   in Loop: Header=BB288_934 Depth=1
	s_wait_alu 0xfffe
	s_or_b32 exec_lo, exec_lo, s15
.LBB288_1032:                           ;   in Loop: Header=BB288_934 Depth=1
	s_wait_alu 0xfffe
	s_or_b32 exec_lo, exec_lo, s14
.LBB288_1033:                           ;   in Loop: Header=BB288_934 Depth=1
	s_wait_alu 0xfffe
	s_or_b32 exec_lo, exec_lo, s11
	v_dual_mov_b32 v101, 0 :: v_dual_and_b32 v102, 0xff, v12
	v_mov_b32_e32 v0, v12
	v_mov_b32_e32 v100, 0
	s_mov_b32 s11, exec_lo
	s_delay_alu instid0(VALU_DEP_3)
	v_cmpx_ne_u16_e32 0, v102
	s_cbranch_execz .LBB288_1041
; %bb.1034:                             ;   in Loop: Header=BB288_934 Depth=1
	v_mov_b32_e32 v101, 0x8000
	s_mov_b32 s14, exec_lo
	v_cmpx_ne_u16_e32 0x80, v102
	s_cbranch_execz .LBB288_1040
; %bb.1035:                             ;   in Loop: Header=BB288_934 Depth=1
	v_and_b32_e32 v103, 0x7f, v12
	v_mov_b32_e32 v101, 0x7c01
	s_mov_b32 s15, exec_lo
	s_delay_alu instid0(VALU_DEP_2)
	v_cmpx_ne_u32_e32 0x7f, v103
	s_cbranch_execz .LBB288_1039
; %bb.1036:                             ;   in Loop: Header=BB288_934 Depth=1
	v_and_b32_e32 v101, 7, v12
	v_lshrrev_b32_e32 v102, 3, v103
	s_mov_b32 s16, exec_lo
	v_cmpx_gt_u32_e32 8, v103
; %bb.1037:                             ;   in Loop: Header=BB288_934 Depth=1
	s_delay_alu instid0(VALU_DEP_3) | instskip(NEXT) | instid1(VALU_DEP_1)
	v_clz_i32_u32_e32 v101, v101
	v_min_u32_e32 v103, 32, v101
	s_delay_alu instid0(VALU_DEP_1) | instskip(NEXT) | instid1(VALU_DEP_1)
	v_subrev_nc_u32_e32 v101, 28, v103
	v_lshlrev_b64_e32 v[101:102], v101, v[0:1]
	v_sub_nc_u32_e32 v102, 29, v103
	s_delay_alu instid0(VALU_DEP_2)
	v_and_b32_e32 v101, 7, v101
; %bb.1038:                             ;   in Loop: Header=BB288_934 Depth=1
	s_wait_alu 0xfffe
	s_or_b32 exec_lo, exec_lo, s16
	v_lshlrev_b32_e32 v103, 8, v12
	v_lshl_add_u32 v102, v102, 10, 0x2000
	v_lshlrev_b32_e32 v101, 7, v101
	s_delay_alu instid0(VALU_DEP_3) | instskip(NEXT) | instid1(VALU_DEP_3)
	v_and_b32_e32 v103, 0x8000, v103
	v_and_b32_e32 v102, 0xfc00, v102
	s_delay_alu instid0(VALU_DEP_1)
	v_or3_b32 v101, v103, v102, v101
.LBB288_1039:                           ;   in Loop: Header=BB288_934 Depth=1
	s_wait_alu 0xfffe
	s_or_b32 exec_lo, exec_lo, s15
.LBB288_1040:                           ;   in Loop: Header=BB288_934 Depth=1
	s_wait_alu 0xfffe
	s_or_b32 exec_lo, exec_lo, s14
.LBB288_1041:                           ;   in Loop: Header=BB288_934 Depth=1
	s_wait_alu 0xfffe
	s_or_b32 exec_lo, exec_lo, s11
	v_lshrrev_b16 v0, 8, v0
	v_mov_b32_e32 v102, 0
	s_mov_b32 s11, exec_lo
	s_delay_alu instid0(VALU_DEP_2)
	v_cmpx_ne_u16_e32 0, v0
	s_cbranch_execz .LBB288_1049
; %bb.1042:                             ;   in Loop: Header=BB288_934 Depth=1
	v_bfrev_b32_e32 v102, 1
	s_mov_b32 s14, exec_lo
	v_cmpx_ne_u16_e32 0x80, v0
	s_cbranch_execz .LBB288_1048
; %bb.1043:                             ;   in Loop: Header=BB288_934 Depth=1
	v_and_b32_e32 v103, 0xffff, v0
	v_mov_b32_e32 v102, 0x7c010000
	s_mov_b32 s15, exec_lo
	s_delay_alu instid0(VALU_DEP_2) | instskip(NEXT) | instid1(VALU_DEP_1)
	v_and_b32_e32 v113, 0x7f, v103
	v_cmpx_ne_u32_e32 0x7f, v113
	s_cbranch_execz .LBB288_1047
; %bb.1044:                             ;   in Loop: Header=BB288_934 Depth=1
	v_and_b32_e32 v102, 7, v103
	v_lshrrev_b32_e32 v112, 3, v113
	s_mov_b32 s16, exec_lo
	v_cmpx_gt_u32_e32 8, v113
; %bb.1045:                             ;   in Loop: Header=BB288_934 Depth=1
	s_delay_alu instid0(VALU_DEP_3) | instskip(NEXT) | instid1(VALU_DEP_1)
	v_clz_i32_u32_e32 v102, v102
	v_min_u32_e32 v102, 32, v102
	s_delay_alu instid0(VALU_DEP_1) | instskip(NEXT) | instid1(VALU_DEP_1)
	v_subrev_nc_u32_e32 v112, 28, v102
	v_lshlrev_b64_e32 v[113:114], v112, v[0:1]
	v_sub_nc_u32_e32 v112, 29, v102
	s_delay_alu instid0(VALU_DEP_2)
	v_and_b32_e32 v102, 7, v113
; %bb.1046:                             ;   in Loop: Header=BB288_934 Depth=1
	s_wait_alu 0xfffe
	s_or_b32 exec_lo, exec_lo, s16
	v_lshlrev_b32_e32 v0, 8, v103
	v_lshl_add_u32 v103, v112, 10, 0x2000
	v_lshlrev_b32_e32 v102, 23, v102
	s_delay_alu instid0(VALU_DEP_2) | instskip(NEXT) | instid1(VALU_DEP_1)
	v_and_or_b32 v0, 0x8000, v0, v103
	v_lshl_or_b32 v102, v0, 16, v102
.LBB288_1047:                           ;   in Loop: Header=BB288_934 Depth=1
	s_wait_alu 0xfffe
	s_or_b32 exec_lo, exec_lo, s15
.LBB288_1048:                           ;   in Loop: Header=BB288_934 Depth=1
	s_wait_alu 0xfffe
	s_or_b32 exec_lo, exec_lo, s14
.LBB288_1049:                           ;   in Loop: Header=BB288_934 Depth=1
	s_wait_alu 0xfffe
	s_or_b32 exec_lo, exec_lo, s11
	v_lshrrev_b32_e32 v0, 16, v12
	s_mov_b32 s11, exec_lo
	s_delay_alu instid0(VALU_DEP_1) | instskip(NEXT) | instid1(VALU_DEP_1)
	v_and_b32_e32 v103, 0xff, v0
	v_cmpx_ne_u16_e32 0, v103
	s_cbranch_execz .LBB288_1057
; %bb.1050:                             ;   in Loop: Header=BB288_934 Depth=1
	v_mov_b32_e32 v100, 0x8000
	s_mov_b32 s14, exec_lo
	v_cmpx_ne_u16_e32 0x80, v103
	s_cbranch_execz .LBB288_1056
; %bb.1051:                             ;   in Loop: Header=BB288_934 Depth=1
	v_bfe_u32 v112, v12, 16, 7
	v_mov_b32_e32 v100, 0x7c01
	s_mov_b32 s15, exec_lo
	s_delay_alu instid0(VALU_DEP_2)
	v_cmpx_ne_u32_e32 0x7f, v112
	s_cbranch_execz .LBB288_1055
; %bb.1052:                             ;   in Loop: Header=BB288_934 Depth=1
	v_and_b32_e32 v100, 7, v0
	v_lshrrev_b32_e32 v103, 3, v112
	s_mov_b32 s16, exec_lo
	v_cmpx_gt_u32_e32 8, v112
; %bb.1053:                             ;   in Loop: Header=BB288_934 Depth=1
	s_delay_alu instid0(VALU_DEP_3) | instskip(NEXT) | instid1(VALU_DEP_1)
	v_clz_i32_u32_e32 v100, v100
	v_min_u32_e32 v100, 32, v100
	s_delay_alu instid0(VALU_DEP_1) | instskip(NEXT) | instid1(VALU_DEP_1)
	v_subrev_nc_u32_e32 v103, 28, v100
	v_lshlrev_b64_e32 v[112:113], v103, v[0:1]
	v_sub_nc_u32_e32 v103, 29, v100
	s_delay_alu instid0(VALU_DEP_2)
	v_and_b32_e32 v100, 7, v112
; %bb.1054:                             ;   in Loop: Header=BB288_934 Depth=1
	s_wait_alu 0xfffe
	s_or_b32 exec_lo, exec_lo, s16
	v_lshlrev_b32_e32 v0, 8, v0
	v_lshl_add_u32 v103, v103, 10, 0x2000
	v_lshlrev_b32_e32 v100, 7, v100
	s_delay_alu instid0(VALU_DEP_3) | instskip(NEXT) | instid1(VALU_DEP_3)
	v_and_b32_e32 v0, 0x8000, v0
	v_and_b32_e32 v103, 0xfc00, v103
	s_delay_alu instid0(VALU_DEP_1)
	v_or3_b32 v100, v0, v103, v100
.LBB288_1055:                           ;   in Loop: Header=BB288_934 Depth=1
	s_wait_alu 0xfffe
	s_or_b32 exec_lo, exec_lo, s15
.LBB288_1056:                           ;   in Loop: Header=BB288_934 Depth=1
	s_wait_alu 0xfffe
	s_or_b32 exec_lo, exec_lo, s14
.LBB288_1057:                           ;   in Loop: Header=BB288_934 Depth=1
	s_wait_alu 0xfffe
	s_or_b32 exec_lo, exec_lo, s11
	v_cmp_lt_u64_e64 s0, s[8:9], v[11:12]
	v_mov_b32_e32 v11, 0
	s_and_saveexec_b32 s11, s0
	s_cbranch_execz .LBB288_1065
; %bb.1058:                             ;   in Loop: Header=BB288_934 Depth=1
	v_lshrrev_b32_e32 v0, 24, v12
	v_bfrev_b32_e32 v11, 1
	s_mov_b32 s14, exec_lo
	s_delay_alu instid0(VALU_DEP_2)
	v_cmpx_ne_u32_e32 0x80, v0
	s_cbranch_execz .LBB288_1064
; %bb.1059:                             ;   in Loop: Header=BB288_934 Depth=1
	v_and_b32_e32 v103, 0x7f, v0
	v_mov_b32_e32 v11, 0x7c010000
	s_mov_b32 s15, exec_lo
	s_delay_alu instid0(VALU_DEP_2)
	v_cmpx_ne_u32_e32 0x7f, v103
	s_cbranch_execz .LBB288_1063
; %bb.1060:                             ;   in Loop: Header=BB288_934 Depth=1
	v_and_b32_e32 v11, 7, v0
	v_lshrrev_b32_e32 v12, 3, v103
	s_mov_b32 s16, exec_lo
	v_cmpx_gt_u32_e32 8, v103
; %bb.1061:                             ;   in Loop: Header=BB288_934 Depth=1
	s_delay_alu instid0(VALU_DEP_3) | instskip(NEXT) | instid1(VALU_DEP_1)
	v_clz_i32_u32_e32 v11, v11
	v_min_u32_e32 v103, 32, v11
	s_delay_alu instid0(VALU_DEP_1) | instskip(NEXT) | instid1(VALU_DEP_1)
	v_subrev_nc_u32_e32 v11, 28, v103
	v_lshlrev_b64_e32 v[11:12], v11, v[0:1]
	v_sub_nc_u32_e32 v12, 29, v103
	s_delay_alu instid0(VALU_DEP_2)
	v_and_b32_e32 v11, 7, v11
; %bb.1062:                             ;   in Loop: Header=BB288_934 Depth=1
	s_wait_alu 0xfffe
	s_or_b32 exec_lo, exec_lo, s16
	v_lshlrev_b32_e32 v0, 8, v0
	v_lshl_add_u32 v12, v12, 10, 0x2000
	v_lshlrev_b32_e32 v11, 23, v11
	s_delay_alu instid0(VALU_DEP_2) | instskip(NEXT) | instid1(VALU_DEP_1)
	v_and_or_b32 v0, 0x8000, v0, v12
	v_lshl_or_b32 v11, v0, 16, v11
.LBB288_1063:                           ;   in Loop: Header=BB288_934 Depth=1
	s_wait_alu 0xfffe
	s_or_b32 exec_lo, exec_lo, s15
.LBB288_1064:                           ;   in Loop: Header=BB288_934 Depth=1
	s_wait_alu 0xfffe
	s_or_b32 exec_lo, exec_lo, s14
.LBB288_1065:                           ;   in Loop: Header=BB288_934 Depth=1
	s_wait_alu 0xfffe
	s_or_b32 exec_lo, exec_lo, s11
	v_or_b32_e32 v0, v98, v99
	s_wait_loadcnt_dscnt 0x0
	v_fma_mixlo_f16 v12, v87, v98, 0 op_sel:[0,1,0] op_sel_hi:[0,1,0]
	v_or_b32_e32 v98, v96, v97
	v_fma_mixlo_f16 v96, v87, v96, 0 op_sel:[0,1,0] op_sel_hi:[0,1,0]
	v_or_b32_e32 v99, v102, v101
	v_or_b32_e32 v100, v11, v100
	v_fma_mixlo_f16 v101, v87, v0, 0 op_sel_hi:[0,1,0]
	v_fma_mixlo_f16 v11, v87, v11, 0 op_sel:[0,1,0] op_sel_hi:[0,1,0]
	v_lshlrev_b32_e32 v97, 16, v96
	v_fma_mixlo_f16 v96, v87, v98, 0 op_sel_hi:[0,1,0]
	v_fma_mixlo_f16 v98, v87, v102, 0 op_sel:[0,1,0] op_sel_hi:[0,1,0]
	v_fma_mixlo_f16 v99, v87, v99, 0 op_sel_hi:[0,1,0]
	v_fma_mixlo_f16 v100, v87, v100, 0 op_sel_hi:[0,1,0]
	v_lshlrev_b32_e32 v0, 16, v12
	v_and_b32_e32 v12, 0xffff, v101
	v_and_b32_e32 v103, 0xffff, v96
	v_lshlrev_b32_e32 v87, 16, v98
	v_and_b32_e32 v99, 0xffff, v99
	v_lshlrev_b32_e32 v11, 16, v11
	v_and_b32_e32 v96, 0xffff, v100
	v_or_b32_e32 v98, v0, v12
	v_or_b32_e32 v102, v97, v103
	;; [unrolled: 1-line block ×3, first 2 shown]
	s_delay_alu instid0(VALU_DEP_4)
	v_or_b32_e32 v100, v11, v96
	s_and_saveexec_b32 s11, vcc_lo
	s_cbranch_execz .LBB288_1067
; %bb.1066:                             ;   in Loop: Header=BB288_934 Depth=1
	v_cmp_lt_i32_e64 s0, v17, v34
	s_wait_alu 0xf1ff
	s_delay_alu instid0(VALU_DEP_1) | instskip(SKIP_2) | instid1(VALU_DEP_1)
	v_cndmask_b32_e64 v98, 0, v103, s0
	v_cmp_lt_i32_e64 s0, v86, v34
	s_wait_alu 0xf1ff
	v_cndmask_b32_e64 v97, 0, v97, s0
	v_cmp_lt_i32_e64 s0, v85, v34
	s_delay_alu instid0(VALU_DEP_2) | instskip(SKIP_1) | instid1(VALU_DEP_2)
	v_or_b32_e32 v102, v98, v97
	s_wait_alu 0xf1ff
	v_cndmask_b32_e64 v12, 0, v12, s0
	v_cmp_lt_i32_e64 s0, v84, v34
	s_wait_alu 0xf1ff
	s_delay_alu instid0(VALU_DEP_1) | instskip(SKIP_1) | instid1(VALU_DEP_2)
	v_cndmask_b32_e64 v0, 0, v0, s0
	v_cmp_lt_i32_e64 s0, v83, v34
	v_or_b32_e32 v98, v12, v0
	s_wait_alu 0xf1ff
	s_delay_alu instid0(VALU_DEP_2) | instskip(SKIP_2) | instid1(VALU_DEP_1)
	v_cndmask_b32_e64 v99, 0, v99, s0
	v_cmp_lt_i32_e64 s0, v82, v34
	s_wait_alu 0xf1ff
	v_cndmask_b32_e64 v87, 0, v87, s0
	v_cmp_lt_i32_e64 s0, v81, v34
	s_delay_alu instid0(VALU_DEP_2) | instskip(SKIP_1) | instid1(VALU_DEP_2)
	v_or_b32_e32 v101, v99, v87
	s_wait_alu 0xf1ff
	v_cndmask_b32_e64 v96, 0, v96, s0
	v_cmp_lt_i32_e64 s0, v80, v34
	s_wait_alu 0xf1ff
	s_delay_alu instid0(VALU_DEP_1) | instskip(NEXT) | instid1(VALU_DEP_1)
	v_cndmask_b32_e64 v11, 0, v11, s0
	v_or_b32_e32 v100, v96, v11
.LBB288_1067:                           ;   in Loop: Header=BB288_934 Depth=1
	s_wait_alu 0xfffe
	s_or_b32 exec_lo, exec_lo, s11
	;;#ASMSTART
	v_pk_mul_f16 v0, v71, v102;

	;;#ASMEND
	;;#ASMSTART
	v_pk_mul_f16 v11, v70, v98;

	;;#ASMEND
	;; [unrolled: 4-line block ×4, first 2 shown]
	;;#ASMSTART
	v_pk_add_f16 v0, v0, v11;

	;;#ASMEND
	;;#ASMSTART
	v_pk_add_f16 v0, v0, v12;

	;;#ASMEND
	;; [unrolled: 4-line block ×3, first 2 shown]
	v_dual_mov_b32 v98, 0 :: v_dual_and_b32 v11, 0xffff, v0
	v_lshrrev_b32_e32 v0, 16, v0
	;;#ASMSTART
	v_cvt_f32_f16 v87, v11;
	;;#ASMEND
	;;#ASMSTART
	v_cvt_f32_f16 v96, v0;
	;;#ASMEND
	flat_load_b64 v[11:12], v[9:10] offset:512
	flat_load_b32 v97, v[26:27]
	s_mov_b32 s11, exec_lo
	s_wait_loadcnt_dscnt 0x101
	v_dual_mov_b32 v99, 0 :: v_dual_and_b32 v0, 0xff, v11
	s_delay_alu instid0(VALU_DEP_1)
	v_cmpx_ne_u16_e32 0, v0
	s_cbranch_execz .LBB288_1075
; %bb.1068:                             ;   in Loop: Header=BB288_934 Depth=1
	v_mov_b32_e32 v99, 0x8000
	s_mov_b32 s14, exec_lo
	v_cmpx_ne_u16_e32 0x80, v0
	s_cbranch_execz .LBB288_1074
; %bb.1069:                             ;   in Loop: Header=BB288_934 Depth=1
	v_and_b32_e32 v100, 0x7f, v11
	v_mov_b32_e32 v99, 0x7c01
	s_mov_b32 s15, exec_lo
	s_delay_alu instid0(VALU_DEP_2)
	v_cmpx_ne_u32_e32 0x7f, v100
	s_cbranch_execz .LBB288_1073
; %bb.1070:                             ;   in Loop: Header=BB288_934 Depth=1
	v_and_b32_e32 v0, 7, v11
	v_lshrrev_b32_e32 v99, 3, v100
	s_mov_b32 s16, exec_lo
	v_cmpx_gt_u32_e32 8, v100
; %bb.1071:                             ;   in Loop: Header=BB288_934 Depth=1
	s_delay_alu instid0(VALU_DEP_3) | instskip(NEXT) | instid1(VALU_DEP_1)
	v_clz_i32_u32_e32 v0, v0
	v_min_u32_e32 v0, 32, v0
	s_delay_alu instid0(VALU_DEP_1) | instskip(NEXT) | instid1(VALU_DEP_1)
	v_subrev_nc_u32_e32 v99, 28, v0
	v_lshlrev_b64_e32 v[100:101], v99, v[11:12]
	v_sub_nc_u32_e32 v99, 29, v0
	s_delay_alu instid0(VALU_DEP_2)
	v_and_b32_e32 v0, 7, v100
; %bb.1072:                             ;   in Loop: Header=BB288_934 Depth=1
	s_wait_alu 0xfffe
	s_or_b32 exec_lo, exec_lo, s16
	v_lshlrev_b32_e32 v100, 8, v11
	v_lshl_add_u32 v99, v99, 10, 0x2000
	v_lshlrev_b32_e32 v0, 7, v0
	s_delay_alu instid0(VALU_DEP_3) | instskip(NEXT) | instid1(VALU_DEP_3)
	v_and_b32_e32 v100, 0x8000, v100
	v_and_b32_e32 v99, 0xfc00, v99
	s_delay_alu instid0(VALU_DEP_1)
	v_or3_b32 v99, v100, v99, v0
.LBB288_1073:                           ;   in Loop: Header=BB288_934 Depth=1
	s_wait_alu 0xfffe
	s_or_b32 exec_lo, exec_lo, s15
.LBB288_1074:                           ;   in Loop: Header=BB288_934 Depth=1
	s_wait_alu 0xfffe
	s_or_b32 exec_lo, exec_lo, s14
.LBB288_1075:                           ;   in Loop: Header=BB288_934 Depth=1
	s_wait_alu 0xfffe
	s_or_b32 exec_lo, exec_lo, s11
	v_lshrrev_b16 v0, 8, v11
	s_mov_b32 s11, exec_lo
	s_delay_alu instid0(VALU_DEP_1)
	v_cmpx_ne_u16_e32 0, v0
	s_cbranch_execz .LBB288_1083
; %bb.1076:                             ;   in Loop: Header=BB288_934 Depth=1
	v_bfrev_b32_e32 v98, 1
	s_mov_b32 s14, exec_lo
	v_cmpx_ne_u16_e32 0x80, v0
	s_cbranch_execz .LBB288_1082
; %bb.1077:                             ;   in Loop: Header=BB288_934 Depth=1
	v_and_b32_e32 v100, 0xffff, v0
	v_mov_b32_e32 v98, 0x7c010000
	s_mov_b32 s15, exec_lo
	s_delay_alu instid0(VALU_DEP_2) | instskip(NEXT) | instid1(VALU_DEP_1)
	v_and_b32_e32 v102, 0x7f, v100
	v_cmpx_ne_u32_e32 0x7f, v102
	s_cbranch_execz .LBB288_1081
; %bb.1078:                             ;   in Loop: Header=BB288_934 Depth=1
	v_and_b32_e32 v98, 7, v100
	v_lshrrev_b32_e32 v101, 3, v102
	s_mov_b32 s16, exec_lo
	v_cmpx_gt_u32_e32 8, v102
; %bb.1079:                             ;   in Loop: Header=BB288_934 Depth=1
	s_delay_alu instid0(VALU_DEP_3) | instskip(NEXT) | instid1(VALU_DEP_1)
	v_clz_i32_u32_e32 v98, v98
	v_min_u32_e32 v98, 32, v98
	s_delay_alu instid0(VALU_DEP_1) | instskip(NEXT) | instid1(VALU_DEP_1)
	v_subrev_nc_u32_e32 v101, 28, v98
	v_lshlrev_b64_e32 v[102:103], v101, v[0:1]
	v_sub_nc_u32_e32 v101, 29, v98
	s_delay_alu instid0(VALU_DEP_2)
	v_and_b32_e32 v98, 7, v102
; %bb.1080:                             ;   in Loop: Header=BB288_934 Depth=1
	s_wait_alu 0xfffe
	s_or_b32 exec_lo, exec_lo, s16
	v_lshlrev_b32_e32 v0, 8, v100
	v_lshl_add_u32 v100, v101, 10, 0x2000
	v_lshlrev_b32_e32 v98, 23, v98
	s_delay_alu instid0(VALU_DEP_2) | instskip(NEXT) | instid1(VALU_DEP_1)
	v_and_or_b32 v0, 0x8000, v0, v100
	v_lshl_or_b32 v98, v0, 16, v98
.LBB288_1081:                           ;   in Loop: Header=BB288_934 Depth=1
	s_wait_alu 0xfffe
	s_or_b32 exec_lo, exec_lo, s15
.LBB288_1082:                           ;   in Loop: Header=BB288_934 Depth=1
	s_wait_alu 0xfffe
	s_or_b32 exec_lo, exec_lo, s14
.LBB288_1083:                           ;   in Loop: Header=BB288_934 Depth=1
	s_wait_alu 0xfffe
	s_or_b32 exec_lo, exec_lo, s11
	v_lshrrev_b32_e32 v0, 16, v11
	v_mov_b32_e32 v100, 0
	s_mov_b32 s11, exec_lo
	s_delay_alu instid0(VALU_DEP_2) | instskip(NEXT) | instid1(VALU_DEP_1)
	v_dual_mov_b32 v101, 0 :: v_dual_and_b32 v102, 0xff, v0
	v_cmpx_ne_u16_e32 0, v102
	s_cbranch_execz .LBB288_1091
; %bb.1084:                             ;   in Loop: Header=BB288_934 Depth=1
	v_mov_b32_e32 v101, 0x8000
	s_mov_b32 s14, exec_lo
	v_cmpx_ne_u16_e32 0x80, v102
	s_cbranch_execz .LBB288_1090
; %bb.1085:                             ;   in Loop: Header=BB288_934 Depth=1
	v_bfe_u32 v103, v11, 16, 7
	v_mov_b32_e32 v101, 0x7c01
	s_mov_b32 s15, exec_lo
	s_delay_alu instid0(VALU_DEP_2)
	v_cmpx_ne_u32_e32 0x7f, v103
	s_cbranch_execz .LBB288_1089
; %bb.1086:                             ;   in Loop: Header=BB288_934 Depth=1
	v_and_b32_e32 v101, 7, v0
	v_lshrrev_b32_e32 v102, 3, v103
	s_mov_b32 s16, exec_lo
	v_cmpx_gt_u32_e32 8, v103
; %bb.1087:                             ;   in Loop: Header=BB288_934 Depth=1
	s_delay_alu instid0(VALU_DEP_3) | instskip(NEXT) | instid1(VALU_DEP_1)
	v_clz_i32_u32_e32 v101, v101
	v_min_u32_e32 v103, 32, v101
	s_delay_alu instid0(VALU_DEP_1) | instskip(NEXT) | instid1(VALU_DEP_1)
	v_subrev_nc_u32_e32 v101, 28, v103
	v_lshlrev_b64_e32 v[101:102], v101, v[0:1]
	v_sub_nc_u32_e32 v102, 29, v103
	s_delay_alu instid0(VALU_DEP_2)
	v_and_b32_e32 v101, 7, v101
; %bb.1088:                             ;   in Loop: Header=BB288_934 Depth=1
	s_wait_alu 0xfffe
	s_or_b32 exec_lo, exec_lo, s16
	v_lshlrev_b32_e32 v0, 8, v0
	v_lshl_add_u32 v102, v102, 10, 0x2000
	v_lshlrev_b32_e32 v101, 7, v101
	s_delay_alu instid0(VALU_DEP_3) | instskip(NEXT) | instid1(VALU_DEP_3)
	v_and_b32_e32 v0, 0x8000, v0
	v_and_b32_e32 v102, 0xfc00, v102
	s_delay_alu instid0(VALU_DEP_1)
	v_or3_b32 v101, v0, v102, v101
.LBB288_1089:                           ;   in Loop: Header=BB288_934 Depth=1
	s_wait_alu 0xfffe
	s_or_b32 exec_lo, exec_lo, s15
.LBB288_1090:                           ;   in Loop: Header=BB288_934 Depth=1
	s_wait_alu 0xfffe
	s_or_b32 exec_lo, exec_lo, s14
.LBB288_1091:                           ;   in Loop: Header=BB288_934 Depth=1
	s_wait_alu 0xfffe
	s_or_b32 exec_lo, exec_lo, s11
	s_delay_alu instid0(SALU_CYCLE_1)
	s_mov_b32 s11, exec_lo
	v_cmpx_lt_u32_e32 0xffffff, v11
	s_cbranch_execz .LBB288_1099
; %bb.1092:                             ;   in Loop: Header=BB288_934 Depth=1
	v_lshrrev_b32_e32 v0, 24, v11
	v_bfrev_b32_e32 v100, 1
	s_mov_b32 s14, exec_lo
	s_delay_alu instid0(VALU_DEP_2)
	v_cmpx_ne_u32_e32 0x80, v0
	s_cbranch_execz .LBB288_1098
; %bb.1093:                             ;   in Loop: Header=BB288_934 Depth=1
	v_and_b32_e32 v103, 0x7f, v0
	v_mov_b32_e32 v100, 0x7c010000
	s_mov_b32 s15, exec_lo
	s_delay_alu instid0(VALU_DEP_2)
	v_cmpx_ne_u32_e32 0x7f, v103
	s_cbranch_execz .LBB288_1097
; %bb.1094:                             ;   in Loop: Header=BB288_934 Depth=1
	v_and_b32_e32 v100, 7, v0
	v_lshrrev_b32_e32 v102, 3, v103
	s_mov_b32 s16, exec_lo
	v_cmpx_gt_u32_e32 8, v103
; %bb.1095:                             ;   in Loop: Header=BB288_934 Depth=1
	s_delay_alu instid0(VALU_DEP_3) | instskip(NEXT) | instid1(VALU_DEP_1)
	v_clz_i32_u32_e32 v100, v100
	v_min_u32_e32 v100, 32, v100
	s_delay_alu instid0(VALU_DEP_1) | instskip(NEXT) | instid1(VALU_DEP_1)
	v_subrev_nc_u32_e32 v102, 28, v100
	v_lshlrev_b64_e32 v[112:113], v102, v[0:1]
	v_sub_nc_u32_e32 v102, 29, v100
	s_delay_alu instid0(VALU_DEP_2)
	v_and_b32_e32 v100, 7, v112
; %bb.1096:                             ;   in Loop: Header=BB288_934 Depth=1
	s_wait_alu 0xfffe
	s_or_b32 exec_lo, exec_lo, s16
	v_lshlrev_b32_e32 v0, 8, v0
	v_lshl_add_u32 v102, v102, 10, 0x2000
	v_lshlrev_b32_e32 v100, 23, v100
	s_delay_alu instid0(VALU_DEP_2) | instskip(NEXT) | instid1(VALU_DEP_1)
	v_and_or_b32 v0, 0x8000, v0, v102
	v_lshl_or_b32 v100, v0, 16, v100
.LBB288_1097:                           ;   in Loop: Header=BB288_934 Depth=1
	s_wait_alu 0xfffe
	s_or_b32 exec_lo, exec_lo, s15
.LBB288_1098:                           ;   in Loop: Header=BB288_934 Depth=1
	s_wait_alu 0xfffe
	s_or_b32 exec_lo, exec_lo, s14
.LBB288_1099:                           ;   in Loop: Header=BB288_934 Depth=1
	s_wait_alu 0xfffe
	s_or_b32 exec_lo, exec_lo, s11
	v_dual_mov_b32 v103, 0 :: v_dual_and_b32 v112, 0xff, v12
	v_mov_b32_e32 v0, v12
	v_mov_b32_e32 v102, 0
	s_mov_b32 s11, exec_lo
	s_delay_alu instid0(VALU_DEP_3)
	v_cmpx_ne_u16_e32 0, v112
	s_cbranch_execz .LBB288_1107
; %bb.1100:                             ;   in Loop: Header=BB288_934 Depth=1
	v_mov_b32_e32 v103, 0x8000
	s_mov_b32 s14, exec_lo
	v_cmpx_ne_u16_e32 0x80, v112
	s_cbranch_execz .LBB288_1106
; %bb.1101:                             ;   in Loop: Header=BB288_934 Depth=1
	v_and_b32_e32 v113, 0x7f, v12
	v_mov_b32_e32 v103, 0x7c01
	s_mov_b32 s15, exec_lo
	s_delay_alu instid0(VALU_DEP_2)
	v_cmpx_ne_u32_e32 0x7f, v113
	s_cbranch_execz .LBB288_1105
; %bb.1102:                             ;   in Loop: Header=BB288_934 Depth=1
	v_and_b32_e32 v103, 7, v12
	v_lshrrev_b32_e32 v112, 3, v113
	s_mov_b32 s16, exec_lo
	v_cmpx_gt_u32_e32 8, v113
; %bb.1103:                             ;   in Loop: Header=BB288_934 Depth=1
	s_delay_alu instid0(VALU_DEP_3) | instskip(NEXT) | instid1(VALU_DEP_1)
	v_clz_i32_u32_e32 v103, v103
	v_min_u32_e32 v103, 32, v103
	s_delay_alu instid0(VALU_DEP_1) | instskip(NEXT) | instid1(VALU_DEP_1)
	v_subrev_nc_u32_e32 v112, 28, v103
	v_lshlrev_b64_e32 v[113:114], v112, v[0:1]
	v_sub_nc_u32_e32 v112, 29, v103
	s_delay_alu instid0(VALU_DEP_2)
	v_and_b32_e32 v103, 7, v113
; %bb.1104:                             ;   in Loop: Header=BB288_934 Depth=1
	s_wait_alu 0xfffe
	s_or_b32 exec_lo, exec_lo, s16
	v_lshlrev_b32_e32 v113, 8, v12
	v_lshl_add_u32 v112, v112, 10, 0x2000
	v_lshlrev_b32_e32 v103, 7, v103
	s_delay_alu instid0(VALU_DEP_3) | instskip(NEXT) | instid1(VALU_DEP_3)
	v_and_b32_e32 v113, 0x8000, v113
	v_and_b32_e32 v112, 0xfc00, v112
	s_delay_alu instid0(VALU_DEP_1)
	v_or3_b32 v103, v113, v112, v103
.LBB288_1105:                           ;   in Loop: Header=BB288_934 Depth=1
	s_wait_alu 0xfffe
	s_or_b32 exec_lo, exec_lo, s15
.LBB288_1106:                           ;   in Loop: Header=BB288_934 Depth=1
	s_wait_alu 0xfffe
	s_or_b32 exec_lo, exec_lo, s14
.LBB288_1107:                           ;   in Loop: Header=BB288_934 Depth=1
	s_wait_alu 0xfffe
	s_or_b32 exec_lo, exec_lo, s11
	v_lshrrev_b16 v0, 8, v0
	v_mov_b32_e32 v112, 0
	s_mov_b32 s11, exec_lo
	s_delay_alu instid0(VALU_DEP_2)
	v_cmpx_ne_u16_e32 0, v0
	s_cbranch_execz .LBB288_1115
; %bb.1108:                             ;   in Loop: Header=BB288_934 Depth=1
	v_bfrev_b32_e32 v112, 1
	s_mov_b32 s14, exec_lo
	v_cmpx_ne_u16_e32 0x80, v0
	s_cbranch_execz .LBB288_1114
; %bb.1109:                             ;   in Loop: Header=BB288_934 Depth=1
	v_and_b32_e32 v113, 0xffff, v0
	v_mov_b32_e32 v112, 0x7c010000
	s_mov_b32 s15, exec_lo
	s_delay_alu instid0(VALU_DEP_2) | instskip(NEXT) | instid1(VALU_DEP_1)
	v_and_b32_e32 v115, 0x7f, v113
	v_cmpx_ne_u32_e32 0x7f, v115
	s_cbranch_execz .LBB288_1113
; %bb.1110:                             ;   in Loop: Header=BB288_934 Depth=1
	v_and_b32_e32 v112, 7, v113
	v_lshrrev_b32_e32 v114, 3, v115
	s_mov_b32 s16, exec_lo
	v_cmpx_gt_u32_e32 8, v115
; %bb.1111:                             ;   in Loop: Header=BB288_934 Depth=1
	s_delay_alu instid0(VALU_DEP_3) | instskip(NEXT) | instid1(VALU_DEP_1)
	v_clz_i32_u32_e32 v112, v112
	v_min_u32_e32 v112, 32, v112
	s_delay_alu instid0(VALU_DEP_1) | instskip(NEXT) | instid1(VALU_DEP_1)
	v_subrev_nc_u32_e32 v114, 28, v112
	v_lshlrev_b64_e32 v[115:116], v114, v[0:1]
	v_sub_nc_u32_e32 v114, 29, v112
	s_delay_alu instid0(VALU_DEP_2)
	v_and_b32_e32 v112, 7, v115
; %bb.1112:                             ;   in Loop: Header=BB288_934 Depth=1
	s_wait_alu 0xfffe
	s_or_b32 exec_lo, exec_lo, s16
	v_lshlrev_b32_e32 v0, 8, v113
	v_lshl_add_u32 v113, v114, 10, 0x2000
	v_lshlrev_b32_e32 v112, 23, v112
	s_delay_alu instid0(VALU_DEP_2) | instskip(NEXT) | instid1(VALU_DEP_1)
	v_and_or_b32 v0, 0x8000, v0, v113
	v_lshl_or_b32 v112, v0, 16, v112
.LBB288_1113:                           ;   in Loop: Header=BB288_934 Depth=1
	s_wait_alu 0xfffe
	s_or_b32 exec_lo, exec_lo, s15
.LBB288_1114:                           ;   in Loop: Header=BB288_934 Depth=1
	s_wait_alu 0xfffe
	s_or_b32 exec_lo, exec_lo, s14
.LBB288_1115:                           ;   in Loop: Header=BB288_934 Depth=1
	s_wait_alu 0xfffe
	s_or_b32 exec_lo, exec_lo, s11
	v_lshrrev_b32_e32 v0, 16, v12
	s_mov_b32 s11, exec_lo
	s_delay_alu instid0(VALU_DEP_1) | instskip(NEXT) | instid1(VALU_DEP_1)
	v_and_b32_e32 v113, 0xff, v0
	v_cmpx_ne_u16_e32 0, v113
	s_cbranch_execz .LBB288_1123
; %bb.1116:                             ;   in Loop: Header=BB288_934 Depth=1
	v_mov_b32_e32 v102, 0x8000
	s_mov_b32 s14, exec_lo
	v_cmpx_ne_u16_e32 0x80, v113
	s_cbranch_execz .LBB288_1122
; %bb.1117:                             ;   in Loop: Header=BB288_934 Depth=1
	v_bfe_u32 v114, v12, 16, 7
	v_mov_b32_e32 v102, 0x7c01
	s_mov_b32 s15, exec_lo
	s_delay_alu instid0(VALU_DEP_2)
	v_cmpx_ne_u32_e32 0x7f, v114
	s_cbranch_execz .LBB288_1121
; %bb.1118:                             ;   in Loop: Header=BB288_934 Depth=1
	v_and_b32_e32 v102, 7, v0
	v_lshrrev_b32_e32 v113, 3, v114
	s_mov_b32 s16, exec_lo
	v_cmpx_gt_u32_e32 8, v114
; %bb.1119:                             ;   in Loop: Header=BB288_934 Depth=1
	s_delay_alu instid0(VALU_DEP_3) | instskip(NEXT) | instid1(VALU_DEP_1)
	v_clz_i32_u32_e32 v102, v102
	v_min_u32_e32 v102, 32, v102
	s_delay_alu instid0(VALU_DEP_1) | instskip(NEXT) | instid1(VALU_DEP_1)
	v_subrev_nc_u32_e32 v113, 28, v102
	v_lshlrev_b64_e32 v[114:115], v113, v[0:1]
	v_sub_nc_u32_e32 v113, 29, v102
	s_delay_alu instid0(VALU_DEP_2)
	v_and_b32_e32 v102, 7, v114
; %bb.1120:                             ;   in Loop: Header=BB288_934 Depth=1
	s_wait_alu 0xfffe
	s_or_b32 exec_lo, exec_lo, s16
	v_lshlrev_b32_e32 v0, 8, v0
	v_lshl_add_u32 v113, v113, 10, 0x2000
	v_lshlrev_b32_e32 v102, 7, v102
	s_delay_alu instid0(VALU_DEP_3) | instskip(NEXT) | instid1(VALU_DEP_3)
	v_and_b32_e32 v0, 0x8000, v0
	v_and_b32_e32 v113, 0xfc00, v113
	s_delay_alu instid0(VALU_DEP_1)
	v_or3_b32 v102, v0, v113, v102
.LBB288_1121:                           ;   in Loop: Header=BB288_934 Depth=1
	s_wait_alu 0xfffe
	s_or_b32 exec_lo, exec_lo, s15
.LBB288_1122:                           ;   in Loop: Header=BB288_934 Depth=1
	s_wait_alu 0xfffe
	s_or_b32 exec_lo, exec_lo, s14
.LBB288_1123:                           ;   in Loop: Header=BB288_934 Depth=1
	s_wait_alu 0xfffe
	s_or_b32 exec_lo, exec_lo, s11
	v_cmp_lt_u64_e64 s0, s[8:9], v[11:12]
	v_mov_b32_e32 v11, 0
	s_and_saveexec_b32 s11, s0
	s_cbranch_execz .LBB288_1131
; %bb.1124:                             ;   in Loop: Header=BB288_934 Depth=1
	v_lshrrev_b32_e32 v0, 24, v12
	v_bfrev_b32_e32 v11, 1
	s_mov_b32 s14, exec_lo
	s_delay_alu instid0(VALU_DEP_2)
	v_cmpx_ne_u32_e32 0x80, v0
	s_cbranch_execz .LBB288_1130
; %bb.1125:                             ;   in Loop: Header=BB288_934 Depth=1
	v_and_b32_e32 v113, 0x7f, v0
	v_mov_b32_e32 v11, 0x7c010000
	s_mov_b32 s15, exec_lo
	s_delay_alu instid0(VALU_DEP_2)
	v_cmpx_ne_u32_e32 0x7f, v113
	s_cbranch_execz .LBB288_1129
; %bb.1126:                             ;   in Loop: Header=BB288_934 Depth=1
	v_and_b32_e32 v11, 7, v0
	v_lshrrev_b32_e32 v12, 3, v113
	s_mov_b32 s16, exec_lo
	v_cmpx_gt_u32_e32 8, v113
; %bb.1127:                             ;   in Loop: Header=BB288_934 Depth=1
	s_delay_alu instid0(VALU_DEP_3) | instskip(NEXT) | instid1(VALU_DEP_1)
	v_clz_i32_u32_e32 v11, v11
	v_min_u32_e32 v113, 32, v11
	s_delay_alu instid0(VALU_DEP_1) | instskip(NEXT) | instid1(VALU_DEP_1)
	v_subrev_nc_u32_e32 v11, 28, v113
	v_lshlrev_b64_e32 v[11:12], v11, v[0:1]
	v_sub_nc_u32_e32 v12, 29, v113
	s_delay_alu instid0(VALU_DEP_2)
	v_and_b32_e32 v11, 7, v11
; %bb.1128:                             ;   in Loop: Header=BB288_934 Depth=1
	s_wait_alu 0xfffe
	s_or_b32 exec_lo, exec_lo, s16
	v_lshlrev_b32_e32 v0, 8, v0
	v_lshl_add_u32 v12, v12, 10, 0x2000
	v_lshlrev_b32_e32 v11, 23, v11
	s_delay_alu instid0(VALU_DEP_2) | instskip(NEXT) | instid1(VALU_DEP_1)
	v_and_or_b32 v0, 0x8000, v0, v12
	v_lshl_or_b32 v11, v0, 16, v11
.LBB288_1129:                           ;   in Loop: Header=BB288_934 Depth=1
	s_wait_alu 0xfffe
	s_or_b32 exec_lo, exec_lo, s15
.LBB288_1130:                           ;   in Loop: Header=BB288_934 Depth=1
	s_wait_alu 0xfffe
	s_or_b32 exec_lo, exec_lo, s14
.LBB288_1131:                           ;   in Loop: Header=BB288_934 Depth=1
	s_wait_alu 0xfffe
	s_or_b32 exec_lo, exec_lo, s11
	v_or_b32_e32 v0, v100, v101
	s_wait_loadcnt_dscnt 0x0
	v_fma_mixlo_f16 v12, v97, v100, 0 op_sel:[0,1,0] op_sel_hi:[0,1,0]
	v_or_b32_e32 v100, v98, v99
	v_fma_mixlo_f16 v98, v97, v98, 0 op_sel:[0,1,0] op_sel_hi:[0,1,0]
	v_or_b32_e32 v101, v112, v103
	v_or_b32_e32 v102, v11, v102
	v_fma_mixlo_f16 v103, v97, v0, 0 op_sel_hi:[0,1,0]
	v_fma_mixlo_f16 v11, v97, v11, 0 op_sel:[0,1,0] op_sel_hi:[0,1,0]
	v_lshlrev_b32_e32 v99, 16, v98
	v_fma_mixlo_f16 v98, v97, v100, 0 op_sel_hi:[0,1,0]
	v_fma_mixlo_f16 v100, v97, v112, 0 op_sel:[0,1,0] op_sel_hi:[0,1,0]
	v_fma_mixlo_f16 v101, v97, v101, 0 op_sel_hi:[0,1,0]
	v_fma_mixlo_f16 v102, v97, v102, 0 op_sel_hi:[0,1,0]
	v_lshlrev_b32_e32 v0, 16, v12
	v_and_b32_e32 v12, 0xffff, v103
	v_and_b32_e32 v113, 0xffff, v98
	v_lshlrev_b32_e32 v97, 16, v100
	v_and_b32_e32 v101, 0xffff, v101
	v_lshlrev_b32_e32 v11, 16, v11
	v_and_b32_e32 v98, 0xffff, v102
	v_or_b32_e32 v100, v0, v12
	v_or_b32_e32 v112, v99, v113
	;; [unrolled: 1-line block ×3, first 2 shown]
	s_delay_alu instid0(VALU_DEP_4)
	v_or_b32_e32 v102, v11, v98
	s_and_saveexec_b32 s11, vcc_lo
	s_cbranch_execz .LBB288_1133
; %bb.1132:                             ;   in Loop: Header=BB288_934 Depth=1
	v_cmp_lt_i32_e64 s0, v17, v34
	s_wait_alu 0xf1ff
	s_delay_alu instid0(VALU_DEP_1) | instskip(SKIP_2) | instid1(VALU_DEP_1)
	v_cndmask_b32_e64 v100, 0, v113, s0
	v_cmp_lt_i32_e64 s0, v86, v34
	s_wait_alu 0xf1ff
	v_cndmask_b32_e64 v99, 0, v99, s0
	v_cmp_lt_i32_e64 s0, v85, v34
	s_delay_alu instid0(VALU_DEP_2) | instskip(SKIP_1) | instid1(VALU_DEP_2)
	v_or_b32_e32 v112, v100, v99
	s_wait_alu 0xf1ff
	v_cndmask_b32_e64 v12, 0, v12, s0
	v_cmp_lt_i32_e64 s0, v84, v34
	s_wait_alu 0xf1ff
	s_delay_alu instid0(VALU_DEP_1) | instskip(SKIP_1) | instid1(VALU_DEP_2)
	v_cndmask_b32_e64 v0, 0, v0, s0
	v_cmp_lt_i32_e64 s0, v83, v34
	v_or_b32_e32 v100, v12, v0
	s_wait_alu 0xf1ff
	s_delay_alu instid0(VALU_DEP_2) | instskip(SKIP_2) | instid1(VALU_DEP_1)
	v_cndmask_b32_e64 v101, 0, v101, s0
	v_cmp_lt_i32_e64 s0, v82, v34
	s_wait_alu 0xf1ff
	v_cndmask_b32_e64 v97, 0, v97, s0
	v_cmp_lt_i32_e64 s0, v81, v34
	s_delay_alu instid0(VALU_DEP_2) | instskip(SKIP_1) | instid1(VALU_DEP_2)
	v_or_b32_e32 v103, v101, v97
	s_wait_alu 0xf1ff
	v_cndmask_b32_e64 v98, 0, v98, s0
	v_cmp_lt_i32_e64 s0, v80, v34
	s_wait_alu 0xf1ff
	s_delay_alu instid0(VALU_DEP_1) | instskip(NEXT) | instid1(VALU_DEP_1)
	v_cndmask_b32_e64 v11, 0, v11, s0
	v_or_b32_e32 v102, v98, v11
.LBB288_1133:                           ;   in Loop: Header=BB288_934 Depth=1
	s_wait_alu 0xfffe
	s_or_b32 exec_lo, exec_lo, s11
	;;#ASMSTART
	v_pk_mul_f16 v0, v71, v112;

	;;#ASMEND
	;;#ASMSTART
	v_pk_mul_f16 v11, v70, v100;

	;;#ASMEND
	;;#ASMSTART
	v_pk_mul_f16 v12, v69, v103;

	;;#ASMEND
	;;#ASMSTART
	v_pk_mul_f16 v97, v54, v102;

	;;#ASMEND
	;;#ASMSTART
	v_pk_add_f16 v0, v0, v11;

	;;#ASMEND
	;;#ASMSTART
	v_pk_add_f16 v0, v0, v12;

	;;#ASMEND
	;; [unrolled: 4-line block ×3, first 2 shown]
	v_dual_mov_b32 v100, 0 :: v_dual_and_b32 v11, 0xffff, v0
	v_lshrrev_b32_e32 v0, 16, v0
	;;#ASMSTART
	v_cvt_f32_f16 v97, v11;
	;;#ASMEND
	;;#ASMSTART
	v_cvt_f32_f16 v98, v0;
	;;#ASMEND
	flat_load_b64 v[11:12], v[9:10] offset:768
	flat_load_b32 v99, v[26:27]
	s_mov_b32 s11, exec_lo
	s_wait_loadcnt_dscnt 0x101
	v_dual_mov_b32 v101, 0 :: v_dual_and_b32 v0, 0xff, v11
	s_delay_alu instid0(VALU_DEP_1)
	v_cmpx_ne_u16_e32 0, v0
	s_cbranch_execz .LBB288_1141
; %bb.1134:                             ;   in Loop: Header=BB288_934 Depth=1
	v_mov_b32_e32 v101, 0x8000
	s_mov_b32 s14, exec_lo
	v_cmpx_ne_u16_e32 0x80, v0
	s_cbranch_execz .LBB288_1140
; %bb.1135:                             ;   in Loop: Header=BB288_934 Depth=1
	v_and_b32_e32 v102, 0x7f, v11
	v_mov_b32_e32 v101, 0x7c01
	s_mov_b32 s15, exec_lo
	s_delay_alu instid0(VALU_DEP_2)
	v_cmpx_ne_u32_e32 0x7f, v102
	s_cbranch_execz .LBB288_1139
; %bb.1136:                             ;   in Loop: Header=BB288_934 Depth=1
	v_and_b32_e32 v0, 7, v11
	v_lshrrev_b32_e32 v101, 3, v102
	s_mov_b32 s16, exec_lo
	v_cmpx_gt_u32_e32 8, v102
; %bb.1137:                             ;   in Loop: Header=BB288_934 Depth=1
	s_delay_alu instid0(VALU_DEP_3) | instskip(NEXT) | instid1(VALU_DEP_1)
	v_clz_i32_u32_e32 v0, v0
	v_min_u32_e32 v0, 32, v0
	s_delay_alu instid0(VALU_DEP_1) | instskip(NEXT) | instid1(VALU_DEP_1)
	v_subrev_nc_u32_e32 v101, 28, v0
	v_lshlrev_b64_e32 v[102:103], v101, v[11:12]
	v_sub_nc_u32_e32 v101, 29, v0
	s_delay_alu instid0(VALU_DEP_2)
	v_and_b32_e32 v0, 7, v102
; %bb.1138:                             ;   in Loop: Header=BB288_934 Depth=1
	s_wait_alu 0xfffe
	s_or_b32 exec_lo, exec_lo, s16
	v_lshlrev_b32_e32 v102, 8, v11
	v_lshl_add_u32 v101, v101, 10, 0x2000
	v_lshlrev_b32_e32 v0, 7, v0
	s_delay_alu instid0(VALU_DEP_3) | instskip(NEXT) | instid1(VALU_DEP_3)
	v_and_b32_e32 v102, 0x8000, v102
	v_and_b32_e32 v101, 0xfc00, v101
	s_delay_alu instid0(VALU_DEP_1)
	v_or3_b32 v101, v102, v101, v0
.LBB288_1139:                           ;   in Loop: Header=BB288_934 Depth=1
	s_wait_alu 0xfffe
	s_or_b32 exec_lo, exec_lo, s15
.LBB288_1140:                           ;   in Loop: Header=BB288_934 Depth=1
	s_wait_alu 0xfffe
	s_or_b32 exec_lo, exec_lo, s14
.LBB288_1141:                           ;   in Loop: Header=BB288_934 Depth=1
	s_wait_alu 0xfffe
	s_or_b32 exec_lo, exec_lo, s11
	v_lshrrev_b16 v0, 8, v11
	s_mov_b32 s11, exec_lo
	s_delay_alu instid0(VALU_DEP_1)
	v_cmpx_ne_u16_e32 0, v0
	s_cbranch_execz .LBB288_1149
; %bb.1142:                             ;   in Loop: Header=BB288_934 Depth=1
	v_bfrev_b32_e32 v100, 1
	s_mov_b32 s14, exec_lo
	v_cmpx_ne_u16_e32 0x80, v0
	s_cbranch_execz .LBB288_1148
; %bb.1143:                             ;   in Loop: Header=BB288_934 Depth=1
	v_and_b32_e32 v102, 0xffff, v0
	v_mov_b32_e32 v100, 0x7c010000
	s_mov_b32 s15, exec_lo
	s_delay_alu instid0(VALU_DEP_2) | instskip(NEXT) | instid1(VALU_DEP_1)
	v_and_b32_e32 v112, 0x7f, v102
	v_cmpx_ne_u32_e32 0x7f, v112
	s_cbranch_execz .LBB288_1147
; %bb.1144:                             ;   in Loop: Header=BB288_934 Depth=1
	v_and_b32_e32 v100, 7, v102
	v_lshrrev_b32_e32 v103, 3, v112
	s_mov_b32 s16, exec_lo
	v_cmpx_gt_u32_e32 8, v112
; %bb.1145:                             ;   in Loop: Header=BB288_934 Depth=1
	s_delay_alu instid0(VALU_DEP_3) | instskip(NEXT) | instid1(VALU_DEP_1)
	v_clz_i32_u32_e32 v100, v100
	v_min_u32_e32 v100, 32, v100
	s_delay_alu instid0(VALU_DEP_1) | instskip(NEXT) | instid1(VALU_DEP_1)
	v_subrev_nc_u32_e32 v103, 28, v100
	v_lshlrev_b64_e32 v[112:113], v103, v[0:1]
	v_sub_nc_u32_e32 v103, 29, v100
	s_delay_alu instid0(VALU_DEP_2)
	v_and_b32_e32 v100, 7, v112
; %bb.1146:                             ;   in Loop: Header=BB288_934 Depth=1
	s_wait_alu 0xfffe
	s_or_b32 exec_lo, exec_lo, s16
	v_lshlrev_b32_e32 v0, 8, v102
	v_lshl_add_u32 v102, v103, 10, 0x2000
	v_lshlrev_b32_e32 v100, 23, v100
	s_delay_alu instid0(VALU_DEP_2) | instskip(NEXT) | instid1(VALU_DEP_1)
	v_and_or_b32 v0, 0x8000, v0, v102
	v_lshl_or_b32 v100, v0, 16, v100
.LBB288_1147:                           ;   in Loop: Header=BB288_934 Depth=1
	s_wait_alu 0xfffe
	s_or_b32 exec_lo, exec_lo, s15
.LBB288_1148:                           ;   in Loop: Header=BB288_934 Depth=1
	s_wait_alu 0xfffe
	s_or_b32 exec_lo, exec_lo, s14
.LBB288_1149:                           ;   in Loop: Header=BB288_934 Depth=1
	s_wait_alu 0xfffe
	s_or_b32 exec_lo, exec_lo, s11
	v_lshrrev_b32_e32 v0, 16, v11
	v_mov_b32_e32 v102, 0
	s_mov_b32 s11, exec_lo
	s_delay_alu instid0(VALU_DEP_2) | instskip(NEXT) | instid1(VALU_DEP_1)
	v_dual_mov_b32 v103, 0 :: v_dual_and_b32 v112, 0xff, v0
	v_cmpx_ne_u16_e32 0, v112
	s_cbranch_execz .LBB288_1157
; %bb.1150:                             ;   in Loop: Header=BB288_934 Depth=1
	v_mov_b32_e32 v103, 0x8000
	s_mov_b32 s14, exec_lo
	v_cmpx_ne_u16_e32 0x80, v112
	s_cbranch_execz .LBB288_1156
; %bb.1151:                             ;   in Loop: Header=BB288_934 Depth=1
	v_bfe_u32 v113, v11, 16, 7
	v_mov_b32_e32 v103, 0x7c01
	s_mov_b32 s15, exec_lo
	s_delay_alu instid0(VALU_DEP_2)
	v_cmpx_ne_u32_e32 0x7f, v113
	s_cbranch_execz .LBB288_1155
; %bb.1152:                             ;   in Loop: Header=BB288_934 Depth=1
	v_and_b32_e32 v103, 7, v0
	v_lshrrev_b32_e32 v112, 3, v113
	s_mov_b32 s16, exec_lo
	v_cmpx_gt_u32_e32 8, v113
; %bb.1153:                             ;   in Loop: Header=BB288_934 Depth=1
	s_delay_alu instid0(VALU_DEP_3) | instskip(NEXT) | instid1(VALU_DEP_1)
	v_clz_i32_u32_e32 v103, v103
	v_min_u32_e32 v103, 32, v103
	s_delay_alu instid0(VALU_DEP_1) | instskip(NEXT) | instid1(VALU_DEP_1)
	v_subrev_nc_u32_e32 v112, 28, v103
	v_lshlrev_b64_e32 v[113:114], v112, v[0:1]
	v_sub_nc_u32_e32 v112, 29, v103
	s_delay_alu instid0(VALU_DEP_2)
	v_and_b32_e32 v103, 7, v113
; %bb.1154:                             ;   in Loop: Header=BB288_934 Depth=1
	s_wait_alu 0xfffe
	s_or_b32 exec_lo, exec_lo, s16
	v_lshlrev_b32_e32 v0, 8, v0
	v_lshl_add_u32 v112, v112, 10, 0x2000
	v_lshlrev_b32_e32 v103, 7, v103
	s_delay_alu instid0(VALU_DEP_3) | instskip(NEXT) | instid1(VALU_DEP_3)
	v_and_b32_e32 v0, 0x8000, v0
	v_and_b32_e32 v112, 0xfc00, v112
	s_delay_alu instid0(VALU_DEP_1)
	v_or3_b32 v103, v0, v112, v103
.LBB288_1155:                           ;   in Loop: Header=BB288_934 Depth=1
	s_wait_alu 0xfffe
	s_or_b32 exec_lo, exec_lo, s15
.LBB288_1156:                           ;   in Loop: Header=BB288_934 Depth=1
	s_wait_alu 0xfffe
	s_or_b32 exec_lo, exec_lo, s14
.LBB288_1157:                           ;   in Loop: Header=BB288_934 Depth=1
	s_wait_alu 0xfffe
	s_or_b32 exec_lo, exec_lo, s11
	s_delay_alu instid0(SALU_CYCLE_1)
	s_mov_b32 s11, exec_lo
	v_cmpx_lt_u32_e32 0xffffff, v11
	s_cbranch_execz .LBB288_1165
; %bb.1158:                             ;   in Loop: Header=BB288_934 Depth=1
	v_lshrrev_b32_e32 v0, 24, v11
	v_bfrev_b32_e32 v102, 1
	s_mov_b32 s14, exec_lo
	s_delay_alu instid0(VALU_DEP_2)
	v_cmpx_ne_u32_e32 0x80, v0
	s_cbranch_execz .LBB288_1164
; %bb.1159:                             ;   in Loop: Header=BB288_934 Depth=1
	v_and_b32_e32 v113, 0x7f, v0
	v_mov_b32_e32 v102, 0x7c010000
	s_mov_b32 s15, exec_lo
	s_delay_alu instid0(VALU_DEP_2)
	v_cmpx_ne_u32_e32 0x7f, v113
	s_cbranch_execz .LBB288_1163
; %bb.1160:                             ;   in Loop: Header=BB288_934 Depth=1
	v_and_b32_e32 v102, 7, v0
	v_lshrrev_b32_e32 v112, 3, v113
	s_mov_b32 s16, exec_lo
	v_cmpx_gt_u32_e32 8, v113
; %bb.1161:                             ;   in Loop: Header=BB288_934 Depth=1
	s_delay_alu instid0(VALU_DEP_3) | instskip(NEXT) | instid1(VALU_DEP_1)
	v_clz_i32_u32_e32 v102, v102
	v_min_u32_e32 v102, 32, v102
	s_delay_alu instid0(VALU_DEP_1) | instskip(NEXT) | instid1(VALU_DEP_1)
	v_subrev_nc_u32_e32 v112, 28, v102
	v_lshlrev_b64_e32 v[113:114], v112, v[0:1]
	v_sub_nc_u32_e32 v112, 29, v102
	s_delay_alu instid0(VALU_DEP_2)
	v_and_b32_e32 v102, 7, v113
; %bb.1162:                             ;   in Loop: Header=BB288_934 Depth=1
	s_wait_alu 0xfffe
	s_or_b32 exec_lo, exec_lo, s16
	v_lshlrev_b32_e32 v0, 8, v0
	v_lshl_add_u32 v112, v112, 10, 0x2000
	v_lshlrev_b32_e32 v102, 23, v102
	s_delay_alu instid0(VALU_DEP_2) | instskip(NEXT) | instid1(VALU_DEP_1)
	v_and_or_b32 v0, 0x8000, v0, v112
	v_lshl_or_b32 v102, v0, 16, v102
.LBB288_1163:                           ;   in Loop: Header=BB288_934 Depth=1
	s_wait_alu 0xfffe
	s_or_b32 exec_lo, exec_lo, s15
.LBB288_1164:                           ;   in Loop: Header=BB288_934 Depth=1
	s_wait_alu 0xfffe
	s_or_b32 exec_lo, exec_lo, s14
.LBB288_1165:                           ;   in Loop: Header=BB288_934 Depth=1
	s_wait_alu 0xfffe
	s_or_b32 exec_lo, exec_lo, s11
	v_dual_mov_b32 v113, 0 :: v_dual_and_b32 v114, 0xff, v12
	v_mov_b32_e32 v0, v12
	v_mov_b32_e32 v112, 0
	s_mov_b32 s11, exec_lo
	s_delay_alu instid0(VALU_DEP_3)
	v_cmpx_ne_u16_e32 0, v114
	s_cbranch_execz .LBB288_1173
; %bb.1166:                             ;   in Loop: Header=BB288_934 Depth=1
	v_mov_b32_e32 v113, 0x8000
	s_mov_b32 s14, exec_lo
	v_cmpx_ne_u16_e32 0x80, v114
	s_cbranch_execz .LBB288_1172
; %bb.1167:                             ;   in Loop: Header=BB288_934 Depth=1
	v_and_b32_e32 v115, 0x7f, v12
	v_mov_b32_e32 v113, 0x7c01
	s_mov_b32 s15, exec_lo
	s_delay_alu instid0(VALU_DEP_2)
	v_cmpx_ne_u32_e32 0x7f, v115
	s_cbranch_execz .LBB288_1171
; %bb.1168:                             ;   in Loop: Header=BB288_934 Depth=1
	v_and_b32_e32 v113, 7, v12
	v_lshrrev_b32_e32 v114, 3, v115
	s_mov_b32 s16, exec_lo
	v_cmpx_gt_u32_e32 8, v115
; %bb.1169:                             ;   in Loop: Header=BB288_934 Depth=1
	s_delay_alu instid0(VALU_DEP_3) | instskip(NEXT) | instid1(VALU_DEP_1)
	v_clz_i32_u32_e32 v113, v113
	v_min_u32_e32 v115, 32, v113
	s_delay_alu instid0(VALU_DEP_1) | instskip(NEXT) | instid1(VALU_DEP_1)
	v_subrev_nc_u32_e32 v113, 28, v115
	v_lshlrev_b64_e32 v[113:114], v113, v[0:1]
	v_sub_nc_u32_e32 v114, 29, v115
	s_delay_alu instid0(VALU_DEP_2)
	v_and_b32_e32 v113, 7, v113
; %bb.1170:                             ;   in Loop: Header=BB288_934 Depth=1
	s_wait_alu 0xfffe
	s_or_b32 exec_lo, exec_lo, s16
	v_lshlrev_b32_e32 v115, 8, v12
	v_lshl_add_u32 v114, v114, 10, 0x2000
	v_lshlrev_b32_e32 v113, 7, v113
	s_delay_alu instid0(VALU_DEP_3) | instskip(NEXT) | instid1(VALU_DEP_3)
	v_and_b32_e32 v115, 0x8000, v115
	v_and_b32_e32 v114, 0xfc00, v114
	s_delay_alu instid0(VALU_DEP_1)
	v_or3_b32 v113, v115, v114, v113
.LBB288_1171:                           ;   in Loop: Header=BB288_934 Depth=1
	s_wait_alu 0xfffe
	s_or_b32 exec_lo, exec_lo, s15
.LBB288_1172:                           ;   in Loop: Header=BB288_934 Depth=1
	s_wait_alu 0xfffe
	s_or_b32 exec_lo, exec_lo, s14
.LBB288_1173:                           ;   in Loop: Header=BB288_934 Depth=1
	s_wait_alu 0xfffe
	s_or_b32 exec_lo, exec_lo, s11
	v_lshrrev_b16 v0, 8, v0
	v_mov_b32_e32 v114, 0
	s_mov_b32 s11, exec_lo
	s_delay_alu instid0(VALU_DEP_2)
	v_cmpx_ne_u16_e32 0, v0
	s_cbranch_execz .LBB288_1181
; %bb.1174:                             ;   in Loop: Header=BB288_934 Depth=1
	v_bfrev_b32_e32 v114, 1
	s_mov_b32 s14, exec_lo
	v_cmpx_ne_u16_e32 0x80, v0
	s_cbranch_execz .LBB288_1180
; %bb.1175:                             ;   in Loop: Header=BB288_934 Depth=1
	v_and_b32_e32 v115, 0xffff, v0
	v_mov_b32_e32 v114, 0x7c010000
	s_mov_b32 s15, exec_lo
	s_delay_alu instid0(VALU_DEP_2) | instskip(NEXT) | instid1(VALU_DEP_1)
	v_and_b32_e32 v117, 0x7f, v115
	v_cmpx_ne_u32_e32 0x7f, v117
	s_cbranch_execz .LBB288_1179
; %bb.1176:                             ;   in Loop: Header=BB288_934 Depth=1
	v_and_b32_e32 v114, 7, v115
	v_lshrrev_b32_e32 v116, 3, v117
	s_mov_b32 s16, exec_lo
	v_cmpx_gt_u32_e32 8, v117
; %bb.1177:                             ;   in Loop: Header=BB288_934 Depth=1
	s_delay_alu instid0(VALU_DEP_3) | instskip(NEXT) | instid1(VALU_DEP_1)
	v_clz_i32_u32_e32 v114, v114
	v_min_u32_e32 v114, 32, v114
	s_delay_alu instid0(VALU_DEP_1) | instskip(NEXT) | instid1(VALU_DEP_1)
	v_subrev_nc_u32_e32 v116, 28, v114
	v_lshlrev_b64_e32 v[117:118], v116, v[0:1]
	v_sub_nc_u32_e32 v116, 29, v114
	s_delay_alu instid0(VALU_DEP_2)
	v_and_b32_e32 v114, 7, v117
; %bb.1178:                             ;   in Loop: Header=BB288_934 Depth=1
	s_wait_alu 0xfffe
	s_or_b32 exec_lo, exec_lo, s16
	v_lshlrev_b32_e32 v0, 8, v115
	v_lshl_add_u32 v115, v116, 10, 0x2000
	v_lshlrev_b32_e32 v114, 23, v114
	s_delay_alu instid0(VALU_DEP_2) | instskip(NEXT) | instid1(VALU_DEP_1)
	v_and_or_b32 v0, 0x8000, v0, v115
	v_lshl_or_b32 v114, v0, 16, v114
.LBB288_1179:                           ;   in Loop: Header=BB288_934 Depth=1
	s_wait_alu 0xfffe
	s_or_b32 exec_lo, exec_lo, s15
.LBB288_1180:                           ;   in Loop: Header=BB288_934 Depth=1
	s_wait_alu 0xfffe
	s_or_b32 exec_lo, exec_lo, s14
.LBB288_1181:                           ;   in Loop: Header=BB288_934 Depth=1
	s_wait_alu 0xfffe
	s_or_b32 exec_lo, exec_lo, s11
	v_lshrrev_b32_e32 v0, 16, v12
	s_mov_b32 s11, exec_lo
	s_delay_alu instid0(VALU_DEP_1) | instskip(NEXT) | instid1(VALU_DEP_1)
	v_and_b32_e32 v115, 0xff, v0
	v_cmpx_ne_u16_e32 0, v115
	s_cbranch_execz .LBB288_1189
; %bb.1182:                             ;   in Loop: Header=BB288_934 Depth=1
	v_mov_b32_e32 v112, 0x8000
	s_mov_b32 s14, exec_lo
	v_cmpx_ne_u16_e32 0x80, v115
	s_cbranch_execz .LBB288_1188
; %bb.1183:                             ;   in Loop: Header=BB288_934 Depth=1
	v_bfe_u32 v116, v12, 16, 7
	v_mov_b32_e32 v112, 0x7c01
	s_mov_b32 s15, exec_lo
	s_delay_alu instid0(VALU_DEP_2)
	v_cmpx_ne_u32_e32 0x7f, v116
	s_cbranch_execz .LBB288_1187
; %bb.1184:                             ;   in Loop: Header=BB288_934 Depth=1
	v_and_b32_e32 v112, 7, v0
	v_lshrrev_b32_e32 v115, 3, v116
	s_mov_b32 s16, exec_lo
	v_cmpx_gt_u32_e32 8, v116
; %bb.1185:                             ;   in Loop: Header=BB288_934 Depth=1
	s_delay_alu instid0(VALU_DEP_3) | instskip(NEXT) | instid1(VALU_DEP_1)
	v_clz_i32_u32_e32 v112, v112
	v_min_u32_e32 v112, 32, v112
	s_delay_alu instid0(VALU_DEP_1) | instskip(NEXT) | instid1(VALU_DEP_1)
	v_subrev_nc_u32_e32 v115, 28, v112
	v_lshlrev_b64_e32 v[116:117], v115, v[0:1]
	v_sub_nc_u32_e32 v115, 29, v112
	s_delay_alu instid0(VALU_DEP_2)
	v_and_b32_e32 v112, 7, v116
; %bb.1186:                             ;   in Loop: Header=BB288_934 Depth=1
	s_wait_alu 0xfffe
	s_or_b32 exec_lo, exec_lo, s16
	v_lshlrev_b32_e32 v0, 8, v0
	v_lshl_add_u32 v115, v115, 10, 0x2000
	v_lshlrev_b32_e32 v112, 7, v112
	s_delay_alu instid0(VALU_DEP_3) | instskip(NEXT) | instid1(VALU_DEP_3)
	v_and_b32_e32 v0, 0x8000, v0
	v_and_b32_e32 v115, 0xfc00, v115
	s_delay_alu instid0(VALU_DEP_1)
	v_or3_b32 v112, v0, v115, v112
.LBB288_1187:                           ;   in Loop: Header=BB288_934 Depth=1
	s_wait_alu 0xfffe
	s_or_b32 exec_lo, exec_lo, s15
.LBB288_1188:                           ;   in Loop: Header=BB288_934 Depth=1
	s_wait_alu 0xfffe
	s_or_b32 exec_lo, exec_lo, s14
.LBB288_1189:                           ;   in Loop: Header=BB288_934 Depth=1
	s_wait_alu 0xfffe
	s_or_b32 exec_lo, exec_lo, s11
	v_cmp_lt_u64_e64 s0, s[8:9], v[11:12]
	v_mov_b32_e32 v11, 0
	s_and_saveexec_b32 s11, s0
	s_cbranch_execz .LBB288_1197
; %bb.1190:                             ;   in Loop: Header=BB288_934 Depth=1
	v_lshrrev_b32_e32 v0, 24, v12
	v_bfrev_b32_e32 v11, 1
	s_mov_b32 s14, exec_lo
	s_delay_alu instid0(VALU_DEP_2)
	v_cmpx_ne_u32_e32 0x80, v0
	s_cbranch_execz .LBB288_1196
; %bb.1191:                             ;   in Loop: Header=BB288_934 Depth=1
	v_and_b32_e32 v115, 0x7f, v0
	v_mov_b32_e32 v11, 0x7c010000
	s_mov_b32 s15, exec_lo
	s_delay_alu instid0(VALU_DEP_2)
	v_cmpx_ne_u32_e32 0x7f, v115
	s_cbranch_execz .LBB288_1195
; %bb.1192:                             ;   in Loop: Header=BB288_934 Depth=1
	v_and_b32_e32 v11, 7, v0
	v_lshrrev_b32_e32 v12, 3, v115
	s_mov_b32 s16, exec_lo
	v_cmpx_gt_u32_e32 8, v115
; %bb.1193:                             ;   in Loop: Header=BB288_934 Depth=1
	s_delay_alu instid0(VALU_DEP_3) | instskip(NEXT) | instid1(VALU_DEP_1)
	v_clz_i32_u32_e32 v11, v11
	v_min_u32_e32 v115, 32, v11
	s_delay_alu instid0(VALU_DEP_1) | instskip(NEXT) | instid1(VALU_DEP_1)
	v_subrev_nc_u32_e32 v11, 28, v115
	v_lshlrev_b64_e32 v[11:12], v11, v[0:1]
	v_sub_nc_u32_e32 v12, 29, v115
	s_delay_alu instid0(VALU_DEP_2)
	v_and_b32_e32 v11, 7, v11
; %bb.1194:                             ;   in Loop: Header=BB288_934 Depth=1
	s_wait_alu 0xfffe
	s_or_b32 exec_lo, exec_lo, s16
	v_lshlrev_b32_e32 v0, 8, v0
	v_lshl_add_u32 v12, v12, 10, 0x2000
	v_lshlrev_b32_e32 v11, 23, v11
	s_delay_alu instid0(VALU_DEP_2) | instskip(NEXT) | instid1(VALU_DEP_1)
	v_and_or_b32 v0, 0x8000, v0, v12
	v_lshl_or_b32 v11, v0, 16, v11
.LBB288_1195:                           ;   in Loop: Header=BB288_934 Depth=1
	s_wait_alu 0xfffe
	s_or_b32 exec_lo, exec_lo, s15
.LBB288_1196:                           ;   in Loop: Header=BB288_934 Depth=1
	s_wait_alu 0xfffe
	s_or_b32 exec_lo, exec_lo, s14
.LBB288_1197:                           ;   in Loop: Header=BB288_934 Depth=1
	s_wait_alu 0xfffe
	s_or_b32 exec_lo, exec_lo, s11
	v_or_b32_e32 v0, v102, v103
	s_wait_loadcnt_dscnt 0x0
	v_fma_mixlo_f16 v12, v99, v102, 0 op_sel:[0,1,0] op_sel_hi:[0,1,0]
	v_or_b32_e32 v102, v100, v101
	v_fma_mixlo_f16 v100, v99, v100, 0 op_sel:[0,1,0] op_sel_hi:[0,1,0]
	v_or_b32_e32 v103, v114, v113
	v_or_b32_e32 v112, v11, v112
	v_fma_mixlo_f16 v113, v99, v0, 0 op_sel_hi:[0,1,0]
	v_fma_mixlo_f16 v11, v99, v11, 0 op_sel:[0,1,0] op_sel_hi:[0,1,0]
	v_lshlrev_b32_e32 v101, 16, v100
	v_fma_mixlo_f16 v100, v99, v102, 0 op_sel_hi:[0,1,0]
	v_fma_mixlo_f16 v102, v99, v114, 0 op_sel:[0,1,0] op_sel_hi:[0,1,0]
	v_fma_mixlo_f16 v103, v99, v103, 0 op_sel_hi:[0,1,0]
	v_fma_mixlo_f16 v112, v99, v112, 0 op_sel_hi:[0,1,0]
	v_lshlrev_b32_e32 v0, 16, v12
	v_and_b32_e32 v12, 0xffff, v113
	v_and_b32_e32 v115, 0xffff, v100
	v_lshlrev_b32_e32 v99, 16, v102
	v_and_b32_e32 v103, 0xffff, v103
	v_lshlrev_b32_e32 v11, 16, v11
	v_and_b32_e32 v100, 0xffff, v112
	v_or_b32_e32 v102, v0, v12
	v_or_b32_e32 v114, v101, v115
	;; [unrolled: 1-line block ×3, first 2 shown]
	s_delay_alu instid0(VALU_DEP_4)
	v_or_b32_e32 v112, v11, v100
	s_and_saveexec_b32 s11, vcc_lo
	s_cbranch_execz .LBB288_1199
; %bb.1198:                             ;   in Loop: Header=BB288_934 Depth=1
	v_cmp_lt_i32_e64 s0, v17, v34
	s_wait_alu 0xf1ff
	s_delay_alu instid0(VALU_DEP_1) | instskip(SKIP_2) | instid1(VALU_DEP_1)
	v_cndmask_b32_e64 v102, 0, v115, s0
	v_cmp_lt_i32_e64 s0, v86, v34
	s_wait_alu 0xf1ff
	v_cndmask_b32_e64 v101, 0, v101, s0
	v_cmp_lt_i32_e64 s0, v85, v34
	s_delay_alu instid0(VALU_DEP_2) | instskip(SKIP_1) | instid1(VALU_DEP_2)
	v_or_b32_e32 v114, v102, v101
	s_wait_alu 0xf1ff
	v_cndmask_b32_e64 v12, 0, v12, s0
	v_cmp_lt_i32_e64 s0, v84, v34
	s_wait_alu 0xf1ff
	s_delay_alu instid0(VALU_DEP_1) | instskip(SKIP_1) | instid1(VALU_DEP_2)
	v_cndmask_b32_e64 v0, 0, v0, s0
	v_cmp_lt_i32_e64 s0, v83, v34
	v_or_b32_e32 v102, v12, v0
	s_wait_alu 0xf1ff
	s_delay_alu instid0(VALU_DEP_2) | instskip(SKIP_2) | instid1(VALU_DEP_1)
	v_cndmask_b32_e64 v103, 0, v103, s0
	v_cmp_lt_i32_e64 s0, v82, v34
	s_wait_alu 0xf1ff
	v_cndmask_b32_e64 v99, 0, v99, s0
	v_cmp_lt_i32_e64 s0, v81, v34
	s_delay_alu instid0(VALU_DEP_2) | instskip(SKIP_1) | instid1(VALU_DEP_2)
	v_or_b32_e32 v113, v103, v99
	s_wait_alu 0xf1ff
	v_cndmask_b32_e64 v100, 0, v100, s0
	v_cmp_lt_i32_e64 s0, v80, v34
	s_wait_alu 0xf1ff
	s_delay_alu instid0(VALU_DEP_1) | instskip(NEXT) | instid1(VALU_DEP_1)
	v_cndmask_b32_e64 v11, 0, v11, s0
	v_or_b32_e32 v112, v100, v11
.LBB288_1199:                           ;   in Loop: Header=BB288_934 Depth=1
	s_wait_alu 0xfffe
	s_or_b32 exec_lo, exec_lo, s11
	;;#ASMSTART
	v_pk_mul_f16 v0, v71, v114;

	;;#ASMEND
	;;#ASMSTART
	v_pk_mul_f16 v11, v70, v102;

	;;#ASMEND
	;; [unrolled: 4-line block ×4, first 2 shown]
	;;#ASMSTART
	v_pk_add_f16 v0, v0, v11;

	;;#ASMEND
	;;#ASMSTART
	v_pk_add_f16 v0, v0, v12;

	;;#ASMEND
	;; [unrolled: 4-line block ×3, first 2 shown]
	v_dual_mov_b32 v102, 0 :: v_dual_and_b32 v11, 0xffff, v0
	v_lshrrev_b32_e32 v0, 16, v0
	;;#ASMSTART
	v_cvt_f32_f16 v99, v11;
	;;#ASMEND
	;;#ASMSTART
	v_cvt_f32_f16 v100, v0;
	;;#ASMEND
	flat_load_b64 v[11:12], v[9:10] offset:1024
	flat_load_b32 v101, v[26:27]
	s_mov_b32 s11, exec_lo
	s_wait_loadcnt_dscnt 0x101
	v_dual_mov_b32 v103, 0 :: v_dual_and_b32 v0, 0xff, v11
	s_delay_alu instid0(VALU_DEP_1)
	v_cmpx_ne_u16_e32 0, v0
	s_cbranch_execz .LBB288_1207
; %bb.1200:                             ;   in Loop: Header=BB288_934 Depth=1
	v_mov_b32_e32 v103, 0x8000
	s_mov_b32 s14, exec_lo
	v_cmpx_ne_u16_e32 0x80, v0
	s_cbranch_execz .LBB288_1206
; %bb.1201:                             ;   in Loop: Header=BB288_934 Depth=1
	v_and_b32_e32 v112, 0x7f, v11
	v_mov_b32_e32 v103, 0x7c01
	s_mov_b32 s15, exec_lo
	s_delay_alu instid0(VALU_DEP_2)
	v_cmpx_ne_u32_e32 0x7f, v112
	s_cbranch_execz .LBB288_1205
; %bb.1202:                             ;   in Loop: Header=BB288_934 Depth=1
	v_and_b32_e32 v0, 7, v11
	v_lshrrev_b32_e32 v103, 3, v112
	s_mov_b32 s16, exec_lo
	v_cmpx_gt_u32_e32 8, v112
; %bb.1203:                             ;   in Loop: Header=BB288_934 Depth=1
	s_delay_alu instid0(VALU_DEP_3) | instskip(NEXT) | instid1(VALU_DEP_1)
	v_clz_i32_u32_e32 v0, v0
	v_min_u32_e32 v0, 32, v0
	s_delay_alu instid0(VALU_DEP_1) | instskip(NEXT) | instid1(VALU_DEP_1)
	v_subrev_nc_u32_e32 v103, 28, v0
	v_lshlrev_b64_e32 v[112:113], v103, v[11:12]
	v_sub_nc_u32_e32 v103, 29, v0
	s_delay_alu instid0(VALU_DEP_2)
	v_and_b32_e32 v0, 7, v112
; %bb.1204:                             ;   in Loop: Header=BB288_934 Depth=1
	s_wait_alu 0xfffe
	s_or_b32 exec_lo, exec_lo, s16
	v_lshlrev_b32_e32 v112, 8, v11
	v_lshl_add_u32 v103, v103, 10, 0x2000
	v_lshlrev_b32_e32 v0, 7, v0
	s_delay_alu instid0(VALU_DEP_3) | instskip(NEXT) | instid1(VALU_DEP_3)
	v_and_b32_e32 v112, 0x8000, v112
	v_and_b32_e32 v103, 0xfc00, v103
	s_delay_alu instid0(VALU_DEP_1)
	v_or3_b32 v103, v112, v103, v0
.LBB288_1205:                           ;   in Loop: Header=BB288_934 Depth=1
	s_wait_alu 0xfffe
	s_or_b32 exec_lo, exec_lo, s15
.LBB288_1206:                           ;   in Loop: Header=BB288_934 Depth=1
	s_wait_alu 0xfffe
	s_or_b32 exec_lo, exec_lo, s14
.LBB288_1207:                           ;   in Loop: Header=BB288_934 Depth=1
	s_wait_alu 0xfffe
	s_or_b32 exec_lo, exec_lo, s11
	v_lshrrev_b16 v0, 8, v11
	s_mov_b32 s11, exec_lo
	s_delay_alu instid0(VALU_DEP_1)
	v_cmpx_ne_u16_e32 0, v0
	s_cbranch_execz .LBB288_1215
; %bb.1208:                             ;   in Loop: Header=BB288_934 Depth=1
	v_bfrev_b32_e32 v102, 1
	s_mov_b32 s14, exec_lo
	v_cmpx_ne_u16_e32 0x80, v0
	s_cbranch_execz .LBB288_1214
; %bb.1209:                             ;   in Loop: Header=BB288_934 Depth=1
	v_and_b32_e32 v112, 0xffff, v0
	v_mov_b32_e32 v102, 0x7c010000
	s_mov_b32 s15, exec_lo
	s_delay_alu instid0(VALU_DEP_2) | instskip(NEXT) | instid1(VALU_DEP_1)
	v_and_b32_e32 v114, 0x7f, v112
	v_cmpx_ne_u32_e32 0x7f, v114
	s_cbranch_execz .LBB288_1213
; %bb.1210:                             ;   in Loop: Header=BB288_934 Depth=1
	v_and_b32_e32 v102, 7, v112
	v_lshrrev_b32_e32 v113, 3, v114
	s_mov_b32 s16, exec_lo
	v_cmpx_gt_u32_e32 8, v114
; %bb.1211:                             ;   in Loop: Header=BB288_934 Depth=1
	s_delay_alu instid0(VALU_DEP_3) | instskip(NEXT) | instid1(VALU_DEP_1)
	v_clz_i32_u32_e32 v102, v102
	v_min_u32_e32 v102, 32, v102
	s_delay_alu instid0(VALU_DEP_1) | instskip(NEXT) | instid1(VALU_DEP_1)
	v_subrev_nc_u32_e32 v113, 28, v102
	v_lshlrev_b64_e32 v[114:115], v113, v[0:1]
	v_sub_nc_u32_e32 v113, 29, v102
	s_delay_alu instid0(VALU_DEP_2)
	v_and_b32_e32 v102, 7, v114
; %bb.1212:                             ;   in Loop: Header=BB288_934 Depth=1
	s_wait_alu 0xfffe
	s_or_b32 exec_lo, exec_lo, s16
	v_lshlrev_b32_e32 v0, 8, v112
	v_lshl_add_u32 v112, v113, 10, 0x2000
	v_lshlrev_b32_e32 v102, 23, v102
	s_delay_alu instid0(VALU_DEP_2) | instskip(NEXT) | instid1(VALU_DEP_1)
	v_and_or_b32 v0, 0x8000, v0, v112
	v_lshl_or_b32 v102, v0, 16, v102
.LBB288_1213:                           ;   in Loop: Header=BB288_934 Depth=1
	s_wait_alu 0xfffe
	s_or_b32 exec_lo, exec_lo, s15
.LBB288_1214:                           ;   in Loop: Header=BB288_934 Depth=1
	s_wait_alu 0xfffe
	s_or_b32 exec_lo, exec_lo, s14
.LBB288_1215:                           ;   in Loop: Header=BB288_934 Depth=1
	s_wait_alu 0xfffe
	s_or_b32 exec_lo, exec_lo, s11
	v_lshrrev_b32_e32 v0, 16, v11
	v_mov_b32_e32 v112, 0
	s_mov_b32 s11, exec_lo
	s_delay_alu instid0(VALU_DEP_2) | instskip(NEXT) | instid1(VALU_DEP_1)
	v_dual_mov_b32 v113, 0 :: v_dual_and_b32 v114, 0xff, v0
	v_cmpx_ne_u16_e32 0, v114
	s_cbranch_execz .LBB288_1223
; %bb.1216:                             ;   in Loop: Header=BB288_934 Depth=1
	v_mov_b32_e32 v113, 0x8000
	s_mov_b32 s14, exec_lo
	v_cmpx_ne_u16_e32 0x80, v114
	s_cbranch_execz .LBB288_1222
; %bb.1217:                             ;   in Loop: Header=BB288_934 Depth=1
	v_bfe_u32 v115, v11, 16, 7
	v_mov_b32_e32 v113, 0x7c01
	s_mov_b32 s15, exec_lo
	s_delay_alu instid0(VALU_DEP_2)
	v_cmpx_ne_u32_e32 0x7f, v115
	s_cbranch_execz .LBB288_1221
; %bb.1218:                             ;   in Loop: Header=BB288_934 Depth=1
	v_and_b32_e32 v113, 7, v0
	v_lshrrev_b32_e32 v114, 3, v115
	s_mov_b32 s16, exec_lo
	v_cmpx_gt_u32_e32 8, v115
; %bb.1219:                             ;   in Loop: Header=BB288_934 Depth=1
	s_delay_alu instid0(VALU_DEP_3) | instskip(NEXT) | instid1(VALU_DEP_1)
	v_clz_i32_u32_e32 v113, v113
	v_min_u32_e32 v115, 32, v113
	s_delay_alu instid0(VALU_DEP_1) | instskip(NEXT) | instid1(VALU_DEP_1)
	v_subrev_nc_u32_e32 v113, 28, v115
	v_lshlrev_b64_e32 v[113:114], v113, v[0:1]
	v_sub_nc_u32_e32 v114, 29, v115
	s_delay_alu instid0(VALU_DEP_2)
	v_and_b32_e32 v113, 7, v113
; %bb.1220:                             ;   in Loop: Header=BB288_934 Depth=1
	s_wait_alu 0xfffe
	s_or_b32 exec_lo, exec_lo, s16
	v_lshlrev_b32_e32 v0, 8, v0
	v_lshl_add_u32 v114, v114, 10, 0x2000
	v_lshlrev_b32_e32 v113, 7, v113
	s_delay_alu instid0(VALU_DEP_3) | instskip(NEXT) | instid1(VALU_DEP_3)
	v_and_b32_e32 v0, 0x8000, v0
	v_and_b32_e32 v114, 0xfc00, v114
	s_delay_alu instid0(VALU_DEP_1)
	v_or3_b32 v113, v0, v114, v113
.LBB288_1221:                           ;   in Loop: Header=BB288_934 Depth=1
	s_wait_alu 0xfffe
	s_or_b32 exec_lo, exec_lo, s15
.LBB288_1222:                           ;   in Loop: Header=BB288_934 Depth=1
	s_wait_alu 0xfffe
	s_or_b32 exec_lo, exec_lo, s14
.LBB288_1223:                           ;   in Loop: Header=BB288_934 Depth=1
	s_wait_alu 0xfffe
	s_or_b32 exec_lo, exec_lo, s11
	s_delay_alu instid0(SALU_CYCLE_1)
	s_mov_b32 s11, exec_lo
	v_cmpx_lt_u32_e32 0xffffff, v11
	s_cbranch_execz .LBB288_1231
; %bb.1224:                             ;   in Loop: Header=BB288_934 Depth=1
	v_lshrrev_b32_e32 v0, 24, v11
	v_bfrev_b32_e32 v112, 1
	s_mov_b32 s14, exec_lo
	s_delay_alu instid0(VALU_DEP_2)
	v_cmpx_ne_u32_e32 0x80, v0
	s_cbranch_execz .LBB288_1230
; %bb.1225:                             ;   in Loop: Header=BB288_934 Depth=1
	v_and_b32_e32 v115, 0x7f, v0
	v_mov_b32_e32 v112, 0x7c010000
	s_mov_b32 s15, exec_lo
	s_delay_alu instid0(VALU_DEP_2)
	v_cmpx_ne_u32_e32 0x7f, v115
	s_cbranch_execz .LBB288_1229
; %bb.1226:                             ;   in Loop: Header=BB288_934 Depth=1
	v_and_b32_e32 v112, 7, v0
	v_lshrrev_b32_e32 v114, 3, v115
	s_mov_b32 s16, exec_lo
	v_cmpx_gt_u32_e32 8, v115
; %bb.1227:                             ;   in Loop: Header=BB288_934 Depth=1
	s_delay_alu instid0(VALU_DEP_3) | instskip(NEXT) | instid1(VALU_DEP_1)
	v_clz_i32_u32_e32 v112, v112
	v_min_u32_e32 v112, 32, v112
	s_delay_alu instid0(VALU_DEP_1) | instskip(NEXT) | instid1(VALU_DEP_1)
	v_subrev_nc_u32_e32 v114, 28, v112
	v_lshlrev_b64_e32 v[115:116], v114, v[0:1]
	v_sub_nc_u32_e32 v114, 29, v112
	s_delay_alu instid0(VALU_DEP_2)
	v_and_b32_e32 v112, 7, v115
; %bb.1228:                             ;   in Loop: Header=BB288_934 Depth=1
	s_wait_alu 0xfffe
	s_or_b32 exec_lo, exec_lo, s16
	v_lshlrev_b32_e32 v0, 8, v0
	v_lshl_add_u32 v114, v114, 10, 0x2000
	v_lshlrev_b32_e32 v112, 23, v112
	s_delay_alu instid0(VALU_DEP_2) | instskip(NEXT) | instid1(VALU_DEP_1)
	v_and_or_b32 v0, 0x8000, v0, v114
	v_lshl_or_b32 v112, v0, 16, v112
.LBB288_1229:                           ;   in Loop: Header=BB288_934 Depth=1
	s_wait_alu 0xfffe
	s_or_b32 exec_lo, exec_lo, s15
.LBB288_1230:                           ;   in Loop: Header=BB288_934 Depth=1
	s_wait_alu 0xfffe
	s_or_b32 exec_lo, exec_lo, s14
.LBB288_1231:                           ;   in Loop: Header=BB288_934 Depth=1
	s_wait_alu 0xfffe
	s_or_b32 exec_lo, exec_lo, s11
	v_dual_mov_b32 v115, 0 :: v_dual_and_b32 v116, 0xff, v12
	v_mov_b32_e32 v0, v12
	v_mov_b32_e32 v114, 0
	s_mov_b32 s11, exec_lo
	s_delay_alu instid0(VALU_DEP_3)
	v_cmpx_ne_u16_e32 0, v116
	s_cbranch_execz .LBB288_1239
; %bb.1232:                             ;   in Loop: Header=BB288_934 Depth=1
	v_mov_b32_e32 v115, 0x8000
	s_mov_b32 s14, exec_lo
	v_cmpx_ne_u16_e32 0x80, v116
	s_cbranch_execz .LBB288_1238
; %bb.1233:                             ;   in Loop: Header=BB288_934 Depth=1
	v_and_b32_e32 v117, 0x7f, v12
	v_mov_b32_e32 v115, 0x7c01
	s_mov_b32 s15, exec_lo
	s_delay_alu instid0(VALU_DEP_2)
	v_cmpx_ne_u32_e32 0x7f, v117
	s_cbranch_execz .LBB288_1237
; %bb.1234:                             ;   in Loop: Header=BB288_934 Depth=1
	v_and_b32_e32 v115, 7, v12
	v_lshrrev_b32_e32 v116, 3, v117
	s_mov_b32 s16, exec_lo
	v_cmpx_gt_u32_e32 8, v117
; %bb.1235:                             ;   in Loop: Header=BB288_934 Depth=1
	s_delay_alu instid0(VALU_DEP_3) | instskip(NEXT) | instid1(VALU_DEP_1)
	v_clz_i32_u32_e32 v115, v115
	v_min_u32_e32 v117, 32, v115
	s_delay_alu instid0(VALU_DEP_1) | instskip(NEXT) | instid1(VALU_DEP_1)
	v_subrev_nc_u32_e32 v115, 28, v117
	v_lshlrev_b64_e32 v[115:116], v115, v[0:1]
	v_sub_nc_u32_e32 v116, 29, v117
	s_delay_alu instid0(VALU_DEP_2)
	v_and_b32_e32 v115, 7, v115
; %bb.1236:                             ;   in Loop: Header=BB288_934 Depth=1
	s_wait_alu 0xfffe
	s_or_b32 exec_lo, exec_lo, s16
	v_lshlrev_b32_e32 v117, 8, v12
	v_lshl_add_u32 v116, v116, 10, 0x2000
	v_lshlrev_b32_e32 v115, 7, v115
	s_delay_alu instid0(VALU_DEP_3) | instskip(NEXT) | instid1(VALU_DEP_3)
	v_and_b32_e32 v117, 0x8000, v117
	v_and_b32_e32 v116, 0xfc00, v116
	s_delay_alu instid0(VALU_DEP_1)
	v_or3_b32 v115, v117, v116, v115
.LBB288_1237:                           ;   in Loop: Header=BB288_934 Depth=1
	s_wait_alu 0xfffe
	s_or_b32 exec_lo, exec_lo, s15
.LBB288_1238:                           ;   in Loop: Header=BB288_934 Depth=1
	s_wait_alu 0xfffe
	s_or_b32 exec_lo, exec_lo, s14
.LBB288_1239:                           ;   in Loop: Header=BB288_934 Depth=1
	s_wait_alu 0xfffe
	s_or_b32 exec_lo, exec_lo, s11
	v_lshrrev_b16 v0, 8, v0
	v_mov_b32_e32 v116, 0
	s_mov_b32 s11, exec_lo
	s_delay_alu instid0(VALU_DEP_2)
	v_cmpx_ne_u16_e32 0, v0
	s_cbranch_execz .LBB288_1247
; %bb.1240:                             ;   in Loop: Header=BB288_934 Depth=1
	v_bfrev_b32_e32 v116, 1
	s_mov_b32 s14, exec_lo
	v_cmpx_ne_u16_e32 0x80, v0
	s_cbranch_execz .LBB288_1246
; %bb.1241:                             ;   in Loop: Header=BB288_934 Depth=1
	v_and_b32_e32 v117, 0xffff, v0
	v_mov_b32_e32 v116, 0x7c010000
	s_mov_b32 s15, exec_lo
	s_delay_alu instid0(VALU_DEP_2) | instskip(NEXT) | instid1(VALU_DEP_1)
	v_and_b32_e32 v119, 0x7f, v117
	v_cmpx_ne_u32_e32 0x7f, v119
	s_cbranch_execz .LBB288_1245
; %bb.1242:                             ;   in Loop: Header=BB288_934 Depth=1
	v_and_b32_e32 v116, 7, v117
	v_lshrrev_b32_e32 v118, 3, v119
	s_mov_b32 s16, exec_lo
	v_cmpx_gt_u32_e32 8, v119
; %bb.1243:                             ;   in Loop: Header=BB288_934 Depth=1
	s_delay_alu instid0(VALU_DEP_3) | instskip(NEXT) | instid1(VALU_DEP_1)
	v_clz_i32_u32_e32 v116, v116
	v_min_u32_e32 v116, 32, v116
	s_delay_alu instid0(VALU_DEP_1) | instskip(NEXT) | instid1(VALU_DEP_1)
	v_subrev_nc_u32_e32 v118, 28, v116
	v_lshlrev_b64_e32 v[128:129], v118, v[0:1]
	v_sub_nc_u32_e32 v118, 29, v116
	s_delay_alu instid0(VALU_DEP_2)
	v_and_b32_e32 v116, 7, v128
; %bb.1244:                             ;   in Loop: Header=BB288_934 Depth=1
	s_wait_alu 0xfffe
	s_or_b32 exec_lo, exec_lo, s16
	v_lshlrev_b32_e32 v0, 8, v117
	v_lshl_add_u32 v117, v118, 10, 0x2000
	v_lshlrev_b32_e32 v116, 23, v116
	s_delay_alu instid0(VALU_DEP_2) | instskip(NEXT) | instid1(VALU_DEP_1)
	v_and_or_b32 v0, 0x8000, v0, v117
	v_lshl_or_b32 v116, v0, 16, v116
.LBB288_1245:                           ;   in Loop: Header=BB288_934 Depth=1
	s_wait_alu 0xfffe
	s_or_b32 exec_lo, exec_lo, s15
.LBB288_1246:                           ;   in Loop: Header=BB288_934 Depth=1
	s_wait_alu 0xfffe
	s_or_b32 exec_lo, exec_lo, s14
.LBB288_1247:                           ;   in Loop: Header=BB288_934 Depth=1
	s_wait_alu 0xfffe
	s_or_b32 exec_lo, exec_lo, s11
	v_lshrrev_b32_e32 v0, 16, v12
	s_mov_b32 s11, exec_lo
	s_delay_alu instid0(VALU_DEP_1) | instskip(NEXT) | instid1(VALU_DEP_1)
	v_and_b32_e32 v117, 0xff, v0
	v_cmpx_ne_u16_e32 0, v117
	s_cbranch_execz .LBB288_1255
; %bb.1248:                             ;   in Loop: Header=BB288_934 Depth=1
	v_mov_b32_e32 v114, 0x8000
	s_mov_b32 s14, exec_lo
	v_cmpx_ne_u16_e32 0x80, v117
	s_cbranch_execz .LBB288_1254
; %bb.1249:                             ;   in Loop: Header=BB288_934 Depth=1
	v_bfe_u32 v118, v12, 16, 7
	v_mov_b32_e32 v114, 0x7c01
	s_mov_b32 s15, exec_lo
	s_delay_alu instid0(VALU_DEP_2)
	v_cmpx_ne_u32_e32 0x7f, v118
	s_cbranch_execz .LBB288_1253
; %bb.1250:                             ;   in Loop: Header=BB288_934 Depth=1
	v_and_b32_e32 v114, 7, v0
	v_lshrrev_b32_e32 v117, 3, v118
	s_mov_b32 s16, exec_lo
	v_cmpx_gt_u32_e32 8, v118
; %bb.1251:                             ;   in Loop: Header=BB288_934 Depth=1
	s_delay_alu instid0(VALU_DEP_3) | instskip(NEXT) | instid1(VALU_DEP_1)
	v_clz_i32_u32_e32 v114, v114
	v_min_u32_e32 v114, 32, v114
	s_delay_alu instid0(VALU_DEP_1) | instskip(NEXT) | instid1(VALU_DEP_1)
	v_subrev_nc_u32_e32 v117, 28, v114
	v_lshlrev_b64_e32 v[118:119], v117, v[0:1]
	v_sub_nc_u32_e32 v117, 29, v114
	s_delay_alu instid0(VALU_DEP_2)
	v_and_b32_e32 v114, 7, v118
; %bb.1252:                             ;   in Loop: Header=BB288_934 Depth=1
	s_wait_alu 0xfffe
	s_or_b32 exec_lo, exec_lo, s16
	v_lshlrev_b32_e32 v0, 8, v0
	v_lshl_add_u32 v117, v117, 10, 0x2000
	v_lshlrev_b32_e32 v114, 7, v114
	s_delay_alu instid0(VALU_DEP_3) | instskip(NEXT) | instid1(VALU_DEP_3)
	v_and_b32_e32 v0, 0x8000, v0
	v_and_b32_e32 v117, 0xfc00, v117
	s_delay_alu instid0(VALU_DEP_1)
	v_or3_b32 v114, v0, v117, v114
.LBB288_1253:                           ;   in Loop: Header=BB288_934 Depth=1
	s_wait_alu 0xfffe
	s_or_b32 exec_lo, exec_lo, s15
.LBB288_1254:                           ;   in Loop: Header=BB288_934 Depth=1
	s_wait_alu 0xfffe
	s_or_b32 exec_lo, exec_lo, s14
.LBB288_1255:                           ;   in Loop: Header=BB288_934 Depth=1
	s_wait_alu 0xfffe
	s_or_b32 exec_lo, exec_lo, s11
	v_cmp_lt_u64_e64 s0, s[8:9], v[11:12]
	v_mov_b32_e32 v11, 0
	s_and_saveexec_b32 s11, s0
	s_cbranch_execz .LBB288_1263
; %bb.1256:                             ;   in Loop: Header=BB288_934 Depth=1
	v_lshrrev_b32_e32 v0, 24, v12
	v_bfrev_b32_e32 v11, 1
	s_mov_b32 s14, exec_lo
	s_delay_alu instid0(VALU_DEP_2)
	v_cmpx_ne_u32_e32 0x80, v0
	s_cbranch_execz .LBB288_1262
; %bb.1257:                             ;   in Loop: Header=BB288_934 Depth=1
	v_and_b32_e32 v117, 0x7f, v0
	v_mov_b32_e32 v11, 0x7c010000
	s_mov_b32 s15, exec_lo
	s_delay_alu instid0(VALU_DEP_2)
	v_cmpx_ne_u32_e32 0x7f, v117
	s_cbranch_execz .LBB288_1261
; %bb.1258:                             ;   in Loop: Header=BB288_934 Depth=1
	v_and_b32_e32 v11, 7, v0
	v_lshrrev_b32_e32 v12, 3, v117
	s_mov_b32 s16, exec_lo
	v_cmpx_gt_u32_e32 8, v117
; %bb.1259:                             ;   in Loop: Header=BB288_934 Depth=1
	s_delay_alu instid0(VALU_DEP_3) | instskip(NEXT) | instid1(VALU_DEP_1)
	v_clz_i32_u32_e32 v11, v11
	v_min_u32_e32 v117, 32, v11
	s_delay_alu instid0(VALU_DEP_1) | instskip(NEXT) | instid1(VALU_DEP_1)
	v_subrev_nc_u32_e32 v11, 28, v117
	v_lshlrev_b64_e32 v[11:12], v11, v[0:1]
	v_sub_nc_u32_e32 v12, 29, v117
	s_delay_alu instid0(VALU_DEP_2)
	v_and_b32_e32 v11, 7, v11
; %bb.1260:                             ;   in Loop: Header=BB288_934 Depth=1
	s_wait_alu 0xfffe
	s_or_b32 exec_lo, exec_lo, s16
	v_lshlrev_b32_e32 v0, 8, v0
	v_lshl_add_u32 v12, v12, 10, 0x2000
	v_lshlrev_b32_e32 v11, 23, v11
	s_delay_alu instid0(VALU_DEP_2) | instskip(NEXT) | instid1(VALU_DEP_1)
	v_and_or_b32 v0, 0x8000, v0, v12
	v_lshl_or_b32 v11, v0, 16, v11
.LBB288_1261:                           ;   in Loop: Header=BB288_934 Depth=1
	s_wait_alu 0xfffe
	s_or_b32 exec_lo, exec_lo, s15
.LBB288_1262:                           ;   in Loop: Header=BB288_934 Depth=1
	s_wait_alu 0xfffe
	s_or_b32 exec_lo, exec_lo, s14
.LBB288_1263:                           ;   in Loop: Header=BB288_934 Depth=1
	s_wait_alu 0xfffe
	s_or_b32 exec_lo, exec_lo, s11
	v_or_b32_e32 v0, v112, v113
	s_wait_loadcnt_dscnt 0x0
	v_fma_mixlo_f16 v12, v101, v112, 0 op_sel:[0,1,0] op_sel_hi:[0,1,0]
	v_or_b32_e32 v112, v102, v103
	v_fma_mixlo_f16 v102, v101, v102, 0 op_sel:[0,1,0] op_sel_hi:[0,1,0]
	v_or_b32_e32 v113, v116, v115
	v_or_b32_e32 v114, v11, v114
	v_fma_mixlo_f16 v115, v101, v0, 0 op_sel_hi:[0,1,0]
	v_fma_mixlo_f16 v11, v101, v11, 0 op_sel:[0,1,0] op_sel_hi:[0,1,0]
	v_lshlrev_b32_e32 v103, 16, v102
	v_fma_mixlo_f16 v102, v101, v112, 0 op_sel_hi:[0,1,0]
	v_fma_mixlo_f16 v112, v101, v116, 0 op_sel:[0,1,0] op_sel_hi:[0,1,0]
	v_fma_mixlo_f16 v113, v101, v113, 0 op_sel_hi:[0,1,0]
	v_fma_mixlo_f16 v114, v101, v114, 0 op_sel_hi:[0,1,0]
	v_lshlrev_b32_e32 v0, 16, v12
	v_and_b32_e32 v12, 0xffff, v115
	v_and_b32_e32 v117, 0xffff, v102
	v_lshlrev_b32_e32 v101, 16, v112
	v_and_b32_e32 v113, 0xffff, v113
	v_lshlrev_b32_e32 v11, 16, v11
	v_and_b32_e32 v102, 0xffff, v114
	v_or_b32_e32 v112, v0, v12
	v_or_b32_e32 v116, v103, v117
	;; [unrolled: 1-line block ×3, first 2 shown]
	s_delay_alu instid0(VALU_DEP_4)
	v_or_b32_e32 v114, v11, v102
	s_and_saveexec_b32 s11, vcc_lo
	s_cbranch_execz .LBB288_1265
; %bb.1264:                             ;   in Loop: Header=BB288_934 Depth=1
	v_cmp_lt_i32_e64 s0, v17, v34
	s_wait_alu 0xf1ff
	s_delay_alu instid0(VALU_DEP_1) | instskip(SKIP_2) | instid1(VALU_DEP_1)
	v_cndmask_b32_e64 v112, 0, v117, s0
	v_cmp_lt_i32_e64 s0, v86, v34
	s_wait_alu 0xf1ff
	v_cndmask_b32_e64 v103, 0, v103, s0
	v_cmp_lt_i32_e64 s0, v85, v34
	s_delay_alu instid0(VALU_DEP_2) | instskip(SKIP_1) | instid1(VALU_DEP_2)
	v_or_b32_e32 v116, v112, v103
	s_wait_alu 0xf1ff
	v_cndmask_b32_e64 v12, 0, v12, s0
	v_cmp_lt_i32_e64 s0, v84, v34
	s_wait_alu 0xf1ff
	s_delay_alu instid0(VALU_DEP_1) | instskip(SKIP_1) | instid1(VALU_DEP_2)
	v_cndmask_b32_e64 v0, 0, v0, s0
	v_cmp_lt_i32_e64 s0, v83, v34
	v_or_b32_e32 v112, v12, v0
	s_wait_alu 0xf1ff
	s_delay_alu instid0(VALU_DEP_2) | instskip(SKIP_2) | instid1(VALU_DEP_1)
	v_cndmask_b32_e64 v113, 0, v113, s0
	v_cmp_lt_i32_e64 s0, v82, v34
	s_wait_alu 0xf1ff
	v_cndmask_b32_e64 v101, 0, v101, s0
	v_cmp_lt_i32_e64 s0, v81, v34
	s_delay_alu instid0(VALU_DEP_2) | instskip(SKIP_1) | instid1(VALU_DEP_2)
	v_or_b32_e32 v115, v113, v101
	s_wait_alu 0xf1ff
	v_cndmask_b32_e64 v102, 0, v102, s0
	v_cmp_lt_i32_e64 s0, v80, v34
	s_wait_alu 0xf1ff
	s_delay_alu instid0(VALU_DEP_1) | instskip(NEXT) | instid1(VALU_DEP_1)
	v_cndmask_b32_e64 v11, 0, v11, s0
	v_or_b32_e32 v114, v102, v11
.LBB288_1265:                           ;   in Loop: Header=BB288_934 Depth=1
	s_wait_alu 0xfffe
	s_or_b32 exec_lo, exec_lo, s11
	;;#ASMSTART
	v_pk_mul_f16 v0, v71, v116;

	;;#ASMEND
	;;#ASMSTART
	v_pk_mul_f16 v11, v70, v112;

	;;#ASMEND
	;; [unrolled: 4-line block ×4, first 2 shown]
	;;#ASMSTART
	v_pk_add_f16 v0, v0, v11;

	;;#ASMEND
	;;#ASMSTART
	v_pk_add_f16 v0, v0, v12;

	;;#ASMEND
	;; [unrolled: 4-line block ×3, first 2 shown]
	v_dual_mov_b32 v112, 0 :: v_dual_and_b32 v11, 0xffff, v0
	v_lshrrev_b32_e32 v0, 16, v0
	;;#ASMSTART
	v_cvt_f32_f16 v101, v11;
	;;#ASMEND
	;;#ASMSTART
	v_cvt_f32_f16 v102, v0;
	;;#ASMEND
	flat_load_b64 v[11:12], v[9:10] offset:1280
	flat_load_b32 v103, v[26:27]
	s_mov_b32 s11, exec_lo
	s_wait_loadcnt_dscnt 0x101
	v_dual_mov_b32 v113, 0 :: v_dual_and_b32 v0, 0xff, v11
	s_delay_alu instid0(VALU_DEP_1)
	v_cmpx_ne_u16_e32 0, v0
	s_cbranch_execz .LBB288_1273
; %bb.1266:                             ;   in Loop: Header=BB288_934 Depth=1
	v_mov_b32_e32 v113, 0x8000
	s_mov_b32 s14, exec_lo
	v_cmpx_ne_u16_e32 0x80, v0
	s_cbranch_execz .LBB288_1272
; %bb.1267:                             ;   in Loop: Header=BB288_934 Depth=1
	v_and_b32_e32 v114, 0x7f, v11
	v_mov_b32_e32 v113, 0x7c01
	s_mov_b32 s15, exec_lo
	s_delay_alu instid0(VALU_DEP_2)
	v_cmpx_ne_u32_e32 0x7f, v114
	s_cbranch_execz .LBB288_1271
; %bb.1268:                             ;   in Loop: Header=BB288_934 Depth=1
	v_and_b32_e32 v0, 7, v11
	v_lshrrev_b32_e32 v113, 3, v114
	s_mov_b32 s16, exec_lo
	v_cmpx_gt_u32_e32 8, v114
; %bb.1269:                             ;   in Loop: Header=BB288_934 Depth=1
	s_delay_alu instid0(VALU_DEP_3) | instskip(NEXT) | instid1(VALU_DEP_1)
	v_clz_i32_u32_e32 v0, v0
	v_min_u32_e32 v0, 32, v0
	s_delay_alu instid0(VALU_DEP_1) | instskip(NEXT) | instid1(VALU_DEP_1)
	v_subrev_nc_u32_e32 v113, 28, v0
	v_lshlrev_b64_e32 v[114:115], v113, v[11:12]
	v_sub_nc_u32_e32 v113, 29, v0
	s_delay_alu instid0(VALU_DEP_2)
	v_and_b32_e32 v0, 7, v114
; %bb.1270:                             ;   in Loop: Header=BB288_934 Depth=1
	s_wait_alu 0xfffe
	s_or_b32 exec_lo, exec_lo, s16
	v_lshlrev_b32_e32 v114, 8, v11
	v_lshl_add_u32 v113, v113, 10, 0x2000
	v_lshlrev_b32_e32 v0, 7, v0
	s_delay_alu instid0(VALU_DEP_3) | instskip(NEXT) | instid1(VALU_DEP_3)
	v_and_b32_e32 v114, 0x8000, v114
	v_and_b32_e32 v113, 0xfc00, v113
	s_delay_alu instid0(VALU_DEP_1)
	v_or3_b32 v113, v114, v113, v0
.LBB288_1271:                           ;   in Loop: Header=BB288_934 Depth=1
	s_wait_alu 0xfffe
	s_or_b32 exec_lo, exec_lo, s15
.LBB288_1272:                           ;   in Loop: Header=BB288_934 Depth=1
	s_wait_alu 0xfffe
	s_or_b32 exec_lo, exec_lo, s14
.LBB288_1273:                           ;   in Loop: Header=BB288_934 Depth=1
	s_wait_alu 0xfffe
	s_or_b32 exec_lo, exec_lo, s11
	v_lshrrev_b16 v0, 8, v11
	s_mov_b32 s11, exec_lo
	s_delay_alu instid0(VALU_DEP_1)
	v_cmpx_ne_u16_e32 0, v0
	s_cbranch_execz .LBB288_1281
; %bb.1274:                             ;   in Loop: Header=BB288_934 Depth=1
	v_bfrev_b32_e32 v112, 1
	s_mov_b32 s14, exec_lo
	v_cmpx_ne_u16_e32 0x80, v0
	s_cbranch_execz .LBB288_1280
; %bb.1275:                             ;   in Loop: Header=BB288_934 Depth=1
	v_and_b32_e32 v114, 0xffff, v0
	v_mov_b32_e32 v112, 0x7c010000
	s_mov_b32 s15, exec_lo
	s_delay_alu instid0(VALU_DEP_2) | instskip(NEXT) | instid1(VALU_DEP_1)
	v_and_b32_e32 v116, 0x7f, v114
	v_cmpx_ne_u32_e32 0x7f, v116
	s_cbranch_execz .LBB288_1279
; %bb.1276:                             ;   in Loop: Header=BB288_934 Depth=1
	v_and_b32_e32 v112, 7, v114
	v_lshrrev_b32_e32 v115, 3, v116
	s_mov_b32 s16, exec_lo
	v_cmpx_gt_u32_e32 8, v116
; %bb.1277:                             ;   in Loop: Header=BB288_934 Depth=1
	s_delay_alu instid0(VALU_DEP_3) | instskip(NEXT) | instid1(VALU_DEP_1)
	v_clz_i32_u32_e32 v112, v112
	v_min_u32_e32 v112, 32, v112
	s_delay_alu instid0(VALU_DEP_1) | instskip(NEXT) | instid1(VALU_DEP_1)
	v_subrev_nc_u32_e32 v115, 28, v112
	v_lshlrev_b64_e32 v[116:117], v115, v[0:1]
	v_sub_nc_u32_e32 v115, 29, v112
	s_delay_alu instid0(VALU_DEP_2)
	v_and_b32_e32 v112, 7, v116
; %bb.1278:                             ;   in Loop: Header=BB288_934 Depth=1
	s_wait_alu 0xfffe
	s_or_b32 exec_lo, exec_lo, s16
	v_lshlrev_b32_e32 v0, 8, v114
	v_lshl_add_u32 v114, v115, 10, 0x2000
	v_lshlrev_b32_e32 v112, 23, v112
	s_delay_alu instid0(VALU_DEP_2) | instskip(NEXT) | instid1(VALU_DEP_1)
	v_and_or_b32 v0, 0x8000, v0, v114
	v_lshl_or_b32 v112, v0, 16, v112
.LBB288_1279:                           ;   in Loop: Header=BB288_934 Depth=1
	s_wait_alu 0xfffe
	s_or_b32 exec_lo, exec_lo, s15
.LBB288_1280:                           ;   in Loop: Header=BB288_934 Depth=1
	s_wait_alu 0xfffe
	s_or_b32 exec_lo, exec_lo, s14
.LBB288_1281:                           ;   in Loop: Header=BB288_934 Depth=1
	s_wait_alu 0xfffe
	s_or_b32 exec_lo, exec_lo, s11
	v_lshrrev_b32_e32 v0, 16, v11
	v_mov_b32_e32 v114, 0
	s_mov_b32 s11, exec_lo
	s_delay_alu instid0(VALU_DEP_2) | instskip(NEXT) | instid1(VALU_DEP_1)
	v_dual_mov_b32 v115, 0 :: v_dual_and_b32 v116, 0xff, v0
	v_cmpx_ne_u16_e32 0, v116
	s_cbranch_execz .LBB288_1289
; %bb.1282:                             ;   in Loop: Header=BB288_934 Depth=1
	v_mov_b32_e32 v115, 0x8000
	s_mov_b32 s14, exec_lo
	v_cmpx_ne_u16_e32 0x80, v116
	s_cbranch_execz .LBB288_1288
; %bb.1283:                             ;   in Loop: Header=BB288_934 Depth=1
	v_bfe_u32 v117, v11, 16, 7
	v_mov_b32_e32 v115, 0x7c01
	s_mov_b32 s15, exec_lo
	s_delay_alu instid0(VALU_DEP_2)
	v_cmpx_ne_u32_e32 0x7f, v117
	s_cbranch_execz .LBB288_1287
; %bb.1284:                             ;   in Loop: Header=BB288_934 Depth=1
	v_and_b32_e32 v115, 7, v0
	v_lshrrev_b32_e32 v116, 3, v117
	s_mov_b32 s16, exec_lo
	v_cmpx_gt_u32_e32 8, v117
; %bb.1285:                             ;   in Loop: Header=BB288_934 Depth=1
	s_delay_alu instid0(VALU_DEP_3) | instskip(NEXT) | instid1(VALU_DEP_1)
	v_clz_i32_u32_e32 v115, v115
	v_min_u32_e32 v117, 32, v115
	s_delay_alu instid0(VALU_DEP_1) | instskip(NEXT) | instid1(VALU_DEP_1)
	v_subrev_nc_u32_e32 v115, 28, v117
	v_lshlrev_b64_e32 v[115:116], v115, v[0:1]
	v_sub_nc_u32_e32 v116, 29, v117
	s_delay_alu instid0(VALU_DEP_2)
	v_and_b32_e32 v115, 7, v115
; %bb.1286:                             ;   in Loop: Header=BB288_934 Depth=1
	s_wait_alu 0xfffe
	s_or_b32 exec_lo, exec_lo, s16
	v_lshlrev_b32_e32 v0, 8, v0
	v_lshl_add_u32 v116, v116, 10, 0x2000
	v_lshlrev_b32_e32 v115, 7, v115
	s_delay_alu instid0(VALU_DEP_3) | instskip(NEXT) | instid1(VALU_DEP_3)
	v_and_b32_e32 v0, 0x8000, v0
	v_and_b32_e32 v116, 0xfc00, v116
	s_delay_alu instid0(VALU_DEP_1)
	v_or3_b32 v115, v0, v116, v115
.LBB288_1287:                           ;   in Loop: Header=BB288_934 Depth=1
	s_wait_alu 0xfffe
	s_or_b32 exec_lo, exec_lo, s15
.LBB288_1288:                           ;   in Loop: Header=BB288_934 Depth=1
	s_wait_alu 0xfffe
	s_or_b32 exec_lo, exec_lo, s14
.LBB288_1289:                           ;   in Loop: Header=BB288_934 Depth=1
	s_wait_alu 0xfffe
	s_or_b32 exec_lo, exec_lo, s11
	s_delay_alu instid0(SALU_CYCLE_1)
	s_mov_b32 s11, exec_lo
	v_cmpx_lt_u32_e32 0xffffff, v11
	s_cbranch_execz .LBB288_1297
; %bb.1290:                             ;   in Loop: Header=BB288_934 Depth=1
	v_lshrrev_b32_e32 v0, 24, v11
	v_bfrev_b32_e32 v114, 1
	s_mov_b32 s14, exec_lo
	s_delay_alu instid0(VALU_DEP_2)
	v_cmpx_ne_u32_e32 0x80, v0
	s_cbranch_execz .LBB288_1296
; %bb.1291:                             ;   in Loop: Header=BB288_934 Depth=1
	v_and_b32_e32 v117, 0x7f, v0
	v_mov_b32_e32 v114, 0x7c010000
	s_mov_b32 s15, exec_lo
	s_delay_alu instid0(VALU_DEP_2)
	v_cmpx_ne_u32_e32 0x7f, v117
	s_cbranch_execz .LBB288_1295
; %bb.1292:                             ;   in Loop: Header=BB288_934 Depth=1
	v_and_b32_e32 v114, 7, v0
	v_lshrrev_b32_e32 v116, 3, v117
	s_mov_b32 s16, exec_lo
	v_cmpx_gt_u32_e32 8, v117
; %bb.1293:                             ;   in Loop: Header=BB288_934 Depth=1
	s_delay_alu instid0(VALU_DEP_3) | instskip(NEXT) | instid1(VALU_DEP_1)
	v_clz_i32_u32_e32 v114, v114
	v_min_u32_e32 v114, 32, v114
	s_delay_alu instid0(VALU_DEP_1) | instskip(NEXT) | instid1(VALU_DEP_1)
	v_subrev_nc_u32_e32 v116, 28, v114
	v_lshlrev_b64_e32 v[117:118], v116, v[0:1]
	v_sub_nc_u32_e32 v116, 29, v114
	s_delay_alu instid0(VALU_DEP_2)
	v_and_b32_e32 v114, 7, v117
; %bb.1294:                             ;   in Loop: Header=BB288_934 Depth=1
	s_wait_alu 0xfffe
	s_or_b32 exec_lo, exec_lo, s16
	v_lshlrev_b32_e32 v0, 8, v0
	v_lshl_add_u32 v116, v116, 10, 0x2000
	v_lshlrev_b32_e32 v114, 23, v114
	s_delay_alu instid0(VALU_DEP_2) | instskip(NEXT) | instid1(VALU_DEP_1)
	v_and_or_b32 v0, 0x8000, v0, v116
	v_lshl_or_b32 v114, v0, 16, v114
.LBB288_1295:                           ;   in Loop: Header=BB288_934 Depth=1
	s_wait_alu 0xfffe
	s_or_b32 exec_lo, exec_lo, s15
.LBB288_1296:                           ;   in Loop: Header=BB288_934 Depth=1
	s_wait_alu 0xfffe
	s_or_b32 exec_lo, exec_lo, s14
.LBB288_1297:                           ;   in Loop: Header=BB288_934 Depth=1
	s_wait_alu 0xfffe
	s_or_b32 exec_lo, exec_lo, s11
	v_dual_mov_b32 v117, 0 :: v_dual_and_b32 v118, 0xff, v12
	v_mov_b32_e32 v0, v12
	v_mov_b32_e32 v116, 0
	s_mov_b32 s11, exec_lo
	s_delay_alu instid0(VALU_DEP_3)
	v_cmpx_ne_u16_e32 0, v118
	s_cbranch_execz .LBB288_1305
; %bb.1298:                             ;   in Loop: Header=BB288_934 Depth=1
	v_mov_b32_e32 v117, 0x8000
	s_mov_b32 s14, exec_lo
	v_cmpx_ne_u16_e32 0x80, v118
	s_cbranch_execz .LBB288_1304
; %bb.1299:                             ;   in Loop: Header=BB288_934 Depth=1
	v_and_b32_e32 v119, 0x7f, v12
	v_mov_b32_e32 v117, 0x7c01
	s_mov_b32 s15, exec_lo
	s_delay_alu instid0(VALU_DEP_2)
	v_cmpx_ne_u32_e32 0x7f, v119
	s_cbranch_execz .LBB288_1303
; %bb.1300:                             ;   in Loop: Header=BB288_934 Depth=1
	v_and_b32_e32 v117, 7, v12
	v_lshrrev_b32_e32 v118, 3, v119
	s_mov_b32 s16, exec_lo
	v_cmpx_gt_u32_e32 8, v119
; %bb.1301:                             ;   in Loop: Header=BB288_934 Depth=1
	s_delay_alu instid0(VALU_DEP_3) | instskip(NEXT) | instid1(VALU_DEP_1)
	v_clz_i32_u32_e32 v117, v117
	v_min_u32_e32 v119, 32, v117
	s_delay_alu instid0(VALU_DEP_1) | instskip(NEXT) | instid1(VALU_DEP_1)
	v_subrev_nc_u32_e32 v117, 28, v119
	v_lshlrev_b64_e32 v[117:118], v117, v[0:1]
	v_sub_nc_u32_e32 v118, 29, v119
	s_delay_alu instid0(VALU_DEP_2)
	v_and_b32_e32 v117, 7, v117
; %bb.1302:                             ;   in Loop: Header=BB288_934 Depth=1
	s_wait_alu 0xfffe
	s_or_b32 exec_lo, exec_lo, s16
	v_lshlrev_b32_e32 v119, 8, v12
	v_lshl_add_u32 v118, v118, 10, 0x2000
	v_lshlrev_b32_e32 v117, 7, v117
	s_delay_alu instid0(VALU_DEP_3) | instskip(NEXT) | instid1(VALU_DEP_3)
	v_and_b32_e32 v119, 0x8000, v119
	v_and_b32_e32 v118, 0xfc00, v118
	s_delay_alu instid0(VALU_DEP_1)
	v_or3_b32 v117, v119, v118, v117
.LBB288_1303:                           ;   in Loop: Header=BB288_934 Depth=1
	s_wait_alu 0xfffe
	s_or_b32 exec_lo, exec_lo, s15
.LBB288_1304:                           ;   in Loop: Header=BB288_934 Depth=1
	s_wait_alu 0xfffe
	s_or_b32 exec_lo, exec_lo, s14
.LBB288_1305:                           ;   in Loop: Header=BB288_934 Depth=1
	s_wait_alu 0xfffe
	s_or_b32 exec_lo, exec_lo, s11
	v_lshrrev_b16 v0, 8, v0
	v_mov_b32_e32 v118, 0
	s_mov_b32 s11, exec_lo
	s_delay_alu instid0(VALU_DEP_2)
	v_cmpx_ne_u16_e32 0, v0
	s_cbranch_execz .LBB288_1313
; %bb.1306:                             ;   in Loop: Header=BB288_934 Depth=1
	v_bfrev_b32_e32 v118, 1
	s_mov_b32 s14, exec_lo
	v_cmpx_ne_u16_e32 0x80, v0
	s_cbranch_execz .LBB288_1312
; %bb.1307:                             ;   in Loop: Header=BB288_934 Depth=1
	v_and_b32_e32 v119, 0xffff, v0
	v_mov_b32_e32 v118, 0x7c010000
	s_mov_b32 s15, exec_lo
	s_delay_alu instid0(VALU_DEP_2) | instskip(NEXT) | instid1(VALU_DEP_1)
	v_and_b32_e32 v129, 0x7f, v119
	v_cmpx_ne_u32_e32 0x7f, v129
	s_cbranch_execz .LBB288_1311
; %bb.1308:                             ;   in Loop: Header=BB288_934 Depth=1
	v_and_b32_e32 v118, 7, v119
	v_lshrrev_b32_e32 v128, 3, v129
	s_mov_b32 s16, exec_lo
	v_cmpx_gt_u32_e32 8, v129
; %bb.1309:                             ;   in Loop: Header=BB288_934 Depth=1
	s_delay_alu instid0(VALU_DEP_3) | instskip(NEXT) | instid1(VALU_DEP_1)
	v_clz_i32_u32_e32 v118, v118
	v_min_u32_e32 v118, 32, v118
	s_delay_alu instid0(VALU_DEP_1) | instskip(NEXT) | instid1(VALU_DEP_1)
	v_subrev_nc_u32_e32 v128, 28, v118
	v_lshlrev_b64_e32 v[129:130], v128, v[0:1]
	v_sub_nc_u32_e32 v128, 29, v118
	s_delay_alu instid0(VALU_DEP_2)
	v_and_b32_e32 v118, 7, v129
; %bb.1310:                             ;   in Loop: Header=BB288_934 Depth=1
	s_wait_alu 0xfffe
	s_or_b32 exec_lo, exec_lo, s16
	v_lshlrev_b32_e32 v0, 8, v119
	v_lshl_add_u32 v119, v128, 10, 0x2000
	v_lshlrev_b32_e32 v118, 23, v118
	s_delay_alu instid0(VALU_DEP_2) | instskip(NEXT) | instid1(VALU_DEP_1)
	v_and_or_b32 v0, 0x8000, v0, v119
	v_lshl_or_b32 v118, v0, 16, v118
.LBB288_1311:                           ;   in Loop: Header=BB288_934 Depth=1
	s_wait_alu 0xfffe
	s_or_b32 exec_lo, exec_lo, s15
.LBB288_1312:                           ;   in Loop: Header=BB288_934 Depth=1
	s_wait_alu 0xfffe
	s_or_b32 exec_lo, exec_lo, s14
.LBB288_1313:                           ;   in Loop: Header=BB288_934 Depth=1
	s_wait_alu 0xfffe
	s_or_b32 exec_lo, exec_lo, s11
	v_lshrrev_b32_e32 v0, 16, v12
	s_mov_b32 s11, exec_lo
	s_delay_alu instid0(VALU_DEP_1) | instskip(NEXT) | instid1(VALU_DEP_1)
	v_and_b32_e32 v119, 0xff, v0
	v_cmpx_ne_u16_e32 0, v119
	s_cbranch_execz .LBB288_1321
; %bb.1314:                             ;   in Loop: Header=BB288_934 Depth=1
	v_mov_b32_e32 v116, 0x8000
	s_mov_b32 s14, exec_lo
	v_cmpx_ne_u16_e32 0x80, v119
	s_cbranch_execz .LBB288_1320
; %bb.1315:                             ;   in Loop: Header=BB288_934 Depth=1
	v_bfe_u32 v128, v12, 16, 7
	v_mov_b32_e32 v116, 0x7c01
	s_mov_b32 s15, exec_lo
	s_delay_alu instid0(VALU_DEP_2)
	v_cmpx_ne_u32_e32 0x7f, v128
	s_cbranch_execz .LBB288_1319
; %bb.1316:                             ;   in Loop: Header=BB288_934 Depth=1
	v_and_b32_e32 v116, 7, v0
	v_lshrrev_b32_e32 v119, 3, v128
	s_mov_b32 s16, exec_lo
	v_cmpx_gt_u32_e32 8, v128
; %bb.1317:                             ;   in Loop: Header=BB288_934 Depth=1
	s_delay_alu instid0(VALU_DEP_3) | instskip(NEXT) | instid1(VALU_DEP_1)
	v_clz_i32_u32_e32 v116, v116
	v_min_u32_e32 v116, 32, v116
	s_delay_alu instid0(VALU_DEP_1) | instskip(NEXT) | instid1(VALU_DEP_1)
	v_subrev_nc_u32_e32 v119, 28, v116
	v_lshlrev_b64_e32 v[128:129], v119, v[0:1]
	v_sub_nc_u32_e32 v119, 29, v116
	s_delay_alu instid0(VALU_DEP_2)
	v_and_b32_e32 v116, 7, v128
; %bb.1318:                             ;   in Loop: Header=BB288_934 Depth=1
	s_wait_alu 0xfffe
	s_or_b32 exec_lo, exec_lo, s16
	v_lshlrev_b32_e32 v0, 8, v0
	v_lshl_add_u32 v119, v119, 10, 0x2000
	v_lshlrev_b32_e32 v116, 7, v116
	s_delay_alu instid0(VALU_DEP_3) | instskip(NEXT) | instid1(VALU_DEP_3)
	v_and_b32_e32 v0, 0x8000, v0
	v_and_b32_e32 v119, 0xfc00, v119
	s_delay_alu instid0(VALU_DEP_1)
	v_or3_b32 v116, v0, v119, v116
.LBB288_1319:                           ;   in Loop: Header=BB288_934 Depth=1
	s_wait_alu 0xfffe
	s_or_b32 exec_lo, exec_lo, s15
.LBB288_1320:                           ;   in Loop: Header=BB288_934 Depth=1
	s_wait_alu 0xfffe
	s_or_b32 exec_lo, exec_lo, s14
.LBB288_1321:                           ;   in Loop: Header=BB288_934 Depth=1
	s_wait_alu 0xfffe
	s_or_b32 exec_lo, exec_lo, s11
	v_cmp_lt_u64_e64 s0, s[8:9], v[11:12]
	v_mov_b32_e32 v11, 0
	s_and_saveexec_b32 s11, s0
	s_cbranch_execz .LBB288_1329
; %bb.1322:                             ;   in Loop: Header=BB288_934 Depth=1
	v_lshrrev_b32_e32 v0, 24, v12
	v_bfrev_b32_e32 v11, 1
	s_mov_b32 s14, exec_lo
	s_delay_alu instid0(VALU_DEP_2)
	v_cmpx_ne_u32_e32 0x80, v0
	s_cbranch_execz .LBB288_1328
; %bb.1323:                             ;   in Loop: Header=BB288_934 Depth=1
	v_and_b32_e32 v119, 0x7f, v0
	v_mov_b32_e32 v11, 0x7c010000
	s_mov_b32 s15, exec_lo
	s_delay_alu instid0(VALU_DEP_2)
	v_cmpx_ne_u32_e32 0x7f, v119
	s_cbranch_execz .LBB288_1327
; %bb.1324:                             ;   in Loop: Header=BB288_934 Depth=1
	v_and_b32_e32 v11, 7, v0
	v_lshrrev_b32_e32 v12, 3, v119
	s_mov_b32 s16, exec_lo
	v_cmpx_gt_u32_e32 8, v119
; %bb.1325:                             ;   in Loop: Header=BB288_934 Depth=1
	s_delay_alu instid0(VALU_DEP_3) | instskip(NEXT) | instid1(VALU_DEP_1)
	v_clz_i32_u32_e32 v11, v11
	v_min_u32_e32 v119, 32, v11
	s_delay_alu instid0(VALU_DEP_1) | instskip(NEXT) | instid1(VALU_DEP_1)
	v_subrev_nc_u32_e32 v11, 28, v119
	v_lshlrev_b64_e32 v[11:12], v11, v[0:1]
	v_sub_nc_u32_e32 v12, 29, v119
	s_delay_alu instid0(VALU_DEP_2)
	v_and_b32_e32 v11, 7, v11
; %bb.1326:                             ;   in Loop: Header=BB288_934 Depth=1
	s_wait_alu 0xfffe
	s_or_b32 exec_lo, exec_lo, s16
	v_lshlrev_b32_e32 v0, 8, v0
	v_lshl_add_u32 v12, v12, 10, 0x2000
	v_lshlrev_b32_e32 v11, 23, v11
	s_delay_alu instid0(VALU_DEP_2) | instskip(NEXT) | instid1(VALU_DEP_1)
	v_and_or_b32 v0, 0x8000, v0, v12
	v_lshl_or_b32 v11, v0, 16, v11
.LBB288_1327:                           ;   in Loop: Header=BB288_934 Depth=1
	s_wait_alu 0xfffe
	s_or_b32 exec_lo, exec_lo, s15
.LBB288_1328:                           ;   in Loop: Header=BB288_934 Depth=1
	s_wait_alu 0xfffe
	s_or_b32 exec_lo, exec_lo, s14
.LBB288_1329:                           ;   in Loop: Header=BB288_934 Depth=1
	s_wait_alu 0xfffe
	s_or_b32 exec_lo, exec_lo, s11
	v_or_b32_e32 v0, v114, v115
	s_wait_loadcnt_dscnt 0x0
	v_fma_mixlo_f16 v12, v103, v114, 0 op_sel:[0,1,0] op_sel_hi:[0,1,0]
	v_or_b32_e32 v114, v112, v113
	v_fma_mixlo_f16 v112, v103, v112, 0 op_sel:[0,1,0] op_sel_hi:[0,1,0]
	v_or_b32_e32 v115, v118, v117
	v_or_b32_e32 v116, v11, v116
	v_fma_mixlo_f16 v117, v103, v0, 0 op_sel_hi:[0,1,0]
	v_fma_mixlo_f16 v11, v103, v11, 0 op_sel:[0,1,0] op_sel_hi:[0,1,0]
	v_lshlrev_b32_e32 v113, 16, v112
	v_fma_mixlo_f16 v112, v103, v114, 0 op_sel_hi:[0,1,0]
	v_fma_mixlo_f16 v114, v103, v118, 0 op_sel:[0,1,0] op_sel_hi:[0,1,0]
	v_fma_mixlo_f16 v115, v103, v115, 0 op_sel_hi:[0,1,0]
	v_fma_mixlo_f16 v116, v103, v116, 0 op_sel_hi:[0,1,0]
	v_lshlrev_b32_e32 v0, 16, v12
	v_and_b32_e32 v12, 0xffff, v117
	v_and_b32_e32 v119, 0xffff, v112
	v_lshlrev_b32_e32 v103, 16, v114
	v_and_b32_e32 v115, 0xffff, v115
	v_lshlrev_b32_e32 v11, 16, v11
	v_and_b32_e32 v112, 0xffff, v116
	v_or_b32_e32 v114, v0, v12
	v_or_b32_e32 v118, v113, v119
	;; [unrolled: 1-line block ×3, first 2 shown]
	s_delay_alu instid0(VALU_DEP_4)
	v_or_b32_e32 v116, v11, v112
	s_and_saveexec_b32 s11, vcc_lo
	s_cbranch_execz .LBB288_1331
; %bb.1330:                             ;   in Loop: Header=BB288_934 Depth=1
	v_cmp_lt_i32_e64 s0, v17, v34
	s_wait_alu 0xf1ff
	s_delay_alu instid0(VALU_DEP_1) | instskip(SKIP_2) | instid1(VALU_DEP_1)
	v_cndmask_b32_e64 v114, 0, v119, s0
	v_cmp_lt_i32_e64 s0, v86, v34
	s_wait_alu 0xf1ff
	v_cndmask_b32_e64 v113, 0, v113, s0
	v_cmp_lt_i32_e64 s0, v85, v34
	s_delay_alu instid0(VALU_DEP_2) | instskip(SKIP_1) | instid1(VALU_DEP_2)
	v_or_b32_e32 v118, v114, v113
	s_wait_alu 0xf1ff
	v_cndmask_b32_e64 v12, 0, v12, s0
	v_cmp_lt_i32_e64 s0, v84, v34
	s_wait_alu 0xf1ff
	s_delay_alu instid0(VALU_DEP_1) | instskip(SKIP_1) | instid1(VALU_DEP_2)
	v_cndmask_b32_e64 v0, 0, v0, s0
	v_cmp_lt_i32_e64 s0, v83, v34
	v_or_b32_e32 v114, v12, v0
	s_wait_alu 0xf1ff
	s_delay_alu instid0(VALU_DEP_2) | instskip(SKIP_2) | instid1(VALU_DEP_1)
	v_cndmask_b32_e64 v115, 0, v115, s0
	v_cmp_lt_i32_e64 s0, v82, v34
	s_wait_alu 0xf1ff
	v_cndmask_b32_e64 v103, 0, v103, s0
	v_cmp_lt_i32_e64 s0, v81, v34
	s_delay_alu instid0(VALU_DEP_2) | instskip(SKIP_1) | instid1(VALU_DEP_2)
	v_or_b32_e32 v117, v115, v103
	s_wait_alu 0xf1ff
	v_cndmask_b32_e64 v112, 0, v112, s0
	v_cmp_lt_i32_e64 s0, v80, v34
	s_wait_alu 0xf1ff
	s_delay_alu instid0(VALU_DEP_1) | instskip(NEXT) | instid1(VALU_DEP_1)
	v_cndmask_b32_e64 v11, 0, v11, s0
	v_or_b32_e32 v116, v112, v11
.LBB288_1331:                           ;   in Loop: Header=BB288_934 Depth=1
	s_wait_alu 0xfffe
	s_or_b32 exec_lo, exec_lo, s11
	;;#ASMSTART
	v_pk_mul_f16 v0, v71, v118;

	;;#ASMEND
	;;#ASMSTART
	v_pk_mul_f16 v11, v70, v114;

	;;#ASMEND
	;; [unrolled: 4-line block ×4, first 2 shown]
	;;#ASMSTART
	v_pk_add_f16 v0, v0, v11;

	;;#ASMEND
	;;#ASMSTART
	v_pk_add_f16 v0, v0, v12;

	;;#ASMEND
	;; [unrolled: 4-line block ×3, first 2 shown]
	v_dual_mov_b32 v114, 0 :: v_dual_and_b32 v11, 0xffff, v0
	v_lshrrev_b32_e32 v0, 16, v0
	;;#ASMSTART
	v_cvt_f32_f16 v103, v11;
	;;#ASMEND
	;;#ASMSTART
	v_cvt_f32_f16 v112, v0;
	;;#ASMEND
	flat_load_b64 v[11:12], v[9:10] offset:1536
	flat_load_b32 v113, v[26:27]
	s_mov_b32 s11, exec_lo
	s_wait_loadcnt_dscnt 0x101
	v_dual_mov_b32 v115, 0 :: v_dual_and_b32 v0, 0xff, v11
	s_delay_alu instid0(VALU_DEP_1)
	v_cmpx_ne_u16_e32 0, v0
	s_cbranch_execz .LBB288_1339
; %bb.1332:                             ;   in Loop: Header=BB288_934 Depth=1
	v_mov_b32_e32 v115, 0x8000
	s_mov_b32 s14, exec_lo
	v_cmpx_ne_u16_e32 0x80, v0
	s_cbranch_execz .LBB288_1338
; %bb.1333:                             ;   in Loop: Header=BB288_934 Depth=1
	v_and_b32_e32 v116, 0x7f, v11
	v_mov_b32_e32 v115, 0x7c01
	s_mov_b32 s15, exec_lo
	s_delay_alu instid0(VALU_DEP_2)
	v_cmpx_ne_u32_e32 0x7f, v116
	s_cbranch_execz .LBB288_1337
; %bb.1334:                             ;   in Loop: Header=BB288_934 Depth=1
	v_and_b32_e32 v0, 7, v11
	v_lshrrev_b32_e32 v115, 3, v116
	s_mov_b32 s16, exec_lo
	v_cmpx_gt_u32_e32 8, v116
; %bb.1335:                             ;   in Loop: Header=BB288_934 Depth=1
	s_delay_alu instid0(VALU_DEP_3) | instskip(NEXT) | instid1(VALU_DEP_1)
	v_clz_i32_u32_e32 v0, v0
	v_min_u32_e32 v0, 32, v0
	s_delay_alu instid0(VALU_DEP_1) | instskip(NEXT) | instid1(VALU_DEP_1)
	v_subrev_nc_u32_e32 v115, 28, v0
	v_lshlrev_b64_e32 v[116:117], v115, v[11:12]
	v_sub_nc_u32_e32 v115, 29, v0
	s_delay_alu instid0(VALU_DEP_2)
	v_and_b32_e32 v0, 7, v116
; %bb.1336:                             ;   in Loop: Header=BB288_934 Depth=1
	s_wait_alu 0xfffe
	s_or_b32 exec_lo, exec_lo, s16
	v_lshlrev_b32_e32 v116, 8, v11
	v_lshl_add_u32 v115, v115, 10, 0x2000
	v_lshlrev_b32_e32 v0, 7, v0
	s_delay_alu instid0(VALU_DEP_3) | instskip(NEXT) | instid1(VALU_DEP_3)
	v_and_b32_e32 v116, 0x8000, v116
	v_and_b32_e32 v115, 0xfc00, v115
	s_delay_alu instid0(VALU_DEP_1)
	v_or3_b32 v115, v116, v115, v0
.LBB288_1337:                           ;   in Loop: Header=BB288_934 Depth=1
	s_wait_alu 0xfffe
	s_or_b32 exec_lo, exec_lo, s15
.LBB288_1338:                           ;   in Loop: Header=BB288_934 Depth=1
	s_wait_alu 0xfffe
	s_or_b32 exec_lo, exec_lo, s14
.LBB288_1339:                           ;   in Loop: Header=BB288_934 Depth=1
	s_wait_alu 0xfffe
	s_or_b32 exec_lo, exec_lo, s11
	v_lshrrev_b16 v0, 8, v11
	s_mov_b32 s11, exec_lo
	s_delay_alu instid0(VALU_DEP_1)
	v_cmpx_ne_u16_e32 0, v0
	s_cbranch_execz .LBB288_1347
; %bb.1340:                             ;   in Loop: Header=BB288_934 Depth=1
	v_bfrev_b32_e32 v114, 1
	s_mov_b32 s14, exec_lo
	v_cmpx_ne_u16_e32 0x80, v0
	s_cbranch_execz .LBB288_1346
; %bb.1341:                             ;   in Loop: Header=BB288_934 Depth=1
	v_and_b32_e32 v116, 0xffff, v0
	v_mov_b32_e32 v114, 0x7c010000
	s_mov_b32 s15, exec_lo
	s_delay_alu instid0(VALU_DEP_2) | instskip(NEXT) | instid1(VALU_DEP_1)
	v_and_b32_e32 v118, 0x7f, v116
	v_cmpx_ne_u32_e32 0x7f, v118
	s_cbranch_execz .LBB288_1345
; %bb.1342:                             ;   in Loop: Header=BB288_934 Depth=1
	v_and_b32_e32 v114, 7, v116
	v_lshrrev_b32_e32 v117, 3, v118
	s_mov_b32 s16, exec_lo
	v_cmpx_gt_u32_e32 8, v118
; %bb.1343:                             ;   in Loop: Header=BB288_934 Depth=1
	s_delay_alu instid0(VALU_DEP_3) | instskip(NEXT) | instid1(VALU_DEP_1)
	v_clz_i32_u32_e32 v114, v114
	v_min_u32_e32 v114, 32, v114
	s_delay_alu instid0(VALU_DEP_1) | instskip(NEXT) | instid1(VALU_DEP_1)
	v_subrev_nc_u32_e32 v117, 28, v114
	v_lshlrev_b64_e32 v[118:119], v117, v[0:1]
	v_sub_nc_u32_e32 v117, 29, v114
	s_delay_alu instid0(VALU_DEP_2)
	v_and_b32_e32 v114, 7, v118
; %bb.1344:                             ;   in Loop: Header=BB288_934 Depth=1
	s_wait_alu 0xfffe
	s_or_b32 exec_lo, exec_lo, s16
	v_lshlrev_b32_e32 v0, 8, v116
	v_lshl_add_u32 v116, v117, 10, 0x2000
	v_lshlrev_b32_e32 v114, 23, v114
	s_delay_alu instid0(VALU_DEP_2) | instskip(NEXT) | instid1(VALU_DEP_1)
	v_and_or_b32 v0, 0x8000, v0, v116
	v_lshl_or_b32 v114, v0, 16, v114
.LBB288_1345:                           ;   in Loop: Header=BB288_934 Depth=1
	s_wait_alu 0xfffe
	s_or_b32 exec_lo, exec_lo, s15
.LBB288_1346:                           ;   in Loop: Header=BB288_934 Depth=1
	s_wait_alu 0xfffe
	s_or_b32 exec_lo, exec_lo, s14
.LBB288_1347:                           ;   in Loop: Header=BB288_934 Depth=1
	s_wait_alu 0xfffe
	s_or_b32 exec_lo, exec_lo, s11
	v_lshrrev_b32_e32 v0, 16, v11
	v_mov_b32_e32 v116, 0
	s_mov_b32 s11, exec_lo
	s_delay_alu instid0(VALU_DEP_2) | instskip(NEXT) | instid1(VALU_DEP_1)
	v_dual_mov_b32 v117, 0 :: v_dual_and_b32 v118, 0xff, v0
	v_cmpx_ne_u16_e32 0, v118
	s_cbranch_execz .LBB288_1355
; %bb.1348:                             ;   in Loop: Header=BB288_934 Depth=1
	v_mov_b32_e32 v117, 0x8000
	s_mov_b32 s14, exec_lo
	v_cmpx_ne_u16_e32 0x80, v118
	s_cbranch_execz .LBB288_1354
; %bb.1349:                             ;   in Loop: Header=BB288_934 Depth=1
	v_bfe_u32 v119, v11, 16, 7
	v_mov_b32_e32 v117, 0x7c01
	s_mov_b32 s15, exec_lo
	s_delay_alu instid0(VALU_DEP_2)
	v_cmpx_ne_u32_e32 0x7f, v119
	s_cbranch_execz .LBB288_1353
; %bb.1350:                             ;   in Loop: Header=BB288_934 Depth=1
	v_and_b32_e32 v117, 7, v0
	v_lshrrev_b32_e32 v118, 3, v119
	s_mov_b32 s16, exec_lo
	v_cmpx_gt_u32_e32 8, v119
; %bb.1351:                             ;   in Loop: Header=BB288_934 Depth=1
	s_delay_alu instid0(VALU_DEP_3) | instskip(NEXT) | instid1(VALU_DEP_1)
	v_clz_i32_u32_e32 v117, v117
	v_min_u32_e32 v119, 32, v117
	s_delay_alu instid0(VALU_DEP_1) | instskip(NEXT) | instid1(VALU_DEP_1)
	v_subrev_nc_u32_e32 v117, 28, v119
	v_lshlrev_b64_e32 v[117:118], v117, v[0:1]
	v_sub_nc_u32_e32 v118, 29, v119
	s_delay_alu instid0(VALU_DEP_2)
	v_and_b32_e32 v117, 7, v117
; %bb.1352:                             ;   in Loop: Header=BB288_934 Depth=1
	s_wait_alu 0xfffe
	s_or_b32 exec_lo, exec_lo, s16
	v_lshlrev_b32_e32 v0, 8, v0
	v_lshl_add_u32 v118, v118, 10, 0x2000
	v_lshlrev_b32_e32 v117, 7, v117
	s_delay_alu instid0(VALU_DEP_3) | instskip(NEXT) | instid1(VALU_DEP_3)
	v_and_b32_e32 v0, 0x8000, v0
	v_and_b32_e32 v118, 0xfc00, v118
	s_delay_alu instid0(VALU_DEP_1)
	v_or3_b32 v117, v0, v118, v117
.LBB288_1353:                           ;   in Loop: Header=BB288_934 Depth=1
	s_wait_alu 0xfffe
	s_or_b32 exec_lo, exec_lo, s15
.LBB288_1354:                           ;   in Loop: Header=BB288_934 Depth=1
	s_wait_alu 0xfffe
	s_or_b32 exec_lo, exec_lo, s14
.LBB288_1355:                           ;   in Loop: Header=BB288_934 Depth=1
	s_wait_alu 0xfffe
	s_or_b32 exec_lo, exec_lo, s11
	s_delay_alu instid0(SALU_CYCLE_1)
	s_mov_b32 s11, exec_lo
	v_cmpx_lt_u32_e32 0xffffff, v11
	s_cbranch_execz .LBB288_1363
; %bb.1356:                             ;   in Loop: Header=BB288_934 Depth=1
	v_lshrrev_b32_e32 v0, 24, v11
	v_bfrev_b32_e32 v116, 1
	s_mov_b32 s14, exec_lo
	s_delay_alu instid0(VALU_DEP_2)
	v_cmpx_ne_u32_e32 0x80, v0
	s_cbranch_execz .LBB288_1362
; %bb.1357:                             ;   in Loop: Header=BB288_934 Depth=1
	v_and_b32_e32 v119, 0x7f, v0
	v_mov_b32_e32 v116, 0x7c010000
	s_mov_b32 s15, exec_lo
	s_delay_alu instid0(VALU_DEP_2)
	v_cmpx_ne_u32_e32 0x7f, v119
	s_cbranch_execz .LBB288_1361
; %bb.1358:                             ;   in Loop: Header=BB288_934 Depth=1
	v_and_b32_e32 v116, 7, v0
	v_lshrrev_b32_e32 v118, 3, v119
	s_mov_b32 s16, exec_lo
	v_cmpx_gt_u32_e32 8, v119
; %bb.1359:                             ;   in Loop: Header=BB288_934 Depth=1
	s_delay_alu instid0(VALU_DEP_3) | instskip(NEXT) | instid1(VALU_DEP_1)
	v_clz_i32_u32_e32 v116, v116
	v_min_u32_e32 v116, 32, v116
	s_delay_alu instid0(VALU_DEP_1) | instskip(NEXT) | instid1(VALU_DEP_1)
	v_subrev_nc_u32_e32 v118, 28, v116
	v_lshlrev_b64_e32 v[128:129], v118, v[0:1]
	v_sub_nc_u32_e32 v118, 29, v116
	s_delay_alu instid0(VALU_DEP_2)
	v_and_b32_e32 v116, 7, v128
; %bb.1360:                             ;   in Loop: Header=BB288_934 Depth=1
	s_wait_alu 0xfffe
	s_or_b32 exec_lo, exec_lo, s16
	v_lshlrev_b32_e32 v0, 8, v0
	v_lshl_add_u32 v118, v118, 10, 0x2000
	v_lshlrev_b32_e32 v116, 23, v116
	s_delay_alu instid0(VALU_DEP_2) | instskip(NEXT) | instid1(VALU_DEP_1)
	v_and_or_b32 v0, 0x8000, v0, v118
	v_lshl_or_b32 v116, v0, 16, v116
.LBB288_1361:                           ;   in Loop: Header=BB288_934 Depth=1
	s_wait_alu 0xfffe
	s_or_b32 exec_lo, exec_lo, s15
.LBB288_1362:                           ;   in Loop: Header=BB288_934 Depth=1
	s_wait_alu 0xfffe
	s_or_b32 exec_lo, exec_lo, s14
.LBB288_1363:                           ;   in Loop: Header=BB288_934 Depth=1
	s_wait_alu 0xfffe
	s_or_b32 exec_lo, exec_lo, s11
	v_dual_mov_b32 v119, 0 :: v_dual_and_b32 v128, 0xff, v12
	v_mov_b32_e32 v0, v12
	v_mov_b32_e32 v118, 0
	s_mov_b32 s11, exec_lo
	s_delay_alu instid0(VALU_DEP_3)
	v_cmpx_ne_u16_e64 0, v128
	s_cbranch_execz .LBB288_1371
; %bb.1364:                             ;   in Loop: Header=BB288_934 Depth=1
	v_mov_b32_e32 v119, 0x8000
	s_mov_b32 s14, exec_lo
	v_cmpx_ne_u16_e64 0x80, v128
	s_cbranch_execz .LBB288_1370
; %bb.1365:                             ;   in Loop: Header=BB288_934 Depth=1
	v_and_b32_e32 v129, 0x7f, v12
	v_mov_b32_e32 v119, 0x7c01
	s_mov_b32 s15, exec_lo
	s_delay_alu instid0(VALU_DEP_2)
	v_cmpx_ne_u32_e32 0x7f, v129
	s_cbranch_execz .LBB288_1369
; %bb.1366:                             ;   in Loop: Header=BB288_934 Depth=1
	v_and_b32_e32 v119, 7, v12
	v_lshrrev_b32_e32 v128, 3, v129
	s_mov_b32 s16, exec_lo
	v_cmpx_gt_u32_e32 8, v129
; %bb.1367:                             ;   in Loop: Header=BB288_934 Depth=1
	s_delay_alu instid0(VALU_DEP_3) | instskip(NEXT) | instid1(VALU_DEP_1)
	v_clz_i32_u32_e32 v119, v119
	v_min_u32_e32 v119, 32, v119
	s_delay_alu instid0(VALU_DEP_1) | instskip(NEXT) | instid1(VALU_DEP_1)
	v_subrev_nc_u32_e32 v128, 28, v119
	v_lshlrev_b64_e32 v[129:130], v128, v[0:1]
	v_sub_nc_u32_e32 v128, 29, v119
	s_delay_alu instid0(VALU_DEP_2)
	v_and_b32_e32 v119, 7, v129
; %bb.1368:                             ;   in Loop: Header=BB288_934 Depth=1
	s_wait_alu 0xfffe
	s_or_b32 exec_lo, exec_lo, s16
	v_lshlrev_b32_e32 v129, 8, v12
	v_lshl_add_u32 v128, v128, 10, 0x2000
	v_lshlrev_b32_e32 v119, 7, v119
	s_delay_alu instid0(VALU_DEP_3) | instskip(NEXT) | instid1(VALU_DEP_3)
	v_and_b32_e32 v129, 0x8000, v129
	v_and_b32_e32 v128, 0xfc00, v128
	s_delay_alu instid0(VALU_DEP_1)
	v_or3_b32 v119, v129, v128, v119
.LBB288_1369:                           ;   in Loop: Header=BB288_934 Depth=1
	s_wait_alu 0xfffe
	s_or_b32 exec_lo, exec_lo, s15
.LBB288_1370:                           ;   in Loop: Header=BB288_934 Depth=1
	s_wait_alu 0xfffe
	s_or_b32 exec_lo, exec_lo, s14
.LBB288_1371:                           ;   in Loop: Header=BB288_934 Depth=1
	s_wait_alu 0xfffe
	s_or_b32 exec_lo, exec_lo, s11
	v_lshrrev_b16 v0, 8, v0
	v_mov_b32_e32 v128, 0
	s_mov_b32 s11, exec_lo
	s_delay_alu instid0(VALU_DEP_2)
	v_cmpx_ne_u16_e32 0, v0
	s_cbranch_execz .LBB288_1379
; %bb.1372:                             ;   in Loop: Header=BB288_934 Depth=1
	v_bfrev_b32_e32 v128, 1
	s_mov_b32 s14, exec_lo
	v_cmpx_ne_u16_e32 0x80, v0
	s_cbranch_execz .LBB288_1378
; %bb.1373:                             ;   in Loop: Header=BB288_934 Depth=1
	v_and_b32_e32 v129, 0xffff, v0
	v_mov_b32_e32 v128, 0x7c010000
	s_mov_b32 s15, exec_lo
	s_delay_alu instid0(VALU_DEP_2) | instskip(NEXT) | instid1(VALU_DEP_1)
	v_and_b32_e32 v131, 0x7f, v129
	v_cmpx_ne_u32_e32 0x7f, v131
	s_cbranch_execz .LBB288_1377
; %bb.1374:                             ;   in Loop: Header=BB288_934 Depth=1
	v_and_b32_e32 v128, 7, v129
	v_lshrrev_b32_e32 v130, 3, v131
	s_mov_b32 s16, exec_lo
	v_cmpx_gt_u32_e32 8, v131
; %bb.1375:                             ;   in Loop: Header=BB288_934 Depth=1
	s_delay_alu instid0(VALU_DEP_3) | instskip(NEXT) | instid1(VALU_DEP_1)
	v_clz_i32_u32_e32 v128, v128
	v_min_u32_e32 v128, 32, v128
	s_delay_alu instid0(VALU_DEP_1) | instskip(NEXT) | instid1(VALU_DEP_1)
	v_subrev_nc_u32_e32 v130, 28, v128
	v_lshlrev_b64_e32 v[131:132], v130, v[0:1]
	v_sub_nc_u32_e32 v130, 29, v128
	s_delay_alu instid0(VALU_DEP_2)
	v_and_b32_e32 v128, 7, v131
; %bb.1376:                             ;   in Loop: Header=BB288_934 Depth=1
	s_wait_alu 0xfffe
	s_or_b32 exec_lo, exec_lo, s16
	v_lshlrev_b32_e32 v0, 8, v129
	v_lshl_add_u32 v129, v130, 10, 0x2000
	v_lshlrev_b32_e32 v128, 23, v128
	s_delay_alu instid0(VALU_DEP_2) | instskip(NEXT) | instid1(VALU_DEP_1)
	v_and_or_b32 v0, 0x8000, v0, v129
	v_lshl_or_b32 v128, v0, 16, v128
.LBB288_1377:                           ;   in Loop: Header=BB288_934 Depth=1
	s_wait_alu 0xfffe
	s_or_b32 exec_lo, exec_lo, s15
.LBB288_1378:                           ;   in Loop: Header=BB288_934 Depth=1
	s_wait_alu 0xfffe
	s_or_b32 exec_lo, exec_lo, s14
.LBB288_1379:                           ;   in Loop: Header=BB288_934 Depth=1
	s_wait_alu 0xfffe
	s_or_b32 exec_lo, exec_lo, s11
	v_lshrrev_b32_e32 v0, 16, v12
	s_mov_b32 s11, exec_lo
	s_delay_alu instid0(VALU_DEP_1) | instskip(NEXT) | instid1(VALU_DEP_1)
	v_and_b32_e32 v129, 0xff, v0
	v_cmpx_ne_u16_e64 0, v129
	s_cbranch_execz .LBB288_1387
; %bb.1380:                             ;   in Loop: Header=BB288_934 Depth=1
	v_mov_b32_e32 v118, 0x8000
	s_mov_b32 s14, exec_lo
	v_cmpx_ne_u16_e64 0x80, v129
	s_cbranch_execz .LBB288_1386
; %bb.1381:                             ;   in Loop: Header=BB288_934 Depth=1
	v_bfe_u32 v130, v12, 16, 7
	v_mov_b32_e32 v118, 0x7c01
	s_mov_b32 s15, exec_lo
	s_delay_alu instid0(VALU_DEP_2)
	v_cmpx_ne_u32_e32 0x7f, v130
	s_cbranch_execz .LBB288_1385
; %bb.1382:                             ;   in Loop: Header=BB288_934 Depth=1
	v_and_b32_e32 v118, 7, v0
	v_lshrrev_b32_e32 v129, 3, v130
	s_mov_b32 s16, exec_lo
	v_cmpx_gt_u32_e32 8, v130
; %bb.1383:                             ;   in Loop: Header=BB288_934 Depth=1
	s_delay_alu instid0(VALU_DEP_3) | instskip(NEXT) | instid1(VALU_DEP_1)
	v_clz_i32_u32_e32 v118, v118
	v_min_u32_e32 v118, 32, v118
	s_delay_alu instid0(VALU_DEP_1) | instskip(NEXT) | instid1(VALU_DEP_1)
	v_subrev_nc_u32_e32 v129, 28, v118
	v_lshlrev_b64_e32 v[130:131], v129, v[0:1]
	v_sub_nc_u32_e32 v129, 29, v118
	s_delay_alu instid0(VALU_DEP_2)
	v_and_b32_e32 v118, 7, v130
; %bb.1384:                             ;   in Loop: Header=BB288_934 Depth=1
	s_wait_alu 0xfffe
	s_or_b32 exec_lo, exec_lo, s16
	v_lshlrev_b32_e32 v0, 8, v0
	v_lshl_add_u32 v129, v129, 10, 0x2000
	v_lshlrev_b32_e32 v118, 7, v118
	s_delay_alu instid0(VALU_DEP_3) | instskip(NEXT) | instid1(VALU_DEP_3)
	v_and_b32_e32 v0, 0x8000, v0
	v_and_b32_e32 v129, 0xfc00, v129
	s_delay_alu instid0(VALU_DEP_1)
	v_or3_b32 v118, v0, v129, v118
.LBB288_1385:                           ;   in Loop: Header=BB288_934 Depth=1
	s_wait_alu 0xfffe
	s_or_b32 exec_lo, exec_lo, s15
.LBB288_1386:                           ;   in Loop: Header=BB288_934 Depth=1
	s_wait_alu 0xfffe
	s_or_b32 exec_lo, exec_lo, s14
.LBB288_1387:                           ;   in Loop: Header=BB288_934 Depth=1
	s_wait_alu 0xfffe
	s_or_b32 exec_lo, exec_lo, s11
	v_cmp_lt_u64_e64 s0, s[8:9], v[11:12]
	v_mov_b32_e32 v11, 0
	s_and_saveexec_b32 s11, s0
	s_cbranch_execz .LBB288_1395
; %bb.1388:                             ;   in Loop: Header=BB288_934 Depth=1
	v_lshrrev_b32_e32 v0, 24, v12
	v_bfrev_b32_e32 v11, 1
	s_mov_b32 s14, exec_lo
	s_delay_alu instid0(VALU_DEP_2)
	v_cmpx_ne_u32_e32 0x80, v0
	s_cbranch_execz .LBB288_1394
; %bb.1389:                             ;   in Loop: Header=BB288_934 Depth=1
	v_and_b32_e32 v129, 0x7f, v0
	v_mov_b32_e32 v11, 0x7c010000
	s_mov_b32 s15, exec_lo
	s_delay_alu instid0(VALU_DEP_2)
	v_cmpx_ne_u32_e32 0x7f, v129
	s_cbranch_execz .LBB288_1393
; %bb.1390:                             ;   in Loop: Header=BB288_934 Depth=1
	v_and_b32_e32 v11, 7, v0
	v_lshrrev_b32_e32 v12, 3, v129
	s_mov_b32 s16, exec_lo
	v_cmpx_gt_u32_e32 8, v129
; %bb.1391:                             ;   in Loop: Header=BB288_934 Depth=1
	s_delay_alu instid0(VALU_DEP_3) | instskip(NEXT) | instid1(VALU_DEP_1)
	v_clz_i32_u32_e32 v11, v11
	v_min_u32_e32 v129, 32, v11
	s_delay_alu instid0(VALU_DEP_1) | instskip(NEXT) | instid1(VALU_DEP_1)
	v_subrev_nc_u32_e32 v11, 28, v129
	v_lshlrev_b64_e32 v[11:12], v11, v[0:1]
	v_sub_nc_u32_e32 v12, 29, v129
	s_delay_alu instid0(VALU_DEP_2)
	v_and_b32_e32 v11, 7, v11
; %bb.1392:                             ;   in Loop: Header=BB288_934 Depth=1
	s_wait_alu 0xfffe
	s_or_b32 exec_lo, exec_lo, s16
	v_lshlrev_b32_e32 v0, 8, v0
	v_lshl_add_u32 v12, v12, 10, 0x2000
	v_lshlrev_b32_e32 v11, 23, v11
	s_delay_alu instid0(VALU_DEP_2) | instskip(NEXT) | instid1(VALU_DEP_1)
	v_and_or_b32 v0, 0x8000, v0, v12
	v_lshl_or_b32 v11, v0, 16, v11
.LBB288_1393:                           ;   in Loop: Header=BB288_934 Depth=1
	s_wait_alu 0xfffe
	s_or_b32 exec_lo, exec_lo, s15
.LBB288_1394:                           ;   in Loop: Header=BB288_934 Depth=1
	s_wait_alu 0xfffe
	s_or_b32 exec_lo, exec_lo, s14
.LBB288_1395:                           ;   in Loop: Header=BB288_934 Depth=1
	s_wait_alu 0xfffe
	s_or_b32 exec_lo, exec_lo, s11
	v_or_b32_e32 v0, v116, v117
	s_wait_loadcnt_dscnt 0x0
	v_fma_mixlo_f16 v12, v113, v116, 0 op_sel:[0,1,0] op_sel_hi:[0,1,0]
	v_or_b32_e32 v116, v114, v115
	v_fma_mixlo_f16 v114, v113, v114, 0 op_sel:[0,1,0] op_sel_hi:[0,1,0]
	v_or_b32_e32 v117, v128, v119
	v_or_b32_e32 v118, v11, v118
	v_fma_mixlo_f16 v119, v113, v0, 0 op_sel_hi:[0,1,0]
	v_fma_mixlo_f16 v11, v113, v11, 0 op_sel:[0,1,0] op_sel_hi:[0,1,0]
	v_lshlrev_b32_e32 v115, 16, v114
	v_fma_mixlo_f16 v114, v113, v116, 0 op_sel_hi:[0,1,0]
	v_fma_mixlo_f16 v116, v113, v128, 0 op_sel:[0,1,0] op_sel_hi:[0,1,0]
	v_fma_mixlo_f16 v117, v113, v117, 0 op_sel_hi:[0,1,0]
	v_fma_mixlo_f16 v118, v113, v118, 0 op_sel_hi:[0,1,0]
	v_lshlrev_b32_e32 v0, 16, v12
	v_and_b32_e32 v12, 0xffff, v119
	v_and_b32_e32 v129, 0xffff, v114
	v_lshlrev_b32_e32 v113, 16, v116
	v_and_b32_e32 v117, 0xffff, v117
	v_lshlrev_b32_e32 v11, 16, v11
	v_and_b32_e32 v114, 0xffff, v118
	v_or_b32_e32 v116, v0, v12
	v_or_b32_e32 v128, v115, v129
	;; [unrolled: 1-line block ×3, first 2 shown]
	s_delay_alu instid0(VALU_DEP_4)
	v_or_b32_e32 v118, v11, v114
	s_and_saveexec_b32 s11, vcc_lo
	s_cbranch_execz .LBB288_1397
; %bb.1396:                             ;   in Loop: Header=BB288_934 Depth=1
	v_cmp_lt_i32_e64 s0, v17, v34
	s_wait_alu 0xf1ff
	s_delay_alu instid0(VALU_DEP_1) | instskip(SKIP_2) | instid1(VALU_DEP_1)
	v_cndmask_b32_e64 v116, 0, v129, s0
	v_cmp_lt_i32_e64 s0, v86, v34
	s_wait_alu 0xf1ff
	v_cndmask_b32_e64 v115, 0, v115, s0
	v_cmp_lt_i32_e64 s0, v85, v34
	s_delay_alu instid0(VALU_DEP_2) | instskip(SKIP_1) | instid1(VALU_DEP_2)
	v_or_b32_e32 v128, v116, v115
	s_wait_alu 0xf1ff
	v_cndmask_b32_e64 v12, 0, v12, s0
	v_cmp_lt_i32_e64 s0, v84, v34
	s_wait_alu 0xf1ff
	s_delay_alu instid0(VALU_DEP_1) | instskip(SKIP_1) | instid1(VALU_DEP_2)
	v_cndmask_b32_e64 v0, 0, v0, s0
	v_cmp_lt_i32_e64 s0, v83, v34
	v_or_b32_e32 v116, v12, v0
	s_wait_alu 0xf1ff
	s_delay_alu instid0(VALU_DEP_2) | instskip(SKIP_2) | instid1(VALU_DEP_1)
	v_cndmask_b32_e64 v117, 0, v117, s0
	v_cmp_lt_i32_e64 s0, v82, v34
	s_wait_alu 0xf1ff
	v_cndmask_b32_e64 v113, 0, v113, s0
	v_cmp_lt_i32_e64 s0, v81, v34
	s_delay_alu instid0(VALU_DEP_2) | instskip(SKIP_1) | instid1(VALU_DEP_2)
	v_or_b32_e32 v119, v117, v113
	s_wait_alu 0xf1ff
	v_cndmask_b32_e64 v114, 0, v114, s0
	v_cmp_lt_i32_e64 s0, v80, v34
	s_wait_alu 0xf1ff
	s_delay_alu instid0(VALU_DEP_1) | instskip(NEXT) | instid1(VALU_DEP_1)
	v_cndmask_b32_e64 v11, 0, v11, s0
	v_or_b32_e32 v118, v114, v11
.LBB288_1397:                           ;   in Loop: Header=BB288_934 Depth=1
	s_wait_alu 0xfffe
	s_or_b32 exec_lo, exec_lo, s11
	;;#ASMSTART
	v_pk_mul_f16 v0, v71, v128;

	;;#ASMEND
	;;#ASMSTART
	v_pk_mul_f16 v11, v70, v116;

	;;#ASMEND
	;; [unrolled: 4-line block ×4, first 2 shown]
	;;#ASMSTART
	v_pk_add_f16 v0, v0, v11;

	;;#ASMEND
	;;#ASMSTART
	v_pk_add_f16 v0, v0, v12;

	;;#ASMEND
	;;#ASMSTART
	v_pk_add_f16 v0, v0, v113;

	;;#ASMEND
	v_dual_mov_b32 v116, 0 :: v_dual_and_b32 v11, 0xffff, v0
	v_lshrrev_b32_e32 v0, 16, v0
	;;#ASMSTART
	v_cvt_f32_f16 v113, v11;
	;;#ASMEND
	;;#ASMSTART
	v_cvt_f32_f16 v114, v0;
	;;#ASMEND
	flat_load_b64 v[11:12], v[9:10] offset:1792
	flat_load_b32 v115, v[26:27]
	s_mov_b32 s11, exec_lo
	s_wait_loadcnt_dscnt 0x101
	v_dual_mov_b32 v117, 0 :: v_dual_and_b32 v0, 0xff, v11
	s_delay_alu instid0(VALU_DEP_1)
	v_cmpx_ne_u16_e32 0, v0
	s_cbranch_execz .LBB288_1405
; %bb.1398:                             ;   in Loop: Header=BB288_934 Depth=1
	v_mov_b32_e32 v117, 0x8000
	s_mov_b32 s14, exec_lo
	v_cmpx_ne_u16_e32 0x80, v0
	s_cbranch_execz .LBB288_1404
; %bb.1399:                             ;   in Loop: Header=BB288_934 Depth=1
	v_and_b32_e32 v118, 0x7f, v11
	v_mov_b32_e32 v117, 0x7c01
	s_mov_b32 s15, exec_lo
	s_delay_alu instid0(VALU_DEP_2)
	v_cmpx_ne_u32_e32 0x7f, v118
	s_cbranch_execz .LBB288_1403
; %bb.1400:                             ;   in Loop: Header=BB288_934 Depth=1
	v_and_b32_e32 v0, 7, v11
	v_lshrrev_b32_e32 v117, 3, v118
	s_mov_b32 s16, exec_lo
	v_cmpx_gt_u32_e32 8, v118
; %bb.1401:                             ;   in Loop: Header=BB288_934 Depth=1
	s_delay_alu instid0(VALU_DEP_3) | instskip(NEXT) | instid1(VALU_DEP_1)
	v_clz_i32_u32_e32 v0, v0
	v_min_u32_e32 v0, 32, v0
	s_delay_alu instid0(VALU_DEP_1) | instskip(NEXT) | instid1(VALU_DEP_1)
	v_subrev_nc_u32_e32 v117, 28, v0
	v_lshlrev_b64_e32 v[118:119], v117, v[11:12]
	v_sub_nc_u32_e32 v117, 29, v0
	s_delay_alu instid0(VALU_DEP_2)
	v_and_b32_e32 v0, 7, v118
; %bb.1402:                             ;   in Loop: Header=BB288_934 Depth=1
	s_wait_alu 0xfffe
	s_or_b32 exec_lo, exec_lo, s16
	v_lshlrev_b32_e32 v118, 8, v11
	v_lshl_add_u32 v117, v117, 10, 0x2000
	v_lshlrev_b32_e32 v0, 7, v0
	s_delay_alu instid0(VALU_DEP_3) | instskip(NEXT) | instid1(VALU_DEP_3)
	v_and_b32_e32 v118, 0x8000, v118
	v_and_b32_e32 v117, 0xfc00, v117
	s_delay_alu instid0(VALU_DEP_1)
	v_or3_b32 v117, v118, v117, v0
.LBB288_1403:                           ;   in Loop: Header=BB288_934 Depth=1
	s_wait_alu 0xfffe
	s_or_b32 exec_lo, exec_lo, s15
.LBB288_1404:                           ;   in Loop: Header=BB288_934 Depth=1
	s_wait_alu 0xfffe
	s_or_b32 exec_lo, exec_lo, s14
.LBB288_1405:                           ;   in Loop: Header=BB288_934 Depth=1
	s_wait_alu 0xfffe
	s_or_b32 exec_lo, exec_lo, s11
	v_lshrrev_b16 v0, 8, v11
	s_mov_b32 s11, exec_lo
	s_delay_alu instid0(VALU_DEP_1)
	v_cmpx_ne_u16_e32 0, v0
	s_cbranch_execz .LBB288_1413
; %bb.1406:                             ;   in Loop: Header=BB288_934 Depth=1
	v_bfrev_b32_e32 v116, 1
	s_mov_b32 s14, exec_lo
	v_cmpx_ne_u16_e32 0x80, v0
	s_cbranch_execz .LBB288_1412
; %bb.1407:                             ;   in Loop: Header=BB288_934 Depth=1
	v_and_b32_e32 v118, 0xffff, v0
	v_mov_b32_e32 v116, 0x7c010000
	s_mov_b32 s15, exec_lo
	s_delay_alu instid0(VALU_DEP_2) | instskip(NEXT) | instid1(VALU_DEP_1)
	v_and_b32_e32 v128, 0x7f, v118
	v_cmpx_ne_u32_e32 0x7f, v128
	s_cbranch_execz .LBB288_1411
; %bb.1408:                             ;   in Loop: Header=BB288_934 Depth=1
	v_and_b32_e32 v116, 7, v118
	v_lshrrev_b32_e32 v119, 3, v128
	s_mov_b32 s16, exec_lo
	v_cmpx_gt_u32_e32 8, v128
; %bb.1409:                             ;   in Loop: Header=BB288_934 Depth=1
	s_delay_alu instid0(VALU_DEP_3) | instskip(NEXT) | instid1(VALU_DEP_1)
	v_clz_i32_u32_e32 v116, v116
	v_min_u32_e32 v116, 32, v116
	s_delay_alu instid0(VALU_DEP_1) | instskip(NEXT) | instid1(VALU_DEP_1)
	v_subrev_nc_u32_e32 v119, 28, v116
	v_lshlrev_b64_e32 v[128:129], v119, v[0:1]
	v_sub_nc_u32_e32 v119, 29, v116
	s_delay_alu instid0(VALU_DEP_2)
	v_and_b32_e32 v116, 7, v128
; %bb.1410:                             ;   in Loop: Header=BB288_934 Depth=1
	s_wait_alu 0xfffe
	s_or_b32 exec_lo, exec_lo, s16
	v_lshlrev_b32_e32 v0, 8, v118
	v_lshl_add_u32 v118, v119, 10, 0x2000
	v_lshlrev_b32_e32 v116, 23, v116
	s_delay_alu instid0(VALU_DEP_2) | instskip(NEXT) | instid1(VALU_DEP_1)
	v_and_or_b32 v0, 0x8000, v0, v118
	v_lshl_or_b32 v116, v0, 16, v116
.LBB288_1411:                           ;   in Loop: Header=BB288_934 Depth=1
	s_wait_alu 0xfffe
	s_or_b32 exec_lo, exec_lo, s15
.LBB288_1412:                           ;   in Loop: Header=BB288_934 Depth=1
	s_wait_alu 0xfffe
	s_or_b32 exec_lo, exec_lo, s14
.LBB288_1413:                           ;   in Loop: Header=BB288_934 Depth=1
	s_wait_alu 0xfffe
	s_or_b32 exec_lo, exec_lo, s11
	v_lshrrev_b32_e32 v0, 16, v11
	v_mov_b32_e32 v118, 0
	s_mov_b32 s11, exec_lo
	s_delay_alu instid0(VALU_DEP_2) | instskip(NEXT) | instid1(VALU_DEP_1)
	v_dual_mov_b32 v119, 0 :: v_dual_and_b32 v128, 0xff, v0
	v_cmpx_ne_u16_e64 0, v128
	s_cbranch_execz .LBB288_1421
; %bb.1414:                             ;   in Loop: Header=BB288_934 Depth=1
	v_mov_b32_e32 v119, 0x8000
	s_mov_b32 s14, exec_lo
	v_cmpx_ne_u16_e64 0x80, v128
	s_cbranch_execz .LBB288_1420
; %bb.1415:                             ;   in Loop: Header=BB288_934 Depth=1
	v_bfe_u32 v129, v11, 16, 7
	v_mov_b32_e32 v119, 0x7c01
	s_mov_b32 s15, exec_lo
	s_delay_alu instid0(VALU_DEP_2)
	v_cmpx_ne_u32_e32 0x7f, v129
	s_cbranch_execz .LBB288_1419
; %bb.1416:                             ;   in Loop: Header=BB288_934 Depth=1
	v_and_b32_e32 v119, 7, v0
	v_lshrrev_b32_e32 v128, 3, v129
	s_mov_b32 s16, exec_lo
	v_cmpx_gt_u32_e32 8, v129
; %bb.1417:                             ;   in Loop: Header=BB288_934 Depth=1
	s_delay_alu instid0(VALU_DEP_3) | instskip(NEXT) | instid1(VALU_DEP_1)
	v_clz_i32_u32_e32 v119, v119
	v_min_u32_e32 v119, 32, v119
	s_delay_alu instid0(VALU_DEP_1) | instskip(NEXT) | instid1(VALU_DEP_1)
	v_subrev_nc_u32_e32 v128, 28, v119
	v_lshlrev_b64_e32 v[129:130], v128, v[0:1]
	v_sub_nc_u32_e32 v128, 29, v119
	s_delay_alu instid0(VALU_DEP_2)
	v_and_b32_e32 v119, 7, v129
; %bb.1418:                             ;   in Loop: Header=BB288_934 Depth=1
	s_wait_alu 0xfffe
	s_or_b32 exec_lo, exec_lo, s16
	v_lshlrev_b32_e32 v0, 8, v0
	v_lshl_add_u32 v128, v128, 10, 0x2000
	v_lshlrev_b32_e32 v119, 7, v119
	s_delay_alu instid0(VALU_DEP_3) | instskip(NEXT) | instid1(VALU_DEP_3)
	v_and_b32_e32 v0, 0x8000, v0
	v_and_b32_e32 v128, 0xfc00, v128
	s_delay_alu instid0(VALU_DEP_1)
	v_or3_b32 v119, v0, v128, v119
.LBB288_1419:                           ;   in Loop: Header=BB288_934 Depth=1
	s_wait_alu 0xfffe
	s_or_b32 exec_lo, exec_lo, s15
.LBB288_1420:                           ;   in Loop: Header=BB288_934 Depth=1
	s_wait_alu 0xfffe
	s_or_b32 exec_lo, exec_lo, s14
.LBB288_1421:                           ;   in Loop: Header=BB288_934 Depth=1
	s_wait_alu 0xfffe
	s_or_b32 exec_lo, exec_lo, s11
	s_delay_alu instid0(SALU_CYCLE_1)
	s_mov_b32 s11, exec_lo
	v_cmpx_lt_u32_e32 0xffffff, v11
	s_cbranch_execz .LBB288_1429
; %bb.1422:                             ;   in Loop: Header=BB288_934 Depth=1
	v_lshrrev_b32_e32 v0, 24, v11
	v_bfrev_b32_e32 v118, 1
	s_mov_b32 s14, exec_lo
	s_delay_alu instid0(VALU_DEP_2)
	v_cmpx_ne_u32_e32 0x80, v0
	s_cbranch_execz .LBB288_1428
; %bb.1423:                             ;   in Loop: Header=BB288_934 Depth=1
	v_and_b32_e32 v129, 0x7f, v0
	v_mov_b32_e32 v118, 0x7c010000
	s_mov_b32 s15, exec_lo
	s_delay_alu instid0(VALU_DEP_2)
	v_cmpx_ne_u32_e32 0x7f, v129
	s_cbranch_execz .LBB288_1427
; %bb.1424:                             ;   in Loop: Header=BB288_934 Depth=1
	v_and_b32_e32 v118, 7, v0
	v_lshrrev_b32_e32 v128, 3, v129
	s_mov_b32 s16, exec_lo
	v_cmpx_gt_u32_e32 8, v129
; %bb.1425:                             ;   in Loop: Header=BB288_934 Depth=1
	s_delay_alu instid0(VALU_DEP_3) | instskip(NEXT) | instid1(VALU_DEP_1)
	v_clz_i32_u32_e32 v118, v118
	v_min_u32_e32 v118, 32, v118
	s_delay_alu instid0(VALU_DEP_1) | instskip(NEXT) | instid1(VALU_DEP_1)
	v_subrev_nc_u32_e32 v128, 28, v118
	v_lshlrev_b64_e32 v[129:130], v128, v[0:1]
	v_sub_nc_u32_e32 v128, 29, v118
	s_delay_alu instid0(VALU_DEP_2)
	v_and_b32_e32 v118, 7, v129
; %bb.1426:                             ;   in Loop: Header=BB288_934 Depth=1
	s_wait_alu 0xfffe
	s_or_b32 exec_lo, exec_lo, s16
	v_lshlrev_b32_e32 v0, 8, v0
	v_lshl_add_u32 v128, v128, 10, 0x2000
	v_lshlrev_b32_e32 v118, 23, v118
	s_delay_alu instid0(VALU_DEP_2) | instskip(NEXT) | instid1(VALU_DEP_1)
	v_and_or_b32 v0, 0x8000, v0, v128
	v_lshl_or_b32 v118, v0, 16, v118
.LBB288_1427:                           ;   in Loop: Header=BB288_934 Depth=1
	s_wait_alu 0xfffe
	s_or_b32 exec_lo, exec_lo, s15
.LBB288_1428:                           ;   in Loop: Header=BB288_934 Depth=1
	s_wait_alu 0xfffe
	s_or_b32 exec_lo, exec_lo, s14
.LBB288_1429:                           ;   in Loop: Header=BB288_934 Depth=1
	s_wait_alu 0xfffe
	s_or_b32 exec_lo, exec_lo, s11
	v_dual_mov_b32 v129, 0 :: v_dual_and_b32 v130, 0xff, v12
	v_mov_b32_e32 v0, v12
	v_mov_b32_e32 v128, 0
	s_mov_b32 s11, exec_lo
	s_delay_alu instid0(VALU_DEP_3)
	v_cmpx_ne_u16_e64 0, v130
	s_cbranch_execz .LBB288_1437
; %bb.1430:                             ;   in Loop: Header=BB288_934 Depth=1
	v_mov_b32_e32 v129, 0x8000
	s_mov_b32 s14, exec_lo
	v_cmpx_ne_u16_e64 0x80, v130
	s_cbranch_execz .LBB288_1436
; %bb.1431:                             ;   in Loop: Header=BB288_934 Depth=1
	v_and_b32_e32 v131, 0x7f, v12
	v_mov_b32_e32 v129, 0x7c01
	s_mov_b32 s15, exec_lo
	s_delay_alu instid0(VALU_DEP_2)
	v_cmpx_ne_u32_e32 0x7f, v131
	s_cbranch_execz .LBB288_1435
; %bb.1432:                             ;   in Loop: Header=BB288_934 Depth=1
	v_and_b32_e32 v129, 7, v12
	v_lshrrev_b32_e32 v130, 3, v131
	s_mov_b32 s16, exec_lo
	v_cmpx_gt_u32_e32 8, v131
; %bb.1433:                             ;   in Loop: Header=BB288_934 Depth=1
	s_delay_alu instid0(VALU_DEP_3) | instskip(NEXT) | instid1(VALU_DEP_1)
	v_clz_i32_u32_e32 v129, v129
	v_min_u32_e32 v131, 32, v129
	s_delay_alu instid0(VALU_DEP_1) | instskip(NEXT) | instid1(VALU_DEP_1)
	v_subrev_nc_u32_e32 v129, 28, v131
	v_lshlrev_b64_e32 v[129:130], v129, v[0:1]
	v_sub_nc_u32_e32 v130, 29, v131
	s_delay_alu instid0(VALU_DEP_2)
	v_and_b32_e32 v129, 7, v129
; %bb.1434:                             ;   in Loop: Header=BB288_934 Depth=1
	s_wait_alu 0xfffe
	s_or_b32 exec_lo, exec_lo, s16
	v_lshlrev_b32_e32 v131, 8, v12
	v_lshl_add_u32 v130, v130, 10, 0x2000
	v_lshlrev_b32_e32 v129, 7, v129
	s_delay_alu instid0(VALU_DEP_3) | instskip(NEXT) | instid1(VALU_DEP_3)
	v_and_b32_e32 v131, 0x8000, v131
	v_and_b32_e32 v130, 0xfc00, v130
	s_delay_alu instid0(VALU_DEP_1)
	v_or3_b32 v129, v131, v130, v129
.LBB288_1435:                           ;   in Loop: Header=BB288_934 Depth=1
	s_wait_alu 0xfffe
	s_or_b32 exec_lo, exec_lo, s15
.LBB288_1436:                           ;   in Loop: Header=BB288_934 Depth=1
	s_wait_alu 0xfffe
	s_or_b32 exec_lo, exec_lo, s14
.LBB288_1437:                           ;   in Loop: Header=BB288_934 Depth=1
	s_wait_alu 0xfffe
	s_or_b32 exec_lo, exec_lo, s11
	v_lshrrev_b16 v0, 8, v0
	v_mov_b32_e32 v130, 0
	s_mov_b32 s11, exec_lo
	s_delay_alu instid0(VALU_DEP_2)
	v_cmpx_ne_u16_e32 0, v0
	s_cbranch_execz .LBB288_1445
; %bb.1438:                             ;   in Loop: Header=BB288_934 Depth=1
	v_bfrev_b32_e32 v130, 1
	s_mov_b32 s14, exec_lo
	v_cmpx_ne_u16_e32 0x80, v0
	s_cbranch_execz .LBB288_1444
; %bb.1439:                             ;   in Loop: Header=BB288_934 Depth=1
	v_and_b32_e32 v131, 0xffff, v0
	v_mov_b32_e32 v130, 0x7c010000
	s_mov_b32 s15, exec_lo
	s_delay_alu instid0(VALU_DEP_2) | instskip(NEXT) | instid1(VALU_DEP_1)
	v_and_b32_e32 v133, 0x7f, v131
	v_cmpx_ne_u32_e32 0x7f, v133
	s_cbranch_execz .LBB288_1443
; %bb.1440:                             ;   in Loop: Header=BB288_934 Depth=1
	v_and_b32_e32 v130, 7, v131
	v_lshrrev_b32_e32 v132, 3, v133
	s_mov_b32 s16, exec_lo
	v_cmpx_gt_u32_e32 8, v133
; %bb.1441:                             ;   in Loop: Header=BB288_934 Depth=1
	s_delay_alu instid0(VALU_DEP_3) | instskip(NEXT) | instid1(VALU_DEP_1)
	v_clz_i32_u32_e32 v130, v130
	v_min_u32_e32 v130, 32, v130
	s_delay_alu instid0(VALU_DEP_1) | instskip(NEXT) | instid1(VALU_DEP_1)
	v_subrev_nc_u32_e32 v132, 28, v130
	v_lshlrev_b64_e32 v[133:134], v132, v[0:1]
	v_sub_nc_u32_e32 v132, 29, v130
	s_delay_alu instid0(VALU_DEP_2)
	v_and_b32_e32 v130, 7, v133
; %bb.1442:                             ;   in Loop: Header=BB288_934 Depth=1
	s_wait_alu 0xfffe
	s_or_b32 exec_lo, exec_lo, s16
	v_lshlrev_b32_e32 v0, 8, v131
	v_lshl_add_u32 v131, v132, 10, 0x2000
	v_lshlrev_b32_e32 v130, 23, v130
	s_delay_alu instid0(VALU_DEP_2) | instskip(NEXT) | instid1(VALU_DEP_1)
	v_and_or_b32 v0, 0x8000, v0, v131
	v_lshl_or_b32 v130, v0, 16, v130
.LBB288_1443:                           ;   in Loop: Header=BB288_934 Depth=1
	s_wait_alu 0xfffe
	s_or_b32 exec_lo, exec_lo, s15
.LBB288_1444:                           ;   in Loop: Header=BB288_934 Depth=1
	s_wait_alu 0xfffe
	s_or_b32 exec_lo, exec_lo, s14
.LBB288_1445:                           ;   in Loop: Header=BB288_934 Depth=1
	s_wait_alu 0xfffe
	s_or_b32 exec_lo, exec_lo, s11
	v_lshrrev_b32_e32 v0, 16, v12
	s_mov_b32 s11, exec_lo
	s_delay_alu instid0(VALU_DEP_1) | instskip(NEXT) | instid1(VALU_DEP_1)
	v_and_b32_e32 v131, 0xff, v0
	v_cmpx_ne_u16_e64 0, v131
	s_cbranch_execz .LBB288_1453
; %bb.1446:                             ;   in Loop: Header=BB288_934 Depth=1
	v_mov_b32_e32 v128, 0x8000
	s_mov_b32 s14, exec_lo
	v_cmpx_ne_u16_e64 0x80, v131
	s_cbranch_execz .LBB288_1452
; %bb.1447:                             ;   in Loop: Header=BB288_934 Depth=1
	v_bfe_u32 v132, v12, 16, 7
	v_mov_b32_e32 v128, 0x7c01
	s_mov_b32 s15, exec_lo
	s_delay_alu instid0(VALU_DEP_2)
	v_cmpx_ne_u32_e32 0x7f, v132
	s_cbranch_execz .LBB288_1451
; %bb.1448:                             ;   in Loop: Header=BB288_934 Depth=1
	v_and_b32_e32 v128, 7, v0
	v_lshrrev_b32_e32 v131, 3, v132
	s_mov_b32 s16, exec_lo
	v_cmpx_gt_u32_e32 8, v132
; %bb.1449:                             ;   in Loop: Header=BB288_934 Depth=1
	s_delay_alu instid0(VALU_DEP_3) | instskip(NEXT) | instid1(VALU_DEP_1)
	v_clz_i32_u32_e32 v128, v128
	v_min_u32_e32 v128, 32, v128
	s_delay_alu instid0(VALU_DEP_1) | instskip(NEXT) | instid1(VALU_DEP_1)
	v_subrev_nc_u32_e32 v131, 28, v128
	v_lshlrev_b64_e32 v[132:133], v131, v[0:1]
	v_sub_nc_u32_e32 v131, 29, v128
	s_delay_alu instid0(VALU_DEP_2)
	v_and_b32_e32 v128, 7, v132
; %bb.1450:                             ;   in Loop: Header=BB288_934 Depth=1
	s_wait_alu 0xfffe
	s_or_b32 exec_lo, exec_lo, s16
	v_lshlrev_b32_e32 v0, 8, v0
	v_lshl_add_u32 v131, v131, 10, 0x2000
	v_lshlrev_b32_e32 v128, 7, v128
	s_delay_alu instid0(VALU_DEP_3) | instskip(NEXT) | instid1(VALU_DEP_3)
	v_and_b32_e32 v0, 0x8000, v0
	v_and_b32_e32 v131, 0xfc00, v131
	s_delay_alu instid0(VALU_DEP_1)
	v_or3_b32 v128, v0, v131, v128
.LBB288_1451:                           ;   in Loop: Header=BB288_934 Depth=1
	s_wait_alu 0xfffe
	s_or_b32 exec_lo, exec_lo, s15
.LBB288_1452:                           ;   in Loop: Header=BB288_934 Depth=1
	s_wait_alu 0xfffe
	s_or_b32 exec_lo, exec_lo, s14
.LBB288_1453:                           ;   in Loop: Header=BB288_934 Depth=1
	s_wait_alu 0xfffe
	s_or_b32 exec_lo, exec_lo, s11
	v_cmp_lt_u64_e64 s0, s[8:9], v[11:12]
	v_mov_b32_e32 v11, 0
	s_and_saveexec_b32 s11, s0
	s_cbranch_execz .LBB288_1461
; %bb.1454:                             ;   in Loop: Header=BB288_934 Depth=1
	v_lshrrev_b32_e32 v0, 24, v12
	v_bfrev_b32_e32 v11, 1
	s_mov_b32 s14, exec_lo
	s_delay_alu instid0(VALU_DEP_2)
	v_cmpx_ne_u32_e32 0x80, v0
	s_cbranch_execz .LBB288_1460
; %bb.1455:                             ;   in Loop: Header=BB288_934 Depth=1
	v_and_b32_e32 v131, 0x7f, v0
	v_mov_b32_e32 v11, 0x7c010000
	s_mov_b32 s15, exec_lo
	s_delay_alu instid0(VALU_DEP_2)
	v_cmpx_ne_u32_e32 0x7f, v131
	s_cbranch_execz .LBB288_1459
; %bb.1456:                             ;   in Loop: Header=BB288_934 Depth=1
	v_and_b32_e32 v11, 7, v0
	v_lshrrev_b32_e32 v12, 3, v131
	s_mov_b32 s16, exec_lo
	v_cmpx_gt_u32_e32 8, v131
; %bb.1457:                             ;   in Loop: Header=BB288_934 Depth=1
	s_delay_alu instid0(VALU_DEP_3) | instskip(NEXT) | instid1(VALU_DEP_1)
	v_clz_i32_u32_e32 v11, v11
	v_min_u32_e32 v131, 32, v11
	s_delay_alu instid0(VALU_DEP_1) | instskip(NEXT) | instid1(VALU_DEP_1)
	v_subrev_nc_u32_e32 v11, 28, v131
	v_lshlrev_b64_e32 v[11:12], v11, v[0:1]
	v_sub_nc_u32_e32 v12, 29, v131
	s_delay_alu instid0(VALU_DEP_2)
	v_and_b32_e32 v11, 7, v11
; %bb.1458:                             ;   in Loop: Header=BB288_934 Depth=1
	s_wait_alu 0xfffe
	s_or_b32 exec_lo, exec_lo, s16
	v_lshlrev_b32_e32 v0, 8, v0
	v_lshl_add_u32 v12, v12, 10, 0x2000
	v_lshlrev_b32_e32 v11, 23, v11
	s_delay_alu instid0(VALU_DEP_2) | instskip(NEXT) | instid1(VALU_DEP_1)
	v_and_or_b32 v0, 0x8000, v0, v12
	v_lshl_or_b32 v11, v0, 16, v11
.LBB288_1459:                           ;   in Loop: Header=BB288_934 Depth=1
	s_wait_alu 0xfffe
	s_or_b32 exec_lo, exec_lo, s15
.LBB288_1460:                           ;   in Loop: Header=BB288_934 Depth=1
	s_wait_alu 0xfffe
	s_or_b32 exec_lo, exec_lo, s14
.LBB288_1461:                           ;   in Loop: Header=BB288_934 Depth=1
	s_wait_alu 0xfffe
	s_or_b32 exec_lo, exec_lo, s11
	v_or_b32_e32 v0, v118, v119
	s_wait_loadcnt_dscnt 0x0
	v_fma_mixlo_f16 v12, v115, v118, 0 op_sel:[0,1,0] op_sel_hi:[0,1,0]
	v_or_b32_e32 v118, v116, v117
	v_fma_mixlo_f16 v116, v115, v116, 0 op_sel:[0,1,0] op_sel_hi:[0,1,0]
	v_or_b32_e32 v119, v130, v129
	v_or_b32_e32 v128, v11, v128
	v_fma_mixlo_f16 v129, v115, v0, 0 op_sel_hi:[0,1,0]
	v_fma_mixlo_f16 v11, v115, v11, 0 op_sel:[0,1,0] op_sel_hi:[0,1,0]
	v_lshlrev_b32_e32 v117, 16, v116
	v_fma_mixlo_f16 v116, v115, v118, 0 op_sel_hi:[0,1,0]
	v_fma_mixlo_f16 v118, v115, v130, 0 op_sel:[0,1,0] op_sel_hi:[0,1,0]
	v_fma_mixlo_f16 v119, v115, v119, 0 op_sel_hi:[0,1,0]
	v_fma_mixlo_f16 v128, v115, v128, 0 op_sel_hi:[0,1,0]
	v_lshlrev_b32_e32 v0, 16, v12
	v_and_b32_e32 v12, 0xffff, v129
	v_and_b32_e32 v131, 0xffff, v116
	v_lshlrev_b32_e32 v115, 16, v118
	v_and_b32_e32 v119, 0xffff, v119
	v_lshlrev_b32_e32 v11, 16, v11
	v_and_b32_e32 v116, 0xffff, v128
	v_or_b32_e32 v118, v0, v12
	v_or_b32_e32 v130, v117, v131
	;; [unrolled: 1-line block ×3, first 2 shown]
	s_delay_alu instid0(VALU_DEP_4)
	v_or_b32_e32 v128, v11, v116
	s_and_saveexec_b32 s11, vcc_lo
	s_cbranch_execz .LBB288_1463
; %bb.1462:                             ;   in Loop: Header=BB288_934 Depth=1
	v_cmp_lt_i32_e64 s0, v17, v34
	s_wait_alu 0xf1ff
	s_delay_alu instid0(VALU_DEP_1) | instskip(SKIP_2) | instid1(VALU_DEP_1)
	v_cndmask_b32_e64 v118, 0, v131, s0
	v_cmp_lt_i32_e64 s0, v86, v34
	s_wait_alu 0xf1ff
	v_cndmask_b32_e64 v117, 0, v117, s0
	v_cmp_lt_i32_e64 s0, v85, v34
	s_delay_alu instid0(VALU_DEP_2) | instskip(SKIP_1) | instid1(VALU_DEP_2)
	v_or_b32_e32 v130, v118, v117
	s_wait_alu 0xf1ff
	v_cndmask_b32_e64 v12, 0, v12, s0
	v_cmp_lt_i32_e64 s0, v84, v34
	s_wait_alu 0xf1ff
	s_delay_alu instid0(VALU_DEP_1) | instskip(SKIP_1) | instid1(VALU_DEP_2)
	v_cndmask_b32_e64 v0, 0, v0, s0
	v_cmp_lt_i32_e64 s0, v83, v34
	v_or_b32_e32 v118, v12, v0
	s_wait_alu 0xf1ff
	s_delay_alu instid0(VALU_DEP_2) | instskip(SKIP_2) | instid1(VALU_DEP_1)
	v_cndmask_b32_e64 v119, 0, v119, s0
	v_cmp_lt_i32_e64 s0, v82, v34
	s_wait_alu 0xf1ff
	v_cndmask_b32_e64 v115, 0, v115, s0
	v_cmp_lt_i32_e64 s0, v81, v34
	s_delay_alu instid0(VALU_DEP_2) | instskip(SKIP_1) | instid1(VALU_DEP_2)
	v_or_b32_e32 v129, v119, v115
	s_wait_alu 0xf1ff
	v_cndmask_b32_e64 v116, 0, v116, s0
	v_cmp_lt_i32_e64 s0, v80, v34
	s_wait_alu 0xf1ff
	s_delay_alu instid0(VALU_DEP_1) | instskip(NEXT) | instid1(VALU_DEP_1)
	v_cndmask_b32_e64 v11, 0, v11, s0
	v_or_b32_e32 v128, v116, v11
.LBB288_1463:                           ;   in Loop: Header=BB288_934 Depth=1
	s_wait_alu 0xfffe
	s_or_b32 exec_lo, exec_lo, s11
	;;#ASMSTART
	v_pk_mul_f16 v0, v71, v130;

	;;#ASMEND
	;;#ASMSTART
	v_pk_mul_f16 v11, v70, v118;

	;;#ASMEND
	;; [unrolled: 4-line block ×4, first 2 shown]
	;;#ASMSTART
	v_pk_add_f16 v0, v0, v11;

	;;#ASMEND
	;;#ASMSTART
	v_pk_add_f16 v0, v0, v12;

	;;#ASMEND
	;; [unrolled: 4-line block ×3, first 2 shown]
	v_dual_mov_b32 v118, 0 :: v_dual_and_b32 v11, 0xffff, v0
	v_lshrrev_b32_e32 v0, 16, v0
	;;#ASMSTART
	v_cvt_f32_f16 v115, v11;
	;;#ASMEND
	;;#ASMSTART
	v_cvt_f32_f16 v116, v0;
	;;#ASMEND
	flat_load_b64 v[11:12], v[9:10] offset:2048
	flat_load_b32 v117, v[26:27]
	s_mov_b32 s11, exec_lo
	s_wait_loadcnt_dscnt 0x101
	v_dual_mov_b32 v119, 0 :: v_dual_and_b32 v0, 0xff, v11
	s_delay_alu instid0(VALU_DEP_1)
	v_cmpx_ne_u16_e32 0, v0
	s_cbranch_execz .LBB288_1471
; %bb.1464:                             ;   in Loop: Header=BB288_934 Depth=1
	v_mov_b32_e32 v119, 0x8000
	s_mov_b32 s14, exec_lo
	v_cmpx_ne_u16_e32 0x80, v0
	s_cbranch_execz .LBB288_1470
; %bb.1465:                             ;   in Loop: Header=BB288_934 Depth=1
	v_and_b32_e32 v128, 0x7f, v11
	v_mov_b32_e32 v119, 0x7c01
	s_mov_b32 s15, exec_lo
	s_delay_alu instid0(VALU_DEP_2)
	v_cmpx_ne_u32_e32 0x7f, v128
	s_cbranch_execz .LBB288_1469
; %bb.1466:                             ;   in Loop: Header=BB288_934 Depth=1
	v_and_b32_e32 v0, 7, v11
	v_lshrrev_b32_e32 v119, 3, v128
	s_mov_b32 s16, exec_lo
	v_cmpx_gt_u32_e32 8, v128
; %bb.1467:                             ;   in Loop: Header=BB288_934 Depth=1
	s_delay_alu instid0(VALU_DEP_3) | instskip(NEXT) | instid1(VALU_DEP_1)
	v_clz_i32_u32_e32 v0, v0
	v_min_u32_e32 v0, 32, v0
	s_delay_alu instid0(VALU_DEP_1) | instskip(NEXT) | instid1(VALU_DEP_1)
	v_subrev_nc_u32_e32 v119, 28, v0
	v_lshlrev_b64_e32 v[128:129], v119, v[11:12]
	v_sub_nc_u32_e32 v119, 29, v0
	s_delay_alu instid0(VALU_DEP_2)
	v_and_b32_e32 v0, 7, v128
; %bb.1468:                             ;   in Loop: Header=BB288_934 Depth=1
	s_wait_alu 0xfffe
	s_or_b32 exec_lo, exec_lo, s16
	v_lshlrev_b32_e32 v128, 8, v11
	v_lshl_add_u32 v119, v119, 10, 0x2000
	v_lshlrev_b32_e32 v0, 7, v0
	s_delay_alu instid0(VALU_DEP_3) | instskip(NEXT) | instid1(VALU_DEP_3)
	v_and_b32_e32 v128, 0x8000, v128
	v_and_b32_e32 v119, 0xfc00, v119
	s_delay_alu instid0(VALU_DEP_1)
	v_or3_b32 v119, v128, v119, v0
.LBB288_1469:                           ;   in Loop: Header=BB288_934 Depth=1
	s_wait_alu 0xfffe
	s_or_b32 exec_lo, exec_lo, s15
.LBB288_1470:                           ;   in Loop: Header=BB288_934 Depth=1
	s_wait_alu 0xfffe
	s_or_b32 exec_lo, exec_lo, s14
.LBB288_1471:                           ;   in Loop: Header=BB288_934 Depth=1
	s_wait_alu 0xfffe
	s_or_b32 exec_lo, exec_lo, s11
	v_lshrrev_b16 v0, 8, v11
	s_mov_b32 s11, exec_lo
	s_delay_alu instid0(VALU_DEP_1)
	v_cmpx_ne_u16_e32 0, v0
	s_cbranch_execz .LBB288_1479
; %bb.1472:                             ;   in Loop: Header=BB288_934 Depth=1
	v_bfrev_b32_e32 v118, 1
	s_mov_b32 s14, exec_lo
	v_cmpx_ne_u16_e32 0x80, v0
	s_cbranch_execz .LBB288_1478
; %bb.1473:                             ;   in Loop: Header=BB288_934 Depth=1
	v_and_b32_e32 v128, 0xffff, v0
	v_mov_b32_e32 v118, 0x7c010000
	s_mov_b32 s15, exec_lo
	s_delay_alu instid0(VALU_DEP_2) | instskip(NEXT) | instid1(VALU_DEP_1)
	v_and_b32_e32 v130, 0x7f, v128
	v_cmpx_ne_u32_e32 0x7f, v130
	s_cbranch_execz .LBB288_1477
; %bb.1474:                             ;   in Loop: Header=BB288_934 Depth=1
	v_and_b32_e32 v118, 7, v128
	v_lshrrev_b32_e32 v129, 3, v130
	s_mov_b32 s16, exec_lo
	v_cmpx_gt_u32_e32 8, v130
; %bb.1475:                             ;   in Loop: Header=BB288_934 Depth=1
	s_delay_alu instid0(VALU_DEP_3) | instskip(NEXT) | instid1(VALU_DEP_1)
	v_clz_i32_u32_e32 v118, v118
	v_min_u32_e32 v118, 32, v118
	s_delay_alu instid0(VALU_DEP_1) | instskip(NEXT) | instid1(VALU_DEP_1)
	v_subrev_nc_u32_e32 v129, 28, v118
	v_lshlrev_b64_e32 v[130:131], v129, v[0:1]
	v_sub_nc_u32_e32 v129, 29, v118
	s_delay_alu instid0(VALU_DEP_2)
	v_and_b32_e32 v118, 7, v130
; %bb.1476:                             ;   in Loop: Header=BB288_934 Depth=1
	s_wait_alu 0xfffe
	s_or_b32 exec_lo, exec_lo, s16
	v_lshlrev_b32_e32 v0, 8, v128
	v_lshl_add_u32 v128, v129, 10, 0x2000
	v_lshlrev_b32_e32 v118, 23, v118
	s_delay_alu instid0(VALU_DEP_2) | instskip(NEXT) | instid1(VALU_DEP_1)
	v_and_or_b32 v0, 0x8000, v0, v128
	v_lshl_or_b32 v118, v0, 16, v118
.LBB288_1477:                           ;   in Loop: Header=BB288_934 Depth=1
	s_wait_alu 0xfffe
	s_or_b32 exec_lo, exec_lo, s15
.LBB288_1478:                           ;   in Loop: Header=BB288_934 Depth=1
	s_wait_alu 0xfffe
	s_or_b32 exec_lo, exec_lo, s14
.LBB288_1479:                           ;   in Loop: Header=BB288_934 Depth=1
	s_wait_alu 0xfffe
	s_or_b32 exec_lo, exec_lo, s11
	v_lshrrev_b32_e32 v0, 16, v11
	v_mov_b32_e32 v128, 0
	s_mov_b32 s11, exec_lo
	s_delay_alu instid0(VALU_DEP_2) | instskip(NEXT) | instid1(VALU_DEP_1)
	v_dual_mov_b32 v129, 0 :: v_dual_and_b32 v130, 0xff, v0
	v_cmpx_ne_u16_e64 0, v130
	s_cbranch_execz .LBB288_1487
; %bb.1480:                             ;   in Loop: Header=BB288_934 Depth=1
	v_mov_b32_e32 v129, 0x8000
	s_mov_b32 s14, exec_lo
	v_cmpx_ne_u16_e64 0x80, v130
	s_cbranch_execz .LBB288_1486
; %bb.1481:                             ;   in Loop: Header=BB288_934 Depth=1
	v_bfe_u32 v131, v11, 16, 7
	v_mov_b32_e32 v129, 0x7c01
	s_mov_b32 s15, exec_lo
	s_delay_alu instid0(VALU_DEP_2)
	v_cmpx_ne_u32_e32 0x7f, v131
	s_cbranch_execz .LBB288_1485
; %bb.1482:                             ;   in Loop: Header=BB288_934 Depth=1
	v_and_b32_e32 v129, 7, v0
	v_lshrrev_b32_e32 v130, 3, v131
	s_mov_b32 s16, exec_lo
	v_cmpx_gt_u32_e32 8, v131
; %bb.1483:                             ;   in Loop: Header=BB288_934 Depth=1
	s_delay_alu instid0(VALU_DEP_3) | instskip(NEXT) | instid1(VALU_DEP_1)
	v_clz_i32_u32_e32 v129, v129
	v_min_u32_e32 v131, 32, v129
	s_delay_alu instid0(VALU_DEP_1) | instskip(NEXT) | instid1(VALU_DEP_1)
	v_subrev_nc_u32_e32 v129, 28, v131
	v_lshlrev_b64_e32 v[129:130], v129, v[0:1]
	v_sub_nc_u32_e32 v130, 29, v131
	s_delay_alu instid0(VALU_DEP_2)
	v_and_b32_e32 v129, 7, v129
; %bb.1484:                             ;   in Loop: Header=BB288_934 Depth=1
	s_wait_alu 0xfffe
	s_or_b32 exec_lo, exec_lo, s16
	v_lshlrev_b32_e32 v0, 8, v0
	v_lshl_add_u32 v130, v130, 10, 0x2000
	v_lshlrev_b32_e32 v129, 7, v129
	s_delay_alu instid0(VALU_DEP_3) | instskip(NEXT) | instid1(VALU_DEP_3)
	v_and_b32_e32 v0, 0x8000, v0
	v_and_b32_e32 v130, 0xfc00, v130
	s_delay_alu instid0(VALU_DEP_1)
	v_or3_b32 v129, v0, v130, v129
.LBB288_1485:                           ;   in Loop: Header=BB288_934 Depth=1
	s_wait_alu 0xfffe
	s_or_b32 exec_lo, exec_lo, s15
.LBB288_1486:                           ;   in Loop: Header=BB288_934 Depth=1
	s_wait_alu 0xfffe
	s_or_b32 exec_lo, exec_lo, s14
.LBB288_1487:                           ;   in Loop: Header=BB288_934 Depth=1
	s_wait_alu 0xfffe
	s_or_b32 exec_lo, exec_lo, s11
	s_delay_alu instid0(SALU_CYCLE_1)
	s_mov_b32 s11, exec_lo
	v_cmpx_lt_u32_e32 0xffffff, v11
	s_cbranch_execz .LBB288_1495
; %bb.1488:                             ;   in Loop: Header=BB288_934 Depth=1
	v_lshrrev_b32_e32 v0, 24, v11
	v_bfrev_b32_e32 v128, 1
	s_mov_b32 s14, exec_lo
	s_delay_alu instid0(VALU_DEP_2)
	v_cmpx_ne_u32_e32 0x80, v0
	s_cbranch_execz .LBB288_1494
; %bb.1489:                             ;   in Loop: Header=BB288_934 Depth=1
	v_and_b32_e32 v131, 0x7f, v0
	v_mov_b32_e32 v128, 0x7c010000
	s_mov_b32 s15, exec_lo
	s_delay_alu instid0(VALU_DEP_2)
	v_cmpx_ne_u32_e32 0x7f, v131
	s_cbranch_execz .LBB288_1493
; %bb.1490:                             ;   in Loop: Header=BB288_934 Depth=1
	v_and_b32_e32 v128, 7, v0
	v_lshrrev_b32_e32 v130, 3, v131
	s_mov_b32 s16, exec_lo
	v_cmpx_gt_u32_e32 8, v131
; %bb.1491:                             ;   in Loop: Header=BB288_934 Depth=1
	s_delay_alu instid0(VALU_DEP_3) | instskip(NEXT) | instid1(VALU_DEP_1)
	v_clz_i32_u32_e32 v128, v128
	v_min_u32_e32 v128, 32, v128
	s_delay_alu instid0(VALU_DEP_1) | instskip(NEXT) | instid1(VALU_DEP_1)
	v_subrev_nc_u32_e32 v130, 28, v128
	v_lshlrev_b64_e32 v[131:132], v130, v[0:1]
	v_sub_nc_u32_e32 v130, 29, v128
	s_delay_alu instid0(VALU_DEP_2)
	v_and_b32_e32 v128, 7, v131
; %bb.1492:                             ;   in Loop: Header=BB288_934 Depth=1
	s_wait_alu 0xfffe
	s_or_b32 exec_lo, exec_lo, s16
	v_lshlrev_b32_e32 v0, 8, v0
	v_lshl_add_u32 v130, v130, 10, 0x2000
	v_lshlrev_b32_e32 v128, 23, v128
	s_delay_alu instid0(VALU_DEP_2) | instskip(NEXT) | instid1(VALU_DEP_1)
	v_and_or_b32 v0, 0x8000, v0, v130
	v_lshl_or_b32 v128, v0, 16, v128
.LBB288_1493:                           ;   in Loop: Header=BB288_934 Depth=1
	s_wait_alu 0xfffe
	s_or_b32 exec_lo, exec_lo, s15
.LBB288_1494:                           ;   in Loop: Header=BB288_934 Depth=1
	s_wait_alu 0xfffe
	s_or_b32 exec_lo, exec_lo, s14
.LBB288_1495:                           ;   in Loop: Header=BB288_934 Depth=1
	s_wait_alu 0xfffe
	s_or_b32 exec_lo, exec_lo, s11
	v_dual_mov_b32 v131, 0 :: v_dual_and_b32 v132, 0xff, v12
	v_mov_b32_e32 v0, v12
	v_mov_b32_e32 v130, 0
	s_mov_b32 s11, exec_lo
	s_delay_alu instid0(VALU_DEP_3)
	v_cmpx_ne_u16_e64 0, v132
	s_cbranch_execz .LBB288_1503
; %bb.1496:                             ;   in Loop: Header=BB288_934 Depth=1
	v_mov_b32_e32 v131, 0x8000
	s_mov_b32 s14, exec_lo
	v_cmpx_ne_u16_e64 0x80, v132
	s_cbranch_execz .LBB288_1502
; %bb.1497:                             ;   in Loop: Header=BB288_934 Depth=1
	v_and_b32_e32 v133, 0x7f, v12
	v_mov_b32_e32 v131, 0x7c01
	s_mov_b32 s15, exec_lo
	s_delay_alu instid0(VALU_DEP_2)
	v_cmpx_ne_u32_e32 0x7f, v133
	s_cbranch_execz .LBB288_1501
; %bb.1498:                             ;   in Loop: Header=BB288_934 Depth=1
	v_and_b32_e32 v131, 7, v12
	v_lshrrev_b32_e32 v132, 3, v133
	s_mov_b32 s16, exec_lo
	v_cmpx_gt_u32_e32 8, v133
; %bb.1499:                             ;   in Loop: Header=BB288_934 Depth=1
	s_delay_alu instid0(VALU_DEP_3) | instskip(NEXT) | instid1(VALU_DEP_1)
	v_clz_i32_u32_e32 v131, v131
	v_min_u32_e32 v133, 32, v131
	s_delay_alu instid0(VALU_DEP_1) | instskip(NEXT) | instid1(VALU_DEP_1)
	v_subrev_nc_u32_e32 v131, 28, v133
	v_lshlrev_b64_e32 v[131:132], v131, v[0:1]
	v_sub_nc_u32_e32 v132, 29, v133
	s_delay_alu instid0(VALU_DEP_2)
	v_and_b32_e32 v131, 7, v131
; %bb.1500:                             ;   in Loop: Header=BB288_934 Depth=1
	s_wait_alu 0xfffe
	s_or_b32 exec_lo, exec_lo, s16
	v_lshlrev_b32_e32 v133, 8, v12
	v_lshl_add_u32 v132, v132, 10, 0x2000
	v_lshlrev_b32_e32 v131, 7, v131
	s_delay_alu instid0(VALU_DEP_3) | instskip(NEXT) | instid1(VALU_DEP_3)
	v_and_b32_e32 v133, 0x8000, v133
	v_and_b32_e32 v132, 0xfc00, v132
	s_delay_alu instid0(VALU_DEP_1)
	v_or3_b32 v131, v133, v132, v131
.LBB288_1501:                           ;   in Loop: Header=BB288_934 Depth=1
	s_wait_alu 0xfffe
	s_or_b32 exec_lo, exec_lo, s15
.LBB288_1502:                           ;   in Loop: Header=BB288_934 Depth=1
	s_wait_alu 0xfffe
	s_or_b32 exec_lo, exec_lo, s14
.LBB288_1503:                           ;   in Loop: Header=BB288_934 Depth=1
	s_wait_alu 0xfffe
	s_or_b32 exec_lo, exec_lo, s11
	v_lshrrev_b16 v0, 8, v0
	v_mov_b32_e32 v132, 0
	s_mov_b32 s11, exec_lo
	s_delay_alu instid0(VALU_DEP_2)
	v_cmpx_ne_u16_e32 0, v0
	s_cbranch_execz .LBB288_1511
; %bb.1504:                             ;   in Loop: Header=BB288_934 Depth=1
	v_bfrev_b32_e32 v132, 1
	s_mov_b32 s14, exec_lo
	v_cmpx_ne_u16_e32 0x80, v0
	s_cbranch_execz .LBB288_1510
; %bb.1505:                             ;   in Loop: Header=BB288_934 Depth=1
	v_and_b32_e32 v133, 0xffff, v0
	v_mov_b32_e32 v132, 0x7c010000
	s_mov_b32 s15, exec_lo
	s_delay_alu instid0(VALU_DEP_2) | instskip(NEXT) | instid1(VALU_DEP_1)
	v_and_b32_e32 v135, 0x7f, v133
	v_cmpx_ne_u32_e32 0x7f, v135
	s_cbranch_execz .LBB288_1509
; %bb.1506:                             ;   in Loop: Header=BB288_934 Depth=1
	v_and_b32_e32 v132, 7, v133
	v_lshrrev_b32_e32 v134, 3, v135
	s_mov_b32 s16, exec_lo
	v_cmpx_gt_u32_e32 8, v135
; %bb.1507:                             ;   in Loop: Header=BB288_934 Depth=1
	s_delay_alu instid0(VALU_DEP_3) | instskip(NEXT) | instid1(VALU_DEP_1)
	v_clz_i32_u32_e32 v132, v132
	v_min_u32_e32 v132, 32, v132
	s_delay_alu instid0(VALU_DEP_1) | instskip(NEXT) | instid1(VALU_DEP_1)
	v_subrev_nc_u32_e32 v134, 28, v132
	v_lshlrev_b64_e32 v[144:145], v134, v[0:1]
	v_sub_nc_u32_e32 v134, 29, v132
	s_delay_alu instid0(VALU_DEP_2)
	v_and_b32_e32 v132, 7, v144
; %bb.1508:                             ;   in Loop: Header=BB288_934 Depth=1
	s_wait_alu 0xfffe
	s_or_b32 exec_lo, exec_lo, s16
	v_lshlrev_b32_e32 v0, 8, v133
	v_lshl_add_u32 v133, v134, 10, 0x2000
	v_lshlrev_b32_e32 v132, 23, v132
	s_delay_alu instid0(VALU_DEP_2) | instskip(NEXT) | instid1(VALU_DEP_1)
	v_and_or_b32 v0, 0x8000, v0, v133
	v_lshl_or_b32 v132, v0, 16, v132
.LBB288_1509:                           ;   in Loop: Header=BB288_934 Depth=1
	s_wait_alu 0xfffe
	s_or_b32 exec_lo, exec_lo, s15
.LBB288_1510:                           ;   in Loop: Header=BB288_934 Depth=1
	s_wait_alu 0xfffe
	s_or_b32 exec_lo, exec_lo, s14
.LBB288_1511:                           ;   in Loop: Header=BB288_934 Depth=1
	s_wait_alu 0xfffe
	s_or_b32 exec_lo, exec_lo, s11
	v_lshrrev_b32_e32 v0, 16, v12
	s_mov_b32 s11, exec_lo
	s_delay_alu instid0(VALU_DEP_1) | instskip(NEXT) | instid1(VALU_DEP_1)
	v_and_b32_e32 v133, 0xff, v0
	v_cmpx_ne_u16_e64 0, v133
	s_cbranch_execz .LBB288_1519
; %bb.1512:                             ;   in Loop: Header=BB288_934 Depth=1
	v_mov_b32_e32 v130, 0x8000
	s_mov_b32 s14, exec_lo
	v_cmpx_ne_u16_e64 0x80, v133
	s_cbranch_execz .LBB288_1518
; %bb.1513:                             ;   in Loop: Header=BB288_934 Depth=1
	v_bfe_u32 v134, v12, 16, 7
	v_mov_b32_e32 v130, 0x7c01
	s_mov_b32 s15, exec_lo
	s_delay_alu instid0(VALU_DEP_2)
	v_cmpx_ne_u32_e32 0x7f, v134
	s_cbranch_execz .LBB288_1517
; %bb.1514:                             ;   in Loop: Header=BB288_934 Depth=1
	v_and_b32_e32 v130, 7, v0
	v_lshrrev_b32_e32 v133, 3, v134
	s_mov_b32 s16, exec_lo
	v_cmpx_gt_u32_e32 8, v134
; %bb.1515:                             ;   in Loop: Header=BB288_934 Depth=1
	s_delay_alu instid0(VALU_DEP_3) | instskip(NEXT) | instid1(VALU_DEP_1)
	v_clz_i32_u32_e32 v130, v130
	v_min_u32_e32 v130, 32, v130
	s_delay_alu instid0(VALU_DEP_1) | instskip(NEXT) | instid1(VALU_DEP_1)
	v_subrev_nc_u32_e32 v133, 28, v130
	v_lshlrev_b64_e32 v[134:135], v133, v[0:1]
	v_sub_nc_u32_e32 v133, 29, v130
	s_delay_alu instid0(VALU_DEP_2)
	v_and_b32_e32 v130, 7, v134
; %bb.1516:                             ;   in Loop: Header=BB288_934 Depth=1
	s_wait_alu 0xfffe
	s_or_b32 exec_lo, exec_lo, s16
	v_lshlrev_b32_e32 v0, 8, v0
	v_lshl_add_u32 v133, v133, 10, 0x2000
	v_lshlrev_b32_e32 v130, 7, v130
	s_delay_alu instid0(VALU_DEP_3) | instskip(NEXT) | instid1(VALU_DEP_3)
	v_and_b32_e32 v0, 0x8000, v0
	v_and_b32_e32 v133, 0xfc00, v133
	s_delay_alu instid0(VALU_DEP_1)
	v_or3_b32 v130, v0, v133, v130
.LBB288_1517:                           ;   in Loop: Header=BB288_934 Depth=1
	s_wait_alu 0xfffe
	s_or_b32 exec_lo, exec_lo, s15
.LBB288_1518:                           ;   in Loop: Header=BB288_934 Depth=1
	s_wait_alu 0xfffe
	s_or_b32 exec_lo, exec_lo, s14
.LBB288_1519:                           ;   in Loop: Header=BB288_934 Depth=1
	s_wait_alu 0xfffe
	s_or_b32 exec_lo, exec_lo, s11
	v_cmp_lt_u64_e64 s0, s[8:9], v[11:12]
	v_mov_b32_e32 v11, 0
	s_and_saveexec_b32 s11, s0
	s_cbranch_execz .LBB288_1527
; %bb.1520:                             ;   in Loop: Header=BB288_934 Depth=1
	v_lshrrev_b32_e32 v0, 24, v12
	v_bfrev_b32_e32 v11, 1
	s_mov_b32 s14, exec_lo
	s_delay_alu instid0(VALU_DEP_2)
	v_cmpx_ne_u32_e32 0x80, v0
	s_cbranch_execz .LBB288_1526
; %bb.1521:                             ;   in Loop: Header=BB288_934 Depth=1
	v_and_b32_e32 v133, 0x7f, v0
	v_mov_b32_e32 v11, 0x7c010000
	s_mov_b32 s15, exec_lo
	s_delay_alu instid0(VALU_DEP_2)
	v_cmpx_ne_u32_e32 0x7f, v133
	s_cbranch_execz .LBB288_1525
; %bb.1522:                             ;   in Loop: Header=BB288_934 Depth=1
	v_and_b32_e32 v11, 7, v0
	v_lshrrev_b32_e32 v12, 3, v133
	s_mov_b32 s16, exec_lo
	v_cmpx_gt_u32_e32 8, v133
; %bb.1523:                             ;   in Loop: Header=BB288_934 Depth=1
	s_delay_alu instid0(VALU_DEP_3) | instskip(NEXT) | instid1(VALU_DEP_1)
	v_clz_i32_u32_e32 v11, v11
	v_min_u32_e32 v133, 32, v11
	s_delay_alu instid0(VALU_DEP_1) | instskip(NEXT) | instid1(VALU_DEP_1)
	v_subrev_nc_u32_e32 v11, 28, v133
	v_lshlrev_b64_e32 v[11:12], v11, v[0:1]
	v_sub_nc_u32_e32 v12, 29, v133
	s_delay_alu instid0(VALU_DEP_2)
	v_and_b32_e32 v11, 7, v11
; %bb.1524:                             ;   in Loop: Header=BB288_934 Depth=1
	s_wait_alu 0xfffe
	s_or_b32 exec_lo, exec_lo, s16
	v_lshlrev_b32_e32 v0, 8, v0
	v_lshl_add_u32 v12, v12, 10, 0x2000
	v_lshlrev_b32_e32 v11, 23, v11
	s_delay_alu instid0(VALU_DEP_2) | instskip(NEXT) | instid1(VALU_DEP_1)
	v_and_or_b32 v0, 0x8000, v0, v12
	v_lshl_or_b32 v11, v0, 16, v11
.LBB288_1525:                           ;   in Loop: Header=BB288_934 Depth=1
	s_wait_alu 0xfffe
	s_or_b32 exec_lo, exec_lo, s15
.LBB288_1526:                           ;   in Loop: Header=BB288_934 Depth=1
	s_wait_alu 0xfffe
	s_or_b32 exec_lo, exec_lo, s14
.LBB288_1527:                           ;   in Loop: Header=BB288_934 Depth=1
	s_wait_alu 0xfffe
	s_or_b32 exec_lo, exec_lo, s11
	v_or_b32_e32 v0, v128, v129
	s_wait_loadcnt_dscnt 0x0
	v_fma_mixlo_f16 v12, v117, v128, 0 op_sel:[0,1,0] op_sel_hi:[0,1,0]
	v_or_b32_e32 v128, v118, v119
	v_fma_mixlo_f16 v118, v117, v118, 0 op_sel:[0,1,0] op_sel_hi:[0,1,0]
	v_or_b32_e32 v129, v132, v131
	v_or_b32_e32 v130, v11, v130
	v_fma_mixlo_f16 v131, v117, v0, 0 op_sel_hi:[0,1,0]
	v_fma_mixlo_f16 v11, v117, v11, 0 op_sel:[0,1,0] op_sel_hi:[0,1,0]
	v_lshlrev_b32_e32 v119, 16, v118
	v_fma_mixlo_f16 v118, v117, v128, 0 op_sel_hi:[0,1,0]
	v_fma_mixlo_f16 v128, v117, v132, 0 op_sel:[0,1,0] op_sel_hi:[0,1,0]
	v_fma_mixlo_f16 v129, v117, v129, 0 op_sel_hi:[0,1,0]
	v_fma_mixlo_f16 v130, v117, v130, 0 op_sel_hi:[0,1,0]
	v_lshlrev_b32_e32 v0, 16, v12
	v_and_b32_e32 v12, 0xffff, v131
	v_and_b32_e32 v133, 0xffff, v118
	v_lshlrev_b32_e32 v117, 16, v128
	v_and_b32_e32 v129, 0xffff, v129
	v_lshlrev_b32_e32 v11, 16, v11
	v_and_b32_e32 v118, 0xffff, v130
	v_or_b32_e32 v128, v0, v12
	v_or_b32_e32 v132, v119, v133
	v_or_b32_e32 v131, v117, v129
	s_delay_alu instid0(VALU_DEP_4)
	v_or_b32_e32 v130, v11, v118
	s_and_saveexec_b32 s11, vcc_lo
	s_cbranch_execz .LBB288_1529
; %bb.1528:                             ;   in Loop: Header=BB288_934 Depth=1
	v_cmp_lt_i32_e64 s0, v17, v34
	s_wait_alu 0xf1ff
	s_delay_alu instid0(VALU_DEP_1) | instskip(SKIP_2) | instid1(VALU_DEP_1)
	v_cndmask_b32_e64 v128, 0, v133, s0
	v_cmp_lt_i32_e64 s0, v86, v34
	s_wait_alu 0xf1ff
	v_cndmask_b32_e64 v119, 0, v119, s0
	v_cmp_lt_i32_e64 s0, v85, v34
	s_delay_alu instid0(VALU_DEP_2) | instskip(SKIP_1) | instid1(VALU_DEP_2)
	v_or_b32_e32 v132, v128, v119
	s_wait_alu 0xf1ff
	v_cndmask_b32_e64 v12, 0, v12, s0
	v_cmp_lt_i32_e64 s0, v84, v34
	s_wait_alu 0xf1ff
	s_delay_alu instid0(VALU_DEP_1) | instskip(SKIP_1) | instid1(VALU_DEP_2)
	v_cndmask_b32_e64 v0, 0, v0, s0
	v_cmp_lt_i32_e64 s0, v83, v34
	v_or_b32_e32 v128, v12, v0
	s_wait_alu 0xf1ff
	s_delay_alu instid0(VALU_DEP_2) | instskip(SKIP_2) | instid1(VALU_DEP_1)
	v_cndmask_b32_e64 v129, 0, v129, s0
	v_cmp_lt_i32_e64 s0, v82, v34
	s_wait_alu 0xf1ff
	v_cndmask_b32_e64 v117, 0, v117, s0
	v_cmp_lt_i32_e64 s0, v81, v34
	s_delay_alu instid0(VALU_DEP_2) | instskip(SKIP_1) | instid1(VALU_DEP_2)
	v_or_b32_e32 v131, v129, v117
	s_wait_alu 0xf1ff
	v_cndmask_b32_e64 v118, 0, v118, s0
	v_cmp_lt_i32_e64 s0, v80, v34
	s_wait_alu 0xf1ff
	s_delay_alu instid0(VALU_DEP_1) | instskip(NEXT) | instid1(VALU_DEP_1)
	v_cndmask_b32_e64 v11, 0, v11, s0
	v_or_b32_e32 v130, v118, v11
.LBB288_1529:                           ;   in Loop: Header=BB288_934 Depth=1
	s_wait_alu 0xfffe
	s_or_b32 exec_lo, exec_lo, s11
	;;#ASMSTART
	v_pk_mul_f16 v0, v71, v132;

	;;#ASMEND
	;;#ASMSTART
	v_pk_mul_f16 v11, v70, v128;

	;;#ASMEND
	;; [unrolled: 4-line block ×4, first 2 shown]
	;;#ASMSTART
	v_pk_add_f16 v0, v0, v11;

	;;#ASMEND
	;;#ASMSTART
	v_pk_add_f16 v0, v0, v12;

	;;#ASMEND
	;; [unrolled: 4-line block ×3, first 2 shown]
	v_dual_mov_b32 v128, 0 :: v_dual_and_b32 v11, 0xffff, v0
	v_lshrrev_b32_e32 v0, 16, v0
	;;#ASMSTART
	v_cvt_f32_f16 v117, v11;
	;;#ASMEND
	;;#ASMSTART
	v_cvt_f32_f16 v118, v0;
	;;#ASMEND
	flat_load_b64 v[11:12], v[9:10] offset:2304
	flat_load_b32 v119, v[26:27]
	s_mov_b32 s11, exec_lo
	s_wait_loadcnt_dscnt 0x101
	v_dual_mov_b32 v129, 0 :: v_dual_and_b32 v0, 0xff, v11
	s_delay_alu instid0(VALU_DEP_1)
	v_cmpx_ne_u16_e32 0, v0
	s_cbranch_execz .LBB288_1537
; %bb.1530:                             ;   in Loop: Header=BB288_934 Depth=1
	v_mov_b32_e32 v129, 0x8000
	s_mov_b32 s14, exec_lo
	v_cmpx_ne_u16_e32 0x80, v0
	s_cbranch_execz .LBB288_1536
; %bb.1531:                             ;   in Loop: Header=BB288_934 Depth=1
	v_and_b32_e32 v130, 0x7f, v11
	v_mov_b32_e32 v129, 0x7c01
	s_mov_b32 s15, exec_lo
	s_delay_alu instid0(VALU_DEP_2)
	v_cmpx_ne_u32_e32 0x7f, v130
	s_cbranch_execz .LBB288_1535
; %bb.1532:                             ;   in Loop: Header=BB288_934 Depth=1
	v_and_b32_e32 v0, 7, v11
	v_lshrrev_b32_e32 v129, 3, v130
	s_mov_b32 s16, exec_lo
	v_cmpx_gt_u32_e32 8, v130
; %bb.1533:                             ;   in Loop: Header=BB288_934 Depth=1
	s_delay_alu instid0(VALU_DEP_3) | instskip(NEXT) | instid1(VALU_DEP_1)
	v_clz_i32_u32_e32 v0, v0
	v_min_u32_e32 v0, 32, v0
	s_delay_alu instid0(VALU_DEP_1) | instskip(NEXT) | instid1(VALU_DEP_1)
	v_subrev_nc_u32_e32 v129, 28, v0
	v_lshlrev_b64_e32 v[130:131], v129, v[11:12]
	v_sub_nc_u32_e32 v129, 29, v0
	s_delay_alu instid0(VALU_DEP_2)
	v_and_b32_e32 v0, 7, v130
; %bb.1534:                             ;   in Loop: Header=BB288_934 Depth=1
	s_wait_alu 0xfffe
	s_or_b32 exec_lo, exec_lo, s16
	v_lshlrev_b32_e32 v130, 8, v11
	v_lshl_add_u32 v129, v129, 10, 0x2000
	v_lshlrev_b32_e32 v0, 7, v0
	s_delay_alu instid0(VALU_DEP_3) | instskip(NEXT) | instid1(VALU_DEP_3)
	v_and_b32_e32 v130, 0x8000, v130
	v_and_b32_e32 v129, 0xfc00, v129
	s_delay_alu instid0(VALU_DEP_1)
	v_or3_b32 v129, v130, v129, v0
.LBB288_1535:                           ;   in Loop: Header=BB288_934 Depth=1
	s_wait_alu 0xfffe
	s_or_b32 exec_lo, exec_lo, s15
.LBB288_1536:                           ;   in Loop: Header=BB288_934 Depth=1
	s_wait_alu 0xfffe
	s_or_b32 exec_lo, exec_lo, s14
.LBB288_1537:                           ;   in Loop: Header=BB288_934 Depth=1
	s_wait_alu 0xfffe
	s_or_b32 exec_lo, exec_lo, s11
	v_lshrrev_b16 v0, 8, v11
	s_mov_b32 s11, exec_lo
	s_delay_alu instid0(VALU_DEP_1)
	v_cmpx_ne_u16_e32 0, v0
	s_cbranch_execz .LBB288_1545
; %bb.1538:                             ;   in Loop: Header=BB288_934 Depth=1
	v_bfrev_b32_e32 v128, 1
	s_mov_b32 s14, exec_lo
	v_cmpx_ne_u16_e32 0x80, v0
	s_cbranch_execz .LBB288_1544
; %bb.1539:                             ;   in Loop: Header=BB288_934 Depth=1
	v_and_b32_e32 v130, 0xffff, v0
	v_mov_b32_e32 v128, 0x7c010000
	s_mov_b32 s15, exec_lo
	s_delay_alu instid0(VALU_DEP_2) | instskip(NEXT) | instid1(VALU_DEP_1)
	v_and_b32_e32 v132, 0x7f, v130
	v_cmpx_ne_u32_e32 0x7f, v132
	s_cbranch_execz .LBB288_1543
; %bb.1540:                             ;   in Loop: Header=BB288_934 Depth=1
	v_and_b32_e32 v128, 7, v130
	v_lshrrev_b32_e32 v131, 3, v132
	s_mov_b32 s16, exec_lo
	v_cmpx_gt_u32_e32 8, v132
; %bb.1541:                             ;   in Loop: Header=BB288_934 Depth=1
	s_delay_alu instid0(VALU_DEP_3) | instskip(NEXT) | instid1(VALU_DEP_1)
	v_clz_i32_u32_e32 v128, v128
	v_min_u32_e32 v128, 32, v128
	s_delay_alu instid0(VALU_DEP_1) | instskip(NEXT) | instid1(VALU_DEP_1)
	v_subrev_nc_u32_e32 v131, 28, v128
	v_lshlrev_b64_e32 v[132:133], v131, v[0:1]
	v_sub_nc_u32_e32 v131, 29, v128
	s_delay_alu instid0(VALU_DEP_2)
	v_and_b32_e32 v128, 7, v132
; %bb.1542:                             ;   in Loop: Header=BB288_934 Depth=1
	s_wait_alu 0xfffe
	s_or_b32 exec_lo, exec_lo, s16
	v_lshlrev_b32_e32 v0, 8, v130
	v_lshl_add_u32 v130, v131, 10, 0x2000
	v_lshlrev_b32_e32 v128, 23, v128
	s_delay_alu instid0(VALU_DEP_2) | instskip(NEXT) | instid1(VALU_DEP_1)
	v_and_or_b32 v0, 0x8000, v0, v130
	v_lshl_or_b32 v128, v0, 16, v128
.LBB288_1543:                           ;   in Loop: Header=BB288_934 Depth=1
	s_wait_alu 0xfffe
	s_or_b32 exec_lo, exec_lo, s15
.LBB288_1544:                           ;   in Loop: Header=BB288_934 Depth=1
	s_wait_alu 0xfffe
	s_or_b32 exec_lo, exec_lo, s14
.LBB288_1545:                           ;   in Loop: Header=BB288_934 Depth=1
	s_wait_alu 0xfffe
	s_or_b32 exec_lo, exec_lo, s11
	v_lshrrev_b32_e32 v0, 16, v11
	v_mov_b32_e32 v130, 0
	s_mov_b32 s11, exec_lo
	s_delay_alu instid0(VALU_DEP_2) | instskip(NEXT) | instid1(VALU_DEP_1)
	v_dual_mov_b32 v131, 0 :: v_dual_and_b32 v132, 0xff, v0
	v_cmpx_ne_u16_e64 0, v132
	s_cbranch_execz .LBB288_1553
; %bb.1546:                             ;   in Loop: Header=BB288_934 Depth=1
	v_mov_b32_e32 v131, 0x8000
	s_mov_b32 s14, exec_lo
	v_cmpx_ne_u16_e64 0x80, v132
	s_cbranch_execz .LBB288_1552
; %bb.1547:                             ;   in Loop: Header=BB288_934 Depth=1
	v_bfe_u32 v133, v11, 16, 7
	v_mov_b32_e32 v131, 0x7c01
	s_mov_b32 s15, exec_lo
	s_delay_alu instid0(VALU_DEP_2)
	v_cmpx_ne_u32_e32 0x7f, v133
	s_cbranch_execz .LBB288_1551
; %bb.1548:                             ;   in Loop: Header=BB288_934 Depth=1
	v_and_b32_e32 v131, 7, v0
	v_lshrrev_b32_e32 v132, 3, v133
	s_mov_b32 s16, exec_lo
	v_cmpx_gt_u32_e32 8, v133
; %bb.1549:                             ;   in Loop: Header=BB288_934 Depth=1
	s_delay_alu instid0(VALU_DEP_3) | instskip(NEXT) | instid1(VALU_DEP_1)
	v_clz_i32_u32_e32 v131, v131
	v_min_u32_e32 v133, 32, v131
	s_delay_alu instid0(VALU_DEP_1) | instskip(NEXT) | instid1(VALU_DEP_1)
	v_subrev_nc_u32_e32 v131, 28, v133
	v_lshlrev_b64_e32 v[131:132], v131, v[0:1]
	v_sub_nc_u32_e32 v132, 29, v133
	s_delay_alu instid0(VALU_DEP_2)
	v_and_b32_e32 v131, 7, v131
; %bb.1550:                             ;   in Loop: Header=BB288_934 Depth=1
	s_wait_alu 0xfffe
	s_or_b32 exec_lo, exec_lo, s16
	v_lshlrev_b32_e32 v0, 8, v0
	v_lshl_add_u32 v132, v132, 10, 0x2000
	v_lshlrev_b32_e32 v131, 7, v131
	s_delay_alu instid0(VALU_DEP_3) | instskip(NEXT) | instid1(VALU_DEP_3)
	v_and_b32_e32 v0, 0x8000, v0
	v_and_b32_e32 v132, 0xfc00, v132
	s_delay_alu instid0(VALU_DEP_1)
	v_or3_b32 v131, v0, v132, v131
.LBB288_1551:                           ;   in Loop: Header=BB288_934 Depth=1
	s_wait_alu 0xfffe
	s_or_b32 exec_lo, exec_lo, s15
.LBB288_1552:                           ;   in Loop: Header=BB288_934 Depth=1
	s_wait_alu 0xfffe
	s_or_b32 exec_lo, exec_lo, s14
.LBB288_1553:                           ;   in Loop: Header=BB288_934 Depth=1
	s_wait_alu 0xfffe
	s_or_b32 exec_lo, exec_lo, s11
	s_delay_alu instid0(SALU_CYCLE_1)
	s_mov_b32 s11, exec_lo
	v_cmpx_lt_u32_e32 0xffffff, v11
	s_cbranch_execz .LBB288_1561
; %bb.1554:                             ;   in Loop: Header=BB288_934 Depth=1
	v_lshrrev_b32_e32 v0, 24, v11
	v_bfrev_b32_e32 v130, 1
	s_mov_b32 s14, exec_lo
	s_delay_alu instid0(VALU_DEP_2)
	v_cmpx_ne_u32_e32 0x80, v0
	s_cbranch_execz .LBB288_1560
; %bb.1555:                             ;   in Loop: Header=BB288_934 Depth=1
	v_and_b32_e32 v133, 0x7f, v0
	v_mov_b32_e32 v130, 0x7c010000
	s_mov_b32 s15, exec_lo
	s_delay_alu instid0(VALU_DEP_2)
	v_cmpx_ne_u32_e32 0x7f, v133
	s_cbranch_execz .LBB288_1559
; %bb.1556:                             ;   in Loop: Header=BB288_934 Depth=1
	v_and_b32_e32 v130, 7, v0
	v_lshrrev_b32_e32 v132, 3, v133
	s_mov_b32 s16, exec_lo
	v_cmpx_gt_u32_e32 8, v133
; %bb.1557:                             ;   in Loop: Header=BB288_934 Depth=1
	s_delay_alu instid0(VALU_DEP_3) | instskip(NEXT) | instid1(VALU_DEP_1)
	v_clz_i32_u32_e32 v130, v130
	v_min_u32_e32 v130, 32, v130
	s_delay_alu instid0(VALU_DEP_1) | instskip(NEXT) | instid1(VALU_DEP_1)
	v_subrev_nc_u32_e32 v132, 28, v130
	v_lshlrev_b64_e32 v[133:134], v132, v[0:1]
	v_sub_nc_u32_e32 v132, 29, v130
	s_delay_alu instid0(VALU_DEP_2)
	v_and_b32_e32 v130, 7, v133
; %bb.1558:                             ;   in Loop: Header=BB288_934 Depth=1
	s_wait_alu 0xfffe
	s_or_b32 exec_lo, exec_lo, s16
	v_lshlrev_b32_e32 v0, 8, v0
	v_lshl_add_u32 v132, v132, 10, 0x2000
	v_lshlrev_b32_e32 v130, 23, v130
	s_delay_alu instid0(VALU_DEP_2) | instskip(NEXT) | instid1(VALU_DEP_1)
	v_and_or_b32 v0, 0x8000, v0, v132
	v_lshl_or_b32 v130, v0, 16, v130
.LBB288_1559:                           ;   in Loop: Header=BB288_934 Depth=1
	s_wait_alu 0xfffe
	s_or_b32 exec_lo, exec_lo, s15
.LBB288_1560:                           ;   in Loop: Header=BB288_934 Depth=1
	s_wait_alu 0xfffe
	s_or_b32 exec_lo, exec_lo, s14
.LBB288_1561:                           ;   in Loop: Header=BB288_934 Depth=1
	s_wait_alu 0xfffe
	s_or_b32 exec_lo, exec_lo, s11
	v_dual_mov_b32 v133, 0 :: v_dual_and_b32 v134, 0xff, v12
	v_mov_b32_e32 v0, v12
	v_mov_b32_e32 v132, 0
	s_mov_b32 s11, exec_lo
	s_delay_alu instid0(VALU_DEP_3)
	v_cmpx_ne_u16_e64 0, v134
	s_cbranch_execz .LBB288_1569
; %bb.1562:                             ;   in Loop: Header=BB288_934 Depth=1
	v_mov_b32_e32 v133, 0x8000
	s_mov_b32 s14, exec_lo
	v_cmpx_ne_u16_e64 0x80, v134
	s_cbranch_execz .LBB288_1568
; %bb.1563:                             ;   in Loop: Header=BB288_934 Depth=1
	v_and_b32_e32 v135, 0x7f, v12
	v_mov_b32_e32 v133, 0x7c01
	s_mov_b32 s15, exec_lo
	s_delay_alu instid0(VALU_DEP_2)
	v_cmpx_ne_u32_e32 0x7f, v135
	s_cbranch_execz .LBB288_1567
; %bb.1564:                             ;   in Loop: Header=BB288_934 Depth=1
	v_and_b32_e32 v133, 7, v12
	v_lshrrev_b32_e32 v134, 3, v135
	s_mov_b32 s16, exec_lo
	v_cmpx_gt_u32_e32 8, v135
; %bb.1565:                             ;   in Loop: Header=BB288_934 Depth=1
	s_delay_alu instid0(VALU_DEP_3) | instskip(NEXT) | instid1(VALU_DEP_1)
	v_clz_i32_u32_e32 v133, v133
	v_min_u32_e32 v135, 32, v133
	s_delay_alu instid0(VALU_DEP_1) | instskip(NEXT) | instid1(VALU_DEP_1)
	v_subrev_nc_u32_e32 v133, 28, v135
	v_lshlrev_b64_e32 v[133:134], v133, v[0:1]
	v_sub_nc_u32_e32 v134, 29, v135
	s_delay_alu instid0(VALU_DEP_2)
	v_and_b32_e32 v133, 7, v133
; %bb.1566:                             ;   in Loop: Header=BB288_934 Depth=1
	s_wait_alu 0xfffe
	s_or_b32 exec_lo, exec_lo, s16
	v_lshlrev_b32_e32 v135, 8, v12
	v_lshl_add_u32 v134, v134, 10, 0x2000
	v_lshlrev_b32_e32 v133, 7, v133
	s_delay_alu instid0(VALU_DEP_3) | instskip(NEXT) | instid1(VALU_DEP_3)
	v_and_b32_e32 v135, 0x8000, v135
	v_and_b32_e32 v134, 0xfc00, v134
	s_delay_alu instid0(VALU_DEP_1)
	v_or3_b32 v133, v135, v134, v133
.LBB288_1567:                           ;   in Loop: Header=BB288_934 Depth=1
	s_wait_alu 0xfffe
	s_or_b32 exec_lo, exec_lo, s15
.LBB288_1568:                           ;   in Loop: Header=BB288_934 Depth=1
	s_wait_alu 0xfffe
	s_or_b32 exec_lo, exec_lo, s14
.LBB288_1569:                           ;   in Loop: Header=BB288_934 Depth=1
	s_wait_alu 0xfffe
	s_or_b32 exec_lo, exec_lo, s11
	v_lshrrev_b16 v0, 8, v0
	v_mov_b32_e32 v134, 0
	s_mov_b32 s11, exec_lo
	s_delay_alu instid0(VALU_DEP_2)
	v_cmpx_ne_u16_e32 0, v0
	s_cbranch_execz .LBB288_1577
; %bb.1570:                             ;   in Loop: Header=BB288_934 Depth=1
	v_bfrev_b32_e32 v134, 1
	s_mov_b32 s14, exec_lo
	v_cmpx_ne_u16_e32 0x80, v0
	s_cbranch_execz .LBB288_1576
; %bb.1571:                             ;   in Loop: Header=BB288_934 Depth=1
	v_and_b32_e32 v135, 0xffff, v0
	v_mov_b32_e32 v134, 0x7c010000
	s_mov_b32 s15, exec_lo
	s_delay_alu instid0(VALU_DEP_2) | instskip(NEXT) | instid1(VALU_DEP_1)
	v_and_b32_e32 v145, 0x7f, v135
	v_cmpx_ne_u32_e32 0x7f, v145
	s_cbranch_execz .LBB288_1575
; %bb.1572:                             ;   in Loop: Header=BB288_934 Depth=1
	v_and_b32_e32 v134, 7, v135
	v_lshrrev_b32_e32 v144, 3, v145
	s_mov_b32 s16, exec_lo
	v_cmpx_gt_u32_e32 8, v145
; %bb.1573:                             ;   in Loop: Header=BB288_934 Depth=1
	s_delay_alu instid0(VALU_DEP_3) | instskip(NEXT) | instid1(VALU_DEP_1)
	v_clz_i32_u32_e32 v134, v134
	v_min_u32_e32 v134, 32, v134
	s_delay_alu instid0(VALU_DEP_1) | instskip(NEXT) | instid1(VALU_DEP_1)
	v_subrev_nc_u32_e32 v144, 28, v134
	v_lshlrev_b64_e32 v[145:146], v144, v[0:1]
	v_sub_nc_u32_e32 v144, 29, v134
	s_delay_alu instid0(VALU_DEP_2)
	v_and_b32_e32 v134, 7, v145
; %bb.1574:                             ;   in Loop: Header=BB288_934 Depth=1
	s_wait_alu 0xfffe
	s_or_b32 exec_lo, exec_lo, s16
	v_lshlrev_b32_e32 v0, 8, v135
	v_lshl_add_u32 v135, v144, 10, 0x2000
	v_lshlrev_b32_e32 v134, 23, v134
	s_delay_alu instid0(VALU_DEP_2) | instskip(NEXT) | instid1(VALU_DEP_1)
	v_and_or_b32 v0, 0x8000, v0, v135
	v_lshl_or_b32 v134, v0, 16, v134
.LBB288_1575:                           ;   in Loop: Header=BB288_934 Depth=1
	s_wait_alu 0xfffe
	s_or_b32 exec_lo, exec_lo, s15
.LBB288_1576:                           ;   in Loop: Header=BB288_934 Depth=1
	s_wait_alu 0xfffe
	s_or_b32 exec_lo, exec_lo, s14
.LBB288_1577:                           ;   in Loop: Header=BB288_934 Depth=1
	s_wait_alu 0xfffe
	s_or_b32 exec_lo, exec_lo, s11
	v_lshrrev_b32_e32 v0, 16, v12
	s_mov_b32 s11, exec_lo
	s_delay_alu instid0(VALU_DEP_1) | instskip(NEXT) | instid1(VALU_DEP_1)
	v_and_b32_e32 v135, 0xff, v0
	v_cmpx_ne_u16_e64 0, v135
	s_cbranch_execz .LBB288_1585
; %bb.1578:                             ;   in Loop: Header=BB288_934 Depth=1
	v_mov_b32_e32 v132, 0x8000
	s_mov_b32 s14, exec_lo
	v_cmpx_ne_u16_e64 0x80, v135
	s_cbranch_execz .LBB288_1584
; %bb.1579:                             ;   in Loop: Header=BB288_934 Depth=1
	v_bfe_u32 v144, v12, 16, 7
	v_mov_b32_e32 v132, 0x7c01
	s_mov_b32 s15, exec_lo
	s_delay_alu instid0(VALU_DEP_2)
	v_cmpx_ne_u32_e32 0x7f, v144
	s_cbranch_execz .LBB288_1583
; %bb.1580:                             ;   in Loop: Header=BB288_934 Depth=1
	v_and_b32_e32 v132, 7, v0
	v_lshrrev_b32_e32 v135, 3, v144
	s_mov_b32 s16, exec_lo
	v_cmpx_gt_u32_e32 8, v144
; %bb.1581:                             ;   in Loop: Header=BB288_934 Depth=1
	s_delay_alu instid0(VALU_DEP_3) | instskip(NEXT) | instid1(VALU_DEP_1)
	v_clz_i32_u32_e32 v132, v132
	v_min_u32_e32 v132, 32, v132
	s_delay_alu instid0(VALU_DEP_1) | instskip(NEXT) | instid1(VALU_DEP_1)
	v_subrev_nc_u32_e32 v135, 28, v132
	v_lshlrev_b64_e32 v[144:145], v135, v[0:1]
	v_sub_nc_u32_e32 v135, 29, v132
	s_delay_alu instid0(VALU_DEP_2)
	v_and_b32_e32 v132, 7, v144
; %bb.1582:                             ;   in Loop: Header=BB288_934 Depth=1
	s_wait_alu 0xfffe
	s_or_b32 exec_lo, exec_lo, s16
	v_lshlrev_b32_e32 v0, 8, v0
	v_lshl_add_u32 v135, v135, 10, 0x2000
	v_lshlrev_b32_e32 v132, 7, v132
	s_delay_alu instid0(VALU_DEP_3) | instskip(NEXT) | instid1(VALU_DEP_3)
	v_and_b32_e32 v0, 0x8000, v0
	v_and_b32_e32 v135, 0xfc00, v135
	s_delay_alu instid0(VALU_DEP_1)
	v_or3_b32 v132, v0, v135, v132
.LBB288_1583:                           ;   in Loop: Header=BB288_934 Depth=1
	s_wait_alu 0xfffe
	s_or_b32 exec_lo, exec_lo, s15
.LBB288_1584:                           ;   in Loop: Header=BB288_934 Depth=1
	s_wait_alu 0xfffe
	s_or_b32 exec_lo, exec_lo, s14
.LBB288_1585:                           ;   in Loop: Header=BB288_934 Depth=1
	s_wait_alu 0xfffe
	s_or_b32 exec_lo, exec_lo, s11
	v_cmp_lt_u64_e64 s0, s[8:9], v[11:12]
	v_mov_b32_e32 v11, 0
	s_and_saveexec_b32 s11, s0
	s_cbranch_execz .LBB288_1593
; %bb.1586:                             ;   in Loop: Header=BB288_934 Depth=1
	v_lshrrev_b32_e32 v0, 24, v12
	v_bfrev_b32_e32 v11, 1
	s_mov_b32 s14, exec_lo
	s_delay_alu instid0(VALU_DEP_2)
	v_cmpx_ne_u32_e32 0x80, v0
	s_cbranch_execz .LBB288_1592
; %bb.1587:                             ;   in Loop: Header=BB288_934 Depth=1
	v_and_b32_e32 v135, 0x7f, v0
	v_mov_b32_e32 v11, 0x7c010000
	s_mov_b32 s15, exec_lo
	s_delay_alu instid0(VALU_DEP_2)
	v_cmpx_ne_u32_e32 0x7f, v135
	s_cbranch_execz .LBB288_1591
; %bb.1588:                             ;   in Loop: Header=BB288_934 Depth=1
	v_and_b32_e32 v11, 7, v0
	v_lshrrev_b32_e32 v12, 3, v135
	s_mov_b32 s16, exec_lo
	v_cmpx_gt_u32_e32 8, v135
; %bb.1589:                             ;   in Loop: Header=BB288_934 Depth=1
	s_delay_alu instid0(VALU_DEP_3) | instskip(NEXT) | instid1(VALU_DEP_1)
	v_clz_i32_u32_e32 v11, v11
	v_min_u32_e32 v135, 32, v11
	s_delay_alu instid0(VALU_DEP_1) | instskip(NEXT) | instid1(VALU_DEP_1)
	v_subrev_nc_u32_e32 v11, 28, v135
	v_lshlrev_b64_e32 v[11:12], v11, v[0:1]
	v_sub_nc_u32_e32 v12, 29, v135
	s_delay_alu instid0(VALU_DEP_2)
	v_and_b32_e32 v11, 7, v11
; %bb.1590:                             ;   in Loop: Header=BB288_934 Depth=1
	s_wait_alu 0xfffe
	s_or_b32 exec_lo, exec_lo, s16
	v_lshlrev_b32_e32 v0, 8, v0
	v_lshl_add_u32 v12, v12, 10, 0x2000
	v_lshlrev_b32_e32 v11, 23, v11
	s_delay_alu instid0(VALU_DEP_2) | instskip(NEXT) | instid1(VALU_DEP_1)
	v_and_or_b32 v0, 0x8000, v0, v12
	v_lshl_or_b32 v11, v0, 16, v11
.LBB288_1591:                           ;   in Loop: Header=BB288_934 Depth=1
	s_wait_alu 0xfffe
	s_or_b32 exec_lo, exec_lo, s15
.LBB288_1592:                           ;   in Loop: Header=BB288_934 Depth=1
	s_wait_alu 0xfffe
	s_or_b32 exec_lo, exec_lo, s14
.LBB288_1593:                           ;   in Loop: Header=BB288_934 Depth=1
	s_wait_alu 0xfffe
	s_or_b32 exec_lo, exec_lo, s11
	v_or_b32_e32 v0, v130, v131
	s_wait_loadcnt_dscnt 0x0
	v_fma_mixlo_f16 v12, v119, v130, 0 op_sel:[0,1,0] op_sel_hi:[0,1,0]
	v_or_b32_e32 v130, v128, v129
	v_fma_mixlo_f16 v128, v119, v128, 0 op_sel:[0,1,0] op_sel_hi:[0,1,0]
	v_or_b32_e32 v131, v134, v133
	v_or_b32_e32 v132, v11, v132
	v_fma_mixlo_f16 v133, v119, v0, 0 op_sel_hi:[0,1,0]
	v_fma_mixlo_f16 v11, v119, v11, 0 op_sel:[0,1,0] op_sel_hi:[0,1,0]
	v_lshlrev_b32_e32 v129, 16, v128
	v_fma_mixlo_f16 v128, v119, v130, 0 op_sel_hi:[0,1,0]
	v_fma_mixlo_f16 v130, v119, v134, 0 op_sel:[0,1,0] op_sel_hi:[0,1,0]
	v_fma_mixlo_f16 v131, v119, v131, 0 op_sel_hi:[0,1,0]
	v_fma_mixlo_f16 v132, v119, v132, 0 op_sel_hi:[0,1,0]
	v_lshlrev_b32_e32 v0, 16, v12
	v_and_b32_e32 v12, 0xffff, v133
	v_and_b32_e32 v135, 0xffff, v128
	v_lshlrev_b32_e32 v119, 16, v130
	v_and_b32_e32 v131, 0xffff, v131
	v_lshlrev_b32_e32 v11, 16, v11
	v_and_b32_e32 v128, 0xffff, v132
	v_or_b32_e32 v130, v0, v12
	v_or_b32_e32 v134, v129, v135
	;; [unrolled: 1-line block ×3, first 2 shown]
	s_delay_alu instid0(VALU_DEP_4)
	v_or_b32_e32 v132, v11, v128
	s_and_saveexec_b32 s11, vcc_lo
	s_cbranch_execz .LBB288_1595
; %bb.1594:                             ;   in Loop: Header=BB288_934 Depth=1
	v_cmp_lt_i32_e64 s0, v17, v34
	s_wait_alu 0xf1ff
	s_delay_alu instid0(VALU_DEP_1) | instskip(SKIP_2) | instid1(VALU_DEP_1)
	v_cndmask_b32_e64 v130, 0, v135, s0
	v_cmp_lt_i32_e64 s0, v86, v34
	s_wait_alu 0xf1ff
	v_cndmask_b32_e64 v129, 0, v129, s0
	v_cmp_lt_i32_e64 s0, v85, v34
	s_delay_alu instid0(VALU_DEP_2) | instskip(SKIP_1) | instid1(VALU_DEP_2)
	v_or_b32_e32 v134, v130, v129
	s_wait_alu 0xf1ff
	v_cndmask_b32_e64 v12, 0, v12, s0
	v_cmp_lt_i32_e64 s0, v84, v34
	s_wait_alu 0xf1ff
	s_delay_alu instid0(VALU_DEP_1) | instskip(SKIP_1) | instid1(VALU_DEP_2)
	v_cndmask_b32_e64 v0, 0, v0, s0
	v_cmp_lt_i32_e64 s0, v83, v34
	v_or_b32_e32 v130, v12, v0
	s_wait_alu 0xf1ff
	s_delay_alu instid0(VALU_DEP_2) | instskip(SKIP_2) | instid1(VALU_DEP_1)
	v_cndmask_b32_e64 v131, 0, v131, s0
	v_cmp_lt_i32_e64 s0, v82, v34
	s_wait_alu 0xf1ff
	v_cndmask_b32_e64 v119, 0, v119, s0
	v_cmp_lt_i32_e64 s0, v81, v34
	s_delay_alu instid0(VALU_DEP_2) | instskip(SKIP_1) | instid1(VALU_DEP_2)
	v_or_b32_e32 v133, v131, v119
	s_wait_alu 0xf1ff
	v_cndmask_b32_e64 v128, 0, v128, s0
	v_cmp_lt_i32_e64 s0, v80, v34
	s_wait_alu 0xf1ff
	s_delay_alu instid0(VALU_DEP_1) | instskip(NEXT) | instid1(VALU_DEP_1)
	v_cndmask_b32_e64 v11, 0, v11, s0
	v_or_b32_e32 v132, v128, v11
.LBB288_1595:                           ;   in Loop: Header=BB288_934 Depth=1
	s_wait_alu 0xfffe
	s_or_b32 exec_lo, exec_lo, s11
	;;#ASMSTART
	v_pk_mul_f16 v0, v71, v134;

	;;#ASMEND
	;;#ASMSTART
	v_pk_mul_f16 v11, v70, v130;

	;;#ASMEND
	;; [unrolled: 4-line block ×4, first 2 shown]
	;;#ASMSTART
	v_pk_add_f16 v0, v0, v11;

	;;#ASMEND
	;;#ASMSTART
	v_pk_add_f16 v0, v0, v12;

	;;#ASMEND
	;; [unrolled: 4-line block ×3, first 2 shown]
	v_dual_mov_b32 v130, 0 :: v_dual_and_b32 v11, 0xffff, v0
	v_lshrrev_b32_e32 v0, 16, v0
	;;#ASMSTART
	v_cvt_f32_f16 v119, v11;
	;;#ASMEND
	;;#ASMSTART
	v_cvt_f32_f16 v128, v0;
	;;#ASMEND
	flat_load_b64 v[11:12], v[9:10] offset:2560
	flat_load_b32 v129, v[26:27]
	s_mov_b32 s11, exec_lo
	s_wait_loadcnt_dscnt 0x101
	v_dual_mov_b32 v131, 0 :: v_dual_and_b32 v0, 0xff, v11
	s_delay_alu instid0(VALU_DEP_1)
	v_cmpx_ne_u16_e32 0, v0
	s_cbranch_execz .LBB288_1603
; %bb.1596:                             ;   in Loop: Header=BB288_934 Depth=1
	v_mov_b32_e32 v131, 0x8000
	s_mov_b32 s14, exec_lo
	v_cmpx_ne_u16_e32 0x80, v0
	s_cbranch_execz .LBB288_1602
; %bb.1597:                             ;   in Loop: Header=BB288_934 Depth=1
	v_and_b32_e32 v132, 0x7f, v11
	v_mov_b32_e32 v131, 0x7c01
	s_mov_b32 s15, exec_lo
	s_delay_alu instid0(VALU_DEP_2)
	v_cmpx_ne_u32_e32 0x7f, v132
	s_cbranch_execz .LBB288_1601
; %bb.1598:                             ;   in Loop: Header=BB288_934 Depth=1
	v_and_b32_e32 v0, 7, v11
	v_lshrrev_b32_e32 v131, 3, v132
	s_mov_b32 s16, exec_lo
	v_cmpx_gt_u32_e32 8, v132
; %bb.1599:                             ;   in Loop: Header=BB288_934 Depth=1
	s_delay_alu instid0(VALU_DEP_3) | instskip(NEXT) | instid1(VALU_DEP_1)
	v_clz_i32_u32_e32 v0, v0
	v_min_u32_e32 v0, 32, v0
	s_delay_alu instid0(VALU_DEP_1) | instskip(NEXT) | instid1(VALU_DEP_1)
	v_subrev_nc_u32_e32 v131, 28, v0
	v_lshlrev_b64_e32 v[132:133], v131, v[11:12]
	v_sub_nc_u32_e32 v131, 29, v0
	s_delay_alu instid0(VALU_DEP_2)
	v_and_b32_e32 v0, 7, v132
; %bb.1600:                             ;   in Loop: Header=BB288_934 Depth=1
	s_wait_alu 0xfffe
	s_or_b32 exec_lo, exec_lo, s16
	v_lshlrev_b32_e32 v132, 8, v11
	v_lshl_add_u32 v131, v131, 10, 0x2000
	v_lshlrev_b32_e32 v0, 7, v0
	s_delay_alu instid0(VALU_DEP_3) | instskip(NEXT) | instid1(VALU_DEP_3)
	v_and_b32_e32 v132, 0x8000, v132
	v_and_b32_e32 v131, 0xfc00, v131
	s_delay_alu instid0(VALU_DEP_1)
	v_or3_b32 v131, v132, v131, v0
.LBB288_1601:                           ;   in Loop: Header=BB288_934 Depth=1
	s_wait_alu 0xfffe
	s_or_b32 exec_lo, exec_lo, s15
.LBB288_1602:                           ;   in Loop: Header=BB288_934 Depth=1
	s_wait_alu 0xfffe
	s_or_b32 exec_lo, exec_lo, s14
.LBB288_1603:                           ;   in Loop: Header=BB288_934 Depth=1
	s_wait_alu 0xfffe
	s_or_b32 exec_lo, exec_lo, s11
	v_lshrrev_b16 v0, 8, v11
	s_mov_b32 s11, exec_lo
	s_delay_alu instid0(VALU_DEP_1)
	v_cmpx_ne_u16_e32 0, v0
	s_cbranch_execz .LBB288_1611
; %bb.1604:                             ;   in Loop: Header=BB288_934 Depth=1
	v_bfrev_b32_e32 v130, 1
	s_mov_b32 s14, exec_lo
	v_cmpx_ne_u16_e32 0x80, v0
	s_cbranch_execz .LBB288_1610
; %bb.1605:                             ;   in Loop: Header=BB288_934 Depth=1
	v_and_b32_e32 v132, 0xffff, v0
	v_mov_b32_e32 v130, 0x7c010000
	s_mov_b32 s15, exec_lo
	s_delay_alu instid0(VALU_DEP_2) | instskip(NEXT) | instid1(VALU_DEP_1)
	v_and_b32_e32 v134, 0x7f, v132
	v_cmpx_ne_u32_e32 0x7f, v134
	s_cbranch_execz .LBB288_1609
; %bb.1606:                             ;   in Loop: Header=BB288_934 Depth=1
	v_and_b32_e32 v130, 7, v132
	v_lshrrev_b32_e32 v133, 3, v134
	s_mov_b32 s16, exec_lo
	v_cmpx_gt_u32_e32 8, v134
; %bb.1607:                             ;   in Loop: Header=BB288_934 Depth=1
	s_delay_alu instid0(VALU_DEP_3) | instskip(NEXT) | instid1(VALU_DEP_1)
	v_clz_i32_u32_e32 v130, v130
	v_min_u32_e32 v130, 32, v130
	s_delay_alu instid0(VALU_DEP_1) | instskip(NEXT) | instid1(VALU_DEP_1)
	v_subrev_nc_u32_e32 v133, 28, v130
	v_lshlrev_b64_e32 v[134:135], v133, v[0:1]
	v_sub_nc_u32_e32 v133, 29, v130
	s_delay_alu instid0(VALU_DEP_2)
	v_and_b32_e32 v130, 7, v134
; %bb.1608:                             ;   in Loop: Header=BB288_934 Depth=1
	s_wait_alu 0xfffe
	s_or_b32 exec_lo, exec_lo, s16
	v_lshlrev_b32_e32 v0, 8, v132
	v_lshl_add_u32 v132, v133, 10, 0x2000
	v_lshlrev_b32_e32 v130, 23, v130
	s_delay_alu instid0(VALU_DEP_2) | instskip(NEXT) | instid1(VALU_DEP_1)
	v_and_or_b32 v0, 0x8000, v0, v132
	v_lshl_or_b32 v130, v0, 16, v130
.LBB288_1609:                           ;   in Loop: Header=BB288_934 Depth=1
	s_wait_alu 0xfffe
	s_or_b32 exec_lo, exec_lo, s15
.LBB288_1610:                           ;   in Loop: Header=BB288_934 Depth=1
	s_wait_alu 0xfffe
	s_or_b32 exec_lo, exec_lo, s14
.LBB288_1611:                           ;   in Loop: Header=BB288_934 Depth=1
	s_wait_alu 0xfffe
	s_or_b32 exec_lo, exec_lo, s11
	v_lshrrev_b32_e32 v0, 16, v11
	v_mov_b32_e32 v132, 0
	s_mov_b32 s11, exec_lo
	s_delay_alu instid0(VALU_DEP_2) | instskip(NEXT) | instid1(VALU_DEP_1)
	v_dual_mov_b32 v133, 0 :: v_dual_and_b32 v134, 0xff, v0
	v_cmpx_ne_u16_e64 0, v134
	s_cbranch_execz .LBB288_1619
; %bb.1612:                             ;   in Loop: Header=BB288_934 Depth=1
	v_mov_b32_e32 v133, 0x8000
	s_mov_b32 s14, exec_lo
	v_cmpx_ne_u16_e64 0x80, v134
	s_cbranch_execz .LBB288_1618
; %bb.1613:                             ;   in Loop: Header=BB288_934 Depth=1
	v_bfe_u32 v135, v11, 16, 7
	v_mov_b32_e32 v133, 0x7c01
	s_mov_b32 s15, exec_lo
	s_delay_alu instid0(VALU_DEP_2)
	v_cmpx_ne_u32_e32 0x7f, v135
	s_cbranch_execz .LBB288_1617
; %bb.1614:                             ;   in Loop: Header=BB288_934 Depth=1
	v_and_b32_e32 v133, 7, v0
	v_lshrrev_b32_e32 v134, 3, v135
	s_mov_b32 s16, exec_lo
	v_cmpx_gt_u32_e32 8, v135
; %bb.1615:                             ;   in Loop: Header=BB288_934 Depth=1
	s_delay_alu instid0(VALU_DEP_3) | instskip(NEXT) | instid1(VALU_DEP_1)
	v_clz_i32_u32_e32 v133, v133
	v_min_u32_e32 v135, 32, v133
	s_delay_alu instid0(VALU_DEP_1) | instskip(NEXT) | instid1(VALU_DEP_1)
	v_subrev_nc_u32_e32 v133, 28, v135
	v_lshlrev_b64_e32 v[133:134], v133, v[0:1]
	v_sub_nc_u32_e32 v134, 29, v135
	s_delay_alu instid0(VALU_DEP_2)
	v_and_b32_e32 v133, 7, v133
; %bb.1616:                             ;   in Loop: Header=BB288_934 Depth=1
	s_wait_alu 0xfffe
	s_or_b32 exec_lo, exec_lo, s16
	v_lshlrev_b32_e32 v0, 8, v0
	v_lshl_add_u32 v134, v134, 10, 0x2000
	v_lshlrev_b32_e32 v133, 7, v133
	s_delay_alu instid0(VALU_DEP_3) | instskip(NEXT) | instid1(VALU_DEP_3)
	v_and_b32_e32 v0, 0x8000, v0
	v_and_b32_e32 v134, 0xfc00, v134
	s_delay_alu instid0(VALU_DEP_1)
	v_or3_b32 v133, v0, v134, v133
.LBB288_1617:                           ;   in Loop: Header=BB288_934 Depth=1
	s_wait_alu 0xfffe
	s_or_b32 exec_lo, exec_lo, s15
.LBB288_1618:                           ;   in Loop: Header=BB288_934 Depth=1
	s_wait_alu 0xfffe
	s_or_b32 exec_lo, exec_lo, s14
.LBB288_1619:                           ;   in Loop: Header=BB288_934 Depth=1
	s_wait_alu 0xfffe
	s_or_b32 exec_lo, exec_lo, s11
	s_delay_alu instid0(SALU_CYCLE_1)
	s_mov_b32 s11, exec_lo
	v_cmpx_lt_u32_e32 0xffffff, v11
	s_cbranch_execz .LBB288_1627
; %bb.1620:                             ;   in Loop: Header=BB288_934 Depth=1
	v_lshrrev_b32_e32 v0, 24, v11
	v_bfrev_b32_e32 v132, 1
	s_mov_b32 s14, exec_lo
	s_delay_alu instid0(VALU_DEP_2)
	v_cmpx_ne_u32_e32 0x80, v0
	s_cbranch_execz .LBB288_1626
; %bb.1621:                             ;   in Loop: Header=BB288_934 Depth=1
	v_and_b32_e32 v135, 0x7f, v0
	v_mov_b32_e32 v132, 0x7c010000
	s_mov_b32 s15, exec_lo
	s_delay_alu instid0(VALU_DEP_2)
	v_cmpx_ne_u32_e32 0x7f, v135
	s_cbranch_execz .LBB288_1625
; %bb.1622:                             ;   in Loop: Header=BB288_934 Depth=1
	v_and_b32_e32 v132, 7, v0
	v_lshrrev_b32_e32 v134, 3, v135
	s_mov_b32 s16, exec_lo
	v_cmpx_gt_u32_e32 8, v135
; %bb.1623:                             ;   in Loop: Header=BB288_934 Depth=1
	s_delay_alu instid0(VALU_DEP_3) | instskip(NEXT) | instid1(VALU_DEP_1)
	v_clz_i32_u32_e32 v132, v132
	v_min_u32_e32 v132, 32, v132
	s_delay_alu instid0(VALU_DEP_1) | instskip(NEXT) | instid1(VALU_DEP_1)
	v_subrev_nc_u32_e32 v134, 28, v132
	v_lshlrev_b64_e32 v[144:145], v134, v[0:1]
	v_sub_nc_u32_e32 v134, 29, v132
	s_delay_alu instid0(VALU_DEP_2)
	v_and_b32_e32 v132, 7, v144
; %bb.1624:                             ;   in Loop: Header=BB288_934 Depth=1
	s_wait_alu 0xfffe
	s_or_b32 exec_lo, exec_lo, s16
	v_lshlrev_b32_e32 v0, 8, v0
	v_lshl_add_u32 v134, v134, 10, 0x2000
	v_lshlrev_b32_e32 v132, 23, v132
	s_delay_alu instid0(VALU_DEP_2) | instskip(NEXT) | instid1(VALU_DEP_1)
	v_and_or_b32 v0, 0x8000, v0, v134
	v_lshl_or_b32 v132, v0, 16, v132
.LBB288_1625:                           ;   in Loop: Header=BB288_934 Depth=1
	s_wait_alu 0xfffe
	s_or_b32 exec_lo, exec_lo, s15
.LBB288_1626:                           ;   in Loop: Header=BB288_934 Depth=1
	s_wait_alu 0xfffe
	s_or_b32 exec_lo, exec_lo, s14
.LBB288_1627:                           ;   in Loop: Header=BB288_934 Depth=1
	s_wait_alu 0xfffe
	s_or_b32 exec_lo, exec_lo, s11
	v_dual_mov_b32 v135, 0 :: v_dual_and_b32 v144, 0xff, v12
	v_mov_b32_e32 v0, v12
	v_mov_b32_e32 v134, 0
	s_mov_b32 s11, exec_lo
	s_delay_alu instid0(VALU_DEP_3)
	v_cmpx_ne_u16_e64 0, v144
	s_cbranch_execz .LBB288_1635
; %bb.1628:                             ;   in Loop: Header=BB288_934 Depth=1
	v_mov_b32_e32 v135, 0x8000
	s_mov_b32 s14, exec_lo
	v_cmpx_ne_u16_e64 0x80, v144
	s_cbranch_execz .LBB288_1634
; %bb.1629:                             ;   in Loop: Header=BB288_934 Depth=1
	v_and_b32_e32 v145, 0x7f, v12
	v_mov_b32_e32 v135, 0x7c01
	s_mov_b32 s15, exec_lo
	s_delay_alu instid0(VALU_DEP_2)
	v_cmpx_ne_u32_e32 0x7f, v145
	s_cbranch_execz .LBB288_1633
; %bb.1630:                             ;   in Loop: Header=BB288_934 Depth=1
	v_and_b32_e32 v135, 7, v12
	v_lshrrev_b32_e32 v144, 3, v145
	s_mov_b32 s16, exec_lo
	v_cmpx_gt_u32_e32 8, v145
; %bb.1631:                             ;   in Loop: Header=BB288_934 Depth=1
	s_delay_alu instid0(VALU_DEP_3) | instskip(NEXT) | instid1(VALU_DEP_1)
	v_clz_i32_u32_e32 v135, v135
	v_min_u32_e32 v135, 32, v135
	s_delay_alu instid0(VALU_DEP_1) | instskip(NEXT) | instid1(VALU_DEP_1)
	v_subrev_nc_u32_e32 v144, 28, v135
	v_lshlrev_b64_e32 v[145:146], v144, v[0:1]
	v_sub_nc_u32_e32 v144, 29, v135
	s_delay_alu instid0(VALU_DEP_2)
	v_and_b32_e32 v135, 7, v145
; %bb.1632:                             ;   in Loop: Header=BB288_934 Depth=1
	s_wait_alu 0xfffe
	s_or_b32 exec_lo, exec_lo, s16
	v_lshlrev_b32_e32 v145, 8, v12
	v_lshl_add_u32 v144, v144, 10, 0x2000
	v_lshlrev_b32_e32 v135, 7, v135
	s_delay_alu instid0(VALU_DEP_3) | instskip(NEXT) | instid1(VALU_DEP_3)
	v_and_b32_e32 v145, 0x8000, v145
	v_and_b32_e32 v144, 0xfc00, v144
	s_delay_alu instid0(VALU_DEP_1)
	v_or3_b32 v135, v145, v144, v135
.LBB288_1633:                           ;   in Loop: Header=BB288_934 Depth=1
	s_wait_alu 0xfffe
	s_or_b32 exec_lo, exec_lo, s15
.LBB288_1634:                           ;   in Loop: Header=BB288_934 Depth=1
	s_wait_alu 0xfffe
	s_or_b32 exec_lo, exec_lo, s14
.LBB288_1635:                           ;   in Loop: Header=BB288_934 Depth=1
	s_wait_alu 0xfffe
	s_or_b32 exec_lo, exec_lo, s11
	v_lshrrev_b16 v0, 8, v0
	v_mov_b32_e32 v144, 0
	s_mov_b32 s11, exec_lo
	s_delay_alu instid0(VALU_DEP_2)
	v_cmpx_ne_u16_e32 0, v0
	s_cbranch_execz .LBB288_1643
; %bb.1636:                             ;   in Loop: Header=BB288_934 Depth=1
	v_bfrev_b32_e32 v144, 1
	s_mov_b32 s14, exec_lo
	v_cmpx_ne_u16_e32 0x80, v0
	s_cbranch_execz .LBB288_1642
; %bb.1637:                             ;   in Loop: Header=BB288_934 Depth=1
	v_and_b32_e32 v145, 0xffff, v0
	v_mov_b32_e32 v144, 0x7c010000
	s_mov_b32 s15, exec_lo
	s_delay_alu instid0(VALU_DEP_2) | instskip(NEXT) | instid1(VALU_DEP_1)
	v_and_b32_e32 v147, 0x7f, v145
	v_cmpx_ne_u32_e32 0x7f, v147
	s_cbranch_execz .LBB288_1641
; %bb.1638:                             ;   in Loop: Header=BB288_934 Depth=1
	v_and_b32_e32 v144, 7, v145
	v_lshrrev_b32_e32 v146, 3, v147
	s_mov_b32 s16, exec_lo
	v_cmpx_gt_u32_e32 8, v147
; %bb.1639:                             ;   in Loop: Header=BB288_934 Depth=1
	s_delay_alu instid0(VALU_DEP_3) | instskip(NEXT) | instid1(VALU_DEP_1)
	v_clz_i32_u32_e32 v144, v144
	v_min_u32_e32 v144, 32, v144
	s_delay_alu instid0(VALU_DEP_1) | instskip(NEXT) | instid1(VALU_DEP_1)
	v_subrev_nc_u32_e32 v146, 28, v144
	v_lshlrev_b64_e32 v[147:148], v146, v[0:1]
	v_sub_nc_u32_e32 v146, 29, v144
	s_delay_alu instid0(VALU_DEP_2)
	v_and_b32_e32 v144, 7, v147
; %bb.1640:                             ;   in Loop: Header=BB288_934 Depth=1
	s_wait_alu 0xfffe
	s_or_b32 exec_lo, exec_lo, s16
	v_lshlrev_b32_e32 v0, 8, v145
	v_lshl_add_u32 v145, v146, 10, 0x2000
	v_lshlrev_b32_e32 v144, 23, v144
	s_delay_alu instid0(VALU_DEP_2) | instskip(NEXT) | instid1(VALU_DEP_1)
	v_and_or_b32 v0, 0x8000, v0, v145
	v_lshl_or_b32 v144, v0, 16, v144
.LBB288_1641:                           ;   in Loop: Header=BB288_934 Depth=1
	s_wait_alu 0xfffe
	s_or_b32 exec_lo, exec_lo, s15
.LBB288_1642:                           ;   in Loop: Header=BB288_934 Depth=1
	s_wait_alu 0xfffe
	s_or_b32 exec_lo, exec_lo, s14
.LBB288_1643:                           ;   in Loop: Header=BB288_934 Depth=1
	s_wait_alu 0xfffe
	s_or_b32 exec_lo, exec_lo, s11
	v_lshrrev_b32_e32 v0, 16, v12
	s_mov_b32 s11, exec_lo
	s_delay_alu instid0(VALU_DEP_1) | instskip(NEXT) | instid1(VALU_DEP_1)
	v_and_b32_e32 v145, 0xff, v0
	v_cmpx_ne_u16_e64 0, v145
	s_cbranch_execz .LBB288_1651
; %bb.1644:                             ;   in Loop: Header=BB288_934 Depth=1
	v_mov_b32_e32 v134, 0x8000
	s_mov_b32 s14, exec_lo
	v_cmpx_ne_u16_e64 0x80, v145
	s_cbranch_execz .LBB288_1650
; %bb.1645:                             ;   in Loop: Header=BB288_934 Depth=1
	v_bfe_u32 v146, v12, 16, 7
	v_mov_b32_e32 v134, 0x7c01
	s_mov_b32 s15, exec_lo
	s_delay_alu instid0(VALU_DEP_2)
	v_cmpx_ne_u32_e32 0x7f, v146
	s_cbranch_execz .LBB288_1649
; %bb.1646:                             ;   in Loop: Header=BB288_934 Depth=1
	v_and_b32_e32 v134, 7, v0
	v_lshrrev_b32_e32 v145, 3, v146
	s_mov_b32 s16, exec_lo
	v_cmpx_gt_u32_e32 8, v146
; %bb.1647:                             ;   in Loop: Header=BB288_934 Depth=1
	s_delay_alu instid0(VALU_DEP_3) | instskip(NEXT) | instid1(VALU_DEP_1)
	v_clz_i32_u32_e32 v134, v134
	v_min_u32_e32 v134, 32, v134
	s_delay_alu instid0(VALU_DEP_1) | instskip(NEXT) | instid1(VALU_DEP_1)
	v_subrev_nc_u32_e32 v145, 28, v134
	v_lshlrev_b64_e32 v[146:147], v145, v[0:1]
	v_sub_nc_u32_e32 v145, 29, v134
	s_delay_alu instid0(VALU_DEP_2)
	v_and_b32_e32 v134, 7, v146
; %bb.1648:                             ;   in Loop: Header=BB288_934 Depth=1
	s_wait_alu 0xfffe
	s_or_b32 exec_lo, exec_lo, s16
	v_lshlrev_b32_e32 v0, 8, v0
	v_lshl_add_u32 v145, v145, 10, 0x2000
	v_lshlrev_b32_e32 v134, 7, v134
	s_delay_alu instid0(VALU_DEP_3) | instskip(NEXT) | instid1(VALU_DEP_3)
	v_and_b32_e32 v0, 0x8000, v0
	v_and_b32_e32 v145, 0xfc00, v145
	s_delay_alu instid0(VALU_DEP_1)
	v_or3_b32 v134, v0, v145, v134
.LBB288_1649:                           ;   in Loop: Header=BB288_934 Depth=1
	s_wait_alu 0xfffe
	s_or_b32 exec_lo, exec_lo, s15
.LBB288_1650:                           ;   in Loop: Header=BB288_934 Depth=1
	s_wait_alu 0xfffe
	s_or_b32 exec_lo, exec_lo, s14
.LBB288_1651:                           ;   in Loop: Header=BB288_934 Depth=1
	s_wait_alu 0xfffe
	s_or_b32 exec_lo, exec_lo, s11
	v_cmp_lt_u64_e64 s0, s[8:9], v[11:12]
	v_mov_b32_e32 v11, 0
	s_and_saveexec_b32 s11, s0
	s_cbranch_execz .LBB288_1659
; %bb.1652:                             ;   in Loop: Header=BB288_934 Depth=1
	v_lshrrev_b32_e32 v0, 24, v12
	v_bfrev_b32_e32 v11, 1
	s_mov_b32 s14, exec_lo
	s_delay_alu instid0(VALU_DEP_2)
	v_cmpx_ne_u32_e32 0x80, v0
	s_cbranch_execz .LBB288_1658
; %bb.1653:                             ;   in Loop: Header=BB288_934 Depth=1
	v_and_b32_e32 v145, 0x7f, v0
	v_mov_b32_e32 v11, 0x7c010000
	s_mov_b32 s15, exec_lo
	s_delay_alu instid0(VALU_DEP_2)
	v_cmpx_ne_u32_e32 0x7f, v145
	s_cbranch_execz .LBB288_1657
; %bb.1654:                             ;   in Loop: Header=BB288_934 Depth=1
	v_and_b32_e32 v11, 7, v0
	v_lshrrev_b32_e32 v12, 3, v145
	s_mov_b32 s16, exec_lo
	v_cmpx_gt_u32_e32 8, v145
; %bb.1655:                             ;   in Loop: Header=BB288_934 Depth=1
	s_delay_alu instid0(VALU_DEP_3) | instskip(NEXT) | instid1(VALU_DEP_1)
	v_clz_i32_u32_e32 v11, v11
	v_min_u32_e32 v145, 32, v11
	s_delay_alu instid0(VALU_DEP_1) | instskip(NEXT) | instid1(VALU_DEP_1)
	v_subrev_nc_u32_e32 v11, 28, v145
	v_lshlrev_b64_e32 v[11:12], v11, v[0:1]
	v_sub_nc_u32_e32 v12, 29, v145
	s_delay_alu instid0(VALU_DEP_2)
	v_and_b32_e32 v11, 7, v11
; %bb.1656:                             ;   in Loop: Header=BB288_934 Depth=1
	s_wait_alu 0xfffe
	s_or_b32 exec_lo, exec_lo, s16
	v_lshlrev_b32_e32 v0, 8, v0
	v_lshl_add_u32 v12, v12, 10, 0x2000
	v_lshlrev_b32_e32 v11, 23, v11
	s_delay_alu instid0(VALU_DEP_2) | instskip(NEXT) | instid1(VALU_DEP_1)
	v_and_or_b32 v0, 0x8000, v0, v12
	v_lshl_or_b32 v11, v0, 16, v11
.LBB288_1657:                           ;   in Loop: Header=BB288_934 Depth=1
	s_wait_alu 0xfffe
	s_or_b32 exec_lo, exec_lo, s15
.LBB288_1658:                           ;   in Loop: Header=BB288_934 Depth=1
	s_wait_alu 0xfffe
	s_or_b32 exec_lo, exec_lo, s14
.LBB288_1659:                           ;   in Loop: Header=BB288_934 Depth=1
	s_wait_alu 0xfffe
	s_or_b32 exec_lo, exec_lo, s11
	v_or_b32_e32 v0, v132, v133
	s_wait_loadcnt_dscnt 0x0
	v_fma_mixlo_f16 v12, v129, v132, 0 op_sel:[0,1,0] op_sel_hi:[0,1,0]
	v_or_b32_e32 v132, v130, v131
	v_fma_mixlo_f16 v130, v129, v130, 0 op_sel:[0,1,0] op_sel_hi:[0,1,0]
	v_or_b32_e32 v133, v144, v135
	v_or_b32_e32 v134, v11, v134
	v_fma_mixlo_f16 v135, v129, v0, 0 op_sel_hi:[0,1,0]
	v_fma_mixlo_f16 v11, v129, v11, 0 op_sel:[0,1,0] op_sel_hi:[0,1,0]
	v_lshlrev_b32_e32 v131, 16, v130
	v_fma_mixlo_f16 v130, v129, v132, 0 op_sel_hi:[0,1,0]
	v_fma_mixlo_f16 v132, v129, v144, 0 op_sel:[0,1,0] op_sel_hi:[0,1,0]
	v_fma_mixlo_f16 v133, v129, v133, 0 op_sel_hi:[0,1,0]
	v_fma_mixlo_f16 v134, v129, v134, 0 op_sel_hi:[0,1,0]
	v_lshlrev_b32_e32 v0, 16, v12
	v_and_b32_e32 v12, 0xffff, v135
	v_and_b32_e32 v145, 0xffff, v130
	v_lshlrev_b32_e32 v129, 16, v132
	v_and_b32_e32 v133, 0xffff, v133
	v_lshlrev_b32_e32 v11, 16, v11
	v_and_b32_e32 v130, 0xffff, v134
	v_or_b32_e32 v132, v0, v12
	v_or_b32_e32 v144, v131, v145
	;; [unrolled: 1-line block ×3, first 2 shown]
	s_delay_alu instid0(VALU_DEP_4)
	v_or_b32_e32 v134, v11, v130
	s_and_saveexec_b32 s11, vcc_lo
	s_cbranch_execz .LBB288_1661
; %bb.1660:                             ;   in Loop: Header=BB288_934 Depth=1
	v_cmp_lt_i32_e64 s0, v17, v34
	s_wait_alu 0xf1ff
	s_delay_alu instid0(VALU_DEP_1) | instskip(SKIP_2) | instid1(VALU_DEP_1)
	v_cndmask_b32_e64 v132, 0, v145, s0
	v_cmp_lt_i32_e64 s0, v86, v34
	s_wait_alu 0xf1ff
	v_cndmask_b32_e64 v131, 0, v131, s0
	v_cmp_lt_i32_e64 s0, v85, v34
	s_delay_alu instid0(VALU_DEP_2) | instskip(SKIP_1) | instid1(VALU_DEP_2)
	v_or_b32_e32 v144, v132, v131
	s_wait_alu 0xf1ff
	v_cndmask_b32_e64 v12, 0, v12, s0
	v_cmp_lt_i32_e64 s0, v84, v34
	s_wait_alu 0xf1ff
	s_delay_alu instid0(VALU_DEP_1) | instskip(SKIP_1) | instid1(VALU_DEP_2)
	v_cndmask_b32_e64 v0, 0, v0, s0
	v_cmp_lt_i32_e64 s0, v83, v34
	v_or_b32_e32 v132, v12, v0
	s_wait_alu 0xf1ff
	s_delay_alu instid0(VALU_DEP_2) | instskip(SKIP_2) | instid1(VALU_DEP_1)
	v_cndmask_b32_e64 v133, 0, v133, s0
	v_cmp_lt_i32_e64 s0, v82, v34
	s_wait_alu 0xf1ff
	v_cndmask_b32_e64 v129, 0, v129, s0
	v_cmp_lt_i32_e64 s0, v81, v34
	s_delay_alu instid0(VALU_DEP_2) | instskip(SKIP_1) | instid1(VALU_DEP_2)
	v_or_b32_e32 v135, v133, v129
	s_wait_alu 0xf1ff
	v_cndmask_b32_e64 v130, 0, v130, s0
	v_cmp_lt_i32_e64 s0, v80, v34
	s_wait_alu 0xf1ff
	s_delay_alu instid0(VALU_DEP_1) | instskip(NEXT) | instid1(VALU_DEP_1)
	v_cndmask_b32_e64 v11, 0, v11, s0
	v_or_b32_e32 v134, v130, v11
.LBB288_1661:                           ;   in Loop: Header=BB288_934 Depth=1
	s_wait_alu 0xfffe
	s_or_b32 exec_lo, exec_lo, s11
	;;#ASMSTART
	v_pk_mul_f16 v0, v71, v144;

	;;#ASMEND
	;;#ASMSTART
	v_pk_mul_f16 v11, v70, v132;

	;;#ASMEND
	;; [unrolled: 4-line block ×4, first 2 shown]
	;;#ASMSTART
	v_pk_add_f16 v0, v0, v11;

	;;#ASMEND
	;;#ASMSTART
	v_pk_add_f16 v0, v0, v12;

	;;#ASMEND
	;; [unrolled: 4-line block ×3, first 2 shown]
	v_dual_mov_b32 v132, 0 :: v_dual_and_b32 v11, 0xffff, v0
	v_lshrrev_b32_e32 v0, 16, v0
	;;#ASMSTART
	v_cvt_f32_f16 v129, v11;
	;;#ASMEND
	;;#ASMSTART
	v_cvt_f32_f16 v130, v0;
	;;#ASMEND
	flat_load_b64 v[11:12], v[9:10] offset:2816
	flat_load_b32 v131, v[26:27]
	s_mov_b32 s11, exec_lo
	s_wait_loadcnt_dscnt 0x101
	v_dual_mov_b32 v133, 0 :: v_dual_and_b32 v0, 0xff, v11
	s_delay_alu instid0(VALU_DEP_1)
	v_cmpx_ne_u16_e32 0, v0
	s_cbranch_execz .LBB288_1669
; %bb.1662:                             ;   in Loop: Header=BB288_934 Depth=1
	v_mov_b32_e32 v133, 0x8000
	s_mov_b32 s14, exec_lo
	v_cmpx_ne_u16_e32 0x80, v0
	s_cbranch_execz .LBB288_1668
; %bb.1663:                             ;   in Loop: Header=BB288_934 Depth=1
	v_and_b32_e32 v134, 0x7f, v11
	v_mov_b32_e32 v133, 0x7c01
	s_mov_b32 s15, exec_lo
	s_delay_alu instid0(VALU_DEP_2)
	v_cmpx_ne_u32_e32 0x7f, v134
	s_cbranch_execz .LBB288_1667
; %bb.1664:                             ;   in Loop: Header=BB288_934 Depth=1
	v_and_b32_e32 v0, 7, v11
	v_lshrrev_b32_e32 v133, 3, v134
	s_mov_b32 s16, exec_lo
	v_cmpx_gt_u32_e32 8, v134
; %bb.1665:                             ;   in Loop: Header=BB288_934 Depth=1
	s_delay_alu instid0(VALU_DEP_3) | instskip(NEXT) | instid1(VALU_DEP_1)
	v_clz_i32_u32_e32 v0, v0
	v_min_u32_e32 v0, 32, v0
	s_delay_alu instid0(VALU_DEP_1) | instskip(NEXT) | instid1(VALU_DEP_1)
	v_subrev_nc_u32_e32 v133, 28, v0
	v_lshlrev_b64_e32 v[134:135], v133, v[11:12]
	v_sub_nc_u32_e32 v133, 29, v0
	s_delay_alu instid0(VALU_DEP_2)
	v_and_b32_e32 v0, 7, v134
; %bb.1666:                             ;   in Loop: Header=BB288_934 Depth=1
	s_wait_alu 0xfffe
	s_or_b32 exec_lo, exec_lo, s16
	v_lshlrev_b32_e32 v134, 8, v11
	v_lshl_add_u32 v133, v133, 10, 0x2000
	v_lshlrev_b32_e32 v0, 7, v0
	s_delay_alu instid0(VALU_DEP_3) | instskip(NEXT) | instid1(VALU_DEP_3)
	v_and_b32_e32 v134, 0x8000, v134
	v_and_b32_e32 v133, 0xfc00, v133
	s_delay_alu instid0(VALU_DEP_1)
	v_or3_b32 v133, v134, v133, v0
.LBB288_1667:                           ;   in Loop: Header=BB288_934 Depth=1
	s_wait_alu 0xfffe
	s_or_b32 exec_lo, exec_lo, s15
.LBB288_1668:                           ;   in Loop: Header=BB288_934 Depth=1
	s_wait_alu 0xfffe
	s_or_b32 exec_lo, exec_lo, s14
.LBB288_1669:                           ;   in Loop: Header=BB288_934 Depth=1
	s_wait_alu 0xfffe
	s_or_b32 exec_lo, exec_lo, s11
	v_lshrrev_b16 v0, 8, v11
	s_mov_b32 s11, exec_lo
	s_delay_alu instid0(VALU_DEP_1)
	v_cmpx_ne_u16_e32 0, v0
	s_cbranch_execz .LBB288_1677
; %bb.1670:                             ;   in Loop: Header=BB288_934 Depth=1
	v_bfrev_b32_e32 v132, 1
	s_mov_b32 s14, exec_lo
	v_cmpx_ne_u16_e32 0x80, v0
	s_cbranch_execz .LBB288_1676
; %bb.1671:                             ;   in Loop: Header=BB288_934 Depth=1
	v_and_b32_e32 v134, 0xffff, v0
	v_mov_b32_e32 v132, 0x7c010000
	s_mov_b32 s15, exec_lo
	s_delay_alu instid0(VALU_DEP_2) | instskip(NEXT) | instid1(VALU_DEP_1)
	v_and_b32_e32 v144, 0x7f, v134
	v_cmpx_ne_u32_e32 0x7f, v144
	s_cbranch_execz .LBB288_1675
; %bb.1672:                             ;   in Loop: Header=BB288_934 Depth=1
	v_and_b32_e32 v132, 7, v134
	v_lshrrev_b32_e32 v135, 3, v144
	s_mov_b32 s16, exec_lo
	v_cmpx_gt_u32_e32 8, v144
; %bb.1673:                             ;   in Loop: Header=BB288_934 Depth=1
	s_delay_alu instid0(VALU_DEP_3) | instskip(NEXT) | instid1(VALU_DEP_1)
	v_clz_i32_u32_e32 v132, v132
	v_min_u32_e32 v132, 32, v132
	s_delay_alu instid0(VALU_DEP_1) | instskip(NEXT) | instid1(VALU_DEP_1)
	v_subrev_nc_u32_e32 v135, 28, v132
	v_lshlrev_b64_e32 v[144:145], v135, v[0:1]
	v_sub_nc_u32_e32 v135, 29, v132
	s_delay_alu instid0(VALU_DEP_2)
	v_and_b32_e32 v132, 7, v144
; %bb.1674:                             ;   in Loop: Header=BB288_934 Depth=1
	s_wait_alu 0xfffe
	s_or_b32 exec_lo, exec_lo, s16
	v_lshlrev_b32_e32 v0, 8, v134
	v_lshl_add_u32 v134, v135, 10, 0x2000
	v_lshlrev_b32_e32 v132, 23, v132
	s_delay_alu instid0(VALU_DEP_2) | instskip(NEXT) | instid1(VALU_DEP_1)
	v_and_or_b32 v0, 0x8000, v0, v134
	v_lshl_or_b32 v132, v0, 16, v132
.LBB288_1675:                           ;   in Loop: Header=BB288_934 Depth=1
	s_wait_alu 0xfffe
	s_or_b32 exec_lo, exec_lo, s15
.LBB288_1676:                           ;   in Loop: Header=BB288_934 Depth=1
	s_wait_alu 0xfffe
	s_or_b32 exec_lo, exec_lo, s14
.LBB288_1677:                           ;   in Loop: Header=BB288_934 Depth=1
	s_wait_alu 0xfffe
	s_or_b32 exec_lo, exec_lo, s11
	v_lshrrev_b32_e32 v0, 16, v11
	v_mov_b32_e32 v134, 0
	s_mov_b32 s11, exec_lo
	s_delay_alu instid0(VALU_DEP_2) | instskip(NEXT) | instid1(VALU_DEP_1)
	v_dual_mov_b32 v135, 0 :: v_dual_and_b32 v144, 0xff, v0
	v_cmpx_ne_u16_e64 0, v144
	s_cbranch_execz .LBB288_1685
; %bb.1678:                             ;   in Loop: Header=BB288_934 Depth=1
	v_mov_b32_e32 v135, 0x8000
	s_mov_b32 s14, exec_lo
	v_cmpx_ne_u16_e64 0x80, v144
	s_cbranch_execz .LBB288_1684
; %bb.1679:                             ;   in Loop: Header=BB288_934 Depth=1
	v_bfe_u32 v145, v11, 16, 7
	v_mov_b32_e32 v135, 0x7c01
	s_mov_b32 s15, exec_lo
	s_delay_alu instid0(VALU_DEP_2)
	v_cmpx_ne_u32_e32 0x7f, v145
	s_cbranch_execz .LBB288_1683
; %bb.1680:                             ;   in Loop: Header=BB288_934 Depth=1
	v_and_b32_e32 v135, 7, v0
	v_lshrrev_b32_e32 v144, 3, v145
	s_mov_b32 s16, exec_lo
	v_cmpx_gt_u32_e32 8, v145
; %bb.1681:                             ;   in Loop: Header=BB288_934 Depth=1
	s_delay_alu instid0(VALU_DEP_3) | instskip(NEXT) | instid1(VALU_DEP_1)
	v_clz_i32_u32_e32 v135, v135
	v_min_u32_e32 v135, 32, v135
	s_delay_alu instid0(VALU_DEP_1) | instskip(NEXT) | instid1(VALU_DEP_1)
	v_subrev_nc_u32_e32 v144, 28, v135
	v_lshlrev_b64_e32 v[145:146], v144, v[0:1]
	v_sub_nc_u32_e32 v144, 29, v135
	s_delay_alu instid0(VALU_DEP_2)
	v_and_b32_e32 v135, 7, v145
; %bb.1682:                             ;   in Loop: Header=BB288_934 Depth=1
	s_wait_alu 0xfffe
	s_or_b32 exec_lo, exec_lo, s16
	v_lshlrev_b32_e32 v0, 8, v0
	v_lshl_add_u32 v144, v144, 10, 0x2000
	v_lshlrev_b32_e32 v135, 7, v135
	s_delay_alu instid0(VALU_DEP_3) | instskip(NEXT) | instid1(VALU_DEP_3)
	v_and_b32_e32 v0, 0x8000, v0
	v_and_b32_e32 v144, 0xfc00, v144
	s_delay_alu instid0(VALU_DEP_1)
	v_or3_b32 v135, v0, v144, v135
.LBB288_1683:                           ;   in Loop: Header=BB288_934 Depth=1
	s_wait_alu 0xfffe
	s_or_b32 exec_lo, exec_lo, s15
.LBB288_1684:                           ;   in Loop: Header=BB288_934 Depth=1
	s_wait_alu 0xfffe
	s_or_b32 exec_lo, exec_lo, s14
.LBB288_1685:                           ;   in Loop: Header=BB288_934 Depth=1
	s_wait_alu 0xfffe
	s_or_b32 exec_lo, exec_lo, s11
	s_delay_alu instid0(SALU_CYCLE_1)
	s_mov_b32 s11, exec_lo
	v_cmpx_lt_u32_e32 0xffffff, v11
	s_cbranch_execz .LBB288_1693
; %bb.1686:                             ;   in Loop: Header=BB288_934 Depth=1
	v_lshrrev_b32_e32 v0, 24, v11
	v_bfrev_b32_e32 v134, 1
	s_mov_b32 s14, exec_lo
	s_delay_alu instid0(VALU_DEP_2)
	v_cmpx_ne_u32_e32 0x80, v0
	s_cbranch_execz .LBB288_1692
; %bb.1687:                             ;   in Loop: Header=BB288_934 Depth=1
	v_and_b32_e32 v145, 0x7f, v0
	v_mov_b32_e32 v134, 0x7c010000
	s_mov_b32 s15, exec_lo
	s_delay_alu instid0(VALU_DEP_2)
	v_cmpx_ne_u32_e32 0x7f, v145
	s_cbranch_execz .LBB288_1691
; %bb.1688:                             ;   in Loop: Header=BB288_934 Depth=1
	v_and_b32_e32 v134, 7, v0
	v_lshrrev_b32_e32 v144, 3, v145
	s_mov_b32 s16, exec_lo
	v_cmpx_gt_u32_e32 8, v145
; %bb.1689:                             ;   in Loop: Header=BB288_934 Depth=1
	s_delay_alu instid0(VALU_DEP_3) | instskip(NEXT) | instid1(VALU_DEP_1)
	v_clz_i32_u32_e32 v134, v134
	v_min_u32_e32 v134, 32, v134
	s_delay_alu instid0(VALU_DEP_1) | instskip(NEXT) | instid1(VALU_DEP_1)
	v_subrev_nc_u32_e32 v144, 28, v134
	v_lshlrev_b64_e32 v[145:146], v144, v[0:1]
	v_sub_nc_u32_e32 v144, 29, v134
	s_delay_alu instid0(VALU_DEP_2)
	v_and_b32_e32 v134, 7, v145
; %bb.1690:                             ;   in Loop: Header=BB288_934 Depth=1
	s_wait_alu 0xfffe
	s_or_b32 exec_lo, exec_lo, s16
	v_lshlrev_b32_e32 v0, 8, v0
	v_lshl_add_u32 v144, v144, 10, 0x2000
	v_lshlrev_b32_e32 v134, 23, v134
	s_delay_alu instid0(VALU_DEP_2) | instskip(NEXT) | instid1(VALU_DEP_1)
	v_and_or_b32 v0, 0x8000, v0, v144
	v_lshl_or_b32 v134, v0, 16, v134
.LBB288_1691:                           ;   in Loop: Header=BB288_934 Depth=1
	s_wait_alu 0xfffe
	s_or_b32 exec_lo, exec_lo, s15
.LBB288_1692:                           ;   in Loop: Header=BB288_934 Depth=1
	s_wait_alu 0xfffe
	s_or_b32 exec_lo, exec_lo, s14
.LBB288_1693:                           ;   in Loop: Header=BB288_934 Depth=1
	s_wait_alu 0xfffe
	s_or_b32 exec_lo, exec_lo, s11
	v_dual_mov_b32 v145, 0 :: v_dual_and_b32 v146, 0xff, v12
	v_mov_b32_e32 v0, v12
	v_mov_b32_e32 v144, 0
	s_mov_b32 s11, exec_lo
	s_delay_alu instid0(VALU_DEP_3)
	v_cmpx_ne_u16_e64 0, v146
	s_cbranch_execz .LBB288_1701
; %bb.1694:                             ;   in Loop: Header=BB288_934 Depth=1
	v_mov_b32_e32 v145, 0x8000
	s_mov_b32 s14, exec_lo
	v_cmpx_ne_u16_e64 0x80, v146
	s_cbranch_execz .LBB288_1700
; %bb.1695:                             ;   in Loop: Header=BB288_934 Depth=1
	v_and_b32_e32 v147, 0x7f, v12
	v_mov_b32_e32 v145, 0x7c01
	s_mov_b32 s15, exec_lo
	s_delay_alu instid0(VALU_DEP_2)
	v_cmpx_ne_u32_e32 0x7f, v147
	s_cbranch_execz .LBB288_1699
; %bb.1696:                             ;   in Loop: Header=BB288_934 Depth=1
	v_and_b32_e32 v145, 7, v12
	v_lshrrev_b32_e32 v146, 3, v147
	s_mov_b32 s16, exec_lo
	v_cmpx_gt_u32_e32 8, v147
; %bb.1697:                             ;   in Loop: Header=BB288_934 Depth=1
	s_delay_alu instid0(VALU_DEP_3) | instskip(NEXT) | instid1(VALU_DEP_1)
	v_clz_i32_u32_e32 v145, v145
	v_min_u32_e32 v147, 32, v145
	s_delay_alu instid0(VALU_DEP_1) | instskip(NEXT) | instid1(VALU_DEP_1)
	v_subrev_nc_u32_e32 v145, 28, v147
	v_lshlrev_b64_e32 v[145:146], v145, v[0:1]
	v_sub_nc_u32_e32 v146, 29, v147
	s_delay_alu instid0(VALU_DEP_2)
	v_and_b32_e32 v145, 7, v145
; %bb.1698:                             ;   in Loop: Header=BB288_934 Depth=1
	s_wait_alu 0xfffe
	s_or_b32 exec_lo, exec_lo, s16
	v_lshlrev_b32_e32 v147, 8, v12
	v_lshl_add_u32 v146, v146, 10, 0x2000
	v_lshlrev_b32_e32 v145, 7, v145
	s_delay_alu instid0(VALU_DEP_3) | instskip(NEXT) | instid1(VALU_DEP_3)
	v_and_b32_e32 v147, 0x8000, v147
	v_and_b32_e32 v146, 0xfc00, v146
	s_delay_alu instid0(VALU_DEP_1)
	v_or3_b32 v145, v147, v146, v145
.LBB288_1699:                           ;   in Loop: Header=BB288_934 Depth=1
	s_wait_alu 0xfffe
	s_or_b32 exec_lo, exec_lo, s15
.LBB288_1700:                           ;   in Loop: Header=BB288_934 Depth=1
	s_wait_alu 0xfffe
	s_or_b32 exec_lo, exec_lo, s14
.LBB288_1701:                           ;   in Loop: Header=BB288_934 Depth=1
	s_wait_alu 0xfffe
	s_or_b32 exec_lo, exec_lo, s11
	v_lshrrev_b16 v0, 8, v0
	v_mov_b32_e32 v146, 0
	s_mov_b32 s11, exec_lo
	s_delay_alu instid0(VALU_DEP_2)
	v_cmpx_ne_u16_e32 0, v0
	s_cbranch_execz .LBB288_1709
; %bb.1702:                             ;   in Loop: Header=BB288_934 Depth=1
	v_bfrev_b32_e32 v146, 1
	s_mov_b32 s14, exec_lo
	v_cmpx_ne_u16_e32 0x80, v0
	s_cbranch_execz .LBB288_1708
; %bb.1703:                             ;   in Loop: Header=BB288_934 Depth=1
	v_and_b32_e32 v147, 0xffff, v0
	v_mov_b32_e32 v146, 0x7c010000
	s_mov_b32 s15, exec_lo
	s_delay_alu instid0(VALU_DEP_2) | instskip(NEXT) | instid1(VALU_DEP_1)
	v_and_b32_e32 v149, 0x7f, v147
	v_cmpx_ne_u32_e32 0x7f, v149
	s_cbranch_execz .LBB288_1707
; %bb.1704:                             ;   in Loop: Header=BB288_934 Depth=1
	v_and_b32_e32 v146, 7, v147
	v_lshrrev_b32_e32 v148, 3, v149
	s_mov_b32 s16, exec_lo
	v_cmpx_gt_u32_e32 8, v149
; %bb.1705:                             ;   in Loop: Header=BB288_934 Depth=1
	s_delay_alu instid0(VALU_DEP_3) | instskip(NEXT) | instid1(VALU_DEP_1)
	v_clz_i32_u32_e32 v146, v146
	v_min_u32_e32 v146, 32, v146
	s_delay_alu instid0(VALU_DEP_1) | instskip(NEXT) | instid1(VALU_DEP_1)
	v_subrev_nc_u32_e32 v148, 28, v146
	v_lshlrev_b64_e32 v[149:150], v148, v[0:1]
	v_sub_nc_u32_e32 v148, 29, v146
	s_delay_alu instid0(VALU_DEP_2)
	v_and_b32_e32 v146, 7, v149
; %bb.1706:                             ;   in Loop: Header=BB288_934 Depth=1
	s_wait_alu 0xfffe
	s_or_b32 exec_lo, exec_lo, s16
	v_lshlrev_b32_e32 v0, 8, v147
	v_lshl_add_u32 v147, v148, 10, 0x2000
	v_lshlrev_b32_e32 v146, 23, v146
	s_delay_alu instid0(VALU_DEP_2) | instskip(NEXT) | instid1(VALU_DEP_1)
	v_and_or_b32 v0, 0x8000, v0, v147
	v_lshl_or_b32 v146, v0, 16, v146
.LBB288_1707:                           ;   in Loop: Header=BB288_934 Depth=1
	s_wait_alu 0xfffe
	s_or_b32 exec_lo, exec_lo, s15
.LBB288_1708:                           ;   in Loop: Header=BB288_934 Depth=1
	s_wait_alu 0xfffe
	s_or_b32 exec_lo, exec_lo, s14
.LBB288_1709:                           ;   in Loop: Header=BB288_934 Depth=1
	s_wait_alu 0xfffe
	s_or_b32 exec_lo, exec_lo, s11
	v_lshrrev_b32_e32 v0, 16, v12
	s_mov_b32 s11, exec_lo
	s_delay_alu instid0(VALU_DEP_1) | instskip(NEXT) | instid1(VALU_DEP_1)
	v_and_b32_e32 v147, 0xff, v0
	v_cmpx_ne_u16_e64 0, v147
	s_cbranch_execz .LBB288_1717
; %bb.1710:                             ;   in Loop: Header=BB288_934 Depth=1
	v_mov_b32_e32 v144, 0x8000
	s_mov_b32 s14, exec_lo
	v_cmpx_ne_u16_e64 0x80, v147
	s_cbranch_execz .LBB288_1716
; %bb.1711:                             ;   in Loop: Header=BB288_934 Depth=1
	v_bfe_u32 v148, v12, 16, 7
	v_mov_b32_e32 v144, 0x7c01
	s_mov_b32 s15, exec_lo
	s_delay_alu instid0(VALU_DEP_2)
	v_cmpx_ne_u32_e32 0x7f, v148
	s_cbranch_execz .LBB288_1715
; %bb.1712:                             ;   in Loop: Header=BB288_934 Depth=1
	v_and_b32_e32 v144, 7, v0
	v_lshrrev_b32_e32 v147, 3, v148
	s_mov_b32 s16, exec_lo
	v_cmpx_gt_u32_e32 8, v148
; %bb.1713:                             ;   in Loop: Header=BB288_934 Depth=1
	s_delay_alu instid0(VALU_DEP_3) | instskip(NEXT) | instid1(VALU_DEP_1)
	v_clz_i32_u32_e32 v144, v144
	v_min_u32_e32 v144, 32, v144
	s_delay_alu instid0(VALU_DEP_1) | instskip(NEXT) | instid1(VALU_DEP_1)
	v_subrev_nc_u32_e32 v147, 28, v144
	v_lshlrev_b64_e32 v[148:149], v147, v[0:1]
	v_sub_nc_u32_e32 v147, 29, v144
	s_delay_alu instid0(VALU_DEP_2)
	v_and_b32_e32 v144, 7, v148
; %bb.1714:                             ;   in Loop: Header=BB288_934 Depth=1
	s_wait_alu 0xfffe
	s_or_b32 exec_lo, exec_lo, s16
	v_lshlrev_b32_e32 v0, 8, v0
	v_lshl_add_u32 v147, v147, 10, 0x2000
	v_lshlrev_b32_e32 v144, 7, v144
	s_delay_alu instid0(VALU_DEP_3) | instskip(NEXT) | instid1(VALU_DEP_3)
	v_and_b32_e32 v0, 0x8000, v0
	v_and_b32_e32 v147, 0xfc00, v147
	s_delay_alu instid0(VALU_DEP_1)
	v_or3_b32 v144, v0, v147, v144
.LBB288_1715:                           ;   in Loop: Header=BB288_934 Depth=1
	s_wait_alu 0xfffe
	s_or_b32 exec_lo, exec_lo, s15
.LBB288_1716:                           ;   in Loop: Header=BB288_934 Depth=1
	s_wait_alu 0xfffe
	s_or_b32 exec_lo, exec_lo, s14
.LBB288_1717:                           ;   in Loop: Header=BB288_934 Depth=1
	s_wait_alu 0xfffe
	s_or_b32 exec_lo, exec_lo, s11
	v_cmp_lt_u64_e64 s0, s[8:9], v[11:12]
	v_mov_b32_e32 v11, 0
	s_and_saveexec_b32 s11, s0
	s_cbranch_execz .LBB288_1725
; %bb.1718:                             ;   in Loop: Header=BB288_934 Depth=1
	v_lshrrev_b32_e32 v0, 24, v12
	v_bfrev_b32_e32 v11, 1
	s_mov_b32 s14, exec_lo
	s_delay_alu instid0(VALU_DEP_2)
	v_cmpx_ne_u32_e32 0x80, v0
	s_cbranch_execz .LBB288_1724
; %bb.1719:                             ;   in Loop: Header=BB288_934 Depth=1
	v_and_b32_e32 v147, 0x7f, v0
	v_mov_b32_e32 v11, 0x7c010000
	s_mov_b32 s15, exec_lo
	s_delay_alu instid0(VALU_DEP_2)
	v_cmpx_ne_u32_e32 0x7f, v147
	s_cbranch_execz .LBB288_1723
; %bb.1720:                             ;   in Loop: Header=BB288_934 Depth=1
	v_and_b32_e32 v11, 7, v0
	v_lshrrev_b32_e32 v12, 3, v147
	s_mov_b32 s16, exec_lo
	v_cmpx_gt_u32_e32 8, v147
; %bb.1721:                             ;   in Loop: Header=BB288_934 Depth=1
	s_delay_alu instid0(VALU_DEP_3) | instskip(NEXT) | instid1(VALU_DEP_1)
	v_clz_i32_u32_e32 v11, v11
	v_min_u32_e32 v147, 32, v11
	s_delay_alu instid0(VALU_DEP_1) | instskip(NEXT) | instid1(VALU_DEP_1)
	v_subrev_nc_u32_e32 v11, 28, v147
	v_lshlrev_b64_e32 v[11:12], v11, v[0:1]
	v_sub_nc_u32_e32 v12, 29, v147
	s_delay_alu instid0(VALU_DEP_2)
	v_and_b32_e32 v11, 7, v11
; %bb.1722:                             ;   in Loop: Header=BB288_934 Depth=1
	s_wait_alu 0xfffe
	s_or_b32 exec_lo, exec_lo, s16
	v_lshlrev_b32_e32 v0, 8, v0
	v_lshl_add_u32 v12, v12, 10, 0x2000
	v_lshlrev_b32_e32 v11, 23, v11
	s_delay_alu instid0(VALU_DEP_2) | instskip(NEXT) | instid1(VALU_DEP_1)
	v_and_or_b32 v0, 0x8000, v0, v12
	v_lshl_or_b32 v11, v0, 16, v11
.LBB288_1723:                           ;   in Loop: Header=BB288_934 Depth=1
	s_wait_alu 0xfffe
	s_or_b32 exec_lo, exec_lo, s15
.LBB288_1724:                           ;   in Loop: Header=BB288_934 Depth=1
	s_wait_alu 0xfffe
	s_or_b32 exec_lo, exec_lo, s14
.LBB288_1725:                           ;   in Loop: Header=BB288_934 Depth=1
	s_wait_alu 0xfffe
	s_or_b32 exec_lo, exec_lo, s11
	v_or_b32_e32 v0, v134, v135
	s_wait_loadcnt_dscnt 0x0
	v_fma_mixlo_f16 v12, v131, v134, 0 op_sel:[0,1,0] op_sel_hi:[0,1,0]
	v_or_b32_e32 v134, v132, v133
	v_fma_mixlo_f16 v132, v131, v132, 0 op_sel:[0,1,0] op_sel_hi:[0,1,0]
	v_or_b32_e32 v135, v146, v145
	v_or_b32_e32 v144, v11, v144
	v_fma_mixlo_f16 v145, v131, v0, 0 op_sel_hi:[0,1,0]
	v_fma_mixlo_f16 v11, v131, v11, 0 op_sel:[0,1,0] op_sel_hi:[0,1,0]
	v_lshlrev_b32_e32 v133, 16, v132
	v_fma_mixlo_f16 v132, v131, v134, 0 op_sel_hi:[0,1,0]
	v_fma_mixlo_f16 v134, v131, v146, 0 op_sel:[0,1,0] op_sel_hi:[0,1,0]
	v_fma_mixlo_f16 v135, v131, v135, 0 op_sel_hi:[0,1,0]
	v_fma_mixlo_f16 v144, v131, v144, 0 op_sel_hi:[0,1,0]
	v_lshlrev_b32_e32 v0, 16, v12
	v_and_b32_e32 v12, 0xffff, v145
	v_and_b32_e32 v147, 0xffff, v132
	v_lshlrev_b32_e32 v131, 16, v134
	v_and_b32_e32 v135, 0xffff, v135
	v_lshlrev_b32_e32 v11, 16, v11
	v_and_b32_e32 v132, 0xffff, v144
	v_or_b32_e32 v134, v0, v12
	v_or_b32_e32 v146, v133, v147
	;; [unrolled: 1-line block ×3, first 2 shown]
	s_delay_alu instid0(VALU_DEP_4)
	v_or_b32_e32 v144, v11, v132
	s_and_saveexec_b32 s11, vcc_lo
	s_cbranch_execz .LBB288_1727
; %bb.1726:                             ;   in Loop: Header=BB288_934 Depth=1
	v_cmp_lt_i32_e64 s0, v17, v34
	s_wait_alu 0xf1ff
	s_delay_alu instid0(VALU_DEP_1) | instskip(SKIP_2) | instid1(VALU_DEP_1)
	v_cndmask_b32_e64 v134, 0, v147, s0
	v_cmp_lt_i32_e64 s0, v86, v34
	s_wait_alu 0xf1ff
	v_cndmask_b32_e64 v133, 0, v133, s0
	v_cmp_lt_i32_e64 s0, v85, v34
	s_delay_alu instid0(VALU_DEP_2) | instskip(SKIP_1) | instid1(VALU_DEP_2)
	v_or_b32_e32 v146, v134, v133
	s_wait_alu 0xf1ff
	v_cndmask_b32_e64 v12, 0, v12, s0
	v_cmp_lt_i32_e64 s0, v84, v34
	s_wait_alu 0xf1ff
	s_delay_alu instid0(VALU_DEP_1) | instskip(SKIP_1) | instid1(VALU_DEP_2)
	v_cndmask_b32_e64 v0, 0, v0, s0
	v_cmp_lt_i32_e64 s0, v83, v34
	v_or_b32_e32 v134, v12, v0
	s_wait_alu 0xf1ff
	s_delay_alu instid0(VALU_DEP_2) | instskip(SKIP_2) | instid1(VALU_DEP_1)
	v_cndmask_b32_e64 v135, 0, v135, s0
	v_cmp_lt_i32_e64 s0, v82, v34
	s_wait_alu 0xf1ff
	v_cndmask_b32_e64 v131, 0, v131, s0
	v_cmp_lt_i32_e64 s0, v81, v34
	s_delay_alu instid0(VALU_DEP_2) | instskip(SKIP_1) | instid1(VALU_DEP_2)
	v_or_b32_e32 v145, v135, v131
	s_wait_alu 0xf1ff
	v_cndmask_b32_e64 v132, 0, v132, s0
	v_cmp_lt_i32_e64 s0, v80, v34
	s_wait_alu 0xf1ff
	s_delay_alu instid0(VALU_DEP_1) | instskip(NEXT) | instid1(VALU_DEP_1)
	v_cndmask_b32_e64 v11, 0, v11, s0
	v_or_b32_e32 v144, v132, v11
.LBB288_1727:                           ;   in Loop: Header=BB288_934 Depth=1
	s_wait_alu 0xfffe
	s_or_b32 exec_lo, exec_lo, s11
	;;#ASMSTART
	v_pk_mul_f16 v0, v71, v146;

	;;#ASMEND
	;;#ASMSTART
	v_pk_mul_f16 v11, v70, v134;

	;;#ASMEND
	;; [unrolled: 4-line block ×4, first 2 shown]
	;;#ASMSTART
	v_pk_add_f16 v0, v0, v11;

	;;#ASMEND
	;;#ASMSTART
	v_pk_add_f16 v0, v0, v12;

	;;#ASMEND
	;; [unrolled: 4-line block ×3, first 2 shown]
	v_dual_mov_b32 v134, 0 :: v_dual_and_b32 v11, 0xffff, v0
	v_lshrrev_b32_e32 v0, 16, v0
	;;#ASMSTART
	v_cvt_f32_f16 v131, v11;
	;;#ASMEND
	;;#ASMSTART
	v_cvt_f32_f16 v132, v0;
	;;#ASMEND
	flat_load_b64 v[11:12], v[9:10] offset:3072
	flat_load_b32 v133, v[26:27]
	s_mov_b32 s11, exec_lo
	s_wait_loadcnt_dscnt 0x101
	v_dual_mov_b32 v135, 0 :: v_dual_and_b32 v0, 0xff, v11
	s_delay_alu instid0(VALU_DEP_1)
	v_cmpx_ne_u16_e32 0, v0
	s_cbranch_execz .LBB288_1735
; %bb.1728:                             ;   in Loop: Header=BB288_934 Depth=1
	v_mov_b32_e32 v135, 0x8000
	s_mov_b32 s14, exec_lo
	v_cmpx_ne_u16_e32 0x80, v0
	s_cbranch_execz .LBB288_1734
; %bb.1729:                             ;   in Loop: Header=BB288_934 Depth=1
	v_and_b32_e32 v144, 0x7f, v11
	v_mov_b32_e32 v135, 0x7c01
	s_mov_b32 s15, exec_lo
	s_delay_alu instid0(VALU_DEP_2)
	v_cmpx_ne_u32_e32 0x7f, v144
	s_cbranch_execz .LBB288_1733
; %bb.1730:                             ;   in Loop: Header=BB288_934 Depth=1
	v_and_b32_e32 v0, 7, v11
	v_lshrrev_b32_e32 v135, 3, v144
	s_mov_b32 s16, exec_lo
	v_cmpx_gt_u32_e32 8, v144
; %bb.1731:                             ;   in Loop: Header=BB288_934 Depth=1
	s_delay_alu instid0(VALU_DEP_3) | instskip(NEXT) | instid1(VALU_DEP_1)
	v_clz_i32_u32_e32 v0, v0
	v_min_u32_e32 v0, 32, v0
	s_delay_alu instid0(VALU_DEP_1) | instskip(NEXT) | instid1(VALU_DEP_1)
	v_subrev_nc_u32_e32 v135, 28, v0
	v_lshlrev_b64_e32 v[144:145], v135, v[11:12]
	v_sub_nc_u32_e32 v135, 29, v0
	s_delay_alu instid0(VALU_DEP_2)
	v_and_b32_e32 v0, 7, v144
; %bb.1732:                             ;   in Loop: Header=BB288_934 Depth=1
	s_wait_alu 0xfffe
	s_or_b32 exec_lo, exec_lo, s16
	v_lshlrev_b32_e32 v144, 8, v11
	v_lshl_add_u32 v135, v135, 10, 0x2000
	v_lshlrev_b32_e32 v0, 7, v0
	s_delay_alu instid0(VALU_DEP_3) | instskip(NEXT) | instid1(VALU_DEP_3)
	v_and_b32_e32 v144, 0x8000, v144
	v_and_b32_e32 v135, 0xfc00, v135
	s_delay_alu instid0(VALU_DEP_1)
	v_or3_b32 v135, v144, v135, v0
.LBB288_1733:                           ;   in Loop: Header=BB288_934 Depth=1
	s_wait_alu 0xfffe
	s_or_b32 exec_lo, exec_lo, s15
.LBB288_1734:                           ;   in Loop: Header=BB288_934 Depth=1
	s_wait_alu 0xfffe
	s_or_b32 exec_lo, exec_lo, s14
.LBB288_1735:                           ;   in Loop: Header=BB288_934 Depth=1
	s_wait_alu 0xfffe
	s_or_b32 exec_lo, exec_lo, s11
	v_lshrrev_b16 v0, 8, v11
	s_mov_b32 s11, exec_lo
	s_delay_alu instid0(VALU_DEP_1)
	v_cmpx_ne_u16_e32 0, v0
	s_cbranch_execz .LBB288_1743
; %bb.1736:                             ;   in Loop: Header=BB288_934 Depth=1
	v_bfrev_b32_e32 v134, 1
	s_mov_b32 s14, exec_lo
	v_cmpx_ne_u16_e32 0x80, v0
	s_cbranch_execz .LBB288_1742
; %bb.1737:                             ;   in Loop: Header=BB288_934 Depth=1
	v_and_b32_e32 v144, 0xffff, v0
	v_mov_b32_e32 v134, 0x7c010000
	s_mov_b32 s15, exec_lo
	s_delay_alu instid0(VALU_DEP_2) | instskip(NEXT) | instid1(VALU_DEP_1)
	v_and_b32_e32 v146, 0x7f, v144
	v_cmpx_ne_u32_e32 0x7f, v146
	s_cbranch_execz .LBB288_1741
; %bb.1738:                             ;   in Loop: Header=BB288_934 Depth=1
	v_and_b32_e32 v134, 7, v144
	v_lshrrev_b32_e32 v145, 3, v146
	s_mov_b32 s16, exec_lo
	v_cmpx_gt_u32_e32 8, v146
; %bb.1739:                             ;   in Loop: Header=BB288_934 Depth=1
	s_delay_alu instid0(VALU_DEP_3) | instskip(NEXT) | instid1(VALU_DEP_1)
	v_clz_i32_u32_e32 v134, v134
	v_min_u32_e32 v134, 32, v134
	s_delay_alu instid0(VALU_DEP_1) | instskip(NEXT) | instid1(VALU_DEP_1)
	v_subrev_nc_u32_e32 v145, 28, v134
	v_lshlrev_b64_e32 v[146:147], v145, v[0:1]
	v_sub_nc_u32_e32 v145, 29, v134
	s_delay_alu instid0(VALU_DEP_2)
	v_and_b32_e32 v134, 7, v146
; %bb.1740:                             ;   in Loop: Header=BB288_934 Depth=1
	s_wait_alu 0xfffe
	s_or_b32 exec_lo, exec_lo, s16
	v_lshlrev_b32_e32 v0, 8, v144
	v_lshl_add_u32 v144, v145, 10, 0x2000
	v_lshlrev_b32_e32 v134, 23, v134
	s_delay_alu instid0(VALU_DEP_2) | instskip(NEXT) | instid1(VALU_DEP_1)
	v_and_or_b32 v0, 0x8000, v0, v144
	v_lshl_or_b32 v134, v0, 16, v134
.LBB288_1741:                           ;   in Loop: Header=BB288_934 Depth=1
	s_wait_alu 0xfffe
	s_or_b32 exec_lo, exec_lo, s15
.LBB288_1742:                           ;   in Loop: Header=BB288_934 Depth=1
	s_wait_alu 0xfffe
	s_or_b32 exec_lo, exec_lo, s14
.LBB288_1743:                           ;   in Loop: Header=BB288_934 Depth=1
	s_wait_alu 0xfffe
	s_or_b32 exec_lo, exec_lo, s11
	v_lshrrev_b32_e32 v0, 16, v11
	v_mov_b32_e32 v144, 0
	s_mov_b32 s11, exec_lo
	s_delay_alu instid0(VALU_DEP_2) | instskip(NEXT) | instid1(VALU_DEP_1)
	v_dual_mov_b32 v145, 0 :: v_dual_and_b32 v146, 0xff, v0
	v_cmpx_ne_u16_e64 0, v146
	s_cbranch_execz .LBB288_1751
; %bb.1744:                             ;   in Loop: Header=BB288_934 Depth=1
	v_mov_b32_e32 v145, 0x8000
	s_mov_b32 s14, exec_lo
	v_cmpx_ne_u16_e64 0x80, v146
	s_cbranch_execz .LBB288_1750
; %bb.1745:                             ;   in Loop: Header=BB288_934 Depth=1
	v_bfe_u32 v147, v11, 16, 7
	v_mov_b32_e32 v145, 0x7c01
	s_mov_b32 s15, exec_lo
	s_delay_alu instid0(VALU_DEP_2)
	v_cmpx_ne_u32_e32 0x7f, v147
	s_cbranch_execz .LBB288_1749
; %bb.1746:                             ;   in Loop: Header=BB288_934 Depth=1
	v_and_b32_e32 v145, 7, v0
	v_lshrrev_b32_e32 v146, 3, v147
	s_mov_b32 s16, exec_lo
	v_cmpx_gt_u32_e32 8, v147
; %bb.1747:                             ;   in Loop: Header=BB288_934 Depth=1
	s_delay_alu instid0(VALU_DEP_3) | instskip(NEXT) | instid1(VALU_DEP_1)
	v_clz_i32_u32_e32 v145, v145
	v_min_u32_e32 v147, 32, v145
	s_delay_alu instid0(VALU_DEP_1) | instskip(NEXT) | instid1(VALU_DEP_1)
	v_subrev_nc_u32_e32 v145, 28, v147
	v_lshlrev_b64_e32 v[145:146], v145, v[0:1]
	v_sub_nc_u32_e32 v146, 29, v147
	s_delay_alu instid0(VALU_DEP_2)
	v_and_b32_e32 v145, 7, v145
; %bb.1748:                             ;   in Loop: Header=BB288_934 Depth=1
	s_wait_alu 0xfffe
	s_or_b32 exec_lo, exec_lo, s16
	v_lshlrev_b32_e32 v0, 8, v0
	v_lshl_add_u32 v146, v146, 10, 0x2000
	v_lshlrev_b32_e32 v145, 7, v145
	s_delay_alu instid0(VALU_DEP_3) | instskip(NEXT) | instid1(VALU_DEP_3)
	v_and_b32_e32 v0, 0x8000, v0
	v_and_b32_e32 v146, 0xfc00, v146
	s_delay_alu instid0(VALU_DEP_1)
	v_or3_b32 v145, v0, v146, v145
.LBB288_1749:                           ;   in Loop: Header=BB288_934 Depth=1
	s_wait_alu 0xfffe
	s_or_b32 exec_lo, exec_lo, s15
.LBB288_1750:                           ;   in Loop: Header=BB288_934 Depth=1
	s_wait_alu 0xfffe
	s_or_b32 exec_lo, exec_lo, s14
.LBB288_1751:                           ;   in Loop: Header=BB288_934 Depth=1
	s_wait_alu 0xfffe
	s_or_b32 exec_lo, exec_lo, s11
	s_delay_alu instid0(SALU_CYCLE_1)
	s_mov_b32 s11, exec_lo
	v_cmpx_lt_u32_e32 0xffffff, v11
	s_cbranch_execz .LBB288_1759
; %bb.1752:                             ;   in Loop: Header=BB288_934 Depth=1
	v_lshrrev_b32_e32 v0, 24, v11
	v_bfrev_b32_e32 v144, 1
	s_mov_b32 s14, exec_lo
	s_delay_alu instid0(VALU_DEP_2)
	v_cmpx_ne_u32_e32 0x80, v0
	s_cbranch_execz .LBB288_1758
; %bb.1753:                             ;   in Loop: Header=BB288_934 Depth=1
	v_and_b32_e32 v147, 0x7f, v0
	v_mov_b32_e32 v144, 0x7c010000
	s_mov_b32 s15, exec_lo
	s_delay_alu instid0(VALU_DEP_2)
	v_cmpx_ne_u32_e32 0x7f, v147
	s_cbranch_execz .LBB288_1757
; %bb.1754:                             ;   in Loop: Header=BB288_934 Depth=1
	v_and_b32_e32 v144, 7, v0
	v_lshrrev_b32_e32 v146, 3, v147
	s_mov_b32 s16, exec_lo
	v_cmpx_gt_u32_e32 8, v147
; %bb.1755:                             ;   in Loop: Header=BB288_934 Depth=1
	s_delay_alu instid0(VALU_DEP_3) | instskip(NEXT) | instid1(VALU_DEP_1)
	v_clz_i32_u32_e32 v144, v144
	v_min_u32_e32 v144, 32, v144
	s_delay_alu instid0(VALU_DEP_1) | instskip(NEXT) | instid1(VALU_DEP_1)
	v_subrev_nc_u32_e32 v146, 28, v144
	v_lshlrev_b64_e32 v[147:148], v146, v[0:1]
	v_sub_nc_u32_e32 v146, 29, v144
	s_delay_alu instid0(VALU_DEP_2)
	v_and_b32_e32 v144, 7, v147
; %bb.1756:                             ;   in Loop: Header=BB288_934 Depth=1
	s_wait_alu 0xfffe
	s_or_b32 exec_lo, exec_lo, s16
	v_lshlrev_b32_e32 v0, 8, v0
	v_lshl_add_u32 v146, v146, 10, 0x2000
	v_lshlrev_b32_e32 v144, 23, v144
	s_delay_alu instid0(VALU_DEP_2) | instskip(NEXT) | instid1(VALU_DEP_1)
	v_and_or_b32 v0, 0x8000, v0, v146
	v_lshl_or_b32 v144, v0, 16, v144
.LBB288_1757:                           ;   in Loop: Header=BB288_934 Depth=1
	s_wait_alu 0xfffe
	s_or_b32 exec_lo, exec_lo, s15
.LBB288_1758:                           ;   in Loop: Header=BB288_934 Depth=1
	s_wait_alu 0xfffe
	s_or_b32 exec_lo, exec_lo, s14
.LBB288_1759:                           ;   in Loop: Header=BB288_934 Depth=1
	s_wait_alu 0xfffe
	s_or_b32 exec_lo, exec_lo, s11
	v_dual_mov_b32 v147, 0 :: v_dual_and_b32 v148, 0xff, v12
	v_mov_b32_e32 v0, v12
	v_mov_b32_e32 v146, 0
	s_mov_b32 s11, exec_lo
	s_delay_alu instid0(VALU_DEP_3)
	v_cmpx_ne_u16_e64 0, v148
	s_cbranch_execz .LBB288_1767
; %bb.1760:                             ;   in Loop: Header=BB288_934 Depth=1
	v_mov_b32_e32 v147, 0x8000
	s_mov_b32 s14, exec_lo
	v_cmpx_ne_u16_e64 0x80, v148
	s_cbranch_execz .LBB288_1766
; %bb.1761:                             ;   in Loop: Header=BB288_934 Depth=1
	v_and_b32_e32 v149, 0x7f, v12
	v_mov_b32_e32 v147, 0x7c01
	s_mov_b32 s15, exec_lo
	s_delay_alu instid0(VALU_DEP_2)
	v_cmpx_ne_u32_e32 0x7f, v149
	s_cbranch_execz .LBB288_1765
; %bb.1762:                             ;   in Loop: Header=BB288_934 Depth=1
	v_and_b32_e32 v147, 7, v12
	v_lshrrev_b32_e32 v148, 3, v149
	s_mov_b32 s16, exec_lo
	v_cmpx_gt_u32_e32 8, v149
; %bb.1763:                             ;   in Loop: Header=BB288_934 Depth=1
	s_delay_alu instid0(VALU_DEP_3) | instskip(NEXT) | instid1(VALU_DEP_1)
	v_clz_i32_u32_e32 v147, v147
	v_min_u32_e32 v149, 32, v147
	s_delay_alu instid0(VALU_DEP_1) | instskip(NEXT) | instid1(VALU_DEP_1)
	v_subrev_nc_u32_e32 v147, 28, v149
	v_lshlrev_b64_e32 v[147:148], v147, v[0:1]
	v_sub_nc_u32_e32 v148, 29, v149
	s_delay_alu instid0(VALU_DEP_2)
	v_and_b32_e32 v147, 7, v147
; %bb.1764:                             ;   in Loop: Header=BB288_934 Depth=1
	s_wait_alu 0xfffe
	s_or_b32 exec_lo, exec_lo, s16
	v_lshlrev_b32_e32 v149, 8, v12
	v_lshl_add_u32 v148, v148, 10, 0x2000
	v_lshlrev_b32_e32 v147, 7, v147
	s_delay_alu instid0(VALU_DEP_3) | instskip(NEXT) | instid1(VALU_DEP_3)
	v_and_b32_e32 v149, 0x8000, v149
	v_and_b32_e32 v148, 0xfc00, v148
	s_delay_alu instid0(VALU_DEP_1)
	v_or3_b32 v147, v149, v148, v147
.LBB288_1765:                           ;   in Loop: Header=BB288_934 Depth=1
	s_wait_alu 0xfffe
	s_or_b32 exec_lo, exec_lo, s15
.LBB288_1766:                           ;   in Loop: Header=BB288_934 Depth=1
	s_wait_alu 0xfffe
	s_or_b32 exec_lo, exec_lo, s14
.LBB288_1767:                           ;   in Loop: Header=BB288_934 Depth=1
	s_wait_alu 0xfffe
	s_or_b32 exec_lo, exec_lo, s11
	v_lshrrev_b16 v0, 8, v0
	v_mov_b32_e32 v148, 0
	s_mov_b32 s11, exec_lo
	s_delay_alu instid0(VALU_DEP_2)
	v_cmpx_ne_u16_e32 0, v0
	s_cbranch_execz .LBB288_1775
; %bb.1768:                             ;   in Loop: Header=BB288_934 Depth=1
	v_bfrev_b32_e32 v148, 1
	s_mov_b32 s14, exec_lo
	v_cmpx_ne_u16_e32 0x80, v0
	s_cbranch_execz .LBB288_1774
; %bb.1769:                             ;   in Loop: Header=BB288_934 Depth=1
	v_and_b32_e32 v149, 0xffff, v0
	v_mov_b32_e32 v148, 0x7c010000
	s_mov_b32 s15, exec_lo
	s_delay_alu instid0(VALU_DEP_2) | instskip(NEXT) | instid1(VALU_DEP_1)
	v_and_b32_e32 v151, 0x7f, v149
	v_cmpx_ne_u32_e32 0x7f, v151
	s_cbranch_execz .LBB288_1773
; %bb.1770:                             ;   in Loop: Header=BB288_934 Depth=1
	v_and_b32_e32 v148, 7, v149
	v_lshrrev_b32_e32 v150, 3, v151
	s_mov_b32 s16, exec_lo
	v_cmpx_gt_u32_e32 8, v151
; %bb.1771:                             ;   in Loop: Header=BB288_934 Depth=1
	s_delay_alu instid0(VALU_DEP_3) | instskip(NEXT) | instid1(VALU_DEP_1)
	v_clz_i32_u32_e32 v148, v148
	v_min_u32_e32 v148, 32, v148
	s_delay_alu instid0(VALU_DEP_1) | instskip(NEXT) | instid1(VALU_DEP_1)
	v_subrev_nc_u32_e32 v150, 28, v148
	v_lshlrev_b64_e32 v[160:161], v150, v[0:1]
	v_sub_nc_u32_e32 v150, 29, v148
	s_delay_alu instid0(VALU_DEP_2)
	v_and_b32_e32 v148, 7, v160
; %bb.1772:                             ;   in Loop: Header=BB288_934 Depth=1
	s_wait_alu 0xfffe
	s_or_b32 exec_lo, exec_lo, s16
	v_lshlrev_b32_e32 v0, 8, v149
	v_lshl_add_u32 v149, v150, 10, 0x2000
	v_lshlrev_b32_e32 v148, 23, v148
	s_delay_alu instid0(VALU_DEP_2) | instskip(NEXT) | instid1(VALU_DEP_1)
	v_and_or_b32 v0, 0x8000, v0, v149
	v_lshl_or_b32 v148, v0, 16, v148
.LBB288_1773:                           ;   in Loop: Header=BB288_934 Depth=1
	s_wait_alu 0xfffe
	s_or_b32 exec_lo, exec_lo, s15
.LBB288_1774:                           ;   in Loop: Header=BB288_934 Depth=1
	s_wait_alu 0xfffe
	s_or_b32 exec_lo, exec_lo, s14
.LBB288_1775:                           ;   in Loop: Header=BB288_934 Depth=1
	s_wait_alu 0xfffe
	s_or_b32 exec_lo, exec_lo, s11
	v_lshrrev_b32_e32 v0, 16, v12
	s_mov_b32 s11, exec_lo
	s_delay_alu instid0(VALU_DEP_1) | instskip(NEXT) | instid1(VALU_DEP_1)
	v_and_b32_e32 v149, 0xff, v0
	v_cmpx_ne_u16_e64 0, v149
	s_cbranch_execz .LBB288_1783
; %bb.1776:                             ;   in Loop: Header=BB288_934 Depth=1
	v_mov_b32_e32 v146, 0x8000
	s_mov_b32 s14, exec_lo
	v_cmpx_ne_u16_e64 0x80, v149
	s_cbranch_execz .LBB288_1782
; %bb.1777:                             ;   in Loop: Header=BB288_934 Depth=1
	v_bfe_u32 v150, v12, 16, 7
	v_mov_b32_e32 v146, 0x7c01
	s_mov_b32 s15, exec_lo
	s_delay_alu instid0(VALU_DEP_2)
	v_cmpx_ne_u32_e32 0x7f, v150
	s_cbranch_execz .LBB288_1781
; %bb.1778:                             ;   in Loop: Header=BB288_934 Depth=1
	v_and_b32_e32 v146, 7, v0
	v_lshrrev_b32_e32 v149, 3, v150
	s_mov_b32 s16, exec_lo
	v_cmpx_gt_u32_e32 8, v150
; %bb.1779:                             ;   in Loop: Header=BB288_934 Depth=1
	s_delay_alu instid0(VALU_DEP_3) | instskip(NEXT) | instid1(VALU_DEP_1)
	v_clz_i32_u32_e32 v146, v146
	v_min_u32_e32 v146, 32, v146
	s_delay_alu instid0(VALU_DEP_1) | instskip(NEXT) | instid1(VALU_DEP_1)
	v_subrev_nc_u32_e32 v149, 28, v146
	v_lshlrev_b64_e32 v[150:151], v149, v[0:1]
	v_sub_nc_u32_e32 v149, 29, v146
	s_delay_alu instid0(VALU_DEP_2)
	v_and_b32_e32 v146, 7, v150
; %bb.1780:                             ;   in Loop: Header=BB288_934 Depth=1
	s_wait_alu 0xfffe
	s_or_b32 exec_lo, exec_lo, s16
	v_lshlrev_b32_e32 v0, 8, v0
	v_lshl_add_u32 v149, v149, 10, 0x2000
	v_lshlrev_b32_e32 v146, 7, v146
	s_delay_alu instid0(VALU_DEP_3) | instskip(NEXT) | instid1(VALU_DEP_3)
	v_and_b32_e32 v0, 0x8000, v0
	v_and_b32_e32 v149, 0xfc00, v149
	s_delay_alu instid0(VALU_DEP_1)
	v_or3_b32 v146, v0, v149, v146
.LBB288_1781:                           ;   in Loop: Header=BB288_934 Depth=1
	s_wait_alu 0xfffe
	s_or_b32 exec_lo, exec_lo, s15
.LBB288_1782:                           ;   in Loop: Header=BB288_934 Depth=1
	s_wait_alu 0xfffe
	s_or_b32 exec_lo, exec_lo, s14
.LBB288_1783:                           ;   in Loop: Header=BB288_934 Depth=1
	s_wait_alu 0xfffe
	s_or_b32 exec_lo, exec_lo, s11
	v_cmp_lt_u64_e64 s0, s[8:9], v[11:12]
	v_mov_b32_e32 v11, 0
	s_and_saveexec_b32 s11, s0
	s_cbranch_execz .LBB288_1791
; %bb.1784:                             ;   in Loop: Header=BB288_934 Depth=1
	v_lshrrev_b32_e32 v0, 24, v12
	v_bfrev_b32_e32 v11, 1
	s_mov_b32 s14, exec_lo
	s_delay_alu instid0(VALU_DEP_2)
	v_cmpx_ne_u32_e32 0x80, v0
	s_cbranch_execz .LBB288_1790
; %bb.1785:                             ;   in Loop: Header=BB288_934 Depth=1
	v_and_b32_e32 v149, 0x7f, v0
	v_mov_b32_e32 v11, 0x7c010000
	s_mov_b32 s15, exec_lo
	s_delay_alu instid0(VALU_DEP_2)
	v_cmpx_ne_u32_e32 0x7f, v149
	s_cbranch_execz .LBB288_1789
; %bb.1786:                             ;   in Loop: Header=BB288_934 Depth=1
	v_and_b32_e32 v11, 7, v0
	v_lshrrev_b32_e32 v12, 3, v149
	s_mov_b32 s16, exec_lo
	v_cmpx_gt_u32_e32 8, v149
; %bb.1787:                             ;   in Loop: Header=BB288_934 Depth=1
	s_delay_alu instid0(VALU_DEP_3) | instskip(NEXT) | instid1(VALU_DEP_1)
	v_clz_i32_u32_e32 v11, v11
	v_min_u32_e32 v149, 32, v11
	s_delay_alu instid0(VALU_DEP_1) | instskip(NEXT) | instid1(VALU_DEP_1)
	v_subrev_nc_u32_e32 v11, 28, v149
	v_lshlrev_b64_e32 v[11:12], v11, v[0:1]
	v_sub_nc_u32_e32 v12, 29, v149
	s_delay_alu instid0(VALU_DEP_2)
	v_and_b32_e32 v11, 7, v11
; %bb.1788:                             ;   in Loop: Header=BB288_934 Depth=1
	s_wait_alu 0xfffe
	s_or_b32 exec_lo, exec_lo, s16
	v_lshlrev_b32_e32 v0, 8, v0
	v_lshl_add_u32 v12, v12, 10, 0x2000
	v_lshlrev_b32_e32 v11, 23, v11
	s_delay_alu instid0(VALU_DEP_2) | instskip(NEXT) | instid1(VALU_DEP_1)
	v_and_or_b32 v0, 0x8000, v0, v12
	v_lshl_or_b32 v11, v0, 16, v11
.LBB288_1789:                           ;   in Loop: Header=BB288_934 Depth=1
	s_wait_alu 0xfffe
	s_or_b32 exec_lo, exec_lo, s15
.LBB288_1790:                           ;   in Loop: Header=BB288_934 Depth=1
	s_wait_alu 0xfffe
	s_or_b32 exec_lo, exec_lo, s14
.LBB288_1791:                           ;   in Loop: Header=BB288_934 Depth=1
	s_wait_alu 0xfffe
	s_or_b32 exec_lo, exec_lo, s11
	v_or_b32_e32 v0, v144, v145
	s_wait_loadcnt_dscnt 0x0
	v_fma_mixlo_f16 v12, v133, v144, 0 op_sel:[0,1,0] op_sel_hi:[0,1,0]
	v_or_b32_e32 v144, v134, v135
	v_fma_mixlo_f16 v134, v133, v134, 0 op_sel:[0,1,0] op_sel_hi:[0,1,0]
	v_or_b32_e32 v145, v148, v147
	v_or_b32_e32 v146, v11, v146
	v_fma_mixlo_f16 v147, v133, v0, 0 op_sel_hi:[0,1,0]
	v_fma_mixlo_f16 v11, v133, v11, 0 op_sel:[0,1,0] op_sel_hi:[0,1,0]
	v_lshlrev_b32_e32 v135, 16, v134
	v_fma_mixlo_f16 v134, v133, v144, 0 op_sel_hi:[0,1,0]
	v_fma_mixlo_f16 v144, v133, v148, 0 op_sel:[0,1,0] op_sel_hi:[0,1,0]
	v_fma_mixlo_f16 v145, v133, v145, 0 op_sel_hi:[0,1,0]
	v_fma_mixlo_f16 v146, v133, v146, 0 op_sel_hi:[0,1,0]
	v_lshlrev_b32_e32 v0, 16, v12
	v_and_b32_e32 v12, 0xffff, v147
	v_and_b32_e32 v149, 0xffff, v134
	v_lshlrev_b32_e32 v133, 16, v144
	v_and_b32_e32 v145, 0xffff, v145
	v_lshlrev_b32_e32 v11, 16, v11
	v_and_b32_e32 v134, 0xffff, v146
	v_or_b32_e32 v144, v0, v12
	v_or_b32_e32 v148, v135, v149
	;; [unrolled: 1-line block ×3, first 2 shown]
	s_delay_alu instid0(VALU_DEP_4)
	v_or_b32_e32 v146, v11, v134
	s_and_saveexec_b32 s11, vcc_lo
	s_cbranch_execz .LBB288_1793
; %bb.1792:                             ;   in Loop: Header=BB288_934 Depth=1
	v_cmp_lt_i32_e64 s0, v17, v34
	s_wait_alu 0xf1ff
	s_delay_alu instid0(VALU_DEP_1) | instskip(SKIP_2) | instid1(VALU_DEP_1)
	v_cndmask_b32_e64 v144, 0, v149, s0
	v_cmp_lt_i32_e64 s0, v86, v34
	s_wait_alu 0xf1ff
	v_cndmask_b32_e64 v135, 0, v135, s0
	v_cmp_lt_i32_e64 s0, v85, v34
	s_delay_alu instid0(VALU_DEP_2) | instskip(SKIP_1) | instid1(VALU_DEP_2)
	v_or_b32_e32 v148, v144, v135
	s_wait_alu 0xf1ff
	v_cndmask_b32_e64 v12, 0, v12, s0
	v_cmp_lt_i32_e64 s0, v84, v34
	s_wait_alu 0xf1ff
	s_delay_alu instid0(VALU_DEP_1) | instskip(SKIP_1) | instid1(VALU_DEP_2)
	v_cndmask_b32_e64 v0, 0, v0, s0
	v_cmp_lt_i32_e64 s0, v83, v34
	v_or_b32_e32 v144, v12, v0
	s_wait_alu 0xf1ff
	s_delay_alu instid0(VALU_DEP_2) | instskip(SKIP_2) | instid1(VALU_DEP_1)
	v_cndmask_b32_e64 v145, 0, v145, s0
	v_cmp_lt_i32_e64 s0, v82, v34
	s_wait_alu 0xf1ff
	v_cndmask_b32_e64 v133, 0, v133, s0
	v_cmp_lt_i32_e64 s0, v81, v34
	s_delay_alu instid0(VALU_DEP_2) | instskip(SKIP_1) | instid1(VALU_DEP_2)
	v_or_b32_e32 v147, v145, v133
	s_wait_alu 0xf1ff
	v_cndmask_b32_e64 v134, 0, v134, s0
	v_cmp_lt_i32_e64 s0, v80, v34
	s_wait_alu 0xf1ff
	s_delay_alu instid0(VALU_DEP_1) | instskip(NEXT) | instid1(VALU_DEP_1)
	v_cndmask_b32_e64 v11, 0, v11, s0
	v_or_b32_e32 v146, v134, v11
.LBB288_1793:                           ;   in Loop: Header=BB288_934 Depth=1
	s_wait_alu 0xfffe
	s_or_b32 exec_lo, exec_lo, s11
	;;#ASMSTART
	v_pk_mul_f16 v0, v71, v148;

	;;#ASMEND
	;;#ASMSTART
	v_pk_mul_f16 v11, v70, v144;

	;;#ASMEND
	;;#ASMSTART
	v_pk_mul_f16 v12, v69, v147;

	;;#ASMEND
	;;#ASMSTART
	v_pk_mul_f16 v133, v54, v146;

	;;#ASMEND
	;;#ASMSTART
	v_pk_add_f16 v0, v0, v11;

	;;#ASMEND
	;;#ASMSTART
	v_pk_add_f16 v0, v0, v12;

	;;#ASMEND
	;; [unrolled: 4-line block ×3, first 2 shown]
	v_dual_mov_b32 v134, 0 :: v_dual_and_b32 v11, 0xffff, v0
	v_lshrrev_b32_e32 v0, 16, v0
	;;#ASMSTART
	v_cvt_f32_f16 v11, v11;
	;;#ASMEND
	;;#ASMSTART
	v_cvt_f32_f16 v12, v0;
	;;#ASMEND
	flat_load_b64 v[9:10], v[9:10] offset:3328
	flat_load_b32 v133, v[26:27]
	s_mov_b32 s11, exec_lo
	s_wait_loadcnt_dscnt 0x101
	v_dual_mov_b32 v135, 0 :: v_dual_and_b32 v0, 0xff, v9
	s_delay_alu instid0(VALU_DEP_1)
	v_cmpx_ne_u16_e32 0, v0
	s_cbranch_execz .LBB288_1801
; %bb.1794:                             ;   in Loop: Header=BB288_934 Depth=1
	v_mov_b32_e32 v135, 0x8000
	s_mov_b32 s14, exec_lo
	v_cmpx_ne_u16_e32 0x80, v0
	s_cbranch_execz .LBB288_1800
; %bb.1795:                             ;   in Loop: Header=BB288_934 Depth=1
	v_and_b32_e32 v144, 0x7f, v9
	v_mov_b32_e32 v135, 0x7c01
	s_mov_b32 s15, exec_lo
	s_delay_alu instid0(VALU_DEP_2)
	v_cmpx_ne_u32_e32 0x7f, v144
	s_cbranch_execz .LBB288_1799
; %bb.1796:                             ;   in Loop: Header=BB288_934 Depth=1
	v_and_b32_e32 v0, 7, v9
	v_lshrrev_b32_e32 v135, 3, v144
	s_mov_b32 s16, exec_lo
	v_cmpx_gt_u32_e32 8, v144
; %bb.1797:                             ;   in Loop: Header=BB288_934 Depth=1
	s_delay_alu instid0(VALU_DEP_3) | instskip(NEXT) | instid1(VALU_DEP_1)
	v_clz_i32_u32_e32 v0, v0
	v_min_u32_e32 v0, 32, v0
	s_delay_alu instid0(VALU_DEP_1) | instskip(NEXT) | instid1(VALU_DEP_1)
	v_subrev_nc_u32_e32 v135, 28, v0
	v_lshlrev_b64_e32 v[144:145], v135, v[9:10]
	v_sub_nc_u32_e32 v135, 29, v0
	s_delay_alu instid0(VALU_DEP_2)
	v_and_b32_e32 v0, 7, v144
; %bb.1798:                             ;   in Loop: Header=BB288_934 Depth=1
	s_wait_alu 0xfffe
	s_or_b32 exec_lo, exec_lo, s16
	v_lshlrev_b32_e32 v144, 8, v9
	v_lshl_add_u32 v135, v135, 10, 0x2000
	v_lshlrev_b32_e32 v0, 7, v0
	s_delay_alu instid0(VALU_DEP_3) | instskip(NEXT) | instid1(VALU_DEP_3)
	v_and_b32_e32 v144, 0x8000, v144
	v_and_b32_e32 v135, 0xfc00, v135
	s_delay_alu instid0(VALU_DEP_1)
	v_or3_b32 v135, v144, v135, v0
.LBB288_1799:                           ;   in Loop: Header=BB288_934 Depth=1
	s_wait_alu 0xfffe
	s_or_b32 exec_lo, exec_lo, s15
.LBB288_1800:                           ;   in Loop: Header=BB288_934 Depth=1
	s_wait_alu 0xfffe
	s_or_b32 exec_lo, exec_lo, s14
.LBB288_1801:                           ;   in Loop: Header=BB288_934 Depth=1
	s_wait_alu 0xfffe
	s_or_b32 exec_lo, exec_lo, s11
	v_lshrrev_b16 v0, 8, v9
	s_mov_b32 s11, exec_lo
	s_delay_alu instid0(VALU_DEP_1)
	v_cmpx_ne_u16_e32 0, v0
	s_cbranch_execz .LBB288_1809
; %bb.1802:                             ;   in Loop: Header=BB288_934 Depth=1
	v_bfrev_b32_e32 v134, 1
	s_mov_b32 s14, exec_lo
	v_cmpx_ne_u16_e32 0x80, v0
	s_cbranch_execz .LBB288_1808
; %bb.1803:                             ;   in Loop: Header=BB288_934 Depth=1
	v_and_b32_e32 v144, 0xffff, v0
	v_mov_b32_e32 v134, 0x7c010000
	s_mov_b32 s15, exec_lo
	s_delay_alu instid0(VALU_DEP_2) | instskip(NEXT) | instid1(VALU_DEP_1)
	v_and_b32_e32 v146, 0x7f, v144
	v_cmpx_ne_u32_e32 0x7f, v146
	s_cbranch_execz .LBB288_1807
; %bb.1804:                             ;   in Loop: Header=BB288_934 Depth=1
	v_and_b32_e32 v134, 7, v144
	v_lshrrev_b32_e32 v145, 3, v146
	s_mov_b32 s16, exec_lo
	v_cmpx_gt_u32_e32 8, v146
; %bb.1805:                             ;   in Loop: Header=BB288_934 Depth=1
	s_delay_alu instid0(VALU_DEP_3) | instskip(NEXT) | instid1(VALU_DEP_1)
	v_clz_i32_u32_e32 v134, v134
	v_min_u32_e32 v134, 32, v134
	s_delay_alu instid0(VALU_DEP_1) | instskip(NEXT) | instid1(VALU_DEP_1)
	v_subrev_nc_u32_e32 v145, 28, v134
	v_lshlrev_b64_e32 v[146:147], v145, v[0:1]
	v_sub_nc_u32_e32 v145, 29, v134
	s_delay_alu instid0(VALU_DEP_2)
	v_and_b32_e32 v134, 7, v146
; %bb.1806:                             ;   in Loop: Header=BB288_934 Depth=1
	s_wait_alu 0xfffe
	s_or_b32 exec_lo, exec_lo, s16
	v_lshlrev_b32_e32 v0, 8, v144
	v_lshl_add_u32 v144, v145, 10, 0x2000
	v_lshlrev_b32_e32 v134, 23, v134
	s_delay_alu instid0(VALU_DEP_2) | instskip(NEXT) | instid1(VALU_DEP_1)
	v_and_or_b32 v0, 0x8000, v0, v144
	v_lshl_or_b32 v134, v0, 16, v134
.LBB288_1807:                           ;   in Loop: Header=BB288_934 Depth=1
	s_wait_alu 0xfffe
	s_or_b32 exec_lo, exec_lo, s15
.LBB288_1808:                           ;   in Loop: Header=BB288_934 Depth=1
	s_wait_alu 0xfffe
	s_or_b32 exec_lo, exec_lo, s14
.LBB288_1809:                           ;   in Loop: Header=BB288_934 Depth=1
	s_wait_alu 0xfffe
	s_or_b32 exec_lo, exec_lo, s11
	v_lshrrev_b32_e32 v0, 16, v9
	v_mov_b32_e32 v144, 0
	s_mov_b32 s11, exec_lo
	s_delay_alu instid0(VALU_DEP_2) | instskip(NEXT) | instid1(VALU_DEP_1)
	v_dual_mov_b32 v145, 0 :: v_dual_and_b32 v146, 0xff, v0
	v_cmpx_ne_u16_e64 0, v146
	s_cbranch_execz .LBB288_1817
; %bb.1810:                             ;   in Loop: Header=BB288_934 Depth=1
	v_mov_b32_e32 v145, 0x8000
	s_mov_b32 s14, exec_lo
	v_cmpx_ne_u16_e64 0x80, v146
	s_cbranch_execz .LBB288_1816
; %bb.1811:                             ;   in Loop: Header=BB288_934 Depth=1
	v_bfe_u32 v147, v9, 16, 7
	v_mov_b32_e32 v145, 0x7c01
	s_mov_b32 s15, exec_lo
	s_delay_alu instid0(VALU_DEP_2)
	v_cmpx_ne_u32_e32 0x7f, v147
	s_cbranch_execz .LBB288_1815
; %bb.1812:                             ;   in Loop: Header=BB288_934 Depth=1
	v_and_b32_e32 v145, 7, v0
	v_lshrrev_b32_e32 v146, 3, v147
	s_mov_b32 s16, exec_lo
	v_cmpx_gt_u32_e32 8, v147
; %bb.1813:                             ;   in Loop: Header=BB288_934 Depth=1
	s_delay_alu instid0(VALU_DEP_3) | instskip(NEXT) | instid1(VALU_DEP_1)
	v_clz_i32_u32_e32 v145, v145
	v_min_u32_e32 v147, 32, v145
	s_delay_alu instid0(VALU_DEP_1) | instskip(NEXT) | instid1(VALU_DEP_1)
	v_subrev_nc_u32_e32 v145, 28, v147
	v_lshlrev_b64_e32 v[145:146], v145, v[0:1]
	v_sub_nc_u32_e32 v146, 29, v147
	s_delay_alu instid0(VALU_DEP_2)
	v_and_b32_e32 v145, 7, v145
; %bb.1814:                             ;   in Loop: Header=BB288_934 Depth=1
	s_wait_alu 0xfffe
	s_or_b32 exec_lo, exec_lo, s16
	v_lshlrev_b32_e32 v0, 8, v0
	v_lshl_add_u32 v146, v146, 10, 0x2000
	v_lshlrev_b32_e32 v145, 7, v145
	s_delay_alu instid0(VALU_DEP_3) | instskip(NEXT) | instid1(VALU_DEP_3)
	v_and_b32_e32 v0, 0x8000, v0
	v_and_b32_e32 v146, 0xfc00, v146
	s_delay_alu instid0(VALU_DEP_1)
	v_or3_b32 v145, v0, v146, v145
.LBB288_1815:                           ;   in Loop: Header=BB288_934 Depth=1
	s_wait_alu 0xfffe
	s_or_b32 exec_lo, exec_lo, s15
.LBB288_1816:                           ;   in Loop: Header=BB288_934 Depth=1
	s_wait_alu 0xfffe
	s_or_b32 exec_lo, exec_lo, s14
.LBB288_1817:                           ;   in Loop: Header=BB288_934 Depth=1
	s_wait_alu 0xfffe
	s_or_b32 exec_lo, exec_lo, s11
	s_delay_alu instid0(SALU_CYCLE_1)
	s_mov_b32 s11, exec_lo
	v_cmpx_lt_u32_e32 0xffffff, v9
	s_cbranch_execz .LBB288_1825
; %bb.1818:                             ;   in Loop: Header=BB288_934 Depth=1
	v_lshrrev_b32_e32 v0, 24, v9
	v_bfrev_b32_e32 v144, 1
	s_mov_b32 s14, exec_lo
	s_delay_alu instid0(VALU_DEP_2)
	v_cmpx_ne_u32_e32 0x80, v0
	s_cbranch_execz .LBB288_1824
; %bb.1819:                             ;   in Loop: Header=BB288_934 Depth=1
	v_and_b32_e32 v147, 0x7f, v0
	v_mov_b32_e32 v144, 0x7c010000
	s_mov_b32 s15, exec_lo
	s_delay_alu instid0(VALU_DEP_2)
	v_cmpx_ne_u32_e32 0x7f, v147
	s_cbranch_execz .LBB288_1823
; %bb.1820:                             ;   in Loop: Header=BB288_934 Depth=1
	v_and_b32_e32 v144, 7, v0
	v_lshrrev_b32_e32 v146, 3, v147
	s_mov_b32 s16, exec_lo
	v_cmpx_gt_u32_e32 8, v147
; %bb.1821:                             ;   in Loop: Header=BB288_934 Depth=1
	s_delay_alu instid0(VALU_DEP_3) | instskip(NEXT) | instid1(VALU_DEP_1)
	v_clz_i32_u32_e32 v144, v144
	v_min_u32_e32 v144, 32, v144
	s_delay_alu instid0(VALU_DEP_1) | instskip(NEXT) | instid1(VALU_DEP_1)
	v_subrev_nc_u32_e32 v146, 28, v144
	v_lshlrev_b64_e32 v[147:148], v146, v[0:1]
	v_sub_nc_u32_e32 v146, 29, v144
	s_delay_alu instid0(VALU_DEP_2)
	v_and_b32_e32 v144, 7, v147
; %bb.1822:                             ;   in Loop: Header=BB288_934 Depth=1
	s_wait_alu 0xfffe
	s_or_b32 exec_lo, exec_lo, s16
	v_lshlrev_b32_e32 v0, 8, v0
	v_lshl_add_u32 v146, v146, 10, 0x2000
	v_lshlrev_b32_e32 v144, 23, v144
	s_delay_alu instid0(VALU_DEP_2) | instskip(NEXT) | instid1(VALU_DEP_1)
	v_and_or_b32 v0, 0x8000, v0, v146
	v_lshl_or_b32 v144, v0, 16, v144
.LBB288_1823:                           ;   in Loop: Header=BB288_934 Depth=1
	s_wait_alu 0xfffe
	s_or_b32 exec_lo, exec_lo, s15
.LBB288_1824:                           ;   in Loop: Header=BB288_934 Depth=1
	s_wait_alu 0xfffe
	s_or_b32 exec_lo, exec_lo, s14
.LBB288_1825:                           ;   in Loop: Header=BB288_934 Depth=1
	s_wait_alu 0xfffe
	s_or_b32 exec_lo, exec_lo, s11
	v_dual_mov_b32 v147, 0 :: v_dual_and_b32 v148, 0xff, v10
	v_mov_b32_e32 v0, v10
	v_mov_b32_e32 v146, 0
	s_mov_b32 s11, exec_lo
	s_delay_alu instid0(VALU_DEP_3)
	v_cmpx_ne_u16_e64 0, v148
	s_cbranch_execz .LBB288_1833
; %bb.1826:                             ;   in Loop: Header=BB288_934 Depth=1
	v_mov_b32_e32 v147, 0x8000
	s_mov_b32 s14, exec_lo
	v_cmpx_ne_u16_e64 0x80, v148
	s_cbranch_execz .LBB288_1832
; %bb.1827:                             ;   in Loop: Header=BB288_934 Depth=1
	v_and_b32_e32 v149, 0x7f, v10
	v_mov_b32_e32 v147, 0x7c01
	s_mov_b32 s15, exec_lo
	s_delay_alu instid0(VALU_DEP_2)
	v_cmpx_ne_u32_e32 0x7f, v149
	s_cbranch_execz .LBB288_1831
; %bb.1828:                             ;   in Loop: Header=BB288_934 Depth=1
	v_and_b32_e32 v147, 7, v10
	v_lshrrev_b32_e32 v148, 3, v149
	s_mov_b32 s16, exec_lo
	v_cmpx_gt_u32_e32 8, v149
; %bb.1829:                             ;   in Loop: Header=BB288_934 Depth=1
	s_delay_alu instid0(VALU_DEP_3) | instskip(NEXT) | instid1(VALU_DEP_1)
	v_clz_i32_u32_e32 v147, v147
	v_min_u32_e32 v149, 32, v147
	s_delay_alu instid0(VALU_DEP_1) | instskip(NEXT) | instid1(VALU_DEP_1)
	v_subrev_nc_u32_e32 v147, 28, v149
	v_lshlrev_b64_e32 v[147:148], v147, v[0:1]
	v_sub_nc_u32_e32 v148, 29, v149
	s_delay_alu instid0(VALU_DEP_2)
	v_and_b32_e32 v147, 7, v147
; %bb.1830:                             ;   in Loop: Header=BB288_934 Depth=1
	s_wait_alu 0xfffe
	s_or_b32 exec_lo, exec_lo, s16
	v_lshlrev_b32_e32 v149, 8, v10
	v_lshl_add_u32 v148, v148, 10, 0x2000
	v_lshlrev_b32_e32 v147, 7, v147
	s_delay_alu instid0(VALU_DEP_3) | instskip(NEXT) | instid1(VALU_DEP_3)
	v_and_b32_e32 v149, 0x8000, v149
	v_and_b32_e32 v148, 0xfc00, v148
	s_delay_alu instid0(VALU_DEP_1)
	v_or3_b32 v147, v149, v148, v147
.LBB288_1831:                           ;   in Loop: Header=BB288_934 Depth=1
	s_wait_alu 0xfffe
	s_or_b32 exec_lo, exec_lo, s15
.LBB288_1832:                           ;   in Loop: Header=BB288_934 Depth=1
	s_wait_alu 0xfffe
	s_or_b32 exec_lo, exec_lo, s14
.LBB288_1833:                           ;   in Loop: Header=BB288_934 Depth=1
	s_wait_alu 0xfffe
	s_or_b32 exec_lo, exec_lo, s11
	v_lshrrev_b16 v0, 8, v0
	v_mov_b32_e32 v148, 0
	s_mov_b32 s11, exec_lo
	s_delay_alu instid0(VALU_DEP_2)
	v_cmpx_ne_u16_e32 0, v0
	s_cbranch_execz .LBB288_1841
; %bb.1834:                             ;   in Loop: Header=BB288_934 Depth=1
	v_bfrev_b32_e32 v148, 1
	s_mov_b32 s14, exec_lo
	v_cmpx_ne_u16_e32 0x80, v0
	s_cbranch_execz .LBB288_1840
; %bb.1835:                             ;   in Loop: Header=BB288_934 Depth=1
	v_and_b32_e32 v149, 0xffff, v0
	v_mov_b32_e32 v148, 0x7c010000
	s_mov_b32 s15, exec_lo
	s_delay_alu instid0(VALU_DEP_2) | instskip(NEXT) | instid1(VALU_DEP_1)
	v_and_b32_e32 v151, 0x7f, v149
	v_cmpx_ne_u32_e32 0x7f, v151
	s_cbranch_execz .LBB288_1839
; %bb.1836:                             ;   in Loop: Header=BB288_934 Depth=1
	v_and_b32_e32 v148, 7, v149
	v_lshrrev_b32_e32 v150, 3, v151
	s_mov_b32 s16, exec_lo
	v_cmpx_gt_u32_e32 8, v151
; %bb.1837:                             ;   in Loop: Header=BB288_934 Depth=1
	s_delay_alu instid0(VALU_DEP_3) | instskip(NEXT) | instid1(VALU_DEP_1)
	v_clz_i32_u32_e32 v148, v148
	v_min_u32_e32 v148, 32, v148
	s_delay_alu instid0(VALU_DEP_1) | instskip(NEXT) | instid1(VALU_DEP_1)
	v_subrev_nc_u32_e32 v150, 28, v148
	v_lshlrev_b64_e32 v[160:161], v150, v[0:1]
	v_sub_nc_u32_e32 v150, 29, v148
	s_delay_alu instid0(VALU_DEP_2)
	v_and_b32_e32 v148, 7, v160
; %bb.1838:                             ;   in Loop: Header=BB288_934 Depth=1
	s_wait_alu 0xfffe
	s_or_b32 exec_lo, exec_lo, s16
	v_lshlrev_b32_e32 v0, 8, v149
	v_lshl_add_u32 v149, v150, 10, 0x2000
	v_lshlrev_b32_e32 v148, 23, v148
	s_delay_alu instid0(VALU_DEP_2) | instskip(NEXT) | instid1(VALU_DEP_1)
	v_and_or_b32 v0, 0x8000, v0, v149
	v_lshl_or_b32 v148, v0, 16, v148
.LBB288_1839:                           ;   in Loop: Header=BB288_934 Depth=1
	s_wait_alu 0xfffe
	s_or_b32 exec_lo, exec_lo, s15
.LBB288_1840:                           ;   in Loop: Header=BB288_934 Depth=1
	s_wait_alu 0xfffe
	s_or_b32 exec_lo, exec_lo, s14
.LBB288_1841:                           ;   in Loop: Header=BB288_934 Depth=1
	s_wait_alu 0xfffe
	s_or_b32 exec_lo, exec_lo, s11
	v_lshrrev_b32_e32 v0, 16, v10
	s_mov_b32 s11, exec_lo
	s_delay_alu instid0(VALU_DEP_1) | instskip(NEXT) | instid1(VALU_DEP_1)
	v_and_b32_e32 v149, 0xff, v0
	v_cmpx_ne_u16_e64 0, v149
	s_cbranch_execz .LBB288_1849
; %bb.1842:                             ;   in Loop: Header=BB288_934 Depth=1
	v_mov_b32_e32 v146, 0x8000
	s_mov_b32 s14, exec_lo
	v_cmpx_ne_u16_e64 0x80, v149
	s_cbranch_execz .LBB288_1848
; %bb.1843:                             ;   in Loop: Header=BB288_934 Depth=1
	v_bfe_u32 v150, v10, 16, 7
	v_mov_b32_e32 v146, 0x7c01
	s_mov_b32 s15, exec_lo
	s_delay_alu instid0(VALU_DEP_2)
	v_cmpx_ne_u32_e32 0x7f, v150
	s_cbranch_execz .LBB288_1847
; %bb.1844:                             ;   in Loop: Header=BB288_934 Depth=1
	v_and_b32_e32 v146, 7, v0
	v_lshrrev_b32_e32 v149, 3, v150
	s_mov_b32 s16, exec_lo
	v_cmpx_gt_u32_e32 8, v150
; %bb.1845:                             ;   in Loop: Header=BB288_934 Depth=1
	s_delay_alu instid0(VALU_DEP_3) | instskip(NEXT) | instid1(VALU_DEP_1)
	v_clz_i32_u32_e32 v146, v146
	v_min_u32_e32 v146, 32, v146
	s_delay_alu instid0(VALU_DEP_1) | instskip(NEXT) | instid1(VALU_DEP_1)
	v_subrev_nc_u32_e32 v149, 28, v146
	v_lshlrev_b64_e32 v[150:151], v149, v[0:1]
	v_sub_nc_u32_e32 v149, 29, v146
	s_delay_alu instid0(VALU_DEP_2)
	v_and_b32_e32 v146, 7, v150
; %bb.1846:                             ;   in Loop: Header=BB288_934 Depth=1
	s_wait_alu 0xfffe
	s_or_b32 exec_lo, exec_lo, s16
	v_lshlrev_b32_e32 v0, 8, v0
	v_lshl_add_u32 v149, v149, 10, 0x2000
	v_lshlrev_b32_e32 v146, 7, v146
	s_delay_alu instid0(VALU_DEP_3) | instskip(NEXT) | instid1(VALU_DEP_3)
	v_and_b32_e32 v0, 0x8000, v0
	v_and_b32_e32 v149, 0xfc00, v149
	s_delay_alu instid0(VALU_DEP_1)
	v_or3_b32 v146, v0, v149, v146
.LBB288_1847:                           ;   in Loop: Header=BB288_934 Depth=1
	s_wait_alu 0xfffe
	s_or_b32 exec_lo, exec_lo, s15
.LBB288_1848:                           ;   in Loop: Header=BB288_934 Depth=1
	s_wait_alu 0xfffe
	s_or_b32 exec_lo, exec_lo, s14
.LBB288_1849:                           ;   in Loop: Header=BB288_934 Depth=1
	s_wait_alu 0xfffe
	s_or_b32 exec_lo, exec_lo, s11
	v_cmp_lt_u64_e64 s0, s[8:9], v[9:10]
	v_mov_b32_e32 v9, 0
	s_and_saveexec_b32 s11, s0
	s_cbranch_execz .LBB288_1857
; %bb.1850:                             ;   in Loop: Header=BB288_934 Depth=1
	v_lshrrev_b32_e32 v0, 24, v10
	v_bfrev_b32_e32 v9, 1
	s_mov_b32 s14, exec_lo
	s_delay_alu instid0(VALU_DEP_2)
	v_cmpx_ne_u32_e32 0x80, v0
	s_cbranch_execz .LBB288_1856
; %bb.1851:                             ;   in Loop: Header=BB288_934 Depth=1
	v_and_b32_e32 v149, 0x7f, v0
	v_mov_b32_e32 v9, 0x7c010000
	s_mov_b32 s15, exec_lo
	s_delay_alu instid0(VALU_DEP_2)
	v_cmpx_ne_u32_e32 0x7f, v149
	s_cbranch_execz .LBB288_1855
; %bb.1852:                             ;   in Loop: Header=BB288_934 Depth=1
	v_and_b32_e32 v9, 7, v0
	v_lshrrev_b32_e32 v10, 3, v149
	s_mov_b32 s16, exec_lo
	v_cmpx_gt_u32_e32 8, v149
; %bb.1853:                             ;   in Loop: Header=BB288_934 Depth=1
	s_delay_alu instid0(VALU_DEP_3) | instskip(NEXT) | instid1(VALU_DEP_1)
	v_clz_i32_u32_e32 v9, v9
	v_min_u32_e32 v149, 32, v9
	s_delay_alu instid0(VALU_DEP_1) | instskip(NEXT) | instid1(VALU_DEP_1)
	v_subrev_nc_u32_e32 v9, 28, v149
	v_lshlrev_b64_e32 v[9:10], v9, v[0:1]
	v_sub_nc_u32_e32 v10, 29, v149
	s_delay_alu instid0(VALU_DEP_2)
	v_and_b32_e32 v9, 7, v9
; %bb.1854:                             ;   in Loop: Header=BB288_934 Depth=1
	s_wait_alu 0xfffe
	s_or_b32 exec_lo, exec_lo, s16
	v_lshlrev_b32_e32 v0, 8, v0
	v_lshl_add_u32 v10, v10, 10, 0x2000
	v_lshlrev_b32_e32 v9, 23, v9
	s_delay_alu instid0(VALU_DEP_2) | instskip(NEXT) | instid1(VALU_DEP_1)
	v_and_or_b32 v0, 0x8000, v0, v10
	v_lshl_or_b32 v9, v0, 16, v9
.LBB288_1855:                           ;   in Loop: Header=BB288_934 Depth=1
	s_wait_alu 0xfffe
	s_or_b32 exec_lo, exec_lo, s15
.LBB288_1856:                           ;   in Loop: Header=BB288_934 Depth=1
	s_wait_alu 0xfffe
	s_or_b32 exec_lo, exec_lo, s14
.LBB288_1857:                           ;   in Loop: Header=BB288_934 Depth=1
	s_wait_alu 0xfffe
	s_or_b32 exec_lo, exec_lo, s11
	v_or_b32_e32 v0, v144, v145
	s_wait_loadcnt_dscnt 0x0
	v_fma_mixlo_f16 v10, v133, v144, 0 op_sel:[0,1,0] op_sel_hi:[0,1,0]
	v_or_b32_e32 v135, v134, v135
	v_fma_mixlo_f16 v144, v133, v134, 0 op_sel:[0,1,0] op_sel_hi:[0,1,0]
	v_or_b32_e32 v145, v148, v147
	v_fma_mixlo_f16 v0, v133, v0, 0 op_sel_hi:[0,1,0]
	v_or_b32_e32 v146, v9, v146
	v_lshlrev_b32_e32 v134, 16, v10
	v_lshlrev_b32_e32 v147, 16, v144
	v_fma_mixlo_f16 v10, v133, v135, 0 op_sel_hi:[0,1,0]
	v_and_b32_e32 v144, 0xffff, v0
	v_fma_mixlo_f16 v0, v133, v148, 0 op_sel:[0,1,0] op_sel_hi:[0,1,0]
	v_fma_mixlo_f16 v135, v133, v145, 0 op_sel_hi:[0,1,0]
	v_fma_mixlo_f16 v9, v133, v9, 0 op_sel:[0,1,0] op_sel_hi:[0,1,0]
	v_fma_mixlo_f16 v133, v133, v146, 0 op_sel_hi:[0,1,0]
	v_and_b32_e32 v149, 0xffff, v10
	v_lshlrev_b32_e32 v145, 16, v0
	v_and_b32_e32 v148, 0xffff, v135
	v_lshlrev_b32_e32 v135, 16, v9
	v_and_b32_e32 v146, 0xffff, v133
	v_or_b32_e32 v10, v134, v144
	v_or_b32_e32 v133, v147, v149
	;; [unrolled: 1-line block ×3, first 2 shown]
	s_delay_alu instid0(VALU_DEP_4)
	v_or_b32_e32 v0, v135, v146
	s_and_saveexec_b32 s0, vcc_lo
	s_cbranch_execz .LBB288_932
; %bb.1858:                             ;   in Loop: Header=BB288_934 Depth=1
	v_cmp_lt_i32_e32 vcc_lo, v17, v34
	s_wait_alu 0xfffd
	v_cndmask_b32_e32 v0, 0, v149, vcc_lo
	v_cmp_lt_i32_e32 vcc_lo, v86, v34
	s_wait_alu 0xfffd
	v_cndmask_b32_e32 v9, 0, v147, vcc_lo
	v_cmp_lt_i32_e32 vcc_lo, v85, v34
	s_delay_alu instid0(VALU_DEP_2)
	v_or_b32_e32 v133, v0, v9
	s_wait_alu 0xfffd
	v_cndmask_b32_e32 v10, 0, v144, vcc_lo
	v_cmp_lt_i32_e32 vcc_lo, v84, v34
	s_wait_alu 0xfffd
	v_cndmask_b32_e32 v17, 0, v134, vcc_lo
	v_cmp_lt_i32_e32 vcc_lo, v83, v34
	s_delay_alu instid0(VALU_DEP_2)
	v_or_b32_e32 v10, v10, v17
	;; [unrolled: 8-line block ×3, first 2 shown]
	s_wait_alu 0xfffd
	v_cndmask_b32_e32 v81, 0, v146, vcc_lo
	v_cmp_lt_i32_e32 vcc_lo, v80, v34
	s_wait_alu 0xfffd
	v_cndmask_b32_e32 v80, 0, v135, vcc_lo
	s_delay_alu instid0(VALU_DEP_1)
	v_or_b32_e32 v0, v81, v80
	s_branch .LBB288_932
.LBB288_1859:
	s_or_b32 exec_lo, exec_lo, s5
.LBB288_1860:
	s_wait_alu 0xfffe
	s_or_b32 exec_lo, exec_lo, s3
	ds_bpermute_b32 v0, v18, v68
	ds_bpermute_b32 v1, v18, v67
	;; [unrolled: 1-line block ×14, first 2 shown]
	s_wait_storecnt 0x0
	s_wait_loadcnt_dscnt 0x0
	s_barrier_signal -1
	s_barrier_wait -1
	global_inv scope:SCOPE_SE
	s_load_b32 s0, s[6:7], 0x0
	s_mov_b32 s3, exec_lo
	v_dual_add_f32 v0, v68, v0 :: v_dual_add_f32 v1, v67, v1
	v_dual_add_f32 v8, v32, v8 :: v_dual_add_f32 v17, v31, v9
	;; [unrolled: 1-line block ×3, first 2 shown]
	ds_bpermute_b32 v9, v13, v0
	v_dual_add_f32 v6, v64, v6 :: v_dual_add_f32 v7, v55, v7
	ds_bpermute_b32 v18, v13, v1
	ds_bpermute_b32 v22, v13, v2
	v_add_f32_e32 v26, v29, v10
	ds_bpermute_b32 v29, v13, v8
	ds_bpermute_b32 v30, v13, v17
	v_dual_add_f32 v28, v28, v11 :: v_dual_add_f32 v25, v25, v12
	v_dual_add_f32 v24, v24, v14 :: v_dual_add_f32 v21, v21, v15
	v_add_f32_e32 v16, v20, v16
	ds_bpermute_b32 v23, v13, v3
	ds_bpermute_b32 v10, v13, v6
	;; [unrolled: 1-line block ×8, first 2 shown]
	s_wait_dscnt 0xc
	v_add_f32_e32 v15, v0, v9
	ds_bpermute_b32 v31, v13, v26
	s_wait_dscnt 0xc
	v_add_f32_e32 v14, v1, v18
	s_wait_dscnt 0xb
	v_add_f32_e32 v13, v2, v22
	v_mul_u32_u24_e32 v18, 0x1c0, v35
	s_wait_dscnt 0x9
	v_dual_add_f32 v9, v8, v29 :: v_dual_add_f32 v8, v17, v30
	s_wait_dscnt 0x8
	v_dual_add_f32 v12, v3, v23 :: v_dual_and_b32 v17, 28, v36
	s_wait_dscnt 0x6
	v_dual_add_f32 v11, v6, v10 :: v_dual_add_f32 v10, v7, v27
	s_wait_dscnt 0x4
	v_add_f32_e32 v3, v25, v32
	s_wait_dscnt 0x2
	v_dual_add_f32 v1, v24, v34 :: v_dual_add_f32 v0, v21, v37
	s_wait_dscnt 0x1
	v_add_f32_e32 v2, v16, v38
	s_wait_kmcnt 0x0
	v_dual_add_f32 v6, v28, v20 :: v_dual_add_nc_u32 v17, s0, v17
	s_wait_dscnt 0x0
	v_dual_add_f32 v7, v26, v31 :: v_dual_and_b32 v20, 0x3c3, v33
	v_lshrrev_b32_e32 v16, 2, v36
	s_delay_alu instid0(VALU_DEP_2)
	v_cmpx_eq_u32_e32 64, v20
	s_cbranch_execz .LBB288_1862
; %bb.1861:
	v_add_nc_u32_e32 v20, v17, v18
	s_delay_alu instid0(VALU_DEP_1)
	v_add_nc_u32_e32 v21, 0xfffffc80, v20
	v_add_nc_u32_e32 v22, 0xfffffca0, v20
	;; [unrolled: 1-line block ×8, first 2 shown]
	ds_store_b32 v21, v15
	ds_store_b32 v22, v14
	;; [unrolled: 1-line block ×8, first 2 shown]
	v_add_nc_u32_e32 v21, 0xfffffd80, v20
	v_add_nc_u32_e32 v22, 0xfffffda0, v20
	;; [unrolled: 1-line block ×6, first 2 shown]
	ds_store_b32 v21, v7
	ds_store_b32 v22, v6
	ds_store_b32 v23, v3
	ds_store_b32 v24, v1
	ds_store_b32 v25, v0
	ds_store_b32 v20, v2
.LBB288_1862:
	s_wait_alu 0xfffe
	s_or_b32 exec_lo, exec_lo, s3
	v_lshlrev_b32_e32 v16, 2, v16
	s_mov_b32 s3, exec_lo
	v_cmp_eq_u32_e32 vcc_lo, 0, v19
	s_wait_loadcnt_dscnt 0x0
	s_barrier_signal -1
	v_add3_u32 v16, s0, v18, v16
	s_barrier_wait -1
	global_inv scope:SCOPE_SE
	v_cmpx_gt_u32_e32 64, v33
	s_cbranch_execz .LBB288_1879
; %bb.1863:
	s_and_saveexec_b32 s0, vcc_lo
	s_cbranch_execnz .LBB288_1901
; %bb.1864:
	s_wait_alu 0xfffe
	s_or_b32 exec_lo, exec_lo, s0
	s_and_saveexec_b32 s0, vcc_lo
	s_cbranch_execnz .LBB288_1902
.LBB288_1865:
	s_wait_alu 0xfffe
	s_or_b32 exec_lo, exec_lo, s0
	s_and_saveexec_b32 s0, vcc_lo
	s_cbranch_execnz .LBB288_1903
.LBB288_1866:
	s_wait_alu 0xfffe
	s_or_b32 exec_lo, exec_lo, s0
	s_and_saveexec_b32 s0, vcc_lo
	s_cbranch_execnz .LBB288_1904
.LBB288_1867:
	s_wait_alu 0xfffe
	s_or_b32 exec_lo, exec_lo, s0
	s_and_saveexec_b32 s0, vcc_lo
	s_cbranch_execnz .LBB288_1905
.LBB288_1868:
	s_wait_alu 0xfffe
	s_or_b32 exec_lo, exec_lo, s0
	s_and_saveexec_b32 s0, vcc_lo
	s_cbranch_execnz .LBB288_1906
.LBB288_1869:
	s_wait_alu 0xfffe
	s_or_b32 exec_lo, exec_lo, s0
	s_and_saveexec_b32 s0, vcc_lo
	s_cbranch_execnz .LBB288_1907
.LBB288_1870:
	s_wait_alu 0xfffe
	s_or_b32 exec_lo, exec_lo, s0
	s_and_saveexec_b32 s0, vcc_lo
	s_cbranch_execnz .LBB288_1908
.LBB288_1871:
	s_wait_alu 0xfffe
	s_or_b32 exec_lo, exec_lo, s0
	s_and_saveexec_b32 s0, vcc_lo
	s_cbranch_execnz .LBB288_1909
.LBB288_1872:
	s_wait_alu 0xfffe
	s_or_b32 exec_lo, exec_lo, s0
	s_and_saveexec_b32 s0, vcc_lo
	s_cbranch_execnz .LBB288_1910
.LBB288_1873:
	s_wait_alu 0xfffe
	s_or_b32 exec_lo, exec_lo, s0
	s_and_saveexec_b32 s0, vcc_lo
	s_cbranch_execnz .LBB288_1911
.LBB288_1874:
	s_wait_alu 0xfffe
	s_or_b32 exec_lo, exec_lo, s0
	s_and_saveexec_b32 s0, vcc_lo
	s_cbranch_execnz .LBB288_1912
.LBB288_1875:
	s_wait_alu 0xfffe
	s_or_b32 exec_lo, exec_lo, s0
	s_and_saveexec_b32 s0, vcc_lo
	s_cbranch_execnz .LBB288_1913
.LBB288_1876:
	s_wait_alu 0xfffe
	s_or_b32 exec_lo, exec_lo, s0
	s_and_saveexec_b32 s0, vcc_lo
	s_cbranch_execz .LBB288_1878
.LBB288_1877:
	ds_load_b32 v18, v16 offset:416
	s_wait_dscnt 0x0
	v_add_f32_e32 v2, v18, v2
.LBB288_1878:
	s_wait_alu 0xfffe
	s_or_b32 exec_lo, exec_lo, s0
.LBB288_1879:
	s_wait_alu 0xfffe
	s_or_b32 exec_lo, exec_lo, s3
	v_and_b32_e32 v18, 0x3e3, v33
	s_mov_b32 s3, exec_lo
	s_wait_loadcnt 0x0
	s_barrier_signal -1
	s_barrier_wait -1
	global_inv scope:SCOPE_SE
	v_cmpx_eq_u32_e32 32, v18
	s_cbranch_execz .LBB288_1881
; %bb.1880:
	ds_store_2addr_b32 v17, v15, v14 offset1:8
	ds_store_2addr_b32 v17, v13, v12 offset0:16 offset1:24
	ds_store_2addr_b32 v17, v11, v10 offset0:32 offset1:40
	ds_store_2addr_b32 v17, v9, v8 offset0:48 offset1:56
	ds_store_2addr_b32 v17, v7, v6 offset0:64 offset1:72
	ds_store_2addr_b32 v17, v3, v1 offset0:80 offset1:88
	ds_store_2addr_b32 v17, v0, v2 offset0:96 offset1:104
.LBB288_1881:
	s_wait_alu 0xfffe
	s_or_b32 exec_lo, exec_lo, s3
	s_delay_alu instid0(SALU_CYCLE_1)
	s_mov_b32 s3, exec_lo
	s_wait_loadcnt_dscnt 0x0
	s_barrier_signal -1
	s_barrier_wait -1
	global_inv scope:SCOPE_SE
	v_cmpx_gt_u32_e32 32, v33
	s_cbranch_execz .LBB288_1898
; %bb.1882:
	s_and_saveexec_b32 s0, vcc_lo
	s_cbranch_execnz .LBB288_1914
; %bb.1883:
	s_wait_alu 0xfffe
	s_or_b32 exec_lo, exec_lo, s0
	s_and_saveexec_b32 s0, vcc_lo
	s_cbranch_execnz .LBB288_1915
.LBB288_1884:
	s_wait_alu 0xfffe
	s_or_b32 exec_lo, exec_lo, s0
	s_and_saveexec_b32 s0, vcc_lo
	s_cbranch_execnz .LBB288_1916
.LBB288_1885:
	s_wait_alu 0xfffe
	s_or_b32 exec_lo, exec_lo, s0
	s_and_saveexec_b32 s0, vcc_lo
	s_cbranch_execnz .LBB288_1917
.LBB288_1886:
	s_wait_alu 0xfffe
	s_or_b32 exec_lo, exec_lo, s0
	s_and_saveexec_b32 s0, vcc_lo
	s_cbranch_execnz .LBB288_1918
.LBB288_1887:
	s_wait_alu 0xfffe
	s_or_b32 exec_lo, exec_lo, s0
	s_and_saveexec_b32 s0, vcc_lo
	s_cbranch_execnz .LBB288_1919
.LBB288_1888:
	s_wait_alu 0xfffe
	s_or_b32 exec_lo, exec_lo, s0
	s_and_saveexec_b32 s0, vcc_lo
	s_cbranch_execnz .LBB288_1920
.LBB288_1889:
	s_wait_alu 0xfffe
	s_or_b32 exec_lo, exec_lo, s0
	s_and_saveexec_b32 s0, vcc_lo
	s_cbranch_execnz .LBB288_1921
.LBB288_1890:
	s_wait_alu 0xfffe
	s_or_b32 exec_lo, exec_lo, s0
	s_and_saveexec_b32 s0, vcc_lo
	s_cbranch_execnz .LBB288_1922
.LBB288_1891:
	s_wait_alu 0xfffe
	s_or_b32 exec_lo, exec_lo, s0
	s_and_saveexec_b32 s0, vcc_lo
	s_cbranch_execnz .LBB288_1923
.LBB288_1892:
	s_wait_alu 0xfffe
	s_or_b32 exec_lo, exec_lo, s0
	s_and_saveexec_b32 s0, vcc_lo
	s_cbranch_execnz .LBB288_1924
.LBB288_1893:
	s_wait_alu 0xfffe
	s_or_b32 exec_lo, exec_lo, s0
	s_and_saveexec_b32 s0, vcc_lo
	s_cbranch_execnz .LBB288_1925
.LBB288_1894:
	s_wait_alu 0xfffe
	s_or_b32 exec_lo, exec_lo, s0
	s_and_saveexec_b32 s0, vcc_lo
	s_cbranch_execnz .LBB288_1926
.LBB288_1895:
	s_wait_alu 0xfffe
	s_or_b32 exec_lo, exec_lo, s0
	s_and_saveexec_b32 s0, vcc_lo
	s_cbranch_execz .LBB288_1897
.LBB288_1896:
	ds_load_b32 v16, v16 offset:416
	s_wait_dscnt 0x0
	v_add_f32_e32 v2, v16, v2
.LBB288_1897:
	s_wait_alu 0xfffe
	s_or_b32 exec_lo, exec_lo, s0
.LBB288_1898:
	s_wait_alu 0xfffe
	s_or_b32 exec_lo, exec_lo, s3
	v_cmp_eq_u32_e32 vcc_lo, 0, v18
	s_wait_loadcnt 0x0
	s_barrier_signal -1
	s_barrier_wait -1
	global_inv scope:SCOPE_SE
	s_and_b32 exec_lo, exec_lo, vcc_lo
	s_cbranch_execz .LBB288_1900
; %bb.1899:
	s_mul_i32 s0, s2, 0x70
	s_mul_i32 s2, s4, s1
	s_wait_alu 0xfffe
	s_ashr_i32 s1, s0, 31
	s_ashr_i32 s3, s2, 31
	s_wait_alu 0xfffe
	s_lshl_b64 s[0:1], s[0:1], 1
	s_mulk_i32 s13, 0xe0
	s_wait_alu 0xfffe
	v_add_co_u32 v4, vcc_lo, v4, s0
	s_wait_alu 0xfffd
	v_add_co_ci_u32_e64 v5, null, s1, v5, vcc_lo
	s_lshl_b64 s[0:1], s[2:3], 1
	v_lshrrev_b32_e32 v16, 1, v33
	s_wait_alu 0xfffe
	v_add_co_u32 v4, vcc_lo, v4, s0
	s_wait_alu 0xfffd
	v_add_co_ci_u32_e64 v5, null, s1, v5, vcc_lo
	;;#ASMSTART
	v_cvt_f16_f32 v15, v15;

	;;#ASMEND
	s_delay_alu instid0(VALU_DEP_2) | instskip(SKIP_1) | instid1(VALU_DEP_2)
	v_add_co_u32 v4, vcc_lo, v4, s13
	s_wait_alu 0xfffd
	v_add_co_ci_u32_e64 v5, null, 0, v5, vcc_lo
	s_delay_alu instid0(VALU_DEP_2) | instskip(SKIP_1) | instid1(VALU_DEP_2)
	v_add_co_u32 v4, vcc_lo, v4, v16
	s_wait_alu 0xfffd
	v_add_co_ci_u32_e64 v5, null, 0, v5, vcc_lo
	flat_store_b16 v[4:5], v15
	;;#ASMSTART
	v_cvt_f16_f32 v14, v14;

	;;#ASMEND
	flat_store_b16 v[4:5], v14 offset:16
	;;#ASMSTART
	v_cvt_f16_f32 v13, v13;

	;;#ASMEND
	flat_store_b16 v[4:5], v13 offset:32
	;; [unrolled: 5-line block ×13, first 2 shown]
.LBB288_1900:
	s_wait_alu 0xfffe
	s_or_b32 exec_lo, exec_lo, s12
	s_clause 0x1f
	scratch_load_b32 v170, off, s32 offset:8
	scratch_load_b32 v169, off, s32 offset:12
	scratch_load_b32 v168, off, s32 offset:16
	scratch_load_b32 v159, off, s32 offset:20
	scratch_load_b32 v158, off, s32 offset:24
	scratch_load_b32 v157, off, s32 offset:28
	scratch_load_b32 v156, off, s32 offset:32
	scratch_load_b32 v155, off, s32 offset:36
	scratch_load_b32 v154, off, s32 offset:40
	scratch_load_b32 v153, off, s32 offset:44
	scratch_load_b32 v152, off, s32 offset:48
	scratch_load_b32 v143, off, s32 offset:52
	scratch_load_b32 v142, off, s32 offset:56
	scratch_load_b32 v141, off, s32 offset:60
	scratch_load_b32 v140, off, s32 offset:64
	scratch_load_b32 v139, off, s32 offset:68
	scratch_load_b32 v138, off, s32 offset:72
	scratch_load_b32 v137, off, s32 offset:76
	scratch_load_b32 v136, off, s32 offset:80
	scratch_load_b32 v127, off, s32 offset:84
	scratch_load_b32 v126, off, s32 offset:88
	scratch_load_b32 v125, off, s32 offset:92
	scratch_load_b32 v124, off, s32 offset:96
	scratch_load_b32 v123, off, s32 offset:100
	scratch_load_b32 v122, off, s32 offset:104
	scratch_load_b32 v121, off, s32 offset:108
	scratch_load_b32 v120, off, s32 offset:112
	scratch_load_b32 v111, off, s32 offset:116
	scratch_load_b32 v110, off, s32 offset:120
	scratch_load_b32 v109, off, s32 offset:124
	scratch_load_b32 v108, off, s32 offset:128
	scratch_load_b32 v107, off, s32 offset:132
	s_clause 0x1f
	scratch_load_b32 v106, off, s32 offset:136
	scratch_load_b32 v105, off, s32 offset:140
	;; [unrolled: 1-line block ×32, first 2 shown]
	s_clause 0x2
	scratch_load_b32 v42, off, s32 offset:264
	scratch_load_b32 v41, off, s32 offset:268
	scratch_load_b32 v40, off, s32 offset:272
	s_wait_loadcnt_dscnt 0x0
	s_setpc_b64 s[30:31]
.LBB288_1901:
	ds_load_b32 v18, v16
	s_wait_dscnt 0x0
	v_add_f32_e32 v15, v18, v15
	s_wait_alu 0xfffe
	s_or_b32 exec_lo, exec_lo, s0
	s_and_saveexec_b32 s0, vcc_lo
	s_cbranch_execz .LBB288_1865
.LBB288_1902:
	ds_load_b32 v18, v16 offset:32
	s_wait_dscnt 0x0
	v_add_f32_e32 v14, v18, v14
	s_wait_alu 0xfffe
	s_or_b32 exec_lo, exec_lo, s0
	s_and_saveexec_b32 s0, vcc_lo
	s_cbranch_execz .LBB288_1866
.LBB288_1903:
	ds_load_b32 v18, v16 offset:64
	s_wait_dscnt 0x0
	v_add_f32_e32 v13, v18, v13
	s_wait_alu 0xfffe
	s_or_b32 exec_lo, exec_lo, s0
	s_and_saveexec_b32 s0, vcc_lo
	s_cbranch_execz .LBB288_1867
.LBB288_1904:
	ds_load_b32 v18, v16 offset:96
	s_wait_dscnt 0x0
	v_add_f32_e32 v12, v18, v12
	s_wait_alu 0xfffe
	s_or_b32 exec_lo, exec_lo, s0
	s_and_saveexec_b32 s0, vcc_lo
	s_cbranch_execz .LBB288_1868
.LBB288_1905:
	ds_load_b32 v18, v16 offset:128
	s_wait_dscnt 0x0
	v_add_f32_e32 v11, v18, v11
	s_wait_alu 0xfffe
	s_or_b32 exec_lo, exec_lo, s0
	s_and_saveexec_b32 s0, vcc_lo
	s_cbranch_execz .LBB288_1869
.LBB288_1906:
	ds_load_b32 v18, v16 offset:160
	s_wait_dscnt 0x0
	v_add_f32_e32 v10, v18, v10
	s_wait_alu 0xfffe
	s_or_b32 exec_lo, exec_lo, s0
	s_and_saveexec_b32 s0, vcc_lo
	s_cbranch_execz .LBB288_1870
.LBB288_1907:
	ds_load_b32 v18, v16 offset:192
	s_wait_dscnt 0x0
	v_add_f32_e32 v9, v18, v9
	s_wait_alu 0xfffe
	s_or_b32 exec_lo, exec_lo, s0
	s_and_saveexec_b32 s0, vcc_lo
	s_cbranch_execz .LBB288_1871
.LBB288_1908:
	ds_load_b32 v18, v16 offset:224
	s_wait_dscnt 0x0
	v_add_f32_e32 v8, v18, v8
	s_wait_alu 0xfffe
	s_or_b32 exec_lo, exec_lo, s0
	s_and_saveexec_b32 s0, vcc_lo
	s_cbranch_execz .LBB288_1872
.LBB288_1909:
	ds_load_b32 v18, v16 offset:256
	s_wait_dscnt 0x0
	v_add_f32_e32 v7, v18, v7
	s_wait_alu 0xfffe
	s_or_b32 exec_lo, exec_lo, s0
	s_and_saveexec_b32 s0, vcc_lo
	s_cbranch_execz .LBB288_1873
.LBB288_1910:
	ds_load_b32 v18, v16 offset:288
	s_wait_dscnt 0x0
	v_add_f32_e32 v6, v18, v6
	s_wait_alu 0xfffe
	s_or_b32 exec_lo, exec_lo, s0
	s_and_saveexec_b32 s0, vcc_lo
	s_cbranch_execz .LBB288_1874
.LBB288_1911:
	ds_load_b32 v18, v16 offset:320
	s_wait_dscnt 0x0
	v_add_f32_e32 v3, v18, v3
	s_wait_alu 0xfffe
	s_or_b32 exec_lo, exec_lo, s0
	s_and_saveexec_b32 s0, vcc_lo
	s_cbranch_execz .LBB288_1875
.LBB288_1912:
	ds_load_b32 v18, v16 offset:352
	s_wait_dscnt 0x0
	v_add_f32_e32 v1, v18, v1
	s_wait_alu 0xfffe
	s_or_b32 exec_lo, exec_lo, s0
	s_and_saveexec_b32 s0, vcc_lo
	s_cbranch_execz .LBB288_1876
.LBB288_1913:
	ds_load_b32 v18, v16 offset:384
	s_wait_dscnt 0x0
	v_add_f32_e32 v0, v18, v0
	s_wait_alu 0xfffe
	s_or_b32 exec_lo, exec_lo, s0
	s_and_saveexec_b32 s0, vcc_lo
	s_cbranch_execnz .LBB288_1877
	s_branch .LBB288_1878
.LBB288_1914:
	ds_load_b32 v17, v16
	s_wait_dscnt 0x0
	v_add_f32_e32 v15, v17, v15
	s_wait_alu 0xfffe
	s_or_b32 exec_lo, exec_lo, s0
	s_and_saveexec_b32 s0, vcc_lo
	s_cbranch_execz .LBB288_1884
.LBB288_1915:
	ds_load_b32 v17, v16 offset:32
	s_wait_dscnt 0x0
	v_add_f32_e32 v14, v17, v14
	s_wait_alu 0xfffe
	s_or_b32 exec_lo, exec_lo, s0
	s_and_saveexec_b32 s0, vcc_lo
	s_cbranch_execz .LBB288_1885
.LBB288_1916:
	ds_load_b32 v17, v16 offset:64
	s_wait_dscnt 0x0
	v_add_f32_e32 v13, v17, v13
	s_wait_alu 0xfffe
	s_or_b32 exec_lo, exec_lo, s0
	s_and_saveexec_b32 s0, vcc_lo
	s_cbranch_execz .LBB288_1886
.LBB288_1917:
	ds_load_b32 v17, v16 offset:96
	s_wait_dscnt 0x0
	v_add_f32_e32 v12, v17, v12
	s_wait_alu 0xfffe
	s_or_b32 exec_lo, exec_lo, s0
	s_and_saveexec_b32 s0, vcc_lo
	s_cbranch_execz .LBB288_1887
.LBB288_1918:
	ds_load_b32 v17, v16 offset:128
	s_wait_dscnt 0x0
	v_add_f32_e32 v11, v17, v11
	s_wait_alu 0xfffe
	s_or_b32 exec_lo, exec_lo, s0
	s_and_saveexec_b32 s0, vcc_lo
	s_cbranch_execz .LBB288_1888
.LBB288_1919:
	ds_load_b32 v17, v16 offset:160
	s_wait_dscnt 0x0
	v_add_f32_e32 v10, v17, v10
	s_wait_alu 0xfffe
	s_or_b32 exec_lo, exec_lo, s0
	s_and_saveexec_b32 s0, vcc_lo
	s_cbranch_execz .LBB288_1889
.LBB288_1920:
	ds_load_b32 v17, v16 offset:192
	s_wait_dscnt 0x0
	v_add_f32_e32 v9, v17, v9
	s_wait_alu 0xfffe
	s_or_b32 exec_lo, exec_lo, s0
	s_and_saveexec_b32 s0, vcc_lo
	s_cbranch_execz .LBB288_1890
.LBB288_1921:
	ds_load_b32 v17, v16 offset:224
	s_wait_dscnt 0x0
	v_add_f32_e32 v8, v17, v8
	s_wait_alu 0xfffe
	s_or_b32 exec_lo, exec_lo, s0
	s_and_saveexec_b32 s0, vcc_lo
	s_cbranch_execz .LBB288_1891
.LBB288_1922:
	ds_load_b32 v17, v16 offset:256
	s_wait_dscnt 0x0
	v_add_f32_e32 v7, v17, v7
	s_wait_alu 0xfffe
	s_or_b32 exec_lo, exec_lo, s0
	s_and_saveexec_b32 s0, vcc_lo
	s_cbranch_execz .LBB288_1892
.LBB288_1923:
	ds_load_b32 v17, v16 offset:288
	s_wait_dscnt 0x0
	v_add_f32_e32 v6, v17, v6
	s_wait_alu 0xfffe
	s_or_b32 exec_lo, exec_lo, s0
	s_and_saveexec_b32 s0, vcc_lo
	s_cbranch_execz .LBB288_1893
.LBB288_1924:
	ds_load_b32 v17, v16 offset:320
	s_wait_dscnt 0x0
	v_add_f32_e32 v3, v17, v3
	s_wait_alu 0xfffe
	s_or_b32 exec_lo, exec_lo, s0
	s_and_saveexec_b32 s0, vcc_lo
	s_cbranch_execz .LBB288_1894
.LBB288_1925:
	ds_load_b32 v17, v16 offset:352
	s_wait_dscnt 0x0
	v_add_f32_e32 v1, v17, v1
	s_wait_alu 0xfffe
	s_or_b32 exec_lo, exec_lo, s0
	s_and_saveexec_b32 s0, vcc_lo
	s_cbranch_execz .LBB288_1895
.LBB288_1926:
	ds_load_b32 v17, v16 offset:384
	s_wait_dscnt 0x0
	v_add_f32_e32 v0, v17, v0
	s_wait_alu 0xfffe
	s_or_b32 exec_lo, exec_lo, s0
	s_and_saveexec_b32 s0, vcc_lo
	s_cbranch_execnz .LBB288_1896
	s_branch .LBB288_1897
.Lfunc_end288:
	.size	_ZN4vllm22paged_attention_kernelIthLi112ELi32ELi128ELNS_18Fp8KVCacheDataTypeE1ELb1ELi512EEEvPfS2_PT_PKS3_PKT0_S9_ifPKiSB_iPKfiiiSD_SD_iiiii, .Lfunc_end288-_ZN4vllm22paged_attention_kernelIthLi112ELi32ELi128ELNS_18Fp8KVCacheDataTypeE1ELb1ELi512EEEvPfS2_PT_PKS3_PKT0_S9_ifPKiSB_iPKfiiiSD_SD_iiiii
                                        ; -- End function
	.set .L_ZN4vllm22paged_attention_kernelIthLi112ELi32ELi128ELNS_18Fp8KVCacheDataTypeE1ELb1ELi512EEEvPfS2_PT_PKS3_PKT0_S9_ifPKiSB_iPKfiiiSD_SD_iiiii.num_vgpr, 184
	.set .L_ZN4vllm22paged_attention_kernelIthLi112ELi32ELi128ELNS_18Fp8KVCacheDataTypeE1ELb1ELi512EEEvPfS2_PT_PKS3_PKT0_S9_ifPKiSB_iPKfiiiSD_SD_iiiii.num_agpr, 0
	.set .L_ZN4vllm22paged_attention_kernelIthLi112ELi32ELi128ELNS_18Fp8KVCacheDataTypeE1ELb1ELi512EEEvPfS2_PT_PKS3_PKT0_S9_ifPKiSB_iPKfiiiSD_SD_iiiii.numbered_sgpr, 33
	.set .L_ZN4vllm22paged_attention_kernelIthLi112ELi32ELi128ELNS_18Fp8KVCacheDataTypeE1ELb1ELi512EEEvPfS2_PT_PKS3_PKT0_S9_ifPKiSB_iPKfiiiSD_SD_iiiii.num_named_barrier, 0
	.set .L_ZN4vllm22paged_attention_kernelIthLi112ELi32ELi128ELNS_18Fp8KVCacheDataTypeE1ELb1ELi512EEEvPfS2_PT_PKS3_PKT0_S9_ifPKiSB_iPKfiiiSD_SD_iiiii.private_seg_size, 280
	.set .L_ZN4vllm22paged_attention_kernelIthLi112ELi32ELi128ELNS_18Fp8KVCacheDataTypeE1ELb1ELi512EEEvPfS2_PT_PKS3_PKT0_S9_ifPKiSB_iPKfiiiSD_SD_iiiii.uses_vcc, 1
	.set .L_ZN4vllm22paged_attention_kernelIthLi112ELi32ELi128ELNS_18Fp8KVCacheDataTypeE1ELb1ELi512EEEvPfS2_PT_PKS3_PKT0_S9_ifPKiSB_iPKfiiiSD_SD_iiiii.uses_flat_scratch, 1
	.set .L_ZN4vllm22paged_attention_kernelIthLi112ELi32ELi128ELNS_18Fp8KVCacheDataTypeE1ELb1ELi512EEEvPfS2_PT_PKS3_PKT0_S9_ifPKiSB_iPKfiiiSD_SD_iiiii.has_dyn_sized_stack, 0
	.set .L_ZN4vllm22paged_attention_kernelIthLi112ELi32ELi128ELNS_18Fp8KVCacheDataTypeE1ELb1ELi512EEEvPfS2_PT_PKS3_PKT0_S9_ifPKiSB_iPKfiiiSD_SD_iiiii.has_recursion, 0
	.set .L_ZN4vllm22paged_attention_kernelIthLi112ELi32ELi128ELNS_18Fp8KVCacheDataTypeE1ELb1ELi512EEEvPfS2_PT_PKS3_PKT0_S9_ifPKiSB_iPKfiiiSD_SD_iiiii.has_indirect_call, 0
	.section	.AMDGPU.csdata,"",@progbits
; Function info:
; codeLenInByte = 75376
; TotalNumSgprs: 35
; NumVgprs: 184
; ScratchSize: 280
; MemoryBound: 0
	.section	.text._ZN4vllm25paged_attention_v2_kernelIthLi112ELi32ELi128ELNS_18Fp8KVCacheDataTypeE1ELb1ELi512EEEvPfS2_PT_PKS3_PKT0_S9_ifPKiSB_iPKfiiiSD_SD_iiiii,"axG",@progbits,_ZN4vllm25paged_attention_v2_kernelIthLi112ELi32ELi128ELNS_18Fp8KVCacheDataTypeE1ELb1ELi512EEEvPfS2_PT_PKS3_PKT0_S9_ifPKiSB_iPKfiiiSD_SD_iiiii,comdat
	.protected	_ZN4vllm25paged_attention_v2_kernelIthLi112ELi32ELi128ELNS_18Fp8KVCacheDataTypeE1ELb1ELi512EEEvPfS2_PT_PKS3_PKT0_S9_ifPKiSB_iPKfiiiSD_SD_iiiii ; -- Begin function _ZN4vllm25paged_attention_v2_kernelIthLi112ELi32ELi128ELNS_18Fp8KVCacheDataTypeE1ELb1ELi512EEEvPfS2_PT_PKS3_PKT0_S9_ifPKiSB_iPKfiiiSD_SD_iiiii
	.globl	_ZN4vllm25paged_attention_v2_kernelIthLi112ELi32ELi128ELNS_18Fp8KVCacheDataTypeE1ELb1ELi512EEEvPfS2_PT_PKS3_PKT0_S9_ifPKiSB_iPKfiiiSD_SD_iiiii
	.p2align	8
	.type	_ZN4vllm25paged_attention_v2_kernelIthLi112ELi32ELi128ELNS_18Fp8KVCacheDataTypeE1ELb1ELi512EEEvPfS2_PT_PKS3_PKT0_S9_ifPKiSB_iPKfiiiSD_SD_iiiii,@function
_ZN4vllm25paged_attention_v2_kernelIthLi112ELi32ELi128ELNS_18Fp8KVCacheDataTypeE1ELb1ELi512EEEvPfS2_PT_PKS3_PKT0_S9_ifPKiSB_iPKfiiiSD_SD_iiiii: ; @_ZN4vllm25paged_attention_v2_kernelIthLi112ELi32ELi128ELNS_18Fp8KVCacheDataTypeE1ELb1ELi512EEEvPfS2_PT_PKS3_PKT0_S9_ifPKiSB_iPKfiiiSD_SD_iiiii
; %bb.0:
	s_clause 0x3
	s_load_b256 s[12:19], s[0:1], 0x68
	s_load_b32 s4, s[0:1], 0x88
	s_load_b256 s[20:27], s[0:1], 0x0
	s_load_b256 s[36:43], s[0:1], 0x20
	s_mov_b32 s32, 0
	v_mov_b32_e32 v31, v0
	s_getpc_b64 s[2:3]
	s_sext_i32_i16 s3, s3
	s_add_co_u32 s2, s2, _ZN4vllm22paged_attention_kernelIthLi112ELi32ELi128ELNS_18Fp8KVCacheDataTypeE1ELb1ELi512EEEvPfS2_PT_PKS3_PKT0_S9_ifPKiSB_iPKfiiiSD_SD_iiiii@rel32@lo+8
	s_add_co_ci_u32 s3, s3, _ZN4vllm22paged_attention_kernelIthLi112ELi32ELi128ELNS_18Fp8KVCacheDataTypeE1ELb1ELi512EEEvPfS2_PT_PKS3_PKT0_S9_ifPKiSB_iPKfiiiSD_SD_iiiii@rel32@hi+16
	s_add_nc_u64 s[8:9], s[0:1], 0x90
	s_wait_kmcnt 0x0
	v_dual_mov_b32 v1, s19 :: v_dual_mov_b32 v2, s4
	s_clause 0x2
	s_load_b96 s[4:6], s[0:1], 0x40
	s_load_b64 s[10:11], s[0:1], 0x50
	s_load_b96 s[28:30], s[0:1], 0x58
	v_dual_mov_b32 v0, s20 :: v_dual_mov_b32 v3, s23
	v_mov_b32_e32 v4, s24
	scratch_store_b64 off, v[1:2], s32
	v_dual_mov_b32 v1, s21 :: v_dual_mov_b32 v2, s22
	v_dual_mov_b32 v5, s25 :: v_dual_mov_b32 v6, s26
	;; [unrolled: 1-line block ×6, first 2 shown]
	s_wait_kmcnt 0x0
	v_dual_mov_b32 v15, s43 :: v_dual_mov_b32 v16, s4
	v_dual_mov_b32 v17, s5 :: v_dual_mov_b32 v18, s6
	;; [unrolled: 1-line block ×8, first 2 shown]
	s_mov_b32 s15, 1
	s_wait_alu 0xfffe
	s_swappc_b64 s[30:31], s[2:3]
	s_endpgm
	.section	.rodata,"a",@progbits
	.p2align	6, 0x0
	.amdhsa_kernel _ZN4vllm25paged_attention_v2_kernelIthLi112ELi32ELi128ELNS_18Fp8KVCacheDataTypeE1ELb1ELi512EEEvPfS2_PT_PKS3_PKT0_S9_ifPKiSB_iPKfiiiSD_SD_iiiii
		.amdhsa_group_segment_fixed_size 256
		.amdhsa_private_segment_fixed_size 280
		.amdhsa_kernarg_size 400
		.amdhsa_user_sgpr_count 2
		.amdhsa_user_sgpr_dispatch_ptr 0
		.amdhsa_user_sgpr_queue_ptr 0
		.amdhsa_user_sgpr_kernarg_segment_ptr 1
		.amdhsa_user_sgpr_dispatch_id 0
		.amdhsa_user_sgpr_private_segment_size 0
		.amdhsa_wavefront_size32 1
		.amdhsa_uses_dynamic_stack 0
		.amdhsa_enable_private_segment 1
		.amdhsa_system_sgpr_workgroup_id_x 1
		.amdhsa_system_sgpr_workgroup_id_y 1
		.amdhsa_system_sgpr_workgroup_id_z 1
		.amdhsa_system_sgpr_workgroup_info 0
		.amdhsa_system_vgpr_workitem_id 0
		.amdhsa_next_free_vgpr 184
		.amdhsa_next_free_sgpr 44
		.amdhsa_reserve_vcc 1
		.amdhsa_float_round_mode_32 0
		.amdhsa_float_round_mode_16_64 0
		.amdhsa_float_denorm_mode_32 3
		.amdhsa_float_denorm_mode_16_64 3
		.amdhsa_fp16_overflow 0
		.amdhsa_workgroup_processor_mode 1
		.amdhsa_memory_ordered 1
		.amdhsa_forward_progress 1
		.amdhsa_inst_pref_size 3
		.amdhsa_round_robin_scheduling 0
		.amdhsa_exception_fp_ieee_invalid_op 0
		.amdhsa_exception_fp_denorm_src 0
		.amdhsa_exception_fp_ieee_div_zero 0
		.amdhsa_exception_fp_ieee_overflow 0
		.amdhsa_exception_fp_ieee_underflow 0
		.amdhsa_exception_fp_ieee_inexact 0
		.amdhsa_exception_int_div_zero 0
	.end_amdhsa_kernel
	.section	.text._ZN4vllm25paged_attention_v2_kernelIthLi112ELi32ELi128ELNS_18Fp8KVCacheDataTypeE1ELb1ELi512EEEvPfS2_PT_PKS3_PKT0_S9_ifPKiSB_iPKfiiiSD_SD_iiiii,"axG",@progbits,_ZN4vllm25paged_attention_v2_kernelIthLi112ELi32ELi128ELNS_18Fp8KVCacheDataTypeE1ELb1ELi512EEEvPfS2_PT_PKS3_PKT0_S9_ifPKiSB_iPKfiiiSD_SD_iiiii,comdat
.Lfunc_end289:
	.size	_ZN4vllm25paged_attention_v2_kernelIthLi112ELi32ELi128ELNS_18Fp8KVCacheDataTypeE1ELb1ELi512EEEvPfS2_PT_PKS3_PKT0_S9_ifPKiSB_iPKfiiiSD_SD_iiiii, .Lfunc_end289-_ZN4vllm25paged_attention_v2_kernelIthLi112ELi32ELi128ELNS_18Fp8KVCacheDataTypeE1ELb1ELi512EEEvPfS2_PT_PKS3_PKT0_S9_ifPKiSB_iPKfiiiSD_SD_iiiii
                                        ; -- End function
	.set _ZN4vllm25paged_attention_v2_kernelIthLi112ELi32ELi128ELNS_18Fp8KVCacheDataTypeE1ELb1ELi512EEEvPfS2_PT_PKS3_PKT0_S9_ifPKiSB_iPKfiiiSD_SD_iiiii.num_vgpr, max(32, .L_ZN4vllm22paged_attention_kernelIthLi112ELi32ELi128ELNS_18Fp8KVCacheDataTypeE1ELb1ELi512EEEvPfS2_PT_PKS3_PKT0_S9_ifPKiSB_iPKfiiiSD_SD_iiiii.num_vgpr)
	.set _ZN4vllm25paged_attention_v2_kernelIthLi112ELi32ELi128ELNS_18Fp8KVCacheDataTypeE1ELb1ELi512EEEvPfS2_PT_PKS3_PKT0_S9_ifPKiSB_iPKfiiiSD_SD_iiiii.num_agpr, max(0, .L_ZN4vllm22paged_attention_kernelIthLi112ELi32ELi128ELNS_18Fp8KVCacheDataTypeE1ELb1ELi512EEEvPfS2_PT_PKS3_PKT0_S9_ifPKiSB_iPKfiiiSD_SD_iiiii.num_agpr)
	.set _ZN4vllm25paged_attention_v2_kernelIthLi112ELi32ELi128ELNS_18Fp8KVCacheDataTypeE1ELb1ELi512EEEvPfS2_PT_PKS3_PKT0_S9_ifPKiSB_iPKfiiiSD_SD_iiiii.numbered_sgpr, max(44, .L_ZN4vllm22paged_attention_kernelIthLi112ELi32ELi128ELNS_18Fp8KVCacheDataTypeE1ELb1ELi512EEEvPfS2_PT_PKS3_PKT0_S9_ifPKiSB_iPKfiiiSD_SD_iiiii.numbered_sgpr)
	.set _ZN4vllm25paged_attention_v2_kernelIthLi112ELi32ELi128ELNS_18Fp8KVCacheDataTypeE1ELb1ELi512EEEvPfS2_PT_PKS3_PKT0_S9_ifPKiSB_iPKfiiiSD_SD_iiiii.num_named_barrier, max(0, .L_ZN4vllm22paged_attention_kernelIthLi112ELi32ELi128ELNS_18Fp8KVCacheDataTypeE1ELb1ELi512EEEvPfS2_PT_PKS3_PKT0_S9_ifPKiSB_iPKfiiiSD_SD_iiiii.num_named_barrier)
	.set _ZN4vllm25paged_attention_v2_kernelIthLi112ELi32ELi128ELNS_18Fp8KVCacheDataTypeE1ELb1ELi512EEEvPfS2_PT_PKS3_PKT0_S9_ifPKiSB_iPKfiiiSD_SD_iiiii.private_seg_size, 0+max(.L_ZN4vllm22paged_attention_kernelIthLi112ELi32ELi128ELNS_18Fp8KVCacheDataTypeE1ELb1ELi512EEEvPfS2_PT_PKS3_PKT0_S9_ifPKiSB_iPKfiiiSD_SD_iiiii.private_seg_size)
	.set _ZN4vllm25paged_attention_v2_kernelIthLi112ELi32ELi128ELNS_18Fp8KVCacheDataTypeE1ELb1ELi512EEEvPfS2_PT_PKS3_PKT0_S9_ifPKiSB_iPKfiiiSD_SD_iiiii.uses_vcc, or(1, .L_ZN4vllm22paged_attention_kernelIthLi112ELi32ELi128ELNS_18Fp8KVCacheDataTypeE1ELb1ELi512EEEvPfS2_PT_PKS3_PKT0_S9_ifPKiSB_iPKfiiiSD_SD_iiiii.uses_vcc)
	.set _ZN4vllm25paged_attention_v2_kernelIthLi112ELi32ELi128ELNS_18Fp8KVCacheDataTypeE1ELb1ELi512EEEvPfS2_PT_PKS3_PKT0_S9_ifPKiSB_iPKfiiiSD_SD_iiiii.uses_flat_scratch, or(0, .L_ZN4vllm22paged_attention_kernelIthLi112ELi32ELi128ELNS_18Fp8KVCacheDataTypeE1ELb1ELi512EEEvPfS2_PT_PKS3_PKT0_S9_ifPKiSB_iPKfiiiSD_SD_iiiii.uses_flat_scratch)
	.set _ZN4vllm25paged_attention_v2_kernelIthLi112ELi32ELi128ELNS_18Fp8KVCacheDataTypeE1ELb1ELi512EEEvPfS2_PT_PKS3_PKT0_S9_ifPKiSB_iPKfiiiSD_SD_iiiii.has_dyn_sized_stack, or(0, .L_ZN4vllm22paged_attention_kernelIthLi112ELi32ELi128ELNS_18Fp8KVCacheDataTypeE1ELb1ELi512EEEvPfS2_PT_PKS3_PKT0_S9_ifPKiSB_iPKfiiiSD_SD_iiiii.has_dyn_sized_stack)
	.set _ZN4vllm25paged_attention_v2_kernelIthLi112ELi32ELi128ELNS_18Fp8KVCacheDataTypeE1ELb1ELi512EEEvPfS2_PT_PKS3_PKT0_S9_ifPKiSB_iPKfiiiSD_SD_iiiii.has_recursion, or(0, .L_ZN4vllm22paged_attention_kernelIthLi112ELi32ELi128ELNS_18Fp8KVCacheDataTypeE1ELb1ELi512EEEvPfS2_PT_PKS3_PKT0_S9_ifPKiSB_iPKfiiiSD_SD_iiiii.has_recursion)
	.set _ZN4vllm25paged_attention_v2_kernelIthLi112ELi32ELi128ELNS_18Fp8KVCacheDataTypeE1ELb1ELi512EEEvPfS2_PT_PKS3_PKT0_S9_ifPKiSB_iPKfiiiSD_SD_iiiii.has_indirect_call, or(0, .L_ZN4vllm22paged_attention_kernelIthLi112ELi32ELi128ELNS_18Fp8KVCacheDataTypeE1ELb1ELi512EEEvPfS2_PT_PKS3_PKT0_S9_ifPKiSB_iPKfiiiSD_SD_iiiii.has_indirect_call)
	.section	.AMDGPU.csdata,"",@progbits
; Kernel info:
; codeLenInByte = 272
; TotalNumSgprs: 46
; NumVgprs: 184
; ScratchSize: 280
; MemoryBound: 0
; FloatMode: 240
; IeeeMode: 1
; LDSByteSize: 256 bytes/workgroup (compile time only)
; SGPRBlocks: 0
; VGPRBlocks: 22
; NumSGPRsForWavesPerEU: 46
; NumVGPRsForWavesPerEU: 184
; Occupancy: 8
; WaveLimiterHint : 1
; COMPUTE_PGM_RSRC2:SCRATCH_EN: 1
; COMPUTE_PGM_RSRC2:USER_SGPR: 2
; COMPUTE_PGM_RSRC2:TRAP_HANDLER: 0
; COMPUTE_PGM_RSRC2:TGID_X_EN: 1
; COMPUTE_PGM_RSRC2:TGID_Y_EN: 1
; COMPUTE_PGM_RSRC2:TGID_Z_EN: 1
; COMPUTE_PGM_RSRC2:TIDIG_COMP_CNT: 0
	.text
	.p2align	2                               ; -- Begin function _ZN4vllm22paged_attention_kernelIthLi120ELi32ELi128ELNS_18Fp8KVCacheDataTypeE1ELb1ELi512EEEvPfS2_PT_PKS3_PKT0_S9_ifPKiSB_iPKfiiiSD_SD_iiiii
	.type	_ZN4vllm22paged_attention_kernelIthLi120ELi32ELi128ELNS_18Fp8KVCacheDataTypeE1ELb1ELi512EEEvPfS2_PT_PKS3_PKT0_S9_ifPKiSB_iPKfiiiSD_SD_iiiii,@function
_ZN4vllm22paged_attention_kernelIthLi120ELi32ELi128ELNS_18Fp8KVCacheDataTypeE1ELb1ELi512EEEvPfS2_PT_PKS3_PKT0_S9_ifPKiSB_iPKfiiiSD_SD_iiiii: ; @_ZN4vllm22paged_attention_kernelIthLi120ELi32ELi128ELNS_18Fp8KVCacheDataTypeE1ELb1ELi512EEEvPfS2_PT_PKS3_PKT0_S9_ifPKiSB_iPKfiiiSD_SD_iiiii
; %bb.0:
	s_wait_loadcnt_dscnt 0x0
	s_wait_expcnt 0x0
	s_wait_samplecnt 0x0
	s_wait_bvhcnt 0x0
	s_wait_kmcnt 0x0
	s_clause 0x1f
	scratch_store_b32 off, v40, s32 offset:304
	; meta instruction
	scratch_store_b32 off, v41, s32 offset:300
	; meta instruction
	;; [unrolled: 2-line block ×31, first 2 shown]
	scratch_store_b32 off, v95, s32 offset:180
	s_clause 0x1f
	scratch_store_b32 off, v104, s32 offset:176
	; meta instruction
	scratch_store_b32 off, v105, s32 offset:172
	; meta instruction
	;; [unrolled: 2-line block ×31, first 2 shown]
	scratch_store_b32 off, v159, s32 offset:52
	s_clause 0xa
	scratch_store_b32 off, v168, s32 offset:48
	; meta instruction
	scratch_store_b32 off, v169, s32 offset:44
	; meta instruction
	;; [unrolled: 2-line block ×10, first 2 shown]
	scratch_store_b32 off, v186, s32 offset:8
	s_and_b32 s14, ttmp7, 0xffff
	s_lshr_b32 s13, ttmp7, 16
	s_wait_alu 0xfffe
	s_lshl_b32 s0, s14, 2
	s_lshl_b32 s3, s13, 9
	s_wait_alu 0xfffe
	v_add_co_u32 v16, vcc_lo, v16, s0
	s_wait_alu 0xfffd
	v_add_co_ci_u32_e64 v17, null, 0, v17, vcc_lo
	s_mov_b32 s12, exec_lo
	flat_load_b32 v34, v[16:17]
	s_clause 0x1
	scratch_load_b32 v32, off, s32 offset:4
	scratch_load_b32 v35, off, s32
	s_wait_loadcnt_dscnt 0x200
	v_cmpx_lt_i32_e64 s3, v34
	s_cbranch_execz .LBB290_2032
; %bb.1:
	v_mov_b32_e32 v55, 0
	v_sub_nc_u32_e32 v16, 0, v12
	s_clause 0x1
	s_load_u16 s0, s[8:9], 0x12
	s_load_b32 s1, s[8:9], 0x0
	s_mov_b32 s6, s15
	global_load_u16 v33, v55, s[8:9] offset:22
	v_max_i32_e32 v16, v12, v16
	s_delay_alu instid0(VALU_DEP_1) | instskip(SKIP_1) | instid1(VALU_DEP_2)
	v_cvt_f32_u32_e32 v17, v16
	v_sub_nc_u32_e32 v36, 0, v16
	v_rcp_iflag_f32_e32 v17, v17
	s_wait_kmcnt 0x0
	s_cmp_lg_u32 s0, 0
	s_cselect_b32 s0, -1, 0
	s_delay_alu instid0(TRANS32_DEP_1)
	v_mul_f32_e32 v17, 0x4f7ffffe, v17
	s_wait_alu 0xfffe
	s_cmp_lg_u32 s0, 0
	s_add_co_ci_u32 s15, s1, 0
	s_mov_b32 s1, exec_lo
	v_cvt_u32_f32_e32 v17, v17
	s_wait_alu 0xfffe
	s_abs_i32 s0, s15
	s_delay_alu instid0(VALU_DEP_1) | instskip(NEXT) | instid1(VALU_DEP_1)
	v_mul_lo_u32 v36, v36, v17
	v_mul_hi_u32 v36, v17, v36
	s_delay_alu instid0(VALU_DEP_1) | instskip(SKIP_1) | instid1(VALU_DEP_1)
	v_add_nc_u32_e32 v17, v17, v36
	s_wait_alu 0xfffe
	v_mul_hi_u32 v17, s0, v17
	s_delay_alu instid0(VALU_DEP_1) | instskip(SKIP_1) | instid1(VALU_DEP_2)
	v_mul_lo_u32 v36, v17, v16
	v_add_nc_u32_e32 v37, 1, v17
	v_sub_nc_u32_e32 v36, s0, v36
	s_abs_i32 s0, ttmp9
	s_delay_alu instid0(VALU_DEP_1) | instskip(SKIP_2) | instid1(VALU_DEP_2)
	v_sub_nc_u32_e32 v38, v36, v16
	v_cmp_ge_u32_e32 vcc_lo, v36, v16
	s_wait_alu 0xfffd
	v_dual_cndmask_b32 v17, v17, v37 :: v_dual_cndmask_b32 v36, v36, v38
	v_xor_b32_e32 v37, s15, v12
	s_delay_alu instid0(VALU_DEP_2) | instskip(NEXT) | instid1(VALU_DEP_3)
	v_add_nc_u32_e32 v38, 1, v17
	v_cmp_ge_u32_e32 vcc_lo, v36, v16
	s_delay_alu instid0(VALU_DEP_3) | instskip(SKIP_1) | instid1(VALU_DEP_3)
	v_ashrrev_i32_e32 v37, 31, v37
	s_wait_alu 0xfffd
	v_cndmask_b32_e32 v16, v17, v38, vcc_lo
	s_delay_alu instid0(VALU_DEP_1) | instskip(NEXT) | instid1(VALU_DEP_1)
	v_xor_b32_e32 v16, v16, v37
	v_sub_nc_u32_e32 v37, v16, v37
	s_delay_alu instid0(VALU_DEP_1) | instskip(NEXT) | instid1(VALU_DEP_1)
	v_sub_nc_u32_e32 v16, 0, v37
	v_max_i32_e32 v36, v37, v16
	s_delay_alu instid0(VALU_DEP_1) | instskip(SKIP_1) | instid1(VALU_DEP_2)
	v_cvt_f32_u32_e32 v16, v36
	v_sub_nc_u32_e32 v17, 0, v36
	v_rcp_iflag_f32_e32 v16, v16
	s_delay_alu instid0(TRANS32_DEP_1) | instskip(NEXT) | instid1(VALU_DEP_1)
	v_mul_f32_e32 v16, 0x4f7ffffe, v16
	v_cvt_u32_f32_e32 v16, v16
	s_delay_alu instid0(VALU_DEP_1) | instskip(NEXT) | instid1(VALU_DEP_1)
	v_mul_lo_u32 v17, v17, v16
	v_mul_hi_u32 v17, v16, v17
	s_delay_alu instid0(VALU_DEP_1) | instskip(SKIP_1) | instid1(VALU_DEP_1)
	v_add_nc_u32_e32 v16, v16, v17
	s_wait_alu 0xfffe
	v_mad_co_u64_u32 v[16:17], null, s0, v16, 0
	s_wait_loadcnt 0x0
	v_readfirstlane_b32 s16, v33
	v_cmpx_ne_u64_e32 0, v[19:20]
	s_cbranch_execz .LBB290_3
; %bb.2:
	s_mov_b32 s4, ttmp9
	s_ashr_i32 s5, ttmp9, 31
	s_wait_alu 0xfffe
	s_lshl_b64 s[4:5], s[4:5], 2
	s_wait_alu 0xfffe
	v_add_co_u32 v19, vcc_lo, v19, s4
	s_wait_alu 0xfffd
	v_add_co_ci_u32_e64 v20, null, s5, v20, vcc_lo
	flat_load_b32 v55, v[19:20]
.LBB290_3:
	s_or_b32 exec_lo, exec_lo, s1
	v_and_b32_e32 v33, 0x3ff, v31
	v_ashrrev_i32_e32 v16, 31, v37
	s_ashr_i32 s1, ttmp9, 31
	s_mul_i32 s4, ttmp9, 0x78
	s_mov_b32 s2, exec_lo
	v_cmpx_gt_u32_e32 15, v33
	s_cbranch_execz .LBB290_5
; %bb.4:
	v_mul_lo_u32 v19, v21, s14
	s_wait_alu 0xfffe
	s_ashr_i32 s5, s4, 31
	v_lshlrev_b32_e32 v21, 4, v33
	s_wait_alu 0xfffe
	s_lshl_b64 s[10:11], s[4:5], 1
	s_delay_alu instid0(VALU_DEP_2) | instskip(NEXT) | instid1(VALU_DEP_1)
	v_ashrrev_i32_e32 v20, 31, v19
	v_lshlrev_b64_e32 v[19:20], 1, v[19:20]
	s_delay_alu instid0(VALU_DEP_1) | instskip(SKIP_1) | instid1(VALU_DEP_2)
	v_add_co_u32 v6, vcc_lo, v6, v19
	s_wait_alu 0xfffd
	v_add_co_ci_u32_e64 v7, null, v7, v20, vcc_lo
	s_wait_alu 0xfffe
	s_delay_alu instid0(VALU_DEP_2) | instskip(SKIP_1) | instid1(VALU_DEP_2)
	v_add_co_u32 v6, vcc_lo, v6, s10
	s_wait_alu 0xfffd
	v_add_co_ci_u32_e64 v7, null, s11, v7, vcc_lo
	s_delay_alu instid0(VALU_DEP_2) | instskip(SKIP_1) | instid1(VALU_DEP_2)
	v_add_co_u32 v6, vcc_lo, v6, v21
	s_wait_alu 0xfffd
	v_add_co_ci_u32_e64 v7, null, 0, v7, vcc_lo
	flat_load_b128 v[48:51], v[6:7]
	s_wait_loadcnt_dscnt 0x0
	ds_store_b128 v21, v[48:51]
.LBB290_5:
	s_wait_alu 0xfffe
	s_or_b32 exec_lo, exec_lo, s2
	v_sub_nc_u32_e32 v6, 0, v35
	v_mul_lo_u32 v7, v17, v36
	v_add_nc_u32_e32 v20, 1, v17
	v_xor_b32_e32 v39, s1, v16
	s_wait_storecnt 0x0
	s_wait_loadcnt_dscnt 0x0
	v_max_i32_e32 v37, v35, v6
	s_barrier_signal -1
	s_barrier_wait -1
	global_inv scope:SCOPE_SE
	v_sub_nc_u32_e32 v19, s0, v7
	v_cvt_f32_u32_e32 v6, v37
	v_sub_nc_u32_e32 v7, 0, v37
	s_mov_b32 s0, exec_lo
	s_delay_alu instid0(VALU_DEP_3) | instskip(NEXT) | instid1(VALU_DEP_3)
	v_cmp_ge_u32_e32 vcc_lo, v19, v36
	v_rcp_iflag_f32_e32 v6, v6
	v_sub_nc_u32_e32 v21, v19, v36
	s_wait_alu 0xfffd
	v_cndmask_b32_e32 v17, v17, v20, vcc_lo
	s_delay_alu instid0(VALU_DEP_2) | instskip(NEXT) | instid1(VALU_DEP_2)
	v_cndmask_b32_e32 v19, v19, v21, vcc_lo
	v_add_nc_u32_e32 v20, 1, v17
	s_delay_alu instid0(TRANS32_DEP_1) | instskip(NEXT) | instid1(VALU_DEP_3)
	v_mul_f32_e32 v6, 0x4f7ffffe, v6
	v_cmp_ge_u32_e32 vcc_lo, v19, v36
	s_delay_alu instid0(VALU_DEP_2) | instskip(SKIP_2) | instid1(VALU_DEP_2)
	v_cvt_u32_f32_e32 v6, v6
	s_wait_alu 0xfffd
	v_cndmask_b32_e32 v16, v17, v20, vcc_lo
	v_mul_lo_u32 v31, v7, v6
	v_add_nc_u32_e32 v7, -1, v34
	s_delay_alu instid0(VALU_DEP_2) | instskip(NEXT) | instid1(VALU_DEP_2)
	v_mul_hi_u32 v21, v6, v31
	v_sub_nc_u32_e32 v31, 0, v7
	s_delay_alu instid0(VALU_DEP_1) | instskip(NEXT) | instid1(VALU_DEP_3)
	v_max_i32_e32 v19, v7, v31
	v_add_nc_u32_e32 v38, v6, v21
	v_xor_b32_e32 v6, v16, v39
	s_delay_alu instid0(VALU_DEP_2) | instskip(NEXT) | instid1(VALU_DEP_2)
	v_mad_co_u64_u32 v[16:17], null, v19, v38, 0
	v_sub_nc_u32_e32 v16, v6, v39
                                        ; implicit-def: $vgpr6
	v_cmpx_gt_i32_e32 0, v32
	s_wait_alu 0xfffe
	s_xor_b32 s0, exec_lo, s0
; %bb.6:
	s_delay_alu instid0(VALU_DEP_2) | instskip(NEXT) | instid1(VALU_DEP_1)
	v_mad_co_u64_u32 v[20:21], null, v28, v12, v[16:17]
                                        ; implicit-def: $vgpr28
	v_mul_lo_u32 v6, v20, v32
                                        ; implicit-def: $vgpr32
	s_delay_alu instid0(VALU_DEP_1)
	v_sub_nc_u32_e32 v6, 1, v6
; %bb.7:
	s_wait_alu 0xfffe
	s_or_saveexec_b32 s0, s0
	v_ashrrev_i32_e32 v12, 31, v7
	v_ashrrev_i32_e32 v39, 31, v35
	s_wait_alu 0xfffe
	s_xor_b32 exec_lo, exec_lo, s0
; %bb.8:
	s_mov_b32 s2, ttmp9
	s_wait_alu 0xfffe
	v_mad_co_u64_u32 v[6:7], null, s15, v28, s[2:3]
	s_delay_alu instid0(VALU_DEP_1)
	v_mad_co_u64_u32 v[6:7], null, v6, v32, 1
; %bb.9:
	s_or_b32 exec_lo, exec_lo, s0
	v_mul_lo_u32 v7, v17, v37
	s_load_b32 s5, s[8:9], 0x8
	v_xor_b32_e32 v12, v12, v39
	v_mul_lo_u32 v18, v18, s14
	v_lshrrev_b32_e32 v35, 5, v33
	s_lshl_b32 s17, s13, 4
	v_mul_lo_u32 v51, v16, v23
	s_wait_alu 0xfffe
	s_add_co_i32 s0, s17, 16
	v_sub_nc_u32_e32 v7, v19, v7
	v_add_nc_u32_e32 v19, 1, v17
	v_add_nc_u32_e32 v23, s17, v35
	v_mov_b32_e32 v65, 0xff7fffff
	v_sub_nc_u32_e32 v53, 0, v30
	v_sub_nc_u32_e32 v28, v7, v37
	v_cmp_ge_u32_e32 vcc_lo, v7, v37
	v_add_nc_u32_e32 v20, 31, v34
	v_lshl_add_u32 v48, v35, 5, s3
	v_ashrrev_i32_e32 v54, 31, v51
	s_wait_alu 0xfffd
	v_dual_cndmask_b32 v7, v7, v28 :: v_dual_and_b32 v36, 31, v33
	v_cndmask_b32_e32 v17, v17, v19, vcc_lo
	v_ashrrev_i32_e32 v21, 31, v20
	s_delay_alu instid0(VALU_DEP_3) | instskip(NEXT) | instid1(VALU_DEP_4)
	v_lshlrev_b32_e32 v64, 2, v36
	v_cmp_ge_u32_e32 vcc_lo, v7, v37
	s_delay_alu instid0(VALU_DEP_3) | instskip(SKIP_1) | instid1(VALU_DEP_2)
	v_lshrrev_b32_e32 v19, 27, v21
	v_add_nc_u32_e32 v21, 1, v17
	v_add_nc_u32_e32 v19, v20, v19
	s_wait_alu 0xfffd
	s_delay_alu instid0(VALU_DEP_2) | instskip(NEXT) | instid1(VALU_DEP_2)
	v_cndmask_b32_e32 v7, v17, v21, vcc_lo
	v_ashrrev_i32_e32 v52, 5, v19
	s_delay_alu instid0(VALU_DEP_2) | instskip(SKIP_2) | instid1(VALU_DEP_3)
	v_xor_b32_e32 v7, v7, v12
	v_ashrrev_i32_e32 v19, 31, v18
	s_wait_alu 0xfffe
	v_min_i32_e32 v49, s0, v52
	s_delay_alu instid0(VALU_DEP_3) | instskip(NEXT) | instid1(VALU_DEP_3)
	v_sub_nc_u32_e32 v7, v7, v12
	v_lshlrev_b64_e32 v[16:17], 2, v[18:19]
	v_lshlrev_b32_e32 v12, 2, v23
	s_delay_alu instid0(VALU_DEP_4) | instskip(NEXT) | instid1(VALU_DEP_4)
	v_cmp_lt_i32_e64 s0, v23, v49
	v_sub_nc_u32_e32 v50, v7, v29
	s_and_saveexec_b32 s18, s0
	s_cbranch_execz .LBB290_977
; %bb.10:
	v_max_i32_e32 v66, v30, v53
	v_add_co_u32 v18, vcc_lo, v8, v51
	s_wait_alu 0xfffd
	v_add_co_ci_u32_e64 v19, null, v9, v54, vcc_lo
	s_delay_alu instid0(VALU_DEP_3)
	v_cvt_f32_u32_e32 v7, v66
	s_ashr_i32 s7, s6, 31
	v_sub_nc_u32_e32 v9, 0, v66
	s_getpc_b64 s[8:9]
	s_wait_alu 0xfffe
	s_sext_i32_i16 s9, s9
	s_add_co_u32 s8, s8, llvm.amdgcn.dynlds.offset.table@rel32@lo+12
	s_wait_alu 0xfffe
	s_add_co_ci_u32 s9, s9, llvm.amdgcn.dynlds.offset.table@rel32@hi+24
	s_lshl_b64 s[10:11], s[6:7], 2
	v_rcp_iflag_f32_e32 v7, v7
	v_lshlrev_b32_e32 v20, 4, v36
	s_wait_alu 0xfffe
	s_add_nc_u64 s[8:9], s[8:9], s[10:11]
	v_add_co_u32 v21, s1, v16, v12
	s_load_b32 s7, s[8:9], 0x0
	v_add_co_ci_u32_e64 v28, null, 0, v17, s1
	v_sub_nc_u32_e32 v31, v36, v34
	v_dual_mov_b32 v8, 0 :: v_dual_mov_b32 v65, 0xff7fffff
	s_delay_alu instid0(TRANS32_DEP_1) | instskip(SKIP_3) | instid1(VALU_DEP_3)
	v_mul_f32_e32 v7, 0x4f7ffffe, v7
	v_add_co_u32 v18, s1, v18, v20
	s_wait_alu 0xf1ff
	v_add_co_ci_u32_e64 v19, null, 0, v19, s1
	v_cvt_u32_f32_e32 v7, v7
	v_add_co_u32 v20, s1, v14, v21
	v_lshl_or_b32 v67, v35, 7, v64
	v_dual_mov_b32 v68, 0xff7fffff :: v_dual_add_nc_u32 v69, 1, v31
	s_delay_alu instid0(VALU_DEP_4)
	v_mul_lo_u32 v29, v9, v7
	v_lshl_add_u32 v9, v35, 5, s3
	s_wait_alu 0xf1ff
	v_add_co_ci_u32_e64 v21, null, v15, v28, s1
	v_mov_b32_e32 v71, v23
	s_mov_b32 s10, -1
	s_mov_b32 s19, 0
	s_mov_b32 s11, 0xffffff
	v_mul_hi_u32 v29, v7, v29
	v_cmp_neq_f32_e32 vcc_lo, 0, v55
	s_delay_alu instid0(VALU_DEP_2)
	v_add_nc_u32_e32 v70, v7, v29
	s_branch .LBB290_16
.LBB290_11:                             ;   in Loop: Header=BB290_16 Depth=1
	s_wait_alu 0xfffe
	s_or_b32 exec_lo, exec_lo, s23
	v_lshlrev_b32_e32 v7, 8, v7
	v_lshl_add_u32 v29, v29, 10, 0x2000
	v_lshlrev_b32_e32 v28, 23, v28
	s_delay_alu instid0(VALU_DEP_2) | instskip(NEXT) | instid1(VALU_DEP_1)
	v_and_or_b32 v7, 0x8000, v7, v29
	v_lshl_or_b32 v28, v7, 16, v28
.LBB290_12:                             ;   in Loop: Header=BB290_16 Depth=1
	s_wait_alu 0xfffe
	s_or_b32 exec_lo, exec_lo, s22
.LBB290_13:                             ;   in Loop: Header=BB290_16 Depth=1
	s_wait_alu 0xfffe
	s_or_b32 exec_lo, exec_lo, s21
.LBB290_14:                             ;   in Loop: Header=BB290_16 Depth=1
	s_wait_alu 0xfffe
	s_or_b32 exec_lo, exec_lo, s20
	v_or_b32_e32 v7, v63, v62
	v_fma_mixlo_f16 v62, v80, v63, 0 op_sel:[0,1,0] op_sel_hi:[0,1,0]
	v_fma_mixlo_f16 v74, v80, v61, 0 op_sel:[0,1,0] op_sel_hi:[0,1,0]
	;; [unrolled: 1-line block ×4, first 2 shown]
	v_fma_mixlo_f16 v63, v80, v7, 0 op_sel_hi:[0,1,0]
	v_or_b32_e32 v7, v61, v60
	v_fma_mixlo_f16 v60, v80, v94, 0 op_sel:[0,1,0] op_sel_hi:[0,1,0]
	s_load_b32 s20, s[8:9], 0x0
	v_and_b32_e32 v29, 0xffff, v29
	s_delay_alu instid0(VALU_DEP_3) | instskip(SKIP_1) | instid1(VALU_DEP_1)
	v_fma_mixlo_f16 v75, v80, v7, 0 op_sel_hi:[0,1,0]
	v_or_b32_e32 v7, v94, v91
	v_fma_mixlo_f16 v61, v80, v7, 0 op_sel_hi:[0,1,0]
	v_or_b32_e32 v7, v156, v92
	v_fma_mixlo_f16 v92, v80, v77, 0 op_sel:[0,1,0] op_sel_hi:[0,1,0]
	v_fma_mixlo_f16 v156, v80, v83, 0 op_sel:[0,1,0] op_sel_hi:[0,1,0]
	s_delay_alu instid0(VALU_DEP_3) | instskip(SKIP_3) | instid1(VALU_DEP_4)
	v_fma_mixlo_f16 v31, v80, v7, 0 op_sel_hi:[0,1,0]
	v_or_b32_e32 v7, v90, v88
	v_fma_mixlo_f16 v88, v80, v120, 0 op_sel:[0,1,0] op_sel_hi:[0,1,0]
	v_fma_mixlo_f16 v90, v80, v90, 0 op_sel:[0,1,0] op_sel_hi:[0,1,0]
	v_and_b32_e32 v31, 0xffff, v31
	s_delay_alu instid0(VALU_DEP_4) | instskip(SKIP_2) | instid1(VALU_DEP_2)
	v_fma_mixlo_f16 v91, v80, v7, 0 op_sel_hi:[0,1,0]
	v_or_b32_e32 v7, v77, v76
	v_fma_mixlo_f16 v76, v80, v121, 0 op_sel:[0,1,0] op_sel_hi:[0,1,0]
	v_fma_mixlo_f16 v94, v80, v7, 0 op_sel_hi:[0,1,0]
	v_or_b32_e32 v7, v120, v89
	v_fma_mixlo_f16 v120, v80, v105, 0 op_sel:[0,1,0] op_sel_hi:[0,1,0]
	s_delay_alu instid0(VALU_DEP_2) | instskip(SKIP_1) | instid1(VALU_DEP_1)
	v_fma_mixlo_f16 v89, v80, v7, 0 op_sel_hi:[0,1,0]
	v_or_b32_e32 v7, v121, v111
	v_fma_mixlo_f16 v77, v80, v7, 0 op_sel_hi:[0,1,0]
	v_or_b32_e32 v7, v110, v108
	v_fma_mixlo_f16 v108, v80, v140, 0 op_sel:[0,1,0] op_sel_hi:[0,1,0]
	v_fma_mixlo_f16 v110, v80, v110, 0 op_sel:[0,1,0] op_sel_hi:[0,1,0]
	s_delay_alu instid0(VALU_DEP_3) | instskip(SKIP_2) | instid1(VALU_DEP_2)
	v_fma_mixlo_f16 v111, v80, v7, 0 op_sel_hi:[0,1,0]
	v_or_b32_e32 v7, v105, v104
	v_fma_mixlo_f16 v104, v80, v141, 0 op_sel:[0,1,0] op_sel_hi:[0,1,0]
	v_fma_mixlo_f16 v121, v80, v7, 0 op_sel_hi:[0,1,0]
	v_or_b32_e32 v7, v140, v109
	v_fma_mixlo_f16 v140, v80, v125, 0 op_sel:[0,1,0] op_sel_hi:[0,1,0]
	s_delay_alu instid0(VALU_DEP_2) | instskip(SKIP_1) | instid1(VALU_DEP_1)
	v_fma_mixlo_f16 v109, v80, v7, 0 op_sel_hi:[0,1,0]
	v_or_b32_e32 v7, v141, v139
	v_fma_mixlo_f16 v105, v80, v7, 0 op_sel_hi:[0,1,0]
	v_or_b32_e32 v7, v138, v126
	v_fma_mixlo_f16 v126, v80, v152, 0 op_sel:[0,1,0] op_sel_hi:[0,1,0]
	v_fma_mixlo_f16 v138, v80, v138, 0 op_sel:[0,1,0] op_sel_hi:[0,1,0]
	s_delay_alu instid0(VALU_DEP_3) | instskip(SKIP_2) | instid1(VALU_DEP_2)
	;; [unrolled: 14-line block ×9, first 2 shown]
	v_fma_mixlo_f16 v150, v80, v7, 0 op_sel_hi:[0,1,0]
	v_or_b32_e32 v7, v130, v129
	v_fma_mixlo_f16 v129, v80, v144, 0 op_sel:[0,1,0] op_sel_hi:[0,1,0]
	v_fma_mixlo_f16 v160, v80, v7, 0 op_sel_hi:[0,1,0]
	v_or_b32_e32 v7, v135, v132
	v_fma_mixlo_f16 v135, v80, v114, 0 op_sel:[0,1,0] op_sel_hi:[0,1,0]
	s_delay_alu instid0(VALU_DEP_2) | instskip(SKIP_1) | instid1(VALU_DEP_1)
	v_fma_mixlo_f16 v132, v80, v7, 0 op_sel_hi:[0,1,0]
	v_or_b32_e32 v7, v144, v134
	v_fma_mixlo_f16 v130, v80, v7, 0 op_sel_hi:[0,1,0]
	v_or_b32_e32 v7, v117, v115
	v_fma_mixlo_f16 v115, v80, v119, 0 op_sel:[0,1,0] op_sel_hi:[0,1,0]
	v_fma_mixlo_f16 v117, v80, v117, 0 op_sel:[0,1,0] op_sel_hi:[0,1,0]
	s_delay_alu instid0(VALU_DEP_3) | instskip(SKIP_2) | instid1(VALU_DEP_4)
	v_fma_mixlo_f16 v134, v80, v7, 0 op_sel_hi:[0,1,0]
	v_or_b32_e32 v7, v114, v113
	v_fma_mixlo_f16 v113, v80, v128, 0 op_sel:[0,1,0] op_sel_hi:[0,1,0]
	v_and_b32_e32 v117, 0xffff, v117
	v_and_b32_e32 v115, 0xffff, v115
	s_delay_alu instid0(VALU_DEP_4) | instskip(SKIP_2) | instid1(VALU_DEP_2)
	v_fma_mixlo_f16 v144, v80, v7, 0 op_sel_hi:[0,1,0]
	v_or_b32_e32 v7, v119, v116
	v_and_b32_e32 v113, 0xffff, v113
	v_fma_mixlo_f16 v116, v80, v7, 0 op_sel_hi:[0,1,0]
	v_or_b32_e32 v7, v128, v118
	v_fma_mixlo_f16 v118, v80, v101, 0 op_sel:[0,1,0] op_sel_hi:[0,1,0]
	s_delay_alu instid0(VALU_DEP_3) | instskip(NEXT) | instid1(VALU_DEP_3)
	v_and_b32_e32 v116, 0xffff, v116
	v_fma_mixlo_f16 v114, v80, v7, 0 op_sel_hi:[0,1,0]
	v_or_b32_e32 v7, v101, v99
	v_fma_mixlo_f16 v99, v80, v103, 0 op_sel:[0,1,0] op_sel_hi:[0,1,0]
	v_fma_mixlo_f16 v101, v80, v112, 0 op_sel:[0,1,0] op_sel_hi:[0,1,0]
	v_and_b32_e32 v118, 0xffff, v118
	v_and_b32_e32 v114, 0xffff, v114
	v_fma_mixlo_f16 v119, v80, v7, 0 op_sel_hi:[0,1,0]
	v_or_b32_e32 v7, v98, v97
	v_fma_mixlo_f16 v97, v80, v98, 0 op_sel:[0,1,0] op_sel_hi:[0,1,0]
	v_and_b32_e32 v99, 0xffff, v99
	v_and_b32_e32 v101, 0xffff, v101
	s_delay_alu instid0(VALU_DEP_4) | instskip(SKIP_1) | instid1(VALU_DEP_2)
	v_fma_mixlo_f16 v98, v80, v7, 0 op_sel_hi:[0,1,0]
	v_or_b32_e32 v7, v103, v100
	v_and_b32_e32 v98, 0xffff, v98
	s_delay_alu instid0(VALU_DEP_2) | instskip(SKIP_2) | instid1(VALU_DEP_3)
	v_fma_mixlo_f16 v100, v80, v7, 0 op_sel_hi:[0,1,0]
	v_or_b32_e32 v7, v112, v102
	v_fma_mixlo_f16 v112, v80, v87, 0 op_sel:[0,1,0] op_sel_hi:[0,1,0]
	v_and_b32_e32 v100, 0xffff, v100
	s_delay_alu instid0(VALU_DEP_3) | instskip(SKIP_2) | instid1(VALU_DEP_3)
	v_fma_mixlo_f16 v102, v80, v7, 0 op_sel_hi:[0,1,0]
	v_or_b32_e32 v7, v83, v84
	v_fma_mixlo_f16 v84, v80, v169, 0 op_sel:[0,1,0] op_sel_hi:[0,1,0]
	v_and_b32_e32 v102, 0xffff, v102
	s_delay_alu instid0(VALU_DEP_3) | instskip(SKIP_4) | instid1(VALU_DEP_4)
	v_fma_mixlo_f16 v157, v80, v7, 0 op_sel_hi:[0,1,0]
	v_or_b32_e32 v7, v81, v82
	v_or_b32_e32 v81, v169, v155
	v_fma_mixlo_f16 v82, v80, v171, 0 op_sel:[0,1,0] op_sel_hi:[0,1,0]
	v_and_b32_e32 v84, 0xffff, v84
	v_fma_mixlo_f16 v159, v80, v7, 0 op_sel_hi:[0,1,0]
	v_or_b32_e32 v7, v87, v86
	v_fma_mixlo_f16 v86, v80, v32, 0 op_sel:[0,1,0] op_sel_hi:[0,1,0]
	v_and_b32_e32 v82, 0xffff, v82
	s_delay_alu instid0(VALU_DEP_3)
	v_fma_mixlo_f16 v128, v80, v7, 0 op_sel_hi:[0,1,0]
	v_or_b32_e32 v7, v96, v85
	v_fma_mixlo_f16 v85, v80, v81, 0 op_sel_hi:[0,1,0]
	v_or_b32_e32 v81, v32, v154
	v_or_b32_e32 v32, v171, v168
	v_fma_mixlo_f16 v96, v80, v96, 0 op_sel:[0,1,0] op_sel_hi:[0,1,0]
	v_fma_mixlo_f16 v103, v80, v7, 0 op_sel_hi:[0,1,0]
	v_add_nc_u32_e32 v7, v69, v9
	v_fma_mixlo_f16 v87, v80, v81, 0 op_sel_hi:[0,1,0]
	v_fma_mixlo_f16 v83, v80, v32, 0 op_sel_hi:[0,1,0]
	v_or_b32_e32 v32, v28, v170
	ds_load_b128 v[168:171], v8
	v_cvt_f32_i32_e32 v7, v7
	v_add_nc_u32_e32 v172, v36, v9
	v_and_b32_e32 v87, 0xffff, v87
	v_fma_mixlo_f16 v81, v80, v32, 0 op_sel_hi:[0,1,0]
	v_fma_mixlo_f16 v32, v80, v28, 0 op_sel:[0,1,0] op_sel_hi:[0,1,0]
	v_mul_f32_e32 v7, v55, v7
	v_cmp_lt_i32_e64 s1, v172, v34
	v_and_b32_e32 v86, 0xffff, v86
	v_and_b32_e32 v85, 0xffff, v85
	v_and_b32_e32 v83, 0xffff, v83
	v_cndmask_b32_e32 v7, 0, v7, vcc_lo
	v_and_b32_e32 v81, 0xffff, v81
	v_and_b32_e32 v32, 0xffff, v32
	s_wait_dscnt 0x0
	v_lshrrev_b32_e32 v80, 16, v168
	v_and_b32_e32 v154, 0xffff, v168
	;;#ASMSTART
	v_cvt_f32_f16 v168, v154;
	;;#ASMEND
	;;#ASMSTART
	v_cvt_f32_f16 v172, v80;
	;;#ASMEND
	v_and_b32_e32 v80, 0xffff, v159
	;;#ASMSTART
	v_cvt_f32_f16 v159, v80;
	;;#ASMEND
	v_and_b32_e32 v80, 0xffff, v158
	;;#ASMSTART
	v_cvt_f32_f16 v158, v80;
	;;#ASMEND
	v_lshrrev_b32_e32 v80, 16, v169
	v_and_b32_e32 v154, 0xffff, v169
	;;#ASMSTART
	v_cvt_f32_f16 v169, v154;
	;;#ASMEND
	;;#ASMSTART
	v_cvt_f32_f16 v173, v80;
	;;#ASMEND
	v_and_b32_e32 v80, 0xffff, v157
	;;#ASMSTART
	v_cvt_f32_f16 v174, v80;
	;;#ASMEND
	v_and_b32_e32 v80, 0xffff, v156
	;;#ASMSTART
	v_cvt_f32_f16 v175, v80;
	;;#ASMEND
	;; [unrolled: 16-line block ×4, first 2 shown]
	ds_load_b128 v[154:157], v8 offset:16
	s_wait_dscnt 0x0
	v_and_b32_e32 v80, 0xffff, v154
	v_lshrrev_b32_e32 v96, 16, v154
	;;#ASMSTART
	v_cvt_f32_f16 v80, v80;
	;;#ASMEND
	;;#ASMSTART
	v_cvt_f32_f16 v96, v96;
	;;#ASMEND
	;; [unrolled: 3-line block ×3, first 2 shown]
	v_dual_mul_f32 v80, v80, v98 :: v_dual_and_b32 v97, 0xffff, v97
	v_lshrrev_b32_e32 v98, 16, v155
	s_delay_alu instid0(VALU_DEP_2) | instskip(SKIP_1) | instid1(VALU_DEP_3)
	v_fmac_f32_e32 v80, v168, v159
	;;#ASMSTART
	v_cvt_f32_f16 v97, v97;
	;;#ASMEND
	v_dual_mul_f32 v96, v96, v97 :: v_dual_and_b32 v97, 0xffff, v155
	;;#ASMSTART
	v_cvt_f32_f16 v97, v97;
	;;#ASMEND
	;;#ASMSTART
	v_cvt_f32_f16 v154, v98;
	;;#ASMEND
	v_and_b32_e32 v98, 0xffff, v119
	;;#ASMSTART
	v_cvt_f32_f16 v98, v98;
	;;#ASMEND
	;;#ASMSTART
	v_cvt_f32_f16 v118, v118;
	;;#ASMEND
	s_wait_kmcnt 0x0
	v_add_nc_u32_e32 v28, s20, v67
	v_fmac_f32_e32 v96, v172, v158
	v_mul_f32_e32 v98, v97, v98
	v_mul_f32_e32 v97, v154, v118
	v_lshrrev_b32_e32 v119, 16, v156
	v_and_b32_e32 v118, 0xffff, v156
	;;#ASMSTART
	v_cvt_f32_f16 v118, v118;
	;;#ASMEND
	;;#ASMSTART
	v_cvt_f32_f16 v119, v119;
	;;#ASMEND
	;; [unrolled: 3-line block ×4, first 2 shown]
	v_dual_mul_f32 v99, v119, v99 :: v_dual_mul_f32 v100, v118, v100
	v_lshrrev_b32_e32 v118, 16, v157
	v_dual_fmac_f32 v98, v169, v174 :: v_dual_and_b32 v119, 0xffff, v135
	s_delay_alu instid0(VALU_DEP_3)
	v_dual_fmac_f32 v99, v184, v112 :: v_dual_and_b32 v112, 0xffff, v157
	;;#ASMSTART
	v_cvt_f32_f16 v112, v112;
	;;#ASMEND
	;;#ASMSTART
	v_cvt_f32_f16 v118, v118;
	;;#ASMEND
	;; [unrolled: 3-line block ×4, first 2 shown]
	ds_load_b128 v[154:157], v8 offset:32
	v_dual_mul_f32 v102, v112, v102 :: v_dual_mul_f32 v101, v118, v101
	v_dual_fmac_f32 v97, v173, v175 :: v_dual_and_b32 v118, 0xffff, v144
	s_delay_alu instid0(VALU_DEP_2)
	v_dual_fmac_f32 v102, v171, v103 :: v_dual_fmac_f32 v101, v185, v186
	s_wait_dscnt 0x0
	v_lshrrev_b32_e32 v112, 16, v154
	v_dual_fmac_f32 v100, v170, v128 :: v_dual_and_b32 v103, 0xffff, v154
	;;#ASMSTART
	v_cvt_f32_f16 v103, v103;
	;;#ASMEND
	;;#ASMSTART
	v_cvt_f32_f16 v112, v112;
	;;#ASMEND
	;; [unrolled: 3-line block ×4, first 2 shown]
	v_fmac_f32_e32 v80, v103, v118
	v_fmac_f32_e32 v96, v112, v119
	v_lshrrev_b32_e32 v112, 16, v155
	v_and_b32_e32 v103, 0xffff, v155
	;;#ASMSTART
	v_cvt_f32_f16 v103, v103;
	;;#ASMEND
	;;#ASMSTART
	v_cvt_f32_f16 v112, v112;
	;;#ASMEND
	v_and_b32_e32 v118, 0xffff, v134
	;;#ASMSTART
	v_cvt_f32_f16 v118, v118;
	;;#ASMEND
	;;#ASMSTART
	v_cvt_f32_f16 v117, v117;
	;;#ASMEND
	s_delay_alu instid0(VALU_DEP_1)
	v_dual_fmac_f32 v98, v103, v118 :: v_dual_fmac_f32 v97, v112, v117
	v_lshrrev_b32_e32 v112, 16, v156
	v_and_b32_e32 v103, 0xffff, v156
	;;#ASMSTART
	v_cvt_f32_f16 v103, v103;
	;;#ASMEND
	;;#ASMSTART
	v_cvt_f32_f16 v112, v112;
	;;#ASMEND
	;; [unrolled: 3-line block ×4, first 2 shown]
	v_dual_fmac_f32 v100, v103, v116 :: v_dual_and_b32 v117, 0xffff, v151
	v_fmac_f32_e32 v99, v112, v115
	v_lshrrev_b32_e32 v112, 16, v157
	v_and_b32_e32 v103, 0xffff, v157
	;;#ASMSTART
	v_cvt_f32_f16 v103, v103;
	;;#ASMEND
	;;#ASMSTART
	v_cvt_f32_f16 v112, v112;
	;;#ASMEND
	;;#ASMSTART
	v_cvt_f32_f16 v114, v114;
	;;#ASMEND
	;;#ASMSTART
	v_cvt_f32_f16 v113, v113;
	;;#ASMEND
	v_dual_fmac_f32 v102, v103, v114 :: v_dual_fmac_f32 v101, v112, v113
	ds_load_b128 v[112:115], v8 offset:48
	s_wait_dscnt 0x0
	v_lshrrev_b32_e32 v116, 16, v112
	v_and_b32_e32 v103, 0xffff, v112
	;;#ASMSTART
	v_cvt_f32_f16 v103, v103;
	;;#ASMEND
	;;#ASMSTART
	v_cvt_f32_f16 v112, v116;
	;;#ASMEND
	v_and_b32_e32 v116, 0xffff, v160
	;;#ASMSTART
	v_cvt_f32_f16 v116, v116;
	;;#ASMEND
	;;#ASMSTART
	v_cvt_f32_f16 v117, v117;
	;;#ASMEND
	s_delay_alu instid0(VALU_DEP_1)
	v_dual_fmac_f32 v80, v103, v116 :: v_dual_and_b32 v103, 0xffff, v113
	v_fmac_f32_e32 v96, v112, v117
	v_lshrrev_b32_e32 v112, 16, v113
	v_and_b32_e32 v113, 0xffff, v150
	;;#ASMSTART
	v_cvt_f32_f16 v103, v103;
	;;#ASMEND
	;;#ASMSTART
	v_cvt_f32_f16 v112, v112;
	;;#ASMEND
	;; [unrolled: 3-line block ×3, first 2 shown]
	v_and_b32_e32 v116, 0xffff, v133
	;;#ASMSTART
	v_cvt_f32_f16 v116, v116;
	;;#ASMEND
	v_dual_fmac_f32 v98, v103, v113 :: v_dual_and_b32 v103, 0xffff, v114
	s_delay_alu instid0(VALU_DEP_2)
	v_fmac_f32_e32 v97, v112, v116
	v_lshrrev_b32_e32 v112, 16, v114
	v_and_b32_e32 v113, 0xffff, v132
	v_and_b32_e32 v114, 0xffff, v131
	;;#ASMSTART
	v_cvt_f32_f16 v103, v103;
	;;#ASMEND
	;;#ASMSTART
	v_cvt_f32_f16 v112, v112;
	;;#ASMEND
	;; [unrolled: 3-line block ×4, first 2 shown]
	v_dual_fmac_f32 v100, v103, v113 :: v_dual_and_b32 v103, 0xffff, v115
	v_fmac_f32_e32 v99, v112, v114
	v_lshrrev_b32_e32 v112, 16, v115
	v_and_b32_e32 v113, 0xffff, v130
	v_and_b32_e32 v114, 0xffff, v129
	;;#ASMSTART
	v_cvt_f32_f16 v103, v103;
	;;#ASMEND
	;;#ASMSTART
	v_cvt_f32_f16 v112, v112;
	;;#ASMEND
	;; [unrolled: 3-line block ×4, first 2 shown]
	v_dual_fmac_f32 v102, v103, v113 :: v_dual_fmac_f32 v101, v112, v114
	ds_load_b128 v[112:115], v8 offset:64
	v_and_b32_e32 v117, 0xffff, v167
	s_wait_dscnt 0x0
	v_lshrrev_b32_e32 v116, 16, v112
	v_and_b32_e32 v103, 0xffff, v112
	;;#ASMSTART
	v_cvt_f32_f16 v103, v103;
	;;#ASMEND
	;;#ASMSTART
	v_cvt_f32_f16 v112, v116;
	;;#ASMEND
	v_and_b32_e32 v116, 0xffff, v176
	;;#ASMSTART
	v_cvt_f32_f16 v116, v116;
	;;#ASMEND
	;;#ASMSTART
	v_cvt_f32_f16 v117, v117;
	;;#ASMEND
	s_delay_alu instid0(VALU_DEP_1)
	v_fmac_f32_e32 v80, v103, v116
	v_fmac_f32_e32 v96, v112, v117
	v_lshrrev_b32_e32 v112, 16, v113
	v_and_b32_e32 v103, 0xffff, v113
	v_and_b32_e32 v113, 0xffff, v166
	;;#ASMSTART
	v_cvt_f32_f16 v103, v103;
	;;#ASMEND
	;;#ASMSTART
	v_cvt_f32_f16 v112, v112;
	;;#ASMEND
	;; [unrolled: 3-line block ×3, first 2 shown]
	v_and_b32_e32 v116, 0xffff, v149
	;;#ASMSTART
	v_cvt_f32_f16 v116, v116;
	;;#ASMEND
	s_delay_alu instid0(VALU_DEP_1)
	v_dual_fmac_f32 v98, v103, v113 :: v_dual_fmac_f32 v97, v112, v116
	v_lshrrev_b32_e32 v112, 16, v114
	v_and_b32_e32 v103, 0xffff, v114
	v_and_b32_e32 v113, 0xffff, v148
	;; [unrolled: 1-line block ×3, first 2 shown]
	;;#ASMSTART
	v_cvt_f32_f16 v103, v103;
	;;#ASMEND
	;;#ASMSTART
	v_cvt_f32_f16 v112, v112;
	;;#ASMEND
	;; [unrolled: 3-line block ×4, first 2 shown]
	v_dual_fmac_f32 v100, v103, v113 :: v_dual_and_b32 v103, 0xffff, v115
	v_fmac_f32_e32 v99, v112, v114
	v_lshrrev_b32_e32 v112, 16, v115
	v_and_b32_e32 v113, 0xffff, v146
	v_and_b32_e32 v114, 0xffff, v145
	;;#ASMSTART
	v_cvt_f32_f16 v103, v103;
	;;#ASMEND
	;;#ASMSTART
	v_cvt_f32_f16 v112, v112;
	;;#ASMEND
	;; [unrolled: 3-line block ×4, first 2 shown]
	v_dual_fmac_f32 v102, v103, v113 :: v_dual_fmac_f32 v101, v112, v114
	ds_load_b128 v[112:115], v8 offset:80
	v_and_b32_e32 v117, 0xffff, v183
	s_wait_dscnt 0x0
	v_lshrrev_b32_e32 v116, 16, v112
	v_and_b32_e32 v103, 0xffff, v112
	;;#ASMSTART
	v_cvt_f32_f16 v103, v103;
	;;#ASMEND
	;;#ASMSTART
	v_cvt_f32_f16 v112, v116;
	;;#ASMEND
	v_and_b32_e32 v116, 0xffff, v40
	;;#ASMSTART
	v_cvt_f32_f16 v116, v116;
	;;#ASMEND
	;;#ASMSTART
	v_cvt_f32_f16 v117, v117;
	;;#ASMEND
	s_delay_alu instid0(VALU_DEP_1)
	v_fmac_f32_e32 v80, v103, v116
	v_fmac_f32_e32 v96, v112, v117
	v_lshrrev_b32_e32 v112, 16, v113
	v_and_b32_e32 v103, 0xffff, v113
	v_and_b32_e32 v113, 0xffff, v182
	;;#ASMSTART
	v_cvt_f32_f16 v103, v103;
	;;#ASMEND
	;;#ASMSTART
	v_cvt_f32_f16 v112, v112;
	;;#ASMEND
	;;#ASMSTART
	v_cvt_f32_f16 v113, v113;
	;;#ASMEND
	v_and_b32_e32 v116, 0xffff, v165
	;;#ASMSTART
	v_cvt_f32_f16 v116, v116;
	;;#ASMEND
	s_delay_alu instid0(VALU_DEP_1)
	v_dual_fmac_f32 v98, v103, v113 :: v_dual_fmac_f32 v97, v112, v116
	v_lshrrev_b32_e32 v112, 16, v114
	v_and_b32_e32 v103, 0xffff, v114
	v_and_b32_e32 v113, 0xffff, v164
	v_and_b32_e32 v114, 0xffff, v163
	;;#ASMSTART
	v_cvt_f32_f16 v103, v103;
	;;#ASMEND
	;;#ASMSTART
	v_cvt_f32_f16 v112, v112;
	;;#ASMEND
	;; [unrolled: 3-line block ×4, first 2 shown]
	v_dual_fmac_f32 v100, v103, v113 :: v_dual_and_b32 v103, 0xffff, v115
	v_fmac_f32_e32 v99, v112, v114
	v_lshrrev_b32_e32 v112, 16, v115
	v_and_b32_e32 v113, 0xffff, v162
	v_and_b32_e32 v114, 0xffff, v161
	;;#ASMSTART
	v_cvt_f32_f16 v103, v103;
	;;#ASMEND
	;;#ASMSTART
	v_cvt_f32_f16 v112, v112;
	;;#ASMEND
	;; [unrolled: 3-line block ×4, first 2 shown]
	v_dual_fmac_f32 v102, v103, v113 :: v_dual_fmac_f32 v101, v112, v114
	ds_load_b128 v[112:115], v8 offset:96
	v_and_b32_e32 v117, 0xffff, v47
	s_wait_dscnt 0x0
	v_lshrrev_b32_e32 v116, 16, v112
	v_and_b32_e32 v103, 0xffff, v112
	;;#ASMSTART
	v_cvt_f32_f16 v103, v103;
	;;#ASMEND
	;;#ASMSTART
	v_cvt_f32_f16 v112, v116;
	;;#ASMEND
	v_and_b32_e32 v116, 0xffff, v56
	;;#ASMSTART
	v_cvt_f32_f16 v116, v116;
	;;#ASMEND
	;;#ASMSTART
	v_cvt_f32_f16 v117, v117;
	;;#ASMEND
	s_delay_alu instid0(VALU_DEP_1)
	v_fmac_f32_e32 v80, v103, v116
	v_fmac_f32_e32 v96, v112, v117
	v_lshrrev_b32_e32 v112, 16, v113
	v_and_b32_e32 v103, 0xffff, v113
	v_and_b32_e32 v113, 0xffff, v46
	;;#ASMSTART
	v_cvt_f32_f16 v103, v103;
	;;#ASMEND
	;;#ASMSTART
	v_cvt_f32_f16 v112, v112;
	;;#ASMEND
	;; [unrolled: 3-line block ×3, first 2 shown]
	v_and_b32_e32 v116, 0xffff, v181
	;;#ASMSTART
	v_cvt_f32_f16 v116, v116;
	;;#ASMEND
	s_delay_alu instid0(VALU_DEP_1)
	v_dual_fmac_f32 v98, v103, v113 :: v_dual_fmac_f32 v97, v112, v116
	v_lshrrev_b32_e32 v112, 16, v114
	v_and_b32_e32 v103, 0xffff, v114
	v_and_b32_e32 v113, 0xffff, v180
	;; [unrolled: 1-line block ×3, first 2 shown]
	;;#ASMSTART
	v_cvt_f32_f16 v103, v103;
	;;#ASMEND
	;;#ASMSTART
	v_cvt_f32_f16 v112, v112;
	;;#ASMEND
	;; [unrolled: 3-line block ×4, first 2 shown]
	v_dual_fmac_f32 v100, v103, v113 :: v_dual_and_b32 v103, 0xffff, v115
	v_fmac_f32_e32 v99, v112, v114
	v_lshrrev_b32_e32 v112, 16, v115
	v_and_b32_e32 v113, 0xffff, v178
	v_and_b32_e32 v114, 0xffff, v177
	;;#ASMSTART
	v_cvt_f32_f16 v103, v103;
	;;#ASMEND
	;;#ASMSTART
	v_cvt_f32_f16 v112, v112;
	;;#ASMEND
	;; [unrolled: 3-line block ×4, first 2 shown]
	v_dual_fmac_f32 v102, v103, v113 :: v_dual_fmac_f32 v101, v112, v114
	ds_load_b128 v[112:115], v8 offset:112
	v_and_b32_e32 v117, 0xffff, v79
	s_wait_dscnt 0x0
	v_lshrrev_b32_e32 v116, 16, v112
	v_and_b32_e32 v103, 0xffff, v112
	;;#ASMSTART
	v_cvt_f32_f16 v103, v103;
	;;#ASMEND
	;;#ASMSTART
	v_cvt_f32_f16 v112, v116;
	;;#ASMEND
	v_and_b32_e32 v116, 0xffff, v93
	;;#ASMSTART
	v_cvt_f32_f16 v116, v116;
	;;#ASMEND
	;;#ASMSTART
	v_cvt_f32_f16 v117, v117;
	;;#ASMEND
	s_delay_alu instid0(VALU_DEP_1)
	v_fmac_f32_e32 v80, v103, v116
	v_fmac_f32_e32 v96, v112, v117
	v_lshrrev_b32_e32 v112, 16, v113
	v_and_b32_e32 v103, 0xffff, v113
	v_and_b32_e32 v113, 0xffff, v78
	;;#ASMSTART
	v_cvt_f32_f16 v103, v103;
	;;#ASMEND
	;;#ASMSTART
	v_cvt_f32_f16 v112, v112;
	;;#ASMEND
	;; [unrolled: 3-line block ×3, first 2 shown]
	v_and_b32_e32 v116, 0xffff, v45
	;;#ASMSTART
	v_cvt_f32_f16 v116, v116;
	;;#ASMEND
	s_delay_alu instid0(VALU_DEP_1)
	v_dual_fmac_f32 v98, v103, v113 :: v_dual_fmac_f32 v97, v112, v116
	v_lshrrev_b32_e32 v112, 16, v114
	v_and_b32_e32 v103, 0xffff, v114
	v_and_b32_e32 v113, 0xffff, v44
	;; [unrolled: 1-line block ×3, first 2 shown]
	;;#ASMSTART
	v_cvt_f32_f16 v103, v103;
	;;#ASMEND
	;;#ASMSTART
	v_cvt_f32_f16 v112, v112;
	;;#ASMEND
	;; [unrolled: 3-line block ×4, first 2 shown]
	v_dual_fmac_f32 v100, v103, v113 :: v_dual_and_b32 v103, 0xffff, v115
	v_fmac_f32_e32 v99, v112, v114
	v_lshrrev_b32_e32 v112, 16, v115
	v_and_b32_e32 v113, 0xffff, v42
	v_and_b32_e32 v114, 0xffff, v41
	;;#ASMSTART
	v_cvt_f32_f16 v103, v103;
	;;#ASMEND
	;;#ASMSTART
	v_cvt_f32_f16 v112, v112;
	;;#ASMEND
	;; [unrolled: 3-line block ×4, first 2 shown]
	v_dual_fmac_f32 v102, v103, v113 :: v_dual_fmac_f32 v101, v112, v114
	ds_load_b128 v[112:115], v8 offset:128
	v_and_b32_e32 v117, 0xffff, v137
	s_wait_dscnt 0x0
	v_lshrrev_b32_e32 v116, 16, v112
	v_and_b32_e32 v103, 0xffff, v112
	;;#ASMSTART
	v_cvt_f32_f16 v103, v103;
	;;#ASMEND
	;;#ASMSTART
	v_cvt_f32_f16 v112, v116;
	;;#ASMEND
	v_and_b32_e32 v116, 0xffff, v142
	;;#ASMSTART
	v_cvt_f32_f16 v116, v116;
	;;#ASMEND
	;;#ASMSTART
	v_cvt_f32_f16 v117, v117;
	;;#ASMEND
	s_delay_alu instid0(VALU_DEP_1)
	v_fmac_f32_e32 v80, v103, v116
	v_fmac_f32_e32 v96, v112, v117
	v_lshrrev_b32_e32 v112, 16, v113
	v_and_b32_e32 v103, 0xffff, v113
	v_and_b32_e32 v113, 0xffff, v136
	;;#ASMSTART
	v_cvt_f32_f16 v103, v103;
	;;#ASMEND
	;;#ASMSTART
	v_cvt_f32_f16 v112, v112;
	;;#ASMEND
	;; [unrolled: 3-line block ×3, first 2 shown]
	v_and_b32_e32 v116, 0xffff, v73
	;;#ASMSTART
	v_cvt_f32_f16 v116, v116;
	;;#ASMEND
	v_dual_fmac_f32 v98, v103, v113 :: v_dual_and_b32 v103, 0xffff, v114
	s_delay_alu instid0(VALU_DEP_2)
	v_fmac_f32_e32 v97, v112, v116
	v_lshrrev_b32_e32 v112, 16, v114
	v_and_b32_e32 v113, 0xffff, v72
	v_and_b32_e32 v114, 0xffff, v59
	;;#ASMSTART
	v_cvt_f32_f16 v103, v103;
	;;#ASMEND
	;;#ASMSTART
	v_cvt_f32_f16 v112, v112;
	;;#ASMEND
	;; [unrolled: 3-line block ×4, first 2 shown]
	v_dual_fmac_f32 v100, v103, v113 :: v_dual_and_b32 v103, 0xffff, v115
	v_fmac_f32_e32 v99, v112, v114
	v_lshrrev_b32_e32 v112, 16, v115
	v_and_b32_e32 v113, 0xffff, v58
	v_and_b32_e32 v114, 0xffff, v57
	;;#ASMSTART
	v_cvt_f32_f16 v103, v103;
	;;#ASMEND
	;;#ASMSTART
	v_cvt_f32_f16 v112, v112;
	;;#ASMEND
	;;#ASMSTART
	v_cvt_f32_f16 v113, v113;
	;;#ASMEND
	;;#ASMSTART
	v_cvt_f32_f16 v114, v114;
	;;#ASMEND
	v_dual_fmac_f32 v102, v103, v113 :: v_dual_fmac_f32 v101, v112, v114
	ds_load_b128 v[112:115], v8 offset:144
	v_and_b32_e32 v117, 0xffff, v152
	s_wait_dscnt 0x0
	v_lshrrev_b32_e32 v116, 16, v112
	v_and_b32_e32 v103, 0xffff, v112
	;;#ASMSTART
	v_cvt_f32_f16 v103, v103;
	;;#ASMEND
	;;#ASMSTART
	v_cvt_f32_f16 v112, v116;
	;;#ASMEND
	v_and_b32_e32 v116, 0xffff, v153
	;;#ASMSTART
	v_cvt_f32_f16 v116, v116;
	;;#ASMEND
	;;#ASMSTART
	v_cvt_f32_f16 v117, v117;
	;;#ASMEND
	s_delay_alu instid0(VALU_DEP_1)
	v_fmac_f32_e32 v80, v103, v116
	v_fmac_f32_e32 v96, v112, v117
	v_lshrrev_b32_e32 v112, 16, v113
	v_and_b32_e32 v103, 0xffff, v113
	v_and_b32_e32 v113, 0xffff, v143
	;;#ASMSTART
	v_cvt_f32_f16 v103, v103;
	;;#ASMEND
	;;#ASMSTART
	v_cvt_f32_f16 v112, v112;
	;;#ASMEND
	;; [unrolled: 3-line block ×3, first 2 shown]
	v_and_b32_e32 v116, 0xffff, v123
	;;#ASMSTART
	v_cvt_f32_f16 v116, v116;
	;;#ASMEND
	s_delay_alu instid0(VALU_DEP_1)
	v_dual_fmac_f32 v98, v103, v113 :: v_dual_fmac_f32 v97, v112, v116
	v_lshrrev_b32_e32 v112, 16, v114
	v_and_b32_e32 v103, 0xffff, v114
	v_and_b32_e32 v113, 0xffff, v122
	;; [unrolled: 1-line block ×3, first 2 shown]
	;;#ASMSTART
	v_cvt_f32_f16 v103, v103;
	;;#ASMEND
	;;#ASMSTART
	v_cvt_f32_f16 v112, v112;
	;;#ASMEND
	;; [unrolled: 3-line block ×4, first 2 shown]
	v_dual_fmac_f32 v100, v103, v113 :: v_dual_and_b32 v103, 0xffff, v115
	v_fmac_f32_e32 v99, v112, v114
	v_lshrrev_b32_e32 v112, 16, v115
	v_and_b32_e32 v113, 0xffff, v106
	v_and_b32_e32 v114, 0xffff, v95
	;;#ASMSTART
	v_cvt_f32_f16 v103, v103;
	;;#ASMEND
	;;#ASMSTART
	v_cvt_f32_f16 v112, v112;
	;;#ASMEND
	;; [unrolled: 3-line block ×4, first 2 shown]
	v_dual_fmac_f32 v102, v103, v113 :: v_dual_fmac_f32 v101, v112, v114
	ds_load_b128 v[112:115], v8 offset:160
	v_and_b32_e32 v117, 0xffff, v140
	s_wait_dscnt 0x0
	v_lshrrev_b32_e32 v116, 16, v112
	v_and_b32_e32 v103, 0xffff, v112
	;;#ASMSTART
	v_cvt_f32_f16 v103, v103;
	;;#ASMEND
	;;#ASMSTART
	v_cvt_f32_f16 v112, v116;
	;;#ASMEND
	v_and_b32_e32 v116, 0xffff, v141
	;;#ASMSTART
	v_cvt_f32_f16 v116, v116;
	;;#ASMEND
	;;#ASMSTART
	v_cvt_f32_f16 v117, v117;
	;;#ASMEND
	s_delay_alu instid0(VALU_DEP_1)
	v_fmac_f32_e32 v80, v103, v116
	v_fmac_f32_e32 v96, v112, v117
	v_lshrrev_b32_e32 v112, 16, v113
	v_and_b32_e32 v103, 0xffff, v113
	v_and_b32_e32 v113, 0xffff, v139
	;;#ASMSTART
	v_cvt_f32_f16 v103, v103;
	;;#ASMEND
	;;#ASMSTART
	v_cvt_f32_f16 v112, v112;
	;;#ASMEND
	;; [unrolled: 3-line block ×3, first 2 shown]
	v_and_b32_e32 v116, 0xffff, v138
	;;#ASMSTART
	v_cvt_f32_f16 v116, v116;
	;;#ASMEND
	s_delay_alu instid0(VALU_DEP_1)
	v_dual_fmac_f32 v98, v103, v113 :: v_dual_fmac_f32 v97, v112, v116
	v_lshrrev_b32_e32 v112, 16, v114
	v_and_b32_e32 v103, 0xffff, v114
	v_and_b32_e32 v113, 0xffff, v127
	;; [unrolled: 1-line block ×3, first 2 shown]
	;;#ASMSTART
	v_cvt_f32_f16 v103, v103;
	;;#ASMEND
	;;#ASMSTART
	v_cvt_f32_f16 v112, v112;
	;;#ASMEND
	;; [unrolled: 3-line block ×4, first 2 shown]
	v_dual_fmac_f32 v100, v103, v113 :: v_dual_and_b32 v103, 0xffff, v115
	v_fmac_f32_e32 v99, v112, v114
	v_lshrrev_b32_e32 v112, 16, v115
	v_and_b32_e32 v113, 0xffff, v125
	v_and_b32_e32 v114, 0xffff, v124
	;;#ASMSTART
	v_cvt_f32_f16 v103, v103;
	;;#ASMEND
	;;#ASMSTART
	v_cvt_f32_f16 v112, v112;
	;;#ASMEND
	;; [unrolled: 3-line block ×4, first 2 shown]
	v_dual_fmac_f32 v102, v103, v113 :: v_dual_fmac_f32 v101, v112, v114
	ds_load_b128 v[112:115], v8 offset:176
	v_and_b32_e32 v117, 0xffff, v120
	s_wait_dscnt 0x0
	v_lshrrev_b32_e32 v116, 16, v112
	v_and_b32_e32 v103, 0xffff, v112
	;;#ASMSTART
	v_cvt_f32_f16 v103, v103;
	;;#ASMEND
	;;#ASMSTART
	v_cvt_f32_f16 v112, v116;
	;;#ASMEND
	v_and_b32_e32 v116, 0xffff, v121
	;;#ASMSTART
	v_cvt_f32_f16 v116, v116;
	;;#ASMEND
	;;#ASMSTART
	v_cvt_f32_f16 v117, v117;
	;;#ASMEND
	s_delay_alu instid0(VALU_DEP_1)
	v_fmac_f32_e32 v80, v103, v116
	v_fmac_f32_e32 v96, v112, v117
	v_lshrrev_b32_e32 v112, 16, v113
	v_and_b32_e32 v103, 0xffff, v113
	v_and_b32_e32 v113, 0xffff, v111
	;;#ASMSTART
	v_cvt_f32_f16 v103, v103;
	;;#ASMEND
	;;#ASMSTART
	v_cvt_f32_f16 v112, v112;
	;;#ASMEND
	;; [unrolled: 3-line block ×3, first 2 shown]
	v_and_b32_e32 v116, 0xffff, v110
	;;#ASMSTART
	v_cvt_f32_f16 v116, v116;
	;;#ASMEND
	s_delay_alu instid0(VALU_DEP_1)
	v_dual_fmac_f32 v98, v103, v113 :: v_dual_fmac_f32 v97, v112, v116
	v_lshrrev_b32_e32 v112, 16, v114
	v_and_b32_e32 v103, 0xffff, v114
	v_and_b32_e32 v113, 0xffff, v109
	;; [unrolled: 1-line block ×3, first 2 shown]
	;;#ASMSTART
	v_cvt_f32_f16 v103, v103;
	;;#ASMEND
	;;#ASMSTART
	v_cvt_f32_f16 v112, v112;
	;;#ASMEND
	;; [unrolled: 3-line block ×4, first 2 shown]
	v_dual_fmac_f32 v100, v103, v113 :: v_dual_and_b32 v103, 0xffff, v115
	v_fmac_f32_e32 v99, v112, v114
	v_lshrrev_b32_e32 v112, 16, v115
	v_and_b32_e32 v113, 0xffff, v105
	v_and_b32_e32 v114, 0xffff, v104
	;;#ASMSTART
	v_cvt_f32_f16 v103, v103;
	;;#ASMEND
	;;#ASMSTART
	v_cvt_f32_f16 v112, v112;
	;;#ASMEND
	;; [unrolled: 3-line block ×4, first 2 shown]
	v_dual_fmac_f32 v102, v103, v113 :: v_dual_fmac_f32 v101, v112, v114
	ds_load_b128 v[112:115], v8 offset:192
	v_and_b32_e32 v117, 0xffff, v92
	s_wait_dscnt 0x0
	v_lshrrev_b32_e32 v116, 16, v112
	v_and_b32_e32 v103, 0xffff, v112
	;;#ASMSTART
	v_cvt_f32_f16 v103, v103;
	;;#ASMEND
	;;#ASMSTART
	v_cvt_f32_f16 v112, v116;
	;;#ASMEND
	v_and_b32_e32 v116, 0xffff, v94
	;;#ASMSTART
	v_cvt_f32_f16 v116, v116;
	;;#ASMEND
	;;#ASMSTART
	v_cvt_f32_f16 v117, v117;
	;;#ASMEND
	s_delay_alu instid0(VALU_DEP_1)
	v_fmac_f32_e32 v80, v103, v116
	v_fmac_f32_e32 v96, v112, v117
	v_lshrrev_b32_e32 v112, 16, v113
	v_and_b32_e32 v103, 0xffff, v113
	v_and_b32_e32 v113, 0xffff, v91
	;;#ASMSTART
	v_cvt_f32_f16 v103, v103;
	;;#ASMEND
	;;#ASMSTART
	v_cvt_f32_f16 v112, v112;
	;;#ASMEND
	;;#ASMSTART
	v_cvt_f32_f16 v113, v113;
	;;#ASMEND
	v_and_b32_e32 v116, 0xffff, v90
	;;#ASMSTART
	v_cvt_f32_f16 v116, v116;
	;;#ASMEND
	s_delay_alu instid0(VALU_DEP_1)
	v_dual_fmac_f32 v98, v103, v113 :: v_dual_fmac_f32 v97, v112, v116
	v_lshrrev_b32_e32 v112, 16, v114
	v_and_b32_e32 v103, 0xffff, v114
	v_and_b32_e32 v113, 0xffff, v89
	;; [unrolled: 1-line block ×3, first 2 shown]
	;;#ASMSTART
	v_cvt_f32_f16 v103, v103;
	;;#ASMEND
	;;#ASMSTART
	v_cvt_f32_f16 v112, v112;
	;;#ASMEND
	;; [unrolled: 3-line block ×4, first 2 shown]
	v_dual_fmac_f32 v100, v103, v113 :: v_dual_and_b32 v103, 0xffff, v115
	v_fmac_f32_e32 v99, v112, v114
	v_lshrrev_b32_e32 v112, 16, v115
	v_and_b32_e32 v113, 0xffff, v77
	v_and_b32_e32 v114, 0xffff, v76
	;;#ASMSTART
	v_cvt_f32_f16 v103, v103;
	;;#ASMEND
	;;#ASMSTART
	v_cvt_f32_f16 v112, v112;
	;;#ASMEND
	;; [unrolled: 3-line block ×4, first 2 shown]
	v_dual_fmac_f32 v102, v103, v113 :: v_dual_fmac_f32 v101, v112, v114
	ds_load_b128 v[112:115], v8 offset:208
	v_and_b32_e32 v117, 0xffff, v74
	s_wait_dscnt 0x0
	v_lshrrev_b32_e32 v116, 16, v112
	v_and_b32_e32 v103, 0xffff, v112
	;;#ASMSTART
	v_cvt_f32_f16 v103, v103;
	;;#ASMEND
	;;#ASMSTART
	v_cvt_f32_f16 v112, v116;
	;;#ASMEND
	v_and_b32_e32 v116, 0xffff, v75
	;;#ASMSTART
	v_cvt_f32_f16 v116, v116;
	;;#ASMEND
	;;#ASMSTART
	v_cvt_f32_f16 v117, v117;
	;;#ASMEND
	s_delay_alu instid0(VALU_DEP_1)
	v_fmac_f32_e32 v80, v103, v116
	v_fmac_f32_e32 v96, v112, v117
	v_lshrrev_b32_e32 v112, 16, v113
	v_and_b32_e32 v103, 0xffff, v113
	;;#ASMSTART
	v_cvt_f32_f16 v103, v103;
	;;#ASMEND
	;;#ASMSTART
	v_cvt_f32_f16 v112, v112;
	;;#ASMEND
	v_and_b32_e32 v113, 0xffff, v63
	v_and_b32_e32 v116, 0xffff, v62
	;;#ASMSTART
	v_cvt_f32_f16 v113, v113;
	;;#ASMEND
	;;#ASMSTART
	v_cvt_f32_f16 v116, v116;
	;;#ASMEND
	s_delay_alu instid0(VALU_DEP_1)
	v_dual_fmac_f32 v98, v103, v113 :: v_dual_fmac_f32 v97, v112, v116
	v_lshrrev_b32_e32 v112, 16, v114
	v_and_b32_e32 v103, 0xffff, v114
	;;#ASMSTART
	v_cvt_f32_f16 v103, v103;
	;;#ASMEND
	;;#ASMSTART
	v_cvt_f32_f16 v112, v112;
	;;#ASMEND
	v_and_b32_e32 v113, 0xffff, v61
	v_and_b32_e32 v114, 0xffff, v60
	;;#ASMSTART
	v_cvt_f32_f16 v113, v113;
	;;#ASMEND
	;;#ASMSTART
	v_cvt_f32_f16 v114, v114;
	;;#ASMEND
	s_delay_alu instid0(VALU_DEP_2) | instskip(NEXT) | instid1(VALU_DEP_2)
	v_dual_fmac_f32 v100, v103, v113 :: v_dual_and_b32 v103, 0xffff, v115
	v_fmac_f32_e32 v99, v112, v114
	v_lshrrev_b32_e32 v112, 16, v115
	;;#ASMSTART
	v_cvt_f32_f16 v103, v103;
	;;#ASMEND
	;;#ASMSTART
	v_cvt_f32_f16 v112, v112;
	;;#ASMEND
	;; [unrolled: 3-line block ×4, first 2 shown]
	v_fmac_f32_e32 v101, v112, v29
	ds_load_b128 v[112:115], v8 offset:224
	s_wait_dscnt 0x0
	v_dual_fmac_f32 v102, v103, v31 :: v_dual_and_b32 v29, 0xffff, v112
	v_lshrrev_b32_e32 v31, 16, v112
	;;#ASMSTART
	v_cvt_f32_f16 v29, v29;
	;;#ASMEND
	;;#ASMSTART
	v_cvt_f32_f16 v31, v31;
	;;#ASMEND
	;;#ASMSTART
	v_cvt_f32_f16 v87, v87;
	;;#ASMEND
	v_dual_fmac_f32 v80, v29, v87 :: v_dual_and_b32 v29, 0xffff, v113
	;;#ASMSTART
	v_cvt_f32_f16 v86, v86;
	;;#ASMEND
	v_fmac_f32_e32 v96, v31, v86
	v_lshrrev_b32_e32 v31, 16, v113
	;;#ASMSTART
	v_cvt_f32_f16 v29, v29;
	;;#ASMEND
	;;#ASMSTART
	v_cvt_f32_f16 v31, v31;
	;;#ASMEND
	;; [unrolled: 3-line block ×3, first 2 shown]
	v_dual_fmac_f32 v98, v29, v85 :: v_dual_and_b32 v29, 0xffff, v114
	;;#ASMSTART
	v_cvt_f32_f16 v84, v84;
	;;#ASMEND
	v_fmac_f32_e32 v97, v31, v84
	v_lshrrev_b32_e32 v31, 16, v114
	;;#ASMSTART
	v_cvt_f32_f16 v29, v29;
	;;#ASMEND
	;;#ASMSTART
	v_cvt_f32_f16 v31, v31;
	;;#ASMEND
	;; [unrolled: 3-line block ×3, first 2 shown]
	v_fmac_f32_e32 v100, v29, v83
	v_and_b32_e32 v29, 0xffff, v115
	;;#ASMSTART
	v_cvt_f32_f16 v82, v82;
	;;#ASMEND
	v_fmac_f32_e32 v99, v31, v82
	v_lshrrev_b32_e32 v31, 16, v115
	;;#ASMSTART
	v_cvt_f32_f16 v29, v29;
	;;#ASMEND
	;;#ASMSTART
	v_cvt_f32_f16 v31, v31;
	;;#ASMEND
	;; [unrolled: 3-line block ×3, first 2 shown]
	v_dual_fmac_f32 v102, v29, v81 :: v_dual_add_f32 v29, v80, v96
	;;#ASMSTART
	v_cvt_f32_f16 v32, v32;
	;;#ASMEND
	v_fmac_f32_e32 v101, v31, v32
	s_delay_alu instid0(VALU_DEP_2) | instskip(NEXT) | instid1(VALU_DEP_1)
	v_add_f32_e32 v29, v29, v98
	v_add_f32_e32 v29, v97, v29
	s_delay_alu instid0(VALU_DEP_1) | instskip(NEXT) | instid1(VALU_DEP_1)
	v_add_f32_e32 v29, v29, v100
	v_add_f32_e32 v29, v99, v29
	s_delay_alu instid0(VALU_DEP_1) | instskip(NEXT) | instid1(VALU_DEP_1)
	v_add_f32_e32 v29, v29, v102
	v_add_f32_e32 v29, v101, v29
	s_delay_alu instid0(VALU_DEP_1) | instskip(SKIP_1) | instid1(VALU_DEP_1)
	v_fmac_f32_e32 v7, v13, v29
	s_wait_alu 0xf1ff
	v_cndmask_b32_e64 v29, 0, v7, s1
	ds_store_b32 v28, v29
	v_max_num_f32_e32 v28, v65, v65
	s_delay_alu instid0(VALU_DEP_1) | instskip(NEXT) | instid1(VALU_DEP_1)
	v_max_num_f32_e32 v7, v28, v7
	v_cndmask_b32_e64 v65, v65, v7, s1
.LBB290_15:                             ;   in Loop: Header=BB290_16 Depth=1
	s_wait_alu 0xfffe
	s_or_b32 exec_lo, exec_lo, s2
	v_add_nc_u32_e32 v71, 4, v71
	v_add_co_u32 v20, s2, v20, 16
	s_wait_alu 0xf1ff
	v_add_co_ci_u32_e64 v21, null, 0, v21, s2
	s_delay_alu instid0(VALU_DEP_3)
	v_cmp_ge_i32_e64 s1, v71, v49
	v_add_nc_u32_e32 v9, 0x80, v9
	v_add_nc_u32_e32 v67, 0x200, v67
	s_or_b32 s19, s1, s19
	s_wait_alu 0xfffe
	s_and_not1_b32 exec_lo, exec_lo, s19
	s_cbranch_execz .LBB290_976
.LBB290_16:                             ; =>This Inner Loop Header: Depth=1
	v_sub_nc_u32_e32 v7, 0, v9
	s_delay_alu instid0(VALU_DEP_1) | instskip(NEXT) | instid1(VALU_DEP_1)
	v_max_i32_e32 v7, v9, v7
	v_mul_hi_u32 v28, v7, v38
	s_delay_alu instid0(VALU_DEP_1) | instskip(NEXT) | instid1(VALU_DEP_1)
	v_mul_lo_u32 v29, v28, v37
	v_sub_nc_u32_e32 v7, v7, v29
	v_add_nc_u32_e32 v29, 1, v28
	s_delay_alu instid0(VALU_DEP_2) | instskip(SKIP_2) | instid1(VALU_DEP_1)
	v_sub_nc_u32_e32 v31, v7, v37
	v_cmp_ge_u32_e64 s1, v7, v37
	s_wait_alu 0xf1ff
	v_cndmask_b32_e64 v28, v28, v29, s1
	s_delay_alu instid0(VALU_DEP_3) | instskip(SKIP_1) | instid1(VALU_DEP_3)
	v_cndmask_b32_e64 v7, v7, v31, s1
	v_ashrrev_i32_e32 v29, 31, v9
	v_add_nc_u32_e32 v31, 1, v28
	s_delay_alu instid0(VALU_DEP_3) | instskip(NEXT) | instid1(VALU_DEP_3)
	v_cmp_ge_u32_e64 s1, v7, v37
	v_xor_b32_e32 v29, v29, v39
	s_wait_alu 0xf1ff
	s_delay_alu instid0(VALU_DEP_2) | instskip(NEXT) | instid1(VALU_DEP_1)
	v_cndmask_b32_e64 v7, v28, v31, s1
	v_xor_b32_e32 v7, v7, v29
	s_delay_alu instid0(VALU_DEP_1) | instskip(NEXT) | instid1(VALU_DEP_1)
	v_sub_nc_u32_e32 v7, v7, v29
	v_add_nc_u32_e32 v28, v7, v6
	v_cmp_le_i32_e64 s2, v7, v50
	s_delay_alu instid0(VALU_DEP_2) | instskip(NEXT) | instid1(VALU_DEP_1)
	v_sub_nc_u32_e32 v29, 0, v28
	v_max_i32_e32 v29, v28, v29
	v_ashrrev_i32_e32 v28, 31, v28
	s_delay_alu instid0(VALU_DEP_2) | instskip(NEXT) | instid1(VALU_DEP_1)
	v_mul_hi_u32 v31, v29, v70
	v_mul_lo_u32 v31, v31, v66
	s_delay_alu instid0(VALU_DEP_1) | instskip(NEXT) | instid1(VALU_DEP_1)
	v_sub_nc_u32_e32 v29, v29, v31
	v_sub_nc_u32_e32 v31, v29, v66
	v_cmp_ge_u32_e64 s1, v29, v66
	s_wait_alu 0xf1ff
	s_delay_alu instid0(VALU_DEP_1) | instskip(NEXT) | instid1(VALU_DEP_1)
	v_cndmask_b32_e64 v29, v29, v31, s1
	v_sub_nc_u32_e32 v31, v29, v66
	v_cmp_ge_u32_e64 s1, v29, v66
	s_wait_alu 0xf1ff
	s_delay_alu instid0(VALU_DEP_1) | instskip(NEXT) | instid1(VALU_DEP_1)
	v_cndmask_b32_e64 v29, v29, v31, s1
	v_xor_b32_e32 v29, v29, v28
	s_delay_alu instid0(VALU_DEP_1) | instskip(NEXT) | instid1(VALU_DEP_1)
	v_sub_nc_u32_e32 v28, v29, v28
	v_cmp_ne_u32_e64 s1, 0, v28
	s_and_b32 s1, s1, s2
	s_wait_alu 0xfffe
	s_and_saveexec_b32 s2, s1
	s_wait_alu 0xfffe
	s_xor_b32 s1, exec_lo, s2
	s_cbranch_execz .LBB290_18
; %bb.17:                               ;   in Loop: Header=BB290_16 Depth=1
	s_wait_kmcnt 0x0
	v_add_nc_u32_e32 v7, s7, v67
	ds_store_b32 v7, v68
.LBB290_18:                             ;   in Loop: Header=BB290_16 Depth=1
	s_wait_alu 0xfffe
	s_and_not1_saveexec_b32 s2, s1
	s_cbranch_execz .LBB290_15
; %bb.19:                               ;   in Loop: Header=BB290_16 Depth=1
	flat_load_b32 v7, v[20:21]
	v_mov_b32_e32 v81, 0
	s_mov_b32 s20, exec_lo
	v_mov_b32_e32 v82, 0
	s_wait_loadcnt_dscnt 0x0
	v_mad_co_i64_i32 v[28:29], null, v7, v22, v[18:19]
	flat_load_b64 v[31:32], v[28:29]
	flat_load_b32 v80, v[24:25]
	s_wait_loadcnt_dscnt 0x101
	v_and_b32_e32 v7, 0xff, v31
	s_delay_alu instid0(VALU_DEP_1)
	v_cmpx_ne_u16_e32 0, v7
	s_cbranch_execz .LBB290_27
; %bb.20:                               ;   in Loop: Header=BB290_16 Depth=1
	v_mov_b32_e32 v82, 0x8000
	s_mov_b32 s21, exec_lo
	v_cmpx_ne_u16_e32 0x80, v7
	s_cbranch_execz .LBB290_26
; %bb.21:                               ;   in Loop: Header=BB290_16 Depth=1
	v_and_b32_e32 v83, 0x7f, v31
	v_mov_b32_e32 v82, 0x7c01
	s_mov_b32 s22, exec_lo
	s_delay_alu instid0(VALU_DEP_2)
	v_cmpx_ne_u32_e32 0x7f, v83
	s_cbranch_execz .LBB290_25
; %bb.22:                               ;   in Loop: Header=BB290_16 Depth=1
	v_and_b32_e32 v7, 7, v31
	v_lshrrev_b32_e32 v82, 3, v83
	s_mov_b32 s23, exec_lo
	v_cmpx_gt_u32_e32 8, v83
; %bb.23:                               ;   in Loop: Header=BB290_16 Depth=1
	s_delay_alu instid0(VALU_DEP_3) | instskip(NEXT) | instid1(VALU_DEP_1)
	v_clz_i32_u32_e32 v7, v7
	v_min_u32_e32 v7, 32, v7
	s_delay_alu instid0(VALU_DEP_1) | instskip(NEXT) | instid1(VALU_DEP_1)
	v_subrev_nc_u32_e32 v82, 28, v7
	v_lshlrev_b64_e32 v[83:84], v82, v[31:32]
	v_sub_nc_u32_e32 v82, 29, v7
	s_delay_alu instid0(VALU_DEP_2)
	v_and_b32_e32 v7, 7, v83
; %bb.24:                               ;   in Loop: Header=BB290_16 Depth=1
	s_wait_alu 0xfffe
	s_or_b32 exec_lo, exec_lo, s23
	v_lshlrev_b32_e32 v83, 8, v31
	v_lshl_add_u32 v82, v82, 10, 0x2000
	v_lshlrev_b32_e32 v7, 7, v7
	s_delay_alu instid0(VALU_DEP_3) | instskip(NEXT) | instid1(VALU_DEP_3)
	v_and_b32_e32 v83, 0x8000, v83
	v_and_b32_e32 v82, 0xfc00, v82
	s_delay_alu instid0(VALU_DEP_1)
	v_or3_b32 v82, v83, v82, v7
.LBB290_25:                             ;   in Loop: Header=BB290_16 Depth=1
	s_wait_alu 0xfffe
	s_or_b32 exec_lo, exec_lo, s22
.LBB290_26:                             ;   in Loop: Header=BB290_16 Depth=1
	s_wait_alu 0xfffe
	s_or_b32 exec_lo, exec_lo, s21
.LBB290_27:                             ;   in Loop: Header=BB290_16 Depth=1
	s_wait_alu 0xfffe
	s_or_b32 exec_lo, exec_lo, s20
	v_lshrrev_b16 v7, 8, v31
	s_mov_b32 s20, exec_lo
	s_delay_alu instid0(VALU_DEP_1)
	v_cmpx_ne_u16_e32 0, v7
	s_cbranch_execz .LBB290_35
; %bb.28:                               ;   in Loop: Header=BB290_16 Depth=1
	v_bfrev_b32_e32 v81, 1
	s_mov_b32 s21, exec_lo
	v_cmpx_ne_u16_e32 0x80, v7
	s_cbranch_execz .LBB290_34
; %bb.29:                               ;   in Loop: Header=BB290_16 Depth=1
	v_and_b32_e32 v83, 0xffff, v7
	v_mov_b32_e32 v81, 0x7c010000
	s_mov_b32 s22, exec_lo
	s_delay_alu instid0(VALU_DEP_2) | instskip(NEXT) | instid1(VALU_DEP_1)
	v_and_b32_e32 v85, 0x7f, v83
	v_cmpx_ne_u32_e32 0x7f, v85
	s_cbranch_execz .LBB290_33
; %bb.30:                               ;   in Loop: Header=BB290_16 Depth=1
	v_and_b32_e32 v81, 7, v83
	v_lshrrev_b32_e32 v84, 3, v85
	s_mov_b32 s23, exec_lo
	v_cmpx_gt_u32_e32 8, v85
; %bb.31:                               ;   in Loop: Header=BB290_16 Depth=1
	s_delay_alu instid0(VALU_DEP_3) | instskip(NEXT) | instid1(VALU_DEP_1)
	v_clz_i32_u32_e32 v81, v81
	v_min_u32_e32 v81, 32, v81
	s_delay_alu instid0(VALU_DEP_1) | instskip(NEXT) | instid1(VALU_DEP_1)
	v_subrev_nc_u32_e32 v84, 28, v81
	v_lshlrev_b64_e32 v[85:86], v84, v[7:8]
	v_sub_nc_u32_e32 v84, 29, v81
	s_delay_alu instid0(VALU_DEP_2)
	v_and_b32_e32 v81, 7, v85
; %bb.32:                               ;   in Loop: Header=BB290_16 Depth=1
	s_wait_alu 0xfffe
	s_or_b32 exec_lo, exec_lo, s23
	v_lshlrev_b32_e32 v7, 8, v83
	v_lshl_add_u32 v83, v84, 10, 0x2000
	v_lshlrev_b32_e32 v81, 23, v81
	s_delay_alu instid0(VALU_DEP_2) | instskip(NEXT) | instid1(VALU_DEP_1)
	v_and_or_b32 v7, 0x8000, v7, v83
	v_lshl_or_b32 v81, v7, 16, v81
.LBB290_33:                             ;   in Loop: Header=BB290_16 Depth=1
	s_wait_alu 0xfffe
	s_or_b32 exec_lo, exec_lo, s22
.LBB290_34:                             ;   in Loop: Header=BB290_16 Depth=1
	s_wait_alu 0xfffe
	s_or_b32 exec_lo, exec_lo, s21
.LBB290_35:                             ;   in Loop: Header=BB290_16 Depth=1
	s_wait_alu 0xfffe
	s_or_b32 exec_lo, exec_lo, s20
	v_lshrrev_b32_e32 v7, 16, v31
	v_mov_b32_e32 v83, 0
	s_mov_b32 s20, exec_lo
	s_delay_alu instid0(VALU_DEP_2) | instskip(NEXT) | instid1(VALU_DEP_1)
	v_dual_mov_b32 v84, 0 :: v_dual_and_b32 v85, 0xff, v7
	v_cmpx_ne_u16_e32 0, v85
	s_cbranch_execz .LBB290_43
; %bb.36:                               ;   in Loop: Header=BB290_16 Depth=1
	v_mov_b32_e32 v84, 0x8000
	s_mov_b32 s21, exec_lo
	v_cmpx_ne_u16_e32 0x80, v85
	s_cbranch_execz .LBB290_42
; %bb.37:                               ;   in Loop: Header=BB290_16 Depth=1
	v_bfe_u32 v86, v31, 16, 7
	v_mov_b32_e32 v84, 0x7c01
	s_mov_b32 s22, exec_lo
	s_delay_alu instid0(VALU_DEP_2)
	v_cmpx_ne_u32_e32 0x7f, v86
	s_cbranch_execz .LBB290_41
; %bb.38:                               ;   in Loop: Header=BB290_16 Depth=1
	v_and_b32_e32 v84, 7, v7
	v_lshrrev_b32_e32 v85, 3, v86
	s_mov_b32 s23, exec_lo
	v_cmpx_gt_u32_e32 8, v86
; %bb.39:                               ;   in Loop: Header=BB290_16 Depth=1
	s_delay_alu instid0(VALU_DEP_3) | instskip(NEXT) | instid1(VALU_DEP_1)
	v_clz_i32_u32_e32 v84, v84
	v_min_u32_e32 v86, 32, v84
	s_delay_alu instid0(VALU_DEP_1) | instskip(NEXT) | instid1(VALU_DEP_1)
	v_subrev_nc_u32_e32 v84, 28, v86
	v_lshlrev_b64_e32 v[84:85], v84, v[7:8]
	v_sub_nc_u32_e32 v85, 29, v86
	s_delay_alu instid0(VALU_DEP_2)
	v_and_b32_e32 v84, 7, v84
; %bb.40:                               ;   in Loop: Header=BB290_16 Depth=1
	s_wait_alu 0xfffe
	s_or_b32 exec_lo, exec_lo, s23
	v_lshlrev_b32_e32 v7, 8, v7
	v_lshl_add_u32 v85, v85, 10, 0x2000
	v_lshlrev_b32_e32 v84, 7, v84
	s_delay_alu instid0(VALU_DEP_3) | instskip(NEXT) | instid1(VALU_DEP_3)
	v_and_b32_e32 v7, 0x8000, v7
	v_and_b32_e32 v85, 0xfc00, v85
	s_delay_alu instid0(VALU_DEP_1)
	v_or3_b32 v84, v7, v85, v84
.LBB290_41:                             ;   in Loop: Header=BB290_16 Depth=1
	s_wait_alu 0xfffe
	s_or_b32 exec_lo, exec_lo, s22
.LBB290_42:                             ;   in Loop: Header=BB290_16 Depth=1
	s_wait_alu 0xfffe
	s_or_b32 exec_lo, exec_lo, s21
.LBB290_43:                             ;   in Loop: Header=BB290_16 Depth=1
	s_wait_alu 0xfffe
	s_or_b32 exec_lo, exec_lo, s20
	s_delay_alu instid0(SALU_CYCLE_1)
	s_mov_b32 s20, exec_lo
	v_cmpx_lt_u32_e32 0xffffff, v31
	s_cbranch_execz .LBB290_51
; %bb.44:                               ;   in Loop: Header=BB290_16 Depth=1
	v_lshrrev_b32_e32 v7, 24, v31
	v_bfrev_b32_e32 v83, 1
	s_mov_b32 s21, exec_lo
	s_delay_alu instid0(VALU_DEP_2)
	v_cmpx_ne_u32_e32 0x80, v7
	s_cbranch_execz .LBB290_50
; %bb.45:                               ;   in Loop: Header=BB290_16 Depth=1
	v_and_b32_e32 v86, 0x7f, v7
	v_mov_b32_e32 v83, 0x7c010000
	s_mov_b32 s22, exec_lo
	s_delay_alu instid0(VALU_DEP_2)
	v_cmpx_ne_u32_e32 0x7f, v86
	s_cbranch_execz .LBB290_49
; %bb.46:                               ;   in Loop: Header=BB290_16 Depth=1
	v_and_b32_e32 v83, 7, v7
	v_lshrrev_b32_e32 v85, 3, v86
	s_mov_b32 s23, exec_lo
	v_cmpx_gt_u32_e32 8, v86
; %bb.47:                               ;   in Loop: Header=BB290_16 Depth=1
	s_delay_alu instid0(VALU_DEP_3) | instskip(NEXT) | instid1(VALU_DEP_1)
	v_clz_i32_u32_e32 v83, v83
	v_min_u32_e32 v83, 32, v83
	s_delay_alu instid0(VALU_DEP_1) | instskip(NEXT) | instid1(VALU_DEP_1)
	v_subrev_nc_u32_e32 v85, 28, v83
	v_lshlrev_b64_e32 v[86:87], v85, v[7:8]
	v_sub_nc_u32_e32 v85, 29, v83
	s_delay_alu instid0(VALU_DEP_2)
	v_and_b32_e32 v83, 7, v86
; %bb.48:                               ;   in Loop: Header=BB290_16 Depth=1
	s_wait_alu 0xfffe
	s_or_b32 exec_lo, exec_lo, s23
	v_lshlrev_b32_e32 v7, 8, v7
	v_lshl_add_u32 v85, v85, 10, 0x2000
	v_lshlrev_b32_e32 v83, 23, v83
	s_delay_alu instid0(VALU_DEP_2) | instskip(NEXT) | instid1(VALU_DEP_1)
	v_and_or_b32 v7, 0x8000, v7, v85
	v_lshl_or_b32 v83, v7, 16, v83
.LBB290_49:                             ;   in Loop: Header=BB290_16 Depth=1
	s_wait_alu 0xfffe
	s_or_b32 exec_lo, exec_lo, s22
.LBB290_50:                             ;   in Loop: Header=BB290_16 Depth=1
	s_wait_alu 0xfffe
	s_or_b32 exec_lo, exec_lo, s21
.LBB290_51:                             ;   in Loop: Header=BB290_16 Depth=1
	s_wait_alu 0xfffe
	s_or_b32 exec_lo, exec_lo, s20
	v_dual_mov_b32 v86, 0 :: v_dual_and_b32 v87, 0xff, v32
	v_mov_b32_e32 v7, v32
	v_mov_b32_e32 v85, 0
	s_mov_b32 s20, exec_lo
	s_delay_alu instid0(VALU_DEP_3)
	v_cmpx_ne_u16_e32 0, v87
	s_cbranch_execz .LBB290_59
; %bb.52:                               ;   in Loop: Header=BB290_16 Depth=1
	v_mov_b32_e32 v86, 0x8000
	s_mov_b32 s21, exec_lo
	v_cmpx_ne_u16_e32 0x80, v87
	s_cbranch_execz .LBB290_58
; %bb.53:                               ;   in Loop: Header=BB290_16 Depth=1
	v_and_b32_e32 v96, 0x7f, v32
	v_mov_b32_e32 v86, 0x7c01
	s_mov_b32 s22, exec_lo
	s_delay_alu instid0(VALU_DEP_2)
	v_cmpx_ne_u32_e32 0x7f, v96
	s_cbranch_execz .LBB290_57
; %bb.54:                               ;   in Loop: Header=BB290_16 Depth=1
	v_and_b32_e32 v86, 7, v32
	v_lshrrev_b32_e32 v87, 3, v96
	s_mov_b32 s23, exec_lo
	v_cmpx_gt_u32_e32 8, v96
; %bb.55:                               ;   in Loop: Header=BB290_16 Depth=1
	s_delay_alu instid0(VALU_DEP_3) | instskip(NEXT) | instid1(VALU_DEP_1)
	v_clz_i32_u32_e32 v86, v86
	v_min_u32_e32 v96, 32, v86
	s_delay_alu instid0(VALU_DEP_1) | instskip(NEXT) | instid1(VALU_DEP_1)
	v_subrev_nc_u32_e32 v86, 28, v96
	v_lshlrev_b64_e32 v[86:87], v86, v[7:8]
	v_sub_nc_u32_e32 v87, 29, v96
	s_delay_alu instid0(VALU_DEP_2)
	v_and_b32_e32 v86, 7, v86
; %bb.56:                               ;   in Loop: Header=BB290_16 Depth=1
	s_wait_alu 0xfffe
	s_or_b32 exec_lo, exec_lo, s23
	v_lshlrev_b32_e32 v96, 8, v32
	v_lshl_add_u32 v87, v87, 10, 0x2000
	v_lshlrev_b32_e32 v86, 7, v86
	s_delay_alu instid0(VALU_DEP_3) | instskip(NEXT) | instid1(VALU_DEP_3)
	v_and_b32_e32 v96, 0x8000, v96
	v_and_b32_e32 v87, 0xfc00, v87
	s_delay_alu instid0(VALU_DEP_1)
	v_or3_b32 v86, v96, v87, v86
.LBB290_57:                             ;   in Loop: Header=BB290_16 Depth=1
	s_wait_alu 0xfffe
	s_or_b32 exec_lo, exec_lo, s22
.LBB290_58:                             ;   in Loop: Header=BB290_16 Depth=1
	s_wait_alu 0xfffe
	s_or_b32 exec_lo, exec_lo, s21
.LBB290_59:                             ;   in Loop: Header=BB290_16 Depth=1
	s_wait_alu 0xfffe
	s_or_b32 exec_lo, exec_lo, s20
	v_lshrrev_b16 v7, 8, v7
	v_mov_b32_e32 v87, 0
	s_mov_b32 s20, exec_lo
	s_delay_alu instid0(VALU_DEP_2)
	v_cmpx_ne_u16_e32 0, v7
	s_cbranch_execz .LBB290_67
; %bb.60:                               ;   in Loop: Header=BB290_16 Depth=1
	v_bfrev_b32_e32 v87, 1
	s_mov_b32 s21, exec_lo
	v_cmpx_ne_u16_e32 0x80, v7
	s_cbranch_execz .LBB290_66
; %bb.61:                               ;   in Loop: Header=BB290_16 Depth=1
	v_and_b32_e32 v96, 0xffff, v7
	v_mov_b32_e32 v87, 0x7c010000
	s_mov_b32 s22, exec_lo
	s_delay_alu instid0(VALU_DEP_2) | instskip(NEXT) | instid1(VALU_DEP_1)
	v_and_b32_e32 v98, 0x7f, v96
	v_cmpx_ne_u32_e32 0x7f, v98
	s_cbranch_execz .LBB290_65
; %bb.62:                               ;   in Loop: Header=BB290_16 Depth=1
	v_and_b32_e32 v87, 7, v96
	v_lshrrev_b32_e32 v97, 3, v98
	s_mov_b32 s23, exec_lo
	v_cmpx_gt_u32_e32 8, v98
; %bb.63:                               ;   in Loop: Header=BB290_16 Depth=1
	s_delay_alu instid0(VALU_DEP_3) | instskip(NEXT) | instid1(VALU_DEP_1)
	v_clz_i32_u32_e32 v87, v87
	v_min_u32_e32 v87, 32, v87
	s_delay_alu instid0(VALU_DEP_1) | instskip(NEXT) | instid1(VALU_DEP_1)
	v_subrev_nc_u32_e32 v97, 28, v87
	v_lshlrev_b64_e32 v[98:99], v97, v[7:8]
	v_sub_nc_u32_e32 v97, 29, v87
	s_delay_alu instid0(VALU_DEP_2)
	v_and_b32_e32 v87, 7, v98
; %bb.64:                               ;   in Loop: Header=BB290_16 Depth=1
	s_wait_alu 0xfffe
	s_or_b32 exec_lo, exec_lo, s23
	v_lshlrev_b32_e32 v7, 8, v96
	v_lshl_add_u32 v96, v97, 10, 0x2000
	v_lshlrev_b32_e32 v87, 23, v87
	s_delay_alu instid0(VALU_DEP_2) | instskip(NEXT) | instid1(VALU_DEP_1)
	v_and_or_b32 v7, 0x8000, v7, v96
	v_lshl_or_b32 v87, v7, 16, v87
.LBB290_65:                             ;   in Loop: Header=BB290_16 Depth=1
	s_wait_alu 0xfffe
	s_or_b32 exec_lo, exec_lo, s22
.LBB290_66:                             ;   in Loop: Header=BB290_16 Depth=1
	s_wait_alu 0xfffe
	s_or_b32 exec_lo, exec_lo, s21
.LBB290_67:                             ;   in Loop: Header=BB290_16 Depth=1
	s_wait_alu 0xfffe
	s_or_b32 exec_lo, exec_lo, s20
	v_lshrrev_b32_e32 v7, 16, v32
	s_mov_b32 s20, exec_lo
	s_delay_alu instid0(VALU_DEP_1) | instskip(NEXT) | instid1(VALU_DEP_1)
	v_and_b32_e32 v96, 0xff, v7
	v_cmpx_ne_u16_e32 0, v96
	s_cbranch_execz .LBB290_75
; %bb.68:                               ;   in Loop: Header=BB290_16 Depth=1
	v_mov_b32_e32 v85, 0x8000
	s_mov_b32 s21, exec_lo
	v_cmpx_ne_u16_e32 0x80, v96
	s_cbranch_execz .LBB290_74
; %bb.69:                               ;   in Loop: Header=BB290_16 Depth=1
	v_bfe_u32 v97, v32, 16, 7
	v_mov_b32_e32 v85, 0x7c01
	s_mov_b32 s22, exec_lo
	s_delay_alu instid0(VALU_DEP_2)
	v_cmpx_ne_u32_e32 0x7f, v97
	s_cbranch_execz .LBB290_73
; %bb.70:                               ;   in Loop: Header=BB290_16 Depth=1
	v_and_b32_e32 v85, 7, v7
	v_lshrrev_b32_e32 v96, 3, v97
	s_mov_b32 s23, exec_lo
	v_cmpx_gt_u32_e32 8, v97
; %bb.71:                               ;   in Loop: Header=BB290_16 Depth=1
	s_delay_alu instid0(VALU_DEP_3) | instskip(NEXT) | instid1(VALU_DEP_1)
	v_clz_i32_u32_e32 v85, v85
	v_min_u32_e32 v85, 32, v85
	s_delay_alu instid0(VALU_DEP_1) | instskip(NEXT) | instid1(VALU_DEP_1)
	v_subrev_nc_u32_e32 v96, 28, v85
	v_lshlrev_b64_e32 v[97:98], v96, v[7:8]
	v_sub_nc_u32_e32 v96, 29, v85
	s_delay_alu instid0(VALU_DEP_2)
	v_and_b32_e32 v85, 7, v97
; %bb.72:                               ;   in Loop: Header=BB290_16 Depth=1
	s_wait_alu 0xfffe
	s_or_b32 exec_lo, exec_lo, s23
	v_lshlrev_b32_e32 v7, 8, v7
	v_lshl_add_u32 v96, v96, 10, 0x2000
	v_lshlrev_b32_e32 v85, 7, v85
	s_delay_alu instid0(VALU_DEP_3) | instskip(NEXT) | instid1(VALU_DEP_3)
	v_and_b32_e32 v7, 0x8000, v7
	v_and_b32_e32 v96, 0xfc00, v96
	s_delay_alu instid0(VALU_DEP_1)
	v_or3_b32 v85, v7, v96, v85
.LBB290_73:                             ;   in Loop: Header=BB290_16 Depth=1
	s_wait_alu 0xfffe
	s_or_b32 exec_lo, exec_lo, s22
.LBB290_74:                             ;   in Loop: Header=BB290_16 Depth=1
	s_wait_alu 0xfffe
	s_or_b32 exec_lo, exec_lo, s21
.LBB290_75:                             ;   in Loop: Header=BB290_16 Depth=1
	s_wait_alu 0xfffe
	s_or_b32 exec_lo, exec_lo, s20
	v_dual_mov_b32 v97, 0 :: v_dual_mov_b32 v96, 0
	s_mov_b32 s20, exec_lo
	v_cmpx_lt_u64_e64 s[10:11], v[31:32]
	s_cbranch_execz .LBB290_83
; %bb.76:                               ;   in Loop: Header=BB290_16 Depth=1
	v_lshrrev_b32_e32 v7, 24, v32
	v_bfrev_b32_e32 v96, 1
	s_mov_b32 s21, exec_lo
	s_delay_alu instid0(VALU_DEP_2)
	v_cmpx_ne_u32_e32 0x80, v7
	s_cbranch_execz .LBB290_82
; %bb.77:                               ;   in Loop: Header=BB290_16 Depth=1
	v_and_b32_e32 v98, 0x7f, v7
	v_mov_b32_e32 v96, 0x7c010000
	s_mov_b32 s22, exec_lo
	s_delay_alu instid0(VALU_DEP_2)
	v_cmpx_ne_u32_e32 0x7f, v98
	s_cbranch_execz .LBB290_81
; %bb.78:                               ;   in Loop: Header=BB290_16 Depth=1
	v_and_b32_e32 v31, 7, v7
	v_lshrrev_b32_e32 v32, 3, v98
	s_mov_b32 s23, exec_lo
	v_cmpx_gt_u32_e32 8, v98
; %bb.79:                               ;   in Loop: Header=BB290_16 Depth=1
	s_delay_alu instid0(VALU_DEP_3) | instskip(NEXT) | instid1(VALU_DEP_1)
	v_clz_i32_u32_e32 v31, v31
	v_min_u32_e32 v96, 32, v31
	s_delay_alu instid0(VALU_DEP_1) | instskip(NEXT) | instid1(VALU_DEP_1)
	v_subrev_nc_u32_e32 v31, 28, v96
	v_lshlrev_b64_e32 v[31:32], v31, v[7:8]
	v_sub_nc_u32_e32 v32, 29, v96
	s_delay_alu instid0(VALU_DEP_2)
	v_and_b32_e32 v31, 7, v31
; %bb.80:                               ;   in Loop: Header=BB290_16 Depth=1
	s_wait_alu 0xfffe
	s_or_b32 exec_lo, exec_lo, s23
	v_lshlrev_b32_e32 v7, 8, v7
	v_lshl_add_u32 v32, v32, 10, 0x2000
	v_lshlrev_b32_e32 v31, 23, v31
	s_delay_alu instid0(VALU_DEP_2) | instskip(NEXT) | instid1(VALU_DEP_1)
	v_and_or_b32 v7, 0x8000, v7, v32
	v_lshl_or_b32 v96, v7, 16, v31
.LBB290_81:                             ;   in Loop: Header=BB290_16 Depth=1
	s_wait_alu 0xfffe
	s_or_b32 exec_lo, exec_lo, s22
.LBB290_82:                             ;   in Loop: Header=BB290_16 Depth=1
	s_wait_alu 0xfffe
	s_or_b32 exec_lo, exec_lo, s21
.LBB290_83:                             ;   in Loop: Header=BB290_16 Depth=1
	s_wait_alu 0xfffe
	s_or_b32 exec_lo, exec_lo, s20
	flat_load_b64 v[31:32], v[28:29] offset:8
	s_mov_b32 s20, exec_lo
	s_wait_loadcnt_dscnt 0x0
	v_and_b32_e32 v7, 0xff, v31
	s_delay_alu instid0(VALU_DEP_1)
	v_cmpx_ne_u16_e32 0, v7
	s_cbranch_execz .LBB290_91
; %bb.84:                               ;   in Loop: Header=BB290_16 Depth=1
	v_mov_b32_e32 v97, 0x8000
	s_mov_b32 s21, exec_lo
	v_cmpx_ne_u16_e32 0x80, v7
	s_cbranch_execz .LBB290_90
; %bb.85:                               ;   in Loop: Header=BB290_16 Depth=1
	v_and_b32_e32 v98, 0x7f, v31
	v_mov_b32_e32 v97, 0x7c01
	s_mov_b32 s22, exec_lo
	s_delay_alu instid0(VALU_DEP_2)
	v_cmpx_ne_u32_e32 0x7f, v98
	s_cbranch_execz .LBB290_89
; %bb.86:                               ;   in Loop: Header=BB290_16 Depth=1
	v_and_b32_e32 v7, 7, v31
	v_lshrrev_b32_e32 v97, 3, v98
	s_mov_b32 s23, exec_lo
	v_cmpx_gt_u32_e32 8, v98
; %bb.87:                               ;   in Loop: Header=BB290_16 Depth=1
	s_delay_alu instid0(VALU_DEP_3) | instskip(NEXT) | instid1(VALU_DEP_1)
	v_clz_i32_u32_e32 v7, v7
	v_min_u32_e32 v7, 32, v7
	s_delay_alu instid0(VALU_DEP_1) | instskip(NEXT) | instid1(VALU_DEP_1)
	v_subrev_nc_u32_e32 v97, 28, v7
	v_lshlrev_b64_e32 v[98:99], v97, v[31:32]
	v_sub_nc_u32_e32 v97, 29, v7
	s_delay_alu instid0(VALU_DEP_2)
	v_and_b32_e32 v7, 7, v98
; %bb.88:                               ;   in Loop: Header=BB290_16 Depth=1
	s_wait_alu 0xfffe
	s_or_b32 exec_lo, exec_lo, s23
	v_lshlrev_b32_e32 v98, 8, v31
	v_lshl_add_u32 v97, v97, 10, 0x2000
	v_lshlrev_b32_e32 v7, 7, v7
	s_delay_alu instid0(VALU_DEP_3) | instskip(NEXT) | instid1(VALU_DEP_3)
	v_and_b32_e32 v98, 0x8000, v98
	v_and_b32_e32 v97, 0xfc00, v97
	s_delay_alu instid0(VALU_DEP_1)
	v_or3_b32 v97, v98, v97, v7
.LBB290_89:                             ;   in Loop: Header=BB290_16 Depth=1
	s_wait_alu 0xfffe
	s_or_b32 exec_lo, exec_lo, s22
.LBB290_90:                             ;   in Loop: Header=BB290_16 Depth=1
	s_wait_alu 0xfffe
	s_or_b32 exec_lo, exec_lo, s21
.LBB290_91:                             ;   in Loop: Header=BB290_16 Depth=1
	s_wait_alu 0xfffe
	s_or_b32 exec_lo, exec_lo, s20
	v_lshrrev_b16 v7, 8, v31
	v_dual_mov_b32 v99, 0 :: v_dual_mov_b32 v98, 0
	s_mov_b32 s20, exec_lo
	s_delay_alu instid0(VALU_DEP_2)
	v_cmpx_ne_u16_e32 0, v7
	s_cbranch_execz .LBB290_99
; %bb.92:                               ;   in Loop: Header=BB290_16 Depth=1
	v_bfrev_b32_e32 v98, 1
	s_mov_b32 s21, exec_lo
	v_cmpx_ne_u16_e32 0x80, v7
	s_cbranch_execz .LBB290_98
; %bb.93:                               ;   in Loop: Header=BB290_16 Depth=1
	v_and_b32_e32 v100, 0xffff, v7
	v_mov_b32_e32 v98, 0x7c010000
	s_mov_b32 s22, exec_lo
	s_delay_alu instid0(VALU_DEP_2) | instskip(NEXT) | instid1(VALU_DEP_1)
	v_and_b32_e32 v102, 0x7f, v100
	v_cmpx_ne_u32_e32 0x7f, v102
	s_cbranch_execz .LBB290_97
; %bb.94:                               ;   in Loop: Header=BB290_16 Depth=1
	v_and_b32_e32 v98, 7, v100
	v_lshrrev_b32_e32 v101, 3, v102
	s_mov_b32 s23, exec_lo
	v_cmpx_gt_u32_e32 8, v102
; %bb.95:                               ;   in Loop: Header=BB290_16 Depth=1
	s_delay_alu instid0(VALU_DEP_3) | instskip(NEXT) | instid1(VALU_DEP_1)
	v_clz_i32_u32_e32 v98, v98
	v_min_u32_e32 v98, 32, v98
	s_delay_alu instid0(VALU_DEP_1) | instskip(NEXT) | instid1(VALU_DEP_1)
	v_subrev_nc_u32_e32 v101, 28, v98
	v_lshlrev_b64_e32 v[102:103], v101, v[7:8]
	v_sub_nc_u32_e32 v101, 29, v98
	s_delay_alu instid0(VALU_DEP_2)
	v_and_b32_e32 v98, 7, v102
; %bb.96:                               ;   in Loop: Header=BB290_16 Depth=1
	s_wait_alu 0xfffe
	s_or_b32 exec_lo, exec_lo, s23
	v_lshlrev_b32_e32 v7, 8, v100
	v_lshl_add_u32 v100, v101, 10, 0x2000
	v_lshlrev_b32_e32 v98, 23, v98
	s_delay_alu instid0(VALU_DEP_2) | instskip(NEXT) | instid1(VALU_DEP_1)
	v_and_or_b32 v7, 0x8000, v7, v100
	v_lshl_or_b32 v98, v7, 16, v98
.LBB290_97:                             ;   in Loop: Header=BB290_16 Depth=1
	s_wait_alu 0xfffe
	s_or_b32 exec_lo, exec_lo, s22
.LBB290_98:                             ;   in Loop: Header=BB290_16 Depth=1
	s_wait_alu 0xfffe
	s_or_b32 exec_lo, exec_lo, s21
.LBB290_99:                             ;   in Loop: Header=BB290_16 Depth=1
	s_wait_alu 0xfffe
	s_or_b32 exec_lo, exec_lo, s20
	v_lshrrev_b32_e32 v7, 16, v31
	s_mov_b32 s20, exec_lo
	s_delay_alu instid0(VALU_DEP_1) | instskip(NEXT) | instid1(VALU_DEP_1)
	v_and_b32_e32 v100, 0xff, v7
	v_cmpx_ne_u16_e32 0, v100
	s_cbranch_execz .LBB290_107
; %bb.100:                              ;   in Loop: Header=BB290_16 Depth=1
	v_mov_b32_e32 v99, 0x8000
	s_mov_b32 s21, exec_lo
	v_cmpx_ne_u16_e32 0x80, v100
	s_cbranch_execz .LBB290_106
; %bb.101:                              ;   in Loop: Header=BB290_16 Depth=1
	v_bfe_u32 v101, v31, 16, 7
	v_mov_b32_e32 v99, 0x7c01
	s_mov_b32 s22, exec_lo
	s_delay_alu instid0(VALU_DEP_2)
	v_cmpx_ne_u32_e32 0x7f, v101
	s_cbranch_execz .LBB290_105
; %bb.102:                              ;   in Loop: Header=BB290_16 Depth=1
	v_and_b32_e32 v99, 7, v7
	v_lshrrev_b32_e32 v100, 3, v101
	s_mov_b32 s23, exec_lo
	v_cmpx_gt_u32_e32 8, v101
; %bb.103:                              ;   in Loop: Header=BB290_16 Depth=1
	s_delay_alu instid0(VALU_DEP_3) | instskip(NEXT) | instid1(VALU_DEP_1)
	v_clz_i32_u32_e32 v99, v99
	v_min_u32_e32 v101, 32, v99
	s_delay_alu instid0(VALU_DEP_1) | instskip(NEXT) | instid1(VALU_DEP_1)
	v_subrev_nc_u32_e32 v99, 28, v101
	v_lshlrev_b64_e32 v[99:100], v99, v[7:8]
	v_sub_nc_u32_e32 v100, 29, v101
	s_delay_alu instid0(VALU_DEP_2)
	v_and_b32_e32 v99, 7, v99
; %bb.104:                              ;   in Loop: Header=BB290_16 Depth=1
	s_wait_alu 0xfffe
	s_or_b32 exec_lo, exec_lo, s23
	v_lshlrev_b32_e32 v7, 8, v7
	v_lshl_add_u32 v100, v100, 10, 0x2000
	v_lshlrev_b32_e32 v99, 7, v99
	s_delay_alu instid0(VALU_DEP_3) | instskip(NEXT) | instid1(VALU_DEP_3)
	v_and_b32_e32 v7, 0x8000, v7
	v_and_b32_e32 v100, 0xfc00, v100
	s_delay_alu instid0(VALU_DEP_1)
	v_or3_b32 v99, v7, v100, v99
.LBB290_105:                            ;   in Loop: Header=BB290_16 Depth=1
	s_wait_alu 0xfffe
	s_or_b32 exec_lo, exec_lo, s22
.LBB290_106:                            ;   in Loop: Header=BB290_16 Depth=1
	s_wait_alu 0xfffe
	s_or_b32 exec_lo, exec_lo, s21
.LBB290_107:                            ;   in Loop: Header=BB290_16 Depth=1
	s_wait_alu 0xfffe
	s_or_b32 exec_lo, exec_lo, s20
	v_dual_mov_b32 v100, 0 :: v_dual_mov_b32 v101, 0
	s_mov_b32 s20, exec_lo
	v_cmpx_lt_u32_e32 0xffffff, v31
	s_cbranch_execz .LBB290_115
; %bb.108:                              ;   in Loop: Header=BB290_16 Depth=1
	v_lshrrev_b32_e32 v7, 24, v31
	v_bfrev_b32_e32 v101, 1
	s_mov_b32 s21, exec_lo
	s_delay_alu instid0(VALU_DEP_2)
	v_cmpx_ne_u32_e32 0x80, v7
	s_cbranch_execz .LBB290_114
; %bb.109:                              ;   in Loop: Header=BB290_16 Depth=1
	v_and_b32_e32 v103, 0x7f, v7
	v_mov_b32_e32 v101, 0x7c010000
	s_mov_b32 s22, exec_lo
	s_delay_alu instid0(VALU_DEP_2)
	v_cmpx_ne_u32_e32 0x7f, v103
	s_cbranch_execz .LBB290_113
; %bb.110:                              ;   in Loop: Header=BB290_16 Depth=1
	v_and_b32_e32 v101, 7, v7
	v_lshrrev_b32_e32 v102, 3, v103
	s_mov_b32 s23, exec_lo
	v_cmpx_gt_u32_e32 8, v103
; %bb.111:                              ;   in Loop: Header=BB290_16 Depth=1
	s_delay_alu instid0(VALU_DEP_3) | instskip(NEXT) | instid1(VALU_DEP_1)
	v_clz_i32_u32_e32 v101, v101
	v_min_u32_e32 v103, 32, v101
	s_delay_alu instid0(VALU_DEP_1) | instskip(NEXT) | instid1(VALU_DEP_1)
	v_subrev_nc_u32_e32 v101, 28, v103
	v_lshlrev_b64_e32 v[101:102], v101, v[7:8]
	v_sub_nc_u32_e32 v102, 29, v103
	s_delay_alu instid0(VALU_DEP_2)
	v_and_b32_e32 v101, 7, v101
; %bb.112:                              ;   in Loop: Header=BB290_16 Depth=1
	s_wait_alu 0xfffe
	s_or_b32 exec_lo, exec_lo, s23
	v_lshlrev_b32_e32 v7, 8, v7
	v_lshl_add_u32 v102, v102, 10, 0x2000
	v_lshlrev_b32_e32 v101, 23, v101
	s_delay_alu instid0(VALU_DEP_2) | instskip(NEXT) | instid1(VALU_DEP_1)
	v_and_or_b32 v7, 0x8000, v7, v102
	v_lshl_or_b32 v101, v7, 16, v101
.LBB290_113:                            ;   in Loop: Header=BB290_16 Depth=1
	s_wait_alu 0xfffe
	s_or_b32 exec_lo, exec_lo, s22
.LBB290_114:                            ;   in Loop: Header=BB290_16 Depth=1
	s_wait_alu 0xfffe
	s_or_b32 exec_lo, exec_lo, s21
.LBB290_115:                            ;   in Loop: Header=BB290_16 Depth=1
	s_wait_alu 0xfffe
	s_or_b32 exec_lo, exec_lo, s20
	v_dual_mov_b32 v7, v32 :: v_dual_and_b32 v102, 0xff, v32
	s_mov_b32 s20, exec_lo
	s_delay_alu instid0(VALU_DEP_1)
	v_cmpx_ne_u16_e32 0, v102
	s_cbranch_execz .LBB290_123
; %bb.116:                              ;   in Loop: Header=BB290_16 Depth=1
	v_mov_b32_e32 v100, 0x8000
	s_mov_b32 s21, exec_lo
	v_cmpx_ne_u16_e32 0x80, v102
	s_cbranch_execz .LBB290_122
; %bb.117:                              ;   in Loop: Header=BB290_16 Depth=1
	v_and_b32_e32 v103, 0x7f, v32
	v_mov_b32_e32 v100, 0x7c01
	s_mov_b32 s22, exec_lo
	s_delay_alu instid0(VALU_DEP_2)
	v_cmpx_ne_u32_e32 0x7f, v103
	s_cbranch_execz .LBB290_121
; %bb.118:                              ;   in Loop: Header=BB290_16 Depth=1
	v_and_b32_e32 v100, 7, v32
	v_lshrrev_b32_e32 v102, 3, v103
	s_mov_b32 s23, exec_lo
	v_cmpx_gt_u32_e32 8, v103
; %bb.119:                              ;   in Loop: Header=BB290_16 Depth=1
	s_delay_alu instid0(VALU_DEP_3) | instskip(NEXT) | instid1(VALU_DEP_1)
	v_clz_i32_u32_e32 v100, v100
	v_min_u32_e32 v100, 32, v100
	s_delay_alu instid0(VALU_DEP_1) | instskip(NEXT) | instid1(VALU_DEP_1)
	v_subrev_nc_u32_e32 v102, 28, v100
	v_lshlrev_b64_e32 v[112:113], v102, v[7:8]
	v_sub_nc_u32_e32 v102, 29, v100
	s_delay_alu instid0(VALU_DEP_2)
	v_and_b32_e32 v100, 7, v112
; %bb.120:                              ;   in Loop: Header=BB290_16 Depth=1
	s_wait_alu 0xfffe
	s_or_b32 exec_lo, exec_lo, s23
	v_lshlrev_b32_e32 v103, 8, v32
	v_lshl_add_u32 v102, v102, 10, 0x2000
	v_lshlrev_b32_e32 v100, 7, v100
	s_delay_alu instid0(VALU_DEP_3) | instskip(NEXT) | instid1(VALU_DEP_3)
	v_and_b32_e32 v103, 0x8000, v103
	v_and_b32_e32 v102, 0xfc00, v102
	s_delay_alu instid0(VALU_DEP_1)
	v_or3_b32 v100, v103, v102, v100
.LBB290_121:                            ;   in Loop: Header=BB290_16 Depth=1
	s_wait_alu 0xfffe
	s_or_b32 exec_lo, exec_lo, s22
.LBB290_122:                            ;   in Loop: Header=BB290_16 Depth=1
	s_wait_alu 0xfffe
	s_or_b32 exec_lo, exec_lo, s21
.LBB290_123:                            ;   in Loop: Header=BB290_16 Depth=1
	s_wait_alu 0xfffe
	s_or_b32 exec_lo, exec_lo, s20
	v_lshrrev_b16 v7, 8, v7
	v_dual_mov_b32 v102, 0 :: v_dual_mov_b32 v103, 0
	s_mov_b32 s20, exec_lo
	s_delay_alu instid0(VALU_DEP_2)
	v_cmpx_ne_u16_e32 0, v7
	s_cbranch_execz .LBB290_131
; %bb.124:                              ;   in Loop: Header=BB290_16 Depth=1
	v_bfrev_b32_e32 v103, 1
	s_mov_b32 s21, exec_lo
	v_cmpx_ne_u16_e32 0x80, v7
	s_cbranch_execz .LBB290_130
; %bb.125:                              ;   in Loop: Header=BB290_16 Depth=1
	v_and_b32_e32 v112, 0xffff, v7
	v_mov_b32_e32 v103, 0x7c010000
	s_mov_b32 s22, exec_lo
	s_delay_alu instid0(VALU_DEP_2) | instskip(NEXT) | instid1(VALU_DEP_1)
	v_and_b32_e32 v114, 0x7f, v112
	v_cmpx_ne_u32_e32 0x7f, v114
	s_cbranch_execz .LBB290_129
; %bb.126:                              ;   in Loop: Header=BB290_16 Depth=1
	v_and_b32_e32 v103, 7, v112
	v_lshrrev_b32_e32 v113, 3, v114
	s_mov_b32 s23, exec_lo
	v_cmpx_gt_u32_e32 8, v114
; %bb.127:                              ;   in Loop: Header=BB290_16 Depth=1
	s_delay_alu instid0(VALU_DEP_3) | instskip(NEXT) | instid1(VALU_DEP_1)
	v_clz_i32_u32_e32 v103, v103
	v_min_u32_e32 v103, 32, v103
	s_delay_alu instid0(VALU_DEP_1) | instskip(NEXT) | instid1(VALU_DEP_1)
	v_subrev_nc_u32_e32 v113, 28, v103
	v_lshlrev_b64_e32 v[114:115], v113, v[7:8]
	v_sub_nc_u32_e32 v113, 29, v103
	s_delay_alu instid0(VALU_DEP_2)
	v_and_b32_e32 v103, 7, v114
; %bb.128:                              ;   in Loop: Header=BB290_16 Depth=1
	s_wait_alu 0xfffe
	s_or_b32 exec_lo, exec_lo, s23
	v_lshlrev_b32_e32 v7, 8, v112
	v_lshl_add_u32 v112, v113, 10, 0x2000
	v_lshlrev_b32_e32 v103, 23, v103
	s_delay_alu instid0(VALU_DEP_2) | instskip(NEXT) | instid1(VALU_DEP_1)
	v_and_or_b32 v7, 0x8000, v7, v112
	v_lshl_or_b32 v103, v7, 16, v103
.LBB290_129:                            ;   in Loop: Header=BB290_16 Depth=1
	s_wait_alu 0xfffe
	s_or_b32 exec_lo, exec_lo, s22
.LBB290_130:                            ;   in Loop: Header=BB290_16 Depth=1
	s_wait_alu 0xfffe
	s_or_b32 exec_lo, exec_lo, s21
.LBB290_131:                            ;   in Loop: Header=BB290_16 Depth=1
	s_wait_alu 0xfffe
	s_or_b32 exec_lo, exec_lo, s20
	v_lshrrev_b32_e32 v7, 16, v32
	s_mov_b32 s20, exec_lo
	s_delay_alu instid0(VALU_DEP_1) | instskip(NEXT) | instid1(VALU_DEP_1)
	v_and_b32_e32 v112, 0xff, v7
	v_cmpx_ne_u16_e32 0, v112
	s_cbranch_execz .LBB290_139
; %bb.132:                              ;   in Loop: Header=BB290_16 Depth=1
	v_mov_b32_e32 v102, 0x8000
	s_mov_b32 s21, exec_lo
	v_cmpx_ne_u16_e32 0x80, v112
	s_cbranch_execz .LBB290_138
; %bb.133:                              ;   in Loop: Header=BB290_16 Depth=1
	v_bfe_u32 v113, v32, 16, 7
	v_mov_b32_e32 v102, 0x7c01
	s_mov_b32 s22, exec_lo
	s_delay_alu instid0(VALU_DEP_2)
	v_cmpx_ne_u32_e32 0x7f, v113
	s_cbranch_execz .LBB290_137
; %bb.134:                              ;   in Loop: Header=BB290_16 Depth=1
	v_and_b32_e32 v102, 7, v7
	v_lshrrev_b32_e32 v112, 3, v113
	s_mov_b32 s23, exec_lo
	v_cmpx_gt_u32_e32 8, v113
; %bb.135:                              ;   in Loop: Header=BB290_16 Depth=1
	s_delay_alu instid0(VALU_DEP_3) | instskip(NEXT) | instid1(VALU_DEP_1)
	v_clz_i32_u32_e32 v102, v102
	v_min_u32_e32 v102, 32, v102
	s_delay_alu instid0(VALU_DEP_1) | instskip(NEXT) | instid1(VALU_DEP_1)
	v_subrev_nc_u32_e32 v112, 28, v102
	v_lshlrev_b64_e32 v[113:114], v112, v[7:8]
	v_sub_nc_u32_e32 v112, 29, v102
	s_delay_alu instid0(VALU_DEP_2)
	v_and_b32_e32 v102, 7, v113
; %bb.136:                              ;   in Loop: Header=BB290_16 Depth=1
	s_wait_alu 0xfffe
	s_or_b32 exec_lo, exec_lo, s23
	v_lshlrev_b32_e32 v7, 8, v7
	v_lshl_add_u32 v112, v112, 10, 0x2000
	v_lshlrev_b32_e32 v102, 7, v102
	s_delay_alu instid0(VALU_DEP_3) | instskip(NEXT) | instid1(VALU_DEP_3)
	v_and_b32_e32 v7, 0x8000, v7
	v_and_b32_e32 v112, 0xfc00, v112
	s_delay_alu instid0(VALU_DEP_1)
	v_or3_b32 v102, v7, v112, v102
.LBB290_137:                            ;   in Loop: Header=BB290_16 Depth=1
	s_wait_alu 0xfffe
	s_or_b32 exec_lo, exec_lo, s22
.LBB290_138:                            ;   in Loop: Header=BB290_16 Depth=1
	s_wait_alu 0xfffe
	s_or_b32 exec_lo, exec_lo, s21
.LBB290_139:                            ;   in Loop: Header=BB290_16 Depth=1
	s_wait_alu 0xfffe
	s_or_b32 exec_lo, exec_lo, s20
	v_dual_mov_b32 v113, 0 :: v_dual_mov_b32 v112, 0
	s_mov_b32 s20, exec_lo
	v_cmpx_lt_u64_e64 s[10:11], v[31:32]
	s_cbranch_execz .LBB290_147
; %bb.140:                              ;   in Loop: Header=BB290_16 Depth=1
	v_lshrrev_b32_e32 v7, 24, v32
	v_bfrev_b32_e32 v112, 1
	s_mov_b32 s21, exec_lo
	s_delay_alu instid0(VALU_DEP_2)
	v_cmpx_ne_u32_e32 0x80, v7
	s_cbranch_execz .LBB290_146
; %bb.141:                              ;   in Loop: Header=BB290_16 Depth=1
	v_and_b32_e32 v114, 0x7f, v7
	v_mov_b32_e32 v112, 0x7c010000
	s_mov_b32 s22, exec_lo
	s_delay_alu instid0(VALU_DEP_2)
	v_cmpx_ne_u32_e32 0x7f, v114
	s_cbranch_execz .LBB290_145
; %bb.142:                              ;   in Loop: Header=BB290_16 Depth=1
	v_and_b32_e32 v31, 7, v7
	v_lshrrev_b32_e32 v32, 3, v114
	s_mov_b32 s23, exec_lo
	v_cmpx_gt_u32_e32 8, v114
; %bb.143:                              ;   in Loop: Header=BB290_16 Depth=1
	s_delay_alu instid0(VALU_DEP_3) | instskip(NEXT) | instid1(VALU_DEP_1)
	v_clz_i32_u32_e32 v31, v31
	v_min_u32_e32 v112, 32, v31
	s_delay_alu instid0(VALU_DEP_1) | instskip(NEXT) | instid1(VALU_DEP_1)
	v_subrev_nc_u32_e32 v31, 28, v112
	v_lshlrev_b64_e32 v[31:32], v31, v[7:8]
	v_sub_nc_u32_e32 v32, 29, v112
	s_delay_alu instid0(VALU_DEP_2)
	v_and_b32_e32 v31, 7, v31
; %bb.144:                              ;   in Loop: Header=BB290_16 Depth=1
	s_wait_alu 0xfffe
	s_or_b32 exec_lo, exec_lo, s23
	v_lshlrev_b32_e32 v7, 8, v7
	v_lshl_add_u32 v32, v32, 10, 0x2000
	v_lshlrev_b32_e32 v31, 23, v31
	s_delay_alu instid0(VALU_DEP_2) | instskip(NEXT) | instid1(VALU_DEP_1)
	v_and_or_b32 v7, 0x8000, v7, v32
	v_lshl_or_b32 v112, v7, 16, v31
.LBB290_145:                            ;   in Loop: Header=BB290_16 Depth=1
	s_wait_alu 0xfffe
	s_or_b32 exec_lo, exec_lo, s22
.LBB290_146:                            ;   in Loop: Header=BB290_16 Depth=1
	s_wait_alu 0xfffe
	s_or_b32 exec_lo, exec_lo, s21
.LBB290_147:                            ;   in Loop: Header=BB290_16 Depth=1
	s_wait_alu 0xfffe
	s_or_b32 exec_lo, exec_lo, s20
	flat_load_b64 v[31:32], v[28:29] offset:512
	s_mov_b32 s20, exec_lo
	s_wait_loadcnt_dscnt 0x0
	v_and_b32_e32 v7, 0xff, v31
	s_delay_alu instid0(VALU_DEP_1)
	v_cmpx_ne_u16_e32 0, v7
	s_cbranch_execz .LBB290_155
; %bb.148:                              ;   in Loop: Header=BB290_16 Depth=1
	v_mov_b32_e32 v113, 0x8000
	s_mov_b32 s21, exec_lo
	v_cmpx_ne_u16_e32 0x80, v7
	s_cbranch_execz .LBB290_154
; %bb.149:                              ;   in Loop: Header=BB290_16 Depth=1
	v_and_b32_e32 v114, 0x7f, v31
	v_mov_b32_e32 v113, 0x7c01
	s_mov_b32 s22, exec_lo
	s_delay_alu instid0(VALU_DEP_2)
	v_cmpx_ne_u32_e32 0x7f, v114
	s_cbranch_execz .LBB290_153
; %bb.150:                              ;   in Loop: Header=BB290_16 Depth=1
	v_and_b32_e32 v7, 7, v31
	v_lshrrev_b32_e32 v113, 3, v114
	s_mov_b32 s23, exec_lo
	v_cmpx_gt_u32_e32 8, v114
; %bb.151:                              ;   in Loop: Header=BB290_16 Depth=1
	s_delay_alu instid0(VALU_DEP_3) | instskip(NEXT) | instid1(VALU_DEP_1)
	v_clz_i32_u32_e32 v7, v7
	v_min_u32_e32 v7, 32, v7
	s_delay_alu instid0(VALU_DEP_1) | instskip(NEXT) | instid1(VALU_DEP_1)
	v_subrev_nc_u32_e32 v113, 28, v7
	v_lshlrev_b64_e32 v[114:115], v113, v[31:32]
	v_sub_nc_u32_e32 v113, 29, v7
	s_delay_alu instid0(VALU_DEP_2)
	v_and_b32_e32 v7, 7, v114
; %bb.152:                              ;   in Loop: Header=BB290_16 Depth=1
	s_wait_alu 0xfffe
	s_or_b32 exec_lo, exec_lo, s23
	v_lshlrev_b32_e32 v114, 8, v31
	v_lshl_add_u32 v113, v113, 10, 0x2000
	v_lshlrev_b32_e32 v7, 7, v7
	s_delay_alu instid0(VALU_DEP_3) | instskip(NEXT) | instid1(VALU_DEP_3)
	v_and_b32_e32 v114, 0x8000, v114
	v_and_b32_e32 v113, 0xfc00, v113
	s_delay_alu instid0(VALU_DEP_1)
	v_or3_b32 v113, v114, v113, v7
.LBB290_153:                            ;   in Loop: Header=BB290_16 Depth=1
	s_wait_alu 0xfffe
	s_or_b32 exec_lo, exec_lo, s22
.LBB290_154:                            ;   in Loop: Header=BB290_16 Depth=1
	s_wait_alu 0xfffe
	s_or_b32 exec_lo, exec_lo, s21
.LBB290_155:                            ;   in Loop: Header=BB290_16 Depth=1
	s_wait_alu 0xfffe
	s_or_b32 exec_lo, exec_lo, s20
	v_lshrrev_b16 v7, 8, v31
	v_dual_mov_b32 v115, 0 :: v_dual_mov_b32 v114, 0
	s_mov_b32 s20, exec_lo
	s_delay_alu instid0(VALU_DEP_2)
	v_cmpx_ne_u16_e32 0, v7
	s_cbranch_execz .LBB290_163
; %bb.156:                              ;   in Loop: Header=BB290_16 Depth=1
	v_bfrev_b32_e32 v114, 1
	s_mov_b32 s21, exec_lo
	v_cmpx_ne_u16_e32 0x80, v7
	s_cbranch_execz .LBB290_162
; %bb.157:                              ;   in Loop: Header=BB290_16 Depth=1
	v_and_b32_e32 v116, 0xffff, v7
	v_mov_b32_e32 v114, 0x7c010000
	s_mov_b32 s22, exec_lo
	s_delay_alu instid0(VALU_DEP_2) | instskip(NEXT) | instid1(VALU_DEP_1)
	v_and_b32_e32 v118, 0x7f, v116
	v_cmpx_ne_u32_e32 0x7f, v118
	s_cbranch_execz .LBB290_161
; %bb.158:                              ;   in Loop: Header=BB290_16 Depth=1
	v_and_b32_e32 v114, 7, v116
	v_lshrrev_b32_e32 v117, 3, v118
	s_mov_b32 s23, exec_lo
	v_cmpx_gt_u32_e32 8, v118
; %bb.159:                              ;   in Loop: Header=BB290_16 Depth=1
	s_delay_alu instid0(VALU_DEP_3) | instskip(NEXT) | instid1(VALU_DEP_1)
	v_clz_i32_u32_e32 v114, v114
	v_min_u32_e32 v114, 32, v114
	s_delay_alu instid0(VALU_DEP_1) | instskip(NEXT) | instid1(VALU_DEP_1)
	v_subrev_nc_u32_e32 v117, 28, v114
	v_lshlrev_b64_e32 v[118:119], v117, v[7:8]
	v_sub_nc_u32_e32 v117, 29, v114
	s_delay_alu instid0(VALU_DEP_2)
	v_and_b32_e32 v114, 7, v118
; %bb.160:                              ;   in Loop: Header=BB290_16 Depth=1
	s_wait_alu 0xfffe
	s_or_b32 exec_lo, exec_lo, s23
	v_lshlrev_b32_e32 v7, 8, v116
	v_lshl_add_u32 v116, v117, 10, 0x2000
	v_lshlrev_b32_e32 v114, 23, v114
	s_delay_alu instid0(VALU_DEP_2) | instskip(NEXT) | instid1(VALU_DEP_1)
	v_and_or_b32 v7, 0x8000, v7, v116
	v_lshl_or_b32 v114, v7, 16, v114
.LBB290_161:                            ;   in Loop: Header=BB290_16 Depth=1
	s_wait_alu 0xfffe
	s_or_b32 exec_lo, exec_lo, s22
.LBB290_162:                            ;   in Loop: Header=BB290_16 Depth=1
	s_wait_alu 0xfffe
	s_or_b32 exec_lo, exec_lo, s21
.LBB290_163:                            ;   in Loop: Header=BB290_16 Depth=1
	s_wait_alu 0xfffe
	s_or_b32 exec_lo, exec_lo, s20
	v_lshrrev_b32_e32 v7, 16, v31
	s_mov_b32 s20, exec_lo
	s_delay_alu instid0(VALU_DEP_1) | instskip(NEXT) | instid1(VALU_DEP_1)
	v_and_b32_e32 v116, 0xff, v7
	v_cmpx_ne_u16_e32 0, v116
	s_cbranch_execz .LBB290_171
; %bb.164:                              ;   in Loop: Header=BB290_16 Depth=1
	v_mov_b32_e32 v115, 0x8000
	s_mov_b32 s21, exec_lo
	v_cmpx_ne_u16_e32 0x80, v116
	s_cbranch_execz .LBB290_170
; %bb.165:                              ;   in Loop: Header=BB290_16 Depth=1
	v_bfe_u32 v117, v31, 16, 7
	v_mov_b32_e32 v115, 0x7c01
	s_mov_b32 s22, exec_lo
	s_delay_alu instid0(VALU_DEP_2)
	v_cmpx_ne_u32_e32 0x7f, v117
	s_cbranch_execz .LBB290_169
; %bb.166:                              ;   in Loop: Header=BB290_16 Depth=1
	v_and_b32_e32 v115, 7, v7
	v_lshrrev_b32_e32 v116, 3, v117
	s_mov_b32 s23, exec_lo
	v_cmpx_gt_u32_e32 8, v117
; %bb.167:                              ;   in Loop: Header=BB290_16 Depth=1
	s_delay_alu instid0(VALU_DEP_3) | instskip(NEXT) | instid1(VALU_DEP_1)
	v_clz_i32_u32_e32 v115, v115
	v_min_u32_e32 v117, 32, v115
	s_delay_alu instid0(VALU_DEP_1) | instskip(NEXT) | instid1(VALU_DEP_1)
	v_subrev_nc_u32_e32 v115, 28, v117
	v_lshlrev_b64_e32 v[115:116], v115, v[7:8]
	v_sub_nc_u32_e32 v116, 29, v117
	s_delay_alu instid0(VALU_DEP_2)
	v_and_b32_e32 v115, 7, v115
; %bb.168:                              ;   in Loop: Header=BB290_16 Depth=1
	s_wait_alu 0xfffe
	s_or_b32 exec_lo, exec_lo, s23
	v_lshlrev_b32_e32 v7, 8, v7
	v_lshl_add_u32 v116, v116, 10, 0x2000
	v_lshlrev_b32_e32 v115, 7, v115
	s_delay_alu instid0(VALU_DEP_3) | instskip(NEXT) | instid1(VALU_DEP_3)
	v_and_b32_e32 v7, 0x8000, v7
	v_and_b32_e32 v116, 0xfc00, v116
	s_delay_alu instid0(VALU_DEP_1)
	v_or3_b32 v115, v7, v116, v115
.LBB290_169:                            ;   in Loop: Header=BB290_16 Depth=1
	s_wait_alu 0xfffe
	s_or_b32 exec_lo, exec_lo, s22
.LBB290_170:                            ;   in Loop: Header=BB290_16 Depth=1
	s_wait_alu 0xfffe
	s_or_b32 exec_lo, exec_lo, s21
.LBB290_171:                            ;   in Loop: Header=BB290_16 Depth=1
	s_wait_alu 0xfffe
	s_or_b32 exec_lo, exec_lo, s20
	v_dual_mov_b32 v116, 0 :: v_dual_mov_b32 v117, 0
	s_mov_b32 s20, exec_lo
	v_cmpx_lt_u32_e32 0xffffff, v31
	s_cbranch_execz .LBB290_179
; %bb.172:                              ;   in Loop: Header=BB290_16 Depth=1
	v_lshrrev_b32_e32 v7, 24, v31
	v_bfrev_b32_e32 v117, 1
	s_mov_b32 s21, exec_lo
	s_delay_alu instid0(VALU_DEP_2)
	v_cmpx_ne_u32_e32 0x80, v7
	s_cbranch_execz .LBB290_178
; %bb.173:                              ;   in Loop: Header=BB290_16 Depth=1
	v_and_b32_e32 v119, 0x7f, v7
	v_mov_b32_e32 v117, 0x7c010000
	s_mov_b32 s22, exec_lo
	s_delay_alu instid0(VALU_DEP_2)
	v_cmpx_ne_u32_e32 0x7f, v119
	s_cbranch_execz .LBB290_177
; %bb.174:                              ;   in Loop: Header=BB290_16 Depth=1
	v_and_b32_e32 v117, 7, v7
	v_lshrrev_b32_e32 v118, 3, v119
	s_mov_b32 s23, exec_lo
	v_cmpx_gt_u32_e32 8, v119
; %bb.175:                              ;   in Loop: Header=BB290_16 Depth=1
	s_delay_alu instid0(VALU_DEP_3) | instskip(NEXT) | instid1(VALU_DEP_1)
	v_clz_i32_u32_e32 v117, v117
	v_min_u32_e32 v119, 32, v117
	s_delay_alu instid0(VALU_DEP_1) | instskip(NEXT) | instid1(VALU_DEP_1)
	v_subrev_nc_u32_e32 v117, 28, v119
	v_lshlrev_b64_e32 v[117:118], v117, v[7:8]
	v_sub_nc_u32_e32 v118, 29, v119
	s_delay_alu instid0(VALU_DEP_2)
	v_and_b32_e32 v117, 7, v117
; %bb.176:                              ;   in Loop: Header=BB290_16 Depth=1
	s_wait_alu 0xfffe
	s_or_b32 exec_lo, exec_lo, s23
	v_lshlrev_b32_e32 v7, 8, v7
	v_lshl_add_u32 v118, v118, 10, 0x2000
	v_lshlrev_b32_e32 v117, 23, v117
	s_delay_alu instid0(VALU_DEP_2) | instskip(NEXT) | instid1(VALU_DEP_1)
	v_and_or_b32 v7, 0x8000, v7, v118
	v_lshl_or_b32 v117, v7, 16, v117
.LBB290_177:                            ;   in Loop: Header=BB290_16 Depth=1
	s_wait_alu 0xfffe
	s_or_b32 exec_lo, exec_lo, s22
.LBB290_178:                            ;   in Loop: Header=BB290_16 Depth=1
	s_wait_alu 0xfffe
	s_or_b32 exec_lo, exec_lo, s21
.LBB290_179:                            ;   in Loop: Header=BB290_16 Depth=1
	s_wait_alu 0xfffe
	s_or_b32 exec_lo, exec_lo, s20
	v_dual_mov_b32 v7, v32 :: v_dual_and_b32 v118, 0xff, v32
	s_mov_b32 s20, exec_lo
	s_delay_alu instid0(VALU_DEP_1)
	v_cmpx_ne_u16_e32 0, v118
	s_cbranch_execz .LBB290_187
; %bb.180:                              ;   in Loop: Header=BB290_16 Depth=1
	v_mov_b32_e32 v116, 0x8000
	s_mov_b32 s21, exec_lo
	v_cmpx_ne_u16_e32 0x80, v118
	s_cbranch_execz .LBB290_186
; %bb.181:                              ;   in Loop: Header=BB290_16 Depth=1
	v_and_b32_e32 v119, 0x7f, v32
	v_mov_b32_e32 v116, 0x7c01
	s_mov_b32 s22, exec_lo
	s_delay_alu instid0(VALU_DEP_2)
	v_cmpx_ne_u32_e32 0x7f, v119
	s_cbranch_execz .LBB290_185
; %bb.182:                              ;   in Loop: Header=BB290_16 Depth=1
	v_and_b32_e32 v116, 7, v32
	v_lshrrev_b32_e32 v118, 3, v119
	s_mov_b32 s23, exec_lo
	v_cmpx_gt_u32_e32 8, v119
; %bb.183:                              ;   in Loop: Header=BB290_16 Depth=1
	s_delay_alu instid0(VALU_DEP_3) | instskip(NEXT) | instid1(VALU_DEP_1)
	v_clz_i32_u32_e32 v116, v116
	v_min_u32_e32 v116, 32, v116
	s_delay_alu instid0(VALU_DEP_1) | instskip(NEXT) | instid1(VALU_DEP_1)
	v_subrev_nc_u32_e32 v118, 28, v116
	v_lshlrev_b64_e32 v[128:129], v118, v[7:8]
	v_sub_nc_u32_e32 v118, 29, v116
	s_delay_alu instid0(VALU_DEP_2)
	v_and_b32_e32 v116, 7, v128
; %bb.184:                              ;   in Loop: Header=BB290_16 Depth=1
	s_wait_alu 0xfffe
	s_or_b32 exec_lo, exec_lo, s23
	v_lshlrev_b32_e32 v119, 8, v32
	v_lshl_add_u32 v118, v118, 10, 0x2000
	v_lshlrev_b32_e32 v116, 7, v116
	s_delay_alu instid0(VALU_DEP_3) | instskip(NEXT) | instid1(VALU_DEP_3)
	v_and_b32_e32 v119, 0x8000, v119
	v_and_b32_e32 v118, 0xfc00, v118
	s_delay_alu instid0(VALU_DEP_1)
	v_or3_b32 v116, v119, v118, v116
.LBB290_185:                            ;   in Loop: Header=BB290_16 Depth=1
	s_wait_alu 0xfffe
	s_or_b32 exec_lo, exec_lo, s22
.LBB290_186:                            ;   in Loop: Header=BB290_16 Depth=1
	s_wait_alu 0xfffe
	s_or_b32 exec_lo, exec_lo, s21
.LBB290_187:                            ;   in Loop: Header=BB290_16 Depth=1
	s_wait_alu 0xfffe
	s_or_b32 exec_lo, exec_lo, s20
	v_lshrrev_b16 v7, 8, v7
	v_dual_mov_b32 v118, 0 :: v_dual_mov_b32 v119, 0
	s_mov_b32 s20, exec_lo
	s_delay_alu instid0(VALU_DEP_2)
	v_cmpx_ne_u16_e32 0, v7
	s_cbranch_execz .LBB290_195
; %bb.188:                              ;   in Loop: Header=BB290_16 Depth=1
	v_bfrev_b32_e32 v119, 1
	s_mov_b32 s21, exec_lo
	v_cmpx_ne_u16_e32 0x80, v7
	s_cbranch_execz .LBB290_194
; %bb.189:                              ;   in Loop: Header=BB290_16 Depth=1
	v_and_b32_e32 v128, 0xffff, v7
	v_mov_b32_e32 v119, 0x7c010000
	s_mov_b32 s22, exec_lo
	s_delay_alu instid0(VALU_DEP_2) | instskip(NEXT) | instid1(VALU_DEP_1)
	v_and_b32_e32 v130, 0x7f, v128
	v_cmpx_ne_u32_e32 0x7f, v130
	s_cbranch_execz .LBB290_193
; %bb.190:                              ;   in Loop: Header=BB290_16 Depth=1
	v_and_b32_e32 v119, 7, v128
	v_lshrrev_b32_e32 v129, 3, v130
	s_mov_b32 s23, exec_lo
	v_cmpx_gt_u32_e32 8, v130
; %bb.191:                              ;   in Loop: Header=BB290_16 Depth=1
	s_delay_alu instid0(VALU_DEP_3) | instskip(NEXT) | instid1(VALU_DEP_1)
	v_clz_i32_u32_e32 v119, v119
	v_min_u32_e32 v119, 32, v119
	s_delay_alu instid0(VALU_DEP_1) | instskip(NEXT) | instid1(VALU_DEP_1)
	v_subrev_nc_u32_e32 v129, 28, v119
	v_lshlrev_b64_e32 v[130:131], v129, v[7:8]
	v_sub_nc_u32_e32 v129, 29, v119
	s_delay_alu instid0(VALU_DEP_2)
	v_and_b32_e32 v119, 7, v130
; %bb.192:                              ;   in Loop: Header=BB290_16 Depth=1
	s_wait_alu 0xfffe
	s_or_b32 exec_lo, exec_lo, s23
	v_lshlrev_b32_e32 v7, 8, v128
	v_lshl_add_u32 v128, v129, 10, 0x2000
	v_lshlrev_b32_e32 v119, 23, v119
	s_delay_alu instid0(VALU_DEP_2) | instskip(NEXT) | instid1(VALU_DEP_1)
	v_and_or_b32 v7, 0x8000, v7, v128
	v_lshl_or_b32 v119, v7, 16, v119
.LBB290_193:                            ;   in Loop: Header=BB290_16 Depth=1
	s_wait_alu 0xfffe
	s_or_b32 exec_lo, exec_lo, s22
.LBB290_194:                            ;   in Loop: Header=BB290_16 Depth=1
	s_wait_alu 0xfffe
	s_or_b32 exec_lo, exec_lo, s21
.LBB290_195:                            ;   in Loop: Header=BB290_16 Depth=1
	s_wait_alu 0xfffe
	s_or_b32 exec_lo, exec_lo, s20
	v_lshrrev_b32_e32 v7, 16, v32
	s_mov_b32 s20, exec_lo
	s_delay_alu instid0(VALU_DEP_1) | instskip(NEXT) | instid1(VALU_DEP_1)
	v_and_b32_e32 v128, 0xff, v7
	v_cmpx_ne_u16_e64 0, v128
	s_cbranch_execz .LBB290_203
; %bb.196:                              ;   in Loop: Header=BB290_16 Depth=1
	v_mov_b32_e32 v118, 0x8000
	s_mov_b32 s21, exec_lo
	v_cmpx_ne_u16_e64 0x80, v128
	s_cbranch_execz .LBB290_202
; %bb.197:                              ;   in Loop: Header=BB290_16 Depth=1
	v_bfe_u32 v129, v32, 16, 7
	v_mov_b32_e32 v118, 0x7c01
	s_mov_b32 s22, exec_lo
	s_delay_alu instid0(VALU_DEP_2)
	v_cmpx_ne_u32_e32 0x7f, v129
	s_cbranch_execz .LBB290_201
; %bb.198:                              ;   in Loop: Header=BB290_16 Depth=1
	v_and_b32_e32 v118, 7, v7
	v_lshrrev_b32_e32 v128, 3, v129
	s_mov_b32 s23, exec_lo
	v_cmpx_gt_u32_e32 8, v129
; %bb.199:                              ;   in Loop: Header=BB290_16 Depth=1
	s_delay_alu instid0(VALU_DEP_3) | instskip(NEXT) | instid1(VALU_DEP_1)
	v_clz_i32_u32_e32 v118, v118
	v_min_u32_e32 v118, 32, v118
	s_delay_alu instid0(VALU_DEP_1) | instskip(NEXT) | instid1(VALU_DEP_1)
	v_subrev_nc_u32_e32 v128, 28, v118
	v_lshlrev_b64_e32 v[129:130], v128, v[7:8]
	v_sub_nc_u32_e32 v128, 29, v118
	s_delay_alu instid0(VALU_DEP_2)
	v_and_b32_e32 v118, 7, v129
; %bb.200:                              ;   in Loop: Header=BB290_16 Depth=1
	s_wait_alu 0xfffe
	s_or_b32 exec_lo, exec_lo, s23
	v_lshlrev_b32_e32 v7, 8, v7
	v_lshl_add_u32 v128, v128, 10, 0x2000
	v_lshlrev_b32_e32 v118, 7, v118
	s_delay_alu instid0(VALU_DEP_3) | instskip(NEXT) | instid1(VALU_DEP_3)
	v_and_b32_e32 v7, 0x8000, v7
	v_and_b32_e32 v128, 0xfc00, v128
	s_delay_alu instid0(VALU_DEP_1)
	v_or3_b32 v118, v7, v128, v118
.LBB290_201:                            ;   in Loop: Header=BB290_16 Depth=1
	s_wait_alu 0xfffe
	s_or_b32 exec_lo, exec_lo, s22
.LBB290_202:                            ;   in Loop: Header=BB290_16 Depth=1
	s_wait_alu 0xfffe
	s_or_b32 exec_lo, exec_lo, s21
.LBB290_203:                            ;   in Loop: Header=BB290_16 Depth=1
	s_wait_alu 0xfffe
	s_or_b32 exec_lo, exec_lo, s20
	v_dual_mov_b32 v129, 0 :: v_dual_mov_b32 v128, 0
	s_mov_b32 s20, exec_lo
	v_cmpx_lt_u64_e64 s[10:11], v[31:32]
	s_cbranch_execz .LBB290_211
; %bb.204:                              ;   in Loop: Header=BB290_16 Depth=1
	v_lshrrev_b32_e32 v7, 24, v32
	v_bfrev_b32_e32 v128, 1
	s_mov_b32 s21, exec_lo
	s_delay_alu instid0(VALU_DEP_2)
	v_cmpx_ne_u32_e32 0x80, v7
	s_cbranch_execz .LBB290_210
; %bb.205:                              ;   in Loop: Header=BB290_16 Depth=1
	v_and_b32_e32 v130, 0x7f, v7
	v_mov_b32_e32 v128, 0x7c010000
	s_mov_b32 s22, exec_lo
	s_delay_alu instid0(VALU_DEP_2)
	v_cmpx_ne_u32_e32 0x7f, v130
	s_cbranch_execz .LBB290_209
; %bb.206:                              ;   in Loop: Header=BB290_16 Depth=1
	v_and_b32_e32 v31, 7, v7
	v_lshrrev_b32_e32 v32, 3, v130
	s_mov_b32 s23, exec_lo
	v_cmpx_gt_u32_e32 8, v130
; %bb.207:                              ;   in Loop: Header=BB290_16 Depth=1
	s_delay_alu instid0(VALU_DEP_3) | instskip(NEXT) | instid1(VALU_DEP_1)
	v_clz_i32_u32_e32 v31, v31
	v_min_u32_e32 v128, 32, v31
	s_delay_alu instid0(VALU_DEP_1) | instskip(NEXT) | instid1(VALU_DEP_1)
	v_subrev_nc_u32_e32 v31, 28, v128
	v_lshlrev_b64_e32 v[31:32], v31, v[7:8]
	v_sub_nc_u32_e32 v32, 29, v128
	s_delay_alu instid0(VALU_DEP_2)
	v_and_b32_e32 v31, 7, v31
; %bb.208:                              ;   in Loop: Header=BB290_16 Depth=1
	s_wait_alu 0xfffe
	s_or_b32 exec_lo, exec_lo, s23
	v_lshlrev_b32_e32 v7, 8, v7
	v_lshl_add_u32 v32, v32, 10, 0x2000
	v_lshlrev_b32_e32 v31, 23, v31
	s_delay_alu instid0(VALU_DEP_2) | instskip(NEXT) | instid1(VALU_DEP_1)
	v_and_or_b32 v7, 0x8000, v7, v32
	v_lshl_or_b32 v128, v7, 16, v31
.LBB290_209:                            ;   in Loop: Header=BB290_16 Depth=1
	s_wait_alu 0xfffe
	s_or_b32 exec_lo, exec_lo, s22
.LBB290_210:                            ;   in Loop: Header=BB290_16 Depth=1
	s_wait_alu 0xfffe
	s_or_b32 exec_lo, exec_lo, s21
.LBB290_211:                            ;   in Loop: Header=BB290_16 Depth=1
	s_wait_alu 0xfffe
	s_or_b32 exec_lo, exec_lo, s20
	flat_load_b64 v[31:32], v[28:29] offset:520
	s_mov_b32 s20, exec_lo
	s_wait_loadcnt_dscnt 0x0
	v_and_b32_e32 v7, 0xff, v31
	s_delay_alu instid0(VALU_DEP_1)
	v_cmpx_ne_u16_e32 0, v7
	s_cbranch_execz .LBB290_219
; %bb.212:                              ;   in Loop: Header=BB290_16 Depth=1
	v_mov_b32_e32 v129, 0x8000
	s_mov_b32 s21, exec_lo
	v_cmpx_ne_u16_e32 0x80, v7
	s_cbranch_execz .LBB290_218
; %bb.213:                              ;   in Loop: Header=BB290_16 Depth=1
	v_and_b32_e32 v130, 0x7f, v31
	v_mov_b32_e32 v129, 0x7c01
	s_mov_b32 s22, exec_lo
	s_delay_alu instid0(VALU_DEP_2)
	v_cmpx_ne_u32_e32 0x7f, v130
	s_cbranch_execz .LBB290_217
; %bb.214:                              ;   in Loop: Header=BB290_16 Depth=1
	v_and_b32_e32 v7, 7, v31
	v_lshrrev_b32_e32 v129, 3, v130
	s_mov_b32 s23, exec_lo
	v_cmpx_gt_u32_e32 8, v130
; %bb.215:                              ;   in Loop: Header=BB290_16 Depth=1
	s_delay_alu instid0(VALU_DEP_3) | instskip(NEXT) | instid1(VALU_DEP_1)
	v_clz_i32_u32_e32 v7, v7
	v_min_u32_e32 v7, 32, v7
	s_delay_alu instid0(VALU_DEP_1) | instskip(NEXT) | instid1(VALU_DEP_1)
	v_subrev_nc_u32_e32 v129, 28, v7
	v_lshlrev_b64_e32 v[130:131], v129, v[31:32]
	v_sub_nc_u32_e32 v129, 29, v7
	s_delay_alu instid0(VALU_DEP_2)
	v_and_b32_e32 v7, 7, v130
; %bb.216:                              ;   in Loop: Header=BB290_16 Depth=1
	s_wait_alu 0xfffe
	s_or_b32 exec_lo, exec_lo, s23
	v_lshlrev_b32_e32 v130, 8, v31
	v_lshl_add_u32 v129, v129, 10, 0x2000
	v_lshlrev_b32_e32 v7, 7, v7
	s_delay_alu instid0(VALU_DEP_3) | instskip(NEXT) | instid1(VALU_DEP_3)
	v_and_b32_e32 v130, 0x8000, v130
	v_and_b32_e32 v129, 0xfc00, v129
	s_delay_alu instid0(VALU_DEP_1)
	v_or3_b32 v129, v130, v129, v7
.LBB290_217:                            ;   in Loop: Header=BB290_16 Depth=1
	s_wait_alu 0xfffe
	s_or_b32 exec_lo, exec_lo, s22
.LBB290_218:                            ;   in Loop: Header=BB290_16 Depth=1
	s_wait_alu 0xfffe
	s_or_b32 exec_lo, exec_lo, s21
.LBB290_219:                            ;   in Loop: Header=BB290_16 Depth=1
	s_wait_alu 0xfffe
	s_or_b32 exec_lo, exec_lo, s20
	v_lshrrev_b16 v7, 8, v31
	v_dual_mov_b32 v131, 0 :: v_dual_mov_b32 v130, 0
	s_mov_b32 s20, exec_lo
	s_delay_alu instid0(VALU_DEP_2)
	v_cmpx_ne_u16_e32 0, v7
	s_cbranch_execz .LBB290_227
; %bb.220:                              ;   in Loop: Header=BB290_16 Depth=1
	v_bfrev_b32_e32 v130, 1
	s_mov_b32 s21, exec_lo
	v_cmpx_ne_u16_e32 0x80, v7
	s_cbranch_execz .LBB290_226
; %bb.221:                              ;   in Loop: Header=BB290_16 Depth=1
	v_and_b32_e32 v132, 0xffff, v7
	v_mov_b32_e32 v130, 0x7c010000
	s_mov_b32 s22, exec_lo
	s_delay_alu instid0(VALU_DEP_2) | instskip(NEXT) | instid1(VALU_DEP_1)
	v_and_b32_e32 v134, 0x7f, v132
	v_cmpx_ne_u32_e32 0x7f, v134
	s_cbranch_execz .LBB290_225
; %bb.222:                              ;   in Loop: Header=BB290_16 Depth=1
	v_and_b32_e32 v130, 7, v132
	v_lshrrev_b32_e32 v133, 3, v134
	s_mov_b32 s23, exec_lo
	v_cmpx_gt_u32_e32 8, v134
; %bb.223:                              ;   in Loop: Header=BB290_16 Depth=1
	s_delay_alu instid0(VALU_DEP_3) | instskip(NEXT) | instid1(VALU_DEP_1)
	v_clz_i32_u32_e32 v130, v130
	v_min_u32_e32 v130, 32, v130
	s_delay_alu instid0(VALU_DEP_1) | instskip(NEXT) | instid1(VALU_DEP_1)
	v_subrev_nc_u32_e32 v133, 28, v130
	v_lshlrev_b64_e32 v[134:135], v133, v[7:8]
	v_sub_nc_u32_e32 v133, 29, v130
	s_delay_alu instid0(VALU_DEP_2)
	v_and_b32_e32 v130, 7, v134
; %bb.224:                              ;   in Loop: Header=BB290_16 Depth=1
	s_wait_alu 0xfffe
	s_or_b32 exec_lo, exec_lo, s23
	v_lshlrev_b32_e32 v7, 8, v132
	v_lshl_add_u32 v132, v133, 10, 0x2000
	v_lshlrev_b32_e32 v130, 23, v130
	s_delay_alu instid0(VALU_DEP_2) | instskip(NEXT) | instid1(VALU_DEP_1)
	v_and_or_b32 v7, 0x8000, v7, v132
	v_lshl_or_b32 v130, v7, 16, v130
.LBB290_225:                            ;   in Loop: Header=BB290_16 Depth=1
	s_wait_alu 0xfffe
	s_or_b32 exec_lo, exec_lo, s22
.LBB290_226:                            ;   in Loop: Header=BB290_16 Depth=1
	s_wait_alu 0xfffe
	s_or_b32 exec_lo, exec_lo, s21
.LBB290_227:                            ;   in Loop: Header=BB290_16 Depth=1
	s_wait_alu 0xfffe
	s_or_b32 exec_lo, exec_lo, s20
	v_lshrrev_b32_e32 v7, 16, v31
	s_mov_b32 s20, exec_lo
	s_delay_alu instid0(VALU_DEP_1) | instskip(NEXT) | instid1(VALU_DEP_1)
	v_and_b32_e32 v132, 0xff, v7
	v_cmpx_ne_u16_e64 0, v132
	s_cbranch_execz .LBB290_235
; %bb.228:                              ;   in Loop: Header=BB290_16 Depth=1
	v_mov_b32_e32 v131, 0x8000
	s_mov_b32 s21, exec_lo
	v_cmpx_ne_u16_e64 0x80, v132
	s_cbranch_execz .LBB290_234
; %bb.229:                              ;   in Loop: Header=BB290_16 Depth=1
	v_bfe_u32 v133, v31, 16, 7
	v_mov_b32_e32 v131, 0x7c01
	s_mov_b32 s22, exec_lo
	s_delay_alu instid0(VALU_DEP_2)
	v_cmpx_ne_u32_e32 0x7f, v133
	s_cbranch_execz .LBB290_233
; %bb.230:                              ;   in Loop: Header=BB290_16 Depth=1
	v_and_b32_e32 v131, 7, v7
	v_lshrrev_b32_e32 v132, 3, v133
	s_mov_b32 s23, exec_lo
	v_cmpx_gt_u32_e32 8, v133
; %bb.231:                              ;   in Loop: Header=BB290_16 Depth=1
	s_delay_alu instid0(VALU_DEP_3) | instskip(NEXT) | instid1(VALU_DEP_1)
	v_clz_i32_u32_e32 v131, v131
	v_min_u32_e32 v133, 32, v131
	s_delay_alu instid0(VALU_DEP_1) | instskip(NEXT) | instid1(VALU_DEP_1)
	v_subrev_nc_u32_e32 v131, 28, v133
	v_lshlrev_b64_e32 v[131:132], v131, v[7:8]
	v_sub_nc_u32_e32 v132, 29, v133
	s_delay_alu instid0(VALU_DEP_2)
	v_and_b32_e32 v131, 7, v131
; %bb.232:                              ;   in Loop: Header=BB290_16 Depth=1
	s_wait_alu 0xfffe
	s_or_b32 exec_lo, exec_lo, s23
	v_lshlrev_b32_e32 v7, 8, v7
	v_lshl_add_u32 v132, v132, 10, 0x2000
	v_lshlrev_b32_e32 v131, 7, v131
	s_delay_alu instid0(VALU_DEP_3) | instskip(NEXT) | instid1(VALU_DEP_3)
	v_and_b32_e32 v7, 0x8000, v7
	v_and_b32_e32 v132, 0xfc00, v132
	s_delay_alu instid0(VALU_DEP_1)
	v_or3_b32 v131, v7, v132, v131
.LBB290_233:                            ;   in Loop: Header=BB290_16 Depth=1
	s_wait_alu 0xfffe
	s_or_b32 exec_lo, exec_lo, s22
.LBB290_234:                            ;   in Loop: Header=BB290_16 Depth=1
	s_wait_alu 0xfffe
	s_or_b32 exec_lo, exec_lo, s21
.LBB290_235:                            ;   in Loop: Header=BB290_16 Depth=1
	s_wait_alu 0xfffe
	s_or_b32 exec_lo, exec_lo, s20
	v_dual_mov_b32 v132, 0 :: v_dual_mov_b32 v133, 0
	s_mov_b32 s20, exec_lo
	v_cmpx_lt_u32_e32 0xffffff, v31
	s_cbranch_execz .LBB290_243
; %bb.236:                              ;   in Loop: Header=BB290_16 Depth=1
	v_lshrrev_b32_e32 v7, 24, v31
	v_bfrev_b32_e32 v133, 1
	s_mov_b32 s21, exec_lo
	s_delay_alu instid0(VALU_DEP_2)
	v_cmpx_ne_u32_e32 0x80, v7
	s_cbranch_execz .LBB290_242
; %bb.237:                              ;   in Loop: Header=BB290_16 Depth=1
	v_and_b32_e32 v135, 0x7f, v7
	v_mov_b32_e32 v133, 0x7c010000
	s_mov_b32 s22, exec_lo
	s_delay_alu instid0(VALU_DEP_2)
	v_cmpx_ne_u32_e32 0x7f, v135
	s_cbranch_execz .LBB290_241
; %bb.238:                              ;   in Loop: Header=BB290_16 Depth=1
	v_and_b32_e32 v133, 7, v7
	v_lshrrev_b32_e32 v134, 3, v135
	s_mov_b32 s23, exec_lo
	v_cmpx_gt_u32_e32 8, v135
; %bb.239:                              ;   in Loop: Header=BB290_16 Depth=1
	s_delay_alu instid0(VALU_DEP_3) | instskip(NEXT) | instid1(VALU_DEP_1)
	v_clz_i32_u32_e32 v133, v133
	v_min_u32_e32 v135, 32, v133
	s_delay_alu instid0(VALU_DEP_1) | instskip(NEXT) | instid1(VALU_DEP_1)
	v_subrev_nc_u32_e32 v133, 28, v135
	v_lshlrev_b64_e32 v[133:134], v133, v[7:8]
	v_sub_nc_u32_e32 v134, 29, v135
	s_delay_alu instid0(VALU_DEP_2)
	v_and_b32_e32 v133, 7, v133
; %bb.240:                              ;   in Loop: Header=BB290_16 Depth=1
	s_wait_alu 0xfffe
	s_or_b32 exec_lo, exec_lo, s23
	v_lshlrev_b32_e32 v7, 8, v7
	v_lshl_add_u32 v134, v134, 10, 0x2000
	v_lshlrev_b32_e32 v133, 23, v133
	s_delay_alu instid0(VALU_DEP_2) | instskip(NEXT) | instid1(VALU_DEP_1)
	v_and_or_b32 v7, 0x8000, v7, v134
	v_lshl_or_b32 v133, v7, 16, v133
.LBB290_241:                            ;   in Loop: Header=BB290_16 Depth=1
	s_wait_alu 0xfffe
	s_or_b32 exec_lo, exec_lo, s22
.LBB290_242:                            ;   in Loop: Header=BB290_16 Depth=1
	s_wait_alu 0xfffe
	s_or_b32 exec_lo, exec_lo, s21
.LBB290_243:                            ;   in Loop: Header=BB290_16 Depth=1
	s_wait_alu 0xfffe
	s_or_b32 exec_lo, exec_lo, s20
	v_dual_mov_b32 v7, v32 :: v_dual_and_b32 v134, 0xff, v32
	s_mov_b32 s20, exec_lo
	s_delay_alu instid0(VALU_DEP_1)
	v_cmpx_ne_u16_e64 0, v134
	s_cbranch_execz .LBB290_251
; %bb.244:                              ;   in Loop: Header=BB290_16 Depth=1
	v_mov_b32_e32 v132, 0x8000
	s_mov_b32 s21, exec_lo
	v_cmpx_ne_u16_e64 0x80, v134
	s_cbranch_execz .LBB290_250
; %bb.245:                              ;   in Loop: Header=BB290_16 Depth=1
	v_and_b32_e32 v135, 0x7f, v32
	v_mov_b32_e32 v132, 0x7c01
	s_mov_b32 s22, exec_lo
	s_delay_alu instid0(VALU_DEP_2)
	v_cmpx_ne_u32_e32 0x7f, v135
	s_cbranch_execz .LBB290_249
; %bb.246:                              ;   in Loop: Header=BB290_16 Depth=1
	v_and_b32_e32 v132, 7, v32
	v_lshrrev_b32_e32 v134, 3, v135
	s_mov_b32 s23, exec_lo
	v_cmpx_gt_u32_e32 8, v135
; %bb.247:                              ;   in Loop: Header=BB290_16 Depth=1
	s_delay_alu instid0(VALU_DEP_3) | instskip(NEXT) | instid1(VALU_DEP_1)
	v_clz_i32_u32_e32 v132, v132
	v_min_u32_e32 v132, 32, v132
	s_delay_alu instid0(VALU_DEP_1) | instskip(NEXT) | instid1(VALU_DEP_1)
	v_subrev_nc_u32_e32 v134, 28, v132
	v_lshlrev_b64_e32 v[144:145], v134, v[7:8]
	v_sub_nc_u32_e32 v134, 29, v132
	s_delay_alu instid0(VALU_DEP_2)
	v_and_b32_e32 v132, 7, v144
; %bb.248:                              ;   in Loop: Header=BB290_16 Depth=1
	s_wait_alu 0xfffe
	s_or_b32 exec_lo, exec_lo, s23
	v_lshlrev_b32_e32 v135, 8, v32
	v_lshl_add_u32 v134, v134, 10, 0x2000
	v_lshlrev_b32_e32 v132, 7, v132
	s_delay_alu instid0(VALU_DEP_3) | instskip(NEXT) | instid1(VALU_DEP_3)
	v_and_b32_e32 v135, 0x8000, v135
	v_and_b32_e32 v134, 0xfc00, v134
	s_delay_alu instid0(VALU_DEP_1)
	v_or3_b32 v132, v135, v134, v132
.LBB290_249:                            ;   in Loop: Header=BB290_16 Depth=1
	s_wait_alu 0xfffe
	s_or_b32 exec_lo, exec_lo, s22
.LBB290_250:                            ;   in Loop: Header=BB290_16 Depth=1
	s_wait_alu 0xfffe
	s_or_b32 exec_lo, exec_lo, s21
.LBB290_251:                            ;   in Loop: Header=BB290_16 Depth=1
	s_wait_alu 0xfffe
	s_or_b32 exec_lo, exec_lo, s20
	v_lshrrev_b16 v7, 8, v7
	v_dual_mov_b32 v134, 0 :: v_dual_mov_b32 v135, 0
	s_mov_b32 s20, exec_lo
	s_delay_alu instid0(VALU_DEP_2)
	v_cmpx_ne_u16_e32 0, v7
	s_cbranch_execz .LBB290_259
; %bb.252:                              ;   in Loop: Header=BB290_16 Depth=1
	v_bfrev_b32_e32 v135, 1
	s_mov_b32 s21, exec_lo
	v_cmpx_ne_u16_e32 0x80, v7
	s_cbranch_execz .LBB290_258
; %bb.253:                              ;   in Loop: Header=BB290_16 Depth=1
	v_and_b32_e32 v144, 0xffff, v7
	v_mov_b32_e32 v135, 0x7c010000
	s_mov_b32 s22, exec_lo
	s_delay_alu instid0(VALU_DEP_2) | instskip(NEXT) | instid1(VALU_DEP_1)
	v_and_b32_e32 v146, 0x7f, v144
	v_cmpx_ne_u32_e32 0x7f, v146
	s_cbranch_execz .LBB290_257
; %bb.254:                              ;   in Loop: Header=BB290_16 Depth=1
	v_and_b32_e32 v135, 7, v144
	v_lshrrev_b32_e32 v145, 3, v146
	s_mov_b32 s23, exec_lo
	v_cmpx_gt_u32_e32 8, v146
; %bb.255:                              ;   in Loop: Header=BB290_16 Depth=1
	s_delay_alu instid0(VALU_DEP_3) | instskip(NEXT) | instid1(VALU_DEP_1)
	v_clz_i32_u32_e32 v135, v135
	v_min_u32_e32 v135, 32, v135
	s_delay_alu instid0(VALU_DEP_1) | instskip(NEXT) | instid1(VALU_DEP_1)
	v_subrev_nc_u32_e32 v145, 28, v135
	v_lshlrev_b64_e32 v[146:147], v145, v[7:8]
	v_sub_nc_u32_e32 v145, 29, v135
	s_delay_alu instid0(VALU_DEP_2)
	v_and_b32_e32 v135, 7, v146
; %bb.256:                              ;   in Loop: Header=BB290_16 Depth=1
	s_wait_alu 0xfffe
	s_or_b32 exec_lo, exec_lo, s23
	v_lshlrev_b32_e32 v7, 8, v144
	v_lshl_add_u32 v144, v145, 10, 0x2000
	v_lshlrev_b32_e32 v135, 23, v135
	s_delay_alu instid0(VALU_DEP_2) | instskip(NEXT) | instid1(VALU_DEP_1)
	v_and_or_b32 v7, 0x8000, v7, v144
	v_lshl_or_b32 v135, v7, 16, v135
.LBB290_257:                            ;   in Loop: Header=BB290_16 Depth=1
	s_wait_alu 0xfffe
	s_or_b32 exec_lo, exec_lo, s22
.LBB290_258:                            ;   in Loop: Header=BB290_16 Depth=1
	s_wait_alu 0xfffe
	s_or_b32 exec_lo, exec_lo, s21
.LBB290_259:                            ;   in Loop: Header=BB290_16 Depth=1
	s_wait_alu 0xfffe
	s_or_b32 exec_lo, exec_lo, s20
	v_lshrrev_b32_e32 v7, 16, v32
	s_mov_b32 s20, exec_lo
	s_delay_alu instid0(VALU_DEP_1) | instskip(NEXT) | instid1(VALU_DEP_1)
	v_and_b32_e32 v144, 0xff, v7
	v_cmpx_ne_u16_e64 0, v144
	s_cbranch_execz .LBB290_267
; %bb.260:                              ;   in Loop: Header=BB290_16 Depth=1
	v_mov_b32_e32 v134, 0x8000
	s_mov_b32 s21, exec_lo
	v_cmpx_ne_u16_e64 0x80, v144
	s_cbranch_execz .LBB290_266
; %bb.261:                              ;   in Loop: Header=BB290_16 Depth=1
	v_bfe_u32 v145, v32, 16, 7
	v_mov_b32_e32 v134, 0x7c01
	s_mov_b32 s22, exec_lo
	s_delay_alu instid0(VALU_DEP_2)
	v_cmpx_ne_u32_e32 0x7f, v145
	s_cbranch_execz .LBB290_265
; %bb.262:                              ;   in Loop: Header=BB290_16 Depth=1
	v_and_b32_e32 v134, 7, v7
	v_lshrrev_b32_e32 v144, 3, v145
	s_mov_b32 s23, exec_lo
	v_cmpx_gt_u32_e32 8, v145
; %bb.263:                              ;   in Loop: Header=BB290_16 Depth=1
	s_delay_alu instid0(VALU_DEP_3) | instskip(NEXT) | instid1(VALU_DEP_1)
	v_clz_i32_u32_e32 v134, v134
	v_min_u32_e32 v134, 32, v134
	s_delay_alu instid0(VALU_DEP_1) | instskip(NEXT) | instid1(VALU_DEP_1)
	v_subrev_nc_u32_e32 v144, 28, v134
	v_lshlrev_b64_e32 v[145:146], v144, v[7:8]
	v_sub_nc_u32_e32 v144, 29, v134
	s_delay_alu instid0(VALU_DEP_2)
	v_and_b32_e32 v134, 7, v145
; %bb.264:                              ;   in Loop: Header=BB290_16 Depth=1
	s_wait_alu 0xfffe
	s_or_b32 exec_lo, exec_lo, s23
	v_lshlrev_b32_e32 v7, 8, v7
	v_lshl_add_u32 v144, v144, 10, 0x2000
	v_lshlrev_b32_e32 v134, 7, v134
	s_delay_alu instid0(VALU_DEP_3) | instskip(NEXT) | instid1(VALU_DEP_3)
	v_and_b32_e32 v7, 0x8000, v7
	v_and_b32_e32 v144, 0xfc00, v144
	s_delay_alu instid0(VALU_DEP_1)
	v_or3_b32 v134, v7, v144, v134
.LBB290_265:                            ;   in Loop: Header=BB290_16 Depth=1
	s_wait_alu 0xfffe
	s_or_b32 exec_lo, exec_lo, s22
.LBB290_266:                            ;   in Loop: Header=BB290_16 Depth=1
	s_wait_alu 0xfffe
	s_or_b32 exec_lo, exec_lo, s21
.LBB290_267:                            ;   in Loop: Header=BB290_16 Depth=1
	s_wait_alu 0xfffe
	s_or_b32 exec_lo, exec_lo, s20
	v_dual_mov_b32 v145, 0 :: v_dual_mov_b32 v144, 0
	s_mov_b32 s20, exec_lo
	v_cmpx_lt_u64_e64 s[10:11], v[31:32]
	s_cbranch_execz .LBB290_275
; %bb.268:                              ;   in Loop: Header=BB290_16 Depth=1
	v_lshrrev_b32_e32 v7, 24, v32
	v_bfrev_b32_e32 v144, 1
	s_mov_b32 s21, exec_lo
	s_delay_alu instid0(VALU_DEP_2)
	v_cmpx_ne_u32_e32 0x80, v7
	s_cbranch_execz .LBB290_274
; %bb.269:                              ;   in Loop: Header=BB290_16 Depth=1
	v_and_b32_e32 v146, 0x7f, v7
	v_mov_b32_e32 v144, 0x7c010000
	s_mov_b32 s22, exec_lo
	s_delay_alu instid0(VALU_DEP_2)
	v_cmpx_ne_u32_e32 0x7f, v146
	s_cbranch_execz .LBB290_273
; %bb.270:                              ;   in Loop: Header=BB290_16 Depth=1
	v_and_b32_e32 v31, 7, v7
	v_lshrrev_b32_e32 v32, 3, v146
	s_mov_b32 s23, exec_lo
	v_cmpx_gt_u32_e32 8, v146
; %bb.271:                              ;   in Loop: Header=BB290_16 Depth=1
	s_delay_alu instid0(VALU_DEP_3) | instskip(NEXT) | instid1(VALU_DEP_1)
	v_clz_i32_u32_e32 v31, v31
	v_min_u32_e32 v144, 32, v31
	s_delay_alu instid0(VALU_DEP_1) | instskip(NEXT) | instid1(VALU_DEP_1)
	v_subrev_nc_u32_e32 v31, 28, v144
	v_lshlrev_b64_e32 v[31:32], v31, v[7:8]
	v_sub_nc_u32_e32 v32, 29, v144
	s_delay_alu instid0(VALU_DEP_2)
	v_and_b32_e32 v31, 7, v31
; %bb.272:                              ;   in Loop: Header=BB290_16 Depth=1
	s_wait_alu 0xfffe
	s_or_b32 exec_lo, exec_lo, s23
	v_lshlrev_b32_e32 v7, 8, v7
	v_lshl_add_u32 v32, v32, 10, 0x2000
	v_lshlrev_b32_e32 v31, 23, v31
	s_delay_alu instid0(VALU_DEP_2) | instskip(NEXT) | instid1(VALU_DEP_1)
	v_and_or_b32 v7, 0x8000, v7, v32
	v_lshl_or_b32 v144, v7, 16, v31
.LBB290_273:                            ;   in Loop: Header=BB290_16 Depth=1
	s_wait_alu 0xfffe
	s_or_b32 exec_lo, exec_lo, s22
.LBB290_274:                            ;   in Loop: Header=BB290_16 Depth=1
	s_wait_alu 0xfffe
	s_or_b32 exec_lo, exec_lo, s21
.LBB290_275:                            ;   in Loop: Header=BB290_16 Depth=1
	s_wait_alu 0xfffe
	s_or_b32 exec_lo, exec_lo, s20
	flat_load_b64 v[31:32], v[28:29] offset:1024
	s_mov_b32 s20, exec_lo
	s_wait_loadcnt_dscnt 0x0
	v_and_b32_e32 v7, 0xff, v31
	s_delay_alu instid0(VALU_DEP_1)
	v_cmpx_ne_u16_e32 0, v7
	s_cbranch_execz .LBB290_283
; %bb.276:                              ;   in Loop: Header=BB290_16 Depth=1
	v_mov_b32_e32 v145, 0x8000
	s_mov_b32 s21, exec_lo
	v_cmpx_ne_u16_e32 0x80, v7
	s_cbranch_execz .LBB290_282
; %bb.277:                              ;   in Loop: Header=BB290_16 Depth=1
	v_and_b32_e32 v146, 0x7f, v31
	v_mov_b32_e32 v145, 0x7c01
	s_mov_b32 s22, exec_lo
	s_delay_alu instid0(VALU_DEP_2)
	v_cmpx_ne_u32_e32 0x7f, v146
	s_cbranch_execz .LBB290_281
; %bb.278:                              ;   in Loop: Header=BB290_16 Depth=1
	v_and_b32_e32 v7, 7, v31
	v_lshrrev_b32_e32 v145, 3, v146
	s_mov_b32 s23, exec_lo
	v_cmpx_gt_u32_e32 8, v146
; %bb.279:                              ;   in Loop: Header=BB290_16 Depth=1
	s_delay_alu instid0(VALU_DEP_3) | instskip(NEXT) | instid1(VALU_DEP_1)
	v_clz_i32_u32_e32 v7, v7
	v_min_u32_e32 v7, 32, v7
	s_delay_alu instid0(VALU_DEP_1) | instskip(NEXT) | instid1(VALU_DEP_1)
	v_subrev_nc_u32_e32 v145, 28, v7
	v_lshlrev_b64_e32 v[146:147], v145, v[31:32]
	v_sub_nc_u32_e32 v145, 29, v7
	s_delay_alu instid0(VALU_DEP_2)
	v_and_b32_e32 v7, 7, v146
; %bb.280:                              ;   in Loop: Header=BB290_16 Depth=1
	s_wait_alu 0xfffe
	s_or_b32 exec_lo, exec_lo, s23
	v_lshlrev_b32_e32 v146, 8, v31
	v_lshl_add_u32 v145, v145, 10, 0x2000
	v_lshlrev_b32_e32 v7, 7, v7
	s_delay_alu instid0(VALU_DEP_3) | instskip(NEXT) | instid1(VALU_DEP_3)
	v_and_b32_e32 v146, 0x8000, v146
	v_and_b32_e32 v145, 0xfc00, v145
	s_delay_alu instid0(VALU_DEP_1)
	v_or3_b32 v145, v146, v145, v7
.LBB290_281:                            ;   in Loop: Header=BB290_16 Depth=1
	s_wait_alu 0xfffe
	s_or_b32 exec_lo, exec_lo, s22
.LBB290_282:                            ;   in Loop: Header=BB290_16 Depth=1
	s_wait_alu 0xfffe
	s_or_b32 exec_lo, exec_lo, s21
.LBB290_283:                            ;   in Loop: Header=BB290_16 Depth=1
	s_wait_alu 0xfffe
	s_or_b32 exec_lo, exec_lo, s20
	v_lshrrev_b16 v7, 8, v31
	v_dual_mov_b32 v147, 0 :: v_dual_mov_b32 v146, 0
	s_mov_b32 s20, exec_lo
	s_delay_alu instid0(VALU_DEP_2)
	v_cmpx_ne_u16_e32 0, v7
	s_cbranch_execz .LBB290_291
; %bb.284:                              ;   in Loop: Header=BB290_16 Depth=1
	v_bfrev_b32_e32 v146, 1
	s_mov_b32 s21, exec_lo
	v_cmpx_ne_u16_e32 0x80, v7
	s_cbranch_execz .LBB290_290
; %bb.285:                              ;   in Loop: Header=BB290_16 Depth=1
	v_and_b32_e32 v148, 0xffff, v7
	v_mov_b32_e32 v146, 0x7c010000
	s_mov_b32 s22, exec_lo
	s_delay_alu instid0(VALU_DEP_2) | instskip(NEXT) | instid1(VALU_DEP_1)
	v_and_b32_e32 v150, 0x7f, v148
	v_cmpx_ne_u32_e32 0x7f, v150
	s_cbranch_execz .LBB290_289
; %bb.286:                              ;   in Loop: Header=BB290_16 Depth=1
	v_and_b32_e32 v146, 7, v148
	v_lshrrev_b32_e32 v149, 3, v150
	s_mov_b32 s23, exec_lo
	v_cmpx_gt_u32_e32 8, v150
; %bb.287:                              ;   in Loop: Header=BB290_16 Depth=1
	s_delay_alu instid0(VALU_DEP_3) | instskip(NEXT) | instid1(VALU_DEP_1)
	v_clz_i32_u32_e32 v146, v146
	v_min_u32_e32 v146, 32, v146
	s_delay_alu instid0(VALU_DEP_1) | instskip(NEXT) | instid1(VALU_DEP_1)
	v_subrev_nc_u32_e32 v149, 28, v146
	v_lshlrev_b64_e32 v[150:151], v149, v[7:8]
	v_sub_nc_u32_e32 v149, 29, v146
	s_delay_alu instid0(VALU_DEP_2)
	v_and_b32_e32 v146, 7, v150
; %bb.288:                              ;   in Loop: Header=BB290_16 Depth=1
	s_wait_alu 0xfffe
	s_or_b32 exec_lo, exec_lo, s23
	v_lshlrev_b32_e32 v7, 8, v148
	v_lshl_add_u32 v148, v149, 10, 0x2000
	v_lshlrev_b32_e32 v146, 23, v146
	s_delay_alu instid0(VALU_DEP_2) | instskip(NEXT) | instid1(VALU_DEP_1)
	v_and_or_b32 v7, 0x8000, v7, v148
	v_lshl_or_b32 v146, v7, 16, v146
.LBB290_289:                            ;   in Loop: Header=BB290_16 Depth=1
	s_wait_alu 0xfffe
	s_or_b32 exec_lo, exec_lo, s22
.LBB290_290:                            ;   in Loop: Header=BB290_16 Depth=1
	s_wait_alu 0xfffe
	s_or_b32 exec_lo, exec_lo, s21
.LBB290_291:                            ;   in Loop: Header=BB290_16 Depth=1
	s_wait_alu 0xfffe
	s_or_b32 exec_lo, exec_lo, s20
	v_lshrrev_b32_e32 v7, 16, v31
	s_mov_b32 s20, exec_lo
	s_delay_alu instid0(VALU_DEP_1) | instskip(NEXT) | instid1(VALU_DEP_1)
	v_and_b32_e32 v148, 0xff, v7
	v_cmpx_ne_u16_e64 0, v148
	s_cbranch_execz .LBB290_299
; %bb.292:                              ;   in Loop: Header=BB290_16 Depth=1
	v_mov_b32_e32 v147, 0x8000
	s_mov_b32 s21, exec_lo
	v_cmpx_ne_u16_e64 0x80, v148
	s_cbranch_execz .LBB290_298
; %bb.293:                              ;   in Loop: Header=BB290_16 Depth=1
	v_bfe_u32 v149, v31, 16, 7
	v_mov_b32_e32 v147, 0x7c01
	s_mov_b32 s22, exec_lo
	s_delay_alu instid0(VALU_DEP_2)
	v_cmpx_ne_u32_e32 0x7f, v149
	s_cbranch_execz .LBB290_297
; %bb.294:                              ;   in Loop: Header=BB290_16 Depth=1
	v_and_b32_e32 v147, 7, v7
	v_lshrrev_b32_e32 v148, 3, v149
	s_mov_b32 s23, exec_lo
	v_cmpx_gt_u32_e32 8, v149
; %bb.295:                              ;   in Loop: Header=BB290_16 Depth=1
	s_delay_alu instid0(VALU_DEP_3) | instskip(NEXT) | instid1(VALU_DEP_1)
	v_clz_i32_u32_e32 v147, v147
	v_min_u32_e32 v149, 32, v147
	s_delay_alu instid0(VALU_DEP_1) | instskip(NEXT) | instid1(VALU_DEP_1)
	v_subrev_nc_u32_e32 v147, 28, v149
	v_lshlrev_b64_e32 v[147:148], v147, v[7:8]
	v_sub_nc_u32_e32 v148, 29, v149
	s_delay_alu instid0(VALU_DEP_2)
	v_and_b32_e32 v147, 7, v147
; %bb.296:                              ;   in Loop: Header=BB290_16 Depth=1
	s_wait_alu 0xfffe
	s_or_b32 exec_lo, exec_lo, s23
	v_lshlrev_b32_e32 v7, 8, v7
	v_lshl_add_u32 v148, v148, 10, 0x2000
	v_lshlrev_b32_e32 v147, 7, v147
	s_delay_alu instid0(VALU_DEP_3) | instskip(NEXT) | instid1(VALU_DEP_3)
	v_and_b32_e32 v7, 0x8000, v7
	v_and_b32_e32 v148, 0xfc00, v148
	s_delay_alu instid0(VALU_DEP_1)
	v_or3_b32 v147, v7, v148, v147
.LBB290_297:                            ;   in Loop: Header=BB290_16 Depth=1
	s_wait_alu 0xfffe
	s_or_b32 exec_lo, exec_lo, s22
.LBB290_298:                            ;   in Loop: Header=BB290_16 Depth=1
	s_wait_alu 0xfffe
	s_or_b32 exec_lo, exec_lo, s21
.LBB290_299:                            ;   in Loop: Header=BB290_16 Depth=1
	s_wait_alu 0xfffe
	s_or_b32 exec_lo, exec_lo, s20
	v_dual_mov_b32 v148, 0 :: v_dual_mov_b32 v149, 0
	s_mov_b32 s20, exec_lo
	v_cmpx_lt_u32_e32 0xffffff, v31
	s_cbranch_execz .LBB290_307
; %bb.300:                              ;   in Loop: Header=BB290_16 Depth=1
	v_lshrrev_b32_e32 v7, 24, v31
	v_bfrev_b32_e32 v149, 1
	s_mov_b32 s21, exec_lo
	s_delay_alu instid0(VALU_DEP_2)
	v_cmpx_ne_u32_e32 0x80, v7
	s_cbranch_execz .LBB290_306
; %bb.301:                              ;   in Loop: Header=BB290_16 Depth=1
	v_and_b32_e32 v151, 0x7f, v7
	v_mov_b32_e32 v149, 0x7c010000
	s_mov_b32 s22, exec_lo
	s_delay_alu instid0(VALU_DEP_2)
	v_cmpx_ne_u32_e32 0x7f, v151
	s_cbranch_execz .LBB290_305
; %bb.302:                              ;   in Loop: Header=BB290_16 Depth=1
	v_and_b32_e32 v149, 7, v7
	v_lshrrev_b32_e32 v150, 3, v151
	s_mov_b32 s23, exec_lo
	v_cmpx_gt_u32_e32 8, v151
; %bb.303:                              ;   in Loop: Header=BB290_16 Depth=1
	s_delay_alu instid0(VALU_DEP_3) | instskip(NEXT) | instid1(VALU_DEP_1)
	v_clz_i32_u32_e32 v149, v149
	v_min_u32_e32 v151, 32, v149
	s_delay_alu instid0(VALU_DEP_1) | instskip(NEXT) | instid1(VALU_DEP_1)
	v_subrev_nc_u32_e32 v149, 28, v151
	v_lshlrev_b64_e32 v[149:150], v149, v[7:8]
	v_sub_nc_u32_e32 v150, 29, v151
	s_delay_alu instid0(VALU_DEP_2)
	v_and_b32_e32 v149, 7, v149
; %bb.304:                              ;   in Loop: Header=BB290_16 Depth=1
	s_wait_alu 0xfffe
	s_or_b32 exec_lo, exec_lo, s23
	v_lshlrev_b32_e32 v7, 8, v7
	v_lshl_add_u32 v150, v150, 10, 0x2000
	v_lshlrev_b32_e32 v149, 23, v149
	s_delay_alu instid0(VALU_DEP_2) | instskip(NEXT) | instid1(VALU_DEP_1)
	v_and_or_b32 v7, 0x8000, v7, v150
	v_lshl_or_b32 v149, v7, 16, v149
.LBB290_305:                            ;   in Loop: Header=BB290_16 Depth=1
	s_wait_alu 0xfffe
	s_or_b32 exec_lo, exec_lo, s22
.LBB290_306:                            ;   in Loop: Header=BB290_16 Depth=1
	s_wait_alu 0xfffe
	s_or_b32 exec_lo, exec_lo, s21
.LBB290_307:                            ;   in Loop: Header=BB290_16 Depth=1
	s_wait_alu 0xfffe
	s_or_b32 exec_lo, exec_lo, s20
	v_dual_mov_b32 v7, v32 :: v_dual_and_b32 v150, 0xff, v32
	s_mov_b32 s20, exec_lo
	s_delay_alu instid0(VALU_DEP_1)
	v_cmpx_ne_u16_e64 0, v150
	s_cbranch_execz .LBB290_315
; %bb.308:                              ;   in Loop: Header=BB290_16 Depth=1
	v_mov_b32_e32 v148, 0x8000
	s_mov_b32 s21, exec_lo
	v_cmpx_ne_u16_e64 0x80, v150
	s_cbranch_execz .LBB290_314
; %bb.309:                              ;   in Loop: Header=BB290_16 Depth=1
	v_and_b32_e32 v151, 0x7f, v32
	v_mov_b32_e32 v148, 0x7c01
	s_mov_b32 s22, exec_lo
	s_delay_alu instid0(VALU_DEP_2)
	v_cmpx_ne_u32_e32 0x7f, v151
	s_cbranch_execz .LBB290_313
; %bb.310:                              ;   in Loop: Header=BB290_16 Depth=1
	v_and_b32_e32 v148, 7, v32
	v_lshrrev_b32_e32 v150, 3, v151
	s_mov_b32 s23, exec_lo
	v_cmpx_gt_u32_e32 8, v151
; %bb.311:                              ;   in Loop: Header=BB290_16 Depth=1
	s_delay_alu instid0(VALU_DEP_3) | instskip(NEXT) | instid1(VALU_DEP_1)
	v_clz_i32_u32_e32 v148, v148
	v_min_u32_e32 v148, 32, v148
	s_delay_alu instid0(VALU_DEP_1) | instskip(NEXT) | instid1(VALU_DEP_1)
	v_subrev_nc_u32_e32 v150, 28, v148
	v_lshlrev_b64_e32 v[160:161], v150, v[7:8]
	v_sub_nc_u32_e32 v150, 29, v148
	s_delay_alu instid0(VALU_DEP_2)
	v_and_b32_e32 v148, 7, v160
; %bb.312:                              ;   in Loop: Header=BB290_16 Depth=1
	s_wait_alu 0xfffe
	s_or_b32 exec_lo, exec_lo, s23
	v_lshlrev_b32_e32 v151, 8, v32
	v_lshl_add_u32 v150, v150, 10, 0x2000
	v_lshlrev_b32_e32 v148, 7, v148
	s_delay_alu instid0(VALU_DEP_3) | instskip(NEXT) | instid1(VALU_DEP_3)
	v_and_b32_e32 v151, 0x8000, v151
	v_and_b32_e32 v150, 0xfc00, v150
	s_delay_alu instid0(VALU_DEP_1)
	v_or3_b32 v148, v151, v150, v148
.LBB290_313:                            ;   in Loop: Header=BB290_16 Depth=1
	s_wait_alu 0xfffe
	s_or_b32 exec_lo, exec_lo, s22
.LBB290_314:                            ;   in Loop: Header=BB290_16 Depth=1
	s_wait_alu 0xfffe
	s_or_b32 exec_lo, exec_lo, s21
.LBB290_315:                            ;   in Loop: Header=BB290_16 Depth=1
	s_wait_alu 0xfffe
	s_or_b32 exec_lo, exec_lo, s20
	v_lshrrev_b16 v7, 8, v7
	v_dual_mov_b32 v150, 0 :: v_dual_mov_b32 v151, 0
	s_mov_b32 s20, exec_lo
	s_delay_alu instid0(VALU_DEP_2)
	v_cmpx_ne_u16_e32 0, v7
	s_cbranch_execz .LBB290_323
; %bb.316:                              ;   in Loop: Header=BB290_16 Depth=1
	v_bfrev_b32_e32 v151, 1
	s_mov_b32 s21, exec_lo
	v_cmpx_ne_u16_e32 0x80, v7
	s_cbranch_execz .LBB290_322
; %bb.317:                              ;   in Loop: Header=BB290_16 Depth=1
	v_and_b32_e32 v160, 0xffff, v7
	v_mov_b32_e32 v151, 0x7c010000
	s_mov_b32 s22, exec_lo
	s_delay_alu instid0(VALU_DEP_2) | instskip(NEXT) | instid1(VALU_DEP_1)
	v_and_b32_e32 v162, 0x7f, v160
	v_cmpx_ne_u32_e32 0x7f, v162
	s_cbranch_execz .LBB290_321
; %bb.318:                              ;   in Loop: Header=BB290_16 Depth=1
	v_and_b32_e32 v151, 7, v160
	v_lshrrev_b32_e32 v161, 3, v162
	s_mov_b32 s23, exec_lo
	v_cmpx_gt_u32_e32 8, v162
; %bb.319:                              ;   in Loop: Header=BB290_16 Depth=1
	s_delay_alu instid0(VALU_DEP_3) | instskip(NEXT) | instid1(VALU_DEP_1)
	v_clz_i32_u32_e32 v151, v151
	v_min_u32_e32 v151, 32, v151
	s_delay_alu instid0(VALU_DEP_1) | instskip(NEXT) | instid1(VALU_DEP_1)
	v_subrev_nc_u32_e32 v161, 28, v151
	v_lshlrev_b64_e32 v[162:163], v161, v[7:8]
	v_sub_nc_u32_e32 v161, 29, v151
	s_delay_alu instid0(VALU_DEP_2)
	v_and_b32_e32 v151, 7, v162
; %bb.320:                              ;   in Loop: Header=BB290_16 Depth=1
	s_wait_alu 0xfffe
	s_or_b32 exec_lo, exec_lo, s23
	v_lshlrev_b32_e32 v7, 8, v160
	v_lshl_add_u32 v160, v161, 10, 0x2000
	v_lshlrev_b32_e32 v151, 23, v151
	s_delay_alu instid0(VALU_DEP_2) | instskip(NEXT) | instid1(VALU_DEP_1)
	v_and_or_b32 v7, 0x8000, v7, v160
	v_lshl_or_b32 v151, v7, 16, v151
.LBB290_321:                            ;   in Loop: Header=BB290_16 Depth=1
	s_wait_alu 0xfffe
	s_or_b32 exec_lo, exec_lo, s22
.LBB290_322:                            ;   in Loop: Header=BB290_16 Depth=1
	s_wait_alu 0xfffe
	s_or_b32 exec_lo, exec_lo, s21
.LBB290_323:                            ;   in Loop: Header=BB290_16 Depth=1
	s_wait_alu 0xfffe
	s_or_b32 exec_lo, exec_lo, s20
	v_lshrrev_b32_e32 v7, 16, v32
	s_mov_b32 s20, exec_lo
	s_delay_alu instid0(VALU_DEP_1) | instskip(NEXT) | instid1(VALU_DEP_1)
	v_and_b32_e32 v160, 0xff, v7
	v_cmpx_ne_u16_e64 0, v160
	s_cbranch_execz .LBB290_331
; %bb.324:                              ;   in Loop: Header=BB290_16 Depth=1
	v_mov_b32_e32 v150, 0x8000
	s_mov_b32 s21, exec_lo
	v_cmpx_ne_u16_e64 0x80, v160
	s_cbranch_execz .LBB290_330
; %bb.325:                              ;   in Loop: Header=BB290_16 Depth=1
	v_bfe_u32 v161, v32, 16, 7
	v_mov_b32_e32 v150, 0x7c01
	s_mov_b32 s22, exec_lo
	s_delay_alu instid0(VALU_DEP_2)
	v_cmpx_ne_u32_e32 0x7f, v161
	s_cbranch_execz .LBB290_329
; %bb.326:                              ;   in Loop: Header=BB290_16 Depth=1
	v_and_b32_e32 v150, 7, v7
	v_lshrrev_b32_e32 v160, 3, v161
	s_mov_b32 s23, exec_lo
	v_cmpx_gt_u32_e32 8, v161
; %bb.327:                              ;   in Loop: Header=BB290_16 Depth=1
	s_delay_alu instid0(VALU_DEP_3) | instskip(NEXT) | instid1(VALU_DEP_1)
	v_clz_i32_u32_e32 v150, v150
	v_min_u32_e32 v150, 32, v150
	s_delay_alu instid0(VALU_DEP_1) | instskip(NEXT) | instid1(VALU_DEP_1)
	v_subrev_nc_u32_e32 v160, 28, v150
	v_lshlrev_b64_e32 v[161:162], v160, v[7:8]
	v_sub_nc_u32_e32 v160, 29, v150
	s_delay_alu instid0(VALU_DEP_2)
	v_and_b32_e32 v150, 7, v161
; %bb.328:                              ;   in Loop: Header=BB290_16 Depth=1
	s_wait_alu 0xfffe
	s_or_b32 exec_lo, exec_lo, s23
	v_lshlrev_b32_e32 v7, 8, v7
	v_lshl_add_u32 v160, v160, 10, 0x2000
	v_lshlrev_b32_e32 v150, 7, v150
	s_delay_alu instid0(VALU_DEP_3) | instskip(NEXT) | instid1(VALU_DEP_3)
	v_and_b32_e32 v7, 0x8000, v7
	v_and_b32_e32 v160, 0xfc00, v160
	s_delay_alu instid0(VALU_DEP_1)
	v_or3_b32 v150, v7, v160, v150
.LBB290_329:                            ;   in Loop: Header=BB290_16 Depth=1
	s_wait_alu 0xfffe
	s_or_b32 exec_lo, exec_lo, s22
.LBB290_330:                            ;   in Loop: Header=BB290_16 Depth=1
	s_wait_alu 0xfffe
	s_or_b32 exec_lo, exec_lo, s21
.LBB290_331:                            ;   in Loop: Header=BB290_16 Depth=1
	s_wait_alu 0xfffe
	s_or_b32 exec_lo, exec_lo, s20
	v_dual_mov_b32 v161, 0 :: v_dual_mov_b32 v160, 0
	s_mov_b32 s20, exec_lo
	v_cmpx_lt_u64_e64 s[10:11], v[31:32]
	s_cbranch_execz .LBB290_339
; %bb.332:                              ;   in Loop: Header=BB290_16 Depth=1
	v_lshrrev_b32_e32 v7, 24, v32
	v_bfrev_b32_e32 v160, 1
	s_mov_b32 s21, exec_lo
	s_delay_alu instid0(VALU_DEP_2)
	v_cmpx_ne_u32_e32 0x80, v7
	s_cbranch_execz .LBB290_338
; %bb.333:                              ;   in Loop: Header=BB290_16 Depth=1
	v_and_b32_e32 v162, 0x7f, v7
	v_mov_b32_e32 v160, 0x7c010000
	s_mov_b32 s22, exec_lo
	s_delay_alu instid0(VALU_DEP_2)
	v_cmpx_ne_u32_e32 0x7f, v162
	s_cbranch_execz .LBB290_337
; %bb.334:                              ;   in Loop: Header=BB290_16 Depth=1
	v_and_b32_e32 v31, 7, v7
	v_lshrrev_b32_e32 v32, 3, v162
	s_mov_b32 s23, exec_lo
	v_cmpx_gt_u32_e32 8, v162
; %bb.335:                              ;   in Loop: Header=BB290_16 Depth=1
	s_delay_alu instid0(VALU_DEP_3) | instskip(NEXT) | instid1(VALU_DEP_1)
	v_clz_i32_u32_e32 v31, v31
	v_min_u32_e32 v160, 32, v31
	s_delay_alu instid0(VALU_DEP_1) | instskip(NEXT) | instid1(VALU_DEP_1)
	v_subrev_nc_u32_e32 v31, 28, v160
	v_lshlrev_b64_e32 v[31:32], v31, v[7:8]
	v_sub_nc_u32_e32 v32, 29, v160
	s_delay_alu instid0(VALU_DEP_2)
	v_and_b32_e32 v31, 7, v31
; %bb.336:                              ;   in Loop: Header=BB290_16 Depth=1
	s_wait_alu 0xfffe
	s_or_b32 exec_lo, exec_lo, s23
	v_lshlrev_b32_e32 v7, 8, v7
	v_lshl_add_u32 v32, v32, 10, 0x2000
	v_lshlrev_b32_e32 v31, 23, v31
	s_delay_alu instid0(VALU_DEP_2) | instskip(NEXT) | instid1(VALU_DEP_1)
	v_and_or_b32 v7, 0x8000, v7, v32
	v_lshl_or_b32 v160, v7, 16, v31
.LBB290_337:                            ;   in Loop: Header=BB290_16 Depth=1
	s_wait_alu 0xfffe
	s_or_b32 exec_lo, exec_lo, s22
.LBB290_338:                            ;   in Loop: Header=BB290_16 Depth=1
	s_wait_alu 0xfffe
	s_or_b32 exec_lo, exec_lo, s21
.LBB290_339:                            ;   in Loop: Header=BB290_16 Depth=1
	s_wait_alu 0xfffe
	s_or_b32 exec_lo, exec_lo, s20
	flat_load_b64 v[31:32], v[28:29] offset:1032
	s_mov_b32 s20, exec_lo
	s_wait_loadcnt_dscnt 0x0
	v_and_b32_e32 v7, 0xff, v31
	s_delay_alu instid0(VALU_DEP_1)
	v_cmpx_ne_u16_e32 0, v7
	s_cbranch_execz .LBB290_347
; %bb.340:                              ;   in Loop: Header=BB290_16 Depth=1
	v_mov_b32_e32 v161, 0x8000
	s_mov_b32 s21, exec_lo
	v_cmpx_ne_u16_e32 0x80, v7
	s_cbranch_execz .LBB290_346
; %bb.341:                              ;   in Loop: Header=BB290_16 Depth=1
	v_and_b32_e32 v162, 0x7f, v31
	v_mov_b32_e32 v161, 0x7c01
	s_mov_b32 s22, exec_lo
	s_delay_alu instid0(VALU_DEP_2)
	v_cmpx_ne_u32_e32 0x7f, v162
	s_cbranch_execz .LBB290_345
; %bb.342:                              ;   in Loop: Header=BB290_16 Depth=1
	v_and_b32_e32 v7, 7, v31
	v_lshrrev_b32_e32 v161, 3, v162
	s_mov_b32 s23, exec_lo
	v_cmpx_gt_u32_e32 8, v162
; %bb.343:                              ;   in Loop: Header=BB290_16 Depth=1
	s_delay_alu instid0(VALU_DEP_3) | instskip(NEXT) | instid1(VALU_DEP_1)
	v_clz_i32_u32_e32 v7, v7
	v_min_u32_e32 v7, 32, v7
	s_delay_alu instid0(VALU_DEP_1) | instskip(NEXT) | instid1(VALU_DEP_1)
	v_subrev_nc_u32_e32 v161, 28, v7
	v_lshlrev_b64_e32 v[162:163], v161, v[31:32]
	v_sub_nc_u32_e32 v161, 29, v7
	s_delay_alu instid0(VALU_DEP_2)
	v_and_b32_e32 v7, 7, v162
; %bb.344:                              ;   in Loop: Header=BB290_16 Depth=1
	s_wait_alu 0xfffe
	s_or_b32 exec_lo, exec_lo, s23
	v_lshlrev_b32_e32 v162, 8, v31
	v_lshl_add_u32 v161, v161, 10, 0x2000
	v_lshlrev_b32_e32 v7, 7, v7
	s_delay_alu instid0(VALU_DEP_3) | instskip(NEXT) | instid1(VALU_DEP_3)
	v_and_b32_e32 v162, 0x8000, v162
	v_and_b32_e32 v161, 0xfc00, v161
	s_delay_alu instid0(VALU_DEP_1)
	v_or3_b32 v161, v162, v161, v7
.LBB290_345:                            ;   in Loop: Header=BB290_16 Depth=1
	s_wait_alu 0xfffe
	s_or_b32 exec_lo, exec_lo, s22
.LBB290_346:                            ;   in Loop: Header=BB290_16 Depth=1
	s_wait_alu 0xfffe
	s_or_b32 exec_lo, exec_lo, s21
.LBB290_347:                            ;   in Loop: Header=BB290_16 Depth=1
	s_wait_alu 0xfffe
	s_or_b32 exec_lo, exec_lo, s20
	v_lshrrev_b16 v7, 8, v31
	v_dual_mov_b32 v163, 0 :: v_dual_mov_b32 v162, 0
	s_mov_b32 s20, exec_lo
	s_delay_alu instid0(VALU_DEP_2)
	v_cmpx_ne_u16_e32 0, v7
	s_cbranch_execz .LBB290_355
; %bb.348:                              ;   in Loop: Header=BB290_16 Depth=1
	v_bfrev_b32_e32 v162, 1
	s_mov_b32 s21, exec_lo
	v_cmpx_ne_u16_e32 0x80, v7
	s_cbranch_execz .LBB290_354
; %bb.349:                              ;   in Loop: Header=BB290_16 Depth=1
	v_and_b32_e32 v164, 0xffff, v7
	v_mov_b32_e32 v162, 0x7c010000
	s_mov_b32 s22, exec_lo
	s_delay_alu instid0(VALU_DEP_2) | instskip(NEXT) | instid1(VALU_DEP_1)
	v_and_b32_e32 v166, 0x7f, v164
	v_cmpx_ne_u32_e32 0x7f, v166
	s_cbranch_execz .LBB290_353
; %bb.350:                              ;   in Loop: Header=BB290_16 Depth=1
	v_and_b32_e32 v162, 7, v164
	v_lshrrev_b32_e32 v165, 3, v166
	s_mov_b32 s23, exec_lo
	v_cmpx_gt_u32_e32 8, v166
; %bb.351:                              ;   in Loop: Header=BB290_16 Depth=1
	s_delay_alu instid0(VALU_DEP_3) | instskip(NEXT) | instid1(VALU_DEP_1)
	v_clz_i32_u32_e32 v162, v162
	v_min_u32_e32 v162, 32, v162
	s_delay_alu instid0(VALU_DEP_1) | instskip(NEXT) | instid1(VALU_DEP_1)
	v_subrev_nc_u32_e32 v165, 28, v162
	v_lshlrev_b64_e32 v[166:167], v165, v[7:8]
	v_sub_nc_u32_e32 v165, 29, v162
	s_delay_alu instid0(VALU_DEP_2)
	v_and_b32_e32 v162, 7, v166
; %bb.352:                              ;   in Loop: Header=BB290_16 Depth=1
	s_wait_alu 0xfffe
	s_or_b32 exec_lo, exec_lo, s23
	v_lshlrev_b32_e32 v7, 8, v164
	v_lshl_add_u32 v164, v165, 10, 0x2000
	v_lshlrev_b32_e32 v162, 23, v162
	s_delay_alu instid0(VALU_DEP_2) | instskip(NEXT) | instid1(VALU_DEP_1)
	v_and_or_b32 v7, 0x8000, v7, v164
	v_lshl_or_b32 v162, v7, 16, v162
.LBB290_353:                            ;   in Loop: Header=BB290_16 Depth=1
	s_wait_alu 0xfffe
	s_or_b32 exec_lo, exec_lo, s22
.LBB290_354:                            ;   in Loop: Header=BB290_16 Depth=1
	s_wait_alu 0xfffe
	s_or_b32 exec_lo, exec_lo, s21
.LBB290_355:                            ;   in Loop: Header=BB290_16 Depth=1
	s_wait_alu 0xfffe
	s_or_b32 exec_lo, exec_lo, s20
	v_lshrrev_b32_e32 v7, 16, v31
	s_mov_b32 s20, exec_lo
	s_delay_alu instid0(VALU_DEP_1) | instskip(NEXT) | instid1(VALU_DEP_1)
	v_and_b32_e32 v164, 0xff, v7
	v_cmpx_ne_u16_e64 0, v164
	s_cbranch_execz .LBB290_363
; %bb.356:                              ;   in Loop: Header=BB290_16 Depth=1
	v_mov_b32_e32 v163, 0x8000
	s_mov_b32 s21, exec_lo
	v_cmpx_ne_u16_e64 0x80, v164
	s_cbranch_execz .LBB290_362
; %bb.357:                              ;   in Loop: Header=BB290_16 Depth=1
	v_bfe_u32 v165, v31, 16, 7
	v_mov_b32_e32 v163, 0x7c01
	s_mov_b32 s22, exec_lo
	s_delay_alu instid0(VALU_DEP_2)
	v_cmpx_ne_u32_e32 0x7f, v165
	s_cbranch_execz .LBB290_361
; %bb.358:                              ;   in Loop: Header=BB290_16 Depth=1
	v_and_b32_e32 v163, 7, v7
	v_lshrrev_b32_e32 v164, 3, v165
	s_mov_b32 s23, exec_lo
	v_cmpx_gt_u32_e32 8, v165
; %bb.359:                              ;   in Loop: Header=BB290_16 Depth=1
	s_delay_alu instid0(VALU_DEP_3) | instskip(NEXT) | instid1(VALU_DEP_1)
	v_clz_i32_u32_e32 v163, v163
	v_min_u32_e32 v165, 32, v163
	s_delay_alu instid0(VALU_DEP_1) | instskip(NEXT) | instid1(VALU_DEP_1)
	v_subrev_nc_u32_e32 v163, 28, v165
	v_lshlrev_b64_e32 v[163:164], v163, v[7:8]
	v_sub_nc_u32_e32 v164, 29, v165
	s_delay_alu instid0(VALU_DEP_2)
	v_and_b32_e32 v163, 7, v163
; %bb.360:                              ;   in Loop: Header=BB290_16 Depth=1
	s_wait_alu 0xfffe
	s_or_b32 exec_lo, exec_lo, s23
	v_lshlrev_b32_e32 v7, 8, v7
	v_lshl_add_u32 v164, v164, 10, 0x2000
	v_lshlrev_b32_e32 v163, 7, v163
	s_delay_alu instid0(VALU_DEP_3) | instskip(NEXT) | instid1(VALU_DEP_3)
	v_and_b32_e32 v7, 0x8000, v7
	v_and_b32_e32 v164, 0xfc00, v164
	s_delay_alu instid0(VALU_DEP_1)
	v_or3_b32 v163, v7, v164, v163
.LBB290_361:                            ;   in Loop: Header=BB290_16 Depth=1
	s_wait_alu 0xfffe
	s_or_b32 exec_lo, exec_lo, s22
.LBB290_362:                            ;   in Loop: Header=BB290_16 Depth=1
	s_wait_alu 0xfffe
	s_or_b32 exec_lo, exec_lo, s21
.LBB290_363:                            ;   in Loop: Header=BB290_16 Depth=1
	s_wait_alu 0xfffe
	s_or_b32 exec_lo, exec_lo, s20
	v_dual_mov_b32 v164, 0 :: v_dual_mov_b32 v165, 0
	s_mov_b32 s20, exec_lo
	v_cmpx_lt_u32_e32 0xffffff, v31
	s_cbranch_execz .LBB290_371
; %bb.364:                              ;   in Loop: Header=BB290_16 Depth=1
	v_lshrrev_b32_e32 v7, 24, v31
	v_bfrev_b32_e32 v165, 1
	s_mov_b32 s21, exec_lo
	s_delay_alu instid0(VALU_DEP_2)
	v_cmpx_ne_u32_e32 0x80, v7
	s_cbranch_execz .LBB290_370
; %bb.365:                              ;   in Loop: Header=BB290_16 Depth=1
	v_and_b32_e32 v167, 0x7f, v7
	v_mov_b32_e32 v165, 0x7c010000
	s_mov_b32 s22, exec_lo
	s_delay_alu instid0(VALU_DEP_2)
	v_cmpx_ne_u32_e32 0x7f, v167
	s_cbranch_execz .LBB290_369
; %bb.366:                              ;   in Loop: Header=BB290_16 Depth=1
	v_and_b32_e32 v165, 7, v7
	v_lshrrev_b32_e32 v166, 3, v167
	s_mov_b32 s23, exec_lo
	v_cmpx_gt_u32_e32 8, v167
; %bb.367:                              ;   in Loop: Header=BB290_16 Depth=1
	s_delay_alu instid0(VALU_DEP_3) | instskip(NEXT) | instid1(VALU_DEP_1)
	v_clz_i32_u32_e32 v165, v165
	v_min_u32_e32 v167, 32, v165
	s_delay_alu instid0(VALU_DEP_1) | instskip(NEXT) | instid1(VALU_DEP_1)
	v_subrev_nc_u32_e32 v165, 28, v167
	v_lshlrev_b64_e32 v[165:166], v165, v[7:8]
	v_sub_nc_u32_e32 v166, 29, v167
	s_delay_alu instid0(VALU_DEP_2)
	v_and_b32_e32 v165, 7, v165
; %bb.368:                              ;   in Loop: Header=BB290_16 Depth=1
	s_wait_alu 0xfffe
	s_or_b32 exec_lo, exec_lo, s23
	v_lshlrev_b32_e32 v7, 8, v7
	v_lshl_add_u32 v166, v166, 10, 0x2000
	v_lshlrev_b32_e32 v165, 23, v165
	s_delay_alu instid0(VALU_DEP_2) | instskip(NEXT) | instid1(VALU_DEP_1)
	v_and_or_b32 v7, 0x8000, v7, v166
	v_lshl_or_b32 v165, v7, 16, v165
.LBB290_369:                            ;   in Loop: Header=BB290_16 Depth=1
	s_wait_alu 0xfffe
	s_or_b32 exec_lo, exec_lo, s22
.LBB290_370:                            ;   in Loop: Header=BB290_16 Depth=1
	s_wait_alu 0xfffe
	s_or_b32 exec_lo, exec_lo, s21
.LBB290_371:                            ;   in Loop: Header=BB290_16 Depth=1
	s_wait_alu 0xfffe
	s_or_b32 exec_lo, exec_lo, s20
	v_dual_mov_b32 v7, v32 :: v_dual_and_b32 v166, 0xff, v32
	s_mov_b32 s20, exec_lo
	s_delay_alu instid0(VALU_DEP_1)
	v_cmpx_ne_u16_e64 0, v166
	s_cbranch_execz .LBB290_379
; %bb.372:                              ;   in Loop: Header=BB290_16 Depth=1
	v_mov_b32_e32 v164, 0x8000
	s_mov_b32 s21, exec_lo
	v_cmpx_ne_u16_e64 0x80, v166
	s_cbranch_execz .LBB290_378
; %bb.373:                              ;   in Loop: Header=BB290_16 Depth=1
	v_and_b32_e32 v167, 0x7f, v32
	v_mov_b32_e32 v164, 0x7c01
	s_mov_b32 s22, exec_lo
	s_delay_alu instid0(VALU_DEP_2)
	v_cmpx_ne_u32_e32 0x7f, v167
	s_cbranch_execz .LBB290_377
; %bb.374:                              ;   in Loop: Header=BB290_16 Depth=1
	v_and_b32_e32 v164, 7, v32
	v_lshrrev_b32_e32 v166, 3, v167
	s_mov_b32 s23, exec_lo
	v_cmpx_gt_u32_e32 8, v167
; %bb.375:                              ;   in Loop: Header=BB290_16 Depth=1
	s_delay_alu instid0(VALU_DEP_3) | instskip(NEXT) | instid1(VALU_DEP_1)
	v_clz_i32_u32_e32 v164, v164
	v_min_u32_e32 v164, 32, v164
	s_delay_alu instid0(VALU_DEP_1) | instskip(NEXT) | instid1(VALU_DEP_1)
	v_subrev_nc_u32_e32 v166, 28, v164
	v_lshlrev_b64_e32 v[176:177], v166, v[7:8]
	v_sub_nc_u32_e32 v166, 29, v164
	s_delay_alu instid0(VALU_DEP_2)
	v_and_b32_e32 v164, 7, v176
; %bb.376:                              ;   in Loop: Header=BB290_16 Depth=1
	s_wait_alu 0xfffe
	s_or_b32 exec_lo, exec_lo, s23
	v_lshlrev_b32_e32 v167, 8, v32
	v_lshl_add_u32 v166, v166, 10, 0x2000
	v_lshlrev_b32_e32 v164, 7, v164
	s_delay_alu instid0(VALU_DEP_3) | instskip(NEXT) | instid1(VALU_DEP_3)
	v_and_b32_e32 v167, 0x8000, v167
	v_and_b32_e32 v166, 0xfc00, v166
	s_delay_alu instid0(VALU_DEP_1)
	v_or3_b32 v164, v167, v166, v164
.LBB290_377:                            ;   in Loop: Header=BB290_16 Depth=1
	s_wait_alu 0xfffe
	s_or_b32 exec_lo, exec_lo, s22
.LBB290_378:                            ;   in Loop: Header=BB290_16 Depth=1
	s_wait_alu 0xfffe
	s_or_b32 exec_lo, exec_lo, s21
.LBB290_379:                            ;   in Loop: Header=BB290_16 Depth=1
	s_wait_alu 0xfffe
	s_or_b32 exec_lo, exec_lo, s20
	v_lshrrev_b16 v7, 8, v7
	v_dual_mov_b32 v166, 0 :: v_dual_mov_b32 v167, 0
	s_mov_b32 s20, exec_lo
	s_delay_alu instid0(VALU_DEP_2)
	v_cmpx_ne_u16_e32 0, v7
	s_cbranch_execz .LBB290_387
; %bb.380:                              ;   in Loop: Header=BB290_16 Depth=1
	v_bfrev_b32_e32 v167, 1
	s_mov_b32 s21, exec_lo
	v_cmpx_ne_u16_e32 0x80, v7
	s_cbranch_execz .LBB290_386
; %bb.381:                              ;   in Loop: Header=BB290_16 Depth=1
	v_and_b32_e32 v176, 0xffff, v7
	v_mov_b32_e32 v167, 0x7c010000
	s_mov_b32 s22, exec_lo
	s_delay_alu instid0(VALU_DEP_2) | instskip(NEXT) | instid1(VALU_DEP_1)
	v_and_b32_e32 v178, 0x7f, v176
	v_cmpx_ne_u32_e32 0x7f, v178
	s_cbranch_execz .LBB290_385
; %bb.382:                              ;   in Loop: Header=BB290_16 Depth=1
	v_and_b32_e32 v167, 7, v176
	v_lshrrev_b32_e32 v177, 3, v178
	s_mov_b32 s23, exec_lo
	v_cmpx_gt_u32_e32 8, v178
; %bb.383:                              ;   in Loop: Header=BB290_16 Depth=1
	s_delay_alu instid0(VALU_DEP_3) | instskip(NEXT) | instid1(VALU_DEP_1)
	v_clz_i32_u32_e32 v167, v167
	v_min_u32_e32 v167, 32, v167
	s_delay_alu instid0(VALU_DEP_1) | instskip(NEXT) | instid1(VALU_DEP_1)
	v_subrev_nc_u32_e32 v177, 28, v167
	v_lshlrev_b64_e32 v[178:179], v177, v[7:8]
	v_sub_nc_u32_e32 v177, 29, v167
	s_delay_alu instid0(VALU_DEP_2)
	v_and_b32_e32 v167, 7, v178
; %bb.384:                              ;   in Loop: Header=BB290_16 Depth=1
	s_wait_alu 0xfffe
	s_or_b32 exec_lo, exec_lo, s23
	v_lshlrev_b32_e32 v7, 8, v176
	v_lshl_add_u32 v176, v177, 10, 0x2000
	v_lshlrev_b32_e32 v167, 23, v167
	s_delay_alu instid0(VALU_DEP_2) | instskip(NEXT) | instid1(VALU_DEP_1)
	v_and_or_b32 v7, 0x8000, v7, v176
	v_lshl_or_b32 v167, v7, 16, v167
.LBB290_385:                            ;   in Loop: Header=BB290_16 Depth=1
	s_wait_alu 0xfffe
	s_or_b32 exec_lo, exec_lo, s22
.LBB290_386:                            ;   in Loop: Header=BB290_16 Depth=1
	s_wait_alu 0xfffe
	s_or_b32 exec_lo, exec_lo, s21
.LBB290_387:                            ;   in Loop: Header=BB290_16 Depth=1
	s_wait_alu 0xfffe
	s_or_b32 exec_lo, exec_lo, s20
	v_lshrrev_b32_e32 v7, 16, v32
	s_mov_b32 s20, exec_lo
	s_delay_alu instid0(VALU_DEP_1) | instskip(NEXT) | instid1(VALU_DEP_1)
	v_and_b32_e32 v176, 0xff, v7
	v_cmpx_ne_u16_e64 0, v176
	s_cbranch_execz .LBB290_395
; %bb.388:                              ;   in Loop: Header=BB290_16 Depth=1
	v_mov_b32_e32 v166, 0x8000
	s_mov_b32 s21, exec_lo
	v_cmpx_ne_u16_e64 0x80, v176
	s_cbranch_execz .LBB290_394
; %bb.389:                              ;   in Loop: Header=BB290_16 Depth=1
	v_bfe_u32 v177, v32, 16, 7
	v_mov_b32_e32 v166, 0x7c01
	s_mov_b32 s22, exec_lo
	s_delay_alu instid0(VALU_DEP_2)
	v_cmpx_ne_u32_e32 0x7f, v177
	s_cbranch_execz .LBB290_393
; %bb.390:                              ;   in Loop: Header=BB290_16 Depth=1
	v_and_b32_e32 v166, 7, v7
	v_lshrrev_b32_e32 v176, 3, v177
	s_mov_b32 s23, exec_lo
	v_cmpx_gt_u32_e32 8, v177
; %bb.391:                              ;   in Loop: Header=BB290_16 Depth=1
	s_delay_alu instid0(VALU_DEP_3) | instskip(NEXT) | instid1(VALU_DEP_1)
	v_clz_i32_u32_e32 v166, v166
	v_min_u32_e32 v166, 32, v166
	s_delay_alu instid0(VALU_DEP_1) | instskip(NEXT) | instid1(VALU_DEP_1)
	v_subrev_nc_u32_e32 v176, 28, v166
	v_lshlrev_b64_e32 v[177:178], v176, v[7:8]
	v_sub_nc_u32_e32 v176, 29, v166
	s_delay_alu instid0(VALU_DEP_2)
	v_and_b32_e32 v166, 7, v177
; %bb.392:                              ;   in Loop: Header=BB290_16 Depth=1
	s_wait_alu 0xfffe
	s_or_b32 exec_lo, exec_lo, s23
	v_lshlrev_b32_e32 v7, 8, v7
	v_lshl_add_u32 v176, v176, 10, 0x2000
	v_lshlrev_b32_e32 v166, 7, v166
	s_delay_alu instid0(VALU_DEP_3) | instskip(NEXT) | instid1(VALU_DEP_3)
	v_and_b32_e32 v7, 0x8000, v7
	v_and_b32_e32 v176, 0xfc00, v176
	s_delay_alu instid0(VALU_DEP_1)
	v_or3_b32 v166, v7, v176, v166
.LBB290_393:                            ;   in Loop: Header=BB290_16 Depth=1
	s_wait_alu 0xfffe
	s_or_b32 exec_lo, exec_lo, s22
.LBB290_394:                            ;   in Loop: Header=BB290_16 Depth=1
	s_wait_alu 0xfffe
	s_or_b32 exec_lo, exec_lo, s21
.LBB290_395:                            ;   in Loop: Header=BB290_16 Depth=1
	s_wait_alu 0xfffe
	s_or_b32 exec_lo, exec_lo, s20
	v_dual_mov_b32 v177, 0 :: v_dual_mov_b32 v176, 0
	s_mov_b32 s20, exec_lo
	v_cmpx_lt_u64_e64 s[10:11], v[31:32]
	s_cbranch_execz .LBB290_403
; %bb.396:                              ;   in Loop: Header=BB290_16 Depth=1
	v_lshrrev_b32_e32 v7, 24, v32
	v_bfrev_b32_e32 v176, 1
	s_mov_b32 s21, exec_lo
	s_delay_alu instid0(VALU_DEP_2)
	v_cmpx_ne_u32_e32 0x80, v7
	s_cbranch_execz .LBB290_402
; %bb.397:                              ;   in Loop: Header=BB290_16 Depth=1
	v_and_b32_e32 v178, 0x7f, v7
	v_mov_b32_e32 v176, 0x7c010000
	s_mov_b32 s22, exec_lo
	s_delay_alu instid0(VALU_DEP_2)
	v_cmpx_ne_u32_e32 0x7f, v178
	s_cbranch_execz .LBB290_401
; %bb.398:                              ;   in Loop: Header=BB290_16 Depth=1
	v_and_b32_e32 v31, 7, v7
	v_lshrrev_b32_e32 v32, 3, v178
	s_mov_b32 s23, exec_lo
	v_cmpx_gt_u32_e32 8, v178
; %bb.399:                              ;   in Loop: Header=BB290_16 Depth=1
	s_delay_alu instid0(VALU_DEP_3) | instskip(NEXT) | instid1(VALU_DEP_1)
	v_clz_i32_u32_e32 v31, v31
	v_min_u32_e32 v176, 32, v31
	s_delay_alu instid0(VALU_DEP_1) | instskip(NEXT) | instid1(VALU_DEP_1)
	v_subrev_nc_u32_e32 v31, 28, v176
	v_lshlrev_b64_e32 v[31:32], v31, v[7:8]
	v_sub_nc_u32_e32 v32, 29, v176
	s_delay_alu instid0(VALU_DEP_2)
	v_and_b32_e32 v31, 7, v31
; %bb.400:                              ;   in Loop: Header=BB290_16 Depth=1
	s_wait_alu 0xfffe
	s_or_b32 exec_lo, exec_lo, s23
	v_lshlrev_b32_e32 v7, 8, v7
	v_lshl_add_u32 v32, v32, 10, 0x2000
	v_lshlrev_b32_e32 v31, 23, v31
	s_delay_alu instid0(VALU_DEP_2) | instskip(NEXT) | instid1(VALU_DEP_1)
	v_and_or_b32 v7, 0x8000, v7, v32
	v_lshl_or_b32 v176, v7, 16, v31
.LBB290_401:                            ;   in Loop: Header=BB290_16 Depth=1
	s_wait_alu 0xfffe
	s_or_b32 exec_lo, exec_lo, s22
.LBB290_402:                            ;   in Loop: Header=BB290_16 Depth=1
	s_wait_alu 0xfffe
	s_or_b32 exec_lo, exec_lo, s21
.LBB290_403:                            ;   in Loop: Header=BB290_16 Depth=1
	s_wait_alu 0xfffe
	s_or_b32 exec_lo, exec_lo, s20
	flat_load_b64 v[31:32], v[28:29] offset:1536
	s_mov_b32 s20, exec_lo
	s_wait_loadcnt_dscnt 0x0
	v_and_b32_e32 v7, 0xff, v31
	s_delay_alu instid0(VALU_DEP_1)
	v_cmpx_ne_u16_e32 0, v7
	s_cbranch_execz .LBB290_411
; %bb.404:                              ;   in Loop: Header=BB290_16 Depth=1
	v_mov_b32_e32 v177, 0x8000
	s_mov_b32 s21, exec_lo
	v_cmpx_ne_u16_e32 0x80, v7
	s_cbranch_execz .LBB290_410
; %bb.405:                              ;   in Loop: Header=BB290_16 Depth=1
	v_and_b32_e32 v178, 0x7f, v31
	v_mov_b32_e32 v177, 0x7c01
	s_mov_b32 s22, exec_lo
	s_delay_alu instid0(VALU_DEP_2)
	v_cmpx_ne_u32_e32 0x7f, v178
	s_cbranch_execz .LBB290_409
; %bb.406:                              ;   in Loop: Header=BB290_16 Depth=1
	v_and_b32_e32 v7, 7, v31
	v_lshrrev_b32_e32 v177, 3, v178
	s_mov_b32 s23, exec_lo
	v_cmpx_gt_u32_e32 8, v178
; %bb.407:                              ;   in Loop: Header=BB290_16 Depth=1
	s_delay_alu instid0(VALU_DEP_3) | instskip(NEXT) | instid1(VALU_DEP_1)
	v_clz_i32_u32_e32 v7, v7
	v_min_u32_e32 v7, 32, v7
	s_delay_alu instid0(VALU_DEP_1) | instskip(NEXT) | instid1(VALU_DEP_1)
	v_subrev_nc_u32_e32 v177, 28, v7
	v_lshlrev_b64_e32 v[178:179], v177, v[31:32]
	v_sub_nc_u32_e32 v177, 29, v7
	s_delay_alu instid0(VALU_DEP_2)
	v_and_b32_e32 v7, 7, v178
; %bb.408:                              ;   in Loop: Header=BB290_16 Depth=1
	s_wait_alu 0xfffe
	s_or_b32 exec_lo, exec_lo, s23
	v_lshlrev_b32_e32 v178, 8, v31
	v_lshl_add_u32 v177, v177, 10, 0x2000
	v_lshlrev_b32_e32 v7, 7, v7
	s_delay_alu instid0(VALU_DEP_3) | instskip(NEXT) | instid1(VALU_DEP_3)
	v_and_b32_e32 v178, 0x8000, v178
	v_and_b32_e32 v177, 0xfc00, v177
	s_delay_alu instid0(VALU_DEP_1)
	v_or3_b32 v177, v178, v177, v7
.LBB290_409:                            ;   in Loop: Header=BB290_16 Depth=1
	s_wait_alu 0xfffe
	s_or_b32 exec_lo, exec_lo, s22
.LBB290_410:                            ;   in Loop: Header=BB290_16 Depth=1
	s_wait_alu 0xfffe
	s_or_b32 exec_lo, exec_lo, s21
.LBB290_411:                            ;   in Loop: Header=BB290_16 Depth=1
	s_wait_alu 0xfffe
	s_or_b32 exec_lo, exec_lo, s20
	v_lshrrev_b16 v7, 8, v31
	v_dual_mov_b32 v179, 0 :: v_dual_mov_b32 v178, 0
	s_mov_b32 s20, exec_lo
	s_delay_alu instid0(VALU_DEP_2)
	v_cmpx_ne_u16_e32 0, v7
	s_cbranch_execz .LBB290_419
; %bb.412:                              ;   in Loop: Header=BB290_16 Depth=1
	v_bfrev_b32_e32 v178, 1
	s_mov_b32 s21, exec_lo
	v_cmpx_ne_u16_e32 0x80, v7
	s_cbranch_execz .LBB290_418
; %bb.413:                              ;   in Loop: Header=BB290_16 Depth=1
	v_and_b32_e32 v180, 0xffff, v7
	v_mov_b32_e32 v178, 0x7c010000
	s_mov_b32 s22, exec_lo
	s_delay_alu instid0(VALU_DEP_2) | instskip(NEXT) | instid1(VALU_DEP_1)
	v_and_b32_e32 v182, 0x7f, v180
	v_cmpx_ne_u32_e32 0x7f, v182
	s_cbranch_execz .LBB290_417
; %bb.414:                              ;   in Loop: Header=BB290_16 Depth=1
	v_and_b32_e32 v178, 7, v180
	v_lshrrev_b32_e32 v181, 3, v182
	s_mov_b32 s23, exec_lo
	v_cmpx_gt_u32_e32 8, v182
; %bb.415:                              ;   in Loop: Header=BB290_16 Depth=1
	s_delay_alu instid0(VALU_DEP_3) | instskip(NEXT) | instid1(VALU_DEP_1)
	v_clz_i32_u32_e32 v178, v178
	v_min_u32_e32 v178, 32, v178
	s_delay_alu instid0(VALU_DEP_1) | instskip(NEXT) | instid1(VALU_DEP_1)
	v_subrev_nc_u32_e32 v181, 28, v178
	v_lshlrev_b64_e32 v[182:183], v181, v[7:8]
	v_sub_nc_u32_e32 v181, 29, v178
	s_delay_alu instid0(VALU_DEP_2)
	v_and_b32_e32 v178, 7, v182
; %bb.416:                              ;   in Loop: Header=BB290_16 Depth=1
	s_wait_alu 0xfffe
	s_or_b32 exec_lo, exec_lo, s23
	v_lshlrev_b32_e32 v7, 8, v180
	v_lshl_add_u32 v180, v181, 10, 0x2000
	v_lshlrev_b32_e32 v178, 23, v178
	s_delay_alu instid0(VALU_DEP_2) | instskip(NEXT) | instid1(VALU_DEP_1)
	v_and_or_b32 v7, 0x8000, v7, v180
	v_lshl_or_b32 v178, v7, 16, v178
.LBB290_417:                            ;   in Loop: Header=BB290_16 Depth=1
	s_wait_alu 0xfffe
	s_or_b32 exec_lo, exec_lo, s22
.LBB290_418:                            ;   in Loop: Header=BB290_16 Depth=1
	s_wait_alu 0xfffe
	s_or_b32 exec_lo, exec_lo, s21
.LBB290_419:                            ;   in Loop: Header=BB290_16 Depth=1
	s_wait_alu 0xfffe
	s_or_b32 exec_lo, exec_lo, s20
	v_lshrrev_b32_e32 v7, 16, v31
	s_mov_b32 s20, exec_lo
	s_delay_alu instid0(VALU_DEP_1) | instskip(NEXT) | instid1(VALU_DEP_1)
	v_and_b32_e32 v180, 0xff, v7
	v_cmpx_ne_u16_e64 0, v180
	s_cbranch_execz .LBB290_427
; %bb.420:                              ;   in Loop: Header=BB290_16 Depth=1
	v_mov_b32_e32 v179, 0x8000
	s_mov_b32 s21, exec_lo
	v_cmpx_ne_u16_e64 0x80, v180
	s_cbranch_execz .LBB290_426
; %bb.421:                              ;   in Loop: Header=BB290_16 Depth=1
	v_bfe_u32 v181, v31, 16, 7
	v_mov_b32_e32 v179, 0x7c01
	s_mov_b32 s22, exec_lo
	s_delay_alu instid0(VALU_DEP_2)
	v_cmpx_ne_u32_e32 0x7f, v181
	s_cbranch_execz .LBB290_425
; %bb.422:                              ;   in Loop: Header=BB290_16 Depth=1
	v_and_b32_e32 v179, 7, v7
	v_lshrrev_b32_e32 v180, 3, v181
	s_mov_b32 s23, exec_lo
	v_cmpx_gt_u32_e32 8, v181
; %bb.423:                              ;   in Loop: Header=BB290_16 Depth=1
	s_delay_alu instid0(VALU_DEP_3) | instskip(NEXT) | instid1(VALU_DEP_1)
	v_clz_i32_u32_e32 v179, v179
	v_min_u32_e32 v181, 32, v179
	s_delay_alu instid0(VALU_DEP_1) | instskip(NEXT) | instid1(VALU_DEP_1)
	v_subrev_nc_u32_e32 v179, 28, v181
	v_lshlrev_b64_e32 v[179:180], v179, v[7:8]
	v_sub_nc_u32_e32 v180, 29, v181
	s_delay_alu instid0(VALU_DEP_2)
	v_and_b32_e32 v179, 7, v179
; %bb.424:                              ;   in Loop: Header=BB290_16 Depth=1
	s_wait_alu 0xfffe
	s_or_b32 exec_lo, exec_lo, s23
	v_lshlrev_b32_e32 v7, 8, v7
	v_lshl_add_u32 v180, v180, 10, 0x2000
	v_lshlrev_b32_e32 v179, 7, v179
	s_delay_alu instid0(VALU_DEP_3) | instskip(NEXT) | instid1(VALU_DEP_3)
	v_and_b32_e32 v7, 0x8000, v7
	v_and_b32_e32 v180, 0xfc00, v180
	s_delay_alu instid0(VALU_DEP_1)
	v_or3_b32 v179, v7, v180, v179
.LBB290_425:                            ;   in Loop: Header=BB290_16 Depth=1
	s_wait_alu 0xfffe
	s_or_b32 exec_lo, exec_lo, s22
.LBB290_426:                            ;   in Loop: Header=BB290_16 Depth=1
	s_wait_alu 0xfffe
	s_or_b32 exec_lo, exec_lo, s21
.LBB290_427:                            ;   in Loop: Header=BB290_16 Depth=1
	s_wait_alu 0xfffe
	s_or_b32 exec_lo, exec_lo, s20
	v_dual_mov_b32 v180, 0 :: v_dual_mov_b32 v181, 0
	s_mov_b32 s20, exec_lo
	v_cmpx_lt_u32_e32 0xffffff, v31
	s_cbranch_execz .LBB290_435
; %bb.428:                              ;   in Loop: Header=BB290_16 Depth=1
	v_lshrrev_b32_e32 v7, 24, v31
	v_bfrev_b32_e32 v181, 1
	s_mov_b32 s21, exec_lo
	s_delay_alu instid0(VALU_DEP_2)
	v_cmpx_ne_u32_e32 0x80, v7
	s_cbranch_execz .LBB290_434
; %bb.429:                              ;   in Loop: Header=BB290_16 Depth=1
	v_and_b32_e32 v183, 0x7f, v7
	v_mov_b32_e32 v181, 0x7c010000
	s_mov_b32 s22, exec_lo
	s_delay_alu instid0(VALU_DEP_2)
	v_cmpx_ne_u32_e32 0x7f, v183
	s_cbranch_execz .LBB290_433
; %bb.430:                              ;   in Loop: Header=BB290_16 Depth=1
	v_and_b32_e32 v181, 7, v7
	v_lshrrev_b32_e32 v182, 3, v183
	s_mov_b32 s23, exec_lo
	v_cmpx_gt_u32_e32 8, v183
; %bb.431:                              ;   in Loop: Header=BB290_16 Depth=1
	s_delay_alu instid0(VALU_DEP_3) | instskip(NEXT) | instid1(VALU_DEP_1)
	v_clz_i32_u32_e32 v181, v181
	v_min_u32_e32 v183, 32, v181
	s_delay_alu instid0(VALU_DEP_1) | instskip(NEXT) | instid1(VALU_DEP_1)
	v_subrev_nc_u32_e32 v181, 28, v183
	v_lshlrev_b64_e32 v[181:182], v181, v[7:8]
	v_sub_nc_u32_e32 v182, 29, v183
	s_delay_alu instid0(VALU_DEP_2)
	v_and_b32_e32 v181, 7, v181
; %bb.432:                              ;   in Loop: Header=BB290_16 Depth=1
	s_wait_alu 0xfffe
	s_or_b32 exec_lo, exec_lo, s23
	v_lshlrev_b32_e32 v7, 8, v7
	v_lshl_add_u32 v182, v182, 10, 0x2000
	v_lshlrev_b32_e32 v181, 23, v181
	s_delay_alu instid0(VALU_DEP_2) | instskip(NEXT) | instid1(VALU_DEP_1)
	v_and_or_b32 v7, 0x8000, v7, v182
	v_lshl_or_b32 v181, v7, 16, v181
.LBB290_433:                            ;   in Loop: Header=BB290_16 Depth=1
	s_wait_alu 0xfffe
	s_or_b32 exec_lo, exec_lo, s22
.LBB290_434:                            ;   in Loop: Header=BB290_16 Depth=1
	s_wait_alu 0xfffe
	s_or_b32 exec_lo, exec_lo, s21
.LBB290_435:                            ;   in Loop: Header=BB290_16 Depth=1
	s_wait_alu 0xfffe
	s_or_b32 exec_lo, exec_lo, s20
	v_dual_mov_b32 v7, v32 :: v_dual_and_b32 v182, 0xff, v32
	s_mov_b32 s20, exec_lo
	s_delay_alu instid0(VALU_DEP_1)
	v_cmpx_ne_u16_e64 0, v182
	s_cbranch_execz .LBB290_443
; %bb.436:                              ;   in Loop: Header=BB290_16 Depth=1
	v_mov_b32_e32 v180, 0x8000
	s_mov_b32 s21, exec_lo
	v_cmpx_ne_u16_e64 0x80, v182
	s_cbranch_execz .LBB290_442
; %bb.437:                              ;   in Loop: Header=BB290_16 Depth=1
	v_and_b32_e32 v183, 0x7f, v32
	v_mov_b32_e32 v180, 0x7c01
	s_mov_b32 s22, exec_lo
	s_delay_alu instid0(VALU_DEP_2)
	v_cmpx_ne_u32_e32 0x7f, v183
	s_cbranch_execz .LBB290_441
; %bb.438:                              ;   in Loop: Header=BB290_16 Depth=1
	v_and_b32_e32 v180, 7, v32
	v_lshrrev_b32_e32 v182, 3, v183
	s_mov_b32 s23, exec_lo
	v_cmpx_gt_u32_e32 8, v183
; %bb.439:                              ;   in Loop: Header=BB290_16 Depth=1
	s_delay_alu instid0(VALU_DEP_3) | instskip(NEXT) | instid1(VALU_DEP_1)
	v_clz_i32_u32_e32 v180, v180
	v_min_u32_e32 v180, 32, v180
	s_delay_alu instid0(VALU_DEP_1) | instskip(NEXT) | instid1(VALU_DEP_1)
	v_subrev_nc_u32_e32 v182, 28, v180
	v_lshlrev_b64_e32 v[40:41], v182, v[7:8]
	v_sub_nc_u32_e32 v182, 29, v180
	s_delay_alu instid0(VALU_DEP_2)
	v_and_b32_e32 v180, 7, v40
; %bb.440:                              ;   in Loop: Header=BB290_16 Depth=1
	s_wait_alu 0xfffe
	s_or_b32 exec_lo, exec_lo, s23
	v_lshlrev_b32_e32 v183, 8, v32
	v_lshl_add_u32 v182, v182, 10, 0x2000
	v_lshlrev_b32_e32 v180, 7, v180
	s_delay_alu instid0(VALU_DEP_3) | instskip(NEXT) | instid1(VALU_DEP_3)
	v_and_b32_e32 v183, 0x8000, v183
	v_and_b32_e32 v182, 0xfc00, v182
	s_delay_alu instid0(VALU_DEP_1)
	v_or3_b32 v180, v183, v182, v180
.LBB290_441:                            ;   in Loop: Header=BB290_16 Depth=1
	s_wait_alu 0xfffe
	s_or_b32 exec_lo, exec_lo, s22
.LBB290_442:                            ;   in Loop: Header=BB290_16 Depth=1
	s_wait_alu 0xfffe
	s_or_b32 exec_lo, exec_lo, s21
.LBB290_443:                            ;   in Loop: Header=BB290_16 Depth=1
	s_wait_alu 0xfffe
	s_or_b32 exec_lo, exec_lo, s20
	v_lshrrev_b16 v7, 8, v7
	v_dual_mov_b32 v182, 0 :: v_dual_mov_b32 v183, 0
	s_mov_b32 s20, exec_lo
	s_delay_alu instid0(VALU_DEP_2)
	v_cmpx_ne_u16_e32 0, v7
	s_cbranch_execz .LBB290_451
; %bb.444:                              ;   in Loop: Header=BB290_16 Depth=1
	v_bfrev_b32_e32 v183, 1
	s_mov_b32 s21, exec_lo
	v_cmpx_ne_u16_e32 0x80, v7
	s_cbranch_execz .LBB290_450
; %bb.445:                              ;   in Loop: Header=BB290_16 Depth=1
	v_and_b32_e32 v40, 0xffff, v7
	v_mov_b32_e32 v183, 0x7c010000
	s_mov_b32 s22, exec_lo
	s_delay_alu instid0(VALU_DEP_2) | instskip(NEXT) | instid1(VALU_DEP_1)
	v_and_b32_e32 v42, 0x7f, v40
	v_cmpx_ne_u32_e32 0x7f, v42
	s_cbranch_execz .LBB290_449
; %bb.446:                              ;   in Loop: Header=BB290_16 Depth=1
	v_and_b32_e32 v183, 7, v40
	v_lshrrev_b32_e32 v41, 3, v42
	s_mov_b32 s23, exec_lo
	v_cmpx_gt_u32_e32 8, v42
; %bb.447:                              ;   in Loop: Header=BB290_16 Depth=1
	s_delay_alu instid0(VALU_DEP_3) | instskip(NEXT) | instid1(VALU_DEP_1)
	v_clz_i32_u32_e32 v183, v183
	v_min_u32_e32 v183, 32, v183
	s_delay_alu instid0(VALU_DEP_1) | instskip(NEXT) | instid1(VALU_DEP_1)
	v_subrev_nc_u32_e32 v41, 28, v183
	v_lshlrev_b64_e32 v[42:43], v41, v[7:8]
	v_sub_nc_u32_e32 v41, 29, v183
	s_delay_alu instid0(VALU_DEP_2)
	v_and_b32_e32 v183, 7, v42
; %bb.448:                              ;   in Loop: Header=BB290_16 Depth=1
	s_wait_alu 0xfffe
	s_or_b32 exec_lo, exec_lo, s23
	v_lshlrev_b32_e32 v7, 8, v40
	v_lshl_add_u32 v40, v41, 10, 0x2000
	v_lshlrev_b32_e32 v183, 23, v183
	s_delay_alu instid0(VALU_DEP_2) | instskip(NEXT) | instid1(VALU_DEP_1)
	v_and_or_b32 v7, 0x8000, v7, v40
	v_lshl_or_b32 v183, v7, 16, v183
.LBB290_449:                            ;   in Loop: Header=BB290_16 Depth=1
	s_wait_alu 0xfffe
	s_or_b32 exec_lo, exec_lo, s22
.LBB290_450:                            ;   in Loop: Header=BB290_16 Depth=1
	s_wait_alu 0xfffe
	s_or_b32 exec_lo, exec_lo, s21
.LBB290_451:                            ;   in Loop: Header=BB290_16 Depth=1
	s_wait_alu 0xfffe
	s_or_b32 exec_lo, exec_lo, s20
	v_lshrrev_b32_e32 v7, 16, v32
	s_mov_b32 s20, exec_lo
	s_delay_alu instid0(VALU_DEP_1) | instskip(NEXT) | instid1(VALU_DEP_1)
	v_and_b32_e32 v40, 0xff, v7
	v_cmpx_ne_u16_e32 0, v40
	s_cbranch_execz .LBB290_459
; %bb.452:                              ;   in Loop: Header=BB290_16 Depth=1
	v_mov_b32_e32 v182, 0x8000
	s_mov_b32 s21, exec_lo
	v_cmpx_ne_u16_e32 0x80, v40
	s_cbranch_execz .LBB290_458
; %bb.453:                              ;   in Loop: Header=BB290_16 Depth=1
	v_bfe_u32 v41, v32, 16, 7
	v_mov_b32_e32 v182, 0x7c01
	s_mov_b32 s22, exec_lo
	s_delay_alu instid0(VALU_DEP_2)
	v_cmpx_ne_u32_e32 0x7f, v41
	s_cbranch_execz .LBB290_457
; %bb.454:                              ;   in Loop: Header=BB290_16 Depth=1
	v_and_b32_e32 v182, 7, v7
	v_lshrrev_b32_e32 v40, 3, v41
	s_mov_b32 s23, exec_lo
	v_cmpx_gt_u32_e32 8, v41
; %bb.455:                              ;   in Loop: Header=BB290_16 Depth=1
	s_delay_alu instid0(VALU_DEP_3) | instskip(NEXT) | instid1(VALU_DEP_1)
	v_clz_i32_u32_e32 v182, v182
	v_min_u32_e32 v182, 32, v182
	s_delay_alu instid0(VALU_DEP_1) | instskip(NEXT) | instid1(VALU_DEP_1)
	v_subrev_nc_u32_e32 v40, 28, v182
	v_lshlrev_b64_e32 v[41:42], v40, v[7:8]
	v_sub_nc_u32_e32 v40, 29, v182
	s_delay_alu instid0(VALU_DEP_2)
	v_and_b32_e32 v182, 7, v41
; %bb.456:                              ;   in Loop: Header=BB290_16 Depth=1
	s_wait_alu 0xfffe
	s_or_b32 exec_lo, exec_lo, s23
	v_lshlrev_b32_e32 v7, 8, v7
	v_lshl_add_u32 v40, v40, 10, 0x2000
	v_lshlrev_b32_e32 v182, 7, v182
	s_delay_alu instid0(VALU_DEP_3) | instskip(NEXT) | instid1(VALU_DEP_3)
	v_and_b32_e32 v7, 0x8000, v7
	v_and_b32_e32 v40, 0xfc00, v40
	s_delay_alu instid0(VALU_DEP_1)
	v_or3_b32 v182, v7, v40, v182
.LBB290_457:                            ;   in Loop: Header=BB290_16 Depth=1
	s_wait_alu 0xfffe
	s_or_b32 exec_lo, exec_lo, s22
.LBB290_458:                            ;   in Loop: Header=BB290_16 Depth=1
	s_wait_alu 0xfffe
	s_or_b32 exec_lo, exec_lo, s21
.LBB290_459:                            ;   in Loop: Header=BB290_16 Depth=1
	s_wait_alu 0xfffe
	s_or_b32 exec_lo, exec_lo, s20
	v_dual_mov_b32 v41, 0 :: v_dual_mov_b32 v40, 0
	s_mov_b32 s20, exec_lo
	v_cmpx_lt_u64_e64 s[10:11], v[31:32]
	s_cbranch_execz .LBB290_467
; %bb.460:                              ;   in Loop: Header=BB290_16 Depth=1
	v_lshrrev_b32_e32 v7, 24, v32
	v_bfrev_b32_e32 v40, 1
	s_mov_b32 s21, exec_lo
	s_delay_alu instid0(VALU_DEP_2)
	v_cmpx_ne_u32_e32 0x80, v7
	s_cbranch_execz .LBB290_466
; %bb.461:                              ;   in Loop: Header=BB290_16 Depth=1
	v_and_b32_e32 v42, 0x7f, v7
	v_mov_b32_e32 v40, 0x7c010000
	s_mov_b32 s22, exec_lo
	s_delay_alu instid0(VALU_DEP_2)
	v_cmpx_ne_u32_e32 0x7f, v42
	s_cbranch_execz .LBB290_465
; %bb.462:                              ;   in Loop: Header=BB290_16 Depth=1
	v_and_b32_e32 v31, 7, v7
	v_lshrrev_b32_e32 v32, 3, v42
	s_mov_b32 s23, exec_lo
	v_cmpx_gt_u32_e32 8, v42
; %bb.463:                              ;   in Loop: Header=BB290_16 Depth=1
	s_delay_alu instid0(VALU_DEP_3) | instskip(NEXT) | instid1(VALU_DEP_1)
	v_clz_i32_u32_e32 v31, v31
	v_min_u32_e32 v40, 32, v31
	s_delay_alu instid0(VALU_DEP_1) | instskip(NEXT) | instid1(VALU_DEP_1)
	v_subrev_nc_u32_e32 v31, 28, v40
	v_lshlrev_b64_e32 v[31:32], v31, v[7:8]
	v_sub_nc_u32_e32 v32, 29, v40
	s_delay_alu instid0(VALU_DEP_2)
	v_and_b32_e32 v31, 7, v31
; %bb.464:                              ;   in Loop: Header=BB290_16 Depth=1
	s_wait_alu 0xfffe
	s_or_b32 exec_lo, exec_lo, s23
	v_lshlrev_b32_e32 v7, 8, v7
	v_lshl_add_u32 v32, v32, 10, 0x2000
	v_lshlrev_b32_e32 v31, 23, v31
	s_delay_alu instid0(VALU_DEP_2) | instskip(NEXT) | instid1(VALU_DEP_1)
	v_and_or_b32 v7, 0x8000, v7, v32
	v_lshl_or_b32 v40, v7, 16, v31
.LBB290_465:                            ;   in Loop: Header=BB290_16 Depth=1
	s_wait_alu 0xfffe
	s_or_b32 exec_lo, exec_lo, s22
.LBB290_466:                            ;   in Loop: Header=BB290_16 Depth=1
	s_wait_alu 0xfffe
	s_or_b32 exec_lo, exec_lo, s21
.LBB290_467:                            ;   in Loop: Header=BB290_16 Depth=1
	s_wait_alu 0xfffe
	s_or_b32 exec_lo, exec_lo, s20
	flat_load_b64 v[31:32], v[28:29] offset:1544
	s_mov_b32 s20, exec_lo
	s_wait_loadcnt_dscnt 0x0
	v_and_b32_e32 v7, 0xff, v31
	s_delay_alu instid0(VALU_DEP_1)
	v_cmpx_ne_u16_e32 0, v7
	s_cbranch_execz .LBB290_475
; %bb.468:                              ;   in Loop: Header=BB290_16 Depth=1
	v_mov_b32_e32 v41, 0x8000
	s_mov_b32 s21, exec_lo
	v_cmpx_ne_u16_e32 0x80, v7
	s_cbranch_execz .LBB290_474
; %bb.469:                              ;   in Loop: Header=BB290_16 Depth=1
	v_and_b32_e32 v42, 0x7f, v31
	v_mov_b32_e32 v41, 0x7c01
	s_mov_b32 s22, exec_lo
	s_delay_alu instid0(VALU_DEP_2)
	v_cmpx_ne_u32_e32 0x7f, v42
	s_cbranch_execz .LBB290_473
; %bb.470:                              ;   in Loop: Header=BB290_16 Depth=1
	v_and_b32_e32 v7, 7, v31
	v_lshrrev_b32_e32 v41, 3, v42
	s_mov_b32 s23, exec_lo
	v_cmpx_gt_u32_e32 8, v42
; %bb.471:                              ;   in Loop: Header=BB290_16 Depth=1
	s_delay_alu instid0(VALU_DEP_3) | instskip(NEXT) | instid1(VALU_DEP_1)
	v_clz_i32_u32_e32 v7, v7
	v_min_u32_e32 v7, 32, v7
	s_delay_alu instid0(VALU_DEP_1) | instskip(NEXT) | instid1(VALU_DEP_1)
	v_subrev_nc_u32_e32 v41, 28, v7
	v_lshlrev_b64_e32 v[42:43], v41, v[31:32]
	v_sub_nc_u32_e32 v41, 29, v7
	s_delay_alu instid0(VALU_DEP_2)
	v_and_b32_e32 v7, 7, v42
; %bb.472:                              ;   in Loop: Header=BB290_16 Depth=1
	s_wait_alu 0xfffe
	s_or_b32 exec_lo, exec_lo, s23
	v_lshlrev_b32_e32 v42, 8, v31
	v_lshl_add_u32 v41, v41, 10, 0x2000
	v_lshlrev_b32_e32 v7, 7, v7
	s_delay_alu instid0(VALU_DEP_3) | instskip(NEXT) | instid1(VALU_DEP_3)
	v_and_b32_e32 v42, 0x8000, v42
	v_and_b32_e32 v41, 0xfc00, v41
	s_delay_alu instid0(VALU_DEP_1)
	v_or3_b32 v41, v42, v41, v7
.LBB290_473:                            ;   in Loop: Header=BB290_16 Depth=1
	s_wait_alu 0xfffe
	s_or_b32 exec_lo, exec_lo, s22
.LBB290_474:                            ;   in Loop: Header=BB290_16 Depth=1
	s_wait_alu 0xfffe
	s_or_b32 exec_lo, exec_lo, s21
.LBB290_475:                            ;   in Loop: Header=BB290_16 Depth=1
	s_wait_alu 0xfffe
	s_or_b32 exec_lo, exec_lo, s20
	v_lshrrev_b16 v7, 8, v31
	v_dual_mov_b32 v43, 0 :: v_dual_mov_b32 v42, 0
	s_mov_b32 s20, exec_lo
	s_delay_alu instid0(VALU_DEP_2)
	v_cmpx_ne_u16_e32 0, v7
	s_cbranch_execz .LBB290_483
; %bb.476:                              ;   in Loop: Header=BB290_16 Depth=1
	v_bfrev_b32_e32 v42, 1
	s_mov_b32 s21, exec_lo
	v_cmpx_ne_u16_e32 0x80, v7
	s_cbranch_execz .LBB290_482
; %bb.477:                              ;   in Loop: Header=BB290_16 Depth=1
	v_and_b32_e32 v44, 0xffff, v7
	v_mov_b32_e32 v42, 0x7c010000
	s_mov_b32 s22, exec_lo
	s_delay_alu instid0(VALU_DEP_2) | instskip(NEXT) | instid1(VALU_DEP_1)
	v_and_b32_e32 v46, 0x7f, v44
	v_cmpx_ne_u32_e32 0x7f, v46
	s_cbranch_execz .LBB290_481
; %bb.478:                              ;   in Loop: Header=BB290_16 Depth=1
	v_and_b32_e32 v42, 7, v44
	v_lshrrev_b32_e32 v45, 3, v46
	s_mov_b32 s23, exec_lo
	v_cmpx_gt_u32_e32 8, v46
; %bb.479:                              ;   in Loop: Header=BB290_16 Depth=1
	s_delay_alu instid0(VALU_DEP_3) | instskip(NEXT) | instid1(VALU_DEP_1)
	v_clz_i32_u32_e32 v42, v42
	v_min_u32_e32 v42, 32, v42
	s_delay_alu instid0(VALU_DEP_1) | instskip(NEXT) | instid1(VALU_DEP_1)
	v_subrev_nc_u32_e32 v45, 28, v42
	v_lshlrev_b64_e32 v[46:47], v45, v[7:8]
	v_sub_nc_u32_e32 v45, 29, v42
	s_delay_alu instid0(VALU_DEP_2)
	v_and_b32_e32 v42, 7, v46
; %bb.480:                              ;   in Loop: Header=BB290_16 Depth=1
	s_wait_alu 0xfffe
	s_or_b32 exec_lo, exec_lo, s23
	v_lshlrev_b32_e32 v7, 8, v44
	v_lshl_add_u32 v44, v45, 10, 0x2000
	v_lshlrev_b32_e32 v42, 23, v42
	s_delay_alu instid0(VALU_DEP_2) | instskip(NEXT) | instid1(VALU_DEP_1)
	v_and_or_b32 v7, 0x8000, v7, v44
	v_lshl_or_b32 v42, v7, 16, v42
.LBB290_481:                            ;   in Loop: Header=BB290_16 Depth=1
	s_wait_alu 0xfffe
	s_or_b32 exec_lo, exec_lo, s22
.LBB290_482:                            ;   in Loop: Header=BB290_16 Depth=1
	s_wait_alu 0xfffe
	s_or_b32 exec_lo, exec_lo, s21
.LBB290_483:                            ;   in Loop: Header=BB290_16 Depth=1
	s_wait_alu 0xfffe
	s_or_b32 exec_lo, exec_lo, s20
	v_lshrrev_b32_e32 v7, 16, v31
	s_mov_b32 s20, exec_lo
	s_delay_alu instid0(VALU_DEP_1) | instskip(NEXT) | instid1(VALU_DEP_1)
	v_and_b32_e32 v44, 0xff, v7
	v_cmpx_ne_u16_e32 0, v44
	s_cbranch_execz .LBB290_491
; %bb.484:                              ;   in Loop: Header=BB290_16 Depth=1
	v_mov_b32_e32 v43, 0x8000
	s_mov_b32 s21, exec_lo
	v_cmpx_ne_u16_e32 0x80, v44
	s_cbranch_execz .LBB290_490
; %bb.485:                              ;   in Loop: Header=BB290_16 Depth=1
	v_bfe_u32 v45, v31, 16, 7
	v_mov_b32_e32 v43, 0x7c01
	s_mov_b32 s22, exec_lo
	s_delay_alu instid0(VALU_DEP_2)
	v_cmpx_ne_u32_e32 0x7f, v45
	s_cbranch_execz .LBB290_489
; %bb.486:                              ;   in Loop: Header=BB290_16 Depth=1
	v_and_b32_e32 v43, 7, v7
	v_lshrrev_b32_e32 v44, 3, v45
	s_mov_b32 s23, exec_lo
	v_cmpx_gt_u32_e32 8, v45
; %bb.487:                              ;   in Loop: Header=BB290_16 Depth=1
	s_delay_alu instid0(VALU_DEP_3) | instskip(NEXT) | instid1(VALU_DEP_1)
	v_clz_i32_u32_e32 v43, v43
	v_min_u32_e32 v45, 32, v43
	s_delay_alu instid0(VALU_DEP_1) | instskip(NEXT) | instid1(VALU_DEP_1)
	v_subrev_nc_u32_e32 v43, 28, v45
	v_lshlrev_b64_e32 v[43:44], v43, v[7:8]
	v_sub_nc_u32_e32 v44, 29, v45
	s_delay_alu instid0(VALU_DEP_2)
	v_and_b32_e32 v43, 7, v43
; %bb.488:                              ;   in Loop: Header=BB290_16 Depth=1
	s_wait_alu 0xfffe
	s_or_b32 exec_lo, exec_lo, s23
	v_lshlrev_b32_e32 v7, 8, v7
	v_lshl_add_u32 v44, v44, 10, 0x2000
	v_lshlrev_b32_e32 v43, 7, v43
	s_delay_alu instid0(VALU_DEP_3) | instskip(NEXT) | instid1(VALU_DEP_3)
	v_and_b32_e32 v7, 0x8000, v7
	v_and_b32_e32 v44, 0xfc00, v44
	s_delay_alu instid0(VALU_DEP_1)
	v_or3_b32 v43, v7, v44, v43
.LBB290_489:                            ;   in Loop: Header=BB290_16 Depth=1
	s_wait_alu 0xfffe
	s_or_b32 exec_lo, exec_lo, s22
.LBB290_490:                            ;   in Loop: Header=BB290_16 Depth=1
	s_wait_alu 0xfffe
	s_or_b32 exec_lo, exec_lo, s21
.LBB290_491:                            ;   in Loop: Header=BB290_16 Depth=1
	s_wait_alu 0xfffe
	s_or_b32 exec_lo, exec_lo, s20
	v_dual_mov_b32 v44, 0 :: v_dual_mov_b32 v45, 0
	s_mov_b32 s20, exec_lo
	v_cmpx_lt_u32_e32 0xffffff, v31
	s_cbranch_execz .LBB290_499
; %bb.492:                              ;   in Loop: Header=BB290_16 Depth=1
	v_lshrrev_b32_e32 v7, 24, v31
	v_bfrev_b32_e32 v45, 1
	s_mov_b32 s21, exec_lo
	s_delay_alu instid0(VALU_DEP_2)
	v_cmpx_ne_u32_e32 0x80, v7
	s_cbranch_execz .LBB290_498
; %bb.493:                              ;   in Loop: Header=BB290_16 Depth=1
	v_and_b32_e32 v47, 0x7f, v7
	v_mov_b32_e32 v45, 0x7c010000
	s_mov_b32 s22, exec_lo
	s_delay_alu instid0(VALU_DEP_2)
	v_cmpx_ne_u32_e32 0x7f, v47
	s_cbranch_execz .LBB290_497
; %bb.494:                              ;   in Loop: Header=BB290_16 Depth=1
	v_and_b32_e32 v45, 7, v7
	v_lshrrev_b32_e32 v46, 3, v47
	s_mov_b32 s23, exec_lo
	v_cmpx_gt_u32_e32 8, v47
; %bb.495:                              ;   in Loop: Header=BB290_16 Depth=1
	s_delay_alu instid0(VALU_DEP_3) | instskip(NEXT) | instid1(VALU_DEP_1)
	v_clz_i32_u32_e32 v45, v45
	v_min_u32_e32 v47, 32, v45
	s_delay_alu instid0(VALU_DEP_1) | instskip(NEXT) | instid1(VALU_DEP_1)
	v_subrev_nc_u32_e32 v45, 28, v47
	v_lshlrev_b64_e32 v[45:46], v45, v[7:8]
	v_sub_nc_u32_e32 v46, 29, v47
	s_delay_alu instid0(VALU_DEP_2)
	v_and_b32_e32 v45, 7, v45
; %bb.496:                              ;   in Loop: Header=BB290_16 Depth=1
	s_wait_alu 0xfffe
	s_or_b32 exec_lo, exec_lo, s23
	v_lshlrev_b32_e32 v7, 8, v7
	v_lshl_add_u32 v46, v46, 10, 0x2000
	v_lshlrev_b32_e32 v45, 23, v45
	s_delay_alu instid0(VALU_DEP_2) | instskip(NEXT) | instid1(VALU_DEP_1)
	v_and_or_b32 v7, 0x8000, v7, v46
	v_lshl_or_b32 v45, v7, 16, v45
.LBB290_497:                            ;   in Loop: Header=BB290_16 Depth=1
	s_wait_alu 0xfffe
	s_or_b32 exec_lo, exec_lo, s22
.LBB290_498:                            ;   in Loop: Header=BB290_16 Depth=1
	s_wait_alu 0xfffe
	s_or_b32 exec_lo, exec_lo, s21
.LBB290_499:                            ;   in Loop: Header=BB290_16 Depth=1
	s_wait_alu 0xfffe
	s_or_b32 exec_lo, exec_lo, s20
	v_dual_mov_b32 v7, v32 :: v_dual_and_b32 v46, 0xff, v32
	s_mov_b32 s20, exec_lo
	s_delay_alu instid0(VALU_DEP_1)
	v_cmpx_ne_u16_e32 0, v46
	s_cbranch_execz .LBB290_507
; %bb.500:                              ;   in Loop: Header=BB290_16 Depth=1
	v_mov_b32_e32 v44, 0x8000
	s_mov_b32 s21, exec_lo
	v_cmpx_ne_u16_e32 0x80, v46
	s_cbranch_execz .LBB290_506
; %bb.501:                              ;   in Loop: Header=BB290_16 Depth=1
	v_and_b32_e32 v47, 0x7f, v32
	v_mov_b32_e32 v44, 0x7c01
	s_mov_b32 s22, exec_lo
	s_delay_alu instid0(VALU_DEP_2)
	v_cmpx_ne_u32_e32 0x7f, v47
	s_cbranch_execz .LBB290_505
; %bb.502:                              ;   in Loop: Header=BB290_16 Depth=1
	v_and_b32_e32 v44, 7, v32
	v_lshrrev_b32_e32 v46, 3, v47
	s_mov_b32 s23, exec_lo
	v_cmpx_gt_u32_e32 8, v47
; %bb.503:                              ;   in Loop: Header=BB290_16 Depth=1
	s_delay_alu instid0(VALU_DEP_3) | instskip(NEXT) | instid1(VALU_DEP_1)
	v_clz_i32_u32_e32 v44, v44
	v_min_u32_e32 v44, 32, v44
	s_delay_alu instid0(VALU_DEP_1) | instskip(NEXT) | instid1(VALU_DEP_1)
	v_subrev_nc_u32_e32 v46, 28, v44
	v_lshlrev_b64_e32 v[56:57], v46, v[7:8]
	v_sub_nc_u32_e32 v46, 29, v44
	s_delay_alu instid0(VALU_DEP_2)
	v_and_b32_e32 v44, 7, v56
; %bb.504:                              ;   in Loop: Header=BB290_16 Depth=1
	s_wait_alu 0xfffe
	s_or_b32 exec_lo, exec_lo, s23
	v_lshlrev_b32_e32 v47, 8, v32
	v_lshl_add_u32 v46, v46, 10, 0x2000
	v_lshlrev_b32_e32 v44, 7, v44
	s_delay_alu instid0(VALU_DEP_3) | instskip(NEXT) | instid1(VALU_DEP_3)
	v_and_b32_e32 v47, 0x8000, v47
	v_and_b32_e32 v46, 0xfc00, v46
	s_delay_alu instid0(VALU_DEP_1)
	v_or3_b32 v44, v47, v46, v44
.LBB290_505:                            ;   in Loop: Header=BB290_16 Depth=1
	s_wait_alu 0xfffe
	s_or_b32 exec_lo, exec_lo, s22
.LBB290_506:                            ;   in Loop: Header=BB290_16 Depth=1
	s_wait_alu 0xfffe
	s_or_b32 exec_lo, exec_lo, s21
.LBB290_507:                            ;   in Loop: Header=BB290_16 Depth=1
	s_wait_alu 0xfffe
	s_or_b32 exec_lo, exec_lo, s20
	v_lshrrev_b16 v7, 8, v7
	v_dual_mov_b32 v46, 0 :: v_dual_mov_b32 v47, 0
	s_mov_b32 s20, exec_lo
	s_delay_alu instid0(VALU_DEP_2)
	v_cmpx_ne_u16_e32 0, v7
	s_cbranch_execz .LBB290_515
; %bb.508:                              ;   in Loop: Header=BB290_16 Depth=1
	v_bfrev_b32_e32 v47, 1
	s_mov_b32 s21, exec_lo
	v_cmpx_ne_u16_e32 0x80, v7
	s_cbranch_execz .LBB290_514
; %bb.509:                              ;   in Loop: Header=BB290_16 Depth=1
	v_and_b32_e32 v56, 0xffff, v7
	v_mov_b32_e32 v47, 0x7c010000
	s_mov_b32 s22, exec_lo
	s_delay_alu instid0(VALU_DEP_2) | instskip(NEXT) | instid1(VALU_DEP_1)
	v_and_b32_e32 v58, 0x7f, v56
	v_cmpx_ne_u32_e32 0x7f, v58
	s_cbranch_execz .LBB290_513
; %bb.510:                              ;   in Loop: Header=BB290_16 Depth=1
	v_and_b32_e32 v47, 7, v56
	v_lshrrev_b32_e32 v57, 3, v58
	s_mov_b32 s23, exec_lo
	v_cmpx_gt_u32_e32 8, v58
; %bb.511:                              ;   in Loop: Header=BB290_16 Depth=1
	s_delay_alu instid0(VALU_DEP_3) | instskip(NEXT) | instid1(VALU_DEP_1)
	v_clz_i32_u32_e32 v47, v47
	v_min_u32_e32 v47, 32, v47
	s_delay_alu instid0(VALU_DEP_1) | instskip(NEXT) | instid1(VALU_DEP_1)
	v_subrev_nc_u32_e32 v57, 28, v47
	v_lshlrev_b64_e32 v[58:59], v57, v[7:8]
	v_sub_nc_u32_e32 v57, 29, v47
	s_delay_alu instid0(VALU_DEP_2)
	v_and_b32_e32 v47, 7, v58
; %bb.512:                              ;   in Loop: Header=BB290_16 Depth=1
	s_wait_alu 0xfffe
	s_or_b32 exec_lo, exec_lo, s23
	v_lshlrev_b32_e32 v7, 8, v56
	v_lshl_add_u32 v56, v57, 10, 0x2000
	v_lshlrev_b32_e32 v47, 23, v47
	s_delay_alu instid0(VALU_DEP_2) | instskip(NEXT) | instid1(VALU_DEP_1)
	v_and_or_b32 v7, 0x8000, v7, v56
	v_lshl_or_b32 v47, v7, 16, v47
.LBB290_513:                            ;   in Loop: Header=BB290_16 Depth=1
	s_wait_alu 0xfffe
	s_or_b32 exec_lo, exec_lo, s22
.LBB290_514:                            ;   in Loop: Header=BB290_16 Depth=1
	s_wait_alu 0xfffe
	s_or_b32 exec_lo, exec_lo, s21
.LBB290_515:                            ;   in Loop: Header=BB290_16 Depth=1
	s_wait_alu 0xfffe
	s_or_b32 exec_lo, exec_lo, s20
	v_lshrrev_b32_e32 v7, 16, v32
	s_mov_b32 s20, exec_lo
	s_delay_alu instid0(VALU_DEP_1) | instskip(NEXT) | instid1(VALU_DEP_1)
	v_and_b32_e32 v56, 0xff, v7
	v_cmpx_ne_u16_e32 0, v56
	s_cbranch_execz .LBB290_523
; %bb.516:                              ;   in Loop: Header=BB290_16 Depth=1
	v_mov_b32_e32 v46, 0x8000
	s_mov_b32 s21, exec_lo
	v_cmpx_ne_u16_e32 0x80, v56
	s_cbranch_execz .LBB290_522
; %bb.517:                              ;   in Loop: Header=BB290_16 Depth=1
	v_bfe_u32 v57, v32, 16, 7
	v_mov_b32_e32 v46, 0x7c01
	s_mov_b32 s22, exec_lo
	s_delay_alu instid0(VALU_DEP_2)
	v_cmpx_ne_u32_e32 0x7f, v57
	s_cbranch_execz .LBB290_521
; %bb.518:                              ;   in Loop: Header=BB290_16 Depth=1
	v_and_b32_e32 v46, 7, v7
	v_lshrrev_b32_e32 v56, 3, v57
	s_mov_b32 s23, exec_lo
	v_cmpx_gt_u32_e32 8, v57
; %bb.519:                              ;   in Loop: Header=BB290_16 Depth=1
	s_delay_alu instid0(VALU_DEP_3) | instskip(NEXT) | instid1(VALU_DEP_1)
	v_clz_i32_u32_e32 v46, v46
	v_min_u32_e32 v46, 32, v46
	s_delay_alu instid0(VALU_DEP_1) | instskip(NEXT) | instid1(VALU_DEP_1)
	v_subrev_nc_u32_e32 v56, 28, v46
	v_lshlrev_b64_e32 v[57:58], v56, v[7:8]
	v_sub_nc_u32_e32 v56, 29, v46
	s_delay_alu instid0(VALU_DEP_2)
	v_and_b32_e32 v46, 7, v57
; %bb.520:                              ;   in Loop: Header=BB290_16 Depth=1
	s_wait_alu 0xfffe
	s_or_b32 exec_lo, exec_lo, s23
	v_lshlrev_b32_e32 v7, 8, v7
	v_lshl_add_u32 v56, v56, 10, 0x2000
	v_lshlrev_b32_e32 v46, 7, v46
	s_delay_alu instid0(VALU_DEP_3) | instskip(NEXT) | instid1(VALU_DEP_3)
	v_and_b32_e32 v7, 0x8000, v7
	v_and_b32_e32 v56, 0xfc00, v56
	s_delay_alu instid0(VALU_DEP_1)
	v_or3_b32 v46, v7, v56, v46
.LBB290_521:                            ;   in Loop: Header=BB290_16 Depth=1
	s_wait_alu 0xfffe
	s_or_b32 exec_lo, exec_lo, s22
.LBB290_522:                            ;   in Loop: Header=BB290_16 Depth=1
	s_wait_alu 0xfffe
	s_or_b32 exec_lo, exec_lo, s21
.LBB290_523:                            ;   in Loop: Header=BB290_16 Depth=1
	s_wait_alu 0xfffe
	s_or_b32 exec_lo, exec_lo, s20
	v_dual_mov_b32 v57, 0 :: v_dual_mov_b32 v56, 0
	s_mov_b32 s20, exec_lo
	v_cmpx_lt_u64_e64 s[10:11], v[31:32]
	s_cbranch_execz .LBB290_531
; %bb.524:                              ;   in Loop: Header=BB290_16 Depth=1
	v_lshrrev_b32_e32 v7, 24, v32
	v_bfrev_b32_e32 v56, 1
	s_mov_b32 s21, exec_lo
	s_delay_alu instid0(VALU_DEP_2)
	v_cmpx_ne_u32_e32 0x80, v7
	s_cbranch_execz .LBB290_530
; %bb.525:                              ;   in Loop: Header=BB290_16 Depth=1
	v_and_b32_e32 v58, 0x7f, v7
	v_mov_b32_e32 v56, 0x7c010000
	s_mov_b32 s22, exec_lo
	s_delay_alu instid0(VALU_DEP_2)
	v_cmpx_ne_u32_e32 0x7f, v58
	s_cbranch_execz .LBB290_529
; %bb.526:                              ;   in Loop: Header=BB290_16 Depth=1
	v_and_b32_e32 v31, 7, v7
	v_lshrrev_b32_e32 v32, 3, v58
	s_mov_b32 s23, exec_lo
	v_cmpx_gt_u32_e32 8, v58
; %bb.527:                              ;   in Loop: Header=BB290_16 Depth=1
	s_delay_alu instid0(VALU_DEP_3) | instskip(NEXT) | instid1(VALU_DEP_1)
	v_clz_i32_u32_e32 v31, v31
	v_min_u32_e32 v56, 32, v31
	s_delay_alu instid0(VALU_DEP_1) | instskip(NEXT) | instid1(VALU_DEP_1)
	v_subrev_nc_u32_e32 v31, 28, v56
	v_lshlrev_b64_e32 v[31:32], v31, v[7:8]
	v_sub_nc_u32_e32 v32, 29, v56
	s_delay_alu instid0(VALU_DEP_2)
	v_and_b32_e32 v31, 7, v31
; %bb.528:                              ;   in Loop: Header=BB290_16 Depth=1
	s_wait_alu 0xfffe
	s_or_b32 exec_lo, exec_lo, s23
	v_lshlrev_b32_e32 v7, 8, v7
	v_lshl_add_u32 v32, v32, 10, 0x2000
	v_lshlrev_b32_e32 v31, 23, v31
	s_delay_alu instid0(VALU_DEP_2) | instskip(NEXT) | instid1(VALU_DEP_1)
	v_and_or_b32 v7, 0x8000, v7, v32
	v_lshl_or_b32 v56, v7, 16, v31
.LBB290_529:                            ;   in Loop: Header=BB290_16 Depth=1
	s_wait_alu 0xfffe
	s_or_b32 exec_lo, exec_lo, s22
.LBB290_530:                            ;   in Loop: Header=BB290_16 Depth=1
	s_wait_alu 0xfffe
	s_or_b32 exec_lo, exec_lo, s21
.LBB290_531:                            ;   in Loop: Header=BB290_16 Depth=1
	s_wait_alu 0xfffe
	s_or_b32 exec_lo, exec_lo, s20
	flat_load_b64 v[31:32], v[28:29] offset:2048
	s_mov_b32 s20, exec_lo
	s_wait_loadcnt_dscnt 0x0
	v_and_b32_e32 v7, 0xff, v31
	s_delay_alu instid0(VALU_DEP_1)
	v_cmpx_ne_u16_e32 0, v7
	s_cbranch_execz .LBB290_539
; %bb.532:                              ;   in Loop: Header=BB290_16 Depth=1
	v_mov_b32_e32 v57, 0x8000
	s_mov_b32 s21, exec_lo
	v_cmpx_ne_u16_e32 0x80, v7
	s_cbranch_execz .LBB290_538
; %bb.533:                              ;   in Loop: Header=BB290_16 Depth=1
	v_and_b32_e32 v58, 0x7f, v31
	v_mov_b32_e32 v57, 0x7c01
	s_mov_b32 s22, exec_lo
	s_delay_alu instid0(VALU_DEP_2)
	v_cmpx_ne_u32_e32 0x7f, v58
	s_cbranch_execz .LBB290_537
; %bb.534:                              ;   in Loop: Header=BB290_16 Depth=1
	v_and_b32_e32 v7, 7, v31
	v_lshrrev_b32_e32 v57, 3, v58
	s_mov_b32 s23, exec_lo
	v_cmpx_gt_u32_e32 8, v58
; %bb.535:                              ;   in Loop: Header=BB290_16 Depth=1
	s_delay_alu instid0(VALU_DEP_3) | instskip(NEXT) | instid1(VALU_DEP_1)
	v_clz_i32_u32_e32 v7, v7
	v_min_u32_e32 v7, 32, v7
	s_delay_alu instid0(VALU_DEP_1) | instskip(NEXT) | instid1(VALU_DEP_1)
	v_subrev_nc_u32_e32 v57, 28, v7
	v_lshlrev_b64_e32 v[58:59], v57, v[31:32]
	v_sub_nc_u32_e32 v57, 29, v7
	s_delay_alu instid0(VALU_DEP_2)
	v_and_b32_e32 v7, 7, v58
; %bb.536:                              ;   in Loop: Header=BB290_16 Depth=1
	s_wait_alu 0xfffe
	s_or_b32 exec_lo, exec_lo, s23
	v_lshlrev_b32_e32 v58, 8, v31
	v_lshl_add_u32 v57, v57, 10, 0x2000
	v_lshlrev_b32_e32 v7, 7, v7
	s_delay_alu instid0(VALU_DEP_3) | instskip(NEXT) | instid1(VALU_DEP_3)
	v_and_b32_e32 v58, 0x8000, v58
	v_and_b32_e32 v57, 0xfc00, v57
	s_delay_alu instid0(VALU_DEP_1)
	v_or3_b32 v57, v58, v57, v7
.LBB290_537:                            ;   in Loop: Header=BB290_16 Depth=1
	s_wait_alu 0xfffe
	s_or_b32 exec_lo, exec_lo, s22
.LBB290_538:                            ;   in Loop: Header=BB290_16 Depth=1
	s_wait_alu 0xfffe
	s_or_b32 exec_lo, exec_lo, s21
.LBB290_539:                            ;   in Loop: Header=BB290_16 Depth=1
	s_wait_alu 0xfffe
	s_or_b32 exec_lo, exec_lo, s20
	v_lshrrev_b16 v7, 8, v31
	v_dual_mov_b32 v59, 0 :: v_dual_mov_b32 v58, 0
	s_mov_b32 s20, exec_lo
	s_delay_alu instid0(VALU_DEP_2)
	v_cmpx_ne_u16_e32 0, v7
	s_cbranch_execz .LBB290_547
; %bb.540:                              ;   in Loop: Header=BB290_16 Depth=1
	v_bfrev_b32_e32 v58, 1
	s_mov_b32 s21, exec_lo
	v_cmpx_ne_u16_e32 0x80, v7
	s_cbranch_execz .LBB290_546
; %bb.541:                              ;   in Loop: Header=BB290_16 Depth=1
	v_and_b32_e32 v60, 0xffff, v7
	v_mov_b32_e32 v58, 0x7c010000
	s_mov_b32 s22, exec_lo
	s_delay_alu instid0(VALU_DEP_2) | instskip(NEXT) | instid1(VALU_DEP_1)
	v_and_b32_e32 v62, 0x7f, v60
	v_cmpx_ne_u32_e32 0x7f, v62
	s_cbranch_execz .LBB290_545
; %bb.542:                              ;   in Loop: Header=BB290_16 Depth=1
	v_and_b32_e32 v58, 7, v60
	v_lshrrev_b32_e32 v61, 3, v62
	s_mov_b32 s23, exec_lo
	v_cmpx_gt_u32_e32 8, v62
; %bb.543:                              ;   in Loop: Header=BB290_16 Depth=1
	s_delay_alu instid0(VALU_DEP_3) | instskip(NEXT) | instid1(VALU_DEP_1)
	v_clz_i32_u32_e32 v58, v58
	v_min_u32_e32 v58, 32, v58
	s_delay_alu instid0(VALU_DEP_1) | instskip(NEXT) | instid1(VALU_DEP_1)
	v_subrev_nc_u32_e32 v61, 28, v58
	v_lshlrev_b64_e32 v[62:63], v61, v[7:8]
	v_sub_nc_u32_e32 v61, 29, v58
	s_delay_alu instid0(VALU_DEP_2)
	v_and_b32_e32 v58, 7, v62
; %bb.544:                              ;   in Loop: Header=BB290_16 Depth=1
	s_wait_alu 0xfffe
	s_or_b32 exec_lo, exec_lo, s23
	v_lshlrev_b32_e32 v7, 8, v60
	v_lshl_add_u32 v60, v61, 10, 0x2000
	v_lshlrev_b32_e32 v58, 23, v58
	s_delay_alu instid0(VALU_DEP_2) | instskip(NEXT) | instid1(VALU_DEP_1)
	v_and_or_b32 v7, 0x8000, v7, v60
	v_lshl_or_b32 v58, v7, 16, v58
.LBB290_545:                            ;   in Loop: Header=BB290_16 Depth=1
	s_wait_alu 0xfffe
	s_or_b32 exec_lo, exec_lo, s22
.LBB290_546:                            ;   in Loop: Header=BB290_16 Depth=1
	s_wait_alu 0xfffe
	s_or_b32 exec_lo, exec_lo, s21
.LBB290_547:                            ;   in Loop: Header=BB290_16 Depth=1
	s_wait_alu 0xfffe
	s_or_b32 exec_lo, exec_lo, s20
	v_lshrrev_b32_e32 v7, 16, v31
	s_mov_b32 s20, exec_lo
	s_delay_alu instid0(VALU_DEP_1) | instskip(NEXT) | instid1(VALU_DEP_1)
	v_and_b32_e32 v60, 0xff, v7
	v_cmpx_ne_u16_e32 0, v60
	s_cbranch_execz .LBB290_555
; %bb.548:                              ;   in Loop: Header=BB290_16 Depth=1
	v_mov_b32_e32 v59, 0x8000
	s_mov_b32 s21, exec_lo
	v_cmpx_ne_u16_e32 0x80, v60
	s_cbranch_execz .LBB290_554
; %bb.549:                              ;   in Loop: Header=BB290_16 Depth=1
	v_bfe_u32 v61, v31, 16, 7
	v_mov_b32_e32 v59, 0x7c01
	s_mov_b32 s22, exec_lo
	s_delay_alu instid0(VALU_DEP_2)
	v_cmpx_ne_u32_e32 0x7f, v61
	s_cbranch_execz .LBB290_553
; %bb.550:                              ;   in Loop: Header=BB290_16 Depth=1
	v_and_b32_e32 v59, 7, v7
	v_lshrrev_b32_e32 v60, 3, v61
	s_mov_b32 s23, exec_lo
	v_cmpx_gt_u32_e32 8, v61
; %bb.551:                              ;   in Loop: Header=BB290_16 Depth=1
	s_delay_alu instid0(VALU_DEP_3) | instskip(NEXT) | instid1(VALU_DEP_1)
	v_clz_i32_u32_e32 v59, v59
	v_min_u32_e32 v61, 32, v59
	s_delay_alu instid0(VALU_DEP_1) | instskip(NEXT) | instid1(VALU_DEP_1)
	v_subrev_nc_u32_e32 v59, 28, v61
	v_lshlrev_b64_e32 v[59:60], v59, v[7:8]
	v_sub_nc_u32_e32 v60, 29, v61
	s_delay_alu instid0(VALU_DEP_2)
	v_and_b32_e32 v59, 7, v59
; %bb.552:                              ;   in Loop: Header=BB290_16 Depth=1
	s_wait_alu 0xfffe
	s_or_b32 exec_lo, exec_lo, s23
	v_lshlrev_b32_e32 v7, 8, v7
	v_lshl_add_u32 v60, v60, 10, 0x2000
	v_lshlrev_b32_e32 v59, 7, v59
	s_delay_alu instid0(VALU_DEP_3) | instskip(NEXT) | instid1(VALU_DEP_3)
	v_and_b32_e32 v7, 0x8000, v7
	v_and_b32_e32 v60, 0xfc00, v60
	s_delay_alu instid0(VALU_DEP_1)
	v_or3_b32 v59, v7, v60, v59
.LBB290_553:                            ;   in Loop: Header=BB290_16 Depth=1
	s_wait_alu 0xfffe
	s_or_b32 exec_lo, exec_lo, s22
.LBB290_554:                            ;   in Loop: Header=BB290_16 Depth=1
	s_wait_alu 0xfffe
	s_or_b32 exec_lo, exec_lo, s21
.LBB290_555:                            ;   in Loop: Header=BB290_16 Depth=1
	s_wait_alu 0xfffe
	s_or_b32 exec_lo, exec_lo, s20
	v_dual_mov_b32 v72, 0 :: v_dual_mov_b32 v73, 0
	s_mov_b32 s20, exec_lo
	v_cmpx_lt_u32_e32 0xffffff, v31
	s_cbranch_execz .LBB290_563
; %bb.556:                              ;   in Loop: Header=BB290_16 Depth=1
	v_lshrrev_b32_e32 v7, 24, v31
	v_bfrev_b32_e32 v73, 1
	s_mov_b32 s21, exec_lo
	s_delay_alu instid0(VALU_DEP_2)
	v_cmpx_ne_u32_e32 0x80, v7
	s_cbranch_execz .LBB290_562
; %bb.557:                              ;   in Loop: Header=BB290_16 Depth=1
	v_and_b32_e32 v62, 0x7f, v7
	v_mov_b32_e32 v73, 0x7c010000
	s_mov_b32 s22, exec_lo
	s_delay_alu instid0(VALU_DEP_2)
	v_cmpx_ne_u32_e32 0x7f, v62
	s_cbranch_execz .LBB290_561
; %bb.558:                              ;   in Loop: Header=BB290_16 Depth=1
	v_and_b32_e32 v60, 7, v7
	v_lshrrev_b32_e32 v61, 3, v62
	s_mov_b32 s23, exec_lo
	v_cmpx_gt_u32_e32 8, v62
; %bb.559:                              ;   in Loop: Header=BB290_16 Depth=1
	s_delay_alu instid0(VALU_DEP_3) | instskip(NEXT) | instid1(VALU_DEP_1)
	v_clz_i32_u32_e32 v60, v60
	v_min_u32_e32 v62, 32, v60
	s_delay_alu instid0(VALU_DEP_1) | instskip(NEXT) | instid1(VALU_DEP_1)
	v_subrev_nc_u32_e32 v60, 28, v62
	v_lshlrev_b64_e32 v[60:61], v60, v[7:8]
	v_sub_nc_u32_e32 v61, 29, v62
	s_delay_alu instid0(VALU_DEP_2)
	v_and_b32_e32 v60, 7, v60
; %bb.560:                              ;   in Loop: Header=BB290_16 Depth=1
	s_wait_alu 0xfffe
	s_or_b32 exec_lo, exec_lo, s23
	v_lshlrev_b32_e32 v7, 8, v7
	v_lshl_add_u32 v61, v61, 10, 0x2000
	v_lshlrev_b32_e32 v60, 23, v60
	s_delay_alu instid0(VALU_DEP_2) | instskip(NEXT) | instid1(VALU_DEP_1)
	v_and_or_b32 v7, 0x8000, v7, v61
	v_lshl_or_b32 v73, v7, 16, v60
.LBB290_561:                            ;   in Loop: Header=BB290_16 Depth=1
	s_wait_alu 0xfffe
	s_or_b32 exec_lo, exec_lo, s22
.LBB290_562:                            ;   in Loop: Header=BB290_16 Depth=1
	s_wait_alu 0xfffe
	s_or_b32 exec_lo, exec_lo, s21
.LBB290_563:                            ;   in Loop: Header=BB290_16 Depth=1
	s_wait_alu 0xfffe
	s_or_b32 exec_lo, exec_lo, s20
	v_dual_mov_b32 v7, v32 :: v_dual_and_b32 v60, 0xff, v32
	s_mov_b32 s20, exec_lo
	s_delay_alu instid0(VALU_DEP_1)
	v_cmpx_ne_u16_e32 0, v60
	s_cbranch_execz .LBB290_571
; %bb.564:                              ;   in Loop: Header=BB290_16 Depth=1
	v_mov_b32_e32 v72, 0x8000
	s_mov_b32 s21, exec_lo
	v_cmpx_ne_u16_e32 0x80, v60
	s_cbranch_execz .LBB290_570
; %bb.565:                              ;   in Loop: Header=BB290_16 Depth=1
	v_and_b32_e32 v62, 0x7f, v32
	v_mov_b32_e32 v72, 0x7c01
	s_mov_b32 s22, exec_lo
	s_delay_alu instid0(VALU_DEP_2)
	v_cmpx_ne_u32_e32 0x7f, v62
	s_cbranch_execz .LBB290_569
; %bb.566:                              ;   in Loop: Header=BB290_16 Depth=1
	v_and_b32_e32 v60, 7, v32
	v_lshrrev_b32_e32 v61, 3, v62
	s_mov_b32 s23, exec_lo
	v_cmpx_gt_u32_e32 8, v62
; %bb.567:                              ;   in Loop: Header=BB290_16 Depth=1
	s_delay_alu instid0(VALU_DEP_3) | instskip(NEXT) | instid1(VALU_DEP_1)
	v_clz_i32_u32_e32 v60, v60
	v_min_u32_e32 v62, 32, v60
	s_delay_alu instid0(VALU_DEP_1) | instskip(NEXT) | instid1(VALU_DEP_1)
	v_subrev_nc_u32_e32 v60, 28, v62
	v_lshlrev_b64_e32 v[60:61], v60, v[7:8]
	v_sub_nc_u32_e32 v61, 29, v62
	s_delay_alu instid0(VALU_DEP_2)
	v_and_b32_e32 v60, 7, v60
; %bb.568:                              ;   in Loop: Header=BB290_16 Depth=1
	s_wait_alu 0xfffe
	s_or_b32 exec_lo, exec_lo, s23
	v_lshlrev_b32_e32 v62, 8, v32
	v_lshl_add_u32 v61, v61, 10, 0x2000
	v_lshlrev_b32_e32 v60, 7, v60
	s_delay_alu instid0(VALU_DEP_3) | instskip(NEXT) | instid1(VALU_DEP_3)
	v_and_b32_e32 v62, 0x8000, v62
	v_and_b32_e32 v61, 0xfc00, v61
	s_delay_alu instid0(VALU_DEP_1)
	v_or3_b32 v72, v62, v61, v60
.LBB290_569:                            ;   in Loop: Header=BB290_16 Depth=1
	s_wait_alu 0xfffe
	s_or_b32 exec_lo, exec_lo, s22
.LBB290_570:                            ;   in Loop: Header=BB290_16 Depth=1
	s_wait_alu 0xfffe
	s_or_b32 exec_lo, exec_lo, s21
.LBB290_571:                            ;   in Loop: Header=BB290_16 Depth=1
	s_wait_alu 0xfffe
	s_or_b32 exec_lo, exec_lo, s20
	v_lshrrev_b16 v7, 8, v7
	v_dual_mov_b32 v78, 0 :: v_dual_mov_b32 v79, 0
	s_mov_b32 s20, exec_lo
	s_delay_alu instid0(VALU_DEP_2)
	v_cmpx_ne_u16_e32 0, v7
	s_cbranch_execz .LBB290_579
; %bb.572:                              ;   in Loop: Header=BB290_16 Depth=1
	v_bfrev_b32_e32 v79, 1
	s_mov_b32 s21, exec_lo
	v_cmpx_ne_u16_e32 0x80, v7
	s_cbranch_execz .LBB290_578
; %bb.573:                              ;   in Loop: Header=BB290_16 Depth=1
	v_and_b32_e32 v60, 0xffff, v7
	v_mov_b32_e32 v79, 0x7c010000
	s_mov_b32 s22, exec_lo
	s_delay_alu instid0(VALU_DEP_2) | instskip(NEXT) | instid1(VALU_DEP_1)
	v_and_b32_e32 v63, 0x7f, v60
	v_cmpx_ne_u32_e32 0x7f, v63
	s_cbranch_execz .LBB290_577
; %bb.574:                              ;   in Loop: Header=BB290_16 Depth=1
	v_and_b32_e32 v61, 7, v60
	v_lshrrev_b32_e32 v62, 3, v63
	s_mov_b32 s23, exec_lo
	v_cmpx_gt_u32_e32 8, v63
; %bb.575:                              ;   in Loop: Header=BB290_16 Depth=1
	s_delay_alu instid0(VALU_DEP_3) | instskip(NEXT) | instid1(VALU_DEP_1)
	v_clz_i32_u32_e32 v61, v61
	v_min_u32_e32 v63, 32, v61
	s_delay_alu instid0(VALU_DEP_1) | instskip(NEXT) | instid1(VALU_DEP_1)
	v_subrev_nc_u32_e32 v61, 28, v63
	v_lshlrev_b64_e32 v[61:62], v61, v[7:8]
	v_sub_nc_u32_e32 v62, 29, v63
	s_delay_alu instid0(VALU_DEP_2)
	v_and_b32_e32 v61, 7, v61
; %bb.576:                              ;   in Loop: Header=BB290_16 Depth=1
	s_wait_alu 0xfffe
	s_or_b32 exec_lo, exec_lo, s23
	v_lshlrev_b32_e32 v7, 8, v60
	v_lshl_add_u32 v60, v62, 10, 0x2000
	s_delay_alu instid0(VALU_DEP_1) | instskip(SKIP_1) | instid1(VALU_DEP_1)
	v_and_or_b32 v7, 0x8000, v7, v60
	v_lshlrev_b32_e32 v60, 23, v61
	v_lshl_or_b32 v79, v7, 16, v60
.LBB290_577:                            ;   in Loop: Header=BB290_16 Depth=1
	s_wait_alu 0xfffe
	s_or_b32 exec_lo, exec_lo, s22
.LBB290_578:                            ;   in Loop: Header=BB290_16 Depth=1
	s_wait_alu 0xfffe
	s_or_b32 exec_lo, exec_lo, s21
.LBB290_579:                            ;   in Loop: Header=BB290_16 Depth=1
	s_wait_alu 0xfffe
	s_or_b32 exec_lo, exec_lo, s20
	v_lshrrev_b32_e32 v7, 16, v32
	s_mov_b32 s20, exec_lo
	s_delay_alu instid0(VALU_DEP_1) | instskip(NEXT) | instid1(VALU_DEP_1)
	v_and_b32_e32 v60, 0xff, v7
	v_cmpx_ne_u16_e32 0, v60
	s_cbranch_execz .LBB290_587
; %bb.580:                              ;   in Loop: Header=BB290_16 Depth=1
	v_mov_b32_e32 v78, 0x8000
	s_mov_b32 s21, exec_lo
	v_cmpx_ne_u16_e32 0x80, v60
	s_cbranch_execz .LBB290_586
; %bb.581:                              ;   in Loop: Header=BB290_16 Depth=1
	v_bfe_u32 v62, v32, 16, 7
	v_mov_b32_e32 v78, 0x7c01
	s_mov_b32 s22, exec_lo
	s_delay_alu instid0(VALU_DEP_2)
	v_cmpx_ne_u32_e32 0x7f, v62
	s_cbranch_execz .LBB290_585
; %bb.582:                              ;   in Loop: Header=BB290_16 Depth=1
	v_and_b32_e32 v60, 7, v7
	v_lshrrev_b32_e32 v61, 3, v62
	s_mov_b32 s23, exec_lo
	v_cmpx_gt_u32_e32 8, v62
; %bb.583:                              ;   in Loop: Header=BB290_16 Depth=1
	s_delay_alu instid0(VALU_DEP_3) | instskip(NEXT) | instid1(VALU_DEP_1)
	v_clz_i32_u32_e32 v60, v60
	v_min_u32_e32 v62, 32, v60
	s_delay_alu instid0(VALU_DEP_1) | instskip(NEXT) | instid1(VALU_DEP_1)
	v_subrev_nc_u32_e32 v60, 28, v62
	v_lshlrev_b64_e32 v[60:61], v60, v[7:8]
	v_sub_nc_u32_e32 v61, 29, v62
	s_delay_alu instid0(VALU_DEP_2)
	v_and_b32_e32 v60, 7, v60
; %bb.584:                              ;   in Loop: Header=BB290_16 Depth=1
	s_wait_alu 0xfffe
	s_or_b32 exec_lo, exec_lo, s23
	v_lshlrev_b32_e32 v7, 8, v7
	v_lshl_add_u32 v61, v61, 10, 0x2000
	v_lshlrev_b32_e32 v60, 7, v60
	s_delay_alu instid0(VALU_DEP_3) | instskip(NEXT) | instid1(VALU_DEP_3)
	v_and_b32_e32 v7, 0x8000, v7
	v_and_b32_e32 v61, 0xfc00, v61
	s_delay_alu instid0(VALU_DEP_1)
	v_or3_b32 v78, v7, v61, v60
.LBB290_585:                            ;   in Loop: Header=BB290_16 Depth=1
	s_wait_alu 0xfffe
	s_or_b32 exec_lo, exec_lo, s22
.LBB290_586:                            ;   in Loop: Header=BB290_16 Depth=1
	s_wait_alu 0xfffe
	s_or_b32 exec_lo, exec_lo, s21
.LBB290_587:                            ;   in Loop: Header=BB290_16 Depth=1
	s_wait_alu 0xfffe
	s_or_b32 exec_lo, exec_lo, s20
	v_mov_b32_e32 v95, 0
	v_mov_b32_e32 v93, 0
	s_mov_b32 s20, exec_lo
	v_cmpx_lt_u64_e64 s[10:11], v[31:32]
	s_cbranch_execz .LBB290_595
; %bb.588:                              ;   in Loop: Header=BB290_16 Depth=1
	v_lshrrev_b32_e32 v7, 24, v32
	v_bfrev_b32_e32 v93, 1
	s_mov_b32 s21, exec_lo
	s_delay_alu instid0(VALU_DEP_2)
	v_cmpx_ne_u32_e32 0x80, v7
	s_cbranch_execz .LBB290_594
; %bb.589:                              ;   in Loop: Header=BB290_16 Depth=1
	v_and_b32_e32 v60, 0x7f, v7
	v_mov_b32_e32 v93, 0x7c010000
	s_mov_b32 s22, exec_lo
	s_delay_alu instid0(VALU_DEP_2)
	v_cmpx_ne_u32_e32 0x7f, v60
	s_cbranch_execz .LBB290_593
; %bb.590:                              ;   in Loop: Header=BB290_16 Depth=1
	v_and_b32_e32 v31, 7, v7
	v_lshrrev_b32_e32 v32, 3, v60
	s_mov_b32 s23, exec_lo
	v_cmpx_gt_u32_e32 8, v60
; %bb.591:                              ;   in Loop: Header=BB290_16 Depth=1
	s_delay_alu instid0(VALU_DEP_3) | instskip(NEXT) | instid1(VALU_DEP_1)
	v_clz_i32_u32_e32 v31, v31
	v_min_u32_e32 v60, 32, v31
	s_delay_alu instid0(VALU_DEP_1) | instskip(NEXT) | instid1(VALU_DEP_1)
	v_subrev_nc_u32_e32 v31, 28, v60
	v_lshlrev_b64_e32 v[31:32], v31, v[7:8]
	v_sub_nc_u32_e32 v32, 29, v60
	s_delay_alu instid0(VALU_DEP_2)
	v_and_b32_e32 v31, 7, v31
; %bb.592:                              ;   in Loop: Header=BB290_16 Depth=1
	s_wait_alu 0xfffe
	s_or_b32 exec_lo, exec_lo, s23
	v_lshlrev_b32_e32 v7, 8, v7
	v_lshl_add_u32 v32, v32, 10, 0x2000
	v_lshlrev_b32_e32 v31, 23, v31
	s_delay_alu instid0(VALU_DEP_2) | instskip(NEXT) | instid1(VALU_DEP_1)
	v_and_or_b32 v7, 0x8000, v7, v32
	v_lshl_or_b32 v93, v7, 16, v31
.LBB290_593:                            ;   in Loop: Header=BB290_16 Depth=1
	s_wait_alu 0xfffe
	s_or_b32 exec_lo, exec_lo, s22
.LBB290_594:                            ;   in Loop: Header=BB290_16 Depth=1
	s_wait_alu 0xfffe
	s_or_b32 exec_lo, exec_lo, s21
.LBB290_595:                            ;   in Loop: Header=BB290_16 Depth=1
	s_wait_alu 0xfffe
	s_or_b32 exec_lo, exec_lo, s20
	flat_load_b64 v[31:32], v[28:29] offset:2056
	s_mov_b32 s20, exec_lo
	s_wait_loadcnt_dscnt 0x0
	v_and_b32_e32 v7, 0xff, v31
	s_delay_alu instid0(VALU_DEP_1)
	v_cmpx_ne_u16_e32 0, v7
	s_cbranch_execz .LBB290_603
; %bb.596:                              ;   in Loop: Header=BB290_16 Depth=1
	v_mov_b32_e32 v95, 0x8000
	s_mov_b32 s21, exec_lo
	v_cmpx_ne_u16_e32 0x80, v7
	s_cbranch_execz .LBB290_602
; %bb.597:                              ;   in Loop: Header=BB290_16 Depth=1
	v_and_b32_e32 v61, 0x7f, v31
	v_mov_b32_e32 v95, 0x7c01
	s_mov_b32 s22, exec_lo
	s_delay_alu instid0(VALU_DEP_2)
	v_cmpx_ne_u32_e32 0x7f, v61
	s_cbranch_execz .LBB290_601
; %bb.598:                              ;   in Loop: Header=BB290_16 Depth=1
	v_and_b32_e32 v7, 7, v31
	v_lshrrev_b32_e32 v60, 3, v61
	s_mov_b32 s23, exec_lo
	v_cmpx_gt_u32_e32 8, v61
; %bb.599:                              ;   in Loop: Header=BB290_16 Depth=1
	s_delay_alu instid0(VALU_DEP_3) | instskip(NEXT) | instid1(VALU_DEP_1)
	v_clz_i32_u32_e32 v7, v7
	v_min_u32_e32 v7, 32, v7
	s_delay_alu instid0(VALU_DEP_1) | instskip(NEXT) | instid1(VALU_DEP_1)
	v_subrev_nc_u32_e32 v60, 28, v7
	v_lshlrev_b64_e32 v[61:62], v60, v[31:32]
	v_sub_nc_u32_e32 v60, 29, v7
	s_delay_alu instid0(VALU_DEP_2)
	v_and_b32_e32 v7, 7, v61
; %bb.600:                              ;   in Loop: Header=BB290_16 Depth=1
	s_wait_alu 0xfffe
	s_or_b32 exec_lo, exec_lo, s23
	v_lshlrev_b32_e32 v61, 8, v31
	v_lshl_add_u32 v60, v60, 10, 0x2000
	v_lshlrev_b32_e32 v7, 7, v7
	s_delay_alu instid0(VALU_DEP_3) | instskip(NEXT) | instid1(VALU_DEP_3)
	v_and_b32_e32 v61, 0x8000, v61
	v_and_b32_e32 v60, 0xfc00, v60
	s_delay_alu instid0(VALU_DEP_1)
	v_or3_b32 v95, v61, v60, v7
.LBB290_601:                            ;   in Loop: Header=BB290_16 Depth=1
	s_wait_alu 0xfffe
	s_or_b32 exec_lo, exec_lo, s22
.LBB290_602:                            ;   in Loop: Header=BB290_16 Depth=1
	s_wait_alu 0xfffe
	s_or_b32 exec_lo, exec_lo, s21
.LBB290_603:                            ;   in Loop: Header=BB290_16 Depth=1
	s_wait_alu 0xfffe
	s_or_b32 exec_lo, exec_lo, s20
	v_lshrrev_b16 v7, 8, v31
	v_dual_mov_b32 v107, 0 :: v_dual_mov_b32 v106, 0
	s_mov_b32 s20, exec_lo
	s_delay_alu instid0(VALU_DEP_2)
	v_cmpx_ne_u16_e32 0, v7
	s_cbranch_execz .LBB290_611
; %bb.604:                              ;   in Loop: Header=BB290_16 Depth=1
	v_bfrev_b32_e32 v106, 1
	s_mov_b32 s21, exec_lo
	v_cmpx_ne_u16_e32 0x80, v7
	s_cbranch_execz .LBB290_610
; %bb.605:                              ;   in Loop: Header=BB290_16 Depth=1
	v_and_b32_e32 v60, 0xffff, v7
	v_mov_b32_e32 v106, 0x7c010000
	s_mov_b32 s22, exec_lo
	s_delay_alu instid0(VALU_DEP_2) | instskip(NEXT) | instid1(VALU_DEP_1)
	v_and_b32_e32 v63, 0x7f, v60
	v_cmpx_ne_u32_e32 0x7f, v63
	s_cbranch_execz .LBB290_609
; %bb.606:                              ;   in Loop: Header=BB290_16 Depth=1
	v_and_b32_e32 v61, 7, v60
	v_lshrrev_b32_e32 v62, 3, v63
	s_mov_b32 s23, exec_lo
	v_cmpx_gt_u32_e32 8, v63
; %bb.607:                              ;   in Loop: Header=BB290_16 Depth=1
	s_delay_alu instid0(VALU_DEP_3) | instskip(NEXT) | instid1(VALU_DEP_1)
	v_clz_i32_u32_e32 v61, v61
	v_min_u32_e32 v63, 32, v61
	s_delay_alu instid0(VALU_DEP_1) | instskip(NEXT) | instid1(VALU_DEP_1)
	v_subrev_nc_u32_e32 v61, 28, v63
	v_lshlrev_b64_e32 v[61:62], v61, v[7:8]
	v_sub_nc_u32_e32 v62, 29, v63
	s_delay_alu instid0(VALU_DEP_2)
	v_and_b32_e32 v61, 7, v61
; %bb.608:                              ;   in Loop: Header=BB290_16 Depth=1
	s_wait_alu 0xfffe
	s_or_b32 exec_lo, exec_lo, s23
	v_lshlrev_b32_e32 v7, 8, v60
	v_lshl_add_u32 v60, v62, 10, 0x2000
	s_delay_alu instid0(VALU_DEP_1) | instskip(SKIP_1) | instid1(VALU_DEP_1)
	v_and_or_b32 v7, 0x8000, v7, v60
	v_lshlrev_b32_e32 v60, 23, v61
	v_lshl_or_b32 v106, v7, 16, v60
.LBB290_609:                            ;   in Loop: Header=BB290_16 Depth=1
	s_wait_alu 0xfffe
	s_or_b32 exec_lo, exec_lo, s22
.LBB290_610:                            ;   in Loop: Header=BB290_16 Depth=1
	s_wait_alu 0xfffe
	s_or_b32 exec_lo, exec_lo, s21
.LBB290_611:                            ;   in Loop: Header=BB290_16 Depth=1
	s_wait_alu 0xfffe
	s_or_b32 exec_lo, exec_lo, s20
	v_lshrrev_b32_e32 v7, 16, v31
	s_mov_b32 s20, exec_lo
	s_delay_alu instid0(VALU_DEP_1) | instskip(NEXT) | instid1(VALU_DEP_1)
	v_and_b32_e32 v60, 0xff, v7
	v_cmpx_ne_u16_e32 0, v60
	s_cbranch_execz .LBB290_619
; %bb.612:                              ;   in Loop: Header=BB290_16 Depth=1
	v_mov_b32_e32 v107, 0x8000
	s_mov_b32 s21, exec_lo
	v_cmpx_ne_u16_e32 0x80, v60
	s_cbranch_execz .LBB290_618
; %bb.613:                              ;   in Loop: Header=BB290_16 Depth=1
	v_bfe_u32 v62, v31, 16, 7
	v_mov_b32_e32 v107, 0x7c01
	s_mov_b32 s22, exec_lo
	s_delay_alu instid0(VALU_DEP_2)
	v_cmpx_ne_u32_e32 0x7f, v62
	s_cbranch_execz .LBB290_617
; %bb.614:                              ;   in Loop: Header=BB290_16 Depth=1
	v_and_b32_e32 v60, 7, v7
	v_lshrrev_b32_e32 v61, 3, v62
	s_mov_b32 s23, exec_lo
	v_cmpx_gt_u32_e32 8, v62
; %bb.615:                              ;   in Loop: Header=BB290_16 Depth=1
	s_delay_alu instid0(VALU_DEP_3) | instskip(NEXT) | instid1(VALU_DEP_1)
	v_clz_i32_u32_e32 v60, v60
	v_min_u32_e32 v62, 32, v60
	s_delay_alu instid0(VALU_DEP_1) | instskip(NEXT) | instid1(VALU_DEP_1)
	v_subrev_nc_u32_e32 v60, 28, v62
	v_lshlrev_b64_e32 v[60:61], v60, v[7:8]
	v_sub_nc_u32_e32 v61, 29, v62
	s_delay_alu instid0(VALU_DEP_2)
	v_and_b32_e32 v60, 7, v60
; %bb.616:                              ;   in Loop: Header=BB290_16 Depth=1
	s_wait_alu 0xfffe
	s_or_b32 exec_lo, exec_lo, s23
	v_lshlrev_b32_e32 v7, 8, v7
	v_lshl_add_u32 v61, v61, 10, 0x2000
	v_lshlrev_b32_e32 v60, 7, v60
	s_delay_alu instid0(VALU_DEP_3) | instskip(NEXT) | instid1(VALU_DEP_3)
	v_and_b32_e32 v7, 0x8000, v7
	v_and_b32_e32 v61, 0xfc00, v61
	s_delay_alu instid0(VALU_DEP_1)
	v_or3_b32 v107, v7, v61, v60
.LBB290_617:                            ;   in Loop: Header=BB290_16 Depth=1
	s_wait_alu 0xfffe
	s_or_b32 exec_lo, exec_lo, s22
.LBB290_618:                            ;   in Loop: Header=BB290_16 Depth=1
	s_wait_alu 0xfffe
	s_or_b32 exec_lo, exec_lo, s21
.LBB290_619:                            ;   in Loop: Header=BB290_16 Depth=1
	s_wait_alu 0xfffe
	s_or_b32 exec_lo, exec_lo, s20
	v_dual_mov_b32 v122, 0 :: v_dual_mov_b32 v123, 0
	s_mov_b32 s20, exec_lo
	v_cmpx_lt_u32_e32 0xffffff, v31
	s_cbranch_execz .LBB290_627
; %bb.620:                              ;   in Loop: Header=BB290_16 Depth=1
	v_lshrrev_b32_e32 v7, 24, v31
	v_bfrev_b32_e32 v123, 1
	s_mov_b32 s21, exec_lo
	s_delay_alu instid0(VALU_DEP_2)
	v_cmpx_ne_u32_e32 0x80, v7
	s_cbranch_execz .LBB290_626
; %bb.621:                              ;   in Loop: Header=BB290_16 Depth=1
	v_and_b32_e32 v62, 0x7f, v7
	v_mov_b32_e32 v123, 0x7c010000
	s_mov_b32 s22, exec_lo
	s_delay_alu instid0(VALU_DEP_2)
	v_cmpx_ne_u32_e32 0x7f, v62
	s_cbranch_execz .LBB290_625
; %bb.622:                              ;   in Loop: Header=BB290_16 Depth=1
	v_and_b32_e32 v60, 7, v7
	v_lshrrev_b32_e32 v61, 3, v62
	s_mov_b32 s23, exec_lo
	v_cmpx_gt_u32_e32 8, v62
; %bb.623:                              ;   in Loop: Header=BB290_16 Depth=1
	s_delay_alu instid0(VALU_DEP_3) | instskip(NEXT) | instid1(VALU_DEP_1)
	v_clz_i32_u32_e32 v60, v60
	v_min_u32_e32 v62, 32, v60
	s_delay_alu instid0(VALU_DEP_1) | instskip(NEXT) | instid1(VALU_DEP_1)
	v_subrev_nc_u32_e32 v60, 28, v62
	v_lshlrev_b64_e32 v[60:61], v60, v[7:8]
	v_sub_nc_u32_e32 v61, 29, v62
	s_delay_alu instid0(VALU_DEP_2)
	v_and_b32_e32 v60, 7, v60
; %bb.624:                              ;   in Loop: Header=BB290_16 Depth=1
	s_wait_alu 0xfffe
	s_or_b32 exec_lo, exec_lo, s23
	v_lshlrev_b32_e32 v7, 8, v7
	v_lshl_add_u32 v61, v61, 10, 0x2000
	v_lshlrev_b32_e32 v60, 23, v60
	s_delay_alu instid0(VALU_DEP_2) | instskip(NEXT) | instid1(VALU_DEP_1)
	v_and_or_b32 v7, 0x8000, v7, v61
	v_lshl_or_b32 v123, v7, 16, v60
.LBB290_625:                            ;   in Loop: Header=BB290_16 Depth=1
	s_wait_alu 0xfffe
	s_or_b32 exec_lo, exec_lo, s22
.LBB290_626:                            ;   in Loop: Header=BB290_16 Depth=1
	s_wait_alu 0xfffe
	s_or_b32 exec_lo, exec_lo, s21
.LBB290_627:                            ;   in Loop: Header=BB290_16 Depth=1
	s_wait_alu 0xfffe
	s_or_b32 exec_lo, exec_lo, s20
	v_dual_mov_b32 v7, v32 :: v_dual_and_b32 v60, 0xff, v32
	s_mov_b32 s20, exec_lo
	s_delay_alu instid0(VALU_DEP_1)
	v_cmpx_ne_u16_e32 0, v60
	s_cbranch_execz .LBB290_635
; %bb.628:                              ;   in Loop: Header=BB290_16 Depth=1
	v_mov_b32_e32 v122, 0x8000
	s_mov_b32 s21, exec_lo
	v_cmpx_ne_u16_e32 0x80, v60
	s_cbranch_execz .LBB290_634
; %bb.629:                              ;   in Loop: Header=BB290_16 Depth=1
	v_and_b32_e32 v62, 0x7f, v32
	v_mov_b32_e32 v122, 0x7c01
	s_mov_b32 s22, exec_lo
	s_delay_alu instid0(VALU_DEP_2)
	v_cmpx_ne_u32_e32 0x7f, v62
	s_cbranch_execz .LBB290_633
; %bb.630:                              ;   in Loop: Header=BB290_16 Depth=1
	v_and_b32_e32 v60, 7, v32
	v_lshrrev_b32_e32 v61, 3, v62
	s_mov_b32 s23, exec_lo
	v_cmpx_gt_u32_e32 8, v62
; %bb.631:                              ;   in Loop: Header=BB290_16 Depth=1
	s_delay_alu instid0(VALU_DEP_3) | instskip(NEXT) | instid1(VALU_DEP_1)
	v_clz_i32_u32_e32 v60, v60
	v_min_u32_e32 v62, 32, v60
	s_delay_alu instid0(VALU_DEP_1) | instskip(NEXT) | instid1(VALU_DEP_1)
	v_subrev_nc_u32_e32 v60, 28, v62
	v_lshlrev_b64_e32 v[60:61], v60, v[7:8]
	v_sub_nc_u32_e32 v61, 29, v62
	s_delay_alu instid0(VALU_DEP_2)
	v_and_b32_e32 v60, 7, v60
; %bb.632:                              ;   in Loop: Header=BB290_16 Depth=1
	s_wait_alu 0xfffe
	s_or_b32 exec_lo, exec_lo, s23
	v_lshlrev_b32_e32 v62, 8, v32
	v_lshl_add_u32 v61, v61, 10, 0x2000
	v_lshlrev_b32_e32 v60, 7, v60
	s_delay_alu instid0(VALU_DEP_3) | instskip(NEXT) | instid1(VALU_DEP_3)
	v_and_b32_e32 v62, 0x8000, v62
	v_and_b32_e32 v61, 0xfc00, v61
	s_delay_alu instid0(VALU_DEP_1)
	v_or3_b32 v122, v62, v61, v60
.LBB290_633:                            ;   in Loop: Header=BB290_16 Depth=1
	s_wait_alu 0xfffe
	s_or_b32 exec_lo, exec_lo, s22
.LBB290_634:                            ;   in Loop: Header=BB290_16 Depth=1
	s_wait_alu 0xfffe
	s_or_b32 exec_lo, exec_lo, s21
.LBB290_635:                            ;   in Loop: Header=BB290_16 Depth=1
	s_wait_alu 0xfffe
	s_or_b32 exec_lo, exec_lo, s20
	v_lshrrev_b16 v7, 8, v7
	v_dual_mov_b32 v136, 0 :: v_dual_mov_b32 v137, 0
	s_mov_b32 s20, exec_lo
	s_delay_alu instid0(VALU_DEP_2)
	v_cmpx_ne_u16_e32 0, v7
	s_cbranch_execz .LBB290_643
; %bb.636:                              ;   in Loop: Header=BB290_16 Depth=1
	v_bfrev_b32_e32 v137, 1
	s_mov_b32 s21, exec_lo
	v_cmpx_ne_u16_e32 0x80, v7
	s_cbranch_execz .LBB290_642
; %bb.637:                              ;   in Loop: Header=BB290_16 Depth=1
	v_and_b32_e32 v60, 0xffff, v7
	v_mov_b32_e32 v137, 0x7c010000
	s_mov_b32 s22, exec_lo
	s_delay_alu instid0(VALU_DEP_2) | instskip(NEXT) | instid1(VALU_DEP_1)
	v_and_b32_e32 v63, 0x7f, v60
	v_cmpx_ne_u32_e32 0x7f, v63
	s_cbranch_execz .LBB290_641
; %bb.638:                              ;   in Loop: Header=BB290_16 Depth=1
	v_and_b32_e32 v61, 7, v60
	v_lshrrev_b32_e32 v62, 3, v63
	s_mov_b32 s23, exec_lo
	v_cmpx_gt_u32_e32 8, v63
; %bb.639:                              ;   in Loop: Header=BB290_16 Depth=1
	s_delay_alu instid0(VALU_DEP_3) | instskip(NEXT) | instid1(VALU_DEP_1)
	v_clz_i32_u32_e32 v61, v61
	v_min_u32_e32 v63, 32, v61
	s_delay_alu instid0(VALU_DEP_1) | instskip(NEXT) | instid1(VALU_DEP_1)
	v_subrev_nc_u32_e32 v61, 28, v63
	v_lshlrev_b64_e32 v[61:62], v61, v[7:8]
	v_sub_nc_u32_e32 v62, 29, v63
	s_delay_alu instid0(VALU_DEP_2)
	v_and_b32_e32 v61, 7, v61
; %bb.640:                              ;   in Loop: Header=BB290_16 Depth=1
	s_wait_alu 0xfffe
	s_or_b32 exec_lo, exec_lo, s23
	v_lshlrev_b32_e32 v7, 8, v60
	v_lshl_add_u32 v60, v62, 10, 0x2000
	s_delay_alu instid0(VALU_DEP_1) | instskip(SKIP_1) | instid1(VALU_DEP_1)
	v_and_or_b32 v7, 0x8000, v7, v60
	v_lshlrev_b32_e32 v60, 23, v61
	v_lshl_or_b32 v137, v7, 16, v60
.LBB290_641:                            ;   in Loop: Header=BB290_16 Depth=1
	s_wait_alu 0xfffe
	s_or_b32 exec_lo, exec_lo, s22
.LBB290_642:                            ;   in Loop: Header=BB290_16 Depth=1
	s_wait_alu 0xfffe
	s_or_b32 exec_lo, exec_lo, s21
.LBB290_643:                            ;   in Loop: Header=BB290_16 Depth=1
	s_wait_alu 0xfffe
	s_or_b32 exec_lo, exec_lo, s20
	v_lshrrev_b32_e32 v7, 16, v32
	s_mov_b32 s20, exec_lo
	s_delay_alu instid0(VALU_DEP_1) | instskip(NEXT) | instid1(VALU_DEP_1)
	v_and_b32_e32 v60, 0xff, v7
	v_cmpx_ne_u16_e32 0, v60
	s_cbranch_execz .LBB290_651
; %bb.644:                              ;   in Loop: Header=BB290_16 Depth=1
	v_mov_b32_e32 v136, 0x8000
	s_mov_b32 s21, exec_lo
	v_cmpx_ne_u16_e32 0x80, v60
	s_cbranch_execz .LBB290_650
; %bb.645:                              ;   in Loop: Header=BB290_16 Depth=1
	v_bfe_u32 v62, v32, 16, 7
	v_mov_b32_e32 v136, 0x7c01
	s_mov_b32 s22, exec_lo
	s_delay_alu instid0(VALU_DEP_2)
	v_cmpx_ne_u32_e32 0x7f, v62
	s_cbranch_execz .LBB290_649
; %bb.646:                              ;   in Loop: Header=BB290_16 Depth=1
	v_and_b32_e32 v60, 7, v7
	v_lshrrev_b32_e32 v61, 3, v62
	s_mov_b32 s23, exec_lo
	v_cmpx_gt_u32_e32 8, v62
; %bb.647:                              ;   in Loop: Header=BB290_16 Depth=1
	s_delay_alu instid0(VALU_DEP_3) | instskip(NEXT) | instid1(VALU_DEP_1)
	v_clz_i32_u32_e32 v60, v60
	v_min_u32_e32 v62, 32, v60
	s_delay_alu instid0(VALU_DEP_1) | instskip(NEXT) | instid1(VALU_DEP_1)
	v_subrev_nc_u32_e32 v60, 28, v62
	v_lshlrev_b64_e32 v[60:61], v60, v[7:8]
	v_sub_nc_u32_e32 v61, 29, v62
	s_delay_alu instid0(VALU_DEP_2)
	v_and_b32_e32 v60, 7, v60
; %bb.648:                              ;   in Loop: Header=BB290_16 Depth=1
	s_wait_alu 0xfffe
	s_or_b32 exec_lo, exec_lo, s23
	v_lshlrev_b32_e32 v7, 8, v7
	v_lshl_add_u32 v61, v61, 10, 0x2000
	v_lshlrev_b32_e32 v60, 7, v60
	s_delay_alu instid0(VALU_DEP_3) | instskip(NEXT) | instid1(VALU_DEP_3)
	v_and_b32_e32 v7, 0x8000, v7
	v_and_b32_e32 v61, 0xfc00, v61
	s_delay_alu instid0(VALU_DEP_1)
	v_or3_b32 v136, v7, v61, v60
.LBB290_649:                            ;   in Loop: Header=BB290_16 Depth=1
	s_wait_alu 0xfffe
	s_or_b32 exec_lo, exec_lo, s22
.LBB290_650:                            ;   in Loop: Header=BB290_16 Depth=1
	s_wait_alu 0xfffe
	s_or_b32 exec_lo, exec_lo, s21
.LBB290_651:                            ;   in Loop: Header=BB290_16 Depth=1
	s_wait_alu 0xfffe
	s_or_b32 exec_lo, exec_lo, s20
	v_mov_b32_e32 v124, 0
	v_mov_b32_e32 v142, 0
	s_mov_b32 s20, exec_lo
	v_cmpx_lt_u64_e64 s[10:11], v[31:32]
	s_cbranch_execz .LBB290_659
; %bb.652:                              ;   in Loop: Header=BB290_16 Depth=1
	v_lshrrev_b32_e32 v7, 24, v32
	v_bfrev_b32_e32 v142, 1
	s_mov_b32 s21, exec_lo
	s_delay_alu instid0(VALU_DEP_2)
	v_cmpx_ne_u32_e32 0x80, v7
	s_cbranch_execz .LBB290_658
; %bb.653:                              ;   in Loop: Header=BB290_16 Depth=1
	v_and_b32_e32 v60, 0x7f, v7
	v_mov_b32_e32 v142, 0x7c010000
	s_mov_b32 s22, exec_lo
	s_delay_alu instid0(VALU_DEP_2)
	v_cmpx_ne_u32_e32 0x7f, v60
	s_cbranch_execz .LBB290_657
; %bb.654:                              ;   in Loop: Header=BB290_16 Depth=1
	v_and_b32_e32 v31, 7, v7
	v_lshrrev_b32_e32 v32, 3, v60
	s_mov_b32 s23, exec_lo
	v_cmpx_gt_u32_e32 8, v60
; %bb.655:                              ;   in Loop: Header=BB290_16 Depth=1
	s_delay_alu instid0(VALU_DEP_3) | instskip(NEXT) | instid1(VALU_DEP_1)
	v_clz_i32_u32_e32 v31, v31
	v_min_u32_e32 v60, 32, v31
	s_delay_alu instid0(VALU_DEP_1) | instskip(NEXT) | instid1(VALU_DEP_1)
	v_subrev_nc_u32_e32 v31, 28, v60
	v_lshlrev_b64_e32 v[31:32], v31, v[7:8]
	v_sub_nc_u32_e32 v32, 29, v60
	s_delay_alu instid0(VALU_DEP_2)
	v_and_b32_e32 v31, 7, v31
; %bb.656:                              ;   in Loop: Header=BB290_16 Depth=1
	s_wait_alu 0xfffe
	s_or_b32 exec_lo, exec_lo, s23
	v_lshlrev_b32_e32 v7, 8, v7
	v_lshl_add_u32 v32, v32, 10, 0x2000
	v_lshlrev_b32_e32 v31, 23, v31
	s_delay_alu instid0(VALU_DEP_2) | instskip(NEXT) | instid1(VALU_DEP_1)
	v_and_or_b32 v7, 0x8000, v7, v32
	v_lshl_or_b32 v142, v7, 16, v31
.LBB290_657:                            ;   in Loop: Header=BB290_16 Depth=1
	s_wait_alu 0xfffe
	s_or_b32 exec_lo, exec_lo, s22
.LBB290_658:                            ;   in Loop: Header=BB290_16 Depth=1
	s_wait_alu 0xfffe
	s_or_b32 exec_lo, exec_lo, s21
.LBB290_659:                            ;   in Loop: Header=BB290_16 Depth=1
	s_wait_alu 0xfffe
	s_or_b32 exec_lo, exec_lo, s20
	flat_load_b64 v[31:32], v[28:29] offset:2560
	s_mov_b32 s20, exec_lo
	s_wait_loadcnt_dscnt 0x0
	v_and_b32_e32 v7, 0xff, v31
	s_delay_alu instid0(VALU_DEP_1)
	v_cmpx_ne_u16_e32 0, v7
	s_cbranch_execz .LBB290_667
; %bb.660:                              ;   in Loop: Header=BB290_16 Depth=1
	v_mov_b32_e32 v124, 0x8000
	s_mov_b32 s21, exec_lo
	v_cmpx_ne_u16_e32 0x80, v7
	s_cbranch_execz .LBB290_666
; %bb.661:                              ;   in Loop: Header=BB290_16 Depth=1
	v_and_b32_e32 v61, 0x7f, v31
	v_mov_b32_e32 v124, 0x7c01
	s_mov_b32 s22, exec_lo
	s_delay_alu instid0(VALU_DEP_2)
	v_cmpx_ne_u32_e32 0x7f, v61
	s_cbranch_execz .LBB290_665
; %bb.662:                              ;   in Loop: Header=BB290_16 Depth=1
	v_and_b32_e32 v7, 7, v31
	v_lshrrev_b32_e32 v60, 3, v61
	s_mov_b32 s23, exec_lo
	v_cmpx_gt_u32_e32 8, v61
; %bb.663:                              ;   in Loop: Header=BB290_16 Depth=1
	s_delay_alu instid0(VALU_DEP_3) | instskip(NEXT) | instid1(VALU_DEP_1)
	v_clz_i32_u32_e32 v7, v7
	v_min_u32_e32 v7, 32, v7
	s_delay_alu instid0(VALU_DEP_1) | instskip(NEXT) | instid1(VALU_DEP_1)
	v_subrev_nc_u32_e32 v60, 28, v7
	v_lshlrev_b64_e32 v[61:62], v60, v[31:32]
	v_sub_nc_u32_e32 v60, 29, v7
	s_delay_alu instid0(VALU_DEP_2)
	v_and_b32_e32 v7, 7, v61
; %bb.664:                              ;   in Loop: Header=BB290_16 Depth=1
	s_wait_alu 0xfffe
	s_or_b32 exec_lo, exec_lo, s23
	v_lshlrev_b32_e32 v61, 8, v31
	v_lshl_add_u32 v60, v60, 10, 0x2000
	v_lshlrev_b32_e32 v7, 7, v7
	s_delay_alu instid0(VALU_DEP_3) | instskip(NEXT) | instid1(VALU_DEP_3)
	v_and_b32_e32 v61, 0x8000, v61
	v_and_b32_e32 v60, 0xfc00, v60
	s_delay_alu instid0(VALU_DEP_1)
	v_or3_b32 v124, v61, v60, v7
.LBB290_665:                            ;   in Loop: Header=BB290_16 Depth=1
	s_wait_alu 0xfffe
	s_or_b32 exec_lo, exec_lo, s22
.LBB290_666:                            ;   in Loop: Header=BB290_16 Depth=1
	s_wait_alu 0xfffe
	s_or_b32 exec_lo, exec_lo, s21
.LBB290_667:                            ;   in Loop: Header=BB290_16 Depth=1
	s_wait_alu 0xfffe
	s_or_b32 exec_lo, exec_lo, s20
	v_lshrrev_b16 v7, 8, v31
	v_dual_mov_b32 v126, 0 :: v_dual_mov_b32 v125, 0
	s_mov_b32 s20, exec_lo
	s_delay_alu instid0(VALU_DEP_2)
	v_cmpx_ne_u16_e32 0, v7
	s_cbranch_execz .LBB290_675
; %bb.668:                              ;   in Loop: Header=BB290_16 Depth=1
	v_bfrev_b32_e32 v125, 1
	s_mov_b32 s21, exec_lo
	v_cmpx_ne_u16_e32 0x80, v7
	s_cbranch_execz .LBB290_674
; %bb.669:                              ;   in Loop: Header=BB290_16 Depth=1
	v_and_b32_e32 v60, 0xffff, v7
	v_mov_b32_e32 v125, 0x7c010000
	s_mov_b32 s22, exec_lo
	s_delay_alu instid0(VALU_DEP_2) | instskip(NEXT) | instid1(VALU_DEP_1)
	v_and_b32_e32 v63, 0x7f, v60
	v_cmpx_ne_u32_e32 0x7f, v63
	s_cbranch_execz .LBB290_673
; %bb.670:                              ;   in Loop: Header=BB290_16 Depth=1
	v_and_b32_e32 v61, 7, v60
	v_lshrrev_b32_e32 v62, 3, v63
	s_mov_b32 s23, exec_lo
	v_cmpx_gt_u32_e32 8, v63
; %bb.671:                              ;   in Loop: Header=BB290_16 Depth=1
	s_delay_alu instid0(VALU_DEP_3) | instskip(NEXT) | instid1(VALU_DEP_1)
	v_clz_i32_u32_e32 v61, v61
	v_min_u32_e32 v63, 32, v61
	s_delay_alu instid0(VALU_DEP_1) | instskip(NEXT) | instid1(VALU_DEP_1)
	v_subrev_nc_u32_e32 v61, 28, v63
	v_lshlrev_b64_e32 v[61:62], v61, v[7:8]
	v_sub_nc_u32_e32 v62, 29, v63
	s_delay_alu instid0(VALU_DEP_2)
	v_and_b32_e32 v61, 7, v61
; %bb.672:                              ;   in Loop: Header=BB290_16 Depth=1
	s_wait_alu 0xfffe
	s_or_b32 exec_lo, exec_lo, s23
	v_lshlrev_b32_e32 v7, 8, v60
	v_lshl_add_u32 v60, v62, 10, 0x2000
	s_delay_alu instid0(VALU_DEP_1) | instskip(SKIP_1) | instid1(VALU_DEP_1)
	v_and_or_b32 v7, 0x8000, v7, v60
	v_lshlrev_b32_e32 v60, 23, v61
	v_lshl_or_b32 v125, v7, 16, v60
.LBB290_673:                            ;   in Loop: Header=BB290_16 Depth=1
	s_wait_alu 0xfffe
	s_or_b32 exec_lo, exec_lo, s22
.LBB290_674:                            ;   in Loop: Header=BB290_16 Depth=1
	s_wait_alu 0xfffe
	s_or_b32 exec_lo, exec_lo, s21
.LBB290_675:                            ;   in Loop: Header=BB290_16 Depth=1
	s_wait_alu 0xfffe
	s_or_b32 exec_lo, exec_lo, s20
	v_lshrrev_b32_e32 v7, 16, v31
	s_mov_b32 s20, exec_lo
	s_delay_alu instid0(VALU_DEP_1) | instskip(NEXT) | instid1(VALU_DEP_1)
	v_and_b32_e32 v60, 0xff, v7
	v_cmpx_ne_u16_e32 0, v60
	s_cbranch_execz .LBB290_683
; %bb.676:                              ;   in Loop: Header=BB290_16 Depth=1
	v_mov_b32_e32 v126, 0x8000
	s_mov_b32 s21, exec_lo
	v_cmpx_ne_u16_e32 0x80, v60
	s_cbranch_execz .LBB290_682
; %bb.677:                              ;   in Loop: Header=BB290_16 Depth=1
	v_bfe_u32 v62, v31, 16, 7
	v_mov_b32_e32 v126, 0x7c01
	s_mov_b32 s22, exec_lo
	s_delay_alu instid0(VALU_DEP_2)
	v_cmpx_ne_u32_e32 0x7f, v62
	s_cbranch_execz .LBB290_681
; %bb.678:                              ;   in Loop: Header=BB290_16 Depth=1
	v_and_b32_e32 v60, 7, v7
	v_lshrrev_b32_e32 v61, 3, v62
	s_mov_b32 s23, exec_lo
	v_cmpx_gt_u32_e32 8, v62
; %bb.679:                              ;   in Loop: Header=BB290_16 Depth=1
	s_delay_alu instid0(VALU_DEP_3) | instskip(NEXT) | instid1(VALU_DEP_1)
	v_clz_i32_u32_e32 v60, v60
	v_min_u32_e32 v62, 32, v60
	s_delay_alu instid0(VALU_DEP_1) | instskip(NEXT) | instid1(VALU_DEP_1)
	v_subrev_nc_u32_e32 v60, 28, v62
	v_lshlrev_b64_e32 v[60:61], v60, v[7:8]
	v_sub_nc_u32_e32 v61, 29, v62
	s_delay_alu instid0(VALU_DEP_2)
	v_and_b32_e32 v60, 7, v60
; %bb.680:                              ;   in Loop: Header=BB290_16 Depth=1
	s_wait_alu 0xfffe
	s_or_b32 exec_lo, exec_lo, s23
	v_lshlrev_b32_e32 v7, 8, v7
	v_lshl_add_u32 v61, v61, 10, 0x2000
	v_lshlrev_b32_e32 v60, 7, v60
	s_delay_alu instid0(VALU_DEP_3) | instskip(NEXT) | instid1(VALU_DEP_3)
	v_and_b32_e32 v7, 0x8000, v7
	v_and_b32_e32 v61, 0xfc00, v61
	s_delay_alu instid0(VALU_DEP_1)
	v_or3_b32 v126, v7, v61, v60
.LBB290_681:                            ;   in Loop: Header=BB290_16 Depth=1
	s_wait_alu 0xfffe
	s_or_b32 exec_lo, exec_lo, s22
.LBB290_682:                            ;   in Loop: Header=BB290_16 Depth=1
	s_wait_alu 0xfffe
	s_or_b32 exec_lo, exec_lo, s21
.LBB290_683:                            ;   in Loop: Header=BB290_16 Depth=1
	s_wait_alu 0xfffe
	s_or_b32 exec_lo, exec_lo, s20
	v_dual_mov_b32 v127, 0 :: v_dual_mov_b32 v138, 0
	s_mov_b32 s20, exec_lo
	v_cmpx_lt_u32_e32 0xffffff, v31
	s_cbranch_execz .LBB290_691
; %bb.684:                              ;   in Loop: Header=BB290_16 Depth=1
	v_lshrrev_b32_e32 v7, 24, v31
	v_bfrev_b32_e32 v138, 1
	s_mov_b32 s21, exec_lo
	s_delay_alu instid0(VALU_DEP_2)
	v_cmpx_ne_u32_e32 0x80, v7
	s_cbranch_execz .LBB290_690
; %bb.685:                              ;   in Loop: Header=BB290_16 Depth=1
	v_and_b32_e32 v62, 0x7f, v7
	v_mov_b32_e32 v138, 0x7c010000
	s_mov_b32 s22, exec_lo
	s_delay_alu instid0(VALU_DEP_2)
	v_cmpx_ne_u32_e32 0x7f, v62
	s_cbranch_execz .LBB290_689
; %bb.686:                              ;   in Loop: Header=BB290_16 Depth=1
	v_and_b32_e32 v60, 7, v7
	v_lshrrev_b32_e32 v61, 3, v62
	s_mov_b32 s23, exec_lo
	v_cmpx_gt_u32_e32 8, v62
; %bb.687:                              ;   in Loop: Header=BB290_16 Depth=1
	s_delay_alu instid0(VALU_DEP_3) | instskip(NEXT) | instid1(VALU_DEP_1)
	v_clz_i32_u32_e32 v60, v60
	v_min_u32_e32 v62, 32, v60
	s_delay_alu instid0(VALU_DEP_1) | instskip(NEXT) | instid1(VALU_DEP_1)
	v_subrev_nc_u32_e32 v60, 28, v62
	v_lshlrev_b64_e32 v[60:61], v60, v[7:8]
	v_sub_nc_u32_e32 v61, 29, v62
	s_delay_alu instid0(VALU_DEP_2)
	v_and_b32_e32 v60, 7, v60
; %bb.688:                              ;   in Loop: Header=BB290_16 Depth=1
	s_wait_alu 0xfffe
	s_or_b32 exec_lo, exec_lo, s23
	v_lshlrev_b32_e32 v7, 8, v7
	v_lshl_add_u32 v61, v61, 10, 0x2000
	v_lshlrev_b32_e32 v60, 23, v60
	s_delay_alu instid0(VALU_DEP_2) | instskip(NEXT) | instid1(VALU_DEP_1)
	v_and_or_b32 v7, 0x8000, v7, v61
	v_lshl_or_b32 v138, v7, 16, v60
.LBB290_689:                            ;   in Loop: Header=BB290_16 Depth=1
	s_wait_alu 0xfffe
	s_or_b32 exec_lo, exec_lo, s22
.LBB290_690:                            ;   in Loop: Header=BB290_16 Depth=1
	s_wait_alu 0xfffe
	s_or_b32 exec_lo, exec_lo, s21
.LBB290_691:                            ;   in Loop: Header=BB290_16 Depth=1
	s_wait_alu 0xfffe
	s_or_b32 exec_lo, exec_lo, s20
	v_dual_mov_b32 v7, v32 :: v_dual_and_b32 v60, 0xff, v32
	s_mov_b32 s20, exec_lo
	s_delay_alu instid0(VALU_DEP_1)
	v_cmpx_ne_u16_e32 0, v60
	s_cbranch_execz .LBB290_699
; %bb.692:                              ;   in Loop: Header=BB290_16 Depth=1
	v_mov_b32_e32 v127, 0x8000
	s_mov_b32 s21, exec_lo
	v_cmpx_ne_u16_e32 0x80, v60
	s_cbranch_execz .LBB290_698
; %bb.693:                              ;   in Loop: Header=BB290_16 Depth=1
	v_and_b32_e32 v62, 0x7f, v32
	v_mov_b32_e32 v127, 0x7c01
	s_mov_b32 s22, exec_lo
	s_delay_alu instid0(VALU_DEP_2)
	v_cmpx_ne_u32_e32 0x7f, v62
	s_cbranch_execz .LBB290_697
; %bb.694:                              ;   in Loop: Header=BB290_16 Depth=1
	v_and_b32_e32 v60, 7, v32
	v_lshrrev_b32_e32 v61, 3, v62
	s_mov_b32 s23, exec_lo
	v_cmpx_gt_u32_e32 8, v62
; %bb.695:                              ;   in Loop: Header=BB290_16 Depth=1
	s_delay_alu instid0(VALU_DEP_3) | instskip(NEXT) | instid1(VALU_DEP_1)
	v_clz_i32_u32_e32 v60, v60
	v_min_u32_e32 v62, 32, v60
	s_delay_alu instid0(VALU_DEP_1) | instskip(NEXT) | instid1(VALU_DEP_1)
	v_subrev_nc_u32_e32 v60, 28, v62
	v_lshlrev_b64_e32 v[60:61], v60, v[7:8]
	v_sub_nc_u32_e32 v61, 29, v62
	s_delay_alu instid0(VALU_DEP_2)
	v_and_b32_e32 v60, 7, v60
; %bb.696:                              ;   in Loop: Header=BB290_16 Depth=1
	s_wait_alu 0xfffe
	s_or_b32 exec_lo, exec_lo, s23
	v_lshlrev_b32_e32 v62, 8, v32
	v_lshl_add_u32 v61, v61, 10, 0x2000
	v_lshlrev_b32_e32 v60, 7, v60
	s_delay_alu instid0(VALU_DEP_3) | instskip(NEXT) | instid1(VALU_DEP_3)
	v_and_b32_e32 v62, 0x8000, v62
	v_and_b32_e32 v61, 0xfc00, v61
	s_delay_alu instid0(VALU_DEP_1)
	v_or3_b32 v127, v62, v61, v60
.LBB290_697:                            ;   in Loop: Header=BB290_16 Depth=1
	s_wait_alu 0xfffe
	s_or_b32 exec_lo, exec_lo, s22
.LBB290_698:                            ;   in Loop: Header=BB290_16 Depth=1
	s_wait_alu 0xfffe
	s_or_b32 exec_lo, exec_lo, s21
.LBB290_699:                            ;   in Loop: Header=BB290_16 Depth=1
	s_wait_alu 0xfffe
	s_or_b32 exec_lo, exec_lo, s20
	v_lshrrev_b16 v7, 8, v7
	v_dual_mov_b32 v143, 0 :: v_dual_mov_b32 v152, 0
	s_mov_b32 s20, exec_lo
	s_delay_alu instid0(VALU_DEP_2)
	v_cmpx_ne_u16_e32 0, v7
	s_cbranch_execz .LBB290_707
; %bb.700:                              ;   in Loop: Header=BB290_16 Depth=1
	v_bfrev_b32_e32 v152, 1
	s_mov_b32 s21, exec_lo
	v_cmpx_ne_u16_e32 0x80, v7
	s_cbranch_execz .LBB290_706
; %bb.701:                              ;   in Loop: Header=BB290_16 Depth=1
	v_and_b32_e32 v60, 0xffff, v7
	v_mov_b32_e32 v152, 0x7c010000
	s_mov_b32 s22, exec_lo
	s_delay_alu instid0(VALU_DEP_2) | instskip(NEXT) | instid1(VALU_DEP_1)
	v_and_b32_e32 v63, 0x7f, v60
	v_cmpx_ne_u32_e32 0x7f, v63
	s_cbranch_execz .LBB290_705
; %bb.702:                              ;   in Loop: Header=BB290_16 Depth=1
	v_and_b32_e32 v61, 7, v60
	v_lshrrev_b32_e32 v62, 3, v63
	s_mov_b32 s23, exec_lo
	v_cmpx_gt_u32_e32 8, v63
; %bb.703:                              ;   in Loop: Header=BB290_16 Depth=1
	s_delay_alu instid0(VALU_DEP_3) | instskip(NEXT) | instid1(VALU_DEP_1)
	v_clz_i32_u32_e32 v61, v61
	v_min_u32_e32 v63, 32, v61
	s_delay_alu instid0(VALU_DEP_1) | instskip(NEXT) | instid1(VALU_DEP_1)
	v_subrev_nc_u32_e32 v61, 28, v63
	v_lshlrev_b64_e32 v[61:62], v61, v[7:8]
	v_sub_nc_u32_e32 v62, 29, v63
	s_delay_alu instid0(VALU_DEP_2)
	v_and_b32_e32 v61, 7, v61
; %bb.704:                              ;   in Loop: Header=BB290_16 Depth=1
	s_wait_alu 0xfffe
	s_or_b32 exec_lo, exec_lo, s23
	v_lshlrev_b32_e32 v7, 8, v60
	v_lshl_add_u32 v60, v62, 10, 0x2000
	s_delay_alu instid0(VALU_DEP_1) | instskip(SKIP_1) | instid1(VALU_DEP_1)
	v_and_or_b32 v7, 0x8000, v7, v60
	v_lshlrev_b32_e32 v60, 23, v61
	v_lshl_or_b32 v152, v7, 16, v60
.LBB290_705:                            ;   in Loop: Header=BB290_16 Depth=1
	s_wait_alu 0xfffe
	s_or_b32 exec_lo, exec_lo, s22
.LBB290_706:                            ;   in Loop: Header=BB290_16 Depth=1
	s_wait_alu 0xfffe
	s_or_b32 exec_lo, exec_lo, s21
.LBB290_707:                            ;   in Loop: Header=BB290_16 Depth=1
	s_wait_alu 0xfffe
	s_or_b32 exec_lo, exec_lo, s20
	v_lshrrev_b32_e32 v7, 16, v32
	s_mov_b32 s20, exec_lo
	s_delay_alu instid0(VALU_DEP_1) | instskip(NEXT) | instid1(VALU_DEP_1)
	v_and_b32_e32 v60, 0xff, v7
	v_cmpx_ne_u16_e32 0, v60
	s_cbranch_execz .LBB290_715
; %bb.708:                              ;   in Loop: Header=BB290_16 Depth=1
	v_mov_b32_e32 v143, 0x8000
	s_mov_b32 s21, exec_lo
	v_cmpx_ne_u16_e32 0x80, v60
	s_cbranch_execz .LBB290_714
; %bb.709:                              ;   in Loop: Header=BB290_16 Depth=1
	v_bfe_u32 v62, v32, 16, 7
	v_mov_b32_e32 v143, 0x7c01
	s_mov_b32 s22, exec_lo
	s_delay_alu instid0(VALU_DEP_2)
	v_cmpx_ne_u32_e32 0x7f, v62
	s_cbranch_execz .LBB290_713
; %bb.710:                              ;   in Loop: Header=BB290_16 Depth=1
	v_and_b32_e32 v60, 7, v7
	v_lshrrev_b32_e32 v61, 3, v62
	s_mov_b32 s23, exec_lo
	v_cmpx_gt_u32_e32 8, v62
; %bb.711:                              ;   in Loop: Header=BB290_16 Depth=1
	s_delay_alu instid0(VALU_DEP_3) | instskip(NEXT) | instid1(VALU_DEP_1)
	v_clz_i32_u32_e32 v60, v60
	v_min_u32_e32 v62, 32, v60
	s_delay_alu instid0(VALU_DEP_1) | instskip(NEXT) | instid1(VALU_DEP_1)
	v_subrev_nc_u32_e32 v60, 28, v62
	v_lshlrev_b64_e32 v[60:61], v60, v[7:8]
	v_sub_nc_u32_e32 v61, 29, v62
	s_delay_alu instid0(VALU_DEP_2)
	v_and_b32_e32 v60, 7, v60
; %bb.712:                              ;   in Loop: Header=BB290_16 Depth=1
	s_wait_alu 0xfffe
	s_or_b32 exec_lo, exec_lo, s23
	v_lshlrev_b32_e32 v7, 8, v7
	v_lshl_add_u32 v61, v61, 10, 0x2000
	v_lshlrev_b32_e32 v60, 7, v60
	s_delay_alu instid0(VALU_DEP_3) | instskip(NEXT) | instid1(VALU_DEP_3)
	v_and_b32_e32 v7, 0x8000, v7
	v_and_b32_e32 v61, 0xfc00, v61
	s_delay_alu instid0(VALU_DEP_1)
	v_or3_b32 v143, v7, v61, v60
.LBB290_713:                            ;   in Loop: Header=BB290_16 Depth=1
	s_wait_alu 0xfffe
	s_or_b32 exec_lo, exec_lo, s22
.LBB290_714:                            ;   in Loop: Header=BB290_16 Depth=1
	s_wait_alu 0xfffe
	s_or_b32 exec_lo, exec_lo, s21
.LBB290_715:                            ;   in Loop: Header=BB290_16 Depth=1
	s_wait_alu 0xfffe
	s_or_b32 exec_lo, exec_lo, s20
	v_dual_mov_b32 v104, 0 :: v_dual_mov_b32 v153, 0
	s_mov_b32 s20, exec_lo
	v_cmpx_lt_u64_e64 s[10:11], v[31:32]
	s_cbranch_execz .LBB290_723
; %bb.716:                              ;   in Loop: Header=BB290_16 Depth=1
	v_lshrrev_b32_e32 v7, 24, v32
	v_bfrev_b32_e32 v153, 1
	s_mov_b32 s21, exec_lo
	s_delay_alu instid0(VALU_DEP_2)
	v_cmpx_ne_u32_e32 0x80, v7
	s_cbranch_execz .LBB290_722
; %bb.717:                              ;   in Loop: Header=BB290_16 Depth=1
	v_and_b32_e32 v60, 0x7f, v7
	v_mov_b32_e32 v153, 0x7c010000
	s_mov_b32 s22, exec_lo
	s_delay_alu instid0(VALU_DEP_2)
	v_cmpx_ne_u32_e32 0x7f, v60
	s_cbranch_execz .LBB290_721
; %bb.718:                              ;   in Loop: Header=BB290_16 Depth=1
	v_and_b32_e32 v31, 7, v7
	v_lshrrev_b32_e32 v32, 3, v60
	s_mov_b32 s23, exec_lo
	v_cmpx_gt_u32_e32 8, v60
; %bb.719:                              ;   in Loop: Header=BB290_16 Depth=1
	s_delay_alu instid0(VALU_DEP_3) | instskip(NEXT) | instid1(VALU_DEP_1)
	v_clz_i32_u32_e32 v31, v31
	v_min_u32_e32 v60, 32, v31
	s_delay_alu instid0(VALU_DEP_1) | instskip(NEXT) | instid1(VALU_DEP_1)
	v_subrev_nc_u32_e32 v31, 28, v60
	v_lshlrev_b64_e32 v[31:32], v31, v[7:8]
	v_sub_nc_u32_e32 v32, 29, v60
	s_delay_alu instid0(VALU_DEP_2)
	v_and_b32_e32 v31, 7, v31
; %bb.720:                              ;   in Loop: Header=BB290_16 Depth=1
	s_wait_alu 0xfffe
	s_or_b32 exec_lo, exec_lo, s23
	v_lshlrev_b32_e32 v7, 8, v7
	v_lshl_add_u32 v32, v32, 10, 0x2000
	v_lshlrev_b32_e32 v31, 23, v31
	s_delay_alu instid0(VALU_DEP_2) | instskip(NEXT) | instid1(VALU_DEP_1)
	v_and_or_b32 v7, 0x8000, v7, v32
	v_lshl_or_b32 v153, v7, 16, v31
.LBB290_721:                            ;   in Loop: Header=BB290_16 Depth=1
	s_wait_alu 0xfffe
	s_or_b32 exec_lo, exec_lo, s22
.LBB290_722:                            ;   in Loop: Header=BB290_16 Depth=1
	s_wait_alu 0xfffe
	s_or_b32 exec_lo, exec_lo, s21
.LBB290_723:                            ;   in Loop: Header=BB290_16 Depth=1
	s_wait_alu 0xfffe
	s_or_b32 exec_lo, exec_lo, s20
	flat_load_b64 v[31:32], v[28:29] offset:2568
	s_mov_b32 s20, exec_lo
	s_wait_loadcnt_dscnt 0x0
	v_and_b32_e32 v7, 0xff, v31
	s_delay_alu instid0(VALU_DEP_1)
	v_cmpx_ne_u16_e32 0, v7
	s_cbranch_execz .LBB290_731
; %bb.724:                              ;   in Loop: Header=BB290_16 Depth=1
	v_mov_b32_e32 v104, 0x8000
	s_mov_b32 s21, exec_lo
	v_cmpx_ne_u16_e32 0x80, v7
	s_cbranch_execz .LBB290_730
; %bb.725:                              ;   in Loop: Header=BB290_16 Depth=1
	v_and_b32_e32 v61, 0x7f, v31
	v_mov_b32_e32 v104, 0x7c01
	s_mov_b32 s22, exec_lo
	s_delay_alu instid0(VALU_DEP_2)
	v_cmpx_ne_u32_e32 0x7f, v61
	s_cbranch_execz .LBB290_729
; %bb.726:                              ;   in Loop: Header=BB290_16 Depth=1
	v_and_b32_e32 v7, 7, v31
	v_lshrrev_b32_e32 v60, 3, v61
	s_mov_b32 s23, exec_lo
	v_cmpx_gt_u32_e32 8, v61
; %bb.727:                              ;   in Loop: Header=BB290_16 Depth=1
	s_delay_alu instid0(VALU_DEP_3) | instskip(NEXT) | instid1(VALU_DEP_1)
	v_clz_i32_u32_e32 v7, v7
	v_min_u32_e32 v7, 32, v7
	s_delay_alu instid0(VALU_DEP_1) | instskip(NEXT) | instid1(VALU_DEP_1)
	v_subrev_nc_u32_e32 v60, 28, v7
	v_lshlrev_b64_e32 v[61:62], v60, v[31:32]
	v_sub_nc_u32_e32 v60, 29, v7
	s_delay_alu instid0(VALU_DEP_2)
	v_and_b32_e32 v7, 7, v61
; %bb.728:                              ;   in Loop: Header=BB290_16 Depth=1
	s_wait_alu 0xfffe
	s_or_b32 exec_lo, exec_lo, s23
	v_lshlrev_b32_e32 v61, 8, v31
	v_lshl_add_u32 v60, v60, 10, 0x2000
	v_lshlrev_b32_e32 v7, 7, v7
	s_delay_alu instid0(VALU_DEP_3) | instskip(NEXT) | instid1(VALU_DEP_3)
	v_and_b32_e32 v61, 0x8000, v61
	v_and_b32_e32 v60, 0xfc00, v60
	s_delay_alu instid0(VALU_DEP_1)
	v_or3_b32 v104, v61, v60, v7
.LBB290_729:                            ;   in Loop: Header=BB290_16 Depth=1
	s_wait_alu 0xfffe
	s_or_b32 exec_lo, exec_lo, s22
.LBB290_730:                            ;   in Loop: Header=BB290_16 Depth=1
	s_wait_alu 0xfffe
	s_or_b32 exec_lo, exec_lo, s21
.LBB290_731:                            ;   in Loop: Header=BB290_16 Depth=1
	s_wait_alu 0xfffe
	s_or_b32 exec_lo, exec_lo, s20
	v_lshrrev_b16 v7, 8, v31
	v_dual_mov_b32 v108, 0 :: v_dual_mov_b32 v105, 0
	s_mov_b32 s20, exec_lo
	s_delay_alu instid0(VALU_DEP_2)
	v_cmpx_ne_u16_e32 0, v7
	s_cbranch_execz .LBB290_739
; %bb.732:                              ;   in Loop: Header=BB290_16 Depth=1
	v_bfrev_b32_e32 v105, 1
	s_mov_b32 s21, exec_lo
	v_cmpx_ne_u16_e32 0x80, v7
	s_cbranch_execz .LBB290_738
; %bb.733:                              ;   in Loop: Header=BB290_16 Depth=1
	v_and_b32_e32 v60, 0xffff, v7
	v_mov_b32_e32 v105, 0x7c010000
	s_mov_b32 s22, exec_lo
	s_delay_alu instid0(VALU_DEP_2) | instskip(NEXT) | instid1(VALU_DEP_1)
	v_and_b32_e32 v63, 0x7f, v60
	v_cmpx_ne_u32_e32 0x7f, v63
	s_cbranch_execz .LBB290_737
; %bb.734:                              ;   in Loop: Header=BB290_16 Depth=1
	v_and_b32_e32 v61, 7, v60
	v_lshrrev_b32_e32 v62, 3, v63
	s_mov_b32 s23, exec_lo
	v_cmpx_gt_u32_e32 8, v63
; %bb.735:                              ;   in Loop: Header=BB290_16 Depth=1
	s_delay_alu instid0(VALU_DEP_3) | instskip(NEXT) | instid1(VALU_DEP_1)
	v_clz_i32_u32_e32 v61, v61
	v_min_u32_e32 v63, 32, v61
	s_delay_alu instid0(VALU_DEP_1) | instskip(NEXT) | instid1(VALU_DEP_1)
	v_subrev_nc_u32_e32 v61, 28, v63
	v_lshlrev_b64_e32 v[61:62], v61, v[7:8]
	v_sub_nc_u32_e32 v62, 29, v63
	s_delay_alu instid0(VALU_DEP_2)
	v_and_b32_e32 v61, 7, v61
; %bb.736:                              ;   in Loop: Header=BB290_16 Depth=1
	s_wait_alu 0xfffe
	s_or_b32 exec_lo, exec_lo, s23
	v_lshlrev_b32_e32 v7, 8, v60
	v_lshl_add_u32 v60, v62, 10, 0x2000
	s_delay_alu instid0(VALU_DEP_1) | instskip(SKIP_1) | instid1(VALU_DEP_1)
	v_and_or_b32 v7, 0x8000, v7, v60
	v_lshlrev_b32_e32 v60, 23, v61
	v_lshl_or_b32 v105, v7, 16, v60
.LBB290_737:                            ;   in Loop: Header=BB290_16 Depth=1
	s_wait_alu 0xfffe
	s_or_b32 exec_lo, exec_lo, s22
.LBB290_738:                            ;   in Loop: Header=BB290_16 Depth=1
	s_wait_alu 0xfffe
	s_or_b32 exec_lo, exec_lo, s21
.LBB290_739:                            ;   in Loop: Header=BB290_16 Depth=1
	s_wait_alu 0xfffe
	s_or_b32 exec_lo, exec_lo, s20
	v_lshrrev_b32_e32 v7, 16, v31
	s_mov_b32 s20, exec_lo
	s_delay_alu instid0(VALU_DEP_1) | instskip(NEXT) | instid1(VALU_DEP_1)
	v_and_b32_e32 v60, 0xff, v7
	v_cmpx_ne_u16_e32 0, v60
	s_cbranch_execz .LBB290_747
; %bb.740:                              ;   in Loop: Header=BB290_16 Depth=1
	v_mov_b32_e32 v108, 0x8000
	s_mov_b32 s21, exec_lo
	v_cmpx_ne_u16_e32 0x80, v60
	s_cbranch_execz .LBB290_746
; %bb.741:                              ;   in Loop: Header=BB290_16 Depth=1
	v_bfe_u32 v62, v31, 16, 7
	v_mov_b32_e32 v108, 0x7c01
	s_mov_b32 s22, exec_lo
	s_delay_alu instid0(VALU_DEP_2)
	v_cmpx_ne_u32_e32 0x7f, v62
	s_cbranch_execz .LBB290_745
; %bb.742:                              ;   in Loop: Header=BB290_16 Depth=1
	v_and_b32_e32 v60, 7, v7
	v_lshrrev_b32_e32 v61, 3, v62
	s_mov_b32 s23, exec_lo
	v_cmpx_gt_u32_e32 8, v62
; %bb.743:                              ;   in Loop: Header=BB290_16 Depth=1
	s_delay_alu instid0(VALU_DEP_3) | instskip(NEXT) | instid1(VALU_DEP_1)
	v_clz_i32_u32_e32 v60, v60
	v_min_u32_e32 v62, 32, v60
	s_delay_alu instid0(VALU_DEP_1) | instskip(NEXT) | instid1(VALU_DEP_1)
	v_subrev_nc_u32_e32 v60, 28, v62
	v_lshlrev_b64_e32 v[60:61], v60, v[7:8]
	v_sub_nc_u32_e32 v61, 29, v62
	s_delay_alu instid0(VALU_DEP_2)
	v_and_b32_e32 v60, 7, v60
; %bb.744:                              ;   in Loop: Header=BB290_16 Depth=1
	s_wait_alu 0xfffe
	s_or_b32 exec_lo, exec_lo, s23
	v_lshlrev_b32_e32 v7, 8, v7
	v_lshl_add_u32 v61, v61, 10, 0x2000
	v_lshlrev_b32_e32 v60, 7, v60
	s_delay_alu instid0(VALU_DEP_3) | instskip(NEXT) | instid1(VALU_DEP_3)
	v_and_b32_e32 v7, 0x8000, v7
	v_and_b32_e32 v61, 0xfc00, v61
	s_delay_alu instid0(VALU_DEP_1)
	v_or3_b32 v108, v7, v61, v60
.LBB290_745:                            ;   in Loop: Header=BB290_16 Depth=1
	s_wait_alu 0xfffe
	s_or_b32 exec_lo, exec_lo, s22
.LBB290_746:                            ;   in Loop: Header=BB290_16 Depth=1
	s_wait_alu 0xfffe
	s_or_b32 exec_lo, exec_lo, s21
.LBB290_747:                            ;   in Loop: Header=BB290_16 Depth=1
	s_wait_alu 0xfffe
	s_or_b32 exec_lo, exec_lo, s20
	v_dual_mov_b32 v109, 0 :: v_dual_mov_b32 v110, 0
	s_mov_b32 s20, exec_lo
	v_cmpx_lt_u32_e32 0xffffff, v31
	s_cbranch_execz .LBB290_755
; %bb.748:                              ;   in Loop: Header=BB290_16 Depth=1
	v_lshrrev_b32_e32 v7, 24, v31
	v_bfrev_b32_e32 v110, 1
	s_mov_b32 s21, exec_lo
	s_delay_alu instid0(VALU_DEP_2)
	v_cmpx_ne_u32_e32 0x80, v7
	s_cbranch_execz .LBB290_754
; %bb.749:                              ;   in Loop: Header=BB290_16 Depth=1
	v_and_b32_e32 v62, 0x7f, v7
	v_mov_b32_e32 v110, 0x7c010000
	s_mov_b32 s22, exec_lo
	s_delay_alu instid0(VALU_DEP_2)
	v_cmpx_ne_u32_e32 0x7f, v62
	s_cbranch_execz .LBB290_753
; %bb.750:                              ;   in Loop: Header=BB290_16 Depth=1
	v_and_b32_e32 v60, 7, v7
	v_lshrrev_b32_e32 v61, 3, v62
	s_mov_b32 s23, exec_lo
	v_cmpx_gt_u32_e32 8, v62
; %bb.751:                              ;   in Loop: Header=BB290_16 Depth=1
	s_delay_alu instid0(VALU_DEP_3) | instskip(NEXT) | instid1(VALU_DEP_1)
	v_clz_i32_u32_e32 v60, v60
	v_min_u32_e32 v62, 32, v60
	s_delay_alu instid0(VALU_DEP_1) | instskip(NEXT) | instid1(VALU_DEP_1)
	v_subrev_nc_u32_e32 v60, 28, v62
	v_lshlrev_b64_e32 v[60:61], v60, v[7:8]
	v_sub_nc_u32_e32 v61, 29, v62
	s_delay_alu instid0(VALU_DEP_2)
	v_and_b32_e32 v60, 7, v60
; %bb.752:                              ;   in Loop: Header=BB290_16 Depth=1
	s_wait_alu 0xfffe
	s_or_b32 exec_lo, exec_lo, s23
	v_lshlrev_b32_e32 v7, 8, v7
	v_lshl_add_u32 v61, v61, 10, 0x2000
	v_lshlrev_b32_e32 v60, 23, v60
	s_delay_alu instid0(VALU_DEP_2) | instskip(NEXT) | instid1(VALU_DEP_1)
	v_and_or_b32 v7, 0x8000, v7, v61
	v_lshl_or_b32 v110, v7, 16, v60
.LBB290_753:                            ;   in Loop: Header=BB290_16 Depth=1
	s_wait_alu 0xfffe
	s_or_b32 exec_lo, exec_lo, s22
.LBB290_754:                            ;   in Loop: Header=BB290_16 Depth=1
	s_wait_alu 0xfffe
	s_or_b32 exec_lo, exec_lo, s21
.LBB290_755:                            ;   in Loop: Header=BB290_16 Depth=1
	s_wait_alu 0xfffe
	s_or_b32 exec_lo, exec_lo, s20
	v_dual_mov_b32 v7, v32 :: v_dual_and_b32 v60, 0xff, v32
	s_mov_b32 s20, exec_lo
	s_delay_alu instid0(VALU_DEP_1)
	v_cmpx_ne_u16_e32 0, v60
	s_cbranch_execz .LBB290_763
; %bb.756:                              ;   in Loop: Header=BB290_16 Depth=1
	v_mov_b32_e32 v109, 0x8000
	s_mov_b32 s21, exec_lo
	v_cmpx_ne_u16_e32 0x80, v60
	s_cbranch_execz .LBB290_762
; %bb.757:                              ;   in Loop: Header=BB290_16 Depth=1
	v_and_b32_e32 v62, 0x7f, v32
	v_mov_b32_e32 v109, 0x7c01
	s_mov_b32 s22, exec_lo
	s_delay_alu instid0(VALU_DEP_2)
	v_cmpx_ne_u32_e32 0x7f, v62
	s_cbranch_execz .LBB290_761
; %bb.758:                              ;   in Loop: Header=BB290_16 Depth=1
	v_and_b32_e32 v60, 7, v32
	v_lshrrev_b32_e32 v61, 3, v62
	s_mov_b32 s23, exec_lo
	v_cmpx_gt_u32_e32 8, v62
; %bb.759:                              ;   in Loop: Header=BB290_16 Depth=1
	s_delay_alu instid0(VALU_DEP_3) | instskip(NEXT) | instid1(VALU_DEP_1)
	v_clz_i32_u32_e32 v60, v60
	v_min_u32_e32 v62, 32, v60
	s_delay_alu instid0(VALU_DEP_1) | instskip(NEXT) | instid1(VALU_DEP_1)
	v_subrev_nc_u32_e32 v60, 28, v62
	v_lshlrev_b64_e32 v[60:61], v60, v[7:8]
	v_sub_nc_u32_e32 v61, 29, v62
	s_delay_alu instid0(VALU_DEP_2)
	v_and_b32_e32 v60, 7, v60
; %bb.760:                              ;   in Loop: Header=BB290_16 Depth=1
	s_wait_alu 0xfffe
	s_or_b32 exec_lo, exec_lo, s23
	v_lshlrev_b32_e32 v62, 8, v32
	v_lshl_add_u32 v61, v61, 10, 0x2000
	v_lshlrev_b32_e32 v60, 7, v60
	s_delay_alu instid0(VALU_DEP_3) | instskip(NEXT) | instid1(VALU_DEP_3)
	v_and_b32_e32 v62, 0x8000, v62
	v_and_b32_e32 v61, 0xfc00, v61
	s_delay_alu instid0(VALU_DEP_1)
	v_or3_b32 v109, v62, v61, v60
.LBB290_761:                            ;   in Loop: Header=BB290_16 Depth=1
	s_wait_alu 0xfffe
	s_or_b32 exec_lo, exec_lo, s22
.LBB290_762:                            ;   in Loop: Header=BB290_16 Depth=1
	s_wait_alu 0xfffe
	s_or_b32 exec_lo, exec_lo, s21
.LBB290_763:                            ;   in Loop: Header=BB290_16 Depth=1
	s_wait_alu 0xfffe
	s_or_b32 exec_lo, exec_lo, s20
	v_lshrrev_b16 v7, 8, v7
	v_dual_mov_b32 v139, 0 :: v_dual_mov_b32 v140, 0
	s_mov_b32 s20, exec_lo
	s_delay_alu instid0(VALU_DEP_2)
	v_cmpx_ne_u16_e32 0, v7
	s_cbranch_execz .LBB290_771
; %bb.764:                              ;   in Loop: Header=BB290_16 Depth=1
	v_bfrev_b32_e32 v140, 1
	s_mov_b32 s21, exec_lo
	v_cmpx_ne_u16_e32 0x80, v7
	s_cbranch_execz .LBB290_770
; %bb.765:                              ;   in Loop: Header=BB290_16 Depth=1
	v_and_b32_e32 v60, 0xffff, v7
	v_mov_b32_e32 v140, 0x7c010000
	s_mov_b32 s22, exec_lo
	s_delay_alu instid0(VALU_DEP_2) | instskip(NEXT) | instid1(VALU_DEP_1)
	v_and_b32_e32 v63, 0x7f, v60
	v_cmpx_ne_u32_e32 0x7f, v63
	s_cbranch_execz .LBB290_769
; %bb.766:                              ;   in Loop: Header=BB290_16 Depth=1
	v_and_b32_e32 v61, 7, v60
	v_lshrrev_b32_e32 v62, 3, v63
	s_mov_b32 s23, exec_lo
	v_cmpx_gt_u32_e32 8, v63
; %bb.767:                              ;   in Loop: Header=BB290_16 Depth=1
	s_delay_alu instid0(VALU_DEP_3) | instskip(NEXT) | instid1(VALU_DEP_1)
	v_clz_i32_u32_e32 v61, v61
	v_min_u32_e32 v63, 32, v61
	s_delay_alu instid0(VALU_DEP_1) | instskip(NEXT) | instid1(VALU_DEP_1)
	v_subrev_nc_u32_e32 v61, 28, v63
	v_lshlrev_b64_e32 v[61:62], v61, v[7:8]
	v_sub_nc_u32_e32 v62, 29, v63
	s_delay_alu instid0(VALU_DEP_2)
	v_and_b32_e32 v61, 7, v61
; %bb.768:                              ;   in Loop: Header=BB290_16 Depth=1
	s_wait_alu 0xfffe
	s_or_b32 exec_lo, exec_lo, s23
	v_lshlrev_b32_e32 v7, 8, v60
	v_lshl_add_u32 v60, v62, 10, 0x2000
	s_delay_alu instid0(VALU_DEP_1) | instskip(SKIP_1) | instid1(VALU_DEP_1)
	v_and_or_b32 v7, 0x8000, v7, v60
	v_lshlrev_b32_e32 v60, 23, v61
	v_lshl_or_b32 v140, v7, 16, v60
.LBB290_769:                            ;   in Loop: Header=BB290_16 Depth=1
	s_wait_alu 0xfffe
	s_or_b32 exec_lo, exec_lo, s22
.LBB290_770:                            ;   in Loop: Header=BB290_16 Depth=1
	s_wait_alu 0xfffe
	s_or_b32 exec_lo, exec_lo, s21
.LBB290_771:                            ;   in Loop: Header=BB290_16 Depth=1
	s_wait_alu 0xfffe
	s_or_b32 exec_lo, exec_lo, s20
	v_lshrrev_b32_e32 v7, 16, v32
	s_mov_b32 s20, exec_lo
	s_delay_alu instid0(VALU_DEP_1) | instskip(NEXT) | instid1(VALU_DEP_1)
	v_and_b32_e32 v60, 0xff, v7
	v_cmpx_ne_u16_e32 0, v60
	s_cbranch_execz .LBB290_779
; %bb.772:                              ;   in Loop: Header=BB290_16 Depth=1
	v_mov_b32_e32 v139, 0x8000
	s_mov_b32 s21, exec_lo
	v_cmpx_ne_u16_e32 0x80, v60
	s_cbranch_execz .LBB290_778
; %bb.773:                              ;   in Loop: Header=BB290_16 Depth=1
	v_bfe_u32 v62, v32, 16, 7
	v_mov_b32_e32 v139, 0x7c01
	s_mov_b32 s22, exec_lo
	s_delay_alu instid0(VALU_DEP_2)
	v_cmpx_ne_u32_e32 0x7f, v62
	s_cbranch_execz .LBB290_777
; %bb.774:                              ;   in Loop: Header=BB290_16 Depth=1
	v_and_b32_e32 v60, 7, v7
	v_lshrrev_b32_e32 v61, 3, v62
	s_mov_b32 s23, exec_lo
	v_cmpx_gt_u32_e32 8, v62
; %bb.775:                              ;   in Loop: Header=BB290_16 Depth=1
	s_delay_alu instid0(VALU_DEP_3) | instskip(NEXT) | instid1(VALU_DEP_1)
	v_clz_i32_u32_e32 v60, v60
	v_min_u32_e32 v62, 32, v60
	s_delay_alu instid0(VALU_DEP_1) | instskip(NEXT) | instid1(VALU_DEP_1)
	v_subrev_nc_u32_e32 v60, 28, v62
	v_lshlrev_b64_e32 v[60:61], v60, v[7:8]
	v_sub_nc_u32_e32 v61, 29, v62
	s_delay_alu instid0(VALU_DEP_2)
	v_and_b32_e32 v60, 7, v60
; %bb.776:                              ;   in Loop: Header=BB290_16 Depth=1
	s_wait_alu 0xfffe
	s_or_b32 exec_lo, exec_lo, s23
	v_lshlrev_b32_e32 v7, 8, v7
	v_lshl_add_u32 v61, v61, 10, 0x2000
	v_lshlrev_b32_e32 v60, 7, v60
	s_delay_alu instid0(VALU_DEP_3) | instskip(NEXT) | instid1(VALU_DEP_3)
	v_and_b32_e32 v7, 0x8000, v7
	v_and_b32_e32 v61, 0xfc00, v61
	s_delay_alu instid0(VALU_DEP_1)
	v_or3_b32 v139, v7, v61, v60
.LBB290_777:                            ;   in Loop: Header=BB290_16 Depth=1
	s_wait_alu 0xfffe
	s_or_b32 exec_lo, exec_lo, s22
.LBB290_778:                            ;   in Loop: Header=BB290_16 Depth=1
	s_wait_alu 0xfffe
	s_or_b32 exec_lo, exec_lo, s21
.LBB290_779:                            ;   in Loop: Header=BB290_16 Depth=1
	s_wait_alu 0xfffe
	s_or_b32 exec_lo, exec_lo, s20
	v_dual_mov_b32 v76, 0 :: v_dual_mov_b32 v141, 0
	s_mov_b32 s20, exec_lo
	v_cmpx_lt_u64_e64 s[10:11], v[31:32]
	s_cbranch_execz .LBB290_787
; %bb.780:                              ;   in Loop: Header=BB290_16 Depth=1
	v_lshrrev_b32_e32 v7, 24, v32
	v_bfrev_b32_e32 v141, 1
	s_mov_b32 s21, exec_lo
	s_delay_alu instid0(VALU_DEP_2)
	v_cmpx_ne_u32_e32 0x80, v7
	s_cbranch_execz .LBB290_786
; %bb.781:                              ;   in Loop: Header=BB290_16 Depth=1
	v_and_b32_e32 v60, 0x7f, v7
	v_mov_b32_e32 v141, 0x7c010000
	s_mov_b32 s22, exec_lo
	s_delay_alu instid0(VALU_DEP_2)
	v_cmpx_ne_u32_e32 0x7f, v60
	s_cbranch_execz .LBB290_785
; %bb.782:                              ;   in Loop: Header=BB290_16 Depth=1
	v_and_b32_e32 v31, 7, v7
	v_lshrrev_b32_e32 v32, 3, v60
	s_mov_b32 s23, exec_lo
	v_cmpx_gt_u32_e32 8, v60
; %bb.783:                              ;   in Loop: Header=BB290_16 Depth=1
	s_delay_alu instid0(VALU_DEP_3) | instskip(NEXT) | instid1(VALU_DEP_1)
	v_clz_i32_u32_e32 v31, v31
	v_min_u32_e32 v60, 32, v31
	s_delay_alu instid0(VALU_DEP_1) | instskip(NEXT) | instid1(VALU_DEP_1)
	v_subrev_nc_u32_e32 v31, 28, v60
	v_lshlrev_b64_e32 v[31:32], v31, v[7:8]
	v_sub_nc_u32_e32 v32, 29, v60
	s_delay_alu instid0(VALU_DEP_2)
	v_and_b32_e32 v31, 7, v31
; %bb.784:                              ;   in Loop: Header=BB290_16 Depth=1
	s_wait_alu 0xfffe
	s_or_b32 exec_lo, exec_lo, s23
	v_lshlrev_b32_e32 v7, 8, v7
	v_lshl_add_u32 v32, v32, 10, 0x2000
	v_lshlrev_b32_e32 v31, 23, v31
	s_delay_alu instid0(VALU_DEP_2) | instskip(NEXT) | instid1(VALU_DEP_1)
	v_and_or_b32 v7, 0x8000, v7, v32
	v_lshl_or_b32 v141, v7, 16, v31
.LBB290_785:                            ;   in Loop: Header=BB290_16 Depth=1
	s_wait_alu 0xfffe
	s_or_b32 exec_lo, exec_lo, s22
.LBB290_786:                            ;   in Loop: Header=BB290_16 Depth=1
	s_wait_alu 0xfffe
	s_or_b32 exec_lo, exec_lo, s21
.LBB290_787:                            ;   in Loop: Header=BB290_16 Depth=1
	s_wait_alu 0xfffe
	s_or_b32 exec_lo, exec_lo, s20
	flat_load_b64 v[31:32], v[28:29] offset:3072
	s_mov_b32 s20, exec_lo
	s_wait_loadcnt_dscnt 0x0
	v_and_b32_e32 v7, 0xff, v31
	s_delay_alu instid0(VALU_DEP_1)
	v_cmpx_ne_u16_e32 0, v7
	s_cbranch_execz .LBB290_795
; %bb.788:                              ;   in Loop: Header=BB290_16 Depth=1
	v_mov_b32_e32 v76, 0x8000
	s_mov_b32 s21, exec_lo
	v_cmpx_ne_u16_e32 0x80, v7
	s_cbranch_execz .LBB290_794
; %bb.789:                              ;   in Loop: Header=BB290_16 Depth=1
	v_and_b32_e32 v61, 0x7f, v31
	v_mov_b32_e32 v76, 0x7c01
	s_mov_b32 s22, exec_lo
	s_delay_alu instid0(VALU_DEP_2)
	v_cmpx_ne_u32_e32 0x7f, v61
	s_cbranch_execz .LBB290_793
; %bb.790:                              ;   in Loop: Header=BB290_16 Depth=1
	v_and_b32_e32 v7, 7, v31
	v_lshrrev_b32_e32 v60, 3, v61
	s_mov_b32 s23, exec_lo
	v_cmpx_gt_u32_e32 8, v61
; %bb.791:                              ;   in Loop: Header=BB290_16 Depth=1
	s_delay_alu instid0(VALU_DEP_3) | instskip(NEXT) | instid1(VALU_DEP_1)
	v_clz_i32_u32_e32 v7, v7
	v_min_u32_e32 v7, 32, v7
	s_delay_alu instid0(VALU_DEP_1) | instskip(NEXT) | instid1(VALU_DEP_1)
	v_subrev_nc_u32_e32 v60, 28, v7
	v_lshlrev_b64_e32 v[61:62], v60, v[31:32]
	v_sub_nc_u32_e32 v60, 29, v7
	s_delay_alu instid0(VALU_DEP_2)
	v_and_b32_e32 v7, 7, v61
; %bb.792:                              ;   in Loop: Header=BB290_16 Depth=1
	s_wait_alu 0xfffe
	s_or_b32 exec_lo, exec_lo, s23
	v_lshlrev_b32_e32 v61, 8, v31
	v_lshl_add_u32 v60, v60, 10, 0x2000
	v_lshlrev_b32_e32 v7, 7, v7
	s_delay_alu instid0(VALU_DEP_3) | instskip(NEXT) | instid1(VALU_DEP_3)
	v_and_b32_e32 v61, 0x8000, v61
	v_and_b32_e32 v60, 0xfc00, v60
	s_delay_alu instid0(VALU_DEP_1)
	v_or3_b32 v76, v61, v60, v7
.LBB290_793:                            ;   in Loop: Header=BB290_16 Depth=1
	s_wait_alu 0xfffe
	s_or_b32 exec_lo, exec_lo, s22
.LBB290_794:                            ;   in Loop: Header=BB290_16 Depth=1
	s_wait_alu 0xfffe
	s_or_b32 exec_lo, exec_lo, s21
.LBB290_795:                            ;   in Loop: Header=BB290_16 Depth=1
	s_wait_alu 0xfffe
	s_or_b32 exec_lo, exec_lo, s20
	v_lshrrev_b16 v7, 8, v31
	v_dual_mov_b32 v88, 0 :: v_dual_mov_b32 v77, 0
	s_mov_b32 s20, exec_lo
	s_delay_alu instid0(VALU_DEP_2)
	v_cmpx_ne_u16_e32 0, v7
	s_cbranch_execz .LBB290_803
; %bb.796:                              ;   in Loop: Header=BB290_16 Depth=1
	v_bfrev_b32_e32 v77, 1
	s_mov_b32 s21, exec_lo
	v_cmpx_ne_u16_e32 0x80, v7
	s_cbranch_execz .LBB290_802
; %bb.797:                              ;   in Loop: Header=BB290_16 Depth=1
	v_and_b32_e32 v60, 0xffff, v7
	v_mov_b32_e32 v77, 0x7c010000
	s_mov_b32 s22, exec_lo
	s_delay_alu instid0(VALU_DEP_2) | instskip(NEXT) | instid1(VALU_DEP_1)
	v_and_b32_e32 v63, 0x7f, v60
	v_cmpx_ne_u32_e32 0x7f, v63
	s_cbranch_execz .LBB290_801
; %bb.798:                              ;   in Loop: Header=BB290_16 Depth=1
	v_and_b32_e32 v61, 7, v60
	v_lshrrev_b32_e32 v62, 3, v63
	s_mov_b32 s23, exec_lo
	v_cmpx_gt_u32_e32 8, v63
; %bb.799:                              ;   in Loop: Header=BB290_16 Depth=1
	s_delay_alu instid0(VALU_DEP_3) | instskip(NEXT) | instid1(VALU_DEP_1)
	v_clz_i32_u32_e32 v61, v61
	v_min_u32_e32 v63, 32, v61
	s_delay_alu instid0(VALU_DEP_1) | instskip(NEXT) | instid1(VALU_DEP_1)
	v_subrev_nc_u32_e32 v61, 28, v63
	v_lshlrev_b64_e32 v[61:62], v61, v[7:8]
	v_sub_nc_u32_e32 v62, 29, v63
	s_delay_alu instid0(VALU_DEP_2)
	v_and_b32_e32 v61, 7, v61
; %bb.800:                              ;   in Loop: Header=BB290_16 Depth=1
	s_wait_alu 0xfffe
	s_or_b32 exec_lo, exec_lo, s23
	v_lshlrev_b32_e32 v7, 8, v60
	v_lshl_add_u32 v60, v62, 10, 0x2000
	s_delay_alu instid0(VALU_DEP_1) | instskip(SKIP_1) | instid1(VALU_DEP_1)
	v_and_or_b32 v7, 0x8000, v7, v60
	v_lshlrev_b32_e32 v60, 23, v61
	v_lshl_or_b32 v77, v7, 16, v60
.LBB290_801:                            ;   in Loop: Header=BB290_16 Depth=1
	s_wait_alu 0xfffe
	s_or_b32 exec_lo, exec_lo, s22
.LBB290_802:                            ;   in Loop: Header=BB290_16 Depth=1
	s_wait_alu 0xfffe
	s_or_b32 exec_lo, exec_lo, s21
.LBB290_803:                            ;   in Loop: Header=BB290_16 Depth=1
	s_wait_alu 0xfffe
	s_or_b32 exec_lo, exec_lo, s20
	v_lshrrev_b32_e32 v7, 16, v31
	s_mov_b32 s20, exec_lo
	s_delay_alu instid0(VALU_DEP_1) | instskip(NEXT) | instid1(VALU_DEP_1)
	v_and_b32_e32 v60, 0xff, v7
	v_cmpx_ne_u16_e32 0, v60
	s_cbranch_execz .LBB290_811
; %bb.804:                              ;   in Loop: Header=BB290_16 Depth=1
	v_mov_b32_e32 v88, 0x8000
	s_mov_b32 s21, exec_lo
	v_cmpx_ne_u16_e32 0x80, v60
	s_cbranch_execz .LBB290_810
; %bb.805:                              ;   in Loop: Header=BB290_16 Depth=1
	v_bfe_u32 v62, v31, 16, 7
	v_mov_b32_e32 v88, 0x7c01
	s_mov_b32 s22, exec_lo
	s_delay_alu instid0(VALU_DEP_2)
	v_cmpx_ne_u32_e32 0x7f, v62
	s_cbranch_execz .LBB290_809
; %bb.806:                              ;   in Loop: Header=BB290_16 Depth=1
	v_and_b32_e32 v60, 7, v7
	v_lshrrev_b32_e32 v61, 3, v62
	s_mov_b32 s23, exec_lo
	v_cmpx_gt_u32_e32 8, v62
; %bb.807:                              ;   in Loop: Header=BB290_16 Depth=1
	s_delay_alu instid0(VALU_DEP_3) | instskip(NEXT) | instid1(VALU_DEP_1)
	v_clz_i32_u32_e32 v60, v60
	v_min_u32_e32 v62, 32, v60
	s_delay_alu instid0(VALU_DEP_1) | instskip(NEXT) | instid1(VALU_DEP_1)
	v_subrev_nc_u32_e32 v60, 28, v62
	v_lshlrev_b64_e32 v[60:61], v60, v[7:8]
	v_sub_nc_u32_e32 v61, 29, v62
	s_delay_alu instid0(VALU_DEP_2)
	v_and_b32_e32 v60, 7, v60
; %bb.808:                              ;   in Loop: Header=BB290_16 Depth=1
	s_wait_alu 0xfffe
	s_or_b32 exec_lo, exec_lo, s23
	v_lshlrev_b32_e32 v7, 8, v7
	v_lshl_add_u32 v61, v61, 10, 0x2000
	v_lshlrev_b32_e32 v60, 7, v60
	s_delay_alu instid0(VALU_DEP_3) | instskip(NEXT) | instid1(VALU_DEP_3)
	v_and_b32_e32 v7, 0x8000, v7
	v_and_b32_e32 v61, 0xfc00, v61
	s_delay_alu instid0(VALU_DEP_1)
	v_or3_b32 v88, v7, v61, v60
.LBB290_809:                            ;   in Loop: Header=BB290_16 Depth=1
	s_wait_alu 0xfffe
	s_or_b32 exec_lo, exec_lo, s22
.LBB290_810:                            ;   in Loop: Header=BB290_16 Depth=1
	s_wait_alu 0xfffe
	s_or_b32 exec_lo, exec_lo, s21
.LBB290_811:                            ;   in Loop: Header=BB290_16 Depth=1
	s_wait_alu 0xfffe
	s_or_b32 exec_lo, exec_lo, s20
	v_dual_mov_b32 v89, 0 :: v_dual_mov_b32 v90, 0
	s_mov_b32 s20, exec_lo
	v_cmpx_lt_u32_e32 0xffffff, v31
	s_cbranch_execz .LBB290_819
; %bb.812:                              ;   in Loop: Header=BB290_16 Depth=1
	v_lshrrev_b32_e32 v7, 24, v31
	v_bfrev_b32_e32 v90, 1
	s_mov_b32 s21, exec_lo
	s_delay_alu instid0(VALU_DEP_2)
	v_cmpx_ne_u32_e32 0x80, v7
	s_cbranch_execz .LBB290_818
; %bb.813:                              ;   in Loop: Header=BB290_16 Depth=1
	v_and_b32_e32 v62, 0x7f, v7
	v_mov_b32_e32 v90, 0x7c010000
	s_mov_b32 s22, exec_lo
	s_delay_alu instid0(VALU_DEP_2)
	v_cmpx_ne_u32_e32 0x7f, v62
	s_cbranch_execz .LBB290_817
; %bb.814:                              ;   in Loop: Header=BB290_16 Depth=1
	v_and_b32_e32 v60, 7, v7
	v_lshrrev_b32_e32 v61, 3, v62
	s_mov_b32 s23, exec_lo
	v_cmpx_gt_u32_e32 8, v62
; %bb.815:                              ;   in Loop: Header=BB290_16 Depth=1
	s_delay_alu instid0(VALU_DEP_3) | instskip(NEXT) | instid1(VALU_DEP_1)
	v_clz_i32_u32_e32 v60, v60
	v_min_u32_e32 v62, 32, v60
	s_delay_alu instid0(VALU_DEP_1) | instskip(NEXT) | instid1(VALU_DEP_1)
	v_subrev_nc_u32_e32 v60, 28, v62
	v_lshlrev_b64_e32 v[60:61], v60, v[7:8]
	v_sub_nc_u32_e32 v61, 29, v62
	s_delay_alu instid0(VALU_DEP_2)
	v_and_b32_e32 v60, 7, v60
; %bb.816:                              ;   in Loop: Header=BB290_16 Depth=1
	s_wait_alu 0xfffe
	s_or_b32 exec_lo, exec_lo, s23
	v_lshlrev_b32_e32 v7, 8, v7
	v_lshl_add_u32 v61, v61, 10, 0x2000
	v_lshlrev_b32_e32 v60, 23, v60
	s_delay_alu instid0(VALU_DEP_2) | instskip(NEXT) | instid1(VALU_DEP_1)
	v_and_or_b32 v7, 0x8000, v7, v61
	v_lshl_or_b32 v90, v7, 16, v60
.LBB290_817:                            ;   in Loop: Header=BB290_16 Depth=1
	s_wait_alu 0xfffe
	s_or_b32 exec_lo, exec_lo, s22
.LBB290_818:                            ;   in Loop: Header=BB290_16 Depth=1
	s_wait_alu 0xfffe
	s_or_b32 exec_lo, exec_lo, s21
.LBB290_819:                            ;   in Loop: Header=BB290_16 Depth=1
	s_wait_alu 0xfffe
	s_or_b32 exec_lo, exec_lo, s20
	v_dual_mov_b32 v7, v32 :: v_dual_and_b32 v60, 0xff, v32
	s_mov_b32 s20, exec_lo
	s_delay_alu instid0(VALU_DEP_1)
	v_cmpx_ne_u16_e32 0, v60
	s_cbranch_execz .LBB290_827
; %bb.820:                              ;   in Loop: Header=BB290_16 Depth=1
	v_mov_b32_e32 v89, 0x8000
	s_mov_b32 s21, exec_lo
	v_cmpx_ne_u16_e32 0x80, v60
	s_cbranch_execz .LBB290_826
; %bb.821:                              ;   in Loop: Header=BB290_16 Depth=1
	v_and_b32_e32 v62, 0x7f, v32
	v_mov_b32_e32 v89, 0x7c01
	s_mov_b32 s22, exec_lo
	s_delay_alu instid0(VALU_DEP_2)
	v_cmpx_ne_u32_e32 0x7f, v62
	s_cbranch_execz .LBB290_825
; %bb.822:                              ;   in Loop: Header=BB290_16 Depth=1
	v_and_b32_e32 v60, 7, v32
	v_lshrrev_b32_e32 v61, 3, v62
	s_mov_b32 s23, exec_lo
	v_cmpx_gt_u32_e32 8, v62
; %bb.823:                              ;   in Loop: Header=BB290_16 Depth=1
	s_delay_alu instid0(VALU_DEP_3) | instskip(NEXT) | instid1(VALU_DEP_1)
	v_clz_i32_u32_e32 v60, v60
	v_min_u32_e32 v62, 32, v60
	s_delay_alu instid0(VALU_DEP_1) | instskip(NEXT) | instid1(VALU_DEP_1)
	v_subrev_nc_u32_e32 v60, 28, v62
	v_lshlrev_b64_e32 v[60:61], v60, v[7:8]
	v_sub_nc_u32_e32 v61, 29, v62
	s_delay_alu instid0(VALU_DEP_2)
	v_and_b32_e32 v60, 7, v60
; %bb.824:                              ;   in Loop: Header=BB290_16 Depth=1
	s_wait_alu 0xfffe
	s_or_b32 exec_lo, exec_lo, s23
	v_lshlrev_b32_e32 v62, 8, v32
	v_lshl_add_u32 v61, v61, 10, 0x2000
	v_lshlrev_b32_e32 v60, 7, v60
	s_delay_alu instid0(VALU_DEP_3) | instskip(NEXT) | instid1(VALU_DEP_3)
	v_and_b32_e32 v62, 0x8000, v62
	v_and_b32_e32 v61, 0xfc00, v61
	s_delay_alu instid0(VALU_DEP_1)
	v_or3_b32 v89, v62, v61, v60
.LBB290_825:                            ;   in Loop: Header=BB290_16 Depth=1
	s_wait_alu 0xfffe
	s_or_b32 exec_lo, exec_lo, s22
.LBB290_826:                            ;   in Loop: Header=BB290_16 Depth=1
	s_wait_alu 0xfffe
	s_or_b32 exec_lo, exec_lo, s21
.LBB290_827:                            ;   in Loop: Header=BB290_16 Depth=1
	s_wait_alu 0xfffe
	s_or_b32 exec_lo, exec_lo, s20
	v_lshrrev_b16 v7, 8, v7
	v_dual_mov_b32 v111, 0 :: v_dual_mov_b32 v120, 0
	s_mov_b32 s20, exec_lo
	s_delay_alu instid0(VALU_DEP_2)
	v_cmpx_ne_u16_e32 0, v7
	s_cbranch_execz .LBB290_835
; %bb.828:                              ;   in Loop: Header=BB290_16 Depth=1
	v_bfrev_b32_e32 v120, 1
	s_mov_b32 s21, exec_lo
	v_cmpx_ne_u16_e32 0x80, v7
	s_cbranch_execz .LBB290_834
; %bb.829:                              ;   in Loop: Header=BB290_16 Depth=1
	v_and_b32_e32 v60, 0xffff, v7
	v_mov_b32_e32 v120, 0x7c010000
	s_mov_b32 s22, exec_lo
	s_delay_alu instid0(VALU_DEP_2) | instskip(NEXT) | instid1(VALU_DEP_1)
	v_and_b32_e32 v63, 0x7f, v60
	v_cmpx_ne_u32_e32 0x7f, v63
	s_cbranch_execz .LBB290_833
; %bb.830:                              ;   in Loop: Header=BB290_16 Depth=1
	v_and_b32_e32 v61, 7, v60
	v_lshrrev_b32_e32 v62, 3, v63
	s_mov_b32 s23, exec_lo
	v_cmpx_gt_u32_e32 8, v63
; %bb.831:                              ;   in Loop: Header=BB290_16 Depth=1
	s_delay_alu instid0(VALU_DEP_3) | instskip(NEXT) | instid1(VALU_DEP_1)
	v_clz_i32_u32_e32 v61, v61
	v_min_u32_e32 v63, 32, v61
	s_delay_alu instid0(VALU_DEP_1) | instskip(NEXT) | instid1(VALU_DEP_1)
	v_subrev_nc_u32_e32 v61, 28, v63
	v_lshlrev_b64_e32 v[61:62], v61, v[7:8]
	v_sub_nc_u32_e32 v62, 29, v63
	s_delay_alu instid0(VALU_DEP_2)
	v_and_b32_e32 v61, 7, v61
; %bb.832:                              ;   in Loop: Header=BB290_16 Depth=1
	s_wait_alu 0xfffe
	s_or_b32 exec_lo, exec_lo, s23
	v_lshlrev_b32_e32 v7, 8, v60
	v_lshl_add_u32 v60, v62, 10, 0x2000
	s_delay_alu instid0(VALU_DEP_1) | instskip(SKIP_1) | instid1(VALU_DEP_1)
	v_and_or_b32 v7, 0x8000, v7, v60
	v_lshlrev_b32_e32 v60, 23, v61
	v_lshl_or_b32 v120, v7, 16, v60
.LBB290_833:                            ;   in Loop: Header=BB290_16 Depth=1
	s_wait_alu 0xfffe
	s_or_b32 exec_lo, exec_lo, s22
.LBB290_834:                            ;   in Loop: Header=BB290_16 Depth=1
	s_wait_alu 0xfffe
	s_or_b32 exec_lo, exec_lo, s21
.LBB290_835:                            ;   in Loop: Header=BB290_16 Depth=1
	s_wait_alu 0xfffe
	s_or_b32 exec_lo, exec_lo, s20
	v_lshrrev_b32_e32 v7, 16, v32
	s_mov_b32 s20, exec_lo
	s_delay_alu instid0(VALU_DEP_1) | instskip(NEXT) | instid1(VALU_DEP_1)
	v_and_b32_e32 v60, 0xff, v7
	v_cmpx_ne_u16_e32 0, v60
	s_cbranch_execz .LBB290_843
; %bb.836:                              ;   in Loop: Header=BB290_16 Depth=1
	v_mov_b32_e32 v111, 0x8000
	s_mov_b32 s21, exec_lo
	v_cmpx_ne_u16_e32 0x80, v60
	s_cbranch_execz .LBB290_842
; %bb.837:                              ;   in Loop: Header=BB290_16 Depth=1
	v_bfe_u32 v62, v32, 16, 7
	v_mov_b32_e32 v111, 0x7c01
	s_mov_b32 s22, exec_lo
	s_delay_alu instid0(VALU_DEP_2)
	v_cmpx_ne_u32_e32 0x7f, v62
	s_cbranch_execz .LBB290_841
; %bb.838:                              ;   in Loop: Header=BB290_16 Depth=1
	v_and_b32_e32 v60, 7, v7
	v_lshrrev_b32_e32 v61, 3, v62
	s_mov_b32 s23, exec_lo
	v_cmpx_gt_u32_e32 8, v62
; %bb.839:                              ;   in Loop: Header=BB290_16 Depth=1
	s_delay_alu instid0(VALU_DEP_3) | instskip(NEXT) | instid1(VALU_DEP_1)
	v_clz_i32_u32_e32 v60, v60
	v_min_u32_e32 v62, 32, v60
	s_delay_alu instid0(VALU_DEP_1) | instskip(NEXT) | instid1(VALU_DEP_1)
	v_subrev_nc_u32_e32 v60, 28, v62
	v_lshlrev_b64_e32 v[60:61], v60, v[7:8]
	v_sub_nc_u32_e32 v61, 29, v62
	s_delay_alu instid0(VALU_DEP_2)
	v_and_b32_e32 v60, 7, v60
; %bb.840:                              ;   in Loop: Header=BB290_16 Depth=1
	s_wait_alu 0xfffe
	s_or_b32 exec_lo, exec_lo, s23
	v_lshlrev_b32_e32 v7, 8, v7
	v_lshl_add_u32 v61, v61, 10, 0x2000
	v_lshlrev_b32_e32 v60, 7, v60
	s_delay_alu instid0(VALU_DEP_3) | instskip(NEXT) | instid1(VALU_DEP_3)
	v_and_b32_e32 v7, 0x8000, v7
	v_and_b32_e32 v61, 0xfc00, v61
	s_delay_alu instid0(VALU_DEP_1)
	v_or3_b32 v111, v7, v61, v60
.LBB290_841:                            ;   in Loop: Header=BB290_16 Depth=1
	s_wait_alu 0xfffe
	s_or_b32 exec_lo, exec_lo, s22
.LBB290_842:                            ;   in Loop: Header=BB290_16 Depth=1
	s_wait_alu 0xfffe
	s_or_b32 exec_lo, exec_lo, s21
.LBB290_843:                            ;   in Loop: Header=BB290_16 Depth=1
	s_wait_alu 0xfffe
	s_or_b32 exec_lo, exec_lo, s20
	v_dual_mov_b32 v60, 0 :: v_dual_mov_b32 v121, 0
	s_mov_b32 s20, exec_lo
	v_cmpx_lt_u64_e64 s[10:11], v[31:32]
	s_cbranch_execz .LBB290_851
; %bb.844:                              ;   in Loop: Header=BB290_16 Depth=1
	v_lshrrev_b32_e32 v7, 24, v32
	v_bfrev_b32_e32 v121, 1
	s_mov_b32 s21, exec_lo
	s_delay_alu instid0(VALU_DEP_2)
	v_cmpx_ne_u32_e32 0x80, v7
	s_cbranch_execz .LBB290_850
; %bb.845:                              ;   in Loop: Header=BB290_16 Depth=1
	v_and_b32_e32 v61, 0x7f, v7
	v_mov_b32_e32 v121, 0x7c010000
	s_mov_b32 s22, exec_lo
	s_delay_alu instid0(VALU_DEP_2)
	v_cmpx_ne_u32_e32 0x7f, v61
	s_cbranch_execz .LBB290_849
; %bb.846:                              ;   in Loop: Header=BB290_16 Depth=1
	v_and_b32_e32 v31, 7, v7
	v_lshrrev_b32_e32 v32, 3, v61
	s_mov_b32 s23, exec_lo
	v_cmpx_gt_u32_e32 8, v61
; %bb.847:                              ;   in Loop: Header=BB290_16 Depth=1
	s_delay_alu instid0(VALU_DEP_3) | instskip(NEXT) | instid1(VALU_DEP_1)
	v_clz_i32_u32_e32 v31, v31
	v_min_u32_e32 v61, 32, v31
	s_delay_alu instid0(VALU_DEP_1) | instskip(NEXT) | instid1(VALU_DEP_1)
	v_subrev_nc_u32_e32 v31, 28, v61
	v_lshlrev_b64_e32 v[31:32], v31, v[7:8]
	v_sub_nc_u32_e32 v32, 29, v61
	s_delay_alu instid0(VALU_DEP_2)
	v_and_b32_e32 v31, 7, v31
; %bb.848:                              ;   in Loop: Header=BB290_16 Depth=1
	s_wait_alu 0xfffe
	s_or_b32 exec_lo, exec_lo, s23
	v_lshlrev_b32_e32 v7, 8, v7
	v_lshl_add_u32 v32, v32, 10, 0x2000
	v_lshlrev_b32_e32 v31, 23, v31
	s_delay_alu instid0(VALU_DEP_2) | instskip(NEXT) | instid1(VALU_DEP_1)
	v_and_or_b32 v7, 0x8000, v7, v32
	v_lshl_or_b32 v121, v7, 16, v31
.LBB290_849:                            ;   in Loop: Header=BB290_16 Depth=1
	s_wait_alu 0xfffe
	s_or_b32 exec_lo, exec_lo, s22
.LBB290_850:                            ;   in Loop: Header=BB290_16 Depth=1
	s_wait_alu 0xfffe
	s_or_b32 exec_lo, exec_lo, s21
.LBB290_851:                            ;   in Loop: Header=BB290_16 Depth=1
	s_wait_alu 0xfffe
	s_or_b32 exec_lo, exec_lo, s20
	flat_load_b64 v[31:32], v[28:29] offset:3080
	s_mov_b32 s20, exec_lo
	s_wait_loadcnt_dscnt 0x0
	v_and_b32_e32 v7, 0xff, v31
	s_delay_alu instid0(VALU_DEP_1)
	v_cmpx_ne_u16_e32 0, v7
	s_cbranch_execz .LBB290_859
; %bb.852:                              ;   in Loop: Header=BB290_16 Depth=1
	v_mov_b32_e32 v60, 0x8000
	s_mov_b32 s21, exec_lo
	v_cmpx_ne_u16_e32 0x80, v7
	s_cbranch_execz .LBB290_858
; %bb.853:                              ;   in Loop: Header=BB290_16 Depth=1
	v_and_b32_e32 v61, 0x7f, v31
	v_mov_b32_e32 v60, 0x7c01
	s_mov_b32 s22, exec_lo
	s_delay_alu instid0(VALU_DEP_2)
	v_cmpx_ne_u32_e32 0x7f, v61
	s_cbranch_execz .LBB290_857
; %bb.854:                              ;   in Loop: Header=BB290_16 Depth=1
	v_and_b32_e32 v7, 7, v31
	v_lshrrev_b32_e32 v60, 3, v61
	s_mov_b32 s23, exec_lo
	v_cmpx_gt_u32_e32 8, v61
; %bb.855:                              ;   in Loop: Header=BB290_16 Depth=1
	s_delay_alu instid0(VALU_DEP_3) | instskip(NEXT) | instid1(VALU_DEP_1)
	v_clz_i32_u32_e32 v7, v7
	v_min_u32_e32 v7, 32, v7
	s_delay_alu instid0(VALU_DEP_1) | instskip(NEXT) | instid1(VALU_DEP_1)
	v_subrev_nc_u32_e32 v60, 28, v7
	v_lshlrev_b64_e32 v[61:62], v60, v[31:32]
	v_sub_nc_u32_e32 v60, 29, v7
	s_delay_alu instid0(VALU_DEP_2)
	v_and_b32_e32 v7, 7, v61
; %bb.856:                              ;   in Loop: Header=BB290_16 Depth=1
	s_wait_alu 0xfffe
	s_or_b32 exec_lo, exec_lo, s23
	v_lshlrev_b32_e32 v61, 8, v31
	v_lshl_add_u32 v60, v60, 10, 0x2000
	v_lshlrev_b32_e32 v7, 7, v7
	s_delay_alu instid0(VALU_DEP_3) | instskip(NEXT) | instid1(VALU_DEP_3)
	v_and_b32_e32 v61, 0x8000, v61
	v_and_b32_e32 v60, 0xfc00, v60
	s_delay_alu instid0(VALU_DEP_1)
	v_or3_b32 v60, v61, v60, v7
.LBB290_857:                            ;   in Loop: Header=BB290_16 Depth=1
	s_wait_alu 0xfffe
	s_or_b32 exec_lo, exec_lo, s22
.LBB290_858:                            ;   in Loop: Header=BB290_16 Depth=1
	s_wait_alu 0xfffe
	s_or_b32 exec_lo, exec_lo, s21
.LBB290_859:                            ;   in Loop: Header=BB290_16 Depth=1
	s_wait_alu 0xfffe
	s_or_b32 exec_lo, exec_lo, s20
	v_lshrrev_b16 v7, 8, v31
	v_dual_mov_b32 v62, 0 :: v_dual_mov_b32 v61, 0
	s_mov_b32 s20, exec_lo
	s_delay_alu instid0(VALU_DEP_2)
	v_cmpx_ne_u16_e32 0, v7
	s_cbranch_execz .LBB290_867
; %bb.860:                              ;   in Loop: Header=BB290_16 Depth=1
	v_bfrev_b32_e32 v61, 1
	s_mov_b32 s21, exec_lo
	v_cmpx_ne_u16_e32 0x80, v7
	s_cbranch_execz .LBB290_866
; %bb.861:                              ;   in Loop: Header=BB290_16 Depth=1
	v_and_b32_e32 v63, 0xffff, v7
	v_mov_b32_e32 v61, 0x7c010000
	s_mov_b32 s22, exec_lo
	s_delay_alu instid0(VALU_DEP_2) | instskip(NEXT) | instid1(VALU_DEP_1)
	v_and_b32_e32 v75, 0x7f, v63
	v_cmpx_ne_u32_e32 0x7f, v75
	s_cbranch_execz .LBB290_865
; %bb.862:                              ;   in Loop: Header=BB290_16 Depth=1
	v_and_b32_e32 v61, 7, v63
	v_lshrrev_b32_e32 v74, 3, v75
	s_mov_b32 s23, exec_lo
	v_cmpx_gt_u32_e32 8, v75
; %bb.863:                              ;   in Loop: Header=BB290_16 Depth=1
	s_delay_alu instid0(VALU_DEP_3) | instskip(NEXT) | instid1(VALU_DEP_1)
	v_clz_i32_u32_e32 v61, v61
	v_min_u32_e32 v61, 32, v61
	s_delay_alu instid0(VALU_DEP_1) | instskip(NEXT) | instid1(VALU_DEP_1)
	v_subrev_nc_u32_e32 v74, 28, v61
	v_lshlrev_b64_e32 v[91:92], v74, v[7:8]
	v_sub_nc_u32_e32 v74, 29, v61
	s_delay_alu instid0(VALU_DEP_2)
	v_and_b32_e32 v61, 7, v91
; %bb.864:                              ;   in Loop: Header=BB290_16 Depth=1
	s_wait_alu 0xfffe
	s_or_b32 exec_lo, exec_lo, s23
	v_lshlrev_b32_e32 v7, 8, v63
	v_lshl_add_u32 v63, v74, 10, 0x2000
	v_lshlrev_b32_e32 v61, 23, v61
	s_delay_alu instid0(VALU_DEP_2) | instskip(NEXT) | instid1(VALU_DEP_1)
	v_and_or_b32 v7, 0x8000, v7, v63
	v_lshl_or_b32 v61, v7, 16, v61
.LBB290_865:                            ;   in Loop: Header=BB290_16 Depth=1
	s_wait_alu 0xfffe
	s_or_b32 exec_lo, exec_lo, s22
.LBB290_866:                            ;   in Loop: Header=BB290_16 Depth=1
	s_wait_alu 0xfffe
	s_or_b32 exec_lo, exec_lo, s21
.LBB290_867:                            ;   in Loop: Header=BB290_16 Depth=1
	s_wait_alu 0xfffe
	s_or_b32 exec_lo, exec_lo, s20
	v_lshrrev_b32_e32 v7, 16, v31
	s_mov_b32 s20, exec_lo
	s_delay_alu instid0(VALU_DEP_1) | instskip(NEXT) | instid1(VALU_DEP_1)
	v_and_b32_e32 v63, 0xff, v7
	v_cmpx_ne_u16_e32 0, v63
	s_cbranch_execz .LBB290_875
; %bb.868:                              ;   in Loop: Header=BB290_16 Depth=1
	v_mov_b32_e32 v62, 0x8000
	s_mov_b32 s21, exec_lo
	v_cmpx_ne_u16_e32 0x80, v63
	s_cbranch_execz .LBB290_874
; %bb.869:                              ;   in Loop: Header=BB290_16 Depth=1
	v_bfe_u32 v74, v31, 16, 7
	v_mov_b32_e32 v62, 0x7c01
	s_mov_b32 s22, exec_lo
	s_delay_alu instid0(VALU_DEP_2)
	v_cmpx_ne_u32_e32 0x7f, v74
	s_cbranch_execz .LBB290_873
; %bb.870:                              ;   in Loop: Header=BB290_16 Depth=1
	v_and_b32_e32 v62, 7, v7
	v_lshrrev_b32_e32 v63, 3, v74
	s_mov_b32 s23, exec_lo
	v_cmpx_gt_u32_e32 8, v74
; %bb.871:                              ;   in Loop: Header=BB290_16 Depth=1
	s_delay_alu instid0(VALU_DEP_3) | instskip(NEXT) | instid1(VALU_DEP_1)
	v_clz_i32_u32_e32 v62, v62
	v_min_u32_e32 v74, 32, v62
	s_delay_alu instid0(VALU_DEP_1) | instskip(NEXT) | instid1(VALU_DEP_1)
	v_subrev_nc_u32_e32 v62, 28, v74
	v_lshlrev_b64_e32 v[62:63], v62, v[7:8]
	v_sub_nc_u32_e32 v63, 29, v74
	s_delay_alu instid0(VALU_DEP_2)
	v_and_b32_e32 v62, 7, v62
; %bb.872:                              ;   in Loop: Header=BB290_16 Depth=1
	s_wait_alu 0xfffe
	s_or_b32 exec_lo, exec_lo, s23
	v_lshlrev_b32_e32 v7, 8, v7
	v_lshl_add_u32 v63, v63, 10, 0x2000
	v_lshlrev_b32_e32 v62, 7, v62
	s_delay_alu instid0(VALU_DEP_3) | instskip(NEXT) | instid1(VALU_DEP_3)
	v_and_b32_e32 v7, 0x8000, v7
	v_and_b32_e32 v63, 0xfc00, v63
	s_delay_alu instid0(VALU_DEP_1)
	v_or3_b32 v62, v7, v63, v62
.LBB290_873:                            ;   in Loop: Header=BB290_16 Depth=1
	s_wait_alu 0xfffe
	s_or_b32 exec_lo, exec_lo, s22
.LBB290_874:                            ;   in Loop: Header=BB290_16 Depth=1
	s_wait_alu 0xfffe
	s_or_b32 exec_lo, exec_lo, s21
.LBB290_875:                            ;   in Loop: Header=BB290_16 Depth=1
	s_wait_alu 0xfffe
	s_or_b32 exec_lo, exec_lo, s20
	v_mov_b32_e32 v91, 0
	v_mov_b32_e32 v63, 0
	s_mov_b32 s20, exec_lo
	v_cmpx_lt_u32_e32 0xffffff, v31
	s_cbranch_execz .LBB290_883
; %bb.876:                              ;   in Loop: Header=BB290_16 Depth=1
	v_lshrrev_b32_e32 v7, 24, v31
	v_bfrev_b32_e32 v63, 1
	s_mov_b32 s21, exec_lo
	s_delay_alu instid0(VALU_DEP_2)
	v_cmpx_ne_u32_e32 0x80, v7
	s_cbranch_execz .LBB290_882
; %bb.877:                              ;   in Loop: Header=BB290_16 Depth=1
	v_and_b32_e32 v75, 0x7f, v7
	v_mov_b32_e32 v63, 0x7c010000
	s_mov_b32 s22, exec_lo
	s_delay_alu instid0(VALU_DEP_2)
	v_cmpx_ne_u32_e32 0x7f, v75
	s_cbranch_execz .LBB290_881
; %bb.878:                              ;   in Loop: Header=BB290_16 Depth=1
	v_and_b32_e32 v63, 7, v7
	v_lshrrev_b32_e32 v74, 3, v75
	s_mov_b32 s23, exec_lo
	v_cmpx_gt_u32_e32 8, v75
; %bb.879:                              ;   in Loop: Header=BB290_16 Depth=1
	s_delay_alu instid0(VALU_DEP_3) | instskip(NEXT) | instid1(VALU_DEP_1)
	v_clz_i32_u32_e32 v63, v63
	v_min_u32_e32 v63, 32, v63
	s_delay_alu instid0(VALU_DEP_1) | instskip(NEXT) | instid1(VALU_DEP_1)
	v_subrev_nc_u32_e32 v74, 28, v63
	v_lshlrev_b64_e32 v[154:155], v74, v[7:8]
	v_sub_nc_u32_e32 v74, 29, v63
	s_delay_alu instid0(VALU_DEP_2)
	v_and_b32_e32 v63, 7, v154
; %bb.880:                              ;   in Loop: Header=BB290_16 Depth=1
	s_wait_alu 0xfffe
	s_or_b32 exec_lo, exec_lo, s23
	v_lshlrev_b32_e32 v7, 8, v7
	v_lshl_add_u32 v74, v74, 10, 0x2000
	v_lshlrev_b32_e32 v63, 23, v63
	s_delay_alu instid0(VALU_DEP_2) | instskip(NEXT) | instid1(VALU_DEP_1)
	v_and_or_b32 v7, 0x8000, v7, v74
	v_lshl_or_b32 v63, v7, 16, v63
.LBB290_881:                            ;   in Loop: Header=BB290_16 Depth=1
	s_wait_alu 0xfffe
	s_or_b32 exec_lo, exec_lo, s22
.LBB290_882:                            ;   in Loop: Header=BB290_16 Depth=1
	s_wait_alu 0xfffe
	s_or_b32 exec_lo, exec_lo, s21
.LBB290_883:                            ;   in Loop: Header=BB290_16 Depth=1
	s_wait_alu 0xfffe
	s_or_b32 exec_lo, exec_lo, s20
	v_dual_mov_b32 v7, v32 :: v_dual_and_b32 v74, 0xff, v32
	s_mov_b32 s20, exec_lo
	s_delay_alu instid0(VALU_DEP_1)
	v_cmpx_ne_u16_e32 0, v74
	s_cbranch_execz .LBB290_891
; %bb.884:                              ;   in Loop: Header=BB290_16 Depth=1
	v_mov_b32_e32 v91, 0x8000
	s_mov_b32 s21, exec_lo
	v_cmpx_ne_u16_e32 0x80, v74
	s_cbranch_execz .LBB290_890
; %bb.885:                              ;   in Loop: Header=BB290_16 Depth=1
	v_and_b32_e32 v92, 0x7f, v32
	v_mov_b32_e32 v91, 0x7c01
	s_mov_b32 s22, exec_lo
	s_delay_alu instid0(VALU_DEP_2)
	v_cmpx_ne_u32_e32 0x7f, v92
	s_cbranch_execz .LBB290_889
; %bb.886:                              ;   in Loop: Header=BB290_16 Depth=1
	v_and_b32_e32 v74, 7, v32
	v_lshrrev_b32_e32 v75, 3, v92
	s_mov_b32 s23, exec_lo
	v_cmpx_gt_u32_e32 8, v92
; %bb.887:                              ;   in Loop: Header=BB290_16 Depth=1
	s_delay_alu instid0(VALU_DEP_3) | instskip(NEXT) | instid1(VALU_DEP_1)
	v_clz_i32_u32_e32 v74, v74
	v_min_u32_e32 v91, 32, v74
	s_delay_alu instid0(VALU_DEP_1) | instskip(NEXT) | instid1(VALU_DEP_1)
	v_subrev_nc_u32_e32 v74, 28, v91
	v_lshlrev_b64_e32 v[74:75], v74, v[7:8]
	v_sub_nc_u32_e32 v75, 29, v91
	s_delay_alu instid0(VALU_DEP_2)
	v_and_b32_e32 v74, 7, v74
; %bb.888:                              ;   in Loop: Header=BB290_16 Depth=1
	s_wait_alu 0xfffe
	s_or_b32 exec_lo, exec_lo, s23
	v_lshlrev_b32_e32 v91, 8, v32
	v_lshl_add_u32 v75, v75, 10, 0x2000
	v_lshlrev_b32_e32 v74, 7, v74
	s_delay_alu instid0(VALU_DEP_3) | instskip(NEXT) | instid1(VALU_DEP_3)
	v_and_b32_e32 v91, 0x8000, v91
	v_and_b32_e32 v75, 0xfc00, v75
	s_delay_alu instid0(VALU_DEP_1)
	v_or3_b32 v91, v91, v75, v74
.LBB290_889:                            ;   in Loop: Header=BB290_16 Depth=1
	s_wait_alu 0xfffe
	s_or_b32 exec_lo, exec_lo, s22
.LBB290_890:                            ;   in Loop: Header=BB290_16 Depth=1
	s_wait_alu 0xfffe
	s_or_b32 exec_lo, exec_lo, s21
.LBB290_891:                            ;   in Loop: Header=BB290_16 Depth=1
	s_wait_alu 0xfffe
	s_or_b32 exec_lo, exec_lo, s20
	v_lshrrev_b16 v7, 8, v7
	v_mov_b32_e32 v92, 0
	v_mov_b32_e32 v94, 0
	s_mov_b32 s20, exec_lo
	s_delay_alu instid0(VALU_DEP_3)
	v_cmpx_ne_u16_e32 0, v7
	s_cbranch_execz .LBB290_899
; %bb.892:                              ;   in Loop: Header=BB290_16 Depth=1
	v_bfrev_b32_e32 v94, 1
	s_mov_b32 s21, exec_lo
	v_cmpx_ne_u16_e32 0x80, v7
	s_cbranch_execz .LBB290_898
; %bb.893:                              ;   in Loop: Header=BB290_16 Depth=1
	v_and_b32_e32 v74, 0xffff, v7
	v_mov_b32_e32 v94, 0x7c010000
	s_mov_b32 s22, exec_lo
	s_delay_alu instid0(VALU_DEP_2) | instskip(NEXT) | instid1(VALU_DEP_1)
	v_and_b32_e32 v154, 0x7f, v74
	v_cmpx_ne_u32_e32 0x7f, v154
	s_cbranch_execz .LBB290_897
; %bb.894:                              ;   in Loop: Header=BB290_16 Depth=1
	v_and_b32_e32 v75, 7, v74
	v_lshrrev_b32_e32 v94, 3, v154
	s_mov_b32 s23, exec_lo
	v_cmpx_gt_u32_e32 8, v154
; %bb.895:                              ;   in Loop: Header=BB290_16 Depth=1
	s_delay_alu instid0(VALU_DEP_3) | instskip(NEXT) | instid1(VALU_DEP_1)
	v_clz_i32_u32_e32 v75, v75
	v_min_u32_e32 v75, 32, v75
	s_delay_alu instid0(VALU_DEP_1) | instskip(NEXT) | instid1(VALU_DEP_1)
	v_subrev_nc_u32_e32 v94, 28, v75
	v_lshlrev_b64_e32 v[154:155], v94, v[7:8]
	v_sub_nc_u32_e32 v94, 29, v75
	s_delay_alu instid0(VALU_DEP_2)
	v_and_b32_e32 v75, 7, v154
; %bb.896:                              ;   in Loop: Header=BB290_16 Depth=1
	s_wait_alu 0xfffe
	s_or_b32 exec_lo, exec_lo, s23
	v_lshlrev_b32_e32 v7, 8, v74
	v_lshl_add_u32 v74, v94, 10, 0x2000
	s_delay_alu instid0(VALU_DEP_1) | instskip(SKIP_1) | instid1(VALU_DEP_1)
	v_and_or_b32 v7, 0x8000, v7, v74
	v_lshlrev_b32_e32 v74, 23, v75
	v_lshl_or_b32 v94, v7, 16, v74
.LBB290_897:                            ;   in Loop: Header=BB290_16 Depth=1
	s_wait_alu 0xfffe
	s_or_b32 exec_lo, exec_lo, s22
.LBB290_898:                            ;   in Loop: Header=BB290_16 Depth=1
	s_wait_alu 0xfffe
	s_or_b32 exec_lo, exec_lo, s21
.LBB290_899:                            ;   in Loop: Header=BB290_16 Depth=1
	s_wait_alu 0xfffe
	s_or_b32 exec_lo, exec_lo, s20
	v_lshrrev_b32_e32 v7, 16, v32
	s_mov_b32 s20, exec_lo
	s_delay_alu instid0(VALU_DEP_1) | instskip(NEXT) | instid1(VALU_DEP_1)
	v_and_b32_e32 v74, 0xff, v7
	v_cmpx_ne_u16_e32 0, v74
	s_cbranch_execz .LBB290_907
; %bb.900:                              ;   in Loop: Header=BB290_16 Depth=1
	v_mov_b32_e32 v92, 0x8000
	s_mov_b32 s21, exec_lo
	v_cmpx_ne_u16_e32 0x80, v74
	s_cbranch_execz .LBB290_906
; %bb.901:                              ;   in Loop: Header=BB290_16 Depth=1
	v_bfe_u32 v154, v32, 16, 7
	v_mov_b32_e32 v92, 0x7c01
	s_mov_b32 s22, exec_lo
	s_delay_alu instid0(VALU_DEP_2)
	v_cmpx_ne_u32_e32 0x7f, v154
	s_cbranch_execz .LBB290_905
; %bb.902:                              ;   in Loop: Header=BB290_16 Depth=1
	v_and_b32_e32 v74, 7, v7
	v_lshrrev_b32_e32 v75, 3, v154
	s_mov_b32 s23, exec_lo
	v_cmpx_gt_u32_e32 8, v154
; %bb.903:                              ;   in Loop: Header=BB290_16 Depth=1
	s_delay_alu instid0(VALU_DEP_3) | instskip(NEXT) | instid1(VALU_DEP_1)
	v_clz_i32_u32_e32 v74, v74
	v_min_u32_e32 v92, 32, v74
	s_delay_alu instid0(VALU_DEP_1) | instskip(NEXT) | instid1(VALU_DEP_1)
	v_subrev_nc_u32_e32 v74, 28, v92
	v_lshlrev_b64_e32 v[74:75], v74, v[7:8]
	v_sub_nc_u32_e32 v75, 29, v92
	s_delay_alu instid0(VALU_DEP_2)
	v_and_b32_e32 v74, 7, v74
; %bb.904:                              ;   in Loop: Header=BB290_16 Depth=1
	s_wait_alu 0xfffe
	s_or_b32 exec_lo, exec_lo, s23
	v_lshlrev_b32_e32 v7, 8, v7
	v_lshl_add_u32 v75, v75, 10, 0x2000
	v_lshlrev_b32_e32 v74, 7, v74
	s_delay_alu instid0(VALU_DEP_3) | instskip(NEXT) | instid1(VALU_DEP_3)
	v_and_b32_e32 v7, 0x8000, v7
	v_and_b32_e32 v75, 0xfc00, v75
	s_delay_alu instid0(VALU_DEP_1)
	v_or3_b32 v92, v7, v75, v74
.LBB290_905:                            ;   in Loop: Header=BB290_16 Depth=1
	s_wait_alu 0xfffe
	s_or_b32 exec_lo, exec_lo, s22
.LBB290_906:                            ;   in Loop: Header=BB290_16 Depth=1
	s_wait_alu 0xfffe
	s_or_b32 exec_lo, exec_lo, s21
.LBB290_907:                            ;   in Loop: Header=BB290_16 Depth=1
	s_wait_alu 0xfffe
	s_or_b32 exec_lo, exec_lo, s20
	v_mov_b32_e32 v154, 0
	v_mov_b32_e32 v156, 0
	s_mov_b32 s20, exec_lo
	v_cmpx_lt_u64_e64 s[10:11], v[31:32]
	s_cbranch_execz .LBB290_915
; %bb.908:                              ;   in Loop: Header=BB290_16 Depth=1
	v_lshrrev_b32_e32 v7, 24, v32
	v_bfrev_b32_e32 v156, 1
	s_mov_b32 s21, exec_lo
	s_delay_alu instid0(VALU_DEP_2)
	v_cmpx_ne_u32_e32 0x80, v7
	s_cbranch_execz .LBB290_914
; %bb.909:                              ;   in Loop: Header=BB290_16 Depth=1
	v_and_b32_e32 v74, 0x7f, v7
	v_mov_b32_e32 v156, 0x7c010000
	s_mov_b32 s22, exec_lo
	s_delay_alu instid0(VALU_DEP_2)
	v_cmpx_ne_u32_e32 0x7f, v74
	s_cbranch_execz .LBB290_913
; %bb.910:                              ;   in Loop: Header=BB290_16 Depth=1
	v_and_b32_e32 v31, 7, v7
	v_lshrrev_b32_e32 v32, 3, v74
	s_mov_b32 s23, exec_lo
	v_cmpx_gt_u32_e32 8, v74
; %bb.911:                              ;   in Loop: Header=BB290_16 Depth=1
	s_delay_alu instid0(VALU_DEP_3) | instskip(NEXT) | instid1(VALU_DEP_1)
	v_clz_i32_u32_e32 v31, v31
	v_min_u32_e32 v74, 32, v31
	s_delay_alu instid0(VALU_DEP_1) | instskip(NEXT) | instid1(VALU_DEP_1)
	v_subrev_nc_u32_e32 v31, 28, v74
	v_lshlrev_b64_e32 v[31:32], v31, v[7:8]
	v_sub_nc_u32_e32 v32, 29, v74
	s_delay_alu instid0(VALU_DEP_2)
	v_and_b32_e32 v31, 7, v31
; %bb.912:                              ;   in Loop: Header=BB290_16 Depth=1
	s_wait_alu 0xfffe
	s_or_b32 exec_lo, exec_lo, s23
	v_lshlrev_b32_e32 v7, 8, v7
	v_lshl_add_u32 v32, v32, 10, 0x2000
	v_lshlrev_b32_e32 v31, 23, v31
	s_delay_alu instid0(VALU_DEP_2) | instskip(NEXT) | instid1(VALU_DEP_1)
	v_and_or_b32 v7, 0x8000, v7, v32
	v_lshl_or_b32 v156, v7, 16, v31
.LBB290_913:                            ;   in Loop: Header=BB290_16 Depth=1
	s_wait_alu 0xfffe
	s_or_b32 exec_lo, exec_lo, s22
.LBB290_914:                            ;   in Loop: Header=BB290_16 Depth=1
	s_wait_alu 0xfffe
	s_or_b32 exec_lo, exec_lo, s21
.LBB290_915:                            ;   in Loop: Header=BB290_16 Depth=1
	s_wait_alu 0xfffe
	s_or_b32 exec_lo, exec_lo, s20
	flat_load_b64 v[28:29], v[28:29] offset:3584
	s_mov_b32 s20, exec_lo
	s_wait_loadcnt_dscnt 0x0
	v_and_b32_e32 v7, 0xff, v28
	s_delay_alu instid0(VALU_DEP_1)
	v_cmpx_ne_u16_e32 0, v7
	s_cbranch_execz .LBB290_923
; %bb.916:                              ;   in Loop: Header=BB290_16 Depth=1
	v_mov_b32_e32 v154, 0x8000
	s_mov_b32 s21, exec_lo
	v_cmpx_ne_u16_e32 0x80, v7
	s_cbranch_execz .LBB290_922
; %bb.917:                              ;   in Loop: Header=BB290_16 Depth=1
	v_and_b32_e32 v32, 0x7f, v28
	v_mov_b32_e32 v154, 0x7c01
	s_mov_b32 s22, exec_lo
	s_delay_alu instid0(VALU_DEP_2)
	v_cmpx_ne_u32_e32 0x7f, v32
	s_cbranch_execz .LBB290_921
; %bb.918:                              ;   in Loop: Header=BB290_16 Depth=1
	v_and_b32_e32 v7, 7, v28
	v_lshrrev_b32_e32 v31, 3, v32
	s_mov_b32 s23, exec_lo
	v_cmpx_gt_u32_e32 8, v32
; %bb.919:                              ;   in Loop: Header=BB290_16 Depth=1
	s_delay_alu instid0(VALU_DEP_3) | instskip(NEXT) | instid1(VALU_DEP_1)
	v_clz_i32_u32_e32 v7, v7
	v_min_u32_e32 v7, 32, v7
	s_delay_alu instid0(VALU_DEP_1) | instskip(NEXT) | instid1(VALU_DEP_1)
	v_subrev_nc_u32_e32 v31, 28, v7
	v_lshlrev_b64_e32 v[74:75], v31, v[28:29]
	v_sub_nc_u32_e32 v31, 29, v7
	s_delay_alu instid0(VALU_DEP_2)
	v_and_b32_e32 v7, 7, v74
; %bb.920:                              ;   in Loop: Header=BB290_16 Depth=1
	s_wait_alu 0xfffe
	s_or_b32 exec_lo, exec_lo, s23
	v_lshlrev_b32_e32 v32, 8, v28
	v_lshl_add_u32 v31, v31, 10, 0x2000
	v_lshlrev_b32_e32 v7, 7, v7
	s_delay_alu instid0(VALU_DEP_3) | instskip(NEXT) | instid1(VALU_DEP_3)
	v_and_b32_e32 v32, 0x8000, v32
	v_and_b32_e32 v31, 0xfc00, v31
	s_delay_alu instid0(VALU_DEP_1)
	v_or3_b32 v154, v32, v31, v7
.LBB290_921:                            ;   in Loop: Header=BB290_16 Depth=1
	s_wait_alu 0xfffe
	s_or_b32 exec_lo, exec_lo, s22
.LBB290_922:                            ;   in Loop: Header=BB290_16 Depth=1
	s_wait_alu 0xfffe
	s_or_b32 exec_lo, exec_lo, s21
.LBB290_923:                            ;   in Loop: Header=BB290_16 Depth=1
	s_wait_alu 0xfffe
	s_or_b32 exec_lo, exec_lo, s20
	v_lshrrev_b16 v7, 8, v28
	v_dual_mov_b32 v155, 0 :: v_dual_mov_b32 v32, 0
	s_mov_b32 s20, exec_lo
	s_delay_alu instid0(VALU_DEP_2)
	v_cmpx_ne_u16_e32 0, v7
	s_cbranch_execz .LBB290_931
; %bb.924:                              ;   in Loop: Header=BB290_16 Depth=1
	v_bfrev_b32_e32 v32, 1
	s_mov_b32 s21, exec_lo
	v_cmpx_ne_u16_e32 0x80, v7
	s_cbranch_execz .LBB290_930
; %bb.925:                              ;   in Loop: Header=BB290_16 Depth=1
	v_and_b32_e32 v31, 0xffff, v7
	v_mov_b32_e32 v32, 0x7c010000
	s_mov_b32 s22, exec_lo
	s_delay_alu instid0(VALU_DEP_2) | instskip(NEXT) | instid1(VALU_DEP_1)
	v_and_b32_e32 v75, 0x7f, v31
	v_cmpx_ne_u32_e32 0x7f, v75
	s_cbranch_execz .LBB290_929
; %bb.926:                              ;   in Loop: Header=BB290_16 Depth=1
	v_and_b32_e32 v32, 7, v31
	v_lshrrev_b32_e32 v74, 3, v75
	s_mov_b32 s23, exec_lo
	v_cmpx_gt_u32_e32 8, v75
; %bb.927:                              ;   in Loop: Header=BB290_16 Depth=1
	s_delay_alu instid0(VALU_DEP_3) | instskip(NEXT) | instid1(VALU_DEP_1)
	v_clz_i32_u32_e32 v32, v32
	v_min_u32_e32 v32, 32, v32
	s_delay_alu instid0(VALU_DEP_1) | instskip(NEXT) | instid1(VALU_DEP_1)
	v_subrev_nc_u32_e32 v74, 28, v32
	v_lshlrev_b64_e32 v[157:158], v74, v[7:8]
	v_sub_nc_u32_e32 v74, 29, v32
	s_delay_alu instid0(VALU_DEP_2)
	v_and_b32_e32 v32, 7, v157
; %bb.928:                              ;   in Loop: Header=BB290_16 Depth=1
	s_wait_alu 0xfffe
	s_or_b32 exec_lo, exec_lo, s23
	v_lshlrev_b32_e32 v7, 8, v31
	v_lshl_add_u32 v31, v74, 10, 0x2000
	s_delay_alu instid0(VALU_DEP_1) | instskip(SKIP_1) | instid1(VALU_DEP_1)
	v_and_or_b32 v7, 0x8000, v7, v31
	v_lshlrev_b32_e32 v31, 23, v32
	v_lshl_or_b32 v32, v7, 16, v31
.LBB290_929:                            ;   in Loop: Header=BB290_16 Depth=1
	s_wait_alu 0xfffe
	s_or_b32 exec_lo, exec_lo, s22
.LBB290_930:                            ;   in Loop: Header=BB290_16 Depth=1
	s_wait_alu 0xfffe
	s_or_b32 exec_lo, exec_lo, s21
.LBB290_931:                            ;   in Loop: Header=BB290_16 Depth=1
	s_wait_alu 0xfffe
	s_or_b32 exec_lo, exec_lo, s20
	v_lshrrev_b32_e32 v7, 16, v28
	s_mov_b32 s20, exec_lo
	s_delay_alu instid0(VALU_DEP_1) | instskip(NEXT) | instid1(VALU_DEP_1)
	v_and_b32_e32 v31, 0xff, v7
	v_cmpx_ne_u16_e32 0, v31
	s_cbranch_execz .LBB290_939
; %bb.932:                              ;   in Loop: Header=BB290_16 Depth=1
	v_mov_b32_e32 v155, 0x8000
	s_mov_b32 s21, exec_lo
	v_cmpx_ne_u16_e32 0x80, v31
	s_cbranch_execz .LBB290_938
; %bb.933:                              ;   in Loop: Header=BB290_16 Depth=1
	v_bfe_u32 v75, v28, 16, 7
	v_mov_b32_e32 v155, 0x7c01
	s_mov_b32 s22, exec_lo
	s_delay_alu instid0(VALU_DEP_2)
	v_cmpx_ne_u32_e32 0x7f, v75
	s_cbranch_execz .LBB290_937
; %bb.934:                              ;   in Loop: Header=BB290_16 Depth=1
	v_and_b32_e32 v31, 7, v7
	v_lshrrev_b32_e32 v74, 3, v75
	s_mov_b32 s23, exec_lo
	v_cmpx_gt_u32_e32 8, v75
; %bb.935:                              ;   in Loop: Header=BB290_16 Depth=1
	s_delay_alu instid0(VALU_DEP_3) | instskip(NEXT) | instid1(VALU_DEP_1)
	v_clz_i32_u32_e32 v31, v31
	v_min_u32_e32 v31, 32, v31
	s_delay_alu instid0(VALU_DEP_1) | instskip(NEXT) | instid1(VALU_DEP_1)
	v_subrev_nc_u32_e32 v74, 28, v31
	v_lshlrev_b64_e32 v[157:158], v74, v[7:8]
	v_sub_nc_u32_e32 v74, 29, v31
	s_delay_alu instid0(VALU_DEP_2)
	v_and_b32_e32 v31, 7, v157
; %bb.936:                              ;   in Loop: Header=BB290_16 Depth=1
	s_wait_alu 0xfffe
	s_or_b32 exec_lo, exec_lo, s23
	v_lshlrev_b32_e32 v7, 8, v7
	v_lshl_add_u32 v74, v74, 10, 0x2000
	v_lshlrev_b32_e32 v31, 7, v31
	s_delay_alu instid0(VALU_DEP_3) | instskip(NEXT) | instid1(VALU_DEP_3)
	v_and_b32_e32 v7, 0x8000, v7
	v_and_b32_e32 v74, 0xfc00, v74
	s_delay_alu instid0(VALU_DEP_1)
	v_or3_b32 v155, v7, v74, v31
.LBB290_937:                            ;   in Loop: Header=BB290_16 Depth=1
	s_wait_alu 0xfffe
	s_or_b32 exec_lo, exec_lo, s22
.LBB290_938:                            ;   in Loop: Header=BB290_16 Depth=1
	s_wait_alu 0xfffe
	s_or_b32 exec_lo, exec_lo, s21
.LBB290_939:                            ;   in Loop: Header=BB290_16 Depth=1
	s_wait_alu 0xfffe
	s_or_b32 exec_lo, exec_lo, s20
	v_dual_mov_b32 v168, 0 :: v_dual_mov_b32 v169, 0
	s_mov_b32 s20, exec_lo
	v_cmpx_lt_u32_e32 0xffffff, v28
	s_cbranch_execz .LBB290_947
; %bb.940:                              ;   in Loop: Header=BB290_16 Depth=1
	v_lshrrev_b32_e32 v7, 24, v28
	v_bfrev_b32_e32 v169, 1
	s_mov_b32 s21, exec_lo
	s_delay_alu instid0(VALU_DEP_2)
	v_cmpx_ne_u32_e32 0x80, v7
	s_cbranch_execz .LBB290_946
; %bb.941:                              ;   in Loop: Header=BB290_16 Depth=1
	v_and_b32_e32 v75, 0x7f, v7
	v_mov_b32_e32 v169, 0x7c010000
	s_mov_b32 s22, exec_lo
	s_delay_alu instid0(VALU_DEP_2)
	v_cmpx_ne_u32_e32 0x7f, v75
	s_cbranch_execz .LBB290_945
; %bb.942:                              ;   in Loop: Header=BB290_16 Depth=1
	v_and_b32_e32 v31, 7, v7
	v_lshrrev_b32_e32 v74, 3, v75
	s_mov_b32 s23, exec_lo
	v_cmpx_gt_u32_e32 8, v75
; %bb.943:                              ;   in Loop: Header=BB290_16 Depth=1
	s_delay_alu instid0(VALU_DEP_3) | instskip(NEXT) | instid1(VALU_DEP_1)
	v_clz_i32_u32_e32 v31, v31
	v_min_u32_e32 v31, 32, v31
	s_delay_alu instid0(VALU_DEP_1) | instskip(NEXT) | instid1(VALU_DEP_1)
	v_subrev_nc_u32_e32 v74, 28, v31
	v_lshlrev_b64_e32 v[157:158], v74, v[7:8]
	v_sub_nc_u32_e32 v74, 29, v31
	s_delay_alu instid0(VALU_DEP_2)
	v_and_b32_e32 v31, 7, v157
; %bb.944:                              ;   in Loop: Header=BB290_16 Depth=1
	s_wait_alu 0xfffe
	s_or_b32 exec_lo, exec_lo, s23
	v_lshlrev_b32_e32 v7, 8, v7
	v_lshl_add_u32 v74, v74, 10, 0x2000
	v_lshlrev_b32_e32 v31, 23, v31
	s_delay_alu instid0(VALU_DEP_2) | instskip(NEXT) | instid1(VALU_DEP_1)
	v_and_or_b32 v7, 0x8000, v7, v74
	v_lshl_or_b32 v169, v7, 16, v31
.LBB290_945:                            ;   in Loop: Header=BB290_16 Depth=1
	s_wait_alu 0xfffe
	s_or_b32 exec_lo, exec_lo, s22
.LBB290_946:                            ;   in Loop: Header=BB290_16 Depth=1
	s_wait_alu 0xfffe
	s_or_b32 exec_lo, exec_lo, s21
.LBB290_947:                            ;   in Loop: Header=BB290_16 Depth=1
	s_wait_alu 0xfffe
	s_or_b32 exec_lo, exec_lo, s20
	v_and_b32_e32 v31, 0xff, v29
	v_mov_b32_e32 v7, v29
	s_mov_b32 s20, exec_lo
	s_delay_alu instid0(VALU_DEP_2)
	v_cmpx_ne_u16_e32 0, v31
	s_cbranch_execz .LBB290_955
; %bb.948:                              ;   in Loop: Header=BB290_16 Depth=1
	v_mov_b32_e32 v168, 0x8000
	s_mov_b32 s21, exec_lo
	v_cmpx_ne_u16_e32 0x80, v31
	s_cbranch_execz .LBB290_954
; %bb.949:                              ;   in Loop: Header=BB290_16 Depth=1
	v_and_b32_e32 v75, 0x7f, v29
	v_mov_b32_e32 v168, 0x7c01
	s_mov_b32 s22, exec_lo
	s_delay_alu instid0(VALU_DEP_2)
	v_cmpx_ne_u32_e32 0x7f, v75
	s_cbranch_execz .LBB290_953
; %bb.950:                              ;   in Loop: Header=BB290_16 Depth=1
	v_and_b32_e32 v31, 7, v29
	v_lshrrev_b32_e32 v74, 3, v75
	s_mov_b32 s23, exec_lo
	v_cmpx_gt_u32_e32 8, v75
; %bb.951:                              ;   in Loop: Header=BB290_16 Depth=1
	s_delay_alu instid0(VALU_DEP_3) | instskip(NEXT) | instid1(VALU_DEP_1)
	v_clz_i32_u32_e32 v31, v31
	v_min_u32_e32 v31, 32, v31
	s_delay_alu instid0(VALU_DEP_1) | instskip(NEXT) | instid1(VALU_DEP_1)
	v_subrev_nc_u32_e32 v74, 28, v31
	v_lshlrev_b64_e32 v[157:158], v74, v[7:8]
	v_sub_nc_u32_e32 v74, 29, v31
	s_delay_alu instid0(VALU_DEP_2)
	v_and_b32_e32 v31, 7, v157
; %bb.952:                              ;   in Loop: Header=BB290_16 Depth=1
	s_wait_alu 0xfffe
	s_or_b32 exec_lo, exec_lo, s23
	v_lshlrev_b32_e32 v75, 8, v29
	v_lshl_add_u32 v74, v74, 10, 0x2000
	v_lshlrev_b32_e32 v31, 7, v31
	s_delay_alu instid0(VALU_DEP_3) | instskip(NEXT) | instid1(VALU_DEP_3)
	v_and_b32_e32 v75, 0x8000, v75
	v_and_b32_e32 v74, 0xfc00, v74
	s_delay_alu instid0(VALU_DEP_1)
	v_or3_b32 v168, v75, v74, v31
.LBB290_953:                            ;   in Loop: Header=BB290_16 Depth=1
	s_wait_alu 0xfffe
	s_or_b32 exec_lo, exec_lo, s22
.LBB290_954:                            ;   in Loop: Header=BB290_16 Depth=1
	s_wait_alu 0xfffe
	s_or_b32 exec_lo, exec_lo, s21
.LBB290_955:                            ;   in Loop: Header=BB290_16 Depth=1
	s_wait_alu 0xfffe
	s_or_b32 exec_lo, exec_lo, s20
	v_lshrrev_b16 v7, 8, v7
	v_dual_mov_b32 v170, 0 :: v_dual_mov_b32 v171, 0
	s_mov_b32 s20, exec_lo
	s_delay_alu instid0(VALU_DEP_2)
	v_cmpx_ne_u16_e32 0, v7
	s_cbranch_execz .LBB290_963
; %bb.956:                              ;   in Loop: Header=BB290_16 Depth=1
	v_bfrev_b32_e32 v171, 1
	s_mov_b32 s21, exec_lo
	v_cmpx_ne_u16_e32 0x80, v7
	s_cbranch_execz .LBB290_962
; %bb.957:                              ;   in Loop: Header=BB290_16 Depth=1
	v_and_b32_e32 v31, 0xffff, v7
	v_mov_b32_e32 v171, 0x7c010000
	s_mov_b32 s22, exec_lo
	s_delay_alu instid0(VALU_DEP_2) | instskip(NEXT) | instid1(VALU_DEP_1)
	v_and_b32_e32 v157, 0x7f, v31
	v_cmpx_ne_u32_e32 0x7f, v157
	s_cbranch_execz .LBB290_961
; %bb.958:                              ;   in Loop: Header=BB290_16 Depth=1
	v_and_b32_e32 v74, 7, v31
	v_lshrrev_b32_e32 v75, 3, v157
	s_mov_b32 s23, exec_lo
	v_cmpx_gt_u32_e32 8, v157
; %bb.959:                              ;   in Loop: Header=BB290_16 Depth=1
	s_delay_alu instid0(VALU_DEP_3) | instskip(NEXT) | instid1(VALU_DEP_1)
	v_clz_i32_u32_e32 v74, v74
	v_min_u32_e32 v157, 32, v74
	s_delay_alu instid0(VALU_DEP_1) | instskip(NEXT) | instid1(VALU_DEP_1)
	v_subrev_nc_u32_e32 v74, 28, v157
	v_lshlrev_b64_e32 v[74:75], v74, v[7:8]
	v_sub_nc_u32_e32 v75, 29, v157
	s_delay_alu instid0(VALU_DEP_2)
	v_and_b32_e32 v74, 7, v74
; %bb.960:                              ;   in Loop: Header=BB290_16 Depth=1
	s_wait_alu 0xfffe
	s_or_b32 exec_lo, exec_lo, s23
	v_lshlrev_b32_e32 v7, 8, v31
	v_lshl_add_u32 v31, v75, 10, 0x2000
	s_delay_alu instid0(VALU_DEP_1) | instskip(SKIP_1) | instid1(VALU_DEP_1)
	v_and_or_b32 v7, 0x8000, v7, v31
	v_lshlrev_b32_e32 v31, 23, v74
	v_lshl_or_b32 v171, v7, 16, v31
.LBB290_961:                            ;   in Loop: Header=BB290_16 Depth=1
	s_wait_alu 0xfffe
	s_or_b32 exec_lo, exec_lo, s22
.LBB290_962:                            ;   in Loop: Header=BB290_16 Depth=1
	s_wait_alu 0xfffe
	s_or_b32 exec_lo, exec_lo, s21
.LBB290_963:                            ;   in Loop: Header=BB290_16 Depth=1
	s_wait_alu 0xfffe
	s_or_b32 exec_lo, exec_lo, s20
	v_lshrrev_b32_e32 v7, 16, v29
	s_mov_b32 s20, exec_lo
	s_delay_alu instid0(VALU_DEP_1) | instskip(NEXT) | instid1(VALU_DEP_1)
	v_and_b32_e32 v31, 0xff, v7
	v_cmpx_ne_u16_e32 0, v31
	s_cbranch_execz .LBB290_971
; %bb.964:                              ;   in Loop: Header=BB290_16 Depth=1
	v_mov_b32_e32 v170, 0x8000
	s_mov_b32 s21, exec_lo
	v_cmpx_ne_u16_e32 0x80, v31
	s_cbranch_execz .LBB290_970
; %bb.965:                              ;   in Loop: Header=BB290_16 Depth=1
	v_bfe_u32 v75, v29, 16, 7
	v_mov_b32_e32 v170, 0x7c01
	s_mov_b32 s22, exec_lo
	s_delay_alu instid0(VALU_DEP_2)
	v_cmpx_ne_u32_e32 0x7f, v75
	s_cbranch_execz .LBB290_969
; %bb.966:                              ;   in Loop: Header=BB290_16 Depth=1
	v_and_b32_e32 v31, 7, v7
	v_lshrrev_b32_e32 v74, 3, v75
	s_mov_b32 s23, exec_lo
	v_cmpx_gt_u32_e32 8, v75
; %bb.967:                              ;   in Loop: Header=BB290_16 Depth=1
	s_delay_alu instid0(VALU_DEP_3) | instskip(NEXT) | instid1(VALU_DEP_1)
	v_clz_i32_u32_e32 v31, v31
	v_min_u32_e32 v31, 32, v31
	s_delay_alu instid0(VALU_DEP_1) | instskip(NEXT) | instid1(VALU_DEP_1)
	v_subrev_nc_u32_e32 v74, 28, v31
	v_lshlrev_b64_e32 v[157:158], v74, v[7:8]
	v_sub_nc_u32_e32 v74, 29, v31
	s_delay_alu instid0(VALU_DEP_2)
	v_and_b32_e32 v31, 7, v157
; %bb.968:                              ;   in Loop: Header=BB290_16 Depth=1
	s_wait_alu 0xfffe
	s_or_b32 exec_lo, exec_lo, s23
	v_lshlrev_b32_e32 v7, 8, v7
	v_lshl_add_u32 v74, v74, 10, 0x2000
	v_lshlrev_b32_e32 v31, 7, v31
	s_delay_alu instid0(VALU_DEP_3) | instskip(NEXT) | instid1(VALU_DEP_3)
	v_and_b32_e32 v7, 0x8000, v7
	v_and_b32_e32 v74, 0xfc00, v74
	s_delay_alu instid0(VALU_DEP_1)
	v_or3_b32 v170, v7, v74, v31
.LBB290_969:                            ;   in Loop: Header=BB290_16 Depth=1
	s_wait_alu 0xfffe
	s_or_b32 exec_lo, exec_lo, s22
.LBB290_970:                            ;   in Loop: Header=BB290_16 Depth=1
	s_wait_alu 0xfffe
	s_or_b32 exec_lo, exec_lo, s21
.LBB290_971:                            ;   in Loop: Header=BB290_16 Depth=1
	s_wait_alu 0xfffe
	s_or_b32 exec_lo, exec_lo, s20
	v_cmp_lt_u64_e64 s1, s[10:11], v[28:29]
	v_mov_b32_e32 v28, 0
	s_and_saveexec_b32 s20, s1
	s_cbranch_execz .LBB290_14
; %bb.972:                              ;   in Loop: Header=BB290_16 Depth=1
	v_lshrrev_b32_e32 v7, 24, v29
	v_bfrev_b32_e32 v28, 1
	s_mov_b32 s21, exec_lo
	s_delay_alu instid0(VALU_DEP_2)
	v_cmpx_ne_u32_e32 0x80, v7
	s_cbranch_execz .LBB290_13
; %bb.973:                              ;   in Loop: Header=BB290_16 Depth=1
	v_and_b32_e32 v31, 0x7f, v7
	v_mov_b32_e32 v28, 0x7c010000
	s_mov_b32 s22, exec_lo
	s_delay_alu instid0(VALU_DEP_2)
	v_cmpx_ne_u32_e32 0x7f, v31
	s_cbranch_execz .LBB290_12
; %bb.974:                              ;   in Loop: Header=BB290_16 Depth=1
	v_and_b32_e32 v28, 7, v7
	v_lshrrev_b32_e32 v29, 3, v31
	s_mov_b32 s23, exec_lo
	v_cmpx_gt_u32_e32 8, v31
	s_cbranch_execz .LBB290_11
; %bb.975:                              ;   in Loop: Header=BB290_16 Depth=1
	v_clz_i32_u32_e32 v28, v28
	s_delay_alu instid0(VALU_DEP_1) | instskip(NEXT) | instid1(VALU_DEP_1)
	v_min_u32_e32 v31, 32, v28
	v_subrev_nc_u32_e32 v28, 28, v31
	s_delay_alu instid0(VALU_DEP_1) | instskip(SKIP_1) | instid1(VALU_DEP_2)
	v_lshlrev_b64_e32 v[28:29], v28, v[7:8]
	v_sub_nc_u32_e32 v29, 29, v31
	v_and_b32_e32 v28, 7, v28
	s_branch .LBB290_11
.LBB290_976:
	s_or_b32 exec_lo, exec_lo, s19
.LBB290_977:
	s_wait_alu 0xfffe
	s_or_b32 exec_lo, exec_lo, s18
	v_mbcnt_lo_u32_b32 v7, -1, 0
	v_max_num_f32_e32 v18, v65, v65
	s_delay_alu instid0(VALU_DEP_2) | instskip(SKIP_2) | instid1(VALU_DEP_3)
	v_xor_b32_e32 v8, 16, v7
	v_xor_b32_e32 v13, 8, v7
	;; [unrolled: 1-line block ×3, first 2 shown]
	v_cmp_gt_i32_e32 vcc_lo, 32, v8
	s_wait_alu 0xfffd
	v_cndmask_b32_e32 v8, v7, v8, vcc_lo
	v_cmp_gt_i32_e32 vcc_lo, 32, v13
	s_wait_alu 0xfffd
	v_cndmask_b32_e32 v13, v7, v13, vcc_lo
	s_delay_alu instid0(VALU_DEP_1) | instskip(SKIP_4) | instid1(VALU_DEP_1)
	v_lshlrev_b32_e32 v19, 2, v13
	v_lshlrev_b32_e32 v9, 2, v8
	ds_bpermute_b32 v8, v9, v65
	s_wait_dscnt 0x0
	v_max_num_f32_e32 v8, v8, v8
	v_max_num_f32_e32 v8, v18, v8
	v_xor_b32_e32 v18, 4, v7
	ds_bpermute_b32 v13, v19, v8
	v_cmp_gt_i32_e32 vcc_lo, 32, v18
	s_wait_alu 0xfffd
	v_cndmask_b32_e32 v18, v7, v18, vcc_lo
	s_delay_alu instid0(VALU_DEP_1) | instskip(SKIP_1) | instid1(VALU_DEP_1)
	v_lshlrev_b32_e32 v20, 2, v18
	v_xor_b32_e32 v18, 2, v7
	v_cmp_gt_i32_e32 vcc_lo, 32, v18
	s_wait_dscnt 0x0
	v_max_num_f32_e32 v13, v13, v13
	s_delay_alu instid0(VALU_DEP_1) | instskip(SKIP_3) | instid1(VALU_DEP_1)
	v_max_num_f32_e32 v8, v8, v13
	ds_bpermute_b32 v13, v20, v8
	s_wait_dscnt 0x0
	v_max_num_f32_e32 v13, v13, v13
	v_max_num_f32_e32 v8, v8, v13
	s_wait_alu 0xfffd
	v_cndmask_b32_e32 v18, v7, v18, vcc_lo
	v_cmp_gt_i32_e32 vcc_lo, 32, v21
	s_wait_alu 0xfffd
	s_delay_alu instid0(VALU_DEP_2) | instskip(SKIP_4) | instid1(VALU_DEP_1)
	v_dual_cndmask_b32 v21, v7, v21 :: v_dual_lshlrev_b32 v18, 2, v18
	v_cmp_eq_u32_e32 vcc_lo, 0, v36
	ds_bpermute_b32 v13, v18, v8
	s_wait_dscnt 0x0
	v_max_num_f32_e32 v13, v13, v13
	v_max_num_f32_e32 v7, v8, v13
	v_lshlrev_b32_e32 v13, 2, v21
	v_lshlrev_b32_e32 v21, 2, v35
	ds_bpermute_b32 v8, v13, v7
	s_and_saveexec_b32 s1, vcc_lo
	s_cbranch_execz .LBB290_979
; %bb.978:
	s_wait_dscnt 0x0
	v_dual_max_num_f32 v8, v8, v8 :: v_dual_max_num_f32 v7, v7, v7
	s_delay_alu instid0(VALU_DEP_1)
	v_max_num_f32_e32 v7, v7, v8
	ds_store_b32 v21, v7 offset:240
.LBB290_979:
	s_wait_alu 0xfffe
	s_or_b32 exec_lo, exec_lo, s1
	v_cmp_gt_u32_e64 s1, 4, v36
	v_mov_b32_e32 v7, 0xff7fffff
	s_wait_loadcnt_dscnt 0x0
	s_barrier_signal -1
	s_barrier_wait -1
	global_inv scope:SCOPE_SE
	s_and_saveexec_b32 s2, s1
; %bb.980:
	ds_load_b32 v7, v64 offset:240
; %bb.981:
	s_wait_alu 0xfffe
	s_or_b32 exec_lo, exec_lo, s2
	s_wait_dscnt 0x0
	ds_bpermute_b32 v8, v18, v7
	v_max_num_f32_e32 v7, v7, v7
	v_subrev_nc_u32_e32 v25, s17, v49
	v_mov_b32_e32 v24, 0
	s_wait_dscnt 0x0
	v_max_num_f32_e32 v8, v8, v8
	s_delay_alu instid0(VALU_DEP_1) | instskip(SKIP_3) | instid1(VALU_DEP_1)
	v_max_num_f32_e32 v7, v7, v8
	ds_bpermute_b32 v8, v13, v7
	s_wait_dscnt 0x0
	v_max_num_f32_e32 v8, v8, v8
	v_max_num_f32_e32 v7, v7, v8
	v_lshl_add_u32 v8, v25, 5, s3
	ds_bpermute_b32 v7, v24, v7
	v_min_i32_e32 v8, v8, v34
	s_delay_alu instid0(VALU_DEP_1) | instskip(NEXT) | instid1(VALU_DEP_1)
	v_subrev_nc_u32_e32 v8, s3, v8
	v_cmp_lt_i32_e64 s2, v33, v8
	s_and_saveexec_b32 s8, s2
	s_cbranch_execz .LBB290_985
; %bb.982:
	s_getpc_b64 s[10:11]
	s_wait_alu 0xfffe
	s_sext_i32_i16 s11, s11
	s_add_co_u32 s10, s10, llvm.amdgcn.dynlds.offset.table@rel32@lo+12
	s_wait_alu 0xfffe
	s_add_co_ci_u32 s11, s11, llvm.amdgcn.dynlds.offset.table@rel32@hi+24
	s_wait_kmcnt 0x0
	s_ashr_i32 s7, s6, 31
	v_mov_b32_e32 v24, 0
	s_wait_alu 0xfffe
	s_lshl_b64 s[18:19], s[6:7], 2
	v_mov_b32_e32 v28, v33
	s_wait_alu 0xfffe
	s_add_nc_u64 s[10:11], s[10:11], s[18:19]
	s_mov_b32 s7, 0
	s_load_b32 s3, s[10:11], 0x0
	s_wait_kmcnt 0x0
	v_lshl_add_u32 v25, v33, 2, s3
.LBB290_983:                            ; =>This Inner Loop Header: Depth=1
	ds_load_b32 v29, v25
	v_add_nc_u32_e32 v28, 0x80, v28
	s_delay_alu instid0(VALU_DEP_1) | instskip(SKIP_3) | instid1(VALU_DEP_1)
	v_cmp_ge_i32_e64 s3, v28, v8
	s_or_b32 s7, s3, s7
	s_wait_dscnt 0x0
	v_sub_f32_e32 v29, v29, v7
	v_mul_f32_e32 v29, 0x3fb8aa3b, v29
	s_delay_alu instid0(VALU_DEP_1)
	v_exp_f32_e32 v29, v29
	ds_store_b32 v25, v29
	v_add_f32_e32 v24, v24, v29
	v_add_nc_u32_e32 v25, 0x200, v25
	s_wait_alu 0xfffe
	s_and_not1_b32 exec_lo, exec_lo, s7
	s_cbranch_execnz .LBB290_983
; %bb.984:
	s_or_b32 exec_lo, exec_lo, s7
.LBB290_985:
	s_wait_alu 0xfffe
	s_or_b32 exec_lo, exec_lo, s8
	ds_bpermute_b32 v9, v9, v24
	s_wait_dscnt 0x0
	v_add_f32_e32 v9, v24, v9
	ds_bpermute_b32 v19, v19, v9
	s_wait_dscnt 0x0
	v_add_f32_e32 v9, v9, v19
	;; [unrolled: 3-line block ×5, first 2 shown]
	s_and_saveexec_b32 s3, vcc_lo
; %bb.986:
	ds_store_b32 v21, v9 offset:256
; %bb.987:
	s_wait_alu 0xfffe
	s_or_b32 exec_lo, exec_lo, s3
	s_wait_loadcnt_dscnt 0x0
	s_barrier_signal -1
	s_barrier_wait -1
	global_inv scope:SCOPE_SE
	s_and_saveexec_b32 s3, s1
; %bb.988:
	ds_load_b32 v9, v64 offset:256
; %bb.989:
	s_wait_alu 0xfffe
	s_or_b32 exec_lo, exec_lo, s3
	s_wait_dscnt 0x0
	ds_bpermute_b32 v19, v18, v9
	s_wait_dscnt 0x0
	v_add_f32_e32 v9, v9, v19
	ds_bpermute_b32 v19, v13, v9
	s_wait_dscnt 0x0
	v_add_f32_e32 v9, v9, v19
	v_mov_b32_e32 v19, 0
	ds_bpermute_b32 v9, v19, v9
	s_and_saveexec_b32 s1, s2
	s_cbranch_execz .LBB290_992
; %bb.990:
	s_wait_dscnt 0x0
	v_add_f32_e32 v20, 0x358637bd, v9
	s_wait_kmcnt 0x0
	s_ashr_i32 s7, s6, 31
	s_getpc_b64 s[2:3]
	s_wait_alu 0xfffe
	s_sext_i32_i16 s3, s3
	s_add_co_u32 s2, s2, llvm.amdgcn.dynlds.offset.table@rel32@lo+12
	s_wait_alu 0xfffe
	s_add_co_ci_u32 s3, s3, llvm.amdgcn.dynlds.offset.table@rel32@hi+24
	s_lshl_b64 s[8:9], s[6:7], 2
	s_wait_alu 0xfffe
	s_add_nc_u64 s[2:3], s[2:3], s[8:9]
	v_div_scale_f32 v19, null, v20, v20, 1.0
	v_div_scale_f32 v25, vcc_lo, 1.0, v20, 1.0
	s_load_b32 s2, s[2:3], 0x0
	v_rcp_f32_e32 v21, v19
	s_delay_alu instid0(TRANS32_DEP_1) | instskip(NEXT) | instid1(VALU_DEP_1)
	v_fma_f32 v24, -v19, v21, 1.0
	v_fmac_f32_e32 v21, v24, v21
	s_delay_alu instid0(VALU_DEP_1) | instskip(NEXT) | instid1(VALU_DEP_1)
	v_mul_f32_e32 v24, v25, v21
	v_fma_f32 v28, -v19, v24, v25
	s_delay_alu instid0(VALU_DEP_1) | instskip(NEXT) | instid1(VALU_DEP_1)
	v_fmac_f32_e32 v24, v28, v21
	v_fma_f32 v19, -v19, v24, v25
	s_delay_alu instid0(VALU_DEP_1) | instskip(SKIP_3) | instid1(VALU_DEP_2)
	v_div_fmas_f32 v21, v19, v21, v24
	s_wait_kmcnt 0x0
	v_lshl_add_u32 v19, v33, 2, s2
	s_mov_b32 s2, 0
	v_div_fixup_f32 v20, v21, v20, 1.0
	v_mov_b32_e32 v21, v33
.LBB290_991:                            ; =>This Inner Loop Header: Depth=1
	ds_load_b32 v24, v19
	s_wait_dscnt 0x0
	v_dual_mul_f32 v24, v20, v24 :: v_dual_add_nc_u32 v21, 0x80, v21
	s_delay_alu instid0(VALU_DEP_1)
	v_cmp_ge_i32_e32 vcc_lo, v21, v8
	ds_store_b32 v19, v24
	v_add_nc_u32_e32 v19, 0x200, v19
	s_wait_alu 0xfffe
	s_or_b32 s2, vcc_lo, s2
	s_wait_alu 0xfffe
	s_and_not1_b32 exec_lo, exec_lo, s2
	s_cbranch_execnz .LBB290_991
.LBB290_992:
	s_wait_alu 0xfffe
	s_or_b32 exec_lo, exec_lo, s1
	s_and_b32 s1, 0xffff, s16
	s_wait_loadcnt_dscnt 0x0
	s_wait_alu 0xfffe
	s_cmp_lg_u32 s1, 0
	s_barrier_signal -1
	s_cselect_b32 s1, -1, 0
	s_barrier_wait -1
	s_wait_alu 0xfffe
	s_cmp_lg_u32 s1, 0
	global_inv scope:SCOPE_SE
	s_wait_kmcnt 0x0
	s_add_co_ci_u32 s1, s5, 0
	s_mov_b32 s5, exec_lo
	s_wait_alu 0xfffe
	s_mul_i32 s2, s1, s14
	s_wait_alu 0xfffe
	s_mul_i32 s2, s2, s15
	v_cmpx_eq_u32_e32 0, v33
	s_cbranch_execz .LBB290_994
; %bb.993:
	s_wait_alu 0xfffe
	s_ashr_i32 s3, s2, 31
	s_mul_i32 s8, s1, ttmp9
	s_wait_alu 0xfffe
	s_lshl_b64 s[10:11], s[2:3], 2
	s_ashr_i32 s9, s8, 31
	s_wait_alu 0xfffe
	v_add_co_u32 v2, vcc_lo, v2, s10
	s_wait_alu 0xfffd
	v_add_co_ci_u32_e64 v3, null, s11, v3, vcc_lo
	s_lshl_b64 s[8:9], s[8:9], 2
	s_lshl_b32 s3, s13, 2
	s_wait_alu 0xfffe
	v_add_co_u32 v2, vcc_lo, v2, s8
	s_wait_alu 0xfffd
	v_add_co_ci_u32_e64 v3, null, s9, v3, vcc_lo
	v_add_co_u32 v0, vcc_lo, v0, s10
	s_wait_alu 0xfffd
	v_add_co_ci_u32_e64 v1, null, s11, v1, vcc_lo
	s_delay_alu instid0(VALU_DEP_2) | instskip(SKIP_1) | instid1(VALU_DEP_2)
	v_add_co_u32 v8, vcc_lo, v0, s8
	s_wait_alu 0xfffd
	v_add_co_ci_u32_e64 v19, null, s9, v1, vcc_lo
	v_add_co_u32 v0, vcc_lo, v2, s3
	s_wait_alu 0xfffd
	v_add_co_ci_u32_e64 v1, null, 0, v3, vcc_lo
	;; [unrolled: 3-line block ×3, first 2 shown]
	flat_store_b32 v[0:1], v7
	flat_store_b32 v[2:3], v9
.LBB290_994:
	s_or_b32 exec_lo, exec_lo, s5
	s_ashr_i32 s7, s6, 31
	s_getpc_b64 s[8:9]
	s_wait_alu 0xfffe
	s_sext_i32_i16 s9, s9
	s_add_co_u32 s8, s8, llvm.amdgcn.dynlds.offset.table@rel32@lo+12
	s_wait_alu 0xfffe
	s_add_co_ci_u32 s9, s9, llvm.amdgcn.dynlds.offset.table@rel32@hi+24
	v_dual_mov_b32 v68, 0 :: v_dual_and_b32 v19, 3, v33
	v_dual_mov_b32 v69, 0 :: v_dual_mov_b32 v66, 0
	v_dual_mov_b32 v67, 0 :: v_dual_mov_b32 v64, 0
	;; [unrolled: 1-line block ×6, first 2 shown]
	v_mov_b32_e32 v25, 0
	v_mov_b32_e32 v21, 0
	s_lshl_b64 s[6:7], s[6:7], 2
	s_wait_alu 0xfffe
	s_add_nc_u64 s[6:7], s[8:9], s[6:7]
	s_and_saveexec_b32 s3, s0
	s_cbranch_execz .LBB290_1990
; %bb.995:
	v_max_i32_e32 v30, v30, v53
	v_add_co_u32 v7, vcc_lo, v10, v51
	s_wait_alu 0xfffd
	v_add_co_ci_u32_e64 v8, null, v11, v54, vcc_lo
	s_delay_alu instid0(VALU_DEP_3) | instskip(SKIP_3) | instid1(VALU_DEP_3)
	v_cvt_f32_u32_e32 v0, v30
	v_sub_nc_u32_e32 v11, 0, v30
	s_load_b32 s0, s[6:7], 0x0
	v_dual_mov_b32 v1, 0 :: v_dual_lshlrev_b32 v2, 3, v33
	v_rcp_iflag_f32_e32 v0, v0
	v_add_co_u32 v3, vcc_lo, v16, v12
	s_wait_alu 0xfffd
	v_add_co_ci_u32_e64 v9, null, 0, v17, vcc_lo
	v_dual_mov_b32 v21, 0 :: v_dual_lshlrev_b32 v10, 5, v19
	v_dual_mov_b32 v69, 0 :: v_dual_and_b32 v16, 24, v2
	v_and_b32_e32 v12, 0xf8, v2
	s_delay_alu instid0(TRANS32_DEP_1) | instskip(SKIP_3) | instid1(VALU_DEP_3)
	v_dual_mul_f32 v0, 0x4f7ffffe, v0 :: v_dual_mov_b32 v25, 0
	v_add_co_u32 v2, vcc_lo, v14, v3
	s_wait_alu 0xfffd
	v_add_co_ci_u32_e64 v3, null, v15, v9, vcc_lo
	v_cvt_u32_f32_e32 v0, v0
	v_lshl_or_b32 v9, v35, 7, v10
	v_add_co_u32 v7, vcc_lo, v7, v12
	v_dual_mov_b32 v20, 0 :: v_dual_add_nc_u32 v51, -1, v52
	s_delay_alu instid0(VALU_DEP_4)
	v_mul_lo_u32 v11, v11, v0
	v_dual_mov_b32 v24, 0 :: v_dual_mov_b32 v29, 0
	v_dual_mov_b32 v28, 0 :: v_dual_mov_b32 v31, 0
	;; [unrolled: 1-line block ×4, first 2 shown]
	v_mul_hi_u32 v11, v0, v11
	v_dual_mov_b32 v66, 0 :: v_dual_mov_b32 v67, 0
	s_wait_alu 0xfffd
	v_add_co_ci_u32_e64 v8, null, 0, v8, vcc_lo
	s_wait_kmcnt 0x0
	v_add_nc_u32_e32 v14, s0, v9
	v_mov_b32_e32 v68, 0
	s_mov_b32 s8, -1
	v_add_nc_u32_e32 v15, v0, v11
	s_mov_b32 s9, 0xffffff
	s_mov_b32 s5, 0
	s_branch .LBB290_998
.LBB290_996:                            ;   in Loop: Header=BB290_998 Depth=1
	s_wait_alu 0xfffe
	s_or_b32 exec_lo, exec_lo, s0
	v_dual_add_f32 v11, v11, v12 :: v_dual_add_f32 v12, v134, v135
	v_add_f32_e32 v17, v132, v133
	v_dual_add_f32 v81, v130, v131 :: v_dual_add_f32 v82, v128, v129
	s_delay_alu instid0(VALU_DEP_3) | instskip(SKIP_1) | instid1(VALU_DEP_3)
	v_dual_add_f32 v21, v21, v11 :: v_dual_add_f32 v24, v24, v12
	v_dual_add_f32 v11, v118, v119 :: v_dual_add_f32 v12, v116, v117
	v_dual_add_f32 v28, v28, v81 :: v_dual_add_f32 v29, v29, v82
	v_dual_add_f32 v82, v102, v103 :: v_dual_add_f32 v25, v25, v17
	s_delay_alu instid0(VALU_DEP_3)
	v_add_f32_e32 v32, v32, v12
	;;#ASMSTART
	v_pk_mul_f16 v12, v80, v144;

	;;#ASMEND
	;;#ASMSTART
	v_pk_mul_f16 v10, v71, v10;

	;;#ASMEND
	;; [unrolled: 4-line block ×4, first 2 shown]
	;;#ASMSTART
	v_pk_add_f16 v10, v12, v10;

	;;#ASMEND
	;;#ASMSTART
	v_pk_add_f16 v9, v10, v9;

	;;#ASMEND
	;; [unrolled: 4-line block ×3, first 2 shown]
	v_dual_add_f32 v81, v112, v113 :: v_dual_and_b32 v12, 0xffff, v0
	v_add_f32_e32 v17, v114, v115
	;;#ASMSTART
	v_cvt_f32_f16 v12, v12;
	;;#ASMEND
	v_dual_add_f32 v31, v31, v11 :: v_dual_add_f32 v10, v52, v53
	s_delay_alu instid0(VALU_DEP_3) | instskip(NEXT) | instid1(VALU_DEP_3)
	v_add_f32_e32 v64, v64, v81
	v_add_f32_e32 v55, v55, v17
	v_lshrrev_b32_e32 v17, 16, v0
	v_dual_add_f32 v11, v100, v101 :: v_dual_add_f32 v0, v98, v99
	v_add_f32_e32 v9, v96, v97
	;;#ASMSTART
	v_cvt_f32_f16 v17, v17;
	;;#ASMEND
	s_delay_alu instid0(VALU_DEP_3) | instskip(NEXT) | instid1(VALU_DEP_3)
	v_dual_add_f32 v65, v65, v82 :: v_dual_add_f32 v12, v12, v17
	v_dual_add_f32 v66, v66, v11 :: v_dual_add_f32 v67, v67, v0
	s_delay_alu instid0(VALU_DEP_3) | instskip(NEXT) | instid1(VALU_DEP_3)
	v_dual_add_f32 v68, v68, v10 :: v_dual_add_f32 v69, v69, v9
	v_add_f32_e32 v20, v20, v12
.LBB290_997:                            ;   in Loop: Header=BB290_998 Depth=1
	s_wait_alu 0xfffe
	s_or_b32 exec_lo, exec_lo, s10
	v_add_nc_u32_e32 v23, 4, v23
	v_add_co_u32 v2, s0, v2, 16
	s_wait_alu 0xf1ff
	v_add_co_ci_u32_e64 v3, null, 0, v3, s0
	s_delay_alu instid0(VALU_DEP_3)
	v_cmp_ge_i32_e32 vcc_lo, v23, v49
	v_add_nc_u32_e32 v48, 0x80, v48
	v_add_nc_u32_e32 v14, 0x200, v14
	s_or_b32 s5, vcc_lo, s5
	s_wait_alu 0xfffe
	s_and_not1_b32 exec_lo, exec_lo, s5
	s_cbranch_execz .LBB290_1989
.LBB290_998:                            ; =>This Inner Loop Header: Depth=1
	v_sub_nc_u32_e32 v0, 0, v48
	s_delay_alu instid0(VALU_DEP_1) | instskip(NEXT) | instid1(VALU_DEP_1)
	v_max_i32_e32 v0, v48, v0
	v_mul_hi_u32 v9, v0, v38
	s_delay_alu instid0(VALU_DEP_1) | instskip(NEXT) | instid1(VALU_DEP_1)
	v_mul_lo_u32 v10, v9, v37
	v_sub_nc_u32_e32 v0, v0, v10
	v_add_nc_u32_e32 v10, 1, v9
	s_delay_alu instid0(VALU_DEP_2) | instskip(SKIP_2) | instid1(VALU_DEP_2)
	v_sub_nc_u32_e32 v11, v0, v37
	v_cmp_ge_u32_e32 vcc_lo, v0, v37
	s_wait_alu 0xfffd
	v_dual_cndmask_b32 v9, v9, v10 :: v_dual_cndmask_b32 v0, v0, v11
	v_ashrrev_i32_e32 v10, 31, v48
	s_delay_alu instid0(VALU_DEP_2) | instskip(NEXT) | instid1(VALU_DEP_3)
	v_add_nc_u32_e32 v11, 1, v9
	v_cmp_ge_u32_e32 vcc_lo, v0, v37
	s_delay_alu instid0(VALU_DEP_3) | instskip(SKIP_1) | instid1(VALU_DEP_3)
	v_xor_b32_e32 v10, v10, v39
	s_wait_alu 0xfffd
	v_cndmask_b32_e32 v0, v9, v11, vcc_lo
	s_delay_alu instid0(VALU_DEP_1) | instskip(NEXT) | instid1(VALU_DEP_1)
	v_xor_b32_e32 v0, v0, v10
	v_sub_nc_u32_e32 v0, v0, v10
	s_delay_alu instid0(VALU_DEP_1) | instskip(SKIP_1) | instid1(VALU_DEP_2)
	v_add_nc_u32_e32 v9, v0, v6
	v_cmp_gt_i32_e64 s0, v0, v50
	v_sub_nc_u32_e32 v10, 0, v9
	s_delay_alu instid0(VALU_DEP_1) | instskip(NEXT) | instid1(VALU_DEP_1)
	v_max_i32_e32 v10, v9, v10
	v_mul_hi_u32 v11, v10, v15
	s_delay_alu instid0(VALU_DEP_1) | instskip(NEXT) | instid1(VALU_DEP_1)
	v_mul_lo_u32 v11, v11, v30
	v_sub_nc_u32_e32 v10, v10, v11
	s_delay_alu instid0(VALU_DEP_1) | instskip(SKIP_2) | instid1(VALU_DEP_2)
	v_sub_nc_u32_e32 v11, v10, v30
	v_cmp_ge_u32_e32 vcc_lo, v10, v30
	s_wait_alu 0xfffd
	v_cndmask_b32_e32 v10, v10, v11, vcc_lo
	v_ashrrev_i32_e32 v9, 31, v9
	s_delay_alu instid0(VALU_DEP_2) | instskip(SKIP_2) | instid1(VALU_DEP_2)
	v_sub_nc_u32_e32 v11, v10, v30
	v_cmp_ge_u32_e32 vcc_lo, v10, v30
	s_wait_alu 0xfffd
	v_cndmask_b32_e32 v10, v10, v11, vcc_lo
	s_delay_alu instid0(VALU_DEP_1) | instskip(NEXT) | instid1(VALU_DEP_1)
	v_xor_b32_e32 v10, v10, v9
	v_sub_nc_u32_e32 v9, v10, v9
	s_delay_alu instid0(VALU_DEP_1)
	v_cmp_eq_u32_e32 vcc_lo, 0, v9
	s_or_b32 s0, vcc_lo, s0
	s_wait_alu 0xfffe
	s_and_saveexec_b32 s10, s0
	s_cbranch_execz .LBB290_997
; %bb.999:                              ;   in Loop: Header=BB290_998 Depth=1
	flat_load_b32 v0, v[2:3]
	ds_load_2addr_b64 v[80:83], v14 offset1:1
	ds_load_2addr_b64 v[84:87], v14 offset0:2 offset1:3
	s_mov_b32 s0, exec_lo
	s_wait_dscnt 0x1
	;;#ASMSTART
	v_cvt_f16_f32 v52, v80;

	;;#ASMEND
	;;#ASMSTART
	v_cvt_f16_f32 v53, v81;

	;;#ASMEND
	;; [unrolled: 4-line block ×4, first 2 shown]
	s_wait_dscnt 0x0
	;;#ASMSTART
	v_cvt_f16_f32 v80, v84;

	;;#ASMEND
	;;#ASMSTART
	v_cvt_f16_f32 v70, v85;

	;;#ASMEND
	;; [unrolled: 4-line block ×4, first 2 shown]
	v_dual_mov_b32 v82, 0 :: v_dual_mov_b32 v83, 0
	s_wait_loadcnt 0x0
	v_mad_co_i64_i32 v[9:10], null, v0, v22, v[7:8]
	flat_load_b64 v[11:12], v[9:10]
	flat_load_b32 v81, v[26:27]
	s_wait_loadcnt_dscnt 0x101
	v_and_b32_e32 v0, 0xff, v11
	s_delay_alu instid0(VALU_DEP_1)
	v_cmpx_ne_u16_e32 0, v0
	s_cbranch_execz .LBB290_1007
; %bb.1000:                             ;   in Loop: Header=BB290_998 Depth=1
	v_mov_b32_e32 v83, 0x8000
	s_mov_b32 s11, exec_lo
	v_cmpx_ne_u16_e32 0x80, v0
	s_cbranch_execz .LBB290_1006
; %bb.1001:                             ;   in Loop: Header=BB290_998 Depth=1
	v_and_b32_e32 v84, 0x7f, v11
	v_mov_b32_e32 v83, 0x7c01
	s_mov_b32 s14, exec_lo
	s_delay_alu instid0(VALU_DEP_2)
	v_cmpx_ne_u32_e32 0x7f, v84
	s_cbranch_execz .LBB290_1005
; %bb.1002:                             ;   in Loop: Header=BB290_998 Depth=1
	v_and_b32_e32 v0, 7, v11
	v_lshrrev_b32_e32 v17, 3, v84
	s_mov_b32 s15, exec_lo
	v_cmpx_gt_u32_e32 8, v84
; %bb.1003:                             ;   in Loop: Header=BB290_998 Depth=1
	s_delay_alu instid0(VALU_DEP_3) | instskip(NEXT) | instid1(VALU_DEP_1)
	v_clz_i32_u32_e32 v0, v0
	v_min_u32_e32 v0, 32, v0
	s_delay_alu instid0(VALU_DEP_1) | instskip(NEXT) | instid1(VALU_DEP_1)
	v_subrev_nc_u32_e32 v17, 28, v0
	v_lshlrev_b64_e32 v[83:84], v17, v[11:12]
	v_sub_nc_u32_e32 v17, 29, v0
	s_delay_alu instid0(VALU_DEP_2)
	v_and_b32_e32 v0, 7, v83
; %bb.1004:                             ;   in Loop: Header=BB290_998 Depth=1
	s_wait_alu 0xfffe
	s_or_b32 exec_lo, exec_lo, s15
	v_lshlrev_b32_e32 v83, 8, v11
	v_lshl_add_u32 v17, v17, 10, 0x2000
	v_lshlrev_b32_e32 v0, 7, v0
	s_delay_alu instid0(VALU_DEP_3) | instskip(NEXT) | instid1(VALU_DEP_3)
	v_and_b32_e32 v83, 0x8000, v83
	v_and_b32_e32 v17, 0xfc00, v17
	s_delay_alu instid0(VALU_DEP_1)
	v_or3_b32 v83, v83, v17, v0
.LBB290_1005:                           ;   in Loop: Header=BB290_998 Depth=1
	s_wait_alu 0xfffe
	s_or_b32 exec_lo, exec_lo, s14
.LBB290_1006:                           ;   in Loop: Header=BB290_998 Depth=1
	s_wait_alu 0xfffe
	s_or_b32 exec_lo, exec_lo, s11
.LBB290_1007:                           ;   in Loop: Header=BB290_998 Depth=1
	s_wait_alu 0xfffe
	s_or_b32 exec_lo, exec_lo, s0
	v_lshrrev_b16 v0, 8, v11
	s_mov_b32 s0, exec_lo
	s_delay_alu instid0(VALU_DEP_1)
	v_cmpx_ne_u16_e32 0, v0
	s_cbranch_execz .LBB290_1015
; %bb.1008:                             ;   in Loop: Header=BB290_998 Depth=1
	v_bfrev_b32_e32 v82, 1
	s_mov_b32 s11, exec_lo
	v_cmpx_ne_u16_e32 0x80, v0
	s_cbranch_execz .LBB290_1014
; %bb.1009:                             ;   in Loop: Header=BB290_998 Depth=1
	v_and_b32_e32 v17, 0xffff, v0
	v_mov_b32_e32 v82, 0x7c010000
	s_mov_b32 s14, exec_lo
	s_delay_alu instid0(VALU_DEP_2) | instskip(NEXT) | instid1(VALU_DEP_1)
	v_and_b32_e32 v85, 0x7f, v17
	v_cmpx_ne_u32_e32 0x7f, v85
	s_cbranch_execz .LBB290_1013
; %bb.1010:                             ;   in Loop: Header=BB290_998 Depth=1
	v_and_b32_e32 v82, 7, v17
	v_lshrrev_b32_e32 v84, 3, v85
	s_mov_b32 s15, exec_lo
	v_cmpx_gt_u32_e32 8, v85
; %bb.1011:                             ;   in Loop: Header=BB290_998 Depth=1
	s_delay_alu instid0(VALU_DEP_3) | instskip(NEXT) | instid1(VALU_DEP_1)
	v_clz_i32_u32_e32 v82, v82
	v_min_u32_e32 v82, 32, v82
	s_delay_alu instid0(VALU_DEP_1) | instskip(NEXT) | instid1(VALU_DEP_1)
	v_subrev_nc_u32_e32 v84, 28, v82
	v_lshlrev_b64_e32 v[85:86], v84, v[0:1]
	v_sub_nc_u32_e32 v84, 29, v82
	s_delay_alu instid0(VALU_DEP_2)
	v_and_b32_e32 v82, 7, v85
; %bb.1012:                             ;   in Loop: Header=BB290_998 Depth=1
	s_wait_alu 0xfffe
	s_or_b32 exec_lo, exec_lo, s15
	v_lshlrev_b32_e32 v0, 8, v17
	v_lshl_add_u32 v17, v84, 10, 0x2000
	s_delay_alu instid0(VALU_DEP_1) | instskip(SKIP_1) | instid1(VALU_DEP_1)
	v_and_or_b32 v0, 0x8000, v0, v17
	v_lshlrev_b32_e32 v17, 23, v82
	v_lshl_or_b32 v82, v0, 16, v17
.LBB290_1013:                           ;   in Loop: Header=BB290_998 Depth=1
	s_wait_alu 0xfffe
	s_or_b32 exec_lo, exec_lo, s14
.LBB290_1014:                           ;   in Loop: Header=BB290_998 Depth=1
	s_wait_alu 0xfffe
	s_or_b32 exec_lo, exec_lo, s11
.LBB290_1015:                           ;   in Loop: Header=BB290_998 Depth=1
	s_wait_alu 0xfffe
	s_or_b32 exec_lo, exec_lo, s0
	v_lshrrev_b32_e32 v0, 16, v11
	v_mov_b32_e32 v17, 0
	s_mov_b32 s0, exec_lo
	s_delay_alu instid0(VALU_DEP_2) | instskip(NEXT) | instid1(VALU_DEP_1)
	v_dual_mov_b32 v84, 0 :: v_dual_and_b32 v85, 0xff, v0
	v_cmpx_ne_u16_e32 0, v85
	s_cbranch_execz .LBB290_1023
; %bb.1016:                             ;   in Loop: Header=BB290_998 Depth=1
	v_mov_b32_e32 v17, 0x8000
	s_mov_b32 s11, exec_lo
	v_cmpx_ne_u16_e32 0x80, v85
	s_cbranch_execz .LBB290_1022
; %bb.1017:                             ;   in Loop: Header=BB290_998 Depth=1
	v_bfe_u32 v86, v11, 16, 7
	v_mov_b32_e32 v17, 0x7c01
	s_mov_b32 s14, exec_lo
	s_delay_alu instid0(VALU_DEP_2)
	v_cmpx_ne_u32_e32 0x7f, v86
	s_cbranch_execz .LBB290_1021
; %bb.1018:                             ;   in Loop: Header=BB290_998 Depth=1
	v_and_b32_e32 v17, 7, v0
	v_lshrrev_b32_e32 v85, 3, v86
	s_mov_b32 s15, exec_lo
	v_cmpx_gt_u32_e32 8, v86
; %bb.1019:                             ;   in Loop: Header=BB290_998 Depth=1
	s_delay_alu instid0(VALU_DEP_3) | instskip(NEXT) | instid1(VALU_DEP_1)
	v_clz_i32_u32_e32 v17, v17
	v_min_u32_e32 v17, 32, v17
	s_delay_alu instid0(VALU_DEP_1) | instskip(NEXT) | instid1(VALU_DEP_1)
	v_subrev_nc_u32_e32 v85, 28, v17
	v_lshlrev_b64_e32 v[86:87], v85, v[0:1]
	v_sub_nc_u32_e32 v85, 29, v17
	s_delay_alu instid0(VALU_DEP_2)
	v_and_b32_e32 v17, 7, v86
; %bb.1020:                             ;   in Loop: Header=BB290_998 Depth=1
	s_wait_alu 0xfffe
	s_or_b32 exec_lo, exec_lo, s15
	v_lshlrev_b32_e32 v0, 8, v0
	v_lshl_add_u32 v85, v85, 10, 0x2000
	v_lshlrev_b32_e32 v17, 7, v17
	s_delay_alu instid0(VALU_DEP_3) | instskip(NEXT) | instid1(VALU_DEP_3)
	v_and_b32_e32 v0, 0x8000, v0
	v_and_b32_e32 v85, 0xfc00, v85
	s_delay_alu instid0(VALU_DEP_1)
	v_or3_b32 v17, v0, v85, v17
.LBB290_1021:                           ;   in Loop: Header=BB290_998 Depth=1
	s_wait_alu 0xfffe
	s_or_b32 exec_lo, exec_lo, s14
.LBB290_1022:                           ;   in Loop: Header=BB290_998 Depth=1
	s_wait_alu 0xfffe
	s_or_b32 exec_lo, exec_lo, s11
.LBB290_1023:                           ;   in Loop: Header=BB290_998 Depth=1
	s_wait_alu 0xfffe
	s_or_b32 exec_lo, exec_lo, s0
	s_delay_alu instid0(SALU_CYCLE_1)
	s_mov_b32 s0, exec_lo
	v_cmpx_lt_u32_e32 0xffffff, v11
	s_cbranch_execz .LBB290_1031
; %bb.1024:                             ;   in Loop: Header=BB290_998 Depth=1
	v_lshrrev_b32_e32 v0, 24, v11
	v_bfrev_b32_e32 v84, 1
	s_mov_b32 s11, exec_lo
	s_delay_alu instid0(VALU_DEP_2)
	v_cmpx_ne_u32_e32 0x80, v0
	s_cbranch_execz .LBB290_1030
; %bb.1025:                             ;   in Loop: Header=BB290_998 Depth=1
	v_and_b32_e32 v86, 0x7f, v0
	v_mov_b32_e32 v84, 0x7c010000
	s_mov_b32 s14, exec_lo
	s_delay_alu instid0(VALU_DEP_2)
	v_cmpx_ne_u32_e32 0x7f, v86
	s_cbranch_execz .LBB290_1029
; %bb.1026:                             ;   in Loop: Header=BB290_998 Depth=1
	v_and_b32_e32 v84, 7, v0
	v_lshrrev_b32_e32 v85, 3, v86
	s_mov_b32 s15, exec_lo
	v_cmpx_gt_u32_e32 8, v86
; %bb.1027:                             ;   in Loop: Header=BB290_998 Depth=1
	s_delay_alu instid0(VALU_DEP_3) | instskip(NEXT) | instid1(VALU_DEP_1)
	v_clz_i32_u32_e32 v84, v84
	v_min_u32_e32 v86, 32, v84
	s_delay_alu instid0(VALU_DEP_1) | instskip(NEXT) | instid1(VALU_DEP_1)
	v_subrev_nc_u32_e32 v84, 28, v86
	v_lshlrev_b64_e32 v[84:85], v84, v[0:1]
	v_sub_nc_u32_e32 v85, 29, v86
	s_delay_alu instid0(VALU_DEP_2)
	v_and_b32_e32 v84, 7, v84
; %bb.1028:                             ;   in Loop: Header=BB290_998 Depth=1
	s_wait_alu 0xfffe
	s_or_b32 exec_lo, exec_lo, s15
	v_lshlrev_b32_e32 v0, 8, v0
	v_lshl_add_u32 v85, v85, 10, 0x2000
	v_lshlrev_b32_e32 v84, 23, v84
	s_delay_alu instid0(VALU_DEP_2) | instskip(NEXT) | instid1(VALU_DEP_1)
	v_and_or_b32 v0, 0x8000, v0, v85
	v_lshl_or_b32 v84, v0, 16, v84
.LBB290_1029:                           ;   in Loop: Header=BB290_998 Depth=1
	s_wait_alu 0xfffe
	s_or_b32 exec_lo, exec_lo, s14
.LBB290_1030:                           ;   in Loop: Header=BB290_998 Depth=1
	s_wait_alu 0xfffe
	s_or_b32 exec_lo, exec_lo, s11
.LBB290_1031:                           ;   in Loop: Header=BB290_998 Depth=1
	s_wait_alu 0xfffe
	s_or_b32 exec_lo, exec_lo, s0
	v_dual_mov_b32 v0, v12 :: v_dual_and_b32 v87, 0xff, v12
	v_dual_mov_b32 v85, 0 :: v_dual_mov_b32 v86, 0
	s_mov_b32 s0, exec_lo
	s_delay_alu instid0(VALU_DEP_2)
	v_cmpx_ne_u16_e32 0, v87
	s_cbranch_execz .LBB290_1039
; %bb.1032:                             ;   in Loop: Header=BB290_998 Depth=1
	v_mov_b32_e32 v86, 0x8000
	s_mov_b32 s11, exec_lo
	v_cmpx_ne_u16_e32 0x80, v87
	s_cbranch_execz .LBB290_1038
; %bb.1033:                             ;   in Loop: Header=BB290_998 Depth=1
	v_and_b32_e32 v98, 0x7f, v12
	v_mov_b32_e32 v86, 0x7c01
	s_mov_b32 s14, exec_lo
	s_delay_alu instid0(VALU_DEP_2)
	v_cmpx_ne_u32_e32 0x7f, v98
	s_cbranch_execz .LBB290_1037
; %bb.1034:                             ;   in Loop: Header=BB290_998 Depth=1
	v_and_b32_e32 v86, 7, v12
	v_lshrrev_b32_e32 v87, 3, v98
	s_mov_b32 s15, exec_lo
	v_cmpx_gt_u32_e32 8, v98
; %bb.1035:                             ;   in Loop: Header=BB290_998 Depth=1
	s_delay_alu instid0(VALU_DEP_3) | instskip(NEXT) | instid1(VALU_DEP_1)
	v_clz_i32_u32_e32 v86, v86
	v_min_u32_e32 v98, 32, v86
	s_delay_alu instid0(VALU_DEP_1) | instskip(NEXT) | instid1(VALU_DEP_1)
	v_subrev_nc_u32_e32 v86, 28, v98
	v_lshlrev_b64_e32 v[86:87], v86, v[0:1]
	v_sub_nc_u32_e32 v87, 29, v98
	s_delay_alu instid0(VALU_DEP_2)
	v_and_b32_e32 v86, 7, v86
; %bb.1036:                             ;   in Loop: Header=BB290_998 Depth=1
	s_wait_alu 0xfffe
	s_or_b32 exec_lo, exec_lo, s15
	v_lshlrev_b32_e32 v98, 8, v12
	v_lshl_add_u32 v87, v87, 10, 0x2000
	v_lshlrev_b32_e32 v86, 7, v86
	s_delay_alu instid0(VALU_DEP_3) | instskip(NEXT) | instid1(VALU_DEP_3)
	v_and_b32_e32 v98, 0x8000, v98
	v_and_b32_e32 v87, 0xfc00, v87
	s_delay_alu instid0(VALU_DEP_1)
	v_or3_b32 v86, v98, v87, v86
.LBB290_1037:                           ;   in Loop: Header=BB290_998 Depth=1
	s_wait_alu 0xfffe
	s_or_b32 exec_lo, exec_lo, s14
.LBB290_1038:                           ;   in Loop: Header=BB290_998 Depth=1
	s_wait_alu 0xfffe
	s_or_b32 exec_lo, exec_lo, s11
.LBB290_1039:                           ;   in Loop: Header=BB290_998 Depth=1
	s_wait_alu 0xfffe
	s_or_b32 exec_lo, exec_lo, s0
	v_lshrrev_b16 v0, 8, v0
	v_mov_b32_e32 v87, 0
	s_mov_b32 s0, exec_lo
	s_delay_alu instid0(VALU_DEP_2)
	v_cmpx_ne_u16_e32 0, v0
	s_cbranch_execz .LBB290_1047
; %bb.1040:                             ;   in Loop: Header=BB290_998 Depth=1
	v_bfrev_b32_e32 v87, 1
	s_mov_b32 s11, exec_lo
	v_cmpx_ne_u16_e32 0x80, v0
	s_cbranch_execz .LBB290_1046
; %bb.1041:                             ;   in Loop: Header=BB290_998 Depth=1
	v_and_b32_e32 v98, 0xffff, v0
	v_mov_b32_e32 v87, 0x7c010000
	s_mov_b32 s14, exec_lo
	s_delay_alu instid0(VALU_DEP_2) | instskip(NEXT) | instid1(VALU_DEP_1)
	v_and_b32_e32 v100, 0x7f, v98
	v_cmpx_ne_u32_e32 0x7f, v100
	s_cbranch_execz .LBB290_1045
; %bb.1042:                             ;   in Loop: Header=BB290_998 Depth=1
	v_and_b32_e32 v87, 7, v98
	v_lshrrev_b32_e32 v99, 3, v100
	s_mov_b32 s15, exec_lo
	v_cmpx_gt_u32_e32 8, v100
; %bb.1043:                             ;   in Loop: Header=BB290_998 Depth=1
	s_delay_alu instid0(VALU_DEP_3) | instskip(NEXT) | instid1(VALU_DEP_1)
	v_clz_i32_u32_e32 v87, v87
	v_min_u32_e32 v87, 32, v87
	s_delay_alu instid0(VALU_DEP_1) | instskip(NEXT) | instid1(VALU_DEP_1)
	v_subrev_nc_u32_e32 v99, 28, v87
	v_lshlrev_b64_e32 v[100:101], v99, v[0:1]
	v_sub_nc_u32_e32 v99, 29, v87
	s_delay_alu instid0(VALU_DEP_2)
	v_and_b32_e32 v87, 7, v100
; %bb.1044:                             ;   in Loop: Header=BB290_998 Depth=1
	s_wait_alu 0xfffe
	s_or_b32 exec_lo, exec_lo, s15
	v_lshlrev_b32_e32 v0, 8, v98
	v_lshl_add_u32 v98, v99, 10, 0x2000
	v_lshlrev_b32_e32 v87, 23, v87
	s_delay_alu instid0(VALU_DEP_2) | instskip(NEXT) | instid1(VALU_DEP_1)
	v_and_or_b32 v0, 0x8000, v0, v98
	v_lshl_or_b32 v87, v0, 16, v87
.LBB290_1045:                           ;   in Loop: Header=BB290_998 Depth=1
	s_wait_alu 0xfffe
	s_or_b32 exec_lo, exec_lo, s14
.LBB290_1046:                           ;   in Loop: Header=BB290_998 Depth=1
	s_wait_alu 0xfffe
	s_or_b32 exec_lo, exec_lo, s11
.LBB290_1047:                           ;   in Loop: Header=BB290_998 Depth=1
	s_wait_alu 0xfffe
	s_or_b32 exec_lo, exec_lo, s0
	v_lshrrev_b32_e32 v0, 16, v12
	s_mov_b32 s0, exec_lo
	s_delay_alu instid0(VALU_DEP_1) | instskip(NEXT) | instid1(VALU_DEP_1)
	v_and_b32_e32 v98, 0xff, v0
	v_cmpx_ne_u16_e32 0, v98
	s_cbranch_execz .LBB290_1055
; %bb.1048:                             ;   in Loop: Header=BB290_998 Depth=1
	v_mov_b32_e32 v85, 0x8000
	s_mov_b32 s11, exec_lo
	v_cmpx_ne_u16_e32 0x80, v98
	s_cbranch_execz .LBB290_1054
; %bb.1049:                             ;   in Loop: Header=BB290_998 Depth=1
	v_bfe_u32 v99, v12, 16, 7
	v_mov_b32_e32 v85, 0x7c01
	s_mov_b32 s14, exec_lo
	s_delay_alu instid0(VALU_DEP_2)
	v_cmpx_ne_u32_e32 0x7f, v99
	s_cbranch_execz .LBB290_1053
; %bb.1050:                             ;   in Loop: Header=BB290_998 Depth=1
	v_and_b32_e32 v85, 7, v0
	v_lshrrev_b32_e32 v98, 3, v99
	s_mov_b32 s15, exec_lo
	v_cmpx_gt_u32_e32 8, v99
; %bb.1051:                             ;   in Loop: Header=BB290_998 Depth=1
	s_delay_alu instid0(VALU_DEP_3) | instskip(NEXT) | instid1(VALU_DEP_1)
	v_clz_i32_u32_e32 v85, v85
	v_min_u32_e32 v85, 32, v85
	s_delay_alu instid0(VALU_DEP_1) | instskip(NEXT) | instid1(VALU_DEP_1)
	v_subrev_nc_u32_e32 v98, 28, v85
	v_lshlrev_b64_e32 v[99:100], v98, v[0:1]
	v_sub_nc_u32_e32 v98, 29, v85
	s_delay_alu instid0(VALU_DEP_2)
	v_and_b32_e32 v85, 7, v99
; %bb.1052:                             ;   in Loop: Header=BB290_998 Depth=1
	s_wait_alu 0xfffe
	s_or_b32 exec_lo, exec_lo, s15
	v_lshlrev_b32_e32 v0, 8, v0
	v_lshl_add_u32 v98, v98, 10, 0x2000
	v_lshlrev_b32_e32 v85, 7, v85
	s_delay_alu instid0(VALU_DEP_3) | instskip(NEXT) | instid1(VALU_DEP_3)
	v_and_b32_e32 v0, 0x8000, v0
	v_and_b32_e32 v98, 0xfc00, v98
	s_delay_alu instid0(VALU_DEP_1)
	v_or3_b32 v85, v0, v98, v85
.LBB290_1053:                           ;   in Loop: Header=BB290_998 Depth=1
	s_wait_alu 0xfffe
	s_or_b32 exec_lo, exec_lo, s14
.LBB290_1054:                           ;   in Loop: Header=BB290_998 Depth=1
	s_wait_alu 0xfffe
	s_or_b32 exec_lo, exec_lo, s11
.LBB290_1055:                           ;   in Loop: Header=BB290_998 Depth=1
	s_wait_alu 0xfffe
	s_or_b32 exec_lo, exec_lo, s0
	v_cmp_lt_u64_e32 vcc_lo, s[8:9], v[11:12]
	v_mov_b32_e32 v11, 0
	s_and_saveexec_b32 s0, vcc_lo
	s_cbranch_execz .LBB290_1063
; %bb.1056:                             ;   in Loop: Header=BB290_998 Depth=1
	v_lshrrev_b32_e32 v0, 24, v12
	v_bfrev_b32_e32 v11, 1
	s_mov_b32 s11, exec_lo
	s_delay_alu instid0(VALU_DEP_2)
	v_cmpx_ne_u32_e32 0x80, v0
	s_cbranch_execz .LBB290_1062
; %bb.1057:                             ;   in Loop: Header=BB290_998 Depth=1
	v_and_b32_e32 v98, 0x7f, v0
	v_mov_b32_e32 v11, 0x7c010000
	s_mov_b32 s14, exec_lo
	s_delay_alu instid0(VALU_DEP_2)
	v_cmpx_ne_u32_e32 0x7f, v98
	s_cbranch_execz .LBB290_1061
; %bb.1058:                             ;   in Loop: Header=BB290_998 Depth=1
	v_and_b32_e32 v11, 7, v0
	v_lshrrev_b32_e32 v12, 3, v98
	s_mov_b32 s15, exec_lo
	v_cmpx_gt_u32_e32 8, v98
; %bb.1059:                             ;   in Loop: Header=BB290_998 Depth=1
	s_delay_alu instid0(VALU_DEP_3) | instskip(NEXT) | instid1(VALU_DEP_1)
	v_clz_i32_u32_e32 v11, v11
	v_min_u32_e32 v98, 32, v11
	s_delay_alu instid0(VALU_DEP_1) | instskip(NEXT) | instid1(VALU_DEP_1)
	v_subrev_nc_u32_e32 v11, 28, v98
	v_lshlrev_b64_e32 v[11:12], v11, v[0:1]
	v_sub_nc_u32_e32 v12, 29, v98
	s_delay_alu instid0(VALU_DEP_2)
	v_and_b32_e32 v11, 7, v11
; %bb.1060:                             ;   in Loop: Header=BB290_998 Depth=1
	s_wait_alu 0xfffe
	s_or_b32 exec_lo, exec_lo, s15
	v_lshlrev_b32_e32 v0, 8, v0
	v_lshl_add_u32 v12, v12, 10, 0x2000
	v_lshlrev_b32_e32 v11, 23, v11
	s_delay_alu instid0(VALU_DEP_2) | instskip(NEXT) | instid1(VALU_DEP_1)
	v_and_or_b32 v0, 0x8000, v0, v12
	v_lshl_or_b32 v11, v0, 16, v11
.LBB290_1061:                           ;   in Loop: Header=BB290_998 Depth=1
	s_wait_alu 0xfffe
	s_or_b32 exec_lo, exec_lo, s14
.LBB290_1062:                           ;   in Loop: Header=BB290_998 Depth=1
	s_wait_alu 0xfffe
	s_or_b32 exec_lo, exec_lo, s11
.LBB290_1063:                           ;   in Loop: Header=BB290_998 Depth=1
	s_wait_alu 0xfffe
	s_or_b32 exec_lo, exec_lo, s0
	v_or_b32_e32 v0, v84, v17
	s_wait_loadcnt_dscnt 0x0
	v_fma_mixlo_f16 v12, v81, v84, 0 op_sel:[0,1,0] op_sel_hi:[0,1,0]
	v_or_b32_e32 v83, v82, v83
	v_fma_mixlo_f16 v82, v81, v82, 0 op_sel:[0,1,0] op_sel_hi:[0,1,0]
	v_or_b32_e32 v84, v87, v86
	v_fma_mixlo_f16 v0, v81, v0, 0 op_sel_hi:[0,1,0]
	v_or_b32_e32 v85, v11, v85
	v_fma_mixlo_f16 v11, v81, v11, 0 op_sel:[0,1,0] op_sel_hi:[0,1,0]
	v_lshlrev_b32_e32 v112, 16, v82
	v_fma_mixlo_f16 v82, v81, v87, 0 op_sel:[0,1,0] op_sel_hi:[0,1,0]
	v_and_b32_e32 v101, 0xffff, v0
	v_fma_mixlo_f16 v0, v81, v83, 0 op_sel_hi:[0,1,0]
	v_fma_mixlo_f16 v83, v81, v84, 0 op_sel_hi:[0,1,0]
	;; [unrolled: 1-line block ×3, first 2 shown]
	v_add_nc_u32_e32 v17, v16, v48
	v_lshlrev_b32_e32 v12, 16, v12
	v_and_b32_e32 v114, 0xffff, v0
	v_lshlrev_b32_e32 v102, 16, v82
	v_and_b32_e32 v113, 0xffff, v83
	;; [unrolled: 2-line block ×3, first 2 shown]
	v_cmp_eq_u32_e32 vcc_lo, v51, v23
	v_or_b32_e32 v0, v12, v101
	v_or_b32_e32 v11, v112, v114
	;; [unrolled: 1-line block ×4, first 2 shown]
	v_add_nc_u32_e32 v87, 1, v17
	v_add_nc_u32_e32 v86, 2, v17
	;; [unrolled: 1-line block ×7, first 2 shown]
	s_and_saveexec_b32 s11, vcc_lo
	s_cbranch_execz .LBB290_1065
; %bb.1064:                             ;   in Loop: Header=BB290_998 Depth=1
	v_cmp_lt_i32_e64 s0, v17, v34
	s_wait_alu 0xf1ff
	s_delay_alu instid0(VALU_DEP_1) | instskip(SKIP_2) | instid1(VALU_DEP_1)
	v_cndmask_b32_e64 v0, 0, v114, s0
	v_cmp_lt_i32_e64 s0, v87, v34
	s_wait_alu 0xf1ff
	v_cndmask_b32_e64 v11, 0, v112, s0
	v_cmp_lt_i32_e64 s0, v86, v34
	s_delay_alu instid0(VALU_DEP_2) | instskip(SKIP_1) | instid1(VALU_DEP_2)
	v_or_b32_e32 v11, v0, v11
	s_wait_alu 0xf1ff
	v_cndmask_b32_e64 v98, 0, v101, s0
	v_cmp_lt_i32_e64 s0, v85, v34
	s_wait_alu 0xf1ff
	s_delay_alu instid0(VALU_DEP_1) | instskip(SKIP_1) | instid1(VALU_DEP_2)
	v_cndmask_b32_e64 v12, 0, v12, s0
	v_cmp_lt_i32_e64 s0, v84, v34
	v_or_b32_e32 v0, v98, v12
	s_wait_alu 0xf1ff
	s_delay_alu instid0(VALU_DEP_2) | instskip(SKIP_2) | instid1(VALU_DEP_1)
	v_cndmask_b32_e64 v100, 0, v113, s0
	v_cmp_lt_i32_e64 s0, v83, v34
	s_wait_alu 0xf1ff
	v_cndmask_b32_e64 v101, 0, v102, s0
	v_cmp_lt_i32_e64 s0, v82, v34
	s_delay_alu instid0(VALU_DEP_2) | instskip(SKIP_1) | instid1(VALU_DEP_2)
	v_or_b32_e32 v98, v100, v101
	s_wait_alu 0xf1ff
	v_cndmask_b32_e64 v102, 0, v103, s0
	v_cmp_lt_i32_e64 s0, v81, v34
	s_wait_alu 0xf1ff
	s_delay_alu instid0(VALU_DEP_1) | instskip(NEXT) | instid1(VALU_DEP_1)
	v_cndmask_b32_e64 v99, 0, v99, s0
	v_or_b32_e32 v100, v102, v99
.LBB290_1065:                           ;   in Loop: Header=BB290_998 Depth=1
	s_wait_alu 0xfffe
	s_or_b32 exec_lo, exec_lo, s11
	v_and_b32_e32 v12, 0xffff, v52
	v_and_b32_e32 v52, 0xffff, v71
	v_and_b32_e32 v97, 0xffff, v97
	v_and_b32_e32 v99, 0xffff, v80
	s_mov_b32 s11, exec_lo
	s_delay_alu instid0(VALU_DEP_3) | instskip(NEXT) | instid1(VALU_DEP_3)
	v_lshl_or_b32 v71, v54, 16, v52
	v_lshl_or_b32 v54, v96, 16, v97
	v_mov_b32_e32 v97, 0
	v_lshl_or_b32 v80, v53, 16, v12
	;;#ASMSTART
	v_pk_mul_f16 v11, v80, v11;

	;;#ASMEND
	;;#ASMSTART
	v_pk_mul_f16 v0, v71, v0;

	;;#ASMEND
	v_lshl_or_b32 v70, v70, 16, v99
	;;#ASMSTART
	v_pk_mul_f16 v12, v70, v98;

	;;#ASMEND
	;;#ASMSTART
	v_pk_mul_f16 v52, v54, v100;

	;;#ASMEND
	;;#ASMSTART
	v_pk_add_f16 v0, v11, v0;

	;;#ASMEND
	;;#ASMSTART
	v_pk_add_f16 v0, v0, v12;
	;; [unrolled: 4-line block ×3, first 2 shown]

	;;#ASMEND
	v_and_b32_e32 v11, 0xffff, v0
	v_lshrrev_b32_e32 v0, 16, v0
	;;#ASMSTART
	v_cvt_f32_f16 v52, v11;
	;;#ASMEND
	;;#ASMSTART
	v_cvt_f32_f16 v53, v0;
	;;#ASMEND
	flat_load_b64 v[11:12], v[9:10] offset:256
	flat_load_b32 v96, v[26:27]
	v_mov_b32_e32 v98, 0
	s_wait_loadcnt_dscnt 0x101
	v_and_b32_e32 v0, 0xff, v11
	s_delay_alu instid0(VALU_DEP_1)
	v_cmpx_ne_u16_e32 0, v0
	s_cbranch_execz .LBB290_1073
; %bb.1066:                             ;   in Loop: Header=BB290_998 Depth=1
	v_mov_b32_e32 v98, 0x8000
	s_mov_b32 s14, exec_lo
	v_cmpx_ne_u16_e32 0x80, v0
	s_cbranch_execz .LBB290_1072
; %bb.1067:                             ;   in Loop: Header=BB290_998 Depth=1
	v_and_b32_e32 v99, 0x7f, v11
	v_mov_b32_e32 v98, 0x7c01
	s_mov_b32 s15, exec_lo
	s_delay_alu instid0(VALU_DEP_2)
	v_cmpx_ne_u32_e32 0x7f, v99
	s_cbranch_execz .LBB290_1071
; %bb.1068:                             ;   in Loop: Header=BB290_998 Depth=1
	v_and_b32_e32 v0, 7, v11
	v_lshrrev_b32_e32 v98, 3, v99
	s_mov_b32 s16, exec_lo
	v_cmpx_gt_u32_e32 8, v99
; %bb.1069:                             ;   in Loop: Header=BB290_998 Depth=1
	s_delay_alu instid0(VALU_DEP_3) | instskip(NEXT) | instid1(VALU_DEP_1)
	v_clz_i32_u32_e32 v0, v0
	v_min_u32_e32 v0, 32, v0
	s_delay_alu instid0(VALU_DEP_1) | instskip(NEXT) | instid1(VALU_DEP_1)
	v_subrev_nc_u32_e32 v98, 28, v0
	v_lshlrev_b64_e32 v[99:100], v98, v[11:12]
	v_sub_nc_u32_e32 v98, 29, v0
	s_delay_alu instid0(VALU_DEP_2)
	v_and_b32_e32 v0, 7, v99
; %bb.1070:                             ;   in Loop: Header=BB290_998 Depth=1
	s_wait_alu 0xfffe
	s_or_b32 exec_lo, exec_lo, s16
	v_lshlrev_b32_e32 v99, 8, v11
	v_lshl_add_u32 v98, v98, 10, 0x2000
	v_lshlrev_b32_e32 v0, 7, v0
	s_delay_alu instid0(VALU_DEP_3) | instskip(NEXT) | instid1(VALU_DEP_3)
	v_and_b32_e32 v99, 0x8000, v99
	v_and_b32_e32 v98, 0xfc00, v98
	s_delay_alu instid0(VALU_DEP_1)
	v_or3_b32 v98, v99, v98, v0
.LBB290_1071:                           ;   in Loop: Header=BB290_998 Depth=1
	s_wait_alu 0xfffe
	s_or_b32 exec_lo, exec_lo, s15
.LBB290_1072:                           ;   in Loop: Header=BB290_998 Depth=1
	s_wait_alu 0xfffe
	s_or_b32 exec_lo, exec_lo, s14
.LBB290_1073:                           ;   in Loop: Header=BB290_998 Depth=1
	s_wait_alu 0xfffe
	s_or_b32 exec_lo, exec_lo, s11
	v_lshrrev_b16 v0, 8, v11
	s_mov_b32 s11, exec_lo
	s_delay_alu instid0(VALU_DEP_1)
	v_cmpx_ne_u16_e32 0, v0
	s_cbranch_execz .LBB290_1081
; %bb.1074:                             ;   in Loop: Header=BB290_998 Depth=1
	v_bfrev_b32_e32 v97, 1
	s_mov_b32 s14, exec_lo
	v_cmpx_ne_u16_e32 0x80, v0
	s_cbranch_execz .LBB290_1080
; %bb.1075:                             ;   in Loop: Header=BB290_998 Depth=1
	v_and_b32_e32 v99, 0xffff, v0
	v_mov_b32_e32 v97, 0x7c010000
	s_mov_b32 s15, exec_lo
	s_delay_alu instid0(VALU_DEP_2) | instskip(NEXT) | instid1(VALU_DEP_1)
	v_and_b32_e32 v101, 0x7f, v99
	v_cmpx_ne_u32_e32 0x7f, v101
	s_cbranch_execz .LBB290_1079
; %bb.1076:                             ;   in Loop: Header=BB290_998 Depth=1
	v_and_b32_e32 v97, 7, v99
	v_lshrrev_b32_e32 v100, 3, v101
	s_mov_b32 s16, exec_lo
	v_cmpx_gt_u32_e32 8, v101
; %bb.1077:                             ;   in Loop: Header=BB290_998 Depth=1
	s_delay_alu instid0(VALU_DEP_3) | instskip(NEXT) | instid1(VALU_DEP_1)
	v_clz_i32_u32_e32 v97, v97
	v_min_u32_e32 v97, 32, v97
	s_delay_alu instid0(VALU_DEP_1) | instskip(NEXT) | instid1(VALU_DEP_1)
	v_subrev_nc_u32_e32 v100, 28, v97
	v_lshlrev_b64_e32 v[101:102], v100, v[0:1]
	v_sub_nc_u32_e32 v100, 29, v97
	s_delay_alu instid0(VALU_DEP_2)
	v_and_b32_e32 v97, 7, v101
; %bb.1078:                             ;   in Loop: Header=BB290_998 Depth=1
	s_wait_alu 0xfffe
	s_or_b32 exec_lo, exec_lo, s16
	v_lshlrev_b32_e32 v0, 8, v99
	v_lshl_add_u32 v99, v100, 10, 0x2000
	v_lshlrev_b32_e32 v97, 23, v97
	s_delay_alu instid0(VALU_DEP_2) | instskip(NEXT) | instid1(VALU_DEP_1)
	v_and_or_b32 v0, 0x8000, v0, v99
	v_lshl_or_b32 v97, v0, 16, v97
.LBB290_1079:                           ;   in Loop: Header=BB290_998 Depth=1
	s_wait_alu 0xfffe
	s_or_b32 exec_lo, exec_lo, s15
.LBB290_1080:                           ;   in Loop: Header=BB290_998 Depth=1
	s_wait_alu 0xfffe
	s_or_b32 exec_lo, exec_lo, s14
.LBB290_1081:                           ;   in Loop: Header=BB290_998 Depth=1
	s_wait_alu 0xfffe
	s_or_b32 exec_lo, exec_lo, s11
	v_lshrrev_b32_e32 v0, 16, v11
	v_mov_b32_e32 v99, 0
	s_mov_b32 s11, exec_lo
	s_delay_alu instid0(VALU_DEP_2) | instskip(NEXT) | instid1(VALU_DEP_1)
	v_dual_mov_b32 v100, 0 :: v_dual_and_b32 v101, 0xff, v0
	v_cmpx_ne_u16_e32 0, v101
	s_cbranch_execz .LBB290_1089
; %bb.1082:                             ;   in Loop: Header=BB290_998 Depth=1
	v_mov_b32_e32 v100, 0x8000
	s_mov_b32 s14, exec_lo
	v_cmpx_ne_u16_e32 0x80, v101
	s_cbranch_execz .LBB290_1088
; %bb.1083:                             ;   in Loop: Header=BB290_998 Depth=1
	v_bfe_u32 v102, v11, 16, 7
	v_mov_b32_e32 v100, 0x7c01
	s_mov_b32 s15, exec_lo
	s_delay_alu instid0(VALU_DEP_2)
	v_cmpx_ne_u32_e32 0x7f, v102
	s_cbranch_execz .LBB290_1087
; %bb.1084:                             ;   in Loop: Header=BB290_998 Depth=1
	v_and_b32_e32 v100, 7, v0
	v_lshrrev_b32_e32 v101, 3, v102
	s_mov_b32 s16, exec_lo
	v_cmpx_gt_u32_e32 8, v102
; %bb.1085:                             ;   in Loop: Header=BB290_998 Depth=1
	s_delay_alu instid0(VALU_DEP_3) | instskip(NEXT) | instid1(VALU_DEP_1)
	v_clz_i32_u32_e32 v100, v100
	v_min_u32_e32 v102, 32, v100
	s_delay_alu instid0(VALU_DEP_1) | instskip(NEXT) | instid1(VALU_DEP_1)
	v_subrev_nc_u32_e32 v100, 28, v102
	v_lshlrev_b64_e32 v[100:101], v100, v[0:1]
	v_sub_nc_u32_e32 v101, 29, v102
	s_delay_alu instid0(VALU_DEP_2)
	v_and_b32_e32 v100, 7, v100
; %bb.1086:                             ;   in Loop: Header=BB290_998 Depth=1
	s_wait_alu 0xfffe
	s_or_b32 exec_lo, exec_lo, s16
	v_lshlrev_b32_e32 v0, 8, v0
	v_lshl_add_u32 v101, v101, 10, 0x2000
	v_lshlrev_b32_e32 v100, 7, v100
	s_delay_alu instid0(VALU_DEP_3) | instskip(NEXT) | instid1(VALU_DEP_3)
	v_and_b32_e32 v0, 0x8000, v0
	v_and_b32_e32 v101, 0xfc00, v101
	s_delay_alu instid0(VALU_DEP_1)
	v_or3_b32 v100, v0, v101, v100
.LBB290_1087:                           ;   in Loop: Header=BB290_998 Depth=1
	s_wait_alu 0xfffe
	s_or_b32 exec_lo, exec_lo, s15
.LBB290_1088:                           ;   in Loop: Header=BB290_998 Depth=1
	s_wait_alu 0xfffe
	s_or_b32 exec_lo, exec_lo, s14
.LBB290_1089:                           ;   in Loop: Header=BB290_998 Depth=1
	s_wait_alu 0xfffe
	s_or_b32 exec_lo, exec_lo, s11
	s_delay_alu instid0(SALU_CYCLE_1)
	s_mov_b32 s11, exec_lo
	v_cmpx_lt_u32_e32 0xffffff, v11
	s_cbranch_execz .LBB290_1097
; %bb.1090:                             ;   in Loop: Header=BB290_998 Depth=1
	v_lshrrev_b32_e32 v0, 24, v11
	v_bfrev_b32_e32 v99, 1
	s_mov_b32 s14, exec_lo
	s_delay_alu instid0(VALU_DEP_2)
	v_cmpx_ne_u32_e32 0x80, v0
	s_cbranch_execz .LBB290_1096
; %bb.1091:                             ;   in Loop: Header=BB290_998 Depth=1
	v_and_b32_e32 v102, 0x7f, v0
	v_mov_b32_e32 v99, 0x7c010000
	s_mov_b32 s15, exec_lo
	s_delay_alu instid0(VALU_DEP_2)
	v_cmpx_ne_u32_e32 0x7f, v102
	s_cbranch_execz .LBB290_1095
; %bb.1092:                             ;   in Loop: Header=BB290_998 Depth=1
	v_and_b32_e32 v99, 7, v0
	v_lshrrev_b32_e32 v101, 3, v102
	s_mov_b32 s16, exec_lo
	v_cmpx_gt_u32_e32 8, v102
; %bb.1093:                             ;   in Loop: Header=BB290_998 Depth=1
	s_delay_alu instid0(VALU_DEP_3) | instskip(NEXT) | instid1(VALU_DEP_1)
	v_clz_i32_u32_e32 v99, v99
	v_min_u32_e32 v99, 32, v99
	s_delay_alu instid0(VALU_DEP_1) | instskip(NEXT) | instid1(VALU_DEP_1)
	v_subrev_nc_u32_e32 v101, 28, v99
	v_lshlrev_b64_e32 v[102:103], v101, v[0:1]
	v_sub_nc_u32_e32 v101, 29, v99
	s_delay_alu instid0(VALU_DEP_2)
	v_and_b32_e32 v99, 7, v102
; %bb.1094:                             ;   in Loop: Header=BB290_998 Depth=1
	s_wait_alu 0xfffe
	s_or_b32 exec_lo, exec_lo, s16
	v_lshlrev_b32_e32 v0, 8, v0
	v_lshl_add_u32 v101, v101, 10, 0x2000
	v_lshlrev_b32_e32 v99, 23, v99
	s_delay_alu instid0(VALU_DEP_2) | instskip(NEXT) | instid1(VALU_DEP_1)
	v_and_or_b32 v0, 0x8000, v0, v101
	v_lshl_or_b32 v99, v0, 16, v99
.LBB290_1095:                           ;   in Loop: Header=BB290_998 Depth=1
	s_wait_alu 0xfffe
	s_or_b32 exec_lo, exec_lo, s15
.LBB290_1096:                           ;   in Loop: Header=BB290_998 Depth=1
	s_wait_alu 0xfffe
	s_or_b32 exec_lo, exec_lo, s14
.LBB290_1097:                           ;   in Loop: Header=BB290_998 Depth=1
	s_wait_alu 0xfffe
	s_or_b32 exec_lo, exec_lo, s11
	v_dual_mov_b32 v0, v12 :: v_dual_and_b32 v103, 0xff, v12
	v_dual_mov_b32 v101, 0 :: v_dual_mov_b32 v102, 0
	s_mov_b32 s11, exec_lo
	s_delay_alu instid0(VALU_DEP_2)
	v_cmpx_ne_u16_e32 0, v103
	s_cbranch_execz .LBB290_1105
; %bb.1098:                             ;   in Loop: Header=BB290_998 Depth=1
	v_mov_b32_e32 v102, 0x8000
	s_mov_b32 s14, exec_lo
	v_cmpx_ne_u16_e32 0x80, v103
	s_cbranch_execz .LBB290_1104
; %bb.1099:                             ;   in Loop: Header=BB290_998 Depth=1
	v_and_b32_e32 v112, 0x7f, v12
	v_mov_b32_e32 v102, 0x7c01
	s_mov_b32 s15, exec_lo
	s_delay_alu instid0(VALU_DEP_2)
	v_cmpx_ne_u32_e32 0x7f, v112
	s_cbranch_execz .LBB290_1103
; %bb.1100:                             ;   in Loop: Header=BB290_998 Depth=1
	v_and_b32_e32 v102, 7, v12
	v_lshrrev_b32_e32 v103, 3, v112
	s_mov_b32 s16, exec_lo
	v_cmpx_gt_u32_e32 8, v112
; %bb.1101:                             ;   in Loop: Header=BB290_998 Depth=1
	s_delay_alu instid0(VALU_DEP_3) | instskip(NEXT) | instid1(VALU_DEP_1)
	v_clz_i32_u32_e32 v102, v102
	v_min_u32_e32 v112, 32, v102
	s_delay_alu instid0(VALU_DEP_1) | instskip(NEXT) | instid1(VALU_DEP_1)
	v_subrev_nc_u32_e32 v102, 28, v112
	v_lshlrev_b64_e32 v[102:103], v102, v[0:1]
	v_sub_nc_u32_e32 v103, 29, v112
	s_delay_alu instid0(VALU_DEP_2)
	v_and_b32_e32 v102, 7, v102
; %bb.1102:                             ;   in Loop: Header=BB290_998 Depth=1
	s_wait_alu 0xfffe
	s_or_b32 exec_lo, exec_lo, s16
	v_lshlrev_b32_e32 v112, 8, v12
	v_lshl_add_u32 v103, v103, 10, 0x2000
	v_lshlrev_b32_e32 v102, 7, v102
	s_delay_alu instid0(VALU_DEP_3) | instskip(NEXT) | instid1(VALU_DEP_3)
	v_and_b32_e32 v112, 0x8000, v112
	v_and_b32_e32 v103, 0xfc00, v103
	s_delay_alu instid0(VALU_DEP_1)
	v_or3_b32 v102, v112, v103, v102
.LBB290_1103:                           ;   in Loop: Header=BB290_998 Depth=1
	s_wait_alu 0xfffe
	s_or_b32 exec_lo, exec_lo, s15
.LBB290_1104:                           ;   in Loop: Header=BB290_998 Depth=1
	s_wait_alu 0xfffe
	s_or_b32 exec_lo, exec_lo, s14
.LBB290_1105:                           ;   in Loop: Header=BB290_998 Depth=1
	s_wait_alu 0xfffe
	s_or_b32 exec_lo, exec_lo, s11
	v_lshrrev_b16 v0, 8, v0
	v_mov_b32_e32 v103, 0
	s_mov_b32 s11, exec_lo
	s_delay_alu instid0(VALU_DEP_2)
	v_cmpx_ne_u16_e32 0, v0
	s_cbranch_execz .LBB290_1113
; %bb.1106:                             ;   in Loop: Header=BB290_998 Depth=1
	v_bfrev_b32_e32 v103, 1
	s_mov_b32 s14, exec_lo
	v_cmpx_ne_u16_e32 0x80, v0
	s_cbranch_execz .LBB290_1112
; %bb.1107:                             ;   in Loop: Header=BB290_998 Depth=1
	v_and_b32_e32 v112, 0xffff, v0
	v_mov_b32_e32 v103, 0x7c010000
	s_mov_b32 s15, exec_lo
	s_delay_alu instid0(VALU_DEP_2) | instskip(NEXT) | instid1(VALU_DEP_1)
	v_and_b32_e32 v114, 0x7f, v112
	v_cmpx_ne_u32_e32 0x7f, v114
	s_cbranch_execz .LBB290_1111
; %bb.1108:                             ;   in Loop: Header=BB290_998 Depth=1
	v_and_b32_e32 v103, 7, v112
	v_lshrrev_b32_e32 v113, 3, v114
	s_mov_b32 s16, exec_lo
	v_cmpx_gt_u32_e32 8, v114
; %bb.1109:                             ;   in Loop: Header=BB290_998 Depth=1
	s_delay_alu instid0(VALU_DEP_3) | instskip(NEXT) | instid1(VALU_DEP_1)
	v_clz_i32_u32_e32 v103, v103
	v_min_u32_e32 v103, 32, v103
	s_delay_alu instid0(VALU_DEP_1) | instskip(NEXT) | instid1(VALU_DEP_1)
	v_subrev_nc_u32_e32 v113, 28, v103
	v_lshlrev_b64_e32 v[114:115], v113, v[0:1]
	v_sub_nc_u32_e32 v113, 29, v103
	s_delay_alu instid0(VALU_DEP_2)
	v_and_b32_e32 v103, 7, v114
; %bb.1110:                             ;   in Loop: Header=BB290_998 Depth=1
	s_wait_alu 0xfffe
	s_or_b32 exec_lo, exec_lo, s16
	v_lshlrev_b32_e32 v0, 8, v112
	v_lshl_add_u32 v112, v113, 10, 0x2000
	v_lshlrev_b32_e32 v103, 23, v103
	s_delay_alu instid0(VALU_DEP_2) | instskip(NEXT) | instid1(VALU_DEP_1)
	v_and_or_b32 v0, 0x8000, v0, v112
	v_lshl_or_b32 v103, v0, 16, v103
.LBB290_1111:                           ;   in Loop: Header=BB290_998 Depth=1
	s_wait_alu 0xfffe
	s_or_b32 exec_lo, exec_lo, s15
.LBB290_1112:                           ;   in Loop: Header=BB290_998 Depth=1
	s_wait_alu 0xfffe
	s_or_b32 exec_lo, exec_lo, s14
.LBB290_1113:                           ;   in Loop: Header=BB290_998 Depth=1
	s_wait_alu 0xfffe
	s_or_b32 exec_lo, exec_lo, s11
	v_lshrrev_b32_e32 v0, 16, v12
	s_mov_b32 s11, exec_lo
	s_delay_alu instid0(VALU_DEP_1) | instskip(NEXT) | instid1(VALU_DEP_1)
	v_and_b32_e32 v112, 0xff, v0
	v_cmpx_ne_u16_e32 0, v112
	s_cbranch_execz .LBB290_1121
; %bb.1114:                             ;   in Loop: Header=BB290_998 Depth=1
	v_mov_b32_e32 v101, 0x8000
	s_mov_b32 s14, exec_lo
	v_cmpx_ne_u16_e32 0x80, v112
	s_cbranch_execz .LBB290_1120
; %bb.1115:                             ;   in Loop: Header=BB290_998 Depth=1
	v_bfe_u32 v113, v12, 16, 7
	v_mov_b32_e32 v101, 0x7c01
	s_mov_b32 s15, exec_lo
	s_delay_alu instid0(VALU_DEP_2)
	v_cmpx_ne_u32_e32 0x7f, v113
	s_cbranch_execz .LBB290_1119
; %bb.1116:                             ;   in Loop: Header=BB290_998 Depth=1
	v_and_b32_e32 v101, 7, v0
	v_lshrrev_b32_e32 v112, 3, v113
	s_mov_b32 s16, exec_lo
	v_cmpx_gt_u32_e32 8, v113
; %bb.1117:                             ;   in Loop: Header=BB290_998 Depth=1
	s_delay_alu instid0(VALU_DEP_3) | instskip(NEXT) | instid1(VALU_DEP_1)
	v_clz_i32_u32_e32 v101, v101
	v_min_u32_e32 v101, 32, v101
	s_delay_alu instid0(VALU_DEP_1) | instskip(NEXT) | instid1(VALU_DEP_1)
	v_subrev_nc_u32_e32 v112, 28, v101
	v_lshlrev_b64_e32 v[113:114], v112, v[0:1]
	v_sub_nc_u32_e32 v112, 29, v101
	s_delay_alu instid0(VALU_DEP_2)
	v_and_b32_e32 v101, 7, v113
; %bb.1118:                             ;   in Loop: Header=BB290_998 Depth=1
	s_wait_alu 0xfffe
	s_or_b32 exec_lo, exec_lo, s16
	v_lshlrev_b32_e32 v0, 8, v0
	v_lshl_add_u32 v112, v112, 10, 0x2000
	v_lshlrev_b32_e32 v101, 7, v101
	s_delay_alu instid0(VALU_DEP_3) | instskip(NEXT) | instid1(VALU_DEP_3)
	v_and_b32_e32 v0, 0x8000, v0
	v_and_b32_e32 v112, 0xfc00, v112
	s_delay_alu instid0(VALU_DEP_1)
	v_or3_b32 v101, v0, v112, v101
.LBB290_1119:                           ;   in Loop: Header=BB290_998 Depth=1
	s_wait_alu 0xfffe
	s_or_b32 exec_lo, exec_lo, s15
.LBB290_1120:                           ;   in Loop: Header=BB290_998 Depth=1
	s_wait_alu 0xfffe
	s_or_b32 exec_lo, exec_lo, s14
.LBB290_1121:                           ;   in Loop: Header=BB290_998 Depth=1
	s_wait_alu 0xfffe
	s_or_b32 exec_lo, exec_lo, s11
	v_cmp_lt_u64_e64 s0, s[8:9], v[11:12]
	v_mov_b32_e32 v11, 0
	s_and_saveexec_b32 s11, s0
	s_cbranch_execz .LBB290_1129
; %bb.1122:                             ;   in Loop: Header=BB290_998 Depth=1
	v_lshrrev_b32_e32 v0, 24, v12
	v_bfrev_b32_e32 v11, 1
	s_mov_b32 s14, exec_lo
	s_delay_alu instid0(VALU_DEP_2)
	v_cmpx_ne_u32_e32 0x80, v0
	s_cbranch_execz .LBB290_1128
; %bb.1123:                             ;   in Loop: Header=BB290_998 Depth=1
	v_and_b32_e32 v112, 0x7f, v0
	v_mov_b32_e32 v11, 0x7c010000
	s_mov_b32 s15, exec_lo
	s_delay_alu instid0(VALU_DEP_2)
	v_cmpx_ne_u32_e32 0x7f, v112
	s_cbranch_execz .LBB290_1127
; %bb.1124:                             ;   in Loop: Header=BB290_998 Depth=1
	v_and_b32_e32 v11, 7, v0
	v_lshrrev_b32_e32 v12, 3, v112
	s_mov_b32 s16, exec_lo
	v_cmpx_gt_u32_e32 8, v112
; %bb.1125:                             ;   in Loop: Header=BB290_998 Depth=1
	s_delay_alu instid0(VALU_DEP_3) | instskip(NEXT) | instid1(VALU_DEP_1)
	v_clz_i32_u32_e32 v11, v11
	v_min_u32_e32 v112, 32, v11
	s_delay_alu instid0(VALU_DEP_1) | instskip(NEXT) | instid1(VALU_DEP_1)
	v_subrev_nc_u32_e32 v11, 28, v112
	v_lshlrev_b64_e32 v[11:12], v11, v[0:1]
	v_sub_nc_u32_e32 v12, 29, v112
	s_delay_alu instid0(VALU_DEP_2)
	v_and_b32_e32 v11, 7, v11
; %bb.1126:                             ;   in Loop: Header=BB290_998 Depth=1
	s_wait_alu 0xfffe
	s_or_b32 exec_lo, exec_lo, s16
	v_lshlrev_b32_e32 v0, 8, v0
	v_lshl_add_u32 v12, v12, 10, 0x2000
	v_lshlrev_b32_e32 v11, 23, v11
	s_delay_alu instid0(VALU_DEP_2) | instskip(NEXT) | instid1(VALU_DEP_1)
	v_and_or_b32 v0, 0x8000, v0, v12
	v_lshl_or_b32 v11, v0, 16, v11
.LBB290_1127:                           ;   in Loop: Header=BB290_998 Depth=1
	s_wait_alu 0xfffe
	s_or_b32 exec_lo, exec_lo, s15
.LBB290_1128:                           ;   in Loop: Header=BB290_998 Depth=1
	s_wait_alu 0xfffe
	s_or_b32 exec_lo, exec_lo, s14
.LBB290_1129:                           ;   in Loop: Header=BB290_998 Depth=1
	s_wait_alu 0xfffe
	s_or_b32 exec_lo, exec_lo, s11
	v_or_b32_e32 v0, v99, v100
	s_wait_loadcnt_dscnt 0x0
	v_fma_mixlo_f16 v12, v96, v99, 0 op_sel:[0,1,0] op_sel_hi:[0,1,0]
	v_or_b32_e32 v99, v97, v98
	v_fma_mixlo_f16 v97, v96, v97, 0 op_sel:[0,1,0] op_sel_hi:[0,1,0]
	v_or_b32_e32 v100, v103, v102
	v_or_b32_e32 v101, v11, v101
	v_fma_mixlo_f16 v102, v96, v0, 0 op_sel_hi:[0,1,0]
	v_fma_mixlo_f16 v11, v96, v11, 0 op_sel:[0,1,0] op_sel_hi:[0,1,0]
	v_lshlrev_b32_e32 v98, 16, v97
	v_fma_mixlo_f16 v97, v96, v99, 0 op_sel_hi:[0,1,0]
	v_fma_mixlo_f16 v99, v96, v103, 0 op_sel:[0,1,0] op_sel_hi:[0,1,0]
	v_fma_mixlo_f16 v100, v96, v100, 0 op_sel_hi:[0,1,0]
	v_fma_mixlo_f16 v101, v96, v101, 0 op_sel_hi:[0,1,0]
	v_lshlrev_b32_e32 v0, 16, v12
	v_and_b32_e32 v12, 0xffff, v102
	v_and_b32_e32 v112, 0xffff, v97
	v_lshlrev_b32_e32 v96, 16, v99
	v_and_b32_e32 v100, 0xffff, v100
	v_lshlrev_b32_e32 v11, 16, v11
	v_and_b32_e32 v97, 0xffff, v101
	v_or_b32_e32 v99, v0, v12
	v_or_b32_e32 v103, v98, v112
	;; [unrolled: 1-line block ×3, first 2 shown]
	s_delay_alu instid0(VALU_DEP_4)
	v_or_b32_e32 v101, v11, v97
	s_and_saveexec_b32 s11, vcc_lo
	s_cbranch_execz .LBB290_1131
; %bb.1130:                             ;   in Loop: Header=BB290_998 Depth=1
	v_cmp_lt_i32_e64 s0, v17, v34
	s_wait_alu 0xf1ff
	s_delay_alu instid0(VALU_DEP_1) | instskip(SKIP_2) | instid1(VALU_DEP_1)
	v_cndmask_b32_e64 v99, 0, v112, s0
	v_cmp_lt_i32_e64 s0, v87, v34
	s_wait_alu 0xf1ff
	v_cndmask_b32_e64 v98, 0, v98, s0
	v_cmp_lt_i32_e64 s0, v86, v34
	s_delay_alu instid0(VALU_DEP_2) | instskip(SKIP_1) | instid1(VALU_DEP_2)
	v_or_b32_e32 v103, v99, v98
	s_wait_alu 0xf1ff
	v_cndmask_b32_e64 v12, 0, v12, s0
	v_cmp_lt_i32_e64 s0, v85, v34
	s_wait_alu 0xf1ff
	s_delay_alu instid0(VALU_DEP_1) | instskip(SKIP_1) | instid1(VALU_DEP_2)
	v_cndmask_b32_e64 v0, 0, v0, s0
	v_cmp_lt_i32_e64 s0, v84, v34
	v_or_b32_e32 v99, v12, v0
	s_wait_alu 0xf1ff
	s_delay_alu instid0(VALU_DEP_2) | instskip(SKIP_2) | instid1(VALU_DEP_1)
	v_cndmask_b32_e64 v100, 0, v100, s0
	v_cmp_lt_i32_e64 s0, v83, v34
	s_wait_alu 0xf1ff
	v_cndmask_b32_e64 v96, 0, v96, s0
	v_cmp_lt_i32_e64 s0, v82, v34
	s_delay_alu instid0(VALU_DEP_2) | instskip(SKIP_1) | instid1(VALU_DEP_2)
	v_or_b32_e32 v102, v100, v96
	s_wait_alu 0xf1ff
	v_cndmask_b32_e64 v97, 0, v97, s0
	v_cmp_lt_i32_e64 s0, v81, v34
	s_wait_alu 0xf1ff
	s_delay_alu instid0(VALU_DEP_1) | instskip(NEXT) | instid1(VALU_DEP_1)
	v_cndmask_b32_e64 v11, 0, v11, s0
	v_or_b32_e32 v101, v97, v11
.LBB290_1131:                           ;   in Loop: Header=BB290_998 Depth=1
	s_wait_alu 0xfffe
	s_or_b32 exec_lo, exec_lo, s11
	;;#ASMSTART
	v_pk_mul_f16 v0, v80, v103;

	;;#ASMEND
	;;#ASMSTART
	v_pk_mul_f16 v11, v71, v99;

	;;#ASMEND
	;; [unrolled: 4-line block ×4, first 2 shown]
	;;#ASMSTART
	v_pk_add_f16 v0, v0, v11;

	;;#ASMEND
	;;#ASMSTART
	v_pk_add_f16 v0, v0, v12;

	;;#ASMEND
	;;#ASMSTART
	v_pk_add_f16 v0, v0, v96;

	;;#ASMEND
	v_dual_mov_b32 v100, 0 :: v_dual_and_b32 v11, 0xffff, v0
	v_lshrrev_b32_e32 v0, 16, v0
	;;#ASMSTART
	v_cvt_f32_f16 v96, v11;
	;;#ASMEND
	;;#ASMSTART
	v_cvt_f32_f16 v97, v0;
	;;#ASMEND
	flat_load_b64 v[11:12], v[9:10] offset:512
	flat_load_b32 v98, v[26:27]
	s_mov_b32 s11, exec_lo
	s_wait_loadcnt_dscnt 0x101
	v_dual_mov_b32 v99, 0 :: v_dual_and_b32 v0, 0xff, v11
	s_delay_alu instid0(VALU_DEP_1)
	v_cmpx_ne_u16_e32 0, v0
	s_cbranch_execz .LBB290_1139
; %bb.1132:                             ;   in Loop: Header=BB290_998 Depth=1
	v_mov_b32_e32 v100, 0x8000
	s_mov_b32 s14, exec_lo
	v_cmpx_ne_u16_e32 0x80, v0
	s_cbranch_execz .LBB290_1138
; %bb.1133:                             ;   in Loop: Header=BB290_998 Depth=1
	v_and_b32_e32 v101, 0x7f, v11
	v_mov_b32_e32 v100, 0x7c01
	s_mov_b32 s15, exec_lo
	s_delay_alu instid0(VALU_DEP_2)
	v_cmpx_ne_u32_e32 0x7f, v101
	s_cbranch_execz .LBB290_1137
; %bb.1134:                             ;   in Loop: Header=BB290_998 Depth=1
	v_and_b32_e32 v0, 7, v11
	v_lshrrev_b32_e32 v100, 3, v101
	s_mov_b32 s16, exec_lo
	v_cmpx_gt_u32_e32 8, v101
; %bb.1135:                             ;   in Loop: Header=BB290_998 Depth=1
	s_delay_alu instid0(VALU_DEP_3) | instskip(NEXT) | instid1(VALU_DEP_1)
	v_clz_i32_u32_e32 v0, v0
	v_min_u32_e32 v0, 32, v0
	s_delay_alu instid0(VALU_DEP_1) | instskip(NEXT) | instid1(VALU_DEP_1)
	v_subrev_nc_u32_e32 v100, 28, v0
	v_lshlrev_b64_e32 v[101:102], v100, v[11:12]
	v_sub_nc_u32_e32 v100, 29, v0
	s_delay_alu instid0(VALU_DEP_2)
	v_and_b32_e32 v0, 7, v101
; %bb.1136:                             ;   in Loop: Header=BB290_998 Depth=1
	s_wait_alu 0xfffe
	s_or_b32 exec_lo, exec_lo, s16
	v_lshlrev_b32_e32 v101, 8, v11
	v_lshl_add_u32 v100, v100, 10, 0x2000
	v_lshlrev_b32_e32 v0, 7, v0
	s_delay_alu instid0(VALU_DEP_3) | instskip(NEXT) | instid1(VALU_DEP_3)
	v_and_b32_e32 v101, 0x8000, v101
	v_and_b32_e32 v100, 0xfc00, v100
	s_delay_alu instid0(VALU_DEP_1)
	v_or3_b32 v100, v101, v100, v0
.LBB290_1137:                           ;   in Loop: Header=BB290_998 Depth=1
	s_wait_alu 0xfffe
	s_or_b32 exec_lo, exec_lo, s15
.LBB290_1138:                           ;   in Loop: Header=BB290_998 Depth=1
	s_wait_alu 0xfffe
	s_or_b32 exec_lo, exec_lo, s14
.LBB290_1139:                           ;   in Loop: Header=BB290_998 Depth=1
	s_wait_alu 0xfffe
	s_or_b32 exec_lo, exec_lo, s11
	v_lshrrev_b16 v0, 8, v11
	s_mov_b32 s11, exec_lo
	s_delay_alu instid0(VALU_DEP_1)
	v_cmpx_ne_u16_e32 0, v0
	s_cbranch_execz .LBB290_1147
; %bb.1140:                             ;   in Loop: Header=BB290_998 Depth=1
	v_bfrev_b32_e32 v99, 1
	s_mov_b32 s14, exec_lo
	v_cmpx_ne_u16_e32 0x80, v0
	s_cbranch_execz .LBB290_1146
; %bb.1141:                             ;   in Loop: Header=BB290_998 Depth=1
	v_and_b32_e32 v101, 0xffff, v0
	v_mov_b32_e32 v99, 0x7c010000
	s_mov_b32 s15, exec_lo
	s_delay_alu instid0(VALU_DEP_2) | instskip(NEXT) | instid1(VALU_DEP_1)
	v_and_b32_e32 v103, 0x7f, v101
	v_cmpx_ne_u32_e32 0x7f, v103
	s_cbranch_execz .LBB290_1145
; %bb.1142:                             ;   in Loop: Header=BB290_998 Depth=1
	v_and_b32_e32 v99, 7, v101
	v_lshrrev_b32_e32 v102, 3, v103
	s_mov_b32 s16, exec_lo
	v_cmpx_gt_u32_e32 8, v103
; %bb.1143:                             ;   in Loop: Header=BB290_998 Depth=1
	s_delay_alu instid0(VALU_DEP_3) | instskip(NEXT) | instid1(VALU_DEP_1)
	v_clz_i32_u32_e32 v99, v99
	v_min_u32_e32 v99, 32, v99
	s_delay_alu instid0(VALU_DEP_1) | instskip(NEXT) | instid1(VALU_DEP_1)
	v_subrev_nc_u32_e32 v102, 28, v99
	v_lshlrev_b64_e32 v[112:113], v102, v[0:1]
	v_sub_nc_u32_e32 v102, 29, v99
	s_delay_alu instid0(VALU_DEP_2)
	v_and_b32_e32 v99, 7, v112
; %bb.1144:                             ;   in Loop: Header=BB290_998 Depth=1
	s_wait_alu 0xfffe
	s_or_b32 exec_lo, exec_lo, s16
	v_lshlrev_b32_e32 v0, 8, v101
	v_lshl_add_u32 v101, v102, 10, 0x2000
	v_lshlrev_b32_e32 v99, 23, v99
	s_delay_alu instid0(VALU_DEP_2) | instskip(NEXT) | instid1(VALU_DEP_1)
	v_and_or_b32 v0, 0x8000, v0, v101
	v_lshl_or_b32 v99, v0, 16, v99
.LBB290_1145:                           ;   in Loop: Header=BB290_998 Depth=1
	s_wait_alu 0xfffe
	s_or_b32 exec_lo, exec_lo, s15
.LBB290_1146:                           ;   in Loop: Header=BB290_998 Depth=1
	s_wait_alu 0xfffe
	s_or_b32 exec_lo, exec_lo, s14
.LBB290_1147:                           ;   in Loop: Header=BB290_998 Depth=1
	s_wait_alu 0xfffe
	s_or_b32 exec_lo, exec_lo, s11
	v_lshrrev_b32_e32 v0, 16, v11
	v_mov_b32_e32 v101, 0
	s_mov_b32 s11, exec_lo
	s_delay_alu instid0(VALU_DEP_2) | instskip(NEXT) | instid1(VALU_DEP_1)
	v_dual_mov_b32 v102, 0 :: v_dual_and_b32 v103, 0xff, v0
	v_cmpx_ne_u16_e32 0, v103
	s_cbranch_execz .LBB290_1155
; %bb.1148:                             ;   in Loop: Header=BB290_998 Depth=1
	v_mov_b32_e32 v102, 0x8000
	s_mov_b32 s14, exec_lo
	v_cmpx_ne_u16_e32 0x80, v103
	s_cbranch_execz .LBB290_1154
; %bb.1149:                             ;   in Loop: Header=BB290_998 Depth=1
	v_bfe_u32 v112, v11, 16, 7
	v_mov_b32_e32 v102, 0x7c01
	s_mov_b32 s15, exec_lo
	s_delay_alu instid0(VALU_DEP_2)
	v_cmpx_ne_u32_e32 0x7f, v112
	s_cbranch_execz .LBB290_1153
; %bb.1150:                             ;   in Loop: Header=BB290_998 Depth=1
	v_and_b32_e32 v102, 7, v0
	v_lshrrev_b32_e32 v103, 3, v112
	s_mov_b32 s16, exec_lo
	v_cmpx_gt_u32_e32 8, v112
; %bb.1151:                             ;   in Loop: Header=BB290_998 Depth=1
	s_delay_alu instid0(VALU_DEP_3) | instskip(NEXT) | instid1(VALU_DEP_1)
	v_clz_i32_u32_e32 v102, v102
	v_min_u32_e32 v112, 32, v102
	s_delay_alu instid0(VALU_DEP_1) | instskip(NEXT) | instid1(VALU_DEP_1)
	v_subrev_nc_u32_e32 v102, 28, v112
	v_lshlrev_b64_e32 v[102:103], v102, v[0:1]
	v_sub_nc_u32_e32 v103, 29, v112
	s_delay_alu instid0(VALU_DEP_2)
	v_and_b32_e32 v102, 7, v102
; %bb.1152:                             ;   in Loop: Header=BB290_998 Depth=1
	s_wait_alu 0xfffe
	s_or_b32 exec_lo, exec_lo, s16
	v_lshlrev_b32_e32 v0, 8, v0
	v_lshl_add_u32 v103, v103, 10, 0x2000
	v_lshlrev_b32_e32 v102, 7, v102
	s_delay_alu instid0(VALU_DEP_3) | instskip(NEXT) | instid1(VALU_DEP_3)
	v_and_b32_e32 v0, 0x8000, v0
	v_and_b32_e32 v103, 0xfc00, v103
	s_delay_alu instid0(VALU_DEP_1)
	v_or3_b32 v102, v0, v103, v102
.LBB290_1153:                           ;   in Loop: Header=BB290_998 Depth=1
	s_wait_alu 0xfffe
	s_or_b32 exec_lo, exec_lo, s15
.LBB290_1154:                           ;   in Loop: Header=BB290_998 Depth=1
	s_wait_alu 0xfffe
	s_or_b32 exec_lo, exec_lo, s14
.LBB290_1155:                           ;   in Loop: Header=BB290_998 Depth=1
	s_wait_alu 0xfffe
	s_or_b32 exec_lo, exec_lo, s11
	s_delay_alu instid0(SALU_CYCLE_1)
	s_mov_b32 s11, exec_lo
	v_cmpx_lt_u32_e32 0xffffff, v11
	s_cbranch_execz .LBB290_1163
; %bb.1156:                             ;   in Loop: Header=BB290_998 Depth=1
	v_lshrrev_b32_e32 v0, 24, v11
	v_bfrev_b32_e32 v101, 1
	s_mov_b32 s14, exec_lo
	s_delay_alu instid0(VALU_DEP_2)
	v_cmpx_ne_u32_e32 0x80, v0
	s_cbranch_execz .LBB290_1162
; %bb.1157:                             ;   in Loop: Header=BB290_998 Depth=1
	v_and_b32_e32 v112, 0x7f, v0
	v_mov_b32_e32 v101, 0x7c010000
	s_mov_b32 s15, exec_lo
	s_delay_alu instid0(VALU_DEP_2)
	v_cmpx_ne_u32_e32 0x7f, v112
	s_cbranch_execz .LBB290_1161
; %bb.1158:                             ;   in Loop: Header=BB290_998 Depth=1
	v_and_b32_e32 v101, 7, v0
	v_lshrrev_b32_e32 v103, 3, v112
	s_mov_b32 s16, exec_lo
	v_cmpx_gt_u32_e32 8, v112
; %bb.1159:                             ;   in Loop: Header=BB290_998 Depth=1
	s_delay_alu instid0(VALU_DEP_3) | instskip(NEXT) | instid1(VALU_DEP_1)
	v_clz_i32_u32_e32 v101, v101
	v_min_u32_e32 v101, 32, v101
	s_delay_alu instid0(VALU_DEP_1) | instskip(NEXT) | instid1(VALU_DEP_1)
	v_subrev_nc_u32_e32 v103, 28, v101
	v_lshlrev_b64_e32 v[112:113], v103, v[0:1]
	v_sub_nc_u32_e32 v103, 29, v101
	s_delay_alu instid0(VALU_DEP_2)
	v_and_b32_e32 v101, 7, v112
; %bb.1160:                             ;   in Loop: Header=BB290_998 Depth=1
	s_wait_alu 0xfffe
	s_or_b32 exec_lo, exec_lo, s16
	v_lshlrev_b32_e32 v0, 8, v0
	v_lshl_add_u32 v103, v103, 10, 0x2000
	v_lshlrev_b32_e32 v101, 23, v101
	s_delay_alu instid0(VALU_DEP_2) | instskip(NEXT) | instid1(VALU_DEP_1)
	v_and_or_b32 v0, 0x8000, v0, v103
	v_lshl_or_b32 v101, v0, 16, v101
.LBB290_1161:                           ;   in Loop: Header=BB290_998 Depth=1
	s_wait_alu 0xfffe
	s_or_b32 exec_lo, exec_lo, s15
.LBB290_1162:                           ;   in Loop: Header=BB290_998 Depth=1
	s_wait_alu 0xfffe
	s_or_b32 exec_lo, exec_lo, s14
.LBB290_1163:                           ;   in Loop: Header=BB290_998 Depth=1
	s_wait_alu 0xfffe
	s_or_b32 exec_lo, exec_lo, s11
	v_dual_mov_b32 v0, v12 :: v_dual_and_b32 v113, 0xff, v12
	v_dual_mov_b32 v103, 0 :: v_dual_mov_b32 v112, 0
	s_mov_b32 s11, exec_lo
	s_delay_alu instid0(VALU_DEP_2)
	v_cmpx_ne_u16_e32 0, v113
	s_cbranch_execz .LBB290_1171
; %bb.1164:                             ;   in Loop: Header=BB290_998 Depth=1
	v_mov_b32_e32 v112, 0x8000
	s_mov_b32 s14, exec_lo
	v_cmpx_ne_u16_e32 0x80, v113
	s_cbranch_execz .LBB290_1170
; %bb.1165:                             ;   in Loop: Header=BB290_998 Depth=1
	v_and_b32_e32 v114, 0x7f, v12
	v_mov_b32_e32 v112, 0x7c01
	s_mov_b32 s15, exec_lo
	s_delay_alu instid0(VALU_DEP_2)
	v_cmpx_ne_u32_e32 0x7f, v114
	s_cbranch_execz .LBB290_1169
; %bb.1166:                             ;   in Loop: Header=BB290_998 Depth=1
	v_and_b32_e32 v112, 7, v12
	v_lshrrev_b32_e32 v113, 3, v114
	s_mov_b32 s16, exec_lo
	v_cmpx_gt_u32_e32 8, v114
; %bb.1167:                             ;   in Loop: Header=BB290_998 Depth=1
	s_delay_alu instid0(VALU_DEP_3) | instskip(NEXT) | instid1(VALU_DEP_1)
	v_clz_i32_u32_e32 v112, v112
	v_min_u32_e32 v114, 32, v112
	s_delay_alu instid0(VALU_DEP_1) | instskip(NEXT) | instid1(VALU_DEP_1)
	v_subrev_nc_u32_e32 v112, 28, v114
	v_lshlrev_b64_e32 v[112:113], v112, v[0:1]
	v_sub_nc_u32_e32 v113, 29, v114
	s_delay_alu instid0(VALU_DEP_2)
	v_and_b32_e32 v112, 7, v112
; %bb.1168:                             ;   in Loop: Header=BB290_998 Depth=1
	s_wait_alu 0xfffe
	s_or_b32 exec_lo, exec_lo, s16
	v_lshlrev_b32_e32 v114, 8, v12
	v_lshl_add_u32 v113, v113, 10, 0x2000
	v_lshlrev_b32_e32 v112, 7, v112
	s_delay_alu instid0(VALU_DEP_3) | instskip(NEXT) | instid1(VALU_DEP_3)
	v_and_b32_e32 v114, 0x8000, v114
	v_and_b32_e32 v113, 0xfc00, v113
	s_delay_alu instid0(VALU_DEP_1)
	v_or3_b32 v112, v114, v113, v112
.LBB290_1169:                           ;   in Loop: Header=BB290_998 Depth=1
	s_wait_alu 0xfffe
	s_or_b32 exec_lo, exec_lo, s15
.LBB290_1170:                           ;   in Loop: Header=BB290_998 Depth=1
	s_wait_alu 0xfffe
	s_or_b32 exec_lo, exec_lo, s14
.LBB290_1171:                           ;   in Loop: Header=BB290_998 Depth=1
	s_wait_alu 0xfffe
	s_or_b32 exec_lo, exec_lo, s11
	v_lshrrev_b16 v0, 8, v0
	v_mov_b32_e32 v113, 0
	s_mov_b32 s11, exec_lo
	s_delay_alu instid0(VALU_DEP_2)
	v_cmpx_ne_u16_e32 0, v0
	s_cbranch_execz .LBB290_1179
; %bb.1172:                             ;   in Loop: Header=BB290_998 Depth=1
	v_bfrev_b32_e32 v113, 1
	s_mov_b32 s14, exec_lo
	v_cmpx_ne_u16_e32 0x80, v0
	s_cbranch_execz .LBB290_1178
; %bb.1173:                             ;   in Loop: Header=BB290_998 Depth=1
	v_and_b32_e32 v114, 0xffff, v0
	v_mov_b32_e32 v113, 0x7c010000
	s_mov_b32 s15, exec_lo
	s_delay_alu instid0(VALU_DEP_2) | instskip(NEXT) | instid1(VALU_DEP_1)
	v_and_b32_e32 v116, 0x7f, v114
	v_cmpx_ne_u32_e32 0x7f, v116
	s_cbranch_execz .LBB290_1177
; %bb.1174:                             ;   in Loop: Header=BB290_998 Depth=1
	v_and_b32_e32 v113, 7, v114
	v_lshrrev_b32_e32 v115, 3, v116
	s_mov_b32 s16, exec_lo
	v_cmpx_gt_u32_e32 8, v116
; %bb.1175:                             ;   in Loop: Header=BB290_998 Depth=1
	s_delay_alu instid0(VALU_DEP_3) | instskip(NEXT) | instid1(VALU_DEP_1)
	v_clz_i32_u32_e32 v113, v113
	v_min_u32_e32 v113, 32, v113
	s_delay_alu instid0(VALU_DEP_1) | instskip(NEXT) | instid1(VALU_DEP_1)
	v_subrev_nc_u32_e32 v115, 28, v113
	v_lshlrev_b64_e32 v[116:117], v115, v[0:1]
	v_sub_nc_u32_e32 v115, 29, v113
	s_delay_alu instid0(VALU_DEP_2)
	v_and_b32_e32 v113, 7, v116
; %bb.1176:                             ;   in Loop: Header=BB290_998 Depth=1
	s_wait_alu 0xfffe
	s_or_b32 exec_lo, exec_lo, s16
	v_lshlrev_b32_e32 v0, 8, v114
	v_lshl_add_u32 v114, v115, 10, 0x2000
	v_lshlrev_b32_e32 v113, 23, v113
	s_delay_alu instid0(VALU_DEP_2) | instskip(NEXT) | instid1(VALU_DEP_1)
	v_and_or_b32 v0, 0x8000, v0, v114
	v_lshl_or_b32 v113, v0, 16, v113
.LBB290_1177:                           ;   in Loop: Header=BB290_998 Depth=1
	s_wait_alu 0xfffe
	s_or_b32 exec_lo, exec_lo, s15
.LBB290_1178:                           ;   in Loop: Header=BB290_998 Depth=1
	s_wait_alu 0xfffe
	s_or_b32 exec_lo, exec_lo, s14
.LBB290_1179:                           ;   in Loop: Header=BB290_998 Depth=1
	s_wait_alu 0xfffe
	s_or_b32 exec_lo, exec_lo, s11
	v_lshrrev_b32_e32 v0, 16, v12
	s_mov_b32 s11, exec_lo
	s_delay_alu instid0(VALU_DEP_1) | instskip(NEXT) | instid1(VALU_DEP_1)
	v_and_b32_e32 v114, 0xff, v0
	v_cmpx_ne_u16_e32 0, v114
	s_cbranch_execz .LBB290_1187
; %bb.1180:                             ;   in Loop: Header=BB290_998 Depth=1
	v_mov_b32_e32 v103, 0x8000
	s_mov_b32 s14, exec_lo
	v_cmpx_ne_u16_e32 0x80, v114
	s_cbranch_execz .LBB290_1186
; %bb.1181:                             ;   in Loop: Header=BB290_998 Depth=1
	v_bfe_u32 v115, v12, 16, 7
	v_mov_b32_e32 v103, 0x7c01
	s_mov_b32 s15, exec_lo
	s_delay_alu instid0(VALU_DEP_2)
	v_cmpx_ne_u32_e32 0x7f, v115
	s_cbranch_execz .LBB290_1185
; %bb.1182:                             ;   in Loop: Header=BB290_998 Depth=1
	v_and_b32_e32 v103, 7, v0
	v_lshrrev_b32_e32 v114, 3, v115
	s_mov_b32 s16, exec_lo
	v_cmpx_gt_u32_e32 8, v115
; %bb.1183:                             ;   in Loop: Header=BB290_998 Depth=1
	s_delay_alu instid0(VALU_DEP_3) | instskip(NEXT) | instid1(VALU_DEP_1)
	v_clz_i32_u32_e32 v103, v103
	v_min_u32_e32 v103, 32, v103
	s_delay_alu instid0(VALU_DEP_1) | instskip(NEXT) | instid1(VALU_DEP_1)
	v_subrev_nc_u32_e32 v114, 28, v103
	v_lshlrev_b64_e32 v[115:116], v114, v[0:1]
	v_sub_nc_u32_e32 v114, 29, v103
	s_delay_alu instid0(VALU_DEP_2)
	v_and_b32_e32 v103, 7, v115
; %bb.1184:                             ;   in Loop: Header=BB290_998 Depth=1
	s_wait_alu 0xfffe
	s_or_b32 exec_lo, exec_lo, s16
	v_lshlrev_b32_e32 v0, 8, v0
	v_lshl_add_u32 v114, v114, 10, 0x2000
	v_lshlrev_b32_e32 v103, 7, v103
	s_delay_alu instid0(VALU_DEP_3) | instskip(NEXT) | instid1(VALU_DEP_3)
	v_and_b32_e32 v0, 0x8000, v0
	v_and_b32_e32 v114, 0xfc00, v114
	s_delay_alu instid0(VALU_DEP_1)
	v_or3_b32 v103, v0, v114, v103
.LBB290_1185:                           ;   in Loop: Header=BB290_998 Depth=1
	s_wait_alu 0xfffe
	s_or_b32 exec_lo, exec_lo, s15
.LBB290_1186:                           ;   in Loop: Header=BB290_998 Depth=1
	s_wait_alu 0xfffe
	s_or_b32 exec_lo, exec_lo, s14
.LBB290_1187:                           ;   in Loop: Header=BB290_998 Depth=1
	s_wait_alu 0xfffe
	s_or_b32 exec_lo, exec_lo, s11
	v_cmp_lt_u64_e64 s0, s[8:9], v[11:12]
	v_mov_b32_e32 v11, 0
	s_and_saveexec_b32 s11, s0
	s_cbranch_execz .LBB290_1195
; %bb.1188:                             ;   in Loop: Header=BB290_998 Depth=1
	v_lshrrev_b32_e32 v0, 24, v12
	v_bfrev_b32_e32 v11, 1
	s_mov_b32 s14, exec_lo
	s_delay_alu instid0(VALU_DEP_2)
	v_cmpx_ne_u32_e32 0x80, v0
	s_cbranch_execz .LBB290_1194
; %bb.1189:                             ;   in Loop: Header=BB290_998 Depth=1
	v_and_b32_e32 v114, 0x7f, v0
	v_mov_b32_e32 v11, 0x7c010000
	s_mov_b32 s15, exec_lo
	s_delay_alu instid0(VALU_DEP_2)
	v_cmpx_ne_u32_e32 0x7f, v114
	s_cbranch_execz .LBB290_1193
; %bb.1190:                             ;   in Loop: Header=BB290_998 Depth=1
	v_and_b32_e32 v11, 7, v0
	v_lshrrev_b32_e32 v12, 3, v114
	s_mov_b32 s16, exec_lo
	v_cmpx_gt_u32_e32 8, v114
; %bb.1191:                             ;   in Loop: Header=BB290_998 Depth=1
	s_delay_alu instid0(VALU_DEP_3) | instskip(NEXT) | instid1(VALU_DEP_1)
	v_clz_i32_u32_e32 v11, v11
	v_min_u32_e32 v114, 32, v11
	s_delay_alu instid0(VALU_DEP_1) | instskip(NEXT) | instid1(VALU_DEP_1)
	v_subrev_nc_u32_e32 v11, 28, v114
	v_lshlrev_b64_e32 v[11:12], v11, v[0:1]
	v_sub_nc_u32_e32 v12, 29, v114
	s_delay_alu instid0(VALU_DEP_2)
	v_and_b32_e32 v11, 7, v11
; %bb.1192:                             ;   in Loop: Header=BB290_998 Depth=1
	s_wait_alu 0xfffe
	s_or_b32 exec_lo, exec_lo, s16
	v_lshlrev_b32_e32 v0, 8, v0
	v_lshl_add_u32 v12, v12, 10, 0x2000
	v_lshlrev_b32_e32 v11, 23, v11
	s_delay_alu instid0(VALU_DEP_2) | instskip(NEXT) | instid1(VALU_DEP_1)
	v_and_or_b32 v0, 0x8000, v0, v12
	v_lshl_or_b32 v11, v0, 16, v11
.LBB290_1193:                           ;   in Loop: Header=BB290_998 Depth=1
	s_wait_alu 0xfffe
	s_or_b32 exec_lo, exec_lo, s15
.LBB290_1194:                           ;   in Loop: Header=BB290_998 Depth=1
	s_wait_alu 0xfffe
	s_or_b32 exec_lo, exec_lo, s14
.LBB290_1195:                           ;   in Loop: Header=BB290_998 Depth=1
	s_wait_alu 0xfffe
	s_or_b32 exec_lo, exec_lo, s11
	v_or_b32_e32 v0, v101, v102
	s_wait_loadcnt_dscnt 0x0
	v_fma_mixlo_f16 v12, v98, v101, 0 op_sel:[0,1,0] op_sel_hi:[0,1,0]
	v_or_b32_e32 v101, v99, v100
	v_fma_mixlo_f16 v99, v98, v99, 0 op_sel:[0,1,0] op_sel_hi:[0,1,0]
	v_or_b32_e32 v102, v113, v112
	v_or_b32_e32 v103, v11, v103
	v_fma_mixlo_f16 v112, v98, v0, 0 op_sel_hi:[0,1,0]
	v_fma_mixlo_f16 v11, v98, v11, 0 op_sel:[0,1,0] op_sel_hi:[0,1,0]
	v_lshlrev_b32_e32 v100, 16, v99
	v_fma_mixlo_f16 v99, v98, v101, 0 op_sel_hi:[0,1,0]
	v_fma_mixlo_f16 v101, v98, v113, 0 op_sel:[0,1,0] op_sel_hi:[0,1,0]
	v_fma_mixlo_f16 v102, v98, v102, 0 op_sel_hi:[0,1,0]
	v_fma_mixlo_f16 v103, v98, v103, 0 op_sel_hi:[0,1,0]
	v_lshlrev_b32_e32 v0, 16, v12
	v_and_b32_e32 v12, 0xffff, v112
	v_and_b32_e32 v114, 0xffff, v99
	v_lshlrev_b32_e32 v98, 16, v101
	v_and_b32_e32 v102, 0xffff, v102
	v_lshlrev_b32_e32 v11, 16, v11
	v_and_b32_e32 v99, 0xffff, v103
	v_or_b32_e32 v101, v0, v12
	v_or_b32_e32 v113, v100, v114
	;; [unrolled: 1-line block ×3, first 2 shown]
	s_delay_alu instid0(VALU_DEP_4)
	v_or_b32_e32 v103, v11, v99
	s_and_saveexec_b32 s11, vcc_lo
	s_cbranch_execz .LBB290_1197
; %bb.1196:                             ;   in Loop: Header=BB290_998 Depth=1
	v_cmp_lt_i32_e64 s0, v17, v34
	s_wait_alu 0xf1ff
	s_delay_alu instid0(VALU_DEP_1) | instskip(SKIP_2) | instid1(VALU_DEP_1)
	v_cndmask_b32_e64 v101, 0, v114, s0
	v_cmp_lt_i32_e64 s0, v87, v34
	s_wait_alu 0xf1ff
	v_cndmask_b32_e64 v100, 0, v100, s0
	v_cmp_lt_i32_e64 s0, v86, v34
	s_delay_alu instid0(VALU_DEP_2) | instskip(SKIP_1) | instid1(VALU_DEP_2)
	v_or_b32_e32 v113, v101, v100
	s_wait_alu 0xf1ff
	v_cndmask_b32_e64 v12, 0, v12, s0
	v_cmp_lt_i32_e64 s0, v85, v34
	s_wait_alu 0xf1ff
	s_delay_alu instid0(VALU_DEP_1) | instskip(SKIP_1) | instid1(VALU_DEP_2)
	v_cndmask_b32_e64 v0, 0, v0, s0
	v_cmp_lt_i32_e64 s0, v84, v34
	v_or_b32_e32 v101, v12, v0
	s_wait_alu 0xf1ff
	s_delay_alu instid0(VALU_DEP_2) | instskip(SKIP_2) | instid1(VALU_DEP_1)
	v_cndmask_b32_e64 v102, 0, v102, s0
	v_cmp_lt_i32_e64 s0, v83, v34
	s_wait_alu 0xf1ff
	v_cndmask_b32_e64 v98, 0, v98, s0
	v_cmp_lt_i32_e64 s0, v82, v34
	s_delay_alu instid0(VALU_DEP_2) | instskip(SKIP_1) | instid1(VALU_DEP_2)
	v_or_b32_e32 v112, v102, v98
	s_wait_alu 0xf1ff
	v_cndmask_b32_e64 v99, 0, v99, s0
	v_cmp_lt_i32_e64 s0, v81, v34
	s_wait_alu 0xf1ff
	s_delay_alu instid0(VALU_DEP_1) | instskip(NEXT) | instid1(VALU_DEP_1)
	v_cndmask_b32_e64 v11, 0, v11, s0
	v_or_b32_e32 v103, v99, v11
.LBB290_1197:                           ;   in Loop: Header=BB290_998 Depth=1
	s_wait_alu 0xfffe
	s_or_b32 exec_lo, exec_lo, s11
	;;#ASMSTART
	v_pk_mul_f16 v0, v80, v113;

	;;#ASMEND
	;;#ASMSTART
	v_pk_mul_f16 v11, v71, v101;

	;;#ASMEND
	;; [unrolled: 4-line block ×4, first 2 shown]
	;;#ASMSTART
	v_pk_add_f16 v0, v0, v11;

	;;#ASMEND
	;;#ASMSTART
	v_pk_add_f16 v0, v0, v12;

	;;#ASMEND
	;; [unrolled: 4-line block ×3, first 2 shown]
	v_dual_mov_b32 v102, 0 :: v_dual_and_b32 v11, 0xffff, v0
	v_lshrrev_b32_e32 v0, 16, v0
	;;#ASMSTART
	v_cvt_f32_f16 v98, v11;
	;;#ASMEND
	;;#ASMSTART
	v_cvt_f32_f16 v99, v0;
	;;#ASMEND
	flat_load_b64 v[11:12], v[9:10] offset:768
	flat_load_b32 v100, v[26:27]
	s_mov_b32 s11, exec_lo
	s_wait_loadcnt_dscnt 0x101
	v_dual_mov_b32 v101, 0 :: v_dual_and_b32 v0, 0xff, v11
	s_delay_alu instid0(VALU_DEP_1)
	v_cmpx_ne_u16_e32 0, v0
	s_cbranch_execz .LBB290_1205
; %bb.1198:                             ;   in Loop: Header=BB290_998 Depth=1
	v_mov_b32_e32 v102, 0x8000
	s_mov_b32 s14, exec_lo
	v_cmpx_ne_u16_e32 0x80, v0
	s_cbranch_execz .LBB290_1204
; %bb.1199:                             ;   in Loop: Header=BB290_998 Depth=1
	v_and_b32_e32 v103, 0x7f, v11
	v_mov_b32_e32 v102, 0x7c01
	s_mov_b32 s15, exec_lo
	s_delay_alu instid0(VALU_DEP_2)
	v_cmpx_ne_u32_e32 0x7f, v103
	s_cbranch_execz .LBB290_1203
; %bb.1200:                             ;   in Loop: Header=BB290_998 Depth=1
	v_and_b32_e32 v0, 7, v11
	v_lshrrev_b32_e32 v102, 3, v103
	s_mov_b32 s16, exec_lo
	v_cmpx_gt_u32_e32 8, v103
; %bb.1201:                             ;   in Loop: Header=BB290_998 Depth=1
	s_delay_alu instid0(VALU_DEP_3) | instskip(NEXT) | instid1(VALU_DEP_1)
	v_clz_i32_u32_e32 v0, v0
	v_min_u32_e32 v0, 32, v0
	s_delay_alu instid0(VALU_DEP_1) | instskip(NEXT) | instid1(VALU_DEP_1)
	v_subrev_nc_u32_e32 v102, 28, v0
	v_lshlrev_b64_e32 v[112:113], v102, v[11:12]
	v_sub_nc_u32_e32 v102, 29, v0
	s_delay_alu instid0(VALU_DEP_2)
	v_and_b32_e32 v0, 7, v112
; %bb.1202:                             ;   in Loop: Header=BB290_998 Depth=1
	s_wait_alu 0xfffe
	s_or_b32 exec_lo, exec_lo, s16
	v_lshlrev_b32_e32 v103, 8, v11
	v_lshl_add_u32 v102, v102, 10, 0x2000
	v_lshlrev_b32_e32 v0, 7, v0
	s_delay_alu instid0(VALU_DEP_3) | instskip(NEXT) | instid1(VALU_DEP_3)
	v_and_b32_e32 v103, 0x8000, v103
	v_and_b32_e32 v102, 0xfc00, v102
	s_delay_alu instid0(VALU_DEP_1)
	v_or3_b32 v102, v103, v102, v0
.LBB290_1203:                           ;   in Loop: Header=BB290_998 Depth=1
	s_wait_alu 0xfffe
	s_or_b32 exec_lo, exec_lo, s15
.LBB290_1204:                           ;   in Loop: Header=BB290_998 Depth=1
	s_wait_alu 0xfffe
	s_or_b32 exec_lo, exec_lo, s14
.LBB290_1205:                           ;   in Loop: Header=BB290_998 Depth=1
	s_wait_alu 0xfffe
	s_or_b32 exec_lo, exec_lo, s11
	v_lshrrev_b16 v0, 8, v11
	s_mov_b32 s11, exec_lo
	s_delay_alu instid0(VALU_DEP_1)
	v_cmpx_ne_u16_e32 0, v0
	s_cbranch_execz .LBB290_1213
; %bb.1206:                             ;   in Loop: Header=BB290_998 Depth=1
	v_bfrev_b32_e32 v101, 1
	s_mov_b32 s14, exec_lo
	v_cmpx_ne_u16_e32 0x80, v0
	s_cbranch_execz .LBB290_1212
; %bb.1207:                             ;   in Loop: Header=BB290_998 Depth=1
	v_and_b32_e32 v103, 0xffff, v0
	v_mov_b32_e32 v101, 0x7c010000
	s_mov_b32 s15, exec_lo
	s_delay_alu instid0(VALU_DEP_2) | instskip(NEXT) | instid1(VALU_DEP_1)
	v_and_b32_e32 v113, 0x7f, v103
	v_cmpx_ne_u32_e32 0x7f, v113
	s_cbranch_execz .LBB290_1211
; %bb.1208:                             ;   in Loop: Header=BB290_998 Depth=1
	v_and_b32_e32 v101, 7, v103
	v_lshrrev_b32_e32 v112, 3, v113
	s_mov_b32 s16, exec_lo
	v_cmpx_gt_u32_e32 8, v113
; %bb.1209:                             ;   in Loop: Header=BB290_998 Depth=1
	s_delay_alu instid0(VALU_DEP_3) | instskip(NEXT) | instid1(VALU_DEP_1)
	v_clz_i32_u32_e32 v101, v101
	v_min_u32_e32 v101, 32, v101
	s_delay_alu instid0(VALU_DEP_1) | instskip(NEXT) | instid1(VALU_DEP_1)
	v_subrev_nc_u32_e32 v112, 28, v101
	v_lshlrev_b64_e32 v[113:114], v112, v[0:1]
	v_sub_nc_u32_e32 v112, 29, v101
	s_delay_alu instid0(VALU_DEP_2)
	v_and_b32_e32 v101, 7, v113
; %bb.1210:                             ;   in Loop: Header=BB290_998 Depth=1
	s_wait_alu 0xfffe
	s_or_b32 exec_lo, exec_lo, s16
	v_lshlrev_b32_e32 v0, 8, v103
	v_lshl_add_u32 v103, v112, 10, 0x2000
	v_lshlrev_b32_e32 v101, 23, v101
	s_delay_alu instid0(VALU_DEP_2) | instskip(NEXT) | instid1(VALU_DEP_1)
	v_and_or_b32 v0, 0x8000, v0, v103
	v_lshl_or_b32 v101, v0, 16, v101
.LBB290_1211:                           ;   in Loop: Header=BB290_998 Depth=1
	s_wait_alu 0xfffe
	s_or_b32 exec_lo, exec_lo, s15
.LBB290_1212:                           ;   in Loop: Header=BB290_998 Depth=1
	s_wait_alu 0xfffe
	s_or_b32 exec_lo, exec_lo, s14
.LBB290_1213:                           ;   in Loop: Header=BB290_998 Depth=1
	s_wait_alu 0xfffe
	s_or_b32 exec_lo, exec_lo, s11
	v_lshrrev_b32_e32 v0, 16, v11
	v_mov_b32_e32 v103, 0
	s_mov_b32 s11, exec_lo
	s_delay_alu instid0(VALU_DEP_2) | instskip(NEXT) | instid1(VALU_DEP_1)
	v_dual_mov_b32 v112, 0 :: v_dual_and_b32 v113, 0xff, v0
	v_cmpx_ne_u16_e32 0, v113
	s_cbranch_execz .LBB290_1221
; %bb.1214:                             ;   in Loop: Header=BB290_998 Depth=1
	v_mov_b32_e32 v112, 0x8000
	s_mov_b32 s14, exec_lo
	v_cmpx_ne_u16_e32 0x80, v113
	s_cbranch_execz .LBB290_1220
; %bb.1215:                             ;   in Loop: Header=BB290_998 Depth=1
	v_bfe_u32 v114, v11, 16, 7
	v_mov_b32_e32 v112, 0x7c01
	s_mov_b32 s15, exec_lo
	s_delay_alu instid0(VALU_DEP_2)
	v_cmpx_ne_u32_e32 0x7f, v114
	s_cbranch_execz .LBB290_1219
; %bb.1216:                             ;   in Loop: Header=BB290_998 Depth=1
	v_and_b32_e32 v112, 7, v0
	v_lshrrev_b32_e32 v113, 3, v114
	s_mov_b32 s16, exec_lo
	v_cmpx_gt_u32_e32 8, v114
; %bb.1217:                             ;   in Loop: Header=BB290_998 Depth=1
	s_delay_alu instid0(VALU_DEP_3) | instskip(NEXT) | instid1(VALU_DEP_1)
	v_clz_i32_u32_e32 v112, v112
	v_min_u32_e32 v114, 32, v112
	s_delay_alu instid0(VALU_DEP_1) | instskip(NEXT) | instid1(VALU_DEP_1)
	v_subrev_nc_u32_e32 v112, 28, v114
	v_lshlrev_b64_e32 v[112:113], v112, v[0:1]
	v_sub_nc_u32_e32 v113, 29, v114
	s_delay_alu instid0(VALU_DEP_2)
	v_and_b32_e32 v112, 7, v112
; %bb.1218:                             ;   in Loop: Header=BB290_998 Depth=1
	s_wait_alu 0xfffe
	s_or_b32 exec_lo, exec_lo, s16
	v_lshlrev_b32_e32 v0, 8, v0
	v_lshl_add_u32 v113, v113, 10, 0x2000
	v_lshlrev_b32_e32 v112, 7, v112
	s_delay_alu instid0(VALU_DEP_3) | instskip(NEXT) | instid1(VALU_DEP_3)
	v_and_b32_e32 v0, 0x8000, v0
	v_and_b32_e32 v113, 0xfc00, v113
	s_delay_alu instid0(VALU_DEP_1)
	v_or3_b32 v112, v0, v113, v112
.LBB290_1219:                           ;   in Loop: Header=BB290_998 Depth=1
	s_wait_alu 0xfffe
	s_or_b32 exec_lo, exec_lo, s15
.LBB290_1220:                           ;   in Loop: Header=BB290_998 Depth=1
	s_wait_alu 0xfffe
	s_or_b32 exec_lo, exec_lo, s14
.LBB290_1221:                           ;   in Loop: Header=BB290_998 Depth=1
	s_wait_alu 0xfffe
	s_or_b32 exec_lo, exec_lo, s11
	s_delay_alu instid0(SALU_CYCLE_1)
	s_mov_b32 s11, exec_lo
	v_cmpx_lt_u32_e32 0xffffff, v11
	s_cbranch_execz .LBB290_1229
; %bb.1222:                             ;   in Loop: Header=BB290_998 Depth=1
	v_lshrrev_b32_e32 v0, 24, v11
	v_bfrev_b32_e32 v103, 1
	s_mov_b32 s14, exec_lo
	s_delay_alu instid0(VALU_DEP_2)
	v_cmpx_ne_u32_e32 0x80, v0
	s_cbranch_execz .LBB290_1228
; %bb.1223:                             ;   in Loop: Header=BB290_998 Depth=1
	v_and_b32_e32 v114, 0x7f, v0
	v_mov_b32_e32 v103, 0x7c010000
	s_mov_b32 s15, exec_lo
	s_delay_alu instid0(VALU_DEP_2)
	v_cmpx_ne_u32_e32 0x7f, v114
	s_cbranch_execz .LBB290_1227
; %bb.1224:                             ;   in Loop: Header=BB290_998 Depth=1
	v_and_b32_e32 v103, 7, v0
	v_lshrrev_b32_e32 v113, 3, v114
	s_mov_b32 s16, exec_lo
	v_cmpx_gt_u32_e32 8, v114
; %bb.1225:                             ;   in Loop: Header=BB290_998 Depth=1
	s_delay_alu instid0(VALU_DEP_3) | instskip(NEXT) | instid1(VALU_DEP_1)
	v_clz_i32_u32_e32 v103, v103
	v_min_u32_e32 v103, 32, v103
	s_delay_alu instid0(VALU_DEP_1) | instskip(NEXT) | instid1(VALU_DEP_1)
	v_subrev_nc_u32_e32 v113, 28, v103
	v_lshlrev_b64_e32 v[114:115], v113, v[0:1]
	v_sub_nc_u32_e32 v113, 29, v103
	s_delay_alu instid0(VALU_DEP_2)
	v_and_b32_e32 v103, 7, v114
; %bb.1226:                             ;   in Loop: Header=BB290_998 Depth=1
	s_wait_alu 0xfffe
	s_or_b32 exec_lo, exec_lo, s16
	v_lshlrev_b32_e32 v0, 8, v0
	v_lshl_add_u32 v113, v113, 10, 0x2000
	v_lshlrev_b32_e32 v103, 23, v103
	s_delay_alu instid0(VALU_DEP_2) | instskip(NEXT) | instid1(VALU_DEP_1)
	v_and_or_b32 v0, 0x8000, v0, v113
	v_lshl_or_b32 v103, v0, 16, v103
.LBB290_1227:                           ;   in Loop: Header=BB290_998 Depth=1
	s_wait_alu 0xfffe
	s_or_b32 exec_lo, exec_lo, s15
.LBB290_1228:                           ;   in Loop: Header=BB290_998 Depth=1
	s_wait_alu 0xfffe
	s_or_b32 exec_lo, exec_lo, s14
.LBB290_1229:                           ;   in Loop: Header=BB290_998 Depth=1
	s_wait_alu 0xfffe
	s_or_b32 exec_lo, exec_lo, s11
	v_dual_mov_b32 v0, v12 :: v_dual_and_b32 v115, 0xff, v12
	v_dual_mov_b32 v113, 0 :: v_dual_mov_b32 v114, 0
	s_mov_b32 s11, exec_lo
	s_delay_alu instid0(VALU_DEP_2)
	v_cmpx_ne_u16_e32 0, v115
	s_cbranch_execz .LBB290_1237
; %bb.1230:                             ;   in Loop: Header=BB290_998 Depth=1
	v_mov_b32_e32 v114, 0x8000
	s_mov_b32 s14, exec_lo
	v_cmpx_ne_u16_e32 0x80, v115
	s_cbranch_execz .LBB290_1236
; %bb.1231:                             ;   in Loop: Header=BB290_998 Depth=1
	v_and_b32_e32 v116, 0x7f, v12
	v_mov_b32_e32 v114, 0x7c01
	s_mov_b32 s15, exec_lo
	s_delay_alu instid0(VALU_DEP_2)
	v_cmpx_ne_u32_e32 0x7f, v116
	s_cbranch_execz .LBB290_1235
; %bb.1232:                             ;   in Loop: Header=BB290_998 Depth=1
	v_and_b32_e32 v114, 7, v12
	v_lshrrev_b32_e32 v115, 3, v116
	s_mov_b32 s16, exec_lo
	v_cmpx_gt_u32_e32 8, v116
; %bb.1233:                             ;   in Loop: Header=BB290_998 Depth=1
	s_delay_alu instid0(VALU_DEP_3) | instskip(NEXT) | instid1(VALU_DEP_1)
	v_clz_i32_u32_e32 v114, v114
	v_min_u32_e32 v116, 32, v114
	s_delay_alu instid0(VALU_DEP_1) | instskip(NEXT) | instid1(VALU_DEP_1)
	v_subrev_nc_u32_e32 v114, 28, v116
	v_lshlrev_b64_e32 v[114:115], v114, v[0:1]
	v_sub_nc_u32_e32 v115, 29, v116
	s_delay_alu instid0(VALU_DEP_2)
	v_and_b32_e32 v114, 7, v114
; %bb.1234:                             ;   in Loop: Header=BB290_998 Depth=1
	s_wait_alu 0xfffe
	s_or_b32 exec_lo, exec_lo, s16
	v_lshlrev_b32_e32 v116, 8, v12
	v_lshl_add_u32 v115, v115, 10, 0x2000
	v_lshlrev_b32_e32 v114, 7, v114
	s_delay_alu instid0(VALU_DEP_3) | instskip(NEXT) | instid1(VALU_DEP_3)
	v_and_b32_e32 v116, 0x8000, v116
	v_and_b32_e32 v115, 0xfc00, v115
	s_delay_alu instid0(VALU_DEP_1)
	v_or3_b32 v114, v116, v115, v114
.LBB290_1235:                           ;   in Loop: Header=BB290_998 Depth=1
	s_wait_alu 0xfffe
	s_or_b32 exec_lo, exec_lo, s15
.LBB290_1236:                           ;   in Loop: Header=BB290_998 Depth=1
	s_wait_alu 0xfffe
	s_or_b32 exec_lo, exec_lo, s14
.LBB290_1237:                           ;   in Loop: Header=BB290_998 Depth=1
	s_wait_alu 0xfffe
	s_or_b32 exec_lo, exec_lo, s11
	v_lshrrev_b16 v0, 8, v0
	v_mov_b32_e32 v115, 0
	s_mov_b32 s11, exec_lo
	s_delay_alu instid0(VALU_DEP_2)
	v_cmpx_ne_u16_e32 0, v0
	s_cbranch_execz .LBB290_1245
; %bb.1238:                             ;   in Loop: Header=BB290_998 Depth=1
	v_bfrev_b32_e32 v115, 1
	s_mov_b32 s14, exec_lo
	v_cmpx_ne_u16_e32 0x80, v0
	s_cbranch_execz .LBB290_1244
; %bb.1239:                             ;   in Loop: Header=BB290_998 Depth=1
	v_and_b32_e32 v116, 0xffff, v0
	v_mov_b32_e32 v115, 0x7c010000
	s_mov_b32 s15, exec_lo
	s_delay_alu instid0(VALU_DEP_2) | instskip(NEXT) | instid1(VALU_DEP_1)
	v_and_b32_e32 v118, 0x7f, v116
	v_cmpx_ne_u32_e32 0x7f, v118
	s_cbranch_execz .LBB290_1243
; %bb.1240:                             ;   in Loop: Header=BB290_998 Depth=1
	v_and_b32_e32 v115, 7, v116
	v_lshrrev_b32_e32 v117, 3, v118
	s_mov_b32 s16, exec_lo
	v_cmpx_gt_u32_e32 8, v118
; %bb.1241:                             ;   in Loop: Header=BB290_998 Depth=1
	s_delay_alu instid0(VALU_DEP_3) | instskip(NEXT) | instid1(VALU_DEP_1)
	v_clz_i32_u32_e32 v115, v115
	v_min_u32_e32 v115, 32, v115
	s_delay_alu instid0(VALU_DEP_1) | instskip(NEXT) | instid1(VALU_DEP_1)
	v_subrev_nc_u32_e32 v117, 28, v115
	v_lshlrev_b64_e32 v[118:119], v117, v[0:1]
	v_sub_nc_u32_e32 v117, 29, v115
	s_delay_alu instid0(VALU_DEP_2)
	v_and_b32_e32 v115, 7, v118
; %bb.1242:                             ;   in Loop: Header=BB290_998 Depth=1
	s_wait_alu 0xfffe
	s_or_b32 exec_lo, exec_lo, s16
	v_lshlrev_b32_e32 v0, 8, v116
	v_lshl_add_u32 v116, v117, 10, 0x2000
	v_lshlrev_b32_e32 v115, 23, v115
	s_delay_alu instid0(VALU_DEP_2) | instskip(NEXT) | instid1(VALU_DEP_1)
	v_and_or_b32 v0, 0x8000, v0, v116
	v_lshl_or_b32 v115, v0, 16, v115
.LBB290_1243:                           ;   in Loop: Header=BB290_998 Depth=1
	s_wait_alu 0xfffe
	s_or_b32 exec_lo, exec_lo, s15
.LBB290_1244:                           ;   in Loop: Header=BB290_998 Depth=1
	s_wait_alu 0xfffe
	s_or_b32 exec_lo, exec_lo, s14
.LBB290_1245:                           ;   in Loop: Header=BB290_998 Depth=1
	s_wait_alu 0xfffe
	s_or_b32 exec_lo, exec_lo, s11
	v_lshrrev_b32_e32 v0, 16, v12
	s_mov_b32 s11, exec_lo
	s_delay_alu instid0(VALU_DEP_1) | instskip(NEXT) | instid1(VALU_DEP_1)
	v_and_b32_e32 v116, 0xff, v0
	v_cmpx_ne_u16_e32 0, v116
	s_cbranch_execz .LBB290_1253
; %bb.1246:                             ;   in Loop: Header=BB290_998 Depth=1
	v_mov_b32_e32 v113, 0x8000
	s_mov_b32 s14, exec_lo
	v_cmpx_ne_u16_e32 0x80, v116
	s_cbranch_execz .LBB290_1252
; %bb.1247:                             ;   in Loop: Header=BB290_998 Depth=1
	v_bfe_u32 v117, v12, 16, 7
	v_mov_b32_e32 v113, 0x7c01
	s_mov_b32 s15, exec_lo
	s_delay_alu instid0(VALU_DEP_2)
	v_cmpx_ne_u32_e32 0x7f, v117
	s_cbranch_execz .LBB290_1251
; %bb.1248:                             ;   in Loop: Header=BB290_998 Depth=1
	v_and_b32_e32 v113, 7, v0
	v_lshrrev_b32_e32 v116, 3, v117
	s_mov_b32 s16, exec_lo
	v_cmpx_gt_u32_e32 8, v117
; %bb.1249:                             ;   in Loop: Header=BB290_998 Depth=1
	s_delay_alu instid0(VALU_DEP_3) | instskip(NEXT) | instid1(VALU_DEP_1)
	v_clz_i32_u32_e32 v113, v113
	v_min_u32_e32 v113, 32, v113
	s_delay_alu instid0(VALU_DEP_1) | instskip(NEXT) | instid1(VALU_DEP_1)
	v_subrev_nc_u32_e32 v116, 28, v113
	v_lshlrev_b64_e32 v[117:118], v116, v[0:1]
	v_sub_nc_u32_e32 v116, 29, v113
	s_delay_alu instid0(VALU_DEP_2)
	v_and_b32_e32 v113, 7, v117
; %bb.1250:                             ;   in Loop: Header=BB290_998 Depth=1
	s_wait_alu 0xfffe
	s_or_b32 exec_lo, exec_lo, s16
	v_lshlrev_b32_e32 v0, 8, v0
	v_lshl_add_u32 v116, v116, 10, 0x2000
	v_lshlrev_b32_e32 v113, 7, v113
	s_delay_alu instid0(VALU_DEP_3) | instskip(NEXT) | instid1(VALU_DEP_3)
	v_and_b32_e32 v0, 0x8000, v0
	v_and_b32_e32 v116, 0xfc00, v116
	s_delay_alu instid0(VALU_DEP_1)
	v_or3_b32 v113, v0, v116, v113
.LBB290_1251:                           ;   in Loop: Header=BB290_998 Depth=1
	s_wait_alu 0xfffe
	s_or_b32 exec_lo, exec_lo, s15
.LBB290_1252:                           ;   in Loop: Header=BB290_998 Depth=1
	s_wait_alu 0xfffe
	s_or_b32 exec_lo, exec_lo, s14
.LBB290_1253:                           ;   in Loop: Header=BB290_998 Depth=1
	s_wait_alu 0xfffe
	s_or_b32 exec_lo, exec_lo, s11
	v_cmp_lt_u64_e64 s0, s[8:9], v[11:12]
	v_mov_b32_e32 v11, 0
	s_and_saveexec_b32 s11, s0
	s_cbranch_execz .LBB290_1261
; %bb.1254:                             ;   in Loop: Header=BB290_998 Depth=1
	v_lshrrev_b32_e32 v0, 24, v12
	v_bfrev_b32_e32 v11, 1
	s_mov_b32 s14, exec_lo
	s_delay_alu instid0(VALU_DEP_2)
	v_cmpx_ne_u32_e32 0x80, v0
	s_cbranch_execz .LBB290_1260
; %bb.1255:                             ;   in Loop: Header=BB290_998 Depth=1
	v_and_b32_e32 v116, 0x7f, v0
	v_mov_b32_e32 v11, 0x7c010000
	s_mov_b32 s15, exec_lo
	s_delay_alu instid0(VALU_DEP_2)
	v_cmpx_ne_u32_e32 0x7f, v116
	s_cbranch_execz .LBB290_1259
; %bb.1256:                             ;   in Loop: Header=BB290_998 Depth=1
	v_and_b32_e32 v11, 7, v0
	v_lshrrev_b32_e32 v12, 3, v116
	s_mov_b32 s16, exec_lo
	v_cmpx_gt_u32_e32 8, v116
; %bb.1257:                             ;   in Loop: Header=BB290_998 Depth=1
	s_delay_alu instid0(VALU_DEP_3) | instskip(NEXT) | instid1(VALU_DEP_1)
	v_clz_i32_u32_e32 v11, v11
	v_min_u32_e32 v116, 32, v11
	s_delay_alu instid0(VALU_DEP_1) | instskip(NEXT) | instid1(VALU_DEP_1)
	v_subrev_nc_u32_e32 v11, 28, v116
	v_lshlrev_b64_e32 v[11:12], v11, v[0:1]
	v_sub_nc_u32_e32 v12, 29, v116
	s_delay_alu instid0(VALU_DEP_2)
	v_and_b32_e32 v11, 7, v11
; %bb.1258:                             ;   in Loop: Header=BB290_998 Depth=1
	s_wait_alu 0xfffe
	s_or_b32 exec_lo, exec_lo, s16
	v_lshlrev_b32_e32 v0, 8, v0
	v_lshl_add_u32 v12, v12, 10, 0x2000
	v_lshlrev_b32_e32 v11, 23, v11
	s_delay_alu instid0(VALU_DEP_2) | instskip(NEXT) | instid1(VALU_DEP_1)
	v_and_or_b32 v0, 0x8000, v0, v12
	v_lshl_or_b32 v11, v0, 16, v11
.LBB290_1259:                           ;   in Loop: Header=BB290_998 Depth=1
	s_wait_alu 0xfffe
	s_or_b32 exec_lo, exec_lo, s15
.LBB290_1260:                           ;   in Loop: Header=BB290_998 Depth=1
	s_wait_alu 0xfffe
	s_or_b32 exec_lo, exec_lo, s14
.LBB290_1261:                           ;   in Loop: Header=BB290_998 Depth=1
	s_wait_alu 0xfffe
	s_or_b32 exec_lo, exec_lo, s11
	v_or_b32_e32 v0, v103, v112
	s_wait_loadcnt_dscnt 0x0
	v_fma_mixlo_f16 v12, v100, v103, 0 op_sel:[0,1,0] op_sel_hi:[0,1,0]
	v_or_b32_e32 v103, v101, v102
	v_fma_mixlo_f16 v101, v100, v101, 0 op_sel:[0,1,0] op_sel_hi:[0,1,0]
	v_or_b32_e32 v112, v115, v114
	v_or_b32_e32 v113, v11, v113
	v_fma_mixlo_f16 v114, v100, v0, 0 op_sel_hi:[0,1,0]
	v_fma_mixlo_f16 v11, v100, v11, 0 op_sel:[0,1,0] op_sel_hi:[0,1,0]
	v_lshlrev_b32_e32 v102, 16, v101
	v_fma_mixlo_f16 v101, v100, v103, 0 op_sel_hi:[0,1,0]
	v_fma_mixlo_f16 v103, v100, v115, 0 op_sel:[0,1,0] op_sel_hi:[0,1,0]
	v_fma_mixlo_f16 v112, v100, v112, 0 op_sel_hi:[0,1,0]
	v_fma_mixlo_f16 v113, v100, v113, 0 op_sel_hi:[0,1,0]
	v_lshlrev_b32_e32 v0, 16, v12
	v_and_b32_e32 v12, 0xffff, v114
	v_and_b32_e32 v116, 0xffff, v101
	v_lshlrev_b32_e32 v100, 16, v103
	v_and_b32_e32 v112, 0xffff, v112
	v_lshlrev_b32_e32 v11, 16, v11
	v_and_b32_e32 v101, 0xffff, v113
	v_or_b32_e32 v103, v0, v12
	v_or_b32_e32 v115, v102, v116
	;; [unrolled: 1-line block ×3, first 2 shown]
	s_delay_alu instid0(VALU_DEP_4)
	v_or_b32_e32 v113, v11, v101
	s_and_saveexec_b32 s11, vcc_lo
	s_cbranch_execz .LBB290_1263
; %bb.1262:                             ;   in Loop: Header=BB290_998 Depth=1
	v_cmp_lt_i32_e64 s0, v17, v34
	s_wait_alu 0xf1ff
	s_delay_alu instid0(VALU_DEP_1) | instskip(SKIP_2) | instid1(VALU_DEP_1)
	v_cndmask_b32_e64 v103, 0, v116, s0
	v_cmp_lt_i32_e64 s0, v87, v34
	s_wait_alu 0xf1ff
	v_cndmask_b32_e64 v102, 0, v102, s0
	v_cmp_lt_i32_e64 s0, v86, v34
	s_delay_alu instid0(VALU_DEP_2) | instskip(SKIP_1) | instid1(VALU_DEP_2)
	v_or_b32_e32 v115, v103, v102
	s_wait_alu 0xf1ff
	v_cndmask_b32_e64 v12, 0, v12, s0
	v_cmp_lt_i32_e64 s0, v85, v34
	s_wait_alu 0xf1ff
	s_delay_alu instid0(VALU_DEP_1) | instskip(SKIP_1) | instid1(VALU_DEP_2)
	v_cndmask_b32_e64 v0, 0, v0, s0
	v_cmp_lt_i32_e64 s0, v84, v34
	v_or_b32_e32 v103, v12, v0
	s_wait_alu 0xf1ff
	s_delay_alu instid0(VALU_DEP_2) | instskip(SKIP_2) | instid1(VALU_DEP_1)
	v_cndmask_b32_e64 v112, 0, v112, s0
	v_cmp_lt_i32_e64 s0, v83, v34
	s_wait_alu 0xf1ff
	v_cndmask_b32_e64 v100, 0, v100, s0
	v_cmp_lt_i32_e64 s0, v82, v34
	s_delay_alu instid0(VALU_DEP_2) | instskip(SKIP_1) | instid1(VALU_DEP_2)
	v_or_b32_e32 v114, v112, v100
	s_wait_alu 0xf1ff
	v_cndmask_b32_e64 v101, 0, v101, s0
	v_cmp_lt_i32_e64 s0, v81, v34
	s_wait_alu 0xf1ff
	s_delay_alu instid0(VALU_DEP_1) | instskip(NEXT) | instid1(VALU_DEP_1)
	v_cndmask_b32_e64 v11, 0, v11, s0
	v_or_b32_e32 v113, v101, v11
.LBB290_1263:                           ;   in Loop: Header=BB290_998 Depth=1
	s_wait_alu 0xfffe
	s_or_b32 exec_lo, exec_lo, s11
	;;#ASMSTART
	v_pk_mul_f16 v0, v80, v115;

	;;#ASMEND
	;;#ASMSTART
	v_pk_mul_f16 v11, v71, v103;

	;;#ASMEND
	;; [unrolled: 4-line block ×4, first 2 shown]
	;;#ASMSTART
	v_pk_add_f16 v0, v0, v11;

	;;#ASMEND
	;;#ASMSTART
	v_pk_add_f16 v0, v0, v12;

	;;#ASMEND
	;; [unrolled: 4-line block ×3, first 2 shown]
	v_dual_mov_b32 v112, 0 :: v_dual_and_b32 v11, 0xffff, v0
	v_lshrrev_b32_e32 v0, 16, v0
	;;#ASMSTART
	v_cvt_f32_f16 v100, v11;
	;;#ASMEND
	;;#ASMSTART
	v_cvt_f32_f16 v101, v0;
	;;#ASMEND
	flat_load_b64 v[11:12], v[9:10] offset:1024
	flat_load_b32 v102, v[26:27]
	s_mov_b32 s11, exec_lo
	s_wait_loadcnt_dscnt 0x101
	v_dual_mov_b32 v103, 0 :: v_dual_and_b32 v0, 0xff, v11
	s_delay_alu instid0(VALU_DEP_1)
	v_cmpx_ne_u16_e32 0, v0
	s_cbranch_execz .LBB290_1271
; %bb.1264:                             ;   in Loop: Header=BB290_998 Depth=1
	v_mov_b32_e32 v112, 0x8000
	s_mov_b32 s14, exec_lo
	v_cmpx_ne_u16_e32 0x80, v0
	s_cbranch_execz .LBB290_1270
; %bb.1265:                             ;   in Loop: Header=BB290_998 Depth=1
	v_and_b32_e32 v113, 0x7f, v11
	v_mov_b32_e32 v112, 0x7c01
	s_mov_b32 s15, exec_lo
	s_delay_alu instid0(VALU_DEP_2)
	v_cmpx_ne_u32_e32 0x7f, v113
	s_cbranch_execz .LBB290_1269
; %bb.1266:                             ;   in Loop: Header=BB290_998 Depth=1
	v_and_b32_e32 v0, 7, v11
	v_lshrrev_b32_e32 v112, 3, v113
	s_mov_b32 s16, exec_lo
	v_cmpx_gt_u32_e32 8, v113
; %bb.1267:                             ;   in Loop: Header=BB290_998 Depth=1
	s_delay_alu instid0(VALU_DEP_3) | instskip(NEXT) | instid1(VALU_DEP_1)
	v_clz_i32_u32_e32 v0, v0
	v_min_u32_e32 v0, 32, v0
	s_delay_alu instid0(VALU_DEP_1) | instskip(NEXT) | instid1(VALU_DEP_1)
	v_subrev_nc_u32_e32 v112, 28, v0
	v_lshlrev_b64_e32 v[113:114], v112, v[11:12]
	v_sub_nc_u32_e32 v112, 29, v0
	s_delay_alu instid0(VALU_DEP_2)
	v_and_b32_e32 v0, 7, v113
; %bb.1268:                             ;   in Loop: Header=BB290_998 Depth=1
	s_wait_alu 0xfffe
	s_or_b32 exec_lo, exec_lo, s16
	v_lshlrev_b32_e32 v113, 8, v11
	v_lshl_add_u32 v112, v112, 10, 0x2000
	v_lshlrev_b32_e32 v0, 7, v0
	s_delay_alu instid0(VALU_DEP_3) | instskip(NEXT) | instid1(VALU_DEP_3)
	v_and_b32_e32 v113, 0x8000, v113
	v_and_b32_e32 v112, 0xfc00, v112
	s_delay_alu instid0(VALU_DEP_1)
	v_or3_b32 v112, v113, v112, v0
.LBB290_1269:                           ;   in Loop: Header=BB290_998 Depth=1
	s_wait_alu 0xfffe
	s_or_b32 exec_lo, exec_lo, s15
.LBB290_1270:                           ;   in Loop: Header=BB290_998 Depth=1
	s_wait_alu 0xfffe
	s_or_b32 exec_lo, exec_lo, s14
.LBB290_1271:                           ;   in Loop: Header=BB290_998 Depth=1
	s_wait_alu 0xfffe
	s_or_b32 exec_lo, exec_lo, s11
	v_lshrrev_b16 v0, 8, v11
	s_mov_b32 s11, exec_lo
	s_delay_alu instid0(VALU_DEP_1)
	v_cmpx_ne_u16_e32 0, v0
	s_cbranch_execz .LBB290_1279
; %bb.1272:                             ;   in Loop: Header=BB290_998 Depth=1
	v_bfrev_b32_e32 v103, 1
	s_mov_b32 s14, exec_lo
	v_cmpx_ne_u16_e32 0x80, v0
	s_cbranch_execz .LBB290_1278
; %bb.1273:                             ;   in Loop: Header=BB290_998 Depth=1
	v_and_b32_e32 v113, 0xffff, v0
	v_mov_b32_e32 v103, 0x7c010000
	s_mov_b32 s15, exec_lo
	s_delay_alu instid0(VALU_DEP_2) | instskip(NEXT) | instid1(VALU_DEP_1)
	v_and_b32_e32 v115, 0x7f, v113
	v_cmpx_ne_u32_e32 0x7f, v115
	s_cbranch_execz .LBB290_1277
; %bb.1274:                             ;   in Loop: Header=BB290_998 Depth=1
	v_and_b32_e32 v103, 7, v113
	v_lshrrev_b32_e32 v114, 3, v115
	s_mov_b32 s16, exec_lo
	v_cmpx_gt_u32_e32 8, v115
; %bb.1275:                             ;   in Loop: Header=BB290_998 Depth=1
	s_delay_alu instid0(VALU_DEP_3) | instskip(NEXT) | instid1(VALU_DEP_1)
	v_clz_i32_u32_e32 v103, v103
	v_min_u32_e32 v103, 32, v103
	s_delay_alu instid0(VALU_DEP_1) | instskip(NEXT) | instid1(VALU_DEP_1)
	v_subrev_nc_u32_e32 v114, 28, v103
	v_lshlrev_b64_e32 v[115:116], v114, v[0:1]
	v_sub_nc_u32_e32 v114, 29, v103
	s_delay_alu instid0(VALU_DEP_2)
	v_and_b32_e32 v103, 7, v115
; %bb.1276:                             ;   in Loop: Header=BB290_998 Depth=1
	s_wait_alu 0xfffe
	s_or_b32 exec_lo, exec_lo, s16
	v_lshlrev_b32_e32 v0, 8, v113
	v_lshl_add_u32 v113, v114, 10, 0x2000
	v_lshlrev_b32_e32 v103, 23, v103
	s_delay_alu instid0(VALU_DEP_2) | instskip(NEXT) | instid1(VALU_DEP_1)
	v_and_or_b32 v0, 0x8000, v0, v113
	v_lshl_or_b32 v103, v0, 16, v103
.LBB290_1277:                           ;   in Loop: Header=BB290_998 Depth=1
	s_wait_alu 0xfffe
	s_or_b32 exec_lo, exec_lo, s15
.LBB290_1278:                           ;   in Loop: Header=BB290_998 Depth=1
	s_wait_alu 0xfffe
	s_or_b32 exec_lo, exec_lo, s14
.LBB290_1279:                           ;   in Loop: Header=BB290_998 Depth=1
	s_wait_alu 0xfffe
	s_or_b32 exec_lo, exec_lo, s11
	v_lshrrev_b32_e32 v0, 16, v11
	v_mov_b32_e32 v113, 0
	s_mov_b32 s11, exec_lo
	s_delay_alu instid0(VALU_DEP_2) | instskip(NEXT) | instid1(VALU_DEP_1)
	v_dual_mov_b32 v114, 0 :: v_dual_and_b32 v115, 0xff, v0
	v_cmpx_ne_u16_e32 0, v115
	s_cbranch_execz .LBB290_1287
; %bb.1280:                             ;   in Loop: Header=BB290_998 Depth=1
	v_mov_b32_e32 v114, 0x8000
	s_mov_b32 s14, exec_lo
	v_cmpx_ne_u16_e32 0x80, v115
	s_cbranch_execz .LBB290_1286
; %bb.1281:                             ;   in Loop: Header=BB290_998 Depth=1
	v_bfe_u32 v116, v11, 16, 7
	v_mov_b32_e32 v114, 0x7c01
	s_mov_b32 s15, exec_lo
	s_delay_alu instid0(VALU_DEP_2)
	v_cmpx_ne_u32_e32 0x7f, v116
	s_cbranch_execz .LBB290_1285
; %bb.1282:                             ;   in Loop: Header=BB290_998 Depth=1
	v_and_b32_e32 v114, 7, v0
	v_lshrrev_b32_e32 v115, 3, v116
	s_mov_b32 s16, exec_lo
	v_cmpx_gt_u32_e32 8, v116
; %bb.1283:                             ;   in Loop: Header=BB290_998 Depth=1
	s_delay_alu instid0(VALU_DEP_3) | instskip(NEXT) | instid1(VALU_DEP_1)
	v_clz_i32_u32_e32 v114, v114
	v_min_u32_e32 v116, 32, v114
	s_delay_alu instid0(VALU_DEP_1) | instskip(NEXT) | instid1(VALU_DEP_1)
	v_subrev_nc_u32_e32 v114, 28, v116
	v_lshlrev_b64_e32 v[114:115], v114, v[0:1]
	v_sub_nc_u32_e32 v115, 29, v116
	s_delay_alu instid0(VALU_DEP_2)
	v_and_b32_e32 v114, 7, v114
; %bb.1284:                             ;   in Loop: Header=BB290_998 Depth=1
	s_wait_alu 0xfffe
	s_or_b32 exec_lo, exec_lo, s16
	v_lshlrev_b32_e32 v0, 8, v0
	v_lshl_add_u32 v115, v115, 10, 0x2000
	v_lshlrev_b32_e32 v114, 7, v114
	s_delay_alu instid0(VALU_DEP_3) | instskip(NEXT) | instid1(VALU_DEP_3)
	v_and_b32_e32 v0, 0x8000, v0
	v_and_b32_e32 v115, 0xfc00, v115
	s_delay_alu instid0(VALU_DEP_1)
	v_or3_b32 v114, v0, v115, v114
.LBB290_1285:                           ;   in Loop: Header=BB290_998 Depth=1
	s_wait_alu 0xfffe
	s_or_b32 exec_lo, exec_lo, s15
.LBB290_1286:                           ;   in Loop: Header=BB290_998 Depth=1
	s_wait_alu 0xfffe
	s_or_b32 exec_lo, exec_lo, s14
.LBB290_1287:                           ;   in Loop: Header=BB290_998 Depth=1
	s_wait_alu 0xfffe
	s_or_b32 exec_lo, exec_lo, s11
	s_delay_alu instid0(SALU_CYCLE_1)
	s_mov_b32 s11, exec_lo
	v_cmpx_lt_u32_e32 0xffffff, v11
	s_cbranch_execz .LBB290_1295
; %bb.1288:                             ;   in Loop: Header=BB290_998 Depth=1
	v_lshrrev_b32_e32 v0, 24, v11
	v_bfrev_b32_e32 v113, 1
	s_mov_b32 s14, exec_lo
	s_delay_alu instid0(VALU_DEP_2)
	v_cmpx_ne_u32_e32 0x80, v0
	s_cbranch_execz .LBB290_1294
; %bb.1289:                             ;   in Loop: Header=BB290_998 Depth=1
	v_and_b32_e32 v116, 0x7f, v0
	v_mov_b32_e32 v113, 0x7c010000
	s_mov_b32 s15, exec_lo
	s_delay_alu instid0(VALU_DEP_2)
	v_cmpx_ne_u32_e32 0x7f, v116
	s_cbranch_execz .LBB290_1293
; %bb.1290:                             ;   in Loop: Header=BB290_998 Depth=1
	v_and_b32_e32 v113, 7, v0
	v_lshrrev_b32_e32 v115, 3, v116
	s_mov_b32 s16, exec_lo
	v_cmpx_gt_u32_e32 8, v116
; %bb.1291:                             ;   in Loop: Header=BB290_998 Depth=1
	s_delay_alu instid0(VALU_DEP_3) | instskip(NEXT) | instid1(VALU_DEP_1)
	v_clz_i32_u32_e32 v113, v113
	v_min_u32_e32 v113, 32, v113
	s_delay_alu instid0(VALU_DEP_1) | instskip(NEXT) | instid1(VALU_DEP_1)
	v_subrev_nc_u32_e32 v115, 28, v113
	v_lshlrev_b64_e32 v[116:117], v115, v[0:1]
	v_sub_nc_u32_e32 v115, 29, v113
	s_delay_alu instid0(VALU_DEP_2)
	v_and_b32_e32 v113, 7, v116
; %bb.1292:                             ;   in Loop: Header=BB290_998 Depth=1
	s_wait_alu 0xfffe
	s_or_b32 exec_lo, exec_lo, s16
	v_lshlrev_b32_e32 v0, 8, v0
	v_lshl_add_u32 v115, v115, 10, 0x2000
	v_lshlrev_b32_e32 v113, 23, v113
	s_delay_alu instid0(VALU_DEP_2) | instskip(NEXT) | instid1(VALU_DEP_1)
	v_and_or_b32 v0, 0x8000, v0, v115
	v_lshl_or_b32 v113, v0, 16, v113
.LBB290_1293:                           ;   in Loop: Header=BB290_998 Depth=1
	s_wait_alu 0xfffe
	s_or_b32 exec_lo, exec_lo, s15
.LBB290_1294:                           ;   in Loop: Header=BB290_998 Depth=1
	s_wait_alu 0xfffe
	s_or_b32 exec_lo, exec_lo, s14
.LBB290_1295:                           ;   in Loop: Header=BB290_998 Depth=1
	s_wait_alu 0xfffe
	s_or_b32 exec_lo, exec_lo, s11
	v_dual_mov_b32 v0, v12 :: v_dual_and_b32 v117, 0xff, v12
	v_dual_mov_b32 v115, 0 :: v_dual_mov_b32 v116, 0
	s_mov_b32 s11, exec_lo
	s_delay_alu instid0(VALU_DEP_2)
	v_cmpx_ne_u16_e32 0, v117
	s_cbranch_execz .LBB290_1303
; %bb.1296:                             ;   in Loop: Header=BB290_998 Depth=1
	v_mov_b32_e32 v116, 0x8000
	s_mov_b32 s14, exec_lo
	v_cmpx_ne_u16_e32 0x80, v117
	s_cbranch_execz .LBB290_1302
; %bb.1297:                             ;   in Loop: Header=BB290_998 Depth=1
	v_and_b32_e32 v118, 0x7f, v12
	v_mov_b32_e32 v116, 0x7c01
	s_mov_b32 s15, exec_lo
	s_delay_alu instid0(VALU_DEP_2)
	v_cmpx_ne_u32_e32 0x7f, v118
	s_cbranch_execz .LBB290_1301
; %bb.1298:                             ;   in Loop: Header=BB290_998 Depth=1
	v_and_b32_e32 v116, 7, v12
	v_lshrrev_b32_e32 v117, 3, v118
	s_mov_b32 s16, exec_lo
	v_cmpx_gt_u32_e32 8, v118
; %bb.1299:                             ;   in Loop: Header=BB290_998 Depth=1
	s_delay_alu instid0(VALU_DEP_3) | instskip(NEXT) | instid1(VALU_DEP_1)
	v_clz_i32_u32_e32 v116, v116
	v_min_u32_e32 v118, 32, v116
	s_delay_alu instid0(VALU_DEP_1) | instskip(NEXT) | instid1(VALU_DEP_1)
	v_subrev_nc_u32_e32 v116, 28, v118
	v_lshlrev_b64_e32 v[116:117], v116, v[0:1]
	v_sub_nc_u32_e32 v117, 29, v118
	s_delay_alu instid0(VALU_DEP_2)
	v_and_b32_e32 v116, 7, v116
; %bb.1300:                             ;   in Loop: Header=BB290_998 Depth=1
	s_wait_alu 0xfffe
	s_or_b32 exec_lo, exec_lo, s16
	v_lshlrev_b32_e32 v118, 8, v12
	v_lshl_add_u32 v117, v117, 10, 0x2000
	v_lshlrev_b32_e32 v116, 7, v116
	s_delay_alu instid0(VALU_DEP_3) | instskip(NEXT) | instid1(VALU_DEP_3)
	v_and_b32_e32 v118, 0x8000, v118
	v_and_b32_e32 v117, 0xfc00, v117
	s_delay_alu instid0(VALU_DEP_1)
	v_or3_b32 v116, v118, v117, v116
.LBB290_1301:                           ;   in Loop: Header=BB290_998 Depth=1
	s_wait_alu 0xfffe
	s_or_b32 exec_lo, exec_lo, s15
.LBB290_1302:                           ;   in Loop: Header=BB290_998 Depth=1
	s_wait_alu 0xfffe
	s_or_b32 exec_lo, exec_lo, s14
.LBB290_1303:                           ;   in Loop: Header=BB290_998 Depth=1
	s_wait_alu 0xfffe
	s_or_b32 exec_lo, exec_lo, s11
	v_lshrrev_b16 v0, 8, v0
	v_mov_b32_e32 v117, 0
	s_mov_b32 s11, exec_lo
	s_delay_alu instid0(VALU_DEP_2)
	v_cmpx_ne_u16_e32 0, v0
	s_cbranch_execz .LBB290_1311
; %bb.1304:                             ;   in Loop: Header=BB290_998 Depth=1
	v_bfrev_b32_e32 v117, 1
	s_mov_b32 s14, exec_lo
	v_cmpx_ne_u16_e32 0x80, v0
	s_cbranch_execz .LBB290_1310
; %bb.1305:                             ;   in Loop: Header=BB290_998 Depth=1
	v_and_b32_e32 v118, 0xffff, v0
	v_mov_b32_e32 v117, 0x7c010000
	s_mov_b32 s15, exec_lo
	s_delay_alu instid0(VALU_DEP_2) | instskip(NEXT) | instid1(VALU_DEP_1)
	v_and_b32_e32 v128, 0x7f, v118
	v_cmpx_ne_u32_e32 0x7f, v128
	s_cbranch_execz .LBB290_1309
; %bb.1306:                             ;   in Loop: Header=BB290_998 Depth=1
	v_and_b32_e32 v117, 7, v118
	v_lshrrev_b32_e32 v119, 3, v128
	s_mov_b32 s16, exec_lo
	v_cmpx_gt_u32_e32 8, v128
; %bb.1307:                             ;   in Loop: Header=BB290_998 Depth=1
	s_delay_alu instid0(VALU_DEP_3) | instskip(NEXT) | instid1(VALU_DEP_1)
	v_clz_i32_u32_e32 v117, v117
	v_min_u32_e32 v117, 32, v117
	s_delay_alu instid0(VALU_DEP_1) | instskip(NEXT) | instid1(VALU_DEP_1)
	v_subrev_nc_u32_e32 v119, 28, v117
	v_lshlrev_b64_e32 v[128:129], v119, v[0:1]
	v_sub_nc_u32_e32 v119, 29, v117
	s_delay_alu instid0(VALU_DEP_2)
	v_and_b32_e32 v117, 7, v128
; %bb.1308:                             ;   in Loop: Header=BB290_998 Depth=1
	s_wait_alu 0xfffe
	s_or_b32 exec_lo, exec_lo, s16
	v_lshlrev_b32_e32 v0, 8, v118
	v_lshl_add_u32 v118, v119, 10, 0x2000
	v_lshlrev_b32_e32 v117, 23, v117
	s_delay_alu instid0(VALU_DEP_2) | instskip(NEXT) | instid1(VALU_DEP_1)
	v_and_or_b32 v0, 0x8000, v0, v118
	v_lshl_or_b32 v117, v0, 16, v117
.LBB290_1309:                           ;   in Loop: Header=BB290_998 Depth=1
	s_wait_alu 0xfffe
	s_or_b32 exec_lo, exec_lo, s15
.LBB290_1310:                           ;   in Loop: Header=BB290_998 Depth=1
	s_wait_alu 0xfffe
	s_or_b32 exec_lo, exec_lo, s14
.LBB290_1311:                           ;   in Loop: Header=BB290_998 Depth=1
	s_wait_alu 0xfffe
	s_or_b32 exec_lo, exec_lo, s11
	v_lshrrev_b32_e32 v0, 16, v12
	s_mov_b32 s11, exec_lo
	s_delay_alu instid0(VALU_DEP_1) | instskip(NEXT) | instid1(VALU_DEP_1)
	v_and_b32_e32 v118, 0xff, v0
	v_cmpx_ne_u16_e32 0, v118
	s_cbranch_execz .LBB290_1319
; %bb.1312:                             ;   in Loop: Header=BB290_998 Depth=1
	v_mov_b32_e32 v115, 0x8000
	s_mov_b32 s14, exec_lo
	v_cmpx_ne_u16_e32 0x80, v118
	s_cbranch_execz .LBB290_1318
; %bb.1313:                             ;   in Loop: Header=BB290_998 Depth=1
	v_bfe_u32 v119, v12, 16, 7
	v_mov_b32_e32 v115, 0x7c01
	s_mov_b32 s15, exec_lo
	s_delay_alu instid0(VALU_DEP_2)
	v_cmpx_ne_u32_e32 0x7f, v119
	s_cbranch_execz .LBB290_1317
; %bb.1314:                             ;   in Loop: Header=BB290_998 Depth=1
	v_and_b32_e32 v115, 7, v0
	v_lshrrev_b32_e32 v118, 3, v119
	s_mov_b32 s16, exec_lo
	v_cmpx_gt_u32_e32 8, v119
; %bb.1315:                             ;   in Loop: Header=BB290_998 Depth=1
	s_delay_alu instid0(VALU_DEP_3) | instskip(NEXT) | instid1(VALU_DEP_1)
	v_clz_i32_u32_e32 v115, v115
	v_min_u32_e32 v115, 32, v115
	s_delay_alu instid0(VALU_DEP_1) | instskip(NEXT) | instid1(VALU_DEP_1)
	v_subrev_nc_u32_e32 v118, 28, v115
	v_lshlrev_b64_e32 v[128:129], v118, v[0:1]
	v_sub_nc_u32_e32 v118, 29, v115
	s_delay_alu instid0(VALU_DEP_2)
	v_and_b32_e32 v115, 7, v128
; %bb.1316:                             ;   in Loop: Header=BB290_998 Depth=1
	s_wait_alu 0xfffe
	s_or_b32 exec_lo, exec_lo, s16
	v_lshlrev_b32_e32 v0, 8, v0
	v_lshl_add_u32 v118, v118, 10, 0x2000
	v_lshlrev_b32_e32 v115, 7, v115
	s_delay_alu instid0(VALU_DEP_3) | instskip(NEXT) | instid1(VALU_DEP_3)
	v_and_b32_e32 v0, 0x8000, v0
	v_and_b32_e32 v118, 0xfc00, v118
	s_delay_alu instid0(VALU_DEP_1)
	v_or3_b32 v115, v0, v118, v115
.LBB290_1317:                           ;   in Loop: Header=BB290_998 Depth=1
	s_wait_alu 0xfffe
	s_or_b32 exec_lo, exec_lo, s15
.LBB290_1318:                           ;   in Loop: Header=BB290_998 Depth=1
	s_wait_alu 0xfffe
	s_or_b32 exec_lo, exec_lo, s14
.LBB290_1319:                           ;   in Loop: Header=BB290_998 Depth=1
	s_wait_alu 0xfffe
	s_or_b32 exec_lo, exec_lo, s11
	v_cmp_lt_u64_e64 s0, s[8:9], v[11:12]
	v_mov_b32_e32 v11, 0
	s_and_saveexec_b32 s11, s0
	s_cbranch_execz .LBB290_1327
; %bb.1320:                             ;   in Loop: Header=BB290_998 Depth=1
	v_lshrrev_b32_e32 v0, 24, v12
	v_bfrev_b32_e32 v11, 1
	s_mov_b32 s14, exec_lo
	s_delay_alu instid0(VALU_DEP_2)
	v_cmpx_ne_u32_e32 0x80, v0
	s_cbranch_execz .LBB290_1326
; %bb.1321:                             ;   in Loop: Header=BB290_998 Depth=1
	v_and_b32_e32 v118, 0x7f, v0
	v_mov_b32_e32 v11, 0x7c010000
	s_mov_b32 s15, exec_lo
	s_delay_alu instid0(VALU_DEP_2)
	v_cmpx_ne_u32_e32 0x7f, v118
	s_cbranch_execz .LBB290_1325
; %bb.1322:                             ;   in Loop: Header=BB290_998 Depth=1
	v_and_b32_e32 v11, 7, v0
	v_lshrrev_b32_e32 v12, 3, v118
	s_mov_b32 s16, exec_lo
	v_cmpx_gt_u32_e32 8, v118
; %bb.1323:                             ;   in Loop: Header=BB290_998 Depth=1
	s_delay_alu instid0(VALU_DEP_3) | instskip(NEXT) | instid1(VALU_DEP_1)
	v_clz_i32_u32_e32 v11, v11
	v_min_u32_e32 v118, 32, v11
	s_delay_alu instid0(VALU_DEP_1) | instskip(NEXT) | instid1(VALU_DEP_1)
	v_subrev_nc_u32_e32 v11, 28, v118
	v_lshlrev_b64_e32 v[11:12], v11, v[0:1]
	v_sub_nc_u32_e32 v12, 29, v118
	s_delay_alu instid0(VALU_DEP_2)
	v_and_b32_e32 v11, 7, v11
; %bb.1324:                             ;   in Loop: Header=BB290_998 Depth=1
	s_wait_alu 0xfffe
	s_or_b32 exec_lo, exec_lo, s16
	v_lshlrev_b32_e32 v0, 8, v0
	v_lshl_add_u32 v12, v12, 10, 0x2000
	v_lshlrev_b32_e32 v11, 23, v11
	s_delay_alu instid0(VALU_DEP_2) | instskip(NEXT) | instid1(VALU_DEP_1)
	v_and_or_b32 v0, 0x8000, v0, v12
	v_lshl_or_b32 v11, v0, 16, v11
.LBB290_1325:                           ;   in Loop: Header=BB290_998 Depth=1
	s_wait_alu 0xfffe
	s_or_b32 exec_lo, exec_lo, s15
.LBB290_1326:                           ;   in Loop: Header=BB290_998 Depth=1
	s_wait_alu 0xfffe
	s_or_b32 exec_lo, exec_lo, s14
.LBB290_1327:                           ;   in Loop: Header=BB290_998 Depth=1
	s_wait_alu 0xfffe
	s_or_b32 exec_lo, exec_lo, s11
	v_or_b32_e32 v0, v113, v114
	s_wait_loadcnt_dscnt 0x0
	v_fma_mixlo_f16 v12, v102, v113, 0 op_sel:[0,1,0] op_sel_hi:[0,1,0]
	v_or_b32_e32 v113, v103, v112
	v_fma_mixlo_f16 v103, v102, v103, 0 op_sel:[0,1,0] op_sel_hi:[0,1,0]
	v_or_b32_e32 v114, v117, v116
	v_or_b32_e32 v115, v11, v115
	v_fma_mixlo_f16 v116, v102, v0, 0 op_sel_hi:[0,1,0]
	v_fma_mixlo_f16 v11, v102, v11, 0 op_sel:[0,1,0] op_sel_hi:[0,1,0]
	v_lshlrev_b32_e32 v112, 16, v103
	v_fma_mixlo_f16 v103, v102, v113, 0 op_sel_hi:[0,1,0]
	v_fma_mixlo_f16 v113, v102, v117, 0 op_sel:[0,1,0] op_sel_hi:[0,1,0]
	v_fma_mixlo_f16 v114, v102, v114, 0 op_sel_hi:[0,1,0]
	v_fma_mixlo_f16 v115, v102, v115, 0 op_sel_hi:[0,1,0]
	v_lshlrev_b32_e32 v0, 16, v12
	v_and_b32_e32 v12, 0xffff, v116
	v_and_b32_e32 v118, 0xffff, v103
	v_lshlrev_b32_e32 v102, 16, v113
	v_and_b32_e32 v114, 0xffff, v114
	v_lshlrev_b32_e32 v11, 16, v11
	v_and_b32_e32 v103, 0xffff, v115
	v_or_b32_e32 v113, v0, v12
	v_or_b32_e32 v117, v112, v118
	;; [unrolled: 1-line block ×3, first 2 shown]
	s_delay_alu instid0(VALU_DEP_4)
	v_or_b32_e32 v115, v11, v103
	s_and_saveexec_b32 s11, vcc_lo
	s_cbranch_execz .LBB290_1329
; %bb.1328:                             ;   in Loop: Header=BB290_998 Depth=1
	v_cmp_lt_i32_e64 s0, v17, v34
	s_wait_alu 0xf1ff
	s_delay_alu instid0(VALU_DEP_1) | instskip(SKIP_2) | instid1(VALU_DEP_1)
	v_cndmask_b32_e64 v113, 0, v118, s0
	v_cmp_lt_i32_e64 s0, v87, v34
	s_wait_alu 0xf1ff
	v_cndmask_b32_e64 v112, 0, v112, s0
	v_cmp_lt_i32_e64 s0, v86, v34
	s_delay_alu instid0(VALU_DEP_2) | instskip(SKIP_1) | instid1(VALU_DEP_2)
	v_or_b32_e32 v117, v113, v112
	s_wait_alu 0xf1ff
	v_cndmask_b32_e64 v12, 0, v12, s0
	v_cmp_lt_i32_e64 s0, v85, v34
	s_wait_alu 0xf1ff
	s_delay_alu instid0(VALU_DEP_1) | instskip(SKIP_1) | instid1(VALU_DEP_2)
	v_cndmask_b32_e64 v0, 0, v0, s0
	v_cmp_lt_i32_e64 s0, v84, v34
	v_or_b32_e32 v113, v12, v0
	s_wait_alu 0xf1ff
	s_delay_alu instid0(VALU_DEP_2) | instskip(SKIP_2) | instid1(VALU_DEP_1)
	v_cndmask_b32_e64 v114, 0, v114, s0
	v_cmp_lt_i32_e64 s0, v83, v34
	s_wait_alu 0xf1ff
	v_cndmask_b32_e64 v102, 0, v102, s0
	v_cmp_lt_i32_e64 s0, v82, v34
	s_delay_alu instid0(VALU_DEP_2) | instskip(SKIP_1) | instid1(VALU_DEP_2)
	v_or_b32_e32 v116, v114, v102
	s_wait_alu 0xf1ff
	v_cndmask_b32_e64 v103, 0, v103, s0
	v_cmp_lt_i32_e64 s0, v81, v34
	s_wait_alu 0xf1ff
	s_delay_alu instid0(VALU_DEP_1) | instskip(NEXT) | instid1(VALU_DEP_1)
	v_cndmask_b32_e64 v11, 0, v11, s0
	v_or_b32_e32 v115, v103, v11
.LBB290_1329:                           ;   in Loop: Header=BB290_998 Depth=1
	s_wait_alu 0xfffe
	s_or_b32 exec_lo, exec_lo, s11
	;;#ASMSTART
	v_pk_mul_f16 v0, v80, v117;

	;;#ASMEND
	;;#ASMSTART
	v_pk_mul_f16 v11, v71, v113;

	;;#ASMEND
	;; [unrolled: 4-line block ×4, first 2 shown]
	;;#ASMSTART
	v_pk_add_f16 v0, v0, v11;

	;;#ASMEND
	;;#ASMSTART
	v_pk_add_f16 v0, v0, v12;

	;;#ASMEND
	;;#ASMSTART
	v_pk_add_f16 v0, v0, v102;

	;;#ASMEND
	v_dual_mov_b32 v114, 0 :: v_dual_and_b32 v11, 0xffff, v0
	v_lshrrev_b32_e32 v0, 16, v0
	;;#ASMSTART
	v_cvt_f32_f16 v102, v11;
	;;#ASMEND
	;;#ASMSTART
	v_cvt_f32_f16 v103, v0;
	;;#ASMEND
	flat_load_b64 v[11:12], v[9:10] offset:1280
	flat_load_b32 v112, v[26:27]
	s_mov_b32 s11, exec_lo
	s_wait_loadcnt_dscnt 0x101
	v_dual_mov_b32 v113, 0 :: v_dual_and_b32 v0, 0xff, v11
	s_delay_alu instid0(VALU_DEP_1)
	v_cmpx_ne_u16_e32 0, v0
	s_cbranch_execz .LBB290_1337
; %bb.1330:                             ;   in Loop: Header=BB290_998 Depth=1
	v_mov_b32_e32 v114, 0x8000
	s_mov_b32 s14, exec_lo
	v_cmpx_ne_u16_e32 0x80, v0
	s_cbranch_execz .LBB290_1336
; %bb.1331:                             ;   in Loop: Header=BB290_998 Depth=1
	v_and_b32_e32 v115, 0x7f, v11
	v_mov_b32_e32 v114, 0x7c01
	s_mov_b32 s15, exec_lo
	s_delay_alu instid0(VALU_DEP_2)
	v_cmpx_ne_u32_e32 0x7f, v115
	s_cbranch_execz .LBB290_1335
; %bb.1332:                             ;   in Loop: Header=BB290_998 Depth=1
	v_and_b32_e32 v0, 7, v11
	v_lshrrev_b32_e32 v114, 3, v115
	s_mov_b32 s16, exec_lo
	v_cmpx_gt_u32_e32 8, v115
; %bb.1333:                             ;   in Loop: Header=BB290_998 Depth=1
	s_delay_alu instid0(VALU_DEP_3) | instskip(NEXT) | instid1(VALU_DEP_1)
	v_clz_i32_u32_e32 v0, v0
	v_min_u32_e32 v0, 32, v0
	s_delay_alu instid0(VALU_DEP_1) | instskip(NEXT) | instid1(VALU_DEP_1)
	v_subrev_nc_u32_e32 v114, 28, v0
	v_lshlrev_b64_e32 v[115:116], v114, v[11:12]
	v_sub_nc_u32_e32 v114, 29, v0
	s_delay_alu instid0(VALU_DEP_2)
	v_and_b32_e32 v0, 7, v115
; %bb.1334:                             ;   in Loop: Header=BB290_998 Depth=1
	s_wait_alu 0xfffe
	s_or_b32 exec_lo, exec_lo, s16
	v_lshlrev_b32_e32 v115, 8, v11
	v_lshl_add_u32 v114, v114, 10, 0x2000
	v_lshlrev_b32_e32 v0, 7, v0
	s_delay_alu instid0(VALU_DEP_3) | instskip(NEXT) | instid1(VALU_DEP_3)
	v_and_b32_e32 v115, 0x8000, v115
	v_and_b32_e32 v114, 0xfc00, v114
	s_delay_alu instid0(VALU_DEP_1)
	v_or3_b32 v114, v115, v114, v0
.LBB290_1335:                           ;   in Loop: Header=BB290_998 Depth=1
	s_wait_alu 0xfffe
	s_or_b32 exec_lo, exec_lo, s15
.LBB290_1336:                           ;   in Loop: Header=BB290_998 Depth=1
	s_wait_alu 0xfffe
	s_or_b32 exec_lo, exec_lo, s14
.LBB290_1337:                           ;   in Loop: Header=BB290_998 Depth=1
	s_wait_alu 0xfffe
	s_or_b32 exec_lo, exec_lo, s11
	v_lshrrev_b16 v0, 8, v11
	s_mov_b32 s11, exec_lo
	s_delay_alu instid0(VALU_DEP_1)
	v_cmpx_ne_u16_e32 0, v0
	s_cbranch_execz .LBB290_1345
; %bb.1338:                             ;   in Loop: Header=BB290_998 Depth=1
	v_bfrev_b32_e32 v113, 1
	s_mov_b32 s14, exec_lo
	v_cmpx_ne_u16_e32 0x80, v0
	s_cbranch_execz .LBB290_1344
; %bb.1339:                             ;   in Loop: Header=BB290_998 Depth=1
	v_and_b32_e32 v115, 0xffff, v0
	v_mov_b32_e32 v113, 0x7c010000
	s_mov_b32 s15, exec_lo
	s_delay_alu instid0(VALU_DEP_2) | instskip(NEXT) | instid1(VALU_DEP_1)
	v_and_b32_e32 v117, 0x7f, v115
	v_cmpx_ne_u32_e32 0x7f, v117
	s_cbranch_execz .LBB290_1343
; %bb.1340:                             ;   in Loop: Header=BB290_998 Depth=1
	v_and_b32_e32 v113, 7, v115
	v_lshrrev_b32_e32 v116, 3, v117
	s_mov_b32 s16, exec_lo
	v_cmpx_gt_u32_e32 8, v117
; %bb.1341:                             ;   in Loop: Header=BB290_998 Depth=1
	s_delay_alu instid0(VALU_DEP_3) | instskip(NEXT) | instid1(VALU_DEP_1)
	v_clz_i32_u32_e32 v113, v113
	v_min_u32_e32 v113, 32, v113
	s_delay_alu instid0(VALU_DEP_1) | instskip(NEXT) | instid1(VALU_DEP_1)
	v_subrev_nc_u32_e32 v116, 28, v113
	v_lshlrev_b64_e32 v[117:118], v116, v[0:1]
	v_sub_nc_u32_e32 v116, 29, v113
	s_delay_alu instid0(VALU_DEP_2)
	v_and_b32_e32 v113, 7, v117
; %bb.1342:                             ;   in Loop: Header=BB290_998 Depth=1
	s_wait_alu 0xfffe
	s_or_b32 exec_lo, exec_lo, s16
	v_lshlrev_b32_e32 v0, 8, v115
	v_lshl_add_u32 v115, v116, 10, 0x2000
	v_lshlrev_b32_e32 v113, 23, v113
	s_delay_alu instid0(VALU_DEP_2) | instskip(NEXT) | instid1(VALU_DEP_1)
	v_and_or_b32 v0, 0x8000, v0, v115
	v_lshl_or_b32 v113, v0, 16, v113
.LBB290_1343:                           ;   in Loop: Header=BB290_998 Depth=1
	s_wait_alu 0xfffe
	s_or_b32 exec_lo, exec_lo, s15
.LBB290_1344:                           ;   in Loop: Header=BB290_998 Depth=1
	s_wait_alu 0xfffe
	s_or_b32 exec_lo, exec_lo, s14
.LBB290_1345:                           ;   in Loop: Header=BB290_998 Depth=1
	s_wait_alu 0xfffe
	s_or_b32 exec_lo, exec_lo, s11
	v_lshrrev_b32_e32 v0, 16, v11
	v_mov_b32_e32 v115, 0
	s_mov_b32 s11, exec_lo
	s_delay_alu instid0(VALU_DEP_2) | instskip(NEXT) | instid1(VALU_DEP_1)
	v_dual_mov_b32 v116, 0 :: v_dual_and_b32 v117, 0xff, v0
	v_cmpx_ne_u16_e32 0, v117
	s_cbranch_execz .LBB290_1353
; %bb.1346:                             ;   in Loop: Header=BB290_998 Depth=1
	v_mov_b32_e32 v116, 0x8000
	s_mov_b32 s14, exec_lo
	v_cmpx_ne_u16_e32 0x80, v117
	s_cbranch_execz .LBB290_1352
; %bb.1347:                             ;   in Loop: Header=BB290_998 Depth=1
	v_bfe_u32 v118, v11, 16, 7
	v_mov_b32_e32 v116, 0x7c01
	s_mov_b32 s15, exec_lo
	s_delay_alu instid0(VALU_DEP_2)
	v_cmpx_ne_u32_e32 0x7f, v118
	s_cbranch_execz .LBB290_1351
; %bb.1348:                             ;   in Loop: Header=BB290_998 Depth=1
	v_and_b32_e32 v116, 7, v0
	v_lshrrev_b32_e32 v117, 3, v118
	s_mov_b32 s16, exec_lo
	v_cmpx_gt_u32_e32 8, v118
; %bb.1349:                             ;   in Loop: Header=BB290_998 Depth=1
	s_delay_alu instid0(VALU_DEP_3) | instskip(NEXT) | instid1(VALU_DEP_1)
	v_clz_i32_u32_e32 v116, v116
	v_min_u32_e32 v118, 32, v116
	s_delay_alu instid0(VALU_DEP_1) | instskip(NEXT) | instid1(VALU_DEP_1)
	v_subrev_nc_u32_e32 v116, 28, v118
	v_lshlrev_b64_e32 v[116:117], v116, v[0:1]
	v_sub_nc_u32_e32 v117, 29, v118
	s_delay_alu instid0(VALU_DEP_2)
	v_and_b32_e32 v116, 7, v116
; %bb.1350:                             ;   in Loop: Header=BB290_998 Depth=1
	s_wait_alu 0xfffe
	s_or_b32 exec_lo, exec_lo, s16
	v_lshlrev_b32_e32 v0, 8, v0
	v_lshl_add_u32 v117, v117, 10, 0x2000
	v_lshlrev_b32_e32 v116, 7, v116
	s_delay_alu instid0(VALU_DEP_3) | instskip(NEXT) | instid1(VALU_DEP_3)
	v_and_b32_e32 v0, 0x8000, v0
	v_and_b32_e32 v117, 0xfc00, v117
	s_delay_alu instid0(VALU_DEP_1)
	v_or3_b32 v116, v0, v117, v116
.LBB290_1351:                           ;   in Loop: Header=BB290_998 Depth=1
	s_wait_alu 0xfffe
	s_or_b32 exec_lo, exec_lo, s15
.LBB290_1352:                           ;   in Loop: Header=BB290_998 Depth=1
	s_wait_alu 0xfffe
	s_or_b32 exec_lo, exec_lo, s14
.LBB290_1353:                           ;   in Loop: Header=BB290_998 Depth=1
	s_wait_alu 0xfffe
	s_or_b32 exec_lo, exec_lo, s11
	s_delay_alu instid0(SALU_CYCLE_1)
	s_mov_b32 s11, exec_lo
	v_cmpx_lt_u32_e32 0xffffff, v11
	s_cbranch_execz .LBB290_1361
; %bb.1354:                             ;   in Loop: Header=BB290_998 Depth=1
	v_lshrrev_b32_e32 v0, 24, v11
	v_bfrev_b32_e32 v115, 1
	s_mov_b32 s14, exec_lo
	s_delay_alu instid0(VALU_DEP_2)
	v_cmpx_ne_u32_e32 0x80, v0
	s_cbranch_execz .LBB290_1360
; %bb.1355:                             ;   in Loop: Header=BB290_998 Depth=1
	v_and_b32_e32 v118, 0x7f, v0
	v_mov_b32_e32 v115, 0x7c010000
	s_mov_b32 s15, exec_lo
	s_delay_alu instid0(VALU_DEP_2)
	v_cmpx_ne_u32_e32 0x7f, v118
	s_cbranch_execz .LBB290_1359
; %bb.1356:                             ;   in Loop: Header=BB290_998 Depth=1
	v_and_b32_e32 v115, 7, v0
	v_lshrrev_b32_e32 v117, 3, v118
	s_mov_b32 s16, exec_lo
	v_cmpx_gt_u32_e32 8, v118
; %bb.1357:                             ;   in Loop: Header=BB290_998 Depth=1
	s_delay_alu instid0(VALU_DEP_3) | instskip(NEXT) | instid1(VALU_DEP_1)
	v_clz_i32_u32_e32 v115, v115
	v_min_u32_e32 v115, 32, v115
	s_delay_alu instid0(VALU_DEP_1) | instskip(NEXT) | instid1(VALU_DEP_1)
	v_subrev_nc_u32_e32 v117, 28, v115
	v_lshlrev_b64_e32 v[118:119], v117, v[0:1]
	v_sub_nc_u32_e32 v117, 29, v115
	s_delay_alu instid0(VALU_DEP_2)
	v_and_b32_e32 v115, 7, v118
; %bb.1358:                             ;   in Loop: Header=BB290_998 Depth=1
	s_wait_alu 0xfffe
	s_or_b32 exec_lo, exec_lo, s16
	v_lshlrev_b32_e32 v0, 8, v0
	v_lshl_add_u32 v117, v117, 10, 0x2000
	v_lshlrev_b32_e32 v115, 23, v115
	s_delay_alu instid0(VALU_DEP_2) | instskip(NEXT) | instid1(VALU_DEP_1)
	v_and_or_b32 v0, 0x8000, v0, v117
	v_lshl_or_b32 v115, v0, 16, v115
.LBB290_1359:                           ;   in Loop: Header=BB290_998 Depth=1
	s_wait_alu 0xfffe
	s_or_b32 exec_lo, exec_lo, s15
.LBB290_1360:                           ;   in Loop: Header=BB290_998 Depth=1
	s_wait_alu 0xfffe
	s_or_b32 exec_lo, exec_lo, s14
.LBB290_1361:                           ;   in Loop: Header=BB290_998 Depth=1
	s_wait_alu 0xfffe
	s_or_b32 exec_lo, exec_lo, s11
	v_dual_mov_b32 v0, v12 :: v_dual_and_b32 v119, 0xff, v12
	v_dual_mov_b32 v117, 0 :: v_dual_mov_b32 v118, 0
	s_mov_b32 s11, exec_lo
	s_delay_alu instid0(VALU_DEP_2)
	v_cmpx_ne_u16_e32 0, v119
	s_cbranch_execz .LBB290_1369
; %bb.1362:                             ;   in Loop: Header=BB290_998 Depth=1
	v_mov_b32_e32 v118, 0x8000
	s_mov_b32 s14, exec_lo
	v_cmpx_ne_u16_e32 0x80, v119
	s_cbranch_execz .LBB290_1368
; %bb.1363:                             ;   in Loop: Header=BB290_998 Depth=1
	v_and_b32_e32 v128, 0x7f, v12
	v_mov_b32_e32 v118, 0x7c01
	s_mov_b32 s15, exec_lo
	s_delay_alu instid0(VALU_DEP_2)
	v_cmpx_ne_u32_e32 0x7f, v128
	s_cbranch_execz .LBB290_1367
; %bb.1364:                             ;   in Loop: Header=BB290_998 Depth=1
	v_and_b32_e32 v118, 7, v12
	v_lshrrev_b32_e32 v119, 3, v128
	s_mov_b32 s16, exec_lo
	v_cmpx_gt_u32_e32 8, v128
; %bb.1365:                             ;   in Loop: Header=BB290_998 Depth=1
	s_delay_alu instid0(VALU_DEP_3) | instskip(NEXT) | instid1(VALU_DEP_1)
	v_clz_i32_u32_e32 v118, v118
	v_min_u32_e32 v128, 32, v118
	s_delay_alu instid0(VALU_DEP_1) | instskip(NEXT) | instid1(VALU_DEP_1)
	v_subrev_nc_u32_e32 v118, 28, v128
	v_lshlrev_b64_e32 v[118:119], v118, v[0:1]
	v_sub_nc_u32_e32 v119, 29, v128
	s_delay_alu instid0(VALU_DEP_2)
	v_and_b32_e32 v118, 7, v118
; %bb.1366:                             ;   in Loop: Header=BB290_998 Depth=1
	s_wait_alu 0xfffe
	s_or_b32 exec_lo, exec_lo, s16
	v_lshlrev_b32_e32 v128, 8, v12
	v_lshl_add_u32 v119, v119, 10, 0x2000
	v_lshlrev_b32_e32 v118, 7, v118
	s_delay_alu instid0(VALU_DEP_3) | instskip(NEXT) | instid1(VALU_DEP_3)
	v_and_b32_e32 v128, 0x8000, v128
	v_and_b32_e32 v119, 0xfc00, v119
	s_delay_alu instid0(VALU_DEP_1)
	v_or3_b32 v118, v128, v119, v118
.LBB290_1367:                           ;   in Loop: Header=BB290_998 Depth=1
	s_wait_alu 0xfffe
	s_or_b32 exec_lo, exec_lo, s15
.LBB290_1368:                           ;   in Loop: Header=BB290_998 Depth=1
	s_wait_alu 0xfffe
	s_or_b32 exec_lo, exec_lo, s14
.LBB290_1369:                           ;   in Loop: Header=BB290_998 Depth=1
	s_wait_alu 0xfffe
	s_or_b32 exec_lo, exec_lo, s11
	v_lshrrev_b16 v0, 8, v0
	v_mov_b32_e32 v119, 0
	s_mov_b32 s11, exec_lo
	s_delay_alu instid0(VALU_DEP_2)
	v_cmpx_ne_u16_e32 0, v0
	s_cbranch_execz .LBB290_1377
; %bb.1370:                             ;   in Loop: Header=BB290_998 Depth=1
	v_bfrev_b32_e32 v119, 1
	s_mov_b32 s14, exec_lo
	v_cmpx_ne_u16_e32 0x80, v0
	s_cbranch_execz .LBB290_1376
; %bb.1371:                             ;   in Loop: Header=BB290_998 Depth=1
	v_and_b32_e32 v128, 0xffff, v0
	v_mov_b32_e32 v119, 0x7c010000
	s_mov_b32 s15, exec_lo
	s_delay_alu instid0(VALU_DEP_2) | instskip(NEXT) | instid1(VALU_DEP_1)
	v_and_b32_e32 v130, 0x7f, v128
	v_cmpx_ne_u32_e32 0x7f, v130
	s_cbranch_execz .LBB290_1375
; %bb.1372:                             ;   in Loop: Header=BB290_998 Depth=1
	v_and_b32_e32 v119, 7, v128
	v_lshrrev_b32_e32 v129, 3, v130
	s_mov_b32 s16, exec_lo
	v_cmpx_gt_u32_e32 8, v130
; %bb.1373:                             ;   in Loop: Header=BB290_998 Depth=1
	s_delay_alu instid0(VALU_DEP_3) | instskip(NEXT) | instid1(VALU_DEP_1)
	v_clz_i32_u32_e32 v119, v119
	v_min_u32_e32 v119, 32, v119
	s_delay_alu instid0(VALU_DEP_1) | instskip(NEXT) | instid1(VALU_DEP_1)
	v_subrev_nc_u32_e32 v129, 28, v119
	v_lshlrev_b64_e32 v[130:131], v129, v[0:1]
	v_sub_nc_u32_e32 v129, 29, v119
	s_delay_alu instid0(VALU_DEP_2)
	v_and_b32_e32 v119, 7, v130
; %bb.1374:                             ;   in Loop: Header=BB290_998 Depth=1
	s_wait_alu 0xfffe
	s_or_b32 exec_lo, exec_lo, s16
	v_lshlrev_b32_e32 v0, 8, v128
	v_lshl_add_u32 v128, v129, 10, 0x2000
	v_lshlrev_b32_e32 v119, 23, v119
	s_delay_alu instid0(VALU_DEP_2) | instskip(NEXT) | instid1(VALU_DEP_1)
	v_and_or_b32 v0, 0x8000, v0, v128
	v_lshl_or_b32 v119, v0, 16, v119
.LBB290_1375:                           ;   in Loop: Header=BB290_998 Depth=1
	s_wait_alu 0xfffe
	s_or_b32 exec_lo, exec_lo, s15
.LBB290_1376:                           ;   in Loop: Header=BB290_998 Depth=1
	s_wait_alu 0xfffe
	s_or_b32 exec_lo, exec_lo, s14
.LBB290_1377:                           ;   in Loop: Header=BB290_998 Depth=1
	s_wait_alu 0xfffe
	s_or_b32 exec_lo, exec_lo, s11
	v_lshrrev_b32_e32 v0, 16, v12
	s_mov_b32 s11, exec_lo
	s_delay_alu instid0(VALU_DEP_1) | instskip(NEXT) | instid1(VALU_DEP_1)
	v_and_b32_e32 v128, 0xff, v0
	v_cmpx_ne_u16_e64 0, v128
	s_cbranch_execz .LBB290_1385
; %bb.1378:                             ;   in Loop: Header=BB290_998 Depth=1
	v_mov_b32_e32 v117, 0x8000
	s_mov_b32 s14, exec_lo
	v_cmpx_ne_u16_e64 0x80, v128
	s_cbranch_execz .LBB290_1384
; %bb.1379:                             ;   in Loop: Header=BB290_998 Depth=1
	v_bfe_u32 v129, v12, 16, 7
	v_mov_b32_e32 v117, 0x7c01
	s_mov_b32 s15, exec_lo
	s_delay_alu instid0(VALU_DEP_2)
	v_cmpx_ne_u32_e32 0x7f, v129
	s_cbranch_execz .LBB290_1383
; %bb.1380:                             ;   in Loop: Header=BB290_998 Depth=1
	v_and_b32_e32 v117, 7, v0
	v_lshrrev_b32_e32 v128, 3, v129
	s_mov_b32 s16, exec_lo
	v_cmpx_gt_u32_e32 8, v129
; %bb.1381:                             ;   in Loop: Header=BB290_998 Depth=1
	s_delay_alu instid0(VALU_DEP_3) | instskip(NEXT) | instid1(VALU_DEP_1)
	v_clz_i32_u32_e32 v117, v117
	v_min_u32_e32 v117, 32, v117
	s_delay_alu instid0(VALU_DEP_1) | instskip(NEXT) | instid1(VALU_DEP_1)
	v_subrev_nc_u32_e32 v128, 28, v117
	v_lshlrev_b64_e32 v[129:130], v128, v[0:1]
	v_sub_nc_u32_e32 v128, 29, v117
	s_delay_alu instid0(VALU_DEP_2)
	v_and_b32_e32 v117, 7, v129
; %bb.1382:                             ;   in Loop: Header=BB290_998 Depth=1
	s_wait_alu 0xfffe
	s_or_b32 exec_lo, exec_lo, s16
	v_lshlrev_b32_e32 v0, 8, v0
	v_lshl_add_u32 v128, v128, 10, 0x2000
	v_lshlrev_b32_e32 v117, 7, v117
	s_delay_alu instid0(VALU_DEP_3) | instskip(NEXT) | instid1(VALU_DEP_3)
	v_and_b32_e32 v0, 0x8000, v0
	v_and_b32_e32 v128, 0xfc00, v128
	s_delay_alu instid0(VALU_DEP_1)
	v_or3_b32 v117, v0, v128, v117
.LBB290_1383:                           ;   in Loop: Header=BB290_998 Depth=1
	s_wait_alu 0xfffe
	s_or_b32 exec_lo, exec_lo, s15
.LBB290_1384:                           ;   in Loop: Header=BB290_998 Depth=1
	s_wait_alu 0xfffe
	s_or_b32 exec_lo, exec_lo, s14
.LBB290_1385:                           ;   in Loop: Header=BB290_998 Depth=1
	s_wait_alu 0xfffe
	s_or_b32 exec_lo, exec_lo, s11
	v_cmp_lt_u64_e64 s0, s[8:9], v[11:12]
	v_mov_b32_e32 v11, 0
	s_and_saveexec_b32 s11, s0
	s_cbranch_execz .LBB290_1393
; %bb.1386:                             ;   in Loop: Header=BB290_998 Depth=1
	v_lshrrev_b32_e32 v0, 24, v12
	v_bfrev_b32_e32 v11, 1
	s_mov_b32 s14, exec_lo
	s_delay_alu instid0(VALU_DEP_2)
	v_cmpx_ne_u32_e32 0x80, v0
	s_cbranch_execz .LBB290_1392
; %bb.1387:                             ;   in Loop: Header=BB290_998 Depth=1
	v_and_b32_e32 v128, 0x7f, v0
	v_mov_b32_e32 v11, 0x7c010000
	s_mov_b32 s15, exec_lo
	s_delay_alu instid0(VALU_DEP_2)
	v_cmpx_ne_u32_e32 0x7f, v128
	s_cbranch_execz .LBB290_1391
; %bb.1388:                             ;   in Loop: Header=BB290_998 Depth=1
	v_and_b32_e32 v11, 7, v0
	v_lshrrev_b32_e32 v12, 3, v128
	s_mov_b32 s16, exec_lo
	v_cmpx_gt_u32_e32 8, v128
; %bb.1389:                             ;   in Loop: Header=BB290_998 Depth=1
	s_delay_alu instid0(VALU_DEP_3) | instskip(NEXT) | instid1(VALU_DEP_1)
	v_clz_i32_u32_e32 v11, v11
	v_min_u32_e32 v128, 32, v11
	s_delay_alu instid0(VALU_DEP_1) | instskip(NEXT) | instid1(VALU_DEP_1)
	v_subrev_nc_u32_e32 v11, 28, v128
	v_lshlrev_b64_e32 v[11:12], v11, v[0:1]
	v_sub_nc_u32_e32 v12, 29, v128
	s_delay_alu instid0(VALU_DEP_2)
	v_and_b32_e32 v11, 7, v11
; %bb.1390:                             ;   in Loop: Header=BB290_998 Depth=1
	s_wait_alu 0xfffe
	s_or_b32 exec_lo, exec_lo, s16
	v_lshlrev_b32_e32 v0, 8, v0
	v_lshl_add_u32 v12, v12, 10, 0x2000
	v_lshlrev_b32_e32 v11, 23, v11
	s_delay_alu instid0(VALU_DEP_2) | instskip(NEXT) | instid1(VALU_DEP_1)
	v_and_or_b32 v0, 0x8000, v0, v12
	v_lshl_or_b32 v11, v0, 16, v11
.LBB290_1391:                           ;   in Loop: Header=BB290_998 Depth=1
	s_wait_alu 0xfffe
	s_or_b32 exec_lo, exec_lo, s15
.LBB290_1392:                           ;   in Loop: Header=BB290_998 Depth=1
	s_wait_alu 0xfffe
	s_or_b32 exec_lo, exec_lo, s14
.LBB290_1393:                           ;   in Loop: Header=BB290_998 Depth=1
	s_wait_alu 0xfffe
	s_or_b32 exec_lo, exec_lo, s11
	v_or_b32_e32 v0, v115, v116
	s_wait_loadcnt_dscnt 0x0
	v_fma_mixlo_f16 v12, v112, v115, 0 op_sel:[0,1,0] op_sel_hi:[0,1,0]
	v_or_b32_e32 v115, v113, v114
	v_fma_mixlo_f16 v113, v112, v113, 0 op_sel:[0,1,0] op_sel_hi:[0,1,0]
	v_or_b32_e32 v116, v119, v118
	v_or_b32_e32 v117, v11, v117
	v_fma_mixlo_f16 v118, v112, v0, 0 op_sel_hi:[0,1,0]
	v_fma_mixlo_f16 v11, v112, v11, 0 op_sel:[0,1,0] op_sel_hi:[0,1,0]
	v_lshlrev_b32_e32 v114, 16, v113
	v_fma_mixlo_f16 v113, v112, v115, 0 op_sel_hi:[0,1,0]
	v_fma_mixlo_f16 v115, v112, v119, 0 op_sel:[0,1,0] op_sel_hi:[0,1,0]
	v_fma_mixlo_f16 v116, v112, v116, 0 op_sel_hi:[0,1,0]
	v_fma_mixlo_f16 v117, v112, v117, 0 op_sel_hi:[0,1,0]
	v_lshlrev_b32_e32 v0, 16, v12
	v_and_b32_e32 v12, 0xffff, v118
	v_and_b32_e32 v128, 0xffff, v113
	v_lshlrev_b32_e32 v112, 16, v115
	v_and_b32_e32 v116, 0xffff, v116
	v_lshlrev_b32_e32 v11, 16, v11
	v_and_b32_e32 v113, 0xffff, v117
	v_or_b32_e32 v115, v0, v12
	v_or_b32_e32 v119, v114, v128
	;; [unrolled: 1-line block ×3, first 2 shown]
	s_delay_alu instid0(VALU_DEP_4)
	v_or_b32_e32 v117, v11, v113
	s_and_saveexec_b32 s11, vcc_lo
	s_cbranch_execz .LBB290_1395
; %bb.1394:                             ;   in Loop: Header=BB290_998 Depth=1
	v_cmp_lt_i32_e64 s0, v17, v34
	s_wait_alu 0xf1ff
	s_delay_alu instid0(VALU_DEP_1) | instskip(SKIP_2) | instid1(VALU_DEP_1)
	v_cndmask_b32_e64 v115, 0, v128, s0
	v_cmp_lt_i32_e64 s0, v87, v34
	s_wait_alu 0xf1ff
	v_cndmask_b32_e64 v114, 0, v114, s0
	v_cmp_lt_i32_e64 s0, v86, v34
	s_delay_alu instid0(VALU_DEP_2) | instskip(SKIP_1) | instid1(VALU_DEP_2)
	v_or_b32_e32 v119, v115, v114
	s_wait_alu 0xf1ff
	v_cndmask_b32_e64 v12, 0, v12, s0
	v_cmp_lt_i32_e64 s0, v85, v34
	s_wait_alu 0xf1ff
	s_delay_alu instid0(VALU_DEP_1) | instskip(SKIP_1) | instid1(VALU_DEP_2)
	v_cndmask_b32_e64 v0, 0, v0, s0
	v_cmp_lt_i32_e64 s0, v84, v34
	v_or_b32_e32 v115, v12, v0
	s_wait_alu 0xf1ff
	s_delay_alu instid0(VALU_DEP_2) | instskip(SKIP_2) | instid1(VALU_DEP_1)
	v_cndmask_b32_e64 v116, 0, v116, s0
	v_cmp_lt_i32_e64 s0, v83, v34
	s_wait_alu 0xf1ff
	v_cndmask_b32_e64 v112, 0, v112, s0
	v_cmp_lt_i32_e64 s0, v82, v34
	s_delay_alu instid0(VALU_DEP_2) | instskip(SKIP_1) | instid1(VALU_DEP_2)
	v_or_b32_e32 v118, v116, v112
	s_wait_alu 0xf1ff
	v_cndmask_b32_e64 v113, 0, v113, s0
	v_cmp_lt_i32_e64 s0, v81, v34
	s_wait_alu 0xf1ff
	s_delay_alu instid0(VALU_DEP_1) | instskip(NEXT) | instid1(VALU_DEP_1)
	v_cndmask_b32_e64 v11, 0, v11, s0
	v_or_b32_e32 v117, v113, v11
.LBB290_1395:                           ;   in Loop: Header=BB290_998 Depth=1
	s_wait_alu 0xfffe
	s_or_b32 exec_lo, exec_lo, s11
	;;#ASMSTART
	v_pk_mul_f16 v0, v80, v119;

	;;#ASMEND
	;;#ASMSTART
	v_pk_mul_f16 v11, v71, v115;

	;;#ASMEND
	;; [unrolled: 4-line block ×4, first 2 shown]
	;;#ASMSTART
	v_pk_add_f16 v0, v0, v11;

	;;#ASMEND
	;;#ASMSTART
	v_pk_add_f16 v0, v0, v12;

	;;#ASMEND
	;; [unrolled: 4-line block ×3, first 2 shown]
	v_dual_mov_b32 v116, 0 :: v_dual_and_b32 v11, 0xffff, v0
	v_lshrrev_b32_e32 v0, 16, v0
	;;#ASMSTART
	v_cvt_f32_f16 v112, v11;
	;;#ASMEND
	;;#ASMSTART
	v_cvt_f32_f16 v113, v0;
	;;#ASMEND
	flat_load_b64 v[11:12], v[9:10] offset:1536
	flat_load_b32 v114, v[26:27]
	s_mov_b32 s11, exec_lo
	s_wait_loadcnt_dscnt 0x101
	v_dual_mov_b32 v115, 0 :: v_dual_and_b32 v0, 0xff, v11
	s_delay_alu instid0(VALU_DEP_1)
	v_cmpx_ne_u16_e32 0, v0
	s_cbranch_execz .LBB290_1403
; %bb.1396:                             ;   in Loop: Header=BB290_998 Depth=1
	v_mov_b32_e32 v116, 0x8000
	s_mov_b32 s14, exec_lo
	v_cmpx_ne_u16_e32 0x80, v0
	s_cbranch_execz .LBB290_1402
; %bb.1397:                             ;   in Loop: Header=BB290_998 Depth=1
	v_and_b32_e32 v117, 0x7f, v11
	v_mov_b32_e32 v116, 0x7c01
	s_mov_b32 s15, exec_lo
	s_delay_alu instid0(VALU_DEP_2)
	v_cmpx_ne_u32_e32 0x7f, v117
	s_cbranch_execz .LBB290_1401
; %bb.1398:                             ;   in Loop: Header=BB290_998 Depth=1
	v_and_b32_e32 v0, 7, v11
	v_lshrrev_b32_e32 v116, 3, v117
	s_mov_b32 s16, exec_lo
	v_cmpx_gt_u32_e32 8, v117
; %bb.1399:                             ;   in Loop: Header=BB290_998 Depth=1
	s_delay_alu instid0(VALU_DEP_3) | instskip(NEXT) | instid1(VALU_DEP_1)
	v_clz_i32_u32_e32 v0, v0
	v_min_u32_e32 v0, 32, v0
	s_delay_alu instid0(VALU_DEP_1) | instskip(NEXT) | instid1(VALU_DEP_1)
	v_subrev_nc_u32_e32 v116, 28, v0
	v_lshlrev_b64_e32 v[117:118], v116, v[11:12]
	v_sub_nc_u32_e32 v116, 29, v0
	s_delay_alu instid0(VALU_DEP_2)
	v_and_b32_e32 v0, 7, v117
; %bb.1400:                             ;   in Loop: Header=BB290_998 Depth=1
	s_wait_alu 0xfffe
	s_or_b32 exec_lo, exec_lo, s16
	v_lshlrev_b32_e32 v117, 8, v11
	v_lshl_add_u32 v116, v116, 10, 0x2000
	v_lshlrev_b32_e32 v0, 7, v0
	s_delay_alu instid0(VALU_DEP_3) | instskip(NEXT) | instid1(VALU_DEP_3)
	v_and_b32_e32 v117, 0x8000, v117
	v_and_b32_e32 v116, 0xfc00, v116
	s_delay_alu instid0(VALU_DEP_1)
	v_or3_b32 v116, v117, v116, v0
.LBB290_1401:                           ;   in Loop: Header=BB290_998 Depth=1
	s_wait_alu 0xfffe
	s_or_b32 exec_lo, exec_lo, s15
.LBB290_1402:                           ;   in Loop: Header=BB290_998 Depth=1
	s_wait_alu 0xfffe
	s_or_b32 exec_lo, exec_lo, s14
.LBB290_1403:                           ;   in Loop: Header=BB290_998 Depth=1
	s_wait_alu 0xfffe
	s_or_b32 exec_lo, exec_lo, s11
	v_lshrrev_b16 v0, 8, v11
	s_mov_b32 s11, exec_lo
	s_delay_alu instid0(VALU_DEP_1)
	v_cmpx_ne_u16_e32 0, v0
	s_cbranch_execz .LBB290_1411
; %bb.1404:                             ;   in Loop: Header=BB290_998 Depth=1
	v_bfrev_b32_e32 v115, 1
	s_mov_b32 s14, exec_lo
	v_cmpx_ne_u16_e32 0x80, v0
	s_cbranch_execz .LBB290_1410
; %bb.1405:                             ;   in Loop: Header=BB290_998 Depth=1
	v_and_b32_e32 v117, 0xffff, v0
	v_mov_b32_e32 v115, 0x7c010000
	s_mov_b32 s15, exec_lo
	s_delay_alu instid0(VALU_DEP_2) | instskip(NEXT) | instid1(VALU_DEP_1)
	v_and_b32_e32 v119, 0x7f, v117
	v_cmpx_ne_u32_e32 0x7f, v119
	s_cbranch_execz .LBB290_1409
; %bb.1406:                             ;   in Loop: Header=BB290_998 Depth=1
	v_and_b32_e32 v115, 7, v117
	v_lshrrev_b32_e32 v118, 3, v119
	s_mov_b32 s16, exec_lo
	v_cmpx_gt_u32_e32 8, v119
; %bb.1407:                             ;   in Loop: Header=BB290_998 Depth=1
	s_delay_alu instid0(VALU_DEP_3) | instskip(NEXT) | instid1(VALU_DEP_1)
	v_clz_i32_u32_e32 v115, v115
	v_min_u32_e32 v115, 32, v115
	s_delay_alu instid0(VALU_DEP_1) | instskip(NEXT) | instid1(VALU_DEP_1)
	v_subrev_nc_u32_e32 v118, 28, v115
	v_lshlrev_b64_e32 v[128:129], v118, v[0:1]
	v_sub_nc_u32_e32 v118, 29, v115
	s_delay_alu instid0(VALU_DEP_2)
	v_and_b32_e32 v115, 7, v128
; %bb.1408:                             ;   in Loop: Header=BB290_998 Depth=1
	s_wait_alu 0xfffe
	s_or_b32 exec_lo, exec_lo, s16
	v_lshlrev_b32_e32 v0, 8, v117
	v_lshl_add_u32 v117, v118, 10, 0x2000
	v_lshlrev_b32_e32 v115, 23, v115
	s_delay_alu instid0(VALU_DEP_2) | instskip(NEXT) | instid1(VALU_DEP_1)
	v_and_or_b32 v0, 0x8000, v0, v117
	v_lshl_or_b32 v115, v0, 16, v115
.LBB290_1409:                           ;   in Loop: Header=BB290_998 Depth=1
	s_wait_alu 0xfffe
	s_or_b32 exec_lo, exec_lo, s15
.LBB290_1410:                           ;   in Loop: Header=BB290_998 Depth=1
	s_wait_alu 0xfffe
	s_or_b32 exec_lo, exec_lo, s14
.LBB290_1411:                           ;   in Loop: Header=BB290_998 Depth=1
	s_wait_alu 0xfffe
	s_or_b32 exec_lo, exec_lo, s11
	v_lshrrev_b32_e32 v0, 16, v11
	v_mov_b32_e32 v117, 0
	s_mov_b32 s11, exec_lo
	s_delay_alu instid0(VALU_DEP_2) | instskip(NEXT) | instid1(VALU_DEP_1)
	v_dual_mov_b32 v118, 0 :: v_dual_and_b32 v119, 0xff, v0
	v_cmpx_ne_u16_e32 0, v119
	s_cbranch_execz .LBB290_1419
; %bb.1412:                             ;   in Loop: Header=BB290_998 Depth=1
	v_mov_b32_e32 v118, 0x8000
	s_mov_b32 s14, exec_lo
	v_cmpx_ne_u16_e32 0x80, v119
	s_cbranch_execz .LBB290_1418
; %bb.1413:                             ;   in Loop: Header=BB290_998 Depth=1
	v_bfe_u32 v128, v11, 16, 7
	v_mov_b32_e32 v118, 0x7c01
	s_mov_b32 s15, exec_lo
	s_delay_alu instid0(VALU_DEP_2)
	v_cmpx_ne_u32_e32 0x7f, v128
	s_cbranch_execz .LBB290_1417
; %bb.1414:                             ;   in Loop: Header=BB290_998 Depth=1
	v_and_b32_e32 v118, 7, v0
	v_lshrrev_b32_e32 v119, 3, v128
	s_mov_b32 s16, exec_lo
	v_cmpx_gt_u32_e32 8, v128
; %bb.1415:                             ;   in Loop: Header=BB290_998 Depth=1
	s_delay_alu instid0(VALU_DEP_3) | instskip(NEXT) | instid1(VALU_DEP_1)
	v_clz_i32_u32_e32 v118, v118
	v_min_u32_e32 v128, 32, v118
	s_delay_alu instid0(VALU_DEP_1) | instskip(NEXT) | instid1(VALU_DEP_1)
	v_subrev_nc_u32_e32 v118, 28, v128
	v_lshlrev_b64_e32 v[118:119], v118, v[0:1]
	v_sub_nc_u32_e32 v119, 29, v128
	s_delay_alu instid0(VALU_DEP_2)
	v_and_b32_e32 v118, 7, v118
; %bb.1416:                             ;   in Loop: Header=BB290_998 Depth=1
	s_wait_alu 0xfffe
	s_or_b32 exec_lo, exec_lo, s16
	v_lshlrev_b32_e32 v0, 8, v0
	v_lshl_add_u32 v119, v119, 10, 0x2000
	v_lshlrev_b32_e32 v118, 7, v118
	s_delay_alu instid0(VALU_DEP_3) | instskip(NEXT) | instid1(VALU_DEP_3)
	v_and_b32_e32 v0, 0x8000, v0
	v_and_b32_e32 v119, 0xfc00, v119
	s_delay_alu instid0(VALU_DEP_1)
	v_or3_b32 v118, v0, v119, v118
.LBB290_1417:                           ;   in Loop: Header=BB290_998 Depth=1
	s_wait_alu 0xfffe
	s_or_b32 exec_lo, exec_lo, s15
.LBB290_1418:                           ;   in Loop: Header=BB290_998 Depth=1
	s_wait_alu 0xfffe
	s_or_b32 exec_lo, exec_lo, s14
.LBB290_1419:                           ;   in Loop: Header=BB290_998 Depth=1
	s_wait_alu 0xfffe
	s_or_b32 exec_lo, exec_lo, s11
	s_delay_alu instid0(SALU_CYCLE_1)
	s_mov_b32 s11, exec_lo
	v_cmpx_lt_u32_e32 0xffffff, v11
	s_cbranch_execz .LBB290_1427
; %bb.1420:                             ;   in Loop: Header=BB290_998 Depth=1
	v_lshrrev_b32_e32 v0, 24, v11
	v_bfrev_b32_e32 v117, 1
	s_mov_b32 s14, exec_lo
	s_delay_alu instid0(VALU_DEP_2)
	v_cmpx_ne_u32_e32 0x80, v0
	s_cbranch_execz .LBB290_1426
; %bb.1421:                             ;   in Loop: Header=BB290_998 Depth=1
	v_and_b32_e32 v128, 0x7f, v0
	v_mov_b32_e32 v117, 0x7c010000
	s_mov_b32 s15, exec_lo
	s_delay_alu instid0(VALU_DEP_2)
	v_cmpx_ne_u32_e32 0x7f, v128
	s_cbranch_execz .LBB290_1425
; %bb.1422:                             ;   in Loop: Header=BB290_998 Depth=1
	v_and_b32_e32 v117, 7, v0
	v_lshrrev_b32_e32 v119, 3, v128
	s_mov_b32 s16, exec_lo
	v_cmpx_gt_u32_e32 8, v128
; %bb.1423:                             ;   in Loop: Header=BB290_998 Depth=1
	s_delay_alu instid0(VALU_DEP_3) | instskip(NEXT) | instid1(VALU_DEP_1)
	v_clz_i32_u32_e32 v117, v117
	v_min_u32_e32 v117, 32, v117
	s_delay_alu instid0(VALU_DEP_1) | instskip(NEXT) | instid1(VALU_DEP_1)
	v_subrev_nc_u32_e32 v119, 28, v117
	v_lshlrev_b64_e32 v[128:129], v119, v[0:1]
	v_sub_nc_u32_e32 v119, 29, v117
	s_delay_alu instid0(VALU_DEP_2)
	v_and_b32_e32 v117, 7, v128
; %bb.1424:                             ;   in Loop: Header=BB290_998 Depth=1
	s_wait_alu 0xfffe
	s_or_b32 exec_lo, exec_lo, s16
	v_lshlrev_b32_e32 v0, 8, v0
	v_lshl_add_u32 v119, v119, 10, 0x2000
	v_lshlrev_b32_e32 v117, 23, v117
	s_delay_alu instid0(VALU_DEP_2) | instskip(NEXT) | instid1(VALU_DEP_1)
	v_and_or_b32 v0, 0x8000, v0, v119
	v_lshl_or_b32 v117, v0, 16, v117
.LBB290_1425:                           ;   in Loop: Header=BB290_998 Depth=1
	s_wait_alu 0xfffe
	s_or_b32 exec_lo, exec_lo, s15
.LBB290_1426:                           ;   in Loop: Header=BB290_998 Depth=1
	s_wait_alu 0xfffe
	s_or_b32 exec_lo, exec_lo, s14
.LBB290_1427:                           ;   in Loop: Header=BB290_998 Depth=1
	s_wait_alu 0xfffe
	s_or_b32 exec_lo, exec_lo, s11
	v_dual_mov_b32 v0, v12 :: v_dual_and_b32 v129, 0xff, v12
	v_dual_mov_b32 v119, 0 :: v_dual_mov_b32 v128, 0
	s_mov_b32 s11, exec_lo
	s_delay_alu instid0(VALU_DEP_2)
	v_cmpx_ne_u16_e64 0, v129
	s_cbranch_execz .LBB290_1435
; %bb.1428:                             ;   in Loop: Header=BB290_998 Depth=1
	v_mov_b32_e32 v128, 0x8000
	s_mov_b32 s14, exec_lo
	v_cmpx_ne_u16_e64 0x80, v129
	s_cbranch_execz .LBB290_1434
; %bb.1429:                             ;   in Loop: Header=BB290_998 Depth=1
	v_and_b32_e32 v130, 0x7f, v12
	v_mov_b32_e32 v128, 0x7c01
	s_mov_b32 s15, exec_lo
	s_delay_alu instid0(VALU_DEP_2)
	v_cmpx_ne_u32_e32 0x7f, v130
	s_cbranch_execz .LBB290_1433
; %bb.1430:                             ;   in Loop: Header=BB290_998 Depth=1
	v_and_b32_e32 v128, 7, v12
	v_lshrrev_b32_e32 v129, 3, v130
	s_mov_b32 s16, exec_lo
	v_cmpx_gt_u32_e32 8, v130
; %bb.1431:                             ;   in Loop: Header=BB290_998 Depth=1
	s_delay_alu instid0(VALU_DEP_3) | instskip(NEXT) | instid1(VALU_DEP_1)
	v_clz_i32_u32_e32 v128, v128
	v_min_u32_e32 v130, 32, v128
	s_delay_alu instid0(VALU_DEP_1) | instskip(NEXT) | instid1(VALU_DEP_1)
	v_subrev_nc_u32_e32 v128, 28, v130
	v_lshlrev_b64_e32 v[128:129], v128, v[0:1]
	v_sub_nc_u32_e32 v129, 29, v130
	s_delay_alu instid0(VALU_DEP_2)
	v_and_b32_e32 v128, 7, v128
; %bb.1432:                             ;   in Loop: Header=BB290_998 Depth=1
	s_wait_alu 0xfffe
	s_or_b32 exec_lo, exec_lo, s16
	v_lshlrev_b32_e32 v130, 8, v12
	v_lshl_add_u32 v129, v129, 10, 0x2000
	v_lshlrev_b32_e32 v128, 7, v128
	s_delay_alu instid0(VALU_DEP_3) | instskip(NEXT) | instid1(VALU_DEP_3)
	v_and_b32_e32 v130, 0x8000, v130
	v_and_b32_e32 v129, 0xfc00, v129
	s_delay_alu instid0(VALU_DEP_1)
	v_or3_b32 v128, v130, v129, v128
.LBB290_1433:                           ;   in Loop: Header=BB290_998 Depth=1
	s_wait_alu 0xfffe
	s_or_b32 exec_lo, exec_lo, s15
.LBB290_1434:                           ;   in Loop: Header=BB290_998 Depth=1
	s_wait_alu 0xfffe
	s_or_b32 exec_lo, exec_lo, s14
.LBB290_1435:                           ;   in Loop: Header=BB290_998 Depth=1
	s_wait_alu 0xfffe
	s_or_b32 exec_lo, exec_lo, s11
	v_lshrrev_b16 v0, 8, v0
	v_mov_b32_e32 v129, 0
	s_mov_b32 s11, exec_lo
	s_delay_alu instid0(VALU_DEP_2)
	v_cmpx_ne_u16_e32 0, v0
	s_cbranch_execz .LBB290_1443
; %bb.1436:                             ;   in Loop: Header=BB290_998 Depth=1
	v_bfrev_b32_e32 v129, 1
	s_mov_b32 s14, exec_lo
	v_cmpx_ne_u16_e32 0x80, v0
	s_cbranch_execz .LBB290_1442
; %bb.1437:                             ;   in Loop: Header=BB290_998 Depth=1
	v_and_b32_e32 v130, 0xffff, v0
	v_mov_b32_e32 v129, 0x7c010000
	s_mov_b32 s15, exec_lo
	s_delay_alu instid0(VALU_DEP_2) | instskip(NEXT) | instid1(VALU_DEP_1)
	v_and_b32_e32 v132, 0x7f, v130
	v_cmpx_ne_u32_e32 0x7f, v132
	s_cbranch_execz .LBB290_1441
; %bb.1438:                             ;   in Loop: Header=BB290_998 Depth=1
	v_and_b32_e32 v129, 7, v130
	v_lshrrev_b32_e32 v131, 3, v132
	s_mov_b32 s16, exec_lo
	v_cmpx_gt_u32_e32 8, v132
; %bb.1439:                             ;   in Loop: Header=BB290_998 Depth=1
	s_delay_alu instid0(VALU_DEP_3) | instskip(NEXT) | instid1(VALU_DEP_1)
	v_clz_i32_u32_e32 v129, v129
	v_min_u32_e32 v129, 32, v129
	s_delay_alu instid0(VALU_DEP_1) | instskip(NEXT) | instid1(VALU_DEP_1)
	v_subrev_nc_u32_e32 v131, 28, v129
	v_lshlrev_b64_e32 v[132:133], v131, v[0:1]
	v_sub_nc_u32_e32 v131, 29, v129
	s_delay_alu instid0(VALU_DEP_2)
	v_and_b32_e32 v129, 7, v132
; %bb.1440:                             ;   in Loop: Header=BB290_998 Depth=1
	s_wait_alu 0xfffe
	s_or_b32 exec_lo, exec_lo, s16
	v_lshlrev_b32_e32 v0, 8, v130
	v_lshl_add_u32 v130, v131, 10, 0x2000
	v_lshlrev_b32_e32 v129, 23, v129
	s_delay_alu instid0(VALU_DEP_2) | instskip(NEXT) | instid1(VALU_DEP_1)
	v_and_or_b32 v0, 0x8000, v0, v130
	v_lshl_or_b32 v129, v0, 16, v129
.LBB290_1441:                           ;   in Loop: Header=BB290_998 Depth=1
	s_wait_alu 0xfffe
	s_or_b32 exec_lo, exec_lo, s15
.LBB290_1442:                           ;   in Loop: Header=BB290_998 Depth=1
	s_wait_alu 0xfffe
	s_or_b32 exec_lo, exec_lo, s14
.LBB290_1443:                           ;   in Loop: Header=BB290_998 Depth=1
	s_wait_alu 0xfffe
	s_or_b32 exec_lo, exec_lo, s11
	v_lshrrev_b32_e32 v0, 16, v12
	s_mov_b32 s11, exec_lo
	s_delay_alu instid0(VALU_DEP_1) | instskip(NEXT) | instid1(VALU_DEP_1)
	v_and_b32_e32 v130, 0xff, v0
	v_cmpx_ne_u16_e64 0, v130
	s_cbranch_execz .LBB290_1451
; %bb.1444:                             ;   in Loop: Header=BB290_998 Depth=1
	v_mov_b32_e32 v119, 0x8000
	s_mov_b32 s14, exec_lo
	v_cmpx_ne_u16_e64 0x80, v130
	s_cbranch_execz .LBB290_1450
; %bb.1445:                             ;   in Loop: Header=BB290_998 Depth=1
	v_bfe_u32 v131, v12, 16, 7
	v_mov_b32_e32 v119, 0x7c01
	s_mov_b32 s15, exec_lo
	s_delay_alu instid0(VALU_DEP_2)
	v_cmpx_ne_u32_e32 0x7f, v131
	s_cbranch_execz .LBB290_1449
; %bb.1446:                             ;   in Loop: Header=BB290_998 Depth=1
	v_and_b32_e32 v119, 7, v0
	v_lshrrev_b32_e32 v130, 3, v131
	s_mov_b32 s16, exec_lo
	v_cmpx_gt_u32_e32 8, v131
; %bb.1447:                             ;   in Loop: Header=BB290_998 Depth=1
	s_delay_alu instid0(VALU_DEP_3) | instskip(NEXT) | instid1(VALU_DEP_1)
	v_clz_i32_u32_e32 v119, v119
	v_min_u32_e32 v119, 32, v119
	s_delay_alu instid0(VALU_DEP_1) | instskip(NEXT) | instid1(VALU_DEP_1)
	v_subrev_nc_u32_e32 v130, 28, v119
	v_lshlrev_b64_e32 v[131:132], v130, v[0:1]
	v_sub_nc_u32_e32 v130, 29, v119
	s_delay_alu instid0(VALU_DEP_2)
	v_and_b32_e32 v119, 7, v131
; %bb.1448:                             ;   in Loop: Header=BB290_998 Depth=1
	s_wait_alu 0xfffe
	s_or_b32 exec_lo, exec_lo, s16
	v_lshlrev_b32_e32 v0, 8, v0
	v_lshl_add_u32 v130, v130, 10, 0x2000
	v_lshlrev_b32_e32 v119, 7, v119
	s_delay_alu instid0(VALU_DEP_3) | instskip(NEXT) | instid1(VALU_DEP_3)
	v_and_b32_e32 v0, 0x8000, v0
	v_and_b32_e32 v130, 0xfc00, v130
	s_delay_alu instid0(VALU_DEP_1)
	v_or3_b32 v119, v0, v130, v119
.LBB290_1449:                           ;   in Loop: Header=BB290_998 Depth=1
	s_wait_alu 0xfffe
	s_or_b32 exec_lo, exec_lo, s15
.LBB290_1450:                           ;   in Loop: Header=BB290_998 Depth=1
	s_wait_alu 0xfffe
	s_or_b32 exec_lo, exec_lo, s14
.LBB290_1451:                           ;   in Loop: Header=BB290_998 Depth=1
	s_wait_alu 0xfffe
	s_or_b32 exec_lo, exec_lo, s11
	v_cmp_lt_u64_e64 s0, s[8:9], v[11:12]
	v_mov_b32_e32 v11, 0
	s_and_saveexec_b32 s11, s0
	s_cbranch_execz .LBB290_1459
; %bb.1452:                             ;   in Loop: Header=BB290_998 Depth=1
	v_lshrrev_b32_e32 v0, 24, v12
	v_bfrev_b32_e32 v11, 1
	s_mov_b32 s14, exec_lo
	s_delay_alu instid0(VALU_DEP_2)
	v_cmpx_ne_u32_e32 0x80, v0
	s_cbranch_execz .LBB290_1458
; %bb.1453:                             ;   in Loop: Header=BB290_998 Depth=1
	v_and_b32_e32 v130, 0x7f, v0
	v_mov_b32_e32 v11, 0x7c010000
	s_mov_b32 s15, exec_lo
	s_delay_alu instid0(VALU_DEP_2)
	v_cmpx_ne_u32_e32 0x7f, v130
	s_cbranch_execz .LBB290_1457
; %bb.1454:                             ;   in Loop: Header=BB290_998 Depth=1
	v_and_b32_e32 v11, 7, v0
	v_lshrrev_b32_e32 v12, 3, v130
	s_mov_b32 s16, exec_lo
	v_cmpx_gt_u32_e32 8, v130
; %bb.1455:                             ;   in Loop: Header=BB290_998 Depth=1
	s_delay_alu instid0(VALU_DEP_3) | instskip(NEXT) | instid1(VALU_DEP_1)
	v_clz_i32_u32_e32 v11, v11
	v_min_u32_e32 v130, 32, v11
	s_delay_alu instid0(VALU_DEP_1) | instskip(NEXT) | instid1(VALU_DEP_1)
	v_subrev_nc_u32_e32 v11, 28, v130
	v_lshlrev_b64_e32 v[11:12], v11, v[0:1]
	v_sub_nc_u32_e32 v12, 29, v130
	s_delay_alu instid0(VALU_DEP_2)
	v_and_b32_e32 v11, 7, v11
; %bb.1456:                             ;   in Loop: Header=BB290_998 Depth=1
	s_wait_alu 0xfffe
	s_or_b32 exec_lo, exec_lo, s16
	v_lshlrev_b32_e32 v0, 8, v0
	v_lshl_add_u32 v12, v12, 10, 0x2000
	v_lshlrev_b32_e32 v11, 23, v11
	s_delay_alu instid0(VALU_DEP_2) | instskip(NEXT) | instid1(VALU_DEP_1)
	v_and_or_b32 v0, 0x8000, v0, v12
	v_lshl_or_b32 v11, v0, 16, v11
.LBB290_1457:                           ;   in Loop: Header=BB290_998 Depth=1
	s_wait_alu 0xfffe
	s_or_b32 exec_lo, exec_lo, s15
.LBB290_1458:                           ;   in Loop: Header=BB290_998 Depth=1
	s_wait_alu 0xfffe
	s_or_b32 exec_lo, exec_lo, s14
.LBB290_1459:                           ;   in Loop: Header=BB290_998 Depth=1
	s_wait_alu 0xfffe
	s_or_b32 exec_lo, exec_lo, s11
	v_or_b32_e32 v0, v117, v118
	s_wait_loadcnt_dscnt 0x0
	v_fma_mixlo_f16 v12, v114, v117, 0 op_sel:[0,1,0] op_sel_hi:[0,1,0]
	v_or_b32_e32 v117, v115, v116
	v_fma_mixlo_f16 v115, v114, v115, 0 op_sel:[0,1,0] op_sel_hi:[0,1,0]
	v_or_b32_e32 v118, v129, v128
	v_or_b32_e32 v119, v11, v119
	v_fma_mixlo_f16 v128, v114, v0, 0 op_sel_hi:[0,1,0]
	v_fma_mixlo_f16 v11, v114, v11, 0 op_sel:[0,1,0] op_sel_hi:[0,1,0]
	v_lshlrev_b32_e32 v116, 16, v115
	v_fma_mixlo_f16 v115, v114, v117, 0 op_sel_hi:[0,1,0]
	v_fma_mixlo_f16 v117, v114, v129, 0 op_sel:[0,1,0] op_sel_hi:[0,1,0]
	v_fma_mixlo_f16 v118, v114, v118, 0 op_sel_hi:[0,1,0]
	v_fma_mixlo_f16 v119, v114, v119, 0 op_sel_hi:[0,1,0]
	v_lshlrev_b32_e32 v0, 16, v12
	v_and_b32_e32 v12, 0xffff, v128
	v_and_b32_e32 v130, 0xffff, v115
	v_lshlrev_b32_e32 v114, 16, v117
	v_and_b32_e32 v118, 0xffff, v118
	v_lshlrev_b32_e32 v11, 16, v11
	v_and_b32_e32 v115, 0xffff, v119
	v_or_b32_e32 v117, v0, v12
	v_or_b32_e32 v129, v116, v130
	;; [unrolled: 1-line block ×3, first 2 shown]
	s_delay_alu instid0(VALU_DEP_4)
	v_or_b32_e32 v119, v11, v115
	s_and_saveexec_b32 s11, vcc_lo
	s_cbranch_execz .LBB290_1461
; %bb.1460:                             ;   in Loop: Header=BB290_998 Depth=1
	v_cmp_lt_i32_e64 s0, v17, v34
	s_wait_alu 0xf1ff
	s_delay_alu instid0(VALU_DEP_1) | instskip(SKIP_2) | instid1(VALU_DEP_1)
	v_cndmask_b32_e64 v117, 0, v130, s0
	v_cmp_lt_i32_e64 s0, v87, v34
	s_wait_alu 0xf1ff
	v_cndmask_b32_e64 v116, 0, v116, s0
	v_cmp_lt_i32_e64 s0, v86, v34
	s_delay_alu instid0(VALU_DEP_2) | instskip(SKIP_1) | instid1(VALU_DEP_2)
	v_or_b32_e32 v129, v117, v116
	s_wait_alu 0xf1ff
	v_cndmask_b32_e64 v12, 0, v12, s0
	v_cmp_lt_i32_e64 s0, v85, v34
	s_wait_alu 0xf1ff
	s_delay_alu instid0(VALU_DEP_1) | instskip(SKIP_1) | instid1(VALU_DEP_2)
	v_cndmask_b32_e64 v0, 0, v0, s0
	v_cmp_lt_i32_e64 s0, v84, v34
	v_or_b32_e32 v117, v12, v0
	s_wait_alu 0xf1ff
	s_delay_alu instid0(VALU_DEP_2) | instskip(SKIP_2) | instid1(VALU_DEP_1)
	v_cndmask_b32_e64 v118, 0, v118, s0
	v_cmp_lt_i32_e64 s0, v83, v34
	s_wait_alu 0xf1ff
	v_cndmask_b32_e64 v114, 0, v114, s0
	v_cmp_lt_i32_e64 s0, v82, v34
	s_delay_alu instid0(VALU_DEP_2) | instskip(SKIP_1) | instid1(VALU_DEP_2)
	v_or_b32_e32 v128, v118, v114
	s_wait_alu 0xf1ff
	v_cndmask_b32_e64 v115, 0, v115, s0
	v_cmp_lt_i32_e64 s0, v81, v34
	s_wait_alu 0xf1ff
	s_delay_alu instid0(VALU_DEP_1) | instskip(NEXT) | instid1(VALU_DEP_1)
	v_cndmask_b32_e64 v11, 0, v11, s0
	v_or_b32_e32 v119, v115, v11
.LBB290_1461:                           ;   in Loop: Header=BB290_998 Depth=1
	s_wait_alu 0xfffe
	s_or_b32 exec_lo, exec_lo, s11
	;;#ASMSTART
	v_pk_mul_f16 v0, v80, v129;

	;;#ASMEND
	;;#ASMSTART
	v_pk_mul_f16 v11, v71, v117;

	;;#ASMEND
	;; [unrolled: 4-line block ×4, first 2 shown]
	;;#ASMSTART
	v_pk_add_f16 v0, v0, v11;

	;;#ASMEND
	;;#ASMSTART
	v_pk_add_f16 v0, v0, v12;

	;;#ASMEND
	;; [unrolled: 4-line block ×3, first 2 shown]
	v_dual_mov_b32 v118, 0 :: v_dual_and_b32 v11, 0xffff, v0
	v_lshrrev_b32_e32 v0, 16, v0
	;;#ASMSTART
	v_cvt_f32_f16 v114, v11;
	;;#ASMEND
	;;#ASMSTART
	v_cvt_f32_f16 v115, v0;
	;;#ASMEND
	flat_load_b64 v[11:12], v[9:10] offset:1792
	flat_load_b32 v116, v[26:27]
	s_mov_b32 s11, exec_lo
	s_wait_loadcnt_dscnt 0x101
	v_dual_mov_b32 v117, 0 :: v_dual_and_b32 v0, 0xff, v11
	s_delay_alu instid0(VALU_DEP_1)
	v_cmpx_ne_u16_e32 0, v0
	s_cbranch_execz .LBB290_1469
; %bb.1462:                             ;   in Loop: Header=BB290_998 Depth=1
	v_mov_b32_e32 v118, 0x8000
	s_mov_b32 s14, exec_lo
	v_cmpx_ne_u16_e32 0x80, v0
	s_cbranch_execz .LBB290_1468
; %bb.1463:                             ;   in Loop: Header=BB290_998 Depth=1
	v_and_b32_e32 v119, 0x7f, v11
	v_mov_b32_e32 v118, 0x7c01
	s_mov_b32 s15, exec_lo
	s_delay_alu instid0(VALU_DEP_2)
	v_cmpx_ne_u32_e32 0x7f, v119
	s_cbranch_execz .LBB290_1467
; %bb.1464:                             ;   in Loop: Header=BB290_998 Depth=1
	v_and_b32_e32 v0, 7, v11
	v_lshrrev_b32_e32 v118, 3, v119
	s_mov_b32 s16, exec_lo
	v_cmpx_gt_u32_e32 8, v119
; %bb.1465:                             ;   in Loop: Header=BB290_998 Depth=1
	s_delay_alu instid0(VALU_DEP_3) | instskip(NEXT) | instid1(VALU_DEP_1)
	v_clz_i32_u32_e32 v0, v0
	v_min_u32_e32 v0, 32, v0
	s_delay_alu instid0(VALU_DEP_1) | instskip(NEXT) | instid1(VALU_DEP_1)
	v_subrev_nc_u32_e32 v118, 28, v0
	v_lshlrev_b64_e32 v[128:129], v118, v[11:12]
	v_sub_nc_u32_e32 v118, 29, v0
	s_delay_alu instid0(VALU_DEP_2)
	v_and_b32_e32 v0, 7, v128
; %bb.1466:                             ;   in Loop: Header=BB290_998 Depth=1
	s_wait_alu 0xfffe
	s_or_b32 exec_lo, exec_lo, s16
	v_lshlrev_b32_e32 v119, 8, v11
	v_lshl_add_u32 v118, v118, 10, 0x2000
	v_lshlrev_b32_e32 v0, 7, v0
	s_delay_alu instid0(VALU_DEP_3) | instskip(NEXT) | instid1(VALU_DEP_3)
	v_and_b32_e32 v119, 0x8000, v119
	v_and_b32_e32 v118, 0xfc00, v118
	s_delay_alu instid0(VALU_DEP_1)
	v_or3_b32 v118, v119, v118, v0
.LBB290_1467:                           ;   in Loop: Header=BB290_998 Depth=1
	s_wait_alu 0xfffe
	s_or_b32 exec_lo, exec_lo, s15
.LBB290_1468:                           ;   in Loop: Header=BB290_998 Depth=1
	s_wait_alu 0xfffe
	s_or_b32 exec_lo, exec_lo, s14
.LBB290_1469:                           ;   in Loop: Header=BB290_998 Depth=1
	s_wait_alu 0xfffe
	s_or_b32 exec_lo, exec_lo, s11
	v_lshrrev_b16 v0, 8, v11
	s_mov_b32 s11, exec_lo
	s_delay_alu instid0(VALU_DEP_1)
	v_cmpx_ne_u16_e32 0, v0
	s_cbranch_execz .LBB290_1477
; %bb.1470:                             ;   in Loop: Header=BB290_998 Depth=1
	v_bfrev_b32_e32 v117, 1
	s_mov_b32 s14, exec_lo
	v_cmpx_ne_u16_e32 0x80, v0
	s_cbranch_execz .LBB290_1476
; %bb.1471:                             ;   in Loop: Header=BB290_998 Depth=1
	v_and_b32_e32 v119, 0xffff, v0
	v_mov_b32_e32 v117, 0x7c010000
	s_mov_b32 s15, exec_lo
	s_delay_alu instid0(VALU_DEP_2) | instskip(NEXT) | instid1(VALU_DEP_1)
	v_and_b32_e32 v129, 0x7f, v119
	v_cmpx_ne_u32_e32 0x7f, v129
	s_cbranch_execz .LBB290_1475
; %bb.1472:                             ;   in Loop: Header=BB290_998 Depth=1
	v_and_b32_e32 v117, 7, v119
	v_lshrrev_b32_e32 v128, 3, v129
	s_mov_b32 s16, exec_lo
	v_cmpx_gt_u32_e32 8, v129
; %bb.1473:                             ;   in Loop: Header=BB290_998 Depth=1
	s_delay_alu instid0(VALU_DEP_3) | instskip(NEXT) | instid1(VALU_DEP_1)
	v_clz_i32_u32_e32 v117, v117
	v_min_u32_e32 v117, 32, v117
	s_delay_alu instid0(VALU_DEP_1) | instskip(NEXT) | instid1(VALU_DEP_1)
	v_subrev_nc_u32_e32 v128, 28, v117
	v_lshlrev_b64_e32 v[129:130], v128, v[0:1]
	v_sub_nc_u32_e32 v128, 29, v117
	s_delay_alu instid0(VALU_DEP_2)
	v_and_b32_e32 v117, 7, v129
; %bb.1474:                             ;   in Loop: Header=BB290_998 Depth=1
	s_wait_alu 0xfffe
	s_or_b32 exec_lo, exec_lo, s16
	v_lshlrev_b32_e32 v0, 8, v119
	v_lshl_add_u32 v119, v128, 10, 0x2000
	v_lshlrev_b32_e32 v117, 23, v117
	s_delay_alu instid0(VALU_DEP_2) | instskip(NEXT) | instid1(VALU_DEP_1)
	v_and_or_b32 v0, 0x8000, v0, v119
	v_lshl_or_b32 v117, v0, 16, v117
.LBB290_1475:                           ;   in Loop: Header=BB290_998 Depth=1
	s_wait_alu 0xfffe
	s_or_b32 exec_lo, exec_lo, s15
.LBB290_1476:                           ;   in Loop: Header=BB290_998 Depth=1
	s_wait_alu 0xfffe
	s_or_b32 exec_lo, exec_lo, s14
.LBB290_1477:                           ;   in Loop: Header=BB290_998 Depth=1
	s_wait_alu 0xfffe
	s_or_b32 exec_lo, exec_lo, s11
	v_lshrrev_b32_e32 v0, 16, v11
	v_mov_b32_e32 v119, 0
	s_mov_b32 s11, exec_lo
	s_delay_alu instid0(VALU_DEP_2) | instskip(NEXT) | instid1(VALU_DEP_1)
	v_dual_mov_b32 v128, 0 :: v_dual_and_b32 v129, 0xff, v0
	v_cmpx_ne_u16_e64 0, v129
	s_cbranch_execz .LBB290_1485
; %bb.1478:                             ;   in Loop: Header=BB290_998 Depth=1
	v_mov_b32_e32 v128, 0x8000
	s_mov_b32 s14, exec_lo
	v_cmpx_ne_u16_e64 0x80, v129
	s_cbranch_execz .LBB290_1484
; %bb.1479:                             ;   in Loop: Header=BB290_998 Depth=1
	v_bfe_u32 v130, v11, 16, 7
	v_mov_b32_e32 v128, 0x7c01
	s_mov_b32 s15, exec_lo
	s_delay_alu instid0(VALU_DEP_2)
	v_cmpx_ne_u32_e32 0x7f, v130
	s_cbranch_execz .LBB290_1483
; %bb.1480:                             ;   in Loop: Header=BB290_998 Depth=1
	v_and_b32_e32 v128, 7, v0
	v_lshrrev_b32_e32 v129, 3, v130
	s_mov_b32 s16, exec_lo
	v_cmpx_gt_u32_e32 8, v130
; %bb.1481:                             ;   in Loop: Header=BB290_998 Depth=1
	s_delay_alu instid0(VALU_DEP_3) | instskip(NEXT) | instid1(VALU_DEP_1)
	v_clz_i32_u32_e32 v128, v128
	v_min_u32_e32 v130, 32, v128
	s_delay_alu instid0(VALU_DEP_1) | instskip(NEXT) | instid1(VALU_DEP_1)
	v_subrev_nc_u32_e32 v128, 28, v130
	v_lshlrev_b64_e32 v[128:129], v128, v[0:1]
	v_sub_nc_u32_e32 v129, 29, v130
	s_delay_alu instid0(VALU_DEP_2)
	v_and_b32_e32 v128, 7, v128
; %bb.1482:                             ;   in Loop: Header=BB290_998 Depth=1
	s_wait_alu 0xfffe
	s_or_b32 exec_lo, exec_lo, s16
	v_lshlrev_b32_e32 v0, 8, v0
	v_lshl_add_u32 v129, v129, 10, 0x2000
	v_lshlrev_b32_e32 v128, 7, v128
	s_delay_alu instid0(VALU_DEP_3) | instskip(NEXT) | instid1(VALU_DEP_3)
	v_and_b32_e32 v0, 0x8000, v0
	v_and_b32_e32 v129, 0xfc00, v129
	s_delay_alu instid0(VALU_DEP_1)
	v_or3_b32 v128, v0, v129, v128
.LBB290_1483:                           ;   in Loop: Header=BB290_998 Depth=1
	s_wait_alu 0xfffe
	s_or_b32 exec_lo, exec_lo, s15
.LBB290_1484:                           ;   in Loop: Header=BB290_998 Depth=1
	s_wait_alu 0xfffe
	s_or_b32 exec_lo, exec_lo, s14
.LBB290_1485:                           ;   in Loop: Header=BB290_998 Depth=1
	s_wait_alu 0xfffe
	s_or_b32 exec_lo, exec_lo, s11
	s_delay_alu instid0(SALU_CYCLE_1)
	s_mov_b32 s11, exec_lo
	v_cmpx_lt_u32_e32 0xffffff, v11
	s_cbranch_execz .LBB290_1493
; %bb.1486:                             ;   in Loop: Header=BB290_998 Depth=1
	v_lshrrev_b32_e32 v0, 24, v11
	v_bfrev_b32_e32 v119, 1
	s_mov_b32 s14, exec_lo
	s_delay_alu instid0(VALU_DEP_2)
	v_cmpx_ne_u32_e32 0x80, v0
	s_cbranch_execz .LBB290_1492
; %bb.1487:                             ;   in Loop: Header=BB290_998 Depth=1
	v_and_b32_e32 v130, 0x7f, v0
	v_mov_b32_e32 v119, 0x7c010000
	s_mov_b32 s15, exec_lo
	s_delay_alu instid0(VALU_DEP_2)
	v_cmpx_ne_u32_e32 0x7f, v130
	s_cbranch_execz .LBB290_1491
; %bb.1488:                             ;   in Loop: Header=BB290_998 Depth=1
	v_and_b32_e32 v119, 7, v0
	v_lshrrev_b32_e32 v129, 3, v130
	s_mov_b32 s16, exec_lo
	v_cmpx_gt_u32_e32 8, v130
; %bb.1489:                             ;   in Loop: Header=BB290_998 Depth=1
	s_delay_alu instid0(VALU_DEP_3) | instskip(NEXT) | instid1(VALU_DEP_1)
	v_clz_i32_u32_e32 v119, v119
	v_min_u32_e32 v119, 32, v119
	s_delay_alu instid0(VALU_DEP_1) | instskip(NEXT) | instid1(VALU_DEP_1)
	v_subrev_nc_u32_e32 v129, 28, v119
	v_lshlrev_b64_e32 v[130:131], v129, v[0:1]
	v_sub_nc_u32_e32 v129, 29, v119
	s_delay_alu instid0(VALU_DEP_2)
	v_and_b32_e32 v119, 7, v130
; %bb.1490:                             ;   in Loop: Header=BB290_998 Depth=1
	s_wait_alu 0xfffe
	s_or_b32 exec_lo, exec_lo, s16
	v_lshlrev_b32_e32 v0, 8, v0
	v_lshl_add_u32 v129, v129, 10, 0x2000
	v_lshlrev_b32_e32 v119, 23, v119
	s_delay_alu instid0(VALU_DEP_2) | instskip(NEXT) | instid1(VALU_DEP_1)
	v_and_or_b32 v0, 0x8000, v0, v129
	v_lshl_or_b32 v119, v0, 16, v119
.LBB290_1491:                           ;   in Loop: Header=BB290_998 Depth=1
	s_wait_alu 0xfffe
	s_or_b32 exec_lo, exec_lo, s15
.LBB290_1492:                           ;   in Loop: Header=BB290_998 Depth=1
	s_wait_alu 0xfffe
	s_or_b32 exec_lo, exec_lo, s14
.LBB290_1493:                           ;   in Loop: Header=BB290_998 Depth=1
	s_wait_alu 0xfffe
	s_or_b32 exec_lo, exec_lo, s11
	v_dual_mov_b32 v0, v12 :: v_dual_and_b32 v131, 0xff, v12
	v_dual_mov_b32 v129, 0 :: v_dual_mov_b32 v130, 0
	s_mov_b32 s11, exec_lo
	s_delay_alu instid0(VALU_DEP_2)
	v_cmpx_ne_u16_e64 0, v131
	s_cbranch_execz .LBB290_1501
; %bb.1494:                             ;   in Loop: Header=BB290_998 Depth=1
	v_mov_b32_e32 v130, 0x8000
	s_mov_b32 s14, exec_lo
	v_cmpx_ne_u16_e64 0x80, v131
	s_cbranch_execz .LBB290_1500
; %bb.1495:                             ;   in Loop: Header=BB290_998 Depth=1
	v_and_b32_e32 v132, 0x7f, v12
	v_mov_b32_e32 v130, 0x7c01
	s_mov_b32 s15, exec_lo
	s_delay_alu instid0(VALU_DEP_2)
	v_cmpx_ne_u32_e32 0x7f, v132
	s_cbranch_execz .LBB290_1499
; %bb.1496:                             ;   in Loop: Header=BB290_998 Depth=1
	v_and_b32_e32 v130, 7, v12
	v_lshrrev_b32_e32 v131, 3, v132
	s_mov_b32 s16, exec_lo
	v_cmpx_gt_u32_e32 8, v132
; %bb.1497:                             ;   in Loop: Header=BB290_998 Depth=1
	s_delay_alu instid0(VALU_DEP_3) | instskip(NEXT) | instid1(VALU_DEP_1)
	v_clz_i32_u32_e32 v130, v130
	v_min_u32_e32 v132, 32, v130
	s_delay_alu instid0(VALU_DEP_1) | instskip(NEXT) | instid1(VALU_DEP_1)
	v_subrev_nc_u32_e32 v130, 28, v132
	v_lshlrev_b64_e32 v[130:131], v130, v[0:1]
	v_sub_nc_u32_e32 v131, 29, v132
	s_delay_alu instid0(VALU_DEP_2)
	v_and_b32_e32 v130, 7, v130
; %bb.1498:                             ;   in Loop: Header=BB290_998 Depth=1
	s_wait_alu 0xfffe
	s_or_b32 exec_lo, exec_lo, s16
	v_lshlrev_b32_e32 v132, 8, v12
	v_lshl_add_u32 v131, v131, 10, 0x2000
	v_lshlrev_b32_e32 v130, 7, v130
	s_delay_alu instid0(VALU_DEP_3) | instskip(NEXT) | instid1(VALU_DEP_3)
	v_and_b32_e32 v132, 0x8000, v132
	v_and_b32_e32 v131, 0xfc00, v131
	s_delay_alu instid0(VALU_DEP_1)
	v_or3_b32 v130, v132, v131, v130
.LBB290_1499:                           ;   in Loop: Header=BB290_998 Depth=1
	s_wait_alu 0xfffe
	s_or_b32 exec_lo, exec_lo, s15
.LBB290_1500:                           ;   in Loop: Header=BB290_998 Depth=1
	s_wait_alu 0xfffe
	s_or_b32 exec_lo, exec_lo, s14
.LBB290_1501:                           ;   in Loop: Header=BB290_998 Depth=1
	s_wait_alu 0xfffe
	s_or_b32 exec_lo, exec_lo, s11
	v_lshrrev_b16 v0, 8, v0
	v_mov_b32_e32 v131, 0
	s_mov_b32 s11, exec_lo
	s_delay_alu instid0(VALU_DEP_2)
	v_cmpx_ne_u16_e32 0, v0
	s_cbranch_execz .LBB290_1509
; %bb.1502:                             ;   in Loop: Header=BB290_998 Depth=1
	v_bfrev_b32_e32 v131, 1
	s_mov_b32 s14, exec_lo
	v_cmpx_ne_u16_e32 0x80, v0
	s_cbranch_execz .LBB290_1508
; %bb.1503:                             ;   in Loop: Header=BB290_998 Depth=1
	v_and_b32_e32 v132, 0xffff, v0
	v_mov_b32_e32 v131, 0x7c010000
	s_mov_b32 s15, exec_lo
	s_delay_alu instid0(VALU_DEP_2) | instskip(NEXT) | instid1(VALU_DEP_1)
	v_and_b32_e32 v134, 0x7f, v132
	v_cmpx_ne_u32_e32 0x7f, v134
	s_cbranch_execz .LBB290_1507
; %bb.1504:                             ;   in Loop: Header=BB290_998 Depth=1
	v_and_b32_e32 v131, 7, v132
	v_lshrrev_b32_e32 v133, 3, v134
	s_mov_b32 s16, exec_lo
	v_cmpx_gt_u32_e32 8, v134
; %bb.1505:                             ;   in Loop: Header=BB290_998 Depth=1
	s_delay_alu instid0(VALU_DEP_3) | instskip(NEXT) | instid1(VALU_DEP_1)
	v_clz_i32_u32_e32 v131, v131
	v_min_u32_e32 v131, 32, v131
	s_delay_alu instid0(VALU_DEP_1) | instskip(NEXT) | instid1(VALU_DEP_1)
	v_subrev_nc_u32_e32 v133, 28, v131
	v_lshlrev_b64_e32 v[134:135], v133, v[0:1]
	v_sub_nc_u32_e32 v133, 29, v131
	s_delay_alu instid0(VALU_DEP_2)
	v_and_b32_e32 v131, 7, v134
; %bb.1506:                             ;   in Loop: Header=BB290_998 Depth=1
	s_wait_alu 0xfffe
	s_or_b32 exec_lo, exec_lo, s16
	v_lshlrev_b32_e32 v0, 8, v132
	v_lshl_add_u32 v132, v133, 10, 0x2000
	v_lshlrev_b32_e32 v131, 23, v131
	s_delay_alu instid0(VALU_DEP_2) | instskip(NEXT) | instid1(VALU_DEP_1)
	v_and_or_b32 v0, 0x8000, v0, v132
	v_lshl_or_b32 v131, v0, 16, v131
.LBB290_1507:                           ;   in Loop: Header=BB290_998 Depth=1
	s_wait_alu 0xfffe
	s_or_b32 exec_lo, exec_lo, s15
.LBB290_1508:                           ;   in Loop: Header=BB290_998 Depth=1
	s_wait_alu 0xfffe
	s_or_b32 exec_lo, exec_lo, s14
.LBB290_1509:                           ;   in Loop: Header=BB290_998 Depth=1
	s_wait_alu 0xfffe
	s_or_b32 exec_lo, exec_lo, s11
	v_lshrrev_b32_e32 v0, 16, v12
	s_mov_b32 s11, exec_lo
	s_delay_alu instid0(VALU_DEP_1) | instskip(NEXT) | instid1(VALU_DEP_1)
	v_and_b32_e32 v132, 0xff, v0
	v_cmpx_ne_u16_e64 0, v132
	s_cbranch_execz .LBB290_1517
; %bb.1510:                             ;   in Loop: Header=BB290_998 Depth=1
	v_mov_b32_e32 v129, 0x8000
	s_mov_b32 s14, exec_lo
	v_cmpx_ne_u16_e64 0x80, v132
	s_cbranch_execz .LBB290_1516
; %bb.1511:                             ;   in Loop: Header=BB290_998 Depth=1
	v_bfe_u32 v133, v12, 16, 7
	v_mov_b32_e32 v129, 0x7c01
	s_mov_b32 s15, exec_lo
	s_delay_alu instid0(VALU_DEP_2)
	v_cmpx_ne_u32_e32 0x7f, v133
	s_cbranch_execz .LBB290_1515
; %bb.1512:                             ;   in Loop: Header=BB290_998 Depth=1
	v_and_b32_e32 v129, 7, v0
	v_lshrrev_b32_e32 v132, 3, v133
	s_mov_b32 s16, exec_lo
	v_cmpx_gt_u32_e32 8, v133
; %bb.1513:                             ;   in Loop: Header=BB290_998 Depth=1
	s_delay_alu instid0(VALU_DEP_3) | instskip(NEXT) | instid1(VALU_DEP_1)
	v_clz_i32_u32_e32 v129, v129
	v_min_u32_e32 v129, 32, v129
	s_delay_alu instid0(VALU_DEP_1) | instskip(NEXT) | instid1(VALU_DEP_1)
	v_subrev_nc_u32_e32 v132, 28, v129
	v_lshlrev_b64_e32 v[133:134], v132, v[0:1]
	v_sub_nc_u32_e32 v132, 29, v129
	s_delay_alu instid0(VALU_DEP_2)
	v_and_b32_e32 v129, 7, v133
; %bb.1514:                             ;   in Loop: Header=BB290_998 Depth=1
	s_wait_alu 0xfffe
	s_or_b32 exec_lo, exec_lo, s16
	v_lshlrev_b32_e32 v0, 8, v0
	v_lshl_add_u32 v132, v132, 10, 0x2000
	v_lshlrev_b32_e32 v129, 7, v129
	s_delay_alu instid0(VALU_DEP_3) | instskip(NEXT) | instid1(VALU_DEP_3)
	v_and_b32_e32 v0, 0x8000, v0
	v_and_b32_e32 v132, 0xfc00, v132
	s_delay_alu instid0(VALU_DEP_1)
	v_or3_b32 v129, v0, v132, v129
.LBB290_1515:                           ;   in Loop: Header=BB290_998 Depth=1
	s_wait_alu 0xfffe
	s_or_b32 exec_lo, exec_lo, s15
.LBB290_1516:                           ;   in Loop: Header=BB290_998 Depth=1
	s_wait_alu 0xfffe
	s_or_b32 exec_lo, exec_lo, s14
.LBB290_1517:                           ;   in Loop: Header=BB290_998 Depth=1
	s_wait_alu 0xfffe
	s_or_b32 exec_lo, exec_lo, s11
	v_cmp_lt_u64_e64 s0, s[8:9], v[11:12]
	v_mov_b32_e32 v11, 0
	s_and_saveexec_b32 s11, s0
	s_cbranch_execz .LBB290_1525
; %bb.1518:                             ;   in Loop: Header=BB290_998 Depth=1
	v_lshrrev_b32_e32 v0, 24, v12
	v_bfrev_b32_e32 v11, 1
	s_mov_b32 s14, exec_lo
	s_delay_alu instid0(VALU_DEP_2)
	v_cmpx_ne_u32_e32 0x80, v0
	s_cbranch_execz .LBB290_1524
; %bb.1519:                             ;   in Loop: Header=BB290_998 Depth=1
	v_and_b32_e32 v132, 0x7f, v0
	v_mov_b32_e32 v11, 0x7c010000
	s_mov_b32 s15, exec_lo
	s_delay_alu instid0(VALU_DEP_2)
	v_cmpx_ne_u32_e32 0x7f, v132
	s_cbranch_execz .LBB290_1523
; %bb.1520:                             ;   in Loop: Header=BB290_998 Depth=1
	v_and_b32_e32 v11, 7, v0
	v_lshrrev_b32_e32 v12, 3, v132
	s_mov_b32 s16, exec_lo
	v_cmpx_gt_u32_e32 8, v132
; %bb.1521:                             ;   in Loop: Header=BB290_998 Depth=1
	s_delay_alu instid0(VALU_DEP_3) | instskip(NEXT) | instid1(VALU_DEP_1)
	v_clz_i32_u32_e32 v11, v11
	v_min_u32_e32 v132, 32, v11
	s_delay_alu instid0(VALU_DEP_1) | instskip(NEXT) | instid1(VALU_DEP_1)
	v_subrev_nc_u32_e32 v11, 28, v132
	v_lshlrev_b64_e32 v[11:12], v11, v[0:1]
	v_sub_nc_u32_e32 v12, 29, v132
	s_delay_alu instid0(VALU_DEP_2)
	v_and_b32_e32 v11, 7, v11
; %bb.1522:                             ;   in Loop: Header=BB290_998 Depth=1
	s_wait_alu 0xfffe
	s_or_b32 exec_lo, exec_lo, s16
	v_lshlrev_b32_e32 v0, 8, v0
	v_lshl_add_u32 v12, v12, 10, 0x2000
	v_lshlrev_b32_e32 v11, 23, v11
	s_delay_alu instid0(VALU_DEP_2) | instskip(NEXT) | instid1(VALU_DEP_1)
	v_and_or_b32 v0, 0x8000, v0, v12
	v_lshl_or_b32 v11, v0, 16, v11
.LBB290_1523:                           ;   in Loop: Header=BB290_998 Depth=1
	s_wait_alu 0xfffe
	s_or_b32 exec_lo, exec_lo, s15
.LBB290_1524:                           ;   in Loop: Header=BB290_998 Depth=1
	s_wait_alu 0xfffe
	s_or_b32 exec_lo, exec_lo, s14
.LBB290_1525:                           ;   in Loop: Header=BB290_998 Depth=1
	s_wait_alu 0xfffe
	s_or_b32 exec_lo, exec_lo, s11
	v_or_b32_e32 v0, v119, v128
	s_wait_loadcnt_dscnt 0x0
	v_fma_mixlo_f16 v12, v116, v119, 0 op_sel:[0,1,0] op_sel_hi:[0,1,0]
	v_or_b32_e32 v119, v117, v118
	v_fma_mixlo_f16 v117, v116, v117, 0 op_sel:[0,1,0] op_sel_hi:[0,1,0]
	v_or_b32_e32 v128, v131, v130
	v_or_b32_e32 v129, v11, v129
	v_fma_mixlo_f16 v130, v116, v0, 0 op_sel_hi:[0,1,0]
	v_fma_mixlo_f16 v11, v116, v11, 0 op_sel:[0,1,0] op_sel_hi:[0,1,0]
	v_lshlrev_b32_e32 v118, 16, v117
	v_fma_mixlo_f16 v117, v116, v119, 0 op_sel_hi:[0,1,0]
	v_fma_mixlo_f16 v119, v116, v131, 0 op_sel:[0,1,0] op_sel_hi:[0,1,0]
	v_fma_mixlo_f16 v128, v116, v128, 0 op_sel_hi:[0,1,0]
	v_fma_mixlo_f16 v129, v116, v129, 0 op_sel_hi:[0,1,0]
	v_lshlrev_b32_e32 v0, 16, v12
	v_and_b32_e32 v12, 0xffff, v130
	v_and_b32_e32 v132, 0xffff, v117
	v_lshlrev_b32_e32 v116, 16, v119
	v_and_b32_e32 v128, 0xffff, v128
	v_lshlrev_b32_e32 v11, 16, v11
	v_and_b32_e32 v117, 0xffff, v129
	v_or_b32_e32 v119, v0, v12
	v_or_b32_e32 v131, v118, v132
	;; [unrolled: 1-line block ×3, first 2 shown]
	s_delay_alu instid0(VALU_DEP_4)
	v_or_b32_e32 v129, v11, v117
	s_and_saveexec_b32 s11, vcc_lo
	s_cbranch_execz .LBB290_1527
; %bb.1526:                             ;   in Loop: Header=BB290_998 Depth=1
	v_cmp_lt_i32_e64 s0, v17, v34
	s_wait_alu 0xf1ff
	s_delay_alu instid0(VALU_DEP_1) | instskip(SKIP_2) | instid1(VALU_DEP_1)
	v_cndmask_b32_e64 v119, 0, v132, s0
	v_cmp_lt_i32_e64 s0, v87, v34
	s_wait_alu 0xf1ff
	v_cndmask_b32_e64 v118, 0, v118, s0
	v_cmp_lt_i32_e64 s0, v86, v34
	s_delay_alu instid0(VALU_DEP_2) | instskip(SKIP_1) | instid1(VALU_DEP_2)
	v_or_b32_e32 v131, v119, v118
	s_wait_alu 0xf1ff
	v_cndmask_b32_e64 v12, 0, v12, s0
	v_cmp_lt_i32_e64 s0, v85, v34
	s_wait_alu 0xf1ff
	s_delay_alu instid0(VALU_DEP_1) | instskip(SKIP_1) | instid1(VALU_DEP_2)
	v_cndmask_b32_e64 v0, 0, v0, s0
	v_cmp_lt_i32_e64 s0, v84, v34
	v_or_b32_e32 v119, v12, v0
	s_wait_alu 0xf1ff
	s_delay_alu instid0(VALU_DEP_2) | instskip(SKIP_2) | instid1(VALU_DEP_1)
	v_cndmask_b32_e64 v128, 0, v128, s0
	v_cmp_lt_i32_e64 s0, v83, v34
	s_wait_alu 0xf1ff
	v_cndmask_b32_e64 v116, 0, v116, s0
	v_cmp_lt_i32_e64 s0, v82, v34
	s_delay_alu instid0(VALU_DEP_2) | instskip(SKIP_1) | instid1(VALU_DEP_2)
	v_or_b32_e32 v130, v128, v116
	s_wait_alu 0xf1ff
	v_cndmask_b32_e64 v117, 0, v117, s0
	v_cmp_lt_i32_e64 s0, v81, v34
	s_wait_alu 0xf1ff
	s_delay_alu instid0(VALU_DEP_1) | instskip(NEXT) | instid1(VALU_DEP_1)
	v_cndmask_b32_e64 v11, 0, v11, s0
	v_or_b32_e32 v129, v117, v11
.LBB290_1527:                           ;   in Loop: Header=BB290_998 Depth=1
	s_wait_alu 0xfffe
	s_or_b32 exec_lo, exec_lo, s11
	;;#ASMSTART
	v_pk_mul_f16 v0, v80, v131;

	;;#ASMEND
	;;#ASMSTART
	v_pk_mul_f16 v11, v71, v119;

	;;#ASMEND
	;; [unrolled: 4-line block ×4, first 2 shown]
	;;#ASMSTART
	v_pk_add_f16 v0, v0, v11;

	;;#ASMEND
	;;#ASMSTART
	v_pk_add_f16 v0, v0, v12;

	;;#ASMEND
	;; [unrolled: 4-line block ×3, first 2 shown]
	v_dual_mov_b32 v128, 0 :: v_dual_and_b32 v11, 0xffff, v0
	v_lshrrev_b32_e32 v0, 16, v0
	;;#ASMSTART
	v_cvt_f32_f16 v116, v11;
	;;#ASMEND
	;;#ASMSTART
	v_cvt_f32_f16 v117, v0;
	;;#ASMEND
	flat_load_b64 v[11:12], v[9:10] offset:2048
	flat_load_b32 v118, v[26:27]
	s_mov_b32 s11, exec_lo
	s_wait_loadcnt_dscnt 0x101
	v_dual_mov_b32 v119, 0 :: v_dual_and_b32 v0, 0xff, v11
	s_delay_alu instid0(VALU_DEP_1)
	v_cmpx_ne_u16_e32 0, v0
	s_cbranch_execz .LBB290_1535
; %bb.1528:                             ;   in Loop: Header=BB290_998 Depth=1
	v_mov_b32_e32 v128, 0x8000
	s_mov_b32 s14, exec_lo
	v_cmpx_ne_u16_e32 0x80, v0
	s_cbranch_execz .LBB290_1534
; %bb.1529:                             ;   in Loop: Header=BB290_998 Depth=1
	v_and_b32_e32 v129, 0x7f, v11
	v_mov_b32_e32 v128, 0x7c01
	s_mov_b32 s15, exec_lo
	s_delay_alu instid0(VALU_DEP_2)
	v_cmpx_ne_u32_e32 0x7f, v129
	s_cbranch_execz .LBB290_1533
; %bb.1530:                             ;   in Loop: Header=BB290_998 Depth=1
	v_and_b32_e32 v0, 7, v11
	v_lshrrev_b32_e32 v128, 3, v129
	s_mov_b32 s16, exec_lo
	v_cmpx_gt_u32_e32 8, v129
; %bb.1531:                             ;   in Loop: Header=BB290_998 Depth=1
	s_delay_alu instid0(VALU_DEP_3) | instskip(NEXT) | instid1(VALU_DEP_1)
	v_clz_i32_u32_e32 v0, v0
	v_min_u32_e32 v0, 32, v0
	s_delay_alu instid0(VALU_DEP_1) | instskip(NEXT) | instid1(VALU_DEP_1)
	v_subrev_nc_u32_e32 v128, 28, v0
	v_lshlrev_b64_e32 v[129:130], v128, v[11:12]
	v_sub_nc_u32_e32 v128, 29, v0
	s_delay_alu instid0(VALU_DEP_2)
	v_and_b32_e32 v0, 7, v129
; %bb.1532:                             ;   in Loop: Header=BB290_998 Depth=1
	s_wait_alu 0xfffe
	s_or_b32 exec_lo, exec_lo, s16
	v_lshlrev_b32_e32 v129, 8, v11
	v_lshl_add_u32 v128, v128, 10, 0x2000
	v_lshlrev_b32_e32 v0, 7, v0
	s_delay_alu instid0(VALU_DEP_3) | instskip(NEXT) | instid1(VALU_DEP_3)
	v_and_b32_e32 v129, 0x8000, v129
	v_and_b32_e32 v128, 0xfc00, v128
	s_delay_alu instid0(VALU_DEP_1)
	v_or3_b32 v128, v129, v128, v0
.LBB290_1533:                           ;   in Loop: Header=BB290_998 Depth=1
	s_wait_alu 0xfffe
	s_or_b32 exec_lo, exec_lo, s15
.LBB290_1534:                           ;   in Loop: Header=BB290_998 Depth=1
	s_wait_alu 0xfffe
	s_or_b32 exec_lo, exec_lo, s14
.LBB290_1535:                           ;   in Loop: Header=BB290_998 Depth=1
	s_wait_alu 0xfffe
	s_or_b32 exec_lo, exec_lo, s11
	v_lshrrev_b16 v0, 8, v11
	s_mov_b32 s11, exec_lo
	s_delay_alu instid0(VALU_DEP_1)
	v_cmpx_ne_u16_e32 0, v0
	s_cbranch_execz .LBB290_1543
; %bb.1536:                             ;   in Loop: Header=BB290_998 Depth=1
	v_bfrev_b32_e32 v119, 1
	s_mov_b32 s14, exec_lo
	v_cmpx_ne_u16_e32 0x80, v0
	s_cbranch_execz .LBB290_1542
; %bb.1537:                             ;   in Loop: Header=BB290_998 Depth=1
	v_and_b32_e32 v129, 0xffff, v0
	v_mov_b32_e32 v119, 0x7c010000
	s_mov_b32 s15, exec_lo
	s_delay_alu instid0(VALU_DEP_2) | instskip(NEXT) | instid1(VALU_DEP_1)
	v_and_b32_e32 v131, 0x7f, v129
	v_cmpx_ne_u32_e32 0x7f, v131
	s_cbranch_execz .LBB290_1541
; %bb.1538:                             ;   in Loop: Header=BB290_998 Depth=1
	v_and_b32_e32 v119, 7, v129
	v_lshrrev_b32_e32 v130, 3, v131
	s_mov_b32 s16, exec_lo
	v_cmpx_gt_u32_e32 8, v131
; %bb.1539:                             ;   in Loop: Header=BB290_998 Depth=1
	s_delay_alu instid0(VALU_DEP_3) | instskip(NEXT) | instid1(VALU_DEP_1)
	v_clz_i32_u32_e32 v119, v119
	v_min_u32_e32 v119, 32, v119
	s_delay_alu instid0(VALU_DEP_1) | instskip(NEXT) | instid1(VALU_DEP_1)
	v_subrev_nc_u32_e32 v130, 28, v119
	v_lshlrev_b64_e32 v[131:132], v130, v[0:1]
	v_sub_nc_u32_e32 v130, 29, v119
	s_delay_alu instid0(VALU_DEP_2)
	v_and_b32_e32 v119, 7, v131
; %bb.1540:                             ;   in Loop: Header=BB290_998 Depth=1
	s_wait_alu 0xfffe
	s_or_b32 exec_lo, exec_lo, s16
	v_lshlrev_b32_e32 v0, 8, v129
	v_lshl_add_u32 v129, v130, 10, 0x2000
	v_lshlrev_b32_e32 v119, 23, v119
	s_delay_alu instid0(VALU_DEP_2) | instskip(NEXT) | instid1(VALU_DEP_1)
	v_and_or_b32 v0, 0x8000, v0, v129
	v_lshl_or_b32 v119, v0, 16, v119
.LBB290_1541:                           ;   in Loop: Header=BB290_998 Depth=1
	s_wait_alu 0xfffe
	s_or_b32 exec_lo, exec_lo, s15
.LBB290_1542:                           ;   in Loop: Header=BB290_998 Depth=1
	s_wait_alu 0xfffe
	s_or_b32 exec_lo, exec_lo, s14
.LBB290_1543:                           ;   in Loop: Header=BB290_998 Depth=1
	s_wait_alu 0xfffe
	s_or_b32 exec_lo, exec_lo, s11
	v_lshrrev_b32_e32 v0, 16, v11
	v_mov_b32_e32 v129, 0
	s_mov_b32 s11, exec_lo
	s_delay_alu instid0(VALU_DEP_2) | instskip(NEXT) | instid1(VALU_DEP_1)
	v_dual_mov_b32 v130, 0 :: v_dual_and_b32 v131, 0xff, v0
	v_cmpx_ne_u16_e64 0, v131
	s_cbranch_execz .LBB290_1551
; %bb.1544:                             ;   in Loop: Header=BB290_998 Depth=1
	v_mov_b32_e32 v130, 0x8000
	s_mov_b32 s14, exec_lo
	v_cmpx_ne_u16_e64 0x80, v131
	s_cbranch_execz .LBB290_1550
; %bb.1545:                             ;   in Loop: Header=BB290_998 Depth=1
	v_bfe_u32 v132, v11, 16, 7
	v_mov_b32_e32 v130, 0x7c01
	s_mov_b32 s15, exec_lo
	s_delay_alu instid0(VALU_DEP_2)
	v_cmpx_ne_u32_e32 0x7f, v132
	s_cbranch_execz .LBB290_1549
; %bb.1546:                             ;   in Loop: Header=BB290_998 Depth=1
	v_and_b32_e32 v130, 7, v0
	v_lshrrev_b32_e32 v131, 3, v132
	s_mov_b32 s16, exec_lo
	v_cmpx_gt_u32_e32 8, v132
; %bb.1547:                             ;   in Loop: Header=BB290_998 Depth=1
	s_delay_alu instid0(VALU_DEP_3) | instskip(NEXT) | instid1(VALU_DEP_1)
	v_clz_i32_u32_e32 v130, v130
	v_min_u32_e32 v132, 32, v130
	s_delay_alu instid0(VALU_DEP_1) | instskip(NEXT) | instid1(VALU_DEP_1)
	v_subrev_nc_u32_e32 v130, 28, v132
	v_lshlrev_b64_e32 v[130:131], v130, v[0:1]
	v_sub_nc_u32_e32 v131, 29, v132
	s_delay_alu instid0(VALU_DEP_2)
	v_and_b32_e32 v130, 7, v130
; %bb.1548:                             ;   in Loop: Header=BB290_998 Depth=1
	s_wait_alu 0xfffe
	s_or_b32 exec_lo, exec_lo, s16
	v_lshlrev_b32_e32 v0, 8, v0
	v_lshl_add_u32 v131, v131, 10, 0x2000
	v_lshlrev_b32_e32 v130, 7, v130
	s_delay_alu instid0(VALU_DEP_3) | instskip(NEXT) | instid1(VALU_DEP_3)
	v_and_b32_e32 v0, 0x8000, v0
	v_and_b32_e32 v131, 0xfc00, v131
	s_delay_alu instid0(VALU_DEP_1)
	v_or3_b32 v130, v0, v131, v130
.LBB290_1549:                           ;   in Loop: Header=BB290_998 Depth=1
	s_wait_alu 0xfffe
	s_or_b32 exec_lo, exec_lo, s15
.LBB290_1550:                           ;   in Loop: Header=BB290_998 Depth=1
	s_wait_alu 0xfffe
	s_or_b32 exec_lo, exec_lo, s14
.LBB290_1551:                           ;   in Loop: Header=BB290_998 Depth=1
	s_wait_alu 0xfffe
	s_or_b32 exec_lo, exec_lo, s11
	s_delay_alu instid0(SALU_CYCLE_1)
	s_mov_b32 s11, exec_lo
	v_cmpx_lt_u32_e32 0xffffff, v11
	s_cbranch_execz .LBB290_1559
; %bb.1552:                             ;   in Loop: Header=BB290_998 Depth=1
	v_lshrrev_b32_e32 v0, 24, v11
	v_bfrev_b32_e32 v129, 1
	s_mov_b32 s14, exec_lo
	s_delay_alu instid0(VALU_DEP_2)
	v_cmpx_ne_u32_e32 0x80, v0
	s_cbranch_execz .LBB290_1558
; %bb.1553:                             ;   in Loop: Header=BB290_998 Depth=1
	v_and_b32_e32 v132, 0x7f, v0
	v_mov_b32_e32 v129, 0x7c010000
	s_mov_b32 s15, exec_lo
	s_delay_alu instid0(VALU_DEP_2)
	v_cmpx_ne_u32_e32 0x7f, v132
	s_cbranch_execz .LBB290_1557
; %bb.1554:                             ;   in Loop: Header=BB290_998 Depth=1
	v_and_b32_e32 v129, 7, v0
	v_lshrrev_b32_e32 v131, 3, v132
	s_mov_b32 s16, exec_lo
	v_cmpx_gt_u32_e32 8, v132
; %bb.1555:                             ;   in Loop: Header=BB290_998 Depth=1
	s_delay_alu instid0(VALU_DEP_3) | instskip(NEXT) | instid1(VALU_DEP_1)
	v_clz_i32_u32_e32 v129, v129
	v_min_u32_e32 v129, 32, v129
	s_delay_alu instid0(VALU_DEP_1) | instskip(NEXT) | instid1(VALU_DEP_1)
	v_subrev_nc_u32_e32 v131, 28, v129
	v_lshlrev_b64_e32 v[132:133], v131, v[0:1]
	v_sub_nc_u32_e32 v131, 29, v129
	s_delay_alu instid0(VALU_DEP_2)
	v_and_b32_e32 v129, 7, v132
; %bb.1556:                             ;   in Loop: Header=BB290_998 Depth=1
	s_wait_alu 0xfffe
	s_or_b32 exec_lo, exec_lo, s16
	v_lshlrev_b32_e32 v0, 8, v0
	v_lshl_add_u32 v131, v131, 10, 0x2000
	v_lshlrev_b32_e32 v129, 23, v129
	s_delay_alu instid0(VALU_DEP_2) | instskip(NEXT) | instid1(VALU_DEP_1)
	v_and_or_b32 v0, 0x8000, v0, v131
	v_lshl_or_b32 v129, v0, 16, v129
.LBB290_1557:                           ;   in Loop: Header=BB290_998 Depth=1
	s_wait_alu 0xfffe
	s_or_b32 exec_lo, exec_lo, s15
.LBB290_1558:                           ;   in Loop: Header=BB290_998 Depth=1
	s_wait_alu 0xfffe
	s_or_b32 exec_lo, exec_lo, s14
.LBB290_1559:                           ;   in Loop: Header=BB290_998 Depth=1
	s_wait_alu 0xfffe
	s_or_b32 exec_lo, exec_lo, s11
	v_dual_mov_b32 v0, v12 :: v_dual_and_b32 v133, 0xff, v12
	v_dual_mov_b32 v131, 0 :: v_dual_mov_b32 v132, 0
	s_mov_b32 s11, exec_lo
	s_delay_alu instid0(VALU_DEP_2)
	v_cmpx_ne_u16_e64 0, v133
	s_cbranch_execz .LBB290_1567
; %bb.1560:                             ;   in Loop: Header=BB290_998 Depth=1
	v_mov_b32_e32 v132, 0x8000
	s_mov_b32 s14, exec_lo
	v_cmpx_ne_u16_e64 0x80, v133
	s_cbranch_execz .LBB290_1566
; %bb.1561:                             ;   in Loop: Header=BB290_998 Depth=1
	v_and_b32_e32 v134, 0x7f, v12
	v_mov_b32_e32 v132, 0x7c01
	s_mov_b32 s15, exec_lo
	s_delay_alu instid0(VALU_DEP_2)
	v_cmpx_ne_u32_e32 0x7f, v134
	s_cbranch_execz .LBB290_1565
; %bb.1562:                             ;   in Loop: Header=BB290_998 Depth=1
	v_and_b32_e32 v132, 7, v12
	v_lshrrev_b32_e32 v133, 3, v134
	s_mov_b32 s16, exec_lo
	v_cmpx_gt_u32_e32 8, v134
; %bb.1563:                             ;   in Loop: Header=BB290_998 Depth=1
	s_delay_alu instid0(VALU_DEP_3) | instskip(NEXT) | instid1(VALU_DEP_1)
	v_clz_i32_u32_e32 v132, v132
	v_min_u32_e32 v134, 32, v132
	s_delay_alu instid0(VALU_DEP_1) | instskip(NEXT) | instid1(VALU_DEP_1)
	v_subrev_nc_u32_e32 v132, 28, v134
	v_lshlrev_b64_e32 v[132:133], v132, v[0:1]
	v_sub_nc_u32_e32 v133, 29, v134
	s_delay_alu instid0(VALU_DEP_2)
	v_and_b32_e32 v132, 7, v132
; %bb.1564:                             ;   in Loop: Header=BB290_998 Depth=1
	s_wait_alu 0xfffe
	s_or_b32 exec_lo, exec_lo, s16
	v_lshlrev_b32_e32 v134, 8, v12
	v_lshl_add_u32 v133, v133, 10, 0x2000
	v_lshlrev_b32_e32 v132, 7, v132
	s_delay_alu instid0(VALU_DEP_3) | instskip(NEXT) | instid1(VALU_DEP_3)
	v_and_b32_e32 v134, 0x8000, v134
	v_and_b32_e32 v133, 0xfc00, v133
	s_delay_alu instid0(VALU_DEP_1)
	v_or3_b32 v132, v134, v133, v132
.LBB290_1565:                           ;   in Loop: Header=BB290_998 Depth=1
	s_wait_alu 0xfffe
	s_or_b32 exec_lo, exec_lo, s15
.LBB290_1566:                           ;   in Loop: Header=BB290_998 Depth=1
	s_wait_alu 0xfffe
	s_or_b32 exec_lo, exec_lo, s14
.LBB290_1567:                           ;   in Loop: Header=BB290_998 Depth=1
	s_wait_alu 0xfffe
	s_or_b32 exec_lo, exec_lo, s11
	v_lshrrev_b16 v0, 8, v0
	v_mov_b32_e32 v133, 0
	s_mov_b32 s11, exec_lo
	s_delay_alu instid0(VALU_DEP_2)
	v_cmpx_ne_u16_e32 0, v0
	s_cbranch_execz .LBB290_1575
; %bb.1568:                             ;   in Loop: Header=BB290_998 Depth=1
	v_bfrev_b32_e32 v133, 1
	s_mov_b32 s14, exec_lo
	v_cmpx_ne_u16_e32 0x80, v0
	s_cbranch_execz .LBB290_1574
; %bb.1569:                             ;   in Loop: Header=BB290_998 Depth=1
	v_and_b32_e32 v134, 0xffff, v0
	v_mov_b32_e32 v133, 0x7c010000
	s_mov_b32 s15, exec_lo
	s_delay_alu instid0(VALU_DEP_2) | instskip(NEXT) | instid1(VALU_DEP_1)
	v_and_b32_e32 v144, 0x7f, v134
	v_cmpx_ne_u32_e32 0x7f, v144
	s_cbranch_execz .LBB290_1573
; %bb.1570:                             ;   in Loop: Header=BB290_998 Depth=1
	v_and_b32_e32 v133, 7, v134
	v_lshrrev_b32_e32 v135, 3, v144
	s_mov_b32 s16, exec_lo
	v_cmpx_gt_u32_e32 8, v144
; %bb.1571:                             ;   in Loop: Header=BB290_998 Depth=1
	s_delay_alu instid0(VALU_DEP_3) | instskip(NEXT) | instid1(VALU_DEP_1)
	v_clz_i32_u32_e32 v133, v133
	v_min_u32_e32 v133, 32, v133
	s_delay_alu instid0(VALU_DEP_1) | instskip(NEXT) | instid1(VALU_DEP_1)
	v_subrev_nc_u32_e32 v135, 28, v133
	v_lshlrev_b64_e32 v[144:145], v135, v[0:1]
	v_sub_nc_u32_e32 v135, 29, v133
	s_delay_alu instid0(VALU_DEP_2)
	v_and_b32_e32 v133, 7, v144
; %bb.1572:                             ;   in Loop: Header=BB290_998 Depth=1
	s_wait_alu 0xfffe
	s_or_b32 exec_lo, exec_lo, s16
	v_lshlrev_b32_e32 v0, 8, v134
	v_lshl_add_u32 v134, v135, 10, 0x2000
	v_lshlrev_b32_e32 v133, 23, v133
	s_delay_alu instid0(VALU_DEP_2) | instskip(NEXT) | instid1(VALU_DEP_1)
	v_and_or_b32 v0, 0x8000, v0, v134
	v_lshl_or_b32 v133, v0, 16, v133
.LBB290_1573:                           ;   in Loop: Header=BB290_998 Depth=1
	s_wait_alu 0xfffe
	s_or_b32 exec_lo, exec_lo, s15
.LBB290_1574:                           ;   in Loop: Header=BB290_998 Depth=1
	s_wait_alu 0xfffe
	s_or_b32 exec_lo, exec_lo, s14
.LBB290_1575:                           ;   in Loop: Header=BB290_998 Depth=1
	s_wait_alu 0xfffe
	s_or_b32 exec_lo, exec_lo, s11
	v_lshrrev_b32_e32 v0, 16, v12
	s_mov_b32 s11, exec_lo
	s_delay_alu instid0(VALU_DEP_1) | instskip(NEXT) | instid1(VALU_DEP_1)
	v_and_b32_e32 v134, 0xff, v0
	v_cmpx_ne_u16_e64 0, v134
	s_cbranch_execz .LBB290_1583
; %bb.1576:                             ;   in Loop: Header=BB290_998 Depth=1
	v_mov_b32_e32 v131, 0x8000
	s_mov_b32 s14, exec_lo
	v_cmpx_ne_u16_e64 0x80, v134
	s_cbranch_execz .LBB290_1582
; %bb.1577:                             ;   in Loop: Header=BB290_998 Depth=1
	v_bfe_u32 v135, v12, 16, 7
	v_mov_b32_e32 v131, 0x7c01
	s_mov_b32 s15, exec_lo
	s_delay_alu instid0(VALU_DEP_2)
	v_cmpx_ne_u32_e32 0x7f, v135
	s_cbranch_execz .LBB290_1581
; %bb.1578:                             ;   in Loop: Header=BB290_998 Depth=1
	v_and_b32_e32 v131, 7, v0
	v_lshrrev_b32_e32 v134, 3, v135
	s_mov_b32 s16, exec_lo
	v_cmpx_gt_u32_e32 8, v135
; %bb.1579:                             ;   in Loop: Header=BB290_998 Depth=1
	s_delay_alu instid0(VALU_DEP_3) | instskip(NEXT) | instid1(VALU_DEP_1)
	v_clz_i32_u32_e32 v131, v131
	v_min_u32_e32 v131, 32, v131
	s_delay_alu instid0(VALU_DEP_1) | instskip(NEXT) | instid1(VALU_DEP_1)
	v_subrev_nc_u32_e32 v134, 28, v131
	v_lshlrev_b64_e32 v[144:145], v134, v[0:1]
	v_sub_nc_u32_e32 v134, 29, v131
	s_delay_alu instid0(VALU_DEP_2)
	v_and_b32_e32 v131, 7, v144
; %bb.1580:                             ;   in Loop: Header=BB290_998 Depth=1
	s_wait_alu 0xfffe
	s_or_b32 exec_lo, exec_lo, s16
	v_lshlrev_b32_e32 v0, 8, v0
	v_lshl_add_u32 v134, v134, 10, 0x2000
	v_lshlrev_b32_e32 v131, 7, v131
	s_delay_alu instid0(VALU_DEP_3) | instskip(NEXT) | instid1(VALU_DEP_3)
	v_and_b32_e32 v0, 0x8000, v0
	v_and_b32_e32 v134, 0xfc00, v134
	s_delay_alu instid0(VALU_DEP_1)
	v_or3_b32 v131, v0, v134, v131
.LBB290_1581:                           ;   in Loop: Header=BB290_998 Depth=1
	s_wait_alu 0xfffe
	s_or_b32 exec_lo, exec_lo, s15
.LBB290_1582:                           ;   in Loop: Header=BB290_998 Depth=1
	s_wait_alu 0xfffe
	s_or_b32 exec_lo, exec_lo, s14
.LBB290_1583:                           ;   in Loop: Header=BB290_998 Depth=1
	s_wait_alu 0xfffe
	s_or_b32 exec_lo, exec_lo, s11
	v_cmp_lt_u64_e64 s0, s[8:9], v[11:12]
	v_mov_b32_e32 v11, 0
	s_and_saveexec_b32 s11, s0
	s_cbranch_execz .LBB290_1591
; %bb.1584:                             ;   in Loop: Header=BB290_998 Depth=1
	v_lshrrev_b32_e32 v0, 24, v12
	v_bfrev_b32_e32 v11, 1
	s_mov_b32 s14, exec_lo
	s_delay_alu instid0(VALU_DEP_2)
	v_cmpx_ne_u32_e32 0x80, v0
	s_cbranch_execz .LBB290_1590
; %bb.1585:                             ;   in Loop: Header=BB290_998 Depth=1
	v_and_b32_e32 v134, 0x7f, v0
	v_mov_b32_e32 v11, 0x7c010000
	s_mov_b32 s15, exec_lo
	s_delay_alu instid0(VALU_DEP_2)
	v_cmpx_ne_u32_e32 0x7f, v134
	s_cbranch_execz .LBB290_1589
; %bb.1586:                             ;   in Loop: Header=BB290_998 Depth=1
	v_and_b32_e32 v11, 7, v0
	v_lshrrev_b32_e32 v12, 3, v134
	s_mov_b32 s16, exec_lo
	v_cmpx_gt_u32_e32 8, v134
; %bb.1587:                             ;   in Loop: Header=BB290_998 Depth=1
	s_delay_alu instid0(VALU_DEP_3) | instskip(NEXT) | instid1(VALU_DEP_1)
	v_clz_i32_u32_e32 v11, v11
	v_min_u32_e32 v134, 32, v11
	s_delay_alu instid0(VALU_DEP_1) | instskip(NEXT) | instid1(VALU_DEP_1)
	v_subrev_nc_u32_e32 v11, 28, v134
	v_lshlrev_b64_e32 v[11:12], v11, v[0:1]
	v_sub_nc_u32_e32 v12, 29, v134
	s_delay_alu instid0(VALU_DEP_2)
	v_and_b32_e32 v11, 7, v11
; %bb.1588:                             ;   in Loop: Header=BB290_998 Depth=1
	s_wait_alu 0xfffe
	s_or_b32 exec_lo, exec_lo, s16
	v_lshlrev_b32_e32 v0, 8, v0
	v_lshl_add_u32 v12, v12, 10, 0x2000
	v_lshlrev_b32_e32 v11, 23, v11
	s_delay_alu instid0(VALU_DEP_2) | instskip(NEXT) | instid1(VALU_DEP_1)
	v_and_or_b32 v0, 0x8000, v0, v12
	v_lshl_or_b32 v11, v0, 16, v11
.LBB290_1589:                           ;   in Loop: Header=BB290_998 Depth=1
	s_wait_alu 0xfffe
	s_or_b32 exec_lo, exec_lo, s15
.LBB290_1590:                           ;   in Loop: Header=BB290_998 Depth=1
	s_wait_alu 0xfffe
	s_or_b32 exec_lo, exec_lo, s14
.LBB290_1591:                           ;   in Loop: Header=BB290_998 Depth=1
	s_wait_alu 0xfffe
	s_or_b32 exec_lo, exec_lo, s11
	v_or_b32_e32 v0, v129, v130
	s_wait_loadcnt_dscnt 0x0
	v_fma_mixlo_f16 v12, v118, v129, 0 op_sel:[0,1,0] op_sel_hi:[0,1,0]
	v_or_b32_e32 v129, v119, v128
	v_fma_mixlo_f16 v119, v118, v119, 0 op_sel:[0,1,0] op_sel_hi:[0,1,0]
	v_or_b32_e32 v130, v133, v132
	v_or_b32_e32 v131, v11, v131
	v_fma_mixlo_f16 v132, v118, v0, 0 op_sel_hi:[0,1,0]
	v_fma_mixlo_f16 v11, v118, v11, 0 op_sel:[0,1,0] op_sel_hi:[0,1,0]
	v_lshlrev_b32_e32 v128, 16, v119
	v_fma_mixlo_f16 v119, v118, v129, 0 op_sel_hi:[0,1,0]
	v_fma_mixlo_f16 v129, v118, v133, 0 op_sel:[0,1,0] op_sel_hi:[0,1,0]
	v_fma_mixlo_f16 v130, v118, v130, 0 op_sel_hi:[0,1,0]
	v_fma_mixlo_f16 v131, v118, v131, 0 op_sel_hi:[0,1,0]
	v_lshlrev_b32_e32 v0, 16, v12
	v_and_b32_e32 v12, 0xffff, v132
	v_and_b32_e32 v134, 0xffff, v119
	v_lshlrev_b32_e32 v118, 16, v129
	v_and_b32_e32 v130, 0xffff, v130
	v_lshlrev_b32_e32 v11, 16, v11
	v_and_b32_e32 v119, 0xffff, v131
	v_or_b32_e32 v129, v0, v12
	v_or_b32_e32 v133, v128, v134
	v_or_b32_e32 v132, v118, v130
	s_delay_alu instid0(VALU_DEP_4)
	v_or_b32_e32 v131, v11, v119
	s_and_saveexec_b32 s11, vcc_lo
	s_cbranch_execz .LBB290_1593
; %bb.1592:                             ;   in Loop: Header=BB290_998 Depth=1
	v_cmp_lt_i32_e64 s0, v17, v34
	s_wait_alu 0xf1ff
	s_delay_alu instid0(VALU_DEP_1) | instskip(SKIP_2) | instid1(VALU_DEP_1)
	v_cndmask_b32_e64 v129, 0, v134, s0
	v_cmp_lt_i32_e64 s0, v87, v34
	s_wait_alu 0xf1ff
	v_cndmask_b32_e64 v128, 0, v128, s0
	v_cmp_lt_i32_e64 s0, v86, v34
	s_delay_alu instid0(VALU_DEP_2) | instskip(SKIP_1) | instid1(VALU_DEP_2)
	v_or_b32_e32 v133, v129, v128
	s_wait_alu 0xf1ff
	v_cndmask_b32_e64 v12, 0, v12, s0
	v_cmp_lt_i32_e64 s0, v85, v34
	s_wait_alu 0xf1ff
	s_delay_alu instid0(VALU_DEP_1) | instskip(SKIP_1) | instid1(VALU_DEP_2)
	v_cndmask_b32_e64 v0, 0, v0, s0
	v_cmp_lt_i32_e64 s0, v84, v34
	v_or_b32_e32 v129, v12, v0
	s_wait_alu 0xf1ff
	s_delay_alu instid0(VALU_DEP_2) | instskip(SKIP_2) | instid1(VALU_DEP_1)
	v_cndmask_b32_e64 v130, 0, v130, s0
	v_cmp_lt_i32_e64 s0, v83, v34
	s_wait_alu 0xf1ff
	v_cndmask_b32_e64 v118, 0, v118, s0
	v_cmp_lt_i32_e64 s0, v82, v34
	s_delay_alu instid0(VALU_DEP_2) | instskip(SKIP_1) | instid1(VALU_DEP_2)
	v_or_b32_e32 v132, v130, v118
	s_wait_alu 0xf1ff
	v_cndmask_b32_e64 v119, 0, v119, s0
	v_cmp_lt_i32_e64 s0, v81, v34
	s_wait_alu 0xf1ff
	s_delay_alu instid0(VALU_DEP_1) | instskip(NEXT) | instid1(VALU_DEP_1)
	v_cndmask_b32_e64 v11, 0, v11, s0
	v_or_b32_e32 v131, v119, v11
.LBB290_1593:                           ;   in Loop: Header=BB290_998 Depth=1
	s_wait_alu 0xfffe
	s_or_b32 exec_lo, exec_lo, s11
	;;#ASMSTART
	v_pk_mul_f16 v0, v80, v133;

	;;#ASMEND
	;;#ASMSTART
	v_pk_mul_f16 v11, v71, v129;

	;;#ASMEND
	;; [unrolled: 4-line block ×4, first 2 shown]
	;;#ASMSTART
	v_pk_add_f16 v0, v0, v11;

	;;#ASMEND
	;;#ASMSTART
	v_pk_add_f16 v0, v0, v12;

	;;#ASMEND
	;; [unrolled: 4-line block ×3, first 2 shown]
	v_dual_mov_b32 v130, 0 :: v_dual_and_b32 v11, 0xffff, v0
	v_lshrrev_b32_e32 v0, 16, v0
	;;#ASMSTART
	v_cvt_f32_f16 v118, v11;
	;;#ASMEND
	;;#ASMSTART
	v_cvt_f32_f16 v119, v0;
	;;#ASMEND
	flat_load_b64 v[11:12], v[9:10] offset:2304
	flat_load_b32 v128, v[26:27]
	s_mov_b32 s11, exec_lo
	s_wait_loadcnt_dscnt 0x101
	v_dual_mov_b32 v129, 0 :: v_dual_and_b32 v0, 0xff, v11
	s_delay_alu instid0(VALU_DEP_1)
	v_cmpx_ne_u16_e32 0, v0
	s_cbranch_execz .LBB290_1601
; %bb.1594:                             ;   in Loop: Header=BB290_998 Depth=1
	v_mov_b32_e32 v130, 0x8000
	s_mov_b32 s14, exec_lo
	v_cmpx_ne_u16_e32 0x80, v0
	s_cbranch_execz .LBB290_1600
; %bb.1595:                             ;   in Loop: Header=BB290_998 Depth=1
	v_and_b32_e32 v131, 0x7f, v11
	v_mov_b32_e32 v130, 0x7c01
	s_mov_b32 s15, exec_lo
	s_delay_alu instid0(VALU_DEP_2)
	v_cmpx_ne_u32_e32 0x7f, v131
	s_cbranch_execz .LBB290_1599
; %bb.1596:                             ;   in Loop: Header=BB290_998 Depth=1
	v_and_b32_e32 v0, 7, v11
	v_lshrrev_b32_e32 v130, 3, v131
	s_mov_b32 s16, exec_lo
	v_cmpx_gt_u32_e32 8, v131
; %bb.1597:                             ;   in Loop: Header=BB290_998 Depth=1
	s_delay_alu instid0(VALU_DEP_3) | instskip(NEXT) | instid1(VALU_DEP_1)
	v_clz_i32_u32_e32 v0, v0
	v_min_u32_e32 v0, 32, v0
	s_delay_alu instid0(VALU_DEP_1) | instskip(NEXT) | instid1(VALU_DEP_1)
	v_subrev_nc_u32_e32 v130, 28, v0
	v_lshlrev_b64_e32 v[131:132], v130, v[11:12]
	v_sub_nc_u32_e32 v130, 29, v0
	s_delay_alu instid0(VALU_DEP_2)
	v_and_b32_e32 v0, 7, v131
; %bb.1598:                             ;   in Loop: Header=BB290_998 Depth=1
	s_wait_alu 0xfffe
	s_or_b32 exec_lo, exec_lo, s16
	v_lshlrev_b32_e32 v131, 8, v11
	v_lshl_add_u32 v130, v130, 10, 0x2000
	v_lshlrev_b32_e32 v0, 7, v0
	s_delay_alu instid0(VALU_DEP_3) | instskip(NEXT) | instid1(VALU_DEP_3)
	v_and_b32_e32 v131, 0x8000, v131
	v_and_b32_e32 v130, 0xfc00, v130
	s_delay_alu instid0(VALU_DEP_1)
	v_or3_b32 v130, v131, v130, v0
.LBB290_1599:                           ;   in Loop: Header=BB290_998 Depth=1
	s_wait_alu 0xfffe
	s_or_b32 exec_lo, exec_lo, s15
.LBB290_1600:                           ;   in Loop: Header=BB290_998 Depth=1
	s_wait_alu 0xfffe
	s_or_b32 exec_lo, exec_lo, s14
.LBB290_1601:                           ;   in Loop: Header=BB290_998 Depth=1
	s_wait_alu 0xfffe
	s_or_b32 exec_lo, exec_lo, s11
	v_lshrrev_b16 v0, 8, v11
	s_mov_b32 s11, exec_lo
	s_delay_alu instid0(VALU_DEP_1)
	v_cmpx_ne_u16_e32 0, v0
	s_cbranch_execz .LBB290_1609
; %bb.1602:                             ;   in Loop: Header=BB290_998 Depth=1
	v_bfrev_b32_e32 v129, 1
	s_mov_b32 s14, exec_lo
	v_cmpx_ne_u16_e32 0x80, v0
	s_cbranch_execz .LBB290_1608
; %bb.1603:                             ;   in Loop: Header=BB290_998 Depth=1
	v_and_b32_e32 v131, 0xffff, v0
	v_mov_b32_e32 v129, 0x7c010000
	s_mov_b32 s15, exec_lo
	s_delay_alu instid0(VALU_DEP_2) | instskip(NEXT) | instid1(VALU_DEP_1)
	v_and_b32_e32 v133, 0x7f, v131
	v_cmpx_ne_u32_e32 0x7f, v133
	s_cbranch_execz .LBB290_1607
; %bb.1604:                             ;   in Loop: Header=BB290_998 Depth=1
	v_and_b32_e32 v129, 7, v131
	v_lshrrev_b32_e32 v132, 3, v133
	s_mov_b32 s16, exec_lo
	v_cmpx_gt_u32_e32 8, v133
; %bb.1605:                             ;   in Loop: Header=BB290_998 Depth=1
	s_delay_alu instid0(VALU_DEP_3) | instskip(NEXT) | instid1(VALU_DEP_1)
	v_clz_i32_u32_e32 v129, v129
	v_min_u32_e32 v129, 32, v129
	s_delay_alu instid0(VALU_DEP_1) | instskip(NEXT) | instid1(VALU_DEP_1)
	v_subrev_nc_u32_e32 v132, 28, v129
	v_lshlrev_b64_e32 v[133:134], v132, v[0:1]
	v_sub_nc_u32_e32 v132, 29, v129
	s_delay_alu instid0(VALU_DEP_2)
	v_and_b32_e32 v129, 7, v133
; %bb.1606:                             ;   in Loop: Header=BB290_998 Depth=1
	s_wait_alu 0xfffe
	s_or_b32 exec_lo, exec_lo, s16
	v_lshlrev_b32_e32 v0, 8, v131
	v_lshl_add_u32 v131, v132, 10, 0x2000
	v_lshlrev_b32_e32 v129, 23, v129
	s_delay_alu instid0(VALU_DEP_2) | instskip(NEXT) | instid1(VALU_DEP_1)
	v_and_or_b32 v0, 0x8000, v0, v131
	v_lshl_or_b32 v129, v0, 16, v129
.LBB290_1607:                           ;   in Loop: Header=BB290_998 Depth=1
	s_wait_alu 0xfffe
	s_or_b32 exec_lo, exec_lo, s15
.LBB290_1608:                           ;   in Loop: Header=BB290_998 Depth=1
	s_wait_alu 0xfffe
	s_or_b32 exec_lo, exec_lo, s14
.LBB290_1609:                           ;   in Loop: Header=BB290_998 Depth=1
	s_wait_alu 0xfffe
	s_or_b32 exec_lo, exec_lo, s11
	v_lshrrev_b32_e32 v0, 16, v11
	v_mov_b32_e32 v131, 0
	s_mov_b32 s11, exec_lo
	s_delay_alu instid0(VALU_DEP_2) | instskip(NEXT) | instid1(VALU_DEP_1)
	v_dual_mov_b32 v132, 0 :: v_dual_and_b32 v133, 0xff, v0
	v_cmpx_ne_u16_e64 0, v133
	s_cbranch_execz .LBB290_1617
; %bb.1610:                             ;   in Loop: Header=BB290_998 Depth=1
	v_mov_b32_e32 v132, 0x8000
	s_mov_b32 s14, exec_lo
	v_cmpx_ne_u16_e64 0x80, v133
	s_cbranch_execz .LBB290_1616
; %bb.1611:                             ;   in Loop: Header=BB290_998 Depth=1
	v_bfe_u32 v134, v11, 16, 7
	v_mov_b32_e32 v132, 0x7c01
	s_mov_b32 s15, exec_lo
	s_delay_alu instid0(VALU_DEP_2)
	v_cmpx_ne_u32_e32 0x7f, v134
	s_cbranch_execz .LBB290_1615
; %bb.1612:                             ;   in Loop: Header=BB290_998 Depth=1
	v_and_b32_e32 v132, 7, v0
	v_lshrrev_b32_e32 v133, 3, v134
	s_mov_b32 s16, exec_lo
	v_cmpx_gt_u32_e32 8, v134
; %bb.1613:                             ;   in Loop: Header=BB290_998 Depth=1
	s_delay_alu instid0(VALU_DEP_3) | instskip(NEXT) | instid1(VALU_DEP_1)
	v_clz_i32_u32_e32 v132, v132
	v_min_u32_e32 v134, 32, v132
	s_delay_alu instid0(VALU_DEP_1) | instskip(NEXT) | instid1(VALU_DEP_1)
	v_subrev_nc_u32_e32 v132, 28, v134
	v_lshlrev_b64_e32 v[132:133], v132, v[0:1]
	v_sub_nc_u32_e32 v133, 29, v134
	s_delay_alu instid0(VALU_DEP_2)
	v_and_b32_e32 v132, 7, v132
; %bb.1614:                             ;   in Loop: Header=BB290_998 Depth=1
	s_wait_alu 0xfffe
	s_or_b32 exec_lo, exec_lo, s16
	v_lshlrev_b32_e32 v0, 8, v0
	v_lshl_add_u32 v133, v133, 10, 0x2000
	v_lshlrev_b32_e32 v132, 7, v132
	s_delay_alu instid0(VALU_DEP_3) | instskip(NEXT) | instid1(VALU_DEP_3)
	v_and_b32_e32 v0, 0x8000, v0
	v_and_b32_e32 v133, 0xfc00, v133
	s_delay_alu instid0(VALU_DEP_1)
	v_or3_b32 v132, v0, v133, v132
.LBB290_1615:                           ;   in Loop: Header=BB290_998 Depth=1
	s_wait_alu 0xfffe
	s_or_b32 exec_lo, exec_lo, s15
.LBB290_1616:                           ;   in Loop: Header=BB290_998 Depth=1
	s_wait_alu 0xfffe
	s_or_b32 exec_lo, exec_lo, s14
.LBB290_1617:                           ;   in Loop: Header=BB290_998 Depth=1
	s_wait_alu 0xfffe
	s_or_b32 exec_lo, exec_lo, s11
	s_delay_alu instid0(SALU_CYCLE_1)
	s_mov_b32 s11, exec_lo
	v_cmpx_lt_u32_e32 0xffffff, v11
	s_cbranch_execz .LBB290_1625
; %bb.1618:                             ;   in Loop: Header=BB290_998 Depth=1
	v_lshrrev_b32_e32 v0, 24, v11
	v_bfrev_b32_e32 v131, 1
	s_mov_b32 s14, exec_lo
	s_delay_alu instid0(VALU_DEP_2)
	v_cmpx_ne_u32_e32 0x80, v0
	s_cbranch_execz .LBB290_1624
; %bb.1619:                             ;   in Loop: Header=BB290_998 Depth=1
	v_and_b32_e32 v134, 0x7f, v0
	v_mov_b32_e32 v131, 0x7c010000
	s_mov_b32 s15, exec_lo
	s_delay_alu instid0(VALU_DEP_2)
	v_cmpx_ne_u32_e32 0x7f, v134
	s_cbranch_execz .LBB290_1623
; %bb.1620:                             ;   in Loop: Header=BB290_998 Depth=1
	v_and_b32_e32 v131, 7, v0
	v_lshrrev_b32_e32 v133, 3, v134
	s_mov_b32 s16, exec_lo
	v_cmpx_gt_u32_e32 8, v134
; %bb.1621:                             ;   in Loop: Header=BB290_998 Depth=1
	s_delay_alu instid0(VALU_DEP_3) | instskip(NEXT) | instid1(VALU_DEP_1)
	v_clz_i32_u32_e32 v131, v131
	v_min_u32_e32 v131, 32, v131
	s_delay_alu instid0(VALU_DEP_1) | instskip(NEXT) | instid1(VALU_DEP_1)
	v_subrev_nc_u32_e32 v133, 28, v131
	v_lshlrev_b64_e32 v[134:135], v133, v[0:1]
	v_sub_nc_u32_e32 v133, 29, v131
	s_delay_alu instid0(VALU_DEP_2)
	v_and_b32_e32 v131, 7, v134
; %bb.1622:                             ;   in Loop: Header=BB290_998 Depth=1
	s_wait_alu 0xfffe
	s_or_b32 exec_lo, exec_lo, s16
	v_lshlrev_b32_e32 v0, 8, v0
	v_lshl_add_u32 v133, v133, 10, 0x2000
	v_lshlrev_b32_e32 v131, 23, v131
	s_delay_alu instid0(VALU_DEP_2) | instskip(NEXT) | instid1(VALU_DEP_1)
	v_and_or_b32 v0, 0x8000, v0, v133
	v_lshl_or_b32 v131, v0, 16, v131
.LBB290_1623:                           ;   in Loop: Header=BB290_998 Depth=1
	s_wait_alu 0xfffe
	s_or_b32 exec_lo, exec_lo, s15
.LBB290_1624:                           ;   in Loop: Header=BB290_998 Depth=1
	s_wait_alu 0xfffe
	s_or_b32 exec_lo, exec_lo, s14
.LBB290_1625:                           ;   in Loop: Header=BB290_998 Depth=1
	s_wait_alu 0xfffe
	s_or_b32 exec_lo, exec_lo, s11
	v_dual_mov_b32 v0, v12 :: v_dual_and_b32 v135, 0xff, v12
	v_dual_mov_b32 v133, 0 :: v_dual_mov_b32 v134, 0
	s_mov_b32 s11, exec_lo
	s_delay_alu instid0(VALU_DEP_2)
	v_cmpx_ne_u16_e64 0, v135
	s_cbranch_execz .LBB290_1633
; %bb.1626:                             ;   in Loop: Header=BB290_998 Depth=1
	v_mov_b32_e32 v134, 0x8000
	s_mov_b32 s14, exec_lo
	v_cmpx_ne_u16_e64 0x80, v135
	s_cbranch_execz .LBB290_1632
; %bb.1627:                             ;   in Loop: Header=BB290_998 Depth=1
	v_and_b32_e32 v144, 0x7f, v12
	v_mov_b32_e32 v134, 0x7c01
	s_mov_b32 s15, exec_lo
	s_delay_alu instid0(VALU_DEP_2)
	v_cmpx_ne_u32_e32 0x7f, v144
	s_cbranch_execz .LBB290_1631
; %bb.1628:                             ;   in Loop: Header=BB290_998 Depth=1
	v_and_b32_e32 v134, 7, v12
	v_lshrrev_b32_e32 v135, 3, v144
	s_mov_b32 s16, exec_lo
	v_cmpx_gt_u32_e32 8, v144
; %bb.1629:                             ;   in Loop: Header=BB290_998 Depth=1
	s_delay_alu instid0(VALU_DEP_3) | instskip(NEXT) | instid1(VALU_DEP_1)
	v_clz_i32_u32_e32 v134, v134
	v_min_u32_e32 v144, 32, v134
	s_delay_alu instid0(VALU_DEP_1) | instskip(NEXT) | instid1(VALU_DEP_1)
	v_subrev_nc_u32_e32 v134, 28, v144
	v_lshlrev_b64_e32 v[134:135], v134, v[0:1]
	v_sub_nc_u32_e32 v135, 29, v144
	s_delay_alu instid0(VALU_DEP_2)
	v_and_b32_e32 v134, 7, v134
; %bb.1630:                             ;   in Loop: Header=BB290_998 Depth=1
	s_wait_alu 0xfffe
	s_or_b32 exec_lo, exec_lo, s16
	v_lshlrev_b32_e32 v144, 8, v12
	v_lshl_add_u32 v135, v135, 10, 0x2000
	v_lshlrev_b32_e32 v134, 7, v134
	s_delay_alu instid0(VALU_DEP_3) | instskip(NEXT) | instid1(VALU_DEP_3)
	v_and_b32_e32 v144, 0x8000, v144
	v_and_b32_e32 v135, 0xfc00, v135
	s_delay_alu instid0(VALU_DEP_1)
	v_or3_b32 v134, v144, v135, v134
.LBB290_1631:                           ;   in Loop: Header=BB290_998 Depth=1
	s_wait_alu 0xfffe
	s_or_b32 exec_lo, exec_lo, s15
.LBB290_1632:                           ;   in Loop: Header=BB290_998 Depth=1
	s_wait_alu 0xfffe
	s_or_b32 exec_lo, exec_lo, s14
.LBB290_1633:                           ;   in Loop: Header=BB290_998 Depth=1
	s_wait_alu 0xfffe
	s_or_b32 exec_lo, exec_lo, s11
	v_lshrrev_b16 v0, 8, v0
	v_mov_b32_e32 v135, 0
	s_mov_b32 s11, exec_lo
	s_delay_alu instid0(VALU_DEP_2)
	v_cmpx_ne_u16_e32 0, v0
	s_cbranch_execz .LBB290_1641
; %bb.1634:                             ;   in Loop: Header=BB290_998 Depth=1
	v_bfrev_b32_e32 v135, 1
	s_mov_b32 s14, exec_lo
	v_cmpx_ne_u16_e32 0x80, v0
	s_cbranch_execz .LBB290_1640
; %bb.1635:                             ;   in Loop: Header=BB290_998 Depth=1
	v_and_b32_e32 v144, 0xffff, v0
	v_mov_b32_e32 v135, 0x7c010000
	s_mov_b32 s15, exec_lo
	s_delay_alu instid0(VALU_DEP_2) | instskip(NEXT) | instid1(VALU_DEP_1)
	v_and_b32_e32 v146, 0x7f, v144
	v_cmpx_ne_u32_e32 0x7f, v146
	s_cbranch_execz .LBB290_1639
; %bb.1636:                             ;   in Loop: Header=BB290_998 Depth=1
	v_and_b32_e32 v135, 7, v144
	v_lshrrev_b32_e32 v145, 3, v146
	s_mov_b32 s16, exec_lo
	v_cmpx_gt_u32_e32 8, v146
; %bb.1637:                             ;   in Loop: Header=BB290_998 Depth=1
	s_delay_alu instid0(VALU_DEP_3) | instskip(NEXT) | instid1(VALU_DEP_1)
	v_clz_i32_u32_e32 v135, v135
	v_min_u32_e32 v135, 32, v135
	s_delay_alu instid0(VALU_DEP_1) | instskip(NEXT) | instid1(VALU_DEP_1)
	v_subrev_nc_u32_e32 v145, 28, v135
	v_lshlrev_b64_e32 v[146:147], v145, v[0:1]
	v_sub_nc_u32_e32 v145, 29, v135
	s_delay_alu instid0(VALU_DEP_2)
	v_and_b32_e32 v135, 7, v146
; %bb.1638:                             ;   in Loop: Header=BB290_998 Depth=1
	s_wait_alu 0xfffe
	s_or_b32 exec_lo, exec_lo, s16
	v_lshlrev_b32_e32 v0, 8, v144
	v_lshl_add_u32 v144, v145, 10, 0x2000
	v_lshlrev_b32_e32 v135, 23, v135
	s_delay_alu instid0(VALU_DEP_2) | instskip(NEXT) | instid1(VALU_DEP_1)
	v_and_or_b32 v0, 0x8000, v0, v144
	v_lshl_or_b32 v135, v0, 16, v135
.LBB290_1639:                           ;   in Loop: Header=BB290_998 Depth=1
	s_wait_alu 0xfffe
	s_or_b32 exec_lo, exec_lo, s15
.LBB290_1640:                           ;   in Loop: Header=BB290_998 Depth=1
	s_wait_alu 0xfffe
	s_or_b32 exec_lo, exec_lo, s14
.LBB290_1641:                           ;   in Loop: Header=BB290_998 Depth=1
	s_wait_alu 0xfffe
	s_or_b32 exec_lo, exec_lo, s11
	v_lshrrev_b32_e32 v0, 16, v12
	s_mov_b32 s11, exec_lo
	s_delay_alu instid0(VALU_DEP_1) | instskip(NEXT) | instid1(VALU_DEP_1)
	v_and_b32_e32 v144, 0xff, v0
	v_cmpx_ne_u16_e64 0, v144
	s_cbranch_execz .LBB290_1649
; %bb.1642:                             ;   in Loop: Header=BB290_998 Depth=1
	v_mov_b32_e32 v133, 0x8000
	s_mov_b32 s14, exec_lo
	v_cmpx_ne_u16_e64 0x80, v144
	s_cbranch_execz .LBB290_1648
; %bb.1643:                             ;   in Loop: Header=BB290_998 Depth=1
	v_bfe_u32 v145, v12, 16, 7
	v_mov_b32_e32 v133, 0x7c01
	s_mov_b32 s15, exec_lo
	s_delay_alu instid0(VALU_DEP_2)
	v_cmpx_ne_u32_e32 0x7f, v145
	s_cbranch_execz .LBB290_1647
; %bb.1644:                             ;   in Loop: Header=BB290_998 Depth=1
	v_and_b32_e32 v133, 7, v0
	v_lshrrev_b32_e32 v144, 3, v145
	s_mov_b32 s16, exec_lo
	v_cmpx_gt_u32_e32 8, v145
; %bb.1645:                             ;   in Loop: Header=BB290_998 Depth=1
	s_delay_alu instid0(VALU_DEP_3) | instskip(NEXT) | instid1(VALU_DEP_1)
	v_clz_i32_u32_e32 v133, v133
	v_min_u32_e32 v133, 32, v133
	s_delay_alu instid0(VALU_DEP_1) | instskip(NEXT) | instid1(VALU_DEP_1)
	v_subrev_nc_u32_e32 v144, 28, v133
	v_lshlrev_b64_e32 v[145:146], v144, v[0:1]
	v_sub_nc_u32_e32 v144, 29, v133
	s_delay_alu instid0(VALU_DEP_2)
	v_and_b32_e32 v133, 7, v145
; %bb.1646:                             ;   in Loop: Header=BB290_998 Depth=1
	s_wait_alu 0xfffe
	s_or_b32 exec_lo, exec_lo, s16
	v_lshlrev_b32_e32 v0, 8, v0
	v_lshl_add_u32 v144, v144, 10, 0x2000
	v_lshlrev_b32_e32 v133, 7, v133
	s_delay_alu instid0(VALU_DEP_3) | instskip(NEXT) | instid1(VALU_DEP_3)
	v_and_b32_e32 v0, 0x8000, v0
	v_and_b32_e32 v144, 0xfc00, v144
	s_delay_alu instid0(VALU_DEP_1)
	v_or3_b32 v133, v0, v144, v133
.LBB290_1647:                           ;   in Loop: Header=BB290_998 Depth=1
	s_wait_alu 0xfffe
	s_or_b32 exec_lo, exec_lo, s15
.LBB290_1648:                           ;   in Loop: Header=BB290_998 Depth=1
	s_wait_alu 0xfffe
	s_or_b32 exec_lo, exec_lo, s14
.LBB290_1649:                           ;   in Loop: Header=BB290_998 Depth=1
	s_wait_alu 0xfffe
	s_or_b32 exec_lo, exec_lo, s11
	v_cmp_lt_u64_e64 s0, s[8:9], v[11:12]
	v_mov_b32_e32 v11, 0
	s_and_saveexec_b32 s11, s0
	s_cbranch_execz .LBB290_1657
; %bb.1650:                             ;   in Loop: Header=BB290_998 Depth=1
	v_lshrrev_b32_e32 v0, 24, v12
	v_bfrev_b32_e32 v11, 1
	s_mov_b32 s14, exec_lo
	s_delay_alu instid0(VALU_DEP_2)
	v_cmpx_ne_u32_e32 0x80, v0
	s_cbranch_execz .LBB290_1656
; %bb.1651:                             ;   in Loop: Header=BB290_998 Depth=1
	v_and_b32_e32 v144, 0x7f, v0
	v_mov_b32_e32 v11, 0x7c010000
	s_mov_b32 s15, exec_lo
	s_delay_alu instid0(VALU_DEP_2)
	v_cmpx_ne_u32_e32 0x7f, v144
	s_cbranch_execz .LBB290_1655
; %bb.1652:                             ;   in Loop: Header=BB290_998 Depth=1
	v_and_b32_e32 v11, 7, v0
	v_lshrrev_b32_e32 v12, 3, v144
	s_mov_b32 s16, exec_lo
	v_cmpx_gt_u32_e32 8, v144
; %bb.1653:                             ;   in Loop: Header=BB290_998 Depth=1
	s_delay_alu instid0(VALU_DEP_3) | instskip(NEXT) | instid1(VALU_DEP_1)
	v_clz_i32_u32_e32 v11, v11
	v_min_u32_e32 v144, 32, v11
	s_delay_alu instid0(VALU_DEP_1) | instskip(NEXT) | instid1(VALU_DEP_1)
	v_subrev_nc_u32_e32 v11, 28, v144
	v_lshlrev_b64_e32 v[11:12], v11, v[0:1]
	v_sub_nc_u32_e32 v12, 29, v144
	s_delay_alu instid0(VALU_DEP_2)
	v_and_b32_e32 v11, 7, v11
; %bb.1654:                             ;   in Loop: Header=BB290_998 Depth=1
	s_wait_alu 0xfffe
	s_or_b32 exec_lo, exec_lo, s16
	v_lshlrev_b32_e32 v0, 8, v0
	v_lshl_add_u32 v12, v12, 10, 0x2000
	v_lshlrev_b32_e32 v11, 23, v11
	s_delay_alu instid0(VALU_DEP_2) | instskip(NEXT) | instid1(VALU_DEP_1)
	v_and_or_b32 v0, 0x8000, v0, v12
	v_lshl_or_b32 v11, v0, 16, v11
.LBB290_1655:                           ;   in Loop: Header=BB290_998 Depth=1
	s_wait_alu 0xfffe
	s_or_b32 exec_lo, exec_lo, s15
.LBB290_1656:                           ;   in Loop: Header=BB290_998 Depth=1
	s_wait_alu 0xfffe
	s_or_b32 exec_lo, exec_lo, s14
.LBB290_1657:                           ;   in Loop: Header=BB290_998 Depth=1
	s_wait_alu 0xfffe
	s_or_b32 exec_lo, exec_lo, s11
	v_or_b32_e32 v0, v131, v132
	s_wait_loadcnt_dscnt 0x0
	v_fma_mixlo_f16 v12, v128, v131, 0 op_sel:[0,1,0] op_sel_hi:[0,1,0]
	v_or_b32_e32 v131, v129, v130
	v_fma_mixlo_f16 v129, v128, v129, 0 op_sel:[0,1,0] op_sel_hi:[0,1,0]
	v_or_b32_e32 v132, v135, v134
	v_or_b32_e32 v133, v11, v133
	v_fma_mixlo_f16 v134, v128, v0, 0 op_sel_hi:[0,1,0]
	v_fma_mixlo_f16 v11, v128, v11, 0 op_sel:[0,1,0] op_sel_hi:[0,1,0]
	v_lshlrev_b32_e32 v130, 16, v129
	v_fma_mixlo_f16 v129, v128, v131, 0 op_sel_hi:[0,1,0]
	v_fma_mixlo_f16 v131, v128, v135, 0 op_sel:[0,1,0] op_sel_hi:[0,1,0]
	v_fma_mixlo_f16 v132, v128, v132, 0 op_sel_hi:[0,1,0]
	v_fma_mixlo_f16 v133, v128, v133, 0 op_sel_hi:[0,1,0]
	v_lshlrev_b32_e32 v0, 16, v12
	v_and_b32_e32 v12, 0xffff, v134
	v_and_b32_e32 v144, 0xffff, v129
	v_lshlrev_b32_e32 v128, 16, v131
	v_and_b32_e32 v132, 0xffff, v132
	v_lshlrev_b32_e32 v11, 16, v11
	v_and_b32_e32 v129, 0xffff, v133
	v_or_b32_e32 v131, v0, v12
	v_or_b32_e32 v135, v130, v144
	;; [unrolled: 1-line block ×3, first 2 shown]
	s_delay_alu instid0(VALU_DEP_4)
	v_or_b32_e32 v133, v11, v129
	s_and_saveexec_b32 s11, vcc_lo
	s_cbranch_execz .LBB290_1659
; %bb.1658:                             ;   in Loop: Header=BB290_998 Depth=1
	v_cmp_lt_i32_e64 s0, v17, v34
	s_wait_alu 0xf1ff
	s_delay_alu instid0(VALU_DEP_1) | instskip(SKIP_2) | instid1(VALU_DEP_1)
	v_cndmask_b32_e64 v131, 0, v144, s0
	v_cmp_lt_i32_e64 s0, v87, v34
	s_wait_alu 0xf1ff
	v_cndmask_b32_e64 v130, 0, v130, s0
	v_cmp_lt_i32_e64 s0, v86, v34
	s_delay_alu instid0(VALU_DEP_2) | instskip(SKIP_1) | instid1(VALU_DEP_2)
	v_or_b32_e32 v135, v131, v130
	s_wait_alu 0xf1ff
	v_cndmask_b32_e64 v12, 0, v12, s0
	v_cmp_lt_i32_e64 s0, v85, v34
	s_wait_alu 0xf1ff
	s_delay_alu instid0(VALU_DEP_1) | instskip(SKIP_1) | instid1(VALU_DEP_2)
	v_cndmask_b32_e64 v0, 0, v0, s0
	v_cmp_lt_i32_e64 s0, v84, v34
	v_or_b32_e32 v131, v12, v0
	s_wait_alu 0xf1ff
	s_delay_alu instid0(VALU_DEP_2) | instskip(SKIP_2) | instid1(VALU_DEP_1)
	v_cndmask_b32_e64 v132, 0, v132, s0
	v_cmp_lt_i32_e64 s0, v83, v34
	s_wait_alu 0xf1ff
	v_cndmask_b32_e64 v128, 0, v128, s0
	v_cmp_lt_i32_e64 s0, v82, v34
	s_delay_alu instid0(VALU_DEP_2) | instskip(SKIP_1) | instid1(VALU_DEP_2)
	v_or_b32_e32 v134, v132, v128
	s_wait_alu 0xf1ff
	v_cndmask_b32_e64 v129, 0, v129, s0
	v_cmp_lt_i32_e64 s0, v81, v34
	s_wait_alu 0xf1ff
	s_delay_alu instid0(VALU_DEP_1) | instskip(NEXT) | instid1(VALU_DEP_1)
	v_cndmask_b32_e64 v11, 0, v11, s0
	v_or_b32_e32 v133, v129, v11
.LBB290_1659:                           ;   in Loop: Header=BB290_998 Depth=1
	s_wait_alu 0xfffe
	s_or_b32 exec_lo, exec_lo, s11
	;;#ASMSTART
	v_pk_mul_f16 v0, v80, v135;

	;;#ASMEND
	;;#ASMSTART
	v_pk_mul_f16 v11, v71, v131;

	;;#ASMEND
	;; [unrolled: 4-line block ×4, first 2 shown]
	;;#ASMSTART
	v_pk_add_f16 v0, v0, v11;

	;;#ASMEND
	;;#ASMSTART
	v_pk_add_f16 v0, v0, v12;

	;;#ASMEND
	;; [unrolled: 4-line block ×3, first 2 shown]
	v_dual_mov_b32 v132, 0 :: v_dual_and_b32 v11, 0xffff, v0
	v_lshrrev_b32_e32 v0, 16, v0
	;;#ASMSTART
	v_cvt_f32_f16 v128, v11;
	;;#ASMEND
	;;#ASMSTART
	v_cvt_f32_f16 v129, v0;
	;;#ASMEND
	flat_load_b64 v[11:12], v[9:10] offset:2560
	flat_load_b32 v130, v[26:27]
	s_mov_b32 s11, exec_lo
	s_wait_loadcnt_dscnt 0x101
	v_dual_mov_b32 v131, 0 :: v_dual_and_b32 v0, 0xff, v11
	s_delay_alu instid0(VALU_DEP_1)
	v_cmpx_ne_u16_e32 0, v0
	s_cbranch_execz .LBB290_1667
; %bb.1660:                             ;   in Loop: Header=BB290_998 Depth=1
	v_mov_b32_e32 v132, 0x8000
	s_mov_b32 s14, exec_lo
	v_cmpx_ne_u16_e32 0x80, v0
	s_cbranch_execz .LBB290_1666
; %bb.1661:                             ;   in Loop: Header=BB290_998 Depth=1
	v_and_b32_e32 v133, 0x7f, v11
	v_mov_b32_e32 v132, 0x7c01
	s_mov_b32 s15, exec_lo
	s_delay_alu instid0(VALU_DEP_2)
	v_cmpx_ne_u32_e32 0x7f, v133
	s_cbranch_execz .LBB290_1665
; %bb.1662:                             ;   in Loop: Header=BB290_998 Depth=1
	v_and_b32_e32 v0, 7, v11
	v_lshrrev_b32_e32 v132, 3, v133
	s_mov_b32 s16, exec_lo
	v_cmpx_gt_u32_e32 8, v133
; %bb.1663:                             ;   in Loop: Header=BB290_998 Depth=1
	s_delay_alu instid0(VALU_DEP_3) | instskip(NEXT) | instid1(VALU_DEP_1)
	v_clz_i32_u32_e32 v0, v0
	v_min_u32_e32 v0, 32, v0
	s_delay_alu instid0(VALU_DEP_1) | instskip(NEXT) | instid1(VALU_DEP_1)
	v_subrev_nc_u32_e32 v132, 28, v0
	v_lshlrev_b64_e32 v[133:134], v132, v[11:12]
	v_sub_nc_u32_e32 v132, 29, v0
	s_delay_alu instid0(VALU_DEP_2)
	v_and_b32_e32 v0, 7, v133
; %bb.1664:                             ;   in Loop: Header=BB290_998 Depth=1
	s_wait_alu 0xfffe
	s_or_b32 exec_lo, exec_lo, s16
	v_lshlrev_b32_e32 v133, 8, v11
	v_lshl_add_u32 v132, v132, 10, 0x2000
	v_lshlrev_b32_e32 v0, 7, v0
	s_delay_alu instid0(VALU_DEP_3) | instskip(NEXT) | instid1(VALU_DEP_3)
	v_and_b32_e32 v133, 0x8000, v133
	v_and_b32_e32 v132, 0xfc00, v132
	s_delay_alu instid0(VALU_DEP_1)
	v_or3_b32 v132, v133, v132, v0
.LBB290_1665:                           ;   in Loop: Header=BB290_998 Depth=1
	s_wait_alu 0xfffe
	s_or_b32 exec_lo, exec_lo, s15
.LBB290_1666:                           ;   in Loop: Header=BB290_998 Depth=1
	s_wait_alu 0xfffe
	s_or_b32 exec_lo, exec_lo, s14
.LBB290_1667:                           ;   in Loop: Header=BB290_998 Depth=1
	s_wait_alu 0xfffe
	s_or_b32 exec_lo, exec_lo, s11
	v_lshrrev_b16 v0, 8, v11
	s_mov_b32 s11, exec_lo
	s_delay_alu instid0(VALU_DEP_1)
	v_cmpx_ne_u16_e32 0, v0
	s_cbranch_execz .LBB290_1675
; %bb.1668:                             ;   in Loop: Header=BB290_998 Depth=1
	v_bfrev_b32_e32 v131, 1
	s_mov_b32 s14, exec_lo
	v_cmpx_ne_u16_e32 0x80, v0
	s_cbranch_execz .LBB290_1674
; %bb.1669:                             ;   in Loop: Header=BB290_998 Depth=1
	v_and_b32_e32 v133, 0xffff, v0
	v_mov_b32_e32 v131, 0x7c010000
	s_mov_b32 s15, exec_lo
	s_delay_alu instid0(VALU_DEP_2) | instskip(NEXT) | instid1(VALU_DEP_1)
	v_and_b32_e32 v135, 0x7f, v133
	v_cmpx_ne_u32_e32 0x7f, v135
	s_cbranch_execz .LBB290_1673
; %bb.1670:                             ;   in Loop: Header=BB290_998 Depth=1
	v_and_b32_e32 v131, 7, v133
	v_lshrrev_b32_e32 v134, 3, v135
	s_mov_b32 s16, exec_lo
	v_cmpx_gt_u32_e32 8, v135
; %bb.1671:                             ;   in Loop: Header=BB290_998 Depth=1
	s_delay_alu instid0(VALU_DEP_3) | instskip(NEXT) | instid1(VALU_DEP_1)
	v_clz_i32_u32_e32 v131, v131
	v_min_u32_e32 v131, 32, v131
	s_delay_alu instid0(VALU_DEP_1) | instskip(NEXT) | instid1(VALU_DEP_1)
	v_subrev_nc_u32_e32 v134, 28, v131
	v_lshlrev_b64_e32 v[144:145], v134, v[0:1]
	v_sub_nc_u32_e32 v134, 29, v131
	s_delay_alu instid0(VALU_DEP_2)
	v_and_b32_e32 v131, 7, v144
; %bb.1672:                             ;   in Loop: Header=BB290_998 Depth=1
	s_wait_alu 0xfffe
	s_or_b32 exec_lo, exec_lo, s16
	v_lshlrev_b32_e32 v0, 8, v133
	v_lshl_add_u32 v133, v134, 10, 0x2000
	v_lshlrev_b32_e32 v131, 23, v131
	s_delay_alu instid0(VALU_DEP_2) | instskip(NEXT) | instid1(VALU_DEP_1)
	v_and_or_b32 v0, 0x8000, v0, v133
	v_lshl_or_b32 v131, v0, 16, v131
.LBB290_1673:                           ;   in Loop: Header=BB290_998 Depth=1
	s_wait_alu 0xfffe
	s_or_b32 exec_lo, exec_lo, s15
.LBB290_1674:                           ;   in Loop: Header=BB290_998 Depth=1
	s_wait_alu 0xfffe
	s_or_b32 exec_lo, exec_lo, s14
.LBB290_1675:                           ;   in Loop: Header=BB290_998 Depth=1
	s_wait_alu 0xfffe
	s_or_b32 exec_lo, exec_lo, s11
	v_lshrrev_b32_e32 v0, 16, v11
	v_mov_b32_e32 v133, 0
	s_mov_b32 s11, exec_lo
	s_delay_alu instid0(VALU_DEP_2) | instskip(NEXT) | instid1(VALU_DEP_1)
	v_dual_mov_b32 v134, 0 :: v_dual_and_b32 v135, 0xff, v0
	v_cmpx_ne_u16_e64 0, v135
	s_cbranch_execz .LBB290_1683
; %bb.1676:                             ;   in Loop: Header=BB290_998 Depth=1
	v_mov_b32_e32 v134, 0x8000
	s_mov_b32 s14, exec_lo
	v_cmpx_ne_u16_e64 0x80, v135
	s_cbranch_execz .LBB290_1682
; %bb.1677:                             ;   in Loop: Header=BB290_998 Depth=1
	v_bfe_u32 v144, v11, 16, 7
	v_mov_b32_e32 v134, 0x7c01
	s_mov_b32 s15, exec_lo
	s_delay_alu instid0(VALU_DEP_2)
	v_cmpx_ne_u32_e32 0x7f, v144
	s_cbranch_execz .LBB290_1681
; %bb.1678:                             ;   in Loop: Header=BB290_998 Depth=1
	v_and_b32_e32 v134, 7, v0
	v_lshrrev_b32_e32 v135, 3, v144
	s_mov_b32 s16, exec_lo
	v_cmpx_gt_u32_e32 8, v144
; %bb.1679:                             ;   in Loop: Header=BB290_998 Depth=1
	s_delay_alu instid0(VALU_DEP_3) | instskip(NEXT) | instid1(VALU_DEP_1)
	v_clz_i32_u32_e32 v134, v134
	v_min_u32_e32 v144, 32, v134
	s_delay_alu instid0(VALU_DEP_1) | instskip(NEXT) | instid1(VALU_DEP_1)
	v_subrev_nc_u32_e32 v134, 28, v144
	v_lshlrev_b64_e32 v[134:135], v134, v[0:1]
	v_sub_nc_u32_e32 v135, 29, v144
	s_delay_alu instid0(VALU_DEP_2)
	v_and_b32_e32 v134, 7, v134
; %bb.1680:                             ;   in Loop: Header=BB290_998 Depth=1
	s_wait_alu 0xfffe
	s_or_b32 exec_lo, exec_lo, s16
	v_lshlrev_b32_e32 v0, 8, v0
	v_lshl_add_u32 v135, v135, 10, 0x2000
	v_lshlrev_b32_e32 v134, 7, v134
	s_delay_alu instid0(VALU_DEP_3) | instskip(NEXT) | instid1(VALU_DEP_3)
	v_and_b32_e32 v0, 0x8000, v0
	v_and_b32_e32 v135, 0xfc00, v135
	s_delay_alu instid0(VALU_DEP_1)
	v_or3_b32 v134, v0, v135, v134
.LBB290_1681:                           ;   in Loop: Header=BB290_998 Depth=1
	s_wait_alu 0xfffe
	s_or_b32 exec_lo, exec_lo, s15
.LBB290_1682:                           ;   in Loop: Header=BB290_998 Depth=1
	s_wait_alu 0xfffe
	s_or_b32 exec_lo, exec_lo, s14
.LBB290_1683:                           ;   in Loop: Header=BB290_998 Depth=1
	s_wait_alu 0xfffe
	s_or_b32 exec_lo, exec_lo, s11
	s_delay_alu instid0(SALU_CYCLE_1)
	s_mov_b32 s11, exec_lo
	v_cmpx_lt_u32_e32 0xffffff, v11
	s_cbranch_execz .LBB290_1691
; %bb.1684:                             ;   in Loop: Header=BB290_998 Depth=1
	v_lshrrev_b32_e32 v0, 24, v11
	v_bfrev_b32_e32 v133, 1
	s_mov_b32 s14, exec_lo
	s_delay_alu instid0(VALU_DEP_2)
	v_cmpx_ne_u32_e32 0x80, v0
	s_cbranch_execz .LBB290_1690
; %bb.1685:                             ;   in Loop: Header=BB290_998 Depth=1
	v_and_b32_e32 v144, 0x7f, v0
	v_mov_b32_e32 v133, 0x7c010000
	s_mov_b32 s15, exec_lo
	s_delay_alu instid0(VALU_DEP_2)
	v_cmpx_ne_u32_e32 0x7f, v144
	s_cbranch_execz .LBB290_1689
; %bb.1686:                             ;   in Loop: Header=BB290_998 Depth=1
	v_and_b32_e32 v133, 7, v0
	v_lshrrev_b32_e32 v135, 3, v144
	s_mov_b32 s16, exec_lo
	v_cmpx_gt_u32_e32 8, v144
; %bb.1687:                             ;   in Loop: Header=BB290_998 Depth=1
	s_delay_alu instid0(VALU_DEP_3) | instskip(NEXT) | instid1(VALU_DEP_1)
	v_clz_i32_u32_e32 v133, v133
	v_min_u32_e32 v133, 32, v133
	s_delay_alu instid0(VALU_DEP_1) | instskip(NEXT) | instid1(VALU_DEP_1)
	v_subrev_nc_u32_e32 v135, 28, v133
	v_lshlrev_b64_e32 v[144:145], v135, v[0:1]
	v_sub_nc_u32_e32 v135, 29, v133
	s_delay_alu instid0(VALU_DEP_2)
	v_and_b32_e32 v133, 7, v144
; %bb.1688:                             ;   in Loop: Header=BB290_998 Depth=1
	s_wait_alu 0xfffe
	s_or_b32 exec_lo, exec_lo, s16
	v_lshlrev_b32_e32 v0, 8, v0
	v_lshl_add_u32 v135, v135, 10, 0x2000
	v_lshlrev_b32_e32 v133, 23, v133
	s_delay_alu instid0(VALU_DEP_2) | instskip(NEXT) | instid1(VALU_DEP_1)
	v_and_or_b32 v0, 0x8000, v0, v135
	v_lshl_or_b32 v133, v0, 16, v133
.LBB290_1689:                           ;   in Loop: Header=BB290_998 Depth=1
	s_wait_alu 0xfffe
	s_or_b32 exec_lo, exec_lo, s15
.LBB290_1690:                           ;   in Loop: Header=BB290_998 Depth=1
	s_wait_alu 0xfffe
	s_or_b32 exec_lo, exec_lo, s14
.LBB290_1691:                           ;   in Loop: Header=BB290_998 Depth=1
	s_wait_alu 0xfffe
	s_or_b32 exec_lo, exec_lo, s11
	v_dual_mov_b32 v0, v12 :: v_dual_and_b32 v145, 0xff, v12
	v_dual_mov_b32 v135, 0 :: v_dual_mov_b32 v144, 0
	s_mov_b32 s11, exec_lo
	s_delay_alu instid0(VALU_DEP_2)
	v_cmpx_ne_u16_e64 0, v145
	s_cbranch_execz .LBB290_1699
; %bb.1692:                             ;   in Loop: Header=BB290_998 Depth=1
	v_mov_b32_e32 v144, 0x8000
	s_mov_b32 s14, exec_lo
	v_cmpx_ne_u16_e64 0x80, v145
	s_cbranch_execz .LBB290_1698
; %bb.1693:                             ;   in Loop: Header=BB290_998 Depth=1
	v_and_b32_e32 v146, 0x7f, v12
	v_mov_b32_e32 v144, 0x7c01
	s_mov_b32 s15, exec_lo
	s_delay_alu instid0(VALU_DEP_2)
	v_cmpx_ne_u32_e32 0x7f, v146
	s_cbranch_execz .LBB290_1697
; %bb.1694:                             ;   in Loop: Header=BB290_998 Depth=1
	v_and_b32_e32 v144, 7, v12
	v_lshrrev_b32_e32 v145, 3, v146
	s_mov_b32 s16, exec_lo
	v_cmpx_gt_u32_e32 8, v146
; %bb.1695:                             ;   in Loop: Header=BB290_998 Depth=1
	s_delay_alu instid0(VALU_DEP_3) | instskip(NEXT) | instid1(VALU_DEP_1)
	v_clz_i32_u32_e32 v144, v144
	v_min_u32_e32 v146, 32, v144
	s_delay_alu instid0(VALU_DEP_1) | instskip(NEXT) | instid1(VALU_DEP_1)
	v_subrev_nc_u32_e32 v144, 28, v146
	v_lshlrev_b64_e32 v[144:145], v144, v[0:1]
	v_sub_nc_u32_e32 v145, 29, v146
	s_delay_alu instid0(VALU_DEP_2)
	v_and_b32_e32 v144, 7, v144
; %bb.1696:                             ;   in Loop: Header=BB290_998 Depth=1
	s_wait_alu 0xfffe
	s_or_b32 exec_lo, exec_lo, s16
	v_lshlrev_b32_e32 v146, 8, v12
	v_lshl_add_u32 v145, v145, 10, 0x2000
	v_lshlrev_b32_e32 v144, 7, v144
	s_delay_alu instid0(VALU_DEP_3) | instskip(NEXT) | instid1(VALU_DEP_3)
	v_and_b32_e32 v146, 0x8000, v146
	v_and_b32_e32 v145, 0xfc00, v145
	s_delay_alu instid0(VALU_DEP_1)
	v_or3_b32 v144, v146, v145, v144
.LBB290_1697:                           ;   in Loop: Header=BB290_998 Depth=1
	s_wait_alu 0xfffe
	s_or_b32 exec_lo, exec_lo, s15
.LBB290_1698:                           ;   in Loop: Header=BB290_998 Depth=1
	s_wait_alu 0xfffe
	s_or_b32 exec_lo, exec_lo, s14
.LBB290_1699:                           ;   in Loop: Header=BB290_998 Depth=1
	s_wait_alu 0xfffe
	s_or_b32 exec_lo, exec_lo, s11
	v_lshrrev_b16 v0, 8, v0
	v_mov_b32_e32 v145, 0
	s_mov_b32 s11, exec_lo
	s_delay_alu instid0(VALU_DEP_2)
	v_cmpx_ne_u16_e32 0, v0
	s_cbranch_execz .LBB290_1707
; %bb.1700:                             ;   in Loop: Header=BB290_998 Depth=1
	v_bfrev_b32_e32 v145, 1
	s_mov_b32 s14, exec_lo
	v_cmpx_ne_u16_e32 0x80, v0
	s_cbranch_execz .LBB290_1706
; %bb.1701:                             ;   in Loop: Header=BB290_998 Depth=1
	v_and_b32_e32 v146, 0xffff, v0
	v_mov_b32_e32 v145, 0x7c010000
	s_mov_b32 s15, exec_lo
	s_delay_alu instid0(VALU_DEP_2) | instskip(NEXT) | instid1(VALU_DEP_1)
	v_and_b32_e32 v148, 0x7f, v146
	v_cmpx_ne_u32_e32 0x7f, v148
	s_cbranch_execz .LBB290_1705
; %bb.1702:                             ;   in Loop: Header=BB290_998 Depth=1
	v_and_b32_e32 v145, 7, v146
	v_lshrrev_b32_e32 v147, 3, v148
	s_mov_b32 s16, exec_lo
	v_cmpx_gt_u32_e32 8, v148
; %bb.1703:                             ;   in Loop: Header=BB290_998 Depth=1
	s_delay_alu instid0(VALU_DEP_3) | instskip(NEXT) | instid1(VALU_DEP_1)
	v_clz_i32_u32_e32 v145, v145
	v_min_u32_e32 v145, 32, v145
	s_delay_alu instid0(VALU_DEP_1) | instskip(NEXT) | instid1(VALU_DEP_1)
	v_subrev_nc_u32_e32 v147, 28, v145
	v_lshlrev_b64_e32 v[148:149], v147, v[0:1]
	v_sub_nc_u32_e32 v147, 29, v145
	s_delay_alu instid0(VALU_DEP_2)
	v_and_b32_e32 v145, 7, v148
; %bb.1704:                             ;   in Loop: Header=BB290_998 Depth=1
	s_wait_alu 0xfffe
	s_or_b32 exec_lo, exec_lo, s16
	v_lshlrev_b32_e32 v0, 8, v146
	v_lshl_add_u32 v146, v147, 10, 0x2000
	v_lshlrev_b32_e32 v145, 23, v145
	s_delay_alu instid0(VALU_DEP_2) | instskip(NEXT) | instid1(VALU_DEP_1)
	v_and_or_b32 v0, 0x8000, v0, v146
	v_lshl_or_b32 v145, v0, 16, v145
.LBB290_1705:                           ;   in Loop: Header=BB290_998 Depth=1
	s_wait_alu 0xfffe
	s_or_b32 exec_lo, exec_lo, s15
.LBB290_1706:                           ;   in Loop: Header=BB290_998 Depth=1
	s_wait_alu 0xfffe
	s_or_b32 exec_lo, exec_lo, s14
.LBB290_1707:                           ;   in Loop: Header=BB290_998 Depth=1
	s_wait_alu 0xfffe
	s_or_b32 exec_lo, exec_lo, s11
	v_lshrrev_b32_e32 v0, 16, v12
	s_mov_b32 s11, exec_lo
	s_delay_alu instid0(VALU_DEP_1) | instskip(NEXT) | instid1(VALU_DEP_1)
	v_and_b32_e32 v146, 0xff, v0
	v_cmpx_ne_u16_e64 0, v146
	s_cbranch_execz .LBB290_1715
; %bb.1708:                             ;   in Loop: Header=BB290_998 Depth=1
	v_mov_b32_e32 v135, 0x8000
	s_mov_b32 s14, exec_lo
	v_cmpx_ne_u16_e64 0x80, v146
	s_cbranch_execz .LBB290_1714
; %bb.1709:                             ;   in Loop: Header=BB290_998 Depth=1
	v_bfe_u32 v147, v12, 16, 7
	v_mov_b32_e32 v135, 0x7c01
	s_mov_b32 s15, exec_lo
	s_delay_alu instid0(VALU_DEP_2)
	v_cmpx_ne_u32_e32 0x7f, v147
	s_cbranch_execz .LBB290_1713
; %bb.1710:                             ;   in Loop: Header=BB290_998 Depth=1
	v_and_b32_e32 v135, 7, v0
	v_lshrrev_b32_e32 v146, 3, v147
	s_mov_b32 s16, exec_lo
	v_cmpx_gt_u32_e32 8, v147
; %bb.1711:                             ;   in Loop: Header=BB290_998 Depth=1
	s_delay_alu instid0(VALU_DEP_3) | instskip(NEXT) | instid1(VALU_DEP_1)
	v_clz_i32_u32_e32 v135, v135
	v_min_u32_e32 v135, 32, v135
	s_delay_alu instid0(VALU_DEP_1) | instskip(NEXT) | instid1(VALU_DEP_1)
	v_subrev_nc_u32_e32 v146, 28, v135
	v_lshlrev_b64_e32 v[147:148], v146, v[0:1]
	v_sub_nc_u32_e32 v146, 29, v135
	s_delay_alu instid0(VALU_DEP_2)
	v_and_b32_e32 v135, 7, v147
; %bb.1712:                             ;   in Loop: Header=BB290_998 Depth=1
	s_wait_alu 0xfffe
	s_or_b32 exec_lo, exec_lo, s16
	v_lshlrev_b32_e32 v0, 8, v0
	v_lshl_add_u32 v146, v146, 10, 0x2000
	v_lshlrev_b32_e32 v135, 7, v135
	s_delay_alu instid0(VALU_DEP_3) | instskip(NEXT) | instid1(VALU_DEP_3)
	v_and_b32_e32 v0, 0x8000, v0
	v_and_b32_e32 v146, 0xfc00, v146
	s_delay_alu instid0(VALU_DEP_1)
	v_or3_b32 v135, v0, v146, v135
.LBB290_1713:                           ;   in Loop: Header=BB290_998 Depth=1
	s_wait_alu 0xfffe
	s_or_b32 exec_lo, exec_lo, s15
.LBB290_1714:                           ;   in Loop: Header=BB290_998 Depth=1
	s_wait_alu 0xfffe
	s_or_b32 exec_lo, exec_lo, s14
.LBB290_1715:                           ;   in Loop: Header=BB290_998 Depth=1
	s_wait_alu 0xfffe
	s_or_b32 exec_lo, exec_lo, s11
	v_cmp_lt_u64_e64 s0, s[8:9], v[11:12]
	v_mov_b32_e32 v11, 0
	s_and_saveexec_b32 s11, s0
	s_cbranch_execz .LBB290_1723
; %bb.1716:                             ;   in Loop: Header=BB290_998 Depth=1
	v_lshrrev_b32_e32 v0, 24, v12
	v_bfrev_b32_e32 v11, 1
	s_mov_b32 s14, exec_lo
	s_delay_alu instid0(VALU_DEP_2)
	v_cmpx_ne_u32_e32 0x80, v0
	s_cbranch_execz .LBB290_1722
; %bb.1717:                             ;   in Loop: Header=BB290_998 Depth=1
	v_and_b32_e32 v146, 0x7f, v0
	v_mov_b32_e32 v11, 0x7c010000
	s_mov_b32 s15, exec_lo
	s_delay_alu instid0(VALU_DEP_2)
	v_cmpx_ne_u32_e32 0x7f, v146
	s_cbranch_execz .LBB290_1721
; %bb.1718:                             ;   in Loop: Header=BB290_998 Depth=1
	v_and_b32_e32 v11, 7, v0
	v_lshrrev_b32_e32 v12, 3, v146
	s_mov_b32 s16, exec_lo
	v_cmpx_gt_u32_e32 8, v146
; %bb.1719:                             ;   in Loop: Header=BB290_998 Depth=1
	s_delay_alu instid0(VALU_DEP_3) | instskip(NEXT) | instid1(VALU_DEP_1)
	v_clz_i32_u32_e32 v11, v11
	v_min_u32_e32 v146, 32, v11
	s_delay_alu instid0(VALU_DEP_1) | instskip(NEXT) | instid1(VALU_DEP_1)
	v_subrev_nc_u32_e32 v11, 28, v146
	v_lshlrev_b64_e32 v[11:12], v11, v[0:1]
	v_sub_nc_u32_e32 v12, 29, v146
	s_delay_alu instid0(VALU_DEP_2)
	v_and_b32_e32 v11, 7, v11
; %bb.1720:                             ;   in Loop: Header=BB290_998 Depth=1
	s_wait_alu 0xfffe
	s_or_b32 exec_lo, exec_lo, s16
	v_lshlrev_b32_e32 v0, 8, v0
	v_lshl_add_u32 v12, v12, 10, 0x2000
	v_lshlrev_b32_e32 v11, 23, v11
	s_delay_alu instid0(VALU_DEP_2) | instskip(NEXT) | instid1(VALU_DEP_1)
	v_and_or_b32 v0, 0x8000, v0, v12
	v_lshl_or_b32 v11, v0, 16, v11
.LBB290_1721:                           ;   in Loop: Header=BB290_998 Depth=1
	s_wait_alu 0xfffe
	s_or_b32 exec_lo, exec_lo, s15
.LBB290_1722:                           ;   in Loop: Header=BB290_998 Depth=1
	s_wait_alu 0xfffe
	s_or_b32 exec_lo, exec_lo, s14
.LBB290_1723:                           ;   in Loop: Header=BB290_998 Depth=1
	s_wait_alu 0xfffe
	s_or_b32 exec_lo, exec_lo, s11
	v_or_b32_e32 v0, v133, v134
	s_wait_loadcnt_dscnt 0x0
	v_fma_mixlo_f16 v12, v130, v133, 0 op_sel:[0,1,0] op_sel_hi:[0,1,0]
	v_or_b32_e32 v133, v131, v132
	v_fma_mixlo_f16 v131, v130, v131, 0 op_sel:[0,1,0] op_sel_hi:[0,1,0]
	v_or_b32_e32 v134, v145, v144
	v_or_b32_e32 v135, v11, v135
	v_fma_mixlo_f16 v144, v130, v0, 0 op_sel_hi:[0,1,0]
	v_fma_mixlo_f16 v11, v130, v11, 0 op_sel:[0,1,0] op_sel_hi:[0,1,0]
	v_lshlrev_b32_e32 v132, 16, v131
	v_fma_mixlo_f16 v131, v130, v133, 0 op_sel_hi:[0,1,0]
	v_fma_mixlo_f16 v133, v130, v145, 0 op_sel:[0,1,0] op_sel_hi:[0,1,0]
	v_fma_mixlo_f16 v134, v130, v134, 0 op_sel_hi:[0,1,0]
	v_fma_mixlo_f16 v135, v130, v135, 0 op_sel_hi:[0,1,0]
	v_lshlrev_b32_e32 v0, 16, v12
	v_and_b32_e32 v12, 0xffff, v144
	v_and_b32_e32 v146, 0xffff, v131
	v_lshlrev_b32_e32 v130, 16, v133
	v_and_b32_e32 v134, 0xffff, v134
	v_lshlrev_b32_e32 v11, 16, v11
	v_and_b32_e32 v131, 0xffff, v135
	v_or_b32_e32 v133, v0, v12
	v_or_b32_e32 v145, v132, v146
	v_or_b32_e32 v144, v130, v134
	s_delay_alu instid0(VALU_DEP_4)
	v_or_b32_e32 v135, v11, v131
	s_and_saveexec_b32 s11, vcc_lo
	s_cbranch_execz .LBB290_1725
; %bb.1724:                             ;   in Loop: Header=BB290_998 Depth=1
	v_cmp_lt_i32_e64 s0, v17, v34
	s_wait_alu 0xf1ff
	s_delay_alu instid0(VALU_DEP_1) | instskip(SKIP_2) | instid1(VALU_DEP_1)
	v_cndmask_b32_e64 v133, 0, v146, s0
	v_cmp_lt_i32_e64 s0, v87, v34
	s_wait_alu 0xf1ff
	v_cndmask_b32_e64 v132, 0, v132, s0
	v_cmp_lt_i32_e64 s0, v86, v34
	s_delay_alu instid0(VALU_DEP_2) | instskip(SKIP_1) | instid1(VALU_DEP_2)
	v_or_b32_e32 v145, v133, v132
	s_wait_alu 0xf1ff
	v_cndmask_b32_e64 v12, 0, v12, s0
	v_cmp_lt_i32_e64 s0, v85, v34
	s_wait_alu 0xf1ff
	s_delay_alu instid0(VALU_DEP_1) | instskip(SKIP_1) | instid1(VALU_DEP_2)
	v_cndmask_b32_e64 v0, 0, v0, s0
	v_cmp_lt_i32_e64 s0, v84, v34
	v_or_b32_e32 v133, v12, v0
	s_wait_alu 0xf1ff
	s_delay_alu instid0(VALU_DEP_2) | instskip(SKIP_2) | instid1(VALU_DEP_1)
	v_cndmask_b32_e64 v134, 0, v134, s0
	v_cmp_lt_i32_e64 s0, v83, v34
	s_wait_alu 0xf1ff
	v_cndmask_b32_e64 v130, 0, v130, s0
	v_cmp_lt_i32_e64 s0, v82, v34
	s_delay_alu instid0(VALU_DEP_2) | instskip(SKIP_1) | instid1(VALU_DEP_2)
	v_or_b32_e32 v144, v134, v130
	s_wait_alu 0xf1ff
	v_cndmask_b32_e64 v131, 0, v131, s0
	v_cmp_lt_i32_e64 s0, v81, v34
	s_wait_alu 0xf1ff
	s_delay_alu instid0(VALU_DEP_1) | instskip(NEXT) | instid1(VALU_DEP_1)
	v_cndmask_b32_e64 v11, 0, v11, s0
	v_or_b32_e32 v135, v131, v11
.LBB290_1725:                           ;   in Loop: Header=BB290_998 Depth=1
	s_wait_alu 0xfffe
	s_or_b32 exec_lo, exec_lo, s11
	;;#ASMSTART
	v_pk_mul_f16 v0, v80, v145;

	;;#ASMEND
	;;#ASMSTART
	v_pk_mul_f16 v11, v71, v133;

	;;#ASMEND
	;; [unrolled: 4-line block ×4, first 2 shown]
	;;#ASMSTART
	v_pk_add_f16 v0, v0, v11;

	;;#ASMEND
	;;#ASMSTART
	v_pk_add_f16 v0, v0, v12;

	;;#ASMEND
	;; [unrolled: 4-line block ×3, first 2 shown]
	v_dual_mov_b32 v134, 0 :: v_dual_and_b32 v11, 0xffff, v0
	v_lshrrev_b32_e32 v0, 16, v0
	;;#ASMSTART
	v_cvt_f32_f16 v130, v11;
	;;#ASMEND
	;;#ASMSTART
	v_cvt_f32_f16 v131, v0;
	;;#ASMEND
	flat_load_b64 v[11:12], v[9:10] offset:2816
	flat_load_b32 v132, v[26:27]
	s_mov_b32 s11, exec_lo
	s_wait_loadcnt_dscnt 0x101
	v_dual_mov_b32 v133, 0 :: v_dual_and_b32 v0, 0xff, v11
	s_delay_alu instid0(VALU_DEP_1)
	v_cmpx_ne_u16_e32 0, v0
	s_cbranch_execz .LBB290_1733
; %bb.1726:                             ;   in Loop: Header=BB290_998 Depth=1
	v_mov_b32_e32 v134, 0x8000
	s_mov_b32 s14, exec_lo
	v_cmpx_ne_u16_e32 0x80, v0
	s_cbranch_execz .LBB290_1732
; %bb.1727:                             ;   in Loop: Header=BB290_998 Depth=1
	v_and_b32_e32 v135, 0x7f, v11
	v_mov_b32_e32 v134, 0x7c01
	s_mov_b32 s15, exec_lo
	s_delay_alu instid0(VALU_DEP_2)
	v_cmpx_ne_u32_e32 0x7f, v135
	s_cbranch_execz .LBB290_1731
; %bb.1728:                             ;   in Loop: Header=BB290_998 Depth=1
	v_and_b32_e32 v0, 7, v11
	v_lshrrev_b32_e32 v134, 3, v135
	s_mov_b32 s16, exec_lo
	v_cmpx_gt_u32_e32 8, v135
; %bb.1729:                             ;   in Loop: Header=BB290_998 Depth=1
	s_delay_alu instid0(VALU_DEP_3) | instskip(NEXT) | instid1(VALU_DEP_1)
	v_clz_i32_u32_e32 v0, v0
	v_min_u32_e32 v0, 32, v0
	s_delay_alu instid0(VALU_DEP_1) | instskip(NEXT) | instid1(VALU_DEP_1)
	v_subrev_nc_u32_e32 v134, 28, v0
	v_lshlrev_b64_e32 v[144:145], v134, v[11:12]
	v_sub_nc_u32_e32 v134, 29, v0
	s_delay_alu instid0(VALU_DEP_2)
	v_and_b32_e32 v0, 7, v144
; %bb.1730:                             ;   in Loop: Header=BB290_998 Depth=1
	s_wait_alu 0xfffe
	s_or_b32 exec_lo, exec_lo, s16
	v_lshlrev_b32_e32 v135, 8, v11
	v_lshl_add_u32 v134, v134, 10, 0x2000
	v_lshlrev_b32_e32 v0, 7, v0
	s_delay_alu instid0(VALU_DEP_3) | instskip(NEXT) | instid1(VALU_DEP_3)
	v_and_b32_e32 v135, 0x8000, v135
	v_and_b32_e32 v134, 0xfc00, v134
	s_delay_alu instid0(VALU_DEP_1)
	v_or3_b32 v134, v135, v134, v0
.LBB290_1731:                           ;   in Loop: Header=BB290_998 Depth=1
	s_wait_alu 0xfffe
	s_or_b32 exec_lo, exec_lo, s15
.LBB290_1732:                           ;   in Loop: Header=BB290_998 Depth=1
	s_wait_alu 0xfffe
	s_or_b32 exec_lo, exec_lo, s14
.LBB290_1733:                           ;   in Loop: Header=BB290_998 Depth=1
	s_wait_alu 0xfffe
	s_or_b32 exec_lo, exec_lo, s11
	v_lshrrev_b16 v0, 8, v11
	s_mov_b32 s11, exec_lo
	s_delay_alu instid0(VALU_DEP_1)
	v_cmpx_ne_u16_e32 0, v0
	s_cbranch_execz .LBB290_1741
; %bb.1734:                             ;   in Loop: Header=BB290_998 Depth=1
	v_bfrev_b32_e32 v133, 1
	s_mov_b32 s14, exec_lo
	v_cmpx_ne_u16_e32 0x80, v0
	s_cbranch_execz .LBB290_1740
; %bb.1735:                             ;   in Loop: Header=BB290_998 Depth=1
	v_and_b32_e32 v135, 0xffff, v0
	v_mov_b32_e32 v133, 0x7c010000
	s_mov_b32 s15, exec_lo
	s_delay_alu instid0(VALU_DEP_2) | instskip(NEXT) | instid1(VALU_DEP_1)
	v_and_b32_e32 v145, 0x7f, v135
	v_cmpx_ne_u32_e32 0x7f, v145
	s_cbranch_execz .LBB290_1739
; %bb.1736:                             ;   in Loop: Header=BB290_998 Depth=1
	v_and_b32_e32 v133, 7, v135
	v_lshrrev_b32_e32 v144, 3, v145
	s_mov_b32 s16, exec_lo
	v_cmpx_gt_u32_e32 8, v145
; %bb.1737:                             ;   in Loop: Header=BB290_998 Depth=1
	s_delay_alu instid0(VALU_DEP_3) | instskip(NEXT) | instid1(VALU_DEP_1)
	v_clz_i32_u32_e32 v133, v133
	v_min_u32_e32 v133, 32, v133
	s_delay_alu instid0(VALU_DEP_1) | instskip(NEXT) | instid1(VALU_DEP_1)
	v_subrev_nc_u32_e32 v144, 28, v133
	v_lshlrev_b64_e32 v[145:146], v144, v[0:1]
	v_sub_nc_u32_e32 v144, 29, v133
	s_delay_alu instid0(VALU_DEP_2)
	v_and_b32_e32 v133, 7, v145
; %bb.1738:                             ;   in Loop: Header=BB290_998 Depth=1
	s_wait_alu 0xfffe
	s_or_b32 exec_lo, exec_lo, s16
	v_lshlrev_b32_e32 v0, 8, v135
	v_lshl_add_u32 v135, v144, 10, 0x2000
	v_lshlrev_b32_e32 v133, 23, v133
	s_delay_alu instid0(VALU_DEP_2) | instskip(NEXT) | instid1(VALU_DEP_1)
	v_and_or_b32 v0, 0x8000, v0, v135
	v_lshl_or_b32 v133, v0, 16, v133
.LBB290_1739:                           ;   in Loop: Header=BB290_998 Depth=1
	s_wait_alu 0xfffe
	s_or_b32 exec_lo, exec_lo, s15
.LBB290_1740:                           ;   in Loop: Header=BB290_998 Depth=1
	s_wait_alu 0xfffe
	s_or_b32 exec_lo, exec_lo, s14
.LBB290_1741:                           ;   in Loop: Header=BB290_998 Depth=1
	s_wait_alu 0xfffe
	s_or_b32 exec_lo, exec_lo, s11
	v_lshrrev_b32_e32 v0, 16, v11
	v_mov_b32_e32 v135, 0
	s_mov_b32 s11, exec_lo
	s_delay_alu instid0(VALU_DEP_2) | instskip(NEXT) | instid1(VALU_DEP_1)
	v_dual_mov_b32 v144, 0 :: v_dual_and_b32 v145, 0xff, v0
	v_cmpx_ne_u16_e64 0, v145
	s_cbranch_execz .LBB290_1749
; %bb.1742:                             ;   in Loop: Header=BB290_998 Depth=1
	v_mov_b32_e32 v144, 0x8000
	s_mov_b32 s14, exec_lo
	v_cmpx_ne_u16_e64 0x80, v145
	s_cbranch_execz .LBB290_1748
; %bb.1743:                             ;   in Loop: Header=BB290_998 Depth=1
	v_bfe_u32 v146, v11, 16, 7
	v_mov_b32_e32 v144, 0x7c01
	s_mov_b32 s15, exec_lo
	s_delay_alu instid0(VALU_DEP_2)
	v_cmpx_ne_u32_e32 0x7f, v146
	s_cbranch_execz .LBB290_1747
; %bb.1744:                             ;   in Loop: Header=BB290_998 Depth=1
	v_and_b32_e32 v144, 7, v0
	v_lshrrev_b32_e32 v145, 3, v146
	s_mov_b32 s16, exec_lo
	v_cmpx_gt_u32_e32 8, v146
; %bb.1745:                             ;   in Loop: Header=BB290_998 Depth=1
	s_delay_alu instid0(VALU_DEP_3) | instskip(NEXT) | instid1(VALU_DEP_1)
	v_clz_i32_u32_e32 v144, v144
	v_min_u32_e32 v146, 32, v144
	s_delay_alu instid0(VALU_DEP_1) | instskip(NEXT) | instid1(VALU_DEP_1)
	v_subrev_nc_u32_e32 v144, 28, v146
	v_lshlrev_b64_e32 v[144:145], v144, v[0:1]
	v_sub_nc_u32_e32 v145, 29, v146
	s_delay_alu instid0(VALU_DEP_2)
	v_and_b32_e32 v144, 7, v144
; %bb.1746:                             ;   in Loop: Header=BB290_998 Depth=1
	s_wait_alu 0xfffe
	s_or_b32 exec_lo, exec_lo, s16
	v_lshlrev_b32_e32 v0, 8, v0
	v_lshl_add_u32 v145, v145, 10, 0x2000
	v_lshlrev_b32_e32 v144, 7, v144
	s_delay_alu instid0(VALU_DEP_3) | instskip(NEXT) | instid1(VALU_DEP_3)
	v_and_b32_e32 v0, 0x8000, v0
	v_and_b32_e32 v145, 0xfc00, v145
	s_delay_alu instid0(VALU_DEP_1)
	v_or3_b32 v144, v0, v145, v144
.LBB290_1747:                           ;   in Loop: Header=BB290_998 Depth=1
	s_wait_alu 0xfffe
	s_or_b32 exec_lo, exec_lo, s15
.LBB290_1748:                           ;   in Loop: Header=BB290_998 Depth=1
	s_wait_alu 0xfffe
	s_or_b32 exec_lo, exec_lo, s14
.LBB290_1749:                           ;   in Loop: Header=BB290_998 Depth=1
	s_wait_alu 0xfffe
	s_or_b32 exec_lo, exec_lo, s11
	s_delay_alu instid0(SALU_CYCLE_1)
	s_mov_b32 s11, exec_lo
	v_cmpx_lt_u32_e32 0xffffff, v11
	s_cbranch_execz .LBB290_1757
; %bb.1750:                             ;   in Loop: Header=BB290_998 Depth=1
	v_lshrrev_b32_e32 v0, 24, v11
	v_bfrev_b32_e32 v135, 1
	s_mov_b32 s14, exec_lo
	s_delay_alu instid0(VALU_DEP_2)
	v_cmpx_ne_u32_e32 0x80, v0
	s_cbranch_execz .LBB290_1756
; %bb.1751:                             ;   in Loop: Header=BB290_998 Depth=1
	v_and_b32_e32 v146, 0x7f, v0
	v_mov_b32_e32 v135, 0x7c010000
	s_mov_b32 s15, exec_lo
	s_delay_alu instid0(VALU_DEP_2)
	v_cmpx_ne_u32_e32 0x7f, v146
	s_cbranch_execz .LBB290_1755
; %bb.1752:                             ;   in Loop: Header=BB290_998 Depth=1
	v_and_b32_e32 v135, 7, v0
	v_lshrrev_b32_e32 v145, 3, v146
	s_mov_b32 s16, exec_lo
	v_cmpx_gt_u32_e32 8, v146
; %bb.1753:                             ;   in Loop: Header=BB290_998 Depth=1
	s_delay_alu instid0(VALU_DEP_3) | instskip(NEXT) | instid1(VALU_DEP_1)
	v_clz_i32_u32_e32 v135, v135
	v_min_u32_e32 v135, 32, v135
	s_delay_alu instid0(VALU_DEP_1) | instskip(NEXT) | instid1(VALU_DEP_1)
	v_subrev_nc_u32_e32 v145, 28, v135
	v_lshlrev_b64_e32 v[146:147], v145, v[0:1]
	v_sub_nc_u32_e32 v145, 29, v135
	s_delay_alu instid0(VALU_DEP_2)
	v_and_b32_e32 v135, 7, v146
; %bb.1754:                             ;   in Loop: Header=BB290_998 Depth=1
	s_wait_alu 0xfffe
	s_or_b32 exec_lo, exec_lo, s16
	v_lshlrev_b32_e32 v0, 8, v0
	v_lshl_add_u32 v145, v145, 10, 0x2000
	v_lshlrev_b32_e32 v135, 23, v135
	s_delay_alu instid0(VALU_DEP_2) | instskip(NEXT) | instid1(VALU_DEP_1)
	v_and_or_b32 v0, 0x8000, v0, v145
	v_lshl_or_b32 v135, v0, 16, v135
.LBB290_1755:                           ;   in Loop: Header=BB290_998 Depth=1
	s_wait_alu 0xfffe
	s_or_b32 exec_lo, exec_lo, s15
.LBB290_1756:                           ;   in Loop: Header=BB290_998 Depth=1
	s_wait_alu 0xfffe
	s_or_b32 exec_lo, exec_lo, s14
.LBB290_1757:                           ;   in Loop: Header=BB290_998 Depth=1
	s_wait_alu 0xfffe
	s_or_b32 exec_lo, exec_lo, s11
	v_dual_mov_b32 v0, v12 :: v_dual_and_b32 v147, 0xff, v12
	v_dual_mov_b32 v145, 0 :: v_dual_mov_b32 v146, 0
	s_mov_b32 s11, exec_lo
	s_delay_alu instid0(VALU_DEP_2)
	v_cmpx_ne_u16_e64 0, v147
	s_cbranch_execz .LBB290_1765
; %bb.1758:                             ;   in Loop: Header=BB290_998 Depth=1
	v_mov_b32_e32 v146, 0x8000
	s_mov_b32 s14, exec_lo
	v_cmpx_ne_u16_e64 0x80, v147
	s_cbranch_execz .LBB290_1764
; %bb.1759:                             ;   in Loop: Header=BB290_998 Depth=1
	v_and_b32_e32 v148, 0x7f, v12
	v_mov_b32_e32 v146, 0x7c01
	s_mov_b32 s15, exec_lo
	s_delay_alu instid0(VALU_DEP_2)
	v_cmpx_ne_u32_e32 0x7f, v148
	s_cbranch_execz .LBB290_1763
; %bb.1760:                             ;   in Loop: Header=BB290_998 Depth=1
	v_and_b32_e32 v146, 7, v12
	v_lshrrev_b32_e32 v147, 3, v148
	s_mov_b32 s16, exec_lo
	v_cmpx_gt_u32_e32 8, v148
; %bb.1761:                             ;   in Loop: Header=BB290_998 Depth=1
	s_delay_alu instid0(VALU_DEP_3) | instskip(NEXT) | instid1(VALU_DEP_1)
	v_clz_i32_u32_e32 v146, v146
	v_min_u32_e32 v148, 32, v146
	s_delay_alu instid0(VALU_DEP_1) | instskip(NEXT) | instid1(VALU_DEP_1)
	v_subrev_nc_u32_e32 v146, 28, v148
	v_lshlrev_b64_e32 v[146:147], v146, v[0:1]
	v_sub_nc_u32_e32 v147, 29, v148
	s_delay_alu instid0(VALU_DEP_2)
	v_and_b32_e32 v146, 7, v146
; %bb.1762:                             ;   in Loop: Header=BB290_998 Depth=1
	s_wait_alu 0xfffe
	s_or_b32 exec_lo, exec_lo, s16
	v_lshlrev_b32_e32 v148, 8, v12
	v_lshl_add_u32 v147, v147, 10, 0x2000
	v_lshlrev_b32_e32 v146, 7, v146
	s_delay_alu instid0(VALU_DEP_3) | instskip(NEXT) | instid1(VALU_DEP_3)
	v_and_b32_e32 v148, 0x8000, v148
	v_and_b32_e32 v147, 0xfc00, v147
	s_delay_alu instid0(VALU_DEP_1)
	v_or3_b32 v146, v148, v147, v146
.LBB290_1763:                           ;   in Loop: Header=BB290_998 Depth=1
	s_wait_alu 0xfffe
	s_or_b32 exec_lo, exec_lo, s15
.LBB290_1764:                           ;   in Loop: Header=BB290_998 Depth=1
	s_wait_alu 0xfffe
	s_or_b32 exec_lo, exec_lo, s14
.LBB290_1765:                           ;   in Loop: Header=BB290_998 Depth=1
	s_wait_alu 0xfffe
	s_or_b32 exec_lo, exec_lo, s11
	v_lshrrev_b16 v0, 8, v0
	v_mov_b32_e32 v147, 0
	s_mov_b32 s11, exec_lo
	s_delay_alu instid0(VALU_DEP_2)
	v_cmpx_ne_u16_e32 0, v0
	s_cbranch_execz .LBB290_1773
; %bb.1766:                             ;   in Loop: Header=BB290_998 Depth=1
	v_bfrev_b32_e32 v147, 1
	s_mov_b32 s14, exec_lo
	v_cmpx_ne_u16_e32 0x80, v0
	s_cbranch_execz .LBB290_1772
; %bb.1767:                             ;   in Loop: Header=BB290_998 Depth=1
	v_and_b32_e32 v148, 0xffff, v0
	v_mov_b32_e32 v147, 0x7c010000
	s_mov_b32 s15, exec_lo
	s_delay_alu instid0(VALU_DEP_2) | instskip(NEXT) | instid1(VALU_DEP_1)
	v_and_b32_e32 v150, 0x7f, v148
	v_cmpx_ne_u32_e32 0x7f, v150
	s_cbranch_execz .LBB290_1771
; %bb.1768:                             ;   in Loop: Header=BB290_998 Depth=1
	v_and_b32_e32 v147, 7, v148
	v_lshrrev_b32_e32 v149, 3, v150
	s_mov_b32 s16, exec_lo
	v_cmpx_gt_u32_e32 8, v150
; %bb.1769:                             ;   in Loop: Header=BB290_998 Depth=1
	s_delay_alu instid0(VALU_DEP_3) | instskip(NEXT) | instid1(VALU_DEP_1)
	v_clz_i32_u32_e32 v147, v147
	v_min_u32_e32 v147, 32, v147
	s_delay_alu instid0(VALU_DEP_1) | instskip(NEXT) | instid1(VALU_DEP_1)
	v_subrev_nc_u32_e32 v149, 28, v147
	v_lshlrev_b64_e32 v[150:151], v149, v[0:1]
	v_sub_nc_u32_e32 v149, 29, v147
	s_delay_alu instid0(VALU_DEP_2)
	v_and_b32_e32 v147, 7, v150
; %bb.1770:                             ;   in Loop: Header=BB290_998 Depth=1
	s_wait_alu 0xfffe
	s_or_b32 exec_lo, exec_lo, s16
	v_lshlrev_b32_e32 v0, 8, v148
	v_lshl_add_u32 v148, v149, 10, 0x2000
	v_lshlrev_b32_e32 v147, 23, v147
	s_delay_alu instid0(VALU_DEP_2) | instskip(NEXT) | instid1(VALU_DEP_1)
	v_and_or_b32 v0, 0x8000, v0, v148
	v_lshl_or_b32 v147, v0, 16, v147
.LBB290_1771:                           ;   in Loop: Header=BB290_998 Depth=1
	s_wait_alu 0xfffe
	s_or_b32 exec_lo, exec_lo, s15
.LBB290_1772:                           ;   in Loop: Header=BB290_998 Depth=1
	s_wait_alu 0xfffe
	s_or_b32 exec_lo, exec_lo, s14
.LBB290_1773:                           ;   in Loop: Header=BB290_998 Depth=1
	s_wait_alu 0xfffe
	s_or_b32 exec_lo, exec_lo, s11
	v_lshrrev_b32_e32 v0, 16, v12
	s_mov_b32 s11, exec_lo
	s_delay_alu instid0(VALU_DEP_1) | instskip(NEXT) | instid1(VALU_DEP_1)
	v_and_b32_e32 v148, 0xff, v0
	v_cmpx_ne_u16_e64 0, v148
	s_cbranch_execz .LBB290_1781
; %bb.1774:                             ;   in Loop: Header=BB290_998 Depth=1
	v_mov_b32_e32 v145, 0x8000
	s_mov_b32 s14, exec_lo
	v_cmpx_ne_u16_e64 0x80, v148
	s_cbranch_execz .LBB290_1780
; %bb.1775:                             ;   in Loop: Header=BB290_998 Depth=1
	v_bfe_u32 v149, v12, 16, 7
	v_mov_b32_e32 v145, 0x7c01
	s_mov_b32 s15, exec_lo
	s_delay_alu instid0(VALU_DEP_2)
	v_cmpx_ne_u32_e32 0x7f, v149
	s_cbranch_execz .LBB290_1779
; %bb.1776:                             ;   in Loop: Header=BB290_998 Depth=1
	v_and_b32_e32 v145, 7, v0
	v_lshrrev_b32_e32 v148, 3, v149
	s_mov_b32 s16, exec_lo
	v_cmpx_gt_u32_e32 8, v149
; %bb.1777:                             ;   in Loop: Header=BB290_998 Depth=1
	s_delay_alu instid0(VALU_DEP_3) | instskip(NEXT) | instid1(VALU_DEP_1)
	v_clz_i32_u32_e32 v145, v145
	v_min_u32_e32 v145, 32, v145
	s_delay_alu instid0(VALU_DEP_1) | instskip(NEXT) | instid1(VALU_DEP_1)
	v_subrev_nc_u32_e32 v148, 28, v145
	v_lshlrev_b64_e32 v[149:150], v148, v[0:1]
	v_sub_nc_u32_e32 v148, 29, v145
	s_delay_alu instid0(VALU_DEP_2)
	v_and_b32_e32 v145, 7, v149
; %bb.1778:                             ;   in Loop: Header=BB290_998 Depth=1
	s_wait_alu 0xfffe
	s_or_b32 exec_lo, exec_lo, s16
	v_lshlrev_b32_e32 v0, 8, v0
	v_lshl_add_u32 v148, v148, 10, 0x2000
	v_lshlrev_b32_e32 v145, 7, v145
	s_delay_alu instid0(VALU_DEP_3) | instskip(NEXT) | instid1(VALU_DEP_3)
	v_and_b32_e32 v0, 0x8000, v0
	v_and_b32_e32 v148, 0xfc00, v148
	s_delay_alu instid0(VALU_DEP_1)
	v_or3_b32 v145, v0, v148, v145
.LBB290_1779:                           ;   in Loop: Header=BB290_998 Depth=1
	s_wait_alu 0xfffe
	s_or_b32 exec_lo, exec_lo, s15
.LBB290_1780:                           ;   in Loop: Header=BB290_998 Depth=1
	s_wait_alu 0xfffe
	s_or_b32 exec_lo, exec_lo, s14
.LBB290_1781:                           ;   in Loop: Header=BB290_998 Depth=1
	s_wait_alu 0xfffe
	s_or_b32 exec_lo, exec_lo, s11
	v_cmp_lt_u64_e64 s0, s[8:9], v[11:12]
	v_mov_b32_e32 v11, 0
	s_and_saveexec_b32 s11, s0
	s_cbranch_execz .LBB290_1789
; %bb.1782:                             ;   in Loop: Header=BB290_998 Depth=1
	v_lshrrev_b32_e32 v0, 24, v12
	v_bfrev_b32_e32 v11, 1
	s_mov_b32 s14, exec_lo
	s_delay_alu instid0(VALU_DEP_2)
	v_cmpx_ne_u32_e32 0x80, v0
	s_cbranch_execz .LBB290_1788
; %bb.1783:                             ;   in Loop: Header=BB290_998 Depth=1
	v_and_b32_e32 v148, 0x7f, v0
	v_mov_b32_e32 v11, 0x7c010000
	s_mov_b32 s15, exec_lo
	s_delay_alu instid0(VALU_DEP_2)
	v_cmpx_ne_u32_e32 0x7f, v148
	s_cbranch_execz .LBB290_1787
; %bb.1784:                             ;   in Loop: Header=BB290_998 Depth=1
	v_and_b32_e32 v11, 7, v0
	v_lshrrev_b32_e32 v12, 3, v148
	s_mov_b32 s16, exec_lo
	v_cmpx_gt_u32_e32 8, v148
; %bb.1785:                             ;   in Loop: Header=BB290_998 Depth=1
	s_delay_alu instid0(VALU_DEP_3) | instskip(NEXT) | instid1(VALU_DEP_1)
	v_clz_i32_u32_e32 v11, v11
	v_min_u32_e32 v148, 32, v11
	s_delay_alu instid0(VALU_DEP_1) | instskip(NEXT) | instid1(VALU_DEP_1)
	v_subrev_nc_u32_e32 v11, 28, v148
	v_lshlrev_b64_e32 v[11:12], v11, v[0:1]
	v_sub_nc_u32_e32 v12, 29, v148
	s_delay_alu instid0(VALU_DEP_2)
	v_and_b32_e32 v11, 7, v11
; %bb.1786:                             ;   in Loop: Header=BB290_998 Depth=1
	s_wait_alu 0xfffe
	s_or_b32 exec_lo, exec_lo, s16
	v_lshlrev_b32_e32 v0, 8, v0
	v_lshl_add_u32 v12, v12, 10, 0x2000
	v_lshlrev_b32_e32 v11, 23, v11
	s_delay_alu instid0(VALU_DEP_2) | instskip(NEXT) | instid1(VALU_DEP_1)
	v_and_or_b32 v0, 0x8000, v0, v12
	v_lshl_or_b32 v11, v0, 16, v11
.LBB290_1787:                           ;   in Loop: Header=BB290_998 Depth=1
	s_wait_alu 0xfffe
	s_or_b32 exec_lo, exec_lo, s15
.LBB290_1788:                           ;   in Loop: Header=BB290_998 Depth=1
	s_wait_alu 0xfffe
	s_or_b32 exec_lo, exec_lo, s14
.LBB290_1789:                           ;   in Loop: Header=BB290_998 Depth=1
	s_wait_alu 0xfffe
	s_or_b32 exec_lo, exec_lo, s11
	v_or_b32_e32 v0, v135, v144
	s_wait_loadcnt_dscnt 0x0
	v_fma_mixlo_f16 v12, v132, v135, 0 op_sel:[0,1,0] op_sel_hi:[0,1,0]
	v_or_b32_e32 v135, v133, v134
	v_fma_mixlo_f16 v133, v132, v133, 0 op_sel:[0,1,0] op_sel_hi:[0,1,0]
	v_or_b32_e32 v144, v147, v146
	v_or_b32_e32 v145, v11, v145
	v_fma_mixlo_f16 v146, v132, v0, 0 op_sel_hi:[0,1,0]
	v_fma_mixlo_f16 v11, v132, v11, 0 op_sel:[0,1,0] op_sel_hi:[0,1,0]
	v_lshlrev_b32_e32 v134, 16, v133
	v_fma_mixlo_f16 v133, v132, v135, 0 op_sel_hi:[0,1,0]
	v_fma_mixlo_f16 v135, v132, v147, 0 op_sel:[0,1,0] op_sel_hi:[0,1,0]
	v_fma_mixlo_f16 v144, v132, v144, 0 op_sel_hi:[0,1,0]
	v_fma_mixlo_f16 v145, v132, v145, 0 op_sel_hi:[0,1,0]
	v_lshlrev_b32_e32 v0, 16, v12
	v_and_b32_e32 v12, 0xffff, v146
	v_and_b32_e32 v148, 0xffff, v133
	v_lshlrev_b32_e32 v132, 16, v135
	v_and_b32_e32 v144, 0xffff, v144
	v_lshlrev_b32_e32 v11, 16, v11
	v_and_b32_e32 v133, 0xffff, v145
	v_or_b32_e32 v135, v0, v12
	v_or_b32_e32 v147, v134, v148
	;; [unrolled: 1-line block ×3, first 2 shown]
	s_delay_alu instid0(VALU_DEP_4)
	v_or_b32_e32 v145, v11, v133
	s_and_saveexec_b32 s11, vcc_lo
	s_cbranch_execz .LBB290_1791
; %bb.1790:                             ;   in Loop: Header=BB290_998 Depth=1
	v_cmp_lt_i32_e64 s0, v17, v34
	s_wait_alu 0xf1ff
	s_delay_alu instid0(VALU_DEP_1) | instskip(SKIP_2) | instid1(VALU_DEP_1)
	v_cndmask_b32_e64 v135, 0, v148, s0
	v_cmp_lt_i32_e64 s0, v87, v34
	s_wait_alu 0xf1ff
	v_cndmask_b32_e64 v134, 0, v134, s0
	v_cmp_lt_i32_e64 s0, v86, v34
	s_delay_alu instid0(VALU_DEP_2) | instskip(SKIP_1) | instid1(VALU_DEP_2)
	v_or_b32_e32 v147, v135, v134
	s_wait_alu 0xf1ff
	v_cndmask_b32_e64 v12, 0, v12, s0
	v_cmp_lt_i32_e64 s0, v85, v34
	s_wait_alu 0xf1ff
	s_delay_alu instid0(VALU_DEP_1) | instskip(SKIP_1) | instid1(VALU_DEP_2)
	v_cndmask_b32_e64 v0, 0, v0, s0
	v_cmp_lt_i32_e64 s0, v84, v34
	v_or_b32_e32 v135, v12, v0
	s_wait_alu 0xf1ff
	s_delay_alu instid0(VALU_DEP_2) | instskip(SKIP_2) | instid1(VALU_DEP_1)
	v_cndmask_b32_e64 v144, 0, v144, s0
	v_cmp_lt_i32_e64 s0, v83, v34
	s_wait_alu 0xf1ff
	v_cndmask_b32_e64 v132, 0, v132, s0
	v_cmp_lt_i32_e64 s0, v82, v34
	s_delay_alu instid0(VALU_DEP_2) | instskip(SKIP_1) | instid1(VALU_DEP_2)
	v_or_b32_e32 v146, v144, v132
	s_wait_alu 0xf1ff
	v_cndmask_b32_e64 v133, 0, v133, s0
	v_cmp_lt_i32_e64 s0, v81, v34
	s_wait_alu 0xf1ff
	s_delay_alu instid0(VALU_DEP_1) | instskip(NEXT) | instid1(VALU_DEP_1)
	v_cndmask_b32_e64 v11, 0, v11, s0
	v_or_b32_e32 v145, v133, v11
.LBB290_1791:                           ;   in Loop: Header=BB290_998 Depth=1
	s_wait_alu 0xfffe
	s_or_b32 exec_lo, exec_lo, s11
	;;#ASMSTART
	v_pk_mul_f16 v0, v80, v147;

	;;#ASMEND
	;;#ASMSTART
	v_pk_mul_f16 v11, v71, v135;

	;;#ASMEND
	;; [unrolled: 4-line block ×4, first 2 shown]
	;;#ASMSTART
	v_pk_add_f16 v0, v0, v11;

	;;#ASMEND
	;;#ASMSTART
	v_pk_add_f16 v0, v0, v12;

	;;#ASMEND
	;; [unrolled: 4-line block ×3, first 2 shown]
	v_dual_mov_b32 v144, 0 :: v_dual_and_b32 v11, 0xffff, v0
	v_lshrrev_b32_e32 v0, 16, v0
	;;#ASMSTART
	v_cvt_f32_f16 v132, v11;
	;;#ASMEND
	;;#ASMSTART
	v_cvt_f32_f16 v133, v0;
	;;#ASMEND
	flat_load_b64 v[11:12], v[9:10] offset:3072
	flat_load_b32 v134, v[26:27]
	s_mov_b32 s11, exec_lo
	s_wait_loadcnt_dscnt 0x101
	v_dual_mov_b32 v135, 0 :: v_dual_and_b32 v0, 0xff, v11
	s_delay_alu instid0(VALU_DEP_1)
	v_cmpx_ne_u16_e32 0, v0
	s_cbranch_execz .LBB290_1799
; %bb.1792:                             ;   in Loop: Header=BB290_998 Depth=1
	v_mov_b32_e32 v144, 0x8000
	s_mov_b32 s14, exec_lo
	v_cmpx_ne_u16_e32 0x80, v0
	s_cbranch_execz .LBB290_1798
; %bb.1793:                             ;   in Loop: Header=BB290_998 Depth=1
	v_and_b32_e32 v145, 0x7f, v11
	v_mov_b32_e32 v144, 0x7c01
	s_mov_b32 s15, exec_lo
	s_delay_alu instid0(VALU_DEP_2)
	v_cmpx_ne_u32_e32 0x7f, v145
	s_cbranch_execz .LBB290_1797
; %bb.1794:                             ;   in Loop: Header=BB290_998 Depth=1
	v_and_b32_e32 v0, 7, v11
	v_lshrrev_b32_e32 v144, 3, v145
	s_mov_b32 s16, exec_lo
	v_cmpx_gt_u32_e32 8, v145
; %bb.1795:                             ;   in Loop: Header=BB290_998 Depth=1
	s_delay_alu instid0(VALU_DEP_3) | instskip(NEXT) | instid1(VALU_DEP_1)
	v_clz_i32_u32_e32 v0, v0
	v_min_u32_e32 v0, 32, v0
	s_delay_alu instid0(VALU_DEP_1) | instskip(NEXT) | instid1(VALU_DEP_1)
	v_subrev_nc_u32_e32 v144, 28, v0
	v_lshlrev_b64_e32 v[145:146], v144, v[11:12]
	v_sub_nc_u32_e32 v144, 29, v0
	s_delay_alu instid0(VALU_DEP_2)
	v_and_b32_e32 v0, 7, v145
; %bb.1796:                             ;   in Loop: Header=BB290_998 Depth=1
	s_wait_alu 0xfffe
	s_or_b32 exec_lo, exec_lo, s16
	v_lshlrev_b32_e32 v145, 8, v11
	v_lshl_add_u32 v144, v144, 10, 0x2000
	v_lshlrev_b32_e32 v0, 7, v0
	s_delay_alu instid0(VALU_DEP_3) | instskip(NEXT) | instid1(VALU_DEP_3)
	v_and_b32_e32 v145, 0x8000, v145
	v_and_b32_e32 v144, 0xfc00, v144
	s_delay_alu instid0(VALU_DEP_1)
	v_or3_b32 v144, v145, v144, v0
.LBB290_1797:                           ;   in Loop: Header=BB290_998 Depth=1
	s_wait_alu 0xfffe
	s_or_b32 exec_lo, exec_lo, s15
.LBB290_1798:                           ;   in Loop: Header=BB290_998 Depth=1
	s_wait_alu 0xfffe
	s_or_b32 exec_lo, exec_lo, s14
.LBB290_1799:                           ;   in Loop: Header=BB290_998 Depth=1
	s_wait_alu 0xfffe
	s_or_b32 exec_lo, exec_lo, s11
	v_lshrrev_b16 v0, 8, v11
	s_mov_b32 s11, exec_lo
	s_delay_alu instid0(VALU_DEP_1)
	v_cmpx_ne_u16_e32 0, v0
	s_cbranch_execz .LBB290_1807
; %bb.1800:                             ;   in Loop: Header=BB290_998 Depth=1
	v_bfrev_b32_e32 v135, 1
	s_mov_b32 s14, exec_lo
	v_cmpx_ne_u16_e32 0x80, v0
	s_cbranch_execz .LBB290_1806
; %bb.1801:                             ;   in Loop: Header=BB290_998 Depth=1
	v_and_b32_e32 v145, 0xffff, v0
	v_mov_b32_e32 v135, 0x7c010000
	s_mov_b32 s15, exec_lo
	s_delay_alu instid0(VALU_DEP_2) | instskip(NEXT) | instid1(VALU_DEP_1)
	v_and_b32_e32 v147, 0x7f, v145
	v_cmpx_ne_u32_e32 0x7f, v147
	s_cbranch_execz .LBB290_1805
; %bb.1802:                             ;   in Loop: Header=BB290_998 Depth=1
	v_and_b32_e32 v135, 7, v145
	v_lshrrev_b32_e32 v146, 3, v147
	s_mov_b32 s16, exec_lo
	v_cmpx_gt_u32_e32 8, v147
; %bb.1803:                             ;   in Loop: Header=BB290_998 Depth=1
	s_delay_alu instid0(VALU_DEP_3) | instskip(NEXT) | instid1(VALU_DEP_1)
	v_clz_i32_u32_e32 v135, v135
	v_min_u32_e32 v135, 32, v135
	s_delay_alu instid0(VALU_DEP_1) | instskip(NEXT) | instid1(VALU_DEP_1)
	v_subrev_nc_u32_e32 v146, 28, v135
	v_lshlrev_b64_e32 v[147:148], v146, v[0:1]
	v_sub_nc_u32_e32 v146, 29, v135
	s_delay_alu instid0(VALU_DEP_2)
	v_and_b32_e32 v135, 7, v147
; %bb.1804:                             ;   in Loop: Header=BB290_998 Depth=1
	s_wait_alu 0xfffe
	s_or_b32 exec_lo, exec_lo, s16
	v_lshlrev_b32_e32 v0, 8, v145
	v_lshl_add_u32 v145, v146, 10, 0x2000
	v_lshlrev_b32_e32 v135, 23, v135
	s_delay_alu instid0(VALU_DEP_2) | instskip(NEXT) | instid1(VALU_DEP_1)
	v_and_or_b32 v0, 0x8000, v0, v145
	v_lshl_or_b32 v135, v0, 16, v135
.LBB290_1805:                           ;   in Loop: Header=BB290_998 Depth=1
	s_wait_alu 0xfffe
	s_or_b32 exec_lo, exec_lo, s15
.LBB290_1806:                           ;   in Loop: Header=BB290_998 Depth=1
	s_wait_alu 0xfffe
	s_or_b32 exec_lo, exec_lo, s14
.LBB290_1807:                           ;   in Loop: Header=BB290_998 Depth=1
	s_wait_alu 0xfffe
	s_or_b32 exec_lo, exec_lo, s11
	v_lshrrev_b32_e32 v0, 16, v11
	v_mov_b32_e32 v145, 0
	s_mov_b32 s11, exec_lo
	s_delay_alu instid0(VALU_DEP_2) | instskip(NEXT) | instid1(VALU_DEP_1)
	v_dual_mov_b32 v146, 0 :: v_dual_and_b32 v147, 0xff, v0
	v_cmpx_ne_u16_e64 0, v147
	s_cbranch_execz .LBB290_1815
; %bb.1808:                             ;   in Loop: Header=BB290_998 Depth=1
	v_mov_b32_e32 v146, 0x8000
	s_mov_b32 s14, exec_lo
	v_cmpx_ne_u16_e64 0x80, v147
	s_cbranch_execz .LBB290_1814
; %bb.1809:                             ;   in Loop: Header=BB290_998 Depth=1
	v_bfe_u32 v148, v11, 16, 7
	v_mov_b32_e32 v146, 0x7c01
	s_mov_b32 s15, exec_lo
	s_delay_alu instid0(VALU_DEP_2)
	v_cmpx_ne_u32_e32 0x7f, v148
	s_cbranch_execz .LBB290_1813
; %bb.1810:                             ;   in Loop: Header=BB290_998 Depth=1
	v_and_b32_e32 v146, 7, v0
	v_lshrrev_b32_e32 v147, 3, v148
	s_mov_b32 s16, exec_lo
	v_cmpx_gt_u32_e32 8, v148
; %bb.1811:                             ;   in Loop: Header=BB290_998 Depth=1
	s_delay_alu instid0(VALU_DEP_3) | instskip(NEXT) | instid1(VALU_DEP_1)
	v_clz_i32_u32_e32 v146, v146
	v_min_u32_e32 v148, 32, v146
	s_delay_alu instid0(VALU_DEP_1) | instskip(NEXT) | instid1(VALU_DEP_1)
	v_subrev_nc_u32_e32 v146, 28, v148
	v_lshlrev_b64_e32 v[146:147], v146, v[0:1]
	v_sub_nc_u32_e32 v147, 29, v148
	s_delay_alu instid0(VALU_DEP_2)
	v_and_b32_e32 v146, 7, v146
; %bb.1812:                             ;   in Loop: Header=BB290_998 Depth=1
	s_wait_alu 0xfffe
	s_or_b32 exec_lo, exec_lo, s16
	v_lshlrev_b32_e32 v0, 8, v0
	v_lshl_add_u32 v147, v147, 10, 0x2000
	v_lshlrev_b32_e32 v146, 7, v146
	s_delay_alu instid0(VALU_DEP_3) | instskip(NEXT) | instid1(VALU_DEP_3)
	v_and_b32_e32 v0, 0x8000, v0
	v_and_b32_e32 v147, 0xfc00, v147
	s_delay_alu instid0(VALU_DEP_1)
	v_or3_b32 v146, v0, v147, v146
.LBB290_1813:                           ;   in Loop: Header=BB290_998 Depth=1
	s_wait_alu 0xfffe
	s_or_b32 exec_lo, exec_lo, s15
.LBB290_1814:                           ;   in Loop: Header=BB290_998 Depth=1
	s_wait_alu 0xfffe
	s_or_b32 exec_lo, exec_lo, s14
.LBB290_1815:                           ;   in Loop: Header=BB290_998 Depth=1
	s_wait_alu 0xfffe
	s_or_b32 exec_lo, exec_lo, s11
	s_delay_alu instid0(SALU_CYCLE_1)
	s_mov_b32 s11, exec_lo
	v_cmpx_lt_u32_e32 0xffffff, v11
	s_cbranch_execz .LBB290_1823
; %bb.1816:                             ;   in Loop: Header=BB290_998 Depth=1
	v_lshrrev_b32_e32 v0, 24, v11
	v_bfrev_b32_e32 v145, 1
	s_mov_b32 s14, exec_lo
	s_delay_alu instid0(VALU_DEP_2)
	v_cmpx_ne_u32_e32 0x80, v0
	s_cbranch_execz .LBB290_1822
; %bb.1817:                             ;   in Loop: Header=BB290_998 Depth=1
	v_and_b32_e32 v148, 0x7f, v0
	v_mov_b32_e32 v145, 0x7c010000
	s_mov_b32 s15, exec_lo
	s_delay_alu instid0(VALU_DEP_2)
	v_cmpx_ne_u32_e32 0x7f, v148
	s_cbranch_execz .LBB290_1821
; %bb.1818:                             ;   in Loop: Header=BB290_998 Depth=1
	v_and_b32_e32 v145, 7, v0
	v_lshrrev_b32_e32 v147, 3, v148
	s_mov_b32 s16, exec_lo
	v_cmpx_gt_u32_e32 8, v148
; %bb.1819:                             ;   in Loop: Header=BB290_998 Depth=1
	s_delay_alu instid0(VALU_DEP_3) | instskip(NEXT) | instid1(VALU_DEP_1)
	v_clz_i32_u32_e32 v145, v145
	v_min_u32_e32 v145, 32, v145
	s_delay_alu instid0(VALU_DEP_1) | instskip(NEXT) | instid1(VALU_DEP_1)
	v_subrev_nc_u32_e32 v147, 28, v145
	v_lshlrev_b64_e32 v[148:149], v147, v[0:1]
	v_sub_nc_u32_e32 v147, 29, v145
	s_delay_alu instid0(VALU_DEP_2)
	v_and_b32_e32 v145, 7, v148
; %bb.1820:                             ;   in Loop: Header=BB290_998 Depth=1
	s_wait_alu 0xfffe
	s_or_b32 exec_lo, exec_lo, s16
	v_lshlrev_b32_e32 v0, 8, v0
	v_lshl_add_u32 v147, v147, 10, 0x2000
	v_lshlrev_b32_e32 v145, 23, v145
	s_delay_alu instid0(VALU_DEP_2) | instskip(NEXT) | instid1(VALU_DEP_1)
	v_and_or_b32 v0, 0x8000, v0, v147
	v_lshl_or_b32 v145, v0, 16, v145
.LBB290_1821:                           ;   in Loop: Header=BB290_998 Depth=1
	s_wait_alu 0xfffe
	s_or_b32 exec_lo, exec_lo, s15
.LBB290_1822:                           ;   in Loop: Header=BB290_998 Depth=1
	s_wait_alu 0xfffe
	s_or_b32 exec_lo, exec_lo, s14
.LBB290_1823:                           ;   in Loop: Header=BB290_998 Depth=1
	s_wait_alu 0xfffe
	s_or_b32 exec_lo, exec_lo, s11
	v_dual_mov_b32 v0, v12 :: v_dual_and_b32 v149, 0xff, v12
	v_dual_mov_b32 v147, 0 :: v_dual_mov_b32 v148, 0
	s_mov_b32 s11, exec_lo
	s_delay_alu instid0(VALU_DEP_2)
	v_cmpx_ne_u16_e64 0, v149
	s_cbranch_execz .LBB290_1831
; %bb.1824:                             ;   in Loop: Header=BB290_998 Depth=1
	v_mov_b32_e32 v148, 0x8000
	s_mov_b32 s14, exec_lo
	v_cmpx_ne_u16_e64 0x80, v149
	s_cbranch_execz .LBB290_1830
; %bb.1825:                             ;   in Loop: Header=BB290_998 Depth=1
	v_and_b32_e32 v150, 0x7f, v12
	v_mov_b32_e32 v148, 0x7c01
	s_mov_b32 s15, exec_lo
	s_delay_alu instid0(VALU_DEP_2)
	v_cmpx_ne_u32_e32 0x7f, v150
	s_cbranch_execz .LBB290_1829
; %bb.1826:                             ;   in Loop: Header=BB290_998 Depth=1
	v_and_b32_e32 v148, 7, v12
	v_lshrrev_b32_e32 v149, 3, v150
	s_mov_b32 s16, exec_lo
	v_cmpx_gt_u32_e32 8, v150
; %bb.1827:                             ;   in Loop: Header=BB290_998 Depth=1
	s_delay_alu instid0(VALU_DEP_3) | instskip(NEXT) | instid1(VALU_DEP_1)
	v_clz_i32_u32_e32 v148, v148
	v_min_u32_e32 v150, 32, v148
	s_delay_alu instid0(VALU_DEP_1) | instskip(NEXT) | instid1(VALU_DEP_1)
	v_subrev_nc_u32_e32 v148, 28, v150
	v_lshlrev_b64_e32 v[148:149], v148, v[0:1]
	v_sub_nc_u32_e32 v149, 29, v150
	s_delay_alu instid0(VALU_DEP_2)
	v_and_b32_e32 v148, 7, v148
; %bb.1828:                             ;   in Loop: Header=BB290_998 Depth=1
	s_wait_alu 0xfffe
	s_or_b32 exec_lo, exec_lo, s16
	v_lshlrev_b32_e32 v150, 8, v12
	v_lshl_add_u32 v149, v149, 10, 0x2000
	v_lshlrev_b32_e32 v148, 7, v148
	s_delay_alu instid0(VALU_DEP_3) | instskip(NEXT) | instid1(VALU_DEP_3)
	v_and_b32_e32 v150, 0x8000, v150
	v_and_b32_e32 v149, 0xfc00, v149
	s_delay_alu instid0(VALU_DEP_1)
	v_or3_b32 v148, v150, v149, v148
.LBB290_1829:                           ;   in Loop: Header=BB290_998 Depth=1
	s_wait_alu 0xfffe
	s_or_b32 exec_lo, exec_lo, s15
.LBB290_1830:                           ;   in Loop: Header=BB290_998 Depth=1
	s_wait_alu 0xfffe
	s_or_b32 exec_lo, exec_lo, s14
.LBB290_1831:                           ;   in Loop: Header=BB290_998 Depth=1
	s_wait_alu 0xfffe
	s_or_b32 exec_lo, exec_lo, s11
	v_lshrrev_b16 v0, 8, v0
	v_mov_b32_e32 v149, 0
	s_mov_b32 s11, exec_lo
	s_delay_alu instid0(VALU_DEP_2)
	v_cmpx_ne_u16_e32 0, v0
	s_cbranch_execz .LBB290_1839
; %bb.1832:                             ;   in Loop: Header=BB290_998 Depth=1
	v_bfrev_b32_e32 v149, 1
	s_mov_b32 s14, exec_lo
	v_cmpx_ne_u16_e32 0x80, v0
	s_cbranch_execz .LBB290_1838
; %bb.1833:                             ;   in Loop: Header=BB290_998 Depth=1
	v_and_b32_e32 v150, 0xffff, v0
	v_mov_b32_e32 v149, 0x7c010000
	s_mov_b32 s15, exec_lo
	s_delay_alu instid0(VALU_DEP_2) | instskip(NEXT) | instid1(VALU_DEP_1)
	v_and_b32_e32 v160, 0x7f, v150
	v_cmpx_ne_u32_e32 0x7f, v160
	s_cbranch_execz .LBB290_1837
; %bb.1834:                             ;   in Loop: Header=BB290_998 Depth=1
	v_and_b32_e32 v149, 7, v150
	v_lshrrev_b32_e32 v151, 3, v160
	s_mov_b32 s16, exec_lo
	v_cmpx_gt_u32_e32 8, v160
; %bb.1835:                             ;   in Loop: Header=BB290_998 Depth=1
	s_delay_alu instid0(VALU_DEP_3) | instskip(NEXT) | instid1(VALU_DEP_1)
	v_clz_i32_u32_e32 v149, v149
	v_min_u32_e32 v149, 32, v149
	s_delay_alu instid0(VALU_DEP_1) | instskip(NEXT) | instid1(VALU_DEP_1)
	v_subrev_nc_u32_e32 v151, 28, v149
	v_lshlrev_b64_e32 v[160:161], v151, v[0:1]
	v_sub_nc_u32_e32 v151, 29, v149
	s_delay_alu instid0(VALU_DEP_2)
	v_and_b32_e32 v149, 7, v160
; %bb.1836:                             ;   in Loop: Header=BB290_998 Depth=1
	s_wait_alu 0xfffe
	s_or_b32 exec_lo, exec_lo, s16
	v_lshlrev_b32_e32 v0, 8, v150
	v_lshl_add_u32 v150, v151, 10, 0x2000
	v_lshlrev_b32_e32 v149, 23, v149
	s_delay_alu instid0(VALU_DEP_2) | instskip(NEXT) | instid1(VALU_DEP_1)
	v_and_or_b32 v0, 0x8000, v0, v150
	v_lshl_or_b32 v149, v0, 16, v149
.LBB290_1837:                           ;   in Loop: Header=BB290_998 Depth=1
	s_wait_alu 0xfffe
	s_or_b32 exec_lo, exec_lo, s15
.LBB290_1838:                           ;   in Loop: Header=BB290_998 Depth=1
	s_wait_alu 0xfffe
	s_or_b32 exec_lo, exec_lo, s14
.LBB290_1839:                           ;   in Loop: Header=BB290_998 Depth=1
	s_wait_alu 0xfffe
	s_or_b32 exec_lo, exec_lo, s11
	v_lshrrev_b32_e32 v0, 16, v12
	s_mov_b32 s11, exec_lo
	s_delay_alu instid0(VALU_DEP_1) | instskip(NEXT) | instid1(VALU_DEP_1)
	v_and_b32_e32 v150, 0xff, v0
	v_cmpx_ne_u16_e64 0, v150
	s_cbranch_execz .LBB290_1847
; %bb.1840:                             ;   in Loop: Header=BB290_998 Depth=1
	v_mov_b32_e32 v147, 0x8000
	s_mov_b32 s14, exec_lo
	v_cmpx_ne_u16_e64 0x80, v150
	s_cbranch_execz .LBB290_1846
; %bb.1841:                             ;   in Loop: Header=BB290_998 Depth=1
	v_bfe_u32 v151, v12, 16, 7
	v_mov_b32_e32 v147, 0x7c01
	s_mov_b32 s15, exec_lo
	s_delay_alu instid0(VALU_DEP_2)
	v_cmpx_ne_u32_e32 0x7f, v151
	s_cbranch_execz .LBB290_1845
; %bb.1842:                             ;   in Loop: Header=BB290_998 Depth=1
	v_and_b32_e32 v147, 7, v0
	v_lshrrev_b32_e32 v150, 3, v151
	s_mov_b32 s16, exec_lo
	v_cmpx_gt_u32_e32 8, v151
; %bb.1843:                             ;   in Loop: Header=BB290_998 Depth=1
	s_delay_alu instid0(VALU_DEP_3) | instskip(NEXT) | instid1(VALU_DEP_1)
	v_clz_i32_u32_e32 v147, v147
	v_min_u32_e32 v147, 32, v147
	s_delay_alu instid0(VALU_DEP_1) | instskip(NEXT) | instid1(VALU_DEP_1)
	v_subrev_nc_u32_e32 v150, 28, v147
	v_lshlrev_b64_e32 v[160:161], v150, v[0:1]
	v_sub_nc_u32_e32 v150, 29, v147
	s_delay_alu instid0(VALU_DEP_2)
	v_and_b32_e32 v147, 7, v160
; %bb.1844:                             ;   in Loop: Header=BB290_998 Depth=1
	s_wait_alu 0xfffe
	s_or_b32 exec_lo, exec_lo, s16
	v_lshlrev_b32_e32 v0, 8, v0
	v_lshl_add_u32 v150, v150, 10, 0x2000
	v_lshlrev_b32_e32 v147, 7, v147
	s_delay_alu instid0(VALU_DEP_3) | instskip(NEXT) | instid1(VALU_DEP_3)
	v_and_b32_e32 v0, 0x8000, v0
	v_and_b32_e32 v150, 0xfc00, v150
	s_delay_alu instid0(VALU_DEP_1)
	v_or3_b32 v147, v0, v150, v147
.LBB290_1845:                           ;   in Loop: Header=BB290_998 Depth=1
	s_wait_alu 0xfffe
	s_or_b32 exec_lo, exec_lo, s15
.LBB290_1846:                           ;   in Loop: Header=BB290_998 Depth=1
	s_wait_alu 0xfffe
	s_or_b32 exec_lo, exec_lo, s14
.LBB290_1847:                           ;   in Loop: Header=BB290_998 Depth=1
	s_wait_alu 0xfffe
	s_or_b32 exec_lo, exec_lo, s11
	v_cmp_lt_u64_e64 s0, s[8:9], v[11:12]
	v_mov_b32_e32 v11, 0
	s_and_saveexec_b32 s11, s0
	s_cbranch_execz .LBB290_1855
; %bb.1848:                             ;   in Loop: Header=BB290_998 Depth=1
	v_lshrrev_b32_e32 v0, 24, v12
	v_bfrev_b32_e32 v11, 1
	s_mov_b32 s14, exec_lo
	s_delay_alu instid0(VALU_DEP_2)
	v_cmpx_ne_u32_e32 0x80, v0
	s_cbranch_execz .LBB290_1854
; %bb.1849:                             ;   in Loop: Header=BB290_998 Depth=1
	v_and_b32_e32 v150, 0x7f, v0
	v_mov_b32_e32 v11, 0x7c010000
	s_mov_b32 s15, exec_lo
	s_delay_alu instid0(VALU_DEP_2)
	v_cmpx_ne_u32_e32 0x7f, v150
	s_cbranch_execz .LBB290_1853
; %bb.1850:                             ;   in Loop: Header=BB290_998 Depth=1
	v_and_b32_e32 v11, 7, v0
	v_lshrrev_b32_e32 v12, 3, v150
	s_mov_b32 s16, exec_lo
	v_cmpx_gt_u32_e32 8, v150
; %bb.1851:                             ;   in Loop: Header=BB290_998 Depth=1
	s_delay_alu instid0(VALU_DEP_3) | instskip(NEXT) | instid1(VALU_DEP_1)
	v_clz_i32_u32_e32 v11, v11
	v_min_u32_e32 v150, 32, v11
	s_delay_alu instid0(VALU_DEP_1) | instskip(NEXT) | instid1(VALU_DEP_1)
	v_subrev_nc_u32_e32 v11, 28, v150
	v_lshlrev_b64_e32 v[11:12], v11, v[0:1]
	v_sub_nc_u32_e32 v12, 29, v150
	s_delay_alu instid0(VALU_DEP_2)
	v_and_b32_e32 v11, 7, v11
; %bb.1852:                             ;   in Loop: Header=BB290_998 Depth=1
	s_wait_alu 0xfffe
	s_or_b32 exec_lo, exec_lo, s16
	v_lshlrev_b32_e32 v0, 8, v0
	v_lshl_add_u32 v12, v12, 10, 0x2000
	v_lshlrev_b32_e32 v11, 23, v11
	s_delay_alu instid0(VALU_DEP_2) | instskip(NEXT) | instid1(VALU_DEP_1)
	v_and_or_b32 v0, 0x8000, v0, v12
	v_lshl_or_b32 v11, v0, 16, v11
.LBB290_1853:                           ;   in Loop: Header=BB290_998 Depth=1
	s_wait_alu 0xfffe
	s_or_b32 exec_lo, exec_lo, s15
.LBB290_1854:                           ;   in Loop: Header=BB290_998 Depth=1
	s_wait_alu 0xfffe
	s_or_b32 exec_lo, exec_lo, s14
.LBB290_1855:                           ;   in Loop: Header=BB290_998 Depth=1
	s_wait_alu 0xfffe
	s_or_b32 exec_lo, exec_lo, s11
	v_or_b32_e32 v0, v145, v146
	s_wait_loadcnt_dscnt 0x0
	v_fma_mixlo_f16 v12, v134, v145, 0 op_sel:[0,1,0] op_sel_hi:[0,1,0]
	v_or_b32_e32 v145, v135, v144
	v_fma_mixlo_f16 v135, v134, v135, 0 op_sel:[0,1,0] op_sel_hi:[0,1,0]
	v_or_b32_e32 v146, v149, v148
	v_or_b32_e32 v147, v11, v147
	v_fma_mixlo_f16 v148, v134, v0, 0 op_sel_hi:[0,1,0]
	v_fma_mixlo_f16 v11, v134, v11, 0 op_sel:[0,1,0] op_sel_hi:[0,1,0]
	v_lshlrev_b32_e32 v144, 16, v135
	v_fma_mixlo_f16 v135, v134, v145, 0 op_sel_hi:[0,1,0]
	v_fma_mixlo_f16 v145, v134, v149, 0 op_sel:[0,1,0] op_sel_hi:[0,1,0]
	v_fma_mixlo_f16 v146, v134, v146, 0 op_sel_hi:[0,1,0]
	v_fma_mixlo_f16 v147, v134, v147, 0 op_sel_hi:[0,1,0]
	v_lshlrev_b32_e32 v0, 16, v12
	v_and_b32_e32 v12, 0xffff, v148
	v_and_b32_e32 v150, 0xffff, v135
	v_lshlrev_b32_e32 v134, 16, v145
	v_and_b32_e32 v146, 0xffff, v146
	v_lshlrev_b32_e32 v11, 16, v11
	v_and_b32_e32 v135, 0xffff, v147
	v_or_b32_e32 v145, v0, v12
	v_or_b32_e32 v149, v144, v150
	;; [unrolled: 1-line block ×3, first 2 shown]
	s_delay_alu instid0(VALU_DEP_4)
	v_or_b32_e32 v147, v11, v135
	s_and_saveexec_b32 s11, vcc_lo
	s_cbranch_execz .LBB290_1857
; %bb.1856:                             ;   in Loop: Header=BB290_998 Depth=1
	v_cmp_lt_i32_e64 s0, v17, v34
	s_wait_alu 0xf1ff
	s_delay_alu instid0(VALU_DEP_1) | instskip(SKIP_2) | instid1(VALU_DEP_1)
	v_cndmask_b32_e64 v145, 0, v150, s0
	v_cmp_lt_i32_e64 s0, v87, v34
	s_wait_alu 0xf1ff
	v_cndmask_b32_e64 v144, 0, v144, s0
	v_cmp_lt_i32_e64 s0, v86, v34
	s_delay_alu instid0(VALU_DEP_2) | instskip(SKIP_1) | instid1(VALU_DEP_2)
	v_or_b32_e32 v149, v145, v144
	s_wait_alu 0xf1ff
	v_cndmask_b32_e64 v12, 0, v12, s0
	v_cmp_lt_i32_e64 s0, v85, v34
	s_wait_alu 0xf1ff
	s_delay_alu instid0(VALU_DEP_1) | instskip(SKIP_1) | instid1(VALU_DEP_2)
	v_cndmask_b32_e64 v0, 0, v0, s0
	v_cmp_lt_i32_e64 s0, v84, v34
	v_or_b32_e32 v145, v12, v0
	s_wait_alu 0xf1ff
	s_delay_alu instid0(VALU_DEP_2) | instskip(SKIP_2) | instid1(VALU_DEP_1)
	v_cndmask_b32_e64 v146, 0, v146, s0
	v_cmp_lt_i32_e64 s0, v83, v34
	s_wait_alu 0xf1ff
	v_cndmask_b32_e64 v134, 0, v134, s0
	v_cmp_lt_i32_e64 s0, v82, v34
	s_delay_alu instid0(VALU_DEP_2) | instskip(SKIP_1) | instid1(VALU_DEP_2)
	v_or_b32_e32 v148, v146, v134
	s_wait_alu 0xf1ff
	v_cndmask_b32_e64 v135, 0, v135, s0
	v_cmp_lt_i32_e64 s0, v81, v34
	s_wait_alu 0xf1ff
	s_delay_alu instid0(VALU_DEP_1) | instskip(NEXT) | instid1(VALU_DEP_1)
	v_cndmask_b32_e64 v11, 0, v11, s0
	v_or_b32_e32 v147, v135, v11
.LBB290_1857:                           ;   in Loop: Header=BB290_998 Depth=1
	s_wait_alu 0xfffe
	s_or_b32 exec_lo, exec_lo, s11
	;;#ASMSTART
	v_pk_mul_f16 v0, v80, v149;

	;;#ASMEND
	;;#ASMSTART
	v_pk_mul_f16 v11, v71, v145;

	;;#ASMEND
	;; [unrolled: 4-line block ×4, first 2 shown]
	;;#ASMSTART
	v_pk_add_f16 v0, v0, v11;

	;;#ASMEND
	;;#ASMSTART
	v_pk_add_f16 v0, v0, v12;

	;;#ASMEND
	;; [unrolled: 4-line block ×3, first 2 shown]
	v_dual_mov_b32 v146, 0 :: v_dual_and_b32 v11, 0xffff, v0
	v_lshrrev_b32_e32 v0, 16, v0
	;;#ASMSTART
	v_cvt_f32_f16 v134, v11;
	;;#ASMEND
	;;#ASMSTART
	v_cvt_f32_f16 v135, v0;
	;;#ASMEND
	flat_load_b64 v[11:12], v[9:10] offset:3328
	flat_load_b32 v144, v[26:27]
	s_mov_b32 s11, exec_lo
	s_wait_loadcnt_dscnt 0x101
	v_dual_mov_b32 v145, 0 :: v_dual_and_b32 v0, 0xff, v11
	s_delay_alu instid0(VALU_DEP_1)
	v_cmpx_ne_u16_e32 0, v0
	s_cbranch_execz .LBB290_1865
; %bb.1858:                             ;   in Loop: Header=BB290_998 Depth=1
	v_mov_b32_e32 v146, 0x8000
	s_mov_b32 s14, exec_lo
	v_cmpx_ne_u16_e32 0x80, v0
	s_cbranch_execz .LBB290_1864
; %bb.1859:                             ;   in Loop: Header=BB290_998 Depth=1
	v_and_b32_e32 v147, 0x7f, v11
	v_mov_b32_e32 v146, 0x7c01
	s_mov_b32 s15, exec_lo
	s_delay_alu instid0(VALU_DEP_2)
	v_cmpx_ne_u32_e32 0x7f, v147
	s_cbranch_execz .LBB290_1863
; %bb.1860:                             ;   in Loop: Header=BB290_998 Depth=1
	v_and_b32_e32 v0, 7, v11
	v_lshrrev_b32_e32 v146, 3, v147
	s_mov_b32 s16, exec_lo
	v_cmpx_gt_u32_e32 8, v147
; %bb.1861:                             ;   in Loop: Header=BB290_998 Depth=1
	s_delay_alu instid0(VALU_DEP_3) | instskip(NEXT) | instid1(VALU_DEP_1)
	v_clz_i32_u32_e32 v0, v0
	v_min_u32_e32 v0, 32, v0
	s_delay_alu instid0(VALU_DEP_1) | instskip(NEXT) | instid1(VALU_DEP_1)
	v_subrev_nc_u32_e32 v146, 28, v0
	v_lshlrev_b64_e32 v[147:148], v146, v[11:12]
	v_sub_nc_u32_e32 v146, 29, v0
	s_delay_alu instid0(VALU_DEP_2)
	v_and_b32_e32 v0, 7, v147
; %bb.1862:                             ;   in Loop: Header=BB290_998 Depth=1
	s_wait_alu 0xfffe
	s_or_b32 exec_lo, exec_lo, s16
	v_lshlrev_b32_e32 v147, 8, v11
	v_lshl_add_u32 v146, v146, 10, 0x2000
	v_lshlrev_b32_e32 v0, 7, v0
	s_delay_alu instid0(VALU_DEP_3) | instskip(NEXT) | instid1(VALU_DEP_3)
	v_and_b32_e32 v147, 0x8000, v147
	v_and_b32_e32 v146, 0xfc00, v146
	s_delay_alu instid0(VALU_DEP_1)
	v_or3_b32 v146, v147, v146, v0
.LBB290_1863:                           ;   in Loop: Header=BB290_998 Depth=1
	s_wait_alu 0xfffe
	s_or_b32 exec_lo, exec_lo, s15
.LBB290_1864:                           ;   in Loop: Header=BB290_998 Depth=1
	s_wait_alu 0xfffe
	s_or_b32 exec_lo, exec_lo, s14
.LBB290_1865:                           ;   in Loop: Header=BB290_998 Depth=1
	s_wait_alu 0xfffe
	s_or_b32 exec_lo, exec_lo, s11
	v_lshrrev_b16 v0, 8, v11
	s_mov_b32 s11, exec_lo
	s_delay_alu instid0(VALU_DEP_1)
	v_cmpx_ne_u16_e32 0, v0
	s_cbranch_execz .LBB290_1873
; %bb.1866:                             ;   in Loop: Header=BB290_998 Depth=1
	v_bfrev_b32_e32 v145, 1
	s_mov_b32 s14, exec_lo
	v_cmpx_ne_u16_e32 0x80, v0
	s_cbranch_execz .LBB290_1872
; %bb.1867:                             ;   in Loop: Header=BB290_998 Depth=1
	v_and_b32_e32 v147, 0xffff, v0
	v_mov_b32_e32 v145, 0x7c010000
	s_mov_b32 s15, exec_lo
	s_delay_alu instid0(VALU_DEP_2) | instskip(NEXT) | instid1(VALU_DEP_1)
	v_and_b32_e32 v149, 0x7f, v147
	v_cmpx_ne_u32_e32 0x7f, v149
	s_cbranch_execz .LBB290_1871
; %bb.1868:                             ;   in Loop: Header=BB290_998 Depth=1
	v_and_b32_e32 v145, 7, v147
	v_lshrrev_b32_e32 v148, 3, v149
	s_mov_b32 s16, exec_lo
	v_cmpx_gt_u32_e32 8, v149
; %bb.1869:                             ;   in Loop: Header=BB290_998 Depth=1
	s_delay_alu instid0(VALU_DEP_3) | instskip(NEXT) | instid1(VALU_DEP_1)
	v_clz_i32_u32_e32 v145, v145
	v_min_u32_e32 v145, 32, v145
	s_delay_alu instid0(VALU_DEP_1) | instskip(NEXT) | instid1(VALU_DEP_1)
	v_subrev_nc_u32_e32 v148, 28, v145
	v_lshlrev_b64_e32 v[149:150], v148, v[0:1]
	v_sub_nc_u32_e32 v148, 29, v145
	s_delay_alu instid0(VALU_DEP_2)
	v_and_b32_e32 v145, 7, v149
; %bb.1870:                             ;   in Loop: Header=BB290_998 Depth=1
	s_wait_alu 0xfffe
	s_or_b32 exec_lo, exec_lo, s16
	v_lshlrev_b32_e32 v0, 8, v147
	v_lshl_add_u32 v147, v148, 10, 0x2000
	v_lshlrev_b32_e32 v145, 23, v145
	s_delay_alu instid0(VALU_DEP_2) | instskip(NEXT) | instid1(VALU_DEP_1)
	v_and_or_b32 v0, 0x8000, v0, v147
	v_lshl_or_b32 v145, v0, 16, v145
.LBB290_1871:                           ;   in Loop: Header=BB290_998 Depth=1
	s_wait_alu 0xfffe
	s_or_b32 exec_lo, exec_lo, s15
.LBB290_1872:                           ;   in Loop: Header=BB290_998 Depth=1
	s_wait_alu 0xfffe
	s_or_b32 exec_lo, exec_lo, s14
.LBB290_1873:                           ;   in Loop: Header=BB290_998 Depth=1
	s_wait_alu 0xfffe
	s_or_b32 exec_lo, exec_lo, s11
	v_lshrrev_b32_e32 v0, 16, v11
	v_mov_b32_e32 v147, 0
	s_mov_b32 s11, exec_lo
	s_delay_alu instid0(VALU_DEP_2) | instskip(NEXT) | instid1(VALU_DEP_1)
	v_dual_mov_b32 v148, 0 :: v_dual_and_b32 v149, 0xff, v0
	v_cmpx_ne_u16_e64 0, v149
	s_cbranch_execz .LBB290_1881
; %bb.1874:                             ;   in Loop: Header=BB290_998 Depth=1
	v_mov_b32_e32 v148, 0x8000
	s_mov_b32 s14, exec_lo
	v_cmpx_ne_u16_e64 0x80, v149
	s_cbranch_execz .LBB290_1880
; %bb.1875:                             ;   in Loop: Header=BB290_998 Depth=1
	v_bfe_u32 v150, v11, 16, 7
	v_mov_b32_e32 v148, 0x7c01
	s_mov_b32 s15, exec_lo
	s_delay_alu instid0(VALU_DEP_2)
	v_cmpx_ne_u32_e32 0x7f, v150
	s_cbranch_execz .LBB290_1879
; %bb.1876:                             ;   in Loop: Header=BB290_998 Depth=1
	v_and_b32_e32 v148, 7, v0
	v_lshrrev_b32_e32 v149, 3, v150
	s_mov_b32 s16, exec_lo
	v_cmpx_gt_u32_e32 8, v150
; %bb.1877:                             ;   in Loop: Header=BB290_998 Depth=1
	s_delay_alu instid0(VALU_DEP_3) | instskip(NEXT) | instid1(VALU_DEP_1)
	v_clz_i32_u32_e32 v148, v148
	v_min_u32_e32 v150, 32, v148
	s_delay_alu instid0(VALU_DEP_1) | instskip(NEXT) | instid1(VALU_DEP_1)
	v_subrev_nc_u32_e32 v148, 28, v150
	v_lshlrev_b64_e32 v[148:149], v148, v[0:1]
	v_sub_nc_u32_e32 v149, 29, v150
	s_delay_alu instid0(VALU_DEP_2)
	v_and_b32_e32 v148, 7, v148
; %bb.1878:                             ;   in Loop: Header=BB290_998 Depth=1
	s_wait_alu 0xfffe
	s_or_b32 exec_lo, exec_lo, s16
	v_lshlrev_b32_e32 v0, 8, v0
	v_lshl_add_u32 v149, v149, 10, 0x2000
	v_lshlrev_b32_e32 v148, 7, v148
	s_delay_alu instid0(VALU_DEP_3) | instskip(NEXT) | instid1(VALU_DEP_3)
	v_and_b32_e32 v0, 0x8000, v0
	v_and_b32_e32 v149, 0xfc00, v149
	s_delay_alu instid0(VALU_DEP_1)
	v_or3_b32 v148, v0, v149, v148
.LBB290_1879:                           ;   in Loop: Header=BB290_998 Depth=1
	s_wait_alu 0xfffe
	s_or_b32 exec_lo, exec_lo, s15
.LBB290_1880:                           ;   in Loop: Header=BB290_998 Depth=1
	s_wait_alu 0xfffe
	s_or_b32 exec_lo, exec_lo, s14
.LBB290_1881:                           ;   in Loop: Header=BB290_998 Depth=1
	s_wait_alu 0xfffe
	s_or_b32 exec_lo, exec_lo, s11
	s_delay_alu instid0(SALU_CYCLE_1)
	s_mov_b32 s11, exec_lo
	v_cmpx_lt_u32_e32 0xffffff, v11
	s_cbranch_execz .LBB290_1889
; %bb.1882:                             ;   in Loop: Header=BB290_998 Depth=1
	v_lshrrev_b32_e32 v0, 24, v11
	v_bfrev_b32_e32 v147, 1
	s_mov_b32 s14, exec_lo
	s_delay_alu instid0(VALU_DEP_2)
	v_cmpx_ne_u32_e32 0x80, v0
	s_cbranch_execz .LBB290_1888
; %bb.1883:                             ;   in Loop: Header=BB290_998 Depth=1
	v_and_b32_e32 v150, 0x7f, v0
	v_mov_b32_e32 v147, 0x7c010000
	s_mov_b32 s15, exec_lo
	s_delay_alu instid0(VALU_DEP_2)
	v_cmpx_ne_u32_e32 0x7f, v150
	s_cbranch_execz .LBB290_1887
; %bb.1884:                             ;   in Loop: Header=BB290_998 Depth=1
	v_and_b32_e32 v147, 7, v0
	v_lshrrev_b32_e32 v149, 3, v150
	s_mov_b32 s16, exec_lo
	v_cmpx_gt_u32_e32 8, v150
; %bb.1885:                             ;   in Loop: Header=BB290_998 Depth=1
	s_delay_alu instid0(VALU_DEP_3) | instskip(NEXT) | instid1(VALU_DEP_1)
	v_clz_i32_u32_e32 v147, v147
	v_min_u32_e32 v147, 32, v147
	s_delay_alu instid0(VALU_DEP_1) | instskip(NEXT) | instid1(VALU_DEP_1)
	v_subrev_nc_u32_e32 v149, 28, v147
	v_lshlrev_b64_e32 v[150:151], v149, v[0:1]
	v_sub_nc_u32_e32 v149, 29, v147
	s_delay_alu instid0(VALU_DEP_2)
	v_and_b32_e32 v147, 7, v150
; %bb.1886:                             ;   in Loop: Header=BB290_998 Depth=1
	s_wait_alu 0xfffe
	s_or_b32 exec_lo, exec_lo, s16
	v_lshlrev_b32_e32 v0, 8, v0
	v_lshl_add_u32 v149, v149, 10, 0x2000
	v_lshlrev_b32_e32 v147, 23, v147
	s_delay_alu instid0(VALU_DEP_2) | instskip(NEXT) | instid1(VALU_DEP_1)
	v_and_or_b32 v0, 0x8000, v0, v149
	v_lshl_or_b32 v147, v0, 16, v147
.LBB290_1887:                           ;   in Loop: Header=BB290_998 Depth=1
	s_wait_alu 0xfffe
	s_or_b32 exec_lo, exec_lo, s15
.LBB290_1888:                           ;   in Loop: Header=BB290_998 Depth=1
	s_wait_alu 0xfffe
	s_or_b32 exec_lo, exec_lo, s14
.LBB290_1889:                           ;   in Loop: Header=BB290_998 Depth=1
	s_wait_alu 0xfffe
	s_or_b32 exec_lo, exec_lo, s11
	v_dual_mov_b32 v0, v12 :: v_dual_and_b32 v151, 0xff, v12
	v_dual_mov_b32 v149, 0 :: v_dual_mov_b32 v150, 0
	s_mov_b32 s11, exec_lo
	s_delay_alu instid0(VALU_DEP_2)
	v_cmpx_ne_u16_e64 0, v151
	s_cbranch_execz .LBB290_1897
; %bb.1890:                             ;   in Loop: Header=BB290_998 Depth=1
	v_mov_b32_e32 v150, 0x8000
	s_mov_b32 s14, exec_lo
	v_cmpx_ne_u16_e64 0x80, v151
	s_cbranch_execz .LBB290_1896
; %bb.1891:                             ;   in Loop: Header=BB290_998 Depth=1
	v_and_b32_e32 v160, 0x7f, v12
	v_mov_b32_e32 v150, 0x7c01
	s_mov_b32 s15, exec_lo
	s_delay_alu instid0(VALU_DEP_2)
	v_cmpx_ne_u32_e32 0x7f, v160
	s_cbranch_execz .LBB290_1895
; %bb.1892:                             ;   in Loop: Header=BB290_998 Depth=1
	v_and_b32_e32 v150, 7, v12
	v_lshrrev_b32_e32 v151, 3, v160
	s_mov_b32 s16, exec_lo
	v_cmpx_gt_u32_e32 8, v160
; %bb.1893:                             ;   in Loop: Header=BB290_998 Depth=1
	s_delay_alu instid0(VALU_DEP_3) | instskip(NEXT) | instid1(VALU_DEP_1)
	v_clz_i32_u32_e32 v150, v150
	v_min_u32_e32 v160, 32, v150
	s_delay_alu instid0(VALU_DEP_1) | instskip(NEXT) | instid1(VALU_DEP_1)
	v_subrev_nc_u32_e32 v150, 28, v160
	v_lshlrev_b64_e32 v[150:151], v150, v[0:1]
	v_sub_nc_u32_e32 v151, 29, v160
	s_delay_alu instid0(VALU_DEP_2)
	v_and_b32_e32 v150, 7, v150
; %bb.1894:                             ;   in Loop: Header=BB290_998 Depth=1
	s_wait_alu 0xfffe
	s_or_b32 exec_lo, exec_lo, s16
	v_lshlrev_b32_e32 v160, 8, v12
	v_lshl_add_u32 v151, v151, 10, 0x2000
	v_lshlrev_b32_e32 v150, 7, v150
	s_delay_alu instid0(VALU_DEP_3) | instskip(NEXT) | instid1(VALU_DEP_3)
	v_and_b32_e32 v160, 0x8000, v160
	v_and_b32_e32 v151, 0xfc00, v151
	s_delay_alu instid0(VALU_DEP_1)
	v_or3_b32 v150, v160, v151, v150
.LBB290_1895:                           ;   in Loop: Header=BB290_998 Depth=1
	s_wait_alu 0xfffe
	s_or_b32 exec_lo, exec_lo, s15
.LBB290_1896:                           ;   in Loop: Header=BB290_998 Depth=1
	s_wait_alu 0xfffe
	s_or_b32 exec_lo, exec_lo, s14
.LBB290_1897:                           ;   in Loop: Header=BB290_998 Depth=1
	s_wait_alu 0xfffe
	s_or_b32 exec_lo, exec_lo, s11
	v_lshrrev_b16 v0, 8, v0
	v_mov_b32_e32 v151, 0
	s_mov_b32 s11, exec_lo
	s_delay_alu instid0(VALU_DEP_2)
	v_cmpx_ne_u16_e32 0, v0
	s_cbranch_execz .LBB290_1905
; %bb.1898:                             ;   in Loop: Header=BB290_998 Depth=1
	v_bfrev_b32_e32 v151, 1
	s_mov_b32 s14, exec_lo
	v_cmpx_ne_u16_e32 0x80, v0
	s_cbranch_execz .LBB290_1904
; %bb.1899:                             ;   in Loop: Header=BB290_998 Depth=1
	v_and_b32_e32 v160, 0xffff, v0
	v_mov_b32_e32 v151, 0x7c010000
	s_mov_b32 s15, exec_lo
	s_delay_alu instid0(VALU_DEP_2) | instskip(NEXT) | instid1(VALU_DEP_1)
	v_and_b32_e32 v162, 0x7f, v160
	v_cmpx_ne_u32_e32 0x7f, v162
	s_cbranch_execz .LBB290_1903
; %bb.1900:                             ;   in Loop: Header=BB290_998 Depth=1
	v_and_b32_e32 v151, 7, v160
	v_lshrrev_b32_e32 v161, 3, v162
	s_mov_b32 s16, exec_lo
	v_cmpx_gt_u32_e32 8, v162
; %bb.1901:                             ;   in Loop: Header=BB290_998 Depth=1
	s_delay_alu instid0(VALU_DEP_3) | instskip(NEXT) | instid1(VALU_DEP_1)
	v_clz_i32_u32_e32 v151, v151
	v_min_u32_e32 v151, 32, v151
	s_delay_alu instid0(VALU_DEP_1) | instskip(NEXT) | instid1(VALU_DEP_1)
	v_subrev_nc_u32_e32 v161, 28, v151
	v_lshlrev_b64_e32 v[162:163], v161, v[0:1]
	v_sub_nc_u32_e32 v161, 29, v151
	s_delay_alu instid0(VALU_DEP_2)
	v_and_b32_e32 v151, 7, v162
; %bb.1902:                             ;   in Loop: Header=BB290_998 Depth=1
	s_wait_alu 0xfffe
	s_or_b32 exec_lo, exec_lo, s16
	v_lshlrev_b32_e32 v0, 8, v160
	v_lshl_add_u32 v160, v161, 10, 0x2000
	v_lshlrev_b32_e32 v151, 23, v151
	s_delay_alu instid0(VALU_DEP_2) | instskip(NEXT) | instid1(VALU_DEP_1)
	v_and_or_b32 v0, 0x8000, v0, v160
	v_lshl_or_b32 v151, v0, 16, v151
.LBB290_1903:                           ;   in Loop: Header=BB290_998 Depth=1
	s_wait_alu 0xfffe
	s_or_b32 exec_lo, exec_lo, s15
.LBB290_1904:                           ;   in Loop: Header=BB290_998 Depth=1
	s_wait_alu 0xfffe
	s_or_b32 exec_lo, exec_lo, s14
.LBB290_1905:                           ;   in Loop: Header=BB290_998 Depth=1
	s_wait_alu 0xfffe
	s_or_b32 exec_lo, exec_lo, s11
	v_lshrrev_b32_e32 v0, 16, v12
	s_mov_b32 s11, exec_lo
	s_delay_alu instid0(VALU_DEP_1) | instskip(NEXT) | instid1(VALU_DEP_1)
	v_and_b32_e32 v160, 0xff, v0
	v_cmpx_ne_u16_e64 0, v160
	s_cbranch_execz .LBB290_1913
; %bb.1906:                             ;   in Loop: Header=BB290_998 Depth=1
	v_mov_b32_e32 v149, 0x8000
	s_mov_b32 s14, exec_lo
	v_cmpx_ne_u16_e64 0x80, v160
	s_cbranch_execz .LBB290_1912
; %bb.1907:                             ;   in Loop: Header=BB290_998 Depth=1
	v_bfe_u32 v161, v12, 16, 7
	v_mov_b32_e32 v149, 0x7c01
	s_mov_b32 s15, exec_lo
	s_delay_alu instid0(VALU_DEP_2)
	v_cmpx_ne_u32_e32 0x7f, v161
	s_cbranch_execz .LBB290_1911
; %bb.1908:                             ;   in Loop: Header=BB290_998 Depth=1
	v_and_b32_e32 v149, 7, v0
	v_lshrrev_b32_e32 v160, 3, v161
	s_mov_b32 s16, exec_lo
	v_cmpx_gt_u32_e32 8, v161
; %bb.1909:                             ;   in Loop: Header=BB290_998 Depth=1
	s_delay_alu instid0(VALU_DEP_3) | instskip(NEXT) | instid1(VALU_DEP_1)
	v_clz_i32_u32_e32 v149, v149
	v_min_u32_e32 v149, 32, v149
	s_delay_alu instid0(VALU_DEP_1) | instskip(NEXT) | instid1(VALU_DEP_1)
	v_subrev_nc_u32_e32 v160, 28, v149
	v_lshlrev_b64_e32 v[161:162], v160, v[0:1]
	v_sub_nc_u32_e32 v160, 29, v149
	s_delay_alu instid0(VALU_DEP_2)
	v_and_b32_e32 v149, 7, v161
; %bb.1910:                             ;   in Loop: Header=BB290_998 Depth=1
	s_wait_alu 0xfffe
	s_or_b32 exec_lo, exec_lo, s16
	v_lshlrev_b32_e32 v0, 8, v0
	v_lshl_add_u32 v160, v160, 10, 0x2000
	v_lshlrev_b32_e32 v149, 7, v149
	s_delay_alu instid0(VALU_DEP_3) | instskip(NEXT) | instid1(VALU_DEP_3)
	v_and_b32_e32 v0, 0x8000, v0
	v_and_b32_e32 v160, 0xfc00, v160
	s_delay_alu instid0(VALU_DEP_1)
	v_or3_b32 v149, v0, v160, v149
.LBB290_1911:                           ;   in Loop: Header=BB290_998 Depth=1
	s_wait_alu 0xfffe
	s_or_b32 exec_lo, exec_lo, s15
.LBB290_1912:                           ;   in Loop: Header=BB290_998 Depth=1
	s_wait_alu 0xfffe
	s_or_b32 exec_lo, exec_lo, s14
.LBB290_1913:                           ;   in Loop: Header=BB290_998 Depth=1
	s_wait_alu 0xfffe
	s_or_b32 exec_lo, exec_lo, s11
	v_cmp_lt_u64_e64 s0, s[8:9], v[11:12]
	v_mov_b32_e32 v11, 0
	s_and_saveexec_b32 s11, s0
	s_cbranch_execz .LBB290_1921
; %bb.1914:                             ;   in Loop: Header=BB290_998 Depth=1
	v_lshrrev_b32_e32 v0, 24, v12
	v_bfrev_b32_e32 v11, 1
	s_mov_b32 s14, exec_lo
	s_delay_alu instid0(VALU_DEP_2)
	v_cmpx_ne_u32_e32 0x80, v0
	s_cbranch_execz .LBB290_1920
; %bb.1915:                             ;   in Loop: Header=BB290_998 Depth=1
	v_and_b32_e32 v160, 0x7f, v0
	v_mov_b32_e32 v11, 0x7c010000
	s_mov_b32 s15, exec_lo
	s_delay_alu instid0(VALU_DEP_2)
	v_cmpx_ne_u32_e32 0x7f, v160
	s_cbranch_execz .LBB290_1919
; %bb.1916:                             ;   in Loop: Header=BB290_998 Depth=1
	v_and_b32_e32 v11, 7, v0
	v_lshrrev_b32_e32 v12, 3, v160
	s_mov_b32 s16, exec_lo
	v_cmpx_gt_u32_e32 8, v160
; %bb.1917:                             ;   in Loop: Header=BB290_998 Depth=1
	s_delay_alu instid0(VALU_DEP_3) | instskip(NEXT) | instid1(VALU_DEP_1)
	v_clz_i32_u32_e32 v11, v11
	v_min_u32_e32 v160, 32, v11
	s_delay_alu instid0(VALU_DEP_1) | instskip(NEXT) | instid1(VALU_DEP_1)
	v_subrev_nc_u32_e32 v11, 28, v160
	v_lshlrev_b64_e32 v[11:12], v11, v[0:1]
	v_sub_nc_u32_e32 v12, 29, v160
	s_delay_alu instid0(VALU_DEP_2)
	v_and_b32_e32 v11, 7, v11
; %bb.1918:                             ;   in Loop: Header=BB290_998 Depth=1
	s_wait_alu 0xfffe
	s_or_b32 exec_lo, exec_lo, s16
	v_lshlrev_b32_e32 v0, 8, v0
	v_lshl_add_u32 v12, v12, 10, 0x2000
	v_lshlrev_b32_e32 v11, 23, v11
	s_delay_alu instid0(VALU_DEP_2) | instskip(NEXT) | instid1(VALU_DEP_1)
	v_and_or_b32 v0, 0x8000, v0, v12
	v_lshl_or_b32 v11, v0, 16, v11
.LBB290_1919:                           ;   in Loop: Header=BB290_998 Depth=1
	s_wait_alu 0xfffe
	s_or_b32 exec_lo, exec_lo, s15
.LBB290_1920:                           ;   in Loop: Header=BB290_998 Depth=1
	s_wait_alu 0xfffe
	s_or_b32 exec_lo, exec_lo, s14
.LBB290_1921:                           ;   in Loop: Header=BB290_998 Depth=1
	s_wait_alu 0xfffe
	s_or_b32 exec_lo, exec_lo, s11
	v_or_b32_e32 v0, v147, v148
	s_wait_loadcnt_dscnt 0x0
	v_fma_mixlo_f16 v12, v144, v147, 0 op_sel:[0,1,0] op_sel_hi:[0,1,0]
	v_or_b32_e32 v147, v145, v146
	v_fma_mixlo_f16 v145, v144, v145, 0 op_sel:[0,1,0] op_sel_hi:[0,1,0]
	v_or_b32_e32 v148, v151, v150
	v_or_b32_e32 v149, v11, v149
	v_fma_mixlo_f16 v150, v144, v0, 0 op_sel_hi:[0,1,0]
	v_fma_mixlo_f16 v11, v144, v11, 0 op_sel:[0,1,0] op_sel_hi:[0,1,0]
	v_lshlrev_b32_e32 v146, 16, v145
	v_fma_mixlo_f16 v145, v144, v147, 0 op_sel_hi:[0,1,0]
	v_fma_mixlo_f16 v147, v144, v151, 0 op_sel:[0,1,0] op_sel_hi:[0,1,0]
	v_fma_mixlo_f16 v148, v144, v148, 0 op_sel_hi:[0,1,0]
	v_fma_mixlo_f16 v149, v144, v149, 0 op_sel_hi:[0,1,0]
	v_lshlrev_b32_e32 v0, 16, v12
	v_and_b32_e32 v12, 0xffff, v150
	v_and_b32_e32 v160, 0xffff, v145
	v_lshlrev_b32_e32 v144, 16, v147
	v_and_b32_e32 v148, 0xffff, v148
	v_lshlrev_b32_e32 v11, 16, v11
	v_and_b32_e32 v145, 0xffff, v149
	v_or_b32_e32 v147, v0, v12
	v_or_b32_e32 v151, v146, v160
	;; [unrolled: 1-line block ×3, first 2 shown]
	s_delay_alu instid0(VALU_DEP_4)
	v_or_b32_e32 v149, v11, v145
	s_and_saveexec_b32 s11, vcc_lo
	s_cbranch_execz .LBB290_1923
; %bb.1922:                             ;   in Loop: Header=BB290_998 Depth=1
	v_cmp_lt_i32_e64 s0, v17, v34
	s_wait_alu 0xf1ff
	s_delay_alu instid0(VALU_DEP_1) | instskip(SKIP_2) | instid1(VALU_DEP_1)
	v_cndmask_b32_e64 v147, 0, v160, s0
	v_cmp_lt_i32_e64 s0, v87, v34
	s_wait_alu 0xf1ff
	v_cndmask_b32_e64 v146, 0, v146, s0
	v_cmp_lt_i32_e64 s0, v86, v34
	s_delay_alu instid0(VALU_DEP_2) | instskip(SKIP_1) | instid1(VALU_DEP_2)
	v_or_b32_e32 v151, v147, v146
	s_wait_alu 0xf1ff
	v_cndmask_b32_e64 v12, 0, v12, s0
	v_cmp_lt_i32_e64 s0, v85, v34
	s_wait_alu 0xf1ff
	s_delay_alu instid0(VALU_DEP_1) | instskip(SKIP_1) | instid1(VALU_DEP_2)
	v_cndmask_b32_e64 v0, 0, v0, s0
	v_cmp_lt_i32_e64 s0, v84, v34
	v_or_b32_e32 v147, v12, v0
	s_wait_alu 0xf1ff
	s_delay_alu instid0(VALU_DEP_2) | instskip(SKIP_2) | instid1(VALU_DEP_1)
	v_cndmask_b32_e64 v148, 0, v148, s0
	v_cmp_lt_i32_e64 s0, v83, v34
	s_wait_alu 0xf1ff
	v_cndmask_b32_e64 v144, 0, v144, s0
	v_cmp_lt_i32_e64 s0, v82, v34
	s_delay_alu instid0(VALU_DEP_2) | instskip(SKIP_1) | instid1(VALU_DEP_2)
	v_or_b32_e32 v150, v148, v144
	s_wait_alu 0xf1ff
	v_cndmask_b32_e64 v145, 0, v145, s0
	v_cmp_lt_i32_e64 s0, v81, v34
	s_wait_alu 0xf1ff
	s_delay_alu instid0(VALU_DEP_1) | instskip(NEXT) | instid1(VALU_DEP_1)
	v_cndmask_b32_e64 v11, 0, v11, s0
	v_or_b32_e32 v149, v145, v11
.LBB290_1923:                           ;   in Loop: Header=BB290_998 Depth=1
	s_wait_alu 0xfffe
	s_or_b32 exec_lo, exec_lo, s11
	;;#ASMSTART
	v_pk_mul_f16 v0, v80, v151;

	;;#ASMEND
	;;#ASMSTART
	v_pk_mul_f16 v11, v71, v147;

	;;#ASMEND
	;; [unrolled: 4-line block ×4, first 2 shown]
	;;#ASMSTART
	v_pk_add_f16 v0, v0, v11;

	;;#ASMEND
	;;#ASMSTART
	v_pk_add_f16 v0, v0, v12;

	;;#ASMEND
	;; [unrolled: 4-line block ×3, first 2 shown]
	v_dual_mov_b32 v146, 0 :: v_dual_and_b32 v11, 0xffff, v0
	v_lshrrev_b32_e32 v0, 16, v0
	;;#ASMSTART
	v_cvt_f32_f16 v11, v11;
	;;#ASMEND
	;;#ASMSTART
	v_cvt_f32_f16 v12, v0;
	;;#ASMEND
	flat_load_b64 v[9:10], v[9:10] offset:3584
	flat_load_b32 v144, v[26:27]
	s_mov_b32 s11, exec_lo
	s_wait_loadcnt_dscnt 0x101
	v_dual_mov_b32 v145, 0 :: v_dual_and_b32 v0, 0xff, v9
	s_delay_alu instid0(VALU_DEP_1)
	v_cmpx_ne_u16_e32 0, v0
	s_cbranch_execz .LBB290_1931
; %bb.1924:                             ;   in Loop: Header=BB290_998 Depth=1
	v_mov_b32_e32 v146, 0x8000
	s_mov_b32 s14, exec_lo
	v_cmpx_ne_u16_e32 0x80, v0
	s_cbranch_execz .LBB290_1930
; %bb.1925:                             ;   in Loop: Header=BB290_998 Depth=1
	v_and_b32_e32 v147, 0x7f, v9
	v_mov_b32_e32 v146, 0x7c01
	s_mov_b32 s15, exec_lo
	s_delay_alu instid0(VALU_DEP_2)
	v_cmpx_ne_u32_e32 0x7f, v147
	s_cbranch_execz .LBB290_1929
; %bb.1926:                             ;   in Loop: Header=BB290_998 Depth=1
	v_and_b32_e32 v0, 7, v9
	v_lshrrev_b32_e32 v146, 3, v147
	s_mov_b32 s16, exec_lo
	v_cmpx_gt_u32_e32 8, v147
; %bb.1927:                             ;   in Loop: Header=BB290_998 Depth=1
	s_delay_alu instid0(VALU_DEP_3) | instskip(NEXT) | instid1(VALU_DEP_1)
	v_clz_i32_u32_e32 v0, v0
	v_min_u32_e32 v0, 32, v0
	s_delay_alu instid0(VALU_DEP_1) | instskip(NEXT) | instid1(VALU_DEP_1)
	v_subrev_nc_u32_e32 v146, 28, v0
	v_lshlrev_b64_e32 v[147:148], v146, v[9:10]
	v_sub_nc_u32_e32 v146, 29, v0
	s_delay_alu instid0(VALU_DEP_2)
	v_and_b32_e32 v0, 7, v147
; %bb.1928:                             ;   in Loop: Header=BB290_998 Depth=1
	s_wait_alu 0xfffe
	s_or_b32 exec_lo, exec_lo, s16
	v_lshlrev_b32_e32 v147, 8, v9
	v_lshl_add_u32 v146, v146, 10, 0x2000
	v_lshlrev_b32_e32 v0, 7, v0
	s_delay_alu instid0(VALU_DEP_3) | instskip(NEXT) | instid1(VALU_DEP_3)
	v_and_b32_e32 v147, 0x8000, v147
	v_and_b32_e32 v146, 0xfc00, v146
	s_delay_alu instid0(VALU_DEP_1)
	v_or3_b32 v146, v147, v146, v0
.LBB290_1929:                           ;   in Loop: Header=BB290_998 Depth=1
	s_wait_alu 0xfffe
	s_or_b32 exec_lo, exec_lo, s15
.LBB290_1930:                           ;   in Loop: Header=BB290_998 Depth=1
	s_wait_alu 0xfffe
	s_or_b32 exec_lo, exec_lo, s14
.LBB290_1931:                           ;   in Loop: Header=BB290_998 Depth=1
	s_wait_alu 0xfffe
	s_or_b32 exec_lo, exec_lo, s11
	v_lshrrev_b16 v0, 8, v9
	s_mov_b32 s11, exec_lo
	s_delay_alu instid0(VALU_DEP_1)
	v_cmpx_ne_u16_e32 0, v0
	s_cbranch_execz .LBB290_1939
; %bb.1932:                             ;   in Loop: Header=BB290_998 Depth=1
	v_bfrev_b32_e32 v145, 1
	s_mov_b32 s14, exec_lo
	v_cmpx_ne_u16_e32 0x80, v0
	s_cbranch_execz .LBB290_1938
; %bb.1933:                             ;   in Loop: Header=BB290_998 Depth=1
	v_and_b32_e32 v147, 0xffff, v0
	v_mov_b32_e32 v145, 0x7c010000
	s_mov_b32 s15, exec_lo
	s_delay_alu instid0(VALU_DEP_2) | instskip(NEXT) | instid1(VALU_DEP_1)
	v_and_b32_e32 v149, 0x7f, v147
	v_cmpx_ne_u32_e32 0x7f, v149
	s_cbranch_execz .LBB290_1937
; %bb.1934:                             ;   in Loop: Header=BB290_998 Depth=1
	v_and_b32_e32 v145, 7, v147
	v_lshrrev_b32_e32 v148, 3, v149
	s_mov_b32 s16, exec_lo
	v_cmpx_gt_u32_e32 8, v149
; %bb.1935:                             ;   in Loop: Header=BB290_998 Depth=1
	s_delay_alu instid0(VALU_DEP_3) | instskip(NEXT) | instid1(VALU_DEP_1)
	v_clz_i32_u32_e32 v145, v145
	v_min_u32_e32 v145, 32, v145
	s_delay_alu instid0(VALU_DEP_1) | instskip(NEXT) | instid1(VALU_DEP_1)
	v_subrev_nc_u32_e32 v148, 28, v145
	v_lshlrev_b64_e32 v[149:150], v148, v[0:1]
	v_sub_nc_u32_e32 v148, 29, v145
	s_delay_alu instid0(VALU_DEP_2)
	v_and_b32_e32 v145, 7, v149
; %bb.1936:                             ;   in Loop: Header=BB290_998 Depth=1
	s_wait_alu 0xfffe
	s_or_b32 exec_lo, exec_lo, s16
	v_lshlrev_b32_e32 v0, 8, v147
	v_lshl_add_u32 v147, v148, 10, 0x2000
	v_lshlrev_b32_e32 v145, 23, v145
	s_delay_alu instid0(VALU_DEP_2) | instskip(NEXT) | instid1(VALU_DEP_1)
	v_and_or_b32 v0, 0x8000, v0, v147
	v_lshl_or_b32 v145, v0, 16, v145
.LBB290_1937:                           ;   in Loop: Header=BB290_998 Depth=1
	s_wait_alu 0xfffe
	s_or_b32 exec_lo, exec_lo, s15
.LBB290_1938:                           ;   in Loop: Header=BB290_998 Depth=1
	s_wait_alu 0xfffe
	s_or_b32 exec_lo, exec_lo, s14
.LBB290_1939:                           ;   in Loop: Header=BB290_998 Depth=1
	s_wait_alu 0xfffe
	s_or_b32 exec_lo, exec_lo, s11
	v_lshrrev_b32_e32 v0, 16, v9
	v_mov_b32_e32 v147, 0
	s_mov_b32 s11, exec_lo
	s_delay_alu instid0(VALU_DEP_2) | instskip(NEXT) | instid1(VALU_DEP_1)
	v_dual_mov_b32 v148, 0 :: v_dual_and_b32 v149, 0xff, v0
	v_cmpx_ne_u16_e64 0, v149
	s_cbranch_execz .LBB290_1947
; %bb.1940:                             ;   in Loop: Header=BB290_998 Depth=1
	v_mov_b32_e32 v148, 0x8000
	s_mov_b32 s14, exec_lo
	v_cmpx_ne_u16_e64 0x80, v149
	s_cbranch_execz .LBB290_1946
; %bb.1941:                             ;   in Loop: Header=BB290_998 Depth=1
	v_bfe_u32 v150, v9, 16, 7
	v_mov_b32_e32 v148, 0x7c01
	s_mov_b32 s15, exec_lo
	s_delay_alu instid0(VALU_DEP_2)
	v_cmpx_ne_u32_e32 0x7f, v150
	s_cbranch_execz .LBB290_1945
; %bb.1942:                             ;   in Loop: Header=BB290_998 Depth=1
	v_and_b32_e32 v148, 7, v0
	v_lshrrev_b32_e32 v149, 3, v150
	s_mov_b32 s16, exec_lo
	v_cmpx_gt_u32_e32 8, v150
; %bb.1943:                             ;   in Loop: Header=BB290_998 Depth=1
	s_delay_alu instid0(VALU_DEP_3) | instskip(NEXT) | instid1(VALU_DEP_1)
	v_clz_i32_u32_e32 v148, v148
	v_min_u32_e32 v150, 32, v148
	s_delay_alu instid0(VALU_DEP_1) | instskip(NEXT) | instid1(VALU_DEP_1)
	v_subrev_nc_u32_e32 v148, 28, v150
	v_lshlrev_b64_e32 v[148:149], v148, v[0:1]
	v_sub_nc_u32_e32 v149, 29, v150
	s_delay_alu instid0(VALU_DEP_2)
	v_and_b32_e32 v148, 7, v148
; %bb.1944:                             ;   in Loop: Header=BB290_998 Depth=1
	s_wait_alu 0xfffe
	s_or_b32 exec_lo, exec_lo, s16
	v_lshlrev_b32_e32 v0, 8, v0
	v_lshl_add_u32 v149, v149, 10, 0x2000
	v_lshlrev_b32_e32 v148, 7, v148
	s_delay_alu instid0(VALU_DEP_3) | instskip(NEXT) | instid1(VALU_DEP_3)
	v_and_b32_e32 v0, 0x8000, v0
	v_and_b32_e32 v149, 0xfc00, v149
	s_delay_alu instid0(VALU_DEP_1)
	v_or3_b32 v148, v0, v149, v148
.LBB290_1945:                           ;   in Loop: Header=BB290_998 Depth=1
	s_wait_alu 0xfffe
	s_or_b32 exec_lo, exec_lo, s15
.LBB290_1946:                           ;   in Loop: Header=BB290_998 Depth=1
	s_wait_alu 0xfffe
	s_or_b32 exec_lo, exec_lo, s14
.LBB290_1947:                           ;   in Loop: Header=BB290_998 Depth=1
	s_wait_alu 0xfffe
	s_or_b32 exec_lo, exec_lo, s11
	s_delay_alu instid0(SALU_CYCLE_1)
	s_mov_b32 s11, exec_lo
	v_cmpx_lt_u32_e32 0xffffff, v9
	s_cbranch_execz .LBB290_1955
; %bb.1948:                             ;   in Loop: Header=BB290_998 Depth=1
	v_lshrrev_b32_e32 v0, 24, v9
	v_bfrev_b32_e32 v147, 1
	s_mov_b32 s14, exec_lo
	s_delay_alu instid0(VALU_DEP_2)
	v_cmpx_ne_u32_e32 0x80, v0
	s_cbranch_execz .LBB290_1954
; %bb.1949:                             ;   in Loop: Header=BB290_998 Depth=1
	v_and_b32_e32 v150, 0x7f, v0
	v_mov_b32_e32 v147, 0x7c010000
	s_mov_b32 s15, exec_lo
	s_delay_alu instid0(VALU_DEP_2)
	v_cmpx_ne_u32_e32 0x7f, v150
	s_cbranch_execz .LBB290_1953
; %bb.1950:                             ;   in Loop: Header=BB290_998 Depth=1
	v_and_b32_e32 v147, 7, v0
	v_lshrrev_b32_e32 v149, 3, v150
	s_mov_b32 s16, exec_lo
	v_cmpx_gt_u32_e32 8, v150
; %bb.1951:                             ;   in Loop: Header=BB290_998 Depth=1
	s_delay_alu instid0(VALU_DEP_3) | instskip(NEXT) | instid1(VALU_DEP_1)
	v_clz_i32_u32_e32 v147, v147
	v_min_u32_e32 v147, 32, v147
	s_delay_alu instid0(VALU_DEP_1) | instskip(NEXT) | instid1(VALU_DEP_1)
	v_subrev_nc_u32_e32 v149, 28, v147
	v_lshlrev_b64_e32 v[150:151], v149, v[0:1]
	v_sub_nc_u32_e32 v149, 29, v147
	s_delay_alu instid0(VALU_DEP_2)
	v_and_b32_e32 v147, 7, v150
; %bb.1952:                             ;   in Loop: Header=BB290_998 Depth=1
	s_wait_alu 0xfffe
	s_or_b32 exec_lo, exec_lo, s16
	v_lshlrev_b32_e32 v0, 8, v0
	v_lshl_add_u32 v149, v149, 10, 0x2000
	v_lshlrev_b32_e32 v147, 23, v147
	s_delay_alu instid0(VALU_DEP_2) | instskip(NEXT) | instid1(VALU_DEP_1)
	v_and_or_b32 v0, 0x8000, v0, v149
	v_lshl_or_b32 v147, v0, 16, v147
.LBB290_1953:                           ;   in Loop: Header=BB290_998 Depth=1
	s_wait_alu 0xfffe
	s_or_b32 exec_lo, exec_lo, s15
.LBB290_1954:                           ;   in Loop: Header=BB290_998 Depth=1
	s_wait_alu 0xfffe
	s_or_b32 exec_lo, exec_lo, s14
.LBB290_1955:                           ;   in Loop: Header=BB290_998 Depth=1
	s_wait_alu 0xfffe
	s_or_b32 exec_lo, exec_lo, s11
	v_dual_mov_b32 v0, v10 :: v_dual_and_b32 v151, 0xff, v10
	v_dual_mov_b32 v149, 0 :: v_dual_mov_b32 v150, 0
	s_mov_b32 s11, exec_lo
	s_delay_alu instid0(VALU_DEP_2)
	v_cmpx_ne_u16_e64 0, v151
	s_cbranch_execz .LBB290_1963
; %bb.1956:                             ;   in Loop: Header=BB290_998 Depth=1
	v_mov_b32_e32 v150, 0x8000
	s_mov_b32 s14, exec_lo
	v_cmpx_ne_u16_e64 0x80, v151
	s_cbranch_execz .LBB290_1962
; %bb.1957:                             ;   in Loop: Header=BB290_998 Depth=1
	v_and_b32_e32 v160, 0x7f, v10
	v_mov_b32_e32 v150, 0x7c01
	s_mov_b32 s15, exec_lo
	s_delay_alu instid0(VALU_DEP_2)
	v_cmpx_ne_u32_e32 0x7f, v160
	s_cbranch_execz .LBB290_1961
; %bb.1958:                             ;   in Loop: Header=BB290_998 Depth=1
	v_and_b32_e32 v150, 7, v10
	v_lshrrev_b32_e32 v151, 3, v160
	s_mov_b32 s16, exec_lo
	v_cmpx_gt_u32_e32 8, v160
; %bb.1959:                             ;   in Loop: Header=BB290_998 Depth=1
	s_delay_alu instid0(VALU_DEP_3) | instskip(NEXT) | instid1(VALU_DEP_1)
	v_clz_i32_u32_e32 v150, v150
	v_min_u32_e32 v160, 32, v150
	s_delay_alu instid0(VALU_DEP_1) | instskip(NEXT) | instid1(VALU_DEP_1)
	v_subrev_nc_u32_e32 v150, 28, v160
	v_lshlrev_b64_e32 v[150:151], v150, v[0:1]
	v_sub_nc_u32_e32 v151, 29, v160
	s_delay_alu instid0(VALU_DEP_2)
	v_and_b32_e32 v150, 7, v150
; %bb.1960:                             ;   in Loop: Header=BB290_998 Depth=1
	s_wait_alu 0xfffe
	s_or_b32 exec_lo, exec_lo, s16
	v_lshlrev_b32_e32 v160, 8, v10
	v_lshl_add_u32 v151, v151, 10, 0x2000
	v_lshlrev_b32_e32 v150, 7, v150
	s_delay_alu instid0(VALU_DEP_3) | instskip(NEXT) | instid1(VALU_DEP_3)
	v_and_b32_e32 v160, 0x8000, v160
	v_and_b32_e32 v151, 0xfc00, v151
	s_delay_alu instid0(VALU_DEP_1)
	v_or3_b32 v150, v160, v151, v150
.LBB290_1961:                           ;   in Loop: Header=BB290_998 Depth=1
	s_wait_alu 0xfffe
	s_or_b32 exec_lo, exec_lo, s15
.LBB290_1962:                           ;   in Loop: Header=BB290_998 Depth=1
	s_wait_alu 0xfffe
	s_or_b32 exec_lo, exec_lo, s14
.LBB290_1963:                           ;   in Loop: Header=BB290_998 Depth=1
	s_wait_alu 0xfffe
	s_or_b32 exec_lo, exec_lo, s11
	v_lshrrev_b16 v0, 8, v0
	v_mov_b32_e32 v151, 0
	s_mov_b32 s11, exec_lo
	s_delay_alu instid0(VALU_DEP_2)
	v_cmpx_ne_u16_e32 0, v0
	s_cbranch_execz .LBB290_1971
; %bb.1964:                             ;   in Loop: Header=BB290_998 Depth=1
	v_bfrev_b32_e32 v151, 1
	s_mov_b32 s14, exec_lo
	v_cmpx_ne_u16_e32 0x80, v0
	s_cbranch_execz .LBB290_1970
; %bb.1965:                             ;   in Loop: Header=BB290_998 Depth=1
	v_and_b32_e32 v160, 0xffff, v0
	v_mov_b32_e32 v151, 0x7c010000
	s_mov_b32 s15, exec_lo
	s_delay_alu instid0(VALU_DEP_2) | instskip(NEXT) | instid1(VALU_DEP_1)
	v_and_b32_e32 v162, 0x7f, v160
	v_cmpx_ne_u32_e32 0x7f, v162
	s_cbranch_execz .LBB290_1969
; %bb.1966:                             ;   in Loop: Header=BB290_998 Depth=1
	v_and_b32_e32 v151, 7, v160
	v_lshrrev_b32_e32 v161, 3, v162
	s_mov_b32 s16, exec_lo
	v_cmpx_gt_u32_e32 8, v162
; %bb.1967:                             ;   in Loop: Header=BB290_998 Depth=1
	s_delay_alu instid0(VALU_DEP_3) | instskip(NEXT) | instid1(VALU_DEP_1)
	v_clz_i32_u32_e32 v151, v151
	v_min_u32_e32 v151, 32, v151
	s_delay_alu instid0(VALU_DEP_1) | instskip(NEXT) | instid1(VALU_DEP_1)
	v_subrev_nc_u32_e32 v161, 28, v151
	v_lshlrev_b64_e32 v[162:163], v161, v[0:1]
	v_sub_nc_u32_e32 v161, 29, v151
	s_delay_alu instid0(VALU_DEP_2)
	v_and_b32_e32 v151, 7, v162
; %bb.1968:                             ;   in Loop: Header=BB290_998 Depth=1
	s_wait_alu 0xfffe
	s_or_b32 exec_lo, exec_lo, s16
	v_lshlrev_b32_e32 v0, 8, v160
	v_lshl_add_u32 v160, v161, 10, 0x2000
	v_lshlrev_b32_e32 v151, 23, v151
	s_delay_alu instid0(VALU_DEP_2) | instskip(NEXT) | instid1(VALU_DEP_1)
	v_and_or_b32 v0, 0x8000, v0, v160
	v_lshl_or_b32 v151, v0, 16, v151
.LBB290_1969:                           ;   in Loop: Header=BB290_998 Depth=1
	s_wait_alu 0xfffe
	s_or_b32 exec_lo, exec_lo, s15
.LBB290_1970:                           ;   in Loop: Header=BB290_998 Depth=1
	s_wait_alu 0xfffe
	s_or_b32 exec_lo, exec_lo, s14
.LBB290_1971:                           ;   in Loop: Header=BB290_998 Depth=1
	s_wait_alu 0xfffe
	s_or_b32 exec_lo, exec_lo, s11
	v_lshrrev_b32_e32 v0, 16, v10
	s_mov_b32 s11, exec_lo
	s_delay_alu instid0(VALU_DEP_1) | instskip(NEXT) | instid1(VALU_DEP_1)
	v_and_b32_e32 v160, 0xff, v0
	v_cmpx_ne_u16_e64 0, v160
	s_cbranch_execz .LBB290_1979
; %bb.1972:                             ;   in Loop: Header=BB290_998 Depth=1
	v_mov_b32_e32 v149, 0x8000
	s_mov_b32 s14, exec_lo
	v_cmpx_ne_u16_e64 0x80, v160
	s_cbranch_execz .LBB290_1978
; %bb.1973:                             ;   in Loop: Header=BB290_998 Depth=1
	v_bfe_u32 v161, v10, 16, 7
	v_mov_b32_e32 v149, 0x7c01
	s_mov_b32 s15, exec_lo
	s_delay_alu instid0(VALU_DEP_2)
	v_cmpx_ne_u32_e32 0x7f, v161
	s_cbranch_execz .LBB290_1977
; %bb.1974:                             ;   in Loop: Header=BB290_998 Depth=1
	v_and_b32_e32 v149, 7, v0
	v_lshrrev_b32_e32 v160, 3, v161
	s_mov_b32 s16, exec_lo
	v_cmpx_gt_u32_e32 8, v161
; %bb.1975:                             ;   in Loop: Header=BB290_998 Depth=1
	s_delay_alu instid0(VALU_DEP_3) | instskip(NEXT) | instid1(VALU_DEP_1)
	v_clz_i32_u32_e32 v149, v149
	v_min_u32_e32 v149, 32, v149
	s_delay_alu instid0(VALU_DEP_1) | instskip(NEXT) | instid1(VALU_DEP_1)
	v_subrev_nc_u32_e32 v160, 28, v149
	v_lshlrev_b64_e32 v[161:162], v160, v[0:1]
	v_sub_nc_u32_e32 v160, 29, v149
	s_delay_alu instid0(VALU_DEP_2)
	v_and_b32_e32 v149, 7, v161
; %bb.1976:                             ;   in Loop: Header=BB290_998 Depth=1
	s_wait_alu 0xfffe
	s_or_b32 exec_lo, exec_lo, s16
	v_lshlrev_b32_e32 v0, 8, v0
	v_lshl_add_u32 v160, v160, 10, 0x2000
	v_lshlrev_b32_e32 v149, 7, v149
	s_delay_alu instid0(VALU_DEP_3) | instskip(NEXT) | instid1(VALU_DEP_3)
	v_and_b32_e32 v0, 0x8000, v0
	v_and_b32_e32 v160, 0xfc00, v160
	s_delay_alu instid0(VALU_DEP_1)
	v_or3_b32 v149, v0, v160, v149
.LBB290_1977:                           ;   in Loop: Header=BB290_998 Depth=1
	s_wait_alu 0xfffe
	s_or_b32 exec_lo, exec_lo, s15
.LBB290_1978:                           ;   in Loop: Header=BB290_998 Depth=1
	s_wait_alu 0xfffe
	s_or_b32 exec_lo, exec_lo, s14
.LBB290_1979:                           ;   in Loop: Header=BB290_998 Depth=1
	s_wait_alu 0xfffe
	s_or_b32 exec_lo, exec_lo, s11
	v_cmp_lt_u64_e64 s0, s[8:9], v[9:10]
	v_mov_b32_e32 v9, 0
	s_and_saveexec_b32 s11, s0
	s_cbranch_execz .LBB290_1987
; %bb.1980:                             ;   in Loop: Header=BB290_998 Depth=1
	v_lshrrev_b32_e32 v0, 24, v10
	v_bfrev_b32_e32 v9, 1
	s_mov_b32 s14, exec_lo
	s_delay_alu instid0(VALU_DEP_2)
	v_cmpx_ne_u32_e32 0x80, v0
	s_cbranch_execz .LBB290_1986
; %bb.1981:                             ;   in Loop: Header=BB290_998 Depth=1
	v_and_b32_e32 v160, 0x7f, v0
	v_mov_b32_e32 v9, 0x7c010000
	s_mov_b32 s15, exec_lo
	s_delay_alu instid0(VALU_DEP_2)
	v_cmpx_ne_u32_e32 0x7f, v160
	s_cbranch_execz .LBB290_1985
; %bb.1982:                             ;   in Loop: Header=BB290_998 Depth=1
	v_and_b32_e32 v9, 7, v0
	v_lshrrev_b32_e32 v10, 3, v160
	s_mov_b32 s16, exec_lo
	v_cmpx_gt_u32_e32 8, v160
; %bb.1983:                             ;   in Loop: Header=BB290_998 Depth=1
	s_delay_alu instid0(VALU_DEP_3) | instskip(NEXT) | instid1(VALU_DEP_1)
	v_clz_i32_u32_e32 v9, v9
	v_min_u32_e32 v160, 32, v9
	s_delay_alu instid0(VALU_DEP_1) | instskip(NEXT) | instid1(VALU_DEP_1)
	v_subrev_nc_u32_e32 v9, 28, v160
	v_lshlrev_b64_e32 v[9:10], v9, v[0:1]
	v_sub_nc_u32_e32 v10, 29, v160
	s_delay_alu instid0(VALU_DEP_2)
	v_and_b32_e32 v9, 7, v9
; %bb.1984:                             ;   in Loop: Header=BB290_998 Depth=1
	s_wait_alu 0xfffe
	s_or_b32 exec_lo, exec_lo, s16
	v_lshlrev_b32_e32 v0, 8, v0
	v_lshl_add_u32 v10, v10, 10, 0x2000
	v_lshlrev_b32_e32 v9, 23, v9
	s_delay_alu instid0(VALU_DEP_2) | instskip(NEXT) | instid1(VALU_DEP_1)
	v_and_or_b32 v0, 0x8000, v0, v10
	v_lshl_or_b32 v9, v0, 16, v9
.LBB290_1985:                           ;   in Loop: Header=BB290_998 Depth=1
	s_wait_alu 0xfffe
	s_or_b32 exec_lo, exec_lo, s15
.LBB290_1986:                           ;   in Loop: Header=BB290_998 Depth=1
	s_wait_alu 0xfffe
	s_or_b32 exec_lo, exec_lo, s14
.LBB290_1987:                           ;   in Loop: Header=BB290_998 Depth=1
	s_wait_alu 0xfffe
	s_or_b32 exec_lo, exec_lo, s11
	v_or_b32_e32 v0, v147, v148
	s_wait_loadcnt_dscnt 0x0
	v_fma_mixlo_f16 v10, v144, v147, 0 op_sel:[0,1,0] op_sel_hi:[0,1,0]
	v_or_b32_e32 v146, v145, v146
	v_fma_mixlo_f16 v147, v144, v145, 0 op_sel:[0,1,0] op_sel_hi:[0,1,0]
	v_or_b32_e32 v148, v151, v150
	v_fma_mixlo_f16 v0, v144, v0, 0 op_sel_hi:[0,1,0]
	v_or_b32_e32 v149, v9, v149
	v_lshlrev_b32_e32 v145, 16, v10
	v_lshlrev_b32_e32 v150, 16, v147
	v_fma_mixlo_f16 v10, v144, v146, 0 op_sel_hi:[0,1,0]
	v_and_b32_e32 v147, 0xffff, v0
	v_fma_mixlo_f16 v0, v144, v151, 0 op_sel:[0,1,0] op_sel_hi:[0,1,0]
	v_fma_mixlo_f16 v146, v144, v148, 0 op_sel_hi:[0,1,0]
	v_fma_mixlo_f16 v9, v144, v9, 0 op_sel:[0,1,0] op_sel_hi:[0,1,0]
	v_fma_mixlo_f16 v144, v144, v149, 0 op_sel_hi:[0,1,0]
	v_and_b32_e32 v160, 0xffff, v10
	v_lshlrev_b32_e32 v148, 16, v0
	v_and_b32_e32 v151, 0xffff, v146
	v_lshlrev_b32_e32 v146, 16, v9
	v_and_b32_e32 v149, 0xffff, v144
	v_or_b32_e32 v10, v145, v147
	v_or_b32_e32 v144, v150, v160
	;; [unrolled: 1-line block ×3, first 2 shown]
	s_delay_alu instid0(VALU_DEP_4)
	v_or_b32_e32 v0, v146, v149
	s_and_saveexec_b32 s0, vcc_lo
	s_cbranch_execz .LBB290_996
; %bb.1988:                             ;   in Loop: Header=BB290_998 Depth=1
	v_cmp_lt_i32_e32 vcc_lo, v17, v34
	s_wait_alu 0xfffd
	v_cndmask_b32_e32 v0, 0, v160, vcc_lo
	v_cmp_lt_i32_e32 vcc_lo, v87, v34
	s_wait_alu 0xfffd
	v_cndmask_b32_e32 v9, 0, v150, vcc_lo
	v_cmp_lt_i32_e32 vcc_lo, v86, v34
	s_delay_alu instid0(VALU_DEP_2)
	v_or_b32_e32 v144, v0, v9
	s_wait_alu 0xfffd
	v_cndmask_b32_e32 v10, 0, v147, vcc_lo
	v_cmp_lt_i32_e32 vcc_lo, v85, v34
	s_wait_alu 0xfffd
	v_cndmask_b32_e32 v17, 0, v145, vcc_lo
	v_cmp_lt_i32_e32 vcc_lo, v84, v34
	s_delay_alu instid0(VALU_DEP_2)
	v_or_b32_e32 v10, v10, v17
	;; [unrolled: 8-line block ×3, first 2 shown]
	s_wait_alu 0xfffd
	v_cndmask_b32_e32 v82, 0, v149, vcc_lo
	v_cmp_lt_i32_e32 vcc_lo, v81, v34
	s_wait_alu 0xfffd
	v_cndmask_b32_e32 v81, 0, v146, vcc_lo
	s_delay_alu instid0(VALU_DEP_1)
	v_or_b32_e32 v0, v82, v81
	s_branch .LBB290_996
.LBB290_1989:
	s_or_b32 exec_lo, exec_lo, s5
.LBB290_1990:
	s_wait_alu 0xfffe
	s_or_b32 exec_lo, exec_lo, s3
	ds_bpermute_b32 v2, v18, v67
	ds_bpermute_b32 v3, v18, v66
	ds_bpermute_b32 v0, v18, v68
	ds_bpermute_b32 v12, v18, v28
	ds_bpermute_b32 v14, v18, v25
	ds_bpermute_b32 v1, v18, v69
	ds_bpermute_b32 v6, v18, v65
	ds_bpermute_b32 v7, v18, v64
	ds_bpermute_b32 v8, v18, v55
	ds_bpermute_b32 v9, v18, v32
	ds_bpermute_b32 v10, v18, v31
	ds_bpermute_b32 v11, v18, v29
	ds_bpermute_b32 v15, v18, v24
	ds_bpermute_b32 v16, v18, v21
	ds_bpermute_b32 v17, v18, v20
	s_wait_storecnt 0x0
	s_wait_loadcnt_dscnt 0x0
	s_barrier_signal -1
	s_barrier_wait -1
	global_inv scope:SCOPE_SE
	s_load_b32 s0, s[6:7], 0x0
	v_dual_add_f32 v2, v67, v2 :: v_dual_add_f32 v3, v66, v3
	v_add_f32_e32 v0, v68, v0
	v_dual_add_f32 v28, v28, v12 :: v_dual_add_f32 v25, v25, v14
	ds_bpermute_b32 v23, v13, v2
	v_add_f32_e32 v1, v69, v1
	v_dual_add_f32 v6, v65, v6 :: v_dual_add_f32 v7, v64, v7
	ds_bpermute_b32 v18, v13, v0
	ds_bpermute_b32 v26, v13, v3
	v_dual_add_f32 v8, v55, v8 :: v_dual_add_f32 v9, v32, v9
	v_dual_add_f32 v30, v31, v10 :: v_dual_add_f32 v29, v29, v11
	;; [unrolled: 1-line block ×3, first 2 shown]
	v_add_f32_e32 v17, v20, v17
	ds_bpermute_b32 v38, v13, v25
	ds_bpermute_b32 v22, v13, v1
	;; [unrolled: 1-line block ×11, first 2 shown]
	s_wait_dscnt 0xd
	v_add_f32_e32 v14, v2, v23
	ds_bpermute_b32 v49, v13, v17
	s_wait_dscnt 0xd
	v_add_f32_e32 v16, v0, v18
	s_wait_dscnt 0xc
	v_dual_add_f32 v13, v3, v26 :: v_dual_and_b32 v18, 28, v36
	s_mov_b32 s3, exec_lo
	s_wait_dscnt 0xb
	v_add_f32_e32 v3, v25, v38
	s_wait_dscnt 0x9
	v_dual_add_f32 v15, v1, v22 :: v_dual_add_f32 v12, v6, v27
	s_wait_dscnt 0x7
	v_dual_add_f32 v11, v7, v10 :: v_dual_add_f32 v10, v8, v31
	;; [unrolled: 2-line block ×5, first 2 shown]
	v_and_b32_e32 v21, 0x3c3, v33
	s_wait_dscnt 0x0
	v_add_f32_e32 v2, v17, v49
	v_lshrrev_b32_e32 v17, 2, v36
	s_wait_kmcnt 0x0
	v_add_nc_u32_e32 v18, s0, v18
	v_mul_u32_u24_e32 v20, 0x1e0, v35
	v_cmpx_eq_u32_e32 64, v21
	s_cbranch_execz .LBB290_1992
; %bb.1991:
	s_delay_alu instid0(VALU_DEP_2) | instskip(NEXT) | instid1(VALU_DEP_1)
	v_add_nc_u32_e32 v21, v18, v20
	v_add_nc_u32_e32 v22, 0xfffffc40, v21
	;; [unrolled: 1-line block ×9, first 2 shown]
	ds_store_b32 v22, v16
	ds_store_b32 v23, v15
	;; [unrolled: 1-line block ×8, first 2 shown]
	v_add_nc_u32_e32 v22, 0xfffffd40, v21
	v_add_nc_u32_e32 v23, 0xfffffd60, v21
	;; [unrolled: 1-line block ×7, first 2 shown]
	ds_store_b32 v22, v8
	ds_store_b32 v23, v7
	;; [unrolled: 1-line block ×7, first 2 shown]
.LBB290_1992:
	s_wait_alu 0xfffe
	s_or_b32 exec_lo, exec_lo, s3
	v_lshlrev_b32_e32 v17, 2, v17
	s_mov_b32 s3, exec_lo
	v_cmp_eq_u32_e32 vcc_lo, 0, v19
	s_wait_loadcnt_dscnt 0x0
	s_barrier_signal -1
	v_add3_u32 v17, s0, v20, v17
	s_barrier_wait -1
	global_inv scope:SCOPE_SE
	v_cmpx_gt_u32_e32 64, v33
	s_cbranch_execz .LBB290_2010
; %bb.1993:
	s_and_saveexec_b32 s0, vcc_lo
	s_cbranch_execnz .LBB290_2033
; %bb.1994:
	s_wait_alu 0xfffe
	s_or_b32 exec_lo, exec_lo, s0
	s_and_saveexec_b32 s0, vcc_lo
	s_cbranch_execnz .LBB290_2034
.LBB290_1995:
	s_wait_alu 0xfffe
	s_or_b32 exec_lo, exec_lo, s0
	s_and_saveexec_b32 s0, vcc_lo
	s_cbranch_execnz .LBB290_2035
.LBB290_1996:
	s_wait_alu 0xfffe
	s_or_b32 exec_lo, exec_lo, s0
	s_and_saveexec_b32 s0, vcc_lo
	s_cbranch_execnz .LBB290_2036
.LBB290_1997:
	s_wait_alu 0xfffe
	s_or_b32 exec_lo, exec_lo, s0
	s_and_saveexec_b32 s0, vcc_lo
	s_cbranch_execnz .LBB290_2037
.LBB290_1998:
	s_wait_alu 0xfffe
	s_or_b32 exec_lo, exec_lo, s0
	s_and_saveexec_b32 s0, vcc_lo
	s_cbranch_execnz .LBB290_2038
.LBB290_1999:
	s_wait_alu 0xfffe
	s_or_b32 exec_lo, exec_lo, s0
	s_and_saveexec_b32 s0, vcc_lo
	s_cbranch_execnz .LBB290_2039
.LBB290_2000:
	s_wait_alu 0xfffe
	s_or_b32 exec_lo, exec_lo, s0
	s_and_saveexec_b32 s0, vcc_lo
	s_cbranch_execnz .LBB290_2040
.LBB290_2001:
	s_wait_alu 0xfffe
	s_or_b32 exec_lo, exec_lo, s0
	s_and_saveexec_b32 s0, vcc_lo
	s_cbranch_execnz .LBB290_2041
.LBB290_2002:
	s_wait_alu 0xfffe
	s_or_b32 exec_lo, exec_lo, s0
	s_and_saveexec_b32 s0, vcc_lo
	s_cbranch_execnz .LBB290_2042
.LBB290_2003:
	s_wait_alu 0xfffe
	s_or_b32 exec_lo, exec_lo, s0
	s_and_saveexec_b32 s0, vcc_lo
	s_cbranch_execnz .LBB290_2043
.LBB290_2004:
	s_wait_alu 0xfffe
	s_or_b32 exec_lo, exec_lo, s0
	s_and_saveexec_b32 s0, vcc_lo
	s_cbranch_execnz .LBB290_2044
.LBB290_2005:
	s_wait_alu 0xfffe
	s_or_b32 exec_lo, exec_lo, s0
	s_and_saveexec_b32 s0, vcc_lo
	s_cbranch_execnz .LBB290_2045
.LBB290_2006:
	s_wait_alu 0xfffe
	s_or_b32 exec_lo, exec_lo, s0
	s_and_saveexec_b32 s0, vcc_lo
	s_cbranch_execnz .LBB290_2046
.LBB290_2007:
	s_wait_alu 0xfffe
	s_or_b32 exec_lo, exec_lo, s0
	s_and_saveexec_b32 s0, vcc_lo
	s_cbranch_execz .LBB290_2009
.LBB290_2008:
	ds_load_b32 v19, v17 offset:448
	s_wait_dscnt 0x0
	v_add_f32_e32 v2, v19, v2
.LBB290_2009:
	s_wait_alu 0xfffe
	s_or_b32 exec_lo, exec_lo, s0
.LBB290_2010:
	s_wait_alu 0xfffe
	s_or_b32 exec_lo, exec_lo, s3
	v_and_b32_e32 v19, 0x3e3, v33
	s_mov_b32 s3, exec_lo
	s_wait_loadcnt 0x0
	s_barrier_signal -1
	s_barrier_wait -1
	global_inv scope:SCOPE_SE
	v_cmpx_eq_u32_e32 32, v19
	s_cbranch_execz .LBB290_2012
; %bb.2011:
	ds_store_2addr_b32 v18, v16, v15 offset1:8
	ds_store_2addr_b32 v18, v14, v13 offset0:16 offset1:24
	ds_store_2addr_b32 v18, v12, v11 offset0:32 offset1:40
	;; [unrolled: 1-line block ×6, first 2 shown]
	ds_store_b32 v18, v2 offset:448
.LBB290_2012:
	s_wait_alu 0xfffe
	s_or_b32 exec_lo, exec_lo, s3
	s_delay_alu instid0(SALU_CYCLE_1)
	s_mov_b32 s3, exec_lo
	s_wait_loadcnt_dscnt 0x0
	s_barrier_signal -1
	s_barrier_wait -1
	global_inv scope:SCOPE_SE
	v_cmpx_gt_u32_e32 32, v33
	s_cbranch_execz .LBB290_2030
; %bb.2013:
	s_and_saveexec_b32 s0, vcc_lo
	s_cbranch_execnz .LBB290_2047
; %bb.2014:
	s_wait_alu 0xfffe
	s_or_b32 exec_lo, exec_lo, s0
	s_and_saveexec_b32 s0, vcc_lo
	s_cbranch_execnz .LBB290_2048
.LBB290_2015:
	s_wait_alu 0xfffe
	s_or_b32 exec_lo, exec_lo, s0
	s_and_saveexec_b32 s0, vcc_lo
	s_cbranch_execnz .LBB290_2049
.LBB290_2016:
	s_wait_alu 0xfffe
	s_or_b32 exec_lo, exec_lo, s0
	s_and_saveexec_b32 s0, vcc_lo
	s_cbranch_execnz .LBB290_2050
.LBB290_2017:
	s_wait_alu 0xfffe
	s_or_b32 exec_lo, exec_lo, s0
	s_and_saveexec_b32 s0, vcc_lo
	s_cbranch_execnz .LBB290_2051
.LBB290_2018:
	s_wait_alu 0xfffe
	s_or_b32 exec_lo, exec_lo, s0
	s_and_saveexec_b32 s0, vcc_lo
	s_cbranch_execnz .LBB290_2052
.LBB290_2019:
	s_wait_alu 0xfffe
	s_or_b32 exec_lo, exec_lo, s0
	s_and_saveexec_b32 s0, vcc_lo
	s_cbranch_execnz .LBB290_2053
.LBB290_2020:
	s_wait_alu 0xfffe
	s_or_b32 exec_lo, exec_lo, s0
	s_and_saveexec_b32 s0, vcc_lo
	s_cbranch_execnz .LBB290_2054
.LBB290_2021:
	s_wait_alu 0xfffe
	s_or_b32 exec_lo, exec_lo, s0
	s_and_saveexec_b32 s0, vcc_lo
	s_cbranch_execnz .LBB290_2055
.LBB290_2022:
	s_wait_alu 0xfffe
	s_or_b32 exec_lo, exec_lo, s0
	s_and_saveexec_b32 s0, vcc_lo
	s_cbranch_execnz .LBB290_2056
.LBB290_2023:
	s_wait_alu 0xfffe
	s_or_b32 exec_lo, exec_lo, s0
	s_and_saveexec_b32 s0, vcc_lo
	s_cbranch_execnz .LBB290_2057
.LBB290_2024:
	s_wait_alu 0xfffe
	s_or_b32 exec_lo, exec_lo, s0
	s_and_saveexec_b32 s0, vcc_lo
	s_cbranch_execnz .LBB290_2058
.LBB290_2025:
	s_wait_alu 0xfffe
	s_or_b32 exec_lo, exec_lo, s0
	s_and_saveexec_b32 s0, vcc_lo
	s_cbranch_execnz .LBB290_2059
.LBB290_2026:
	s_wait_alu 0xfffe
	s_or_b32 exec_lo, exec_lo, s0
	s_and_saveexec_b32 s0, vcc_lo
	s_cbranch_execnz .LBB290_2060
.LBB290_2027:
	s_wait_alu 0xfffe
	s_or_b32 exec_lo, exec_lo, s0
	s_and_saveexec_b32 s0, vcc_lo
	s_cbranch_execz .LBB290_2029
.LBB290_2028:
	ds_load_b32 v17, v17 offset:448
	s_wait_dscnt 0x0
	v_add_f32_e32 v2, v17, v2
.LBB290_2029:
	s_wait_alu 0xfffe
	s_or_b32 exec_lo, exec_lo, s0
.LBB290_2030:
	s_wait_alu 0xfffe
	s_or_b32 exec_lo, exec_lo, s3
	v_cmp_eq_u32_e32 vcc_lo, 0, v19
	s_wait_loadcnt 0x0
	s_barrier_signal -1
	s_barrier_wait -1
	global_inv scope:SCOPE_SE
	s_and_b32 exec_lo, exec_lo, vcc_lo
	s_cbranch_execz .LBB290_2032
; %bb.2031:
	s_mul_i32 s0, s2, 0x78
	s_mul_i32 s2, s4, s1
	s_wait_alu 0xfffe
	s_ashr_i32 s1, s0, 31
	s_ashr_i32 s3, s2, 31
	s_wait_alu 0xfffe
	s_lshl_b64 s[0:1], s[0:1], 1
	s_mulk_i32 s13, 0xf0
	s_wait_alu 0xfffe
	v_add_co_u32 v4, vcc_lo, v4, s0
	s_wait_alu 0xfffd
	v_add_co_ci_u32_e64 v5, null, s1, v5, vcc_lo
	s_lshl_b64 s[0:1], s[2:3], 1
	v_lshrrev_b32_e32 v17, 1, v33
	s_wait_alu 0xfffe
	v_add_co_u32 v4, vcc_lo, v4, s0
	s_wait_alu 0xfffd
	v_add_co_ci_u32_e64 v5, null, s1, v5, vcc_lo
	;;#ASMSTART
	v_cvt_f16_f32 v16, v16;

	;;#ASMEND
	s_delay_alu instid0(VALU_DEP_2) | instskip(SKIP_1) | instid1(VALU_DEP_2)
	v_add_co_u32 v4, vcc_lo, v4, s13
	s_wait_alu 0xfffd
	v_add_co_ci_u32_e64 v5, null, 0, v5, vcc_lo
	s_delay_alu instid0(VALU_DEP_2) | instskip(SKIP_1) | instid1(VALU_DEP_2)
	v_add_co_u32 v4, vcc_lo, v4, v17
	s_wait_alu 0xfffd
	v_add_co_ci_u32_e64 v5, null, 0, v5, vcc_lo
	flat_store_b16 v[4:5], v16
	;;#ASMSTART
	v_cvt_f16_f32 v15, v15;

	;;#ASMEND
	flat_store_b16 v[4:5], v15 offset:16
	;;#ASMSTART
	v_cvt_f16_f32 v14, v14;

	;;#ASMEND
	flat_store_b16 v[4:5], v14 offset:32
	;; [unrolled: 5-line block ×14, first 2 shown]
.LBB290_2032:
	s_wait_alu 0xfffe
	s_or_b32 exec_lo, exec_lo, s12
	s_clause 0x1f
	scratch_load_b32 v186, off, s32 offset:8
	scratch_load_b32 v185, off, s32 offset:12
	scratch_load_b32 v184, off, s32 offset:16
	scratch_load_b32 v175, off, s32 offset:20
	scratch_load_b32 v174, off, s32 offset:24
	scratch_load_b32 v173, off, s32 offset:28
	scratch_load_b32 v172, off, s32 offset:32
	scratch_load_b32 v171, off, s32 offset:36
	scratch_load_b32 v170, off, s32 offset:40
	scratch_load_b32 v169, off, s32 offset:44
	scratch_load_b32 v168, off, s32 offset:48
	scratch_load_b32 v159, off, s32 offset:52
	scratch_load_b32 v158, off, s32 offset:56
	scratch_load_b32 v157, off, s32 offset:60
	scratch_load_b32 v156, off, s32 offset:64
	scratch_load_b32 v155, off, s32 offset:68
	scratch_load_b32 v154, off, s32 offset:72
	scratch_load_b32 v153, off, s32 offset:76
	scratch_load_b32 v152, off, s32 offset:80
	scratch_load_b32 v143, off, s32 offset:84
	scratch_load_b32 v142, off, s32 offset:88
	scratch_load_b32 v141, off, s32 offset:92
	scratch_load_b32 v140, off, s32 offset:96
	scratch_load_b32 v139, off, s32 offset:100
	scratch_load_b32 v138, off, s32 offset:104
	scratch_load_b32 v137, off, s32 offset:108
	scratch_load_b32 v136, off, s32 offset:112
	scratch_load_b32 v127, off, s32 offset:116
	scratch_load_b32 v126, off, s32 offset:120
	scratch_load_b32 v125, off, s32 offset:124
	scratch_load_b32 v124, off, s32 offset:128
	scratch_load_b32 v123, off, s32 offset:132
	s_clause 0x1f
	scratch_load_b32 v122, off, s32 offset:136
	scratch_load_b32 v121, off, s32 offset:140
	;; [unrolled: 1-line block ×32, first 2 shown]
	s_clause 0xa
	scratch_load_b32 v58, off, s32 offset:264
	scratch_load_b32 v57, off, s32 offset:268
	;; [unrolled: 1-line block ×11, first 2 shown]
	s_wait_loadcnt_dscnt 0x0
	s_setpc_b64 s[30:31]
.LBB290_2033:
	ds_load_b32 v19, v17
	s_wait_dscnt 0x0
	v_add_f32_e32 v16, v19, v16
	s_wait_alu 0xfffe
	s_or_b32 exec_lo, exec_lo, s0
	s_and_saveexec_b32 s0, vcc_lo
	s_cbranch_execz .LBB290_1995
.LBB290_2034:
	ds_load_b32 v19, v17 offset:32
	s_wait_dscnt 0x0
	v_add_f32_e32 v15, v19, v15
	s_wait_alu 0xfffe
	s_or_b32 exec_lo, exec_lo, s0
	s_and_saveexec_b32 s0, vcc_lo
	s_cbranch_execz .LBB290_1996
.LBB290_2035:
	ds_load_b32 v19, v17 offset:64
	s_wait_dscnt 0x0
	v_add_f32_e32 v14, v19, v14
	s_wait_alu 0xfffe
	s_or_b32 exec_lo, exec_lo, s0
	s_and_saveexec_b32 s0, vcc_lo
	s_cbranch_execz .LBB290_1997
.LBB290_2036:
	ds_load_b32 v19, v17 offset:96
	s_wait_dscnt 0x0
	v_add_f32_e32 v13, v19, v13
	s_wait_alu 0xfffe
	s_or_b32 exec_lo, exec_lo, s0
	s_and_saveexec_b32 s0, vcc_lo
	s_cbranch_execz .LBB290_1998
.LBB290_2037:
	ds_load_b32 v19, v17 offset:128
	s_wait_dscnt 0x0
	v_add_f32_e32 v12, v19, v12
	s_wait_alu 0xfffe
	s_or_b32 exec_lo, exec_lo, s0
	s_and_saveexec_b32 s0, vcc_lo
	s_cbranch_execz .LBB290_1999
.LBB290_2038:
	ds_load_b32 v19, v17 offset:160
	s_wait_dscnt 0x0
	v_add_f32_e32 v11, v19, v11
	s_wait_alu 0xfffe
	s_or_b32 exec_lo, exec_lo, s0
	s_and_saveexec_b32 s0, vcc_lo
	s_cbranch_execz .LBB290_2000
.LBB290_2039:
	ds_load_b32 v19, v17 offset:192
	s_wait_dscnt 0x0
	v_add_f32_e32 v10, v19, v10
	s_wait_alu 0xfffe
	s_or_b32 exec_lo, exec_lo, s0
	s_and_saveexec_b32 s0, vcc_lo
	s_cbranch_execz .LBB290_2001
.LBB290_2040:
	ds_load_b32 v19, v17 offset:224
	s_wait_dscnt 0x0
	v_add_f32_e32 v9, v19, v9
	s_wait_alu 0xfffe
	s_or_b32 exec_lo, exec_lo, s0
	s_and_saveexec_b32 s0, vcc_lo
	s_cbranch_execz .LBB290_2002
.LBB290_2041:
	ds_load_b32 v19, v17 offset:256
	s_wait_dscnt 0x0
	v_add_f32_e32 v8, v19, v8
	s_wait_alu 0xfffe
	s_or_b32 exec_lo, exec_lo, s0
	s_and_saveexec_b32 s0, vcc_lo
	s_cbranch_execz .LBB290_2003
.LBB290_2042:
	ds_load_b32 v19, v17 offset:288
	s_wait_dscnt 0x0
	v_add_f32_e32 v7, v19, v7
	s_wait_alu 0xfffe
	s_or_b32 exec_lo, exec_lo, s0
	s_and_saveexec_b32 s0, vcc_lo
	s_cbranch_execz .LBB290_2004
.LBB290_2043:
	ds_load_b32 v19, v17 offset:320
	s_wait_dscnt 0x0
	v_add_f32_e32 v6, v19, v6
	s_wait_alu 0xfffe
	s_or_b32 exec_lo, exec_lo, s0
	s_and_saveexec_b32 s0, vcc_lo
	s_cbranch_execz .LBB290_2005
.LBB290_2044:
	ds_load_b32 v19, v17 offset:352
	s_wait_dscnt 0x0
	v_add_f32_e32 v3, v19, v3
	s_wait_alu 0xfffe
	s_or_b32 exec_lo, exec_lo, s0
	s_and_saveexec_b32 s0, vcc_lo
	s_cbranch_execz .LBB290_2006
.LBB290_2045:
	ds_load_b32 v19, v17 offset:384
	s_wait_dscnt 0x0
	v_add_f32_e32 v1, v19, v1
	s_wait_alu 0xfffe
	s_or_b32 exec_lo, exec_lo, s0
	s_and_saveexec_b32 s0, vcc_lo
	s_cbranch_execz .LBB290_2007
.LBB290_2046:
	ds_load_b32 v19, v17 offset:416
	s_wait_dscnt 0x0
	v_add_f32_e32 v0, v19, v0
	s_wait_alu 0xfffe
	s_or_b32 exec_lo, exec_lo, s0
	s_and_saveexec_b32 s0, vcc_lo
	s_cbranch_execnz .LBB290_2008
	s_branch .LBB290_2009
.LBB290_2047:
	ds_load_b32 v18, v17
	s_wait_dscnt 0x0
	v_add_f32_e32 v16, v18, v16
	s_wait_alu 0xfffe
	s_or_b32 exec_lo, exec_lo, s0
	s_and_saveexec_b32 s0, vcc_lo
	s_cbranch_execz .LBB290_2015
.LBB290_2048:
	ds_load_b32 v18, v17 offset:32
	s_wait_dscnt 0x0
	v_add_f32_e32 v15, v18, v15
	s_wait_alu 0xfffe
	s_or_b32 exec_lo, exec_lo, s0
	s_and_saveexec_b32 s0, vcc_lo
	s_cbranch_execz .LBB290_2016
.LBB290_2049:
	ds_load_b32 v18, v17 offset:64
	s_wait_dscnt 0x0
	v_add_f32_e32 v14, v18, v14
	s_wait_alu 0xfffe
	s_or_b32 exec_lo, exec_lo, s0
	s_and_saveexec_b32 s0, vcc_lo
	s_cbranch_execz .LBB290_2017
.LBB290_2050:
	ds_load_b32 v18, v17 offset:96
	s_wait_dscnt 0x0
	v_add_f32_e32 v13, v18, v13
	s_wait_alu 0xfffe
	s_or_b32 exec_lo, exec_lo, s0
	s_and_saveexec_b32 s0, vcc_lo
	s_cbranch_execz .LBB290_2018
.LBB290_2051:
	ds_load_b32 v18, v17 offset:128
	s_wait_dscnt 0x0
	v_add_f32_e32 v12, v18, v12
	s_wait_alu 0xfffe
	s_or_b32 exec_lo, exec_lo, s0
	s_and_saveexec_b32 s0, vcc_lo
	s_cbranch_execz .LBB290_2019
.LBB290_2052:
	ds_load_b32 v18, v17 offset:160
	s_wait_dscnt 0x0
	v_add_f32_e32 v11, v18, v11
	s_wait_alu 0xfffe
	s_or_b32 exec_lo, exec_lo, s0
	s_and_saveexec_b32 s0, vcc_lo
	s_cbranch_execz .LBB290_2020
.LBB290_2053:
	ds_load_b32 v18, v17 offset:192
	s_wait_dscnt 0x0
	v_add_f32_e32 v10, v18, v10
	s_wait_alu 0xfffe
	s_or_b32 exec_lo, exec_lo, s0
	s_and_saveexec_b32 s0, vcc_lo
	s_cbranch_execz .LBB290_2021
.LBB290_2054:
	ds_load_b32 v18, v17 offset:224
	s_wait_dscnt 0x0
	v_add_f32_e32 v9, v18, v9
	s_wait_alu 0xfffe
	s_or_b32 exec_lo, exec_lo, s0
	s_and_saveexec_b32 s0, vcc_lo
	s_cbranch_execz .LBB290_2022
.LBB290_2055:
	ds_load_b32 v18, v17 offset:256
	s_wait_dscnt 0x0
	v_add_f32_e32 v8, v18, v8
	s_wait_alu 0xfffe
	s_or_b32 exec_lo, exec_lo, s0
	s_and_saveexec_b32 s0, vcc_lo
	s_cbranch_execz .LBB290_2023
.LBB290_2056:
	ds_load_b32 v18, v17 offset:288
	s_wait_dscnt 0x0
	v_add_f32_e32 v7, v18, v7
	s_wait_alu 0xfffe
	s_or_b32 exec_lo, exec_lo, s0
	s_and_saveexec_b32 s0, vcc_lo
	s_cbranch_execz .LBB290_2024
.LBB290_2057:
	ds_load_b32 v18, v17 offset:320
	s_wait_dscnt 0x0
	v_add_f32_e32 v6, v18, v6
	s_wait_alu 0xfffe
	s_or_b32 exec_lo, exec_lo, s0
	s_and_saveexec_b32 s0, vcc_lo
	s_cbranch_execz .LBB290_2025
.LBB290_2058:
	ds_load_b32 v18, v17 offset:352
	s_wait_dscnt 0x0
	v_add_f32_e32 v3, v18, v3
	s_wait_alu 0xfffe
	s_or_b32 exec_lo, exec_lo, s0
	s_and_saveexec_b32 s0, vcc_lo
	s_cbranch_execz .LBB290_2026
.LBB290_2059:
	ds_load_b32 v18, v17 offset:384
	s_wait_dscnt 0x0
	v_add_f32_e32 v1, v18, v1
	s_wait_alu 0xfffe
	s_or_b32 exec_lo, exec_lo, s0
	s_and_saveexec_b32 s0, vcc_lo
	s_cbranch_execz .LBB290_2027
.LBB290_2060:
	ds_load_b32 v18, v17 offset:416
	s_wait_dscnt 0x0
	v_add_f32_e32 v0, v18, v0
	s_wait_alu 0xfffe
	s_or_b32 exec_lo, exec_lo, s0
	s_and_saveexec_b32 s0, vcc_lo
	s_cbranch_execnz .LBB290_2028
	s_branch .LBB290_2029
.Lfunc_end290:
	.size	_ZN4vllm22paged_attention_kernelIthLi120ELi32ELi128ELNS_18Fp8KVCacheDataTypeE1ELb1ELi512EEEvPfS2_PT_PKS3_PKT0_S9_ifPKiSB_iPKfiiiSD_SD_iiiii, .Lfunc_end290-_ZN4vllm22paged_attention_kernelIthLi120ELi32ELi128ELNS_18Fp8KVCacheDataTypeE1ELb1ELi512EEEvPfS2_PT_PKS3_PKT0_S9_ifPKiSB_iPKfiiiSD_SD_iiiii
                                        ; -- End function
	.set .L_ZN4vllm22paged_attention_kernelIthLi120ELi32ELi128ELNS_18Fp8KVCacheDataTypeE1ELb1ELi512EEEvPfS2_PT_PKS3_PKT0_S9_ifPKiSB_iPKfiiiSD_SD_iiiii.num_vgpr, 187
	.set .L_ZN4vllm22paged_attention_kernelIthLi120ELi32ELi128ELNS_18Fp8KVCacheDataTypeE1ELb1ELi512EEEvPfS2_PT_PKS3_PKT0_S9_ifPKiSB_iPKfiiiSD_SD_iiiii.num_agpr, 0
	.set .L_ZN4vllm22paged_attention_kernelIthLi120ELi32ELi128ELNS_18Fp8KVCacheDataTypeE1ELb1ELi512EEEvPfS2_PT_PKS3_PKT0_S9_ifPKiSB_iPKfiiiSD_SD_iiiii.numbered_sgpr, 33
	.set .L_ZN4vllm22paged_attention_kernelIthLi120ELi32ELi128ELNS_18Fp8KVCacheDataTypeE1ELb1ELi512EEEvPfS2_PT_PKS3_PKT0_S9_ifPKiSB_iPKfiiiSD_SD_iiiii.num_named_barrier, 0
	.set .L_ZN4vllm22paged_attention_kernelIthLi120ELi32ELi128ELNS_18Fp8KVCacheDataTypeE1ELb1ELi512EEEvPfS2_PT_PKS3_PKT0_S9_ifPKiSB_iPKfiiiSD_SD_iiiii.private_seg_size, 312
	.set .L_ZN4vllm22paged_attention_kernelIthLi120ELi32ELi128ELNS_18Fp8KVCacheDataTypeE1ELb1ELi512EEEvPfS2_PT_PKS3_PKT0_S9_ifPKiSB_iPKfiiiSD_SD_iiiii.uses_vcc, 1
	.set .L_ZN4vllm22paged_attention_kernelIthLi120ELi32ELi128ELNS_18Fp8KVCacheDataTypeE1ELb1ELi512EEEvPfS2_PT_PKS3_PKT0_S9_ifPKiSB_iPKfiiiSD_SD_iiiii.uses_flat_scratch, 1
	.set .L_ZN4vllm22paged_attention_kernelIthLi120ELi32ELi128ELNS_18Fp8KVCacheDataTypeE1ELb1ELi512EEEvPfS2_PT_PKS3_PKT0_S9_ifPKiSB_iPKfiiiSD_SD_iiiii.has_dyn_sized_stack, 0
	.set .L_ZN4vllm22paged_attention_kernelIthLi120ELi32ELi128ELNS_18Fp8KVCacheDataTypeE1ELb1ELi512EEEvPfS2_PT_PKS3_PKT0_S9_ifPKiSB_iPKfiiiSD_SD_iiiii.has_recursion, 0
	.set .L_ZN4vllm22paged_attention_kernelIthLi120ELi32ELi128ELNS_18Fp8KVCacheDataTypeE1ELb1ELi512EEEvPfS2_PT_PKS3_PKT0_S9_ifPKiSB_iPKfiiiSD_SD_iiiii.has_indirect_call, 0
	.section	.AMDGPU.csdata,"",@progbits
; Function info:
; codeLenInByte = 80568
; TotalNumSgprs: 35
; NumVgprs: 187
; ScratchSize: 312
; MemoryBound: 0
	.section	.text._ZN4vllm25paged_attention_v2_kernelIthLi120ELi32ELi128ELNS_18Fp8KVCacheDataTypeE1ELb1ELi512EEEvPfS2_PT_PKS3_PKT0_S9_ifPKiSB_iPKfiiiSD_SD_iiiii,"axG",@progbits,_ZN4vllm25paged_attention_v2_kernelIthLi120ELi32ELi128ELNS_18Fp8KVCacheDataTypeE1ELb1ELi512EEEvPfS2_PT_PKS3_PKT0_S9_ifPKiSB_iPKfiiiSD_SD_iiiii,comdat
	.protected	_ZN4vllm25paged_attention_v2_kernelIthLi120ELi32ELi128ELNS_18Fp8KVCacheDataTypeE1ELb1ELi512EEEvPfS2_PT_PKS3_PKT0_S9_ifPKiSB_iPKfiiiSD_SD_iiiii ; -- Begin function _ZN4vllm25paged_attention_v2_kernelIthLi120ELi32ELi128ELNS_18Fp8KVCacheDataTypeE1ELb1ELi512EEEvPfS2_PT_PKS3_PKT0_S9_ifPKiSB_iPKfiiiSD_SD_iiiii
	.globl	_ZN4vllm25paged_attention_v2_kernelIthLi120ELi32ELi128ELNS_18Fp8KVCacheDataTypeE1ELb1ELi512EEEvPfS2_PT_PKS3_PKT0_S9_ifPKiSB_iPKfiiiSD_SD_iiiii
	.p2align	8
	.type	_ZN4vllm25paged_attention_v2_kernelIthLi120ELi32ELi128ELNS_18Fp8KVCacheDataTypeE1ELb1ELi512EEEvPfS2_PT_PKS3_PKT0_S9_ifPKiSB_iPKfiiiSD_SD_iiiii,@function
_ZN4vllm25paged_attention_v2_kernelIthLi120ELi32ELi128ELNS_18Fp8KVCacheDataTypeE1ELb1ELi512EEEvPfS2_PT_PKS3_PKT0_S9_ifPKiSB_iPKfiiiSD_SD_iiiii: ; @_ZN4vllm25paged_attention_v2_kernelIthLi120ELi32ELi128ELNS_18Fp8KVCacheDataTypeE1ELb1ELi512EEEvPfS2_PT_PKS3_PKT0_S9_ifPKiSB_iPKfiiiSD_SD_iiiii
; %bb.0:
	s_clause 0x3
	s_load_b256 s[12:19], s[0:1], 0x68
	s_load_b32 s4, s[0:1], 0x88
	s_load_b256 s[20:27], s[0:1], 0x0
	s_load_b256 s[36:43], s[0:1], 0x20
	s_mov_b32 s32, 0
	v_mov_b32_e32 v31, v0
	s_getpc_b64 s[2:3]
	s_sext_i32_i16 s3, s3
	s_add_co_u32 s2, s2, _ZN4vllm22paged_attention_kernelIthLi120ELi32ELi128ELNS_18Fp8KVCacheDataTypeE1ELb1ELi512EEEvPfS2_PT_PKS3_PKT0_S9_ifPKiSB_iPKfiiiSD_SD_iiiii@rel32@lo+8
	s_add_co_ci_u32 s3, s3, _ZN4vllm22paged_attention_kernelIthLi120ELi32ELi128ELNS_18Fp8KVCacheDataTypeE1ELb1ELi512EEEvPfS2_PT_PKS3_PKT0_S9_ifPKiSB_iPKfiiiSD_SD_iiiii@rel32@hi+16
	s_add_nc_u64 s[8:9], s[0:1], 0x90
	s_wait_kmcnt 0x0
	v_dual_mov_b32 v1, s19 :: v_dual_mov_b32 v2, s4
	s_clause 0x2
	s_load_b96 s[4:6], s[0:1], 0x40
	s_load_b64 s[10:11], s[0:1], 0x50
	s_load_b96 s[28:30], s[0:1], 0x58
	v_dual_mov_b32 v0, s20 :: v_dual_mov_b32 v3, s23
	v_mov_b32_e32 v4, s24
	scratch_store_b64 off, v[1:2], s32
	v_dual_mov_b32 v1, s21 :: v_dual_mov_b32 v2, s22
	v_dual_mov_b32 v5, s25 :: v_dual_mov_b32 v6, s26
	;; [unrolled: 1-line block ×6, first 2 shown]
	s_wait_kmcnt 0x0
	v_dual_mov_b32 v15, s43 :: v_dual_mov_b32 v16, s4
	v_dual_mov_b32 v17, s5 :: v_dual_mov_b32 v18, s6
	;; [unrolled: 1-line block ×8, first 2 shown]
	s_mov_b32 s15, 3
	s_wait_alu 0xfffe
	s_swappc_b64 s[30:31], s[2:3]
	s_endpgm
	.section	.rodata,"a",@progbits
	.p2align	6, 0x0
	.amdhsa_kernel _ZN4vllm25paged_attention_v2_kernelIthLi120ELi32ELi128ELNS_18Fp8KVCacheDataTypeE1ELb1ELi512EEEvPfS2_PT_PKS3_PKT0_S9_ifPKiSB_iPKfiiiSD_SD_iiiii
		.amdhsa_group_segment_fixed_size 272
		.amdhsa_private_segment_fixed_size 312
		.amdhsa_kernarg_size 400
		.amdhsa_user_sgpr_count 2
		.amdhsa_user_sgpr_dispatch_ptr 0
		.amdhsa_user_sgpr_queue_ptr 0
		.amdhsa_user_sgpr_kernarg_segment_ptr 1
		.amdhsa_user_sgpr_dispatch_id 0
		.amdhsa_user_sgpr_private_segment_size 0
		.amdhsa_wavefront_size32 1
		.amdhsa_uses_dynamic_stack 0
		.amdhsa_enable_private_segment 1
		.amdhsa_system_sgpr_workgroup_id_x 1
		.amdhsa_system_sgpr_workgroup_id_y 1
		.amdhsa_system_sgpr_workgroup_id_z 1
		.amdhsa_system_sgpr_workgroup_info 0
		.amdhsa_system_vgpr_workitem_id 0
		.amdhsa_next_free_vgpr 187
		.amdhsa_next_free_sgpr 44
		.amdhsa_reserve_vcc 1
		.amdhsa_float_round_mode_32 0
		.amdhsa_float_round_mode_16_64 0
		.amdhsa_float_denorm_mode_32 3
		.amdhsa_float_denorm_mode_16_64 3
		.amdhsa_fp16_overflow 0
		.amdhsa_workgroup_processor_mode 1
		.amdhsa_memory_ordered 1
		.amdhsa_forward_progress 1
		.amdhsa_inst_pref_size 3
		.amdhsa_round_robin_scheduling 0
		.amdhsa_exception_fp_ieee_invalid_op 0
		.amdhsa_exception_fp_denorm_src 0
		.amdhsa_exception_fp_ieee_div_zero 0
		.amdhsa_exception_fp_ieee_overflow 0
		.amdhsa_exception_fp_ieee_underflow 0
		.amdhsa_exception_fp_ieee_inexact 0
		.amdhsa_exception_int_div_zero 0
	.end_amdhsa_kernel
	.section	.text._ZN4vllm25paged_attention_v2_kernelIthLi120ELi32ELi128ELNS_18Fp8KVCacheDataTypeE1ELb1ELi512EEEvPfS2_PT_PKS3_PKT0_S9_ifPKiSB_iPKfiiiSD_SD_iiiii,"axG",@progbits,_ZN4vllm25paged_attention_v2_kernelIthLi120ELi32ELi128ELNS_18Fp8KVCacheDataTypeE1ELb1ELi512EEEvPfS2_PT_PKS3_PKT0_S9_ifPKiSB_iPKfiiiSD_SD_iiiii,comdat
.Lfunc_end291:
	.size	_ZN4vllm25paged_attention_v2_kernelIthLi120ELi32ELi128ELNS_18Fp8KVCacheDataTypeE1ELb1ELi512EEEvPfS2_PT_PKS3_PKT0_S9_ifPKiSB_iPKfiiiSD_SD_iiiii, .Lfunc_end291-_ZN4vllm25paged_attention_v2_kernelIthLi120ELi32ELi128ELNS_18Fp8KVCacheDataTypeE1ELb1ELi512EEEvPfS2_PT_PKS3_PKT0_S9_ifPKiSB_iPKfiiiSD_SD_iiiii
                                        ; -- End function
	.set _ZN4vllm25paged_attention_v2_kernelIthLi120ELi32ELi128ELNS_18Fp8KVCacheDataTypeE1ELb1ELi512EEEvPfS2_PT_PKS3_PKT0_S9_ifPKiSB_iPKfiiiSD_SD_iiiii.num_vgpr, max(32, .L_ZN4vllm22paged_attention_kernelIthLi120ELi32ELi128ELNS_18Fp8KVCacheDataTypeE1ELb1ELi512EEEvPfS2_PT_PKS3_PKT0_S9_ifPKiSB_iPKfiiiSD_SD_iiiii.num_vgpr)
	.set _ZN4vllm25paged_attention_v2_kernelIthLi120ELi32ELi128ELNS_18Fp8KVCacheDataTypeE1ELb1ELi512EEEvPfS2_PT_PKS3_PKT0_S9_ifPKiSB_iPKfiiiSD_SD_iiiii.num_agpr, max(0, .L_ZN4vllm22paged_attention_kernelIthLi120ELi32ELi128ELNS_18Fp8KVCacheDataTypeE1ELb1ELi512EEEvPfS2_PT_PKS3_PKT0_S9_ifPKiSB_iPKfiiiSD_SD_iiiii.num_agpr)
	.set _ZN4vllm25paged_attention_v2_kernelIthLi120ELi32ELi128ELNS_18Fp8KVCacheDataTypeE1ELb1ELi512EEEvPfS2_PT_PKS3_PKT0_S9_ifPKiSB_iPKfiiiSD_SD_iiiii.numbered_sgpr, max(44, .L_ZN4vllm22paged_attention_kernelIthLi120ELi32ELi128ELNS_18Fp8KVCacheDataTypeE1ELb1ELi512EEEvPfS2_PT_PKS3_PKT0_S9_ifPKiSB_iPKfiiiSD_SD_iiiii.numbered_sgpr)
	.set _ZN4vllm25paged_attention_v2_kernelIthLi120ELi32ELi128ELNS_18Fp8KVCacheDataTypeE1ELb1ELi512EEEvPfS2_PT_PKS3_PKT0_S9_ifPKiSB_iPKfiiiSD_SD_iiiii.num_named_barrier, max(0, .L_ZN4vllm22paged_attention_kernelIthLi120ELi32ELi128ELNS_18Fp8KVCacheDataTypeE1ELb1ELi512EEEvPfS2_PT_PKS3_PKT0_S9_ifPKiSB_iPKfiiiSD_SD_iiiii.num_named_barrier)
	.set _ZN4vllm25paged_attention_v2_kernelIthLi120ELi32ELi128ELNS_18Fp8KVCacheDataTypeE1ELb1ELi512EEEvPfS2_PT_PKS3_PKT0_S9_ifPKiSB_iPKfiiiSD_SD_iiiii.private_seg_size, 0+max(.L_ZN4vllm22paged_attention_kernelIthLi120ELi32ELi128ELNS_18Fp8KVCacheDataTypeE1ELb1ELi512EEEvPfS2_PT_PKS3_PKT0_S9_ifPKiSB_iPKfiiiSD_SD_iiiii.private_seg_size)
	.set _ZN4vllm25paged_attention_v2_kernelIthLi120ELi32ELi128ELNS_18Fp8KVCacheDataTypeE1ELb1ELi512EEEvPfS2_PT_PKS3_PKT0_S9_ifPKiSB_iPKfiiiSD_SD_iiiii.uses_vcc, or(1, .L_ZN4vllm22paged_attention_kernelIthLi120ELi32ELi128ELNS_18Fp8KVCacheDataTypeE1ELb1ELi512EEEvPfS2_PT_PKS3_PKT0_S9_ifPKiSB_iPKfiiiSD_SD_iiiii.uses_vcc)
	.set _ZN4vllm25paged_attention_v2_kernelIthLi120ELi32ELi128ELNS_18Fp8KVCacheDataTypeE1ELb1ELi512EEEvPfS2_PT_PKS3_PKT0_S9_ifPKiSB_iPKfiiiSD_SD_iiiii.uses_flat_scratch, or(0, .L_ZN4vllm22paged_attention_kernelIthLi120ELi32ELi128ELNS_18Fp8KVCacheDataTypeE1ELb1ELi512EEEvPfS2_PT_PKS3_PKT0_S9_ifPKiSB_iPKfiiiSD_SD_iiiii.uses_flat_scratch)
	.set _ZN4vllm25paged_attention_v2_kernelIthLi120ELi32ELi128ELNS_18Fp8KVCacheDataTypeE1ELb1ELi512EEEvPfS2_PT_PKS3_PKT0_S9_ifPKiSB_iPKfiiiSD_SD_iiiii.has_dyn_sized_stack, or(0, .L_ZN4vllm22paged_attention_kernelIthLi120ELi32ELi128ELNS_18Fp8KVCacheDataTypeE1ELb1ELi512EEEvPfS2_PT_PKS3_PKT0_S9_ifPKiSB_iPKfiiiSD_SD_iiiii.has_dyn_sized_stack)
	.set _ZN4vllm25paged_attention_v2_kernelIthLi120ELi32ELi128ELNS_18Fp8KVCacheDataTypeE1ELb1ELi512EEEvPfS2_PT_PKS3_PKT0_S9_ifPKiSB_iPKfiiiSD_SD_iiiii.has_recursion, or(0, .L_ZN4vllm22paged_attention_kernelIthLi120ELi32ELi128ELNS_18Fp8KVCacheDataTypeE1ELb1ELi512EEEvPfS2_PT_PKS3_PKT0_S9_ifPKiSB_iPKfiiiSD_SD_iiiii.has_recursion)
	.set _ZN4vllm25paged_attention_v2_kernelIthLi120ELi32ELi128ELNS_18Fp8KVCacheDataTypeE1ELb1ELi512EEEvPfS2_PT_PKS3_PKT0_S9_ifPKiSB_iPKfiiiSD_SD_iiiii.has_indirect_call, or(0, .L_ZN4vllm22paged_attention_kernelIthLi120ELi32ELi128ELNS_18Fp8KVCacheDataTypeE1ELb1ELi512EEEvPfS2_PT_PKS3_PKT0_S9_ifPKiSB_iPKfiiiSD_SD_iiiii.has_indirect_call)
	.section	.AMDGPU.csdata,"",@progbits
; Kernel info:
; codeLenInByte = 272
; TotalNumSgprs: 46
; NumVgprs: 187
; ScratchSize: 312
; MemoryBound: 0
; FloatMode: 240
; IeeeMode: 1
; LDSByteSize: 272 bytes/workgroup (compile time only)
; SGPRBlocks: 0
; VGPRBlocks: 23
; NumSGPRsForWavesPerEU: 46
; NumVGPRsForWavesPerEU: 187
; Occupancy: 8
; WaveLimiterHint : 1
; COMPUTE_PGM_RSRC2:SCRATCH_EN: 1
; COMPUTE_PGM_RSRC2:USER_SGPR: 2
; COMPUTE_PGM_RSRC2:TRAP_HANDLER: 0
; COMPUTE_PGM_RSRC2:TGID_X_EN: 1
; COMPUTE_PGM_RSRC2:TGID_Y_EN: 1
; COMPUTE_PGM_RSRC2:TGID_Z_EN: 1
; COMPUTE_PGM_RSRC2:TIDIG_COMP_CNT: 0
	.text
	.p2align	2                               ; -- Begin function _ZN4vllm22paged_attention_kernelIthLi128ELi32ELi128ELNS_18Fp8KVCacheDataTypeE1ELb1ELi512EEEvPfS2_PT_PKS3_PKT0_S9_ifPKiSB_iPKfiiiSD_SD_iiiii
	.type	_ZN4vllm22paged_attention_kernelIthLi128ELi32ELi128ELNS_18Fp8KVCacheDataTypeE1ELb1ELi512EEEvPfS2_PT_PKS3_PKT0_S9_ifPKiSB_iPKfiiiSD_SD_iiiii,@function
_ZN4vllm22paged_attention_kernelIthLi128ELi32ELi128ELNS_18Fp8KVCacheDataTypeE1ELb1ELi512EEEvPfS2_PT_PKS3_PKT0_S9_ifPKiSB_iPKfiiiSD_SD_iiiii: ; @_ZN4vllm22paged_attention_kernelIthLi128ELi32ELi128ELNS_18Fp8KVCacheDataTypeE1ELb1ELi512EEEvPfS2_PT_PKS3_PKT0_S9_ifPKiSB_iPKfiiiSD_SD_iiiii
; %bb.0:
	s_wait_loadcnt_dscnt 0x0
	s_wait_expcnt 0x0
	s_wait_samplecnt 0x0
	s_wait_bvhcnt 0x0
	s_wait_kmcnt 0x0
	s_clause 0x1f
	scratch_store_b32 off, v40, s32 offset:324
	; meta instruction
	scratch_store_b32 off, v41, s32 offset:320
	; meta instruction
	;; [unrolled: 2-line block ×31, first 2 shown]
	scratch_store_b32 off, v95, s32 offset:200
	s_clause 0x1f
	scratch_store_b32 off, v104, s32 offset:196
	; meta instruction
	scratch_store_b32 off, v105, s32 offset:192
	; meta instruction
	;; [unrolled: 2-line block ×31, first 2 shown]
	scratch_store_b32 off, v159, s32 offset:72
	s_clause 0xf
	scratch_store_b32 off, v168, s32 offset:68
	; meta instruction
	scratch_store_b32 off, v169, s32 offset:64
	; meta instruction
	;; [unrolled: 2-line block ×15, first 2 shown]
	scratch_store_b32 off, v191, s32 offset:8
	s_and_b32 s14, ttmp7, 0xffff
	s_lshr_b32 s13, ttmp7, 16
	s_wait_alu 0xfffe
	s_lshl_b32 s0, s14, 2
	s_lshl_b32 s3, s13, 9
	s_wait_alu 0xfffe
	v_add_co_u32 v16, vcc_lo, v16, s0
	s_wait_alu 0xfffd
	v_add_co_ci_u32_e64 v17, null, 0, v17, vcc_lo
	s_mov_b32 s12, exec_lo
	flat_load_b32 v34, v[16:17]
	s_clause 0x1
	scratch_load_b32 v32, off, s32 offset:4
	scratch_load_b32 v35, off, s32
	s_wait_loadcnt_dscnt 0x200
	v_cmpx_lt_i32_e64 s3, v34
	s_cbranch_execz .LBB292_2164
; %bb.1:
	v_mov_b32_e32 v55, 0
	v_sub_nc_u32_e32 v16, 0, v12
	s_clause 0x1
	s_load_u16 s0, s[8:9], 0x12
	s_load_b32 s1, s[8:9], 0x0
	s_mov_b32 s6, s15
	global_load_u16 v33, v55, s[8:9] offset:22
	v_max_i32_e32 v16, v12, v16
	s_delay_alu instid0(VALU_DEP_1) | instskip(SKIP_1) | instid1(VALU_DEP_2)
	v_cvt_f32_u32_e32 v17, v16
	v_sub_nc_u32_e32 v36, 0, v16
	v_rcp_iflag_f32_e32 v17, v17
	s_wait_kmcnt 0x0
	s_cmp_lg_u32 s0, 0
	s_cselect_b32 s0, -1, 0
	s_delay_alu instid0(TRANS32_DEP_1)
	v_mul_f32_e32 v17, 0x4f7ffffe, v17
	s_wait_alu 0xfffe
	s_cmp_lg_u32 s0, 0
	s_add_co_ci_u32 s15, s1, 0
	s_mov_b32 s1, exec_lo
	v_cvt_u32_f32_e32 v17, v17
	s_wait_alu 0xfffe
	s_abs_i32 s0, s15
	s_delay_alu instid0(VALU_DEP_1) | instskip(NEXT) | instid1(VALU_DEP_1)
	v_mul_lo_u32 v36, v36, v17
	v_mul_hi_u32 v36, v17, v36
	s_delay_alu instid0(VALU_DEP_1) | instskip(SKIP_1) | instid1(VALU_DEP_1)
	v_add_nc_u32_e32 v17, v17, v36
	s_wait_alu 0xfffe
	v_mul_hi_u32 v17, s0, v17
	s_delay_alu instid0(VALU_DEP_1) | instskip(SKIP_1) | instid1(VALU_DEP_2)
	v_mul_lo_u32 v36, v17, v16
	v_add_nc_u32_e32 v37, 1, v17
	v_sub_nc_u32_e32 v36, s0, v36
	s_abs_i32 s0, ttmp9
	s_delay_alu instid0(VALU_DEP_1) | instskip(SKIP_2) | instid1(VALU_DEP_2)
	v_sub_nc_u32_e32 v38, v36, v16
	v_cmp_ge_u32_e32 vcc_lo, v36, v16
	s_wait_alu 0xfffd
	v_dual_cndmask_b32 v17, v17, v37 :: v_dual_cndmask_b32 v36, v36, v38
	v_xor_b32_e32 v37, s15, v12
	s_delay_alu instid0(VALU_DEP_2) | instskip(NEXT) | instid1(VALU_DEP_3)
	v_add_nc_u32_e32 v38, 1, v17
	v_cmp_ge_u32_e32 vcc_lo, v36, v16
	s_delay_alu instid0(VALU_DEP_3) | instskip(SKIP_1) | instid1(VALU_DEP_3)
	v_ashrrev_i32_e32 v37, 31, v37
	s_wait_alu 0xfffd
	v_cndmask_b32_e32 v16, v17, v38, vcc_lo
	s_delay_alu instid0(VALU_DEP_1) | instskip(NEXT) | instid1(VALU_DEP_1)
	v_xor_b32_e32 v16, v16, v37
	v_sub_nc_u32_e32 v37, v16, v37
	s_delay_alu instid0(VALU_DEP_1) | instskip(NEXT) | instid1(VALU_DEP_1)
	v_sub_nc_u32_e32 v16, 0, v37
	v_max_i32_e32 v36, v37, v16
	s_delay_alu instid0(VALU_DEP_1) | instskip(SKIP_1) | instid1(VALU_DEP_2)
	v_cvt_f32_u32_e32 v16, v36
	v_sub_nc_u32_e32 v17, 0, v36
	v_rcp_iflag_f32_e32 v16, v16
	s_delay_alu instid0(TRANS32_DEP_1) | instskip(NEXT) | instid1(VALU_DEP_1)
	v_mul_f32_e32 v16, 0x4f7ffffe, v16
	v_cvt_u32_f32_e32 v16, v16
	s_delay_alu instid0(VALU_DEP_1) | instskip(NEXT) | instid1(VALU_DEP_1)
	v_mul_lo_u32 v17, v17, v16
	v_mul_hi_u32 v17, v16, v17
	s_delay_alu instid0(VALU_DEP_1) | instskip(SKIP_1) | instid1(VALU_DEP_1)
	v_add_nc_u32_e32 v16, v16, v17
	s_wait_alu 0xfffe
	v_mad_co_u64_u32 v[16:17], null, s0, v16, 0
	s_wait_loadcnt 0x0
	v_readfirstlane_b32 s16, v33
	v_cmpx_ne_u64_e32 0, v[19:20]
	s_cbranch_execz .LBB292_3
; %bb.2:
	s_mov_b32 s4, ttmp9
	s_ashr_i32 s5, ttmp9, 31
	s_wait_alu 0xfffe
	s_lshl_b64 s[4:5], s[4:5], 2
	s_wait_alu 0xfffe
	v_add_co_u32 v19, vcc_lo, v19, s4
	s_wait_alu 0xfffd
	v_add_co_ci_u32_e64 v20, null, s5, v20, vcc_lo
	flat_load_b32 v55, v[19:20]
.LBB292_3:
	s_or_b32 exec_lo, exec_lo, s1
	v_and_b32_e32 v33, 0x3ff, v31
	v_ashrrev_i32_e32 v16, 31, v37
	s_ashr_i32 s1, ttmp9, 31
	s_lshl_b32 s4, ttmp9, 7
	s_mov_b32 s2, exec_lo
	v_cmpx_gt_u32_e32 16, v33
	s_cbranch_execz .LBB292_5
; %bb.4:
	v_mul_lo_u32 v19, v21, s14
	s_wait_alu 0xfffe
	s_ashr_i32 s5, s4, 31
	v_lshlrev_b32_e32 v21, 4, v33
	s_wait_alu 0xfffe
	s_lshl_b64 s[10:11], s[4:5], 1
	s_delay_alu instid0(VALU_DEP_2) | instskip(NEXT) | instid1(VALU_DEP_1)
	v_ashrrev_i32_e32 v20, 31, v19
	v_lshlrev_b64_e32 v[19:20], 1, v[19:20]
	s_delay_alu instid0(VALU_DEP_1) | instskip(SKIP_1) | instid1(VALU_DEP_2)
	v_add_co_u32 v6, vcc_lo, v6, v19
	s_wait_alu 0xfffd
	v_add_co_ci_u32_e64 v7, null, v7, v20, vcc_lo
	s_wait_alu 0xfffe
	s_delay_alu instid0(VALU_DEP_2) | instskip(SKIP_1) | instid1(VALU_DEP_2)
	v_add_co_u32 v6, vcc_lo, v6, s10
	s_wait_alu 0xfffd
	v_add_co_ci_u32_e64 v7, null, s11, v7, vcc_lo
	s_delay_alu instid0(VALU_DEP_2) | instskip(SKIP_1) | instid1(VALU_DEP_2)
	v_add_co_u32 v6, vcc_lo, v6, v21
	s_wait_alu 0xfffd
	v_add_co_ci_u32_e64 v7, null, 0, v7, vcc_lo
	flat_load_b128 v[48:51], v[6:7]
	s_wait_loadcnt_dscnt 0x0
	ds_store_b128 v21, v[48:51]
.LBB292_5:
	s_wait_alu 0xfffe
	s_or_b32 exec_lo, exec_lo, s2
	v_sub_nc_u32_e32 v6, 0, v35
	v_mul_lo_u32 v7, v17, v36
	v_add_nc_u32_e32 v20, 1, v17
	v_xor_b32_e32 v39, s1, v16
	s_wait_storecnt 0x0
	s_wait_loadcnt_dscnt 0x0
	v_max_i32_e32 v37, v35, v6
	s_barrier_signal -1
	s_barrier_wait -1
	global_inv scope:SCOPE_SE
	v_sub_nc_u32_e32 v19, s0, v7
	v_cvt_f32_u32_e32 v6, v37
	v_sub_nc_u32_e32 v7, 0, v37
	s_mov_b32 s0, exec_lo
	s_delay_alu instid0(VALU_DEP_3) | instskip(NEXT) | instid1(VALU_DEP_3)
	v_cmp_ge_u32_e32 vcc_lo, v19, v36
	v_rcp_iflag_f32_e32 v6, v6
	v_sub_nc_u32_e32 v21, v19, v36
	s_wait_alu 0xfffd
	v_cndmask_b32_e32 v17, v17, v20, vcc_lo
	s_delay_alu instid0(VALU_DEP_2) | instskip(NEXT) | instid1(VALU_DEP_2)
	v_cndmask_b32_e32 v19, v19, v21, vcc_lo
	v_add_nc_u32_e32 v20, 1, v17
	s_delay_alu instid0(TRANS32_DEP_1) | instskip(NEXT) | instid1(VALU_DEP_3)
	v_mul_f32_e32 v6, 0x4f7ffffe, v6
	v_cmp_ge_u32_e32 vcc_lo, v19, v36
	s_delay_alu instid0(VALU_DEP_2) | instskip(SKIP_2) | instid1(VALU_DEP_2)
	v_cvt_u32_f32_e32 v6, v6
	s_wait_alu 0xfffd
	v_cndmask_b32_e32 v16, v17, v20, vcc_lo
	v_mul_lo_u32 v31, v7, v6
	v_add_nc_u32_e32 v7, -1, v34
	s_delay_alu instid0(VALU_DEP_2) | instskip(NEXT) | instid1(VALU_DEP_2)
	v_mul_hi_u32 v21, v6, v31
	v_sub_nc_u32_e32 v31, 0, v7
	s_delay_alu instid0(VALU_DEP_1) | instskip(NEXT) | instid1(VALU_DEP_3)
	v_max_i32_e32 v19, v7, v31
	v_add_nc_u32_e32 v38, v6, v21
	v_xor_b32_e32 v6, v16, v39
	s_delay_alu instid0(VALU_DEP_2) | instskip(NEXT) | instid1(VALU_DEP_2)
	v_mad_co_u64_u32 v[16:17], null, v19, v38, 0
	v_sub_nc_u32_e32 v16, v6, v39
                                        ; implicit-def: $vgpr6
	v_cmpx_gt_i32_e32 0, v32
	s_wait_alu 0xfffe
	s_xor_b32 s0, exec_lo, s0
; %bb.6:
	s_delay_alu instid0(VALU_DEP_2) | instskip(NEXT) | instid1(VALU_DEP_1)
	v_mad_co_u64_u32 v[20:21], null, v28, v12, v[16:17]
                                        ; implicit-def: $vgpr28
	v_mul_lo_u32 v6, v20, v32
                                        ; implicit-def: $vgpr32
	s_delay_alu instid0(VALU_DEP_1)
	v_sub_nc_u32_e32 v6, 1, v6
; %bb.7:
	s_wait_alu 0xfffe
	s_or_saveexec_b32 s0, s0
	v_ashrrev_i32_e32 v12, 31, v7
	v_ashrrev_i32_e32 v39, 31, v35
	s_wait_alu 0xfffe
	s_xor_b32 exec_lo, exec_lo, s0
; %bb.8:
	s_mov_b32 s2, ttmp9
	s_wait_alu 0xfffe
	v_mad_co_u64_u32 v[6:7], null, s15, v28, s[2:3]
	s_delay_alu instid0(VALU_DEP_1)
	v_mad_co_u64_u32 v[6:7], null, v6, v32, 1
; %bb.9:
	s_or_b32 exec_lo, exec_lo, s0
	v_mul_lo_u32 v7, v17, v37
	s_load_b32 s5, s[8:9], 0x8
	v_xor_b32_e32 v12, v12, v39
	v_mul_lo_u32 v18, v18, s14
	v_lshrrev_b32_e32 v35, 5, v33
	s_lshl_b32 s17, s13, 4
	v_mul_lo_u32 v51, v16, v23
	s_wait_alu 0xfffe
	s_add_co_i32 s0, s17, 16
	v_sub_nc_u32_e32 v7, v19, v7
	v_add_nc_u32_e32 v19, 1, v17
	v_add_nc_u32_e32 v23, s17, v35
	v_lshl_add_u32 v48, v35, 5, s3
	v_and_b32_e32 v36, 31, v33
	v_sub_nc_u32_e32 v28, v7, v37
	v_cmp_ge_u32_e32 vcc_lo, v7, v37
	v_dual_mov_b32 v65, 0xff7fffff :: v_dual_add_nc_u32 v20, 31, v34
	s_delay_alu instid0(VALU_DEP_4)
	v_lshlrev_b32_e32 v64, 2, v36
	v_ashrrev_i32_e32 v54, 31, v51
	s_wait_alu 0xfffd
	v_cndmask_b32_e32 v17, v17, v19, vcc_lo
	v_ashrrev_i32_e32 v21, 31, v20
	v_cndmask_b32_e32 v7, v7, v28, vcc_lo
	s_delay_alu instid0(VALU_DEP_2) | instskip(NEXT) | instid1(VALU_DEP_4)
	v_lshrrev_b32_e32 v19, 27, v21
	v_add_nc_u32_e32 v21, 1, v17
	s_delay_alu instid0(VALU_DEP_3) | instskip(NEXT) | instid1(VALU_DEP_3)
	v_cmp_ge_u32_e32 vcc_lo, v7, v37
	v_add_nc_u32_e32 v19, v20, v19
	s_wait_alu 0xfffd
	s_delay_alu instid0(VALU_DEP_3) | instskip(NEXT) | instid1(VALU_DEP_2)
	v_cndmask_b32_e32 v7, v17, v21, vcc_lo
	v_ashrrev_i32_e32 v52, 5, v19
	v_ashrrev_i32_e32 v19, 31, v18
	s_delay_alu instid0(VALU_DEP_3) | instskip(SKIP_1) | instid1(VALU_DEP_3)
	v_xor_b32_e32 v7, v7, v12
	s_wait_alu 0xfffe
	v_min_i32_e32 v49, s0, v52
	s_delay_alu instid0(VALU_DEP_3) | instskip(NEXT) | instid1(VALU_DEP_3)
	v_lshlrev_b64_e32 v[16:17], 2, v[18:19]
	v_sub_nc_u32_e32 v7, v7, v12
	s_delay_alu instid0(VALU_DEP_3) | instskip(NEXT) | instid1(VALU_DEP_2)
	v_cmp_lt_i32_e64 s0, v23, v49
	v_sub_nc_u32_e32 v50, v7, v29
	s_and_saveexec_b32 s18, s0
	s_cbranch_execz .LBB292_1041
; %bb.10:
	v_sub_nc_u32_e32 v7, 0, v30
	v_add_co_u32 v18, vcc_lo, v8, v51
	s_wait_alu 0xfffd
	v_add_co_ci_u32_e64 v19, null, v9, v54, vcc_lo
	s_delay_alu instid0(VALU_DEP_3)
	v_max_i32_e32 v66, v30, v7
	s_ashr_i32 s7, s6, 31
	s_getpc_b64 s[8:9]
	s_wait_alu 0xfffe
	s_sext_i32_i16 s9, s9
	s_add_co_u32 s8, s8, llvm.amdgcn.dynlds.offset.table@rel32@lo+12
	s_wait_alu 0xfffe
	s_add_co_ci_u32 s9, s9, llvm.amdgcn.dynlds.offset.table@rel32@hi+24
	s_lshl_b64 s[10:11], s[6:7], 2
	v_mov_b32_e32 v8, 0
	v_cvt_f32_u32_e32 v7, v66
	v_sub_nc_u32_e32 v9, 0, v66
	s_wait_alu 0xfffe
	s_add_nc_u64 s[8:9], s[8:9], s[10:11]
	v_sub_nc_u32_e32 v31, v36, v34
	s_load_b32 s7, s[8:9], 0x0
	v_rcp_iflag_f32_e32 v7, v7
	v_lshl_or_b32 v67, v35, 7, v64
	s_delay_alu instid0(VALU_DEP_2)
	v_dual_mov_b32 v65, 0xff7fffff :: v_dual_add_nc_u32 v68, 1, v31
	v_mov_b32_e32 v70, v23
	s_mov_b32 s10, -1
	s_mov_b32 s19, 0
	s_mov_b32 s11, 0xffffff
	v_cmp_neq_f32_e32 vcc_lo, 0, v55
	s_delay_alu instid0(TRANS32_DEP_1) | instskip(NEXT) | instid1(VALU_DEP_1)
	v_dual_mul_f32 v7, 0x4f7ffffe, v7 :: v_dual_lshlrev_b32 v20, 4, v36
	v_cvt_u32_f32_e32 v7, v7
	s_delay_alu instid0(VALU_DEP_1) | instskip(SKIP_1) | instid1(VALU_DEP_1)
	v_mul_lo_u32 v21, v9, v7
	v_lshlrev_b32_e32 v9, 2, v23
	v_add_co_u32 v28, s1, v16, v9
	s_delay_alu instid0(VALU_DEP_3)
	v_mul_hi_u32 v32, v7, v21
	s_wait_alu 0xf1ff
	v_add_co_ci_u32_e64 v29, null, 0, v17, s1
	v_add_co_u32 v18, s1, v18, v20
	s_wait_alu 0xf1ff
	v_add_co_ci_u32_e64 v19, null, 0, v19, s1
	v_add_co_u32 v20, s1, v14, v28
	v_lshl_add_u32 v9, v35, 5, s3
	s_wait_alu 0xf1ff
	v_add_co_ci_u32_e64 v21, null, v15, v29, s1
	v_add_nc_u32_e32 v69, v7, v32
	s_branch .LBB292_16
.LBB292_11:                             ;   in Loop: Header=BB292_16 Depth=1
	s_wait_alu 0xfffe
	s_or_b32 exec_lo, exec_lo, s23
	v_lshlrev_b32_e32 v7, 8, v7
	v_lshl_add_u32 v29, v29, 10, 0x2000
	v_lshlrev_b32_e32 v28, 23, v28
	s_delay_alu instid0(VALU_DEP_2) | instskip(NEXT) | instid1(VALU_DEP_1)
	v_and_or_b32 v7, 0x8000, v7, v29
	v_lshl_or_b32 v28, v7, 16, v28
.LBB292_12:                             ;   in Loop: Header=BB292_16 Depth=1
	s_wait_alu 0xfffe
	s_or_b32 exec_lo, exec_lo, s22
.LBB292_13:                             ;   in Loop: Header=BB292_16 Depth=1
	s_wait_alu 0xfffe
	s_or_b32 exec_lo, exec_lo, s21
.LBB292_14:                             ;   in Loop: Header=BB292_16 Depth=1
	s_wait_alu 0xfffe
	s_or_b32 exec_lo, exec_lo, s20
	v_or_b32_e32 v7, v44, v43
	v_fma_mixlo_f16 v56, v71, v42, 0 op_sel:[0,1,0] op_sel_hi:[0,1,0]
	v_or_b32_e32 v29, v185, v175
	v_fma_mixlo_f16 v32, v71, v170, 0 op_sel:[0,1,0] op_sel_hi:[0,1,0]
	v_fma_mixlo_f16 v172, v71, v80, 0 op_sel:[0,1,0] op_sel_hi:[0,1,0]
	v_fma_mixlo_f16 v45, v71, v7, 0 op_sel_hi:[0,1,0]
	v_or_b32_e32 v7, v42, v183
	v_fma_mixlo_f16 v42, v71, v77, 0 op_sel:[0,1,0] op_sel_hi:[0,1,0]
	s_load_b32 s20, s[8:9], 0x0
	v_fma_mixlo_f16 v44, v71, v44, 0 op_sel:[0,1,0] op_sel_hi:[0,1,0]
	v_and_b32_e32 v32, 0xffff, v32
	v_fma_mixlo_f16 v57, v71, v7, 0 op_sel_hi:[0,1,0]
	v_or_b32_e32 v7, v77, v75
	s_delay_alu instid0(VALU_DEP_1) | instskip(SKIP_3) | instid1(VALU_DEP_3)
	v_fma_mixlo_f16 v43, v71, v7, 0 op_sel_hi:[0,1,0]
	v_or_b32_e32 v7, v170, v76
	v_fma_mixlo_f16 v76, v71, v59, 0 op_sel:[0,1,0] op_sel_hi:[0,1,0]
	v_fma_mixlo_f16 v170, v71, v82, 0 op_sel:[0,1,0] op_sel_hi:[0,1,0]
	v_fma_mixlo_f16 v183, v71, v7, 0 op_sel_hi:[0,1,0]
	v_or_b32_e32 v7, v74, v62
	v_fma_mixlo_f16 v62, v71, v104, 0 op_sel:[0,1,0] op_sel_hi:[0,1,0]
	v_fma_mixlo_f16 v74, v71, v74, 0 op_sel:[0,1,0] op_sel_hi:[0,1,0]
	s_delay_alu instid0(VALU_DEP_3) | instskip(SKIP_2) | instid1(VALU_DEP_2)
	v_fma_mixlo_f16 v75, v71, v7, 0 op_sel_hi:[0,1,0]
	v_or_b32_e32 v7, v59, v58
	v_fma_mixlo_f16 v58, v71, v105, 0 op_sel:[0,1,0] op_sel_hi:[0,1,0]
	v_fma_mixlo_f16 v77, v71, v7, 0 op_sel_hi:[0,1,0]
	v_or_b32_e32 v7, v104, v63
	v_fma_mixlo_f16 v104, v71, v88, 0 op_sel:[0,1,0] op_sel_hi:[0,1,0]
	s_delay_alu instid0(VALU_DEP_2) | instskip(SKIP_1) | instid1(VALU_DEP_1)
	v_fma_mixlo_f16 v63, v71, v7, 0 op_sel_hi:[0,1,0]
	v_or_b32_e32 v7, v105, v95
	v_fma_mixlo_f16 v59, v71, v7, 0 op_sel_hi:[0,1,0]
	v_or_b32_e32 v7, v94, v90
	v_fma_mixlo_f16 v90, v71, v124, 0 op_sel:[0,1,0] op_sel_hi:[0,1,0]
	v_fma_mixlo_f16 v94, v71, v94, 0 op_sel:[0,1,0] op_sel_hi:[0,1,0]
	s_delay_alu instid0(VALU_DEP_3) | instskip(SKIP_2) | instid1(VALU_DEP_2)
	v_fma_mixlo_f16 v95, v71, v7, 0 op_sel_hi:[0,1,0]
	v_or_b32_e32 v7, v88, v79
	v_fma_mixlo_f16 v79, v71, v125, 0 op_sel:[0,1,0] op_sel_hi:[0,1,0]
	v_fma_mixlo_f16 v105, v71, v7, 0 op_sel_hi:[0,1,0]
	v_or_b32_e32 v7, v124, v91
	v_fma_mixlo_f16 v124, v71, v109, 0 op_sel:[0,1,0] op_sel_hi:[0,1,0]
	s_delay_alu instid0(VALU_DEP_2) | instskip(SKIP_1) | instid1(VALU_DEP_1)
	v_fma_mixlo_f16 v91, v71, v7, 0 op_sel_hi:[0,1,0]
	v_or_b32_e32 v7, v125, v123
	;; [unrolled: 14-line block ×11, first 2 shown]
	v_fma_mixlo_f16 v129, v71, v7, 0 op_sel_hi:[0,1,0]
	v_or_b32_e32 v7, v116, v114
	v_fma_mixlo_f16 v114, v71, v118, 0 op_sel:[0,1,0] op_sel_hi:[0,1,0]
	v_fma_mixlo_f16 v116, v71, v116, 0 op_sel:[0,1,0] op_sel_hi:[0,1,0]
	s_delay_alu instid0(VALU_DEP_3) | instskip(SKIP_2) | instid1(VALU_DEP_2)
	v_fma_mixlo_f16 v133, v71, v7, 0 op_sel_hi:[0,1,0]
	v_or_b32_e32 v7, v113, v112
	v_fma_mixlo_f16 v112, v71, v119, 0 op_sel:[0,1,0] op_sel_hi:[0,1,0]
	v_fma_mixlo_f16 v135, v71, v7, 0 op_sel_hi:[0,1,0]
	v_or_b32_e32 v7, v118, v115
	s_delay_alu instid0(VALU_DEP_1) | instskip(SKIP_2) | instid1(VALU_DEP_2)
	v_fma_mixlo_f16 v115, v71, v7, 0 op_sel_hi:[0,1,0]
	v_or_b32_e32 v7, v119, v117
	v_fma_mixlo_f16 v117, v71, v100, 0 op_sel:[0,1,0] op_sel_hi:[0,1,0]
	v_fma_mixlo_f16 v113, v71, v7, 0 op_sel_hi:[0,1,0]
	v_or_b32_e32 v7, v100, v98
	s_delay_alu instid0(VALU_DEP_3) | instskip(NEXT) | instid1(VALU_DEP_2)
	v_and_b32_e32 v117, 0xffff, v117
	v_fma_mixlo_f16 v118, v71, v7, 0 op_sel_hi:[0,1,0]
	v_or_b32_e32 v7, v97, v96
	v_fma_mixlo_f16 v96, v71, v97, 0 op_sel:[0,1,0] op_sel_hi:[0,1,0]
	v_fma_mixlo_f16 v97, v71, v102, 0 op_sel:[0,1,0] op_sel_hi:[0,1,0]
	s_delay_alu instid0(VALU_DEP_3)
	v_fma_mixlo_f16 v119, v71, v7, 0 op_sel_hi:[0,1,0]
	v_or_b32_e32 v7, v102, v99
	v_fma_mixlo_f16 v99, v71, v103, 0 op_sel:[0,1,0] op_sel_hi:[0,1,0]
	v_fma_mixlo_f16 v102, v71, v86, 0 op_sel:[0,1,0] op_sel_hi:[0,1,0]
	v_and_b32_e32 v96, 0xffff, v96
	v_and_b32_e32 v119, 0xffff, v119
	v_fma_mixlo_f16 v98, v71, v7, 0 op_sel_hi:[0,1,0]
	v_or_b32_e32 v7, v103, v101
	v_and_b32_e32 v97, 0xffff, v97
	v_and_b32_e32 v99, 0xffff, v99
	s_delay_alu instid0(VALU_DEP_3) | instskip(SKIP_4) | instid1(VALU_DEP_4)
	v_fma_mixlo_f16 v100, v71, v7, 0 op_sel_hi:[0,1,0]
	v_or_b32_e32 v7, v82, v83
	v_fma_mixlo_f16 v83, v71, v29, 0 op_sel_hi:[0,1,0]
	v_or_b32_e32 v29, v174, v31
	v_fma_mixlo_f16 v82, v71, v185, 0 op_sel:[0,1,0] op_sel_hi:[0,1,0]
	v_fma_mixlo_f16 v171, v71, v7, 0 op_sel_hi:[0,1,0]
	v_or_b32_e32 v7, v80, v81
	v_fma_mixlo_f16 v80, v71, v187, 0 op_sel:[0,1,0] op_sel_hi:[0,1,0]
	s_delay_alu instid0(VALU_DEP_4) | instskip(NEXT) | instid1(VALU_DEP_3)
	v_and_b32_e32 v82, 0xffff, v82
	v_fma_mixlo_f16 v173, v71, v7, 0 op_sel_hi:[0,1,0]
	v_or_b32_e32 v7, v86, v85
	v_fma_mixlo_f16 v85, v71, v29, 0 op_sel_hi:[0,1,0]
	v_or_b32_e32 v29, v187, v184
	v_fma_mixlo_f16 v86, v71, v87, 0 op_sel:[0,1,0] op_sel_hi:[0,1,0]
	v_and_b32_e32 v80, 0xffff, v80
	v_fma_mixlo_f16 v103, v71, v7, 0 op_sel_hi:[0,1,0]
	v_or_b32_e32 v7, v87, v84
	v_fma_mixlo_f16 v81, v71, v29, 0 op_sel_hi:[0,1,0]
	v_or_b32_e32 v29, v28, v186
	ds_load_b128 v[184:187], v8
	v_add_nc_u32_e32 v87, v36, v9
	v_fma_mixlo_f16 v84, v71, v174, 0 op_sel:[0,1,0] op_sel_hi:[0,1,0]
	v_fma_mixlo_f16 v101, v71, v7, 0 op_sel_hi:[0,1,0]
	v_fma_mixlo_f16 v31, v71, v29, 0 op_sel_hi:[0,1,0]
	v_fma_mixlo_f16 v29, v71, v28, 0 op_sel:[0,1,0] op_sel_hi:[0,1,0]
	v_cmp_lt_i32_e64 s1, v87, v34
	v_and_b32_e32 v84, 0xffff, v84
	s_delay_alu instid0(VALU_DEP_4) | instskip(NEXT) | instid1(VALU_DEP_4)
	v_and_b32_e32 v31, 0xffff, v31
	v_and_b32_e32 v29, 0xffff, v29
	s_wait_dscnt 0x0
	v_lshrrev_b32_e32 v12, 16, v184
	v_and_b32_e32 v53, 0xffff, v184
	;;#ASMSTART
	v_cvt_f32_f16 v87, v53;
	;;#ASMEND
	;;#ASMSTART
	v_cvt_f32_f16 v174, v12;
	;;#ASMEND
	v_and_b32_e32 v12, 0xffff, v173
	;;#ASMSTART
	v_cvt_f32_f16 v175, v12;
	;;#ASMEND
	v_and_b32_e32 v12, 0xffff, v172
	;;#ASMSTART
	v_cvt_f32_f16 v184, v12;
	;;#ASMEND
	v_lshrrev_b32_e32 v12, 16, v185
	v_and_b32_e32 v53, 0xffff, v185
	;;#ASMSTART
	v_cvt_f32_f16 v185, v53;
	;;#ASMEND
	;;#ASMSTART
	v_cvt_f32_f16 v188, v12;
	;;#ASMEND
	v_and_b32_e32 v12, 0xffff, v171
	;;#ASMSTART
	v_cvt_f32_f16 v189, v12;
	;;#ASMEND
	v_and_b32_e32 v12, 0xffff, v170
	;;#ASMSTART
	v_cvt_f32_f16 v190, v12;
	;;#ASMEND
	v_lshrrev_b32_e32 v12, 16, v186
	v_and_b32_e32 v53, 0xffff, v186
	;;#ASMSTART
	v_cvt_f32_f16 v186, v53;
	;;#ASMEND
	;;#ASMSTART
	v_cvt_f32_f16 v191, v12;
	;;#ASMEND
	v_and_b32_e32 v12, 0xffff, v103
	v_and_b32_e32 v53, 0xffff, v102
	v_lshrrev_b32_e32 v71, 16, v187
	v_and_b32_e32 v102, 0xffff, v187
	;;#ASMSTART
	v_cvt_f32_f16 v12, v12;
	;;#ASMEND
	;;#ASMSTART
	v_cvt_f32_f16 v53, v53;
	;;#ASMEND
	;; [unrolled: 3-line block ×4, first 2 shown]
	v_and_b32_e32 v71, 0xffff, v101
	;;#ASMSTART
	v_cvt_f32_f16 v101, v71;
	;;#ASMEND
	v_and_b32_e32 v71, 0xffff, v86
	;;#ASMSTART
	v_cvt_f32_f16 v187, v71;
	;;#ASMEND
	ds_load_b128 v[170:173], v8 offset:16
	v_and_b32_e32 v98, 0xffff, v98
	s_wait_dscnt 0x0
	v_lshrrev_b32_e32 v86, 16, v170
	v_and_b32_e32 v71, 0xffff, v170
	;;#ASMSTART
	v_cvt_f32_f16 v71, v71;
	;;#ASMEND
	;;#ASMSTART
	v_cvt_f32_f16 v86, v86;
	;;#ASMEND
	;; [unrolled: 3-line block ×4, first 2 shown]
	v_dual_mul_f32 v86, v86, v96 :: v_dual_add_nc_u32 v7, v68, v9
	v_mul_f32_e32 v71, v71, v119
	v_lshrrev_b32_e32 v96, 16, v171
	s_delay_alu instid0(VALU_DEP_3) | instskip(NEXT) | instid1(VALU_DEP_4)
	v_fmac_f32_e32 v86, v174, v184
	v_cvt_f32_i32_e32 v7, v7
	s_delay_alu instid0(VALU_DEP_4)
	v_fmac_f32_e32 v71, v87, v175
	v_and_b32_e32 v87, 0xffff, v171
	;;#ASMSTART
	v_cvt_f32_f16 v87, v87;
	;;#ASMEND
	;;#ASMSTART
	v_cvt_f32_f16 v119, v96;
	;;#ASMEND
	v_dual_mul_f32 v7, v55, v7 :: v_dual_and_b32 v96, 0xffff, v118
	;;#ASMSTART
	v_cvt_f32_f16 v96, v96;
	;;#ASMEND
	;;#ASMSTART
	v_cvt_f32_f16 v117, v117;
	;;#ASMEND
	s_wait_kmcnt 0x0
	v_add_nc_u32_e32 v28, s20, v67
	v_dual_cndmask_b32 v7, 0, v7 :: v_dual_mul_f32 v96, v87, v96
	v_mul_f32_e32 v87, v119, v117
	v_lshrrev_b32_e32 v118, 16, v172
	v_and_b32_e32 v117, 0xffff, v172
	;;#ASMSTART
	v_cvt_f32_f16 v117, v117;
	;;#ASMEND
	;;#ASMSTART
	v_cvt_f32_f16 v118, v118;
	;;#ASMEND
	;; [unrolled: 3-line block ×4, first 2 shown]
	v_dual_mul_f32 v98, v117, v98 :: v_dual_mul_f32 v97, v118, v97
	v_dual_fmac_f32 v87, v188, v190 :: v_dual_fmac_f32 v96, v185, v189
	s_delay_alu instid0(VALU_DEP_2)
	v_dual_fmac_f32 v98, v186, v12 :: v_dual_fmac_f32 v97, v191, v53
	v_lshrrev_b32_e32 v53, 16, v173
	v_and_b32_e32 v12, 0xffff, v173
	v_and_b32_e32 v100, 0xffff, v100
	;;#ASMSTART
	v_cvt_f32_f16 v12, v12;
	;;#ASMEND
	;;#ASMSTART
	v_cvt_f32_f16 v53, v53;
	;;#ASMEND
	;; [unrolled: 3-line block ×4, first 2 shown]
	ds_load_b128 v[170:173], v8 offset:32
	v_dual_mul_f32 v100, v12, v100 :: v_dual_mul_f32 v99, v53, v99
	s_delay_alu instid0(VALU_DEP_1) | instskip(NEXT) | instid1(VALU_DEP_2)
	v_dual_fmac_f32 v100, v103, v101 :: v_dual_and_b32 v101, 0xffff, v135
	v_fmac_f32_e32 v99, v102, v187
	s_wait_dscnt 0x0
	v_lshrrev_b32_e32 v53, 16, v170
	v_and_b32_e32 v12, 0xffff, v170
	;;#ASMSTART
	v_cvt_f32_f16 v12, v12;
	;;#ASMEND
	;;#ASMSTART
	v_cvt_f32_f16 v53, v53;
	;;#ASMEND
	;; [unrolled: 3-line block ×3, first 2 shown]
	s_delay_alu instid0(VALU_DEP_1) | instskip(SKIP_1) | instid1(VALU_DEP_1)
	v_dual_fmac_f32 v71, v12, v101 :: v_dual_and_b32 v102, 0xffff, v134
	;;#ASMSTART
	v_cvt_f32_f16 v102, v102;
	;;#ASMEND
	v_fmac_f32_e32 v86, v53, v102
	v_lshrrev_b32_e32 v53, 16, v171
	v_and_b32_e32 v12, 0xffff, v171
	v_and_b32_e32 v101, 0xffff, v133
	;; [unrolled: 1-line block ×3, first 2 shown]
	;;#ASMSTART
	v_cvt_f32_f16 v12, v12;
	;;#ASMEND
	;;#ASMSTART
	v_cvt_f32_f16 v53, v53;
	;;#ASMEND
	;; [unrolled: 3-line block ×4, first 2 shown]
	v_dual_fmac_f32 v96, v12, v101 :: v_dual_fmac_f32 v87, v53, v102
	v_lshrrev_b32_e32 v53, 16, v172
	v_and_b32_e32 v12, 0xffff, v172
	v_and_b32_e32 v101, 0xffff, v115
	;; [unrolled: 1-line block ×3, first 2 shown]
	;;#ASMSTART
	v_cvt_f32_f16 v12, v12;
	;;#ASMEND
	;;#ASMSTART
	v_cvt_f32_f16 v53, v53;
	;;#ASMEND
	;; [unrolled: 3-line block ×4, first 2 shown]
	v_dual_fmac_f32 v98, v12, v101 :: v_dual_fmac_f32 v97, v53, v102
	v_lshrrev_b32_e32 v53, 16, v173
	v_and_b32_e32 v12, 0xffff, v173
	v_and_b32_e32 v101, 0xffff, v113
	;; [unrolled: 1-line block ×3, first 2 shown]
	;;#ASMSTART
	v_cvt_f32_f16 v12, v12;
	;;#ASMEND
	;;#ASMSTART
	v_cvt_f32_f16 v53, v53;
	;;#ASMEND
	;;#ASMSTART
	v_cvt_f32_f16 v101, v101;
	;;#ASMEND
	;;#ASMSTART
	v_cvt_f32_f16 v102, v102;
	;;#ASMEND
	ds_load_b128 v[112:115], v8 offset:48
	v_dual_fmac_f32 v100, v12, v101 :: v_dual_fmac_f32 v99, v53, v102
	v_and_b32_e32 v101, 0xffff, v151
	v_and_b32_e32 v102, 0xffff, v150
	s_wait_dscnt 0x0
	v_lshrrev_b32_e32 v53, 16, v112
	v_and_b32_e32 v12, 0xffff, v112
	;;#ASMSTART
	v_cvt_f32_f16 v12, v12;
	;;#ASMEND
	;;#ASMSTART
	v_cvt_f32_f16 v53, v53;
	;;#ASMEND
	;;#ASMSTART
	v_cvt_f32_f16 v101, v101;
	;;#ASMEND
	;;#ASMSTART
	v_cvt_f32_f16 v102, v102;
	;;#ASMEND
	v_dual_fmac_f32 v71, v12, v101 :: v_dual_fmac_f32 v86, v53, v102
	v_lshrrev_b32_e32 v53, 16, v113
	v_and_b32_e32 v12, 0xffff, v113
	v_and_b32_e32 v101, 0xffff, v149
	v_and_b32_e32 v102, 0xffff, v132
	;;#ASMSTART
	v_cvt_f32_f16 v12, v12;
	;;#ASMEND
	;;#ASMSTART
	v_cvt_f32_f16 v53, v53;
	;;#ASMEND
	;;#ASMSTART
	v_cvt_f32_f16 v101, v101;
	;;#ASMEND
	;;#ASMSTART
	v_cvt_f32_f16 v102, v102;
	;;#ASMEND
	v_dual_fmac_f32 v96, v12, v101 :: v_dual_fmac_f32 v87, v53, v102
	v_lshrrev_b32_e32 v53, 16, v114
	v_and_b32_e32 v12, 0xffff, v114
	v_and_b32_e32 v101, 0xffff, v131
	;; [unrolled: 17-line block ×3, first 2 shown]
	v_and_b32_e32 v102, 0xffff, v128
	;;#ASMSTART
	v_cvt_f32_f16 v12, v12;
	;;#ASMEND
	;;#ASMSTART
	v_cvt_f32_f16 v53, v53;
	;;#ASMEND
	;; [unrolled: 3-line block ×4, first 2 shown]
	ds_load_b128 v[112:115], v8 offset:64
	v_dual_fmac_f32 v100, v12, v101 :: v_dual_and_b32 v101, 0xffff, v167
	v_fmac_f32_e32 v99, v53, v102
	v_and_b32_e32 v102, 0xffff, v166
	s_wait_dscnt 0x0
	v_lshrrev_b32_e32 v53, 16, v112
	v_and_b32_e32 v12, 0xffff, v112
	;;#ASMSTART
	v_cvt_f32_f16 v12, v12;
	;;#ASMEND
	;;#ASMSTART
	v_cvt_f32_f16 v53, v53;
	;;#ASMEND
	;;#ASMSTART
	v_cvt_f32_f16 v101, v101;
	;;#ASMEND
	;;#ASMSTART
	v_cvt_f32_f16 v102, v102;
	;;#ASMEND
	v_dual_fmac_f32 v71, v12, v101 :: v_dual_fmac_f32 v86, v53, v102
	v_lshrrev_b32_e32 v53, 16, v113
	v_and_b32_e32 v12, 0xffff, v113
	v_and_b32_e32 v101, 0xffff, v165
	;; [unrolled: 1-line block ×3, first 2 shown]
	;;#ASMSTART
	v_cvt_f32_f16 v12, v12;
	;;#ASMEND
	;;#ASMSTART
	v_cvt_f32_f16 v53, v53;
	;;#ASMEND
	;; [unrolled: 3-line block ×4, first 2 shown]
	v_dual_fmac_f32 v96, v12, v101 :: v_dual_and_b32 v101, 0xffff, v147
	v_fmac_f32_e32 v87, v53, v102
	v_lshrrev_b32_e32 v53, 16, v114
	v_and_b32_e32 v12, 0xffff, v114
	v_and_b32_e32 v102, 0xffff, v146
	;;#ASMSTART
	v_cvt_f32_f16 v12, v12;
	;;#ASMEND
	;;#ASMSTART
	v_cvt_f32_f16 v53, v53;
	;;#ASMEND
	;; [unrolled: 3-line block ×4, first 2 shown]
	v_dual_fmac_f32 v98, v12, v101 :: v_dual_fmac_f32 v97, v53, v102
	v_lshrrev_b32_e32 v53, 16, v115
	v_and_b32_e32 v12, 0xffff, v115
	v_and_b32_e32 v101, 0xffff, v145
	v_and_b32_e32 v102, 0xffff, v144
	;;#ASMSTART
	v_cvt_f32_f16 v12, v12;
	;;#ASMEND
	;;#ASMSTART
	v_cvt_f32_f16 v53, v53;
	;;#ASMEND
	;; [unrolled: 3-line block ×4, first 2 shown]
	ds_load_b128 v[112:115], v8 offset:80
	v_dual_fmac_f32 v100, v12, v101 :: v_dual_fmac_f32 v99, v53, v102
	v_and_b32_e32 v101, 0xffff, v40
	v_and_b32_e32 v102, 0xffff, v182
	s_wait_dscnt 0x0
	v_lshrrev_b32_e32 v53, 16, v112
	v_and_b32_e32 v12, 0xffff, v112
	;;#ASMSTART
	v_cvt_f32_f16 v12, v12;
	;;#ASMEND
	;;#ASMSTART
	v_cvt_f32_f16 v53, v53;
	;;#ASMEND
	;;#ASMSTART
	v_cvt_f32_f16 v101, v101;
	;;#ASMEND
	;;#ASMSTART
	v_cvt_f32_f16 v102, v102;
	;;#ASMEND
	v_dual_fmac_f32 v71, v12, v101 :: v_dual_fmac_f32 v86, v53, v102
	v_lshrrev_b32_e32 v53, 16, v113
	v_and_b32_e32 v12, 0xffff, v113
	v_and_b32_e32 v101, 0xffff, v181
	v_and_b32_e32 v102, 0xffff, v164
	;;#ASMSTART
	v_cvt_f32_f16 v12, v12;
	;;#ASMEND
	;;#ASMSTART
	v_cvt_f32_f16 v53, v53;
	;;#ASMEND
	;;#ASMSTART
	v_cvt_f32_f16 v101, v101;
	;;#ASMEND
	;;#ASMSTART
	v_cvt_f32_f16 v102, v102;
	;;#ASMEND
	v_dual_fmac_f32 v96, v12, v101 :: v_dual_fmac_f32 v87, v53, v102
	v_lshrrev_b32_e32 v53, 16, v114
	v_and_b32_e32 v12, 0xffff, v114
	v_and_b32_e32 v101, 0xffff, v163
	;; [unrolled: 17-line block ×3, first 2 shown]
	v_and_b32_e32 v102, 0xffff, v160
	;;#ASMSTART
	v_cvt_f32_f16 v12, v12;
	;;#ASMEND
	;;#ASMSTART
	v_cvt_f32_f16 v53, v53;
	;;#ASMEND
	;; [unrolled: 3-line block ×4, first 2 shown]
	ds_load_b128 v[112:115], v8 offset:96
	v_dual_fmac_f32 v100, v12, v101 :: v_dual_fmac_f32 v99, v53, v102
	v_and_b32_e32 v101, 0xffff, v78
	v_and_b32_e32 v102, 0xffff, v73
	s_wait_dscnt 0x0
	v_lshrrev_b32_e32 v53, 16, v112
	v_and_b32_e32 v12, 0xffff, v112
	;;#ASMSTART
	v_cvt_f32_f16 v12, v12;
	;;#ASMEND
	;;#ASMSTART
	v_cvt_f32_f16 v53, v53;
	;;#ASMEND
	;;#ASMSTART
	v_cvt_f32_f16 v101, v101;
	;;#ASMEND
	;;#ASMSTART
	v_cvt_f32_f16 v102, v102;
	;;#ASMEND
	v_dual_fmac_f32 v71, v12, v101 :: v_dual_fmac_f32 v86, v53, v102
	v_lshrrev_b32_e32 v53, 16, v113
	v_and_b32_e32 v12, 0xffff, v113
	v_and_b32_e32 v101, 0xffff, v72
	v_and_b32_e32 v102, 0xffff, v180
	;;#ASMSTART
	v_cvt_f32_f16 v12, v12;
	;;#ASMEND
	;;#ASMSTART
	v_cvt_f32_f16 v53, v53;
	;;#ASMEND
	;;#ASMSTART
	v_cvt_f32_f16 v101, v101;
	;;#ASMEND
	;;#ASMSTART
	v_cvt_f32_f16 v102, v102;
	;;#ASMEND
	v_dual_fmac_f32 v96, v12, v101 :: v_dual_fmac_f32 v87, v53, v102
	v_lshrrev_b32_e32 v53, 16, v114
	v_and_b32_e32 v12, 0xffff, v114
	v_and_b32_e32 v101, 0xffff, v179
	;; [unrolled: 17-line block ×3, first 2 shown]
	v_and_b32_e32 v102, 0xffff, v176
	;;#ASMSTART
	v_cvt_f32_f16 v12, v12;
	;;#ASMEND
	;;#ASMSTART
	v_cvt_f32_f16 v53, v53;
	;;#ASMEND
	;;#ASMSTART
	v_cvt_f32_f16 v101, v101;
	;;#ASMEND
	;;#ASMSTART
	v_cvt_f32_f16 v102, v102;
	;;#ASMEND
	ds_load_b128 v[112:115], v8 offset:112
	v_dual_fmac_f32 v100, v12, v101 :: v_dual_fmac_f32 v99, v53, v102
	v_and_b32_e32 v101, 0xffff, v126
	v_and_b32_e32 v102, 0xffff, v111
	s_wait_dscnt 0x0
	v_lshrrev_b32_e32 v53, 16, v112
	v_and_b32_e32 v12, 0xffff, v112
	;;#ASMSTART
	v_cvt_f32_f16 v12, v12;
	;;#ASMEND
	;;#ASMSTART
	v_cvt_f32_f16 v53, v53;
	;;#ASMEND
	;;#ASMSTART
	v_cvt_f32_f16 v101, v101;
	;;#ASMEND
	;;#ASMSTART
	v_cvt_f32_f16 v102, v102;
	;;#ASMEND
	v_dual_fmac_f32 v71, v12, v101 :: v_dual_fmac_f32 v86, v53, v102
	v_lshrrev_b32_e32 v53, 16, v113
	v_and_b32_e32 v12, 0xffff, v113
	v_and_b32_e32 v101, 0xffff, v110
	v_and_b32_e32 v102, 0xffff, v61
	;;#ASMSTART
	v_cvt_f32_f16 v12, v12;
	;;#ASMEND
	;;#ASMSTART
	v_cvt_f32_f16 v53, v53;
	;;#ASMEND
	;;#ASMSTART
	v_cvt_f32_f16 v101, v101;
	;;#ASMEND
	;;#ASMSTART
	v_cvt_f32_f16 v102, v102;
	;;#ASMEND
	v_dual_fmac_f32 v96, v12, v101 :: v_dual_fmac_f32 v87, v53, v102
	v_lshrrev_b32_e32 v53, 16, v114
	v_and_b32_e32 v12, 0xffff, v114
	v_and_b32_e32 v101, 0xffff, v60
	v_and_b32_e32 v102, 0xffff, v47
	;;#ASMSTART
	v_cvt_f32_f16 v12, v12;
	;;#ASMEND
	;;#ASMSTART
	v_cvt_f32_f16 v53, v53;
	;;#ASMEND
	;;#ASMSTART
	v_cvt_f32_f16 v101, v101;
	;;#ASMEND
	;;#ASMSTART
	v_cvt_f32_f16 v102, v102;
	;;#ASMEND
	v_dual_fmac_f32 v98, v12, v101 :: v_dual_fmac_f32 v97, v53, v102
	v_lshrrev_b32_e32 v53, 16, v115
	v_and_b32_e32 v12, 0xffff, v115
	v_and_b32_e32 v101, 0xffff, v46
	v_and_b32_e32 v102, 0xffff, v41
	;;#ASMSTART
	v_cvt_f32_f16 v12, v12;
	;;#ASMEND
	;;#ASMSTART
	v_cvt_f32_f16 v53, v53;
	;;#ASMEND
	;; [unrolled: 3-line block ×4, first 2 shown]
	ds_load_b128 v[112:115], v8 offset:128
	v_dual_fmac_f32 v100, v12, v101 :: v_dual_fmac_f32 v99, v53, v102
	v_and_b32_e32 v101, 0xffff, v169
	v_and_b32_e32 v102, 0xffff, v157
	s_wait_dscnt 0x0
	v_lshrrev_b32_e32 v53, 16, v112
	v_and_b32_e32 v12, 0xffff, v112
	;;#ASMSTART
	v_cvt_f32_f16 v12, v12;
	;;#ASMEND
	;;#ASMSTART
	v_cvt_f32_f16 v53, v53;
	;;#ASMEND
	;;#ASMSTART
	v_cvt_f32_f16 v101, v101;
	;;#ASMEND
	;;#ASMSTART
	v_cvt_f32_f16 v102, v102;
	;;#ASMEND
	v_dual_fmac_f32 v71, v12, v101 :: v_dual_fmac_f32 v86, v53, v102
	v_lshrrev_b32_e32 v53, 16, v113
	v_and_b32_e32 v12, 0xffff, v113
	v_and_b32_e32 v101, 0xffff, v156
	v_and_b32_e32 v102, 0xffff, v107
	;;#ASMSTART
	v_cvt_f32_f16 v12, v12;
	;;#ASMEND
	;;#ASMSTART
	v_cvt_f32_f16 v53, v53;
	;;#ASMEND
	;;#ASMSTART
	v_cvt_f32_f16 v101, v101;
	;;#ASMEND
	;;#ASMSTART
	v_cvt_f32_f16 v102, v102;
	;;#ASMEND
	v_dual_fmac_f32 v96, v12, v101 :: v_dual_fmac_f32 v87, v53, v102
	v_lshrrev_b32_e32 v53, 16, v114
	v_and_b32_e32 v12, 0xffff, v114
	v_and_b32_e32 v101, 0xffff, v106
	;; [unrolled: 17-line block ×3, first 2 shown]
	v_and_b32_e32 v102, 0xffff, v89
	;;#ASMSTART
	v_cvt_f32_f16 v12, v12;
	;;#ASMEND
	;;#ASMSTART
	v_cvt_f32_f16 v53, v53;
	;;#ASMEND
	;; [unrolled: 3-line block ×4, first 2 shown]
	ds_load_b128 v[112:115], v8 offset:144
	v_dual_fmac_f32 v100, v12, v101 :: v_dual_fmac_f32 v99, v53, v102
	v_and_b32_e32 v101, 0xffff, v168
	v_and_b32_e32 v102, 0xffff, v159
	s_wait_dscnt 0x0
	v_lshrrev_b32_e32 v53, 16, v112
	v_and_b32_e32 v12, 0xffff, v112
	;;#ASMSTART
	v_cvt_f32_f16 v12, v12;
	;;#ASMEND
	;;#ASMSTART
	v_cvt_f32_f16 v53, v53;
	;;#ASMEND
	;; [unrolled: 3-line block ×4, first 2 shown]
	v_dual_fmac_f32 v71, v12, v101 :: v_dual_fmac_f32 v86, v53, v102
	v_lshrrev_b32_e32 v53, 16, v113
	v_and_b32_e32 v12, 0xffff, v113
	v_and_b32_e32 v101, 0xffff, v158
	;; [unrolled: 1-line block ×3, first 2 shown]
	;;#ASMSTART
	v_cvt_f32_f16 v12, v12;
	;;#ASMEND
	;;#ASMSTART
	v_cvt_f32_f16 v53, v53;
	;;#ASMEND
	;;#ASMSTART
	v_cvt_f32_f16 v101, v101;
	;;#ASMEND
	;;#ASMSTART
	v_cvt_f32_f16 v102, v102;
	;;#ASMEND
	v_dual_fmac_f32 v96, v12, v101 :: v_dual_and_b32 v101, 0xffff, v154
	v_fmac_f32_e32 v87, v53, v102
	v_lshrrev_b32_e32 v53, 16, v114
	v_and_b32_e32 v12, 0xffff, v114
	v_and_b32_e32 v102, 0xffff, v139
	;;#ASMSTART
	v_cvt_f32_f16 v12, v12;
	;;#ASMEND
	;;#ASMSTART
	v_cvt_f32_f16 v53, v53;
	;;#ASMEND
	;; [unrolled: 3-line block ×4, first 2 shown]
	v_dual_fmac_f32 v98, v12, v101 :: v_dual_and_b32 v101, 0xffff, v138
	v_fmac_f32_e32 v97, v53, v102
	v_lshrrev_b32_e32 v53, 16, v115
	v_and_b32_e32 v12, 0xffff, v115
	v_and_b32_e32 v102, 0xffff, v127
	;;#ASMSTART
	v_cvt_f32_f16 v12, v12;
	;;#ASMEND
	;;#ASMSTART
	v_cvt_f32_f16 v53, v53;
	;;#ASMEND
	;; [unrolled: 3-line block ×4, first 2 shown]
	ds_load_b128 v[112:115], v8 offset:160
	v_dual_fmac_f32 v100, v12, v101 :: v_dual_fmac_f32 v99, v53, v102
	v_and_b32_e32 v101, 0xffff, v153
	v_and_b32_e32 v102, 0xffff, v152
	s_wait_dscnt 0x0
	v_lshrrev_b32_e32 v53, 16, v112
	v_and_b32_e32 v12, 0xffff, v112
	;;#ASMSTART
	v_cvt_f32_f16 v12, v12;
	;;#ASMEND
	;;#ASMSTART
	v_cvt_f32_f16 v53, v53;
	;;#ASMEND
	;;#ASMSTART
	v_cvt_f32_f16 v101, v101;
	;;#ASMEND
	;;#ASMSTART
	v_cvt_f32_f16 v102, v102;
	;;#ASMEND
	v_dual_fmac_f32 v71, v12, v101 :: v_dual_fmac_f32 v86, v53, v102
	v_lshrrev_b32_e32 v53, 16, v113
	v_and_b32_e32 v12, 0xffff, v113
	v_and_b32_e32 v101, 0xffff, v143
	v_and_b32_e32 v102, 0xffff, v142
	;;#ASMSTART
	v_cvt_f32_f16 v12, v12;
	;;#ASMEND
	;;#ASMSTART
	v_cvt_f32_f16 v53, v53;
	;;#ASMEND
	;;#ASMSTART
	v_cvt_f32_f16 v101, v101;
	;;#ASMEND
	;;#ASMSTART
	v_cvt_f32_f16 v102, v102;
	;;#ASMEND
	v_dual_fmac_f32 v96, v12, v101 :: v_dual_fmac_f32 v87, v53, v102
	v_lshrrev_b32_e32 v53, 16, v114
	v_and_b32_e32 v12, 0xffff, v114
	v_and_b32_e32 v101, 0xffff, v141
	;; [unrolled: 17-line block ×3, first 2 shown]
	v_and_b32_e32 v102, 0xffff, v136
	;;#ASMSTART
	v_cvt_f32_f16 v12, v12;
	;;#ASMEND
	;;#ASMSTART
	v_cvt_f32_f16 v53, v53;
	;;#ASMEND
	;; [unrolled: 3-line block ×4, first 2 shown]
	ds_load_b128 v[112:115], v8 offset:176
	v_dual_fmac_f32 v100, v12, v101 :: v_dual_fmac_f32 v99, v53, v102
	v_and_b32_e32 v101, 0xffff, v125
	v_and_b32_e32 v102, 0xffff, v124
	s_wait_dscnt 0x0
	v_lshrrev_b32_e32 v53, 16, v112
	v_and_b32_e32 v12, 0xffff, v112
	;;#ASMSTART
	v_cvt_f32_f16 v12, v12;
	;;#ASMEND
	;;#ASMSTART
	v_cvt_f32_f16 v53, v53;
	;;#ASMEND
	;;#ASMSTART
	v_cvt_f32_f16 v101, v101;
	;;#ASMEND
	;;#ASMSTART
	v_cvt_f32_f16 v102, v102;
	;;#ASMEND
	v_dual_fmac_f32 v71, v12, v101 :: v_dual_fmac_f32 v86, v53, v102
	v_lshrrev_b32_e32 v53, 16, v113
	v_and_b32_e32 v12, 0xffff, v113
	v_and_b32_e32 v101, 0xffff, v123
	v_and_b32_e32 v102, 0xffff, v122
	;;#ASMSTART
	v_cvt_f32_f16 v12, v12;
	;;#ASMEND
	;;#ASMSTART
	v_cvt_f32_f16 v53, v53;
	;;#ASMEND
	;;#ASMSTART
	v_cvt_f32_f16 v101, v101;
	;;#ASMEND
	;;#ASMSTART
	v_cvt_f32_f16 v102, v102;
	;;#ASMEND
	v_dual_fmac_f32 v96, v12, v101 :: v_dual_fmac_f32 v87, v53, v102
	v_lshrrev_b32_e32 v53, 16, v114
	v_and_b32_e32 v12, 0xffff, v114
	v_and_b32_e32 v101, 0xffff, v121
	;; [unrolled: 17-line block ×3, first 2 shown]
	v_and_b32_e32 v102, 0xffff, v108
	;;#ASMSTART
	v_cvt_f32_f16 v12, v12;
	;;#ASMEND
	;;#ASMSTART
	v_cvt_f32_f16 v53, v53;
	;;#ASMEND
	;; [unrolled: 3-line block ×4, first 2 shown]
	ds_load_b128 v[112:115], v8 offset:192
	v_dual_fmac_f32 v100, v12, v101 :: v_dual_fmac_f32 v99, v53, v102
	v_and_b32_e32 v101, 0xffff, v105
	v_and_b32_e32 v102, 0xffff, v104
	s_wait_dscnt 0x0
	v_lshrrev_b32_e32 v53, 16, v112
	v_and_b32_e32 v12, 0xffff, v112
	;;#ASMSTART
	v_cvt_f32_f16 v12, v12;
	;;#ASMEND
	;;#ASMSTART
	v_cvt_f32_f16 v53, v53;
	;;#ASMEND
	;;#ASMSTART
	v_cvt_f32_f16 v101, v101;
	;;#ASMEND
	;;#ASMSTART
	v_cvt_f32_f16 v102, v102;
	;;#ASMEND
	v_dual_fmac_f32 v71, v12, v101 :: v_dual_fmac_f32 v86, v53, v102
	v_lshrrev_b32_e32 v53, 16, v113
	v_and_b32_e32 v12, 0xffff, v113
	v_and_b32_e32 v101, 0xffff, v95
	v_and_b32_e32 v102, 0xffff, v94
	;;#ASMSTART
	v_cvt_f32_f16 v12, v12;
	;;#ASMEND
	;;#ASMSTART
	v_cvt_f32_f16 v53, v53;
	;;#ASMEND
	;;#ASMSTART
	v_cvt_f32_f16 v101, v101;
	;;#ASMEND
	;;#ASMSTART
	v_cvt_f32_f16 v102, v102;
	;;#ASMEND
	v_dual_fmac_f32 v96, v12, v101 :: v_dual_fmac_f32 v87, v53, v102
	v_lshrrev_b32_e32 v53, 16, v114
	v_and_b32_e32 v12, 0xffff, v114
	v_and_b32_e32 v101, 0xffff, v91
	;; [unrolled: 17-line block ×3, first 2 shown]
	v_and_b32_e32 v102, 0xffff, v79
	;;#ASMSTART
	v_cvt_f32_f16 v12, v12;
	;;#ASMEND
	;;#ASMSTART
	v_cvt_f32_f16 v53, v53;
	;;#ASMEND
	;; [unrolled: 3-line block ×4, first 2 shown]
	ds_load_b128 v[112:115], v8 offset:208
	v_dual_fmac_f32 v100, v12, v101 :: v_dual_fmac_f32 v99, v53, v102
	v_and_b32_e32 v101, 0xffff, v77
	v_and_b32_e32 v102, 0xffff, v76
	s_wait_dscnt 0x0
	v_lshrrev_b32_e32 v53, 16, v112
	v_and_b32_e32 v12, 0xffff, v112
	;;#ASMSTART
	v_cvt_f32_f16 v12, v12;
	;;#ASMEND
	;;#ASMSTART
	v_cvt_f32_f16 v53, v53;
	;;#ASMEND
	;;#ASMSTART
	v_cvt_f32_f16 v101, v101;
	;;#ASMEND
	;;#ASMSTART
	v_cvt_f32_f16 v102, v102;
	;;#ASMEND
	v_dual_fmac_f32 v71, v12, v101 :: v_dual_fmac_f32 v86, v53, v102
	v_lshrrev_b32_e32 v53, 16, v113
	v_and_b32_e32 v12, 0xffff, v113
	v_and_b32_e32 v101, 0xffff, v75
	v_and_b32_e32 v102, 0xffff, v74
	;;#ASMSTART
	v_cvt_f32_f16 v12, v12;
	;;#ASMEND
	;;#ASMSTART
	v_cvt_f32_f16 v53, v53;
	;;#ASMEND
	;;#ASMSTART
	v_cvt_f32_f16 v101, v101;
	;;#ASMEND
	;;#ASMSTART
	v_cvt_f32_f16 v102, v102;
	;;#ASMEND
	v_dual_fmac_f32 v96, v12, v101 :: v_dual_fmac_f32 v87, v53, v102
	v_lshrrev_b32_e32 v53, 16, v114
	v_and_b32_e32 v12, 0xffff, v114
	v_and_b32_e32 v101, 0xffff, v63
	;; [unrolled: 17-line block ×3, first 2 shown]
	v_and_b32_e32 v102, 0xffff, v58
	;;#ASMSTART
	v_cvt_f32_f16 v12, v12;
	;;#ASMEND
	;;#ASMSTART
	v_cvt_f32_f16 v53, v53;
	;;#ASMEND
	;; [unrolled: 3-line block ×4, first 2 shown]
	ds_load_b128 v[112:115], v8 offset:224
	v_dual_fmac_f32 v100, v12, v101 :: v_dual_fmac_f32 v99, v53, v102
	v_and_b32_e32 v101, 0xffff, v57
	v_and_b32_e32 v102, 0xffff, v56
	s_wait_dscnt 0x0
	v_lshrrev_b32_e32 v53, 16, v112
	v_and_b32_e32 v12, 0xffff, v112
	;;#ASMSTART
	v_cvt_f32_f16 v12, v12;
	;;#ASMEND
	;;#ASMSTART
	v_cvt_f32_f16 v53, v53;
	;;#ASMEND
	;; [unrolled: 3-line block ×4, first 2 shown]
	v_dual_fmac_f32 v71, v12, v101 :: v_dual_fmac_f32 v86, v53, v102
	v_lshrrev_b32_e32 v53, 16, v113
	v_and_b32_e32 v12, 0xffff, v113
	v_and_b32_e32 v101, 0xffff, v45
	;;#ASMSTART
	v_cvt_f32_f16 v12, v12;
	;;#ASMEND
	;;#ASMSTART
	v_cvt_f32_f16 v53, v53;
	;;#ASMEND
	;; [unrolled: 3-line block ×3, first 2 shown]
	v_and_b32_e32 v102, 0xffff, v44
	;;#ASMSTART
	v_cvt_f32_f16 v102, v102;
	;;#ASMEND
	s_delay_alu instid0(VALU_DEP_1)
	v_dual_fmac_f32 v96, v12, v101 :: v_dual_fmac_f32 v87, v53, v102
	v_lshrrev_b32_e32 v53, 16, v114
	v_and_b32_e32 v12, 0xffff, v114
	v_and_b32_e32 v101, 0xffff, v43
	;;#ASMSTART
	v_cvt_f32_f16 v12, v12;
	;;#ASMEND
	;;#ASMSTART
	v_cvt_f32_f16 v53, v53;
	;;#ASMEND
	;; [unrolled: 3-line block ×3, first 2 shown]
	v_and_b32_e32 v102, 0xffff, v42
	;;#ASMSTART
	v_cvt_f32_f16 v102, v102;
	;;#ASMEND
	s_delay_alu instid0(VALU_DEP_1)
	v_dual_fmac_f32 v98, v12, v101 :: v_dual_fmac_f32 v97, v53, v102
	v_lshrrev_b32_e32 v53, 16, v115
	v_and_b32_e32 v12, 0xffff, v115
	v_and_b32_e32 v101, 0xffff, v183
	;;#ASMSTART
	v_cvt_f32_f16 v12, v12;
	;;#ASMEND
	;;#ASMSTART
	v_cvt_f32_f16 v53, v53;
	;;#ASMEND
	;; [unrolled: 3-line block ×4, first 2 shown]
	ds_load_b128 v[112:115], v8 offset:240
	v_dual_fmac_f32 v100, v12, v101 :: v_dual_fmac_f32 v99, v53, v32
	v_and_b32_e32 v53, 0xffff, v85
	s_wait_dscnt 0x0
	v_and_b32_e32 v12, 0xffff, v112
	v_lshrrev_b32_e32 v32, 16, v112
	;;#ASMSTART
	v_cvt_f32_f16 v12, v12;
	;;#ASMEND
	;;#ASMSTART
	v_cvt_f32_f16 v32, v32;
	;;#ASMEND
	;; [unrolled: 3-line block ×3, first 2 shown]
	v_fmac_f32_e32 v71, v12, v53
	v_and_b32_e32 v12, 0xffff, v113
	;;#ASMSTART
	v_cvt_f32_f16 v84, v84;
	;;#ASMEND
	v_fmac_f32_e32 v86, v32, v84
	v_lshrrev_b32_e32 v32, 16, v113
	;;#ASMSTART
	v_cvt_f32_f16 v12, v12;
	;;#ASMEND
	v_and_b32_e32 v53, 0xffff, v83
	;;#ASMSTART
	v_cvt_f32_f16 v32, v32;
	;;#ASMEND
	;;#ASMSTART
	v_cvt_f32_f16 v53, v53;
	;;#ASMEND
	s_delay_alu instid0(VALU_DEP_1)
	v_fmac_f32_e32 v96, v12, v53
	v_and_b32_e32 v12, 0xffff, v114
	;;#ASMSTART
	v_cvt_f32_f16 v82, v82;
	;;#ASMEND
	v_fmac_f32_e32 v87, v32, v82
	v_lshrrev_b32_e32 v32, 16, v114
	;;#ASMSTART
	v_cvt_f32_f16 v12, v12;
	;;#ASMEND
	v_and_b32_e32 v53, 0xffff, v81
	;;#ASMSTART
	v_cvt_f32_f16 v32, v32;
	;;#ASMEND
	;;#ASMSTART
	v_cvt_f32_f16 v53, v53;
	;;#ASMEND
	s_delay_alu instid0(VALU_DEP_1)
	v_fmac_f32_e32 v98, v12, v53
	v_and_b32_e32 v12, 0xffff, v115
	;;#ASMSTART
	v_cvt_f32_f16 v80, v80;
	;;#ASMEND
	v_fmac_f32_e32 v97, v32, v80
	v_lshrrev_b32_e32 v32, 16, v115
	;;#ASMSTART
	v_cvt_f32_f16 v12, v12;
	;;#ASMEND
	;;#ASMSTART
	v_cvt_f32_f16 v32, v32;
	;;#ASMEND
	;; [unrolled: 3-line block ×3, first 2 shown]
	v_fmac_f32_e32 v100, v12, v31
	v_add_f32_e32 v12, v71, v86
	;;#ASMSTART
	v_cvt_f32_f16 v29, v29;
	;;#ASMEND
	v_fmac_f32_e32 v99, v32, v29
	s_delay_alu instid0(VALU_DEP_2) | instskip(NEXT) | instid1(VALU_DEP_1)
	v_add_f32_e32 v12, v12, v96
	v_add_f32_e32 v12, v87, v12
	s_delay_alu instid0(VALU_DEP_1) | instskip(NEXT) | instid1(VALU_DEP_1)
	v_add_f32_e32 v12, v12, v98
	v_add_f32_e32 v12, v97, v12
	s_delay_alu instid0(VALU_DEP_1) | instskip(NEXT) | instid1(VALU_DEP_1)
	v_add_f32_e32 v12, v12, v100
	v_add_f32_e32 v12, v99, v12
	s_delay_alu instid0(VALU_DEP_1) | instskip(SKIP_1) | instid1(VALU_DEP_1)
	v_fmac_f32_e32 v7, v13, v12
	s_wait_alu 0xf1ff
	v_cndmask_b32_e64 v12, 0, v7, s1
	ds_store_b32 v28, v12
	v_max_num_f32_e32 v12, v65, v65
	s_delay_alu instid0(VALU_DEP_1) | instskip(NEXT) | instid1(VALU_DEP_1)
	v_max_num_f32_e32 v7, v12, v7
	v_cndmask_b32_e64 v65, v65, v7, s1
.LBB292_15:                             ;   in Loop: Header=BB292_16 Depth=1
	s_wait_alu 0xfffe
	s_or_b32 exec_lo, exec_lo, s2
	v_add_nc_u32_e32 v70, 4, v70
	v_add_co_u32 v20, s2, v20, 16
	s_wait_alu 0xf1ff
	v_add_co_ci_u32_e64 v21, null, 0, v21, s2
	s_delay_alu instid0(VALU_DEP_3)
	v_cmp_ge_i32_e64 s1, v70, v49
	v_add_nc_u32_e32 v9, 0x80, v9
	v_add_nc_u32_e32 v67, 0x200, v67
	s_or_b32 s19, s1, s19
	s_wait_alu 0xfffe
	s_and_not1_b32 exec_lo, exec_lo, s19
	s_cbranch_execz .LBB292_1040
.LBB292_16:                             ; =>This Inner Loop Header: Depth=1
	v_sub_nc_u32_e32 v7, 0, v9
	s_delay_alu instid0(VALU_DEP_1) | instskip(NEXT) | instid1(VALU_DEP_1)
	v_max_i32_e32 v7, v9, v7
	v_mul_hi_u32 v28, v7, v38
	s_delay_alu instid0(VALU_DEP_1) | instskip(NEXT) | instid1(VALU_DEP_1)
	v_mul_lo_u32 v29, v28, v37
	v_sub_nc_u32_e32 v7, v7, v29
	v_add_nc_u32_e32 v29, 1, v28
	s_delay_alu instid0(VALU_DEP_2) | instskip(SKIP_2) | instid1(VALU_DEP_1)
	v_sub_nc_u32_e32 v31, v7, v37
	v_cmp_ge_u32_e64 s1, v7, v37
	s_wait_alu 0xf1ff
	v_cndmask_b32_e64 v28, v28, v29, s1
	s_delay_alu instid0(VALU_DEP_3) | instskip(SKIP_1) | instid1(VALU_DEP_3)
	v_cndmask_b32_e64 v7, v7, v31, s1
	v_ashrrev_i32_e32 v29, 31, v9
	v_add_nc_u32_e32 v31, 1, v28
	s_delay_alu instid0(VALU_DEP_3) | instskip(NEXT) | instid1(VALU_DEP_3)
	v_cmp_ge_u32_e64 s1, v7, v37
	v_xor_b32_e32 v29, v29, v39
	s_wait_alu 0xf1ff
	s_delay_alu instid0(VALU_DEP_2) | instskip(NEXT) | instid1(VALU_DEP_1)
	v_cndmask_b32_e64 v7, v28, v31, s1
	v_xor_b32_e32 v7, v7, v29
	s_delay_alu instid0(VALU_DEP_1) | instskip(NEXT) | instid1(VALU_DEP_1)
	v_sub_nc_u32_e32 v7, v7, v29
	v_add_nc_u32_e32 v28, v7, v6
	v_cmp_le_i32_e64 s2, v7, v50
	s_delay_alu instid0(VALU_DEP_2) | instskip(NEXT) | instid1(VALU_DEP_1)
	v_sub_nc_u32_e32 v29, 0, v28
	v_max_i32_e32 v29, v28, v29
	v_ashrrev_i32_e32 v28, 31, v28
	s_delay_alu instid0(VALU_DEP_2) | instskip(NEXT) | instid1(VALU_DEP_1)
	v_mul_hi_u32 v31, v29, v69
	v_mul_lo_u32 v31, v31, v66
	s_delay_alu instid0(VALU_DEP_1) | instskip(NEXT) | instid1(VALU_DEP_1)
	v_sub_nc_u32_e32 v29, v29, v31
	v_sub_nc_u32_e32 v31, v29, v66
	v_cmp_ge_u32_e64 s1, v29, v66
	s_wait_alu 0xf1ff
	s_delay_alu instid0(VALU_DEP_1) | instskip(NEXT) | instid1(VALU_DEP_1)
	v_cndmask_b32_e64 v29, v29, v31, s1
	v_sub_nc_u32_e32 v31, v29, v66
	v_cmp_ge_u32_e64 s1, v29, v66
	s_wait_alu 0xf1ff
	s_delay_alu instid0(VALU_DEP_1) | instskip(NEXT) | instid1(VALU_DEP_1)
	v_cndmask_b32_e64 v29, v29, v31, s1
	v_xor_b32_e32 v29, v29, v28
	s_delay_alu instid0(VALU_DEP_1) | instskip(NEXT) | instid1(VALU_DEP_1)
	v_sub_nc_u32_e32 v28, v29, v28
	v_cmp_ne_u32_e64 s1, 0, v28
	s_and_b32 s1, s1, s2
	s_wait_alu 0xfffe
	s_and_saveexec_b32 s2, s1
	s_wait_alu 0xfffe
	s_xor_b32 s1, exec_lo, s2
	s_cbranch_execz .LBB292_18
; %bb.17:                               ;   in Loop: Header=BB292_16 Depth=1
	s_wait_kmcnt 0x0
	v_dual_mov_b32 v28, 0xff7fffff :: v_dual_add_nc_u32 v7, s7, v67
	ds_store_b32 v7, v28
.LBB292_18:                             ;   in Loop: Header=BB292_16 Depth=1
	s_wait_alu 0xfffe
	s_and_not1_saveexec_b32 s2, s1
	s_cbranch_execz .LBB292_15
; %bb.19:                               ;   in Loop: Header=BB292_16 Depth=1
	flat_load_b32 v7, v[20:21]
	v_mov_b32_e32 v81, 0
	s_mov_b32 s20, exec_lo
	v_mov_b32_e32 v80, 0
	s_wait_loadcnt_dscnt 0x0
	v_mad_co_i64_i32 v[28:29], null, v7, v22, v[18:19]
	flat_load_b64 v[31:32], v[28:29]
	flat_load_b32 v71, v[24:25]
	s_wait_loadcnt_dscnt 0x101
	v_and_b32_e32 v7, 0xff, v31
	s_delay_alu instid0(VALU_DEP_1)
	v_cmpx_ne_u16_e32 0, v7
	s_cbranch_execz .LBB292_27
; %bb.20:                               ;   in Loop: Header=BB292_16 Depth=1
	v_mov_b32_e32 v81, 0x8000
	s_mov_b32 s21, exec_lo
	v_cmpx_ne_u16_e32 0x80, v7
	s_cbranch_execz .LBB292_26
; %bb.21:                               ;   in Loop: Header=BB292_16 Depth=1
	v_and_b32_e32 v82, 0x7f, v31
	v_mov_b32_e32 v81, 0x7c01
	s_mov_b32 s22, exec_lo
	s_delay_alu instid0(VALU_DEP_2)
	v_cmpx_ne_u32_e32 0x7f, v82
	s_cbranch_execz .LBB292_25
; %bb.22:                               ;   in Loop: Header=BB292_16 Depth=1
	v_and_b32_e32 v7, 7, v31
	v_lshrrev_b32_e32 v81, 3, v82
	s_mov_b32 s23, exec_lo
	v_cmpx_gt_u32_e32 8, v82
; %bb.23:                               ;   in Loop: Header=BB292_16 Depth=1
	s_delay_alu instid0(VALU_DEP_3) | instskip(NEXT) | instid1(VALU_DEP_1)
	v_clz_i32_u32_e32 v7, v7
	v_min_u32_e32 v7, 32, v7
	s_delay_alu instid0(VALU_DEP_1) | instskip(NEXT) | instid1(VALU_DEP_1)
	v_subrev_nc_u32_e32 v81, 28, v7
	v_lshlrev_b64_e32 v[82:83], v81, v[31:32]
	v_sub_nc_u32_e32 v81, 29, v7
	s_delay_alu instid0(VALU_DEP_2)
	v_and_b32_e32 v7, 7, v82
; %bb.24:                               ;   in Loop: Header=BB292_16 Depth=1
	s_wait_alu 0xfffe
	s_or_b32 exec_lo, exec_lo, s23
	v_lshlrev_b32_e32 v82, 8, v31
	v_lshl_add_u32 v81, v81, 10, 0x2000
	v_lshlrev_b32_e32 v7, 7, v7
	s_delay_alu instid0(VALU_DEP_3) | instskip(NEXT) | instid1(VALU_DEP_3)
	v_and_b32_e32 v82, 0x8000, v82
	v_and_b32_e32 v81, 0xfc00, v81
	s_delay_alu instid0(VALU_DEP_1)
	v_or3_b32 v81, v82, v81, v7
.LBB292_25:                             ;   in Loop: Header=BB292_16 Depth=1
	s_wait_alu 0xfffe
	s_or_b32 exec_lo, exec_lo, s22
.LBB292_26:                             ;   in Loop: Header=BB292_16 Depth=1
	s_wait_alu 0xfffe
	s_or_b32 exec_lo, exec_lo, s21
.LBB292_27:                             ;   in Loop: Header=BB292_16 Depth=1
	s_wait_alu 0xfffe
	s_or_b32 exec_lo, exec_lo, s20
	v_lshrrev_b16 v7, 8, v31
	s_mov_b32 s20, exec_lo
	s_delay_alu instid0(VALU_DEP_1)
	v_cmpx_ne_u16_e32 0, v7
	s_cbranch_execz .LBB292_35
; %bb.28:                               ;   in Loop: Header=BB292_16 Depth=1
	v_bfrev_b32_e32 v80, 1
	s_mov_b32 s21, exec_lo
	v_cmpx_ne_u16_e32 0x80, v7
	s_cbranch_execz .LBB292_34
; %bb.29:                               ;   in Loop: Header=BB292_16 Depth=1
	v_and_b32_e32 v82, 0xffff, v7
	v_mov_b32_e32 v80, 0x7c010000
	s_mov_b32 s22, exec_lo
	s_delay_alu instid0(VALU_DEP_2) | instskip(NEXT) | instid1(VALU_DEP_1)
	v_and_b32_e32 v84, 0x7f, v82
	v_cmpx_ne_u32_e32 0x7f, v84
	s_cbranch_execz .LBB292_33
; %bb.30:                               ;   in Loop: Header=BB292_16 Depth=1
	v_and_b32_e32 v80, 7, v82
	v_lshrrev_b32_e32 v83, 3, v84
	s_mov_b32 s23, exec_lo
	v_cmpx_gt_u32_e32 8, v84
; %bb.31:                               ;   in Loop: Header=BB292_16 Depth=1
	s_delay_alu instid0(VALU_DEP_3) | instskip(NEXT) | instid1(VALU_DEP_1)
	v_clz_i32_u32_e32 v80, v80
	v_min_u32_e32 v80, 32, v80
	s_delay_alu instid0(VALU_DEP_1) | instskip(NEXT) | instid1(VALU_DEP_1)
	v_subrev_nc_u32_e32 v83, 28, v80
	v_lshlrev_b64_e32 v[84:85], v83, v[7:8]
	v_sub_nc_u32_e32 v83, 29, v80
	s_delay_alu instid0(VALU_DEP_2)
	v_and_b32_e32 v80, 7, v84
; %bb.32:                               ;   in Loop: Header=BB292_16 Depth=1
	s_wait_alu 0xfffe
	s_or_b32 exec_lo, exec_lo, s23
	v_lshlrev_b32_e32 v7, 8, v82
	v_lshl_add_u32 v82, v83, 10, 0x2000
	v_lshlrev_b32_e32 v80, 23, v80
	s_delay_alu instid0(VALU_DEP_2) | instskip(NEXT) | instid1(VALU_DEP_1)
	v_and_or_b32 v7, 0x8000, v7, v82
	v_lshl_or_b32 v80, v7, 16, v80
.LBB292_33:                             ;   in Loop: Header=BB292_16 Depth=1
	s_wait_alu 0xfffe
	s_or_b32 exec_lo, exec_lo, s22
.LBB292_34:                             ;   in Loop: Header=BB292_16 Depth=1
	s_wait_alu 0xfffe
	s_or_b32 exec_lo, exec_lo, s21
.LBB292_35:                             ;   in Loop: Header=BB292_16 Depth=1
	s_wait_alu 0xfffe
	s_or_b32 exec_lo, exec_lo, s20
	v_lshrrev_b32_e32 v7, 16, v31
	v_mov_b32_e32 v82, 0
	s_mov_b32 s20, exec_lo
	s_delay_alu instid0(VALU_DEP_2) | instskip(NEXT) | instid1(VALU_DEP_1)
	v_dual_mov_b32 v83, 0 :: v_dual_and_b32 v84, 0xff, v7
	v_cmpx_ne_u16_e32 0, v84
	s_cbranch_execz .LBB292_43
; %bb.36:                               ;   in Loop: Header=BB292_16 Depth=1
	v_mov_b32_e32 v83, 0x8000
	s_mov_b32 s21, exec_lo
	v_cmpx_ne_u16_e32 0x80, v84
	s_cbranch_execz .LBB292_42
; %bb.37:                               ;   in Loop: Header=BB292_16 Depth=1
	v_bfe_u32 v85, v31, 16, 7
	v_mov_b32_e32 v83, 0x7c01
	s_mov_b32 s22, exec_lo
	s_delay_alu instid0(VALU_DEP_2)
	v_cmpx_ne_u32_e32 0x7f, v85
	s_cbranch_execz .LBB292_41
; %bb.38:                               ;   in Loop: Header=BB292_16 Depth=1
	v_and_b32_e32 v83, 7, v7
	v_lshrrev_b32_e32 v84, 3, v85
	s_mov_b32 s23, exec_lo
	v_cmpx_gt_u32_e32 8, v85
; %bb.39:                               ;   in Loop: Header=BB292_16 Depth=1
	s_delay_alu instid0(VALU_DEP_3) | instskip(NEXT) | instid1(VALU_DEP_1)
	v_clz_i32_u32_e32 v83, v83
	v_min_u32_e32 v85, 32, v83
	s_delay_alu instid0(VALU_DEP_1) | instskip(NEXT) | instid1(VALU_DEP_1)
	v_subrev_nc_u32_e32 v83, 28, v85
	v_lshlrev_b64_e32 v[83:84], v83, v[7:8]
	v_sub_nc_u32_e32 v84, 29, v85
	s_delay_alu instid0(VALU_DEP_2)
	v_and_b32_e32 v83, 7, v83
; %bb.40:                               ;   in Loop: Header=BB292_16 Depth=1
	s_wait_alu 0xfffe
	s_or_b32 exec_lo, exec_lo, s23
	v_lshlrev_b32_e32 v7, 8, v7
	v_lshl_add_u32 v84, v84, 10, 0x2000
	v_lshlrev_b32_e32 v83, 7, v83
	s_delay_alu instid0(VALU_DEP_3) | instskip(NEXT) | instid1(VALU_DEP_3)
	v_and_b32_e32 v7, 0x8000, v7
	v_and_b32_e32 v84, 0xfc00, v84
	s_delay_alu instid0(VALU_DEP_1)
	v_or3_b32 v83, v7, v84, v83
.LBB292_41:                             ;   in Loop: Header=BB292_16 Depth=1
	s_wait_alu 0xfffe
	s_or_b32 exec_lo, exec_lo, s22
.LBB292_42:                             ;   in Loop: Header=BB292_16 Depth=1
	s_wait_alu 0xfffe
	s_or_b32 exec_lo, exec_lo, s21
.LBB292_43:                             ;   in Loop: Header=BB292_16 Depth=1
	s_wait_alu 0xfffe
	s_or_b32 exec_lo, exec_lo, s20
	s_delay_alu instid0(SALU_CYCLE_1)
	s_mov_b32 s20, exec_lo
	v_cmpx_lt_u32_e32 0xffffff, v31
	s_cbranch_execz .LBB292_51
; %bb.44:                               ;   in Loop: Header=BB292_16 Depth=1
	v_lshrrev_b32_e32 v7, 24, v31
	v_bfrev_b32_e32 v82, 1
	s_mov_b32 s21, exec_lo
	s_delay_alu instid0(VALU_DEP_2)
	v_cmpx_ne_u32_e32 0x80, v7
	s_cbranch_execz .LBB292_50
; %bb.45:                               ;   in Loop: Header=BB292_16 Depth=1
	v_and_b32_e32 v85, 0x7f, v7
	v_mov_b32_e32 v82, 0x7c010000
	s_mov_b32 s22, exec_lo
	s_delay_alu instid0(VALU_DEP_2)
	v_cmpx_ne_u32_e32 0x7f, v85
	s_cbranch_execz .LBB292_49
; %bb.46:                               ;   in Loop: Header=BB292_16 Depth=1
	v_and_b32_e32 v82, 7, v7
	v_lshrrev_b32_e32 v84, 3, v85
	s_mov_b32 s23, exec_lo
	v_cmpx_gt_u32_e32 8, v85
; %bb.47:                               ;   in Loop: Header=BB292_16 Depth=1
	s_delay_alu instid0(VALU_DEP_3) | instskip(NEXT) | instid1(VALU_DEP_1)
	v_clz_i32_u32_e32 v82, v82
	v_min_u32_e32 v82, 32, v82
	s_delay_alu instid0(VALU_DEP_1) | instskip(NEXT) | instid1(VALU_DEP_1)
	v_subrev_nc_u32_e32 v84, 28, v82
	v_lshlrev_b64_e32 v[85:86], v84, v[7:8]
	v_sub_nc_u32_e32 v84, 29, v82
	s_delay_alu instid0(VALU_DEP_2)
	v_and_b32_e32 v82, 7, v85
; %bb.48:                               ;   in Loop: Header=BB292_16 Depth=1
	s_wait_alu 0xfffe
	s_or_b32 exec_lo, exec_lo, s23
	v_lshlrev_b32_e32 v7, 8, v7
	v_lshl_add_u32 v84, v84, 10, 0x2000
	v_lshlrev_b32_e32 v82, 23, v82
	s_delay_alu instid0(VALU_DEP_2) | instskip(NEXT) | instid1(VALU_DEP_1)
	v_and_or_b32 v7, 0x8000, v7, v84
	v_lshl_or_b32 v82, v7, 16, v82
.LBB292_49:                             ;   in Loop: Header=BB292_16 Depth=1
	s_wait_alu 0xfffe
	s_or_b32 exec_lo, exec_lo, s22
.LBB292_50:                             ;   in Loop: Header=BB292_16 Depth=1
	s_wait_alu 0xfffe
	s_or_b32 exec_lo, exec_lo, s21
.LBB292_51:                             ;   in Loop: Header=BB292_16 Depth=1
	s_wait_alu 0xfffe
	s_or_b32 exec_lo, exec_lo, s20
	v_dual_mov_b32 v7, v32 :: v_dual_and_b32 v86, 0xff, v32
	v_dual_mov_b32 v84, 0 :: v_dual_mov_b32 v85, 0
	s_mov_b32 s20, exec_lo
	s_delay_alu instid0(VALU_DEP_2)
	v_cmpx_ne_u16_e32 0, v86
	s_cbranch_execz .LBB292_59
; %bb.52:                               ;   in Loop: Header=BB292_16 Depth=1
	v_mov_b32_e32 v85, 0x8000
	s_mov_b32 s21, exec_lo
	v_cmpx_ne_u16_e32 0x80, v86
	s_cbranch_execz .LBB292_58
; %bb.53:                               ;   in Loop: Header=BB292_16 Depth=1
	v_and_b32_e32 v87, 0x7f, v32
	v_mov_b32_e32 v85, 0x7c01
	s_mov_b32 s22, exec_lo
	s_delay_alu instid0(VALU_DEP_2)
	v_cmpx_ne_u32_e32 0x7f, v87
	s_cbranch_execz .LBB292_57
; %bb.54:                               ;   in Loop: Header=BB292_16 Depth=1
	v_and_b32_e32 v85, 7, v32
	v_lshrrev_b32_e32 v86, 3, v87
	s_mov_b32 s23, exec_lo
	v_cmpx_gt_u32_e32 8, v87
; %bb.55:                               ;   in Loop: Header=BB292_16 Depth=1
	s_delay_alu instid0(VALU_DEP_3) | instskip(NEXT) | instid1(VALU_DEP_1)
	v_clz_i32_u32_e32 v85, v85
	v_min_u32_e32 v87, 32, v85
	s_delay_alu instid0(VALU_DEP_1) | instskip(NEXT) | instid1(VALU_DEP_1)
	v_subrev_nc_u32_e32 v85, 28, v87
	v_lshlrev_b64_e32 v[85:86], v85, v[7:8]
	v_sub_nc_u32_e32 v86, 29, v87
	s_delay_alu instid0(VALU_DEP_2)
	v_and_b32_e32 v85, 7, v85
; %bb.56:                               ;   in Loop: Header=BB292_16 Depth=1
	s_wait_alu 0xfffe
	s_or_b32 exec_lo, exec_lo, s23
	v_lshlrev_b32_e32 v87, 8, v32
	v_lshl_add_u32 v86, v86, 10, 0x2000
	v_lshlrev_b32_e32 v85, 7, v85
	s_delay_alu instid0(VALU_DEP_3) | instskip(NEXT) | instid1(VALU_DEP_3)
	v_and_b32_e32 v87, 0x8000, v87
	v_and_b32_e32 v86, 0xfc00, v86
	s_delay_alu instid0(VALU_DEP_1)
	v_or3_b32 v85, v87, v86, v85
.LBB292_57:                             ;   in Loop: Header=BB292_16 Depth=1
	s_wait_alu 0xfffe
	s_or_b32 exec_lo, exec_lo, s22
.LBB292_58:                             ;   in Loop: Header=BB292_16 Depth=1
	s_wait_alu 0xfffe
	s_or_b32 exec_lo, exec_lo, s21
.LBB292_59:                             ;   in Loop: Header=BB292_16 Depth=1
	s_wait_alu 0xfffe
	s_or_b32 exec_lo, exec_lo, s20
	v_lshrrev_b16 v7, 8, v7
	v_mov_b32_e32 v86, 0
	s_mov_b32 s20, exec_lo
	s_delay_alu instid0(VALU_DEP_2)
	v_cmpx_ne_u16_e32 0, v7
	s_cbranch_execz .LBB292_67
; %bb.60:                               ;   in Loop: Header=BB292_16 Depth=1
	v_bfrev_b32_e32 v86, 1
	s_mov_b32 s21, exec_lo
	v_cmpx_ne_u16_e32 0x80, v7
	s_cbranch_execz .LBB292_66
; %bb.61:                               ;   in Loop: Header=BB292_16 Depth=1
	v_and_b32_e32 v87, 0xffff, v7
	v_mov_b32_e32 v86, 0x7c010000
	s_mov_b32 s22, exec_lo
	s_delay_alu instid0(VALU_DEP_2) | instskip(NEXT) | instid1(VALU_DEP_1)
	v_and_b32_e32 v97, 0x7f, v87
	v_cmpx_ne_u32_e32 0x7f, v97
	s_cbranch_execz .LBB292_65
; %bb.62:                               ;   in Loop: Header=BB292_16 Depth=1
	v_and_b32_e32 v86, 7, v87
	v_lshrrev_b32_e32 v96, 3, v97
	s_mov_b32 s23, exec_lo
	v_cmpx_gt_u32_e32 8, v97
; %bb.63:                               ;   in Loop: Header=BB292_16 Depth=1
	s_delay_alu instid0(VALU_DEP_3) | instskip(NEXT) | instid1(VALU_DEP_1)
	v_clz_i32_u32_e32 v86, v86
	v_min_u32_e32 v86, 32, v86
	s_delay_alu instid0(VALU_DEP_1) | instskip(NEXT) | instid1(VALU_DEP_1)
	v_subrev_nc_u32_e32 v96, 28, v86
	v_lshlrev_b64_e32 v[97:98], v96, v[7:8]
	v_sub_nc_u32_e32 v96, 29, v86
	s_delay_alu instid0(VALU_DEP_2)
	v_and_b32_e32 v86, 7, v97
; %bb.64:                               ;   in Loop: Header=BB292_16 Depth=1
	s_wait_alu 0xfffe
	s_or_b32 exec_lo, exec_lo, s23
	v_lshlrev_b32_e32 v7, 8, v87
	v_lshl_add_u32 v87, v96, 10, 0x2000
	v_lshlrev_b32_e32 v86, 23, v86
	s_delay_alu instid0(VALU_DEP_2) | instskip(NEXT) | instid1(VALU_DEP_1)
	v_and_or_b32 v7, 0x8000, v7, v87
	v_lshl_or_b32 v86, v7, 16, v86
.LBB292_65:                             ;   in Loop: Header=BB292_16 Depth=1
	s_wait_alu 0xfffe
	s_or_b32 exec_lo, exec_lo, s22
.LBB292_66:                             ;   in Loop: Header=BB292_16 Depth=1
	s_wait_alu 0xfffe
	s_or_b32 exec_lo, exec_lo, s21
.LBB292_67:                             ;   in Loop: Header=BB292_16 Depth=1
	s_wait_alu 0xfffe
	s_or_b32 exec_lo, exec_lo, s20
	v_lshrrev_b32_e32 v7, 16, v32
	s_mov_b32 s20, exec_lo
	s_delay_alu instid0(VALU_DEP_1) | instskip(NEXT) | instid1(VALU_DEP_1)
	v_and_b32_e32 v87, 0xff, v7
	v_cmpx_ne_u16_e32 0, v87
	s_cbranch_execz .LBB292_75
; %bb.68:                               ;   in Loop: Header=BB292_16 Depth=1
	v_mov_b32_e32 v84, 0x8000
	s_mov_b32 s21, exec_lo
	v_cmpx_ne_u16_e32 0x80, v87
	s_cbranch_execz .LBB292_74
; %bb.69:                               ;   in Loop: Header=BB292_16 Depth=1
	v_bfe_u32 v96, v32, 16, 7
	v_mov_b32_e32 v84, 0x7c01
	s_mov_b32 s22, exec_lo
	s_delay_alu instid0(VALU_DEP_2)
	v_cmpx_ne_u32_e32 0x7f, v96
	s_cbranch_execz .LBB292_73
; %bb.70:                               ;   in Loop: Header=BB292_16 Depth=1
	v_and_b32_e32 v84, 7, v7
	v_lshrrev_b32_e32 v87, 3, v96
	s_mov_b32 s23, exec_lo
	v_cmpx_gt_u32_e32 8, v96
; %bb.71:                               ;   in Loop: Header=BB292_16 Depth=1
	s_delay_alu instid0(VALU_DEP_3) | instskip(NEXT) | instid1(VALU_DEP_1)
	v_clz_i32_u32_e32 v84, v84
	v_min_u32_e32 v84, 32, v84
	s_delay_alu instid0(VALU_DEP_1) | instskip(NEXT) | instid1(VALU_DEP_1)
	v_subrev_nc_u32_e32 v87, 28, v84
	v_lshlrev_b64_e32 v[96:97], v87, v[7:8]
	v_sub_nc_u32_e32 v87, 29, v84
	s_delay_alu instid0(VALU_DEP_2)
	v_and_b32_e32 v84, 7, v96
; %bb.72:                               ;   in Loop: Header=BB292_16 Depth=1
	s_wait_alu 0xfffe
	s_or_b32 exec_lo, exec_lo, s23
	v_lshlrev_b32_e32 v7, 8, v7
	v_lshl_add_u32 v87, v87, 10, 0x2000
	v_lshlrev_b32_e32 v84, 7, v84
	s_delay_alu instid0(VALU_DEP_3) | instskip(NEXT) | instid1(VALU_DEP_3)
	v_and_b32_e32 v7, 0x8000, v7
	v_and_b32_e32 v87, 0xfc00, v87
	s_delay_alu instid0(VALU_DEP_1)
	v_or3_b32 v84, v7, v87, v84
.LBB292_73:                             ;   in Loop: Header=BB292_16 Depth=1
	s_wait_alu 0xfffe
	s_or_b32 exec_lo, exec_lo, s22
.LBB292_74:                             ;   in Loop: Header=BB292_16 Depth=1
	s_wait_alu 0xfffe
	s_or_b32 exec_lo, exec_lo, s21
.LBB292_75:                             ;   in Loop: Header=BB292_16 Depth=1
	s_wait_alu 0xfffe
	s_or_b32 exec_lo, exec_lo, s20
	v_dual_mov_b32 v96, 0 :: v_dual_mov_b32 v87, 0
	s_mov_b32 s20, exec_lo
	v_cmpx_lt_u64_e64 s[10:11], v[31:32]
	s_cbranch_execz .LBB292_83
; %bb.76:                               ;   in Loop: Header=BB292_16 Depth=1
	v_lshrrev_b32_e32 v7, 24, v32
	v_bfrev_b32_e32 v87, 1
	s_mov_b32 s21, exec_lo
	s_delay_alu instid0(VALU_DEP_2)
	v_cmpx_ne_u32_e32 0x80, v7
	s_cbranch_execz .LBB292_82
; %bb.77:                               ;   in Loop: Header=BB292_16 Depth=1
	v_and_b32_e32 v97, 0x7f, v7
	v_mov_b32_e32 v87, 0x7c010000
	s_mov_b32 s22, exec_lo
	s_delay_alu instid0(VALU_DEP_2)
	v_cmpx_ne_u32_e32 0x7f, v97
	s_cbranch_execz .LBB292_81
; %bb.78:                               ;   in Loop: Header=BB292_16 Depth=1
	v_and_b32_e32 v31, 7, v7
	v_lshrrev_b32_e32 v32, 3, v97
	s_mov_b32 s23, exec_lo
	v_cmpx_gt_u32_e32 8, v97
; %bb.79:                               ;   in Loop: Header=BB292_16 Depth=1
	s_delay_alu instid0(VALU_DEP_3) | instskip(NEXT) | instid1(VALU_DEP_1)
	v_clz_i32_u32_e32 v31, v31
	v_min_u32_e32 v87, 32, v31
	s_delay_alu instid0(VALU_DEP_1) | instskip(NEXT) | instid1(VALU_DEP_1)
	v_subrev_nc_u32_e32 v31, 28, v87
	v_lshlrev_b64_e32 v[31:32], v31, v[7:8]
	v_sub_nc_u32_e32 v32, 29, v87
	s_delay_alu instid0(VALU_DEP_2)
	v_and_b32_e32 v31, 7, v31
; %bb.80:                               ;   in Loop: Header=BB292_16 Depth=1
	s_wait_alu 0xfffe
	s_or_b32 exec_lo, exec_lo, s23
	v_lshlrev_b32_e32 v7, 8, v7
	v_lshl_add_u32 v32, v32, 10, 0x2000
	v_lshlrev_b32_e32 v31, 23, v31
	s_delay_alu instid0(VALU_DEP_2) | instskip(NEXT) | instid1(VALU_DEP_1)
	v_and_or_b32 v7, 0x8000, v7, v32
	v_lshl_or_b32 v87, v7, 16, v31
.LBB292_81:                             ;   in Loop: Header=BB292_16 Depth=1
	s_wait_alu 0xfffe
	s_or_b32 exec_lo, exec_lo, s22
.LBB292_82:                             ;   in Loop: Header=BB292_16 Depth=1
	s_wait_alu 0xfffe
	s_or_b32 exec_lo, exec_lo, s21
.LBB292_83:                             ;   in Loop: Header=BB292_16 Depth=1
	s_wait_alu 0xfffe
	s_or_b32 exec_lo, exec_lo, s20
	flat_load_b64 v[31:32], v[28:29] offset:8
	s_mov_b32 s20, exec_lo
	s_wait_loadcnt_dscnt 0x0
	v_and_b32_e32 v7, 0xff, v31
	s_delay_alu instid0(VALU_DEP_1)
	v_cmpx_ne_u16_e32 0, v7
	s_cbranch_execz .LBB292_91
; %bb.84:                               ;   in Loop: Header=BB292_16 Depth=1
	v_mov_b32_e32 v96, 0x8000
	s_mov_b32 s21, exec_lo
	v_cmpx_ne_u16_e32 0x80, v7
	s_cbranch_execz .LBB292_90
; %bb.85:                               ;   in Loop: Header=BB292_16 Depth=1
	v_and_b32_e32 v97, 0x7f, v31
	v_mov_b32_e32 v96, 0x7c01
	s_mov_b32 s22, exec_lo
	s_delay_alu instid0(VALU_DEP_2)
	v_cmpx_ne_u32_e32 0x7f, v97
	s_cbranch_execz .LBB292_89
; %bb.86:                               ;   in Loop: Header=BB292_16 Depth=1
	v_and_b32_e32 v7, 7, v31
	v_lshrrev_b32_e32 v96, 3, v97
	s_mov_b32 s23, exec_lo
	v_cmpx_gt_u32_e32 8, v97
; %bb.87:                               ;   in Loop: Header=BB292_16 Depth=1
	s_delay_alu instid0(VALU_DEP_3) | instskip(NEXT) | instid1(VALU_DEP_1)
	v_clz_i32_u32_e32 v7, v7
	v_min_u32_e32 v7, 32, v7
	s_delay_alu instid0(VALU_DEP_1) | instskip(NEXT) | instid1(VALU_DEP_1)
	v_subrev_nc_u32_e32 v96, 28, v7
	v_lshlrev_b64_e32 v[97:98], v96, v[31:32]
	v_sub_nc_u32_e32 v96, 29, v7
	s_delay_alu instid0(VALU_DEP_2)
	v_and_b32_e32 v7, 7, v97
; %bb.88:                               ;   in Loop: Header=BB292_16 Depth=1
	s_wait_alu 0xfffe
	s_or_b32 exec_lo, exec_lo, s23
	v_lshlrev_b32_e32 v97, 8, v31
	v_lshl_add_u32 v96, v96, 10, 0x2000
	v_lshlrev_b32_e32 v7, 7, v7
	s_delay_alu instid0(VALU_DEP_3) | instskip(NEXT) | instid1(VALU_DEP_3)
	v_and_b32_e32 v97, 0x8000, v97
	v_and_b32_e32 v96, 0xfc00, v96
	s_delay_alu instid0(VALU_DEP_1)
	v_or3_b32 v96, v97, v96, v7
.LBB292_89:                             ;   in Loop: Header=BB292_16 Depth=1
	s_wait_alu 0xfffe
	s_or_b32 exec_lo, exec_lo, s22
.LBB292_90:                             ;   in Loop: Header=BB292_16 Depth=1
	s_wait_alu 0xfffe
	s_or_b32 exec_lo, exec_lo, s21
.LBB292_91:                             ;   in Loop: Header=BB292_16 Depth=1
	s_wait_alu 0xfffe
	s_or_b32 exec_lo, exec_lo, s20
	v_lshrrev_b16 v7, 8, v31
	v_dual_mov_b32 v98, 0 :: v_dual_mov_b32 v97, 0
	s_mov_b32 s20, exec_lo
	s_delay_alu instid0(VALU_DEP_2)
	v_cmpx_ne_u16_e32 0, v7
	s_cbranch_execz .LBB292_99
; %bb.92:                               ;   in Loop: Header=BB292_16 Depth=1
	v_bfrev_b32_e32 v97, 1
	s_mov_b32 s21, exec_lo
	v_cmpx_ne_u16_e32 0x80, v7
	s_cbranch_execz .LBB292_98
; %bb.93:                               ;   in Loop: Header=BB292_16 Depth=1
	v_and_b32_e32 v99, 0xffff, v7
	v_mov_b32_e32 v97, 0x7c010000
	s_mov_b32 s22, exec_lo
	s_delay_alu instid0(VALU_DEP_2) | instskip(NEXT) | instid1(VALU_DEP_1)
	v_and_b32_e32 v101, 0x7f, v99
	v_cmpx_ne_u32_e32 0x7f, v101
	s_cbranch_execz .LBB292_97
; %bb.94:                               ;   in Loop: Header=BB292_16 Depth=1
	v_and_b32_e32 v97, 7, v99
	v_lshrrev_b32_e32 v100, 3, v101
	s_mov_b32 s23, exec_lo
	v_cmpx_gt_u32_e32 8, v101
; %bb.95:                               ;   in Loop: Header=BB292_16 Depth=1
	s_delay_alu instid0(VALU_DEP_3) | instskip(NEXT) | instid1(VALU_DEP_1)
	v_clz_i32_u32_e32 v97, v97
	v_min_u32_e32 v97, 32, v97
	s_delay_alu instid0(VALU_DEP_1) | instskip(NEXT) | instid1(VALU_DEP_1)
	v_subrev_nc_u32_e32 v100, 28, v97
	v_lshlrev_b64_e32 v[101:102], v100, v[7:8]
	v_sub_nc_u32_e32 v100, 29, v97
	s_delay_alu instid0(VALU_DEP_2)
	v_and_b32_e32 v97, 7, v101
; %bb.96:                               ;   in Loop: Header=BB292_16 Depth=1
	s_wait_alu 0xfffe
	s_or_b32 exec_lo, exec_lo, s23
	v_lshlrev_b32_e32 v7, 8, v99
	v_lshl_add_u32 v99, v100, 10, 0x2000
	v_lshlrev_b32_e32 v97, 23, v97
	s_delay_alu instid0(VALU_DEP_2) | instskip(NEXT) | instid1(VALU_DEP_1)
	v_and_or_b32 v7, 0x8000, v7, v99
	v_lshl_or_b32 v97, v7, 16, v97
.LBB292_97:                             ;   in Loop: Header=BB292_16 Depth=1
	s_wait_alu 0xfffe
	s_or_b32 exec_lo, exec_lo, s22
.LBB292_98:                             ;   in Loop: Header=BB292_16 Depth=1
	s_wait_alu 0xfffe
	s_or_b32 exec_lo, exec_lo, s21
.LBB292_99:                             ;   in Loop: Header=BB292_16 Depth=1
	s_wait_alu 0xfffe
	s_or_b32 exec_lo, exec_lo, s20
	v_lshrrev_b32_e32 v7, 16, v31
	s_mov_b32 s20, exec_lo
	s_delay_alu instid0(VALU_DEP_1) | instskip(NEXT) | instid1(VALU_DEP_1)
	v_and_b32_e32 v99, 0xff, v7
	v_cmpx_ne_u16_e32 0, v99
	s_cbranch_execz .LBB292_107
; %bb.100:                              ;   in Loop: Header=BB292_16 Depth=1
	v_mov_b32_e32 v98, 0x8000
	s_mov_b32 s21, exec_lo
	v_cmpx_ne_u16_e32 0x80, v99
	s_cbranch_execz .LBB292_106
; %bb.101:                              ;   in Loop: Header=BB292_16 Depth=1
	v_bfe_u32 v100, v31, 16, 7
	v_mov_b32_e32 v98, 0x7c01
	s_mov_b32 s22, exec_lo
	s_delay_alu instid0(VALU_DEP_2)
	v_cmpx_ne_u32_e32 0x7f, v100
	s_cbranch_execz .LBB292_105
; %bb.102:                              ;   in Loop: Header=BB292_16 Depth=1
	v_and_b32_e32 v98, 7, v7
	v_lshrrev_b32_e32 v99, 3, v100
	s_mov_b32 s23, exec_lo
	v_cmpx_gt_u32_e32 8, v100
; %bb.103:                              ;   in Loop: Header=BB292_16 Depth=1
	s_delay_alu instid0(VALU_DEP_3) | instskip(NEXT) | instid1(VALU_DEP_1)
	v_clz_i32_u32_e32 v98, v98
	v_min_u32_e32 v100, 32, v98
	s_delay_alu instid0(VALU_DEP_1) | instskip(NEXT) | instid1(VALU_DEP_1)
	v_subrev_nc_u32_e32 v98, 28, v100
	v_lshlrev_b64_e32 v[98:99], v98, v[7:8]
	v_sub_nc_u32_e32 v99, 29, v100
	s_delay_alu instid0(VALU_DEP_2)
	v_and_b32_e32 v98, 7, v98
; %bb.104:                              ;   in Loop: Header=BB292_16 Depth=1
	s_wait_alu 0xfffe
	s_or_b32 exec_lo, exec_lo, s23
	v_lshlrev_b32_e32 v7, 8, v7
	v_lshl_add_u32 v99, v99, 10, 0x2000
	v_lshlrev_b32_e32 v98, 7, v98
	s_delay_alu instid0(VALU_DEP_3) | instskip(NEXT) | instid1(VALU_DEP_3)
	v_and_b32_e32 v7, 0x8000, v7
	v_and_b32_e32 v99, 0xfc00, v99
	s_delay_alu instid0(VALU_DEP_1)
	v_or3_b32 v98, v7, v99, v98
.LBB292_105:                            ;   in Loop: Header=BB292_16 Depth=1
	s_wait_alu 0xfffe
	s_or_b32 exec_lo, exec_lo, s22
.LBB292_106:                            ;   in Loop: Header=BB292_16 Depth=1
	s_wait_alu 0xfffe
	s_or_b32 exec_lo, exec_lo, s21
.LBB292_107:                            ;   in Loop: Header=BB292_16 Depth=1
	s_wait_alu 0xfffe
	s_or_b32 exec_lo, exec_lo, s20
	v_dual_mov_b32 v99, 0 :: v_dual_mov_b32 v100, 0
	s_mov_b32 s20, exec_lo
	v_cmpx_lt_u32_e32 0xffffff, v31
	s_cbranch_execz .LBB292_115
; %bb.108:                              ;   in Loop: Header=BB292_16 Depth=1
	v_lshrrev_b32_e32 v7, 24, v31
	v_bfrev_b32_e32 v100, 1
	s_mov_b32 s21, exec_lo
	s_delay_alu instid0(VALU_DEP_2)
	v_cmpx_ne_u32_e32 0x80, v7
	s_cbranch_execz .LBB292_114
; %bb.109:                              ;   in Loop: Header=BB292_16 Depth=1
	v_and_b32_e32 v102, 0x7f, v7
	v_mov_b32_e32 v100, 0x7c010000
	s_mov_b32 s22, exec_lo
	s_delay_alu instid0(VALU_DEP_2)
	v_cmpx_ne_u32_e32 0x7f, v102
	s_cbranch_execz .LBB292_113
; %bb.110:                              ;   in Loop: Header=BB292_16 Depth=1
	v_and_b32_e32 v100, 7, v7
	v_lshrrev_b32_e32 v101, 3, v102
	s_mov_b32 s23, exec_lo
	v_cmpx_gt_u32_e32 8, v102
; %bb.111:                              ;   in Loop: Header=BB292_16 Depth=1
	s_delay_alu instid0(VALU_DEP_3) | instskip(NEXT) | instid1(VALU_DEP_1)
	v_clz_i32_u32_e32 v100, v100
	v_min_u32_e32 v102, 32, v100
	s_delay_alu instid0(VALU_DEP_1) | instskip(NEXT) | instid1(VALU_DEP_1)
	v_subrev_nc_u32_e32 v100, 28, v102
	v_lshlrev_b64_e32 v[100:101], v100, v[7:8]
	v_sub_nc_u32_e32 v101, 29, v102
	s_delay_alu instid0(VALU_DEP_2)
	v_and_b32_e32 v100, 7, v100
; %bb.112:                              ;   in Loop: Header=BB292_16 Depth=1
	s_wait_alu 0xfffe
	s_or_b32 exec_lo, exec_lo, s23
	v_lshlrev_b32_e32 v7, 8, v7
	v_lshl_add_u32 v101, v101, 10, 0x2000
	v_lshlrev_b32_e32 v100, 23, v100
	s_delay_alu instid0(VALU_DEP_2) | instskip(NEXT) | instid1(VALU_DEP_1)
	v_and_or_b32 v7, 0x8000, v7, v101
	v_lshl_or_b32 v100, v7, 16, v100
.LBB292_113:                            ;   in Loop: Header=BB292_16 Depth=1
	s_wait_alu 0xfffe
	s_or_b32 exec_lo, exec_lo, s22
.LBB292_114:                            ;   in Loop: Header=BB292_16 Depth=1
	s_wait_alu 0xfffe
	s_or_b32 exec_lo, exec_lo, s21
.LBB292_115:                            ;   in Loop: Header=BB292_16 Depth=1
	s_wait_alu 0xfffe
	s_or_b32 exec_lo, exec_lo, s20
	v_and_b32_e32 v101, 0xff, v32
	v_mov_b32_e32 v7, v32
	s_mov_b32 s20, exec_lo
	s_delay_alu instid0(VALU_DEP_2)
	v_cmpx_ne_u16_e32 0, v101
	s_cbranch_execz .LBB292_123
; %bb.116:                              ;   in Loop: Header=BB292_16 Depth=1
	v_mov_b32_e32 v99, 0x8000
	s_mov_b32 s21, exec_lo
	v_cmpx_ne_u16_e32 0x80, v101
	s_cbranch_execz .LBB292_122
; %bb.117:                              ;   in Loop: Header=BB292_16 Depth=1
	v_and_b32_e32 v102, 0x7f, v32
	v_mov_b32_e32 v99, 0x7c01
	s_mov_b32 s22, exec_lo
	s_delay_alu instid0(VALU_DEP_2)
	v_cmpx_ne_u32_e32 0x7f, v102
	s_cbranch_execz .LBB292_121
; %bb.118:                              ;   in Loop: Header=BB292_16 Depth=1
	v_and_b32_e32 v99, 7, v32
	v_lshrrev_b32_e32 v101, 3, v102
	s_mov_b32 s23, exec_lo
	v_cmpx_gt_u32_e32 8, v102
; %bb.119:                              ;   in Loop: Header=BB292_16 Depth=1
	s_delay_alu instid0(VALU_DEP_3) | instskip(NEXT) | instid1(VALU_DEP_1)
	v_clz_i32_u32_e32 v99, v99
	v_min_u32_e32 v99, 32, v99
	s_delay_alu instid0(VALU_DEP_1) | instskip(NEXT) | instid1(VALU_DEP_1)
	v_subrev_nc_u32_e32 v101, 28, v99
	v_lshlrev_b64_e32 v[102:103], v101, v[7:8]
	v_sub_nc_u32_e32 v101, 29, v99
	s_delay_alu instid0(VALU_DEP_2)
	v_and_b32_e32 v99, 7, v102
; %bb.120:                              ;   in Loop: Header=BB292_16 Depth=1
	s_wait_alu 0xfffe
	s_or_b32 exec_lo, exec_lo, s23
	v_lshlrev_b32_e32 v102, 8, v32
	v_lshl_add_u32 v101, v101, 10, 0x2000
	v_lshlrev_b32_e32 v99, 7, v99
	s_delay_alu instid0(VALU_DEP_3) | instskip(NEXT) | instid1(VALU_DEP_3)
	v_and_b32_e32 v102, 0x8000, v102
	v_and_b32_e32 v101, 0xfc00, v101
	s_delay_alu instid0(VALU_DEP_1)
	v_or3_b32 v99, v102, v101, v99
.LBB292_121:                            ;   in Loop: Header=BB292_16 Depth=1
	s_wait_alu 0xfffe
	s_or_b32 exec_lo, exec_lo, s22
.LBB292_122:                            ;   in Loop: Header=BB292_16 Depth=1
	s_wait_alu 0xfffe
	s_or_b32 exec_lo, exec_lo, s21
.LBB292_123:                            ;   in Loop: Header=BB292_16 Depth=1
	s_wait_alu 0xfffe
	s_or_b32 exec_lo, exec_lo, s20
	v_lshrrev_b16 v7, 8, v7
	v_dual_mov_b32 v101, 0 :: v_dual_mov_b32 v102, 0
	s_mov_b32 s20, exec_lo
	s_delay_alu instid0(VALU_DEP_2)
	v_cmpx_ne_u16_e32 0, v7
	s_cbranch_execz .LBB292_131
; %bb.124:                              ;   in Loop: Header=BB292_16 Depth=1
	v_bfrev_b32_e32 v102, 1
	s_mov_b32 s21, exec_lo
	v_cmpx_ne_u16_e32 0x80, v7
	s_cbranch_execz .LBB292_130
; %bb.125:                              ;   in Loop: Header=BB292_16 Depth=1
	v_and_b32_e32 v103, 0xffff, v7
	v_mov_b32_e32 v102, 0x7c010000
	s_mov_b32 s22, exec_lo
	s_delay_alu instid0(VALU_DEP_2) | instskip(NEXT) | instid1(VALU_DEP_1)
	v_and_b32_e32 v113, 0x7f, v103
	v_cmpx_ne_u32_e32 0x7f, v113
	s_cbranch_execz .LBB292_129
; %bb.126:                              ;   in Loop: Header=BB292_16 Depth=1
	v_and_b32_e32 v102, 7, v103
	v_lshrrev_b32_e32 v112, 3, v113
	s_mov_b32 s23, exec_lo
	v_cmpx_gt_u32_e32 8, v113
; %bb.127:                              ;   in Loop: Header=BB292_16 Depth=1
	s_delay_alu instid0(VALU_DEP_3) | instskip(NEXT) | instid1(VALU_DEP_1)
	v_clz_i32_u32_e32 v102, v102
	v_min_u32_e32 v102, 32, v102
	s_delay_alu instid0(VALU_DEP_1) | instskip(NEXT) | instid1(VALU_DEP_1)
	v_subrev_nc_u32_e32 v112, 28, v102
	v_lshlrev_b64_e32 v[113:114], v112, v[7:8]
	v_sub_nc_u32_e32 v112, 29, v102
	s_delay_alu instid0(VALU_DEP_2)
	v_and_b32_e32 v102, 7, v113
; %bb.128:                              ;   in Loop: Header=BB292_16 Depth=1
	s_wait_alu 0xfffe
	s_or_b32 exec_lo, exec_lo, s23
	v_lshlrev_b32_e32 v7, 8, v103
	v_lshl_add_u32 v103, v112, 10, 0x2000
	v_lshlrev_b32_e32 v102, 23, v102
	s_delay_alu instid0(VALU_DEP_2) | instskip(NEXT) | instid1(VALU_DEP_1)
	v_and_or_b32 v7, 0x8000, v7, v103
	v_lshl_or_b32 v102, v7, 16, v102
.LBB292_129:                            ;   in Loop: Header=BB292_16 Depth=1
	s_wait_alu 0xfffe
	s_or_b32 exec_lo, exec_lo, s22
.LBB292_130:                            ;   in Loop: Header=BB292_16 Depth=1
	s_wait_alu 0xfffe
	s_or_b32 exec_lo, exec_lo, s21
.LBB292_131:                            ;   in Loop: Header=BB292_16 Depth=1
	s_wait_alu 0xfffe
	s_or_b32 exec_lo, exec_lo, s20
	v_lshrrev_b32_e32 v7, 16, v32
	s_mov_b32 s20, exec_lo
	s_delay_alu instid0(VALU_DEP_1) | instskip(NEXT) | instid1(VALU_DEP_1)
	v_and_b32_e32 v103, 0xff, v7
	v_cmpx_ne_u16_e32 0, v103
	s_cbranch_execz .LBB292_139
; %bb.132:                              ;   in Loop: Header=BB292_16 Depth=1
	v_mov_b32_e32 v101, 0x8000
	s_mov_b32 s21, exec_lo
	v_cmpx_ne_u16_e32 0x80, v103
	s_cbranch_execz .LBB292_138
; %bb.133:                              ;   in Loop: Header=BB292_16 Depth=1
	v_bfe_u32 v112, v32, 16, 7
	v_mov_b32_e32 v101, 0x7c01
	s_mov_b32 s22, exec_lo
	s_delay_alu instid0(VALU_DEP_2)
	v_cmpx_ne_u32_e32 0x7f, v112
	s_cbranch_execz .LBB292_137
; %bb.134:                              ;   in Loop: Header=BB292_16 Depth=1
	v_and_b32_e32 v101, 7, v7
	v_lshrrev_b32_e32 v103, 3, v112
	s_mov_b32 s23, exec_lo
	v_cmpx_gt_u32_e32 8, v112
; %bb.135:                              ;   in Loop: Header=BB292_16 Depth=1
	s_delay_alu instid0(VALU_DEP_3) | instskip(NEXT) | instid1(VALU_DEP_1)
	v_clz_i32_u32_e32 v101, v101
	v_min_u32_e32 v101, 32, v101
	s_delay_alu instid0(VALU_DEP_1) | instskip(NEXT) | instid1(VALU_DEP_1)
	v_subrev_nc_u32_e32 v103, 28, v101
	v_lshlrev_b64_e32 v[112:113], v103, v[7:8]
	v_sub_nc_u32_e32 v103, 29, v101
	s_delay_alu instid0(VALU_DEP_2)
	v_and_b32_e32 v101, 7, v112
; %bb.136:                              ;   in Loop: Header=BB292_16 Depth=1
	s_wait_alu 0xfffe
	s_or_b32 exec_lo, exec_lo, s23
	v_lshlrev_b32_e32 v7, 8, v7
	v_lshl_add_u32 v103, v103, 10, 0x2000
	v_lshlrev_b32_e32 v101, 7, v101
	s_delay_alu instid0(VALU_DEP_3) | instskip(NEXT) | instid1(VALU_DEP_3)
	v_and_b32_e32 v7, 0x8000, v7
	v_and_b32_e32 v103, 0xfc00, v103
	s_delay_alu instid0(VALU_DEP_1)
	v_or3_b32 v101, v7, v103, v101
.LBB292_137:                            ;   in Loop: Header=BB292_16 Depth=1
	s_wait_alu 0xfffe
	s_or_b32 exec_lo, exec_lo, s22
.LBB292_138:                            ;   in Loop: Header=BB292_16 Depth=1
	s_wait_alu 0xfffe
	s_or_b32 exec_lo, exec_lo, s21
.LBB292_139:                            ;   in Loop: Header=BB292_16 Depth=1
	s_wait_alu 0xfffe
	s_or_b32 exec_lo, exec_lo, s20
	v_dual_mov_b32 v112, 0 :: v_dual_mov_b32 v103, 0
	s_mov_b32 s20, exec_lo
	v_cmpx_lt_u64_e64 s[10:11], v[31:32]
	s_cbranch_execz .LBB292_147
; %bb.140:                              ;   in Loop: Header=BB292_16 Depth=1
	v_lshrrev_b32_e32 v7, 24, v32
	v_bfrev_b32_e32 v103, 1
	s_mov_b32 s21, exec_lo
	s_delay_alu instid0(VALU_DEP_2)
	v_cmpx_ne_u32_e32 0x80, v7
	s_cbranch_execz .LBB292_146
; %bb.141:                              ;   in Loop: Header=BB292_16 Depth=1
	v_and_b32_e32 v113, 0x7f, v7
	v_mov_b32_e32 v103, 0x7c010000
	s_mov_b32 s22, exec_lo
	s_delay_alu instid0(VALU_DEP_2)
	v_cmpx_ne_u32_e32 0x7f, v113
	s_cbranch_execz .LBB292_145
; %bb.142:                              ;   in Loop: Header=BB292_16 Depth=1
	v_and_b32_e32 v31, 7, v7
	v_lshrrev_b32_e32 v32, 3, v113
	s_mov_b32 s23, exec_lo
	v_cmpx_gt_u32_e32 8, v113
; %bb.143:                              ;   in Loop: Header=BB292_16 Depth=1
	s_delay_alu instid0(VALU_DEP_3) | instskip(NEXT) | instid1(VALU_DEP_1)
	v_clz_i32_u32_e32 v31, v31
	v_min_u32_e32 v103, 32, v31
	s_delay_alu instid0(VALU_DEP_1) | instskip(NEXT) | instid1(VALU_DEP_1)
	v_subrev_nc_u32_e32 v31, 28, v103
	v_lshlrev_b64_e32 v[31:32], v31, v[7:8]
	v_sub_nc_u32_e32 v32, 29, v103
	s_delay_alu instid0(VALU_DEP_2)
	v_and_b32_e32 v31, 7, v31
; %bb.144:                              ;   in Loop: Header=BB292_16 Depth=1
	s_wait_alu 0xfffe
	s_or_b32 exec_lo, exec_lo, s23
	v_lshlrev_b32_e32 v7, 8, v7
	v_lshl_add_u32 v32, v32, 10, 0x2000
	v_lshlrev_b32_e32 v31, 23, v31
	s_delay_alu instid0(VALU_DEP_2) | instskip(NEXT) | instid1(VALU_DEP_1)
	v_and_or_b32 v7, 0x8000, v7, v32
	v_lshl_or_b32 v103, v7, 16, v31
.LBB292_145:                            ;   in Loop: Header=BB292_16 Depth=1
	s_wait_alu 0xfffe
	s_or_b32 exec_lo, exec_lo, s22
.LBB292_146:                            ;   in Loop: Header=BB292_16 Depth=1
	s_wait_alu 0xfffe
	s_or_b32 exec_lo, exec_lo, s21
.LBB292_147:                            ;   in Loop: Header=BB292_16 Depth=1
	s_wait_alu 0xfffe
	s_or_b32 exec_lo, exec_lo, s20
	flat_load_b64 v[31:32], v[28:29] offset:512
	s_mov_b32 s20, exec_lo
	s_wait_loadcnt_dscnt 0x0
	v_and_b32_e32 v7, 0xff, v31
	s_delay_alu instid0(VALU_DEP_1)
	v_cmpx_ne_u16_e32 0, v7
	s_cbranch_execz .LBB292_155
; %bb.148:                              ;   in Loop: Header=BB292_16 Depth=1
	v_mov_b32_e32 v112, 0x8000
	s_mov_b32 s21, exec_lo
	v_cmpx_ne_u16_e32 0x80, v7
	s_cbranch_execz .LBB292_154
; %bb.149:                              ;   in Loop: Header=BB292_16 Depth=1
	v_and_b32_e32 v113, 0x7f, v31
	v_mov_b32_e32 v112, 0x7c01
	s_mov_b32 s22, exec_lo
	s_delay_alu instid0(VALU_DEP_2)
	v_cmpx_ne_u32_e32 0x7f, v113
	s_cbranch_execz .LBB292_153
; %bb.150:                              ;   in Loop: Header=BB292_16 Depth=1
	v_and_b32_e32 v7, 7, v31
	v_lshrrev_b32_e32 v112, 3, v113
	s_mov_b32 s23, exec_lo
	v_cmpx_gt_u32_e32 8, v113
; %bb.151:                              ;   in Loop: Header=BB292_16 Depth=1
	s_delay_alu instid0(VALU_DEP_3) | instskip(NEXT) | instid1(VALU_DEP_1)
	v_clz_i32_u32_e32 v7, v7
	v_min_u32_e32 v7, 32, v7
	s_delay_alu instid0(VALU_DEP_1) | instskip(NEXT) | instid1(VALU_DEP_1)
	v_subrev_nc_u32_e32 v112, 28, v7
	v_lshlrev_b64_e32 v[113:114], v112, v[31:32]
	v_sub_nc_u32_e32 v112, 29, v7
	s_delay_alu instid0(VALU_DEP_2)
	v_and_b32_e32 v7, 7, v113
; %bb.152:                              ;   in Loop: Header=BB292_16 Depth=1
	s_wait_alu 0xfffe
	s_or_b32 exec_lo, exec_lo, s23
	v_lshlrev_b32_e32 v113, 8, v31
	v_lshl_add_u32 v112, v112, 10, 0x2000
	v_lshlrev_b32_e32 v7, 7, v7
	s_delay_alu instid0(VALU_DEP_3) | instskip(NEXT) | instid1(VALU_DEP_3)
	v_and_b32_e32 v113, 0x8000, v113
	v_and_b32_e32 v112, 0xfc00, v112
	s_delay_alu instid0(VALU_DEP_1)
	v_or3_b32 v112, v113, v112, v7
.LBB292_153:                            ;   in Loop: Header=BB292_16 Depth=1
	s_wait_alu 0xfffe
	s_or_b32 exec_lo, exec_lo, s22
.LBB292_154:                            ;   in Loop: Header=BB292_16 Depth=1
	s_wait_alu 0xfffe
	s_or_b32 exec_lo, exec_lo, s21
.LBB292_155:                            ;   in Loop: Header=BB292_16 Depth=1
	s_wait_alu 0xfffe
	s_or_b32 exec_lo, exec_lo, s20
	v_lshrrev_b16 v7, 8, v31
	v_dual_mov_b32 v114, 0 :: v_dual_mov_b32 v113, 0
	s_mov_b32 s20, exec_lo
	s_delay_alu instid0(VALU_DEP_2)
	v_cmpx_ne_u16_e32 0, v7
	s_cbranch_execz .LBB292_163
; %bb.156:                              ;   in Loop: Header=BB292_16 Depth=1
	v_bfrev_b32_e32 v113, 1
	s_mov_b32 s21, exec_lo
	v_cmpx_ne_u16_e32 0x80, v7
	s_cbranch_execz .LBB292_162
; %bb.157:                              ;   in Loop: Header=BB292_16 Depth=1
	v_and_b32_e32 v115, 0xffff, v7
	v_mov_b32_e32 v113, 0x7c010000
	s_mov_b32 s22, exec_lo
	s_delay_alu instid0(VALU_DEP_2) | instskip(NEXT) | instid1(VALU_DEP_1)
	v_and_b32_e32 v117, 0x7f, v115
	v_cmpx_ne_u32_e32 0x7f, v117
	s_cbranch_execz .LBB292_161
; %bb.158:                              ;   in Loop: Header=BB292_16 Depth=1
	v_and_b32_e32 v113, 7, v115
	v_lshrrev_b32_e32 v116, 3, v117
	s_mov_b32 s23, exec_lo
	v_cmpx_gt_u32_e32 8, v117
; %bb.159:                              ;   in Loop: Header=BB292_16 Depth=1
	s_delay_alu instid0(VALU_DEP_3) | instskip(NEXT) | instid1(VALU_DEP_1)
	v_clz_i32_u32_e32 v113, v113
	v_min_u32_e32 v113, 32, v113
	s_delay_alu instid0(VALU_DEP_1) | instskip(NEXT) | instid1(VALU_DEP_1)
	v_subrev_nc_u32_e32 v116, 28, v113
	v_lshlrev_b64_e32 v[117:118], v116, v[7:8]
	v_sub_nc_u32_e32 v116, 29, v113
	s_delay_alu instid0(VALU_DEP_2)
	v_and_b32_e32 v113, 7, v117
; %bb.160:                              ;   in Loop: Header=BB292_16 Depth=1
	s_wait_alu 0xfffe
	s_or_b32 exec_lo, exec_lo, s23
	v_lshlrev_b32_e32 v7, 8, v115
	v_lshl_add_u32 v115, v116, 10, 0x2000
	v_lshlrev_b32_e32 v113, 23, v113
	s_delay_alu instid0(VALU_DEP_2) | instskip(NEXT) | instid1(VALU_DEP_1)
	v_and_or_b32 v7, 0x8000, v7, v115
	v_lshl_or_b32 v113, v7, 16, v113
.LBB292_161:                            ;   in Loop: Header=BB292_16 Depth=1
	s_wait_alu 0xfffe
	s_or_b32 exec_lo, exec_lo, s22
.LBB292_162:                            ;   in Loop: Header=BB292_16 Depth=1
	s_wait_alu 0xfffe
	s_or_b32 exec_lo, exec_lo, s21
.LBB292_163:                            ;   in Loop: Header=BB292_16 Depth=1
	s_wait_alu 0xfffe
	s_or_b32 exec_lo, exec_lo, s20
	v_lshrrev_b32_e32 v7, 16, v31
	s_mov_b32 s20, exec_lo
	s_delay_alu instid0(VALU_DEP_1) | instskip(NEXT) | instid1(VALU_DEP_1)
	v_and_b32_e32 v115, 0xff, v7
	v_cmpx_ne_u16_e32 0, v115
	s_cbranch_execz .LBB292_171
; %bb.164:                              ;   in Loop: Header=BB292_16 Depth=1
	v_mov_b32_e32 v114, 0x8000
	s_mov_b32 s21, exec_lo
	v_cmpx_ne_u16_e32 0x80, v115
	s_cbranch_execz .LBB292_170
; %bb.165:                              ;   in Loop: Header=BB292_16 Depth=1
	v_bfe_u32 v116, v31, 16, 7
	v_mov_b32_e32 v114, 0x7c01
	s_mov_b32 s22, exec_lo
	s_delay_alu instid0(VALU_DEP_2)
	v_cmpx_ne_u32_e32 0x7f, v116
	s_cbranch_execz .LBB292_169
; %bb.166:                              ;   in Loop: Header=BB292_16 Depth=1
	v_and_b32_e32 v114, 7, v7
	v_lshrrev_b32_e32 v115, 3, v116
	s_mov_b32 s23, exec_lo
	v_cmpx_gt_u32_e32 8, v116
; %bb.167:                              ;   in Loop: Header=BB292_16 Depth=1
	s_delay_alu instid0(VALU_DEP_3) | instskip(NEXT) | instid1(VALU_DEP_1)
	v_clz_i32_u32_e32 v114, v114
	v_min_u32_e32 v116, 32, v114
	s_delay_alu instid0(VALU_DEP_1) | instskip(NEXT) | instid1(VALU_DEP_1)
	v_subrev_nc_u32_e32 v114, 28, v116
	v_lshlrev_b64_e32 v[114:115], v114, v[7:8]
	v_sub_nc_u32_e32 v115, 29, v116
	s_delay_alu instid0(VALU_DEP_2)
	v_and_b32_e32 v114, 7, v114
; %bb.168:                              ;   in Loop: Header=BB292_16 Depth=1
	s_wait_alu 0xfffe
	s_or_b32 exec_lo, exec_lo, s23
	v_lshlrev_b32_e32 v7, 8, v7
	v_lshl_add_u32 v115, v115, 10, 0x2000
	v_lshlrev_b32_e32 v114, 7, v114
	s_delay_alu instid0(VALU_DEP_3) | instskip(NEXT) | instid1(VALU_DEP_3)
	v_and_b32_e32 v7, 0x8000, v7
	v_and_b32_e32 v115, 0xfc00, v115
	s_delay_alu instid0(VALU_DEP_1)
	v_or3_b32 v114, v7, v115, v114
.LBB292_169:                            ;   in Loop: Header=BB292_16 Depth=1
	s_wait_alu 0xfffe
	s_or_b32 exec_lo, exec_lo, s22
.LBB292_170:                            ;   in Loop: Header=BB292_16 Depth=1
	s_wait_alu 0xfffe
	s_or_b32 exec_lo, exec_lo, s21
.LBB292_171:                            ;   in Loop: Header=BB292_16 Depth=1
	s_wait_alu 0xfffe
	s_or_b32 exec_lo, exec_lo, s20
	v_dual_mov_b32 v115, 0 :: v_dual_mov_b32 v116, 0
	s_mov_b32 s20, exec_lo
	v_cmpx_lt_u32_e32 0xffffff, v31
	s_cbranch_execz .LBB292_179
; %bb.172:                              ;   in Loop: Header=BB292_16 Depth=1
	v_lshrrev_b32_e32 v7, 24, v31
	v_bfrev_b32_e32 v116, 1
	s_mov_b32 s21, exec_lo
	s_delay_alu instid0(VALU_DEP_2)
	v_cmpx_ne_u32_e32 0x80, v7
	s_cbranch_execz .LBB292_178
; %bb.173:                              ;   in Loop: Header=BB292_16 Depth=1
	v_and_b32_e32 v118, 0x7f, v7
	v_mov_b32_e32 v116, 0x7c010000
	s_mov_b32 s22, exec_lo
	s_delay_alu instid0(VALU_DEP_2)
	v_cmpx_ne_u32_e32 0x7f, v118
	s_cbranch_execz .LBB292_177
; %bb.174:                              ;   in Loop: Header=BB292_16 Depth=1
	v_and_b32_e32 v116, 7, v7
	v_lshrrev_b32_e32 v117, 3, v118
	s_mov_b32 s23, exec_lo
	v_cmpx_gt_u32_e32 8, v118
; %bb.175:                              ;   in Loop: Header=BB292_16 Depth=1
	s_delay_alu instid0(VALU_DEP_3) | instskip(NEXT) | instid1(VALU_DEP_1)
	v_clz_i32_u32_e32 v116, v116
	v_min_u32_e32 v118, 32, v116
	s_delay_alu instid0(VALU_DEP_1) | instskip(NEXT) | instid1(VALU_DEP_1)
	v_subrev_nc_u32_e32 v116, 28, v118
	v_lshlrev_b64_e32 v[116:117], v116, v[7:8]
	v_sub_nc_u32_e32 v117, 29, v118
	s_delay_alu instid0(VALU_DEP_2)
	v_and_b32_e32 v116, 7, v116
; %bb.176:                              ;   in Loop: Header=BB292_16 Depth=1
	s_wait_alu 0xfffe
	s_or_b32 exec_lo, exec_lo, s23
	v_lshlrev_b32_e32 v7, 8, v7
	v_lshl_add_u32 v117, v117, 10, 0x2000
	v_lshlrev_b32_e32 v116, 23, v116
	s_delay_alu instid0(VALU_DEP_2) | instskip(NEXT) | instid1(VALU_DEP_1)
	v_and_or_b32 v7, 0x8000, v7, v117
	v_lshl_or_b32 v116, v7, 16, v116
.LBB292_177:                            ;   in Loop: Header=BB292_16 Depth=1
	s_wait_alu 0xfffe
	s_or_b32 exec_lo, exec_lo, s22
.LBB292_178:                            ;   in Loop: Header=BB292_16 Depth=1
	s_wait_alu 0xfffe
	s_or_b32 exec_lo, exec_lo, s21
.LBB292_179:                            ;   in Loop: Header=BB292_16 Depth=1
	s_wait_alu 0xfffe
	s_or_b32 exec_lo, exec_lo, s20
	v_and_b32_e32 v117, 0xff, v32
	v_mov_b32_e32 v7, v32
	s_mov_b32 s20, exec_lo
	s_delay_alu instid0(VALU_DEP_2)
	v_cmpx_ne_u16_e32 0, v117
	s_cbranch_execz .LBB292_187
; %bb.180:                              ;   in Loop: Header=BB292_16 Depth=1
	v_mov_b32_e32 v115, 0x8000
	s_mov_b32 s21, exec_lo
	v_cmpx_ne_u16_e32 0x80, v117
	s_cbranch_execz .LBB292_186
; %bb.181:                              ;   in Loop: Header=BB292_16 Depth=1
	v_and_b32_e32 v118, 0x7f, v32
	v_mov_b32_e32 v115, 0x7c01
	s_mov_b32 s22, exec_lo
	s_delay_alu instid0(VALU_DEP_2)
	v_cmpx_ne_u32_e32 0x7f, v118
	s_cbranch_execz .LBB292_185
; %bb.182:                              ;   in Loop: Header=BB292_16 Depth=1
	v_and_b32_e32 v115, 7, v32
	v_lshrrev_b32_e32 v117, 3, v118
	s_mov_b32 s23, exec_lo
	v_cmpx_gt_u32_e32 8, v118
; %bb.183:                              ;   in Loop: Header=BB292_16 Depth=1
	s_delay_alu instid0(VALU_DEP_3) | instskip(NEXT) | instid1(VALU_DEP_1)
	v_clz_i32_u32_e32 v115, v115
	v_min_u32_e32 v115, 32, v115
	s_delay_alu instid0(VALU_DEP_1) | instskip(NEXT) | instid1(VALU_DEP_1)
	v_subrev_nc_u32_e32 v117, 28, v115
	v_lshlrev_b64_e32 v[118:119], v117, v[7:8]
	v_sub_nc_u32_e32 v117, 29, v115
	s_delay_alu instid0(VALU_DEP_2)
	v_and_b32_e32 v115, 7, v118
; %bb.184:                              ;   in Loop: Header=BB292_16 Depth=1
	s_wait_alu 0xfffe
	s_or_b32 exec_lo, exec_lo, s23
	v_lshlrev_b32_e32 v118, 8, v32
	v_lshl_add_u32 v117, v117, 10, 0x2000
	v_lshlrev_b32_e32 v115, 7, v115
	s_delay_alu instid0(VALU_DEP_3) | instskip(NEXT) | instid1(VALU_DEP_3)
	v_and_b32_e32 v118, 0x8000, v118
	v_and_b32_e32 v117, 0xfc00, v117
	s_delay_alu instid0(VALU_DEP_1)
	v_or3_b32 v115, v118, v117, v115
.LBB292_185:                            ;   in Loop: Header=BB292_16 Depth=1
	s_wait_alu 0xfffe
	s_or_b32 exec_lo, exec_lo, s22
.LBB292_186:                            ;   in Loop: Header=BB292_16 Depth=1
	s_wait_alu 0xfffe
	s_or_b32 exec_lo, exec_lo, s21
.LBB292_187:                            ;   in Loop: Header=BB292_16 Depth=1
	s_wait_alu 0xfffe
	s_or_b32 exec_lo, exec_lo, s20
	v_lshrrev_b16 v7, 8, v7
	v_dual_mov_b32 v117, 0 :: v_dual_mov_b32 v118, 0
	s_mov_b32 s20, exec_lo
	s_delay_alu instid0(VALU_DEP_2)
	v_cmpx_ne_u16_e32 0, v7
	s_cbranch_execz .LBB292_195
; %bb.188:                              ;   in Loop: Header=BB292_16 Depth=1
	v_bfrev_b32_e32 v118, 1
	s_mov_b32 s21, exec_lo
	v_cmpx_ne_u16_e32 0x80, v7
	s_cbranch_execz .LBB292_194
; %bb.189:                              ;   in Loop: Header=BB292_16 Depth=1
	v_and_b32_e32 v119, 0xffff, v7
	v_mov_b32_e32 v118, 0x7c010000
	s_mov_b32 s22, exec_lo
	s_delay_alu instid0(VALU_DEP_2) | instskip(NEXT) | instid1(VALU_DEP_1)
	v_and_b32_e32 v129, 0x7f, v119
	v_cmpx_ne_u32_e32 0x7f, v129
	s_cbranch_execz .LBB292_193
; %bb.190:                              ;   in Loop: Header=BB292_16 Depth=1
	v_and_b32_e32 v118, 7, v119
	v_lshrrev_b32_e32 v128, 3, v129
	s_mov_b32 s23, exec_lo
	v_cmpx_gt_u32_e32 8, v129
; %bb.191:                              ;   in Loop: Header=BB292_16 Depth=1
	s_delay_alu instid0(VALU_DEP_3) | instskip(NEXT) | instid1(VALU_DEP_1)
	v_clz_i32_u32_e32 v118, v118
	v_min_u32_e32 v118, 32, v118
	s_delay_alu instid0(VALU_DEP_1) | instskip(NEXT) | instid1(VALU_DEP_1)
	v_subrev_nc_u32_e32 v128, 28, v118
	v_lshlrev_b64_e32 v[129:130], v128, v[7:8]
	v_sub_nc_u32_e32 v128, 29, v118
	s_delay_alu instid0(VALU_DEP_2)
	v_and_b32_e32 v118, 7, v129
; %bb.192:                              ;   in Loop: Header=BB292_16 Depth=1
	s_wait_alu 0xfffe
	s_or_b32 exec_lo, exec_lo, s23
	v_lshlrev_b32_e32 v7, 8, v119
	v_lshl_add_u32 v119, v128, 10, 0x2000
	v_lshlrev_b32_e32 v118, 23, v118
	s_delay_alu instid0(VALU_DEP_2) | instskip(NEXT) | instid1(VALU_DEP_1)
	v_and_or_b32 v7, 0x8000, v7, v119
	v_lshl_or_b32 v118, v7, 16, v118
.LBB292_193:                            ;   in Loop: Header=BB292_16 Depth=1
	s_wait_alu 0xfffe
	s_or_b32 exec_lo, exec_lo, s22
.LBB292_194:                            ;   in Loop: Header=BB292_16 Depth=1
	s_wait_alu 0xfffe
	s_or_b32 exec_lo, exec_lo, s21
.LBB292_195:                            ;   in Loop: Header=BB292_16 Depth=1
	s_wait_alu 0xfffe
	s_or_b32 exec_lo, exec_lo, s20
	v_lshrrev_b32_e32 v7, 16, v32
	s_mov_b32 s20, exec_lo
	s_delay_alu instid0(VALU_DEP_1) | instskip(NEXT) | instid1(VALU_DEP_1)
	v_and_b32_e32 v119, 0xff, v7
	v_cmpx_ne_u16_e32 0, v119
	s_cbranch_execz .LBB292_203
; %bb.196:                              ;   in Loop: Header=BB292_16 Depth=1
	v_mov_b32_e32 v117, 0x8000
	s_mov_b32 s21, exec_lo
	v_cmpx_ne_u16_e32 0x80, v119
	s_cbranch_execz .LBB292_202
; %bb.197:                              ;   in Loop: Header=BB292_16 Depth=1
	v_bfe_u32 v128, v32, 16, 7
	v_mov_b32_e32 v117, 0x7c01
	s_mov_b32 s22, exec_lo
	s_delay_alu instid0(VALU_DEP_2)
	v_cmpx_ne_u32_e32 0x7f, v128
	s_cbranch_execz .LBB292_201
; %bb.198:                              ;   in Loop: Header=BB292_16 Depth=1
	v_and_b32_e32 v117, 7, v7
	v_lshrrev_b32_e32 v119, 3, v128
	s_mov_b32 s23, exec_lo
	v_cmpx_gt_u32_e32 8, v128
; %bb.199:                              ;   in Loop: Header=BB292_16 Depth=1
	s_delay_alu instid0(VALU_DEP_3) | instskip(NEXT) | instid1(VALU_DEP_1)
	v_clz_i32_u32_e32 v117, v117
	v_min_u32_e32 v117, 32, v117
	s_delay_alu instid0(VALU_DEP_1) | instskip(NEXT) | instid1(VALU_DEP_1)
	v_subrev_nc_u32_e32 v119, 28, v117
	v_lshlrev_b64_e32 v[128:129], v119, v[7:8]
	v_sub_nc_u32_e32 v119, 29, v117
	s_delay_alu instid0(VALU_DEP_2)
	v_and_b32_e32 v117, 7, v128
; %bb.200:                              ;   in Loop: Header=BB292_16 Depth=1
	s_wait_alu 0xfffe
	s_or_b32 exec_lo, exec_lo, s23
	v_lshlrev_b32_e32 v7, 8, v7
	v_lshl_add_u32 v119, v119, 10, 0x2000
	v_lshlrev_b32_e32 v117, 7, v117
	s_delay_alu instid0(VALU_DEP_3) | instskip(NEXT) | instid1(VALU_DEP_3)
	v_and_b32_e32 v7, 0x8000, v7
	v_and_b32_e32 v119, 0xfc00, v119
	s_delay_alu instid0(VALU_DEP_1)
	v_or3_b32 v117, v7, v119, v117
.LBB292_201:                            ;   in Loop: Header=BB292_16 Depth=1
	s_wait_alu 0xfffe
	s_or_b32 exec_lo, exec_lo, s22
.LBB292_202:                            ;   in Loop: Header=BB292_16 Depth=1
	s_wait_alu 0xfffe
	s_or_b32 exec_lo, exec_lo, s21
.LBB292_203:                            ;   in Loop: Header=BB292_16 Depth=1
	s_wait_alu 0xfffe
	s_or_b32 exec_lo, exec_lo, s20
	v_dual_mov_b32 v128, 0 :: v_dual_mov_b32 v119, 0
	s_mov_b32 s20, exec_lo
	v_cmpx_lt_u64_e64 s[10:11], v[31:32]
	s_cbranch_execz .LBB292_211
; %bb.204:                              ;   in Loop: Header=BB292_16 Depth=1
	v_lshrrev_b32_e32 v7, 24, v32
	v_bfrev_b32_e32 v119, 1
	s_mov_b32 s21, exec_lo
	s_delay_alu instid0(VALU_DEP_2)
	v_cmpx_ne_u32_e32 0x80, v7
	s_cbranch_execz .LBB292_210
; %bb.205:                              ;   in Loop: Header=BB292_16 Depth=1
	v_and_b32_e32 v129, 0x7f, v7
	v_mov_b32_e32 v119, 0x7c010000
	s_mov_b32 s22, exec_lo
	s_delay_alu instid0(VALU_DEP_2)
	v_cmpx_ne_u32_e32 0x7f, v129
	s_cbranch_execz .LBB292_209
; %bb.206:                              ;   in Loop: Header=BB292_16 Depth=1
	v_and_b32_e32 v31, 7, v7
	v_lshrrev_b32_e32 v32, 3, v129
	s_mov_b32 s23, exec_lo
	v_cmpx_gt_u32_e32 8, v129
; %bb.207:                              ;   in Loop: Header=BB292_16 Depth=1
	s_delay_alu instid0(VALU_DEP_3) | instskip(NEXT) | instid1(VALU_DEP_1)
	v_clz_i32_u32_e32 v31, v31
	v_min_u32_e32 v119, 32, v31
	s_delay_alu instid0(VALU_DEP_1) | instskip(NEXT) | instid1(VALU_DEP_1)
	v_subrev_nc_u32_e32 v31, 28, v119
	v_lshlrev_b64_e32 v[31:32], v31, v[7:8]
	v_sub_nc_u32_e32 v32, 29, v119
	s_delay_alu instid0(VALU_DEP_2)
	v_and_b32_e32 v31, 7, v31
; %bb.208:                              ;   in Loop: Header=BB292_16 Depth=1
	s_wait_alu 0xfffe
	s_or_b32 exec_lo, exec_lo, s23
	v_lshlrev_b32_e32 v7, 8, v7
	v_lshl_add_u32 v32, v32, 10, 0x2000
	v_lshlrev_b32_e32 v31, 23, v31
	s_delay_alu instid0(VALU_DEP_2) | instskip(NEXT) | instid1(VALU_DEP_1)
	v_and_or_b32 v7, 0x8000, v7, v32
	v_lshl_or_b32 v119, v7, 16, v31
.LBB292_209:                            ;   in Loop: Header=BB292_16 Depth=1
	s_wait_alu 0xfffe
	s_or_b32 exec_lo, exec_lo, s22
.LBB292_210:                            ;   in Loop: Header=BB292_16 Depth=1
	s_wait_alu 0xfffe
	s_or_b32 exec_lo, exec_lo, s21
.LBB292_211:                            ;   in Loop: Header=BB292_16 Depth=1
	s_wait_alu 0xfffe
	s_or_b32 exec_lo, exec_lo, s20
	flat_load_b64 v[31:32], v[28:29] offset:520
	s_mov_b32 s20, exec_lo
	s_wait_loadcnt_dscnt 0x0
	v_and_b32_e32 v7, 0xff, v31
	s_delay_alu instid0(VALU_DEP_1)
	v_cmpx_ne_u16_e32 0, v7
	s_cbranch_execz .LBB292_219
; %bb.212:                              ;   in Loop: Header=BB292_16 Depth=1
	v_mov_b32_e32 v128, 0x8000
	s_mov_b32 s21, exec_lo
	v_cmpx_ne_u16_e32 0x80, v7
	s_cbranch_execz .LBB292_218
; %bb.213:                              ;   in Loop: Header=BB292_16 Depth=1
	v_and_b32_e32 v129, 0x7f, v31
	v_mov_b32_e32 v128, 0x7c01
	s_mov_b32 s22, exec_lo
	s_delay_alu instid0(VALU_DEP_2)
	v_cmpx_ne_u32_e32 0x7f, v129
	s_cbranch_execz .LBB292_217
; %bb.214:                              ;   in Loop: Header=BB292_16 Depth=1
	v_and_b32_e32 v7, 7, v31
	v_lshrrev_b32_e32 v128, 3, v129
	s_mov_b32 s23, exec_lo
	v_cmpx_gt_u32_e32 8, v129
; %bb.215:                              ;   in Loop: Header=BB292_16 Depth=1
	s_delay_alu instid0(VALU_DEP_3) | instskip(NEXT) | instid1(VALU_DEP_1)
	v_clz_i32_u32_e32 v7, v7
	v_min_u32_e32 v7, 32, v7
	s_delay_alu instid0(VALU_DEP_1) | instskip(NEXT) | instid1(VALU_DEP_1)
	v_subrev_nc_u32_e32 v128, 28, v7
	v_lshlrev_b64_e32 v[129:130], v128, v[31:32]
	v_sub_nc_u32_e32 v128, 29, v7
	s_delay_alu instid0(VALU_DEP_2)
	v_and_b32_e32 v7, 7, v129
; %bb.216:                              ;   in Loop: Header=BB292_16 Depth=1
	s_wait_alu 0xfffe
	s_or_b32 exec_lo, exec_lo, s23
	v_lshlrev_b32_e32 v129, 8, v31
	v_lshl_add_u32 v128, v128, 10, 0x2000
	v_lshlrev_b32_e32 v7, 7, v7
	s_delay_alu instid0(VALU_DEP_3) | instskip(NEXT) | instid1(VALU_DEP_3)
	v_and_b32_e32 v129, 0x8000, v129
	v_and_b32_e32 v128, 0xfc00, v128
	s_delay_alu instid0(VALU_DEP_1)
	v_or3_b32 v128, v129, v128, v7
.LBB292_217:                            ;   in Loop: Header=BB292_16 Depth=1
	s_wait_alu 0xfffe
	s_or_b32 exec_lo, exec_lo, s22
.LBB292_218:                            ;   in Loop: Header=BB292_16 Depth=1
	s_wait_alu 0xfffe
	s_or_b32 exec_lo, exec_lo, s21
.LBB292_219:                            ;   in Loop: Header=BB292_16 Depth=1
	s_wait_alu 0xfffe
	s_or_b32 exec_lo, exec_lo, s20
	v_lshrrev_b16 v7, 8, v31
	v_dual_mov_b32 v130, 0 :: v_dual_mov_b32 v129, 0
	s_mov_b32 s20, exec_lo
	s_delay_alu instid0(VALU_DEP_2)
	v_cmpx_ne_u16_e32 0, v7
	s_cbranch_execz .LBB292_227
; %bb.220:                              ;   in Loop: Header=BB292_16 Depth=1
	v_bfrev_b32_e32 v129, 1
	s_mov_b32 s21, exec_lo
	v_cmpx_ne_u16_e32 0x80, v7
	s_cbranch_execz .LBB292_226
; %bb.221:                              ;   in Loop: Header=BB292_16 Depth=1
	v_and_b32_e32 v131, 0xffff, v7
	v_mov_b32_e32 v129, 0x7c010000
	s_mov_b32 s22, exec_lo
	s_delay_alu instid0(VALU_DEP_2) | instskip(NEXT) | instid1(VALU_DEP_1)
	v_and_b32_e32 v133, 0x7f, v131
	v_cmpx_ne_u32_e32 0x7f, v133
	s_cbranch_execz .LBB292_225
; %bb.222:                              ;   in Loop: Header=BB292_16 Depth=1
	v_and_b32_e32 v129, 7, v131
	v_lshrrev_b32_e32 v132, 3, v133
	s_mov_b32 s23, exec_lo
	v_cmpx_gt_u32_e32 8, v133
; %bb.223:                              ;   in Loop: Header=BB292_16 Depth=1
	s_delay_alu instid0(VALU_DEP_3) | instskip(NEXT) | instid1(VALU_DEP_1)
	v_clz_i32_u32_e32 v129, v129
	v_min_u32_e32 v129, 32, v129
	s_delay_alu instid0(VALU_DEP_1) | instskip(NEXT) | instid1(VALU_DEP_1)
	v_subrev_nc_u32_e32 v132, 28, v129
	v_lshlrev_b64_e32 v[133:134], v132, v[7:8]
	v_sub_nc_u32_e32 v132, 29, v129
	s_delay_alu instid0(VALU_DEP_2)
	v_and_b32_e32 v129, 7, v133
; %bb.224:                              ;   in Loop: Header=BB292_16 Depth=1
	s_wait_alu 0xfffe
	s_or_b32 exec_lo, exec_lo, s23
	v_lshlrev_b32_e32 v7, 8, v131
	v_lshl_add_u32 v131, v132, 10, 0x2000
	v_lshlrev_b32_e32 v129, 23, v129
	s_delay_alu instid0(VALU_DEP_2) | instskip(NEXT) | instid1(VALU_DEP_1)
	v_and_or_b32 v7, 0x8000, v7, v131
	v_lshl_or_b32 v129, v7, 16, v129
.LBB292_225:                            ;   in Loop: Header=BB292_16 Depth=1
	s_wait_alu 0xfffe
	s_or_b32 exec_lo, exec_lo, s22
.LBB292_226:                            ;   in Loop: Header=BB292_16 Depth=1
	s_wait_alu 0xfffe
	s_or_b32 exec_lo, exec_lo, s21
.LBB292_227:                            ;   in Loop: Header=BB292_16 Depth=1
	s_wait_alu 0xfffe
	s_or_b32 exec_lo, exec_lo, s20
	v_lshrrev_b32_e32 v7, 16, v31
	s_mov_b32 s20, exec_lo
	s_delay_alu instid0(VALU_DEP_1) | instskip(NEXT) | instid1(VALU_DEP_1)
	v_and_b32_e32 v131, 0xff, v7
	v_cmpx_ne_u16_e64 0, v131
	s_cbranch_execz .LBB292_235
; %bb.228:                              ;   in Loop: Header=BB292_16 Depth=1
	v_mov_b32_e32 v130, 0x8000
	s_mov_b32 s21, exec_lo
	v_cmpx_ne_u16_e64 0x80, v131
	s_cbranch_execz .LBB292_234
; %bb.229:                              ;   in Loop: Header=BB292_16 Depth=1
	v_bfe_u32 v132, v31, 16, 7
	v_mov_b32_e32 v130, 0x7c01
	s_mov_b32 s22, exec_lo
	s_delay_alu instid0(VALU_DEP_2)
	v_cmpx_ne_u32_e32 0x7f, v132
	s_cbranch_execz .LBB292_233
; %bb.230:                              ;   in Loop: Header=BB292_16 Depth=1
	v_and_b32_e32 v130, 7, v7
	v_lshrrev_b32_e32 v131, 3, v132
	s_mov_b32 s23, exec_lo
	v_cmpx_gt_u32_e32 8, v132
; %bb.231:                              ;   in Loop: Header=BB292_16 Depth=1
	s_delay_alu instid0(VALU_DEP_3) | instskip(NEXT) | instid1(VALU_DEP_1)
	v_clz_i32_u32_e32 v130, v130
	v_min_u32_e32 v132, 32, v130
	s_delay_alu instid0(VALU_DEP_1) | instskip(NEXT) | instid1(VALU_DEP_1)
	v_subrev_nc_u32_e32 v130, 28, v132
	v_lshlrev_b64_e32 v[130:131], v130, v[7:8]
	v_sub_nc_u32_e32 v131, 29, v132
	s_delay_alu instid0(VALU_DEP_2)
	v_and_b32_e32 v130, 7, v130
; %bb.232:                              ;   in Loop: Header=BB292_16 Depth=1
	s_wait_alu 0xfffe
	s_or_b32 exec_lo, exec_lo, s23
	v_lshlrev_b32_e32 v7, 8, v7
	v_lshl_add_u32 v131, v131, 10, 0x2000
	v_lshlrev_b32_e32 v130, 7, v130
	s_delay_alu instid0(VALU_DEP_3) | instskip(NEXT) | instid1(VALU_DEP_3)
	v_and_b32_e32 v7, 0x8000, v7
	v_and_b32_e32 v131, 0xfc00, v131
	s_delay_alu instid0(VALU_DEP_1)
	v_or3_b32 v130, v7, v131, v130
.LBB292_233:                            ;   in Loop: Header=BB292_16 Depth=1
	s_wait_alu 0xfffe
	s_or_b32 exec_lo, exec_lo, s22
.LBB292_234:                            ;   in Loop: Header=BB292_16 Depth=1
	s_wait_alu 0xfffe
	s_or_b32 exec_lo, exec_lo, s21
.LBB292_235:                            ;   in Loop: Header=BB292_16 Depth=1
	s_wait_alu 0xfffe
	s_or_b32 exec_lo, exec_lo, s20
	v_dual_mov_b32 v131, 0 :: v_dual_mov_b32 v132, 0
	s_mov_b32 s20, exec_lo
	v_cmpx_lt_u32_e32 0xffffff, v31
	s_cbranch_execz .LBB292_243
; %bb.236:                              ;   in Loop: Header=BB292_16 Depth=1
	v_lshrrev_b32_e32 v7, 24, v31
	v_bfrev_b32_e32 v132, 1
	s_mov_b32 s21, exec_lo
	s_delay_alu instid0(VALU_DEP_2)
	v_cmpx_ne_u32_e32 0x80, v7
	s_cbranch_execz .LBB292_242
; %bb.237:                              ;   in Loop: Header=BB292_16 Depth=1
	v_and_b32_e32 v134, 0x7f, v7
	v_mov_b32_e32 v132, 0x7c010000
	s_mov_b32 s22, exec_lo
	s_delay_alu instid0(VALU_DEP_2)
	v_cmpx_ne_u32_e32 0x7f, v134
	s_cbranch_execz .LBB292_241
; %bb.238:                              ;   in Loop: Header=BB292_16 Depth=1
	v_and_b32_e32 v132, 7, v7
	v_lshrrev_b32_e32 v133, 3, v134
	s_mov_b32 s23, exec_lo
	v_cmpx_gt_u32_e32 8, v134
; %bb.239:                              ;   in Loop: Header=BB292_16 Depth=1
	s_delay_alu instid0(VALU_DEP_3) | instskip(NEXT) | instid1(VALU_DEP_1)
	v_clz_i32_u32_e32 v132, v132
	v_min_u32_e32 v134, 32, v132
	s_delay_alu instid0(VALU_DEP_1) | instskip(NEXT) | instid1(VALU_DEP_1)
	v_subrev_nc_u32_e32 v132, 28, v134
	v_lshlrev_b64_e32 v[132:133], v132, v[7:8]
	v_sub_nc_u32_e32 v133, 29, v134
	s_delay_alu instid0(VALU_DEP_2)
	v_and_b32_e32 v132, 7, v132
; %bb.240:                              ;   in Loop: Header=BB292_16 Depth=1
	s_wait_alu 0xfffe
	s_or_b32 exec_lo, exec_lo, s23
	v_lshlrev_b32_e32 v7, 8, v7
	v_lshl_add_u32 v133, v133, 10, 0x2000
	v_lshlrev_b32_e32 v132, 23, v132
	s_delay_alu instid0(VALU_DEP_2) | instskip(NEXT) | instid1(VALU_DEP_1)
	v_and_or_b32 v7, 0x8000, v7, v133
	v_lshl_or_b32 v132, v7, 16, v132
.LBB292_241:                            ;   in Loop: Header=BB292_16 Depth=1
	s_wait_alu 0xfffe
	s_or_b32 exec_lo, exec_lo, s22
.LBB292_242:                            ;   in Loop: Header=BB292_16 Depth=1
	s_wait_alu 0xfffe
	s_or_b32 exec_lo, exec_lo, s21
.LBB292_243:                            ;   in Loop: Header=BB292_16 Depth=1
	s_wait_alu 0xfffe
	s_or_b32 exec_lo, exec_lo, s20
	v_and_b32_e32 v133, 0xff, v32
	v_mov_b32_e32 v7, v32
	s_mov_b32 s20, exec_lo
	s_delay_alu instid0(VALU_DEP_2)
	v_cmpx_ne_u16_e64 0, v133
	s_cbranch_execz .LBB292_251
; %bb.244:                              ;   in Loop: Header=BB292_16 Depth=1
	v_mov_b32_e32 v131, 0x8000
	s_mov_b32 s21, exec_lo
	v_cmpx_ne_u16_e64 0x80, v133
	s_cbranch_execz .LBB292_250
; %bb.245:                              ;   in Loop: Header=BB292_16 Depth=1
	v_and_b32_e32 v134, 0x7f, v32
	v_mov_b32_e32 v131, 0x7c01
	s_mov_b32 s22, exec_lo
	s_delay_alu instid0(VALU_DEP_2)
	v_cmpx_ne_u32_e32 0x7f, v134
	s_cbranch_execz .LBB292_249
; %bb.246:                              ;   in Loop: Header=BB292_16 Depth=1
	v_and_b32_e32 v131, 7, v32
	v_lshrrev_b32_e32 v133, 3, v134
	s_mov_b32 s23, exec_lo
	v_cmpx_gt_u32_e32 8, v134
; %bb.247:                              ;   in Loop: Header=BB292_16 Depth=1
	s_delay_alu instid0(VALU_DEP_3) | instskip(NEXT) | instid1(VALU_DEP_1)
	v_clz_i32_u32_e32 v131, v131
	v_min_u32_e32 v131, 32, v131
	s_delay_alu instid0(VALU_DEP_1) | instskip(NEXT) | instid1(VALU_DEP_1)
	v_subrev_nc_u32_e32 v133, 28, v131
	v_lshlrev_b64_e32 v[134:135], v133, v[7:8]
	v_sub_nc_u32_e32 v133, 29, v131
	s_delay_alu instid0(VALU_DEP_2)
	v_and_b32_e32 v131, 7, v134
; %bb.248:                              ;   in Loop: Header=BB292_16 Depth=1
	s_wait_alu 0xfffe
	s_or_b32 exec_lo, exec_lo, s23
	v_lshlrev_b32_e32 v134, 8, v32
	v_lshl_add_u32 v133, v133, 10, 0x2000
	v_lshlrev_b32_e32 v131, 7, v131
	s_delay_alu instid0(VALU_DEP_3) | instskip(NEXT) | instid1(VALU_DEP_3)
	v_and_b32_e32 v134, 0x8000, v134
	v_and_b32_e32 v133, 0xfc00, v133
	s_delay_alu instid0(VALU_DEP_1)
	v_or3_b32 v131, v134, v133, v131
.LBB292_249:                            ;   in Loop: Header=BB292_16 Depth=1
	s_wait_alu 0xfffe
	s_or_b32 exec_lo, exec_lo, s22
.LBB292_250:                            ;   in Loop: Header=BB292_16 Depth=1
	s_wait_alu 0xfffe
	s_or_b32 exec_lo, exec_lo, s21
.LBB292_251:                            ;   in Loop: Header=BB292_16 Depth=1
	s_wait_alu 0xfffe
	s_or_b32 exec_lo, exec_lo, s20
	v_lshrrev_b16 v7, 8, v7
	v_dual_mov_b32 v133, 0 :: v_dual_mov_b32 v134, 0
	s_mov_b32 s20, exec_lo
	s_delay_alu instid0(VALU_DEP_2)
	v_cmpx_ne_u16_e32 0, v7
	s_cbranch_execz .LBB292_259
; %bb.252:                              ;   in Loop: Header=BB292_16 Depth=1
	v_bfrev_b32_e32 v134, 1
	s_mov_b32 s21, exec_lo
	v_cmpx_ne_u16_e32 0x80, v7
	s_cbranch_execz .LBB292_258
; %bb.253:                              ;   in Loop: Header=BB292_16 Depth=1
	v_and_b32_e32 v135, 0xffff, v7
	v_mov_b32_e32 v134, 0x7c010000
	s_mov_b32 s22, exec_lo
	s_delay_alu instid0(VALU_DEP_2) | instskip(NEXT) | instid1(VALU_DEP_1)
	v_and_b32_e32 v145, 0x7f, v135
	v_cmpx_ne_u32_e32 0x7f, v145
	s_cbranch_execz .LBB292_257
; %bb.254:                              ;   in Loop: Header=BB292_16 Depth=1
	v_and_b32_e32 v134, 7, v135
	v_lshrrev_b32_e32 v144, 3, v145
	s_mov_b32 s23, exec_lo
	v_cmpx_gt_u32_e32 8, v145
; %bb.255:                              ;   in Loop: Header=BB292_16 Depth=1
	s_delay_alu instid0(VALU_DEP_3) | instskip(NEXT) | instid1(VALU_DEP_1)
	v_clz_i32_u32_e32 v134, v134
	v_min_u32_e32 v134, 32, v134
	s_delay_alu instid0(VALU_DEP_1) | instskip(NEXT) | instid1(VALU_DEP_1)
	v_subrev_nc_u32_e32 v144, 28, v134
	v_lshlrev_b64_e32 v[145:146], v144, v[7:8]
	v_sub_nc_u32_e32 v144, 29, v134
	s_delay_alu instid0(VALU_DEP_2)
	v_and_b32_e32 v134, 7, v145
; %bb.256:                              ;   in Loop: Header=BB292_16 Depth=1
	s_wait_alu 0xfffe
	s_or_b32 exec_lo, exec_lo, s23
	v_lshlrev_b32_e32 v7, 8, v135
	v_lshl_add_u32 v135, v144, 10, 0x2000
	v_lshlrev_b32_e32 v134, 23, v134
	s_delay_alu instid0(VALU_DEP_2) | instskip(NEXT) | instid1(VALU_DEP_1)
	v_and_or_b32 v7, 0x8000, v7, v135
	v_lshl_or_b32 v134, v7, 16, v134
.LBB292_257:                            ;   in Loop: Header=BB292_16 Depth=1
	s_wait_alu 0xfffe
	s_or_b32 exec_lo, exec_lo, s22
.LBB292_258:                            ;   in Loop: Header=BB292_16 Depth=1
	s_wait_alu 0xfffe
	s_or_b32 exec_lo, exec_lo, s21
.LBB292_259:                            ;   in Loop: Header=BB292_16 Depth=1
	s_wait_alu 0xfffe
	s_or_b32 exec_lo, exec_lo, s20
	v_lshrrev_b32_e32 v7, 16, v32
	s_mov_b32 s20, exec_lo
	s_delay_alu instid0(VALU_DEP_1) | instskip(NEXT) | instid1(VALU_DEP_1)
	v_and_b32_e32 v135, 0xff, v7
	v_cmpx_ne_u16_e64 0, v135
	s_cbranch_execz .LBB292_267
; %bb.260:                              ;   in Loop: Header=BB292_16 Depth=1
	v_mov_b32_e32 v133, 0x8000
	s_mov_b32 s21, exec_lo
	v_cmpx_ne_u16_e64 0x80, v135
	s_cbranch_execz .LBB292_266
; %bb.261:                              ;   in Loop: Header=BB292_16 Depth=1
	v_bfe_u32 v144, v32, 16, 7
	v_mov_b32_e32 v133, 0x7c01
	s_mov_b32 s22, exec_lo
	s_delay_alu instid0(VALU_DEP_2)
	v_cmpx_ne_u32_e32 0x7f, v144
	s_cbranch_execz .LBB292_265
; %bb.262:                              ;   in Loop: Header=BB292_16 Depth=1
	v_and_b32_e32 v133, 7, v7
	v_lshrrev_b32_e32 v135, 3, v144
	s_mov_b32 s23, exec_lo
	v_cmpx_gt_u32_e32 8, v144
; %bb.263:                              ;   in Loop: Header=BB292_16 Depth=1
	s_delay_alu instid0(VALU_DEP_3) | instskip(NEXT) | instid1(VALU_DEP_1)
	v_clz_i32_u32_e32 v133, v133
	v_min_u32_e32 v133, 32, v133
	s_delay_alu instid0(VALU_DEP_1) | instskip(NEXT) | instid1(VALU_DEP_1)
	v_subrev_nc_u32_e32 v135, 28, v133
	v_lshlrev_b64_e32 v[144:145], v135, v[7:8]
	v_sub_nc_u32_e32 v135, 29, v133
	s_delay_alu instid0(VALU_DEP_2)
	v_and_b32_e32 v133, 7, v144
; %bb.264:                              ;   in Loop: Header=BB292_16 Depth=1
	s_wait_alu 0xfffe
	s_or_b32 exec_lo, exec_lo, s23
	v_lshlrev_b32_e32 v7, 8, v7
	v_lshl_add_u32 v135, v135, 10, 0x2000
	v_lshlrev_b32_e32 v133, 7, v133
	s_delay_alu instid0(VALU_DEP_3) | instskip(NEXT) | instid1(VALU_DEP_3)
	v_and_b32_e32 v7, 0x8000, v7
	v_and_b32_e32 v135, 0xfc00, v135
	s_delay_alu instid0(VALU_DEP_1)
	v_or3_b32 v133, v7, v135, v133
.LBB292_265:                            ;   in Loop: Header=BB292_16 Depth=1
	s_wait_alu 0xfffe
	s_or_b32 exec_lo, exec_lo, s22
.LBB292_266:                            ;   in Loop: Header=BB292_16 Depth=1
	s_wait_alu 0xfffe
	s_or_b32 exec_lo, exec_lo, s21
.LBB292_267:                            ;   in Loop: Header=BB292_16 Depth=1
	s_wait_alu 0xfffe
	s_or_b32 exec_lo, exec_lo, s20
	v_dual_mov_b32 v144, 0 :: v_dual_mov_b32 v135, 0
	s_mov_b32 s20, exec_lo
	v_cmpx_lt_u64_e64 s[10:11], v[31:32]
	s_cbranch_execz .LBB292_275
; %bb.268:                              ;   in Loop: Header=BB292_16 Depth=1
	v_lshrrev_b32_e32 v7, 24, v32
	v_bfrev_b32_e32 v135, 1
	s_mov_b32 s21, exec_lo
	s_delay_alu instid0(VALU_DEP_2)
	v_cmpx_ne_u32_e32 0x80, v7
	s_cbranch_execz .LBB292_274
; %bb.269:                              ;   in Loop: Header=BB292_16 Depth=1
	v_and_b32_e32 v145, 0x7f, v7
	v_mov_b32_e32 v135, 0x7c010000
	s_mov_b32 s22, exec_lo
	s_delay_alu instid0(VALU_DEP_2)
	v_cmpx_ne_u32_e32 0x7f, v145
	s_cbranch_execz .LBB292_273
; %bb.270:                              ;   in Loop: Header=BB292_16 Depth=1
	v_and_b32_e32 v31, 7, v7
	v_lshrrev_b32_e32 v32, 3, v145
	s_mov_b32 s23, exec_lo
	v_cmpx_gt_u32_e32 8, v145
; %bb.271:                              ;   in Loop: Header=BB292_16 Depth=1
	s_delay_alu instid0(VALU_DEP_3) | instskip(NEXT) | instid1(VALU_DEP_1)
	v_clz_i32_u32_e32 v31, v31
	v_min_u32_e32 v135, 32, v31
	s_delay_alu instid0(VALU_DEP_1) | instskip(NEXT) | instid1(VALU_DEP_1)
	v_subrev_nc_u32_e32 v31, 28, v135
	v_lshlrev_b64_e32 v[31:32], v31, v[7:8]
	v_sub_nc_u32_e32 v32, 29, v135
	s_delay_alu instid0(VALU_DEP_2)
	v_and_b32_e32 v31, 7, v31
; %bb.272:                              ;   in Loop: Header=BB292_16 Depth=1
	s_wait_alu 0xfffe
	s_or_b32 exec_lo, exec_lo, s23
	v_lshlrev_b32_e32 v7, 8, v7
	v_lshl_add_u32 v32, v32, 10, 0x2000
	v_lshlrev_b32_e32 v31, 23, v31
	s_delay_alu instid0(VALU_DEP_2) | instskip(NEXT) | instid1(VALU_DEP_1)
	v_and_or_b32 v7, 0x8000, v7, v32
	v_lshl_or_b32 v135, v7, 16, v31
.LBB292_273:                            ;   in Loop: Header=BB292_16 Depth=1
	s_wait_alu 0xfffe
	s_or_b32 exec_lo, exec_lo, s22
.LBB292_274:                            ;   in Loop: Header=BB292_16 Depth=1
	s_wait_alu 0xfffe
	s_or_b32 exec_lo, exec_lo, s21
.LBB292_275:                            ;   in Loop: Header=BB292_16 Depth=1
	s_wait_alu 0xfffe
	s_or_b32 exec_lo, exec_lo, s20
	flat_load_b64 v[31:32], v[28:29] offset:1024
	s_mov_b32 s20, exec_lo
	s_wait_loadcnt_dscnt 0x0
	v_and_b32_e32 v7, 0xff, v31
	s_delay_alu instid0(VALU_DEP_1)
	v_cmpx_ne_u16_e32 0, v7
	s_cbranch_execz .LBB292_283
; %bb.276:                              ;   in Loop: Header=BB292_16 Depth=1
	v_mov_b32_e32 v144, 0x8000
	s_mov_b32 s21, exec_lo
	v_cmpx_ne_u16_e32 0x80, v7
	s_cbranch_execz .LBB292_282
; %bb.277:                              ;   in Loop: Header=BB292_16 Depth=1
	v_and_b32_e32 v145, 0x7f, v31
	v_mov_b32_e32 v144, 0x7c01
	s_mov_b32 s22, exec_lo
	s_delay_alu instid0(VALU_DEP_2)
	v_cmpx_ne_u32_e32 0x7f, v145
	s_cbranch_execz .LBB292_281
; %bb.278:                              ;   in Loop: Header=BB292_16 Depth=1
	v_and_b32_e32 v7, 7, v31
	v_lshrrev_b32_e32 v144, 3, v145
	s_mov_b32 s23, exec_lo
	v_cmpx_gt_u32_e32 8, v145
; %bb.279:                              ;   in Loop: Header=BB292_16 Depth=1
	s_delay_alu instid0(VALU_DEP_3) | instskip(NEXT) | instid1(VALU_DEP_1)
	v_clz_i32_u32_e32 v7, v7
	v_min_u32_e32 v7, 32, v7
	s_delay_alu instid0(VALU_DEP_1) | instskip(NEXT) | instid1(VALU_DEP_1)
	v_subrev_nc_u32_e32 v144, 28, v7
	v_lshlrev_b64_e32 v[145:146], v144, v[31:32]
	v_sub_nc_u32_e32 v144, 29, v7
	s_delay_alu instid0(VALU_DEP_2)
	v_and_b32_e32 v7, 7, v145
; %bb.280:                              ;   in Loop: Header=BB292_16 Depth=1
	s_wait_alu 0xfffe
	s_or_b32 exec_lo, exec_lo, s23
	v_lshlrev_b32_e32 v145, 8, v31
	v_lshl_add_u32 v144, v144, 10, 0x2000
	v_lshlrev_b32_e32 v7, 7, v7
	s_delay_alu instid0(VALU_DEP_3) | instskip(NEXT) | instid1(VALU_DEP_3)
	v_and_b32_e32 v145, 0x8000, v145
	v_and_b32_e32 v144, 0xfc00, v144
	s_delay_alu instid0(VALU_DEP_1)
	v_or3_b32 v144, v145, v144, v7
.LBB292_281:                            ;   in Loop: Header=BB292_16 Depth=1
	s_wait_alu 0xfffe
	s_or_b32 exec_lo, exec_lo, s22
.LBB292_282:                            ;   in Loop: Header=BB292_16 Depth=1
	s_wait_alu 0xfffe
	s_or_b32 exec_lo, exec_lo, s21
.LBB292_283:                            ;   in Loop: Header=BB292_16 Depth=1
	s_wait_alu 0xfffe
	s_or_b32 exec_lo, exec_lo, s20
	v_lshrrev_b16 v7, 8, v31
	v_dual_mov_b32 v146, 0 :: v_dual_mov_b32 v145, 0
	s_mov_b32 s20, exec_lo
	s_delay_alu instid0(VALU_DEP_2)
	v_cmpx_ne_u16_e32 0, v7
	s_cbranch_execz .LBB292_291
; %bb.284:                              ;   in Loop: Header=BB292_16 Depth=1
	v_bfrev_b32_e32 v145, 1
	s_mov_b32 s21, exec_lo
	v_cmpx_ne_u16_e32 0x80, v7
	s_cbranch_execz .LBB292_290
; %bb.285:                              ;   in Loop: Header=BB292_16 Depth=1
	v_and_b32_e32 v147, 0xffff, v7
	v_mov_b32_e32 v145, 0x7c010000
	s_mov_b32 s22, exec_lo
	s_delay_alu instid0(VALU_DEP_2) | instskip(NEXT) | instid1(VALU_DEP_1)
	v_and_b32_e32 v149, 0x7f, v147
	v_cmpx_ne_u32_e32 0x7f, v149
	s_cbranch_execz .LBB292_289
; %bb.286:                              ;   in Loop: Header=BB292_16 Depth=1
	v_and_b32_e32 v145, 7, v147
	v_lshrrev_b32_e32 v148, 3, v149
	s_mov_b32 s23, exec_lo
	v_cmpx_gt_u32_e32 8, v149
; %bb.287:                              ;   in Loop: Header=BB292_16 Depth=1
	s_delay_alu instid0(VALU_DEP_3) | instskip(NEXT) | instid1(VALU_DEP_1)
	v_clz_i32_u32_e32 v145, v145
	v_min_u32_e32 v145, 32, v145
	s_delay_alu instid0(VALU_DEP_1) | instskip(NEXT) | instid1(VALU_DEP_1)
	v_subrev_nc_u32_e32 v148, 28, v145
	v_lshlrev_b64_e32 v[149:150], v148, v[7:8]
	v_sub_nc_u32_e32 v148, 29, v145
	s_delay_alu instid0(VALU_DEP_2)
	v_and_b32_e32 v145, 7, v149
; %bb.288:                              ;   in Loop: Header=BB292_16 Depth=1
	s_wait_alu 0xfffe
	s_or_b32 exec_lo, exec_lo, s23
	v_lshlrev_b32_e32 v7, 8, v147
	v_lshl_add_u32 v147, v148, 10, 0x2000
	v_lshlrev_b32_e32 v145, 23, v145
	s_delay_alu instid0(VALU_DEP_2) | instskip(NEXT) | instid1(VALU_DEP_1)
	v_and_or_b32 v7, 0x8000, v7, v147
	v_lshl_or_b32 v145, v7, 16, v145
.LBB292_289:                            ;   in Loop: Header=BB292_16 Depth=1
	s_wait_alu 0xfffe
	s_or_b32 exec_lo, exec_lo, s22
.LBB292_290:                            ;   in Loop: Header=BB292_16 Depth=1
	s_wait_alu 0xfffe
	s_or_b32 exec_lo, exec_lo, s21
.LBB292_291:                            ;   in Loop: Header=BB292_16 Depth=1
	s_wait_alu 0xfffe
	s_or_b32 exec_lo, exec_lo, s20
	v_lshrrev_b32_e32 v7, 16, v31
	s_mov_b32 s20, exec_lo
	s_delay_alu instid0(VALU_DEP_1) | instskip(NEXT) | instid1(VALU_DEP_1)
	v_and_b32_e32 v147, 0xff, v7
	v_cmpx_ne_u16_e64 0, v147
	s_cbranch_execz .LBB292_299
; %bb.292:                              ;   in Loop: Header=BB292_16 Depth=1
	v_mov_b32_e32 v146, 0x8000
	s_mov_b32 s21, exec_lo
	v_cmpx_ne_u16_e64 0x80, v147
	s_cbranch_execz .LBB292_298
; %bb.293:                              ;   in Loop: Header=BB292_16 Depth=1
	v_bfe_u32 v148, v31, 16, 7
	v_mov_b32_e32 v146, 0x7c01
	s_mov_b32 s22, exec_lo
	s_delay_alu instid0(VALU_DEP_2)
	v_cmpx_ne_u32_e32 0x7f, v148
	s_cbranch_execz .LBB292_297
; %bb.294:                              ;   in Loop: Header=BB292_16 Depth=1
	v_and_b32_e32 v146, 7, v7
	v_lshrrev_b32_e32 v147, 3, v148
	s_mov_b32 s23, exec_lo
	v_cmpx_gt_u32_e32 8, v148
; %bb.295:                              ;   in Loop: Header=BB292_16 Depth=1
	s_delay_alu instid0(VALU_DEP_3) | instskip(NEXT) | instid1(VALU_DEP_1)
	v_clz_i32_u32_e32 v146, v146
	v_min_u32_e32 v148, 32, v146
	s_delay_alu instid0(VALU_DEP_1) | instskip(NEXT) | instid1(VALU_DEP_1)
	v_subrev_nc_u32_e32 v146, 28, v148
	v_lshlrev_b64_e32 v[146:147], v146, v[7:8]
	v_sub_nc_u32_e32 v147, 29, v148
	s_delay_alu instid0(VALU_DEP_2)
	v_and_b32_e32 v146, 7, v146
; %bb.296:                              ;   in Loop: Header=BB292_16 Depth=1
	s_wait_alu 0xfffe
	s_or_b32 exec_lo, exec_lo, s23
	v_lshlrev_b32_e32 v7, 8, v7
	v_lshl_add_u32 v147, v147, 10, 0x2000
	v_lshlrev_b32_e32 v146, 7, v146
	s_delay_alu instid0(VALU_DEP_3) | instskip(NEXT) | instid1(VALU_DEP_3)
	v_and_b32_e32 v7, 0x8000, v7
	v_and_b32_e32 v147, 0xfc00, v147
	s_delay_alu instid0(VALU_DEP_1)
	v_or3_b32 v146, v7, v147, v146
.LBB292_297:                            ;   in Loop: Header=BB292_16 Depth=1
	s_wait_alu 0xfffe
	s_or_b32 exec_lo, exec_lo, s22
.LBB292_298:                            ;   in Loop: Header=BB292_16 Depth=1
	s_wait_alu 0xfffe
	s_or_b32 exec_lo, exec_lo, s21
.LBB292_299:                            ;   in Loop: Header=BB292_16 Depth=1
	s_wait_alu 0xfffe
	s_or_b32 exec_lo, exec_lo, s20
	v_dual_mov_b32 v147, 0 :: v_dual_mov_b32 v148, 0
	s_mov_b32 s20, exec_lo
	v_cmpx_lt_u32_e32 0xffffff, v31
	s_cbranch_execz .LBB292_307
; %bb.300:                              ;   in Loop: Header=BB292_16 Depth=1
	v_lshrrev_b32_e32 v7, 24, v31
	v_bfrev_b32_e32 v148, 1
	s_mov_b32 s21, exec_lo
	s_delay_alu instid0(VALU_DEP_2)
	v_cmpx_ne_u32_e32 0x80, v7
	s_cbranch_execz .LBB292_306
; %bb.301:                              ;   in Loop: Header=BB292_16 Depth=1
	v_and_b32_e32 v150, 0x7f, v7
	v_mov_b32_e32 v148, 0x7c010000
	s_mov_b32 s22, exec_lo
	s_delay_alu instid0(VALU_DEP_2)
	v_cmpx_ne_u32_e32 0x7f, v150
	s_cbranch_execz .LBB292_305
; %bb.302:                              ;   in Loop: Header=BB292_16 Depth=1
	v_and_b32_e32 v148, 7, v7
	v_lshrrev_b32_e32 v149, 3, v150
	s_mov_b32 s23, exec_lo
	v_cmpx_gt_u32_e32 8, v150
; %bb.303:                              ;   in Loop: Header=BB292_16 Depth=1
	s_delay_alu instid0(VALU_DEP_3) | instskip(NEXT) | instid1(VALU_DEP_1)
	v_clz_i32_u32_e32 v148, v148
	v_min_u32_e32 v150, 32, v148
	s_delay_alu instid0(VALU_DEP_1) | instskip(NEXT) | instid1(VALU_DEP_1)
	v_subrev_nc_u32_e32 v148, 28, v150
	v_lshlrev_b64_e32 v[148:149], v148, v[7:8]
	v_sub_nc_u32_e32 v149, 29, v150
	s_delay_alu instid0(VALU_DEP_2)
	v_and_b32_e32 v148, 7, v148
; %bb.304:                              ;   in Loop: Header=BB292_16 Depth=1
	s_wait_alu 0xfffe
	s_or_b32 exec_lo, exec_lo, s23
	v_lshlrev_b32_e32 v7, 8, v7
	v_lshl_add_u32 v149, v149, 10, 0x2000
	v_lshlrev_b32_e32 v148, 23, v148
	s_delay_alu instid0(VALU_DEP_2) | instskip(NEXT) | instid1(VALU_DEP_1)
	v_and_or_b32 v7, 0x8000, v7, v149
	v_lshl_or_b32 v148, v7, 16, v148
.LBB292_305:                            ;   in Loop: Header=BB292_16 Depth=1
	s_wait_alu 0xfffe
	s_or_b32 exec_lo, exec_lo, s22
.LBB292_306:                            ;   in Loop: Header=BB292_16 Depth=1
	s_wait_alu 0xfffe
	s_or_b32 exec_lo, exec_lo, s21
.LBB292_307:                            ;   in Loop: Header=BB292_16 Depth=1
	s_wait_alu 0xfffe
	s_or_b32 exec_lo, exec_lo, s20
	v_and_b32_e32 v149, 0xff, v32
	v_mov_b32_e32 v7, v32
	s_mov_b32 s20, exec_lo
	s_delay_alu instid0(VALU_DEP_2)
	v_cmpx_ne_u16_e64 0, v149
	s_cbranch_execz .LBB292_315
; %bb.308:                              ;   in Loop: Header=BB292_16 Depth=1
	v_mov_b32_e32 v147, 0x8000
	s_mov_b32 s21, exec_lo
	v_cmpx_ne_u16_e64 0x80, v149
	s_cbranch_execz .LBB292_314
; %bb.309:                              ;   in Loop: Header=BB292_16 Depth=1
	v_and_b32_e32 v150, 0x7f, v32
	v_mov_b32_e32 v147, 0x7c01
	s_mov_b32 s22, exec_lo
	s_delay_alu instid0(VALU_DEP_2)
	v_cmpx_ne_u32_e32 0x7f, v150
	s_cbranch_execz .LBB292_313
; %bb.310:                              ;   in Loop: Header=BB292_16 Depth=1
	v_and_b32_e32 v147, 7, v32
	v_lshrrev_b32_e32 v149, 3, v150
	s_mov_b32 s23, exec_lo
	v_cmpx_gt_u32_e32 8, v150
; %bb.311:                              ;   in Loop: Header=BB292_16 Depth=1
	s_delay_alu instid0(VALU_DEP_3) | instskip(NEXT) | instid1(VALU_DEP_1)
	v_clz_i32_u32_e32 v147, v147
	v_min_u32_e32 v147, 32, v147
	s_delay_alu instid0(VALU_DEP_1) | instskip(NEXT) | instid1(VALU_DEP_1)
	v_subrev_nc_u32_e32 v149, 28, v147
	v_lshlrev_b64_e32 v[150:151], v149, v[7:8]
	v_sub_nc_u32_e32 v149, 29, v147
	s_delay_alu instid0(VALU_DEP_2)
	v_and_b32_e32 v147, 7, v150
; %bb.312:                              ;   in Loop: Header=BB292_16 Depth=1
	s_wait_alu 0xfffe
	s_or_b32 exec_lo, exec_lo, s23
	v_lshlrev_b32_e32 v150, 8, v32
	v_lshl_add_u32 v149, v149, 10, 0x2000
	v_lshlrev_b32_e32 v147, 7, v147
	s_delay_alu instid0(VALU_DEP_3) | instskip(NEXT) | instid1(VALU_DEP_3)
	v_and_b32_e32 v150, 0x8000, v150
	v_and_b32_e32 v149, 0xfc00, v149
	s_delay_alu instid0(VALU_DEP_1)
	v_or3_b32 v147, v150, v149, v147
.LBB292_313:                            ;   in Loop: Header=BB292_16 Depth=1
	s_wait_alu 0xfffe
	s_or_b32 exec_lo, exec_lo, s22
.LBB292_314:                            ;   in Loop: Header=BB292_16 Depth=1
	s_wait_alu 0xfffe
	s_or_b32 exec_lo, exec_lo, s21
.LBB292_315:                            ;   in Loop: Header=BB292_16 Depth=1
	s_wait_alu 0xfffe
	s_or_b32 exec_lo, exec_lo, s20
	v_lshrrev_b16 v7, 8, v7
	v_dual_mov_b32 v149, 0 :: v_dual_mov_b32 v150, 0
	s_mov_b32 s20, exec_lo
	s_delay_alu instid0(VALU_DEP_2)
	v_cmpx_ne_u16_e32 0, v7
	s_cbranch_execz .LBB292_323
; %bb.316:                              ;   in Loop: Header=BB292_16 Depth=1
	v_bfrev_b32_e32 v150, 1
	s_mov_b32 s21, exec_lo
	v_cmpx_ne_u16_e32 0x80, v7
	s_cbranch_execz .LBB292_322
; %bb.317:                              ;   in Loop: Header=BB292_16 Depth=1
	v_and_b32_e32 v151, 0xffff, v7
	v_mov_b32_e32 v150, 0x7c010000
	s_mov_b32 s22, exec_lo
	s_delay_alu instid0(VALU_DEP_2) | instskip(NEXT) | instid1(VALU_DEP_1)
	v_and_b32_e32 v161, 0x7f, v151
	v_cmpx_ne_u32_e32 0x7f, v161
	s_cbranch_execz .LBB292_321
; %bb.318:                              ;   in Loop: Header=BB292_16 Depth=1
	v_and_b32_e32 v150, 7, v151
	v_lshrrev_b32_e32 v160, 3, v161
	s_mov_b32 s23, exec_lo
	v_cmpx_gt_u32_e32 8, v161
; %bb.319:                              ;   in Loop: Header=BB292_16 Depth=1
	s_delay_alu instid0(VALU_DEP_3) | instskip(NEXT) | instid1(VALU_DEP_1)
	v_clz_i32_u32_e32 v150, v150
	v_min_u32_e32 v150, 32, v150
	s_delay_alu instid0(VALU_DEP_1) | instskip(NEXT) | instid1(VALU_DEP_1)
	v_subrev_nc_u32_e32 v160, 28, v150
	v_lshlrev_b64_e32 v[161:162], v160, v[7:8]
	v_sub_nc_u32_e32 v160, 29, v150
	s_delay_alu instid0(VALU_DEP_2)
	v_and_b32_e32 v150, 7, v161
; %bb.320:                              ;   in Loop: Header=BB292_16 Depth=1
	s_wait_alu 0xfffe
	s_or_b32 exec_lo, exec_lo, s23
	v_lshlrev_b32_e32 v7, 8, v151
	v_lshl_add_u32 v151, v160, 10, 0x2000
	v_lshlrev_b32_e32 v150, 23, v150
	s_delay_alu instid0(VALU_DEP_2) | instskip(NEXT) | instid1(VALU_DEP_1)
	v_and_or_b32 v7, 0x8000, v7, v151
	v_lshl_or_b32 v150, v7, 16, v150
.LBB292_321:                            ;   in Loop: Header=BB292_16 Depth=1
	s_wait_alu 0xfffe
	s_or_b32 exec_lo, exec_lo, s22
.LBB292_322:                            ;   in Loop: Header=BB292_16 Depth=1
	s_wait_alu 0xfffe
	s_or_b32 exec_lo, exec_lo, s21
.LBB292_323:                            ;   in Loop: Header=BB292_16 Depth=1
	s_wait_alu 0xfffe
	s_or_b32 exec_lo, exec_lo, s20
	v_lshrrev_b32_e32 v7, 16, v32
	s_mov_b32 s20, exec_lo
	s_delay_alu instid0(VALU_DEP_1) | instskip(NEXT) | instid1(VALU_DEP_1)
	v_and_b32_e32 v151, 0xff, v7
	v_cmpx_ne_u16_e64 0, v151
	s_cbranch_execz .LBB292_331
; %bb.324:                              ;   in Loop: Header=BB292_16 Depth=1
	v_mov_b32_e32 v149, 0x8000
	s_mov_b32 s21, exec_lo
	v_cmpx_ne_u16_e64 0x80, v151
	s_cbranch_execz .LBB292_330
; %bb.325:                              ;   in Loop: Header=BB292_16 Depth=1
	v_bfe_u32 v160, v32, 16, 7
	v_mov_b32_e32 v149, 0x7c01
	s_mov_b32 s22, exec_lo
	s_delay_alu instid0(VALU_DEP_2)
	v_cmpx_ne_u32_e32 0x7f, v160
	s_cbranch_execz .LBB292_329
; %bb.326:                              ;   in Loop: Header=BB292_16 Depth=1
	v_and_b32_e32 v149, 7, v7
	v_lshrrev_b32_e32 v151, 3, v160
	s_mov_b32 s23, exec_lo
	v_cmpx_gt_u32_e32 8, v160
; %bb.327:                              ;   in Loop: Header=BB292_16 Depth=1
	s_delay_alu instid0(VALU_DEP_3) | instskip(NEXT) | instid1(VALU_DEP_1)
	v_clz_i32_u32_e32 v149, v149
	v_min_u32_e32 v149, 32, v149
	s_delay_alu instid0(VALU_DEP_1) | instskip(NEXT) | instid1(VALU_DEP_1)
	v_subrev_nc_u32_e32 v151, 28, v149
	v_lshlrev_b64_e32 v[160:161], v151, v[7:8]
	v_sub_nc_u32_e32 v151, 29, v149
	s_delay_alu instid0(VALU_DEP_2)
	v_and_b32_e32 v149, 7, v160
; %bb.328:                              ;   in Loop: Header=BB292_16 Depth=1
	s_wait_alu 0xfffe
	s_or_b32 exec_lo, exec_lo, s23
	v_lshlrev_b32_e32 v7, 8, v7
	v_lshl_add_u32 v151, v151, 10, 0x2000
	v_lshlrev_b32_e32 v149, 7, v149
	s_delay_alu instid0(VALU_DEP_3) | instskip(NEXT) | instid1(VALU_DEP_3)
	v_and_b32_e32 v7, 0x8000, v7
	v_and_b32_e32 v151, 0xfc00, v151
	s_delay_alu instid0(VALU_DEP_1)
	v_or3_b32 v149, v7, v151, v149
.LBB292_329:                            ;   in Loop: Header=BB292_16 Depth=1
	s_wait_alu 0xfffe
	s_or_b32 exec_lo, exec_lo, s22
.LBB292_330:                            ;   in Loop: Header=BB292_16 Depth=1
	s_wait_alu 0xfffe
	s_or_b32 exec_lo, exec_lo, s21
.LBB292_331:                            ;   in Loop: Header=BB292_16 Depth=1
	s_wait_alu 0xfffe
	s_or_b32 exec_lo, exec_lo, s20
	v_dual_mov_b32 v160, 0 :: v_dual_mov_b32 v151, 0
	s_mov_b32 s20, exec_lo
	v_cmpx_lt_u64_e64 s[10:11], v[31:32]
	s_cbranch_execz .LBB292_339
; %bb.332:                              ;   in Loop: Header=BB292_16 Depth=1
	v_lshrrev_b32_e32 v7, 24, v32
	v_bfrev_b32_e32 v151, 1
	s_mov_b32 s21, exec_lo
	s_delay_alu instid0(VALU_DEP_2)
	v_cmpx_ne_u32_e32 0x80, v7
	s_cbranch_execz .LBB292_338
; %bb.333:                              ;   in Loop: Header=BB292_16 Depth=1
	v_and_b32_e32 v161, 0x7f, v7
	v_mov_b32_e32 v151, 0x7c010000
	s_mov_b32 s22, exec_lo
	s_delay_alu instid0(VALU_DEP_2)
	v_cmpx_ne_u32_e32 0x7f, v161
	s_cbranch_execz .LBB292_337
; %bb.334:                              ;   in Loop: Header=BB292_16 Depth=1
	v_and_b32_e32 v31, 7, v7
	v_lshrrev_b32_e32 v32, 3, v161
	s_mov_b32 s23, exec_lo
	v_cmpx_gt_u32_e32 8, v161
; %bb.335:                              ;   in Loop: Header=BB292_16 Depth=1
	s_delay_alu instid0(VALU_DEP_3) | instskip(NEXT) | instid1(VALU_DEP_1)
	v_clz_i32_u32_e32 v31, v31
	v_min_u32_e32 v151, 32, v31
	s_delay_alu instid0(VALU_DEP_1) | instskip(NEXT) | instid1(VALU_DEP_1)
	v_subrev_nc_u32_e32 v31, 28, v151
	v_lshlrev_b64_e32 v[31:32], v31, v[7:8]
	v_sub_nc_u32_e32 v32, 29, v151
	s_delay_alu instid0(VALU_DEP_2)
	v_and_b32_e32 v31, 7, v31
; %bb.336:                              ;   in Loop: Header=BB292_16 Depth=1
	s_wait_alu 0xfffe
	s_or_b32 exec_lo, exec_lo, s23
	v_lshlrev_b32_e32 v7, 8, v7
	v_lshl_add_u32 v32, v32, 10, 0x2000
	v_lshlrev_b32_e32 v31, 23, v31
	s_delay_alu instid0(VALU_DEP_2) | instskip(NEXT) | instid1(VALU_DEP_1)
	v_and_or_b32 v7, 0x8000, v7, v32
	v_lshl_or_b32 v151, v7, 16, v31
.LBB292_337:                            ;   in Loop: Header=BB292_16 Depth=1
	s_wait_alu 0xfffe
	s_or_b32 exec_lo, exec_lo, s22
.LBB292_338:                            ;   in Loop: Header=BB292_16 Depth=1
	s_wait_alu 0xfffe
	s_or_b32 exec_lo, exec_lo, s21
.LBB292_339:                            ;   in Loop: Header=BB292_16 Depth=1
	s_wait_alu 0xfffe
	s_or_b32 exec_lo, exec_lo, s20
	flat_load_b64 v[31:32], v[28:29] offset:1032
	s_mov_b32 s20, exec_lo
	s_wait_loadcnt_dscnt 0x0
	v_and_b32_e32 v7, 0xff, v31
	s_delay_alu instid0(VALU_DEP_1)
	v_cmpx_ne_u16_e32 0, v7
	s_cbranch_execz .LBB292_347
; %bb.340:                              ;   in Loop: Header=BB292_16 Depth=1
	v_mov_b32_e32 v160, 0x8000
	s_mov_b32 s21, exec_lo
	v_cmpx_ne_u16_e32 0x80, v7
	s_cbranch_execz .LBB292_346
; %bb.341:                              ;   in Loop: Header=BB292_16 Depth=1
	v_and_b32_e32 v161, 0x7f, v31
	v_mov_b32_e32 v160, 0x7c01
	s_mov_b32 s22, exec_lo
	s_delay_alu instid0(VALU_DEP_2)
	v_cmpx_ne_u32_e32 0x7f, v161
	s_cbranch_execz .LBB292_345
; %bb.342:                              ;   in Loop: Header=BB292_16 Depth=1
	v_and_b32_e32 v7, 7, v31
	v_lshrrev_b32_e32 v160, 3, v161
	s_mov_b32 s23, exec_lo
	v_cmpx_gt_u32_e32 8, v161
; %bb.343:                              ;   in Loop: Header=BB292_16 Depth=1
	s_delay_alu instid0(VALU_DEP_3) | instskip(NEXT) | instid1(VALU_DEP_1)
	v_clz_i32_u32_e32 v7, v7
	v_min_u32_e32 v7, 32, v7
	s_delay_alu instid0(VALU_DEP_1) | instskip(NEXT) | instid1(VALU_DEP_1)
	v_subrev_nc_u32_e32 v160, 28, v7
	v_lshlrev_b64_e32 v[161:162], v160, v[31:32]
	v_sub_nc_u32_e32 v160, 29, v7
	s_delay_alu instid0(VALU_DEP_2)
	v_and_b32_e32 v7, 7, v161
; %bb.344:                              ;   in Loop: Header=BB292_16 Depth=1
	s_wait_alu 0xfffe
	s_or_b32 exec_lo, exec_lo, s23
	v_lshlrev_b32_e32 v161, 8, v31
	v_lshl_add_u32 v160, v160, 10, 0x2000
	v_lshlrev_b32_e32 v7, 7, v7
	s_delay_alu instid0(VALU_DEP_3) | instskip(NEXT) | instid1(VALU_DEP_3)
	v_and_b32_e32 v161, 0x8000, v161
	v_and_b32_e32 v160, 0xfc00, v160
	s_delay_alu instid0(VALU_DEP_1)
	v_or3_b32 v160, v161, v160, v7
.LBB292_345:                            ;   in Loop: Header=BB292_16 Depth=1
	s_wait_alu 0xfffe
	s_or_b32 exec_lo, exec_lo, s22
.LBB292_346:                            ;   in Loop: Header=BB292_16 Depth=1
	s_wait_alu 0xfffe
	s_or_b32 exec_lo, exec_lo, s21
.LBB292_347:                            ;   in Loop: Header=BB292_16 Depth=1
	s_wait_alu 0xfffe
	s_or_b32 exec_lo, exec_lo, s20
	v_lshrrev_b16 v7, 8, v31
	v_dual_mov_b32 v162, 0 :: v_dual_mov_b32 v161, 0
	s_mov_b32 s20, exec_lo
	s_delay_alu instid0(VALU_DEP_2)
	v_cmpx_ne_u16_e32 0, v7
	s_cbranch_execz .LBB292_355
; %bb.348:                              ;   in Loop: Header=BB292_16 Depth=1
	v_bfrev_b32_e32 v161, 1
	s_mov_b32 s21, exec_lo
	v_cmpx_ne_u16_e32 0x80, v7
	s_cbranch_execz .LBB292_354
; %bb.349:                              ;   in Loop: Header=BB292_16 Depth=1
	v_and_b32_e32 v163, 0xffff, v7
	v_mov_b32_e32 v161, 0x7c010000
	s_mov_b32 s22, exec_lo
	s_delay_alu instid0(VALU_DEP_2) | instskip(NEXT) | instid1(VALU_DEP_1)
	v_and_b32_e32 v165, 0x7f, v163
	v_cmpx_ne_u32_e32 0x7f, v165
	s_cbranch_execz .LBB292_353
; %bb.350:                              ;   in Loop: Header=BB292_16 Depth=1
	v_and_b32_e32 v161, 7, v163
	v_lshrrev_b32_e32 v164, 3, v165
	s_mov_b32 s23, exec_lo
	v_cmpx_gt_u32_e32 8, v165
; %bb.351:                              ;   in Loop: Header=BB292_16 Depth=1
	s_delay_alu instid0(VALU_DEP_3) | instskip(NEXT) | instid1(VALU_DEP_1)
	v_clz_i32_u32_e32 v161, v161
	v_min_u32_e32 v161, 32, v161
	s_delay_alu instid0(VALU_DEP_1) | instskip(NEXT) | instid1(VALU_DEP_1)
	v_subrev_nc_u32_e32 v164, 28, v161
	v_lshlrev_b64_e32 v[165:166], v164, v[7:8]
	v_sub_nc_u32_e32 v164, 29, v161
	s_delay_alu instid0(VALU_DEP_2)
	v_and_b32_e32 v161, 7, v165
; %bb.352:                              ;   in Loop: Header=BB292_16 Depth=1
	s_wait_alu 0xfffe
	s_or_b32 exec_lo, exec_lo, s23
	v_lshlrev_b32_e32 v7, 8, v163
	v_lshl_add_u32 v163, v164, 10, 0x2000
	v_lshlrev_b32_e32 v161, 23, v161
	s_delay_alu instid0(VALU_DEP_2) | instskip(NEXT) | instid1(VALU_DEP_1)
	v_and_or_b32 v7, 0x8000, v7, v163
	v_lshl_or_b32 v161, v7, 16, v161
.LBB292_353:                            ;   in Loop: Header=BB292_16 Depth=1
	s_wait_alu 0xfffe
	s_or_b32 exec_lo, exec_lo, s22
.LBB292_354:                            ;   in Loop: Header=BB292_16 Depth=1
	s_wait_alu 0xfffe
	s_or_b32 exec_lo, exec_lo, s21
.LBB292_355:                            ;   in Loop: Header=BB292_16 Depth=1
	s_wait_alu 0xfffe
	s_or_b32 exec_lo, exec_lo, s20
	v_lshrrev_b32_e32 v7, 16, v31
	s_mov_b32 s20, exec_lo
	s_delay_alu instid0(VALU_DEP_1) | instskip(NEXT) | instid1(VALU_DEP_1)
	v_and_b32_e32 v163, 0xff, v7
	v_cmpx_ne_u16_e64 0, v163
	s_cbranch_execz .LBB292_363
; %bb.356:                              ;   in Loop: Header=BB292_16 Depth=1
	v_mov_b32_e32 v162, 0x8000
	s_mov_b32 s21, exec_lo
	v_cmpx_ne_u16_e64 0x80, v163
	s_cbranch_execz .LBB292_362
; %bb.357:                              ;   in Loop: Header=BB292_16 Depth=1
	v_bfe_u32 v164, v31, 16, 7
	v_mov_b32_e32 v162, 0x7c01
	s_mov_b32 s22, exec_lo
	s_delay_alu instid0(VALU_DEP_2)
	v_cmpx_ne_u32_e32 0x7f, v164
	s_cbranch_execz .LBB292_361
; %bb.358:                              ;   in Loop: Header=BB292_16 Depth=1
	v_and_b32_e32 v162, 7, v7
	v_lshrrev_b32_e32 v163, 3, v164
	s_mov_b32 s23, exec_lo
	v_cmpx_gt_u32_e32 8, v164
; %bb.359:                              ;   in Loop: Header=BB292_16 Depth=1
	s_delay_alu instid0(VALU_DEP_3) | instskip(NEXT) | instid1(VALU_DEP_1)
	v_clz_i32_u32_e32 v162, v162
	v_min_u32_e32 v164, 32, v162
	s_delay_alu instid0(VALU_DEP_1) | instskip(NEXT) | instid1(VALU_DEP_1)
	v_subrev_nc_u32_e32 v162, 28, v164
	v_lshlrev_b64_e32 v[162:163], v162, v[7:8]
	v_sub_nc_u32_e32 v163, 29, v164
	s_delay_alu instid0(VALU_DEP_2)
	v_and_b32_e32 v162, 7, v162
; %bb.360:                              ;   in Loop: Header=BB292_16 Depth=1
	s_wait_alu 0xfffe
	s_or_b32 exec_lo, exec_lo, s23
	v_lshlrev_b32_e32 v7, 8, v7
	v_lshl_add_u32 v163, v163, 10, 0x2000
	v_lshlrev_b32_e32 v162, 7, v162
	s_delay_alu instid0(VALU_DEP_3) | instskip(NEXT) | instid1(VALU_DEP_3)
	v_and_b32_e32 v7, 0x8000, v7
	v_and_b32_e32 v163, 0xfc00, v163
	s_delay_alu instid0(VALU_DEP_1)
	v_or3_b32 v162, v7, v163, v162
.LBB292_361:                            ;   in Loop: Header=BB292_16 Depth=1
	s_wait_alu 0xfffe
	s_or_b32 exec_lo, exec_lo, s22
.LBB292_362:                            ;   in Loop: Header=BB292_16 Depth=1
	s_wait_alu 0xfffe
	s_or_b32 exec_lo, exec_lo, s21
.LBB292_363:                            ;   in Loop: Header=BB292_16 Depth=1
	s_wait_alu 0xfffe
	s_or_b32 exec_lo, exec_lo, s20
	v_dual_mov_b32 v163, 0 :: v_dual_mov_b32 v164, 0
	s_mov_b32 s20, exec_lo
	v_cmpx_lt_u32_e32 0xffffff, v31
	s_cbranch_execz .LBB292_371
; %bb.364:                              ;   in Loop: Header=BB292_16 Depth=1
	v_lshrrev_b32_e32 v7, 24, v31
	v_bfrev_b32_e32 v164, 1
	s_mov_b32 s21, exec_lo
	s_delay_alu instid0(VALU_DEP_2)
	v_cmpx_ne_u32_e32 0x80, v7
	s_cbranch_execz .LBB292_370
; %bb.365:                              ;   in Loop: Header=BB292_16 Depth=1
	v_and_b32_e32 v166, 0x7f, v7
	v_mov_b32_e32 v164, 0x7c010000
	s_mov_b32 s22, exec_lo
	s_delay_alu instid0(VALU_DEP_2)
	v_cmpx_ne_u32_e32 0x7f, v166
	s_cbranch_execz .LBB292_369
; %bb.366:                              ;   in Loop: Header=BB292_16 Depth=1
	v_and_b32_e32 v164, 7, v7
	v_lshrrev_b32_e32 v165, 3, v166
	s_mov_b32 s23, exec_lo
	v_cmpx_gt_u32_e32 8, v166
; %bb.367:                              ;   in Loop: Header=BB292_16 Depth=1
	s_delay_alu instid0(VALU_DEP_3) | instskip(NEXT) | instid1(VALU_DEP_1)
	v_clz_i32_u32_e32 v164, v164
	v_min_u32_e32 v166, 32, v164
	s_delay_alu instid0(VALU_DEP_1) | instskip(NEXT) | instid1(VALU_DEP_1)
	v_subrev_nc_u32_e32 v164, 28, v166
	v_lshlrev_b64_e32 v[164:165], v164, v[7:8]
	v_sub_nc_u32_e32 v165, 29, v166
	s_delay_alu instid0(VALU_DEP_2)
	v_and_b32_e32 v164, 7, v164
; %bb.368:                              ;   in Loop: Header=BB292_16 Depth=1
	s_wait_alu 0xfffe
	s_or_b32 exec_lo, exec_lo, s23
	v_lshlrev_b32_e32 v7, 8, v7
	v_lshl_add_u32 v165, v165, 10, 0x2000
	v_lshlrev_b32_e32 v164, 23, v164
	s_delay_alu instid0(VALU_DEP_2) | instskip(NEXT) | instid1(VALU_DEP_1)
	v_and_or_b32 v7, 0x8000, v7, v165
	v_lshl_or_b32 v164, v7, 16, v164
.LBB292_369:                            ;   in Loop: Header=BB292_16 Depth=1
	s_wait_alu 0xfffe
	s_or_b32 exec_lo, exec_lo, s22
.LBB292_370:                            ;   in Loop: Header=BB292_16 Depth=1
	s_wait_alu 0xfffe
	s_or_b32 exec_lo, exec_lo, s21
.LBB292_371:                            ;   in Loop: Header=BB292_16 Depth=1
	s_wait_alu 0xfffe
	s_or_b32 exec_lo, exec_lo, s20
	v_and_b32_e32 v165, 0xff, v32
	v_mov_b32_e32 v7, v32
	s_mov_b32 s20, exec_lo
	s_delay_alu instid0(VALU_DEP_2)
	v_cmpx_ne_u16_e64 0, v165
	s_cbranch_execz .LBB292_379
; %bb.372:                              ;   in Loop: Header=BB292_16 Depth=1
	v_mov_b32_e32 v163, 0x8000
	s_mov_b32 s21, exec_lo
	v_cmpx_ne_u16_e64 0x80, v165
	s_cbranch_execz .LBB292_378
; %bb.373:                              ;   in Loop: Header=BB292_16 Depth=1
	v_and_b32_e32 v166, 0x7f, v32
	v_mov_b32_e32 v163, 0x7c01
	s_mov_b32 s22, exec_lo
	s_delay_alu instid0(VALU_DEP_2)
	v_cmpx_ne_u32_e32 0x7f, v166
	s_cbranch_execz .LBB292_377
; %bb.374:                              ;   in Loop: Header=BB292_16 Depth=1
	v_and_b32_e32 v163, 7, v32
	v_lshrrev_b32_e32 v165, 3, v166
	s_mov_b32 s23, exec_lo
	v_cmpx_gt_u32_e32 8, v166
; %bb.375:                              ;   in Loop: Header=BB292_16 Depth=1
	s_delay_alu instid0(VALU_DEP_3) | instskip(NEXT) | instid1(VALU_DEP_1)
	v_clz_i32_u32_e32 v163, v163
	v_min_u32_e32 v163, 32, v163
	s_delay_alu instid0(VALU_DEP_1) | instskip(NEXT) | instid1(VALU_DEP_1)
	v_subrev_nc_u32_e32 v165, 28, v163
	v_lshlrev_b64_e32 v[166:167], v165, v[7:8]
	v_sub_nc_u32_e32 v165, 29, v163
	s_delay_alu instid0(VALU_DEP_2)
	v_and_b32_e32 v163, 7, v166
; %bb.376:                              ;   in Loop: Header=BB292_16 Depth=1
	s_wait_alu 0xfffe
	s_or_b32 exec_lo, exec_lo, s23
	v_lshlrev_b32_e32 v166, 8, v32
	v_lshl_add_u32 v165, v165, 10, 0x2000
	v_lshlrev_b32_e32 v163, 7, v163
	s_delay_alu instid0(VALU_DEP_3) | instskip(NEXT) | instid1(VALU_DEP_3)
	v_and_b32_e32 v166, 0x8000, v166
	v_and_b32_e32 v165, 0xfc00, v165
	s_delay_alu instid0(VALU_DEP_1)
	v_or3_b32 v163, v166, v165, v163
.LBB292_377:                            ;   in Loop: Header=BB292_16 Depth=1
	s_wait_alu 0xfffe
	s_or_b32 exec_lo, exec_lo, s22
.LBB292_378:                            ;   in Loop: Header=BB292_16 Depth=1
	s_wait_alu 0xfffe
	s_or_b32 exec_lo, exec_lo, s21
.LBB292_379:                            ;   in Loop: Header=BB292_16 Depth=1
	s_wait_alu 0xfffe
	s_or_b32 exec_lo, exec_lo, s20
	v_lshrrev_b16 v7, 8, v7
	v_dual_mov_b32 v165, 0 :: v_dual_mov_b32 v166, 0
	s_mov_b32 s20, exec_lo
	s_delay_alu instid0(VALU_DEP_2)
	v_cmpx_ne_u16_e32 0, v7
	s_cbranch_execz .LBB292_387
; %bb.380:                              ;   in Loop: Header=BB292_16 Depth=1
	v_bfrev_b32_e32 v166, 1
	s_mov_b32 s21, exec_lo
	v_cmpx_ne_u16_e32 0x80, v7
	s_cbranch_execz .LBB292_386
; %bb.381:                              ;   in Loop: Header=BB292_16 Depth=1
	v_and_b32_e32 v167, 0xffff, v7
	v_mov_b32_e32 v166, 0x7c010000
	s_mov_b32 s22, exec_lo
	s_delay_alu instid0(VALU_DEP_2) | instskip(NEXT) | instid1(VALU_DEP_1)
	v_and_b32_e32 v177, 0x7f, v167
	v_cmpx_ne_u32_e32 0x7f, v177
	s_cbranch_execz .LBB292_385
; %bb.382:                              ;   in Loop: Header=BB292_16 Depth=1
	v_and_b32_e32 v166, 7, v167
	v_lshrrev_b32_e32 v176, 3, v177
	s_mov_b32 s23, exec_lo
	v_cmpx_gt_u32_e32 8, v177
; %bb.383:                              ;   in Loop: Header=BB292_16 Depth=1
	s_delay_alu instid0(VALU_DEP_3) | instskip(NEXT) | instid1(VALU_DEP_1)
	v_clz_i32_u32_e32 v166, v166
	v_min_u32_e32 v166, 32, v166
	s_delay_alu instid0(VALU_DEP_1) | instskip(NEXT) | instid1(VALU_DEP_1)
	v_subrev_nc_u32_e32 v176, 28, v166
	v_lshlrev_b64_e32 v[177:178], v176, v[7:8]
	v_sub_nc_u32_e32 v176, 29, v166
	s_delay_alu instid0(VALU_DEP_2)
	v_and_b32_e32 v166, 7, v177
; %bb.384:                              ;   in Loop: Header=BB292_16 Depth=1
	s_wait_alu 0xfffe
	s_or_b32 exec_lo, exec_lo, s23
	v_lshlrev_b32_e32 v7, 8, v167
	v_lshl_add_u32 v167, v176, 10, 0x2000
	v_lshlrev_b32_e32 v166, 23, v166
	s_delay_alu instid0(VALU_DEP_2) | instskip(NEXT) | instid1(VALU_DEP_1)
	v_and_or_b32 v7, 0x8000, v7, v167
	v_lshl_or_b32 v166, v7, 16, v166
.LBB292_385:                            ;   in Loop: Header=BB292_16 Depth=1
	s_wait_alu 0xfffe
	s_or_b32 exec_lo, exec_lo, s22
.LBB292_386:                            ;   in Loop: Header=BB292_16 Depth=1
	s_wait_alu 0xfffe
	s_or_b32 exec_lo, exec_lo, s21
.LBB292_387:                            ;   in Loop: Header=BB292_16 Depth=1
	s_wait_alu 0xfffe
	s_or_b32 exec_lo, exec_lo, s20
	v_lshrrev_b32_e32 v7, 16, v32
	s_mov_b32 s20, exec_lo
	s_delay_alu instid0(VALU_DEP_1) | instskip(NEXT) | instid1(VALU_DEP_1)
	v_and_b32_e32 v167, 0xff, v7
	v_cmpx_ne_u16_e64 0, v167
	s_cbranch_execz .LBB292_395
; %bb.388:                              ;   in Loop: Header=BB292_16 Depth=1
	v_mov_b32_e32 v165, 0x8000
	s_mov_b32 s21, exec_lo
	v_cmpx_ne_u16_e64 0x80, v167
	s_cbranch_execz .LBB292_394
; %bb.389:                              ;   in Loop: Header=BB292_16 Depth=1
	v_bfe_u32 v176, v32, 16, 7
	v_mov_b32_e32 v165, 0x7c01
	s_mov_b32 s22, exec_lo
	s_delay_alu instid0(VALU_DEP_2)
	v_cmpx_ne_u32_e32 0x7f, v176
	s_cbranch_execz .LBB292_393
; %bb.390:                              ;   in Loop: Header=BB292_16 Depth=1
	v_and_b32_e32 v165, 7, v7
	v_lshrrev_b32_e32 v167, 3, v176
	s_mov_b32 s23, exec_lo
	v_cmpx_gt_u32_e32 8, v176
; %bb.391:                              ;   in Loop: Header=BB292_16 Depth=1
	s_delay_alu instid0(VALU_DEP_3) | instskip(NEXT) | instid1(VALU_DEP_1)
	v_clz_i32_u32_e32 v165, v165
	v_min_u32_e32 v165, 32, v165
	s_delay_alu instid0(VALU_DEP_1) | instskip(NEXT) | instid1(VALU_DEP_1)
	v_subrev_nc_u32_e32 v167, 28, v165
	v_lshlrev_b64_e32 v[176:177], v167, v[7:8]
	v_sub_nc_u32_e32 v167, 29, v165
	s_delay_alu instid0(VALU_DEP_2)
	v_and_b32_e32 v165, 7, v176
; %bb.392:                              ;   in Loop: Header=BB292_16 Depth=1
	s_wait_alu 0xfffe
	s_or_b32 exec_lo, exec_lo, s23
	v_lshlrev_b32_e32 v7, 8, v7
	v_lshl_add_u32 v167, v167, 10, 0x2000
	v_lshlrev_b32_e32 v165, 7, v165
	s_delay_alu instid0(VALU_DEP_3) | instskip(NEXT) | instid1(VALU_DEP_3)
	v_and_b32_e32 v7, 0x8000, v7
	v_and_b32_e32 v167, 0xfc00, v167
	s_delay_alu instid0(VALU_DEP_1)
	v_or3_b32 v165, v7, v167, v165
.LBB292_393:                            ;   in Loop: Header=BB292_16 Depth=1
	s_wait_alu 0xfffe
	s_or_b32 exec_lo, exec_lo, s22
.LBB292_394:                            ;   in Loop: Header=BB292_16 Depth=1
	s_wait_alu 0xfffe
	s_or_b32 exec_lo, exec_lo, s21
.LBB292_395:                            ;   in Loop: Header=BB292_16 Depth=1
	s_wait_alu 0xfffe
	s_or_b32 exec_lo, exec_lo, s20
	v_dual_mov_b32 v176, 0 :: v_dual_mov_b32 v167, 0
	s_mov_b32 s20, exec_lo
	v_cmpx_lt_u64_e64 s[10:11], v[31:32]
	s_cbranch_execz .LBB292_403
; %bb.396:                              ;   in Loop: Header=BB292_16 Depth=1
	v_lshrrev_b32_e32 v7, 24, v32
	v_bfrev_b32_e32 v167, 1
	s_mov_b32 s21, exec_lo
	s_delay_alu instid0(VALU_DEP_2)
	v_cmpx_ne_u32_e32 0x80, v7
	s_cbranch_execz .LBB292_402
; %bb.397:                              ;   in Loop: Header=BB292_16 Depth=1
	v_and_b32_e32 v177, 0x7f, v7
	v_mov_b32_e32 v167, 0x7c010000
	s_mov_b32 s22, exec_lo
	s_delay_alu instid0(VALU_DEP_2)
	v_cmpx_ne_u32_e32 0x7f, v177
	s_cbranch_execz .LBB292_401
; %bb.398:                              ;   in Loop: Header=BB292_16 Depth=1
	v_and_b32_e32 v31, 7, v7
	v_lshrrev_b32_e32 v32, 3, v177
	s_mov_b32 s23, exec_lo
	v_cmpx_gt_u32_e32 8, v177
; %bb.399:                              ;   in Loop: Header=BB292_16 Depth=1
	s_delay_alu instid0(VALU_DEP_3) | instskip(NEXT) | instid1(VALU_DEP_1)
	v_clz_i32_u32_e32 v31, v31
	v_min_u32_e32 v167, 32, v31
	s_delay_alu instid0(VALU_DEP_1) | instskip(NEXT) | instid1(VALU_DEP_1)
	v_subrev_nc_u32_e32 v31, 28, v167
	v_lshlrev_b64_e32 v[31:32], v31, v[7:8]
	v_sub_nc_u32_e32 v32, 29, v167
	s_delay_alu instid0(VALU_DEP_2)
	v_and_b32_e32 v31, 7, v31
; %bb.400:                              ;   in Loop: Header=BB292_16 Depth=1
	s_wait_alu 0xfffe
	s_or_b32 exec_lo, exec_lo, s23
	v_lshlrev_b32_e32 v7, 8, v7
	v_lshl_add_u32 v32, v32, 10, 0x2000
	v_lshlrev_b32_e32 v31, 23, v31
	s_delay_alu instid0(VALU_DEP_2) | instskip(NEXT) | instid1(VALU_DEP_1)
	v_and_or_b32 v7, 0x8000, v7, v32
	v_lshl_or_b32 v167, v7, 16, v31
.LBB292_401:                            ;   in Loop: Header=BB292_16 Depth=1
	s_wait_alu 0xfffe
	s_or_b32 exec_lo, exec_lo, s22
.LBB292_402:                            ;   in Loop: Header=BB292_16 Depth=1
	s_wait_alu 0xfffe
	s_or_b32 exec_lo, exec_lo, s21
.LBB292_403:                            ;   in Loop: Header=BB292_16 Depth=1
	s_wait_alu 0xfffe
	s_or_b32 exec_lo, exec_lo, s20
	flat_load_b64 v[31:32], v[28:29] offset:1536
	s_mov_b32 s20, exec_lo
	s_wait_loadcnt_dscnt 0x0
	v_and_b32_e32 v7, 0xff, v31
	s_delay_alu instid0(VALU_DEP_1)
	v_cmpx_ne_u16_e32 0, v7
	s_cbranch_execz .LBB292_411
; %bb.404:                              ;   in Loop: Header=BB292_16 Depth=1
	v_mov_b32_e32 v176, 0x8000
	s_mov_b32 s21, exec_lo
	v_cmpx_ne_u16_e32 0x80, v7
	s_cbranch_execz .LBB292_410
; %bb.405:                              ;   in Loop: Header=BB292_16 Depth=1
	v_and_b32_e32 v177, 0x7f, v31
	v_mov_b32_e32 v176, 0x7c01
	s_mov_b32 s22, exec_lo
	s_delay_alu instid0(VALU_DEP_2)
	v_cmpx_ne_u32_e32 0x7f, v177
	s_cbranch_execz .LBB292_409
; %bb.406:                              ;   in Loop: Header=BB292_16 Depth=1
	v_and_b32_e32 v7, 7, v31
	v_lshrrev_b32_e32 v176, 3, v177
	s_mov_b32 s23, exec_lo
	v_cmpx_gt_u32_e32 8, v177
; %bb.407:                              ;   in Loop: Header=BB292_16 Depth=1
	s_delay_alu instid0(VALU_DEP_3) | instskip(NEXT) | instid1(VALU_DEP_1)
	v_clz_i32_u32_e32 v7, v7
	v_min_u32_e32 v7, 32, v7
	s_delay_alu instid0(VALU_DEP_1) | instskip(NEXT) | instid1(VALU_DEP_1)
	v_subrev_nc_u32_e32 v176, 28, v7
	v_lshlrev_b64_e32 v[177:178], v176, v[31:32]
	v_sub_nc_u32_e32 v176, 29, v7
	s_delay_alu instid0(VALU_DEP_2)
	v_and_b32_e32 v7, 7, v177
; %bb.408:                              ;   in Loop: Header=BB292_16 Depth=1
	s_wait_alu 0xfffe
	s_or_b32 exec_lo, exec_lo, s23
	v_lshlrev_b32_e32 v177, 8, v31
	v_lshl_add_u32 v176, v176, 10, 0x2000
	v_lshlrev_b32_e32 v7, 7, v7
	s_delay_alu instid0(VALU_DEP_3) | instskip(NEXT) | instid1(VALU_DEP_3)
	v_and_b32_e32 v177, 0x8000, v177
	v_and_b32_e32 v176, 0xfc00, v176
	s_delay_alu instid0(VALU_DEP_1)
	v_or3_b32 v176, v177, v176, v7
.LBB292_409:                            ;   in Loop: Header=BB292_16 Depth=1
	s_wait_alu 0xfffe
	s_or_b32 exec_lo, exec_lo, s22
.LBB292_410:                            ;   in Loop: Header=BB292_16 Depth=1
	s_wait_alu 0xfffe
	s_or_b32 exec_lo, exec_lo, s21
.LBB292_411:                            ;   in Loop: Header=BB292_16 Depth=1
	s_wait_alu 0xfffe
	s_or_b32 exec_lo, exec_lo, s20
	v_lshrrev_b16 v7, 8, v31
	v_dual_mov_b32 v178, 0 :: v_dual_mov_b32 v177, 0
	s_mov_b32 s20, exec_lo
	s_delay_alu instid0(VALU_DEP_2)
	v_cmpx_ne_u16_e32 0, v7
	s_cbranch_execz .LBB292_419
; %bb.412:                              ;   in Loop: Header=BB292_16 Depth=1
	v_bfrev_b32_e32 v177, 1
	s_mov_b32 s21, exec_lo
	v_cmpx_ne_u16_e32 0x80, v7
	s_cbranch_execz .LBB292_418
; %bb.413:                              ;   in Loop: Header=BB292_16 Depth=1
	v_and_b32_e32 v179, 0xffff, v7
	v_mov_b32_e32 v177, 0x7c010000
	s_mov_b32 s22, exec_lo
	s_delay_alu instid0(VALU_DEP_2) | instskip(NEXT) | instid1(VALU_DEP_1)
	v_and_b32_e32 v181, 0x7f, v179
	v_cmpx_ne_u32_e32 0x7f, v181
	s_cbranch_execz .LBB292_417
; %bb.414:                              ;   in Loop: Header=BB292_16 Depth=1
	v_and_b32_e32 v177, 7, v179
	v_lshrrev_b32_e32 v180, 3, v181
	s_mov_b32 s23, exec_lo
	v_cmpx_gt_u32_e32 8, v181
; %bb.415:                              ;   in Loop: Header=BB292_16 Depth=1
	s_delay_alu instid0(VALU_DEP_3) | instskip(NEXT) | instid1(VALU_DEP_1)
	v_clz_i32_u32_e32 v177, v177
	v_min_u32_e32 v177, 32, v177
	s_delay_alu instid0(VALU_DEP_1) | instskip(NEXT) | instid1(VALU_DEP_1)
	v_subrev_nc_u32_e32 v180, 28, v177
	v_lshlrev_b64_e32 v[181:182], v180, v[7:8]
	v_sub_nc_u32_e32 v180, 29, v177
	s_delay_alu instid0(VALU_DEP_2)
	v_and_b32_e32 v177, 7, v181
; %bb.416:                              ;   in Loop: Header=BB292_16 Depth=1
	s_wait_alu 0xfffe
	s_or_b32 exec_lo, exec_lo, s23
	v_lshlrev_b32_e32 v7, 8, v179
	v_lshl_add_u32 v179, v180, 10, 0x2000
	v_lshlrev_b32_e32 v177, 23, v177
	s_delay_alu instid0(VALU_DEP_2) | instskip(NEXT) | instid1(VALU_DEP_1)
	v_and_or_b32 v7, 0x8000, v7, v179
	v_lshl_or_b32 v177, v7, 16, v177
.LBB292_417:                            ;   in Loop: Header=BB292_16 Depth=1
	s_wait_alu 0xfffe
	s_or_b32 exec_lo, exec_lo, s22
.LBB292_418:                            ;   in Loop: Header=BB292_16 Depth=1
	s_wait_alu 0xfffe
	s_or_b32 exec_lo, exec_lo, s21
.LBB292_419:                            ;   in Loop: Header=BB292_16 Depth=1
	s_wait_alu 0xfffe
	s_or_b32 exec_lo, exec_lo, s20
	v_lshrrev_b32_e32 v7, 16, v31
	s_mov_b32 s20, exec_lo
	s_delay_alu instid0(VALU_DEP_1) | instskip(NEXT) | instid1(VALU_DEP_1)
	v_and_b32_e32 v179, 0xff, v7
	v_cmpx_ne_u16_e64 0, v179
	s_cbranch_execz .LBB292_427
; %bb.420:                              ;   in Loop: Header=BB292_16 Depth=1
	v_mov_b32_e32 v178, 0x8000
	s_mov_b32 s21, exec_lo
	v_cmpx_ne_u16_e64 0x80, v179
	s_cbranch_execz .LBB292_426
; %bb.421:                              ;   in Loop: Header=BB292_16 Depth=1
	v_bfe_u32 v180, v31, 16, 7
	v_mov_b32_e32 v178, 0x7c01
	s_mov_b32 s22, exec_lo
	s_delay_alu instid0(VALU_DEP_2)
	v_cmpx_ne_u32_e32 0x7f, v180
	s_cbranch_execz .LBB292_425
; %bb.422:                              ;   in Loop: Header=BB292_16 Depth=1
	v_and_b32_e32 v178, 7, v7
	v_lshrrev_b32_e32 v179, 3, v180
	s_mov_b32 s23, exec_lo
	v_cmpx_gt_u32_e32 8, v180
; %bb.423:                              ;   in Loop: Header=BB292_16 Depth=1
	s_delay_alu instid0(VALU_DEP_3) | instskip(NEXT) | instid1(VALU_DEP_1)
	v_clz_i32_u32_e32 v178, v178
	v_min_u32_e32 v180, 32, v178
	s_delay_alu instid0(VALU_DEP_1) | instskip(NEXT) | instid1(VALU_DEP_1)
	v_subrev_nc_u32_e32 v178, 28, v180
	v_lshlrev_b64_e32 v[178:179], v178, v[7:8]
	v_sub_nc_u32_e32 v179, 29, v180
	s_delay_alu instid0(VALU_DEP_2)
	v_and_b32_e32 v178, 7, v178
; %bb.424:                              ;   in Loop: Header=BB292_16 Depth=1
	s_wait_alu 0xfffe
	s_or_b32 exec_lo, exec_lo, s23
	v_lshlrev_b32_e32 v7, 8, v7
	v_lshl_add_u32 v179, v179, 10, 0x2000
	v_lshlrev_b32_e32 v178, 7, v178
	s_delay_alu instid0(VALU_DEP_3) | instskip(NEXT) | instid1(VALU_DEP_3)
	v_and_b32_e32 v7, 0x8000, v7
	v_and_b32_e32 v179, 0xfc00, v179
	s_delay_alu instid0(VALU_DEP_1)
	v_or3_b32 v178, v7, v179, v178
.LBB292_425:                            ;   in Loop: Header=BB292_16 Depth=1
	s_wait_alu 0xfffe
	s_or_b32 exec_lo, exec_lo, s22
.LBB292_426:                            ;   in Loop: Header=BB292_16 Depth=1
	s_wait_alu 0xfffe
	s_or_b32 exec_lo, exec_lo, s21
.LBB292_427:                            ;   in Loop: Header=BB292_16 Depth=1
	s_wait_alu 0xfffe
	s_or_b32 exec_lo, exec_lo, s20
	v_dual_mov_b32 v179, 0 :: v_dual_mov_b32 v180, 0
	s_mov_b32 s20, exec_lo
	v_cmpx_lt_u32_e32 0xffffff, v31
	s_cbranch_execz .LBB292_435
; %bb.428:                              ;   in Loop: Header=BB292_16 Depth=1
	v_lshrrev_b32_e32 v7, 24, v31
	v_bfrev_b32_e32 v180, 1
	s_mov_b32 s21, exec_lo
	s_delay_alu instid0(VALU_DEP_2)
	v_cmpx_ne_u32_e32 0x80, v7
	s_cbranch_execz .LBB292_434
; %bb.429:                              ;   in Loop: Header=BB292_16 Depth=1
	v_and_b32_e32 v182, 0x7f, v7
	v_mov_b32_e32 v180, 0x7c010000
	s_mov_b32 s22, exec_lo
	s_delay_alu instid0(VALU_DEP_2)
	v_cmpx_ne_u32_e32 0x7f, v182
	s_cbranch_execz .LBB292_433
; %bb.430:                              ;   in Loop: Header=BB292_16 Depth=1
	v_and_b32_e32 v180, 7, v7
	v_lshrrev_b32_e32 v181, 3, v182
	s_mov_b32 s23, exec_lo
	v_cmpx_gt_u32_e32 8, v182
; %bb.431:                              ;   in Loop: Header=BB292_16 Depth=1
	s_delay_alu instid0(VALU_DEP_3) | instskip(NEXT) | instid1(VALU_DEP_1)
	v_clz_i32_u32_e32 v180, v180
	v_min_u32_e32 v182, 32, v180
	s_delay_alu instid0(VALU_DEP_1) | instskip(NEXT) | instid1(VALU_DEP_1)
	v_subrev_nc_u32_e32 v180, 28, v182
	v_lshlrev_b64_e32 v[180:181], v180, v[7:8]
	v_sub_nc_u32_e32 v181, 29, v182
	s_delay_alu instid0(VALU_DEP_2)
	v_and_b32_e32 v180, 7, v180
; %bb.432:                              ;   in Loop: Header=BB292_16 Depth=1
	s_wait_alu 0xfffe
	s_or_b32 exec_lo, exec_lo, s23
	v_lshlrev_b32_e32 v7, 8, v7
	v_lshl_add_u32 v181, v181, 10, 0x2000
	v_lshlrev_b32_e32 v180, 23, v180
	s_delay_alu instid0(VALU_DEP_2) | instskip(NEXT) | instid1(VALU_DEP_1)
	v_and_or_b32 v7, 0x8000, v7, v181
	v_lshl_or_b32 v180, v7, 16, v180
.LBB292_433:                            ;   in Loop: Header=BB292_16 Depth=1
	s_wait_alu 0xfffe
	s_or_b32 exec_lo, exec_lo, s22
.LBB292_434:                            ;   in Loop: Header=BB292_16 Depth=1
	s_wait_alu 0xfffe
	s_or_b32 exec_lo, exec_lo, s21
.LBB292_435:                            ;   in Loop: Header=BB292_16 Depth=1
	s_wait_alu 0xfffe
	s_or_b32 exec_lo, exec_lo, s20
	v_and_b32_e32 v181, 0xff, v32
	v_mov_b32_e32 v7, v32
	s_mov_b32 s20, exec_lo
	s_delay_alu instid0(VALU_DEP_2)
	v_cmpx_ne_u16_e64 0, v181
	s_cbranch_execz .LBB292_443
; %bb.436:                              ;   in Loop: Header=BB292_16 Depth=1
	v_mov_b32_e32 v179, 0x8000
	s_mov_b32 s21, exec_lo
	v_cmpx_ne_u16_e64 0x80, v181
	s_cbranch_execz .LBB292_442
; %bb.437:                              ;   in Loop: Header=BB292_16 Depth=1
	v_and_b32_e32 v182, 0x7f, v32
	v_mov_b32_e32 v179, 0x7c01
	s_mov_b32 s22, exec_lo
	s_delay_alu instid0(VALU_DEP_2)
	v_cmpx_ne_u32_e32 0x7f, v182
	s_cbranch_execz .LBB292_441
; %bb.438:                              ;   in Loop: Header=BB292_16 Depth=1
	v_and_b32_e32 v179, 7, v32
	v_lshrrev_b32_e32 v181, 3, v182
	s_mov_b32 s23, exec_lo
	v_cmpx_gt_u32_e32 8, v182
; %bb.439:                              ;   in Loop: Header=BB292_16 Depth=1
	s_delay_alu instid0(VALU_DEP_3) | instskip(NEXT) | instid1(VALU_DEP_1)
	v_clz_i32_u32_e32 v179, v179
	v_min_u32_e32 v179, 32, v179
	s_delay_alu instid0(VALU_DEP_1) | instskip(NEXT) | instid1(VALU_DEP_1)
	v_subrev_nc_u32_e32 v181, 28, v179
	v_lshlrev_b64_e32 v[182:183], v181, v[7:8]
	v_sub_nc_u32_e32 v181, 29, v179
	s_delay_alu instid0(VALU_DEP_2)
	v_and_b32_e32 v179, 7, v182
; %bb.440:                              ;   in Loop: Header=BB292_16 Depth=1
	s_wait_alu 0xfffe
	s_or_b32 exec_lo, exec_lo, s23
	v_lshlrev_b32_e32 v182, 8, v32
	v_lshl_add_u32 v181, v181, 10, 0x2000
	v_lshlrev_b32_e32 v179, 7, v179
	s_delay_alu instid0(VALU_DEP_3) | instskip(NEXT) | instid1(VALU_DEP_3)
	v_and_b32_e32 v182, 0x8000, v182
	v_and_b32_e32 v181, 0xfc00, v181
	s_delay_alu instid0(VALU_DEP_1)
	v_or3_b32 v179, v182, v181, v179
.LBB292_441:                            ;   in Loop: Header=BB292_16 Depth=1
	s_wait_alu 0xfffe
	s_or_b32 exec_lo, exec_lo, s22
.LBB292_442:                            ;   in Loop: Header=BB292_16 Depth=1
	s_wait_alu 0xfffe
	s_or_b32 exec_lo, exec_lo, s21
.LBB292_443:                            ;   in Loop: Header=BB292_16 Depth=1
	s_wait_alu 0xfffe
	s_or_b32 exec_lo, exec_lo, s20
	v_lshrrev_b16 v7, 8, v7
	v_dual_mov_b32 v181, 0 :: v_dual_mov_b32 v182, 0
	s_mov_b32 s20, exec_lo
	s_delay_alu instid0(VALU_DEP_2)
	v_cmpx_ne_u16_e32 0, v7
	s_cbranch_execz .LBB292_451
; %bb.444:                              ;   in Loop: Header=BB292_16 Depth=1
	v_bfrev_b32_e32 v182, 1
	s_mov_b32 s21, exec_lo
	v_cmpx_ne_u16_e32 0x80, v7
	s_cbranch_execz .LBB292_450
; %bb.445:                              ;   in Loop: Header=BB292_16 Depth=1
	v_and_b32_e32 v183, 0xffff, v7
	v_mov_b32_e32 v182, 0x7c010000
	s_mov_b32 s22, exec_lo
	s_delay_alu instid0(VALU_DEP_2) | instskip(NEXT) | instid1(VALU_DEP_1)
	v_and_b32_e32 v41, 0x7f, v183
	v_cmpx_ne_u32_e32 0x7f, v41
	s_cbranch_execz .LBB292_449
; %bb.446:                              ;   in Loop: Header=BB292_16 Depth=1
	v_and_b32_e32 v182, 7, v183
	v_lshrrev_b32_e32 v40, 3, v41
	s_mov_b32 s23, exec_lo
	v_cmpx_gt_u32_e32 8, v41
; %bb.447:                              ;   in Loop: Header=BB292_16 Depth=1
	s_delay_alu instid0(VALU_DEP_3) | instskip(NEXT) | instid1(VALU_DEP_1)
	v_clz_i32_u32_e32 v182, v182
	v_min_u32_e32 v182, 32, v182
	s_delay_alu instid0(VALU_DEP_1) | instskip(NEXT) | instid1(VALU_DEP_1)
	v_subrev_nc_u32_e32 v40, 28, v182
	v_lshlrev_b64_e32 v[41:42], v40, v[7:8]
	v_sub_nc_u32_e32 v40, 29, v182
	s_delay_alu instid0(VALU_DEP_2)
	v_and_b32_e32 v182, 7, v41
; %bb.448:                              ;   in Loop: Header=BB292_16 Depth=1
	s_wait_alu 0xfffe
	s_or_b32 exec_lo, exec_lo, s23
	v_lshlrev_b32_e32 v7, 8, v183
	v_lshl_add_u32 v183, v40, 10, 0x2000
	v_lshlrev_b32_e32 v182, 23, v182
	s_delay_alu instid0(VALU_DEP_2) | instskip(NEXT) | instid1(VALU_DEP_1)
	v_and_or_b32 v7, 0x8000, v7, v183
	v_lshl_or_b32 v182, v7, 16, v182
.LBB292_449:                            ;   in Loop: Header=BB292_16 Depth=1
	s_wait_alu 0xfffe
	s_or_b32 exec_lo, exec_lo, s22
.LBB292_450:                            ;   in Loop: Header=BB292_16 Depth=1
	s_wait_alu 0xfffe
	s_or_b32 exec_lo, exec_lo, s21
.LBB292_451:                            ;   in Loop: Header=BB292_16 Depth=1
	s_wait_alu 0xfffe
	s_or_b32 exec_lo, exec_lo, s20
	v_lshrrev_b32_e32 v7, 16, v32
	s_mov_b32 s20, exec_lo
	s_delay_alu instid0(VALU_DEP_1) | instskip(NEXT) | instid1(VALU_DEP_1)
	v_and_b32_e32 v183, 0xff, v7
	v_cmpx_ne_u16_e64 0, v183
	s_cbranch_execz .LBB292_459
; %bb.452:                              ;   in Loop: Header=BB292_16 Depth=1
	v_mov_b32_e32 v181, 0x8000
	s_mov_b32 s21, exec_lo
	v_cmpx_ne_u16_e64 0x80, v183
	s_cbranch_execz .LBB292_458
; %bb.453:                              ;   in Loop: Header=BB292_16 Depth=1
	v_bfe_u32 v40, v32, 16, 7
	v_mov_b32_e32 v181, 0x7c01
	s_mov_b32 s22, exec_lo
	s_delay_alu instid0(VALU_DEP_2)
	v_cmpx_ne_u32_e32 0x7f, v40
	s_cbranch_execz .LBB292_457
; %bb.454:                              ;   in Loop: Header=BB292_16 Depth=1
	v_and_b32_e32 v181, 7, v7
	v_lshrrev_b32_e32 v183, 3, v40
	s_mov_b32 s23, exec_lo
	v_cmpx_gt_u32_e32 8, v40
; %bb.455:                              ;   in Loop: Header=BB292_16 Depth=1
	s_delay_alu instid0(VALU_DEP_3) | instskip(NEXT) | instid1(VALU_DEP_1)
	v_clz_i32_u32_e32 v181, v181
	v_min_u32_e32 v181, 32, v181
	s_delay_alu instid0(VALU_DEP_1) | instskip(NEXT) | instid1(VALU_DEP_1)
	v_subrev_nc_u32_e32 v183, 28, v181
	v_lshlrev_b64_e32 v[40:41], v183, v[7:8]
	v_sub_nc_u32_e32 v183, 29, v181
	s_delay_alu instid0(VALU_DEP_2)
	v_and_b32_e32 v181, 7, v40
; %bb.456:                              ;   in Loop: Header=BB292_16 Depth=1
	s_wait_alu 0xfffe
	s_or_b32 exec_lo, exec_lo, s23
	v_lshlrev_b32_e32 v7, 8, v7
	v_lshl_add_u32 v183, v183, 10, 0x2000
	v_lshlrev_b32_e32 v181, 7, v181
	s_delay_alu instid0(VALU_DEP_3) | instskip(NEXT) | instid1(VALU_DEP_3)
	v_and_b32_e32 v7, 0x8000, v7
	v_and_b32_e32 v183, 0xfc00, v183
	s_delay_alu instid0(VALU_DEP_1)
	v_or3_b32 v181, v7, v183, v181
.LBB292_457:                            ;   in Loop: Header=BB292_16 Depth=1
	s_wait_alu 0xfffe
	s_or_b32 exec_lo, exec_lo, s22
.LBB292_458:                            ;   in Loop: Header=BB292_16 Depth=1
	s_wait_alu 0xfffe
	s_or_b32 exec_lo, exec_lo, s21
.LBB292_459:                            ;   in Loop: Header=BB292_16 Depth=1
	s_wait_alu 0xfffe
	s_or_b32 exec_lo, exec_lo, s20
	v_dual_mov_b32 v41, 0 :: v_dual_mov_b32 v40, 0
	s_mov_b32 s20, exec_lo
	v_cmpx_lt_u64_e64 s[10:11], v[31:32]
	s_cbranch_execz .LBB292_467
; %bb.460:                              ;   in Loop: Header=BB292_16 Depth=1
	v_lshrrev_b32_e32 v7, 24, v32
	v_bfrev_b32_e32 v40, 1
	s_mov_b32 s21, exec_lo
	s_delay_alu instid0(VALU_DEP_2)
	v_cmpx_ne_u32_e32 0x80, v7
	s_cbranch_execz .LBB292_466
; %bb.461:                              ;   in Loop: Header=BB292_16 Depth=1
	v_and_b32_e32 v183, 0x7f, v7
	v_mov_b32_e32 v40, 0x7c010000
	s_mov_b32 s22, exec_lo
	s_delay_alu instid0(VALU_DEP_2)
	v_cmpx_ne_u32_e32 0x7f, v183
	s_cbranch_execz .LBB292_465
; %bb.462:                              ;   in Loop: Header=BB292_16 Depth=1
	v_and_b32_e32 v31, 7, v7
	v_lshrrev_b32_e32 v32, 3, v183
	s_mov_b32 s23, exec_lo
	v_cmpx_gt_u32_e32 8, v183
; %bb.463:                              ;   in Loop: Header=BB292_16 Depth=1
	s_delay_alu instid0(VALU_DEP_3) | instskip(NEXT) | instid1(VALU_DEP_1)
	v_clz_i32_u32_e32 v31, v31
	v_min_u32_e32 v183, 32, v31
	s_delay_alu instid0(VALU_DEP_1) | instskip(NEXT) | instid1(VALU_DEP_1)
	v_subrev_nc_u32_e32 v31, 28, v183
	v_lshlrev_b64_e32 v[31:32], v31, v[7:8]
	v_sub_nc_u32_e32 v32, 29, v183
	s_delay_alu instid0(VALU_DEP_2)
	v_and_b32_e32 v31, 7, v31
; %bb.464:                              ;   in Loop: Header=BB292_16 Depth=1
	s_wait_alu 0xfffe
	s_or_b32 exec_lo, exec_lo, s23
	v_lshlrev_b32_e32 v7, 8, v7
	v_lshl_add_u32 v32, v32, 10, 0x2000
	v_lshlrev_b32_e32 v31, 23, v31
	s_delay_alu instid0(VALU_DEP_2) | instskip(NEXT) | instid1(VALU_DEP_1)
	v_and_or_b32 v7, 0x8000, v7, v32
	v_lshl_or_b32 v40, v7, 16, v31
.LBB292_465:                            ;   in Loop: Header=BB292_16 Depth=1
	s_wait_alu 0xfffe
	s_or_b32 exec_lo, exec_lo, s22
.LBB292_466:                            ;   in Loop: Header=BB292_16 Depth=1
	s_wait_alu 0xfffe
	s_or_b32 exec_lo, exec_lo, s21
.LBB292_467:                            ;   in Loop: Header=BB292_16 Depth=1
	s_wait_alu 0xfffe
	s_or_b32 exec_lo, exec_lo, s20
	flat_load_b64 v[31:32], v[28:29] offset:1544
	s_mov_b32 s20, exec_lo
	s_wait_loadcnt_dscnt 0x0
	v_and_b32_e32 v7, 0xff, v31
	s_delay_alu instid0(VALU_DEP_1)
	v_cmpx_ne_u16_e32 0, v7
	s_cbranch_execz .LBB292_475
; %bb.468:                              ;   in Loop: Header=BB292_16 Depth=1
	v_mov_b32_e32 v41, 0x8000
	s_mov_b32 s21, exec_lo
	v_cmpx_ne_u16_e32 0x80, v7
	s_cbranch_execz .LBB292_474
; %bb.469:                              ;   in Loop: Header=BB292_16 Depth=1
	v_and_b32_e32 v42, 0x7f, v31
	v_mov_b32_e32 v41, 0x7c01
	s_mov_b32 s22, exec_lo
	s_delay_alu instid0(VALU_DEP_2)
	v_cmpx_ne_u32_e32 0x7f, v42
	s_cbranch_execz .LBB292_473
; %bb.470:                              ;   in Loop: Header=BB292_16 Depth=1
	v_and_b32_e32 v7, 7, v31
	v_lshrrev_b32_e32 v183, 3, v42
	s_mov_b32 s23, exec_lo
	v_cmpx_gt_u32_e32 8, v42
; %bb.471:                              ;   in Loop: Header=BB292_16 Depth=1
	s_delay_alu instid0(VALU_DEP_3) | instskip(NEXT) | instid1(VALU_DEP_1)
	v_clz_i32_u32_e32 v7, v7
	v_min_u32_e32 v7, 32, v7
	s_delay_alu instid0(VALU_DEP_1) | instskip(NEXT) | instid1(VALU_DEP_1)
	v_subrev_nc_u32_e32 v183, 28, v7
	v_lshlrev_b64_e32 v[41:42], v183, v[31:32]
	v_sub_nc_u32_e32 v183, 29, v7
	s_delay_alu instid0(VALU_DEP_2)
	v_and_b32_e32 v7, 7, v41
; %bb.472:                              ;   in Loop: Header=BB292_16 Depth=1
	s_wait_alu 0xfffe
	s_or_b32 exec_lo, exec_lo, s23
	v_lshlrev_b32_e32 v41, 8, v31
	v_lshl_add_u32 v183, v183, 10, 0x2000
	v_lshlrev_b32_e32 v7, 7, v7
	s_delay_alu instid0(VALU_DEP_3) | instskip(NEXT) | instid1(VALU_DEP_3)
	v_and_b32_e32 v41, 0x8000, v41
	v_and_b32_e32 v183, 0xfc00, v183
	s_delay_alu instid0(VALU_DEP_1)
	v_or3_b32 v41, v41, v183, v7
.LBB292_473:                            ;   in Loop: Header=BB292_16 Depth=1
	s_wait_alu 0xfffe
	s_or_b32 exec_lo, exec_lo, s22
.LBB292_474:                            ;   in Loop: Header=BB292_16 Depth=1
	s_wait_alu 0xfffe
	s_or_b32 exec_lo, exec_lo, s21
.LBB292_475:                            ;   in Loop: Header=BB292_16 Depth=1
	s_wait_alu 0xfffe
	s_or_b32 exec_lo, exec_lo, s20
	v_lshrrev_b16 v7, 8, v31
	v_dual_mov_b32 v47, 0 :: v_dual_mov_b32 v46, 0
	s_mov_b32 s20, exec_lo
	s_delay_alu instid0(VALU_DEP_2)
	v_cmpx_ne_u16_e32 0, v7
	s_cbranch_execz .LBB292_483
; %bb.476:                              ;   in Loop: Header=BB292_16 Depth=1
	v_bfrev_b32_e32 v46, 1
	s_mov_b32 s21, exec_lo
	v_cmpx_ne_u16_e32 0x80, v7
	s_cbranch_execz .LBB292_482
; %bb.477:                              ;   in Loop: Header=BB292_16 Depth=1
	v_and_b32_e32 v183, 0xffff, v7
	v_mov_b32_e32 v46, 0x7c010000
	s_mov_b32 s22, exec_lo
	s_delay_alu instid0(VALU_DEP_2) | instskip(NEXT) | instid1(VALU_DEP_1)
	v_and_b32_e32 v44, 0x7f, v183
	v_cmpx_ne_u32_e32 0x7f, v44
	s_cbranch_execz .LBB292_481
; %bb.478:                              ;   in Loop: Header=BB292_16 Depth=1
	v_and_b32_e32 v42, 7, v183
	v_lshrrev_b32_e32 v43, 3, v44
	s_mov_b32 s23, exec_lo
	v_cmpx_gt_u32_e32 8, v44
; %bb.479:                              ;   in Loop: Header=BB292_16 Depth=1
	s_delay_alu instid0(VALU_DEP_3) | instskip(NEXT) | instid1(VALU_DEP_1)
	v_clz_i32_u32_e32 v42, v42
	v_min_u32_e32 v44, 32, v42
	s_delay_alu instid0(VALU_DEP_1) | instskip(NEXT) | instid1(VALU_DEP_1)
	v_subrev_nc_u32_e32 v42, 28, v44
	v_lshlrev_b64_e32 v[42:43], v42, v[7:8]
	v_sub_nc_u32_e32 v43, 29, v44
	s_delay_alu instid0(VALU_DEP_2)
	v_and_b32_e32 v42, 7, v42
; %bb.480:                              ;   in Loop: Header=BB292_16 Depth=1
	s_wait_alu 0xfffe
	s_or_b32 exec_lo, exec_lo, s23
	v_lshlrev_b32_e32 v7, 8, v183
	v_lshl_add_u32 v183, v43, 10, 0x2000
	s_delay_alu instid0(VALU_DEP_1) | instskip(SKIP_1) | instid1(VALU_DEP_1)
	v_and_or_b32 v7, 0x8000, v7, v183
	v_lshlrev_b32_e32 v183, 23, v42
	v_lshl_or_b32 v46, v7, 16, v183
.LBB292_481:                            ;   in Loop: Header=BB292_16 Depth=1
	s_wait_alu 0xfffe
	s_or_b32 exec_lo, exec_lo, s22
.LBB292_482:                            ;   in Loop: Header=BB292_16 Depth=1
	s_wait_alu 0xfffe
	s_or_b32 exec_lo, exec_lo, s21
.LBB292_483:                            ;   in Loop: Header=BB292_16 Depth=1
	s_wait_alu 0xfffe
	s_or_b32 exec_lo, exec_lo, s20
	v_lshrrev_b32_e32 v7, 16, v31
	s_mov_b32 s20, exec_lo
	s_delay_alu instid0(VALU_DEP_1) | instskip(NEXT) | instid1(VALU_DEP_1)
	v_and_b32_e32 v183, 0xff, v7
	v_cmpx_ne_u16_e64 0, v183
	s_cbranch_execz .LBB292_491
; %bb.484:                              ;   in Loop: Header=BB292_16 Depth=1
	v_mov_b32_e32 v47, 0x8000
	s_mov_b32 s21, exec_lo
	v_cmpx_ne_u16_e64 0x80, v183
	s_cbranch_execz .LBB292_490
; %bb.485:                              ;   in Loop: Header=BB292_16 Depth=1
	v_bfe_u32 v43, v31, 16, 7
	v_mov_b32_e32 v47, 0x7c01
	s_mov_b32 s22, exec_lo
	s_delay_alu instid0(VALU_DEP_2)
	v_cmpx_ne_u32_e32 0x7f, v43
	s_cbranch_execz .LBB292_489
; %bb.486:                              ;   in Loop: Header=BB292_16 Depth=1
	v_and_b32_e32 v183, 7, v7
	v_lshrrev_b32_e32 v42, 3, v43
	s_mov_b32 s23, exec_lo
	v_cmpx_gt_u32_e32 8, v43
; %bb.487:                              ;   in Loop: Header=BB292_16 Depth=1
	s_delay_alu instid0(VALU_DEP_3) | instskip(NEXT) | instid1(VALU_DEP_1)
	v_clz_i32_u32_e32 v183, v183
	v_min_u32_e32 v183, 32, v183
	s_delay_alu instid0(VALU_DEP_1) | instskip(NEXT) | instid1(VALU_DEP_1)
	v_subrev_nc_u32_e32 v42, 28, v183
	v_lshlrev_b64_e32 v[43:44], v42, v[7:8]
	v_sub_nc_u32_e32 v42, 29, v183
	s_delay_alu instid0(VALU_DEP_2)
	v_and_b32_e32 v183, 7, v43
; %bb.488:                              ;   in Loop: Header=BB292_16 Depth=1
	s_wait_alu 0xfffe
	s_or_b32 exec_lo, exec_lo, s23
	v_lshlrev_b32_e32 v7, 8, v7
	v_lshl_add_u32 v42, v42, 10, 0x2000
	v_lshlrev_b32_e32 v183, 7, v183
	s_delay_alu instid0(VALU_DEP_3) | instskip(NEXT) | instid1(VALU_DEP_3)
	v_and_b32_e32 v7, 0x8000, v7
	v_and_b32_e32 v42, 0xfc00, v42
	s_delay_alu instid0(VALU_DEP_1)
	v_or3_b32 v47, v7, v42, v183
.LBB292_489:                            ;   in Loop: Header=BB292_16 Depth=1
	s_wait_alu 0xfffe
	s_or_b32 exec_lo, exec_lo, s22
.LBB292_490:                            ;   in Loop: Header=BB292_16 Depth=1
	s_wait_alu 0xfffe
	s_or_b32 exec_lo, exec_lo, s21
.LBB292_491:                            ;   in Loop: Header=BB292_16 Depth=1
	s_wait_alu 0xfffe
	s_or_b32 exec_lo, exec_lo, s20
	v_dual_mov_b32 v60, 0 :: v_dual_mov_b32 v61, 0
	s_mov_b32 s20, exec_lo
	v_cmpx_lt_u32_e32 0xffffff, v31
	s_cbranch_execz .LBB292_499
; %bb.492:                              ;   in Loop: Header=BB292_16 Depth=1
	v_lshrrev_b32_e32 v7, 24, v31
	v_bfrev_b32_e32 v61, 1
	s_mov_b32 s21, exec_lo
	s_delay_alu instid0(VALU_DEP_2)
	v_cmpx_ne_u32_e32 0x80, v7
	s_cbranch_execz .LBB292_498
; %bb.493:                              ;   in Loop: Header=BB292_16 Depth=1
	v_and_b32_e32 v43, 0x7f, v7
	v_mov_b32_e32 v61, 0x7c010000
	s_mov_b32 s22, exec_lo
	s_delay_alu instid0(VALU_DEP_2)
	v_cmpx_ne_u32_e32 0x7f, v43
	s_cbranch_execz .LBB292_497
; %bb.494:                              ;   in Loop: Header=BB292_16 Depth=1
	v_and_b32_e32 v183, 7, v7
	v_lshrrev_b32_e32 v42, 3, v43
	s_mov_b32 s23, exec_lo
	v_cmpx_gt_u32_e32 8, v43
; %bb.495:                              ;   in Loop: Header=BB292_16 Depth=1
	s_delay_alu instid0(VALU_DEP_3) | instskip(NEXT) | instid1(VALU_DEP_1)
	v_clz_i32_u32_e32 v183, v183
	v_min_u32_e32 v183, 32, v183
	s_delay_alu instid0(VALU_DEP_1) | instskip(NEXT) | instid1(VALU_DEP_1)
	v_subrev_nc_u32_e32 v42, 28, v183
	v_lshlrev_b64_e32 v[43:44], v42, v[7:8]
	v_sub_nc_u32_e32 v42, 29, v183
	s_delay_alu instid0(VALU_DEP_2)
	v_and_b32_e32 v183, 7, v43
; %bb.496:                              ;   in Loop: Header=BB292_16 Depth=1
	s_wait_alu 0xfffe
	s_or_b32 exec_lo, exec_lo, s23
	v_lshlrev_b32_e32 v7, 8, v7
	v_lshl_add_u32 v42, v42, 10, 0x2000
	v_lshlrev_b32_e32 v183, 23, v183
	s_delay_alu instid0(VALU_DEP_2) | instskip(NEXT) | instid1(VALU_DEP_1)
	v_and_or_b32 v7, 0x8000, v7, v42
	v_lshl_or_b32 v61, v7, 16, v183
.LBB292_497:                            ;   in Loop: Header=BB292_16 Depth=1
	s_wait_alu 0xfffe
	s_or_b32 exec_lo, exec_lo, s22
.LBB292_498:                            ;   in Loop: Header=BB292_16 Depth=1
	s_wait_alu 0xfffe
	s_or_b32 exec_lo, exec_lo, s21
.LBB292_499:                            ;   in Loop: Header=BB292_16 Depth=1
	s_wait_alu 0xfffe
	s_or_b32 exec_lo, exec_lo, s20
	v_and_b32_e32 v183, 0xff, v32
	v_mov_b32_e32 v7, v32
	s_mov_b32 s20, exec_lo
	s_delay_alu instid0(VALU_DEP_2)
	v_cmpx_ne_u16_e64 0, v183
	s_cbranch_execz .LBB292_507
; %bb.500:                              ;   in Loop: Header=BB292_16 Depth=1
	v_mov_b32_e32 v60, 0x8000
	s_mov_b32 s21, exec_lo
	v_cmpx_ne_u16_e64 0x80, v183
	s_cbranch_execz .LBB292_506
; %bb.501:                              ;   in Loop: Header=BB292_16 Depth=1
	v_and_b32_e32 v43, 0x7f, v32
	v_mov_b32_e32 v60, 0x7c01
	s_mov_b32 s22, exec_lo
	s_delay_alu instid0(VALU_DEP_2)
	v_cmpx_ne_u32_e32 0x7f, v43
	s_cbranch_execz .LBB292_505
; %bb.502:                              ;   in Loop: Header=BB292_16 Depth=1
	v_and_b32_e32 v183, 7, v32
	v_lshrrev_b32_e32 v42, 3, v43
	s_mov_b32 s23, exec_lo
	v_cmpx_gt_u32_e32 8, v43
; %bb.503:                              ;   in Loop: Header=BB292_16 Depth=1
	s_delay_alu instid0(VALU_DEP_3) | instskip(NEXT) | instid1(VALU_DEP_1)
	v_clz_i32_u32_e32 v183, v183
	v_min_u32_e32 v183, 32, v183
	s_delay_alu instid0(VALU_DEP_1) | instskip(NEXT) | instid1(VALU_DEP_1)
	v_subrev_nc_u32_e32 v42, 28, v183
	v_lshlrev_b64_e32 v[43:44], v42, v[7:8]
	v_sub_nc_u32_e32 v42, 29, v183
	s_delay_alu instid0(VALU_DEP_2)
	v_and_b32_e32 v183, 7, v43
; %bb.504:                              ;   in Loop: Header=BB292_16 Depth=1
	s_wait_alu 0xfffe
	s_or_b32 exec_lo, exec_lo, s23
	v_lshlrev_b32_e32 v43, 8, v32
	v_lshl_add_u32 v42, v42, 10, 0x2000
	v_lshlrev_b32_e32 v183, 7, v183
	s_delay_alu instid0(VALU_DEP_3) | instskip(NEXT) | instid1(VALU_DEP_3)
	v_and_b32_e32 v43, 0x8000, v43
	v_and_b32_e32 v42, 0xfc00, v42
	s_delay_alu instid0(VALU_DEP_1)
	v_or3_b32 v60, v43, v42, v183
.LBB292_505:                            ;   in Loop: Header=BB292_16 Depth=1
	s_wait_alu 0xfffe
	s_or_b32 exec_lo, exec_lo, s22
.LBB292_506:                            ;   in Loop: Header=BB292_16 Depth=1
	s_wait_alu 0xfffe
	s_or_b32 exec_lo, exec_lo, s21
.LBB292_507:                            ;   in Loop: Header=BB292_16 Depth=1
	s_wait_alu 0xfffe
	s_or_b32 exec_lo, exec_lo, s20
	v_lshrrev_b16 v7, 8, v7
	v_dual_mov_b32 v72, 0 :: v_dual_mov_b32 v73, 0
	s_mov_b32 s20, exec_lo
	s_delay_alu instid0(VALU_DEP_2)
	v_cmpx_ne_u16_e32 0, v7
	s_cbranch_execz .LBB292_515
; %bb.508:                              ;   in Loop: Header=BB292_16 Depth=1
	v_bfrev_b32_e32 v73, 1
	s_mov_b32 s21, exec_lo
	v_cmpx_ne_u16_e32 0x80, v7
	s_cbranch_execz .LBB292_514
; %bb.509:                              ;   in Loop: Header=BB292_16 Depth=1
	v_and_b32_e32 v183, 0xffff, v7
	v_mov_b32_e32 v73, 0x7c010000
	s_mov_b32 s22, exec_lo
	s_delay_alu instid0(VALU_DEP_2) | instskip(NEXT) | instid1(VALU_DEP_1)
	v_and_b32_e32 v44, 0x7f, v183
	v_cmpx_ne_u32_e32 0x7f, v44
	s_cbranch_execz .LBB292_513
; %bb.510:                              ;   in Loop: Header=BB292_16 Depth=1
	v_and_b32_e32 v42, 7, v183
	v_lshrrev_b32_e32 v43, 3, v44
	s_mov_b32 s23, exec_lo
	v_cmpx_gt_u32_e32 8, v44
; %bb.511:                              ;   in Loop: Header=BB292_16 Depth=1
	s_delay_alu instid0(VALU_DEP_3) | instskip(NEXT) | instid1(VALU_DEP_1)
	v_clz_i32_u32_e32 v42, v42
	v_min_u32_e32 v44, 32, v42
	s_delay_alu instid0(VALU_DEP_1) | instskip(NEXT) | instid1(VALU_DEP_1)
	v_subrev_nc_u32_e32 v42, 28, v44
	v_lshlrev_b64_e32 v[42:43], v42, v[7:8]
	v_sub_nc_u32_e32 v43, 29, v44
	s_delay_alu instid0(VALU_DEP_2)
	v_and_b32_e32 v42, 7, v42
; %bb.512:                              ;   in Loop: Header=BB292_16 Depth=1
	s_wait_alu 0xfffe
	s_or_b32 exec_lo, exec_lo, s23
	v_lshlrev_b32_e32 v7, 8, v183
	v_lshl_add_u32 v183, v43, 10, 0x2000
	s_delay_alu instid0(VALU_DEP_1) | instskip(SKIP_1) | instid1(VALU_DEP_1)
	v_and_or_b32 v7, 0x8000, v7, v183
	v_lshlrev_b32_e32 v183, 23, v42
	v_lshl_or_b32 v73, v7, 16, v183
.LBB292_513:                            ;   in Loop: Header=BB292_16 Depth=1
	s_wait_alu 0xfffe
	s_or_b32 exec_lo, exec_lo, s22
.LBB292_514:                            ;   in Loop: Header=BB292_16 Depth=1
	s_wait_alu 0xfffe
	s_or_b32 exec_lo, exec_lo, s21
.LBB292_515:                            ;   in Loop: Header=BB292_16 Depth=1
	s_wait_alu 0xfffe
	s_or_b32 exec_lo, exec_lo, s20
	v_lshrrev_b32_e32 v7, 16, v32
	s_mov_b32 s20, exec_lo
	s_delay_alu instid0(VALU_DEP_1) | instskip(NEXT) | instid1(VALU_DEP_1)
	v_and_b32_e32 v183, 0xff, v7
	v_cmpx_ne_u16_e64 0, v183
	s_cbranch_execz .LBB292_523
; %bb.516:                              ;   in Loop: Header=BB292_16 Depth=1
	v_mov_b32_e32 v72, 0x8000
	s_mov_b32 s21, exec_lo
	v_cmpx_ne_u16_e64 0x80, v183
	s_cbranch_execz .LBB292_522
; %bb.517:                              ;   in Loop: Header=BB292_16 Depth=1
	v_bfe_u32 v43, v32, 16, 7
	v_mov_b32_e32 v72, 0x7c01
	s_mov_b32 s22, exec_lo
	s_delay_alu instid0(VALU_DEP_2)
	v_cmpx_ne_u32_e32 0x7f, v43
	s_cbranch_execz .LBB292_521
; %bb.518:                              ;   in Loop: Header=BB292_16 Depth=1
	v_and_b32_e32 v183, 7, v7
	v_lshrrev_b32_e32 v42, 3, v43
	s_mov_b32 s23, exec_lo
	v_cmpx_gt_u32_e32 8, v43
; %bb.519:                              ;   in Loop: Header=BB292_16 Depth=1
	s_delay_alu instid0(VALU_DEP_3) | instskip(NEXT) | instid1(VALU_DEP_1)
	v_clz_i32_u32_e32 v183, v183
	v_min_u32_e32 v183, 32, v183
	s_delay_alu instid0(VALU_DEP_1) | instskip(NEXT) | instid1(VALU_DEP_1)
	v_subrev_nc_u32_e32 v42, 28, v183
	v_lshlrev_b64_e32 v[43:44], v42, v[7:8]
	v_sub_nc_u32_e32 v42, 29, v183
	s_delay_alu instid0(VALU_DEP_2)
	v_and_b32_e32 v183, 7, v43
; %bb.520:                              ;   in Loop: Header=BB292_16 Depth=1
	s_wait_alu 0xfffe
	s_or_b32 exec_lo, exec_lo, s23
	v_lshlrev_b32_e32 v7, 8, v7
	v_lshl_add_u32 v42, v42, 10, 0x2000
	v_lshlrev_b32_e32 v183, 7, v183
	s_delay_alu instid0(VALU_DEP_3) | instskip(NEXT) | instid1(VALU_DEP_3)
	v_and_b32_e32 v7, 0x8000, v7
	v_and_b32_e32 v42, 0xfc00, v42
	s_delay_alu instid0(VALU_DEP_1)
	v_or3_b32 v72, v7, v42, v183
.LBB292_521:                            ;   in Loop: Header=BB292_16 Depth=1
	s_wait_alu 0xfffe
	s_or_b32 exec_lo, exec_lo, s22
.LBB292_522:                            ;   in Loop: Header=BB292_16 Depth=1
	s_wait_alu 0xfffe
	s_or_b32 exec_lo, exec_lo, s21
.LBB292_523:                            ;   in Loop: Header=BB292_16 Depth=1
	s_wait_alu 0xfffe
	s_or_b32 exec_lo, exec_lo, s20
	v_dual_mov_b32 v89, 0 :: v_dual_mov_b32 v78, 0
	s_mov_b32 s20, exec_lo
	v_cmpx_lt_u64_e64 s[10:11], v[31:32]
	s_cbranch_execz .LBB292_531
; %bb.524:                              ;   in Loop: Header=BB292_16 Depth=1
	v_lshrrev_b32_e32 v7, 24, v32
	v_bfrev_b32_e32 v78, 1
	s_mov_b32 s21, exec_lo
	s_delay_alu instid0(VALU_DEP_2)
	v_cmpx_ne_u32_e32 0x80, v7
	s_cbranch_execz .LBB292_530
; %bb.525:                              ;   in Loop: Header=BB292_16 Depth=1
	v_and_b32_e32 v183, 0x7f, v7
	v_mov_b32_e32 v78, 0x7c010000
	s_mov_b32 s22, exec_lo
	s_delay_alu instid0(VALU_DEP_2)
	v_cmpx_ne_u32_e32 0x7f, v183
	s_cbranch_execz .LBB292_529
; %bb.526:                              ;   in Loop: Header=BB292_16 Depth=1
	v_and_b32_e32 v31, 7, v7
	v_lshrrev_b32_e32 v32, 3, v183
	s_mov_b32 s23, exec_lo
	v_cmpx_gt_u32_e32 8, v183
; %bb.527:                              ;   in Loop: Header=BB292_16 Depth=1
	s_delay_alu instid0(VALU_DEP_3) | instskip(NEXT) | instid1(VALU_DEP_1)
	v_clz_i32_u32_e32 v31, v31
	v_min_u32_e32 v183, 32, v31
	s_delay_alu instid0(VALU_DEP_1) | instskip(NEXT) | instid1(VALU_DEP_1)
	v_subrev_nc_u32_e32 v31, 28, v183
	v_lshlrev_b64_e32 v[31:32], v31, v[7:8]
	v_sub_nc_u32_e32 v32, 29, v183
	s_delay_alu instid0(VALU_DEP_2)
	v_and_b32_e32 v31, 7, v31
; %bb.528:                              ;   in Loop: Header=BB292_16 Depth=1
	s_wait_alu 0xfffe
	s_or_b32 exec_lo, exec_lo, s23
	v_lshlrev_b32_e32 v7, 8, v7
	v_lshl_add_u32 v32, v32, 10, 0x2000
	v_lshlrev_b32_e32 v31, 23, v31
	s_delay_alu instid0(VALU_DEP_2) | instskip(NEXT) | instid1(VALU_DEP_1)
	v_and_or_b32 v7, 0x8000, v7, v32
	v_lshl_or_b32 v78, v7, 16, v31
.LBB292_529:                            ;   in Loop: Header=BB292_16 Depth=1
	s_wait_alu 0xfffe
	s_or_b32 exec_lo, exec_lo, s22
.LBB292_530:                            ;   in Loop: Header=BB292_16 Depth=1
	s_wait_alu 0xfffe
	s_or_b32 exec_lo, exec_lo, s21
.LBB292_531:                            ;   in Loop: Header=BB292_16 Depth=1
	s_wait_alu 0xfffe
	s_or_b32 exec_lo, exec_lo, s20
	flat_load_b64 v[31:32], v[28:29] offset:2048
	s_mov_b32 s20, exec_lo
	s_wait_loadcnt_dscnt 0x0
	v_and_b32_e32 v7, 0xff, v31
	s_delay_alu instid0(VALU_DEP_1)
	v_cmpx_ne_u16_e32 0, v7
	s_cbranch_execz .LBB292_539
; %bb.532:                              ;   in Loop: Header=BB292_16 Depth=1
	v_mov_b32_e32 v89, 0x8000
	s_mov_b32 s21, exec_lo
	v_cmpx_ne_u16_e32 0x80, v7
	s_cbranch_execz .LBB292_538
; %bb.533:                              ;   in Loop: Header=BB292_16 Depth=1
	v_and_b32_e32 v42, 0x7f, v31
	v_mov_b32_e32 v89, 0x7c01
	s_mov_b32 s22, exec_lo
	s_delay_alu instid0(VALU_DEP_2)
	v_cmpx_ne_u32_e32 0x7f, v42
	s_cbranch_execz .LBB292_537
; %bb.534:                              ;   in Loop: Header=BB292_16 Depth=1
	v_and_b32_e32 v7, 7, v31
	v_lshrrev_b32_e32 v183, 3, v42
	s_mov_b32 s23, exec_lo
	v_cmpx_gt_u32_e32 8, v42
; %bb.535:                              ;   in Loop: Header=BB292_16 Depth=1
	s_delay_alu instid0(VALU_DEP_3) | instskip(NEXT) | instid1(VALU_DEP_1)
	v_clz_i32_u32_e32 v7, v7
	v_min_u32_e32 v7, 32, v7
	s_delay_alu instid0(VALU_DEP_1) | instskip(NEXT) | instid1(VALU_DEP_1)
	v_subrev_nc_u32_e32 v183, 28, v7
	v_lshlrev_b64_e32 v[42:43], v183, v[31:32]
	v_sub_nc_u32_e32 v183, 29, v7
	s_delay_alu instid0(VALU_DEP_2)
	v_and_b32_e32 v7, 7, v42
; %bb.536:                              ;   in Loop: Header=BB292_16 Depth=1
	s_wait_alu 0xfffe
	s_or_b32 exec_lo, exec_lo, s23
	v_lshlrev_b32_e32 v42, 8, v31
	v_lshl_add_u32 v183, v183, 10, 0x2000
	v_lshlrev_b32_e32 v7, 7, v7
	s_delay_alu instid0(VALU_DEP_3) | instskip(NEXT) | instid1(VALU_DEP_3)
	v_and_b32_e32 v42, 0x8000, v42
	v_and_b32_e32 v183, 0xfc00, v183
	s_delay_alu instid0(VALU_DEP_1)
	v_or3_b32 v89, v42, v183, v7
.LBB292_537:                            ;   in Loop: Header=BB292_16 Depth=1
	s_wait_alu 0xfffe
	s_or_b32 exec_lo, exec_lo, s22
.LBB292_538:                            ;   in Loop: Header=BB292_16 Depth=1
	s_wait_alu 0xfffe
	s_or_b32 exec_lo, exec_lo, s21
.LBB292_539:                            ;   in Loop: Header=BB292_16 Depth=1
	s_wait_alu 0xfffe
	s_or_b32 exec_lo, exec_lo, s20
	v_lshrrev_b16 v7, 8, v31
	v_dual_mov_b32 v93, 0 :: v_dual_mov_b32 v92, 0
	s_mov_b32 s20, exec_lo
	s_delay_alu instid0(VALU_DEP_2)
	v_cmpx_ne_u16_e32 0, v7
	s_cbranch_execz .LBB292_547
; %bb.540:                              ;   in Loop: Header=BB292_16 Depth=1
	v_bfrev_b32_e32 v92, 1
	s_mov_b32 s21, exec_lo
	v_cmpx_ne_u16_e32 0x80, v7
	s_cbranch_execz .LBB292_546
; %bb.541:                              ;   in Loop: Header=BB292_16 Depth=1
	v_and_b32_e32 v183, 0xffff, v7
	v_mov_b32_e32 v92, 0x7c010000
	s_mov_b32 s22, exec_lo
	s_delay_alu instid0(VALU_DEP_2) | instskip(NEXT) | instid1(VALU_DEP_1)
	v_and_b32_e32 v44, 0x7f, v183
	v_cmpx_ne_u32_e32 0x7f, v44
	s_cbranch_execz .LBB292_545
; %bb.542:                              ;   in Loop: Header=BB292_16 Depth=1
	v_and_b32_e32 v42, 7, v183
	v_lshrrev_b32_e32 v43, 3, v44
	s_mov_b32 s23, exec_lo
	v_cmpx_gt_u32_e32 8, v44
; %bb.543:                              ;   in Loop: Header=BB292_16 Depth=1
	s_delay_alu instid0(VALU_DEP_3) | instskip(NEXT) | instid1(VALU_DEP_1)
	v_clz_i32_u32_e32 v42, v42
	v_min_u32_e32 v44, 32, v42
	s_delay_alu instid0(VALU_DEP_1) | instskip(NEXT) | instid1(VALU_DEP_1)
	v_subrev_nc_u32_e32 v42, 28, v44
	v_lshlrev_b64_e32 v[42:43], v42, v[7:8]
	v_sub_nc_u32_e32 v43, 29, v44
	s_delay_alu instid0(VALU_DEP_2)
	v_and_b32_e32 v42, 7, v42
; %bb.544:                              ;   in Loop: Header=BB292_16 Depth=1
	s_wait_alu 0xfffe
	s_or_b32 exec_lo, exec_lo, s23
	v_lshlrev_b32_e32 v7, 8, v183
	v_lshl_add_u32 v183, v43, 10, 0x2000
	s_delay_alu instid0(VALU_DEP_1) | instskip(SKIP_1) | instid1(VALU_DEP_1)
	v_and_or_b32 v7, 0x8000, v7, v183
	v_lshlrev_b32_e32 v183, 23, v42
	v_lshl_or_b32 v92, v7, 16, v183
.LBB292_545:                            ;   in Loop: Header=BB292_16 Depth=1
	s_wait_alu 0xfffe
	s_or_b32 exec_lo, exec_lo, s22
.LBB292_546:                            ;   in Loop: Header=BB292_16 Depth=1
	s_wait_alu 0xfffe
	s_or_b32 exec_lo, exec_lo, s21
.LBB292_547:                            ;   in Loop: Header=BB292_16 Depth=1
	s_wait_alu 0xfffe
	s_or_b32 exec_lo, exec_lo, s20
	v_lshrrev_b32_e32 v7, 16, v31
	s_mov_b32 s20, exec_lo
	s_delay_alu instid0(VALU_DEP_1) | instskip(NEXT) | instid1(VALU_DEP_1)
	v_and_b32_e32 v183, 0xff, v7
	v_cmpx_ne_u16_e64 0, v183
	s_cbranch_execz .LBB292_555
; %bb.548:                              ;   in Loop: Header=BB292_16 Depth=1
	v_mov_b32_e32 v93, 0x8000
	s_mov_b32 s21, exec_lo
	v_cmpx_ne_u16_e64 0x80, v183
	s_cbranch_execz .LBB292_554
; %bb.549:                              ;   in Loop: Header=BB292_16 Depth=1
	v_bfe_u32 v43, v31, 16, 7
	v_mov_b32_e32 v93, 0x7c01
	s_mov_b32 s22, exec_lo
	s_delay_alu instid0(VALU_DEP_2)
	v_cmpx_ne_u32_e32 0x7f, v43
	s_cbranch_execz .LBB292_553
; %bb.550:                              ;   in Loop: Header=BB292_16 Depth=1
	v_and_b32_e32 v183, 7, v7
	v_lshrrev_b32_e32 v42, 3, v43
	s_mov_b32 s23, exec_lo
	v_cmpx_gt_u32_e32 8, v43
; %bb.551:                              ;   in Loop: Header=BB292_16 Depth=1
	s_delay_alu instid0(VALU_DEP_3) | instskip(NEXT) | instid1(VALU_DEP_1)
	v_clz_i32_u32_e32 v183, v183
	v_min_u32_e32 v183, 32, v183
	s_delay_alu instid0(VALU_DEP_1) | instskip(NEXT) | instid1(VALU_DEP_1)
	v_subrev_nc_u32_e32 v42, 28, v183
	v_lshlrev_b64_e32 v[43:44], v42, v[7:8]
	v_sub_nc_u32_e32 v42, 29, v183
	s_delay_alu instid0(VALU_DEP_2)
	v_and_b32_e32 v183, 7, v43
; %bb.552:                              ;   in Loop: Header=BB292_16 Depth=1
	s_wait_alu 0xfffe
	s_or_b32 exec_lo, exec_lo, s23
	v_lshlrev_b32_e32 v7, 8, v7
	v_lshl_add_u32 v42, v42, 10, 0x2000
	v_lshlrev_b32_e32 v183, 7, v183
	s_delay_alu instid0(VALU_DEP_3) | instskip(NEXT) | instid1(VALU_DEP_3)
	v_and_b32_e32 v7, 0x8000, v7
	v_and_b32_e32 v42, 0xfc00, v42
	s_delay_alu instid0(VALU_DEP_1)
	v_or3_b32 v93, v7, v42, v183
.LBB292_553:                            ;   in Loop: Header=BB292_16 Depth=1
	s_wait_alu 0xfffe
	s_or_b32 exec_lo, exec_lo, s22
.LBB292_554:                            ;   in Loop: Header=BB292_16 Depth=1
	s_wait_alu 0xfffe
	s_or_b32 exec_lo, exec_lo, s21
.LBB292_555:                            ;   in Loop: Header=BB292_16 Depth=1
	s_wait_alu 0xfffe
	s_or_b32 exec_lo, exec_lo, s20
	v_dual_mov_b32 v106, 0 :: v_dual_mov_b32 v107, 0
	s_mov_b32 s20, exec_lo
	v_cmpx_lt_u32_e32 0xffffff, v31
	s_cbranch_execz .LBB292_563
; %bb.556:                              ;   in Loop: Header=BB292_16 Depth=1
	v_lshrrev_b32_e32 v7, 24, v31
	v_bfrev_b32_e32 v107, 1
	s_mov_b32 s21, exec_lo
	s_delay_alu instid0(VALU_DEP_2)
	v_cmpx_ne_u32_e32 0x80, v7
	s_cbranch_execz .LBB292_562
; %bb.557:                              ;   in Loop: Header=BB292_16 Depth=1
	v_and_b32_e32 v43, 0x7f, v7
	v_mov_b32_e32 v107, 0x7c010000
	s_mov_b32 s22, exec_lo
	s_delay_alu instid0(VALU_DEP_2)
	v_cmpx_ne_u32_e32 0x7f, v43
	s_cbranch_execz .LBB292_561
; %bb.558:                              ;   in Loop: Header=BB292_16 Depth=1
	v_and_b32_e32 v183, 7, v7
	v_lshrrev_b32_e32 v42, 3, v43
	s_mov_b32 s23, exec_lo
	v_cmpx_gt_u32_e32 8, v43
; %bb.559:                              ;   in Loop: Header=BB292_16 Depth=1
	s_delay_alu instid0(VALU_DEP_3) | instskip(NEXT) | instid1(VALU_DEP_1)
	v_clz_i32_u32_e32 v183, v183
	v_min_u32_e32 v183, 32, v183
	s_delay_alu instid0(VALU_DEP_1) | instskip(NEXT) | instid1(VALU_DEP_1)
	v_subrev_nc_u32_e32 v42, 28, v183
	v_lshlrev_b64_e32 v[43:44], v42, v[7:8]
	v_sub_nc_u32_e32 v42, 29, v183
	s_delay_alu instid0(VALU_DEP_2)
	v_and_b32_e32 v183, 7, v43
; %bb.560:                              ;   in Loop: Header=BB292_16 Depth=1
	s_wait_alu 0xfffe
	s_or_b32 exec_lo, exec_lo, s23
	v_lshlrev_b32_e32 v7, 8, v7
	v_lshl_add_u32 v42, v42, 10, 0x2000
	v_lshlrev_b32_e32 v183, 23, v183
	s_delay_alu instid0(VALU_DEP_2) | instskip(NEXT) | instid1(VALU_DEP_1)
	v_and_or_b32 v7, 0x8000, v7, v42
	v_lshl_or_b32 v107, v7, 16, v183
.LBB292_561:                            ;   in Loop: Header=BB292_16 Depth=1
	s_wait_alu 0xfffe
	s_or_b32 exec_lo, exec_lo, s22
.LBB292_562:                            ;   in Loop: Header=BB292_16 Depth=1
	s_wait_alu 0xfffe
	s_or_b32 exec_lo, exec_lo, s21
.LBB292_563:                            ;   in Loop: Header=BB292_16 Depth=1
	s_wait_alu 0xfffe
	s_or_b32 exec_lo, exec_lo, s20
	v_and_b32_e32 v183, 0xff, v32
	v_mov_b32_e32 v7, v32
	s_mov_b32 s20, exec_lo
	s_delay_alu instid0(VALU_DEP_2)
	v_cmpx_ne_u16_e64 0, v183
	s_cbranch_execz .LBB292_571
; %bb.564:                              ;   in Loop: Header=BB292_16 Depth=1
	v_mov_b32_e32 v106, 0x8000
	s_mov_b32 s21, exec_lo
	v_cmpx_ne_u16_e64 0x80, v183
	s_cbranch_execz .LBB292_570
; %bb.565:                              ;   in Loop: Header=BB292_16 Depth=1
	v_and_b32_e32 v43, 0x7f, v32
	v_mov_b32_e32 v106, 0x7c01
	s_mov_b32 s22, exec_lo
	s_delay_alu instid0(VALU_DEP_2)
	v_cmpx_ne_u32_e32 0x7f, v43
	s_cbranch_execz .LBB292_569
; %bb.566:                              ;   in Loop: Header=BB292_16 Depth=1
	v_and_b32_e32 v183, 7, v32
	v_lshrrev_b32_e32 v42, 3, v43
	s_mov_b32 s23, exec_lo
	v_cmpx_gt_u32_e32 8, v43
; %bb.567:                              ;   in Loop: Header=BB292_16 Depth=1
	s_delay_alu instid0(VALU_DEP_3) | instskip(NEXT) | instid1(VALU_DEP_1)
	v_clz_i32_u32_e32 v183, v183
	v_min_u32_e32 v183, 32, v183
	s_delay_alu instid0(VALU_DEP_1) | instskip(NEXT) | instid1(VALU_DEP_1)
	v_subrev_nc_u32_e32 v42, 28, v183
	v_lshlrev_b64_e32 v[43:44], v42, v[7:8]
	v_sub_nc_u32_e32 v42, 29, v183
	s_delay_alu instid0(VALU_DEP_2)
	v_and_b32_e32 v183, 7, v43
; %bb.568:                              ;   in Loop: Header=BB292_16 Depth=1
	s_wait_alu 0xfffe
	s_or_b32 exec_lo, exec_lo, s23
	v_lshlrev_b32_e32 v43, 8, v32
	v_lshl_add_u32 v42, v42, 10, 0x2000
	v_lshlrev_b32_e32 v183, 7, v183
	s_delay_alu instid0(VALU_DEP_3) | instskip(NEXT) | instid1(VALU_DEP_3)
	v_and_b32_e32 v43, 0x8000, v43
	v_and_b32_e32 v42, 0xfc00, v42
	s_delay_alu instid0(VALU_DEP_1)
	v_or3_b32 v106, v43, v42, v183
.LBB292_569:                            ;   in Loop: Header=BB292_16 Depth=1
	s_wait_alu 0xfffe
	s_or_b32 exec_lo, exec_lo, s22
.LBB292_570:                            ;   in Loop: Header=BB292_16 Depth=1
	s_wait_alu 0xfffe
	s_or_b32 exec_lo, exec_lo, s21
.LBB292_571:                            ;   in Loop: Header=BB292_16 Depth=1
	s_wait_alu 0xfffe
	s_or_b32 exec_lo, exec_lo, s20
	v_lshrrev_b16 v7, 8, v7
	v_dual_mov_b32 v110, 0 :: v_dual_mov_b32 v111, 0
	s_mov_b32 s20, exec_lo
	s_delay_alu instid0(VALU_DEP_2)
	v_cmpx_ne_u16_e32 0, v7
	s_cbranch_execz .LBB292_579
; %bb.572:                              ;   in Loop: Header=BB292_16 Depth=1
	v_bfrev_b32_e32 v111, 1
	s_mov_b32 s21, exec_lo
	v_cmpx_ne_u16_e32 0x80, v7
	s_cbranch_execz .LBB292_578
; %bb.573:                              ;   in Loop: Header=BB292_16 Depth=1
	v_and_b32_e32 v183, 0xffff, v7
	v_mov_b32_e32 v111, 0x7c010000
	s_mov_b32 s22, exec_lo
	s_delay_alu instid0(VALU_DEP_2) | instskip(NEXT) | instid1(VALU_DEP_1)
	v_and_b32_e32 v44, 0x7f, v183
	v_cmpx_ne_u32_e32 0x7f, v44
	s_cbranch_execz .LBB292_577
; %bb.574:                              ;   in Loop: Header=BB292_16 Depth=1
	v_and_b32_e32 v42, 7, v183
	v_lshrrev_b32_e32 v43, 3, v44
	s_mov_b32 s23, exec_lo
	v_cmpx_gt_u32_e32 8, v44
; %bb.575:                              ;   in Loop: Header=BB292_16 Depth=1
	s_delay_alu instid0(VALU_DEP_3) | instskip(NEXT) | instid1(VALU_DEP_1)
	v_clz_i32_u32_e32 v42, v42
	v_min_u32_e32 v44, 32, v42
	s_delay_alu instid0(VALU_DEP_1) | instskip(NEXT) | instid1(VALU_DEP_1)
	v_subrev_nc_u32_e32 v42, 28, v44
	v_lshlrev_b64_e32 v[42:43], v42, v[7:8]
	v_sub_nc_u32_e32 v43, 29, v44
	s_delay_alu instid0(VALU_DEP_2)
	v_and_b32_e32 v42, 7, v42
; %bb.576:                              ;   in Loop: Header=BB292_16 Depth=1
	s_wait_alu 0xfffe
	s_or_b32 exec_lo, exec_lo, s23
	v_lshlrev_b32_e32 v7, 8, v183
	v_lshl_add_u32 v183, v43, 10, 0x2000
	s_delay_alu instid0(VALU_DEP_1) | instskip(SKIP_1) | instid1(VALU_DEP_1)
	v_and_or_b32 v7, 0x8000, v7, v183
	v_lshlrev_b32_e32 v183, 23, v42
	v_lshl_or_b32 v111, v7, 16, v183
.LBB292_577:                            ;   in Loop: Header=BB292_16 Depth=1
	s_wait_alu 0xfffe
	s_or_b32 exec_lo, exec_lo, s22
.LBB292_578:                            ;   in Loop: Header=BB292_16 Depth=1
	s_wait_alu 0xfffe
	s_or_b32 exec_lo, exec_lo, s21
.LBB292_579:                            ;   in Loop: Header=BB292_16 Depth=1
	s_wait_alu 0xfffe
	s_or_b32 exec_lo, exec_lo, s20
	v_lshrrev_b32_e32 v7, 16, v32
	s_mov_b32 s20, exec_lo
	s_delay_alu instid0(VALU_DEP_1) | instskip(NEXT) | instid1(VALU_DEP_1)
	v_and_b32_e32 v183, 0xff, v7
	v_cmpx_ne_u16_e64 0, v183
	s_cbranch_execz .LBB292_587
; %bb.580:                              ;   in Loop: Header=BB292_16 Depth=1
	v_mov_b32_e32 v110, 0x8000
	s_mov_b32 s21, exec_lo
	v_cmpx_ne_u16_e64 0x80, v183
	s_cbranch_execz .LBB292_586
; %bb.581:                              ;   in Loop: Header=BB292_16 Depth=1
	v_bfe_u32 v43, v32, 16, 7
	v_mov_b32_e32 v110, 0x7c01
	s_mov_b32 s22, exec_lo
	s_delay_alu instid0(VALU_DEP_2)
	v_cmpx_ne_u32_e32 0x7f, v43
	s_cbranch_execz .LBB292_585
; %bb.582:                              ;   in Loop: Header=BB292_16 Depth=1
	v_and_b32_e32 v183, 7, v7
	v_lshrrev_b32_e32 v42, 3, v43
	s_mov_b32 s23, exec_lo
	v_cmpx_gt_u32_e32 8, v43
; %bb.583:                              ;   in Loop: Header=BB292_16 Depth=1
	s_delay_alu instid0(VALU_DEP_3) | instskip(NEXT) | instid1(VALU_DEP_1)
	v_clz_i32_u32_e32 v183, v183
	v_min_u32_e32 v183, 32, v183
	s_delay_alu instid0(VALU_DEP_1) | instskip(NEXT) | instid1(VALU_DEP_1)
	v_subrev_nc_u32_e32 v42, 28, v183
	v_lshlrev_b64_e32 v[43:44], v42, v[7:8]
	v_sub_nc_u32_e32 v42, 29, v183
	s_delay_alu instid0(VALU_DEP_2)
	v_and_b32_e32 v183, 7, v43
; %bb.584:                              ;   in Loop: Header=BB292_16 Depth=1
	s_wait_alu 0xfffe
	s_or_b32 exec_lo, exec_lo, s23
	v_lshlrev_b32_e32 v7, 8, v7
	v_lshl_add_u32 v42, v42, 10, 0x2000
	v_lshlrev_b32_e32 v183, 7, v183
	s_delay_alu instid0(VALU_DEP_3) | instskip(NEXT) | instid1(VALU_DEP_3)
	v_and_b32_e32 v7, 0x8000, v7
	v_and_b32_e32 v42, 0xfc00, v42
	s_delay_alu instid0(VALU_DEP_1)
	v_or3_b32 v110, v7, v42, v183
.LBB292_585:                            ;   in Loop: Header=BB292_16 Depth=1
	s_wait_alu 0xfffe
	s_or_b32 exec_lo, exec_lo, s22
.LBB292_586:                            ;   in Loop: Header=BB292_16 Depth=1
	s_wait_alu 0xfffe
	s_or_b32 exec_lo, exec_lo, s21
.LBB292_587:                            ;   in Loop: Header=BB292_16 Depth=1
	s_wait_alu 0xfffe
	s_or_b32 exec_lo, exec_lo, s20
	v_dual_mov_b32 v127, 0 :: v_dual_mov_b32 v126, 0
	s_mov_b32 s20, exec_lo
	v_cmpx_lt_u64_e64 s[10:11], v[31:32]
	s_cbranch_execz .LBB292_595
; %bb.588:                              ;   in Loop: Header=BB292_16 Depth=1
	v_lshrrev_b32_e32 v7, 24, v32
	v_bfrev_b32_e32 v126, 1
	s_mov_b32 s21, exec_lo
	s_delay_alu instid0(VALU_DEP_2)
	v_cmpx_ne_u32_e32 0x80, v7
	s_cbranch_execz .LBB292_594
; %bb.589:                              ;   in Loop: Header=BB292_16 Depth=1
	v_and_b32_e32 v183, 0x7f, v7
	v_mov_b32_e32 v126, 0x7c010000
	s_mov_b32 s22, exec_lo
	s_delay_alu instid0(VALU_DEP_2)
	v_cmpx_ne_u32_e32 0x7f, v183
	s_cbranch_execz .LBB292_593
; %bb.590:                              ;   in Loop: Header=BB292_16 Depth=1
	v_and_b32_e32 v31, 7, v7
	v_lshrrev_b32_e32 v32, 3, v183
	s_mov_b32 s23, exec_lo
	v_cmpx_gt_u32_e32 8, v183
; %bb.591:                              ;   in Loop: Header=BB292_16 Depth=1
	s_delay_alu instid0(VALU_DEP_3) | instskip(NEXT) | instid1(VALU_DEP_1)
	v_clz_i32_u32_e32 v31, v31
	v_min_u32_e32 v183, 32, v31
	s_delay_alu instid0(VALU_DEP_1) | instskip(NEXT) | instid1(VALU_DEP_1)
	v_subrev_nc_u32_e32 v31, 28, v183
	v_lshlrev_b64_e32 v[31:32], v31, v[7:8]
	v_sub_nc_u32_e32 v32, 29, v183
	s_delay_alu instid0(VALU_DEP_2)
	v_and_b32_e32 v31, 7, v31
; %bb.592:                              ;   in Loop: Header=BB292_16 Depth=1
	s_wait_alu 0xfffe
	s_or_b32 exec_lo, exec_lo, s23
	v_lshlrev_b32_e32 v7, 8, v7
	v_lshl_add_u32 v32, v32, 10, 0x2000
	v_lshlrev_b32_e32 v31, 23, v31
	s_delay_alu instid0(VALU_DEP_2) | instskip(NEXT) | instid1(VALU_DEP_1)
	v_and_or_b32 v7, 0x8000, v7, v32
	v_lshl_or_b32 v126, v7, 16, v31
.LBB292_593:                            ;   in Loop: Header=BB292_16 Depth=1
	s_wait_alu 0xfffe
	s_or_b32 exec_lo, exec_lo, s22
.LBB292_594:                            ;   in Loop: Header=BB292_16 Depth=1
	s_wait_alu 0xfffe
	s_or_b32 exec_lo, exec_lo, s21
.LBB292_595:                            ;   in Loop: Header=BB292_16 Depth=1
	s_wait_alu 0xfffe
	s_or_b32 exec_lo, exec_lo, s20
	flat_load_b64 v[31:32], v[28:29] offset:2056
	s_mov_b32 s20, exec_lo
	s_wait_loadcnt_dscnt 0x0
	v_and_b32_e32 v7, 0xff, v31
	s_delay_alu instid0(VALU_DEP_1)
	v_cmpx_ne_u16_e32 0, v7
	s_cbranch_execz .LBB292_603
; %bb.596:                              ;   in Loop: Header=BB292_16 Depth=1
	v_mov_b32_e32 v127, 0x8000
	s_mov_b32 s21, exec_lo
	v_cmpx_ne_u16_e32 0x80, v7
	s_cbranch_execz .LBB292_602
; %bb.597:                              ;   in Loop: Header=BB292_16 Depth=1
	v_and_b32_e32 v42, 0x7f, v31
	v_mov_b32_e32 v127, 0x7c01
	s_mov_b32 s22, exec_lo
	s_delay_alu instid0(VALU_DEP_2)
	v_cmpx_ne_u32_e32 0x7f, v42
	s_cbranch_execz .LBB292_601
; %bb.598:                              ;   in Loop: Header=BB292_16 Depth=1
	v_and_b32_e32 v7, 7, v31
	v_lshrrev_b32_e32 v183, 3, v42
	s_mov_b32 s23, exec_lo
	v_cmpx_gt_u32_e32 8, v42
; %bb.599:                              ;   in Loop: Header=BB292_16 Depth=1
	s_delay_alu instid0(VALU_DEP_3) | instskip(NEXT) | instid1(VALU_DEP_1)
	v_clz_i32_u32_e32 v7, v7
	v_min_u32_e32 v7, 32, v7
	s_delay_alu instid0(VALU_DEP_1) | instskip(NEXT) | instid1(VALU_DEP_1)
	v_subrev_nc_u32_e32 v183, 28, v7
	v_lshlrev_b64_e32 v[42:43], v183, v[31:32]
	v_sub_nc_u32_e32 v183, 29, v7
	s_delay_alu instid0(VALU_DEP_2)
	v_and_b32_e32 v7, 7, v42
; %bb.600:                              ;   in Loop: Header=BB292_16 Depth=1
	s_wait_alu 0xfffe
	s_or_b32 exec_lo, exec_lo, s23
	v_lshlrev_b32_e32 v42, 8, v31
	v_lshl_add_u32 v183, v183, 10, 0x2000
	v_lshlrev_b32_e32 v7, 7, v7
	s_delay_alu instid0(VALU_DEP_3) | instskip(NEXT) | instid1(VALU_DEP_3)
	v_and_b32_e32 v42, 0x8000, v42
	v_and_b32_e32 v183, 0xfc00, v183
	s_delay_alu instid0(VALU_DEP_1)
	v_or3_b32 v127, v42, v183, v7
.LBB292_601:                            ;   in Loop: Header=BB292_16 Depth=1
	s_wait_alu 0xfffe
	s_or_b32 exec_lo, exec_lo, s22
.LBB292_602:                            ;   in Loop: Header=BB292_16 Depth=1
	s_wait_alu 0xfffe
	s_or_b32 exec_lo, exec_lo, s21
.LBB292_603:                            ;   in Loop: Header=BB292_16 Depth=1
	s_wait_alu 0xfffe
	s_or_b32 exec_lo, exec_lo, s20
	v_lshrrev_b16 v7, 8, v31
	v_dual_mov_b32 v139, 0 :: v_dual_mov_b32 v138, 0
	s_mov_b32 s20, exec_lo
	s_delay_alu instid0(VALU_DEP_2)
	v_cmpx_ne_u16_e32 0, v7
	s_cbranch_execz .LBB292_611
; %bb.604:                              ;   in Loop: Header=BB292_16 Depth=1
	v_bfrev_b32_e32 v138, 1
	s_mov_b32 s21, exec_lo
	v_cmpx_ne_u16_e32 0x80, v7
	s_cbranch_execz .LBB292_610
; %bb.605:                              ;   in Loop: Header=BB292_16 Depth=1
	v_and_b32_e32 v183, 0xffff, v7
	v_mov_b32_e32 v138, 0x7c010000
	s_mov_b32 s22, exec_lo
	s_delay_alu instid0(VALU_DEP_2) | instskip(NEXT) | instid1(VALU_DEP_1)
	v_and_b32_e32 v44, 0x7f, v183
	v_cmpx_ne_u32_e32 0x7f, v44
	s_cbranch_execz .LBB292_609
; %bb.606:                              ;   in Loop: Header=BB292_16 Depth=1
	v_and_b32_e32 v42, 7, v183
	v_lshrrev_b32_e32 v43, 3, v44
	s_mov_b32 s23, exec_lo
	v_cmpx_gt_u32_e32 8, v44
; %bb.607:                              ;   in Loop: Header=BB292_16 Depth=1
	s_delay_alu instid0(VALU_DEP_3) | instskip(NEXT) | instid1(VALU_DEP_1)
	v_clz_i32_u32_e32 v42, v42
	v_min_u32_e32 v44, 32, v42
	s_delay_alu instid0(VALU_DEP_1) | instskip(NEXT) | instid1(VALU_DEP_1)
	v_subrev_nc_u32_e32 v42, 28, v44
	v_lshlrev_b64_e32 v[42:43], v42, v[7:8]
	v_sub_nc_u32_e32 v43, 29, v44
	s_delay_alu instid0(VALU_DEP_2)
	v_and_b32_e32 v42, 7, v42
; %bb.608:                              ;   in Loop: Header=BB292_16 Depth=1
	s_wait_alu 0xfffe
	s_or_b32 exec_lo, exec_lo, s23
	v_lshlrev_b32_e32 v7, 8, v183
	v_lshl_add_u32 v183, v43, 10, 0x2000
	s_delay_alu instid0(VALU_DEP_1) | instskip(SKIP_1) | instid1(VALU_DEP_1)
	v_and_or_b32 v7, 0x8000, v7, v183
	v_lshlrev_b32_e32 v183, 23, v42
	v_lshl_or_b32 v138, v7, 16, v183
.LBB292_609:                            ;   in Loop: Header=BB292_16 Depth=1
	s_wait_alu 0xfffe
	s_or_b32 exec_lo, exec_lo, s22
.LBB292_610:                            ;   in Loop: Header=BB292_16 Depth=1
	s_wait_alu 0xfffe
	s_or_b32 exec_lo, exec_lo, s21
.LBB292_611:                            ;   in Loop: Header=BB292_16 Depth=1
	s_wait_alu 0xfffe
	s_or_b32 exec_lo, exec_lo, s20
	v_lshrrev_b32_e32 v7, 16, v31
	s_mov_b32 s20, exec_lo
	s_delay_alu instid0(VALU_DEP_1) | instskip(NEXT) | instid1(VALU_DEP_1)
	v_and_b32_e32 v183, 0xff, v7
	v_cmpx_ne_u16_e64 0, v183
	s_cbranch_execz .LBB292_619
; %bb.612:                              ;   in Loop: Header=BB292_16 Depth=1
	v_mov_b32_e32 v139, 0x8000
	s_mov_b32 s21, exec_lo
	v_cmpx_ne_u16_e64 0x80, v183
	s_cbranch_execz .LBB292_618
; %bb.613:                              ;   in Loop: Header=BB292_16 Depth=1
	v_bfe_u32 v43, v31, 16, 7
	v_mov_b32_e32 v139, 0x7c01
	s_mov_b32 s22, exec_lo
	s_delay_alu instid0(VALU_DEP_2)
	v_cmpx_ne_u32_e32 0x7f, v43
	s_cbranch_execz .LBB292_617
; %bb.614:                              ;   in Loop: Header=BB292_16 Depth=1
	v_and_b32_e32 v183, 7, v7
	v_lshrrev_b32_e32 v42, 3, v43
	s_mov_b32 s23, exec_lo
	v_cmpx_gt_u32_e32 8, v43
; %bb.615:                              ;   in Loop: Header=BB292_16 Depth=1
	s_delay_alu instid0(VALU_DEP_3) | instskip(NEXT) | instid1(VALU_DEP_1)
	v_clz_i32_u32_e32 v183, v183
	v_min_u32_e32 v183, 32, v183
	s_delay_alu instid0(VALU_DEP_1) | instskip(NEXT) | instid1(VALU_DEP_1)
	v_subrev_nc_u32_e32 v42, 28, v183
	v_lshlrev_b64_e32 v[43:44], v42, v[7:8]
	v_sub_nc_u32_e32 v42, 29, v183
	s_delay_alu instid0(VALU_DEP_2)
	v_and_b32_e32 v183, 7, v43
; %bb.616:                              ;   in Loop: Header=BB292_16 Depth=1
	s_wait_alu 0xfffe
	s_or_b32 exec_lo, exec_lo, s23
	v_lshlrev_b32_e32 v7, 8, v7
	v_lshl_add_u32 v42, v42, 10, 0x2000
	v_lshlrev_b32_e32 v183, 7, v183
	s_delay_alu instid0(VALU_DEP_3) | instskip(NEXT) | instid1(VALU_DEP_3)
	v_and_b32_e32 v7, 0x8000, v7
	v_and_b32_e32 v42, 0xfc00, v42
	s_delay_alu instid0(VALU_DEP_1)
	v_or3_b32 v139, v7, v42, v183
.LBB292_617:                            ;   in Loop: Header=BB292_16 Depth=1
	s_wait_alu 0xfffe
	s_or_b32 exec_lo, exec_lo, s22
.LBB292_618:                            ;   in Loop: Header=BB292_16 Depth=1
	s_wait_alu 0xfffe
	s_or_b32 exec_lo, exec_lo, s21
.LBB292_619:                            ;   in Loop: Header=BB292_16 Depth=1
	s_wait_alu 0xfffe
	s_or_b32 exec_lo, exec_lo, s20
	v_dual_mov_b32 v154, 0 :: v_dual_mov_b32 v155, 0
	s_mov_b32 s20, exec_lo
	v_cmpx_lt_u32_e32 0xffffff, v31
	s_cbranch_execz .LBB292_627
; %bb.620:                              ;   in Loop: Header=BB292_16 Depth=1
	v_lshrrev_b32_e32 v7, 24, v31
	v_bfrev_b32_e32 v155, 1
	s_mov_b32 s21, exec_lo
	s_delay_alu instid0(VALU_DEP_2)
	v_cmpx_ne_u32_e32 0x80, v7
	s_cbranch_execz .LBB292_626
; %bb.621:                              ;   in Loop: Header=BB292_16 Depth=1
	v_and_b32_e32 v43, 0x7f, v7
	v_mov_b32_e32 v155, 0x7c010000
	s_mov_b32 s22, exec_lo
	s_delay_alu instid0(VALU_DEP_2)
	v_cmpx_ne_u32_e32 0x7f, v43
	s_cbranch_execz .LBB292_625
; %bb.622:                              ;   in Loop: Header=BB292_16 Depth=1
	v_and_b32_e32 v183, 7, v7
	v_lshrrev_b32_e32 v42, 3, v43
	s_mov_b32 s23, exec_lo
	v_cmpx_gt_u32_e32 8, v43
; %bb.623:                              ;   in Loop: Header=BB292_16 Depth=1
	s_delay_alu instid0(VALU_DEP_3) | instskip(NEXT) | instid1(VALU_DEP_1)
	v_clz_i32_u32_e32 v183, v183
	v_min_u32_e32 v183, 32, v183
	s_delay_alu instid0(VALU_DEP_1) | instskip(NEXT) | instid1(VALU_DEP_1)
	v_subrev_nc_u32_e32 v42, 28, v183
	v_lshlrev_b64_e32 v[43:44], v42, v[7:8]
	v_sub_nc_u32_e32 v42, 29, v183
	s_delay_alu instid0(VALU_DEP_2)
	v_and_b32_e32 v183, 7, v43
; %bb.624:                              ;   in Loop: Header=BB292_16 Depth=1
	s_wait_alu 0xfffe
	s_or_b32 exec_lo, exec_lo, s23
	v_lshlrev_b32_e32 v7, 8, v7
	v_lshl_add_u32 v42, v42, 10, 0x2000
	v_lshlrev_b32_e32 v183, 23, v183
	s_delay_alu instid0(VALU_DEP_2) | instskip(NEXT) | instid1(VALU_DEP_1)
	v_and_or_b32 v7, 0x8000, v7, v42
	v_lshl_or_b32 v155, v7, 16, v183
.LBB292_625:                            ;   in Loop: Header=BB292_16 Depth=1
	s_wait_alu 0xfffe
	s_or_b32 exec_lo, exec_lo, s22
.LBB292_626:                            ;   in Loop: Header=BB292_16 Depth=1
	s_wait_alu 0xfffe
	s_or_b32 exec_lo, exec_lo, s21
.LBB292_627:                            ;   in Loop: Header=BB292_16 Depth=1
	s_wait_alu 0xfffe
	s_or_b32 exec_lo, exec_lo, s20
	v_and_b32_e32 v183, 0xff, v32
	v_mov_b32_e32 v7, v32
	s_mov_b32 s20, exec_lo
	s_delay_alu instid0(VALU_DEP_2)
	v_cmpx_ne_u16_e64 0, v183
	s_cbranch_execz .LBB292_635
; %bb.628:                              ;   in Loop: Header=BB292_16 Depth=1
	v_mov_b32_e32 v154, 0x8000
	s_mov_b32 s21, exec_lo
	v_cmpx_ne_u16_e64 0x80, v183
	s_cbranch_execz .LBB292_634
; %bb.629:                              ;   in Loop: Header=BB292_16 Depth=1
	v_and_b32_e32 v43, 0x7f, v32
	v_mov_b32_e32 v154, 0x7c01
	s_mov_b32 s22, exec_lo
	s_delay_alu instid0(VALU_DEP_2)
	v_cmpx_ne_u32_e32 0x7f, v43
	s_cbranch_execz .LBB292_633
; %bb.630:                              ;   in Loop: Header=BB292_16 Depth=1
	v_and_b32_e32 v183, 7, v32
	v_lshrrev_b32_e32 v42, 3, v43
	s_mov_b32 s23, exec_lo
	v_cmpx_gt_u32_e32 8, v43
; %bb.631:                              ;   in Loop: Header=BB292_16 Depth=1
	s_delay_alu instid0(VALU_DEP_3) | instskip(NEXT) | instid1(VALU_DEP_1)
	v_clz_i32_u32_e32 v183, v183
	v_min_u32_e32 v183, 32, v183
	s_delay_alu instid0(VALU_DEP_1) | instskip(NEXT) | instid1(VALU_DEP_1)
	v_subrev_nc_u32_e32 v42, 28, v183
	v_lshlrev_b64_e32 v[43:44], v42, v[7:8]
	v_sub_nc_u32_e32 v42, 29, v183
	s_delay_alu instid0(VALU_DEP_2)
	v_and_b32_e32 v183, 7, v43
; %bb.632:                              ;   in Loop: Header=BB292_16 Depth=1
	s_wait_alu 0xfffe
	s_or_b32 exec_lo, exec_lo, s23
	v_lshlrev_b32_e32 v43, 8, v32
	v_lshl_add_u32 v42, v42, 10, 0x2000
	v_lshlrev_b32_e32 v183, 7, v183
	s_delay_alu instid0(VALU_DEP_3) | instskip(NEXT) | instid1(VALU_DEP_3)
	v_and_b32_e32 v43, 0x8000, v43
	v_and_b32_e32 v42, 0xfc00, v42
	s_delay_alu instid0(VALU_DEP_1)
	v_or3_b32 v154, v43, v42, v183
.LBB292_633:                            ;   in Loop: Header=BB292_16 Depth=1
	s_wait_alu 0xfffe
	s_or_b32 exec_lo, exec_lo, s22
.LBB292_634:                            ;   in Loop: Header=BB292_16 Depth=1
	s_wait_alu 0xfffe
	s_or_b32 exec_lo, exec_lo, s21
.LBB292_635:                            ;   in Loop: Header=BB292_16 Depth=1
	s_wait_alu 0xfffe
	s_or_b32 exec_lo, exec_lo, s20
	v_lshrrev_b16 v7, 8, v7
	v_dual_mov_b32 v156, 0 :: v_dual_mov_b32 v157, 0
	s_mov_b32 s20, exec_lo
	s_delay_alu instid0(VALU_DEP_2)
	v_cmpx_ne_u16_e32 0, v7
	s_cbranch_execz .LBB292_643
; %bb.636:                              ;   in Loop: Header=BB292_16 Depth=1
	v_bfrev_b32_e32 v157, 1
	s_mov_b32 s21, exec_lo
	v_cmpx_ne_u16_e32 0x80, v7
	s_cbranch_execz .LBB292_642
; %bb.637:                              ;   in Loop: Header=BB292_16 Depth=1
	v_and_b32_e32 v183, 0xffff, v7
	v_mov_b32_e32 v157, 0x7c010000
	s_mov_b32 s22, exec_lo
	s_delay_alu instid0(VALU_DEP_2) | instskip(NEXT) | instid1(VALU_DEP_1)
	v_and_b32_e32 v44, 0x7f, v183
	v_cmpx_ne_u32_e32 0x7f, v44
	s_cbranch_execz .LBB292_641
; %bb.638:                              ;   in Loop: Header=BB292_16 Depth=1
	v_and_b32_e32 v42, 7, v183
	v_lshrrev_b32_e32 v43, 3, v44
	s_mov_b32 s23, exec_lo
	v_cmpx_gt_u32_e32 8, v44
; %bb.639:                              ;   in Loop: Header=BB292_16 Depth=1
	s_delay_alu instid0(VALU_DEP_3) | instskip(NEXT) | instid1(VALU_DEP_1)
	v_clz_i32_u32_e32 v42, v42
	v_min_u32_e32 v44, 32, v42
	s_delay_alu instid0(VALU_DEP_1) | instskip(NEXT) | instid1(VALU_DEP_1)
	v_subrev_nc_u32_e32 v42, 28, v44
	v_lshlrev_b64_e32 v[42:43], v42, v[7:8]
	v_sub_nc_u32_e32 v43, 29, v44
	s_delay_alu instid0(VALU_DEP_2)
	v_and_b32_e32 v42, 7, v42
; %bb.640:                              ;   in Loop: Header=BB292_16 Depth=1
	s_wait_alu 0xfffe
	s_or_b32 exec_lo, exec_lo, s23
	v_lshlrev_b32_e32 v7, 8, v183
	v_lshl_add_u32 v183, v43, 10, 0x2000
	s_delay_alu instid0(VALU_DEP_1) | instskip(SKIP_1) | instid1(VALU_DEP_1)
	v_and_or_b32 v7, 0x8000, v7, v183
	v_lshlrev_b32_e32 v183, 23, v42
	v_lshl_or_b32 v157, v7, 16, v183
.LBB292_641:                            ;   in Loop: Header=BB292_16 Depth=1
	s_wait_alu 0xfffe
	s_or_b32 exec_lo, exec_lo, s22
.LBB292_642:                            ;   in Loop: Header=BB292_16 Depth=1
	s_wait_alu 0xfffe
	s_or_b32 exec_lo, exec_lo, s21
.LBB292_643:                            ;   in Loop: Header=BB292_16 Depth=1
	s_wait_alu 0xfffe
	s_or_b32 exec_lo, exec_lo, s20
	v_lshrrev_b32_e32 v7, 16, v32
	s_mov_b32 s20, exec_lo
	s_delay_alu instid0(VALU_DEP_1) | instskip(NEXT) | instid1(VALU_DEP_1)
	v_and_b32_e32 v183, 0xff, v7
	v_cmpx_ne_u16_e64 0, v183
	s_cbranch_execz .LBB292_651
; %bb.644:                              ;   in Loop: Header=BB292_16 Depth=1
	v_mov_b32_e32 v156, 0x8000
	s_mov_b32 s21, exec_lo
	v_cmpx_ne_u16_e64 0x80, v183
	s_cbranch_execz .LBB292_650
; %bb.645:                              ;   in Loop: Header=BB292_16 Depth=1
	v_bfe_u32 v43, v32, 16, 7
	v_mov_b32_e32 v156, 0x7c01
	s_mov_b32 s22, exec_lo
	s_delay_alu instid0(VALU_DEP_2)
	v_cmpx_ne_u32_e32 0x7f, v43
	s_cbranch_execz .LBB292_649
; %bb.646:                              ;   in Loop: Header=BB292_16 Depth=1
	v_and_b32_e32 v183, 7, v7
	v_lshrrev_b32_e32 v42, 3, v43
	s_mov_b32 s23, exec_lo
	v_cmpx_gt_u32_e32 8, v43
; %bb.647:                              ;   in Loop: Header=BB292_16 Depth=1
	s_delay_alu instid0(VALU_DEP_3) | instskip(NEXT) | instid1(VALU_DEP_1)
	v_clz_i32_u32_e32 v183, v183
	v_min_u32_e32 v183, 32, v183
	s_delay_alu instid0(VALU_DEP_1) | instskip(NEXT) | instid1(VALU_DEP_1)
	v_subrev_nc_u32_e32 v42, 28, v183
	v_lshlrev_b64_e32 v[43:44], v42, v[7:8]
	v_sub_nc_u32_e32 v42, 29, v183
	s_delay_alu instid0(VALU_DEP_2)
	v_and_b32_e32 v183, 7, v43
; %bb.648:                              ;   in Loop: Header=BB292_16 Depth=1
	s_wait_alu 0xfffe
	s_or_b32 exec_lo, exec_lo, s23
	v_lshlrev_b32_e32 v7, 8, v7
	v_lshl_add_u32 v42, v42, 10, 0x2000
	v_lshlrev_b32_e32 v183, 7, v183
	s_delay_alu instid0(VALU_DEP_3) | instskip(NEXT) | instid1(VALU_DEP_3)
	v_and_b32_e32 v7, 0x8000, v7
	v_and_b32_e32 v42, 0xfc00, v42
	s_delay_alu instid0(VALU_DEP_1)
	v_or3_b32 v156, v7, v42, v183
.LBB292_649:                            ;   in Loop: Header=BB292_16 Depth=1
	s_wait_alu 0xfffe
	s_or_b32 exec_lo, exec_lo, s22
.LBB292_650:                            ;   in Loop: Header=BB292_16 Depth=1
	s_wait_alu 0xfffe
	s_or_b32 exec_lo, exec_lo, s21
.LBB292_651:                            ;   in Loop: Header=BB292_16 Depth=1
	s_wait_alu 0xfffe
	s_or_b32 exec_lo, exec_lo, s20
	v_dual_mov_b32 v136, 0 :: v_dual_mov_b32 v169, 0
	s_mov_b32 s20, exec_lo
	v_cmpx_lt_u64_e64 s[10:11], v[31:32]
	s_cbranch_execz .LBB292_659
; %bb.652:                              ;   in Loop: Header=BB292_16 Depth=1
	v_lshrrev_b32_e32 v7, 24, v32
	v_bfrev_b32_e32 v169, 1
	s_mov_b32 s21, exec_lo
	s_delay_alu instid0(VALU_DEP_2)
	v_cmpx_ne_u32_e32 0x80, v7
	s_cbranch_execz .LBB292_658
; %bb.653:                              ;   in Loop: Header=BB292_16 Depth=1
	v_and_b32_e32 v183, 0x7f, v7
	v_mov_b32_e32 v169, 0x7c010000
	s_mov_b32 s22, exec_lo
	s_delay_alu instid0(VALU_DEP_2)
	v_cmpx_ne_u32_e32 0x7f, v183
	s_cbranch_execz .LBB292_657
; %bb.654:                              ;   in Loop: Header=BB292_16 Depth=1
	v_and_b32_e32 v31, 7, v7
	v_lshrrev_b32_e32 v32, 3, v183
	s_mov_b32 s23, exec_lo
	v_cmpx_gt_u32_e32 8, v183
; %bb.655:                              ;   in Loop: Header=BB292_16 Depth=1
	s_delay_alu instid0(VALU_DEP_3) | instskip(NEXT) | instid1(VALU_DEP_1)
	v_clz_i32_u32_e32 v31, v31
	v_min_u32_e32 v183, 32, v31
	s_delay_alu instid0(VALU_DEP_1) | instskip(NEXT) | instid1(VALU_DEP_1)
	v_subrev_nc_u32_e32 v31, 28, v183
	v_lshlrev_b64_e32 v[31:32], v31, v[7:8]
	v_sub_nc_u32_e32 v32, 29, v183
	s_delay_alu instid0(VALU_DEP_2)
	v_and_b32_e32 v31, 7, v31
; %bb.656:                              ;   in Loop: Header=BB292_16 Depth=1
	s_wait_alu 0xfffe
	s_or_b32 exec_lo, exec_lo, s23
	v_lshlrev_b32_e32 v7, 8, v7
	v_lshl_add_u32 v32, v32, 10, 0x2000
	v_lshlrev_b32_e32 v31, 23, v31
	s_delay_alu instid0(VALU_DEP_2) | instskip(NEXT) | instid1(VALU_DEP_1)
	v_and_or_b32 v7, 0x8000, v7, v32
	v_lshl_or_b32 v169, v7, 16, v31
.LBB292_657:                            ;   in Loop: Header=BB292_16 Depth=1
	s_wait_alu 0xfffe
	s_or_b32 exec_lo, exec_lo, s22
.LBB292_658:                            ;   in Loop: Header=BB292_16 Depth=1
	s_wait_alu 0xfffe
	s_or_b32 exec_lo, exec_lo, s21
.LBB292_659:                            ;   in Loop: Header=BB292_16 Depth=1
	s_wait_alu 0xfffe
	s_or_b32 exec_lo, exec_lo, s20
	flat_load_b64 v[31:32], v[28:29] offset:2560
	s_mov_b32 s20, exec_lo
	s_wait_loadcnt_dscnt 0x0
	v_and_b32_e32 v7, 0xff, v31
	s_delay_alu instid0(VALU_DEP_1)
	v_cmpx_ne_u16_e32 0, v7
	s_cbranch_execz .LBB292_667
; %bb.660:                              ;   in Loop: Header=BB292_16 Depth=1
	v_mov_b32_e32 v136, 0x8000
	s_mov_b32 s21, exec_lo
	v_cmpx_ne_u16_e32 0x80, v7
	s_cbranch_execz .LBB292_666
; %bb.661:                              ;   in Loop: Header=BB292_16 Depth=1
	v_and_b32_e32 v42, 0x7f, v31
	v_mov_b32_e32 v136, 0x7c01
	s_mov_b32 s22, exec_lo
	s_delay_alu instid0(VALU_DEP_2)
	v_cmpx_ne_u32_e32 0x7f, v42
	s_cbranch_execz .LBB292_665
; %bb.662:                              ;   in Loop: Header=BB292_16 Depth=1
	v_and_b32_e32 v7, 7, v31
	v_lshrrev_b32_e32 v183, 3, v42
	s_mov_b32 s23, exec_lo
	v_cmpx_gt_u32_e32 8, v42
; %bb.663:                              ;   in Loop: Header=BB292_16 Depth=1
	s_delay_alu instid0(VALU_DEP_3) | instskip(NEXT) | instid1(VALU_DEP_1)
	v_clz_i32_u32_e32 v7, v7
	v_min_u32_e32 v7, 32, v7
	s_delay_alu instid0(VALU_DEP_1) | instskip(NEXT) | instid1(VALU_DEP_1)
	v_subrev_nc_u32_e32 v183, 28, v7
	v_lshlrev_b64_e32 v[42:43], v183, v[31:32]
	v_sub_nc_u32_e32 v183, 29, v7
	s_delay_alu instid0(VALU_DEP_2)
	v_and_b32_e32 v7, 7, v42
; %bb.664:                              ;   in Loop: Header=BB292_16 Depth=1
	s_wait_alu 0xfffe
	s_or_b32 exec_lo, exec_lo, s23
	v_lshlrev_b32_e32 v42, 8, v31
	v_lshl_add_u32 v183, v183, 10, 0x2000
	v_lshlrev_b32_e32 v7, 7, v7
	s_delay_alu instid0(VALU_DEP_3) | instskip(NEXT) | instid1(VALU_DEP_3)
	v_and_b32_e32 v42, 0x8000, v42
	v_and_b32_e32 v183, 0xfc00, v183
	s_delay_alu instid0(VALU_DEP_1)
	v_or3_b32 v136, v42, v183, v7
.LBB292_665:                            ;   in Loop: Header=BB292_16 Depth=1
	s_wait_alu 0xfffe
	s_or_b32 exec_lo, exec_lo, s22
.LBB292_666:                            ;   in Loop: Header=BB292_16 Depth=1
	s_wait_alu 0xfffe
	s_or_b32 exec_lo, exec_lo, s21
.LBB292_667:                            ;   in Loop: Header=BB292_16 Depth=1
	s_wait_alu 0xfffe
	s_or_b32 exec_lo, exec_lo, s20
	v_lshrrev_b16 v7, 8, v31
	v_dual_mov_b32 v140, 0 :: v_dual_mov_b32 v137, 0
	s_mov_b32 s20, exec_lo
	s_delay_alu instid0(VALU_DEP_2)
	v_cmpx_ne_u16_e32 0, v7
	s_cbranch_execz .LBB292_675
; %bb.668:                              ;   in Loop: Header=BB292_16 Depth=1
	v_bfrev_b32_e32 v137, 1
	s_mov_b32 s21, exec_lo
	v_cmpx_ne_u16_e32 0x80, v7
	s_cbranch_execz .LBB292_674
; %bb.669:                              ;   in Loop: Header=BB292_16 Depth=1
	v_and_b32_e32 v183, 0xffff, v7
	v_mov_b32_e32 v137, 0x7c010000
	s_mov_b32 s22, exec_lo
	s_delay_alu instid0(VALU_DEP_2) | instskip(NEXT) | instid1(VALU_DEP_1)
	v_and_b32_e32 v44, 0x7f, v183
	v_cmpx_ne_u32_e32 0x7f, v44
	s_cbranch_execz .LBB292_673
; %bb.670:                              ;   in Loop: Header=BB292_16 Depth=1
	v_and_b32_e32 v42, 7, v183
	v_lshrrev_b32_e32 v43, 3, v44
	s_mov_b32 s23, exec_lo
	v_cmpx_gt_u32_e32 8, v44
; %bb.671:                              ;   in Loop: Header=BB292_16 Depth=1
	s_delay_alu instid0(VALU_DEP_3) | instskip(NEXT) | instid1(VALU_DEP_1)
	v_clz_i32_u32_e32 v42, v42
	v_min_u32_e32 v44, 32, v42
	s_delay_alu instid0(VALU_DEP_1) | instskip(NEXT) | instid1(VALU_DEP_1)
	v_subrev_nc_u32_e32 v42, 28, v44
	v_lshlrev_b64_e32 v[42:43], v42, v[7:8]
	v_sub_nc_u32_e32 v43, 29, v44
	s_delay_alu instid0(VALU_DEP_2)
	v_and_b32_e32 v42, 7, v42
; %bb.672:                              ;   in Loop: Header=BB292_16 Depth=1
	s_wait_alu 0xfffe
	s_or_b32 exec_lo, exec_lo, s23
	v_lshlrev_b32_e32 v7, 8, v183
	v_lshl_add_u32 v183, v43, 10, 0x2000
	s_delay_alu instid0(VALU_DEP_1) | instskip(SKIP_1) | instid1(VALU_DEP_1)
	v_and_or_b32 v7, 0x8000, v7, v183
	v_lshlrev_b32_e32 v183, 23, v42
	v_lshl_or_b32 v137, v7, 16, v183
.LBB292_673:                            ;   in Loop: Header=BB292_16 Depth=1
	s_wait_alu 0xfffe
	s_or_b32 exec_lo, exec_lo, s22
.LBB292_674:                            ;   in Loop: Header=BB292_16 Depth=1
	s_wait_alu 0xfffe
	s_or_b32 exec_lo, exec_lo, s21
.LBB292_675:                            ;   in Loop: Header=BB292_16 Depth=1
	s_wait_alu 0xfffe
	s_or_b32 exec_lo, exec_lo, s20
	v_lshrrev_b32_e32 v7, 16, v31
	s_mov_b32 s20, exec_lo
	s_delay_alu instid0(VALU_DEP_1) | instskip(NEXT) | instid1(VALU_DEP_1)
	v_and_b32_e32 v183, 0xff, v7
	v_cmpx_ne_u16_e64 0, v183
	s_cbranch_execz .LBB292_683
; %bb.676:                              ;   in Loop: Header=BB292_16 Depth=1
	v_mov_b32_e32 v140, 0x8000
	s_mov_b32 s21, exec_lo
	v_cmpx_ne_u16_e64 0x80, v183
	s_cbranch_execz .LBB292_682
; %bb.677:                              ;   in Loop: Header=BB292_16 Depth=1
	v_bfe_u32 v43, v31, 16, 7
	v_mov_b32_e32 v140, 0x7c01
	s_mov_b32 s22, exec_lo
	s_delay_alu instid0(VALU_DEP_2)
	v_cmpx_ne_u32_e32 0x7f, v43
	s_cbranch_execz .LBB292_681
; %bb.678:                              ;   in Loop: Header=BB292_16 Depth=1
	v_and_b32_e32 v183, 7, v7
	v_lshrrev_b32_e32 v42, 3, v43
	s_mov_b32 s23, exec_lo
	v_cmpx_gt_u32_e32 8, v43
; %bb.679:                              ;   in Loop: Header=BB292_16 Depth=1
	s_delay_alu instid0(VALU_DEP_3) | instskip(NEXT) | instid1(VALU_DEP_1)
	v_clz_i32_u32_e32 v183, v183
	v_min_u32_e32 v183, 32, v183
	s_delay_alu instid0(VALU_DEP_1) | instskip(NEXT) | instid1(VALU_DEP_1)
	v_subrev_nc_u32_e32 v42, 28, v183
	v_lshlrev_b64_e32 v[43:44], v42, v[7:8]
	v_sub_nc_u32_e32 v42, 29, v183
	s_delay_alu instid0(VALU_DEP_2)
	v_and_b32_e32 v183, 7, v43
; %bb.680:                              ;   in Loop: Header=BB292_16 Depth=1
	s_wait_alu 0xfffe
	s_or_b32 exec_lo, exec_lo, s23
	v_lshlrev_b32_e32 v7, 8, v7
	v_lshl_add_u32 v42, v42, 10, 0x2000
	v_lshlrev_b32_e32 v183, 7, v183
	s_delay_alu instid0(VALU_DEP_3) | instskip(NEXT) | instid1(VALU_DEP_3)
	v_and_b32_e32 v7, 0x8000, v7
	v_and_b32_e32 v42, 0xfc00, v42
	s_delay_alu instid0(VALU_DEP_1)
	v_or3_b32 v140, v7, v42, v183
.LBB292_681:                            ;   in Loop: Header=BB292_16 Depth=1
	s_wait_alu 0xfffe
	s_or_b32 exec_lo, exec_lo, s22
.LBB292_682:                            ;   in Loop: Header=BB292_16 Depth=1
	s_wait_alu 0xfffe
	s_or_b32 exec_lo, exec_lo, s21
.LBB292_683:                            ;   in Loop: Header=BB292_16 Depth=1
	s_wait_alu 0xfffe
	s_or_b32 exec_lo, exec_lo, s20
	v_dual_mov_b32 v141, 0 :: v_dual_mov_b32 v142, 0
	s_mov_b32 s20, exec_lo
	v_cmpx_lt_u32_e32 0xffffff, v31
	s_cbranch_execz .LBB292_691
; %bb.684:                              ;   in Loop: Header=BB292_16 Depth=1
	v_lshrrev_b32_e32 v7, 24, v31
	v_bfrev_b32_e32 v142, 1
	s_mov_b32 s21, exec_lo
	s_delay_alu instid0(VALU_DEP_2)
	v_cmpx_ne_u32_e32 0x80, v7
	s_cbranch_execz .LBB292_690
; %bb.685:                              ;   in Loop: Header=BB292_16 Depth=1
	v_and_b32_e32 v43, 0x7f, v7
	v_mov_b32_e32 v142, 0x7c010000
	s_mov_b32 s22, exec_lo
	s_delay_alu instid0(VALU_DEP_2)
	v_cmpx_ne_u32_e32 0x7f, v43
	s_cbranch_execz .LBB292_689
; %bb.686:                              ;   in Loop: Header=BB292_16 Depth=1
	v_and_b32_e32 v183, 7, v7
	v_lshrrev_b32_e32 v42, 3, v43
	s_mov_b32 s23, exec_lo
	v_cmpx_gt_u32_e32 8, v43
; %bb.687:                              ;   in Loop: Header=BB292_16 Depth=1
	s_delay_alu instid0(VALU_DEP_3) | instskip(NEXT) | instid1(VALU_DEP_1)
	v_clz_i32_u32_e32 v183, v183
	v_min_u32_e32 v183, 32, v183
	s_delay_alu instid0(VALU_DEP_1) | instskip(NEXT) | instid1(VALU_DEP_1)
	v_subrev_nc_u32_e32 v42, 28, v183
	v_lshlrev_b64_e32 v[43:44], v42, v[7:8]
	v_sub_nc_u32_e32 v42, 29, v183
	s_delay_alu instid0(VALU_DEP_2)
	v_and_b32_e32 v183, 7, v43
; %bb.688:                              ;   in Loop: Header=BB292_16 Depth=1
	s_wait_alu 0xfffe
	s_or_b32 exec_lo, exec_lo, s23
	v_lshlrev_b32_e32 v7, 8, v7
	v_lshl_add_u32 v42, v42, 10, 0x2000
	v_lshlrev_b32_e32 v183, 23, v183
	s_delay_alu instid0(VALU_DEP_2) | instskip(NEXT) | instid1(VALU_DEP_1)
	v_and_or_b32 v7, 0x8000, v7, v42
	v_lshl_or_b32 v142, v7, 16, v183
.LBB292_689:                            ;   in Loop: Header=BB292_16 Depth=1
	s_wait_alu 0xfffe
	s_or_b32 exec_lo, exec_lo, s22
.LBB292_690:                            ;   in Loop: Header=BB292_16 Depth=1
	s_wait_alu 0xfffe
	s_or_b32 exec_lo, exec_lo, s21
.LBB292_691:                            ;   in Loop: Header=BB292_16 Depth=1
	s_wait_alu 0xfffe
	s_or_b32 exec_lo, exec_lo, s20
	v_and_b32_e32 v183, 0xff, v32
	v_mov_b32_e32 v7, v32
	s_mov_b32 s20, exec_lo
	s_delay_alu instid0(VALU_DEP_2)
	v_cmpx_ne_u16_e64 0, v183
	s_cbranch_execz .LBB292_699
; %bb.692:                              ;   in Loop: Header=BB292_16 Depth=1
	v_mov_b32_e32 v141, 0x8000
	s_mov_b32 s21, exec_lo
	v_cmpx_ne_u16_e64 0x80, v183
	s_cbranch_execz .LBB292_698
; %bb.693:                              ;   in Loop: Header=BB292_16 Depth=1
	v_and_b32_e32 v43, 0x7f, v32
	v_mov_b32_e32 v141, 0x7c01
	s_mov_b32 s22, exec_lo
	s_delay_alu instid0(VALU_DEP_2)
	v_cmpx_ne_u32_e32 0x7f, v43
	s_cbranch_execz .LBB292_697
; %bb.694:                              ;   in Loop: Header=BB292_16 Depth=1
	v_and_b32_e32 v183, 7, v32
	v_lshrrev_b32_e32 v42, 3, v43
	s_mov_b32 s23, exec_lo
	v_cmpx_gt_u32_e32 8, v43
; %bb.695:                              ;   in Loop: Header=BB292_16 Depth=1
	s_delay_alu instid0(VALU_DEP_3) | instskip(NEXT) | instid1(VALU_DEP_1)
	v_clz_i32_u32_e32 v183, v183
	v_min_u32_e32 v183, 32, v183
	s_delay_alu instid0(VALU_DEP_1) | instskip(NEXT) | instid1(VALU_DEP_1)
	v_subrev_nc_u32_e32 v42, 28, v183
	v_lshlrev_b64_e32 v[43:44], v42, v[7:8]
	v_sub_nc_u32_e32 v42, 29, v183
	s_delay_alu instid0(VALU_DEP_2)
	v_and_b32_e32 v183, 7, v43
; %bb.696:                              ;   in Loop: Header=BB292_16 Depth=1
	s_wait_alu 0xfffe
	s_or_b32 exec_lo, exec_lo, s23
	v_lshlrev_b32_e32 v43, 8, v32
	v_lshl_add_u32 v42, v42, 10, 0x2000
	v_lshlrev_b32_e32 v183, 7, v183
	s_delay_alu instid0(VALU_DEP_3) | instskip(NEXT) | instid1(VALU_DEP_3)
	v_and_b32_e32 v43, 0x8000, v43
	v_and_b32_e32 v42, 0xfc00, v42
	s_delay_alu instid0(VALU_DEP_1)
	v_or3_b32 v141, v43, v42, v183
.LBB292_697:                            ;   in Loop: Header=BB292_16 Depth=1
	s_wait_alu 0xfffe
	s_or_b32 exec_lo, exec_lo, s22
.LBB292_698:                            ;   in Loop: Header=BB292_16 Depth=1
	s_wait_alu 0xfffe
	s_or_b32 exec_lo, exec_lo, s21
.LBB292_699:                            ;   in Loop: Header=BB292_16 Depth=1
	s_wait_alu 0xfffe
	s_or_b32 exec_lo, exec_lo, s20
	v_lshrrev_b16 v7, 8, v7
	v_dual_mov_b32 v158, 0 :: v_dual_mov_b32 v159, 0
	s_mov_b32 s20, exec_lo
	s_delay_alu instid0(VALU_DEP_2)
	v_cmpx_ne_u16_e32 0, v7
	s_cbranch_execz .LBB292_707
; %bb.700:                              ;   in Loop: Header=BB292_16 Depth=1
	v_bfrev_b32_e32 v159, 1
	s_mov_b32 s21, exec_lo
	v_cmpx_ne_u16_e32 0x80, v7
	s_cbranch_execz .LBB292_706
; %bb.701:                              ;   in Loop: Header=BB292_16 Depth=1
	v_and_b32_e32 v183, 0xffff, v7
	v_mov_b32_e32 v159, 0x7c010000
	s_mov_b32 s22, exec_lo
	s_delay_alu instid0(VALU_DEP_2) | instskip(NEXT) | instid1(VALU_DEP_1)
	v_and_b32_e32 v44, 0x7f, v183
	v_cmpx_ne_u32_e32 0x7f, v44
	s_cbranch_execz .LBB292_705
; %bb.702:                              ;   in Loop: Header=BB292_16 Depth=1
	v_and_b32_e32 v42, 7, v183
	v_lshrrev_b32_e32 v43, 3, v44
	s_mov_b32 s23, exec_lo
	v_cmpx_gt_u32_e32 8, v44
; %bb.703:                              ;   in Loop: Header=BB292_16 Depth=1
	s_delay_alu instid0(VALU_DEP_3) | instskip(NEXT) | instid1(VALU_DEP_1)
	v_clz_i32_u32_e32 v42, v42
	v_min_u32_e32 v44, 32, v42
	s_delay_alu instid0(VALU_DEP_1) | instskip(NEXT) | instid1(VALU_DEP_1)
	v_subrev_nc_u32_e32 v42, 28, v44
	v_lshlrev_b64_e32 v[42:43], v42, v[7:8]
	v_sub_nc_u32_e32 v43, 29, v44
	s_delay_alu instid0(VALU_DEP_2)
	v_and_b32_e32 v42, 7, v42
; %bb.704:                              ;   in Loop: Header=BB292_16 Depth=1
	s_wait_alu 0xfffe
	s_or_b32 exec_lo, exec_lo, s23
	v_lshlrev_b32_e32 v7, 8, v183
	v_lshl_add_u32 v183, v43, 10, 0x2000
	s_delay_alu instid0(VALU_DEP_1) | instskip(SKIP_1) | instid1(VALU_DEP_1)
	v_and_or_b32 v7, 0x8000, v7, v183
	v_lshlrev_b32_e32 v183, 23, v42
	v_lshl_or_b32 v159, v7, 16, v183
.LBB292_705:                            ;   in Loop: Header=BB292_16 Depth=1
	s_wait_alu 0xfffe
	s_or_b32 exec_lo, exec_lo, s22
.LBB292_706:                            ;   in Loop: Header=BB292_16 Depth=1
	s_wait_alu 0xfffe
	s_or_b32 exec_lo, exec_lo, s21
.LBB292_707:                            ;   in Loop: Header=BB292_16 Depth=1
	s_wait_alu 0xfffe
	s_or_b32 exec_lo, exec_lo, s20
	v_lshrrev_b32_e32 v7, 16, v32
	s_mov_b32 s20, exec_lo
	s_delay_alu instid0(VALU_DEP_1) | instskip(NEXT) | instid1(VALU_DEP_1)
	v_and_b32_e32 v183, 0xff, v7
	v_cmpx_ne_u16_e64 0, v183
	s_cbranch_execz .LBB292_715
; %bb.708:                              ;   in Loop: Header=BB292_16 Depth=1
	v_mov_b32_e32 v158, 0x8000
	s_mov_b32 s21, exec_lo
	v_cmpx_ne_u16_e64 0x80, v183
	s_cbranch_execz .LBB292_714
; %bb.709:                              ;   in Loop: Header=BB292_16 Depth=1
	v_bfe_u32 v43, v32, 16, 7
	v_mov_b32_e32 v158, 0x7c01
	s_mov_b32 s22, exec_lo
	s_delay_alu instid0(VALU_DEP_2)
	v_cmpx_ne_u32_e32 0x7f, v43
	s_cbranch_execz .LBB292_713
; %bb.710:                              ;   in Loop: Header=BB292_16 Depth=1
	v_and_b32_e32 v183, 7, v7
	v_lshrrev_b32_e32 v42, 3, v43
	s_mov_b32 s23, exec_lo
	v_cmpx_gt_u32_e32 8, v43
; %bb.711:                              ;   in Loop: Header=BB292_16 Depth=1
	s_delay_alu instid0(VALU_DEP_3) | instskip(NEXT) | instid1(VALU_DEP_1)
	v_clz_i32_u32_e32 v183, v183
	v_min_u32_e32 v183, 32, v183
	s_delay_alu instid0(VALU_DEP_1) | instskip(NEXT) | instid1(VALU_DEP_1)
	v_subrev_nc_u32_e32 v42, 28, v183
	v_lshlrev_b64_e32 v[43:44], v42, v[7:8]
	v_sub_nc_u32_e32 v42, 29, v183
	s_delay_alu instid0(VALU_DEP_2)
	v_and_b32_e32 v183, 7, v43
; %bb.712:                              ;   in Loop: Header=BB292_16 Depth=1
	s_wait_alu 0xfffe
	s_or_b32 exec_lo, exec_lo, s23
	v_lshlrev_b32_e32 v7, 8, v7
	v_lshl_add_u32 v42, v42, 10, 0x2000
	v_lshlrev_b32_e32 v183, 7, v183
	s_delay_alu instid0(VALU_DEP_3) | instskip(NEXT) | instid1(VALU_DEP_3)
	v_and_b32_e32 v7, 0x8000, v7
	v_and_b32_e32 v42, 0xfc00, v42
	s_delay_alu instid0(VALU_DEP_1)
	v_or3_b32 v158, v7, v42, v183
.LBB292_713:                            ;   in Loop: Header=BB292_16 Depth=1
	s_wait_alu 0xfffe
	s_or_b32 exec_lo, exec_lo, s22
.LBB292_714:                            ;   in Loop: Header=BB292_16 Depth=1
	s_wait_alu 0xfffe
	s_or_b32 exec_lo, exec_lo, s21
.LBB292_715:                            ;   in Loop: Header=BB292_16 Depth=1
	s_wait_alu 0xfffe
	s_or_b32 exec_lo, exec_lo, s20
	v_mov_b32_e32 v108, 0
	v_mov_b32_e32 v168, 0
	s_mov_b32 s20, exec_lo
	v_cmpx_lt_u64_e64 s[10:11], v[31:32]
	s_cbranch_execz .LBB292_723
; %bb.716:                              ;   in Loop: Header=BB292_16 Depth=1
	v_lshrrev_b32_e32 v7, 24, v32
	v_bfrev_b32_e32 v168, 1
	s_mov_b32 s21, exec_lo
	s_delay_alu instid0(VALU_DEP_2)
	v_cmpx_ne_u32_e32 0x80, v7
	s_cbranch_execz .LBB292_722
; %bb.717:                              ;   in Loop: Header=BB292_16 Depth=1
	v_and_b32_e32 v183, 0x7f, v7
	v_mov_b32_e32 v168, 0x7c010000
	s_mov_b32 s22, exec_lo
	s_delay_alu instid0(VALU_DEP_2)
	v_cmpx_ne_u32_e32 0x7f, v183
	s_cbranch_execz .LBB292_721
; %bb.718:                              ;   in Loop: Header=BB292_16 Depth=1
	v_and_b32_e32 v31, 7, v7
	v_lshrrev_b32_e32 v32, 3, v183
	s_mov_b32 s23, exec_lo
	v_cmpx_gt_u32_e32 8, v183
; %bb.719:                              ;   in Loop: Header=BB292_16 Depth=1
	s_delay_alu instid0(VALU_DEP_3) | instskip(NEXT) | instid1(VALU_DEP_1)
	v_clz_i32_u32_e32 v31, v31
	v_min_u32_e32 v183, 32, v31
	s_delay_alu instid0(VALU_DEP_1) | instskip(NEXT) | instid1(VALU_DEP_1)
	v_subrev_nc_u32_e32 v31, 28, v183
	v_lshlrev_b64_e32 v[31:32], v31, v[7:8]
	v_sub_nc_u32_e32 v32, 29, v183
	s_delay_alu instid0(VALU_DEP_2)
	v_and_b32_e32 v31, 7, v31
; %bb.720:                              ;   in Loop: Header=BB292_16 Depth=1
	s_wait_alu 0xfffe
	s_or_b32 exec_lo, exec_lo, s23
	v_lshlrev_b32_e32 v7, 8, v7
	v_lshl_add_u32 v32, v32, 10, 0x2000
	v_lshlrev_b32_e32 v31, 23, v31
	s_delay_alu instid0(VALU_DEP_2) | instskip(NEXT) | instid1(VALU_DEP_1)
	v_and_or_b32 v7, 0x8000, v7, v32
	v_lshl_or_b32 v168, v7, 16, v31
.LBB292_721:                            ;   in Loop: Header=BB292_16 Depth=1
	s_wait_alu 0xfffe
	s_or_b32 exec_lo, exec_lo, s22
.LBB292_722:                            ;   in Loop: Header=BB292_16 Depth=1
	s_wait_alu 0xfffe
	s_or_b32 exec_lo, exec_lo, s21
.LBB292_723:                            ;   in Loop: Header=BB292_16 Depth=1
	s_wait_alu 0xfffe
	s_or_b32 exec_lo, exec_lo, s20
	flat_load_b64 v[31:32], v[28:29] offset:2568
	s_mov_b32 s20, exec_lo
	s_wait_loadcnt_dscnt 0x0
	v_and_b32_e32 v7, 0xff, v31
	s_delay_alu instid0(VALU_DEP_1)
	v_cmpx_ne_u16_e32 0, v7
	s_cbranch_execz .LBB292_731
; %bb.724:                              ;   in Loop: Header=BB292_16 Depth=1
	v_mov_b32_e32 v108, 0x8000
	s_mov_b32 s21, exec_lo
	v_cmpx_ne_u16_e32 0x80, v7
	s_cbranch_execz .LBB292_730
; %bb.725:                              ;   in Loop: Header=BB292_16 Depth=1
	v_and_b32_e32 v42, 0x7f, v31
	v_mov_b32_e32 v108, 0x7c01
	s_mov_b32 s22, exec_lo
	s_delay_alu instid0(VALU_DEP_2)
	v_cmpx_ne_u32_e32 0x7f, v42
	s_cbranch_execz .LBB292_729
; %bb.726:                              ;   in Loop: Header=BB292_16 Depth=1
	v_and_b32_e32 v7, 7, v31
	v_lshrrev_b32_e32 v183, 3, v42
	s_mov_b32 s23, exec_lo
	v_cmpx_gt_u32_e32 8, v42
; %bb.727:                              ;   in Loop: Header=BB292_16 Depth=1
	s_delay_alu instid0(VALU_DEP_3) | instskip(NEXT) | instid1(VALU_DEP_1)
	v_clz_i32_u32_e32 v7, v7
	v_min_u32_e32 v7, 32, v7
	s_delay_alu instid0(VALU_DEP_1) | instskip(NEXT) | instid1(VALU_DEP_1)
	v_subrev_nc_u32_e32 v183, 28, v7
	v_lshlrev_b64_e32 v[42:43], v183, v[31:32]
	v_sub_nc_u32_e32 v183, 29, v7
	s_delay_alu instid0(VALU_DEP_2)
	v_and_b32_e32 v7, 7, v42
; %bb.728:                              ;   in Loop: Header=BB292_16 Depth=1
	s_wait_alu 0xfffe
	s_or_b32 exec_lo, exec_lo, s23
	v_lshlrev_b32_e32 v42, 8, v31
	v_lshl_add_u32 v183, v183, 10, 0x2000
	v_lshlrev_b32_e32 v7, 7, v7
	s_delay_alu instid0(VALU_DEP_3) | instskip(NEXT) | instid1(VALU_DEP_3)
	v_and_b32_e32 v42, 0x8000, v42
	v_and_b32_e32 v183, 0xfc00, v183
	s_delay_alu instid0(VALU_DEP_1)
	v_or3_b32 v108, v42, v183, v7
.LBB292_729:                            ;   in Loop: Header=BB292_16 Depth=1
	s_wait_alu 0xfffe
	s_or_b32 exec_lo, exec_lo, s22
.LBB292_730:                            ;   in Loop: Header=BB292_16 Depth=1
	s_wait_alu 0xfffe
	s_or_b32 exec_lo, exec_lo, s21
.LBB292_731:                            ;   in Loop: Header=BB292_16 Depth=1
	s_wait_alu 0xfffe
	s_or_b32 exec_lo, exec_lo, s20
	v_lshrrev_b16 v7, 8, v31
	v_dual_mov_b32 v120, 0 :: v_dual_mov_b32 v109, 0
	s_mov_b32 s20, exec_lo
	s_delay_alu instid0(VALU_DEP_2)
	v_cmpx_ne_u16_e32 0, v7
	s_cbranch_execz .LBB292_739
; %bb.732:                              ;   in Loop: Header=BB292_16 Depth=1
	v_bfrev_b32_e32 v109, 1
	s_mov_b32 s21, exec_lo
	v_cmpx_ne_u16_e32 0x80, v7
	s_cbranch_execz .LBB292_738
; %bb.733:                              ;   in Loop: Header=BB292_16 Depth=1
	v_and_b32_e32 v183, 0xffff, v7
	v_mov_b32_e32 v109, 0x7c010000
	s_mov_b32 s22, exec_lo
	s_delay_alu instid0(VALU_DEP_2) | instskip(NEXT) | instid1(VALU_DEP_1)
	v_and_b32_e32 v44, 0x7f, v183
	v_cmpx_ne_u32_e32 0x7f, v44
	s_cbranch_execz .LBB292_737
; %bb.734:                              ;   in Loop: Header=BB292_16 Depth=1
	v_and_b32_e32 v42, 7, v183
	v_lshrrev_b32_e32 v43, 3, v44
	s_mov_b32 s23, exec_lo
	v_cmpx_gt_u32_e32 8, v44
; %bb.735:                              ;   in Loop: Header=BB292_16 Depth=1
	s_delay_alu instid0(VALU_DEP_3) | instskip(NEXT) | instid1(VALU_DEP_1)
	v_clz_i32_u32_e32 v42, v42
	v_min_u32_e32 v44, 32, v42
	s_delay_alu instid0(VALU_DEP_1) | instskip(NEXT) | instid1(VALU_DEP_1)
	v_subrev_nc_u32_e32 v42, 28, v44
	v_lshlrev_b64_e32 v[42:43], v42, v[7:8]
	v_sub_nc_u32_e32 v43, 29, v44
	s_delay_alu instid0(VALU_DEP_2)
	v_and_b32_e32 v42, 7, v42
; %bb.736:                              ;   in Loop: Header=BB292_16 Depth=1
	s_wait_alu 0xfffe
	s_or_b32 exec_lo, exec_lo, s23
	v_lshlrev_b32_e32 v7, 8, v183
	v_lshl_add_u32 v183, v43, 10, 0x2000
	s_delay_alu instid0(VALU_DEP_1) | instskip(SKIP_1) | instid1(VALU_DEP_1)
	v_and_or_b32 v7, 0x8000, v7, v183
	v_lshlrev_b32_e32 v183, 23, v42
	v_lshl_or_b32 v109, v7, 16, v183
.LBB292_737:                            ;   in Loop: Header=BB292_16 Depth=1
	s_wait_alu 0xfffe
	s_or_b32 exec_lo, exec_lo, s22
.LBB292_738:                            ;   in Loop: Header=BB292_16 Depth=1
	s_wait_alu 0xfffe
	s_or_b32 exec_lo, exec_lo, s21
.LBB292_739:                            ;   in Loop: Header=BB292_16 Depth=1
	s_wait_alu 0xfffe
	s_or_b32 exec_lo, exec_lo, s20
	v_lshrrev_b32_e32 v7, 16, v31
	s_mov_b32 s20, exec_lo
	s_delay_alu instid0(VALU_DEP_1) | instskip(NEXT) | instid1(VALU_DEP_1)
	v_and_b32_e32 v183, 0xff, v7
	v_cmpx_ne_u16_e64 0, v183
	s_cbranch_execz .LBB292_747
; %bb.740:                              ;   in Loop: Header=BB292_16 Depth=1
	v_mov_b32_e32 v120, 0x8000
	s_mov_b32 s21, exec_lo
	v_cmpx_ne_u16_e64 0x80, v183
	s_cbranch_execz .LBB292_746
; %bb.741:                              ;   in Loop: Header=BB292_16 Depth=1
	v_bfe_u32 v43, v31, 16, 7
	v_mov_b32_e32 v120, 0x7c01
	s_mov_b32 s22, exec_lo
	s_delay_alu instid0(VALU_DEP_2)
	v_cmpx_ne_u32_e32 0x7f, v43
	s_cbranch_execz .LBB292_745
; %bb.742:                              ;   in Loop: Header=BB292_16 Depth=1
	v_and_b32_e32 v183, 7, v7
	v_lshrrev_b32_e32 v42, 3, v43
	s_mov_b32 s23, exec_lo
	v_cmpx_gt_u32_e32 8, v43
; %bb.743:                              ;   in Loop: Header=BB292_16 Depth=1
	s_delay_alu instid0(VALU_DEP_3) | instskip(NEXT) | instid1(VALU_DEP_1)
	v_clz_i32_u32_e32 v183, v183
	v_min_u32_e32 v183, 32, v183
	s_delay_alu instid0(VALU_DEP_1) | instskip(NEXT) | instid1(VALU_DEP_1)
	v_subrev_nc_u32_e32 v42, 28, v183
	v_lshlrev_b64_e32 v[43:44], v42, v[7:8]
	v_sub_nc_u32_e32 v42, 29, v183
	s_delay_alu instid0(VALU_DEP_2)
	v_and_b32_e32 v183, 7, v43
; %bb.744:                              ;   in Loop: Header=BB292_16 Depth=1
	s_wait_alu 0xfffe
	s_or_b32 exec_lo, exec_lo, s23
	v_lshlrev_b32_e32 v7, 8, v7
	v_lshl_add_u32 v42, v42, 10, 0x2000
	v_lshlrev_b32_e32 v183, 7, v183
	s_delay_alu instid0(VALU_DEP_3) | instskip(NEXT) | instid1(VALU_DEP_3)
	v_and_b32_e32 v7, 0x8000, v7
	v_and_b32_e32 v42, 0xfc00, v42
	s_delay_alu instid0(VALU_DEP_1)
	v_or3_b32 v120, v7, v42, v183
.LBB292_745:                            ;   in Loop: Header=BB292_16 Depth=1
	s_wait_alu 0xfffe
	s_or_b32 exec_lo, exec_lo, s22
.LBB292_746:                            ;   in Loop: Header=BB292_16 Depth=1
	s_wait_alu 0xfffe
	s_or_b32 exec_lo, exec_lo, s21
.LBB292_747:                            ;   in Loop: Header=BB292_16 Depth=1
	s_wait_alu 0xfffe
	s_or_b32 exec_lo, exec_lo, s20
	v_dual_mov_b32 v121, 0 :: v_dual_mov_b32 v122, 0
	s_mov_b32 s20, exec_lo
	v_cmpx_lt_u32_e32 0xffffff, v31
	s_cbranch_execz .LBB292_755
; %bb.748:                              ;   in Loop: Header=BB292_16 Depth=1
	v_lshrrev_b32_e32 v7, 24, v31
	v_bfrev_b32_e32 v122, 1
	s_mov_b32 s21, exec_lo
	s_delay_alu instid0(VALU_DEP_2)
	v_cmpx_ne_u32_e32 0x80, v7
	s_cbranch_execz .LBB292_754
; %bb.749:                              ;   in Loop: Header=BB292_16 Depth=1
	v_and_b32_e32 v43, 0x7f, v7
	v_mov_b32_e32 v122, 0x7c010000
	s_mov_b32 s22, exec_lo
	s_delay_alu instid0(VALU_DEP_2)
	v_cmpx_ne_u32_e32 0x7f, v43
	s_cbranch_execz .LBB292_753
; %bb.750:                              ;   in Loop: Header=BB292_16 Depth=1
	v_and_b32_e32 v183, 7, v7
	v_lshrrev_b32_e32 v42, 3, v43
	s_mov_b32 s23, exec_lo
	v_cmpx_gt_u32_e32 8, v43
; %bb.751:                              ;   in Loop: Header=BB292_16 Depth=1
	s_delay_alu instid0(VALU_DEP_3) | instskip(NEXT) | instid1(VALU_DEP_1)
	v_clz_i32_u32_e32 v183, v183
	v_min_u32_e32 v183, 32, v183
	s_delay_alu instid0(VALU_DEP_1) | instskip(NEXT) | instid1(VALU_DEP_1)
	v_subrev_nc_u32_e32 v42, 28, v183
	v_lshlrev_b64_e32 v[43:44], v42, v[7:8]
	v_sub_nc_u32_e32 v42, 29, v183
	s_delay_alu instid0(VALU_DEP_2)
	v_and_b32_e32 v183, 7, v43
; %bb.752:                              ;   in Loop: Header=BB292_16 Depth=1
	s_wait_alu 0xfffe
	s_or_b32 exec_lo, exec_lo, s23
	v_lshlrev_b32_e32 v7, 8, v7
	v_lshl_add_u32 v42, v42, 10, 0x2000
	v_lshlrev_b32_e32 v183, 23, v183
	s_delay_alu instid0(VALU_DEP_2) | instskip(NEXT) | instid1(VALU_DEP_1)
	v_and_or_b32 v7, 0x8000, v7, v42
	v_lshl_or_b32 v122, v7, 16, v183
.LBB292_753:                            ;   in Loop: Header=BB292_16 Depth=1
	s_wait_alu 0xfffe
	s_or_b32 exec_lo, exec_lo, s22
.LBB292_754:                            ;   in Loop: Header=BB292_16 Depth=1
	s_wait_alu 0xfffe
	s_or_b32 exec_lo, exec_lo, s21
.LBB292_755:                            ;   in Loop: Header=BB292_16 Depth=1
	s_wait_alu 0xfffe
	s_or_b32 exec_lo, exec_lo, s20
	v_and_b32_e32 v183, 0xff, v32
	v_mov_b32_e32 v7, v32
	s_mov_b32 s20, exec_lo
	s_delay_alu instid0(VALU_DEP_2)
	v_cmpx_ne_u16_e64 0, v183
	s_cbranch_execz .LBB292_763
; %bb.756:                              ;   in Loop: Header=BB292_16 Depth=1
	v_mov_b32_e32 v121, 0x8000
	s_mov_b32 s21, exec_lo
	v_cmpx_ne_u16_e64 0x80, v183
	s_cbranch_execz .LBB292_762
; %bb.757:                              ;   in Loop: Header=BB292_16 Depth=1
	v_and_b32_e32 v43, 0x7f, v32
	v_mov_b32_e32 v121, 0x7c01
	s_mov_b32 s22, exec_lo
	s_delay_alu instid0(VALU_DEP_2)
	v_cmpx_ne_u32_e32 0x7f, v43
	s_cbranch_execz .LBB292_761
; %bb.758:                              ;   in Loop: Header=BB292_16 Depth=1
	v_and_b32_e32 v183, 7, v32
	v_lshrrev_b32_e32 v42, 3, v43
	s_mov_b32 s23, exec_lo
	v_cmpx_gt_u32_e32 8, v43
; %bb.759:                              ;   in Loop: Header=BB292_16 Depth=1
	s_delay_alu instid0(VALU_DEP_3) | instskip(NEXT) | instid1(VALU_DEP_1)
	v_clz_i32_u32_e32 v183, v183
	v_min_u32_e32 v183, 32, v183
	s_delay_alu instid0(VALU_DEP_1) | instskip(NEXT) | instid1(VALU_DEP_1)
	v_subrev_nc_u32_e32 v42, 28, v183
	v_lshlrev_b64_e32 v[43:44], v42, v[7:8]
	v_sub_nc_u32_e32 v42, 29, v183
	s_delay_alu instid0(VALU_DEP_2)
	v_and_b32_e32 v183, 7, v43
; %bb.760:                              ;   in Loop: Header=BB292_16 Depth=1
	s_wait_alu 0xfffe
	s_or_b32 exec_lo, exec_lo, s23
	v_lshlrev_b32_e32 v43, 8, v32
	v_lshl_add_u32 v42, v42, 10, 0x2000
	v_lshlrev_b32_e32 v183, 7, v183
	s_delay_alu instid0(VALU_DEP_3) | instskip(NEXT) | instid1(VALU_DEP_3)
	v_and_b32_e32 v43, 0x8000, v43
	v_and_b32_e32 v42, 0xfc00, v42
	s_delay_alu instid0(VALU_DEP_1)
	v_or3_b32 v121, v43, v42, v183
.LBB292_761:                            ;   in Loop: Header=BB292_16 Depth=1
	s_wait_alu 0xfffe
	s_or_b32 exec_lo, exec_lo, s22
.LBB292_762:                            ;   in Loop: Header=BB292_16 Depth=1
	s_wait_alu 0xfffe
	s_or_b32 exec_lo, exec_lo, s21
.LBB292_763:                            ;   in Loop: Header=BB292_16 Depth=1
	s_wait_alu 0xfffe
	s_or_b32 exec_lo, exec_lo, s20
	v_lshrrev_b16 v7, 8, v7
	v_dual_mov_b32 v143, 0 :: v_dual_mov_b32 v152, 0
	s_mov_b32 s20, exec_lo
	s_delay_alu instid0(VALU_DEP_2)
	v_cmpx_ne_u16_e32 0, v7
	s_cbranch_execz .LBB292_771
; %bb.764:                              ;   in Loop: Header=BB292_16 Depth=1
	v_bfrev_b32_e32 v152, 1
	s_mov_b32 s21, exec_lo
	v_cmpx_ne_u16_e32 0x80, v7
	s_cbranch_execz .LBB292_770
; %bb.765:                              ;   in Loop: Header=BB292_16 Depth=1
	v_and_b32_e32 v183, 0xffff, v7
	v_mov_b32_e32 v152, 0x7c010000
	s_mov_b32 s22, exec_lo
	s_delay_alu instid0(VALU_DEP_2) | instskip(NEXT) | instid1(VALU_DEP_1)
	v_and_b32_e32 v44, 0x7f, v183
	v_cmpx_ne_u32_e32 0x7f, v44
	s_cbranch_execz .LBB292_769
; %bb.766:                              ;   in Loop: Header=BB292_16 Depth=1
	v_and_b32_e32 v42, 7, v183
	v_lshrrev_b32_e32 v43, 3, v44
	s_mov_b32 s23, exec_lo
	v_cmpx_gt_u32_e32 8, v44
; %bb.767:                              ;   in Loop: Header=BB292_16 Depth=1
	s_delay_alu instid0(VALU_DEP_3) | instskip(NEXT) | instid1(VALU_DEP_1)
	v_clz_i32_u32_e32 v42, v42
	v_min_u32_e32 v44, 32, v42
	s_delay_alu instid0(VALU_DEP_1) | instskip(NEXT) | instid1(VALU_DEP_1)
	v_subrev_nc_u32_e32 v42, 28, v44
	v_lshlrev_b64_e32 v[42:43], v42, v[7:8]
	v_sub_nc_u32_e32 v43, 29, v44
	s_delay_alu instid0(VALU_DEP_2)
	v_and_b32_e32 v42, 7, v42
; %bb.768:                              ;   in Loop: Header=BB292_16 Depth=1
	s_wait_alu 0xfffe
	s_or_b32 exec_lo, exec_lo, s23
	v_lshlrev_b32_e32 v7, 8, v183
	v_lshl_add_u32 v183, v43, 10, 0x2000
	s_delay_alu instid0(VALU_DEP_1) | instskip(SKIP_1) | instid1(VALU_DEP_1)
	v_and_or_b32 v7, 0x8000, v7, v183
	v_lshlrev_b32_e32 v183, 23, v42
	v_lshl_or_b32 v152, v7, 16, v183
.LBB292_769:                            ;   in Loop: Header=BB292_16 Depth=1
	s_wait_alu 0xfffe
	s_or_b32 exec_lo, exec_lo, s22
.LBB292_770:                            ;   in Loop: Header=BB292_16 Depth=1
	s_wait_alu 0xfffe
	s_or_b32 exec_lo, exec_lo, s21
.LBB292_771:                            ;   in Loop: Header=BB292_16 Depth=1
	s_wait_alu 0xfffe
	s_or_b32 exec_lo, exec_lo, s20
	v_lshrrev_b32_e32 v7, 16, v32
	s_mov_b32 s20, exec_lo
	s_delay_alu instid0(VALU_DEP_1) | instskip(NEXT) | instid1(VALU_DEP_1)
	v_and_b32_e32 v183, 0xff, v7
	v_cmpx_ne_u16_e64 0, v183
	s_cbranch_execz .LBB292_779
; %bb.772:                              ;   in Loop: Header=BB292_16 Depth=1
	v_mov_b32_e32 v143, 0x8000
	s_mov_b32 s21, exec_lo
	v_cmpx_ne_u16_e64 0x80, v183
	s_cbranch_execz .LBB292_778
; %bb.773:                              ;   in Loop: Header=BB292_16 Depth=1
	v_bfe_u32 v43, v32, 16, 7
	v_mov_b32_e32 v143, 0x7c01
	s_mov_b32 s22, exec_lo
	s_delay_alu instid0(VALU_DEP_2)
	v_cmpx_ne_u32_e32 0x7f, v43
	s_cbranch_execz .LBB292_777
; %bb.774:                              ;   in Loop: Header=BB292_16 Depth=1
	v_and_b32_e32 v183, 7, v7
	v_lshrrev_b32_e32 v42, 3, v43
	s_mov_b32 s23, exec_lo
	v_cmpx_gt_u32_e32 8, v43
; %bb.775:                              ;   in Loop: Header=BB292_16 Depth=1
	s_delay_alu instid0(VALU_DEP_3) | instskip(NEXT) | instid1(VALU_DEP_1)
	v_clz_i32_u32_e32 v183, v183
	v_min_u32_e32 v183, 32, v183
	s_delay_alu instid0(VALU_DEP_1) | instskip(NEXT) | instid1(VALU_DEP_1)
	v_subrev_nc_u32_e32 v42, 28, v183
	v_lshlrev_b64_e32 v[43:44], v42, v[7:8]
	v_sub_nc_u32_e32 v42, 29, v183
	s_delay_alu instid0(VALU_DEP_2)
	v_and_b32_e32 v183, 7, v43
; %bb.776:                              ;   in Loop: Header=BB292_16 Depth=1
	s_wait_alu 0xfffe
	s_or_b32 exec_lo, exec_lo, s23
	v_lshlrev_b32_e32 v7, 8, v7
	v_lshl_add_u32 v42, v42, 10, 0x2000
	v_lshlrev_b32_e32 v183, 7, v183
	s_delay_alu instid0(VALU_DEP_3) | instskip(NEXT) | instid1(VALU_DEP_3)
	v_and_b32_e32 v7, 0x8000, v7
	v_and_b32_e32 v42, 0xfc00, v42
	s_delay_alu instid0(VALU_DEP_1)
	v_or3_b32 v143, v7, v42, v183
.LBB292_777:                            ;   in Loop: Header=BB292_16 Depth=1
	s_wait_alu 0xfffe
	s_or_b32 exec_lo, exec_lo, s22
.LBB292_778:                            ;   in Loop: Header=BB292_16 Depth=1
	s_wait_alu 0xfffe
	s_or_b32 exec_lo, exec_lo, s21
.LBB292_779:                            ;   in Loop: Header=BB292_16 Depth=1
	s_wait_alu 0xfffe
	s_or_b32 exec_lo, exec_lo, s20
	v_mov_b32_e32 v79, 0
	v_mov_b32_e32 v153, 0
	s_mov_b32 s20, exec_lo
	v_cmpx_lt_u64_e64 s[10:11], v[31:32]
	s_cbranch_execz .LBB292_787
; %bb.780:                              ;   in Loop: Header=BB292_16 Depth=1
	v_lshrrev_b32_e32 v7, 24, v32
	v_bfrev_b32_e32 v153, 1
	s_mov_b32 s21, exec_lo
	s_delay_alu instid0(VALU_DEP_2)
	v_cmpx_ne_u32_e32 0x80, v7
	s_cbranch_execz .LBB292_786
; %bb.781:                              ;   in Loop: Header=BB292_16 Depth=1
	v_and_b32_e32 v183, 0x7f, v7
	v_mov_b32_e32 v153, 0x7c010000
	s_mov_b32 s22, exec_lo
	s_delay_alu instid0(VALU_DEP_2)
	v_cmpx_ne_u32_e32 0x7f, v183
	s_cbranch_execz .LBB292_785
; %bb.782:                              ;   in Loop: Header=BB292_16 Depth=1
	v_and_b32_e32 v31, 7, v7
	v_lshrrev_b32_e32 v32, 3, v183
	s_mov_b32 s23, exec_lo
	v_cmpx_gt_u32_e32 8, v183
; %bb.783:                              ;   in Loop: Header=BB292_16 Depth=1
	s_delay_alu instid0(VALU_DEP_3) | instskip(NEXT) | instid1(VALU_DEP_1)
	v_clz_i32_u32_e32 v31, v31
	v_min_u32_e32 v183, 32, v31
	s_delay_alu instid0(VALU_DEP_1) | instskip(NEXT) | instid1(VALU_DEP_1)
	v_subrev_nc_u32_e32 v31, 28, v183
	v_lshlrev_b64_e32 v[31:32], v31, v[7:8]
	v_sub_nc_u32_e32 v32, 29, v183
	s_delay_alu instid0(VALU_DEP_2)
	v_and_b32_e32 v31, 7, v31
; %bb.784:                              ;   in Loop: Header=BB292_16 Depth=1
	s_wait_alu 0xfffe
	s_or_b32 exec_lo, exec_lo, s23
	v_lshlrev_b32_e32 v7, 8, v7
	v_lshl_add_u32 v32, v32, 10, 0x2000
	v_lshlrev_b32_e32 v31, 23, v31
	s_delay_alu instid0(VALU_DEP_2) | instskip(NEXT) | instid1(VALU_DEP_1)
	v_and_or_b32 v7, 0x8000, v7, v32
	v_lshl_or_b32 v153, v7, 16, v31
.LBB292_785:                            ;   in Loop: Header=BB292_16 Depth=1
	s_wait_alu 0xfffe
	s_or_b32 exec_lo, exec_lo, s22
.LBB292_786:                            ;   in Loop: Header=BB292_16 Depth=1
	s_wait_alu 0xfffe
	s_or_b32 exec_lo, exec_lo, s21
.LBB292_787:                            ;   in Loop: Header=BB292_16 Depth=1
	s_wait_alu 0xfffe
	s_or_b32 exec_lo, exec_lo, s20
	flat_load_b64 v[31:32], v[28:29] offset:3072
	s_mov_b32 s20, exec_lo
	s_wait_loadcnt_dscnt 0x0
	v_and_b32_e32 v7, 0xff, v31
	s_delay_alu instid0(VALU_DEP_1)
	v_cmpx_ne_u16_e32 0, v7
	s_cbranch_execz .LBB292_795
; %bb.788:                              ;   in Loop: Header=BB292_16 Depth=1
	v_mov_b32_e32 v79, 0x8000
	s_mov_b32 s21, exec_lo
	v_cmpx_ne_u16_e32 0x80, v7
	s_cbranch_execz .LBB292_794
; %bb.789:                              ;   in Loop: Header=BB292_16 Depth=1
	v_and_b32_e32 v42, 0x7f, v31
	v_mov_b32_e32 v79, 0x7c01
	s_mov_b32 s22, exec_lo
	s_delay_alu instid0(VALU_DEP_2)
	v_cmpx_ne_u32_e32 0x7f, v42
	s_cbranch_execz .LBB292_793
; %bb.790:                              ;   in Loop: Header=BB292_16 Depth=1
	v_and_b32_e32 v7, 7, v31
	v_lshrrev_b32_e32 v183, 3, v42
	s_mov_b32 s23, exec_lo
	v_cmpx_gt_u32_e32 8, v42
; %bb.791:                              ;   in Loop: Header=BB292_16 Depth=1
	s_delay_alu instid0(VALU_DEP_3) | instskip(NEXT) | instid1(VALU_DEP_1)
	v_clz_i32_u32_e32 v7, v7
	v_min_u32_e32 v7, 32, v7
	s_delay_alu instid0(VALU_DEP_1) | instskip(NEXT) | instid1(VALU_DEP_1)
	v_subrev_nc_u32_e32 v183, 28, v7
	v_lshlrev_b64_e32 v[42:43], v183, v[31:32]
	v_sub_nc_u32_e32 v183, 29, v7
	s_delay_alu instid0(VALU_DEP_2)
	v_and_b32_e32 v7, 7, v42
; %bb.792:                              ;   in Loop: Header=BB292_16 Depth=1
	s_wait_alu 0xfffe
	s_or_b32 exec_lo, exec_lo, s23
	v_lshlrev_b32_e32 v42, 8, v31
	v_lshl_add_u32 v183, v183, 10, 0x2000
	v_lshlrev_b32_e32 v7, 7, v7
	s_delay_alu instid0(VALU_DEP_3) | instskip(NEXT) | instid1(VALU_DEP_3)
	v_and_b32_e32 v42, 0x8000, v42
	v_and_b32_e32 v183, 0xfc00, v183
	s_delay_alu instid0(VALU_DEP_1)
	v_or3_b32 v79, v42, v183, v7
.LBB292_793:                            ;   in Loop: Header=BB292_16 Depth=1
	s_wait_alu 0xfffe
	s_or_b32 exec_lo, exec_lo, s22
.LBB292_794:                            ;   in Loop: Header=BB292_16 Depth=1
	s_wait_alu 0xfffe
	s_or_b32 exec_lo, exec_lo, s21
.LBB292_795:                            ;   in Loop: Header=BB292_16 Depth=1
	s_wait_alu 0xfffe
	s_or_b32 exec_lo, exec_lo, s20
	v_lshrrev_b16 v7, 8, v31
	v_mov_b32_e32 v90, 0
	v_mov_b32_e32 v88, 0
	s_mov_b32 s20, exec_lo
	s_delay_alu instid0(VALU_DEP_3)
	v_cmpx_ne_u16_e32 0, v7
	s_cbranch_execz .LBB292_803
; %bb.796:                              ;   in Loop: Header=BB292_16 Depth=1
	v_bfrev_b32_e32 v88, 1
	s_mov_b32 s21, exec_lo
	v_cmpx_ne_u16_e32 0x80, v7
	s_cbranch_execz .LBB292_802
; %bb.797:                              ;   in Loop: Header=BB292_16 Depth=1
	v_and_b32_e32 v183, 0xffff, v7
	v_mov_b32_e32 v88, 0x7c010000
	s_mov_b32 s22, exec_lo
	s_delay_alu instid0(VALU_DEP_2) | instskip(NEXT) | instid1(VALU_DEP_1)
	v_and_b32_e32 v44, 0x7f, v183
	v_cmpx_ne_u32_e32 0x7f, v44
	s_cbranch_execz .LBB292_801
; %bb.798:                              ;   in Loop: Header=BB292_16 Depth=1
	v_and_b32_e32 v42, 7, v183
	v_lshrrev_b32_e32 v43, 3, v44
	s_mov_b32 s23, exec_lo
	v_cmpx_gt_u32_e32 8, v44
; %bb.799:                              ;   in Loop: Header=BB292_16 Depth=1
	s_delay_alu instid0(VALU_DEP_3) | instskip(NEXT) | instid1(VALU_DEP_1)
	v_clz_i32_u32_e32 v42, v42
	v_min_u32_e32 v44, 32, v42
	s_delay_alu instid0(VALU_DEP_1) | instskip(NEXT) | instid1(VALU_DEP_1)
	v_subrev_nc_u32_e32 v42, 28, v44
	v_lshlrev_b64_e32 v[42:43], v42, v[7:8]
	v_sub_nc_u32_e32 v43, 29, v44
	s_delay_alu instid0(VALU_DEP_2)
	v_and_b32_e32 v42, 7, v42
; %bb.800:                              ;   in Loop: Header=BB292_16 Depth=1
	s_wait_alu 0xfffe
	s_or_b32 exec_lo, exec_lo, s23
	v_lshlrev_b32_e32 v7, 8, v183
	v_lshl_add_u32 v183, v43, 10, 0x2000
	s_delay_alu instid0(VALU_DEP_1) | instskip(SKIP_1) | instid1(VALU_DEP_1)
	v_and_or_b32 v7, 0x8000, v7, v183
	v_lshlrev_b32_e32 v183, 23, v42
	v_lshl_or_b32 v88, v7, 16, v183
.LBB292_801:                            ;   in Loop: Header=BB292_16 Depth=1
	s_wait_alu 0xfffe
	s_or_b32 exec_lo, exec_lo, s22
.LBB292_802:                            ;   in Loop: Header=BB292_16 Depth=1
	s_wait_alu 0xfffe
	s_or_b32 exec_lo, exec_lo, s21
.LBB292_803:                            ;   in Loop: Header=BB292_16 Depth=1
	s_wait_alu 0xfffe
	s_or_b32 exec_lo, exec_lo, s20
	v_lshrrev_b32_e32 v7, 16, v31
	s_mov_b32 s20, exec_lo
	s_delay_alu instid0(VALU_DEP_1) | instskip(NEXT) | instid1(VALU_DEP_1)
	v_and_b32_e32 v183, 0xff, v7
	v_cmpx_ne_u16_e64 0, v183
	s_cbranch_execz .LBB292_811
; %bb.804:                              ;   in Loop: Header=BB292_16 Depth=1
	v_mov_b32_e32 v90, 0x8000
	s_mov_b32 s21, exec_lo
	v_cmpx_ne_u16_e64 0x80, v183
	s_cbranch_execz .LBB292_810
; %bb.805:                              ;   in Loop: Header=BB292_16 Depth=1
	v_bfe_u32 v43, v31, 16, 7
	v_mov_b32_e32 v90, 0x7c01
	s_mov_b32 s22, exec_lo
	s_delay_alu instid0(VALU_DEP_2)
	v_cmpx_ne_u32_e32 0x7f, v43
	s_cbranch_execz .LBB292_809
; %bb.806:                              ;   in Loop: Header=BB292_16 Depth=1
	v_and_b32_e32 v183, 7, v7
	v_lshrrev_b32_e32 v42, 3, v43
	s_mov_b32 s23, exec_lo
	v_cmpx_gt_u32_e32 8, v43
; %bb.807:                              ;   in Loop: Header=BB292_16 Depth=1
	s_delay_alu instid0(VALU_DEP_3) | instskip(NEXT) | instid1(VALU_DEP_1)
	v_clz_i32_u32_e32 v183, v183
	v_min_u32_e32 v183, 32, v183
	s_delay_alu instid0(VALU_DEP_1) | instskip(NEXT) | instid1(VALU_DEP_1)
	v_subrev_nc_u32_e32 v42, 28, v183
	v_lshlrev_b64_e32 v[43:44], v42, v[7:8]
	v_sub_nc_u32_e32 v42, 29, v183
	s_delay_alu instid0(VALU_DEP_2)
	v_and_b32_e32 v183, 7, v43
; %bb.808:                              ;   in Loop: Header=BB292_16 Depth=1
	s_wait_alu 0xfffe
	s_or_b32 exec_lo, exec_lo, s23
	v_lshlrev_b32_e32 v7, 8, v7
	v_lshl_add_u32 v42, v42, 10, 0x2000
	v_lshlrev_b32_e32 v183, 7, v183
	s_delay_alu instid0(VALU_DEP_3) | instskip(NEXT) | instid1(VALU_DEP_3)
	v_and_b32_e32 v7, 0x8000, v7
	v_and_b32_e32 v42, 0xfc00, v42
	s_delay_alu instid0(VALU_DEP_1)
	v_or3_b32 v90, v7, v42, v183
.LBB292_809:                            ;   in Loop: Header=BB292_16 Depth=1
	s_wait_alu 0xfffe
	s_or_b32 exec_lo, exec_lo, s22
.LBB292_810:                            ;   in Loop: Header=BB292_16 Depth=1
	s_wait_alu 0xfffe
	s_or_b32 exec_lo, exec_lo, s21
.LBB292_811:                            ;   in Loop: Header=BB292_16 Depth=1
	s_wait_alu 0xfffe
	s_or_b32 exec_lo, exec_lo, s20
	v_dual_mov_b32 v91, 0 :: v_dual_mov_b32 v94, 0
	s_mov_b32 s20, exec_lo
	v_cmpx_lt_u32_e32 0xffffff, v31
	s_cbranch_execz .LBB292_819
; %bb.812:                              ;   in Loop: Header=BB292_16 Depth=1
	v_lshrrev_b32_e32 v7, 24, v31
	v_bfrev_b32_e32 v94, 1
	s_mov_b32 s21, exec_lo
	s_delay_alu instid0(VALU_DEP_2)
	v_cmpx_ne_u32_e32 0x80, v7
	s_cbranch_execz .LBB292_818
; %bb.813:                              ;   in Loop: Header=BB292_16 Depth=1
	v_and_b32_e32 v43, 0x7f, v7
	v_mov_b32_e32 v94, 0x7c010000
	s_mov_b32 s22, exec_lo
	s_delay_alu instid0(VALU_DEP_2)
	v_cmpx_ne_u32_e32 0x7f, v43
	s_cbranch_execz .LBB292_817
; %bb.814:                              ;   in Loop: Header=BB292_16 Depth=1
	v_and_b32_e32 v183, 7, v7
	v_lshrrev_b32_e32 v42, 3, v43
	s_mov_b32 s23, exec_lo
	v_cmpx_gt_u32_e32 8, v43
; %bb.815:                              ;   in Loop: Header=BB292_16 Depth=1
	s_delay_alu instid0(VALU_DEP_3) | instskip(NEXT) | instid1(VALU_DEP_1)
	v_clz_i32_u32_e32 v183, v183
	v_min_u32_e32 v183, 32, v183
	s_delay_alu instid0(VALU_DEP_1) | instskip(NEXT) | instid1(VALU_DEP_1)
	v_subrev_nc_u32_e32 v42, 28, v183
	v_lshlrev_b64_e32 v[43:44], v42, v[7:8]
	v_sub_nc_u32_e32 v42, 29, v183
	s_delay_alu instid0(VALU_DEP_2)
	v_and_b32_e32 v183, 7, v43
; %bb.816:                              ;   in Loop: Header=BB292_16 Depth=1
	s_wait_alu 0xfffe
	s_or_b32 exec_lo, exec_lo, s23
	v_lshlrev_b32_e32 v7, 8, v7
	v_lshl_add_u32 v42, v42, 10, 0x2000
	v_lshlrev_b32_e32 v183, 23, v183
	s_delay_alu instid0(VALU_DEP_2) | instskip(NEXT) | instid1(VALU_DEP_1)
	v_and_or_b32 v7, 0x8000, v7, v42
	v_lshl_or_b32 v94, v7, 16, v183
.LBB292_817:                            ;   in Loop: Header=BB292_16 Depth=1
	s_wait_alu 0xfffe
	s_or_b32 exec_lo, exec_lo, s22
.LBB292_818:                            ;   in Loop: Header=BB292_16 Depth=1
	s_wait_alu 0xfffe
	s_or_b32 exec_lo, exec_lo, s21
.LBB292_819:                            ;   in Loop: Header=BB292_16 Depth=1
	s_wait_alu 0xfffe
	s_or_b32 exec_lo, exec_lo, s20
	v_and_b32_e32 v183, 0xff, v32
	v_mov_b32_e32 v7, v32
	s_mov_b32 s20, exec_lo
	s_delay_alu instid0(VALU_DEP_2)
	v_cmpx_ne_u16_e64 0, v183
	s_cbranch_execz .LBB292_827
; %bb.820:                              ;   in Loop: Header=BB292_16 Depth=1
	v_mov_b32_e32 v91, 0x8000
	s_mov_b32 s21, exec_lo
	v_cmpx_ne_u16_e64 0x80, v183
	s_cbranch_execz .LBB292_826
; %bb.821:                              ;   in Loop: Header=BB292_16 Depth=1
	v_and_b32_e32 v43, 0x7f, v32
	v_mov_b32_e32 v91, 0x7c01
	s_mov_b32 s22, exec_lo
	s_delay_alu instid0(VALU_DEP_2)
	v_cmpx_ne_u32_e32 0x7f, v43
	s_cbranch_execz .LBB292_825
; %bb.822:                              ;   in Loop: Header=BB292_16 Depth=1
	v_and_b32_e32 v183, 7, v32
	v_lshrrev_b32_e32 v42, 3, v43
	s_mov_b32 s23, exec_lo
	v_cmpx_gt_u32_e32 8, v43
; %bb.823:                              ;   in Loop: Header=BB292_16 Depth=1
	s_delay_alu instid0(VALU_DEP_3) | instskip(NEXT) | instid1(VALU_DEP_1)
	v_clz_i32_u32_e32 v183, v183
	v_min_u32_e32 v183, 32, v183
	s_delay_alu instid0(VALU_DEP_1) | instskip(NEXT) | instid1(VALU_DEP_1)
	v_subrev_nc_u32_e32 v42, 28, v183
	v_lshlrev_b64_e32 v[43:44], v42, v[7:8]
	v_sub_nc_u32_e32 v42, 29, v183
	s_delay_alu instid0(VALU_DEP_2)
	v_and_b32_e32 v183, 7, v43
; %bb.824:                              ;   in Loop: Header=BB292_16 Depth=1
	s_wait_alu 0xfffe
	s_or_b32 exec_lo, exec_lo, s23
	v_lshlrev_b32_e32 v43, 8, v32
	v_lshl_add_u32 v42, v42, 10, 0x2000
	v_lshlrev_b32_e32 v183, 7, v183
	s_delay_alu instid0(VALU_DEP_3) | instskip(NEXT) | instid1(VALU_DEP_3)
	v_and_b32_e32 v43, 0x8000, v43
	v_and_b32_e32 v42, 0xfc00, v42
	s_delay_alu instid0(VALU_DEP_1)
	v_or3_b32 v91, v43, v42, v183
.LBB292_825:                            ;   in Loop: Header=BB292_16 Depth=1
	s_wait_alu 0xfffe
	s_or_b32 exec_lo, exec_lo, s22
.LBB292_826:                            ;   in Loop: Header=BB292_16 Depth=1
	s_wait_alu 0xfffe
	s_or_b32 exec_lo, exec_lo, s21
.LBB292_827:                            ;   in Loop: Header=BB292_16 Depth=1
	s_wait_alu 0xfffe
	s_or_b32 exec_lo, exec_lo, s20
	v_lshrrev_b16 v7, 8, v7
	v_dual_mov_b32 v123, 0 :: v_dual_mov_b32 v124, 0
	s_mov_b32 s20, exec_lo
	s_delay_alu instid0(VALU_DEP_2)
	v_cmpx_ne_u16_e32 0, v7
	s_cbranch_execz .LBB292_835
; %bb.828:                              ;   in Loop: Header=BB292_16 Depth=1
	v_bfrev_b32_e32 v124, 1
	s_mov_b32 s21, exec_lo
	v_cmpx_ne_u16_e32 0x80, v7
	s_cbranch_execz .LBB292_834
; %bb.829:                              ;   in Loop: Header=BB292_16 Depth=1
	v_and_b32_e32 v183, 0xffff, v7
	v_mov_b32_e32 v124, 0x7c010000
	s_mov_b32 s22, exec_lo
	s_delay_alu instid0(VALU_DEP_2) | instskip(NEXT) | instid1(VALU_DEP_1)
	v_and_b32_e32 v44, 0x7f, v183
	v_cmpx_ne_u32_e32 0x7f, v44
	s_cbranch_execz .LBB292_833
; %bb.830:                              ;   in Loop: Header=BB292_16 Depth=1
	v_and_b32_e32 v42, 7, v183
	v_lshrrev_b32_e32 v43, 3, v44
	s_mov_b32 s23, exec_lo
	v_cmpx_gt_u32_e32 8, v44
; %bb.831:                              ;   in Loop: Header=BB292_16 Depth=1
	s_delay_alu instid0(VALU_DEP_3) | instskip(NEXT) | instid1(VALU_DEP_1)
	v_clz_i32_u32_e32 v42, v42
	v_min_u32_e32 v44, 32, v42
	s_delay_alu instid0(VALU_DEP_1) | instskip(NEXT) | instid1(VALU_DEP_1)
	v_subrev_nc_u32_e32 v42, 28, v44
	v_lshlrev_b64_e32 v[42:43], v42, v[7:8]
	v_sub_nc_u32_e32 v43, 29, v44
	s_delay_alu instid0(VALU_DEP_2)
	v_and_b32_e32 v42, 7, v42
; %bb.832:                              ;   in Loop: Header=BB292_16 Depth=1
	s_wait_alu 0xfffe
	s_or_b32 exec_lo, exec_lo, s23
	v_lshlrev_b32_e32 v7, 8, v183
	v_lshl_add_u32 v183, v43, 10, 0x2000
	s_delay_alu instid0(VALU_DEP_1) | instskip(SKIP_1) | instid1(VALU_DEP_1)
	v_and_or_b32 v7, 0x8000, v7, v183
	v_lshlrev_b32_e32 v183, 23, v42
	v_lshl_or_b32 v124, v7, 16, v183
.LBB292_833:                            ;   in Loop: Header=BB292_16 Depth=1
	s_wait_alu 0xfffe
	s_or_b32 exec_lo, exec_lo, s22
.LBB292_834:                            ;   in Loop: Header=BB292_16 Depth=1
	s_wait_alu 0xfffe
	s_or_b32 exec_lo, exec_lo, s21
.LBB292_835:                            ;   in Loop: Header=BB292_16 Depth=1
	s_wait_alu 0xfffe
	s_or_b32 exec_lo, exec_lo, s20
	v_lshrrev_b32_e32 v7, 16, v32
	s_mov_b32 s20, exec_lo
	s_delay_alu instid0(VALU_DEP_1) | instskip(NEXT) | instid1(VALU_DEP_1)
	v_and_b32_e32 v183, 0xff, v7
	v_cmpx_ne_u16_e64 0, v183
	s_cbranch_execz .LBB292_843
; %bb.836:                              ;   in Loop: Header=BB292_16 Depth=1
	v_mov_b32_e32 v123, 0x8000
	s_mov_b32 s21, exec_lo
	v_cmpx_ne_u16_e64 0x80, v183
	s_cbranch_execz .LBB292_842
; %bb.837:                              ;   in Loop: Header=BB292_16 Depth=1
	v_bfe_u32 v43, v32, 16, 7
	v_mov_b32_e32 v123, 0x7c01
	s_mov_b32 s22, exec_lo
	s_delay_alu instid0(VALU_DEP_2)
	v_cmpx_ne_u32_e32 0x7f, v43
	s_cbranch_execz .LBB292_841
; %bb.838:                              ;   in Loop: Header=BB292_16 Depth=1
	v_and_b32_e32 v183, 7, v7
	v_lshrrev_b32_e32 v42, 3, v43
	s_mov_b32 s23, exec_lo
	v_cmpx_gt_u32_e32 8, v43
; %bb.839:                              ;   in Loop: Header=BB292_16 Depth=1
	s_delay_alu instid0(VALU_DEP_3) | instskip(NEXT) | instid1(VALU_DEP_1)
	v_clz_i32_u32_e32 v183, v183
	v_min_u32_e32 v183, 32, v183
	s_delay_alu instid0(VALU_DEP_1) | instskip(NEXT) | instid1(VALU_DEP_1)
	v_subrev_nc_u32_e32 v42, 28, v183
	v_lshlrev_b64_e32 v[43:44], v42, v[7:8]
	v_sub_nc_u32_e32 v42, 29, v183
	s_delay_alu instid0(VALU_DEP_2)
	v_and_b32_e32 v183, 7, v43
; %bb.840:                              ;   in Loop: Header=BB292_16 Depth=1
	s_wait_alu 0xfffe
	s_or_b32 exec_lo, exec_lo, s23
	v_lshlrev_b32_e32 v7, 8, v7
	v_lshl_add_u32 v42, v42, 10, 0x2000
	v_lshlrev_b32_e32 v183, 7, v183
	s_delay_alu instid0(VALU_DEP_3) | instskip(NEXT) | instid1(VALU_DEP_3)
	v_and_b32_e32 v7, 0x8000, v7
	v_and_b32_e32 v42, 0xfc00, v42
	s_delay_alu instid0(VALU_DEP_1)
	v_or3_b32 v123, v7, v42, v183
.LBB292_841:                            ;   in Loop: Header=BB292_16 Depth=1
	s_wait_alu 0xfffe
	s_or_b32 exec_lo, exec_lo, s22
.LBB292_842:                            ;   in Loop: Header=BB292_16 Depth=1
	s_wait_alu 0xfffe
	s_or_b32 exec_lo, exec_lo, s21
.LBB292_843:                            ;   in Loop: Header=BB292_16 Depth=1
	s_wait_alu 0xfffe
	s_or_b32 exec_lo, exec_lo, s20
	v_dual_mov_b32 v58, 0 :: v_dual_mov_b32 v125, 0
	s_mov_b32 s20, exec_lo
	v_cmpx_lt_u64_e64 s[10:11], v[31:32]
	s_cbranch_execz .LBB292_851
; %bb.844:                              ;   in Loop: Header=BB292_16 Depth=1
	v_lshrrev_b32_e32 v7, 24, v32
	v_bfrev_b32_e32 v125, 1
	s_mov_b32 s21, exec_lo
	s_delay_alu instid0(VALU_DEP_2)
	v_cmpx_ne_u32_e32 0x80, v7
	s_cbranch_execz .LBB292_850
; %bb.845:                              ;   in Loop: Header=BB292_16 Depth=1
	v_and_b32_e32 v183, 0x7f, v7
	v_mov_b32_e32 v125, 0x7c010000
	s_mov_b32 s22, exec_lo
	s_delay_alu instid0(VALU_DEP_2)
	v_cmpx_ne_u32_e32 0x7f, v183
	s_cbranch_execz .LBB292_849
; %bb.846:                              ;   in Loop: Header=BB292_16 Depth=1
	v_and_b32_e32 v31, 7, v7
	v_lshrrev_b32_e32 v32, 3, v183
	s_mov_b32 s23, exec_lo
	v_cmpx_gt_u32_e32 8, v183
; %bb.847:                              ;   in Loop: Header=BB292_16 Depth=1
	s_delay_alu instid0(VALU_DEP_3) | instskip(NEXT) | instid1(VALU_DEP_1)
	v_clz_i32_u32_e32 v31, v31
	v_min_u32_e32 v183, 32, v31
	s_delay_alu instid0(VALU_DEP_1) | instskip(NEXT) | instid1(VALU_DEP_1)
	v_subrev_nc_u32_e32 v31, 28, v183
	v_lshlrev_b64_e32 v[31:32], v31, v[7:8]
	v_sub_nc_u32_e32 v32, 29, v183
	s_delay_alu instid0(VALU_DEP_2)
	v_and_b32_e32 v31, 7, v31
; %bb.848:                              ;   in Loop: Header=BB292_16 Depth=1
	s_wait_alu 0xfffe
	s_or_b32 exec_lo, exec_lo, s23
	v_lshlrev_b32_e32 v7, 8, v7
	v_lshl_add_u32 v32, v32, 10, 0x2000
	v_lshlrev_b32_e32 v31, 23, v31
	s_delay_alu instid0(VALU_DEP_2) | instskip(NEXT) | instid1(VALU_DEP_1)
	v_and_or_b32 v7, 0x8000, v7, v32
	v_lshl_or_b32 v125, v7, 16, v31
.LBB292_849:                            ;   in Loop: Header=BB292_16 Depth=1
	s_wait_alu 0xfffe
	s_or_b32 exec_lo, exec_lo, s22
.LBB292_850:                            ;   in Loop: Header=BB292_16 Depth=1
	s_wait_alu 0xfffe
	s_or_b32 exec_lo, exec_lo, s21
.LBB292_851:                            ;   in Loop: Header=BB292_16 Depth=1
	s_wait_alu 0xfffe
	s_or_b32 exec_lo, exec_lo, s20
	flat_load_b64 v[31:32], v[28:29] offset:3080
	s_mov_b32 s20, exec_lo
	s_wait_loadcnt_dscnt 0x0
	v_and_b32_e32 v7, 0xff, v31
	s_delay_alu instid0(VALU_DEP_1)
	v_cmpx_ne_u16_e32 0, v7
	s_cbranch_execz .LBB292_859
; %bb.852:                              ;   in Loop: Header=BB292_16 Depth=1
	v_mov_b32_e32 v58, 0x8000
	s_mov_b32 s21, exec_lo
	v_cmpx_ne_u16_e32 0x80, v7
	s_cbranch_execz .LBB292_858
; %bb.853:                              ;   in Loop: Header=BB292_16 Depth=1
	v_and_b32_e32 v42, 0x7f, v31
	v_mov_b32_e32 v58, 0x7c01
	s_mov_b32 s22, exec_lo
	s_delay_alu instid0(VALU_DEP_2)
	v_cmpx_ne_u32_e32 0x7f, v42
	s_cbranch_execz .LBB292_857
; %bb.854:                              ;   in Loop: Header=BB292_16 Depth=1
	v_and_b32_e32 v7, 7, v31
	v_lshrrev_b32_e32 v183, 3, v42
	s_mov_b32 s23, exec_lo
	v_cmpx_gt_u32_e32 8, v42
; %bb.855:                              ;   in Loop: Header=BB292_16 Depth=1
	s_delay_alu instid0(VALU_DEP_3) | instskip(NEXT) | instid1(VALU_DEP_1)
	v_clz_i32_u32_e32 v7, v7
	v_min_u32_e32 v7, 32, v7
	s_delay_alu instid0(VALU_DEP_1) | instskip(NEXT) | instid1(VALU_DEP_1)
	v_subrev_nc_u32_e32 v183, 28, v7
	v_lshlrev_b64_e32 v[42:43], v183, v[31:32]
	v_sub_nc_u32_e32 v183, 29, v7
	s_delay_alu instid0(VALU_DEP_2)
	v_and_b32_e32 v7, 7, v42
; %bb.856:                              ;   in Loop: Header=BB292_16 Depth=1
	s_wait_alu 0xfffe
	s_or_b32 exec_lo, exec_lo, s23
	v_lshlrev_b32_e32 v42, 8, v31
	v_lshl_add_u32 v183, v183, 10, 0x2000
	v_lshlrev_b32_e32 v7, 7, v7
	s_delay_alu instid0(VALU_DEP_3) | instskip(NEXT) | instid1(VALU_DEP_3)
	v_and_b32_e32 v42, 0x8000, v42
	v_and_b32_e32 v183, 0xfc00, v183
	s_delay_alu instid0(VALU_DEP_1)
	v_or3_b32 v58, v42, v183, v7
.LBB292_857:                            ;   in Loop: Header=BB292_16 Depth=1
	s_wait_alu 0xfffe
	s_or_b32 exec_lo, exec_lo, s22
.LBB292_858:                            ;   in Loop: Header=BB292_16 Depth=1
	s_wait_alu 0xfffe
	s_or_b32 exec_lo, exec_lo, s21
.LBB292_859:                            ;   in Loop: Header=BB292_16 Depth=1
	s_wait_alu 0xfffe
	s_or_b32 exec_lo, exec_lo, s20
	v_lshrrev_b16 v7, 8, v31
	v_dual_mov_b32 v62, 0 :: v_dual_mov_b32 v59, 0
	s_mov_b32 s20, exec_lo
	s_delay_alu instid0(VALU_DEP_2)
	v_cmpx_ne_u16_e32 0, v7
	s_cbranch_execz .LBB292_867
; %bb.860:                              ;   in Loop: Header=BB292_16 Depth=1
	v_bfrev_b32_e32 v59, 1
	s_mov_b32 s21, exec_lo
	v_cmpx_ne_u16_e32 0x80, v7
	s_cbranch_execz .LBB292_866
; %bb.861:                              ;   in Loop: Header=BB292_16 Depth=1
	v_and_b32_e32 v183, 0xffff, v7
	v_mov_b32_e32 v59, 0x7c010000
	s_mov_b32 s22, exec_lo
	s_delay_alu instid0(VALU_DEP_2) | instskip(NEXT) | instid1(VALU_DEP_1)
	v_and_b32_e32 v44, 0x7f, v183
	v_cmpx_ne_u32_e32 0x7f, v44
	s_cbranch_execz .LBB292_865
; %bb.862:                              ;   in Loop: Header=BB292_16 Depth=1
	v_and_b32_e32 v42, 7, v183
	v_lshrrev_b32_e32 v43, 3, v44
	s_mov_b32 s23, exec_lo
	v_cmpx_gt_u32_e32 8, v44
; %bb.863:                              ;   in Loop: Header=BB292_16 Depth=1
	s_delay_alu instid0(VALU_DEP_3) | instskip(NEXT) | instid1(VALU_DEP_1)
	v_clz_i32_u32_e32 v42, v42
	v_min_u32_e32 v44, 32, v42
	s_delay_alu instid0(VALU_DEP_1) | instskip(NEXT) | instid1(VALU_DEP_1)
	v_subrev_nc_u32_e32 v42, 28, v44
	v_lshlrev_b64_e32 v[42:43], v42, v[7:8]
	v_sub_nc_u32_e32 v43, 29, v44
	s_delay_alu instid0(VALU_DEP_2)
	v_and_b32_e32 v42, 7, v42
; %bb.864:                              ;   in Loop: Header=BB292_16 Depth=1
	s_wait_alu 0xfffe
	s_or_b32 exec_lo, exec_lo, s23
	v_lshlrev_b32_e32 v7, 8, v183
	v_lshl_add_u32 v183, v43, 10, 0x2000
	s_delay_alu instid0(VALU_DEP_1) | instskip(SKIP_1) | instid1(VALU_DEP_1)
	v_and_or_b32 v7, 0x8000, v7, v183
	v_lshlrev_b32_e32 v183, 23, v42
	v_lshl_or_b32 v59, v7, 16, v183
.LBB292_865:                            ;   in Loop: Header=BB292_16 Depth=1
	s_wait_alu 0xfffe
	s_or_b32 exec_lo, exec_lo, s22
.LBB292_866:                            ;   in Loop: Header=BB292_16 Depth=1
	s_wait_alu 0xfffe
	s_or_b32 exec_lo, exec_lo, s21
.LBB292_867:                            ;   in Loop: Header=BB292_16 Depth=1
	s_wait_alu 0xfffe
	s_or_b32 exec_lo, exec_lo, s20
	v_lshrrev_b32_e32 v7, 16, v31
	s_mov_b32 s20, exec_lo
	s_delay_alu instid0(VALU_DEP_1) | instskip(NEXT) | instid1(VALU_DEP_1)
	v_and_b32_e32 v183, 0xff, v7
	v_cmpx_ne_u16_e64 0, v183
	s_cbranch_execz .LBB292_875
; %bb.868:                              ;   in Loop: Header=BB292_16 Depth=1
	v_mov_b32_e32 v62, 0x8000
	s_mov_b32 s21, exec_lo
	v_cmpx_ne_u16_e64 0x80, v183
	s_cbranch_execz .LBB292_874
; %bb.869:                              ;   in Loop: Header=BB292_16 Depth=1
	v_bfe_u32 v43, v31, 16, 7
	v_mov_b32_e32 v62, 0x7c01
	s_mov_b32 s22, exec_lo
	s_delay_alu instid0(VALU_DEP_2)
	v_cmpx_ne_u32_e32 0x7f, v43
	s_cbranch_execz .LBB292_873
; %bb.870:                              ;   in Loop: Header=BB292_16 Depth=1
	v_and_b32_e32 v183, 7, v7
	v_lshrrev_b32_e32 v42, 3, v43
	s_mov_b32 s23, exec_lo
	v_cmpx_gt_u32_e32 8, v43
; %bb.871:                              ;   in Loop: Header=BB292_16 Depth=1
	s_delay_alu instid0(VALU_DEP_3) | instskip(NEXT) | instid1(VALU_DEP_1)
	v_clz_i32_u32_e32 v183, v183
	v_min_u32_e32 v183, 32, v183
	s_delay_alu instid0(VALU_DEP_1) | instskip(NEXT) | instid1(VALU_DEP_1)
	v_subrev_nc_u32_e32 v42, 28, v183
	v_lshlrev_b64_e32 v[43:44], v42, v[7:8]
	v_sub_nc_u32_e32 v42, 29, v183
	s_delay_alu instid0(VALU_DEP_2)
	v_and_b32_e32 v183, 7, v43
; %bb.872:                              ;   in Loop: Header=BB292_16 Depth=1
	s_wait_alu 0xfffe
	s_or_b32 exec_lo, exec_lo, s23
	v_lshlrev_b32_e32 v7, 8, v7
	v_lshl_add_u32 v42, v42, 10, 0x2000
	v_lshlrev_b32_e32 v183, 7, v183
	s_delay_alu instid0(VALU_DEP_3) | instskip(NEXT) | instid1(VALU_DEP_3)
	v_and_b32_e32 v7, 0x8000, v7
	v_and_b32_e32 v42, 0xfc00, v42
	s_delay_alu instid0(VALU_DEP_1)
	v_or3_b32 v62, v7, v42, v183
.LBB292_873:                            ;   in Loop: Header=BB292_16 Depth=1
	s_wait_alu 0xfffe
	s_or_b32 exec_lo, exec_lo, s22
.LBB292_874:                            ;   in Loop: Header=BB292_16 Depth=1
	s_wait_alu 0xfffe
	s_or_b32 exec_lo, exec_lo, s21
.LBB292_875:                            ;   in Loop: Header=BB292_16 Depth=1
	s_wait_alu 0xfffe
	s_or_b32 exec_lo, exec_lo, s20
	v_dual_mov_b32 v63, 0 :: v_dual_mov_b32 v74, 0
	s_mov_b32 s20, exec_lo
	v_cmpx_lt_u32_e32 0xffffff, v31
	s_cbranch_execz .LBB292_883
; %bb.876:                              ;   in Loop: Header=BB292_16 Depth=1
	v_lshrrev_b32_e32 v7, 24, v31
	v_bfrev_b32_e32 v74, 1
	s_mov_b32 s21, exec_lo
	s_delay_alu instid0(VALU_DEP_2)
	v_cmpx_ne_u32_e32 0x80, v7
	s_cbranch_execz .LBB292_882
; %bb.877:                              ;   in Loop: Header=BB292_16 Depth=1
	v_and_b32_e32 v43, 0x7f, v7
	v_mov_b32_e32 v74, 0x7c010000
	s_mov_b32 s22, exec_lo
	s_delay_alu instid0(VALU_DEP_2)
	v_cmpx_ne_u32_e32 0x7f, v43
	s_cbranch_execz .LBB292_881
; %bb.878:                              ;   in Loop: Header=BB292_16 Depth=1
	v_and_b32_e32 v183, 7, v7
	v_lshrrev_b32_e32 v42, 3, v43
	s_mov_b32 s23, exec_lo
	v_cmpx_gt_u32_e32 8, v43
; %bb.879:                              ;   in Loop: Header=BB292_16 Depth=1
	s_delay_alu instid0(VALU_DEP_3) | instskip(NEXT) | instid1(VALU_DEP_1)
	v_clz_i32_u32_e32 v183, v183
	v_min_u32_e32 v183, 32, v183
	s_delay_alu instid0(VALU_DEP_1) | instskip(NEXT) | instid1(VALU_DEP_1)
	v_subrev_nc_u32_e32 v42, 28, v183
	v_lshlrev_b64_e32 v[43:44], v42, v[7:8]
	v_sub_nc_u32_e32 v42, 29, v183
	s_delay_alu instid0(VALU_DEP_2)
	v_and_b32_e32 v183, 7, v43
; %bb.880:                              ;   in Loop: Header=BB292_16 Depth=1
	s_wait_alu 0xfffe
	s_or_b32 exec_lo, exec_lo, s23
	v_lshlrev_b32_e32 v7, 8, v7
	v_lshl_add_u32 v42, v42, 10, 0x2000
	v_lshlrev_b32_e32 v183, 23, v183
	s_delay_alu instid0(VALU_DEP_2) | instskip(NEXT) | instid1(VALU_DEP_1)
	v_and_or_b32 v7, 0x8000, v7, v42
	v_lshl_or_b32 v74, v7, 16, v183
.LBB292_881:                            ;   in Loop: Header=BB292_16 Depth=1
	s_wait_alu 0xfffe
	s_or_b32 exec_lo, exec_lo, s22
.LBB292_882:                            ;   in Loop: Header=BB292_16 Depth=1
	s_wait_alu 0xfffe
	s_or_b32 exec_lo, exec_lo, s21
.LBB292_883:                            ;   in Loop: Header=BB292_16 Depth=1
	s_wait_alu 0xfffe
	s_or_b32 exec_lo, exec_lo, s20
	v_and_b32_e32 v183, 0xff, v32
	v_mov_b32_e32 v7, v32
	s_mov_b32 s20, exec_lo
	s_delay_alu instid0(VALU_DEP_2)
	v_cmpx_ne_u16_e64 0, v183
	s_cbranch_execz .LBB292_891
; %bb.884:                              ;   in Loop: Header=BB292_16 Depth=1
	v_mov_b32_e32 v63, 0x8000
	s_mov_b32 s21, exec_lo
	v_cmpx_ne_u16_e64 0x80, v183
	s_cbranch_execz .LBB292_890
; %bb.885:                              ;   in Loop: Header=BB292_16 Depth=1
	v_and_b32_e32 v43, 0x7f, v32
	v_mov_b32_e32 v63, 0x7c01
	s_mov_b32 s22, exec_lo
	s_delay_alu instid0(VALU_DEP_2)
	v_cmpx_ne_u32_e32 0x7f, v43
	s_cbranch_execz .LBB292_889
; %bb.886:                              ;   in Loop: Header=BB292_16 Depth=1
	v_and_b32_e32 v183, 7, v32
	v_lshrrev_b32_e32 v42, 3, v43
	s_mov_b32 s23, exec_lo
	v_cmpx_gt_u32_e32 8, v43
; %bb.887:                              ;   in Loop: Header=BB292_16 Depth=1
	s_delay_alu instid0(VALU_DEP_3) | instskip(NEXT) | instid1(VALU_DEP_1)
	v_clz_i32_u32_e32 v183, v183
	v_min_u32_e32 v183, 32, v183
	s_delay_alu instid0(VALU_DEP_1) | instskip(NEXT) | instid1(VALU_DEP_1)
	v_subrev_nc_u32_e32 v42, 28, v183
	v_lshlrev_b64_e32 v[43:44], v42, v[7:8]
	v_sub_nc_u32_e32 v42, 29, v183
	s_delay_alu instid0(VALU_DEP_2)
	v_and_b32_e32 v183, 7, v43
; %bb.888:                              ;   in Loop: Header=BB292_16 Depth=1
	s_wait_alu 0xfffe
	s_or_b32 exec_lo, exec_lo, s23
	v_lshlrev_b32_e32 v43, 8, v32
	v_lshl_add_u32 v42, v42, 10, 0x2000
	v_lshlrev_b32_e32 v183, 7, v183
	s_delay_alu instid0(VALU_DEP_3) | instskip(NEXT) | instid1(VALU_DEP_3)
	v_and_b32_e32 v43, 0x8000, v43
	v_and_b32_e32 v42, 0xfc00, v42
	s_delay_alu instid0(VALU_DEP_1)
	v_or3_b32 v63, v43, v42, v183
.LBB292_889:                            ;   in Loop: Header=BB292_16 Depth=1
	s_wait_alu 0xfffe
	s_or_b32 exec_lo, exec_lo, s22
.LBB292_890:                            ;   in Loop: Header=BB292_16 Depth=1
	s_wait_alu 0xfffe
	s_or_b32 exec_lo, exec_lo, s21
.LBB292_891:                            ;   in Loop: Header=BB292_16 Depth=1
	s_wait_alu 0xfffe
	s_or_b32 exec_lo, exec_lo, s20
	v_lshrrev_b16 v7, 8, v7
	v_dual_mov_b32 v95, 0 :: v_dual_mov_b32 v104, 0
	s_mov_b32 s20, exec_lo
	s_delay_alu instid0(VALU_DEP_2)
	v_cmpx_ne_u16_e32 0, v7
	s_cbranch_execz .LBB292_899
; %bb.892:                              ;   in Loop: Header=BB292_16 Depth=1
	v_bfrev_b32_e32 v104, 1
	s_mov_b32 s21, exec_lo
	v_cmpx_ne_u16_e32 0x80, v7
	s_cbranch_execz .LBB292_898
; %bb.893:                              ;   in Loop: Header=BB292_16 Depth=1
	v_and_b32_e32 v183, 0xffff, v7
	v_mov_b32_e32 v104, 0x7c010000
	s_mov_b32 s22, exec_lo
	s_delay_alu instid0(VALU_DEP_2) | instskip(NEXT) | instid1(VALU_DEP_1)
	v_and_b32_e32 v44, 0x7f, v183
	v_cmpx_ne_u32_e32 0x7f, v44
	s_cbranch_execz .LBB292_897
; %bb.894:                              ;   in Loop: Header=BB292_16 Depth=1
	v_and_b32_e32 v42, 7, v183
	v_lshrrev_b32_e32 v43, 3, v44
	s_mov_b32 s23, exec_lo
	v_cmpx_gt_u32_e32 8, v44
; %bb.895:                              ;   in Loop: Header=BB292_16 Depth=1
	s_delay_alu instid0(VALU_DEP_3) | instskip(NEXT) | instid1(VALU_DEP_1)
	v_clz_i32_u32_e32 v42, v42
	v_min_u32_e32 v44, 32, v42
	s_delay_alu instid0(VALU_DEP_1) | instskip(NEXT) | instid1(VALU_DEP_1)
	v_subrev_nc_u32_e32 v42, 28, v44
	v_lshlrev_b64_e32 v[42:43], v42, v[7:8]
	v_sub_nc_u32_e32 v43, 29, v44
	s_delay_alu instid0(VALU_DEP_2)
	v_and_b32_e32 v42, 7, v42
; %bb.896:                              ;   in Loop: Header=BB292_16 Depth=1
	s_wait_alu 0xfffe
	s_or_b32 exec_lo, exec_lo, s23
	v_lshlrev_b32_e32 v7, 8, v183
	v_lshl_add_u32 v183, v43, 10, 0x2000
	s_delay_alu instid0(VALU_DEP_1) | instskip(SKIP_1) | instid1(VALU_DEP_1)
	v_and_or_b32 v7, 0x8000, v7, v183
	v_lshlrev_b32_e32 v183, 23, v42
	v_lshl_or_b32 v104, v7, 16, v183
.LBB292_897:                            ;   in Loop: Header=BB292_16 Depth=1
	s_wait_alu 0xfffe
	s_or_b32 exec_lo, exec_lo, s22
.LBB292_898:                            ;   in Loop: Header=BB292_16 Depth=1
	s_wait_alu 0xfffe
	s_or_b32 exec_lo, exec_lo, s21
.LBB292_899:                            ;   in Loop: Header=BB292_16 Depth=1
	s_wait_alu 0xfffe
	s_or_b32 exec_lo, exec_lo, s20
	v_lshrrev_b32_e32 v7, 16, v32
	s_mov_b32 s20, exec_lo
	s_delay_alu instid0(VALU_DEP_1) | instskip(NEXT) | instid1(VALU_DEP_1)
	v_and_b32_e32 v183, 0xff, v7
	v_cmpx_ne_u16_e64 0, v183
	s_cbranch_execz .LBB292_907
; %bb.900:                              ;   in Loop: Header=BB292_16 Depth=1
	v_mov_b32_e32 v95, 0x8000
	s_mov_b32 s21, exec_lo
	v_cmpx_ne_u16_e64 0x80, v183
	s_cbranch_execz .LBB292_906
; %bb.901:                              ;   in Loop: Header=BB292_16 Depth=1
	v_bfe_u32 v43, v32, 16, 7
	v_mov_b32_e32 v95, 0x7c01
	s_mov_b32 s22, exec_lo
	s_delay_alu instid0(VALU_DEP_2)
	v_cmpx_ne_u32_e32 0x7f, v43
	s_cbranch_execz .LBB292_905
; %bb.902:                              ;   in Loop: Header=BB292_16 Depth=1
	v_and_b32_e32 v183, 7, v7
	v_lshrrev_b32_e32 v42, 3, v43
	s_mov_b32 s23, exec_lo
	v_cmpx_gt_u32_e32 8, v43
; %bb.903:                              ;   in Loop: Header=BB292_16 Depth=1
	s_delay_alu instid0(VALU_DEP_3) | instskip(NEXT) | instid1(VALU_DEP_1)
	v_clz_i32_u32_e32 v183, v183
	v_min_u32_e32 v183, 32, v183
	s_delay_alu instid0(VALU_DEP_1) | instskip(NEXT) | instid1(VALU_DEP_1)
	v_subrev_nc_u32_e32 v42, 28, v183
	v_lshlrev_b64_e32 v[43:44], v42, v[7:8]
	v_sub_nc_u32_e32 v42, 29, v183
	s_delay_alu instid0(VALU_DEP_2)
	v_and_b32_e32 v183, 7, v43
; %bb.904:                              ;   in Loop: Header=BB292_16 Depth=1
	s_wait_alu 0xfffe
	s_or_b32 exec_lo, exec_lo, s23
	v_lshlrev_b32_e32 v7, 8, v7
	v_lshl_add_u32 v42, v42, 10, 0x2000
	v_lshlrev_b32_e32 v183, 7, v183
	s_delay_alu instid0(VALU_DEP_3) | instskip(NEXT) | instid1(VALU_DEP_3)
	v_and_b32_e32 v7, 0x8000, v7
	v_and_b32_e32 v42, 0xfc00, v42
	s_delay_alu instid0(VALU_DEP_1)
	v_or3_b32 v95, v7, v42, v183
.LBB292_905:                            ;   in Loop: Header=BB292_16 Depth=1
	s_wait_alu 0xfffe
	s_or_b32 exec_lo, exec_lo, s22
.LBB292_906:                            ;   in Loop: Header=BB292_16 Depth=1
	s_wait_alu 0xfffe
	s_or_b32 exec_lo, exec_lo, s21
.LBB292_907:                            ;   in Loop: Header=BB292_16 Depth=1
	s_wait_alu 0xfffe
	s_or_b32 exec_lo, exec_lo, s20
	v_mov_b32_e32 v183, 0
	v_mov_b32_e32 v105, 0
	s_mov_b32 s20, exec_lo
	v_cmpx_lt_u64_e64 s[10:11], v[31:32]
	s_cbranch_execz .LBB292_915
; %bb.908:                              ;   in Loop: Header=BB292_16 Depth=1
	v_lshrrev_b32_e32 v7, 24, v32
	v_bfrev_b32_e32 v105, 1
	s_mov_b32 s21, exec_lo
	s_delay_alu instid0(VALU_DEP_2)
	v_cmpx_ne_u32_e32 0x80, v7
	s_cbranch_execz .LBB292_914
; %bb.909:                              ;   in Loop: Header=BB292_16 Depth=1
	v_and_b32_e32 v42, 0x7f, v7
	v_mov_b32_e32 v105, 0x7c010000
	s_mov_b32 s22, exec_lo
	s_delay_alu instid0(VALU_DEP_2)
	v_cmpx_ne_u32_e32 0x7f, v42
	s_cbranch_execz .LBB292_913
; %bb.910:                              ;   in Loop: Header=BB292_16 Depth=1
	v_and_b32_e32 v31, 7, v7
	v_lshrrev_b32_e32 v32, 3, v42
	s_mov_b32 s23, exec_lo
	v_cmpx_gt_u32_e32 8, v42
; %bb.911:                              ;   in Loop: Header=BB292_16 Depth=1
	s_delay_alu instid0(VALU_DEP_3) | instskip(NEXT) | instid1(VALU_DEP_1)
	v_clz_i32_u32_e32 v31, v31
	v_min_u32_e32 v42, 32, v31
	s_delay_alu instid0(VALU_DEP_1) | instskip(NEXT) | instid1(VALU_DEP_1)
	v_subrev_nc_u32_e32 v31, 28, v42
	v_lshlrev_b64_e32 v[31:32], v31, v[7:8]
	v_sub_nc_u32_e32 v32, 29, v42
	s_delay_alu instid0(VALU_DEP_2)
	v_and_b32_e32 v31, 7, v31
; %bb.912:                              ;   in Loop: Header=BB292_16 Depth=1
	s_wait_alu 0xfffe
	s_or_b32 exec_lo, exec_lo, s23
	v_lshlrev_b32_e32 v7, 8, v7
	v_lshl_add_u32 v32, v32, 10, 0x2000
	v_lshlrev_b32_e32 v31, 23, v31
	s_delay_alu instid0(VALU_DEP_2) | instskip(NEXT) | instid1(VALU_DEP_1)
	v_and_or_b32 v7, 0x8000, v7, v32
	v_lshl_or_b32 v105, v7, 16, v31
.LBB292_913:                            ;   in Loop: Header=BB292_16 Depth=1
	s_wait_alu 0xfffe
	s_or_b32 exec_lo, exec_lo, s22
.LBB292_914:                            ;   in Loop: Header=BB292_16 Depth=1
	s_wait_alu 0xfffe
	s_or_b32 exec_lo, exec_lo, s21
.LBB292_915:                            ;   in Loop: Header=BB292_16 Depth=1
	s_wait_alu 0xfffe
	s_or_b32 exec_lo, exec_lo, s20
	flat_load_b64 v[31:32], v[28:29] offset:3584
	s_mov_b32 s20, exec_lo
	s_wait_loadcnt_dscnt 0x0
	v_and_b32_e32 v7, 0xff, v31
	s_delay_alu instid0(VALU_DEP_1)
	v_cmpx_ne_u16_e32 0, v7
	s_cbranch_execz .LBB292_923
; %bb.916:                              ;   in Loop: Header=BB292_16 Depth=1
	v_mov_b32_e32 v183, 0x8000
	s_mov_b32 s21, exec_lo
	v_cmpx_ne_u16_e32 0x80, v7
	s_cbranch_execz .LBB292_922
; %bb.917:                              ;   in Loop: Header=BB292_16 Depth=1
	v_and_b32_e32 v42, 0x7f, v31
	v_mov_b32_e32 v183, 0x7c01
	s_mov_b32 s22, exec_lo
	s_delay_alu instid0(VALU_DEP_2)
	v_cmpx_ne_u32_e32 0x7f, v42
	s_cbranch_execz .LBB292_921
; %bb.918:                              ;   in Loop: Header=BB292_16 Depth=1
	v_and_b32_e32 v7, 7, v31
	v_lshrrev_b32_e32 v183, 3, v42
	s_mov_b32 s23, exec_lo
	v_cmpx_gt_u32_e32 8, v42
; %bb.919:                              ;   in Loop: Header=BB292_16 Depth=1
	s_delay_alu instid0(VALU_DEP_3) | instskip(NEXT) | instid1(VALU_DEP_1)
	v_clz_i32_u32_e32 v7, v7
	v_min_u32_e32 v7, 32, v7
	s_delay_alu instid0(VALU_DEP_1) | instskip(NEXT) | instid1(VALU_DEP_1)
	v_subrev_nc_u32_e32 v183, 28, v7
	v_lshlrev_b64_e32 v[42:43], v183, v[31:32]
	v_sub_nc_u32_e32 v183, 29, v7
	s_delay_alu instid0(VALU_DEP_2)
	v_and_b32_e32 v7, 7, v42
; %bb.920:                              ;   in Loop: Header=BB292_16 Depth=1
	s_wait_alu 0xfffe
	s_or_b32 exec_lo, exec_lo, s23
	v_lshlrev_b32_e32 v42, 8, v31
	v_lshl_add_u32 v183, v183, 10, 0x2000
	v_lshlrev_b32_e32 v7, 7, v7
	s_delay_alu instid0(VALU_DEP_3) | instskip(NEXT) | instid1(VALU_DEP_3)
	v_and_b32_e32 v42, 0x8000, v42
	v_and_b32_e32 v183, 0xfc00, v183
	s_delay_alu instid0(VALU_DEP_1)
	v_or3_b32 v183, v42, v183, v7
.LBB292_921:                            ;   in Loop: Header=BB292_16 Depth=1
	s_wait_alu 0xfffe
	s_or_b32 exec_lo, exec_lo, s22
.LBB292_922:                            ;   in Loop: Header=BB292_16 Depth=1
	s_wait_alu 0xfffe
	s_or_b32 exec_lo, exec_lo, s21
.LBB292_923:                            ;   in Loop: Header=BB292_16 Depth=1
	s_wait_alu 0xfffe
	s_or_b32 exec_lo, exec_lo, s20
	v_lshrrev_b16 v7, 8, v31
	v_dual_mov_b32 v43, 0 :: v_dual_mov_b32 v42, 0
	s_mov_b32 s20, exec_lo
	s_delay_alu instid0(VALU_DEP_2)
	v_cmpx_ne_u16_e32 0, v7
	s_cbranch_execz .LBB292_931
; %bb.924:                              ;   in Loop: Header=BB292_16 Depth=1
	v_bfrev_b32_e32 v42, 1
	s_mov_b32 s21, exec_lo
	v_cmpx_ne_u16_e32 0x80, v7
	s_cbranch_execz .LBB292_930
; %bb.925:                              ;   in Loop: Header=BB292_16 Depth=1
	v_and_b32_e32 v44, 0xffff, v7
	v_mov_b32_e32 v42, 0x7c010000
	s_mov_b32 s22, exec_lo
	s_delay_alu instid0(VALU_DEP_2) | instskip(NEXT) | instid1(VALU_DEP_1)
	v_and_b32_e32 v56, 0x7f, v44
	v_cmpx_ne_u32_e32 0x7f, v56
	s_cbranch_execz .LBB292_929
; %bb.926:                              ;   in Loop: Header=BB292_16 Depth=1
	v_and_b32_e32 v42, 7, v44
	v_lshrrev_b32_e32 v45, 3, v56
	s_mov_b32 s23, exec_lo
	v_cmpx_gt_u32_e32 8, v56
; %bb.927:                              ;   in Loop: Header=BB292_16 Depth=1
	s_delay_alu instid0(VALU_DEP_3) | instskip(NEXT) | instid1(VALU_DEP_1)
	v_clz_i32_u32_e32 v42, v42
	v_min_u32_e32 v42, 32, v42
	s_delay_alu instid0(VALU_DEP_1) | instskip(NEXT) | instid1(VALU_DEP_1)
	v_subrev_nc_u32_e32 v45, 28, v42
	v_lshlrev_b64_e32 v[56:57], v45, v[7:8]
	v_sub_nc_u32_e32 v45, 29, v42
	s_delay_alu instid0(VALU_DEP_2)
	v_and_b32_e32 v42, 7, v56
; %bb.928:                              ;   in Loop: Header=BB292_16 Depth=1
	s_wait_alu 0xfffe
	s_or_b32 exec_lo, exec_lo, s23
	v_lshlrev_b32_e32 v7, 8, v44
	v_lshl_add_u32 v44, v45, 10, 0x2000
	v_lshlrev_b32_e32 v42, 23, v42
	s_delay_alu instid0(VALU_DEP_2) | instskip(NEXT) | instid1(VALU_DEP_1)
	v_and_or_b32 v7, 0x8000, v7, v44
	v_lshl_or_b32 v42, v7, 16, v42
.LBB292_929:                            ;   in Loop: Header=BB292_16 Depth=1
	s_wait_alu 0xfffe
	s_or_b32 exec_lo, exec_lo, s22
.LBB292_930:                            ;   in Loop: Header=BB292_16 Depth=1
	s_wait_alu 0xfffe
	s_or_b32 exec_lo, exec_lo, s21
.LBB292_931:                            ;   in Loop: Header=BB292_16 Depth=1
	s_wait_alu 0xfffe
	s_or_b32 exec_lo, exec_lo, s20
	v_lshrrev_b32_e32 v7, 16, v31
	s_mov_b32 s20, exec_lo
	s_delay_alu instid0(VALU_DEP_1) | instskip(NEXT) | instid1(VALU_DEP_1)
	v_and_b32_e32 v44, 0xff, v7
	v_cmpx_ne_u16_e32 0, v44
	s_cbranch_execz .LBB292_939
; %bb.932:                              ;   in Loop: Header=BB292_16 Depth=1
	v_mov_b32_e32 v43, 0x8000
	s_mov_b32 s21, exec_lo
	v_cmpx_ne_u16_e32 0x80, v44
	s_cbranch_execz .LBB292_938
; %bb.933:                              ;   in Loop: Header=BB292_16 Depth=1
	v_bfe_u32 v45, v31, 16, 7
	v_mov_b32_e32 v43, 0x7c01
	s_mov_b32 s22, exec_lo
	s_delay_alu instid0(VALU_DEP_2)
	v_cmpx_ne_u32_e32 0x7f, v45
	s_cbranch_execz .LBB292_937
; %bb.934:                              ;   in Loop: Header=BB292_16 Depth=1
	v_and_b32_e32 v43, 7, v7
	v_lshrrev_b32_e32 v44, 3, v45
	s_mov_b32 s23, exec_lo
	v_cmpx_gt_u32_e32 8, v45
; %bb.935:                              ;   in Loop: Header=BB292_16 Depth=1
	s_delay_alu instid0(VALU_DEP_3) | instskip(NEXT) | instid1(VALU_DEP_1)
	v_clz_i32_u32_e32 v43, v43
	v_min_u32_e32 v45, 32, v43
	s_delay_alu instid0(VALU_DEP_1) | instskip(NEXT) | instid1(VALU_DEP_1)
	v_subrev_nc_u32_e32 v43, 28, v45
	v_lshlrev_b64_e32 v[43:44], v43, v[7:8]
	v_sub_nc_u32_e32 v44, 29, v45
	s_delay_alu instid0(VALU_DEP_2)
	v_and_b32_e32 v43, 7, v43
; %bb.936:                              ;   in Loop: Header=BB292_16 Depth=1
	s_wait_alu 0xfffe
	s_or_b32 exec_lo, exec_lo, s23
	v_lshlrev_b32_e32 v7, 8, v7
	v_lshl_add_u32 v44, v44, 10, 0x2000
	v_lshlrev_b32_e32 v43, 7, v43
	s_delay_alu instid0(VALU_DEP_3) | instskip(NEXT) | instid1(VALU_DEP_3)
	v_and_b32_e32 v7, 0x8000, v7
	v_and_b32_e32 v44, 0xfc00, v44
	s_delay_alu instid0(VALU_DEP_1)
	v_or3_b32 v43, v7, v44, v43
.LBB292_937:                            ;   in Loop: Header=BB292_16 Depth=1
	s_wait_alu 0xfffe
	s_or_b32 exec_lo, exec_lo, s22
.LBB292_938:                            ;   in Loop: Header=BB292_16 Depth=1
	s_wait_alu 0xfffe
	s_or_b32 exec_lo, exec_lo, s21
.LBB292_939:                            ;   in Loop: Header=BB292_16 Depth=1
	s_wait_alu 0xfffe
	s_or_b32 exec_lo, exec_lo, s20
	v_dual_mov_b32 v75, 0 :: v_dual_mov_b32 v44, 0
	s_mov_b32 s20, exec_lo
	v_cmpx_lt_u32_e32 0xffffff, v31
	s_cbranch_execz .LBB292_947
; %bb.940:                              ;   in Loop: Header=BB292_16 Depth=1
	v_lshrrev_b32_e32 v7, 24, v31
	v_bfrev_b32_e32 v44, 1
	s_mov_b32 s21, exec_lo
	s_delay_alu instid0(VALU_DEP_2)
	v_cmpx_ne_u32_e32 0x80, v7
	s_cbranch_execz .LBB292_946
; %bb.941:                              ;   in Loop: Header=BB292_16 Depth=1
	v_and_b32_e32 v56, 0x7f, v7
	v_mov_b32_e32 v44, 0x7c010000
	s_mov_b32 s22, exec_lo
	s_delay_alu instid0(VALU_DEP_2)
	v_cmpx_ne_u32_e32 0x7f, v56
	s_cbranch_execz .LBB292_945
; %bb.942:                              ;   in Loop: Header=BB292_16 Depth=1
	v_and_b32_e32 v44, 7, v7
	v_lshrrev_b32_e32 v45, 3, v56
	s_mov_b32 s23, exec_lo
	v_cmpx_gt_u32_e32 8, v56
; %bb.943:                              ;   in Loop: Header=BB292_16 Depth=1
	s_delay_alu instid0(VALU_DEP_3) | instskip(NEXT) | instid1(VALU_DEP_1)
	v_clz_i32_u32_e32 v44, v44
	v_min_u32_e32 v56, 32, v44
	s_delay_alu instid0(VALU_DEP_1) | instskip(NEXT) | instid1(VALU_DEP_1)
	v_subrev_nc_u32_e32 v44, 28, v56
	v_lshlrev_b64_e32 v[44:45], v44, v[7:8]
	v_sub_nc_u32_e32 v45, 29, v56
	s_delay_alu instid0(VALU_DEP_2)
	v_and_b32_e32 v44, 7, v44
; %bb.944:                              ;   in Loop: Header=BB292_16 Depth=1
	s_wait_alu 0xfffe
	s_or_b32 exec_lo, exec_lo, s23
	v_lshlrev_b32_e32 v7, 8, v7
	v_lshl_add_u32 v45, v45, 10, 0x2000
	v_lshlrev_b32_e32 v44, 23, v44
	s_delay_alu instid0(VALU_DEP_2) | instskip(NEXT) | instid1(VALU_DEP_1)
	v_and_or_b32 v7, 0x8000, v7, v45
	v_lshl_or_b32 v44, v7, 16, v44
.LBB292_945:                            ;   in Loop: Header=BB292_16 Depth=1
	s_wait_alu 0xfffe
	s_or_b32 exec_lo, exec_lo, s22
.LBB292_946:                            ;   in Loop: Header=BB292_16 Depth=1
	s_wait_alu 0xfffe
	s_or_b32 exec_lo, exec_lo, s21
.LBB292_947:                            ;   in Loop: Header=BB292_16 Depth=1
	s_wait_alu 0xfffe
	s_or_b32 exec_lo, exec_lo, s20
	v_and_b32_e32 v45, 0xff, v32
	v_mov_b32_e32 v7, v32
	s_mov_b32 s20, exec_lo
	s_delay_alu instid0(VALU_DEP_2)
	v_cmpx_ne_u16_e32 0, v45
	s_cbranch_execz .LBB292_955
; %bb.948:                              ;   in Loop: Header=BB292_16 Depth=1
	v_mov_b32_e32 v75, 0x8000
	s_mov_b32 s21, exec_lo
	v_cmpx_ne_u16_e32 0x80, v45
	s_cbranch_execz .LBB292_954
; %bb.949:                              ;   in Loop: Header=BB292_16 Depth=1
	v_and_b32_e32 v57, 0x7f, v32
	v_mov_b32_e32 v75, 0x7c01
	s_mov_b32 s22, exec_lo
	s_delay_alu instid0(VALU_DEP_2)
	v_cmpx_ne_u32_e32 0x7f, v57
	s_cbranch_execz .LBB292_953
; %bb.950:                              ;   in Loop: Header=BB292_16 Depth=1
	v_and_b32_e32 v45, 7, v32
	v_lshrrev_b32_e32 v56, 3, v57
	s_mov_b32 s23, exec_lo
	v_cmpx_gt_u32_e32 8, v57
; %bb.951:                              ;   in Loop: Header=BB292_16 Depth=1
	s_delay_alu instid0(VALU_DEP_3) | instskip(NEXT) | instid1(VALU_DEP_1)
	v_clz_i32_u32_e32 v45, v45
	v_min_u32_e32 v45, 32, v45
	s_delay_alu instid0(VALU_DEP_1) | instskip(NEXT) | instid1(VALU_DEP_1)
	v_subrev_nc_u32_e32 v56, 28, v45
	v_lshlrev_b64_e32 v[75:76], v56, v[7:8]
	v_sub_nc_u32_e32 v56, 29, v45
	s_delay_alu instid0(VALU_DEP_2)
	v_and_b32_e32 v45, 7, v75
; %bb.952:                              ;   in Loop: Header=BB292_16 Depth=1
	s_wait_alu 0xfffe
	s_or_b32 exec_lo, exec_lo, s23
	v_lshlrev_b32_e32 v57, 8, v32
	v_lshl_add_u32 v56, v56, 10, 0x2000
	v_lshlrev_b32_e32 v45, 7, v45
	s_delay_alu instid0(VALU_DEP_3) | instskip(NEXT) | instid1(VALU_DEP_3)
	v_and_b32_e32 v57, 0x8000, v57
	v_and_b32_e32 v56, 0xfc00, v56
	s_delay_alu instid0(VALU_DEP_1)
	v_or3_b32 v75, v57, v56, v45
.LBB292_953:                            ;   in Loop: Header=BB292_16 Depth=1
	s_wait_alu 0xfffe
	s_or_b32 exec_lo, exec_lo, s22
.LBB292_954:                            ;   in Loop: Header=BB292_16 Depth=1
	s_wait_alu 0xfffe
	s_or_b32 exec_lo, exec_lo, s21
.LBB292_955:                            ;   in Loop: Header=BB292_16 Depth=1
	s_wait_alu 0xfffe
	s_or_b32 exec_lo, exec_lo, s20
	v_lshrrev_b16 v7, 8, v7
	v_dual_mov_b32 v76, 0 :: v_dual_mov_b32 v77, 0
	s_mov_b32 s20, exec_lo
	s_delay_alu instid0(VALU_DEP_2)
	v_cmpx_ne_u16_e32 0, v7
	s_cbranch_execz .LBB292_963
; %bb.956:                              ;   in Loop: Header=BB292_16 Depth=1
	v_bfrev_b32_e32 v77, 1
	s_mov_b32 s21, exec_lo
	v_cmpx_ne_u16_e32 0x80, v7
	s_cbranch_execz .LBB292_962
; %bb.957:                              ;   in Loop: Header=BB292_16 Depth=1
	v_and_b32_e32 v45, 0xffff, v7
	v_mov_b32_e32 v77, 0x7c010000
	s_mov_b32 s22, exec_lo
	s_delay_alu instid0(VALU_DEP_2) | instskip(NEXT) | instid1(VALU_DEP_1)
	v_and_b32_e32 v170, 0x7f, v45
	v_cmpx_ne_u32_e32 0x7f, v170
	s_cbranch_execz .LBB292_961
; %bb.958:                              ;   in Loop: Header=BB292_16 Depth=1
	v_and_b32_e32 v56, 7, v45
	v_lshrrev_b32_e32 v57, 3, v170
	s_mov_b32 s23, exec_lo
	v_cmpx_gt_u32_e32 8, v170
; %bb.959:                              ;   in Loop: Header=BB292_16 Depth=1
	s_delay_alu instid0(VALU_DEP_3) | instskip(NEXT) | instid1(VALU_DEP_1)
	v_clz_i32_u32_e32 v56, v56
	v_min_u32_e32 v77, 32, v56
	s_delay_alu instid0(VALU_DEP_1) | instskip(NEXT) | instid1(VALU_DEP_1)
	v_subrev_nc_u32_e32 v56, 28, v77
	v_lshlrev_b64_e32 v[56:57], v56, v[7:8]
	v_sub_nc_u32_e32 v57, 29, v77
	s_delay_alu instid0(VALU_DEP_2)
	v_and_b32_e32 v56, 7, v56
; %bb.960:                              ;   in Loop: Header=BB292_16 Depth=1
	s_wait_alu 0xfffe
	s_or_b32 exec_lo, exec_lo, s23
	v_lshlrev_b32_e32 v7, 8, v45
	v_lshl_add_u32 v45, v57, 10, 0x2000
	s_delay_alu instid0(VALU_DEP_1) | instskip(SKIP_1) | instid1(VALU_DEP_1)
	v_and_or_b32 v7, 0x8000, v7, v45
	v_lshlrev_b32_e32 v45, 23, v56
	v_lshl_or_b32 v77, v7, 16, v45
.LBB292_961:                            ;   in Loop: Header=BB292_16 Depth=1
	s_wait_alu 0xfffe
	s_or_b32 exec_lo, exec_lo, s22
.LBB292_962:                            ;   in Loop: Header=BB292_16 Depth=1
	s_wait_alu 0xfffe
	s_or_b32 exec_lo, exec_lo, s21
.LBB292_963:                            ;   in Loop: Header=BB292_16 Depth=1
	s_wait_alu 0xfffe
	s_or_b32 exec_lo, exec_lo, s20
	v_lshrrev_b32_e32 v7, 16, v32
	s_mov_b32 s20, exec_lo
	s_delay_alu instid0(VALU_DEP_1) | instskip(NEXT) | instid1(VALU_DEP_1)
	v_and_b32_e32 v45, 0xff, v7
	v_cmpx_ne_u16_e32 0, v45
	s_cbranch_execz .LBB292_971
; %bb.964:                              ;   in Loop: Header=BB292_16 Depth=1
	v_mov_b32_e32 v76, 0x8000
	s_mov_b32 s21, exec_lo
	v_cmpx_ne_u16_e32 0x80, v45
	s_cbranch_execz .LBB292_970
; %bb.965:                              ;   in Loop: Header=BB292_16 Depth=1
	v_bfe_u32 v57, v32, 16, 7
	v_mov_b32_e32 v76, 0x7c01
	s_mov_b32 s22, exec_lo
	s_delay_alu instid0(VALU_DEP_2)
	v_cmpx_ne_u32_e32 0x7f, v57
	s_cbranch_execz .LBB292_969
; %bb.966:                              ;   in Loop: Header=BB292_16 Depth=1
	v_and_b32_e32 v45, 7, v7
	v_lshrrev_b32_e32 v56, 3, v57
	s_mov_b32 s23, exec_lo
	v_cmpx_gt_u32_e32 8, v57
; %bb.967:                              ;   in Loop: Header=BB292_16 Depth=1
	s_delay_alu instid0(VALU_DEP_3) | instskip(NEXT) | instid1(VALU_DEP_1)
	v_clz_i32_u32_e32 v45, v45
	v_min_u32_e32 v45, 32, v45
	s_delay_alu instid0(VALU_DEP_1) | instskip(NEXT) | instid1(VALU_DEP_1)
	v_subrev_nc_u32_e32 v56, 28, v45
	v_lshlrev_b64_e32 v[170:171], v56, v[7:8]
	v_sub_nc_u32_e32 v56, 29, v45
	s_delay_alu instid0(VALU_DEP_2)
	v_and_b32_e32 v45, 7, v170
; %bb.968:                              ;   in Loop: Header=BB292_16 Depth=1
	s_wait_alu 0xfffe
	s_or_b32 exec_lo, exec_lo, s23
	v_lshlrev_b32_e32 v7, 8, v7
	v_lshl_add_u32 v56, v56, 10, 0x2000
	v_lshlrev_b32_e32 v45, 7, v45
	s_delay_alu instid0(VALU_DEP_3) | instskip(NEXT) | instid1(VALU_DEP_3)
	v_and_b32_e32 v7, 0x8000, v7
	v_and_b32_e32 v56, 0xfc00, v56
	s_delay_alu instid0(VALU_DEP_1)
	v_or3_b32 v76, v7, v56, v45
.LBB292_969:                            ;   in Loop: Header=BB292_16 Depth=1
	s_wait_alu 0xfffe
	s_or_b32 exec_lo, exec_lo, s22
.LBB292_970:                            ;   in Loop: Header=BB292_16 Depth=1
	s_wait_alu 0xfffe
	s_or_b32 exec_lo, exec_lo, s21
.LBB292_971:                            ;   in Loop: Header=BB292_16 Depth=1
	s_wait_alu 0xfffe
	s_or_b32 exec_lo, exec_lo, s20
	v_cmp_lt_u64_e64 s1, s[10:11], v[31:32]
	v_dual_mov_b32 v31, 0 :: v_dual_mov_b32 v170, 0
	s_and_saveexec_b32 s20, s1
	s_cbranch_execz .LBB292_979
; %bb.972:                              ;   in Loop: Header=BB292_16 Depth=1
	v_lshrrev_b32_e32 v7, 24, v32
	v_bfrev_b32_e32 v170, 1
	s_mov_b32 s21, exec_lo
	s_delay_alu instid0(VALU_DEP_2)
	v_cmpx_ne_u32_e32 0x80, v7
	s_cbranch_execz .LBB292_978
; %bb.973:                              ;   in Loop: Header=BB292_16 Depth=1
	v_and_b32_e32 v56, 0x7f, v7
	v_mov_b32_e32 v170, 0x7c010000
	s_mov_b32 s22, exec_lo
	s_delay_alu instid0(VALU_DEP_2)
	v_cmpx_ne_u32_e32 0x7f, v56
	s_cbranch_execz .LBB292_977
; %bb.974:                              ;   in Loop: Header=BB292_16 Depth=1
	v_and_b32_e32 v32, 7, v7
	v_lshrrev_b32_e32 v45, 3, v56
	s_mov_b32 s23, exec_lo
	v_cmpx_gt_u32_e32 8, v56
; %bb.975:                              ;   in Loop: Header=BB292_16 Depth=1
	s_delay_alu instid0(VALU_DEP_3) | instskip(NEXT) | instid1(VALU_DEP_1)
	v_clz_i32_u32_e32 v32, v32
	v_min_u32_e32 v32, 32, v32
	s_delay_alu instid0(VALU_DEP_1) | instskip(NEXT) | instid1(VALU_DEP_1)
	v_subrev_nc_u32_e32 v45, 28, v32
	v_lshlrev_b64_e32 v[56:57], v45, v[7:8]
	v_sub_nc_u32_e32 v45, 29, v32
	s_delay_alu instid0(VALU_DEP_2)
	v_and_b32_e32 v32, 7, v56
; %bb.976:                              ;   in Loop: Header=BB292_16 Depth=1
	s_wait_alu 0xfffe
	s_or_b32 exec_lo, exec_lo, s23
	v_lshlrev_b32_e32 v7, 8, v7
	v_lshl_add_u32 v45, v45, 10, 0x2000
	v_lshlrev_b32_e32 v32, 23, v32
	s_delay_alu instid0(VALU_DEP_2) | instskip(NEXT) | instid1(VALU_DEP_1)
	v_and_or_b32 v7, 0x8000, v7, v45
	v_lshl_or_b32 v170, v7, 16, v32
.LBB292_977:                            ;   in Loop: Header=BB292_16 Depth=1
	s_wait_alu 0xfffe
	s_or_b32 exec_lo, exec_lo, s22
.LBB292_978:                            ;   in Loop: Header=BB292_16 Depth=1
	s_wait_alu 0xfffe
	s_or_b32 exec_lo, exec_lo, s21
.LBB292_979:                            ;   in Loop: Header=BB292_16 Depth=1
	s_wait_alu 0xfffe
	s_or_b32 exec_lo, exec_lo, s20
	flat_load_b64 v[28:29], v[28:29] offset:3592
	s_mov_b32 s20, exec_lo
	s_wait_loadcnt_dscnt 0x0
	v_and_b32_e32 v7, 0xff, v28
	s_delay_alu instid0(VALU_DEP_1)
	v_cmpx_ne_u16_e32 0, v7
	s_cbranch_execz .LBB292_987
; %bb.980:                              ;   in Loop: Header=BB292_16 Depth=1
	v_mov_b32_e32 v31, 0x8000
	s_mov_b32 s21, exec_lo
	v_cmpx_ne_u16_e32 0x80, v7
	s_cbranch_execz .LBB292_986
; %bb.981:                              ;   in Loop: Header=BB292_16 Depth=1
	v_and_b32_e32 v32, 0x7f, v28
	v_mov_b32_e32 v31, 0x7c01
	s_mov_b32 s22, exec_lo
	s_delay_alu instid0(VALU_DEP_2)
	v_cmpx_ne_u32_e32 0x7f, v32
	s_cbranch_execz .LBB292_985
; %bb.982:                              ;   in Loop: Header=BB292_16 Depth=1
	v_and_b32_e32 v7, 7, v28
	v_lshrrev_b32_e32 v31, 3, v32
	s_mov_b32 s23, exec_lo
	v_cmpx_gt_u32_e32 8, v32
; %bb.983:                              ;   in Loop: Header=BB292_16 Depth=1
	s_delay_alu instid0(VALU_DEP_3) | instskip(NEXT) | instid1(VALU_DEP_1)
	v_clz_i32_u32_e32 v7, v7
	v_min_u32_e32 v7, 32, v7
	s_delay_alu instid0(VALU_DEP_1) | instskip(NEXT) | instid1(VALU_DEP_1)
	v_subrev_nc_u32_e32 v31, 28, v7
	v_lshlrev_b64_e32 v[56:57], v31, v[28:29]
	v_sub_nc_u32_e32 v31, 29, v7
	s_delay_alu instid0(VALU_DEP_2)
	v_and_b32_e32 v7, 7, v56
; %bb.984:                              ;   in Loop: Header=BB292_16 Depth=1
	s_wait_alu 0xfffe
	s_or_b32 exec_lo, exec_lo, s23
	v_lshlrev_b32_e32 v32, 8, v28
	v_lshl_add_u32 v31, v31, 10, 0x2000
	v_lshlrev_b32_e32 v7, 7, v7
	s_delay_alu instid0(VALU_DEP_3) | instskip(NEXT) | instid1(VALU_DEP_3)
	v_and_b32_e32 v32, 0x8000, v32
	v_and_b32_e32 v31, 0xfc00, v31
	s_delay_alu instid0(VALU_DEP_1)
	v_or3_b32 v31, v32, v31, v7
.LBB292_985:                            ;   in Loop: Header=BB292_16 Depth=1
	s_wait_alu 0xfffe
	s_or_b32 exec_lo, exec_lo, s22
.LBB292_986:                            ;   in Loop: Header=BB292_16 Depth=1
	s_wait_alu 0xfffe
	s_or_b32 exec_lo, exec_lo, s21
.LBB292_987:                            ;   in Loop: Header=BB292_16 Depth=1
	s_wait_alu 0xfffe
	s_or_b32 exec_lo, exec_lo, s20
	v_lshrrev_b16 v7, 8, v28
	v_dual_mov_b32 v175, 0 :: v_dual_mov_b32 v174, 0
	s_mov_b32 s20, exec_lo
	s_delay_alu instid0(VALU_DEP_2)
	v_cmpx_ne_u16_e32 0, v7
	s_cbranch_execz .LBB292_995
; %bb.988:                              ;   in Loop: Header=BB292_16 Depth=1
	v_bfrev_b32_e32 v174, 1
	s_mov_b32 s21, exec_lo
	v_cmpx_ne_u16_e32 0x80, v7
	s_cbranch_execz .LBB292_994
; %bb.989:                              ;   in Loop: Header=BB292_16 Depth=1
	v_and_b32_e32 v32, 0xffff, v7
	v_mov_b32_e32 v174, 0x7c010000
	s_mov_b32 s22, exec_lo
	s_delay_alu instid0(VALU_DEP_2) | instskip(NEXT) | instid1(VALU_DEP_1)
	v_and_b32_e32 v57, 0x7f, v32
	v_cmpx_ne_u32_e32 0x7f, v57
	s_cbranch_execz .LBB292_993
; %bb.990:                              ;   in Loop: Header=BB292_16 Depth=1
	v_and_b32_e32 v45, 7, v32
	v_lshrrev_b32_e32 v56, 3, v57
	s_mov_b32 s23, exec_lo
	v_cmpx_gt_u32_e32 8, v57
; %bb.991:                              ;   in Loop: Header=BB292_16 Depth=1
	s_delay_alu instid0(VALU_DEP_3) | instskip(NEXT) | instid1(VALU_DEP_1)
	v_clz_i32_u32_e32 v45, v45
	v_min_u32_e32 v45, 32, v45
	s_delay_alu instid0(VALU_DEP_1) | instskip(NEXT) | instid1(VALU_DEP_1)
	v_subrev_nc_u32_e32 v56, 28, v45
	v_lshlrev_b64_e32 v[171:172], v56, v[7:8]
	v_sub_nc_u32_e32 v56, 29, v45
	s_delay_alu instid0(VALU_DEP_2)
	v_and_b32_e32 v45, 7, v171
; %bb.992:                              ;   in Loop: Header=BB292_16 Depth=1
	s_wait_alu 0xfffe
	s_or_b32 exec_lo, exec_lo, s23
	v_lshlrev_b32_e32 v7, 8, v32
	v_lshl_add_u32 v32, v56, 10, 0x2000
	s_delay_alu instid0(VALU_DEP_1) | instskip(SKIP_1) | instid1(VALU_DEP_1)
	v_and_or_b32 v7, 0x8000, v7, v32
	v_lshlrev_b32_e32 v32, 23, v45
	v_lshl_or_b32 v174, v7, 16, v32
.LBB292_993:                            ;   in Loop: Header=BB292_16 Depth=1
	s_wait_alu 0xfffe
	s_or_b32 exec_lo, exec_lo, s22
.LBB292_994:                            ;   in Loop: Header=BB292_16 Depth=1
	s_wait_alu 0xfffe
	s_or_b32 exec_lo, exec_lo, s21
.LBB292_995:                            ;   in Loop: Header=BB292_16 Depth=1
	s_wait_alu 0xfffe
	s_or_b32 exec_lo, exec_lo, s20
	v_lshrrev_b32_e32 v7, 16, v28
	s_mov_b32 s20, exec_lo
	s_delay_alu instid0(VALU_DEP_1) | instskip(NEXT) | instid1(VALU_DEP_1)
	v_and_b32_e32 v32, 0xff, v7
	v_cmpx_ne_u16_e32 0, v32
	s_cbranch_execz .LBB292_1003
; %bb.996:                              ;   in Loop: Header=BB292_16 Depth=1
	v_mov_b32_e32 v175, 0x8000
	s_mov_b32 s21, exec_lo
	v_cmpx_ne_u16_e32 0x80, v32
	s_cbranch_execz .LBB292_1002
; %bb.997:                              ;   in Loop: Header=BB292_16 Depth=1
	v_bfe_u32 v56, v28, 16, 7
	v_mov_b32_e32 v175, 0x7c01
	s_mov_b32 s22, exec_lo
	s_delay_alu instid0(VALU_DEP_2)
	v_cmpx_ne_u32_e32 0x7f, v56
	s_cbranch_execz .LBB292_1001
; %bb.998:                              ;   in Loop: Header=BB292_16 Depth=1
	v_and_b32_e32 v32, 7, v7
	v_lshrrev_b32_e32 v45, 3, v56
	s_mov_b32 s23, exec_lo
	v_cmpx_gt_u32_e32 8, v56
; %bb.999:                              ;   in Loop: Header=BB292_16 Depth=1
	s_delay_alu instid0(VALU_DEP_3) | instskip(NEXT) | instid1(VALU_DEP_1)
	v_clz_i32_u32_e32 v32, v32
	v_min_u32_e32 v32, 32, v32
	s_delay_alu instid0(VALU_DEP_1) | instskip(NEXT) | instid1(VALU_DEP_1)
	v_subrev_nc_u32_e32 v45, 28, v32
	v_lshlrev_b64_e32 v[56:57], v45, v[7:8]
	v_sub_nc_u32_e32 v45, 29, v32
	s_delay_alu instid0(VALU_DEP_2)
	v_and_b32_e32 v32, 7, v56
; %bb.1000:                             ;   in Loop: Header=BB292_16 Depth=1
	s_wait_alu 0xfffe
	s_or_b32 exec_lo, exec_lo, s23
	v_lshlrev_b32_e32 v7, 8, v7
	v_lshl_add_u32 v45, v45, 10, 0x2000
	v_lshlrev_b32_e32 v32, 7, v32
	s_delay_alu instid0(VALU_DEP_3) | instskip(NEXT) | instid1(VALU_DEP_3)
	v_and_b32_e32 v7, 0x8000, v7
	v_and_b32_e32 v45, 0xfc00, v45
	s_delay_alu instid0(VALU_DEP_1)
	v_or3_b32 v175, v7, v45, v32
.LBB292_1001:                           ;   in Loop: Header=BB292_16 Depth=1
	s_wait_alu 0xfffe
	s_or_b32 exec_lo, exec_lo, s22
.LBB292_1002:                           ;   in Loop: Header=BB292_16 Depth=1
	s_wait_alu 0xfffe
	s_or_b32 exec_lo, exec_lo, s21
.LBB292_1003:                           ;   in Loop: Header=BB292_16 Depth=1
	s_wait_alu 0xfffe
	s_or_b32 exec_lo, exec_lo, s20
	v_dual_mov_b32 v184, 0 :: v_dual_mov_b32 v185, 0
	s_mov_b32 s20, exec_lo
	v_cmpx_lt_u32_e32 0xffffff, v28
	s_cbranch_execz .LBB292_1011
; %bb.1004:                             ;   in Loop: Header=BB292_16 Depth=1
	v_lshrrev_b32_e32 v7, 24, v28
	v_bfrev_b32_e32 v185, 1
	s_mov_b32 s21, exec_lo
	s_delay_alu instid0(VALU_DEP_2)
	v_cmpx_ne_u32_e32 0x80, v7
	s_cbranch_execz .LBB292_1010
; %bb.1005:                             ;   in Loop: Header=BB292_16 Depth=1
	v_and_b32_e32 v56, 0x7f, v7
	v_mov_b32_e32 v185, 0x7c010000
	s_mov_b32 s22, exec_lo
	s_delay_alu instid0(VALU_DEP_2)
	v_cmpx_ne_u32_e32 0x7f, v56
	s_cbranch_execz .LBB292_1009
; %bb.1006:                             ;   in Loop: Header=BB292_16 Depth=1
	v_and_b32_e32 v32, 7, v7
	v_lshrrev_b32_e32 v45, 3, v56
	s_mov_b32 s23, exec_lo
	v_cmpx_gt_u32_e32 8, v56
; %bb.1007:                             ;   in Loop: Header=BB292_16 Depth=1
	s_delay_alu instid0(VALU_DEP_3) | instskip(NEXT) | instid1(VALU_DEP_1)
	v_clz_i32_u32_e32 v32, v32
	v_min_u32_e32 v32, 32, v32
	s_delay_alu instid0(VALU_DEP_1) | instskip(NEXT) | instid1(VALU_DEP_1)
	v_subrev_nc_u32_e32 v45, 28, v32
	v_lshlrev_b64_e32 v[56:57], v45, v[7:8]
	v_sub_nc_u32_e32 v45, 29, v32
	s_delay_alu instid0(VALU_DEP_2)
	v_and_b32_e32 v32, 7, v56
; %bb.1008:                             ;   in Loop: Header=BB292_16 Depth=1
	s_wait_alu 0xfffe
	s_or_b32 exec_lo, exec_lo, s23
	v_lshlrev_b32_e32 v7, 8, v7
	v_lshl_add_u32 v45, v45, 10, 0x2000
	v_lshlrev_b32_e32 v32, 23, v32
	s_delay_alu instid0(VALU_DEP_2) | instskip(NEXT) | instid1(VALU_DEP_1)
	v_and_or_b32 v7, 0x8000, v7, v45
	v_lshl_or_b32 v185, v7, 16, v32
.LBB292_1009:                           ;   in Loop: Header=BB292_16 Depth=1
	s_wait_alu 0xfffe
	s_or_b32 exec_lo, exec_lo, s22
.LBB292_1010:                           ;   in Loop: Header=BB292_16 Depth=1
	s_wait_alu 0xfffe
	s_or_b32 exec_lo, exec_lo, s21
.LBB292_1011:                           ;   in Loop: Header=BB292_16 Depth=1
	s_wait_alu 0xfffe
	s_or_b32 exec_lo, exec_lo, s20
	v_dual_mov_b32 v7, v29 :: v_dual_and_b32 v32, 0xff, v29
	s_mov_b32 s20, exec_lo
	s_delay_alu instid0(VALU_DEP_1)
	v_cmpx_ne_u16_e32 0, v32
	s_cbranch_execz .LBB292_1019
; %bb.1012:                             ;   in Loop: Header=BB292_16 Depth=1
	v_mov_b32_e32 v184, 0x8000
	s_mov_b32 s21, exec_lo
	v_cmpx_ne_u16_e32 0x80, v32
	s_cbranch_execz .LBB292_1018
; %bb.1013:                             ;   in Loop: Header=BB292_16 Depth=1
	v_and_b32_e32 v56, 0x7f, v29
	v_mov_b32_e32 v184, 0x7c01
	s_mov_b32 s22, exec_lo
	s_delay_alu instid0(VALU_DEP_2)
	v_cmpx_ne_u32_e32 0x7f, v56
	s_cbranch_execz .LBB292_1017
; %bb.1014:                             ;   in Loop: Header=BB292_16 Depth=1
	v_and_b32_e32 v32, 7, v29
	v_lshrrev_b32_e32 v45, 3, v56
	s_mov_b32 s23, exec_lo
	v_cmpx_gt_u32_e32 8, v56
; %bb.1015:                             ;   in Loop: Header=BB292_16 Depth=1
	s_delay_alu instid0(VALU_DEP_3) | instskip(NEXT) | instid1(VALU_DEP_1)
	v_clz_i32_u32_e32 v32, v32
	v_min_u32_e32 v32, 32, v32
	s_delay_alu instid0(VALU_DEP_1) | instskip(NEXT) | instid1(VALU_DEP_1)
	v_subrev_nc_u32_e32 v45, 28, v32
	v_lshlrev_b64_e32 v[56:57], v45, v[7:8]
	v_sub_nc_u32_e32 v45, 29, v32
	s_delay_alu instid0(VALU_DEP_2)
	v_and_b32_e32 v32, 7, v56
; %bb.1016:                             ;   in Loop: Header=BB292_16 Depth=1
	s_wait_alu 0xfffe
	s_or_b32 exec_lo, exec_lo, s23
	v_lshlrev_b32_e32 v56, 8, v29
	v_lshl_add_u32 v45, v45, 10, 0x2000
	v_lshlrev_b32_e32 v32, 7, v32
	s_delay_alu instid0(VALU_DEP_3) | instskip(NEXT) | instid1(VALU_DEP_3)
	v_and_b32_e32 v56, 0x8000, v56
	v_and_b32_e32 v45, 0xfc00, v45
	s_delay_alu instid0(VALU_DEP_1)
	v_or3_b32 v184, v56, v45, v32
.LBB292_1017:                           ;   in Loop: Header=BB292_16 Depth=1
	s_wait_alu 0xfffe
	s_or_b32 exec_lo, exec_lo, s22
.LBB292_1018:                           ;   in Loop: Header=BB292_16 Depth=1
	s_wait_alu 0xfffe
	s_or_b32 exec_lo, exec_lo, s21
.LBB292_1019:                           ;   in Loop: Header=BB292_16 Depth=1
	s_wait_alu 0xfffe
	s_or_b32 exec_lo, exec_lo, s20
	v_lshrrev_b16 v7, 8, v7
	v_dual_mov_b32 v186, 0 :: v_dual_mov_b32 v187, 0
	s_mov_b32 s20, exec_lo
	s_delay_alu instid0(VALU_DEP_2)
	v_cmpx_ne_u16_e32 0, v7
	s_cbranch_execz .LBB292_1027
; %bb.1020:                             ;   in Loop: Header=BB292_16 Depth=1
	v_bfrev_b32_e32 v187, 1
	s_mov_b32 s21, exec_lo
	v_cmpx_ne_u16_e32 0x80, v7
	s_cbranch_execz .LBB292_1026
; %bb.1021:                             ;   in Loop: Header=BB292_16 Depth=1
	v_and_b32_e32 v32, 0xffff, v7
	v_mov_b32_e32 v187, 0x7c010000
	s_mov_b32 s22, exec_lo
	s_delay_alu instid0(VALU_DEP_2) | instskip(NEXT) | instid1(VALU_DEP_1)
	v_and_b32_e32 v57, 0x7f, v32
	v_cmpx_ne_u32_e32 0x7f, v57
	s_cbranch_execz .LBB292_1025
; %bb.1022:                             ;   in Loop: Header=BB292_16 Depth=1
	v_and_b32_e32 v45, 7, v32
	v_lshrrev_b32_e32 v56, 3, v57
	s_mov_b32 s23, exec_lo
	v_cmpx_gt_u32_e32 8, v57
; %bb.1023:                             ;   in Loop: Header=BB292_16 Depth=1
	s_delay_alu instid0(VALU_DEP_3) | instskip(NEXT) | instid1(VALU_DEP_1)
	v_clz_i32_u32_e32 v45, v45
	v_min_u32_e32 v45, 32, v45
	s_delay_alu instid0(VALU_DEP_1) | instskip(NEXT) | instid1(VALU_DEP_1)
	v_subrev_nc_u32_e32 v56, 28, v45
	v_lshlrev_b64_e32 v[171:172], v56, v[7:8]
	v_sub_nc_u32_e32 v56, 29, v45
	s_delay_alu instid0(VALU_DEP_2)
	v_and_b32_e32 v45, 7, v171
; %bb.1024:                             ;   in Loop: Header=BB292_16 Depth=1
	s_wait_alu 0xfffe
	s_or_b32 exec_lo, exec_lo, s23
	v_lshlrev_b32_e32 v7, 8, v32
	v_lshl_add_u32 v32, v56, 10, 0x2000
	s_delay_alu instid0(VALU_DEP_1) | instskip(SKIP_1) | instid1(VALU_DEP_1)
	v_and_or_b32 v7, 0x8000, v7, v32
	v_lshlrev_b32_e32 v32, 23, v45
	v_lshl_or_b32 v187, v7, 16, v32
.LBB292_1025:                           ;   in Loop: Header=BB292_16 Depth=1
	s_wait_alu 0xfffe
	s_or_b32 exec_lo, exec_lo, s22
.LBB292_1026:                           ;   in Loop: Header=BB292_16 Depth=1
	s_wait_alu 0xfffe
	s_or_b32 exec_lo, exec_lo, s21
.LBB292_1027:                           ;   in Loop: Header=BB292_16 Depth=1
	s_wait_alu 0xfffe
	s_or_b32 exec_lo, exec_lo, s20
	v_lshrrev_b32_e32 v7, 16, v29
	s_mov_b32 s20, exec_lo
	s_delay_alu instid0(VALU_DEP_1) | instskip(NEXT) | instid1(VALU_DEP_1)
	v_and_b32_e32 v32, 0xff, v7
	v_cmpx_ne_u16_e32 0, v32
	s_cbranch_execz .LBB292_1035
; %bb.1028:                             ;   in Loop: Header=BB292_16 Depth=1
	v_mov_b32_e32 v186, 0x8000
	s_mov_b32 s21, exec_lo
	v_cmpx_ne_u16_e32 0x80, v32
	s_cbranch_execz .LBB292_1034
; %bb.1029:                             ;   in Loop: Header=BB292_16 Depth=1
	v_bfe_u32 v56, v29, 16, 7
	v_mov_b32_e32 v186, 0x7c01
	s_mov_b32 s22, exec_lo
	s_delay_alu instid0(VALU_DEP_2)
	v_cmpx_ne_u32_e32 0x7f, v56
	s_cbranch_execz .LBB292_1033
; %bb.1030:                             ;   in Loop: Header=BB292_16 Depth=1
	v_and_b32_e32 v32, 7, v7
	v_lshrrev_b32_e32 v45, 3, v56
	s_mov_b32 s23, exec_lo
	v_cmpx_gt_u32_e32 8, v56
; %bb.1031:                             ;   in Loop: Header=BB292_16 Depth=1
	s_delay_alu instid0(VALU_DEP_3) | instskip(NEXT) | instid1(VALU_DEP_1)
	v_clz_i32_u32_e32 v32, v32
	v_min_u32_e32 v32, 32, v32
	s_delay_alu instid0(VALU_DEP_1) | instskip(NEXT) | instid1(VALU_DEP_1)
	v_subrev_nc_u32_e32 v45, 28, v32
	v_lshlrev_b64_e32 v[56:57], v45, v[7:8]
	v_sub_nc_u32_e32 v45, 29, v32
	s_delay_alu instid0(VALU_DEP_2)
	v_and_b32_e32 v32, 7, v56
; %bb.1032:                             ;   in Loop: Header=BB292_16 Depth=1
	s_wait_alu 0xfffe
	s_or_b32 exec_lo, exec_lo, s23
	v_lshlrev_b32_e32 v7, 8, v7
	v_lshl_add_u32 v45, v45, 10, 0x2000
	v_lshlrev_b32_e32 v32, 7, v32
	s_delay_alu instid0(VALU_DEP_3) | instskip(NEXT) | instid1(VALU_DEP_3)
	v_and_b32_e32 v7, 0x8000, v7
	v_and_b32_e32 v45, 0xfc00, v45
	s_delay_alu instid0(VALU_DEP_1)
	v_or3_b32 v186, v7, v45, v32
.LBB292_1033:                           ;   in Loop: Header=BB292_16 Depth=1
	s_wait_alu 0xfffe
	s_or_b32 exec_lo, exec_lo, s22
.LBB292_1034:                           ;   in Loop: Header=BB292_16 Depth=1
	s_wait_alu 0xfffe
	s_or_b32 exec_lo, exec_lo, s21
.LBB292_1035:                           ;   in Loop: Header=BB292_16 Depth=1
	s_wait_alu 0xfffe
	s_or_b32 exec_lo, exec_lo, s20
	v_cmp_lt_u64_e64 s1, s[10:11], v[28:29]
	v_mov_b32_e32 v28, 0
	s_and_saveexec_b32 s20, s1
	s_cbranch_execz .LBB292_14
; %bb.1036:                             ;   in Loop: Header=BB292_16 Depth=1
	v_lshrrev_b32_e32 v7, 24, v29
	v_bfrev_b32_e32 v28, 1
	s_mov_b32 s21, exec_lo
	s_delay_alu instid0(VALU_DEP_2)
	v_cmpx_ne_u32_e32 0x80, v7
	s_cbranch_execz .LBB292_13
; %bb.1037:                             ;   in Loop: Header=BB292_16 Depth=1
	v_and_b32_e32 v32, 0x7f, v7
	v_mov_b32_e32 v28, 0x7c010000
	s_mov_b32 s22, exec_lo
	s_delay_alu instid0(VALU_DEP_2)
	v_cmpx_ne_u32_e32 0x7f, v32
	s_cbranch_execz .LBB292_12
; %bb.1038:                             ;   in Loop: Header=BB292_16 Depth=1
	v_and_b32_e32 v28, 7, v7
	v_lshrrev_b32_e32 v29, 3, v32
	s_mov_b32 s23, exec_lo
	v_cmpx_gt_u32_e32 8, v32
	s_cbranch_execz .LBB292_11
; %bb.1039:                             ;   in Loop: Header=BB292_16 Depth=1
	v_clz_i32_u32_e32 v28, v28
	s_delay_alu instid0(VALU_DEP_1) | instskip(NEXT) | instid1(VALU_DEP_1)
	v_min_u32_e32 v32, 32, v28
	v_subrev_nc_u32_e32 v28, 28, v32
	s_delay_alu instid0(VALU_DEP_1) | instskip(SKIP_1) | instid1(VALU_DEP_2)
	v_lshlrev_b64_e32 v[28:29], v28, v[7:8]
	v_sub_nc_u32_e32 v29, 29, v32
	v_and_b32_e32 v28, 7, v28
	s_branch .LBB292_11
.LBB292_1040:
	s_or_b32 exec_lo, exec_lo, s19
.LBB292_1041:
	s_wait_alu 0xfffe
	s_or_b32 exec_lo, exec_lo, s18
	v_mbcnt_lo_u32_b32 v7, -1, 0
	v_max_num_f32_e32 v18, v65, v65
	s_delay_alu instid0(VALU_DEP_2) | instskip(SKIP_2) | instid1(VALU_DEP_3)
	v_xor_b32_e32 v8, 16, v7
	v_xor_b32_e32 v13, 8, v7
	;; [unrolled: 1-line block ×3, first 2 shown]
	v_cmp_gt_i32_e32 vcc_lo, 32, v8
	s_wait_alu 0xfffd
	v_cndmask_b32_e32 v8, v7, v8, vcc_lo
	v_cmp_gt_i32_e32 vcc_lo, 32, v13
	s_wait_alu 0xfffd
	v_cndmask_b32_e32 v13, v7, v13, vcc_lo
	s_delay_alu instid0(VALU_DEP_1) | instskip(SKIP_4) | instid1(VALU_DEP_1)
	v_lshlrev_b32_e32 v19, 2, v13
	v_lshlrev_b32_e32 v9, 2, v8
	ds_bpermute_b32 v8, v9, v65
	s_wait_dscnt 0x0
	v_max_num_f32_e32 v8, v8, v8
	v_max_num_f32_e32 v8, v18, v8
	v_xor_b32_e32 v18, 4, v7
	ds_bpermute_b32 v13, v19, v8
	v_cmp_gt_i32_e32 vcc_lo, 32, v18
	s_wait_alu 0xfffd
	v_cndmask_b32_e32 v18, v7, v18, vcc_lo
	s_delay_alu instid0(VALU_DEP_1) | instskip(SKIP_1) | instid1(VALU_DEP_1)
	v_lshlrev_b32_e32 v20, 2, v18
	v_xor_b32_e32 v18, 2, v7
	v_cmp_gt_i32_e32 vcc_lo, 32, v18
	s_wait_dscnt 0x0
	v_max_num_f32_e32 v13, v13, v13
	s_delay_alu instid0(VALU_DEP_1) | instskip(SKIP_3) | instid1(VALU_DEP_1)
	v_max_num_f32_e32 v8, v8, v13
	ds_bpermute_b32 v13, v20, v8
	s_wait_dscnt 0x0
	v_max_num_f32_e32 v13, v13, v13
	v_max_num_f32_e32 v8, v8, v13
	s_wait_alu 0xfffd
	v_cndmask_b32_e32 v18, v7, v18, vcc_lo
	v_cmp_gt_i32_e32 vcc_lo, 32, v21
	s_wait_alu 0xfffd
	s_delay_alu instid0(VALU_DEP_2) | instskip(SKIP_4) | instid1(VALU_DEP_1)
	v_dual_cndmask_b32 v21, v7, v21 :: v_dual_lshlrev_b32 v18, 2, v18
	v_cmp_eq_u32_e32 vcc_lo, 0, v36
	ds_bpermute_b32 v13, v18, v8
	s_wait_dscnt 0x0
	v_max_num_f32_e32 v13, v13, v13
	v_max_num_f32_e32 v7, v8, v13
	v_lshlrev_b32_e32 v13, 2, v21
	v_lshlrev_b32_e32 v21, 2, v35
	ds_bpermute_b32 v8, v13, v7
	s_and_saveexec_b32 s1, vcc_lo
	s_cbranch_execz .LBB292_1043
; %bb.1042:
	s_wait_dscnt 0x0
	v_dual_max_num_f32 v8, v8, v8 :: v_dual_max_num_f32 v7, v7, v7
	s_delay_alu instid0(VALU_DEP_1)
	v_max_num_f32_e32 v7, v7, v8
	ds_store_b32 v21, v7 offset:256
.LBB292_1043:
	s_wait_alu 0xfffe
	s_or_b32 exec_lo, exec_lo, s1
	v_cmp_gt_u32_e64 s1, 4, v36
	v_mov_b32_e32 v7, 0xff7fffff
	s_wait_loadcnt_dscnt 0x0
	s_barrier_signal -1
	s_barrier_wait -1
	global_inv scope:SCOPE_SE
	s_and_saveexec_b32 s2, s1
; %bb.1044:
	ds_load_b32 v7, v64 offset:256
; %bb.1045:
	s_wait_alu 0xfffe
	s_or_b32 exec_lo, exec_lo, s2
	s_wait_dscnt 0x0
	ds_bpermute_b32 v8, v18, v7
	v_max_num_f32_e32 v7, v7, v7
	v_subrev_nc_u32_e32 v12, s17, v49
	v_mov_b32_e32 v24, 0
	s_wait_dscnt 0x0
	v_max_num_f32_e32 v8, v8, v8
	s_delay_alu instid0(VALU_DEP_1) | instskip(SKIP_3) | instid1(VALU_DEP_1)
	v_max_num_f32_e32 v7, v7, v8
	ds_bpermute_b32 v8, v13, v7
	s_wait_dscnt 0x0
	v_max_num_f32_e32 v8, v8, v8
	v_max_num_f32_e32 v7, v7, v8
	v_lshl_add_u32 v8, v12, 5, s3
	ds_bpermute_b32 v7, v24, v7
	v_min_i32_e32 v8, v8, v34
	s_delay_alu instid0(VALU_DEP_1) | instskip(NEXT) | instid1(VALU_DEP_1)
	v_subrev_nc_u32_e32 v8, s3, v8
	v_cmp_lt_i32_e64 s2, v33, v8
	s_and_saveexec_b32 s8, s2
	s_cbranch_execz .LBB292_1049
; %bb.1046:
	s_getpc_b64 s[10:11]
	s_wait_alu 0xfffe
	s_sext_i32_i16 s11, s11
	s_add_co_u32 s10, s10, llvm.amdgcn.dynlds.offset.table@rel32@lo+12
	s_wait_alu 0xfffe
	s_add_co_ci_u32 s11, s11, llvm.amdgcn.dynlds.offset.table@rel32@hi+24
	s_wait_kmcnt 0x0
	s_ashr_i32 s7, s6, 31
	v_mov_b32_e32 v24, 0
	s_wait_alu 0xfffe
	s_lshl_b64 s[18:19], s[6:7], 2
	v_mov_b32_e32 v28, v33
	s_wait_alu 0xfffe
	s_add_nc_u64 s[10:11], s[10:11], s[18:19]
	s_mov_b32 s7, 0
	s_load_b32 s3, s[10:11], 0x0
	s_wait_kmcnt 0x0
	v_lshl_add_u32 v25, v33, 2, s3
.LBB292_1047:                           ; =>This Inner Loop Header: Depth=1
	ds_load_b32 v12, v25
	v_add_nc_u32_e32 v28, 0x80, v28
	s_delay_alu instid0(VALU_DEP_1) | instskip(SKIP_3) | instid1(VALU_DEP_1)
	v_cmp_ge_i32_e64 s3, v28, v8
	s_or_b32 s7, s3, s7
	s_wait_dscnt 0x0
	v_sub_f32_e32 v12, v12, v7
	v_mul_f32_e32 v12, 0x3fb8aa3b, v12
	s_delay_alu instid0(VALU_DEP_1)
	v_exp_f32_e32 v12, v12
	ds_store_b32 v25, v12
	v_dual_add_f32 v24, v24, v12 :: v_dual_add_nc_u32 v25, 0x200, v25
	s_wait_alu 0xfffe
	s_and_not1_b32 exec_lo, exec_lo, s7
	s_cbranch_execnz .LBB292_1047
; %bb.1048:
	s_or_b32 exec_lo, exec_lo, s7
.LBB292_1049:
	s_wait_alu 0xfffe
	s_or_b32 exec_lo, exec_lo, s8
	ds_bpermute_b32 v9, v9, v24
	s_wait_dscnt 0x0
	v_add_f32_e32 v9, v24, v9
	ds_bpermute_b32 v12, v19, v9
	s_wait_dscnt 0x0
	v_add_f32_e32 v9, v9, v12
	;; [unrolled: 3-line block ×5, first 2 shown]
	s_and_saveexec_b32 s3, vcc_lo
; %bb.1050:
	ds_store_b32 v21, v9 offset:272
; %bb.1051:
	s_wait_alu 0xfffe
	s_or_b32 exec_lo, exec_lo, s3
	s_wait_loadcnt_dscnt 0x0
	s_barrier_signal -1
	s_barrier_wait -1
	global_inv scope:SCOPE_SE
	s_and_saveexec_b32 s3, s1
; %bb.1052:
	ds_load_b32 v9, v64 offset:272
; %bb.1053:
	s_wait_alu 0xfffe
	s_or_b32 exec_lo, exec_lo, s3
	s_wait_dscnt 0x0
	ds_bpermute_b32 v12, v18, v9
	s_wait_dscnt 0x0
	v_add_f32_e32 v9, v9, v12
	ds_bpermute_b32 v12, v13, v9
	s_wait_dscnt 0x0
	v_dual_add_f32 v9, v9, v12 :: v_dual_mov_b32 v12, 0
	ds_bpermute_b32 v9, v12, v9
	s_and_saveexec_b32 s1, s2
	s_cbranch_execz .LBB292_1056
; %bb.1054:
	s_wait_dscnt 0x0
	v_add_f32_e32 v12, 0x358637bd, v9
	s_wait_kmcnt 0x0
	s_ashr_i32 s7, s6, 31
	s_getpc_b64 s[2:3]
	s_wait_alu 0xfffe
	s_sext_i32_i16 s3, s3
	s_add_co_u32 s2, s2, llvm.amdgcn.dynlds.offset.table@rel32@lo+12
	s_wait_alu 0xfffe
	s_add_co_ci_u32 s3, s3, llvm.amdgcn.dynlds.offset.table@rel32@hi+24
	s_lshl_b64 s[8:9], s[6:7], 2
	s_wait_alu 0xfffe
	s_add_nc_u64 s[2:3], s[2:3], s[8:9]
	v_div_scale_f32 v19, null, v12, v12, 1.0
	v_div_scale_f32 v24, vcc_lo, 1.0, v12, 1.0
	s_load_b32 s2, s[2:3], 0x0
	v_rcp_f32_e32 v20, v19
	s_delay_alu instid0(TRANS32_DEP_1) | instskip(NEXT) | instid1(VALU_DEP_1)
	v_fma_f32 v21, -v19, v20, 1.0
	v_fmac_f32_e32 v20, v21, v20
	s_delay_alu instid0(VALU_DEP_1) | instskip(NEXT) | instid1(VALU_DEP_1)
	v_mul_f32_e32 v21, v24, v20
	v_fma_f32 v25, -v19, v21, v24
	s_delay_alu instid0(VALU_DEP_1) | instskip(NEXT) | instid1(VALU_DEP_1)
	v_fmac_f32_e32 v21, v25, v20
	v_fma_f32 v19, -v19, v21, v24
	s_delay_alu instid0(VALU_DEP_1)
	v_div_fmas_f32 v20, v19, v20, v21
	s_wait_kmcnt 0x0
	v_lshl_add_u32 v19, v33, 2, s2
	v_mov_b32_e32 v21, v33
	s_mov_b32 s2, 0
	v_div_fixup_f32 v20, v20, v12, 1.0
.LBB292_1055:                           ; =>This Inner Loop Header: Depth=1
	ds_load_b32 v12, v19
	s_wait_dscnt 0x0
	v_dual_mul_f32 v12, v20, v12 :: v_dual_add_nc_u32 v21, 0x80, v21
	s_delay_alu instid0(VALU_DEP_1)
	v_cmp_ge_i32_e32 vcc_lo, v21, v8
	ds_store_b32 v19, v12
	v_add_nc_u32_e32 v19, 0x200, v19
	s_wait_alu 0xfffe
	s_or_b32 s2, vcc_lo, s2
	s_wait_alu 0xfffe
	s_and_not1_b32 exec_lo, exec_lo, s2
	s_cbranch_execnz .LBB292_1055
.LBB292_1056:
	s_wait_alu 0xfffe
	s_or_b32 exec_lo, exec_lo, s1
	s_and_b32 s1, 0xffff, s16
	s_wait_loadcnt_dscnt 0x0
	s_wait_alu 0xfffe
	s_cmp_lg_u32 s1, 0
	s_barrier_signal -1
	s_cselect_b32 s1, -1, 0
	s_barrier_wait -1
	s_wait_alu 0xfffe
	s_cmp_lg_u32 s1, 0
	global_inv scope:SCOPE_SE
	s_wait_kmcnt 0x0
	s_add_co_ci_u32 s1, s5, 0
	s_mov_b32 s5, exec_lo
	s_wait_alu 0xfffe
	s_mul_i32 s2, s1, s14
	s_wait_alu 0xfffe
	s_mul_i32 s2, s2, s15
	v_cmpx_eq_u32_e32 0, v33
	s_cbranch_execz .LBB292_1058
; %bb.1057:
	s_wait_alu 0xfffe
	s_ashr_i32 s3, s2, 31
	s_mul_i32 s8, s1, ttmp9
	s_wait_alu 0xfffe
	s_lshl_b64 s[10:11], s[2:3], 2
	s_ashr_i32 s9, s8, 31
	s_wait_alu 0xfffe
	v_add_co_u32 v2, vcc_lo, v2, s10
	s_wait_alu 0xfffd
	v_add_co_ci_u32_e64 v3, null, s11, v3, vcc_lo
	s_lshl_b64 s[8:9], s[8:9], 2
	s_lshl_b32 s3, s13, 2
	s_wait_alu 0xfffe
	v_add_co_u32 v2, vcc_lo, v2, s8
	s_wait_alu 0xfffd
	v_add_co_ci_u32_e64 v3, null, s9, v3, vcc_lo
	v_add_co_u32 v0, vcc_lo, v0, s10
	s_wait_alu 0xfffd
	v_add_co_ci_u32_e64 v1, null, s11, v1, vcc_lo
	s_delay_alu instid0(VALU_DEP_2) | instskip(SKIP_1) | instid1(VALU_DEP_2)
	v_add_co_u32 v8, vcc_lo, v0, s8
	s_wait_alu 0xfffd
	v_add_co_ci_u32_e64 v12, null, s9, v1, vcc_lo
	v_add_co_u32 v0, vcc_lo, v2, s3
	s_wait_alu 0xfffd
	v_add_co_ci_u32_e64 v1, null, 0, v3, vcc_lo
	;; [unrolled: 3-line block ×3, first 2 shown]
	flat_store_b32 v[0:1], v7
	flat_store_b32 v[2:3], v9
.LBB292_1058:
	s_or_b32 exec_lo, exec_lo, s5
	s_ashr_i32 s7, s6, 31
	s_getpc_b64 s[8:9]
	s_wait_alu 0xfffe
	s_sext_i32_i16 s9, s9
	s_add_co_u32 s8, s8, llvm.amdgcn.dynlds.offset.table@rel32@lo+12
	s_wait_alu 0xfffe
	s_add_co_ci_u32 s9, s9, llvm.amdgcn.dynlds.offset.table@rel32@hi+24
	v_dual_mov_b32 v69, 0 :: v_dual_mov_b32 v70, 0
	v_dual_mov_b32 v68, 0 :: v_dual_and_b32 v19, 3, v33
	v_dual_mov_b32 v67, 0 :: v_dual_mov_b32 v66, 0
	v_dual_mov_b32 v65, 0 :: v_dual_mov_b32 v64, 0
	v_dual_mov_b32 v55, 0 :: v_dual_mov_b32 v32, 0
	v_dual_mov_b32 v31, 0 :: v_dual_mov_b32 v28, 0
	v_dual_mov_b32 v29, 0 :: v_dual_mov_b32 v24, 0
	v_dual_mov_b32 v25, 0 :: v_dual_mov_b32 v20, 0
	v_mov_b32_e32 v21, 0
	s_lshl_b64 s[6:7], s[6:7], 2
	s_wait_alu 0xfffe
	s_add_nc_u64 s[6:7], s[8:9], s[6:7]
	s_and_saveexec_b32 s3, s0
	s_cbranch_execz .LBB292_2120
; %bb.1059:
	v_sub_nc_u32_e32 v0, 0, v30
	v_add_co_u32 v7, vcc_lo, v10, v51
	s_wait_alu 0xfffd
	v_add_co_ci_u32_e64 v8, null, v11, v54, vcc_lo
	s_delay_alu instid0(VALU_DEP_3) | instskip(SKIP_3) | instid1(VALU_DEP_3)
	v_max_i32_e32 v30, v30, v0
	s_load_b32 s0, s[6:7], 0x0
	v_dual_mov_b32 v1, 0 :: v_dual_lshlrev_b32 v2, 3, v33
	v_dual_mov_b32 v21, 0 :: v_dual_lshlrev_b32 v10, 5, v19
	v_cvt_f32_u32_e32 v0, v30
	v_sub_nc_u32_e32 v11, 0, v30
	s_delay_alu instid0(VALU_DEP_4) | instskip(SKIP_1) | instid1(VALU_DEP_4)
	v_dual_mov_b32 v67, 0 :: v_dual_and_b32 v12, 0xf8, v2
	v_mov_b32_e32 v69, 0
	v_rcp_iflag_f32_e32 v0, v0
	v_lshlrev_b32_e32 v3, 2, v23
	v_dual_mov_b32 v20, 0 :: v_dual_add_nc_u32 v51, -1, v52
	v_dual_mov_b32 v24, 0 :: v_dual_mov_b32 v25, 0
	v_dual_mov_b32 v28, 0 :: v_dual_mov_b32 v29, 0
	;; [unrolled: 1-line block ×3, first 2 shown]
	s_delay_alu instid0(TRANS32_DEP_1) | instskip(SKIP_3) | instid1(VALU_DEP_3)
	v_mul_f32_e32 v0, 0x4f7ffffe, v0
	v_add_co_u32 v3, vcc_lo, v16, v3
	s_wait_alu 0xfffd
	v_add_co_ci_u32_e64 v9, null, 0, v17, vcc_lo
	v_cvt_u32_f32_e32 v0, v0
	v_and_b32_e32 v16, 24, v2
	v_add_co_u32 v2, vcc_lo, v14, v3
	s_wait_alu 0xfffd
	v_add_co_ci_u32_e64 v3, null, v15, v9, vcc_lo
	v_mul_lo_u32 v11, v11, v0
	v_lshl_or_b32 v9, v35, 7, v10
	v_add_co_u32 v7, vcc_lo, v7, v12
	v_dual_mov_b32 v55, 0 :: v_dual_mov_b32 v64, 0
	v_dual_mov_b32 v65, 0 :: v_dual_mov_b32 v66, 0
	v_mul_hi_u32 v11, v0, v11
	s_wait_alu 0xfffd
	v_add_co_ci_u32_e64 v8, null, 0, v8, vcc_lo
	s_wait_kmcnt 0x0
	v_add_nc_u32_e32 v14, s0, v9
	v_mov_b32_e32 v70, 0
	s_mov_b32 s8, -1
	v_mov_b32_e32 v68, 0
	s_mov_b32 s9, 0xffffff
	v_add_nc_u32_e32 v15, v0, v11
	s_mov_b32 s5, 0
	s_branch .LBB292_1062
.LBB292_1060:                           ;   in Loop: Header=BB292_1062 Depth=1
	s_wait_alu 0xfffe
	s_or_b32 exec_lo, exec_lo, s0
	v_dual_add_f32 v11, v11, v12 :: v_dual_add_f32 v12, v145, v146
	v_dual_add_f32 v17, v135, v144 :: v_dual_add_f32 v82, v133, v134
	v_add_f32_e32 v83, v131, v132
	s_delay_alu instid0(VALU_DEP_3) | instskip(NEXT) | instid1(VALU_DEP_3)
	v_dual_add_f32 v21, v21, v11 :: v_dual_add_f32 v24, v24, v12
	v_add_f32_e32 v25, v25, v17
	v_add_f32_e32 v17, v115, v116
	;; [unrolled: 1-line block ×6, first 2 shown]
	s_delay_alu instid0(VALU_DEP_4)
	v_dual_add_f32 v64, v64, v17 :: v_dual_add_f32 v31, v31, v11
	v_add_f32_e32 v11, v119, v128
	v_add_f32_e32 v55, v55, v12
	;;#ASMSTART
	v_pk_mul_f16 v12, v81, v147;

	;;#ASMEND
	;;#ASMSTART
	v_pk_mul_f16 v10, v80, v10;

	;;#ASMEND
	;; [unrolled: 4-line block ×4, first 2 shown]
	;;#ASMSTART
	v_pk_add_f16 v10, v12, v10;

	;;#ASMEND
	;;#ASMSTART
	v_pk_add_f16 v9, v10, v9;

	;;#ASMEND
	;; [unrolled: 4-line block ×3, first 2 shown]
	v_dual_add_f32 v29, v29, v83 :: v_dual_and_b32 v12, 0xffff, v0
	v_lshrrev_b32_e32 v17, 16, v0
	;;#ASMSTART
	v_cvt_f32_f16 v12, v12;
	;;#ASMEND
	v_dual_add_f32 v83, v103, v112 :: v_dual_add_f32 v10, v52, v53
	v_dual_add_f32 v32, v32, v11 :: v_dual_add_f32 v65, v65, v82
	;; [unrolled: 1-line block ×3, first 2 shown]
	;;#ASMSTART
	v_cvt_f32_f16 v17, v17;
	;;#ASMEND
	v_dual_add_f32 v12, v12, v17 :: v_dual_add_f32 v9, v97, v98
	v_add_f32_e32 v66, v66, v83
	s_delay_alu instid0(VALU_DEP_3) | instskip(NEXT) | instid1(VALU_DEP_3)
	v_dual_add_f32 v68, v68, v0 :: v_dual_add_f32 v69, v69, v10
	v_dual_add_f32 v20, v20, v12 :: v_dual_add_f32 v67, v67, v11
	s_delay_alu instid0(VALU_DEP_4)
	v_add_f32_e32 v70, v70, v9
.LBB292_1061:                           ;   in Loop: Header=BB292_1062 Depth=1
	s_wait_alu 0xfffe
	s_or_b32 exec_lo, exec_lo, s10
	v_add_nc_u32_e32 v23, 4, v23
	v_add_co_u32 v2, s0, v2, 16
	s_wait_alu 0xf1ff
	v_add_co_ci_u32_e64 v3, null, 0, v3, s0
	s_delay_alu instid0(VALU_DEP_3)
	v_cmp_ge_i32_e32 vcc_lo, v23, v49
	v_add_nc_u32_e32 v48, 0x80, v48
	v_add_nc_u32_e32 v14, 0x200, v14
	s_or_b32 s5, vcc_lo, s5
	s_wait_alu 0xfffe
	s_and_not1_b32 exec_lo, exec_lo, s5
	s_cbranch_execz .LBB292_2119
.LBB292_1062:                           ; =>This Inner Loop Header: Depth=1
	v_sub_nc_u32_e32 v0, 0, v48
	s_delay_alu instid0(VALU_DEP_1) | instskip(NEXT) | instid1(VALU_DEP_1)
	v_max_i32_e32 v0, v48, v0
	v_mul_hi_u32 v9, v0, v38
	s_delay_alu instid0(VALU_DEP_1) | instskip(NEXT) | instid1(VALU_DEP_1)
	v_mul_lo_u32 v10, v9, v37
	v_sub_nc_u32_e32 v0, v0, v10
	v_add_nc_u32_e32 v10, 1, v9
	s_delay_alu instid0(VALU_DEP_2) | instskip(SKIP_2) | instid1(VALU_DEP_2)
	v_sub_nc_u32_e32 v11, v0, v37
	v_cmp_ge_u32_e32 vcc_lo, v0, v37
	s_wait_alu 0xfffd
	v_dual_cndmask_b32 v9, v9, v10 :: v_dual_cndmask_b32 v0, v0, v11
	v_ashrrev_i32_e32 v10, 31, v48
	s_delay_alu instid0(VALU_DEP_2) | instskip(NEXT) | instid1(VALU_DEP_3)
	v_add_nc_u32_e32 v11, 1, v9
	v_cmp_ge_u32_e32 vcc_lo, v0, v37
	s_delay_alu instid0(VALU_DEP_3) | instskip(SKIP_1) | instid1(VALU_DEP_3)
	v_xor_b32_e32 v10, v10, v39
	s_wait_alu 0xfffd
	v_cndmask_b32_e32 v0, v9, v11, vcc_lo
	s_delay_alu instid0(VALU_DEP_1) | instskip(NEXT) | instid1(VALU_DEP_1)
	v_xor_b32_e32 v0, v0, v10
	v_sub_nc_u32_e32 v0, v0, v10
	s_delay_alu instid0(VALU_DEP_1) | instskip(SKIP_1) | instid1(VALU_DEP_2)
	v_add_nc_u32_e32 v9, v0, v6
	v_cmp_gt_i32_e64 s0, v0, v50
	v_sub_nc_u32_e32 v10, 0, v9
	s_delay_alu instid0(VALU_DEP_1) | instskip(NEXT) | instid1(VALU_DEP_1)
	v_max_i32_e32 v10, v9, v10
	v_mul_hi_u32 v11, v10, v15
	s_delay_alu instid0(VALU_DEP_1) | instskip(NEXT) | instid1(VALU_DEP_1)
	v_mul_lo_u32 v11, v11, v30
	v_sub_nc_u32_e32 v10, v10, v11
	s_delay_alu instid0(VALU_DEP_1) | instskip(SKIP_2) | instid1(VALU_DEP_2)
	v_sub_nc_u32_e32 v11, v10, v30
	v_cmp_ge_u32_e32 vcc_lo, v10, v30
	s_wait_alu 0xfffd
	v_cndmask_b32_e32 v10, v10, v11, vcc_lo
	v_ashrrev_i32_e32 v9, 31, v9
	s_delay_alu instid0(VALU_DEP_2) | instskip(SKIP_2) | instid1(VALU_DEP_2)
	v_sub_nc_u32_e32 v11, v10, v30
	v_cmp_ge_u32_e32 vcc_lo, v10, v30
	s_wait_alu 0xfffd
	v_cndmask_b32_e32 v10, v10, v11, vcc_lo
	s_delay_alu instid0(VALU_DEP_1) | instskip(NEXT) | instid1(VALU_DEP_1)
	v_xor_b32_e32 v10, v10, v9
	v_sub_nc_u32_e32 v9, v10, v9
	s_delay_alu instid0(VALU_DEP_1)
	v_cmp_eq_u32_e32 vcc_lo, 0, v9
	s_or_b32 s0, vcc_lo, s0
	s_wait_alu 0xfffe
	s_and_saveexec_b32 s10, s0
	s_cbranch_execz .LBB292_1061
; %bb.1063:                             ;   in Loop: Header=BB292_1062 Depth=1
	flat_load_b32 v0, v[2:3]
	ds_load_2addr_b64 v[80:83], v14 offset1:1
	ds_load_2addr_b64 v[84:87], v14 offset0:2 offset1:3
	s_mov_b32 s0, exec_lo
	s_wait_dscnt 0x1
	;;#ASMSTART
	v_cvt_f16_f32 v52, v80;

	;;#ASMEND
	;;#ASMSTART
	v_cvt_f16_f32 v53, v81;

	;;#ASMEND
	;; [unrolled: 4-line block ×4, first 2 shown]
	s_wait_dscnt 0x0
	;;#ASMSTART
	v_cvt_f16_f32 v81, v84;

	;;#ASMEND
	;;#ASMSTART
	v_cvt_f16_f32 v71, v85;

	;;#ASMEND
	;; [unrolled: 4-line block ×4, first 2 shown]
	v_dual_mov_b32 v84, 0 :: v_dual_mov_b32 v83, 0
	s_wait_loadcnt 0x0
	v_mad_co_i64_i32 v[9:10], null, v0, v22, v[7:8]
	flat_load_b64 v[11:12], v[9:10]
	flat_load_b32 v82, v[26:27]
	s_wait_loadcnt_dscnt 0x101
	v_and_b32_e32 v0, 0xff, v11
	s_delay_alu instid0(VALU_DEP_1)
	v_cmpx_ne_u16_e32 0, v0
	s_cbranch_execz .LBB292_1071
; %bb.1064:                             ;   in Loop: Header=BB292_1062 Depth=1
	v_mov_b32_e32 v84, 0x8000
	s_mov_b32 s11, exec_lo
	v_cmpx_ne_u16_e32 0x80, v0
	s_cbranch_execz .LBB292_1070
; %bb.1065:                             ;   in Loop: Header=BB292_1062 Depth=1
	v_and_b32_e32 v85, 0x7f, v11
	v_mov_b32_e32 v84, 0x7c01
	s_mov_b32 s14, exec_lo
	s_delay_alu instid0(VALU_DEP_2)
	v_cmpx_ne_u32_e32 0x7f, v85
	s_cbranch_execz .LBB292_1069
; %bb.1066:                             ;   in Loop: Header=BB292_1062 Depth=1
	v_and_b32_e32 v0, 7, v11
	v_lshrrev_b32_e32 v17, 3, v85
	s_mov_b32 s15, exec_lo
	v_cmpx_gt_u32_e32 8, v85
; %bb.1067:                             ;   in Loop: Header=BB292_1062 Depth=1
	s_delay_alu instid0(VALU_DEP_3) | instskip(NEXT) | instid1(VALU_DEP_1)
	v_clz_i32_u32_e32 v0, v0
	v_min_u32_e32 v0, 32, v0
	s_delay_alu instid0(VALU_DEP_1) | instskip(NEXT) | instid1(VALU_DEP_1)
	v_subrev_nc_u32_e32 v17, 28, v0
	v_lshlrev_b64_e32 v[84:85], v17, v[11:12]
	v_sub_nc_u32_e32 v17, 29, v0
	s_delay_alu instid0(VALU_DEP_2)
	v_and_b32_e32 v0, 7, v84
; %bb.1068:                             ;   in Loop: Header=BB292_1062 Depth=1
	s_wait_alu 0xfffe
	s_or_b32 exec_lo, exec_lo, s15
	v_lshlrev_b32_e32 v84, 8, v11
	v_lshl_add_u32 v17, v17, 10, 0x2000
	v_lshlrev_b32_e32 v0, 7, v0
	s_delay_alu instid0(VALU_DEP_3) | instskip(NEXT) | instid1(VALU_DEP_3)
	v_and_b32_e32 v84, 0x8000, v84
	v_and_b32_e32 v17, 0xfc00, v17
	s_delay_alu instid0(VALU_DEP_1)
	v_or3_b32 v84, v84, v17, v0
.LBB292_1069:                           ;   in Loop: Header=BB292_1062 Depth=1
	s_wait_alu 0xfffe
	s_or_b32 exec_lo, exec_lo, s14
.LBB292_1070:                           ;   in Loop: Header=BB292_1062 Depth=1
	s_wait_alu 0xfffe
	s_or_b32 exec_lo, exec_lo, s11
.LBB292_1071:                           ;   in Loop: Header=BB292_1062 Depth=1
	s_wait_alu 0xfffe
	s_or_b32 exec_lo, exec_lo, s0
	v_lshrrev_b16 v0, 8, v11
	s_mov_b32 s0, exec_lo
	s_delay_alu instid0(VALU_DEP_1)
	v_cmpx_ne_u16_e32 0, v0
	s_cbranch_execz .LBB292_1079
; %bb.1072:                             ;   in Loop: Header=BB292_1062 Depth=1
	v_bfrev_b32_e32 v83, 1
	s_mov_b32 s11, exec_lo
	v_cmpx_ne_u16_e32 0x80, v0
	s_cbranch_execz .LBB292_1078
; %bb.1073:                             ;   in Loop: Header=BB292_1062 Depth=1
	v_and_b32_e32 v17, 0xffff, v0
	v_mov_b32_e32 v83, 0x7c010000
	s_mov_b32 s14, exec_lo
	s_delay_alu instid0(VALU_DEP_2) | instskip(NEXT) | instid1(VALU_DEP_1)
	v_and_b32_e32 v86, 0x7f, v17
	v_cmpx_ne_u32_e32 0x7f, v86
	s_cbranch_execz .LBB292_1077
; %bb.1074:                             ;   in Loop: Header=BB292_1062 Depth=1
	v_and_b32_e32 v83, 7, v17
	v_lshrrev_b32_e32 v85, 3, v86
	s_mov_b32 s15, exec_lo
	v_cmpx_gt_u32_e32 8, v86
; %bb.1075:                             ;   in Loop: Header=BB292_1062 Depth=1
	s_delay_alu instid0(VALU_DEP_3) | instskip(NEXT) | instid1(VALU_DEP_1)
	v_clz_i32_u32_e32 v83, v83
	v_min_u32_e32 v83, 32, v83
	s_delay_alu instid0(VALU_DEP_1) | instskip(NEXT) | instid1(VALU_DEP_1)
	v_subrev_nc_u32_e32 v85, 28, v83
	v_lshlrev_b64_e32 v[86:87], v85, v[0:1]
	v_sub_nc_u32_e32 v85, 29, v83
	s_delay_alu instid0(VALU_DEP_2)
	v_and_b32_e32 v83, 7, v86
; %bb.1076:                             ;   in Loop: Header=BB292_1062 Depth=1
	s_wait_alu 0xfffe
	s_or_b32 exec_lo, exec_lo, s15
	v_lshlrev_b32_e32 v0, 8, v17
	v_lshl_add_u32 v17, v85, 10, 0x2000
	s_delay_alu instid0(VALU_DEP_1) | instskip(SKIP_1) | instid1(VALU_DEP_1)
	v_and_or_b32 v0, 0x8000, v0, v17
	v_lshlrev_b32_e32 v17, 23, v83
	v_lshl_or_b32 v83, v0, 16, v17
.LBB292_1077:                           ;   in Loop: Header=BB292_1062 Depth=1
	s_wait_alu 0xfffe
	s_or_b32 exec_lo, exec_lo, s14
.LBB292_1078:                           ;   in Loop: Header=BB292_1062 Depth=1
	s_wait_alu 0xfffe
	s_or_b32 exec_lo, exec_lo, s11
.LBB292_1079:                           ;   in Loop: Header=BB292_1062 Depth=1
	s_wait_alu 0xfffe
	s_or_b32 exec_lo, exec_lo, s0
	v_lshrrev_b32_e32 v0, 16, v11
	v_mov_b32_e32 v17, 0
	s_mov_b32 s0, exec_lo
	s_delay_alu instid0(VALU_DEP_2) | instskip(NEXT) | instid1(VALU_DEP_1)
	v_dual_mov_b32 v85, 0 :: v_dual_and_b32 v86, 0xff, v0
	v_cmpx_ne_u16_e32 0, v86
	s_cbranch_execz .LBB292_1087
; %bb.1080:                             ;   in Loop: Header=BB292_1062 Depth=1
	v_mov_b32_e32 v17, 0x8000
	s_mov_b32 s11, exec_lo
	v_cmpx_ne_u16_e32 0x80, v86
	s_cbranch_execz .LBB292_1086
; %bb.1081:                             ;   in Loop: Header=BB292_1062 Depth=1
	v_bfe_u32 v87, v11, 16, 7
	v_mov_b32_e32 v17, 0x7c01
	s_mov_b32 s14, exec_lo
	s_delay_alu instid0(VALU_DEP_2)
	v_cmpx_ne_u32_e32 0x7f, v87
	s_cbranch_execz .LBB292_1085
; %bb.1082:                             ;   in Loop: Header=BB292_1062 Depth=1
	v_and_b32_e32 v17, 7, v0
	v_lshrrev_b32_e32 v86, 3, v87
	s_mov_b32 s15, exec_lo
	v_cmpx_gt_u32_e32 8, v87
; %bb.1083:                             ;   in Loop: Header=BB292_1062 Depth=1
	s_delay_alu instid0(VALU_DEP_3) | instskip(NEXT) | instid1(VALU_DEP_1)
	v_clz_i32_u32_e32 v17, v17
	v_min_u32_e32 v17, 32, v17
	s_delay_alu instid0(VALU_DEP_1) | instskip(NEXT) | instid1(VALU_DEP_1)
	v_subrev_nc_u32_e32 v86, 28, v17
	v_lshlrev_b64_e32 v[99:100], v86, v[0:1]
	v_sub_nc_u32_e32 v86, 29, v17
	s_delay_alu instid0(VALU_DEP_2)
	v_and_b32_e32 v17, 7, v99
; %bb.1084:                             ;   in Loop: Header=BB292_1062 Depth=1
	s_wait_alu 0xfffe
	s_or_b32 exec_lo, exec_lo, s15
	v_lshlrev_b32_e32 v0, 8, v0
	v_lshl_add_u32 v86, v86, 10, 0x2000
	v_lshlrev_b32_e32 v17, 7, v17
	s_delay_alu instid0(VALU_DEP_3) | instskip(NEXT) | instid1(VALU_DEP_3)
	v_and_b32_e32 v0, 0x8000, v0
	v_and_b32_e32 v86, 0xfc00, v86
	s_delay_alu instid0(VALU_DEP_1)
	v_or3_b32 v17, v0, v86, v17
.LBB292_1085:                           ;   in Loop: Header=BB292_1062 Depth=1
	s_wait_alu 0xfffe
	s_or_b32 exec_lo, exec_lo, s14
.LBB292_1086:                           ;   in Loop: Header=BB292_1062 Depth=1
	s_wait_alu 0xfffe
	s_or_b32 exec_lo, exec_lo, s11
.LBB292_1087:                           ;   in Loop: Header=BB292_1062 Depth=1
	s_wait_alu 0xfffe
	s_or_b32 exec_lo, exec_lo, s0
	s_delay_alu instid0(SALU_CYCLE_1)
	s_mov_b32 s0, exec_lo
	v_cmpx_lt_u32_e32 0xffffff, v11
	s_cbranch_execz .LBB292_1095
; %bb.1088:                             ;   in Loop: Header=BB292_1062 Depth=1
	v_lshrrev_b32_e32 v0, 24, v11
	v_bfrev_b32_e32 v85, 1
	s_mov_b32 s11, exec_lo
	s_delay_alu instid0(VALU_DEP_2)
	v_cmpx_ne_u32_e32 0x80, v0
	s_cbranch_execz .LBB292_1094
; %bb.1089:                             ;   in Loop: Header=BB292_1062 Depth=1
	v_and_b32_e32 v87, 0x7f, v0
	v_mov_b32_e32 v85, 0x7c010000
	s_mov_b32 s14, exec_lo
	s_delay_alu instid0(VALU_DEP_2)
	v_cmpx_ne_u32_e32 0x7f, v87
	s_cbranch_execz .LBB292_1093
; %bb.1090:                             ;   in Loop: Header=BB292_1062 Depth=1
	v_and_b32_e32 v85, 7, v0
	v_lshrrev_b32_e32 v86, 3, v87
	s_mov_b32 s15, exec_lo
	v_cmpx_gt_u32_e32 8, v87
; %bb.1091:                             ;   in Loop: Header=BB292_1062 Depth=1
	s_delay_alu instid0(VALU_DEP_3) | instskip(NEXT) | instid1(VALU_DEP_1)
	v_clz_i32_u32_e32 v85, v85
	v_min_u32_e32 v87, 32, v85
	s_delay_alu instid0(VALU_DEP_1) | instskip(NEXT) | instid1(VALU_DEP_1)
	v_subrev_nc_u32_e32 v85, 28, v87
	v_lshlrev_b64_e32 v[85:86], v85, v[0:1]
	v_sub_nc_u32_e32 v86, 29, v87
	s_delay_alu instid0(VALU_DEP_2)
	v_and_b32_e32 v85, 7, v85
; %bb.1092:                             ;   in Loop: Header=BB292_1062 Depth=1
	s_wait_alu 0xfffe
	s_or_b32 exec_lo, exec_lo, s15
	v_lshlrev_b32_e32 v0, 8, v0
	v_lshl_add_u32 v86, v86, 10, 0x2000
	v_lshlrev_b32_e32 v85, 23, v85
	s_delay_alu instid0(VALU_DEP_2) | instskip(NEXT) | instid1(VALU_DEP_1)
	v_and_or_b32 v0, 0x8000, v0, v86
	v_lshl_or_b32 v85, v0, 16, v85
.LBB292_1093:                           ;   in Loop: Header=BB292_1062 Depth=1
	s_wait_alu 0xfffe
	s_or_b32 exec_lo, exec_lo, s14
.LBB292_1094:                           ;   in Loop: Header=BB292_1062 Depth=1
	s_wait_alu 0xfffe
	s_or_b32 exec_lo, exec_lo, s11
.LBB292_1095:                           ;   in Loop: Header=BB292_1062 Depth=1
	s_wait_alu 0xfffe
	s_or_b32 exec_lo, exec_lo, s0
	v_dual_mov_b32 v87, 0 :: v_dual_and_b32 v96, 0xff, v12
	v_mov_b32_e32 v0, v12
	v_mov_b32_e32 v86, 0
	s_mov_b32 s0, exec_lo
	s_delay_alu instid0(VALU_DEP_3)
	v_cmpx_ne_u16_e32 0, v96
	s_cbranch_execz .LBB292_1103
; %bb.1096:                             ;   in Loop: Header=BB292_1062 Depth=1
	v_mov_b32_e32 v87, 0x8000
	s_mov_b32 s11, exec_lo
	v_cmpx_ne_u16_e32 0x80, v96
	s_cbranch_execz .LBB292_1102
; %bb.1097:                             ;   in Loop: Header=BB292_1062 Depth=1
	v_and_b32_e32 v99, 0x7f, v12
	v_mov_b32_e32 v87, 0x7c01
	s_mov_b32 s14, exec_lo
	s_delay_alu instid0(VALU_DEP_2)
	v_cmpx_ne_u32_e32 0x7f, v99
	s_cbranch_execz .LBB292_1101
; %bb.1098:                             ;   in Loop: Header=BB292_1062 Depth=1
	v_and_b32_e32 v87, 7, v12
	v_lshrrev_b32_e32 v96, 3, v99
	s_mov_b32 s15, exec_lo
	v_cmpx_gt_u32_e32 8, v99
; %bb.1099:                             ;   in Loop: Header=BB292_1062 Depth=1
	s_delay_alu instid0(VALU_DEP_3) | instskip(NEXT) | instid1(VALU_DEP_1)
	v_clz_i32_u32_e32 v87, v87
	v_min_u32_e32 v87, 32, v87
	s_delay_alu instid0(VALU_DEP_1) | instskip(NEXT) | instid1(VALU_DEP_1)
	v_subrev_nc_u32_e32 v96, 28, v87
	v_lshlrev_b64_e32 v[99:100], v96, v[0:1]
	v_sub_nc_u32_e32 v96, 29, v87
	s_delay_alu instid0(VALU_DEP_2)
	v_and_b32_e32 v87, 7, v99
; %bb.1100:                             ;   in Loop: Header=BB292_1062 Depth=1
	s_wait_alu 0xfffe
	s_or_b32 exec_lo, exec_lo, s15
	v_lshlrev_b32_e32 v99, 8, v12
	v_lshl_add_u32 v96, v96, 10, 0x2000
	v_lshlrev_b32_e32 v87, 7, v87
	s_delay_alu instid0(VALU_DEP_3) | instskip(NEXT) | instid1(VALU_DEP_3)
	v_and_b32_e32 v99, 0x8000, v99
	v_and_b32_e32 v96, 0xfc00, v96
	s_delay_alu instid0(VALU_DEP_1)
	v_or3_b32 v87, v99, v96, v87
.LBB292_1101:                           ;   in Loop: Header=BB292_1062 Depth=1
	s_wait_alu 0xfffe
	s_or_b32 exec_lo, exec_lo, s14
.LBB292_1102:                           ;   in Loop: Header=BB292_1062 Depth=1
	s_wait_alu 0xfffe
	s_or_b32 exec_lo, exec_lo, s11
.LBB292_1103:                           ;   in Loop: Header=BB292_1062 Depth=1
	s_wait_alu 0xfffe
	s_or_b32 exec_lo, exec_lo, s0
	v_lshrrev_b16 v0, 8, v0
	v_mov_b32_e32 v96, 0
	s_mov_b32 s0, exec_lo
	s_delay_alu instid0(VALU_DEP_2)
	v_cmpx_ne_u16_e32 0, v0
	s_cbranch_execz .LBB292_1111
; %bb.1104:                             ;   in Loop: Header=BB292_1062 Depth=1
	v_bfrev_b32_e32 v96, 1
	s_mov_b32 s11, exec_lo
	v_cmpx_ne_u16_e32 0x80, v0
	s_cbranch_execz .LBB292_1110
; %bb.1105:                             ;   in Loop: Header=BB292_1062 Depth=1
	v_and_b32_e32 v99, 0xffff, v0
	v_mov_b32_e32 v96, 0x7c010000
	s_mov_b32 s14, exec_lo
	s_delay_alu instid0(VALU_DEP_2) | instskip(NEXT) | instid1(VALU_DEP_1)
	v_and_b32_e32 v101, 0x7f, v99
	v_cmpx_ne_u32_e32 0x7f, v101
	s_cbranch_execz .LBB292_1109
; %bb.1106:                             ;   in Loop: Header=BB292_1062 Depth=1
	v_and_b32_e32 v96, 7, v99
	v_lshrrev_b32_e32 v100, 3, v101
	s_mov_b32 s15, exec_lo
	v_cmpx_gt_u32_e32 8, v101
; %bb.1107:                             ;   in Loop: Header=BB292_1062 Depth=1
	s_delay_alu instid0(VALU_DEP_3) | instskip(NEXT) | instid1(VALU_DEP_1)
	v_clz_i32_u32_e32 v96, v96
	v_min_u32_e32 v96, 32, v96
	s_delay_alu instid0(VALU_DEP_1) | instskip(NEXT) | instid1(VALU_DEP_1)
	v_subrev_nc_u32_e32 v100, 28, v96
	v_lshlrev_b64_e32 v[101:102], v100, v[0:1]
	v_sub_nc_u32_e32 v100, 29, v96
	s_delay_alu instid0(VALU_DEP_2)
	v_and_b32_e32 v96, 7, v101
; %bb.1108:                             ;   in Loop: Header=BB292_1062 Depth=1
	s_wait_alu 0xfffe
	s_or_b32 exec_lo, exec_lo, s15
	v_lshlrev_b32_e32 v0, 8, v99
	v_lshl_add_u32 v99, v100, 10, 0x2000
	v_lshlrev_b32_e32 v96, 23, v96
	s_delay_alu instid0(VALU_DEP_2) | instskip(NEXT) | instid1(VALU_DEP_1)
	v_and_or_b32 v0, 0x8000, v0, v99
	v_lshl_or_b32 v96, v0, 16, v96
.LBB292_1109:                           ;   in Loop: Header=BB292_1062 Depth=1
	s_wait_alu 0xfffe
	s_or_b32 exec_lo, exec_lo, s14
.LBB292_1110:                           ;   in Loop: Header=BB292_1062 Depth=1
	s_wait_alu 0xfffe
	s_or_b32 exec_lo, exec_lo, s11
.LBB292_1111:                           ;   in Loop: Header=BB292_1062 Depth=1
	s_wait_alu 0xfffe
	s_or_b32 exec_lo, exec_lo, s0
	v_lshrrev_b32_e32 v0, 16, v12
	s_mov_b32 s0, exec_lo
	s_delay_alu instid0(VALU_DEP_1) | instskip(NEXT) | instid1(VALU_DEP_1)
	v_and_b32_e32 v99, 0xff, v0
	v_cmpx_ne_u16_e32 0, v99
	s_cbranch_execz .LBB292_1119
; %bb.1112:                             ;   in Loop: Header=BB292_1062 Depth=1
	v_mov_b32_e32 v86, 0x8000
	s_mov_b32 s11, exec_lo
	v_cmpx_ne_u16_e32 0x80, v99
	s_cbranch_execz .LBB292_1118
; %bb.1113:                             ;   in Loop: Header=BB292_1062 Depth=1
	v_bfe_u32 v100, v12, 16, 7
	v_mov_b32_e32 v86, 0x7c01
	s_mov_b32 s14, exec_lo
	s_delay_alu instid0(VALU_DEP_2)
	v_cmpx_ne_u32_e32 0x7f, v100
	s_cbranch_execz .LBB292_1117
; %bb.1114:                             ;   in Loop: Header=BB292_1062 Depth=1
	v_and_b32_e32 v86, 7, v0
	v_lshrrev_b32_e32 v99, 3, v100
	s_mov_b32 s15, exec_lo
	v_cmpx_gt_u32_e32 8, v100
; %bb.1115:                             ;   in Loop: Header=BB292_1062 Depth=1
	s_delay_alu instid0(VALU_DEP_3) | instskip(NEXT) | instid1(VALU_DEP_1)
	v_clz_i32_u32_e32 v86, v86
	v_min_u32_e32 v86, 32, v86
	s_delay_alu instid0(VALU_DEP_1) | instskip(NEXT) | instid1(VALU_DEP_1)
	v_subrev_nc_u32_e32 v99, 28, v86
	v_lshlrev_b64_e32 v[100:101], v99, v[0:1]
	v_sub_nc_u32_e32 v99, 29, v86
	s_delay_alu instid0(VALU_DEP_2)
	v_and_b32_e32 v86, 7, v100
; %bb.1116:                             ;   in Loop: Header=BB292_1062 Depth=1
	s_wait_alu 0xfffe
	s_or_b32 exec_lo, exec_lo, s15
	v_lshlrev_b32_e32 v0, 8, v0
	v_lshl_add_u32 v99, v99, 10, 0x2000
	v_lshlrev_b32_e32 v86, 7, v86
	s_delay_alu instid0(VALU_DEP_3) | instskip(NEXT) | instid1(VALU_DEP_3)
	v_and_b32_e32 v0, 0x8000, v0
	v_and_b32_e32 v99, 0xfc00, v99
	s_delay_alu instid0(VALU_DEP_1)
	v_or3_b32 v86, v0, v99, v86
.LBB292_1117:                           ;   in Loop: Header=BB292_1062 Depth=1
	s_wait_alu 0xfffe
	s_or_b32 exec_lo, exec_lo, s14
.LBB292_1118:                           ;   in Loop: Header=BB292_1062 Depth=1
	s_wait_alu 0xfffe
	s_or_b32 exec_lo, exec_lo, s11
.LBB292_1119:                           ;   in Loop: Header=BB292_1062 Depth=1
	s_wait_alu 0xfffe
	s_or_b32 exec_lo, exec_lo, s0
	v_cmp_lt_u64_e32 vcc_lo, s[8:9], v[11:12]
	v_mov_b32_e32 v11, 0
	s_and_saveexec_b32 s0, vcc_lo
	s_cbranch_execz .LBB292_1127
; %bb.1120:                             ;   in Loop: Header=BB292_1062 Depth=1
	v_lshrrev_b32_e32 v0, 24, v12
	v_bfrev_b32_e32 v11, 1
	s_mov_b32 s11, exec_lo
	s_delay_alu instid0(VALU_DEP_2)
	v_cmpx_ne_u32_e32 0x80, v0
	s_cbranch_execz .LBB292_1126
; %bb.1121:                             ;   in Loop: Header=BB292_1062 Depth=1
	v_and_b32_e32 v99, 0x7f, v0
	v_mov_b32_e32 v11, 0x7c010000
	s_mov_b32 s14, exec_lo
	s_delay_alu instid0(VALU_DEP_2)
	v_cmpx_ne_u32_e32 0x7f, v99
	s_cbranch_execz .LBB292_1125
; %bb.1122:                             ;   in Loop: Header=BB292_1062 Depth=1
	v_and_b32_e32 v11, 7, v0
	v_lshrrev_b32_e32 v12, 3, v99
	s_mov_b32 s15, exec_lo
	v_cmpx_gt_u32_e32 8, v99
; %bb.1123:                             ;   in Loop: Header=BB292_1062 Depth=1
	s_delay_alu instid0(VALU_DEP_3) | instskip(NEXT) | instid1(VALU_DEP_1)
	v_clz_i32_u32_e32 v11, v11
	v_min_u32_e32 v99, 32, v11
	s_delay_alu instid0(VALU_DEP_1) | instskip(NEXT) | instid1(VALU_DEP_1)
	v_subrev_nc_u32_e32 v11, 28, v99
	v_lshlrev_b64_e32 v[11:12], v11, v[0:1]
	v_sub_nc_u32_e32 v12, 29, v99
	s_delay_alu instid0(VALU_DEP_2)
	v_and_b32_e32 v11, 7, v11
; %bb.1124:                             ;   in Loop: Header=BB292_1062 Depth=1
	s_wait_alu 0xfffe
	s_or_b32 exec_lo, exec_lo, s15
	v_lshlrev_b32_e32 v0, 8, v0
	v_lshl_add_u32 v12, v12, 10, 0x2000
	v_lshlrev_b32_e32 v11, 23, v11
	s_delay_alu instid0(VALU_DEP_2) | instskip(NEXT) | instid1(VALU_DEP_1)
	v_and_or_b32 v0, 0x8000, v0, v12
	v_lshl_or_b32 v11, v0, 16, v11
.LBB292_1125:                           ;   in Loop: Header=BB292_1062 Depth=1
	s_wait_alu 0xfffe
	s_or_b32 exec_lo, exec_lo, s14
.LBB292_1126:                           ;   in Loop: Header=BB292_1062 Depth=1
	s_wait_alu 0xfffe
	s_or_b32 exec_lo, exec_lo, s11
.LBB292_1127:                           ;   in Loop: Header=BB292_1062 Depth=1
	s_wait_alu 0xfffe
	s_or_b32 exec_lo, exec_lo, s0
	v_or_b32_e32 v0, v85, v17
	s_wait_loadcnt_dscnt 0x0
	v_fma_mixlo_f16 v12, v82, v85, 0 op_sel:[0,1,0] op_sel_hi:[0,1,0]
	v_or_b32_e32 v84, v83, v84
	v_fma_mixlo_f16 v83, v82, v83, 0 op_sel:[0,1,0] op_sel_hi:[0,1,0]
	v_or_b32_e32 v85, v96, v87
	v_fma_mixlo_f16 v0, v82, v0, 0 op_sel_hi:[0,1,0]
	v_or_b32_e32 v86, v11, v86
	v_fma_mixlo_f16 v11, v82, v11, 0 op_sel:[0,1,0] op_sel_hi:[0,1,0]
	v_lshlrev_b32_e32 v113, 16, v83
	v_fma_mixlo_f16 v83, v82, v96, 0 op_sel:[0,1,0] op_sel_hi:[0,1,0]
	v_and_b32_e32 v102, 0xffff, v0
	v_fma_mixlo_f16 v0, v82, v84, 0 op_sel_hi:[0,1,0]
	v_fma_mixlo_f16 v84, v82, v85, 0 op_sel_hi:[0,1,0]
	;; [unrolled: 1-line block ×3, first 2 shown]
	v_add_nc_u32_e32 v17, v16, v48
	v_lshlrev_b32_e32 v12, 16, v12
	v_and_b32_e32 v115, 0xffff, v0
	v_lshlrev_b32_e32 v103, 16, v83
	v_and_b32_e32 v114, 0xffff, v84
	;; [unrolled: 2-line block ×3, first 2 shown]
	v_cmp_eq_u32_e32 vcc_lo, v51, v23
	v_or_b32_e32 v0, v12, v102
	v_or_b32_e32 v11, v113, v115
	;; [unrolled: 1-line block ×4, first 2 shown]
	v_add_nc_u32_e32 v96, 1, v17
	v_add_nc_u32_e32 v87, 2, v17
	;; [unrolled: 1-line block ×7, first 2 shown]
	s_and_saveexec_b32 s11, vcc_lo
	s_cbranch_execz .LBB292_1129
; %bb.1128:                             ;   in Loop: Header=BB292_1062 Depth=1
	v_cmp_lt_i32_e64 s0, v17, v34
	s_wait_alu 0xf1ff
	s_delay_alu instid0(VALU_DEP_1) | instskip(SKIP_2) | instid1(VALU_DEP_1)
	v_cndmask_b32_e64 v0, 0, v115, s0
	v_cmp_lt_i32_e64 s0, v96, v34
	s_wait_alu 0xf1ff
	v_cndmask_b32_e64 v11, 0, v113, s0
	v_cmp_lt_i32_e64 s0, v87, v34
	s_delay_alu instid0(VALU_DEP_2) | instskip(SKIP_1) | instid1(VALU_DEP_2)
	v_or_b32_e32 v11, v0, v11
	s_wait_alu 0xf1ff
	v_cndmask_b32_e64 v99, 0, v102, s0
	v_cmp_lt_i32_e64 s0, v86, v34
	s_wait_alu 0xf1ff
	s_delay_alu instid0(VALU_DEP_1) | instskip(SKIP_1) | instid1(VALU_DEP_2)
	v_cndmask_b32_e64 v12, 0, v12, s0
	v_cmp_lt_i32_e64 s0, v85, v34
	v_or_b32_e32 v0, v99, v12
	s_wait_alu 0xf1ff
	s_delay_alu instid0(VALU_DEP_2) | instskip(SKIP_2) | instid1(VALU_DEP_1)
	v_cndmask_b32_e64 v101, 0, v114, s0
	v_cmp_lt_i32_e64 s0, v84, v34
	s_wait_alu 0xf1ff
	v_cndmask_b32_e64 v102, 0, v103, s0
	v_cmp_lt_i32_e64 s0, v83, v34
	s_delay_alu instid0(VALU_DEP_2) | instskip(SKIP_1) | instid1(VALU_DEP_2)
	v_or_b32_e32 v99, v101, v102
	s_wait_alu 0xf1ff
	v_cndmask_b32_e64 v103, 0, v112, s0
	v_cmp_lt_i32_e64 s0, v82, v34
	s_wait_alu 0xf1ff
	s_delay_alu instid0(VALU_DEP_1) | instskip(NEXT) | instid1(VALU_DEP_1)
	v_cndmask_b32_e64 v100, 0, v100, s0
	v_or_b32_e32 v101, v103, v100
.LBB292_1129:                           ;   in Loop: Header=BB292_1062 Depth=1
	s_wait_alu 0xfffe
	s_or_b32 exec_lo, exec_lo, s11
	v_and_b32_e32 v12, 0xffff, v52
	v_and_b32_e32 v52, 0xffff, v80
	;; [unrolled: 1-line block ×4, first 2 shown]
	s_mov_b32 s11, exec_lo
	v_lshl_or_b32 v81, v53, 16, v12
	v_lshl_or_b32 v80, v54, 16, v52
	;;#ASMSTART
	v_pk_mul_f16 v11, v81, v11;

	;;#ASMEND
	;;#ASMSTART
	v_pk_mul_f16 v0, v80, v0;

	;;#ASMEND
	v_lshl_or_b32 v71, v71, 16, v100
	v_lshl_or_b32 v54, v97, 16, v98
	;;#ASMSTART
	v_pk_mul_f16 v12, v71, v99;

	;;#ASMEND
	;;#ASMSTART
	v_pk_mul_f16 v52, v54, v101;

	;;#ASMEND
	;;#ASMSTART
	v_pk_add_f16 v0, v11, v0;

	;;#ASMEND
	;;#ASMSTART
	v_pk_add_f16 v0, v0, v12;
	;; [unrolled: 4-line block ×3, first 2 shown]

	;;#ASMEND
	v_dual_mov_b32 v98, 0 :: v_dual_and_b32 v11, 0xffff, v0
	v_lshrrev_b32_e32 v0, 16, v0
	;;#ASMSTART
	v_cvt_f32_f16 v52, v11;
	;;#ASMEND
	;;#ASMSTART
	v_cvt_f32_f16 v53, v0;
	;;#ASMEND
	flat_load_b64 v[11:12], v[9:10] offset:256
	flat_load_b32 v97, v[26:27]
	s_wait_loadcnt_dscnt 0x101
	v_dual_mov_b32 v99, 0 :: v_dual_and_b32 v0, 0xff, v11
	s_delay_alu instid0(VALU_DEP_1)
	v_cmpx_ne_u16_e32 0, v0
	s_cbranch_execz .LBB292_1137
; %bb.1130:                             ;   in Loop: Header=BB292_1062 Depth=1
	v_mov_b32_e32 v99, 0x8000
	s_mov_b32 s14, exec_lo
	v_cmpx_ne_u16_e32 0x80, v0
	s_cbranch_execz .LBB292_1136
; %bb.1131:                             ;   in Loop: Header=BB292_1062 Depth=1
	v_and_b32_e32 v100, 0x7f, v11
	v_mov_b32_e32 v99, 0x7c01
	s_mov_b32 s15, exec_lo
	s_delay_alu instid0(VALU_DEP_2)
	v_cmpx_ne_u32_e32 0x7f, v100
	s_cbranch_execz .LBB292_1135
; %bb.1132:                             ;   in Loop: Header=BB292_1062 Depth=1
	v_and_b32_e32 v0, 7, v11
	v_lshrrev_b32_e32 v99, 3, v100
	s_mov_b32 s16, exec_lo
	v_cmpx_gt_u32_e32 8, v100
; %bb.1133:                             ;   in Loop: Header=BB292_1062 Depth=1
	s_delay_alu instid0(VALU_DEP_3) | instskip(NEXT) | instid1(VALU_DEP_1)
	v_clz_i32_u32_e32 v0, v0
	v_min_u32_e32 v0, 32, v0
	s_delay_alu instid0(VALU_DEP_1) | instskip(NEXT) | instid1(VALU_DEP_1)
	v_subrev_nc_u32_e32 v99, 28, v0
	v_lshlrev_b64_e32 v[100:101], v99, v[11:12]
	v_sub_nc_u32_e32 v99, 29, v0
	s_delay_alu instid0(VALU_DEP_2)
	v_and_b32_e32 v0, 7, v100
; %bb.1134:                             ;   in Loop: Header=BB292_1062 Depth=1
	s_wait_alu 0xfffe
	s_or_b32 exec_lo, exec_lo, s16
	v_lshlrev_b32_e32 v100, 8, v11
	v_lshl_add_u32 v99, v99, 10, 0x2000
	v_lshlrev_b32_e32 v0, 7, v0
	s_delay_alu instid0(VALU_DEP_3) | instskip(NEXT) | instid1(VALU_DEP_3)
	v_and_b32_e32 v100, 0x8000, v100
	v_and_b32_e32 v99, 0xfc00, v99
	s_delay_alu instid0(VALU_DEP_1)
	v_or3_b32 v99, v100, v99, v0
.LBB292_1135:                           ;   in Loop: Header=BB292_1062 Depth=1
	s_wait_alu 0xfffe
	s_or_b32 exec_lo, exec_lo, s15
.LBB292_1136:                           ;   in Loop: Header=BB292_1062 Depth=1
	s_wait_alu 0xfffe
	s_or_b32 exec_lo, exec_lo, s14
.LBB292_1137:                           ;   in Loop: Header=BB292_1062 Depth=1
	s_wait_alu 0xfffe
	s_or_b32 exec_lo, exec_lo, s11
	v_lshrrev_b16 v0, 8, v11
	s_mov_b32 s11, exec_lo
	s_delay_alu instid0(VALU_DEP_1)
	v_cmpx_ne_u16_e32 0, v0
	s_cbranch_execz .LBB292_1145
; %bb.1138:                             ;   in Loop: Header=BB292_1062 Depth=1
	v_bfrev_b32_e32 v98, 1
	s_mov_b32 s14, exec_lo
	v_cmpx_ne_u16_e32 0x80, v0
	s_cbranch_execz .LBB292_1144
; %bb.1139:                             ;   in Loop: Header=BB292_1062 Depth=1
	v_and_b32_e32 v100, 0xffff, v0
	v_mov_b32_e32 v98, 0x7c010000
	s_mov_b32 s15, exec_lo
	s_delay_alu instid0(VALU_DEP_2) | instskip(NEXT) | instid1(VALU_DEP_1)
	v_and_b32_e32 v102, 0x7f, v100
	v_cmpx_ne_u32_e32 0x7f, v102
	s_cbranch_execz .LBB292_1143
; %bb.1140:                             ;   in Loop: Header=BB292_1062 Depth=1
	v_and_b32_e32 v98, 7, v100
	v_lshrrev_b32_e32 v101, 3, v102
	s_mov_b32 s16, exec_lo
	v_cmpx_gt_u32_e32 8, v102
; %bb.1141:                             ;   in Loop: Header=BB292_1062 Depth=1
	s_delay_alu instid0(VALU_DEP_3) | instskip(NEXT) | instid1(VALU_DEP_1)
	v_clz_i32_u32_e32 v98, v98
	v_min_u32_e32 v98, 32, v98
	s_delay_alu instid0(VALU_DEP_1) | instskip(NEXT) | instid1(VALU_DEP_1)
	v_subrev_nc_u32_e32 v101, 28, v98
	v_lshlrev_b64_e32 v[102:103], v101, v[0:1]
	v_sub_nc_u32_e32 v101, 29, v98
	s_delay_alu instid0(VALU_DEP_2)
	v_and_b32_e32 v98, 7, v102
; %bb.1142:                             ;   in Loop: Header=BB292_1062 Depth=1
	s_wait_alu 0xfffe
	s_or_b32 exec_lo, exec_lo, s16
	v_lshlrev_b32_e32 v0, 8, v100
	v_lshl_add_u32 v100, v101, 10, 0x2000
	v_lshlrev_b32_e32 v98, 23, v98
	s_delay_alu instid0(VALU_DEP_2) | instskip(NEXT) | instid1(VALU_DEP_1)
	v_and_or_b32 v0, 0x8000, v0, v100
	v_lshl_or_b32 v98, v0, 16, v98
.LBB292_1143:                           ;   in Loop: Header=BB292_1062 Depth=1
	s_wait_alu 0xfffe
	s_or_b32 exec_lo, exec_lo, s15
.LBB292_1144:                           ;   in Loop: Header=BB292_1062 Depth=1
	s_wait_alu 0xfffe
	s_or_b32 exec_lo, exec_lo, s14
.LBB292_1145:                           ;   in Loop: Header=BB292_1062 Depth=1
	s_wait_alu 0xfffe
	s_or_b32 exec_lo, exec_lo, s11
	v_lshrrev_b32_e32 v0, 16, v11
	v_mov_b32_e32 v100, 0
	s_mov_b32 s11, exec_lo
	s_delay_alu instid0(VALU_DEP_2) | instskip(NEXT) | instid1(VALU_DEP_1)
	v_dual_mov_b32 v101, 0 :: v_dual_and_b32 v102, 0xff, v0
	v_cmpx_ne_u16_e32 0, v102
	s_cbranch_execz .LBB292_1153
; %bb.1146:                             ;   in Loop: Header=BB292_1062 Depth=1
	v_mov_b32_e32 v101, 0x8000
	s_mov_b32 s14, exec_lo
	v_cmpx_ne_u16_e32 0x80, v102
	s_cbranch_execz .LBB292_1152
; %bb.1147:                             ;   in Loop: Header=BB292_1062 Depth=1
	v_bfe_u32 v103, v11, 16, 7
	v_mov_b32_e32 v101, 0x7c01
	s_mov_b32 s15, exec_lo
	s_delay_alu instid0(VALU_DEP_2)
	v_cmpx_ne_u32_e32 0x7f, v103
	s_cbranch_execz .LBB292_1151
; %bb.1148:                             ;   in Loop: Header=BB292_1062 Depth=1
	v_and_b32_e32 v101, 7, v0
	v_lshrrev_b32_e32 v102, 3, v103
	s_mov_b32 s16, exec_lo
	v_cmpx_gt_u32_e32 8, v103
; %bb.1149:                             ;   in Loop: Header=BB292_1062 Depth=1
	s_delay_alu instid0(VALU_DEP_3) | instskip(NEXT) | instid1(VALU_DEP_1)
	v_clz_i32_u32_e32 v101, v101
	v_min_u32_e32 v103, 32, v101
	s_delay_alu instid0(VALU_DEP_1) | instskip(NEXT) | instid1(VALU_DEP_1)
	v_subrev_nc_u32_e32 v101, 28, v103
	v_lshlrev_b64_e32 v[101:102], v101, v[0:1]
	v_sub_nc_u32_e32 v102, 29, v103
	s_delay_alu instid0(VALU_DEP_2)
	v_and_b32_e32 v101, 7, v101
; %bb.1150:                             ;   in Loop: Header=BB292_1062 Depth=1
	s_wait_alu 0xfffe
	s_or_b32 exec_lo, exec_lo, s16
	v_lshlrev_b32_e32 v0, 8, v0
	v_lshl_add_u32 v102, v102, 10, 0x2000
	v_lshlrev_b32_e32 v101, 7, v101
	s_delay_alu instid0(VALU_DEP_3) | instskip(NEXT) | instid1(VALU_DEP_3)
	v_and_b32_e32 v0, 0x8000, v0
	v_and_b32_e32 v102, 0xfc00, v102
	s_delay_alu instid0(VALU_DEP_1)
	v_or3_b32 v101, v0, v102, v101
.LBB292_1151:                           ;   in Loop: Header=BB292_1062 Depth=1
	s_wait_alu 0xfffe
	s_or_b32 exec_lo, exec_lo, s15
.LBB292_1152:                           ;   in Loop: Header=BB292_1062 Depth=1
	s_wait_alu 0xfffe
	s_or_b32 exec_lo, exec_lo, s14
.LBB292_1153:                           ;   in Loop: Header=BB292_1062 Depth=1
	s_wait_alu 0xfffe
	s_or_b32 exec_lo, exec_lo, s11
	s_delay_alu instid0(SALU_CYCLE_1)
	s_mov_b32 s11, exec_lo
	v_cmpx_lt_u32_e32 0xffffff, v11
	s_cbranch_execz .LBB292_1161
; %bb.1154:                             ;   in Loop: Header=BB292_1062 Depth=1
	v_lshrrev_b32_e32 v0, 24, v11
	v_bfrev_b32_e32 v100, 1
	s_mov_b32 s14, exec_lo
	s_delay_alu instid0(VALU_DEP_2)
	v_cmpx_ne_u32_e32 0x80, v0
	s_cbranch_execz .LBB292_1160
; %bb.1155:                             ;   in Loop: Header=BB292_1062 Depth=1
	v_and_b32_e32 v103, 0x7f, v0
	v_mov_b32_e32 v100, 0x7c010000
	s_mov_b32 s15, exec_lo
	s_delay_alu instid0(VALU_DEP_2)
	v_cmpx_ne_u32_e32 0x7f, v103
	s_cbranch_execz .LBB292_1159
; %bb.1156:                             ;   in Loop: Header=BB292_1062 Depth=1
	v_and_b32_e32 v100, 7, v0
	v_lshrrev_b32_e32 v102, 3, v103
	s_mov_b32 s16, exec_lo
	v_cmpx_gt_u32_e32 8, v103
; %bb.1157:                             ;   in Loop: Header=BB292_1062 Depth=1
	s_delay_alu instid0(VALU_DEP_3) | instskip(NEXT) | instid1(VALU_DEP_1)
	v_clz_i32_u32_e32 v100, v100
	v_min_u32_e32 v100, 32, v100
	s_delay_alu instid0(VALU_DEP_1) | instskip(NEXT) | instid1(VALU_DEP_1)
	v_subrev_nc_u32_e32 v102, 28, v100
	v_lshlrev_b64_e32 v[112:113], v102, v[0:1]
	v_sub_nc_u32_e32 v102, 29, v100
	s_delay_alu instid0(VALU_DEP_2)
	v_and_b32_e32 v100, 7, v112
; %bb.1158:                             ;   in Loop: Header=BB292_1062 Depth=1
	s_wait_alu 0xfffe
	s_or_b32 exec_lo, exec_lo, s16
	v_lshlrev_b32_e32 v0, 8, v0
	v_lshl_add_u32 v102, v102, 10, 0x2000
	v_lshlrev_b32_e32 v100, 23, v100
	s_delay_alu instid0(VALU_DEP_2) | instskip(NEXT) | instid1(VALU_DEP_1)
	v_and_or_b32 v0, 0x8000, v0, v102
	v_lshl_or_b32 v100, v0, 16, v100
.LBB292_1159:                           ;   in Loop: Header=BB292_1062 Depth=1
	s_wait_alu 0xfffe
	s_or_b32 exec_lo, exec_lo, s15
.LBB292_1160:                           ;   in Loop: Header=BB292_1062 Depth=1
	s_wait_alu 0xfffe
	s_or_b32 exec_lo, exec_lo, s14
.LBB292_1161:                           ;   in Loop: Header=BB292_1062 Depth=1
	s_wait_alu 0xfffe
	s_or_b32 exec_lo, exec_lo, s11
	v_dual_mov_b32 v103, 0 :: v_dual_and_b32 v112, 0xff, v12
	v_mov_b32_e32 v0, v12
	v_mov_b32_e32 v102, 0
	s_mov_b32 s11, exec_lo
	s_delay_alu instid0(VALU_DEP_3)
	v_cmpx_ne_u16_e32 0, v112
	s_cbranch_execz .LBB292_1169
; %bb.1162:                             ;   in Loop: Header=BB292_1062 Depth=1
	v_mov_b32_e32 v103, 0x8000
	s_mov_b32 s14, exec_lo
	v_cmpx_ne_u16_e32 0x80, v112
	s_cbranch_execz .LBB292_1168
; %bb.1163:                             ;   in Loop: Header=BB292_1062 Depth=1
	v_and_b32_e32 v113, 0x7f, v12
	v_mov_b32_e32 v103, 0x7c01
	s_mov_b32 s15, exec_lo
	s_delay_alu instid0(VALU_DEP_2)
	v_cmpx_ne_u32_e32 0x7f, v113
	s_cbranch_execz .LBB292_1167
; %bb.1164:                             ;   in Loop: Header=BB292_1062 Depth=1
	v_and_b32_e32 v103, 7, v12
	v_lshrrev_b32_e32 v112, 3, v113
	s_mov_b32 s16, exec_lo
	v_cmpx_gt_u32_e32 8, v113
; %bb.1165:                             ;   in Loop: Header=BB292_1062 Depth=1
	s_delay_alu instid0(VALU_DEP_3) | instskip(NEXT) | instid1(VALU_DEP_1)
	v_clz_i32_u32_e32 v103, v103
	v_min_u32_e32 v103, 32, v103
	s_delay_alu instid0(VALU_DEP_1) | instskip(NEXT) | instid1(VALU_DEP_1)
	v_subrev_nc_u32_e32 v112, 28, v103
	v_lshlrev_b64_e32 v[113:114], v112, v[0:1]
	v_sub_nc_u32_e32 v112, 29, v103
	s_delay_alu instid0(VALU_DEP_2)
	v_and_b32_e32 v103, 7, v113
; %bb.1166:                             ;   in Loop: Header=BB292_1062 Depth=1
	s_wait_alu 0xfffe
	s_or_b32 exec_lo, exec_lo, s16
	v_lshlrev_b32_e32 v113, 8, v12
	v_lshl_add_u32 v112, v112, 10, 0x2000
	v_lshlrev_b32_e32 v103, 7, v103
	s_delay_alu instid0(VALU_DEP_3) | instskip(NEXT) | instid1(VALU_DEP_3)
	v_and_b32_e32 v113, 0x8000, v113
	v_and_b32_e32 v112, 0xfc00, v112
	s_delay_alu instid0(VALU_DEP_1)
	v_or3_b32 v103, v113, v112, v103
.LBB292_1167:                           ;   in Loop: Header=BB292_1062 Depth=1
	s_wait_alu 0xfffe
	s_or_b32 exec_lo, exec_lo, s15
.LBB292_1168:                           ;   in Loop: Header=BB292_1062 Depth=1
	s_wait_alu 0xfffe
	s_or_b32 exec_lo, exec_lo, s14
.LBB292_1169:                           ;   in Loop: Header=BB292_1062 Depth=1
	s_wait_alu 0xfffe
	s_or_b32 exec_lo, exec_lo, s11
	v_lshrrev_b16 v0, 8, v0
	v_mov_b32_e32 v112, 0
	s_mov_b32 s11, exec_lo
	s_delay_alu instid0(VALU_DEP_2)
	v_cmpx_ne_u16_e32 0, v0
	s_cbranch_execz .LBB292_1177
; %bb.1170:                             ;   in Loop: Header=BB292_1062 Depth=1
	v_bfrev_b32_e32 v112, 1
	s_mov_b32 s14, exec_lo
	v_cmpx_ne_u16_e32 0x80, v0
	s_cbranch_execz .LBB292_1176
; %bb.1171:                             ;   in Loop: Header=BB292_1062 Depth=1
	v_and_b32_e32 v113, 0xffff, v0
	v_mov_b32_e32 v112, 0x7c010000
	s_mov_b32 s15, exec_lo
	s_delay_alu instid0(VALU_DEP_2) | instskip(NEXT) | instid1(VALU_DEP_1)
	v_and_b32_e32 v115, 0x7f, v113
	v_cmpx_ne_u32_e32 0x7f, v115
	s_cbranch_execz .LBB292_1175
; %bb.1172:                             ;   in Loop: Header=BB292_1062 Depth=1
	v_and_b32_e32 v112, 7, v113
	v_lshrrev_b32_e32 v114, 3, v115
	s_mov_b32 s16, exec_lo
	v_cmpx_gt_u32_e32 8, v115
; %bb.1173:                             ;   in Loop: Header=BB292_1062 Depth=1
	s_delay_alu instid0(VALU_DEP_3) | instskip(NEXT) | instid1(VALU_DEP_1)
	v_clz_i32_u32_e32 v112, v112
	v_min_u32_e32 v112, 32, v112
	s_delay_alu instid0(VALU_DEP_1) | instskip(NEXT) | instid1(VALU_DEP_1)
	v_subrev_nc_u32_e32 v114, 28, v112
	v_lshlrev_b64_e32 v[115:116], v114, v[0:1]
	v_sub_nc_u32_e32 v114, 29, v112
	s_delay_alu instid0(VALU_DEP_2)
	v_and_b32_e32 v112, 7, v115
; %bb.1174:                             ;   in Loop: Header=BB292_1062 Depth=1
	s_wait_alu 0xfffe
	s_or_b32 exec_lo, exec_lo, s16
	v_lshlrev_b32_e32 v0, 8, v113
	v_lshl_add_u32 v113, v114, 10, 0x2000
	v_lshlrev_b32_e32 v112, 23, v112
	s_delay_alu instid0(VALU_DEP_2) | instskip(NEXT) | instid1(VALU_DEP_1)
	v_and_or_b32 v0, 0x8000, v0, v113
	v_lshl_or_b32 v112, v0, 16, v112
.LBB292_1175:                           ;   in Loop: Header=BB292_1062 Depth=1
	s_wait_alu 0xfffe
	s_or_b32 exec_lo, exec_lo, s15
.LBB292_1176:                           ;   in Loop: Header=BB292_1062 Depth=1
	s_wait_alu 0xfffe
	s_or_b32 exec_lo, exec_lo, s14
.LBB292_1177:                           ;   in Loop: Header=BB292_1062 Depth=1
	s_wait_alu 0xfffe
	s_or_b32 exec_lo, exec_lo, s11
	v_lshrrev_b32_e32 v0, 16, v12
	s_mov_b32 s11, exec_lo
	s_delay_alu instid0(VALU_DEP_1) | instskip(NEXT) | instid1(VALU_DEP_1)
	v_and_b32_e32 v113, 0xff, v0
	v_cmpx_ne_u16_e32 0, v113
	s_cbranch_execz .LBB292_1185
; %bb.1178:                             ;   in Loop: Header=BB292_1062 Depth=1
	v_mov_b32_e32 v102, 0x8000
	s_mov_b32 s14, exec_lo
	v_cmpx_ne_u16_e32 0x80, v113
	s_cbranch_execz .LBB292_1184
; %bb.1179:                             ;   in Loop: Header=BB292_1062 Depth=1
	v_bfe_u32 v114, v12, 16, 7
	v_mov_b32_e32 v102, 0x7c01
	s_mov_b32 s15, exec_lo
	s_delay_alu instid0(VALU_DEP_2)
	v_cmpx_ne_u32_e32 0x7f, v114
	s_cbranch_execz .LBB292_1183
; %bb.1180:                             ;   in Loop: Header=BB292_1062 Depth=1
	v_and_b32_e32 v102, 7, v0
	v_lshrrev_b32_e32 v113, 3, v114
	s_mov_b32 s16, exec_lo
	v_cmpx_gt_u32_e32 8, v114
; %bb.1181:                             ;   in Loop: Header=BB292_1062 Depth=1
	s_delay_alu instid0(VALU_DEP_3) | instskip(NEXT) | instid1(VALU_DEP_1)
	v_clz_i32_u32_e32 v102, v102
	v_min_u32_e32 v102, 32, v102
	s_delay_alu instid0(VALU_DEP_1) | instskip(NEXT) | instid1(VALU_DEP_1)
	v_subrev_nc_u32_e32 v113, 28, v102
	v_lshlrev_b64_e32 v[114:115], v113, v[0:1]
	v_sub_nc_u32_e32 v113, 29, v102
	s_delay_alu instid0(VALU_DEP_2)
	v_and_b32_e32 v102, 7, v114
; %bb.1182:                             ;   in Loop: Header=BB292_1062 Depth=1
	s_wait_alu 0xfffe
	s_or_b32 exec_lo, exec_lo, s16
	v_lshlrev_b32_e32 v0, 8, v0
	v_lshl_add_u32 v113, v113, 10, 0x2000
	v_lshlrev_b32_e32 v102, 7, v102
	s_delay_alu instid0(VALU_DEP_3) | instskip(NEXT) | instid1(VALU_DEP_3)
	v_and_b32_e32 v0, 0x8000, v0
	v_and_b32_e32 v113, 0xfc00, v113
	s_delay_alu instid0(VALU_DEP_1)
	v_or3_b32 v102, v0, v113, v102
.LBB292_1183:                           ;   in Loop: Header=BB292_1062 Depth=1
	s_wait_alu 0xfffe
	s_or_b32 exec_lo, exec_lo, s15
.LBB292_1184:                           ;   in Loop: Header=BB292_1062 Depth=1
	s_wait_alu 0xfffe
	s_or_b32 exec_lo, exec_lo, s14
.LBB292_1185:                           ;   in Loop: Header=BB292_1062 Depth=1
	s_wait_alu 0xfffe
	s_or_b32 exec_lo, exec_lo, s11
	v_cmp_lt_u64_e64 s0, s[8:9], v[11:12]
	v_mov_b32_e32 v11, 0
	s_and_saveexec_b32 s11, s0
	s_cbranch_execz .LBB292_1193
; %bb.1186:                             ;   in Loop: Header=BB292_1062 Depth=1
	v_lshrrev_b32_e32 v0, 24, v12
	v_bfrev_b32_e32 v11, 1
	s_mov_b32 s14, exec_lo
	s_delay_alu instid0(VALU_DEP_2)
	v_cmpx_ne_u32_e32 0x80, v0
	s_cbranch_execz .LBB292_1192
; %bb.1187:                             ;   in Loop: Header=BB292_1062 Depth=1
	v_and_b32_e32 v113, 0x7f, v0
	v_mov_b32_e32 v11, 0x7c010000
	s_mov_b32 s15, exec_lo
	s_delay_alu instid0(VALU_DEP_2)
	v_cmpx_ne_u32_e32 0x7f, v113
	s_cbranch_execz .LBB292_1191
; %bb.1188:                             ;   in Loop: Header=BB292_1062 Depth=1
	v_and_b32_e32 v11, 7, v0
	v_lshrrev_b32_e32 v12, 3, v113
	s_mov_b32 s16, exec_lo
	v_cmpx_gt_u32_e32 8, v113
; %bb.1189:                             ;   in Loop: Header=BB292_1062 Depth=1
	s_delay_alu instid0(VALU_DEP_3) | instskip(NEXT) | instid1(VALU_DEP_1)
	v_clz_i32_u32_e32 v11, v11
	v_min_u32_e32 v113, 32, v11
	s_delay_alu instid0(VALU_DEP_1) | instskip(NEXT) | instid1(VALU_DEP_1)
	v_subrev_nc_u32_e32 v11, 28, v113
	v_lshlrev_b64_e32 v[11:12], v11, v[0:1]
	v_sub_nc_u32_e32 v12, 29, v113
	s_delay_alu instid0(VALU_DEP_2)
	v_and_b32_e32 v11, 7, v11
; %bb.1190:                             ;   in Loop: Header=BB292_1062 Depth=1
	s_wait_alu 0xfffe
	s_or_b32 exec_lo, exec_lo, s16
	v_lshlrev_b32_e32 v0, 8, v0
	v_lshl_add_u32 v12, v12, 10, 0x2000
	v_lshlrev_b32_e32 v11, 23, v11
	s_delay_alu instid0(VALU_DEP_2) | instskip(NEXT) | instid1(VALU_DEP_1)
	v_and_or_b32 v0, 0x8000, v0, v12
	v_lshl_or_b32 v11, v0, 16, v11
.LBB292_1191:                           ;   in Loop: Header=BB292_1062 Depth=1
	s_wait_alu 0xfffe
	s_or_b32 exec_lo, exec_lo, s15
.LBB292_1192:                           ;   in Loop: Header=BB292_1062 Depth=1
	s_wait_alu 0xfffe
	s_or_b32 exec_lo, exec_lo, s14
.LBB292_1193:                           ;   in Loop: Header=BB292_1062 Depth=1
	s_wait_alu 0xfffe
	s_or_b32 exec_lo, exec_lo, s11
	v_or_b32_e32 v0, v100, v101
	s_wait_loadcnt_dscnt 0x0
	v_fma_mixlo_f16 v12, v97, v100, 0 op_sel:[0,1,0] op_sel_hi:[0,1,0]
	v_or_b32_e32 v100, v98, v99
	v_fma_mixlo_f16 v98, v97, v98, 0 op_sel:[0,1,0] op_sel_hi:[0,1,0]
	v_or_b32_e32 v101, v112, v103
	v_or_b32_e32 v102, v11, v102
	v_fma_mixlo_f16 v103, v97, v0, 0 op_sel_hi:[0,1,0]
	v_fma_mixlo_f16 v11, v97, v11, 0 op_sel:[0,1,0] op_sel_hi:[0,1,0]
	v_lshlrev_b32_e32 v99, 16, v98
	v_fma_mixlo_f16 v98, v97, v100, 0 op_sel_hi:[0,1,0]
	v_fma_mixlo_f16 v100, v97, v112, 0 op_sel:[0,1,0] op_sel_hi:[0,1,0]
	v_fma_mixlo_f16 v101, v97, v101, 0 op_sel_hi:[0,1,0]
	v_fma_mixlo_f16 v102, v97, v102, 0 op_sel_hi:[0,1,0]
	v_lshlrev_b32_e32 v0, 16, v12
	v_and_b32_e32 v12, 0xffff, v103
	v_and_b32_e32 v113, 0xffff, v98
	v_lshlrev_b32_e32 v97, 16, v100
	v_and_b32_e32 v101, 0xffff, v101
	v_lshlrev_b32_e32 v11, 16, v11
	v_and_b32_e32 v98, 0xffff, v102
	v_or_b32_e32 v100, v0, v12
	v_or_b32_e32 v112, v99, v113
	v_or_b32_e32 v103, v97, v101
	s_delay_alu instid0(VALU_DEP_4)
	v_or_b32_e32 v102, v11, v98
	s_and_saveexec_b32 s11, vcc_lo
	s_cbranch_execz .LBB292_1195
; %bb.1194:                             ;   in Loop: Header=BB292_1062 Depth=1
	v_cmp_lt_i32_e64 s0, v17, v34
	s_wait_alu 0xf1ff
	s_delay_alu instid0(VALU_DEP_1) | instskip(SKIP_2) | instid1(VALU_DEP_1)
	v_cndmask_b32_e64 v100, 0, v113, s0
	v_cmp_lt_i32_e64 s0, v96, v34
	s_wait_alu 0xf1ff
	v_cndmask_b32_e64 v99, 0, v99, s0
	v_cmp_lt_i32_e64 s0, v87, v34
	s_delay_alu instid0(VALU_DEP_2) | instskip(SKIP_1) | instid1(VALU_DEP_2)
	v_or_b32_e32 v112, v100, v99
	s_wait_alu 0xf1ff
	v_cndmask_b32_e64 v12, 0, v12, s0
	v_cmp_lt_i32_e64 s0, v86, v34
	s_wait_alu 0xf1ff
	s_delay_alu instid0(VALU_DEP_1) | instskip(SKIP_1) | instid1(VALU_DEP_2)
	v_cndmask_b32_e64 v0, 0, v0, s0
	v_cmp_lt_i32_e64 s0, v85, v34
	v_or_b32_e32 v100, v12, v0
	s_wait_alu 0xf1ff
	s_delay_alu instid0(VALU_DEP_2) | instskip(SKIP_2) | instid1(VALU_DEP_1)
	v_cndmask_b32_e64 v101, 0, v101, s0
	v_cmp_lt_i32_e64 s0, v84, v34
	s_wait_alu 0xf1ff
	v_cndmask_b32_e64 v97, 0, v97, s0
	v_cmp_lt_i32_e64 s0, v83, v34
	s_delay_alu instid0(VALU_DEP_2) | instskip(SKIP_1) | instid1(VALU_DEP_2)
	v_or_b32_e32 v103, v101, v97
	s_wait_alu 0xf1ff
	v_cndmask_b32_e64 v98, 0, v98, s0
	v_cmp_lt_i32_e64 s0, v82, v34
	s_wait_alu 0xf1ff
	s_delay_alu instid0(VALU_DEP_1) | instskip(NEXT) | instid1(VALU_DEP_1)
	v_cndmask_b32_e64 v11, 0, v11, s0
	v_or_b32_e32 v102, v98, v11
.LBB292_1195:                           ;   in Loop: Header=BB292_1062 Depth=1
	s_wait_alu 0xfffe
	s_or_b32 exec_lo, exec_lo, s11
	;;#ASMSTART
	v_pk_mul_f16 v0, v81, v112;

	;;#ASMEND
	;;#ASMSTART
	v_pk_mul_f16 v11, v80, v100;

	;;#ASMEND
	;; [unrolled: 4-line block ×4, first 2 shown]
	;;#ASMSTART
	v_pk_add_f16 v0, v0, v11;

	;;#ASMEND
	;;#ASMSTART
	v_pk_add_f16 v0, v0, v12;

	;;#ASMEND
	;;#ASMSTART
	v_pk_add_f16 v0, v0, v97;

	;;#ASMEND
	v_dual_mov_b32 v100, 0 :: v_dual_and_b32 v11, 0xffff, v0
	v_lshrrev_b32_e32 v0, 16, v0
	;;#ASMSTART
	v_cvt_f32_f16 v97, v11;
	;;#ASMEND
	;;#ASMSTART
	v_cvt_f32_f16 v98, v0;
	;;#ASMEND
	flat_load_b64 v[11:12], v[9:10] offset:512
	flat_load_b32 v99, v[26:27]
	s_mov_b32 s11, exec_lo
	s_wait_loadcnt_dscnt 0x101
	v_dual_mov_b32 v101, 0 :: v_dual_and_b32 v0, 0xff, v11
	s_delay_alu instid0(VALU_DEP_1)
	v_cmpx_ne_u16_e32 0, v0
	s_cbranch_execz .LBB292_1203
; %bb.1196:                             ;   in Loop: Header=BB292_1062 Depth=1
	v_mov_b32_e32 v101, 0x8000
	s_mov_b32 s14, exec_lo
	v_cmpx_ne_u16_e32 0x80, v0
	s_cbranch_execz .LBB292_1202
; %bb.1197:                             ;   in Loop: Header=BB292_1062 Depth=1
	v_and_b32_e32 v102, 0x7f, v11
	v_mov_b32_e32 v101, 0x7c01
	s_mov_b32 s15, exec_lo
	s_delay_alu instid0(VALU_DEP_2)
	v_cmpx_ne_u32_e32 0x7f, v102
	s_cbranch_execz .LBB292_1201
; %bb.1198:                             ;   in Loop: Header=BB292_1062 Depth=1
	v_and_b32_e32 v0, 7, v11
	v_lshrrev_b32_e32 v101, 3, v102
	s_mov_b32 s16, exec_lo
	v_cmpx_gt_u32_e32 8, v102
; %bb.1199:                             ;   in Loop: Header=BB292_1062 Depth=1
	s_delay_alu instid0(VALU_DEP_3) | instskip(NEXT) | instid1(VALU_DEP_1)
	v_clz_i32_u32_e32 v0, v0
	v_min_u32_e32 v0, 32, v0
	s_delay_alu instid0(VALU_DEP_1) | instskip(NEXT) | instid1(VALU_DEP_1)
	v_subrev_nc_u32_e32 v101, 28, v0
	v_lshlrev_b64_e32 v[102:103], v101, v[11:12]
	v_sub_nc_u32_e32 v101, 29, v0
	s_delay_alu instid0(VALU_DEP_2)
	v_and_b32_e32 v0, 7, v102
; %bb.1200:                             ;   in Loop: Header=BB292_1062 Depth=1
	s_wait_alu 0xfffe
	s_or_b32 exec_lo, exec_lo, s16
	v_lshlrev_b32_e32 v102, 8, v11
	v_lshl_add_u32 v101, v101, 10, 0x2000
	v_lshlrev_b32_e32 v0, 7, v0
	s_delay_alu instid0(VALU_DEP_3) | instskip(NEXT) | instid1(VALU_DEP_3)
	v_and_b32_e32 v102, 0x8000, v102
	v_and_b32_e32 v101, 0xfc00, v101
	s_delay_alu instid0(VALU_DEP_1)
	v_or3_b32 v101, v102, v101, v0
.LBB292_1201:                           ;   in Loop: Header=BB292_1062 Depth=1
	s_wait_alu 0xfffe
	s_or_b32 exec_lo, exec_lo, s15
.LBB292_1202:                           ;   in Loop: Header=BB292_1062 Depth=1
	s_wait_alu 0xfffe
	s_or_b32 exec_lo, exec_lo, s14
.LBB292_1203:                           ;   in Loop: Header=BB292_1062 Depth=1
	s_wait_alu 0xfffe
	s_or_b32 exec_lo, exec_lo, s11
	v_lshrrev_b16 v0, 8, v11
	s_mov_b32 s11, exec_lo
	s_delay_alu instid0(VALU_DEP_1)
	v_cmpx_ne_u16_e32 0, v0
	s_cbranch_execz .LBB292_1211
; %bb.1204:                             ;   in Loop: Header=BB292_1062 Depth=1
	v_bfrev_b32_e32 v100, 1
	s_mov_b32 s14, exec_lo
	v_cmpx_ne_u16_e32 0x80, v0
	s_cbranch_execz .LBB292_1210
; %bb.1205:                             ;   in Loop: Header=BB292_1062 Depth=1
	v_and_b32_e32 v102, 0xffff, v0
	v_mov_b32_e32 v100, 0x7c010000
	s_mov_b32 s15, exec_lo
	s_delay_alu instid0(VALU_DEP_2) | instskip(NEXT) | instid1(VALU_DEP_1)
	v_and_b32_e32 v112, 0x7f, v102
	v_cmpx_ne_u32_e32 0x7f, v112
	s_cbranch_execz .LBB292_1209
; %bb.1206:                             ;   in Loop: Header=BB292_1062 Depth=1
	v_and_b32_e32 v100, 7, v102
	v_lshrrev_b32_e32 v103, 3, v112
	s_mov_b32 s16, exec_lo
	v_cmpx_gt_u32_e32 8, v112
; %bb.1207:                             ;   in Loop: Header=BB292_1062 Depth=1
	s_delay_alu instid0(VALU_DEP_3) | instskip(NEXT) | instid1(VALU_DEP_1)
	v_clz_i32_u32_e32 v100, v100
	v_min_u32_e32 v100, 32, v100
	s_delay_alu instid0(VALU_DEP_1) | instskip(NEXT) | instid1(VALU_DEP_1)
	v_subrev_nc_u32_e32 v103, 28, v100
	v_lshlrev_b64_e32 v[112:113], v103, v[0:1]
	v_sub_nc_u32_e32 v103, 29, v100
	s_delay_alu instid0(VALU_DEP_2)
	v_and_b32_e32 v100, 7, v112
; %bb.1208:                             ;   in Loop: Header=BB292_1062 Depth=1
	s_wait_alu 0xfffe
	s_or_b32 exec_lo, exec_lo, s16
	v_lshlrev_b32_e32 v0, 8, v102
	v_lshl_add_u32 v102, v103, 10, 0x2000
	v_lshlrev_b32_e32 v100, 23, v100
	s_delay_alu instid0(VALU_DEP_2) | instskip(NEXT) | instid1(VALU_DEP_1)
	v_and_or_b32 v0, 0x8000, v0, v102
	v_lshl_or_b32 v100, v0, 16, v100
.LBB292_1209:                           ;   in Loop: Header=BB292_1062 Depth=1
	s_wait_alu 0xfffe
	s_or_b32 exec_lo, exec_lo, s15
.LBB292_1210:                           ;   in Loop: Header=BB292_1062 Depth=1
	s_wait_alu 0xfffe
	s_or_b32 exec_lo, exec_lo, s14
.LBB292_1211:                           ;   in Loop: Header=BB292_1062 Depth=1
	s_wait_alu 0xfffe
	s_or_b32 exec_lo, exec_lo, s11
	v_lshrrev_b32_e32 v0, 16, v11
	v_mov_b32_e32 v102, 0
	s_mov_b32 s11, exec_lo
	s_delay_alu instid0(VALU_DEP_2) | instskip(NEXT) | instid1(VALU_DEP_1)
	v_dual_mov_b32 v103, 0 :: v_dual_and_b32 v112, 0xff, v0
	v_cmpx_ne_u16_e32 0, v112
	s_cbranch_execz .LBB292_1219
; %bb.1212:                             ;   in Loop: Header=BB292_1062 Depth=1
	v_mov_b32_e32 v103, 0x8000
	s_mov_b32 s14, exec_lo
	v_cmpx_ne_u16_e32 0x80, v112
	s_cbranch_execz .LBB292_1218
; %bb.1213:                             ;   in Loop: Header=BB292_1062 Depth=1
	v_bfe_u32 v113, v11, 16, 7
	v_mov_b32_e32 v103, 0x7c01
	s_mov_b32 s15, exec_lo
	s_delay_alu instid0(VALU_DEP_2)
	v_cmpx_ne_u32_e32 0x7f, v113
	s_cbranch_execz .LBB292_1217
; %bb.1214:                             ;   in Loop: Header=BB292_1062 Depth=1
	v_and_b32_e32 v103, 7, v0
	v_lshrrev_b32_e32 v112, 3, v113
	s_mov_b32 s16, exec_lo
	v_cmpx_gt_u32_e32 8, v113
; %bb.1215:                             ;   in Loop: Header=BB292_1062 Depth=1
	s_delay_alu instid0(VALU_DEP_3) | instskip(NEXT) | instid1(VALU_DEP_1)
	v_clz_i32_u32_e32 v103, v103
	v_min_u32_e32 v103, 32, v103
	s_delay_alu instid0(VALU_DEP_1) | instskip(NEXT) | instid1(VALU_DEP_1)
	v_subrev_nc_u32_e32 v112, 28, v103
	v_lshlrev_b64_e32 v[113:114], v112, v[0:1]
	v_sub_nc_u32_e32 v112, 29, v103
	s_delay_alu instid0(VALU_DEP_2)
	v_and_b32_e32 v103, 7, v113
; %bb.1216:                             ;   in Loop: Header=BB292_1062 Depth=1
	s_wait_alu 0xfffe
	s_or_b32 exec_lo, exec_lo, s16
	v_lshlrev_b32_e32 v0, 8, v0
	v_lshl_add_u32 v112, v112, 10, 0x2000
	v_lshlrev_b32_e32 v103, 7, v103
	s_delay_alu instid0(VALU_DEP_3) | instskip(NEXT) | instid1(VALU_DEP_3)
	v_and_b32_e32 v0, 0x8000, v0
	v_and_b32_e32 v112, 0xfc00, v112
	s_delay_alu instid0(VALU_DEP_1)
	v_or3_b32 v103, v0, v112, v103
.LBB292_1217:                           ;   in Loop: Header=BB292_1062 Depth=1
	s_wait_alu 0xfffe
	s_or_b32 exec_lo, exec_lo, s15
.LBB292_1218:                           ;   in Loop: Header=BB292_1062 Depth=1
	s_wait_alu 0xfffe
	s_or_b32 exec_lo, exec_lo, s14
.LBB292_1219:                           ;   in Loop: Header=BB292_1062 Depth=1
	s_wait_alu 0xfffe
	s_or_b32 exec_lo, exec_lo, s11
	s_delay_alu instid0(SALU_CYCLE_1)
	s_mov_b32 s11, exec_lo
	v_cmpx_lt_u32_e32 0xffffff, v11
	s_cbranch_execz .LBB292_1227
; %bb.1220:                             ;   in Loop: Header=BB292_1062 Depth=1
	v_lshrrev_b32_e32 v0, 24, v11
	v_bfrev_b32_e32 v102, 1
	s_mov_b32 s14, exec_lo
	s_delay_alu instid0(VALU_DEP_2)
	v_cmpx_ne_u32_e32 0x80, v0
	s_cbranch_execz .LBB292_1226
; %bb.1221:                             ;   in Loop: Header=BB292_1062 Depth=1
	v_and_b32_e32 v113, 0x7f, v0
	v_mov_b32_e32 v102, 0x7c010000
	s_mov_b32 s15, exec_lo
	s_delay_alu instid0(VALU_DEP_2)
	v_cmpx_ne_u32_e32 0x7f, v113
	s_cbranch_execz .LBB292_1225
; %bb.1222:                             ;   in Loop: Header=BB292_1062 Depth=1
	v_and_b32_e32 v102, 7, v0
	v_lshrrev_b32_e32 v112, 3, v113
	s_mov_b32 s16, exec_lo
	v_cmpx_gt_u32_e32 8, v113
; %bb.1223:                             ;   in Loop: Header=BB292_1062 Depth=1
	s_delay_alu instid0(VALU_DEP_3) | instskip(NEXT) | instid1(VALU_DEP_1)
	v_clz_i32_u32_e32 v102, v102
	v_min_u32_e32 v102, 32, v102
	s_delay_alu instid0(VALU_DEP_1) | instskip(NEXT) | instid1(VALU_DEP_1)
	v_subrev_nc_u32_e32 v112, 28, v102
	v_lshlrev_b64_e32 v[113:114], v112, v[0:1]
	v_sub_nc_u32_e32 v112, 29, v102
	s_delay_alu instid0(VALU_DEP_2)
	v_and_b32_e32 v102, 7, v113
; %bb.1224:                             ;   in Loop: Header=BB292_1062 Depth=1
	s_wait_alu 0xfffe
	s_or_b32 exec_lo, exec_lo, s16
	v_lshlrev_b32_e32 v0, 8, v0
	v_lshl_add_u32 v112, v112, 10, 0x2000
	v_lshlrev_b32_e32 v102, 23, v102
	s_delay_alu instid0(VALU_DEP_2) | instskip(NEXT) | instid1(VALU_DEP_1)
	v_and_or_b32 v0, 0x8000, v0, v112
	v_lshl_or_b32 v102, v0, 16, v102
.LBB292_1225:                           ;   in Loop: Header=BB292_1062 Depth=1
	s_wait_alu 0xfffe
	s_or_b32 exec_lo, exec_lo, s15
.LBB292_1226:                           ;   in Loop: Header=BB292_1062 Depth=1
	s_wait_alu 0xfffe
	s_or_b32 exec_lo, exec_lo, s14
.LBB292_1227:                           ;   in Loop: Header=BB292_1062 Depth=1
	s_wait_alu 0xfffe
	s_or_b32 exec_lo, exec_lo, s11
	v_dual_mov_b32 v113, 0 :: v_dual_and_b32 v114, 0xff, v12
	v_mov_b32_e32 v0, v12
	v_mov_b32_e32 v112, 0
	s_mov_b32 s11, exec_lo
	s_delay_alu instid0(VALU_DEP_3)
	v_cmpx_ne_u16_e32 0, v114
	s_cbranch_execz .LBB292_1235
; %bb.1228:                             ;   in Loop: Header=BB292_1062 Depth=1
	v_mov_b32_e32 v113, 0x8000
	s_mov_b32 s14, exec_lo
	v_cmpx_ne_u16_e32 0x80, v114
	s_cbranch_execz .LBB292_1234
; %bb.1229:                             ;   in Loop: Header=BB292_1062 Depth=1
	v_and_b32_e32 v115, 0x7f, v12
	v_mov_b32_e32 v113, 0x7c01
	s_mov_b32 s15, exec_lo
	s_delay_alu instid0(VALU_DEP_2)
	v_cmpx_ne_u32_e32 0x7f, v115
	s_cbranch_execz .LBB292_1233
; %bb.1230:                             ;   in Loop: Header=BB292_1062 Depth=1
	v_and_b32_e32 v113, 7, v12
	v_lshrrev_b32_e32 v114, 3, v115
	s_mov_b32 s16, exec_lo
	v_cmpx_gt_u32_e32 8, v115
; %bb.1231:                             ;   in Loop: Header=BB292_1062 Depth=1
	s_delay_alu instid0(VALU_DEP_3) | instskip(NEXT) | instid1(VALU_DEP_1)
	v_clz_i32_u32_e32 v113, v113
	v_min_u32_e32 v115, 32, v113
	s_delay_alu instid0(VALU_DEP_1) | instskip(NEXT) | instid1(VALU_DEP_1)
	v_subrev_nc_u32_e32 v113, 28, v115
	v_lshlrev_b64_e32 v[113:114], v113, v[0:1]
	v_sub_nc_u32_e32 v114, 29, v115
	s_delay_alu instid0(VALU_DEP_2)
	v_and_b32_e32 v113, 7, v113
; %bb.1232:                             ;   in Loop: Header=BB292_1062 Depth=1
	s_wait_alu 0xfffe
	s_or_b32 exec_lo, exec_lo, s16
	v_lshlrev_b32_e32 v115, 8, v12
	v_lshl_add_u32 v114, v114, 10, 0x2000
	v_lshlrev_b32_e32 v113, 7, v113
	s_delay_alu instid0(VALU_DEP_3) | instskip(NEXT) | instid1(VALU_DEP_3)
	v_and_b32_e32 v115, 0x8000, v115
	v_and_b32_e32 v114, 0xfc00, v114
	s_delay_alu instid0(VALU_DEP_1)
	v_or3_b32 v113, v115, v114, v113
.LBB292_1233:                           ;   in Loop: Header=BB292_1062 Depth=1
	s_wait_alu 0xfffe
	s_or_b32 exec_lo, exec_lo, s15
.LBB292_1234:                           ;   in Loop: Header=BB292_1062 Depth=1
	s_wait_alu 0xfffe
	s_or_b32 exec_lo, exec_lo, s14
.LBB292_1235:                           ;   in Loop: Header=BB292_1062 Depth=1
	s_wait_alu 0xfffe
	s_or_b32 exec_lo, exec_lo, s11
	v_lshrrev_b16 v0, 8, v0
	v_mov_b32_e32 v114, 0
	s_mov_b32 s11, exec_lo
	s_delay_alu instid0(VALU_DEP_2)
	v_cmpx_ne_u16_e32 0, v0
	s_cbranch_execz .LBB292_1243
; %bb.1236:                             ;   in Loop: Header=BB292_1062 Depth=1
	v_bfrev_b32_e32 v114, 1
	s_mov_b32 s14, exec_lo
	v_cmpx_ne_u16_e32 0x80, v0
	s_cbranch_execz .LBB292_1242
; %bb.1237:                             ;   in Loop: Header=BB292_1062 Depth=1
	v_and_b32_e32 v115, 0xffff, v0
	v_mov_b32_e32 v114, 0x7c010000
	s_mov_b32 s15, exec_lo
	s_delay_alu instid0(VALU_DEP_2) | instskip(NEXT) | instid1(VALU_DEP_1)
	v_and_b32_e32 v117, 0x7f, v115
	v_cmpx_ne_u32_e32 0x7f, v117
	s_cbranch_execz .LBB292_1241
; %bb.1238:                             ;   in Loop: Header=BB292_1062 Depth=1
	v_and_b32_e32 v114, 7, v115
	v_lshrrev_b32_e32 v116, 3, v117
	s_mov_b32 s16, exec_lo
	v_cmpx_gt_u32_e32 8, v117
; %bb.1239:                             ;   in Loop: Header=BB292_1062 Depth=1
	s_delay_alu instid0(VALU_DEP_3) | instskip(NEXT) | instid1(VALU_DEP_1)
	v_clz_i32_u32_e32 v114, v114
	v_min_u32_e32 v114, 32, v114
	s_delay_alu instid0(VALU_DEP_1) | instskip(NEXT) | instid1(VALU_DEP_1)
	v_subrev_nc_u32_e32 v116, 28, v114
	v_lshlrev_b64_e32 v[117:118], v116, v[0:1]
	v_sub_nc_u32_e32 v116, 29, v114
	s_delay_alu instid0(VALU_DEP_2)
	v_and_b32_e32 v114, 7, v117
; %bb.1240:                             ;   in Loop: Header=BB292_1062 Depth=1
	s_wait_alu 0xfffe
	s_or_b32 exec_lo, exec_lo, s16
	v_lshlrev_b32_e32 v0, 8, v115
	v_lshl_add_u32 v115, v116, 10, 0x2000
	v_lshlrev_b32_e32 v114, 23, v114
	s_delay_alu instid0(VALU_DEP_2) | instskip(NEXT) | instid1(VALU_DEP_1)
	v_and_or_b32 v0, 0x8000, v0, v115
	v_lshl_or_b32 v114, v0, 16, v114
.LBB292_1241:                           ;   in Loop: Header=BB292_1062 Depth=1
	s_wait_alu 0xfffe
	s_or_b32 exec_lo, exec_lo, s15
.LBB292_1242:                           ;   in Loop: Header=BB292_1062 Depth=1
	s_wait_alu 0xfffe
	s_or_b32 exec_lo, exec_lo, s14
.LBB292_1243:                           ;   in Loop: Header=BB292_1062 Depth=1
	s_wait_alu 0xfffe
	s_or_b32 exec_lo, exec_lo, s11
	v_lshrrev_b32_e32 v0, 16, v12
	s_mov_b32 s11, exec_lo
	s_delay_alu instid0(VALU_DEP_1) | instskip(NEXT) | instid1(VALU_DEP_1)
	v_and_b32_e32 v115, 0xff, v0
	v_cmpx_ne_u16_e32 0, v115
	s_cbranch_execz .LBB292_1251
; %bb.1244:                             ;   in Loop: Header=BB292_1062 Depth=1
	v_mov_b32_e32 v112, 0x8000
	s_mov_b32 s14, exec_lo
	v_cmpx_ne_u16_e32 0x80, v115
	s_cbranch_execz .LBB292_1250
; %bb.1245:                             ;   in Loop: Header=BB292_1062 Depth=1
	v_bfe_u32 v116, v12, 16, 7
	v_mov_b32_e32 v112, 0x7c01
	s_mov_b32 s15, exec_lo
	s_delay_alu instid0(VALU_DEP_2)
	v_cmpx_ne_u32_e32 0x7f, v116
	s_cbranch_execz .LBB292_1249
; %bb.1246:                             ;   in Loop: Header=BB292_1062 Depth=1
	v_and_b32_e32 v112, 7, v0
	v_lshrrev_b32_e32 v115, 3, v116
	s_mov_b32 s16, exec_lo
	v_cmpx_gt_u32_e32 8, v116
; %bb.1247:                             ;   in Loop: Header=BB292_1062 Depth=1
	s_delay_alu instid0(VALU_DEP_3) | instskip(NEXT) | instid1(VALU_DEP_1)
	v_clz_i32_u32_e32 v112, v112
	v_min_u32_e32 v112, 32, v112
	s_delay_alu instid0(VALU_DEP_1) | instskip(NEXT) | instid1(VALU_DEP_1)
	v_subrev_nc_u32_e32 v115, 28, v112
	v_lshlrev_b64_e32 v[116:117], v115, v[0:1]
	v_sub_nc_u32_e32 v115, 29, v112
	s_delay_alu instid0(VALU_DEP_2)
	v_and_b32_e32 v112, 7, v116
; %bb.1248:                             ;   in Loop: Header=BB292_1062 Depth=1
	s_wait_alu 0xfffe
	s_or_b32 exec_lo, exec_lo, s16
	v_lshlrev_b32_e32 v0, 8, v0
	v_lshl_add_u32 v115, v115, 10, 0x2000
	v_lshlrev_b32_e32 v112, 7, v112
	s_delay_alu instid0(VALU_DEP_3) | instskip(NEXT) | instid1(VALU_DEP_3)
	v_and_b32_e32 v0, 0x8000, v0
	v_and_b32_e32 v115, 0xfc00, v115
	s_delay_alu instid0(VALU_DEP_1)
	v_or3_b32 v112, v0, v115, v112
.LBB292_1249:                           ;   in Loop: Header=BB292_1062 Depth=1
	s_wait_alu 0xfffe
	s_or_b32 exec_lo, exec_lo, s15
.LBB292_1250:                           ;   in Loop: Header=BB292_1062 Depth=1
	s_wait_alu 0xfffe
	s_or_b32 exec_lo, exec_lo, s14
.LBB292_1251:                           ;   in Loop: Header=BB292_1062 Depth=1
	s_wait_alu 0xfffe
	s_or_b32 exec_lo, exec_lo, s11
	v_cmp_lt_u64_e64 s0, s[8:9], v[11:12]
	v_mov_b32_e32 v11, 0
	s_and_saveexec_b32 s11, s0
	s_cbranch_execz .LBB292_1259
; %bb.1252:                             ;   in Loop: Header=BB292_1062 Depth=1
	v_lshrrev_b32_e32 v0, 24, v12
	v_bfrev_b32_e32 v11, 1
	s_mov_b32 s14, exec_lo
	s_delay_alu instid0(VALU_DEP_2)
	v_cmpx_ne_u32_e32 0x80, v0
	s_cbranch_execz .LBB292_1258
; %bb.1253:                             ;   in Loop: Header=BB292_1062 Depth=1
	v_and_b32_e32 v115, 0x7f, v0
	v_mov_b32_e32 v11, 0x7c010000
	s_mov_b32 s15, exec_lo
	s_delay_alu instid0(VALU_DEP_2)
	v_cmpx_ne_u32_e32 0x7f, v115
	s_cbranch_execz .LBB292_1257
; %bb.1254:                             ;   in Loop: Header=BB292_1062 Depth=1
	v_and_b32_e32 v11, 7, v0
	v_lshrrev_b32_e32 v12, 3, v115
	s_mov_b32 s16, exec_lo
	v_cmpx_gt_u32_e32 8, v115
; %bb.1255:                             ;   in Loop: Header=BB292_1062 Depth=1
	s_delay_alu instid0(VALU_DEP_3) | instskip(NEXT) | instid1(VALU_DEP_1)
	v_clz_i32_u32_e32 v11, v11
	v_min_u32_e32 v115, 32, v11
	s_delay_alu instid0(VALU_DEP_1) | instskip(NEXT) | instid1(VALU_DEP_1)
	v_subrev_nc_u32_e32 v11, 28, v115
	v_lshlrev_b64_e32 v[11:12], v11, v[0:1]
	v_sub_nc_u32_e32 v12, 29, v115
	s_delay_alu instid0(VALU_DEP_2)
	v_and_b32_e32 v11, 7, v11
; %bb.1256:                             ;   in Loop: Header=BB292_1062 Depth=1
	s_wait_alu 0xfffe
	s_or_b32 exec_lo, exec_lo, s16
	v_lshlrev_b32_e32 v0, 8, v0
	v_lshl_add_u32 v12, v12, 10, 0x2000
	v_lshlrev_b32_e32 v11, 23, v11
	s_delay_alu instid0(VALU_DEP_2) | instskip(NEXT) | instid1(VALU_DEP_1)
	v_and_or_b32 v0, 0x8000, v0, v12
	v_lshl_or_b32 v11, v0, 16, v11
.LBB292_1257:                           ;   in Loop: Header=BB292_1062 Depth=1
	s_wait_alu 0xfffe
	s_or_b32 exec_lo, exec_lo, s15
.LBB292_1258:                           ;   in Loop: Header=BB292_1062 Depth=1
	s_wait_alu 0xfffe
	s_or_b32 exec_lo, exec_lo, s14
.LBB292_1259:                           ;   in Loop: Header=BB292_1062 Depth=1
	s_wait_alu 0xfffe
	s_or_b32 exec_lo, exec_lo, s11
	v_or_b32_e32 v0, v102, v103
	s_wait_loadcnt_dscnt 0x0
	v_fma_mixlo_f16 v12, v99, v102, 0 op_sel:[0,1,0] op_sel_hi:[0,1,0]
	v_or_b32_e32 v102, v100, v101
	v_fma_mixlo_f16 v100, v99, v100, 0 op_sel:[0,1,0] op_sel_hi:[0,1,0]
	v_or_b32_e32 v103, v114, v113
	v_or_b32_e32 v112, v11, v112
	v_fma_mixlo_f16 v113, v99, v0, 0 op_sel_hi:[0,1,0]
	v_fma_mixlo_f16 v11, v99, v11, 0 op_sel:[0,1,0] op_sel_hi:[0,1,0]
	v_lshlrev_b32_e32 v101, 16, v100
	v_fma_mixlo_f16 v100, v99, v102, 0 op_sel_hi:[0,1,0]
	v_fma_mixlo_f16 v102, v99, v114, 0 op_sel:[0,1,0] op_sel_hi:[0,1,0]
	v_fma_mixlo_f16 v103, v99, v103, 0 op_sel_hi:[0,1,0]
	v_fma_mixlo_f16 v112, v99, v112, 0 op_sel_hi:[0,1,0]
	v_lshlrev_b32_e32 v0, 16, v12
	v_and_b32_e32 v12, 0xffff, v113
	v_and_b32_e32 v115, 0xffff, v100
	v_lshlrev_b32_e32 v99, 16, v102
	v_and_b32_e32 v103, 0xffff, v103
	v_lshlrev_b32_e32 v11, 16, v11
	v_and_b32_e32 v100, 0xffff, v112
	v_or_b32_e32 v102, v0, v12
	v_or_b32_e32 v114, v101, v115
	;; [unrolled: 1-line block ×3, first 2 shown]
	s_delay_alu instid0(VALU_DEP_4)
	v_or_b32_e32 v112, v11, v100
	s_and_saveexec_b32 s11, vcc_lo
	s_cbranch_execz .LBB292_1261
; %bb.1260:                             ;   in Loop: Header=BB292_1062 Depth=1
	v_cmp_lt_i32_e64 s0, v17, v34
	s_wait_alu 0xf1ff
	s_delay_alu instid0(VALU_DEP_1) | instskip(SKIP_2) | instid1(VALU_DEP_1)
	v_cndmask_b32_e64 v102, 0, v115, s0
	v_cmp_lt_i32_e64 s0, v96, v34
	s_wait_alu 0xf1ff
	v_cndmask_b32_e64 v101, 0, v101, s0
	v_cmp_lt_i32_e64 s0, v87, v34
	s_delay_alu instid0(VALU_DEP_2) | instskip(SKIP_1) | instid1(VALU_DEP_2)
	v_or_b32_e32 v114, v102, v101
	s_wait_alu 0xf1ff
	v_cndmask_b32_e64 v12, 0, v12, s0
	v_cmp_lt_i32_e64 s0, v86, v34
	s_wait_alu 0xf1ff
	s_delay_alu instid0(VALU_DEP_1) | instskip(SKIP_1) | instid1(VALU_DEP_2)
	v_cndmask_b32_e64 v0, 0, v0, s0
	v_cmp_lt_i32_e64 s0, v85, v34
	v_or_b32_e32 v102, v12, v0
	s_wait_alu 0xf1ff
	s_delay_alu instid0(VALU_DEP_2) | instskip(SKIP_2) | instid1(VALU_DEP_1)
	v_cndmask_b32_e64 v103, 0, v103, s0
	v_cmp_lt_i32_e64 s0, v84, v34
	s_wait_alu 0xf1ff
	v_cndmask_b32_e64 v99, 0, v99, s0
	v_cmp_lt_i32_e64 s0, v83, v34
	s_delay_alu instid0(VALU_DEP_2) | instskip(SKIP_1) | instid1(VALU_DEP_2)
	v_or_b32_e32 v113, v103, v99
	s_wait_alu 0xf1ff
	v_cndmask_b32_e64 v100, 0, v100, s0
	v_cmp_lt_i32_e64 s0, v82, v34
	s_wait_alu 0xf1ff
	s_delay_alu instid0(VALU_DEP_1) | instskip(NEXT) | instid1(VALU_DEP_1)
	v_cndmask_b32_e64 v11, 0, v11, s0
	v_or_b32_e32 v112, v100, v11
.LBB292_1261:                           ;   in Loop: Header=BB292_1062 Depth=1
	s_wait_alu 0xfffe
	s_or_b32 exec_lo, exec_lo, s11
	;;#ASMSTART
	v_pk_mul_f16 v0, v81, v114;

	;;#ASMEND
	;;#ASMSTART
	v_pk_mul_f16 v11, v80, v102;

	;;#ASMEND
	;; [unrolled: 4-line block ×4, first 2 shown]
	;;#ASMSTART
	v_pk_add_f16 v0, v0, v11;

	;;#ASMEND
	;;#ASMSTART
	v_pk_add_f16 v0, v0, v12;

	;;#ASMEND
	;; [unrolled: 4-line block ×3, first 2 shown]
	v_dual_mov_b32 v102, 0 :: v_dual_and_b32 v11, 0xffff, v0
	v_lshrrev_b32_e32 v0, 16, v0
	;;#ASMSTART
	v_cvt_f32_f16 v99, v11;
	;;#ASMEND
	;;#ASMSTART
	v_cvt_f32_f16 v100, v0;
	;;#ASMEND
	flat_load_b64 v[11:12], v[9:10] offset:768
	flat_load_b32 v101, v[26:27]
	s_mov_b32 s11, exec_lo
	s_wait_loadcnt_dscnt 0x101
	v_dual_mov_b32 v103, 0 :: v_dual_and_b32 v0, 0xff, v11
	s_delay_alu instid0(VALU_DEP_1)
	v_cmpx_ne_u16_e32 0, v0
	s_cbranch_execz .LBB292_1269
; %bb.1262:                             ;   in Loop: Header=BB292_1062 Depth=1
	v_mov_b32_e32 v103, 0x8000
	s_mov_b32 s14, exec_lo
	v_cmpx_ne_u16_e32 0x80, v0
	s_cbranch_execz .LBB292_1268
; %bb.1263:                             ;   in Loop: Header=BB292_1062 Depth=1
	v_and_b32_e32 v112, 0x7f, v11
	v_mov_b32_e32 v103, 0x7c01
	s_mov_b32 s15, exec_lo
	s_delay_alu instid0(VALU_DEP_2)
	v_cmpx_ne_u32_e32 0x7f, v112
	s_cbranch_execz .LBB292_1267
; %bb.1264:                             ;   in Loop: Header=BB292_1062 Depth=1
	v_and_b32_e32 v0, 7, v11
	v_lshrrev_b32_e32 v103, 3, v112
	s_mov_b32 s16, exec_lo
	v_cmpx_gt_u32_e32 8, v112
; %bb.1265:                             ;   in Loop: Header=BB292_1062 Depth=1
	s_delay_alu instid0(VALU_DEP_3) | instskip(NEXT) | instid1(VALU_DEP_1)
	v_clz_i32_u32_e32 v0, v0
	v_min_u32_e32 v0, 32, v0
	s_delay_alu instid0(VALU_DEP_1) | instskip(NEXT) | instid1(VALU_DEP_1)
	v_subrev_nc_u32_e32 v103, 28, v0
	v_lshlrev_b64_e32 v[112:113], v103, v[11:12]
	v_sub_nc_u32_e32 v103, 29, v0
	s_delay_alu instid0(VALU_DEP_2)
	v_and_b32_e32 v0, 7, v112
; %bb.1266:                             ;   in Loop: Header=BB292_1062 Depth=1
	s_wait_alu 0xfffe
	s_or_b32 exec_lo, exec_lo, s16
	v_lshlrev_b32_e32 v112, 8, v11
	v_lshl_add_u32 v103, v103, 10, 0x2000
	v_lshlrev_b32_e32 v0, 7, v0
	s_delay_alu instid0(VALU_DEP_3) | instskip(NEXT) | instid1(VALU_DEP_3)
	v_and_b32_e32 v112, 0x8000, v112
	v_and_b32_e32 v103, 0xfc00, v103
	s_delay_alu instid0(VALU_DEP_1)
	v_or3_b32 v103, v112, v103, v0
.LBB292_1267:                           ;   in Loop: Header=BB292_1062 Depth=1
	s_wait_alu 0xfffe
	s_or_b32 exec_lo, exec_lo, s15
.LBB292_1268:                           ;   in Loop: Header=BB292_1062 Depth=1
	s_wait_alu 0xfffe
	s_or_b32 exec_lo, exec_lo, s14
.LBB292_1269:                           ;   in Loop: Header=BB292_1062 Depth=1
	s_wait_alu 0xfffe
	s_or_b32 exec_lo, exec_lo, s11
	v_lshrrev_b16 v0, 8, v11
	s_mov_b32 s11, exec_lo
	s_delay_alu instid0(VALU_DEP_1)
	v_cmpx_ne_u16_e32 0, v0
	s_cbranch_execz .LBB292_1277
; %bb.1270:                             ;   in Loop: Header=BB292_1062 Depth=1
	v_bfrev_b32_e32 v102, 1
	s_mov_b32 s14, exec_lo
	v_cmpx_ne_u16_e32 0x80, v0
	s_cbranch_execz .LBB292_1276
; %bb.1271:                             ;   in Loop: Header=BB292_1062 Depth=1
	v_and_b32_e32 v112, 0xffff, v0
	v_mov_b32_e32 v102, 0x7c010000
	s_mov_b32 s15, exec_lo
	s_delay_alu instid0(VALU_DEP_2) | instskip(NEXT) | instid1(VALU_DEP_1)
	v_and_b32_e32 v114, 0x7f, v112
	v_cmpx_ne_u32_e32 0x7f, v114
	s_cbranch_execz .LBB292_1275
; %bb.1272:                             ;   in Loop: Header=BB292_1062 Depth=1
	v_and_b32_e32 v102, 7, v112
	v_lshrrev_b32_e32 v113, 3, v114
	s_mov_b32 s16, exec_lo
	v_cmpx_gt_u32_e32 8, v114
; %bb.1273:                             ;   in Loop: Header=BB292_1062 Depth=1
	s_delay_alu instid0(VALU_DEP_3) | instskip(NEXT) | instid1(VALU_DEP_1)
	v_clz_i32_u32_e32 v102, v102
	v_min_u32_e32 v102, 32, v102
	s_delay_alu instid0(VALU_DEP_1) | instskip(NEXT) | instid1(VALU_DEP_1)
	v_subrev_nc_u32_e32 v113, 28, v102
	v_lshlrev_b64_e32 v[114:115], v113, v[0:1]
	v_sub_nc_u32_e32 v113, 29, v102
	s_delay_alu instid0(VALU_DEP_2)
	v_and_b32_e32 v102, 7, v114
; %bb.1274:                             ;   in Loop: Header=BB292_1062 Depth=1
	s_wait_alu 0xfffe
	s_or_b32 exec_lo, exec_lo, s16
	v_lshlrev_b32_e32 v0, 8, v112
	v_lshl_add_u32 v112, v113, 10, 0x2000
	v_lshlrev_b32_e32 v102, 23, v102
	s_delay_alu instid0(VALU_DEP_2) | instskip(NEXT) | instid1(VALU_DEP_1)
	v_and_or_b32 v0, 0x8000, v0, v112
	v_lshl_or_b32 v102, v0, 16, v102
.LBB292_1275:                           ;   in Loop: Header=BB292_1062 Depth=1
	s_wait_alu 0xfffe
	s_or_b32 exec_lo, exec_lo, s15
.LBB292_1276:                           ;   in Loop: Header=BB292_1062 Depth=1
	s_wait_alu 0xfffe
	s_or_b32 exec_lo, exec_lo, s14
.LBB292_1277:                           ;   in Loop: Header=BB292_1062 Depth=1
	s_wait_alu 0xfffe
	s_or_b32 exec_lo, exec_lo, s11
	v_lshrrev_b32_e32 v0, 16, v11
	v_mov_b32_e32 v112, 0
	s_mov_b32 s11, exec_lo
	s_delay_alu instid0(VALU_DEP_2) | instskip(NEXT) | instid1(VALU_DEP_1)
	v_dual_mov_b32 v113, 0 :: v_dual_and_b32 v114, 0xff, v0
	v_cmpx_ne_u16_e32 0, v114
	s_cbranch_execz .LBB292_1285
; %bb.1278:                             ;   in Loop: Header=BB292_1062 Depth=1
	v_mov_b32_e32 v113, 0x8000
	s_mov_b32 s14, exec_lo
	v_cmpx_ne_u16_e32 0x80, v114
	s_cbranch_execz .LBB292_1284
; %bb.1279:                             ;   in Loop: Header=BB292_1062 Depth=1
	v_bfe_u32 v115, v11, 16, 7
	v_mov_b32_e32 v113, 0x7c01
	s_mov_b32 s15, exec_lo
	s_delay_alu instid0(VALU_DEP_2)
	v_cmpx_ne_u32_e32 0x7f, v115
	s_cbranch_execz .LBB292_1283
; %bb.1280:                             ;   in Loop: Header=BB292_1062 Depth=1
	v_and_b32_e32 v113, 7, v0
	v_lshrrev_b32_e32 v114, 3, v115
	s_mov_b32 s16, exec_lo
	v_cmpx_gt_u32_e32 8, v115
; %bb.1281:                             ;   in Loop: Header=BB292_1062 Depth=1
	s_delay_alu instid0(VALU_DEP_3) | instskip(NEXT) | instid1(VALU_DEP_1)
	v_clz_i32_u32_e32 v113, v113
	v_min_u32_e32 v115, 32, v113
	s_delay_alu instid0(VALU_DEP_1) | instskip(NEXT) | instid1(VALU_DEP_1)
	v_subrev_nc_u32_e32 v113, 28, v115
	v_lshlrev_b64_e32 v[113:114], v113, v[0:1]
	v_sub_nc_u32_e32 v114, 29, v115
	s_delay_alu instid0(VALU_DEP_2)
	v_and_b32_e32 v113, 7, v113
; %bb.1282:                             ;   in Loop: Header=BB292_1062 Depth=1
	s_wait_alu 0xfffe
	s_or_b32 exec_lo, exec_lo, s16
	v_lshlrev_b32_e32 v0, 8, v0
	v_lshl_add_u32 v114, v114, 10, 0x2000
	v_lshlrev_b32_e32 v113, 7, v113
	s_delay_alu instid0(VALU_DEP_3) | instskip(NEXT) | instid1(VALU_DEP_3)
	v_and_b32_e32 v0, 0x8000, v0
	v_and_b32_e32 v114, 0xfc00, v114
	s_delay_alu instid0(VALU_DEP_1)
	v_or3_b32 v113, v0, v114, v113
.LBB292_1283:                           ;   in Loop: Header=BB292_1062 Depth=1
	s_wait_alu 0xfffe
	s_or_b32 exec_lo, exec_lo, s15
.LBB292_1284:                           ;   in Loop: Header=BB292_1062 Depth=1
	s_wait_alu 0xfffe
	s_or_b32 exec_lo, exec_lo, s14
.LBB292_1285:                           ;   in Loop: Header=BB292_1062 Depth=1
	s_wait_alu 0xfffe
	s_or_b32 exec_lo, exec_lo, s11
	s_delay_alu instid0(SALU_CYCLE_1)
	s_mov_b32 s11, exec_lo
	v_cmpx_lt_u32_e32 0xffffff, v11
	s_cbranch_execz .LBB292_1293
; %bb.1286:                             ;   in Loop: Header=BB292_1062 Depth=1
	v_lshrrev_b32_e32 v0, 24, v11
	v_bfrev_b32_e32 v112, 1
	s_mov_b32 s14, exec_lo
	s_delay_alu instid0(VALU_DEP_2)
	v_cmpx_ne_u32_e32 0x80, v0
	s_cbranch_execz .LBB292_1292
; %bb.1287:                             ;   in Loop: Header=BB292_1062 Depth=1
	v_and_b32_e32 v115, 0x7f, v0
	v_mov_b32_e32 v112, 0x7c010000
	s_mov_b32 s15, exec_lo
	s_delay_alu instid0(VALU_DEP_2)
	v_cmpx_ne_u32_e32 0x7f, v115
	s_cbranch_execz .LBB292_1291
; %bb.1288:                             ;   in Loop: Header=BB292_1062 Depth=1
	v_and_b32_e32 v112, 7, v0
	v_lshrrev_b32_e32 v114, 3, v115
	s_mov_b32 s16, exec_lo
	v_cmpx_gt_u32_e32 8, v115
; %bb.1289:                             ;   in Loop: Header=BB292_1062 Depth=1
	s_delay_alu instid0(VALU_DEP_3) | instskip(NEXT) | instid1(VALU_DEP_1)
	v_clz_i32_u32_e32 v112, v112
	v_min_u32_e32 v112, 32, v112
	s_delay_alu instid0(VALU_DEP_1) | instskip(NEXT) | instid1(VALU_DEP_1)
	v_subrev_nc_u32_e32 v114, 28, v112
	v_lshlrev_b64_e32 v[115:116], v114, v[0:1]
	v_sub_nc_u32_e32 v114, 29, v112
	s_delay_alu instid0(VALU_DEP_2)
	v_and_b32_e32 v112, 7, v115
; %bb.1290:                             ;   in Loop: Header=BB292_1062 Depth=1
	s_wait_alu 0xfffe
	s_or_b32 exec_lo, exec_lo, s16
	v_lshlrev_b32_e32 v0, 8, v0
	v_lshl_add_u32 v114, v114, 10, 0x2000
	v_lshlrev_b32_e32 v112, 23, v112
	s_delay_alu instid0(VALU_DEP_2) | instskip(NEXT) | instid1(VALU_DEP_1)
	v_and_or_b32 v0, 0x8000, v0, v114
	v_lshl_or_b32 v112, v0, 16, v112
.LBB292_1291:                           ;   in Loop: Header=BB292_1062 Depth=1
	s_wait_alu 0xfffe
	s_or_b32 exec_lo, exec_lo, s15
.LBB292_1292:                           ;   in Loop: Header=BB292_1062 Depth=1
	s_wait_alu 0xfffe
	s_or_b32 exec_lo, exec_lo, s14
.LBB292_1293:                           ;   in Loop: Header=BB292_1062 Depth=1
	s_wait_alu 0xfffe
	s_or_b32 exec_lo, exec_lo, s11
	v_dual_mov_b32 v115, 0 :: v_dual_and_b32 v116, 0xff, v12
	v_mov_b32_e32 v0, v12
	v_mov_b32_e32 v114, 0
	s_mov_b32 s11, exec_lo
	s_delay_alu instid0(VALU_DEP_3)
	v_cmpx_ne_u16_e32 0, v116
	s_cbranch_execz .LBB292_1301
; %bb.1294:                             ;   in Loop: Header=BB292_1062 Depth=1
	v_mov_b32_e32 v115, 0x8000
	s_mov_b32 s14, exec_lo
	v_cmpx_ne_u16_e32 0x80, v116
	s_cbranch_execz .LBB292_1300
; %bb.1295:                             ;   in Loop: Header=BB292_1062 Depth=1
	v_and_b32_e32 v117, 0x7f, v12
	v_mov_b32_e32 v115, 0x7c01
	s_mov_b32 s15, exec_lo
	s_delay_alu instid0(VALU_DEP_2)
	v_cmpx_ne_u32_e32 0x7f, v117
	s_cbranch_execz .LBB292_1299
; %bb.1296:                             ;   in Loop: Header=BB292_1062 Depth=1
	v_and_b32_e32 v115, 7, v12
	v_lshrrev_b32_e32 v116, 3, v117
	s_mov_b32 s16, exec_lo
	v_cmpx_gt_u32_e32 8, v117
; %bb.1297:                             ;   in Loop: Header=BB292_1062 Depth=1
	s_delay_alu instid0(VALU_DEP_3) | instskip(NEXT) | instid1(VALU_DEP_1)
	v_clz_i32_u32_e32 v115, v115
	v_min_u32_e32 v117, 32, v115
	s_delay_alu instid0(VALU_DEP_1) | instskip(NEXT) | instid1(VALU_DEP_1)
	v_subrev_nc_u32_e32 v115, 28, v117
	v_lshlrev_b64_e32 v[115:116], v115, v[0:1]
	v_sub_nc_u32_e32 v116, 29, v117
	s_delay_alu instid0(VALU_DEP_2)
	v_and_b32_e32 v115, 7, v115
; %bb.1298:                             ;   in Loop: Header=BB292_1062 Depth=1
	s_wait_alu 0xfffe
	s_or_b32 exec_lo, exec_lo, s16
	v_lshlrev_b32_e32 v117, 8, v12
	v_lshl_add_u32 v116, v116, 10, 0x2000
	v_lshlrev_b32_e32 v115, 7, v115
	s_delay_alu instid0(VALU_DEP_3) | instskip(NEXT) | instid1(VALU_DEP_3)
	v_and_b32_e32 v117, 0x8000, v117
	v_and_b32_e32 v116, 0xfc00, v116
	s_delay_alu instid0(VALU_DEP_1)
	v_or3_b32 v115, v117, v116, v115
.LBB292_1299:                           ;   in Loop: Header=BB292_1062 Depth=1
	s_wait_alu 0xfffe
	s_or_b32 exec_lo, exec_lo, s15
.LBB292_1300:                           ;   in Loop: Header=BB292_1062 Depth=1
	s_wait_alu 0xfffe
	s_or_b32 exec_lo, exec_lo, s14
.LBB292_1301:                           ;   in Loop: Header=BB292_1062 Depth=1
	s_wait_alu 0xfffe
	s_or_b32 exec_lo, exec_lo, s11
	v_lshrrev_b16 v0, 8, v0
	v_mov_b32_e32 v116, 0
	s_mov_b32 s11, exec_lo
	s_delay_alu instid0(VALU_DEP_2)
	v_cmpx_ne_u16_e32 0, v0
	s_cbranch_execz .LBB292_1309
; %bb.1302:                             ;   in Loop: Header=BB292_1062 Depth=1
	v_bfrev_b32_e32 v116, 1
	s_mov_b32 s14, exec_lo
	v_cmpx_ne_u16_e32 0x80, v0
	s_cbranch_execz .LBB292_1308
; %bb.1303:                             ;   in Loop: Header=BB292_1062 Depth=1
	v_and_b32_e32 v117, 0xffff, v0
	v_mov_b32_e32 v116, 0x7c010000
	s_mov_b32 s15, exec_lo
	s_delay_alu instid0(VALU_DEP_2) | instskip(NEXT) | instid1(VALU_DEP_1)
	v_and_b32_e32 v119, 0x7f, v117
	v_cmpx_ne_u32_e32 0x7f, v119
	s_cbranch_execz .LBB292_1307
; %bb.1304:                             ;   in Loop: Header=BB292_1062 Depth=1
	v_and_b32_e32 v116, 7, v117
	v_lshrrev_b32_e32 v118, 3, v119
	s_mov_b32 s16, exec_lo
	v_cmpx_gt_u32_e32 8, v119
; %bb.1305:                             ;   in Loop: Header=BB292_1062 Depth=1
	s_delay_alu instid0(VALU_DEP_3) | instskip(NEXT) | instid1(VALU_DEP_1)
	v_clz_i32_u32_e32 v116, v116
	v_min_u32_e32 v116, 32, v116
	s_delay_alu instid0(VALU_DEP_1) | instskip(NEXT) | instid1(VALU_DEP_1)
	v_subrev_nc_u32_e32 v118, 28, v116
	v_lshlrev_b64_e32 v[128:129], v118, v[0:1]
	v_sub_nc_u32_e32 v118, 29, v116
	s_delay_alu instid0(VALU_DEP_2)
	v_and_b32_e32 v116, 7, v128
; %bb.1306:                             ;   in Loop: Header=BB292_1062 Depth=1
	s_wait_alu 0xfffe
	s_or_b32 exec_lo, exec_lo, s16
	v_lshlrev_b32_e32 v0, 8, v117
	v_lshl_add_u32 v117, v118, 10, 0x2000
	v_lshlrev_b32_e32 v116, 23, v116
	s_delay_alu instid0(VALU_DEP_2) | instskip(NEXT) | instid1(VALU_DEP_1)
	v_and_or_b32 v0, 0x8000, v0, v117
	v_lshl_or_b32 v116, v0, 16, v116
.LBB292_1307:                           ;   in Loop: Header=BB292_1062 Depth=1
	s_wait_alu 0xfffe
	s_or_b32 exec_lo, exec_lo, s15
.LBB292_1308:                           ;   in Loop: Header=BB292_1062 Depth=1
	s_wait_alu 0xfffe
	s_or_b32 exec_lo, exec_lo, s14
.LBB292_1309:                           ;   in Loop: Header=BB292_1062 Depth=1
	s_wait_alu 0xfffe
	s_or_b32 exec_lo, exec_lo, s11
	v_lshrrev_b32_e32 v0, 16, v12
	s_mov_b32 s11, exec_lo
	s_delay_alu instid0(VALU_DEP_1) | instskip(NEXT) | instid1(VALU_DEP_1)
	v_and_b32_e32 v117, 0xff, v0
	v_cmpx_ne_u16_e32 0, v117
	s_cbranch_execz .LBB292_1317
; %bb.1310:                             ;   in Loop: Header=BB292_1062 Depth=1
	v_mov_b32_e32 v114, 0x8000
	s_mov_b32 s14, exec_lo
	v_cmpx_ne_u16_e32 0x80, v117
	s_cbranch_execz .LBB292_1316
; %bb.1311:                             ;   in Loop: Header=BB292_1062 Depth=1
	v_bfe_u32 v118, v12, 16, 7
	v_mov_b32_e32 v114, 0x7c01
	s_mov_b32 s15, exec_lo
	s_delay_alu instid0(VALU_DEP_2)
	v_cmpx_ne_u32_e32 0x7f, v118
	s_cbranch_execz .LBB292_1315
; %bb.1312:                             ;   in Loop: Header=BB292_1062 Depth=1
	v_and_b32_e32 v114, 7, v0
	v_lshrrev_b32_e32 v117, 3, v118
	s_mov_b32 s16, exec_lo
	v_cmpx_gt_u32_e32 8, v118
; %bb.1313:                             ;   in Loop: Header=BB292_1062 Depth=1
	s_delay_alu instid0(VALU_DEP_3) | instskip(NEXT) | instid1(VALU_DEP_1)
	v_clz_i32_u32_e32 v114, v114
	v_min_u32_e32 v114, 32, v114
	s_delay_alu instid0(VALU_DEP_1) | instskip(NEXT) | instid1(VALU_DEP_1)
	v_subrev_nc_u32_e32 v117, 28, v114
	v_lshlrev_b64_e32 v[118:119], v117, v[0:1]
	v_sub_nc_u32_e32 v117, 29, v114
	s_delay_alu instid0(VALU_DEP_2)
	v_and_b32_e32 v114, 7, v118
; %bb.1314:                             ;   in Loop: Header=BB292_1062 Depth=1
	s_wait_alu 0xfffe
	s_or_b32 exec_lo, exec_lo, s16
	v_lshlrev_b32_e32 v0, 8, v0
	v_lshl_add_u32 v117, v117, 10, 0x2000
	v_lshlrev_b32_e32 v114, 7, v114
	s_delay_alu instid0(VALU_DEP_3) | instskip(NEXT) | instid1(VALU_DEP_3)
	v_and_b32_e32 v0, 0x8000, v0
	v_and_b32_e32 v117, 0xfc00, v117
	s_delay_alu instid0(VALU_DEP_1)
	v_or3_b32 v114, v0, v117, v114
.LBB292_1315:                           ;   in Loop: Header=BB292_1062 Depth=1
	s_wait_alu 0xfffe
	s_or_b32 exec_lo, exec_lo, s15
.LBB292_1316:                           ;   in Loop: Header=BB292_1062 Depth=1
	s_wait_alu 0xfffe
	s_or_b32 exec_lo, exec_lo, s14
.LBB292_1317:                           ;   in Loop: Header=BB292_1062 Depth=1
	s_wait_alu 0xfffe
	s_or_b32 exec_lo, exec_lo, s11
	v_cmp_lt_u64_e64 s0, s[8:9], v[11:12]
	v_mov_b32_e32 v11, 0
	s_and_saveexec_b32 s11, s0
	s_cbranch_execz .LBB292_1325
; %bb.1318:                             ;   in Loop: Header=BB292_1062 Depth=1
	v_lshrrev_b32_e32 v0, 24, v12
	v_bfrev_b32_e32 v11, 1
	s_mov_b32 s14, exec_lo
	s_delay_alu instid0(VALU_DEP_2)
	v_cmpx_ne_u32_e32 0x80, v0
	s_cbranch_execz .LBB292_1324
; %bb.1319:                             ;   in Loop: Header=BB292_1062 Depth=1
	v_and_b32_e32 v117, 0x7f, v0
	v_mov_b32_e32 v11, 0x7c010000
	s_mov_b32 s15, exec_lo
	s_delay_alu instid0(VALU_DEP_2)
	v_cmpx_ne_u32_e32 0x7f, v117
	s_cbranch_execz .LBB292_1323
; %bb.1320:                             ;   in Loop: Header=BB292_1062 Depth=1
	v_and_b32_e32 v11, 7, v0
	v_lshrrev_b32_e32 v12, 3, v117
	s_mov_b32 s16, exec_lo
	v_cmpx_gt_u32_e32 8, v117
; %bb.1321:                             ;   in Loop: Header=BB292_1062 Depth=1
	s_delay_alu instid0(VALU_DEP_3) | instskip(NEXT) | instid1(VALU_DEP_1)
	v_clz_i32_u32_e32 v11, v11
	v_min_u32_e32 v117, 32, v11
	s_delay_alu instid0(VALU_DEP_1) | instskip(NEXT) | instid1(VALU_DEP_1)
	v_subrev_nc_u32_e32 v11, 28, v117
	v_lshlrev_b64_e32 v[11:12], v11, v[0:1]
	v_sub_nc_u32_e32 v12, 29, v117
	s_delay_alu instid0(VALU_DEP_2)
	v_and_b32_e32 v11, 7, v11
; %bb.1322:                             ;   in Loop: Header=BB292_1062 Depth=1
	s_wait_alu 0xfffe
	s_or_b32 exec_lo, exec_lo, s16
	v_lshlrev_b32_e32 v0, 8, v0
	v_lshl_add_u32 v12, v12, 10, 0x2000
	v_lshlrev_b32_e32 v11, 23, v11
	s_delay_alu instid0(VALU_DEP_2) | instskip(NEXT) | instid1(VALU_DEP_1)
	v_and_or_b32 v0, 0x8000, v0, v12
	v_lshl_or_b32 v11, v0, 16, v11
.LBB292_1323:                           ;   in Loop: Header=BB292_1062 Depth=1
	s_wait_alu 0xfffe
	s_or_b32 exec_lo, exec_lo, s15
.LBB292_1324:                           ;   in Loop: Header=BB292_1062 Depth=1
	s_wait_alu 0xfffe
	s_or_b32 exec_lo, exec_lo, s14
.LBB292_1325:                           ;   in Loop: Header=BB292_1062 Depth=1
	s_wait_alu 0xfffe
	s_or_b32 exec_lo, exec_lo, s11
	v_or_b32_e32 v0, v112, v113
	s_wait_loadcnt_dscnt 0x0
	v_fma_mixlo_f16 v12, v101, v112, 0 op_sel:[0,1,0] op_sel_hi:[0,1,0]
	v_or_b32_e32 v112, v102, v103
	v_fma_mixlo_f16 v102, v101, v102, 0 op_sel:[0,1,0] op_sel_hi:[0,1,0]
	v_or_b32_e32 v113, v116, v115
	v_or_b32_e32 v114, v11, v114
	v_fma_mixlo_f16 v115, v101, v0, 0 op_sel_hi:[0,1,0]
	v_fma_mixlo_f16 v11, v101, v11, 0 op_sel:[0,1,0] op_sel_hi:[0,1,0]
	v_lshlrev_b32_e32 v103, 16, v102
	v_fma_mixlo_f16 v102, v101, v112, 0 op_sel_hi:[0,1,0]
	v_fma_mixlo_f16 v112, v101, v116, 0 op_sel:[0,1,0] op_sel_hi:[0,1,0]
	v_fma_mixlo_f16 v113, v101, v113, 0 op_sel_hi:[0,1,0]
	v_fma_mixlo_f16 v114, v101, v114, 0 op_sel_hi:[0,1,0]
	v_lshlrev_b32_e32 v0, 16, v12
	v_and_b32_e32 v12, 0xffff, v115
	v_and_b32_e32 v117, 0xffff, v102
	v_lshlrev_b32_e32 v101, 16, v112
	v_and_b32_e32 v113, 0xffff, v113
	v_lshlrev_b32_e32 v11, 16, v11
	v_and_b32_e32 v102, 0xffff, v114
	v_or_b32_e32 v112, v0, v12
	v_or_b32_e32 v116, v103, v117
	;; [unrolled: 1-line block ×3, first 2 shown]
	s_delay_alu instid0(VALU_DEP_4)
	v_or_b32_e32 v114, v11, v102
	s_and_saveexec_b32 s11, vcc_lo
	s_cbranch_execz .LBB292_1327
; %bb.1326:                             ;   in Loop: Header=BB292_1062 Depth=1
	v_cmp_lt_i32_e64 s0, v17, v34
	s_wait_alu 0xf1ff
	s_delay_alu instid0(VALU_DEP_1) | instskip(SKIP_2) | instid1(VALU_DEP_1)
	v_cndmask_b32_e64 v112, 0, v117, s0
	v_cmp_lt_i32_e64 s0, v96, v34
	s_wait_alu 0xf1ff
	v_cndmask_b32_e64 v103, 0, v103, s0
	v_cmp_lt_i32_e64 s0, v87, v34
	s_delay_alu instid0(VALU_DEP_2) | instskip(SKIP_1) | instid1(VALU_DEP_2)
	v_or_b32_e32 v116, v112, v103
	s_wait_alu 0xf1ff
	v_cndmask_b32_e64 v12, 0, v12, s0
	v_cmp_lt_i32_e64 s0, v86, v34
	s_wait_alu 0xf1ff
	s_delay_alu instid0(VALU_DEP_1) | instskip(SKIP_1) | instid1(VALU_DEP_2)
	v_cndmask_b32_e64 v0, 0, v0, s0
	v_cmp_lt_i32_e64 s0, v85, v34
	v_or_b32_e32 v112, v12, v0
	s_wait_alu 0xf1ff
	s_delay_alu instid0(VALU_DEP_2) | instskip(SKIP_2) | instid1(VALU_DEP_1)
	v_cndmask_b32_e64 v113, 0, v113, s0
	v_cmp_lt_i32_e64 s0, v84, v34
	s_wait_alu 0xf1ff
	v_cndmask_b32_e64 v101, 0, v101, s0
	v_cmp_lt_i32_e64 s0, v83, v34
	s_delay_alu instid0(VALU_DEP_2) | instskip(SKIP_1) | instid1(VALU_DEP_2)
	v_or_b32_e32 v115, v113, v101
	s_wait_alu 0xf1ff
	v_cndmask_b32_e64 v102, 0, v102, s0
	v_cmp_lt_i32_e64 s0, v82, v34
	s_wait_alu 0xf1ff
	s_delay_alu instid0(VALU_DEP_1) | instskip(NEXT) | instid1(VALU_DEP_1)
	v_cndmask_b32_e64 v11, 0, v11, s0
	v_or_b32_e32 v114, v102, v11
.LBB292_1327:                           ;   in Loop: Header=BB292_1062 Depth=1
	s_wait_alu 0xfffe
	s_or_b32 exec_lo, exec_lo, s11
	;;#ASMSTART
	v_pk_mul_f16 v0, v81, v116;

	;;#ASMEND
	;;#ASMSTART
	v_pk_mul_f16 v11, v80, v112;

	;;#ASMEND
	;; [unrolled: 4-line block ×4, first 2 shown]
	;;#ASMSTART
	v_pk_add_f16 v0, v0, v11;

	;;#ASMEND
	;;#ASMSTART
	v_pk_add_f16 v0, v0, v12;

	;;#ASMEND
	;; [unrolled: 4-line block ×3, first 2 shown]
	v_dual_mov_b32 v112, 0 :: v_dual_and_b32 v11, 0xffff, v0
	v_lshrrev_b32_e32 v0, 16, v0
	;;#ASMSTART
	v_cvt_f32_f16 v101, v11;
	;;#ASMEND
	;;#ASMSTART
	v_cvt_f32_f16 v102, v0;
	;;#ASMEND
	flat_load_b64 v[11:12], v[9:10] offset:1024
	flat_load_b32 v103, v[26:27]
	s_mov_b32 s11, exec_lo
	s_wait_loadcnt_dscnt 0x101
	v_dual_mov_b32 v113, 0 :: v_dual_and_b32 v0, 0xff, v11
	s_delay_alu instid0(VALU_DEP_1)
	v_cmpx_ne_u16_e32 0, v0
	s_cbranch_execz .LBB292_1335
; %bb.1328:                             ;   in Loop: Header=BB292_1062 Depth=1
	v_mov_b32_e32 v113, 0x8000
	s_mov_b32 s14, exec_lo
	v_cmpx_ne_u16_e32 0x80, v0
	s_cbranch_execz .LBB292_1334
; %bb.1329:                             ;   in Loop: Header=BB292_1062 Depth=1
	v_and_b32_e32 v114, 0x7f, v11
	v_mov_b32_e32 v113, 0x7c01
	s_mov_b32 s15, exec_lo
	s_delay_alu instid0(VALU_DEP_2)
	v_cmpx_ne_u32_e32 0x7f, v114
	s_cbranch_execz .LBB292_1333
; %bb.1330:                             ;   in Loop: Header=BB292_1062 Depth=1
	v_and_b32_e32 v0, 7, v11
	v_lshrrev_b32_e32 v113, 3, v114
	s_mov_b32 s16, exec_lo
	v_cmpx_gt_u32_e32 8, v114
; %bb.1331:                             ;   in Loop: Header=BB292_1062 Depth=1
	s_delay_alu instid0(VALU_DEP_3) | instskip(NEXT) | instid1(VALU_DEP_1)
	v_clz_i32_u32_e32 v0, v0
	v_min_u32_e32 v0, 32, v0
	s_delay_alu instid0(VALU_DEP_1) | instskip(NEXT) | instid1(VALU_DEP_1)
	v_subrev_nc_u32_e32 v113, 28, v0
	v_lshlrev_b64_e32 v[114:115], v113, v[11:12]
	v_sub_nc_u32_e32 v113, 29, v0
	s_delay_alu instid0(VALU_DEP_2)
	v_and_b32_e32 v0, 7, v114
; %bb.1332:                             ;   in Loop: Header=BB292_1062 Depth=1
	s_wait_alu 0xfffe
	s_or_b32 exec_lo, exec_lo, s16
	v_lshlrev_b32_e32 v114, 8, v11
	v_lshl_add_u32 v113, v113, 10, 0x2000
	v_lshlrev_b32_e32 v0, 7, v0
	s_delay_alu instid0(VALU_DEP_3) | instskip(NEXT) | instid1(VALU_DEP_3)
	v_and_b32_e32 v114, 0x8000, v114
	v_and_b32_e32 v113, 0xfc00, v113
	s_delay_alu instid0(VALU_DEP_1)
	v_or3_b32 v113, v114, v113, v0
.LBB292_1333:                           ;   in Loop: Header=BB292_1062 Depth=1
	s_wait_alu 0xfffe
	s_or_b32 exec_lo, exec_lo, s15
.LBB292_1334:                           ;   in Loop: Header=BB292_1062 Depth=1
	s_wait_alu 0xfffe
	s_or_b32 exec_lo, exec_lo, s14
.LBB292_1335:                           ;   in Loop: Header=BB292_1062 Depth=1
	s_wait_alu 0xfffe
	s_or_b32 exec_lo, exec_lo, s11
	v_lshrrev_b16 v0, 8, v11
	s_mov_b32 s11, exec_lo
	s_delay_alu instid0(VALU_DEP_1)
	v_cmpx_ne_u16_e32 0, v0
	s_cbranch_execz .LBB292_1343
; %bb.1336:                             ;   in Loop: Header=BB292_1062 Depth=1
	v_bfrev_b32_e32 v112, 1
	s_mov_b32 s14, exec_lo
	v_cmpx_ne_u16_e32 0x80, v0
	s_cbranch_execz .LBB292_1342
; %bb.1337:                             ;   in Loop: Header=BB292_1062 Depth=1
	v_and_b32_e32 v114, 0xffff, v0
	v_mov_b32_e32 v112, 0x7c010000
	s_mov_b32 s15, exec_lo
	s_delay_alu instid0(VALU_DEP_2) | instskip(NEXT) | instid1(VALU_DEP_1)
	v_and_b32_e32 v116, 0x7f, v114
	v_cmpx_ne_u32_e32 0x7f, v116
	s_cbranch_execz .LBB292_1341
; %bb.1338:                             ;   in Loop: Header=BB292_1062 Depth=1
	v_and_b32_e32 v112, 7, v114
	v_lshrrev_b32_e32 v115, 3, v116
	s_mov_b32 s16, exec_lo
	v_cmpx_gt_u32_e32 8, v116
; %bb.1339:                             ;   in Loop: Header=BB292_1062 Depth=1
	s_delay_alu instid0(VALU_DEP_3) | instskip(NEXT) | instid1(VALU_DEP_1)
	v_clz_i32_u32_e32 v112, v112
	v_min_u32_e32 v112, 32, v112
	s_delay_alu instid0(VALU_DEP_1) | instskip(NEXT) | instid1(VALU_DEP_1)
	v_subrev_nc_u32_e32 v115, 28, v112
	v_lshlrev_b64_e32 v[116:117], v115, v[0:1]
	v_sub_nc_u32_e32 v115, 29, v112
	s_delay_alu instid0(VALU_DEP_2)
	v_and_b32_e32 v112, 7, v116
; %bb.1340:                             ;   in Loop: Header=BB292_1062 Depth=1
	s_wait_alu 0xfffe
	s_or_b32 exec_lo, exec_lo, s16
	v_lshlrev_b32_e32 v0, 8, v114
	v_lshl_add_u32 v114, v115, 10, 0x2000
	v_lshlrev_b32_e32 v112, 23, v112
	s_delay_alu instid0(VALU_DEP_2) | instskip(NEXT) | instid1(VALU_DEP_1)
	v_and_or_b32 v0, 0x8000, v0, v114
	v_lshl_or_b32 v112, v0, 16, v112
.LBB292_1341:                           ;   in Loop: Header=BB292_1062 Depth=1
	s_wait_alu 0xfffe
	s_or_b32 exec_lo, exec_lo, s15
.LBB292_1342:                           ;   in Loop: Header=BB292_1062 Depth=1
	s_wait_alu 0xfffe
	s_or_b32 exec_lo, exec_lo, s14
.LBB292_1343:                           ;   in Loop: Header=BB292_1062 Depth=1
	s_wait_alu 0xfffe
	s_or_b32 exec_lo, exec_lo, s11
	v_lshrrev_b32_e32 v0, 16, v11
	v_mov_b32_e32 v114, 0
	s_mov_b32 s11, exec_lo
	s_delay_alu instid0(VALU_DEP_2) | instskip(NEXT) | instid1(VALU_DEP_1)
	v_dual_mov_b32 v115, 0 :: v_dual_and_b32 v116, 0xff, v0
	v_cmpx_ne_u16_e32 0, v116
	s_cbranch_execz .LBB292_1351
; %bb.1344:                             ;   in Loop: Header=BB292_1062 Depth=1
	v_mov_b32_e32 v115, 0x8000
	s_mov_b32 s14, exec_lo
	v_cmpx_ne_u16_e32 0x80, v116
	s_cbranch_execz .LBB292_1350
; %bb.1345:                             ;   in Loop: Header=BB292_1062 Depth=1
	v_bfe_u32 v117, v11, 16, 7
	v_mov_b32_e32 v115, 0x7c01
	s_mov_b32 s15, exec_lo
	s_delay_alu instid0(VALU_DEP_2)
	v_cmpx_ne_u32_e32 0x7f, v117
	s_cbranch_execz .LBB292_1349
; %bb.1346:                             ;   in Loop: Header=BB292_1062 Depth=1
	v_and_b32_e32 v115, 7, v0
	v_lshrrev_b32_e32 v116, 3, v117
	s_mov_b32 s16, exec_lo
	v_cmpx_gt_u32_e32 8, v117
; %bb.1347:                             ;   in Loop: Header=BB292_1062 Depth=1
	s_delay_alu instid0(VALU_DEP_3) | instskip(NEXT) | instid1(VALU_DEP_1)
	v_clz_i32_u32_e32 v115, v115
	v_min_u32_e32 v117, 32, v115
	s_delay_alu instid0(VALU_DEP_1) | instskip(NEXT) | instid1(VALU_DEP_1)
	v_subrev_nc_u32_e32 v115, 28, v117
	v_lshlrev_b64_e32 v[115:116], v115, v[0:1]
	v_sub_nc_u32_e32 v116, 29, v117
	s_delay_alu instid0(VALU_DEP_2)
	v_and_b32_e32 v115, 7, v115
; %bb.1348:                             ;   in Loop: Header=BB292_1062 Depth=1
	s_wait_alu 0xfffe
	s_or_b32 exec_lo, exec_lo, s16
	v_lshlrev_b32_e32 v0, 8, v0
	v_lshl_add_u32 v116, v116, 10, 0x2000
	v_lshlrev_b32_e32 v115, 7, v115
	s_delay_alu instid0(VALU_DEP_3) | instskip(NEXT) | instid1(VALU_DEP_3)
	v_and_b32_e32 v0, 0x8000, v0
	v_and_b32_e32 v116, 0xfc00, v116
	s_delay_alu instid0(VALU_DEP_1)
	v_or3_b32 v115, v0, v116, v115
.LBB292_1349:                           ;   in Loop: Header=BB292_1062 Depth=1
	s_wait_alu 0xfffe
	s_or_b32 exec_lo, exec_lo, s15
.LBB292_1350:                           ;   in Loop: Header=BB292_1062 Depth=1
	s_wait_alu 0xfffe
	s_or_b32 exec_lo, exec_lo, s14
.LBB292_1351:                           ;   in Loop: Header=BB292_1062 Depth=1
	s_wait_alu 0xfffe
	s_or_b32 exec_lo, exec_lo, s11
	s_delay_alu instid0(SALU_CYCLE_1)
	s_mov_b32 s11, exec_lo
	v_cmpx_lt_u32_e32 0xffffff, v11
	s_cbranch_execz .LBB292_1359
; %bb.1352:                             ;   in Loop: Header=BB292_1062 Depth=1
	v_lshrrev_b32_e32 v0, 24, v11
	v_bfrev_b32_e32 v114, 1
	s_mov_b32 s14, exec_lo
	s_delay_alu instid0(VALU_DEP_2)
	v_cmpx_ne_u32_e32 0x80, v0
	s_cbranch_execz .LBB292_1358
; %bb.1353:                             ;   in Loop: Header=BB292_1062 Depth=1
	v_and_b32_e32 v117, 0x7f, v0
	v_mov_b32_e32 v114, 0x7c010000
	s_mov_b32 s15, exec_lo
	s_delay_alu instid0(VALU_DEP_2)
	v_cmpx_ne_u32_e32 0x7f, v117
	s_cbranch_execz .LBB292_1357
; %bb.1354:                             ;   in Loop: Header=BB292_1062 Depth=1
	v_and_b32_e32 v114, 7, v0
	v_lshrrev_b32_e32 v116, 3, v117
	s_mov_b32 s16, exec_lo
	v_cmpx_gt_u32_e32 8, v117
; %bb.1355:                             ;   in Loop: Header=BB292_1062 Depth=1
	s_delay_alu instid0(VALU_DEP_3) | instskip(NEXT) | instid1(VALU_DEP_1)
	v_clz_i32_u32_e32 v114, v114
	v_min_u32_e32 v114, 32, v114
	s_delay_alu instid0(VALU_DEP_1) | instskip(NEXT) | instid1(VALU_DEP_1)
	v_subrev_nc_u32_e32 v116, 28, v114
	v_lshlrev_b64_e32 v[117:118], v116, v[0:1]
	v_sub_nc_u32_e32 v116, 29, v114
	s_delay_alu instid0(VALU_DEP_2)
	v_and_b32_e32 v114, 7, v117
; %bb.1356:                             ;   in Loop: Header=BB292_1062 Depth=1
	s_wait_alu 0xfffe
	s_or_b32 exec_lo, exec_lo, s16
	v_lshlrev_b32_e32 v0, 8, v0
	v_lshl_add_u32 v116, v116, 10, 0x2000
	v_lshlrev_b32_e32 v114, 23, v114
	s_delay_alu instid0(VALU_DEP_2) | instskip(NEXT) | instid1(VALU_DEP_1)
	v_and_or_b32 v0, 0x8000, v0, v116
	v_lshl_or_b32 v114, v0, 16, v114
.LBB292_1357:                           ;   in Loop: Header=BB292_1062 Depth=1
	s_wait_alu 0xfffe
	s_or_b32 exec_lo, exec_lo, s15
.LBB292_1358:                           ;   in Loop: Header=BB292_1062 Depth=1
	s_wait_alu 0xfffe
	s_or_b32 exec_lo, exec_lo, s14
.LBB292_1359:                           ;   in Loop: Header=BB292_1062 Depth=1
	s_wait_alu 0xfffe
	s_or_b32 exec_lo, exec_lo, s11
	v_dual_mov_b32 v117, 0 :: v_dual_and_b32 v118, 0xff, v12
	v_mov_b32_e32 v0, v12
	v_mov_b32_e32 v116, 0
	s_mov_b32 s11, exec_lo
	s_delay_alu instid0(VALU_DEP_3)
	v_cmpx_ne_u16_e32 0, v118
	s_cbranch_execz .LBB292_1367
; %bb.1360:                             ;   in Loop: Header=BB292_1062 Depth=1
	v_mov_b32_e32 v117, 0x8000
	s_mov_b32 s14, exec_lo
	v_cmpx_ne_u16_e32 0x80, v118
	s_cbranch_execz .LBB292_1366
; %bb.1361:                             ;   in Loop: Header=BB292_1062 Depth=1
	v_and_b32_e32 v119, 0x7f, v12
	v_mov_b32_e32 v117, 0x7c01
	s_mov_b32 s15, exec_lo
	s_delay_alu instid0(VALU_DEP_2)
	v_cmpx_ne_u32_e32 0x7f, v119
	s_cbranch_execz .LBB292_1365
; %bb.1362:                             ;   in Loop: Header=BB292_1062 Depth=1
	v_and_b32_e32 v117, 7, v12
	v_lshrrev_b32_e32 v118, 3, v119
	s_mov_b32 s16, exec_lo
	v_cmpx_gt_u32_e32 8, v119
; %bb.1363:                             ;   in Loop: Header=BB292_1062 Depth=1
	s_delay_alu instid0(VALU_DEP_3) | instskip(NEXT) | instid1(VALU_DEP_1)
	v_clz_i32_u32_e32 v117, v117
	v_min_u32_e32 v119, 32, v117
	s_delay_alu instid0(VALU_DEP_1) | instskip(NEXT) | instid1(VALU_DEP_1)
	v_subrev_nc_u32_e32 v117, 28, v119
	v_lshlrev_b64_e32 v[117:118], v117, v[0:1]
	v_sub_nc_u32_e32 v118, 29, v119
	s_delay_alu instid0(VALU_DEP_2)
	v_and_b32_e32 v117, 7, v117
; %bb.1364:                             ;   in Loop: Header=BB292_1062 Depth=1
	s_wait_alu 0xfffe
	s_or_b32 exec_lo, exec_lo, s16
	v_lshlrev_b32_e32 v119, 8, v12
	v_lshl_add_u32 v118, v118, 10, 0x2000
	v_lshlrev_b32_e32 v117, 7, v117
	s_delay_alu instid0(VALU_DEP_3) | instskip(NEXT) | instid1(VALU_DEP_3)
	v_and_b32_e32 v119, 0x8000, v119
	v_and_b32_e32 v118, 0xfc00, v118
	s_delay_alu instid0(VALU_DEP_1)
	v_or3_b32 v117, v119, v118, v117
.LBB292_1365:                           ;   in Loop: Header=BB292_1062 Depth=1
	s_wait_alu 0xfffe
	s_or_b32 exec_lo, exec_lo, s15
.LBB292_1366:                           ;   in Loop: Header=BB292_1062 Depth=1
	s_wait_alu 0xfffe
	s_or_b32 exec_lo, exec_lo, s14
.LBB292_1367:                           ;   in Loop: Header=BB292_1062 Depth=1
	s_wait_alu 0xfffe
	s_or_b32 exec_lo, exec_lo, s11
	v_lshrrev_b16 v0, 8, v0
	v_mov_b32_e32 v118, 0
	s_mov_b32 s11, exec_lo
	s_delay_alu instid0(VALU_DEP_2)
	v_cmpx_ne_u16_e32 0, v0
	s_cbranch_execz .LBB292_1375
; %bb.1368:                             ;   in Loop: Header=BB292_1062 Depth=1
	v_bfrev_b32_e32 v118, 1
	s_mov_b32 s14, exec_lo
	v_cmpx_ne_u16_e32 0x80, v0
	s_cbranch_execz .LBB292_1374
; %bb.1369:                             ;   in Loop: Header=BB292_1062 Depth=1
	v_and_b32_e32 v119, 0xffff, v0
	v_mov_b32_e32 v118, 0x7c010000
	s_mov_b32 s15, exec_lo
	s_delay_alu instid0(VALU_DEP_2) | instskip(NEXT) | instid1(VALU_DEP_1)
	v_and_b32_e32 v129, 0x7f, v119
	v_cmpx_ne_u32_e32 0x7f, v129
	s_cbranch_execz .LBB292_1373
; %bb.1370:                             ;   in Loop: Header=BB292_1062 Depth=1
	v_and_b32_e32 v118, 7, v119
	v_lshrrev_b32_e32 v128, 3, v129
	s_mov_b32 s16, exec_lo
	v_cmpx_gt_u32_e32 8, v129
; %bb.1371:                             ;   in Loop: Header=BB292_1062 Depth=1
	s_delay_alu instid0(VALU_DEP_3) | instskip(NEXT) | instid1(VALU_DEP_1)
	v_clz_i32_u32_e32 v118, v118
	v_min_u32_e32 v118, 32, v118
	s_delay_alu instid0(VALU_DEP_1) | instskip(NEXT) | instid1(VALU_DEP_1)
	v_subrev_nc_u32_e32 v128, 28, v118
	v_lshlrev_b64_e32 v[129:130], v128, v[0:1]
	v_sub_nc_u32_e32 v128, 29, v118
	s_delay_alu instid0(VALU_DEP_2)
	v_and_b32_e32 v118, 7, v129
; %bb.1372:                             ;   in Loop: Header=BB292_1062 Depth=1
	s_wait_alu 0xfffe
	s_or_b32 exec_lo, exec_lo, s16
	v_lshlrev_b32_e32 v0, 8, v119
	v_lshl_add_u32 v119, v128, 10, 0x2000
	v_lshlrev_b32_e32 v118, 23, v118
	s_delay_alu instid0(VALU_DEP_2) | instskip(NEXT) | instid1(VALU_DEP_1)
	v_and_or_b32 v0, 0x8000, v0, v119
	v_lshl_or_b32 v118, v0, 16, v118
.LBB292_1373:                           ;   in Loop: Header=BB292_1062 Depth=1
	s_wait_alu 0xfffe
	s_or_b32 exec_lo, exec_lo, s15
.LBB292_1374:                           ;   in Loop: Header=BB292_1062 Depth=1
	s_wait_alu 0xfffe
	s_or_b32 exec_lo, exec_lo, s14
.LBB292_1375:                           ;   in Loop: Header=BB292_1062 Depth=1
	s_wait_alu 0xfffe
	s_or_b32 exec_lo, exec_lo, s11
	v_lshrrev_b32_e32 v0, 16, v12
	s_mov_b32 s11, exec_lo
	s_delay_alu instid0(VALU_DEP_1) | instskip(NEXT) | instid1(VALU_DEP_1)
	v_and_b32_e32 v119, 0xff, v0
	v_cmpx_ne_u16_e32 0, v119
	s_cbranch_execz .LBB292_1383
; %bb.1376:                             ;   in Loop: Header=BB292_1062 Depth=1
	v_mov_b32_e32 v116, 0x8000
	s_mov_b32 s14, exec_lo
	v_cmpx_ne_u16_e32 0x80, v119
	s_cbranch_execz .LBB292_1382
; %bb.1377:                             ;   in Loop: Header=BB292_1062 Depth=1
	v_bfe_u32 v128, v12, 16, 7
	v_mov_b32_e32 v116, 0x7c01
	s_mov_b32 s15, exec_lo
	s_delay_alu instid0(VALU_DEP_2)
	v_cmpx_ne_u32_e32 0x7f, v128
	s_cbranch_execz .LBB292_1381
; %bb.1378:                             ;   in Loop: Header=BB292_1062 Depth=1
	v_and_b32_e32 v116, 7, v0
	v_lshrrev_b32_e32 v119, 3, v128
	s_mov_b32 s16, exec_lo
	v_cmpx_gt_u32_e32 8, v128
; %bb.1379:                             ;   in Loop: Header=BB292_1062 Depth=1
	s_delay_alu instid0(VALU_DEP_3) | instskip(NEXT) | instid1(VALU_DEP_1)
	v_clz_i32_u32_e32 v116, v116
	v_min_u32_e32 v116, 32, v116
	s_delay_alu instid0(VALU_DEP_1) | instskip(NEXT) | instid1(VALU_DEP_1)
	v_subrev_nc_u32_e32 v119, 28, v116
	v_lshlrev_b64_e32 v[128:129], v119, v[0:1]
	v_sub_nc_u32_e32 v119, 29, v116
	s_delay_alu instid0(VALU_DEP_2)
	v_and_b32_e32 v116, 7, v128
; %bb.1380:                             ;   in Loop: Header=BB292_1062 Depth=1
	s_wait_alu 0xfffe
	s_or_b32 exec_lo, exec_lo, s16
	v_lshlrev_b32_e32 v0, 8, v0
	v_lshl_add_u32 v119, v119, 10, 0x2000
	v_lshlrev_b32_e32 v116, 7, v116
	s_delay_alu instid0(VALU_DEP_3) | instskip(NEXT) | instid1(VALU_DEP_3)
	v_and_b32_e32 v0, 0x8000, v0
	v_and_b32_e32 v119, 0xfc00, v119
	s_delay_alu instid0(VALU_DEP_1)
	v_or3_b32 v116, v0, v119, v116
.LBB292_1381:                           ;   in Loop: Header=BB292_1062 Depth=1
	s_wait_alu 0xfffe
	s_or_b32 exec_lo, exec_lo, s15
.LBB292_1382:                           ;   in Loop: Header=BB292_1062 Depth=1
	s_wait_alu 0xfffe
	s_or_b32 exec_lo, exec_lo, s14
.LBB292_1383:                           ;   in Loop: Header=BB292_1062 Depth=1
	s_wait_alu 0xfffe
	s_or_b32 exec_lo, exec_lo, s11
	v_cmp_lt_u64_e64 s0, s[8:9], v[11:12]
	v_mov_b32_e32 v11, 0
	s_and_saveexec_b32 s11, s0
	s_cbranch_execz .LBB292_1391
; %bb.1384:                             ;   in Loop: Header=BB292_1062 Depth=1
	v_lshrrev_b32_e32 v0, 24, v12
	v_bfrev_b32_e32 v11, 1
	s_mov_b32 s14, exec_lo
	s_delay_alu instid0(VALU_DEP_2)
	v_cmpx_ne_u32_e32 0x80, v0
	s_cbranch_execz .LBB292_1390
; %bb.1385:                             ;   in Loop: Header=BB292_1062 Depth=1
	v_and_b32_e32 v119, 0x7f, v0
	v_mov_b32_e32 v11, 0x7c010000
	s_mov_b32 s15, exec_lo
	s_delay_alu instid0(VALU_DEP_2)
	v_cmpx_ne_u32_e32 0x7f, v119
	s_cbranch_execz .LBB292_1389
; %bb.1386:                             ;   in Loop: Header=BB292_1062 Depth=1
	v_and_b32_e32 v11, 7, v0
	v_lshrrev_b32_e32 v12, 3, v119
	s_mov_b32 s16, exec_lo
	v_cmpx_gt_u32_e32 8, v119
; %bb.1387:                             ;   in Loop: Header=BB292_1062 Depth=1
	s_delay_alu instid0(VALU_DEP_3) | instskip(NEXT) | instid1(VALU_DEP_1)
	v_clz_i32_u32_e32 v11, v11
	v_min_u32_e32 v119, 32, v11
	s_delay_alu instid0(VALU_DEP_1) | instskip(NEXT) | instid1(VALU_DEP_1)
	v_subrev_nc_u32_e32 v11, 28, v119
	v_lshlrev_b64_e32 v[11:12], v11, v[0:1]
	v_sub_nc_u32_e32 v12, 29, v119
	s_delay_alu instid0(VALU_DEP_2)
	v_and_b32_e32 v11, 7, v11
; %bb.1388:                             ;   in Loop: Header=BB292_1062 Depth=1
	s_wait_alu 0xfffe
	s_or_b32 exec_lo, exec_lo, s16
	v_lshlrev_b32_e32 v0, 8, v0
	v_lshl_add_u32 v12, v12, 10, 0x2000
	v_lshlrev_b32_e32 v11, 23, v11
	s_delay_alu instid0(VALU_DEP_2) | instskip(NEXT) | instid1(VALU_DEP_1)
	v_and_or_b32 v0, 0x8000, v0, v12
	v_lshl_or_b32 v11, v0, 16, v11
.LBB292_1389:                           ;   in Loop: Header=BB292_1062 Depth=1
	s_wait_alu 0xfffe
	s_or_b32 exec_lo, exec_lo, s15
.LBB292_1390:                           ;   in Loop: Header=BB292_1062 Depth=1
	s_wait_alu 0xfffe
	s_or_b32 exec_lo, exec_lo, s14
.LBB292_1391:                           ;   in Loop: Header=BB292_1062 Depth=1
	s_wait_alu 0xfffe
	s_or_b32 exec_lo, exec_lo, s11
	v_or_b32_e32 v0, v114, v115
	s_wait_loadcnt_dscnt 0x0
	v_fma_mixlo_f16 v12, v103, v114, 0 op_sel:[0,1,0] op_sel_hi:[0,1,0]
	v_or_b32_e32 v114, v112, v113
	v_fma_mixlo_f16 v112, v103, v112, 0 op_sel:[0,1,0] op_sel_hi:[0,1,0]
	v_or_b32_e32 v115, v118, v117
	v_or_b32_e32 v116, v11, v116
	v_fma_mixlo_f16 v117, v103, v0, 0 op_sel_hi:[0,1,0]
	v_fma_mixlo_f16 v11, v103, v11, 0 op_sel:[0,1,0] op_sel_hi:[0,1,0]
	v_lshlrev_b32_e32 v113, 16, v112
	v_fma_mixlo_f16 v112, v103, v114, 0 op_sel_hi:[0,1,0]
	v_fma_mixlo_f16 v114, v103, v118, 0 op_sel:[0,1,0] op_sel_hi:[0,1,0]
	v_fma_mixlo_f16 v115, v103, v115, 0 op_sel_hi:[0,1,0]
	v_fma_mixlo_f16 v116, v103, v116, 0 op_sel_hi:[0,1,0]
	v_lshlrev_b32_e32 v0, 16, v12
	v_and_b32_e32 v12, 0xffff, v117
	v_and_b32_e32 v119, 0xffff, v112
	v_lshlrev_b32_e32 v103, 16, v114
	v_and_b32_e32 v115, 0xffff, v115
	v_lshlrev_b32_e32 v11, 16, v11
	v_and_b32_e32 v112, 0xffff, v116
	v_or_b32_e32 v114, v0, v12
	v_or_b32_e32 v118, v113, v119
	;; [unrolled: 1-line block ×3, first 2 shown]
	s_delay_alu instid0(VALU_DEP_4)
	v_or_b32_e32 v116, v11, v112
	s_and_saveexec_b32 s11, vcc_lo
	s_cbranch_execz .LBB292_1393
; %bb.1392:                             ;   in Loop: Header=BB292_1062 Depth=1
	v_cmp_lt_i32_e64 s0, v17, v34
	s_wait_alu 0xf1ff
	s_delay_alu instid0(VALU_DEP_1) | instskip(SKIP_2) | instid1(VALU_DEP_1)
	v_cndmask_b32_e64 v114, 0, v119, s0
	v_cmp_lt_i32_e64 s0, v96, v34
	s_wait_alu 0xf1ff
	v_cndmask_b32_e64 v113, 0, v113, s0
	v_cmp_lt_i32_e64 s0, v87, v34
	s_delay_alu instid0(VALU_DEP_2) | instskip(SKIP_1) | instid1(VALU_DEP_2)
	v_or_b32_e32 v118, v114, v113
	s_wait_alu 0xf1ff
	v_cndmask_b32_e64 v12, 0, v12, s0
	v_cmp_lt_i32_e64 s0, v86, v34
	s_wait_alu 0xf1ff
	s_delay_alu instid0(VALU_DEP_1) | instskip(SKIP_1) | instid1(VALU_DEP_2)
	v_cndmask_b32_e64 v0, 0, v0, s0
	v_cmp_lt_i32_e64 s0, v85, v34
	v_or_b32_e32 v114, v12, v0
	s_wait_alu 0xf1ff
	s_delay_alu instid0(VALU_DEP_2) | instskip(SKIP_2) | instid1(VALU_DEP_1)
	v_cndmask_b32_e64 v115, 0, v115, s0
	v_cmp_lt_i32_e64 s0, v84, v34
	s_wait_alu 0xf1ff
	v_cndmask_b32_e64 v103, 0, v103, s0
	v_cmp_lt_i32_e64 s0, v83, v34
	s_delay_alu instid0(VALU_DEP_2) | instskip(SKIP_1) | instid1(VALU_DEP_2)
	v_or_b32_e32 v117, v115, v103
	s_wait_alu 0xf1ff
	v_cndmask_b32_e64 v112, 0, v112, s0
	v_cmp_lt_i32_e64 s0, v82, v34
	s_wait_alu 0xf1ff
	s_delay_alu instid0(VALU_DEP_1) | instskip(NEXT) | instid1(VALU_DEP_1)
	v_cndmask_b32_e64 v11, 0, v11, s0
	v_or_b32_e32 v116, v112, v11
.LBB292_1393:                           ;   in Loop: Header=BB292_1062 Depth=1
	s_wait_alu 0xfffe
	s_or_b32 exec_lo, exec_lo, s11
	;;#ASMSTART
	v_pk_mul_f16 v0, v81, v118;

	;;#ASMEND
	;;#ASMSTART
	v_pk_mul_f16 v11, v80, v114;

	;;#ASMEND
	;; [unrolled: 4-line block ×4, first 2 shown]
	;;#ASMSTART
	v_pk_add_f16 v0, v0, v11;

	;;#ASMEND
	;;#ASMSTART
	v_pk_add_f16 v0, v0, v12;

	;;#ASMEND
	;; [unrolled: 4-line block ×3, first 2 shown]
	v_dual_mov_b32 v114, 0 :: v_dual_and_b32 v11, 0xffff, v0
	v_lshrrev_b32_e32 v0, 16, v0
	;;#ASMSTART
	v_cvt_f32_f16 v103, v11;
	;;#ASMEND
	;;#ASMSTART
	v_cvt_f32_f16 v112, v0;
	;;#ASMEND
	flat_load_b64 v[11:12], v[9:10] offset:1280
	flat_load_b32 v113, v[26:27]
	s_mov_b32 s11, exec_lo
	s_wait_loadcnt_dscnt 0x101
	v_dual_mov_b32 v115, 0 :: v_dual_and_b32 v0, 0xff, v11
	s_delay_alu instid0(VALU_DEP_1)
	v_cmpx_ne_u16_e32 0, v0
	s_cbranch_execz .LBB292_1401
; %bb.1394:                             ;   in Loop: Header=BB292_1062 Depth=1
	v_mov_b32_e32 v115, 0x8000
	s_mov_b32 s14, exec_lo
	v_cmpx_ne_u16_e32 0x80, v0
	s_cbranch_execz .LBB292_1400
; %bb.1395:                             ;   in Loop: Header=BB292_1062 Depth=1
	v_and_b32_e32 v116, 0x7f, v11
	v_mov_b32_e32 v115, 0x7c01
	s_mov_b32 s15, exec_lo
	s_delay_alu instid0(VALU_DEP_2)
	v_cmpx_ne_u32_e32 0x7f, v116
	s_cbranch_execz .LBB292_1399
; %bb.1396:                             ;   in Loop: Header=BB292_1062 Depth=1
	v_and_b32_e32 v0, 7, v11
	v_lshrrev_b32_e32 v115, 3, v116
	s_mov_b32 s16, exec_lo
	v_cmpx_gt_u32_e32 8, v116
; %bb.1397:                             ;   in Loop: Header=BB292_1062 Depth=1
	s_delay_alu instid0(VALU_DEP_3) | instskip(NEXT) | instid1(VALU_DEP_1)
	v_clz_i32_u32_e32 v0, v0
	v_min_u32_e32 v0, 32, v0
	s_delay_alu instid0(VALU_DEP_1) | instskip(NEXT) | instid1(VALU_DEP_1)
	v_subrev_nc_u32_e32 v115, 28, v0
	v_lshlrev_b64_e32 v[116:117], v115, v[11:12]
	v_sub_nc_u32_e32 v115, 29, v0
	s_delay_alu instid0(VALU_DEP_2)
	v_and_b32_e32 v0, 7, v116
; %bb.1398:                             ;   in Loop: Header=BB292_1062 Depth=1
	s_wait_alu 0xfffe
	s_or_b32 exec_lo, exec_lo, s16
	v_lshlrev_b32_e32 v116, 8, v11
	v_lshl_add_u32 v115, v115, 10, 0x2000
	v_lshlrev_b32_e32 v0, 7, v0
	s_delay_alu instid0(VALU_DEP_3) | instskip(NEXT) | instid1(VALU_DEP_3)
	v_and_b32_e32 v116, 0x8000, v116
	v_and_b32_e32 v115, 0xfc00, v115
	s_delay_alu instid0(VALU_DEP_1)
	v_or3_b32 v115, v116, v115, v0
.LBB292_1399:                           ;   in Loop: Header=BB292_1062 Depth=1
	s_wait_alu 0xfffe
	s_or_b32 exec_lo, exec_lo, s15
.LBB292_1400:                           ;   in Loop: Header=BB292_1062 Depth=1
	s_wait_alu 0xfffe
	s_or_b32 exec_lo, exec_lo, s14
.LBB292_1401:                           ;   in Loop: Header=BB292_1062 Depth=1
	s_wait_alu 0xfffe
	s_or_b32 exec_lo, exec_lo, s11
	v_lshrrev_b16 v0, 8, v11
	s_mov_b32 s11, exec_lo
	s_delay_alu instid0(VALU_DEP_1)
	v_cmpx_ne_u16_e32 0, v0
	s_cbranch_execz .LBB292_1409
; %bb.1402:                             ;   in Loop: Header=BB292_1062 Depth=1
	v_bfrev_b32_e32 v114, 1
	s_mov_b32 s14, exec_lo
	v_cmpx_ne_u16_e32 0x80, v0
	s_cbranch_execz .LBB292_1408
; %bb.1403:                             ;   in Loop: Header=BB292_1062 Depth=1
	v_and_b32_e32 v116, 0xffff, v0
	v_mov_b32_e32 v114, 0x7c010000
	s_mov_b32 s15, exec_lo
	s_delay_alu instid0(VALU_DEP_2) | instskip(NEXT) | instid1(VALU_DEP_1)
	v_and_b32_e32 v118, 0x7f, v116
	v_cmpx_ne_u32_e32 0x7f, v118
	s_cbranch_execz .LBB292_1407
; %bb.1404:                             ;   in Loop: Header=BB292_1062 Depth=1
	v_and_b32_e32 v114, 7, v116
	v_lshrrev_b32_e32 v117, 3, v118
	s_mov_b32 s16, exec_lo
	v_cmpx_gt_u32_e32 8, v118
; %bb.1405:                             ;   in Loop: Header=BB292_1062 Depth=1
	s_delay_alu instid0(VALU_DEP_3) | instskip(NEXT) | instid1(VALU_DEP_1)
	v_clz_i32_u32_e32 v114, v114
	v_min_u32_e32 v114, 32, v114
	s_delay_alu instid0(VALU_DEP_1) | instskip(NEXT) | instid1(VALU_DEP_1)
	v_subrev_nc_u32_e32 v117, 28, v114
	v_lshlrev_b64_e32 v[118:119], v117, v[0:1]
	v_sub_nc_u32_e32 v117, 29, v114
	s_delay_alu instid0(VALU_DEP_2)
	v_and_b32_e32 v114, 7, v118
; %bb.1406:                             ;   in Loop: Header=BB292_1062 Depth=1
	s_wait_alu 0xfffe
	s_or_b32 exec_lo, exec_lo, s16
	v_lshlrev_b32_e32 v0, 8, v116
	v_lshl_add_u32 v116, v117, 10, 0x2000
	v_lshlrev_b32_e32 v114, 23, v114
	s_delay_alu instid0(VALU_DEP_2) | instskip(NEXT) | instid1(VALU_DEP_1)
	v_and_or_b32 v0, 0x8000, v0, v116
	v_lshl_or_b32 v114, v0, 16, v114
.LBB292_1407:                           ;   in Loop: Header=BB292_1062 Depth=1
	s_wait_alu 0xfffe
	s_or_b32 exec_lo, exec_lo, s15
.LBB292_1408:                           ;   in Loop: Header=BB292_1062 Depth=1
	s_wait_alu 0xfffe
	s_or_b32 exec_lo, exec_lo, s14
.LBB292_1409:                           ;   in Loop: Header=BB292_1062 Depth=1
	s_wait_alu 0xfffe
	s_or_b32 exec_lo, exec_lo, s11
	v_lshrrev_b32_e32 v0, 16, v11
	v_mov_b32_e32 v116, 0
	s_mov_b32 s11, exec_lo
	s_delay_alu instid0(VALU_DEP_2) | instskip(NEXT) | instid1(VALU_DEP_1)
	v_dual_mov_b32 v117, 0 :: v_dual_and_b32 v118, 0xff, v0
	v_cmpx_ne_u16_e32 0, v118
	s_cbranch_execz .LBB292_1417
; %bb.1410:                             ;   in Loop: Header=BB292_1062 Depth=1
	v_mov_b32_e32 v117, 0x8000
	s_mov_b32 s14, exec_lo
	v_cmpx_ne_u16_e32 0x80, v118
	s_cbranch_execz .LBB292_1416
; %bb.1411:                             ;   in Loop: Header=BB292_1062 Depth=1
	v_bfe_u32 v119, v11, 16, 7
	v_mov_b32_e32 v117, 0x7c01
	s_mov_b32 s15, exec_lo
	s_delay_alu instid0(VALU_DEP_2)
	v_cmpx_ne_u32_e32 0x7f, v119
	s_cbranch_execz .LBB292_1415
; %bb.1412:                             ;   in Loop: Header=BB292_1062 Depth=1
	v_and_b32_e32 v117, 7, v0
	v_lshrrev_b32_e32 v118, 3, v119
	s_mov_b32 s16, exec_lo
	v_cmpx_gt_u32_e32 8, v119
; %bb.1413:                             ;   in Loop: Header=BB292_1062 Depth=1
	s_delay_alu instid0(VALU_DEP_3) | instskip(NEXT) | instid1(VALU_DEP_1)
	v_clz_i32_u32_e32 v117, v117
	v_min_u32_e32 v119, 32, v117
	s_delay_alu instid0(VALU_DEP_1) | instskip(NEXT) | instid1(VALU_DEP_1)
	v_subrev_nc_u32_e32 v117, 28, v119
	v_lshlrev_b64_e32 v[117:118], v117, v[0:1]
	v_sub_nc_u32_e32 v118, 29, v119
	s_delay_alu instid0(VALU_DEP_2)
	v_and_b32_e32 v117, 7, v117
; %bb.1414:                             ;   in Loop: Header=BB292_1062 Depth=1
	s_wait_alu 0xfffe
	s_or_b32 exec_lo, exec_lo, s16
	v_lshlrev_b32_e32 v0, 8, v0
	v_lshl_add_u32 v118, v118, 10, 0x2000
	v_lshlrev_b32_e32 v117, 7, v117
	s_delay_alu instid0(VALU_DEP_3) | instskip(NEXT) | instid1(VALU_DEP_3)
	v_and_b32_e32 v0, 0x8000, v0
	v_and_b32_e32 v118, 0xfc00, v118
	s_delay_alu instid0(VALU_DEP_1)
	v_or3_b32 v117, v0, v118, v117
.LBB292_1415:                           ;   in Loop: Header=BB292_1062 Depth=1
	s_wait_alu 0xfffe
	s_or_b32 exec_lo, exec_lo, s15
.LBB292_1416:                           ;   in Loop: Header=BB292_1062 Depth=1
	s_wait_alu 0xfffe
	s_or_b32 exec_lo, exec_lo, s14
.LBB292_1417:                           ;   in Loop: Header=BB292_1062 Depth=1
	s_wait_alu 0xfffe
	s_or_b32 exec_lo, exec_lo, s11
	s_delay_alu instid0(SALU_CYCLE_1)
	s_mov_b32 s11, exec_lo
	v_cmpx_lt_u32_e32 0xffffff, v11
	s_cbranch_execz .LBB292_1425
; %bb.1418:                             ;   in Loop: Header=BB292_1062 Depth=1
	v_lshrrev_b32_e32 v0, 24, v11
	v_bfrev_b32_e32 v116, 1
	s_mov_b32 s14, exec_lo
	s_delay_alu instid0(VALU_DEP_2)
	v_cmpx_ne_u32_e32 0x80, v0
	s_cbranch_execz .LBB292_1424
; %bb.1419:                             ;   in Loop: Header=BB292_1062 Depth=1
	v_and_b32_e32 v119, 0x7f, v0
	v_mov_b32_e32 v116, 0x7c010000
	s_mov_b32 s15, exec_lo
	s_delay_alu instid0(VALU_DEP_2)
	v_cmpx_ne_u32_e32 0x7f, v119
	s_cbranch_execz .LBB292_1423
; %bb.1420:                             ;   in Loop: Header=BB292_1062 Depth=1
	v_and_b32_e32 v116, 7, v0
	v_lshrrev_b32_e32 v118, 3, v119
	s_mov_b32 s16, exec_lo
	v_cmpx_gt_u32_e32 8, v119
; %bb.1421:                             ;   in Loop: Header=BB292_1062 Depth=1
	s_delay_alu instid0(VALU_DEP_3) | instskip(NEXT) | instid1(VALU_DEP_1)
	v_clz_i32_u32_e32 v116, v116
	v_min_u32_e32 v116, 32, v116
	s_delay_alu instid0(VALU_DEP_1) | instskip(NEXT) | instid1(VALU_DEP_1)
	v_subrev_nc_u32_e32 v118, 28, v116
	v_lshlrev_b64_e32 v[128:129], v118, v[0:1]
	v_sub_nc_u32_e32 v118, 29, v116
	s_delay_alu instid0(VALU_DEP_2)
	v_and_b32_e32 v116, 7, v128
; %bb.1422:                             ;   in Loop: Header=BB292_1062 Depth=1
	s_wait_alu 0xfffe
	s_or_b32 exec_lo, exec_lo, s16
	v_lshlrev_b32_e32 v0, 8, v0
	v_lshl_add_u32 v118, v118, 10, 0x2000
	v_lshlrev_b32_e32 v116, 23, v116
	s_delay_alu instid0(VALU_DEP_2) | instskip(NEXT) | instid1(VALU_DEP_1)
	v_and_or_b32 v0, 0x8000, v0, v118
	v_lshl_or_b32 v116, v0, 16, v116
.LBB292_1423:                           ;   in Loop: Header=BB292_1062 Depth=1
	s_wait_alu 0xfffe
	s_or_b32 exec_lo, exec_lo, s15
.LBB292_1424:                           ;   in Loop: Header=BB292_1062 Depth=1
	s_wait_alu 0xfffe
	s_or_b32 exec_lo, exec_lo, s14
.LBB292_1425:                           ;   in Loop: Header=BB292_1062 Depth=1
	s_wait_alu 0xfffe
	s_or_b32 exec_lo, exec_lo, s11
	v_dual_mov_b32 v119, 0 :: v_dual_and_b32 v128, 0xff, v12
	v_mov_b32_e32 v0, v12
	v_mov_b32_e32 v118, 0
	s_mov_b32 s11, exec_lo
	s_delay_alu instid0(VALU_DEP_3)
	v_cmpx_ne_u16_e64 0, v128
	s_cbranch_execz .LBB292_1433
; %bb.1426:                             ;   in Loop: Header=BB292_1062 Depth=1
	v_mov_b32_e32 v119, 0x8000
	s_mov_b32 s14, exec_lo
	v_cmpx_ne_u16_e64 0x80, v128
	s_cbranch_execz .LBB292_1432
; %bb.1427:                             ;   in Loop: Header=BB292_1062 Depth=1
	v_and_b32_e32 v129, 0x7f, v12
	v_mov_b32_e32 v119, 0x7c01
	s_mov_b32 s15, exec_lo
	s_delay_alu instid0(VALU_DEP_2)
	v_cmpx_ne_u32_e32 0x7f, v129
	s_cbranch_execz .LBB292_1431
; %bb.1428:                             ;   in Loop: Header=BB292_1062 Depth=1
	v_and_b32_e32 v119, 7, v12
	v_lshrrev_b32_e32 v128, 3, v129
	s_mov_b32 s16, exec_lo
	v_cmpx_gt_u32_e32 8, v129
; %bb.1429:                             ;   in Loop: Header=BB292_1062 Depth=1
	s_delay_alu instid0(VALU_DEP_3) | instskip(NEXT) | instid1(VALU_DEP_1)
	v_clz_i32_u32_e32 v119, v119
	v_min_u32_e32 v119, 32, v119
	s_delay_alu instid0(VALU_DEP_1) | instskip(NEXT) | instid1(VALU_DEP_1)
	v_subrev_nc_u32_e32 v128, 28, v119
	v_lshlrev_b64_e32 v[129:130], v128, v[0:1]
	v_sub_nc_u32_e32 v128, 29, v119
	s_delay_alu instid0(VALU_DEP_2)
	v_and_b32_e32 v119, 7, v129
; %bb.1430:                             ;   in Loop: Header=BB292_1062 Depth=1
	s_wait_alu 0xfffe
	s_or_b32 exec_lo, exec_lo, s16
	v_lshlrev_b32_e32 v129, 8, v12
	v_lshl_add_u32 v128, v128, 10, 0x2000
	v_lshlrev_b32_e32 v119, 7, v119
	s_delay_alu instid0(VALU_DEP_3) | instskip(NEXT) | instid1(VALU_DEP_3)
	v_and_b32_e32 v129, 0x8000, v129
	v_and_b32_e32 v128, 0xfc00, v128
	s_delay_alu instid0(VALU_DEP_1)
	v_or3_b32 v119, v129, v128, v119
.LBB292_1431:                           ;   in Loop: Header=BB292_1062 Depth=1
	s_wait_alu 0xfffe
	s_or_b32 exec_lo, exec_lo, s15
.LBB292_1432:                           ;   in Loop: Header=BB292_1062 Depth=1
	s_wait_alu 0xfffe
	s_or_b32 exec_lo, exec_lo, s14
.LBB292_1433:                           ;   in Loop: Header=BB292_1062 Depth=1
	s_wait_alu 0xfffe
	s_or_b32 exec_lo, exec_lo, s11
	v_lshrrev_b16 v0, 8, v0
	v_mov_b32_e32 v128, 0
	s_mov_b32 s11, exec_lo
	s_delay_alu instid0(VALU_DEP_2)
	v_cmpx_ne_u16_e32 0, v0
	s_cbranch_execz .LBB292_1441
; %bb.1434:                             ;   in Loop: Header=BB292_1062 Depth=1
	v_bfrev_b32_e32 v128, 1
	s_mov_b32 s14, exec_lo
	v_cmpx_ne_u16_e32 0x80, v0
	s_cbranch_execz .LBB292_1440
; %bb.1435:                             ;   in Loop: Header=BB292_1062 Depth=1
	v_and_b32_e32 v129, 0xffff, v0
	v_mov_b32_e32 v128, 0x7c010000
	s_mov_b32 s15, exec_lo
	s_delay_alu instid0(VALU_DEP_2) | instskip(NEXT) | instid1(VALU_DEP_1)
	v_and_b32_e32 v131, 0x7f, v129
	v_cmpx_ne_u32_e32 0x7f, v131
	s_cbranch_execz .LBB292_1439
; %bb.1436:                             ;   in Loop: Header=BB292_1062 Depth=1
	v_and_b32_e32 v128, 7, v129
	v_lshrrev_b32_e32 v130, 3, v131
	s_mov_b32 s16, exec_lo
	v_cmpx_gt_u32_e32 8, v131
; %bb.1437:                             ;   in Loop: Header=BB292_1062 Depth=1
	s_delay_alu instid0(VALU_DEP_3) | instskip(NEXT) | instid1(VALU_DEP_1)
	v_clz_i32_u32_e32 v128, v128
	v_min_u32_e32 v128, 32, v128
	s_delay_alu instid0(VALU_DEP_1) | instskip(NEXT) | instid1(VALU_DEP_1)
	v_subrev_nc_u32_e32 v130, 28, v128
	v_lshlrev_b64_e32 v[131:132], v130, v[0:1]
	v_sub_nc_u32_e32 v130, 29, v128
	s_delay_alu instid0(VALU_DEP_2)
	v_and_b32_e32 v128, 7, v131
; %bb.1438:                             ;   in Loop: Header=BB292_1062 Depth=1
	s_wait_alu 0xfffe
	s_or_b32 exec_lo, exec_lo, s16
	v_lshlrev_b32_e32 v0, 8, v129
	v_lshl_add_u32 v129, v130, 10, 0x2000
	v_lshlrev_b32_e32 v128, 23, v128
	s_delay_alu instid0(VALU_DEP_2) | instskip(NEXT) | instid1(VALU_DEP_1)
	v_and_or_b32 v0, 0x8000, v0, v129
	v_lshl_or_b32 v128, v0, 16, v128
.LBB292_1439:                           ;   in Loop: Header=BB292_1062 Depth=1
	s_wait_alu 0xfffe
	s_or_b32 exec_lo, exec_lo, s15
.LBB292_1440:                           ;   in Loop: Header=BB292_1062 Depth=1
	s_wait_alu 0xfffe
	s_or_b32 exec_lo, exec_lo, s14
.LBB292_1441:                           ;   in Loop: Header=BB292_1062 Depth=1
	s_wait_alu 0xfffe
	s_or_b32 exec_lo, exec_lo, s11
	v_lshrrev_b32_e32 v0, 16, v12
	s_mov_b32 s11, exec_lo
	s_delay_alu instid0(VALU_DEP_1) | instskip(NEXT) | instid1(VALU_DEP_1)
	v_and_b32_e32 v129, 0xff, v0
	v_cmpx_ne_u16_e64 0, v129
	s_cbranch_execz .LBB292_1449
; %bb.1442:                             ;   in Loop: Header=BB292_1062 Depth=1
	v_mov_b32_e32 v118, 0x8000
	s_mov_b32 s14, exec_lo
	v_cmpx_ne_u16_e64 0x80, v129
	s_cbranch_execz .LBB292_1448
; %bb.1443:                             ;   in Loop: Header=BB292_1062 Depth=1
	v_bfe_u32 v130, v12, 16, 7
	v_mov_b32_e32 v118, 0x7c01
	s_mov_b32 s15, exec_lo
	s_delay_alu instid0(VALU_DEP_2)
	v_cmpx_ne_u32_e32 0x7f, v130
	s_cbranch_execz .LBB292_1447
; %bb.1444:                             ;   in Loop: Header=BB292_1062 Depth=1
	v_and_b32_e32 v118, 7, v0
	v_lshrrev_b32_e32 v129, 3, v130
	s_mov_b32 s16, exec_lo
	v_cmpx_gt_u32_e32 8, v130
; %bb.1445:                             ;   in Loop: Header=BB292_1062 Depth=1
	s_delay_alu instid0(VALU_DEP_3) | instskip(NEXT) | instid1(VALU_DEP_1)
	v_clz_i32_u32_e32 v118, v118
	v_min_u32_e32 v118, 32, v118
	s_delay_alu instid0(VALU_DEP_1) | instskip(NEXT) | instid1(VALU_DEP_1)
	v_subrev_nc_u32_e32 v129, 28, v118
	v_lshlrev_b64_e32 v[130:131], v129, v[0:1]
	v_sub_nc_u32_e32 v129, 29, v118
	s_delay_alu instid0(VALU_DEP_2)
	v_and_b32_e32 v118, 7, v130
; %bb.1446:                             ;   in Loop: Header=BB292_1062 Depth=1
	s_wait_alu 0xfffe
	s_or_b32 exec_lo, exec_lo, s16
	v_lshlrev_b32_e32 v0, 8, v0
	v_lshl_add_u32 v129, v129, 10, 0x2000
	v_lshlrev_b32_e32 v118, 7, v118
	s_delay_alu instid0(VALU_DEP_3) | instskip(NEXT) | instid1(VALU_DEP_3)
	v_and_b32_e32 v0, 0x8000, v0
	v_and_b32_e32 v129, 0xfc00, v129
	s_delay_alu instid0(VALU_DEP_1)
	v_or3_b32 v118, v0, v129, v118
.LBB292_1447:                           ;   in Loop: Header=BB292_1062 Depth=1
	s_wait_alu 0xfffe
	s_or_b32 exec_lo, exec_lo, s15
.LBB292_1448:                           ;   in Loop: Header=BB292_1062 Depth=1
	s_wait_alu 0xfffe
	s_or_b32 exec_lo, exec_lo, s14
.LBB292_1449:                           ;   in Loop: Header=BB292_1062 Depth=1
	s_wait_alu 0xfffe
	s_or_b32 exec_lo, exec_lo, s11
	v_cmp_lt_u64_e64 s0, s[8:9], v[11:12]
	v_mov_b32_e32 v11, 0
	s_and_saveexec_b32 s11, s0
	s_cbranch_execz .LBB292_1457
; %bb.1450:                             ;   in Loop: Header=BB292_1062 Depth=1
	v_lshrrev_b32_e32 v0, 24, v12
	v_bfrev_b32_e32 v11, 1
	s_mov_b32 s14, exec_lo
	s_delay_alu instid0(VALU_DEP_2)
	v_cmpx_ne_u32_e32 0x80, v0
	s_cbranch_execz .LBB292_1456
; %bb.1451:                             ;   in Loop: Header=BB292_1062 Depth=1
	v_and_b32_e32 v129, 0x7f, v0
	v_mov_b32_e32 v11, 0x7c010000
	s_mov_b32 s15, exec_lo
	s_delay_alu instid0(VALU_DEP_2)
	v_cmpx_ne_u32_e32 0x7f, v129
	s_cbranch_execz .LBB292_1455
; %bb.1452:                             ;   in Loop: Header=BB292_1062 Depth=1
	v_and_b32_e32 v11, 7, v0
	v_lshrrev_b32_e32 v12, 3, v129
	s_mov_b32 s16, exec_lo
	v_cmpx_gt_u32_e32 8, v129
; %bb.1453:                             ;   in Loop: Header=BB292_1062 Depth=1
	s_delay_alu instid0(VALU_DEP_3) | instskip(NEXT) | instid1(VALU_DEP_1)
	v_clz_i32_u32_e32 v11, v11
	v_min_u32_e32 v129, 32, v11
	s_delay_alu instid0(VALU_DEP_1) | instskip(NEXT) | instid1(VALU_DEP_1)
	v_subrev_nc_u32_e32 v11, 28, v129
	v_lshlrev_b64_e32 v[11:12], v11, v[0:1]
	v_sub_nc_u32_e32 v12, 29, v129
	s_delay_alu instid0(VALU_DEP_2)
	v_and_b32_e32 v11, 7, v11
; %bb.1454:                             ;   in Loop: Header=BB292_1062 Depth=1
	s_wait_alu 0xfffe
	s_or_b32 exec_lo, exec_lo, s16
	v_lshlrev_b32_e32 v0, 8, v0
	v_lshl_add_u32 v12, v12, 10, 0x2000
	v_lshlrev_b32_e32 v11, 23, v11
	s_delay_alu instid0(VALU_DEP_2) | instskip(NEXT) | instid1(VALU_DEP_1)
	v_and_or_b32 v0, 0x8000, v0, v12
	v_lshl_or_b32 v11, v0, 16, v11
.LBB292_1455:                           ;   in Loop: Header=BB292_1062 Depth=1
	s_wait_alu 0xfffe
	s_or_b32 exec_lo, exec_lo, s15
.LBB292_1456:                           ;   in Loop: Header=BB292_1062 Depth=1
	s_wait_alu 0xfffe
	s_or_b32 exec_lo, exec_lo, s14
.LBB292_1457:                           ;   in Loop: Header=BB292_1062 Depth=1
	s_wait_alu 0xfffe
	s_or_b32 exec_lo, exec_lo, s11
	v_or_b32_e32 v0, v116, v117
	s_wait_loadcnt_dscnt 0x0
	v_fma_mixlo_f16 v12, v113, v116, 0 op_sel:[0,1,0] op_sel_hi:[0,1,0]
	v_or_b32_e32 v116, v114, v115
	v_fma_mixlo_f16 v114, v113, v114, 0 op_sel:[0,1,0] op_sel_hi:[0,1,0]
	v_or_b32_e32 v117, v128, v119
	v_or_b32_e32 v118, v11, v118
	v_fma_mixlo_f16 v119, v113, v0, 0 op_sel_hi:[0,1,0]
	v_fma_mixlo_f16 v11, v113, v11, 0 op_sel:[0,1,0] op_sel_hi:[0,1,0]
	v_lshlrev_b32_e32 v115, 16, v114
	v_fma_mixlo_f16 v114, v113, v116, 0 op_sel_hi:[0,1,0]
	v_fma_mixlo_f16 v116, v113, v128, 0 op_sel:[0,1,0] op_sel_hi:[0,1,0]
	v_fma_mixlo_f16 v117, v113, v117, 0 op_sel_hi:[0,1,0]
	v_fma_mixlo_f16 v118, v113, v118, 0 op_sel_hi:[0,1,0]
	v_lshlrev_b32_e32 v0, 16, v12
	v_and_b32_e32 v12, 0xffff, v119
	v_and_b32_e32 v129, 0xffff, v114
	v_lshlrev_b32_e32 v113, 16, v116
	v_and_b32_e32 v117, 0xffff, v117
	v_lshlrev_b32_e32 v11, 16, v11
	v_and_b32_e32 v114, 0xffff, v118
	v_or_b32_e32 v116, v0, v12
	v_or_b32_e32 v128, v115, v129
	;; [unrolled: 1-line block ×3, first 2 shown]
	s_delay_alu instid0(VALU_DEP_4)
	v_or_b32_e32 v118, v11, v114
	s_and_saveexec_b32 s11, vcc_lo
	s_cbranch_execz .LBB292_1459
; %bb.1458:                             ;   in Loop: Header=BB292_1062 Depth=1
	v_cmp_lt_i32_e64 s0, v17, v34
	s_wait_alu 0xf1ff
	s_delay_alu instid0(VALU_DEP_1) | instskip(SKIP_2) | instid1(VALU_DEP_1)
	v_cndmask_b32_e64 v116, 0, v129, s0
	v_cmp_lt_i32_e64 s0, v96, v34
	s_wait_alu 0xf1ff
	v_cndmask_b32_e64 v115, 0, v115, s0
	v_cmp_lt_i32_e64 s0, v87, v34
	s_delay_alu instid0(VALU_DEP_2) | instskip(SKIP_1) | instid1(VALU_DEP_2)
	v_or_b32_e32 v128, v116, v115
	s_wait_alu 0xf1ff
	v_cndmask_b32_e64 v12, 0, v12, s0
	v_cmp_lt_i32_e64 s0, v86, v34
	s_wait_alu 0xf1ff
	s_delay_alu instid0(VALU_DEP_1) | instskip(SKIP_1) | instid1(VALU_DEP_2)
	v_cndmask_b32_e64 v0, 0, v0, s0
	v_cmp_lt_i32_e64 s0, v85, v34
	v_or_b32_e32 v116, v12, v0
	s_wait_alu 0xf1ff
	s_delay_alu instid0(VALU_DEP_2) | instskip(SKIP_2) | instid1(VALU_DEP_1)
	v_cndmask_b32_e64 v117, 0, v117, s0
	v_cmp_lt_i32_e64 s0, v84, v34
	s_wait_alu 0xf1ff
	v_cndmask_b32_e64 v113, 0, v113, s0
	v_cmp_lt_i32_e64 s0, v83, v34
	s_delay_alu instid0(VALU_DEP_2) | instskip(SKIP_1) | instid1(VALU_DEP_2)
	v_or_b32_e32 v119, v117, v113
	s_wait_alu 0xf1ff
	v_cndmask_b32_e64 v114, 0, v114, s0
	v_cmp_lt_i32_e64 s0, v82, v34
	s_wait_alu 0xf1ff
	s_delay_alu instid0(VALU_DEP_1) | instskip(NEXT) | instid1(VALU_DEP_1)
	v_cndmask_b32_e64 v11, 0, v11, s0
	v_or_b32_e32 v118, v114, v11
.LBB292_1459:                           ;   in Loop: Header=BB292_1062 Depth=1
	s_wait_alu 0xfffe
	s_or_b32 exec_lo, exec_lo, s11
	;;#ASMSTART
	v_pk_mul_f16 v0, v81, v128;

	;;#ASMEND
	;;#ASMSTART
	v_pk_mul_f16 v11, v80, v116;

	;;#ASMEND
	;; [unrolled: 4-line block ×4, first 2 shown]
	;;#ASMSTART
	v_pk_add_f16 v0, v0, v11;

	;;#ASMEND
	;;#ASMSTART
	v_pk_add_f16 v0, v0, v12;

	;;#ASMEND
	;; [unrolled: 4-line block ×3, first 2 shown]
	v_dual_mov_b32 v116, 0 :: v_dual_and_b32 v11, 0xffff, v0
	v_lshrrev_b32_e32 v0, 16, v0
	;;#ASMSTART
	v_cvt_f32_f16 v113, v11;
	;;#ASMEND
	;;#ASMSTART
	v_cvt_f32_f16 v114, v0;
	;;#ASMEND
	flat_load_b64 v[11:12], v[9:10] offset:1536
	flat_load_b32 v115, v[26:27]
	s_mov_b32 s11, exec_lo
	s_wait_loadcnt_dscnt 0x101
	v_dual_mov_b32 v117, 0 :: v_dual_and_b32 v0, 0xff, v11
	s_delay_alu instid0(VALU_DEP_1)
	v_cmpx_ne_u16_e32 0, v0
	s_cbranch_execz .LBB292_1467
; %bb.1460:                             ;   in Loop: Header=BB292_1062 Depth=1
	v_mov_b32_e32 v117, 0x8000
	s_mov_b32 s14, exec_lo
	v_cmpx_ne_u16_e32 0x80, v0
	s_cbranch_execz .LBB292_1466
; %bb.1461:                             ;   in Loop: Header=BB292_1062 Depth=1
	v_and_b32_e32 v118, 0x7f, v11
	v_mov_b32_e32 v117, 0x7c01
	s_mov_b32 s15, exec_lo
	s_delay_alu instid0(VALU_DEP_2)
	v_cmpx_ne_u32_e32 0x7f, v118
	s_cbranch_execz .LBB292_1465
; %bb.1462:                             ;   in Loop: Header=BB292_1062 Depth=1
	v_and_b32_e32 v0, 7, v11
	v_lshrrev_b32_e32 v117, 3, v118
	s_mov_b32 s16, exec_lo
	v_cmpx_gt_u32_e32 8, v118
; %bb.1463:                             ;   in Loop: Header=BB292_1062 Depth=1
	s_delay_alu instid0(VALU_DEP_3) | instskip(NEXT) | instid1(VALU_DEP_1)
	v_clz_i32_u32_e32 v0, v0
	v_min_u32_e32 v0, 32, v0
	s_delay_alu instid0(VALU_DEP_1) | instskip(NEXT) | instid1(VALU_DEP_1)
	v_subrev_nc_u32_e32 v117, 28, v0
	v_lshlrev_b64_e32 v[118:119], v117, v[11:12]
	v_sub_nc_u32_e32 v117, 29, v0
	s_delay_alu instid0(VALU_DEP_2)
	v_and_b32_e32 v0, 7, v118
; %bb.1464:                             ;   in Loop: Header=BB292_1062 Depth=1
	s_wait_alu 0xfffe
	s_or_b32 exec_lo, exec_lo, s16
	v_lshlrev_b32_e32 v118, 8, v11
	v_lshl_add_u32 v117, v117, 10, 0x2000
	v_lshlrev_b32_e32 v0, 7, v0
	s_delay_alu instid0(VALU_DEP_3) | instskip(NEXT) | instid1(VALU_DEP_3)
	v_and_b32_e32 v118, 0x8000, v118
	v_and_b32_e32 v117, 0xfc00, v117
	s_delay_alu instid0(VALU_DEP_1)
	v_or3_b32 v117, v118, v117, v0
.LBB292_1465:                           ;   in Loop: Header=BB292_1062 Depth=1
	s_wait_alu 0xfffe
	s_or_b32 exec_lo, exec_lo, s15
.LBB292_1466:                           ;   in Loop: Header=BB292_1062 Depth=1
	s_wait_alu 0xfffe
	s_or_b32 exec_lo, exec_lo, s14
.LBB292_1467:                           ;   in Loop: Header=BB292_1062 Depth=1
	s_wait_alu 0xfffe
	s_or_b32 exec_lo, exec_lo, s11
	v_lshrrev_b16 v0, 8, v11
	s_mov_b32 s11, exec_lo
	s_delay_alu instid0(VALU_DEP_1)
	v_cmpx_ne_u16_e32 0, v0
	s_cbranch_execz .LBB292_1475
; %bb.1468:                             ;   in Loop: Header=BB292_1062 Depth=1
	v_bfrev_b32_e32 v116, 1
	s_mov_b32 s14, exec_lo
	v_cmpx_ne_u16_e32 0x80, v0
	s_cbranch_execz .LBB292_1474
; %bb.1469:                             ;   in Loop: Header=BB292_1062 Depth=1
	v_and_b32_e32 v118, 0xffff, v0
	v_mov_b32_e32 v116, 0x7c010000
	s_mov_b32 s15, exec_lo
	s_delay_alu instid0(VALU_DEP_2) | instskip(NEXT) | instid1(VALU_DEP_1)
	v_and_b32_e32 v128, 0x7f, v118
	v_cmpx_ne_u32_e32 0x7f, v128
	s_cbranch_execz .LBB292_1473
; %bb.1470:                             ;   in Loop: Header=BB292_1062 Depth=1
	v_and_b32_e32 v116, 7, v118
	v_lshrrev_b32_e32 v119, 3, v128
	s_mov_b32 s16, exec_lo
	v_cmpx_gt_u32_e32 8, v128
; %bb.1471:                             ;   in Loop: Header=BB292_1062 Depth=1
	s_delay_alu instid0(VALU_DEP_3) | instskip(NEXT) | instid1(VALU_DEP_1)
	v_clz_i32_u32_e32 v116, v116
	v_min_u32_e32 v116, 32, v116
	s_delay_alu instid0(VALU_DEP_1) | instskip(NEXT) | instid1(VALU_DEP_1)
	v_subrev_nc_u32_e32 v119, 28, v116
	v_lshlrev_b64_e32 v[128:129], v119, v[0:1]
	v_sub_nc_u32_e32 v119, 29, v116
	s_delay_alu instid0(VALU_DEP_2)
	v_and_b32_e32 v116, 7, v128
; %bb.1472:                             ;   in Loop: Header=BB292_1062 Depth=1
	s_wait_alu 0xfffe
	s_or_b32 exec_lo, exec_lo, s16
	v_lshlrev_b32_e32 v0, 8, v118
	v_lshl_add_u32 v118, v119, 10, 0x2000
	v_lshlrev_b32_e32 v116, 23, v116
	s_delay_alu instid0(VALU_DEP_2) | instskip(NEXT) | instid1(VALU_DEP_1)
	v_and_or_b32 v0, 0x8000, v0, v118
	v_lshl_or_b32 v116, v0, 16, v116
.LBB292_1473:                           ;   in Loop: Header=BB292_1062 Depth=1
	s_wait_alu 0xfffe
	s_or_b32 exec_lo, exec_lo, s15
.LBB292_1474:                           ;   in Loop: Header=BB292_1062 Depth=1
	s_wait_alu 0xfffe
	s_or_b32 exec_lo, exec_lo, s14
.LBB292_1475:                           ;   in Loop: Header=BB292_1062 Depth=1
	s_wait_alu 0xfffe
	s_or_b32 exec_lo, exec_lo, s11
	v_lshrrev_b32_e32 v0, 16, v11
	v_mov_b32_e32 v118, 0
	s_mov_b32 s11, exec_lo
	s_delay_alu instid0(VALU_DEP_2) | instskip(NEXT) | instid1(VALU_DEP_1)
	v_dual_mov_b32 v119, 0 :: v_dual_and_b32 v128, 0xff, v0
	v_cmpx_ne_u16_e64 0, v128
	s_cbranch_execz .LBB292_1483
; %bb.1476:                             ;   in Loop: Header=BB292_1062 Depth=1
	v_mov_b32_e32 v119, 0x8000
	s_mov_b32 s14, exec_lo
	v_cmpx_ne_u16_e64 0x80, v128
	s_cbranch_execz .LBB292_1482
; %bb.1477:                             ;   in Loop: Header=BB292_1062 Depth=1
	v_bfe_u32 v129, v11, 16, 7
	v_mov_b32_e32 v119, 0x7c01
	s_mov_b32 s15, exec_lo
	s_delay_alu instid0(VALU_DEP_2)
	v_cmpx_ne_u32_e32 0x7f, v129
	s_cbranch_execz .LBB292_1481
; %bb.1478:                             ;   in Loop: Header=BB292_1062 Depth=1
	v_and_b32_e32 v119, 7, v0
	v_lshrrev_b32_e32 v128, 3, v129
	s_mov_b32 s16, exec_lo
	v_cmpx_gt_u32_e32 8, v129
; %bb.1479:                             ;   in Loop: Header=BB292_1062 Depth=1
	s_delay_alu instid0(VALU_DEP_3) | instskip(NEXT) | instid1(VALU_DEP_1)
	v_clz_i32_u32_e32 v119, v119
	v_min_u32_e32 v119, 32, v119
	s_delay_alu instid0(VALU_DEP_1) | instskip(NEXT) | instid1(VALU_DEP_1)
	v_subrev_nc_u32_e32 v128, 28, v119
	v_lshlrev_b64_e32 v[129:130], v128, v[0:1]
	v_sub_nc_u32_e32 v128, 29, v119
	s_delay_alu instid0(VALU_DEP_2)
	v_and_b32_e32 v119, 7, v129
; %bb.1480:                             ;   in Loop: Header=BB292_1062 Depth=1
	s_wait_alu 0xfffe
	s_or_b32 exec_lo, exec_lo, s16
	v_lshlrev_b32_e32 v0, 8, v0
	v_lshl_add_u32 v128, v128, 10, 0x2000
	v_lshlrev_b32_e32 v119, 7, v119
	s_delay_alu instid0(VALU_DEP_3) | instskip(NEXT) | instid1(VALU_DEP_3)
	v_and_b32_e32 v0, 0x8000, v0
	v_and_b32_e32 v128, 0xfc00, v128
	s_delay_alu instid0(VALU_DEP_1)
	v_or3_b32 v119, v0, v128, v119
.LBB292_1481:                           ;   in Loop: Header=BB292_1062 Depth=1
	s_wait_alu 0xfffe
	s_or_b32 exec_lo, exec_lo, s15
.LBB292_1482:                           ;   in Loop: Header=BB292_1062 Depth=1
	s_wait_alu 0xfffe
	s_or_b32 exec_lo, exec_lo, s14
.LBB292_1483:                           ;   in Loop: Header=BB292_1062 Depth=1
	s_wait_alu 0xfffe
	s_or_b32 exec_lo, exec_lo, s11
	s_delay_alu instid0(SALU_CYCLE_1)
	s_mov_b32 s11, exec_lo
	v_cmpx_lt_u32_e32 0xffffff, v11
	s_cbranch_execz .LBB292_1491
; %bb.1484:                             ;   in Loop: Header=BB292_1062 Depth=1
	v_lshrrev_b32_e32 v0, 24, v11
	v_bfrev_b32_e32 v118, 1
	s_mov_b32 s14, exec_lo
	s_delay_alu instid0(VALU_DEP_2)
	v_cmpx_ne_u32_e32 0x80, v0
	s_cbranch_execz .LBB292_1490
; %bb.1485:                             ;   in Loop: Header=BB292_1062 Depth=1
	v_and_b32_e32 v129, 0x7f, v0
	v_mov_b32_e32 v118, 0x7c010000
	s_mov_b32 s15, exec_lo
	s_delay_alu instid0(VALU_DEP_2)
	v_cmpx_ne_u32_e32 0x7f, v129
	s_cbranch_execz .LBB292_1489
; %bb.1486:                             ;   in Loop: Header=BB292_1062 Depth=1
	v_and_b32_e32 v118, 7, v0
	v_lshrrev_b32_e32 v128, 3, v129
	s_mov_b32 s16, exec_lo
	v_cmpx_gt_u32_e32 8, v129
; %bb.1487:                             ;   in Loop: Header=BB292_1062 Depth=1
	s_delay_alu instid0(VALU_DEP_3) | instskip(NEXT) | instid1(VALU_DEP_1)
	v_clz_i32_u32_e32 v118, v118
	v_min_u32_e32 v118, 32, v118
	s_delay_alu instid0(VALU_DEP_1) | instskip(NEXT) | instid1(VALU_DEP_1)
	v_subrev_nc_u32_e32 v128, 28, v118
	v_lshlrev_b64_e32 v[129:130], v128, v[0:1]
	v_sub_nc_u32_e32 v128, 29, v118
	s_delay_alu instid0(VALU_DEP_2)
	v_and_b32_e32 v118, 7, v129
; %bb.1488:                             ;   in Loop: Header=BB292_1062 Depth=1
	s_wait_alu 0xfffe
	s_or_b32 exec_lo, exec_lo, s16
	v_lshlrev_b32_e32 v0, 8, v0
	v_lshl_add_u32 v128, v128, 10, 0x2000
	v_lshlrev_b32_e32 v118, 23, v118
	s_delay_alu instid0(VALU_DEP_2) | instskip(NEXT) | instid1(VALU_DEP_1)
	v_and_or_b32 v0, 0x8000, v0, v128
	v_lshl_or_b32 v118, v0, 16, v118
.LBB292_1489:                           ;   in Loop: Header=BB292_1062 Depth=1
	s_wait_alu 0xfffe
	s_or_b32 exec_lo, exec_lo, s15
.LBB292_1490:                           ;   in Loop: Header=BB292_1062 Depth=1
	s_wait_alu 0xfffe
	s_or_b32 exec_lo, exec_lo, s14
.LBB292_1491:                           ;   in Loop: Header=BB292_1062 Depth=1
	s_wait_alu 0xfffe
	s_or_b32 exec_lo, exec_lo, s11
	v_dual_mov_b32 v129, 0 :: v_dual_and_b32 v130, 0xff, v12
	v_mov_b32_e32 v0, v12
	v_mov_b32_e32 v128, 0
	s_mov_b32 s11, exec_lo
	s_delay_alu instid0(VALU_DEP_3)
	v_cmpx_ne_u16_e64 0, v130
	s_cbranch_execz .LBB292_1499
; %bb.1492:                             ;   in Loop: Header=BB292_1062 Depth=1
	v_mov_b32_e32 v129, 0x8000
	s_mov_b32 s14, exec_lo
	v_cmpx_ne_u16_e64 0x80, v130
	s_cbranch_execz .LBB292_1498
; %bb.1493:                             ;   in Loop: Header=BB292_1062 Depth=1
	v_and_b32_e32 v131, 0x7f, v12
	v_mov_b32_e32 v129, 0x7c01
	s_mov_b32 s15, exec_lo
	s_delay_alu instid0(VALU_DEP_2)
	v_cmpx_ne_u32_e32 0x7f, v131
	s_cbranch_execz .LBB292_1497
; %bb.1494:                             ;   in Loop: Header=BB292_1062 Depth=1
	v_and_b32_e32 v129, 7, v12
	v_lshrrev_b32_e32 v130, 3, v131
	s_mov_b32 s16, exec_lo
	v_cmpx_gt_u32_e32 8, v131
; %bb.1495:                             ;   in Loop: Header=BB292_1062 Depth=1
	s_delay_alu instid0(VALU_DEP_3) | instskip(NEXT) | instid1(VALU_DEP_1)
	v_clz_i32_u32_e32 v129, v129
	v_min_u32_e32 v131, 32, v129
	s_delay_alu instid0(VALU_DEP_1) | instskip(NEXT) | instid1(VALU_DEP_1)
	v_subrev_nc_u32_e32 v129, 28, v131
	v_lshlrev_b64_e32 v[129:130], v129, v[0:1]
	v_sub_nc_u32_e32 v130, 29, v131
	s_delay_alu instid0(VALU_DEP_2)
	v_and_b32_e32 v129, 7, v129
; %bb.1496:                             ;   in Loop: Header=BB292_1062 Depth=1
	s_wait_alu 0xfffe
	s_or_b32 exec_lo, exec_lo, s16
	v_lshlrev_b32_e32 v131, 8, v12
	v_lshl_add_u32 v130, v130, 10, 0x2000
	v_lshlrev_b32_e32 v129, 7, v129
	s_delay_alu instid0(VALU_DEP_3) | instskip(NEXT) | instid1(VALU_DEP_3)
	v_and_b32_e32 v131, 0x8000, v131
	v_and_b32_e32 v130, 0xfc00, v130
	s_delay_alu instid0(VALU_DEP_1)
	v_or3_b32 v129, v131, v130, v129
.LBB292_1497:                           ;   in Loop: Header=BB292_1062 Depth=1
	s_wait_alu 0xfffe
	s_or_b32 exec_lo, exec_lo, s15
.LBB292_1498:                           ;   in Loop: Header=BB292_1062 Depth=1
	s_wait_alu 0xfffe
	s_or_b32 exec_lo, exec_lo, s14
.LBB292_1499:                           ;   in Loop: Header=BB292_1062 Depth=1
	s_wait_alu 0xfffe
	s_or_b32 exec_lo, exec_lo, s11
	v_lshrrev_b16 v0, 8, v0
	v_mov_b32_e32 v130, 0
	s_mov_b32 s11, exec_lo
	s_delay_alu instid0(VALU_DEP_2)
	v_cmpx_ne_u16_e32 0, v0
	s_cbranch_execz .LBB292_1507
; %bb.1500:                             ;   in Loop: Header=BB292_1062 Depth=1
	v_bfrev_b32_e32 v130, 1
	s_mov_b32 s14, exec_lo
	v_cmpx_ne_u16_e32 0x80, v0
	s_cbranch_execz .LBB292_1506
; %bb.1501:                             ;   in Loop: Header=BB292_1062 Depth=1
	v_and_b32_e32 v131, 0xffff, v0
	v_mov_b32_e32 v130, 0x7c010000
	s_mov_b32 s15, exec_lo
	s_delay_alu instid0(VALU_DEP_2) | instskip(NEXT) | instid1(VALU_DEP_1)
	v_and_b32_e32 v133, 0x7f, v131
	v_cmpx_ne_u32_e32 0x7f, v133
	s_cbranch_execz .LBB292_1505
; %bb.1502:                             ;   in Loop: Header=BB292_1062 Depth=1
	v_and_b32_e32 v130, 7, v131
	v_lshrrev_b32_e32 v132, 3, v133
	s_mov_b32 s16, exec_lo
	v_cmpx_gt_u32_e32 8, v133
; %bb.1503:                             ;   in Loop: Header=BB292_1062 Depth=1
	s_delay_alu instid0(VALU_DEP_3) | instskip(NEXT) | instid1(VALU_DEP_1)
	v_clz_i32_u32_e32 v130, v130
	v_min_u32_e32 v130, 32, v130
	s_delay_alu instid0(VALU_DEP_1) | instskip(NEXT) | instid1(VALU_DEP_1)
	v_subrev_nc_u32_e32 v132, 28, v130
	v_lshlrev_b64_e32 v[133:134], v132, v[0:1]
	v_sub_nc_u32_e32 v132, 29, v130
	s_delay_alu instid0(VALU_DEP_2)
	v_and_b32_e32 v130, 7, v133
; %bb.1504:                             ;   in Loop: Header=BB292_1062 Depth=1
	s_wait_alu 0xfffe
	s_or_b32 exec_lo, exec_lo, s16
	v_lshlrev_b32_e32 v0, 8, v131
	v_lshl_add_u32 v131, v132, 10, 0x2000
	v_lshlrev_b32_e32 v130, 23, v130
	s_delay_alu instid0(VALU_DEP_2) | instskip(NEXT) | instid1(VALU_DEP_1)
	v_and_or_b32 v0, 0x8000, v0, v131
	v_lshl_or_b32 v130, v0, 16, v130
.LBB292_1505:                           ;   in Loop: Header=BB292_1062 Depth=1
	s_wait_alu 0xfffe
	s_or_b32 exec_lo, exec_lo, s15
.LBB292_1506:                           ;   in Loop: Header=BB292_1062 Depth=1
	s_wait_alu 0xfffe
	s_or_b32 exec_lo, exec_lo, s14
.LBB292_1507:                           ;   in Loop: Header=BB292_1062 Depth=1
	s_wait_alu 0xfffe
	s_or_b32 exec_lo, exec_lo, s11
	v_lshrrev_b32_e32 v0, 16, v12
	s_mov_b32 s11, exec_lo
	s_delay_alu instid0(VALU_DEP_1) | instskip(NEXT) | instid1(VALU_DEP_1)
	v_and_b32_e32 v131, 0xff, v0
	v_cmpx_ne_u16_e64 0, v131
	s_cbranch_execz .LBB292_1515
; %bb.1508:                             ;   in Loop: Header=BB292_1062 Depth=1
	v_mov_b32_e32 v128, 0x8000
	s_mov_b32 s14, exec_lo
	v_cmpx_ne_u16_e64 0x80, v131
	s_cbranch_execz .LBB292_1514
; %bb.1509:                             ;   in Loop: Header=BB292_1062 Depth=1
	v_bfe_u32 v132, v12, 16, 7
	v_mov_b32_e32 v128, 0x7c01
	s_mov_b32 s15, exec_lo
	s_delay_alu instid0(VALU_DEP_2)
	v_cmpx_ne_u32_e32 0x7f, v132
	s_cbranch_execz .LBB292_1513
; %bb.1510:                             ;   in Loop: Header=BB292_1062 Depth=1
	v_and_b32_e32 v128, 7, v0
	v_lshrrev_b32_e32 v131, 3, v132
	s_mov_b32 s16, exec_lo
	v_cmpx_gt_u32_e32 8, v132
; %bb.1511:                             ;   in Loop: Header=BB292_1062 Depth=1
	s_delay_alu instid0(VALU_DEP_3) | instskip(NEXT) | instid1(VALU_DEP_1)
	v_clz_i32_u32_e32 v128, v128
	v_min_u32_e32 v128, 32, v128
	s_delay_alu instid0(VALU_DEP_1) | instskip(NEXT) | instid1(VALU_DEP_1)
	v_subrev_nc_u32_e32 v131, 28, v128
	v_lshlrev_b64_e32 v[132:133], v131, v[0:1]
	v_sub_nc_u32_e32 v131, 29, v128
	s_delay_alu instid0(VALU_DEP_2)
	v_and_b32_e32 v128, 7, v132
; %bb.1512:                             ;   in Loop: Header=BB292_1062 Depth=1
	s_wait_alu 0xfffe
	s_or_b32 exec_lo, exec_lo, s16
	v_lshlrev_b32_e32 v0, 8, v0
	v_lshl_add_u32 v131, v131, 10, 0x2000
	v_lshlrev_b32_e32 v128, 7, v128
	s_delay_alu instid0(VALU_DEP_3) | instskip(NEXT) | instid1(VALU_DEP_3)
	v_and_b32_e32 v0, 0x8000, v0
	v_and_b32_e32 v131, 0xfc00, v131
	s_delay_alu instid0(VALU_DEP_1)
	v_or3_b32 v128, v0, v131, v128
.LBB292_1513:                           ;   in Loop: Header=BB292_1062 Depth=1
	s_wait_alu 0xfffe
	s_or_b32 exec_lo, exec_lo, s15
.LBB292_1514:                           ;   in Loop: Header=BB292_1062 Depth=1
	s_wait_alu 0xfffe
	s_or_b32 exec_lo, exec_lo, s14
.LBB292_1515:                           ;   in Loop: Header=BB292_1062 Depth=1
	s_wait_alu 0xfffe
	s_or_b32 exec_lo, exec_lo, s11
	v_cmp_lt_u64_e64 s0, s[8:9], v[11:12]
	v_mov_b32_e32 v11, 0
	s_and_saveexec_b32 s11, s0
	s_cbranch_execz .LBB292_1523
; %bb.1516:                             ;   in Loop: Header=BB292_1062 Depth=1
	v_lshrrev_b32_e32 v0, 24, v12
	v_bfrev_b32_e32 v11, 1
	s_mov_b32 s14, exec_lo
	s_delay_alu instid0(VALU_DEP_2)
	v_cmpx_ne_u32_e32 0x80, v0
	s_cbranch_execz .LBB292_1522
; %bb.1517:                             ;   in Loop: Header=BB292_1062 Depth=1
	v_and_b32_e32 v131, 0x7f, v0
	v_mov_b32_e32 v11, 0x7c010000
	s_mov_b32 s15, exec_lo
	s_delay_alu instid0(VALU_DEP_2)
	v_cmpx_ne_u32_e32 0x7f, v131
	s_cbranch_execz .LBB292_1521
; %bb.1518:                             ;   in Loop: Header=BB292_1062 Depth=1
	v_and_b32_e32 v11, 7, v0
	v_lshrrev_b32_e32 v12, 3, v131
	s_mov_b32 s16, exec_lo
	v_cmpx_gt_u32_e32 8, v131
; %bb.1519:                             ;   in Loop: Header=BB292_1062 Depth=1
	s_delay_alu instid0(VALU_DEP_3) | instskip(NEXT) | instid1(VALU_DEP_1)
	v_clz_i32_u32_e32 v11, v11
	v_min_u32_e32 v131, 32, v11
	s_delay_alu instid0(VALU_DEP_1) | instskip(NEXT) | instid1(VALU_DEP_1)
	v_subrev_nc_u32_e32 v11, 28, v131
	v_lshlrev_b64_e32 v[11:12], v11, v[0:1]
	v_sub_nc_u32_e32 v12, 29, v131
	s_delay_alu instid0(VALU_DEP_2)
	v_and_b32_e32 v11, 7, v11
; %bb.1520:                             ;   in Loop: Header=BB292_1062 Depth=1
	s_wait_alu 0xfffe
	s_or_b32 exec_lo, exec_lo, s16
	v_lshlrev_b32_e32 v0, 8, v0
	v_lshl_add_u32 v12, v12, 10, 0x2000
	v_lshlrev_b32_e32 v11, 23, v11
	s_delay_alu instid0(VALU_DEP_2) | instskip(NEXT) | instid1(VALU_DEP_1)
	v_and_or_b32 v0, 0x8000, v0, v12
	v_lshl_or_b32 v11, v0, 16, v11
.LBB292_1521:                           ;   in Loop: Header=BB292_1062 Depth=1
	s_wait_alu 0xfffe
	s_or_b32 exec_lo, exec_lo, s15
.LBB292_1522:                           ;   in Loop: Header=BB292_1062 Depth=1
	s_wait_alu 0xfffe
	s_or_b32 exec_lo, exec_lo, s14
.LBB292_1523:                           ;   in Loop: Header=BB292_1062 Depth=1
	s_wait_alu 0xfffe
	s_or_b32 exec_lo, exec_lo, s11
	v_or_b32_e32 v0, v118, v119
	s_wait_loadcnt_dscnt 0x0
	v_fma_mixlo_f16 v12, v115, v118, 0 op_sel:[0,1,0] op_sel_hi:[0,1,0]
	v_or_b32_e32 v118, v116, v117
	v_fma_mixlo_f16 v116, v115, v116, 0 op_sel:[0,1,0] op_sel_hi:[0,1,0]
	v_or_b32_e32 v119, v130, v129
	v_or_b32_e32 v128, v11, v128
	v_fma_mixlo_f16 v129, v115, v0, 0 op_sel_hi:[0,1,0]
	v_fma_mixlo_f16 v11, v115, v11, 0 op_sel:[0,1,0] op_sel_hi:[0,1,0]
	v_lshlrev_b32_e32 v117, 16, v116
	v_fma_mixlo_f16 v116, v115, v118, 0 op_sel_hi:[0,1,0]
	v_fma_mixlo_f16 v118, v115, v130, 0 op_sel:[0,1,0] op_sel_hi:[0,1,0]
	v_fma_mixlo_f16 v119, v115, v119, 0 op_sel_hi:[0,1,0]
	v_fma_mixlo_f16 v128, v115, v128, 0 op_sel_hi:[0,1,0]
	v_lshlrev_b32_e32 v0, 16, v12
	v_and_b32_e32 v12, 0xffff, v129
	v_and_b32_e32 v131, 0xffff, v116
	v_lshlrev_b32_e32 v115, 16, v118
	v_and_b32_e32 v119, 0xffff, v119
	v_lshlrev_b32_e32 v11, 16, v11
	v_and_b32_e32 v116, 0xffff, v128
	v_or_b32_e32 v118, v0, v12
	v_or_b32_e32 v130, v117, v131
	;; [unrolled: 1-line block ×3, first 2 shown]
	s_delay_alu instid0(VALU_DEP_4)
	v_or_b32_e32 v128, v11, v116
	s_and_saveexec_b32 s11, vcc_lo
	s_cbranch_execz .LBB292_1525
; %bb.1524:                             ;   in Loop: Header=BB292_1062 Depth=1
	v_cmp_lt_i32_e64 s0, v17, v34
	s_wait_alu 0xf1ff
	s_delay_alu instid0(VALU_DEP_1) | instskip(SKIP_2) | instid1(VALU_DEP_1)
	v_cndmask_b32_e64 v118, 0, v131, s0
	v_cmp_lt_i32_e64 s0, v96, v34
	s_wait_alu 0xf1ff
	v_cndmask_b32_e64 v117, 0, v117, s0
	v_cmp_lt_i32_e64 s0, v87, v34
	s_delay_alu instid0(VALU_DEP_2) | instskip(SKIP_1) | instid1(VALU_DEP_2)
	v_or_b32_e32 v130, v118, v117
	s_wait_alu 0xf1ff
	v_cndmask_b32_e64 v12, 0, v12, s0
	v_cmp_lt_i32_e64 s0, v86, v34
	s_wait_alu 0xf1ff
	s_delay_alu instid0(VALU_DEP_1) | instskip(SKIP_1) | instid1(VALU_DEP_2)
	v_cndmask_b32_e64 v0, 0, v0, s0
	v_cmp_lt_i32_e64 s0, v85, v34
	v_or_b32_e32 v118, v12, v0
	s_wait_alu 0xf1ff
	s_delay_alu instid0(VALU_DEP_2) | instskip(SKIP_2) | instid1(VALU_DEP_1)
	v_cndmask_b32_e64 v119, 0, v119, s0
	v_cmp_lt_i32_e64 s0, v84, v34
	s_wait_alu 0xf1ff
	v_cndmask_b32_e64 v115, 0, v115, s0
	v_cmp_lt_i32_e64 s0, v83, v34
	s_delay_alu instid0(VALU_DEP_2) | instskip(SKIP_1) | instid1(VALU_DEP_2)
	v_or_b32_e32 v129, v119, v115
	s_wait_alu 0xf1ff
	v_cndmask_b32_e64 v116, 0, v116, s0
	v_cmp_lt_i32_e64 s0, v82, v34
	s_wait_alu 0xf1ff
	s_delay_alu instid0(VALU_DEP_1) | instskip(NEXT) | instid1(VALU_DEP_1)
	v_cndmask_b32_e64 v11, 0, v11, s0
	v_or_b32_e32 v128, v116, v11
.LBB292_1525:                           ;   in Loop: Header=BB292_1062 Depth=1
	s_wait_alu 0xfffe
	s_or_b32 exec_lo, exec_lo, s11
	;;#ASMSTART
	v_pk_mul_f16 v0, v81, v130;

	;;#ASMEND
	;;#ASMSTART
	v_pk_mul_f16 v11, v80, v118;

	;;#ASMEND
	;; [unrolled: 4-line block ×4, first 2 shown]
	;;#ASMSTART
	v_pk_add_f16 v0, v0, v11;

	;;#ASMEND
	;;#ASMSTART
	v_pk_add_f16 v0, v0, v12;

	;;#ASMEND
	;; [unrolled: 4-line block ×3, first 2 shown]
	v_dual_mov_b32 v118, 0 :: v_dual_and_b32 v11, 0xffff, v0
	v_lshrrev_b32_e32 v0, 16, v0
	;;#ASMSTART
	v_cvt_f32_f16 v115, v11;
	;;#ASMEND
	;;#ASMSTART
	v_cvt_f32_f16 v116, v0;
	;;#ASMEND
	flat_load_b64 v[11:12], v[9:10] offset:1792
	flat_load_b32 v117, v[26:27]
	s_mov_b32 s11, exec_lo
	s_wait_loadcnt_dscnt 0x101
	v_dual_mov_b32 v119, 0 :: v_dual_and_b32 v0, 0xff, v11
	s_delay_alu instid0(VALU_DEP_1)
	v_cmpx_ne_u16_e32 0, v0
	s_cbranch_execz .LBB292_1533
; %bb.1526:                             ;   in Loop: Header=BB292_1062 Depth=1
	v_mov_b32_e32 v119, 0x8000
	s_mov_b32 s14, exec_lo
	v_cmpx_ne_u16_e32 0x80, v0
	s_cbranch_execz .LBB292_1532
; %bb.1527:                             ;   in Loop: Header=BB292_1062 Depth=1
	v_and_b32_e32 v128, 0x7f, v11
	v_mov_b32_e32 v119, 0x7c01
	s_mov_b32 s15, exec_lo
	s_delay_alu instid0(VALU_DEP_2)
	v_cmpx_ne_u32_e32 0x7f, v128
	s_cbranch_execz .LBB292_1531
; %bb.1528:                             ;   in Loop: Header=BB292_1062 Depth=1
	v_and_b32_e32 v0, 7, v11
	v_lshrrev_b32_e32 v119, 3, v128
	s_mov_b32 s16, exec_lo
	v_cmpx_gt_u32_e32 8, v128
; %bb.1529:                             ;   in Loop: Header=BB292_1062 Depth=1
	s_delay_alu instid0(VALU_DEP_3) | instskip(NEXT) | instid1(VALU_DEP_1)
	v_clz_i32_u32_e32 v0, v0
	v_min_u32_e32 v0, 32, v0
	s_delay_alu instid0(VALU_DEP_1) | instskip(NEXT) | instid1(VALU_DEP_1)
	v_subrev_nc_u32_e32 v119, 28, v0
	v_lshlrev_b64_e32 v[128:129], v119, v[11:12]
	v_sub_nc_u32_e32 v119, 29, v0
	s_delay_alu instid0(VALU_DEP_2)
	v_and_b32_e32 v0, 7, v128
; %bb.1530:                             ;   in Loop: Header=BB292_1062 Depth=1
	s_wait_alu 0xfffe
	s_or_b32 exec_lo, exec_lo, s16
	v_lshlrev_b32_e32 v128, 8, v11
	v_lshl_add_u32 v119, v119, 10, 0x2000
	v_lshlrev_b32_e32 v0, 7, v0
	s_delay_alu instid0(VALU_DEP_3) | instskip(NEXT) | instid1(VALU_DEP_3)
	v_and_b32_e32 v128, 0x8000, v128
	v_and_b32_e32 v119, 0xfc00, v119
	s_delay_alu instid0(VALU_DEP_1)
	v_or3_b32 v119, v128, v119, v0
.LBB292_1531:                           ;   in Loop: Header=BB292_1062 Depth=1
	s_wait_alu 0xfffe
	s_or_b32 exec_lo, exec_lo, s15
.LBB292_1532:                           ;   in Loop: Header=BB292_1062 Depth=1
	s_wait_alu 0xfffe
	s_or_b32 exec_lo, exec_lo, s14
.LBB292_1533:                           ;   in Loop: Header=BB292_1062 Depth=1
	s_wait_alu 0xfffe
	s_or_b32 exec_lo, exec_lo, s11
	v_lshrrev_b16 v0, 8, v11
	s_mov_b32 s11, exec_lo
	s_delay_alu instid0(VALU_DEP_1)
	v_cmpx_ne_u16_e32 0, v0
	s_cbranch_execz .LBB292_1541
; %bb.1534:                             ;   in Loop: Header=BB292_1062 Depth=1
	v_bfrev_b32_e32 v118, 1
	s_mov_b32 s14, exec_lo
	v_cmpx_ne_u16_e32 0x80, v0
	s_cbranch_execz .LBB292_1540
; %bb.1535:                             ;   in Loop: Header=BB292_1062 Depth=1
	v_and_b32_e32 v128, 0xffff, v0
	v_mov_b32_e32 v118, 0x7c010000
	s_mov_b32 s15, exec_lo
	s_delay_alu instid0(VALU_DEP_2) | instskip(NEXT) | instid1(VALU_DEP_1)
	v_and_b32_e32 v130, 0x7f, v128
	v_cmpx_ne_u32_e32 0x7f, v130
	s_cbranch_execz .LBB292_1539
; %bb.1536:                             ;   in Loop: Header=BB292_1062 Depth=1
	v_and_b32_e32 v118, 7, v128
	v_lshrrev_b32_e32 v129, 3, v130
	s_mov_b32 s16, exec_lo
	v_cmpx_gt_u32_e32 8, v130
; %bb.1537:                             ;   in Loop: Header=BB292_1062 Depth=1
	s_delay_alu instid0(VALU_DEP_3) | instskip(NEXT) | instid1(VALU_DEP_1)
	v_clz_i32_u32_e32 v118, v118
	v_min_u32_e32 v118, 32, v118
	s_delay_alu instid0(VALU_DEP_1) | instskip(NEXT) | instid1(VALU_DEP_1)
	v_subrev_nc_u32_e32 v129, 28, v118
	v_lshlrev_b64_e32 v[130:131], v129, v[0:1]
	v_sub_nc_u32_e32 v129, 29, v118
	s_delay_alu instid0(VALU_DEP_2)
	v_and_b32_e32 v118, 7, v130
; %bb.1538:                             ;   in Loop: Header=BB292_1062 Depth=1
	s_wait_alu 0xfffe
	s_or_b32 exec_lo, exec_lo, s16
	v_lshlrev_b32_e32 v0, 8, v128
	v_lshl_add_u32 v128, v129, 10, 0x2000
	v_lshlrev_b32_e32 v118, 23, v118
	s_delay_alu instid0(VALU_DEP_2) | instskip(NEXT) | instid1(VALU_DEP_1)
	v_and_or_b32 v0, 0x8000, v0, v128
	v_lshl_or_b32 v118, v0, 16, v118
.LBB292_1539:                           ;   in Loop: Header=BB292_1062 Depth=1
	s_wait_alu 0xfffe
	s_or_b32 exec_lo, exec_lo, s15
.LBB292_1540:                           ;   in Loop: Header=BB292_1062 Depth=1
	s_wait_alu 0xfffe
	s_or_b32 exec_lo, exec_lo, s14
.LBB292_1541:                           ;   in Loop: Header=BB292_1062 Depth=1
	s_wait_alu 0xfffe
	s_or_b32 exec_lo, exec_lo, s11
	v_lshrrev_b32_e32 v0, 16, v11
	v_mov_b32_e32 v128, 0
	s_mov_b32 s11, exec_lo
	s_delay_alu instid0(VALU_DEP_2) | instskip(NEXT) | instid1(VALU_DEP_1)
	v_dual_mov_b32 v129, 0 :: v_dual_and_b32 v130, 0xff, v0
	v_cmpx_ne_u16_e64 0, v130
	s_cbranch_execz .LBB292_1549
; %bb.1542:                             ;   in Loop: Header=BB292_1062 Depth=1
	v_mov_b32_e32 v129, 0x8000
	s_mov_b32 s14, exec_lo
	v_cmpx_ne_u16_e64 0x80, v130
	s_cbranch_execz .LBB292_1548
; %bb.1543:                             ;   in Loop: Header=BB292_1062 Depth=1
	v_bfe_u32 v131, v11, 16, 7
	v_mov_b32_e32 v129, 0x7c01
	s_mov_b32 s15, exec_lo
	s_delay_alu instid0(VALU_DEP_2)
	v_cmpx_ne_u32_e32 0x7f, v131
	s_cbranch_execz .LBB292_1547
; %bb.1544:                             ;   in Loop: Header=BB292_1062 Depth=1
	v_and_b32_e32 v129, 7, v0
	v_lshrrev_b32_e32 v130, 3, v131
	s_mov_b32 s16, exec_lo
	v_cmpx_gt_u32_e32 8, v131
; %bb.1545:                             ;   in Loop: Header=BB292_1062 Depth=1
	s_delay_alu instid0(VALU_DEP_3) | instskip(NEXT) | instid1(VALU_DEP_1)
	v_clz_i32_u32_e32 v129, v129
	v_min_u32_e32 v131, 32, v129
	s_delay_alu instid0(VALU_DEP_1) | instskip(NEXT) | instid1(VALU_DEP_1)
	v_subrev_nc_u32_e32 v129, 28, v131
	v_lshlrev_b64_e32 v[129:130], v129, v[0:1]
	v_sub_nc_u32_e32 v130, 29, v131
	s_delay_alu instid0(VALU_DEP_2)
	v_and_b32_e32 v129, 7, v129
; %bb.1546:                             ;   in Loop: Header=BB292_1062 Depth=1
	s_wait_alu 0xfffe
	s_or_b32 exec_lo, exec_lo, s16
	v_lshlrev_b32_e32 v0, 8, v0
	v_lshl_add_u32 v130, v130, 10, 0x2000
	v_lshlrev_b32_e32 v129, 7, v129
	s_delay_alu instid0(VALU_DEP_3) | instskip(NEXT) | instid1(VALU_DEP_3)
	v_and_b32_e32 v0, 0x8000, v0
	v_and_b32_e32 v130, 0xfc00, v130
	s_delay_alu instid0(VALU_DEP_1)
	v_or3_b32 v129, v0, v130, v129
.LBB292_1547:                           ;   in Loop: Header=BB292_1062 Depth=1
	s_wait_alu 0xfffe
	s_or_b32 exec_lo, exec_lo, s15
.LBB292_1548:                           ;   in Loop: Header=BB292_1062 Depth=1
	s_wait_alu 0xfffe
	s_or_b32 exec_lo, exec_lo, s14
.LBB292_1549:                           ;   in Loop: Header=BB292_1062 Depth=1
	s_wait_alu 0xfffe
	s_or_b32 exec_lo, exec_lo, s11
	s_delay_alu instid0(SALU_CYCLE_1)
	s_mov_b32 s11, exec_lo
	v_cmpx_lt_u32_e32 0xffffff, v11
	s_cbranch_execz .LBB292_1557
; %bb.1550:                             ;   in Loop: Header=BB292_1062 Depth=1
	v_lshrrev_b32_e32 v0, 24, v11
	v_bfrev_b32_e32 v128, 1
	s_mov_b32 s14, exec_lo
	s_delay_alu instid0(VALU_DEP_2)
	v_cmpx_ne_u32_e32 0x80, v0
	s_cbranch_execz .LBB292_1556
; %bb.1551:                             ;   in Loop: Header=BB292_1062 Depth=1
	v_and_b32_e32 v131, 0x7f, v0
	v_mov_b32_e32 v128, 0x7c010000
	s_mov_b32 s15, exec_lo
	s_delay_alu instid0(VALU_DEP_2)
	v_cmpx_ne_u32_e32 0x7f, v131
	s_cbranch_execz .LBB292_1555
; %bb.1552:                             ;   in Loop: Header=BB292_1062 Depth=1
	v_and_b32_e32 v128, 7, v0
	v_lshrrev_b32_e32 v130, 3, v131
	s_mov_b32 s16, exec_lo
	v_cmpx_gt_u32_e32 8, v131
; %bb.1553:                             ;   in Loop: Header=BB292_1062 Depth=1
	s_delay_alu instid0(VALU_DEP_3) | instskip(NEXT) | instid1(VALU_DEP_1)
	v_clz_i32_u32_e32 v128, v128
	v_min_u32_e32 v128, 32, v128
	s_delay_alu instid0(VALU_DEP_1) | instskip(NEXT) | instid1(VALU_DEP_1)
	v_subrev_nc_u32_e32 v130, 28, v128
	v_lshlrev_b64_e32 v[131:132], v130, v[0:1]
	v_sub_nc_u32_e32 v130, 29, v128
	s_delay_alu instid0(VALU_DEP_2)
	v_and_b32_e32 v128, 7, v131
; %bb.1554:                             ;   in Loop: Header=BB292_1062 Depth=1
	s_wait_alu 0xfffe
	s_or_b32 exec_lo, exec_lo, s16
	v_lshlrev_b32_e32 v0, 8, v0
	v_lshl_add_u32 v130, v130, 10, 0x2000
	v_lshlrev_b32_e32 v128, 23, v128
	s_delay_alu instid0(VALU_DEP_2) | instskip(NEXT) | instid1(VALU_DEP_1)
	v_and_or_b32 v0, 0x8000, v0, v130
	v_lshl_or_b32 v128, v0, 16, v128
.LBB292_1555:                           ;   in Loop: Header=BB292_1062 Depth=1
	s_wait_alu 0xfffe
	s_or_b32 exec_lo, exec_lo, s15
.LBB292_1556:                           ;   in Loop: Header=BB292_1062 Depth=1
	s_wait_alu 0xfffe
	s_or_b32 exec_lo, exec_lo, s14
.LBB292_1557:                           ;   in Loop: Header=BB292_1062 Depth=1
	s_wait_alu 0xfffe
	s_or_b32 exec_lo, exec_lo, s11
	v_dual_mov_b32 v131, 0 :: v_dual_and_b32 v132, 0xff, v12
	v_mov_b32_e32 v0, v12
	v_mov_b32_e32 v130, 0
	s_mov_b32 s11, exec_lo
	s_delay_alu instid0(VALU_DEP_3)
	v_cmpx_ne_u16_e64 0, v132
	s_cbranch_execz .LBB292_1565
; %bb.1558:                             ;   in Loop: Header=BB292_1062 Depth=1
	v_mov_b32_e32 v131, 0x8000
	s_mov_b32 s14, exec_lo
	v_cmpx_ne_u16_e64 0x80, v132
	s_cbranch_execz .LBB292_1564
; %bb.1559:                             ;   in Loop: Header=BB292_1062 Depth=1
	v_and_b32_e32 v133, 0x7f, v12
	v_mov_b32_e32 v131, 0x7c01
	s_mov_b32 s15, exec_lo
	s_delay_alu instid0(VALU_DEP_2)
	v_cmpx_ne_u32_e32 0x7f, v133
	s_cbranch_execz .LBB292_1563
; %bb.1560:                             ;   in Loop: Header=BB292_1062 Depth=1
	v_and_b32_e32 v131, 7, v12
	v_lshrrev_b32_e32 v132, 3, v133
	s_mov_b32 s16, exec_lo
	v_cmpx_gt_u32_e32 8, v133
; %bb.1561:                             ;   in Loop: Header=BB292_1062 Depth=1
	s_delay_alu instid0(VALU_DEP_3) | instskip(NEXT) | instid1(VALU_DEP_1)
	v_clz_i32_u32_e32 v131, v131
	v_min_u32_e32 v133, 32, v131
	s_delay_alu instid0(VALU_DEP_1) | instskip(NEXT) | instid1(VALU_DEP_1)
	v_subrev_nc_u32_e32 v131, 28, v133
	v_lshlrev_b64_e32 v[131:132], v131, v[0:1]
	v_sub_nc_u32_e32 v132, 29, v133
	s_delay_alu instid0(VALU_DEP_2)
	v_and_b32_e32 v131, 7, v131
; %bb.1562:                             ;   in Loop: Header=BB292_1062 Depth=1
	s_wait_alu 0xfffe
	s_or_b32 exec_lo, exec_lo, s16
	v_lshlrev_b32_e32 v133, 8, v12
	v_lshl_add_u32 v132, v132, 10, 0x2000
	v_lshlrev_b32_e32 v131, 7, v131
	s_delay_alu instid0(VALU_DEP_3) | instskip(NEXT) | instid1(VALU_DEP_3)
	v_and_b32_e32 v133, 0x8000, v133
	v_and_b32_e32 v132, 0xfc00, v132
	s_delay_alu instid0(VALU_DEP_1)
	v_or3_b32 v131, v133, v132, v131
.LBB292_1563:                           ;   in Loop: Header=BB292_1062 Depth=1
	s_wait_alu 0xfffe
	s_or_b32 exec_lo, exec_lo, s15
.LBB292_1564:                           ;   in Loop: Header=BB292_1062 Depth=1
	s_wait_alu 0xfffe
	s_or_b32 exec_lo, exec_lo, s14
.LBB292_1565:                           ;   in Loop: Header=BB292_1062 Depth=1
	s_wait_alu 0xfffe
	s_or_b32 exec_lo, exec_lo, s11
	v_lshrrev_b16 v0, 8, v0
	v_mov_b32_e32 v132, 0
	s_mov_b32 s11, exec_lo
	s_delay_alu instid0(VALU_DEP_2)
	v_cmpx_ne_u16_e32 0, v0
	s_cbranch_execz .LBB292_1573
; %bb.1566:                             ;   in Loop: Header=BB292_1062 Depth=1
	v_bfrev_b32_e32 v132, 1
	s_mov_b32 s14, exec_lo
	v_cmpx_ne_u16_e32 0x80, v0
	s_cbranch_execz .LBB292_1572
; %bb.1567:                             ;   in Loop: Header=BB292_1062 Depth=1
	v_and_b32_e32 v133, 0xffff, v0
	v_mov_b32_e32 v132, 0x7c010000
	s_mov_b32 s15, exec_lo
	s_delay_alu instid0(VALU_DEP_2) | instskip(NEXT) | instid1(VALU_DEP_1)
	v_and_b32_e32 v135, 0x7f, v133
	v_cmpx_ne_u32_e32 0x7f, v135
	s_cbranch_execz .LBB292_1571
; %bb.1568:                             ;   in Loop: Header=BB292_1062 Depth=1
	v_and_b32_e32 v132, 7, v133
	v_lshrrev_b32_e32 v134, 3, v135
	s_mov_b32 s16, exec_lo
	v_cmpx_gt_u32_e32 8, v135
; %bb.1569:                             ;   in Loop: Header=BB292_1062 Depth=1
	s_delay_alu instid0(VALU_DEP_3) | instskip(NEXT) | instid1(VALU_DEP_1)
	v_clz_i32_u32_e32 v132, v132
	v_min_u32_e32 v132, 32, v132
	s_delay_alu instid0(VALU_DEP_1) | instskip(NEXT) | instid1(VALU_DEP_1)
	v_subrev_nc_u32_e32 v134, 28, v132
	v_lshlrev_b64_e32 v[144:145], v134, v[0:1]
	v_sub_nc_u32_e32 v134, 29, v132
	s_delay_alu instid0(VALU_DEP_2)
	v_and_b32_e32 v132, 7, v144
; %bb.1570:                             ;   in Loop: Header=BB292_1062 Depth=1
	s_wait_alu 0xfffe
	s_or_b32 exec_lo, exec_lo, s16
	v_lshlrev_b32_e32 v0, 8, v133
	v_lshl_add_u32 v133, v134, 10, 0x2000
	v_lshlrev_b32_e32 v132, 23, v132
	s_delay_alu instid0(VALU_DEP_2) | instskip(NEXT) | instid1(VALU_DEP_1)
	v_and_or_b32 v0, 0x8000, v0, v133
	v_lshl_or_b32 v132, v0, 16, v132
.LBB292_1571:                           ;   in Loop: Header=BB292_1062 Depth=1
	s_wait_alu 0xfffe
	s_or_b32 exec_lo, exec_lo, s15
.LBB292_1572:                           ;   in Loop: Header=BB292_1062 Depth=1
	s_wait_alu 0xfffe
	s_or_b32 exec_lo, exec_lo, s14
.LBB292_1573:                           ;   in Loop: Header=BB292_1062 Depth=1
	s_wait_alu 0xfffe
	s_or_b32 exec_lo, exec_lo, s11
	v_lshrrev_b32_e32 v0, 16, v12
	s_mov_b32 s11, exec_lo
	s_delay_alu instid0(VALU_DEP_1) | instskip(NEXT) | instid1(VALU_DEP_1)
	v_and_b32_e32 v133, 0xff, v0
	v_cmpx_ne_u16_e64 0, v133
	s_cbranch_execz .LBB292_1581
; %bb.1574:                             ;   in Loop: Header=BB292_1062 Depth=1
	v_mov_b32_e32 v130, 0x8000
	s_mov_b32 s14, exec_lo
	v_cmpx_ne_u16_e64 0x80, v133
	s_cbranch_execz .LBB292_1580
; %bb.1575:                             ;   in Loop: Header=BB292_1062 Depth=1
	v_bfe_u32 v134, v12, 16, 7
	v_mov_b32_e32 v130, 0x7c01
	s_mov_b32 s15, exec_lo
	s_delay_alu instid0(VALU_DEP_2)
	v_cmpx_ne_u32_e32 0x7f, v134
	s_cbranch_execz .LBB292_1579
; %bb.1576:                             ;   in Loop: Header=BB292_1062 Depth=1
	v_and_b32_e32 v130, 7, v0
	v_lshrrev_b32_e32 v133, 3, v134
	s_mov_b32 s16, exec_lo
	v_cmpx_gt_u32_e32 8, v134
; %bb.1577:                             ;   in Loop: Header=BB292_1062 Depth=1
	s_delay_alu instid0(VALU_DEP_3) | instskip(NEXT) | instid1(VALU_DEP_1)
	v_clz_i32_u32_e32 v130, v130
	v_min_u32_e32 v130, 32, v130
	s_delay_alu instid0(VALU_DEP_1) | instskip(NEXT) | instid1(VALU_DEP_1)
	v_subrev_nc_u32_e32 v133, 28, v130
	v_lshlrev_b64_e32 v[134:135], v133, v[0:1]
	v_sub_nc_u32_e32 v133, 29, v130
	s_delay_alu instid0(VALU_DEP_2)
	v_and_b32_e32 v130, 7, v134
; %bb.1578:                             ;   in Loop: Header=BB292_1062 Depth=1
	s_wait_alu 0xfffe
	s_or_b32 exec_lo, exec_lo, s16
	v_lshlrev_b32_e32 v0, 8, v0
	v_lshl_add_u32 v133, v133, 10, 0x2000
	v_lshlrev_b32_e32 v130, 7, v130
	s_delay_alu instid0(VALU_DEP_3) | instskip(NEXT) | instid1(VALU_DEP_3)
	v_and_b32_e32 v0, 0x8000, v0
	v_and_b32_e32 v133, 0xfc00, v133
	s_delay_alu instid0(VALU_DEP_1)
	v_or3_b32 v130, v0, v133, v130
.LBB292_1579:                           ;   in Loop: Header=BB292_1062 Depth=1
	s_wait_alu 0xfffe
	s_or_b32 exec_lo, exec_lo, s15
.LBB292_1580:                           ;   in Loop: Header=BB292_1062 Depth=1
	s_wait_alu 0xfffe
	s_or_b32 exec_lo, exec_lo, s14
.LBB292_1581:                           ;   in Loop: Header=BB292_1062 Depth=1
	s_wait_alu 0xfffe
	s_or_b32 exec_lo, exec_lo, s11
	v_cmp_lt_u64_e64 s0, s[8:9], v[11:12]
	v_mov_b32_e32 v11, 0
	s_and_saveexec_b32 s11, s0
	s_cbranch_execz .LBB292_1589
; %bb.1582:                             ;   in Loop: Header=BB292_1062 Depth=1
	v_lshrrev_b32_e32 v0, 24, v12
	v_bfrev_b32_e32 v11, 1
	s_mov_b32 s14, exec_lo
	s_delay_alu instid0(VALU_DEP_2)
	v_cmpx_ne_u32_e32 0x80, v0
	s_cbranch_execz .LBB292_1588
; %bb.1583:                             ;   in Loop: Header=BB292_1062 Depth=1
	v_and_b32_e32 v133, 0x7f, v0
	v_mov_b32_e32 v11, 0x7c010000
	s_mov_b32 s15, exec_lo
	s_delay_alu instid0(VALU_DEP_2)
	v_cmpx_ne_u32_e32 0x7f, v133
	s_cbranch_execz .LBB292_1587
; %bb.1584:                             ;   in Loop: Header=BB292_1062 Depth=1
	v_and_b32_e32 v11, 7, v0
	v_lshrrev_b32_e32 v12, 3, v133
	s_mov_b32 s16, exec_lo
	v_cmpx_gt_u32_e32 8, v133
; %bb.1585:                             ;   in Loop: Header=BB292_1062 Depth=1
	s_delay_alu instid0(VALU_DEP_3) | instskip(NEXT) | instid1(VALU_DEP_1)
	v_clz_i32_u32_e32 v11, v11
	v_min_u32_e32 v133, 32, v11
	s_delay_alu instid0(VALU_DEP_1) | instskip(NEXT) | instid1(VALU_DEP_1)
	v_subrev_nc_u32_e32 v11, 28, v133
	v_lshlrev_b64_e32 v[11:12], v11, v[0:1]
	v_sub_nc_u32_e32 v12, 29, v133
	s_delay_alu instid0(VALU_DEP_2)
	v_and_b32_e32 v11, 7, v11
; %bb.1586:                             ;   in Loop: Header=BB292_1062 Depth=1
	s_wait_alu 0xfffe
	s_or_b32 exec_lo, exec_lo, s16
	v_lshlrev_b32_e32 v0, 8, v0
	v_lshl_add_u32 v12, v12, 10, 0x2000
	v_lshlrev_b32_e32 v11, 23, v11
	s_delay_alu instid0(VALU_DEP_2) | instskip(NEXT) | instid1(VALU_DEP_1)
	v_and_or_b32 v0, 0x8000, v0, v12
	v_lshl_or_b32 v11, v0, 16, v11
.LBB292_1587:                           ;   in Loop: Header=BB292_1062 Depth=1
	s_wait_alu 0xfffe
	s_or_b32 exec_lo, exec_lo, s15
.LBB292_1588:                           ;   in Loop: Header=BB292_1062 Depth=1
	s_wait_alu 0xfffe
	s_or_b32 exec_lo, exec_lo, s14
.LBB292_1589:                           ;   in Loop: Header=BB292_1062 Depth=1
	s_wait_alu 0xfffe
	s_or_b32 exec_lo, exec_lo, s11
	v_or_b32_e32 v0, v128, v129
	s_wait_loadcnt_dscnt 0x0
	v_fma_mixlo_f16 v12, v117, v128, 0 op_sel:[0,1,0] op_sel_hi:[0,1,0]
	v_or_b32_e32 v128, v118, v119
	v_fma_mixlo_f16 v118, v117, v118, 0 op_sel:[0,1,0] op_sel_hi:[0,1,0]
	v_or_b32_e32 v129, v132, v131
	v_or_b32_e32 v130, v11, v130
	v_fma_mixlo_f16 v131, v117, v0, 0 op_sel_hi:[0,1,0]
	v_fma_mixlo_f16 v11, v117, v11, 0 op_sel:[0,1,0] op_sel_hi:[0,1,0]
	v_lshlrev_b32_e32 v119, 16, v118
	v_fma_mixlo_f16 v118, v117, v128, 0 op_sel_hi:[0,1,0]
	v_fma_mixlo_f16 v128, v117, v132, 0 op_sel:[0,1,0] op_sel_hi:[0,1,0]
	v_fma_mixlo_f16 v129, v117, v129, 0 op_sel_hi:[0,1,0]
	v_fma_mixlo_f16 v130, v117, v130, 0 op_sel_hi:[0,1,0]
	v_lshlrev_b32_e32 v0, 16, v12
	v_and_b32_e32 v12, 0xffff, v131
	v_and_b32_e32 v133, 0xffff, v118
	v_lshlrev_b32_e32 v117, 16, v128
	v_and_b32_e32 v129, 0xffff, v129
	v_lshlrev_b32_e32 v11, 16, v11
	v_and_b32_e32 v118, 0xffff, v130
	v_or_b32_e32 v128, v0, v12
	v_or_b32_e32 v132, v119, v133
	;; [unrolled: 1-line block ×3, first 2 shown]
	s_delay_alu instid0(VALU_DEP_4)
	v_or_b32_e32 v130, v11, v118
	s_and_saveexec_b32 s11, vcc_lo
	s_cbranch_execz .LBB292_1591
; %bb.1590:                             ;   in Loop: Header=BB292_1062 Depth=1
	v_cmp_lt_i32_e64 s0, v17, v34
	s_wait_alu 0xf1ff
	s_delay_alu instid0(VALU_DEP_1) | instskip(SKIP_2) | instid1(VALU_DEP_1)
	v_cndmask_b32_e64 v128, 0, v133, s0
	v_cmp_lt_i32_e64 s0, v96, v34
	s_wait_alu 0xf1ff
	v_cndmask_b32_e64 v119, 0, v119, s0
	v_cmp_lt_i32_e64 s0, v87, v34
	s_delay_alu instid0(VALU_DEP_2) | instskip(SKIP_1) | instid1(VALU_DEP_2)
	v_or_b32_e32 v132, v128, v119
	s_wait_alu 0xf1ff
	v_cndmask_b32_e64 v12, 0, v12, s0
	v_cmp_lt_i32_e64 s0, v86, v34
	s_wait_alu 0xf1ff
	s_delay_alu instid0(VALU_DEP_1) | instskip(SKIP_1) | instid1(VALU_DEP_2)
	v_cndmask_b32_e64 v0, 0, v0, s0
	v_cmp_lt_i32_e64 s0, v85, v34
	v_or_b32_e32 v128, v12, v0
	s_wait_alu 0xf1ff
	s_delay_alu instid0(VALU_DEP_2) | instskip(SKIP_2) | instid1(VALU_DEP_1)
	v_cndmask_b32_e64 v129, 0, v129, s0
	v_cmp_lt_i32_e64 s0, v84, v34
	s_wait_alu 0xf1ff
	v_cndmask_b32_e64 v117, 0, v117, s0
	v_cmp_lt_i32_e64 s0, v83, v34
	s_delay_alu instid0(VALU_DEP_2) | instskip(SKIP_1) | instid1(VALU_DEP_2)
	v_or_b32_e32 v131, v129, v117
	s_wait_alu 0xf1ff
	v_cndmask_b32_e64 v118, 0, v118, s0
	v_cmp_lt_i32_e64 s0, v82, v34
	s_wait_alu 0xf1ff
	s_delay_alu instid0(VALU_DEP_1) | instskip(NEXT) | instid1(VALU_DEP_1)
	v_cndmask_b32_e64 v11, 0, v11, s0
	v_or_b32_e32 v130, v118, v11
.LBB292_1591:                           ;   in Loop: Header=BB292_1062 Depth=1
	s_wait_alu 0xfffe
	s_or_b32 exec_lo, exec_lo, s11
	;;#ASMSTART
	v_pk_mul_f16 v0, v81, v132;

	;;#ASMEND
	;;#ASMSTART
	v_pk_mul_f16 v11, v80, v128;

	;;#ASMEND
	;; [unrolled: 4-line block ×4, first 2 shown]
	;;#ASMSTART
	v_pk_add_f16 v0, v0, v11;

	;;#ASMEND
	;;#ASMSTART
	v_pk_add_f16 v0, v0, v12;

	;;#ASMEND
	;; [unrolled: 4-line block ×3, first 2 shown]
	v_dual_mov_b32 v128, 0 :: v_dual_and_b32 v11, 0xffff, v0
	v_lshrrev_b32_e32 v0, 16, v0
	;;#ASMSTART
	v_cvt_f32_f16 v117, v11;
	;;#ASMEND
	;;#ASMSTART
	v_cvt_f32_f16 v118, v0;
	;;#ASMEND
	flat_load_b64 v[11:12], v[9:10] offset:2048
	flat_load_b32 v119, v[26:27]
	s_mov_b32 s11, exec_lo
	s_wait_loadcnt_dscnt 0x101
	v_dual_mov_b32 v129, 0 :: v_dual_and_b32 v0, 0xff, v11
	s_delay_alu instid0(VALU_DEP_1)
	v_cmpx_ne_u16_e32 0, v0
	s_cbranch_execz .LBB292_1599
; %bb.1592:                             ;   in Loop: Header=BB292_1062 Depth=1
	v_mov_b32_e32 v129, 0x8000
	s_mov_b32 s14, exec_lo
	v_cmpx_ne_u16_e32 0x80, v0
	s_cbranch_execz .LBB292_1598
; %bb.1593:                             ;   in Loop: Header=BB292_1062 Depth=1
	v_and_b32_e32 v130, 0x7f, v11
	v_mov_b32_e32 v129, 0x7c01
	s_mov_b32 s15, exec_lo
	s_delay_alu instid0(VALU_DEP_2)
	v_cmpx_ne_u32_e32 0x7f, v130
	s_cbranch_execz .LBB292_1597
; %bb.1594:                             ;   in Loop: Header=BB292_1062 Depth=1
	v_and_b32_e32 v0, 7, v11
	v_lshrrev_b32_e32 v129, 3, v130
	s_mov_b32 s16, exec_lo
	v_cmpx_gt_u32_e32 8, v130
; %bb.1595:                             ;   in Loop: Header=BB292_1062 Depth=1
	s_delay_alu instid0(VALU_DEP_3) | instskip(NEXT) | instid1(VALU_DEP_1)
	v_clz_i32_u32_e32 v0, v0
	v_min_u32_e32 v0, 32, v0
	s_delay_alu instid0(VALU_DEP_1) | instskip(NEXT) | instid1(VALU_DEP_1)
	v_subrev_nc_u32_e32 v129, 28, v0
	v_lshlrev_b64_e32 v[130:131], v129, v[11:12]
	v_sub_nc_u32_e32 v129, 29, v0
	s_delay_alu instid0(VALU_DEP_2)
	v_and_b32_e32 v0, 7, v130
; %bb.1596:                             ;   in Loop: Header=BB292_1062 Depth=1
	s_wait_alu 0xfffe
	s_or_b32 exec_lo, exec_lo, s16
	v_lshlrev_b32_e32 v130, 8, v11
	v_lshl_add_u32 v129, v129, 10, 0x2000
	v_lshlrev_b32_e32 v0, 7, v0
	s_delay_alu instid0(VALU_DEP_3) | instskip(NEXT) | instid1(VALU_DEP_3)
	v_and_b32_e32 v130, 0x8000, v130
	v_and_b32_e32 v129, 0xfc00, v129
	s_delay_alu instid0(VALU_DEP_1)
	v_or3_b32 v129, v130, v129, v0
.LBB292_1597:                           ;   in Loop: Header=BB292_1062 Depth=1
	s_wait_alu 0xfffe
	s_or_b32 exec_lo, exec_lo, s15
.LBB292_1598:                           ;   in Loop: Header=BB292_1062 Depth=1
	s_wait_alu 0xfffe
	s_or_b32 exec_lo, exec_lo, s14
.LBB292_1599:                           ;   in Loop: Header=BB292_1062 Depth=1
	s_wait_alu 0xfffe
	s_or_b32 exec_lo, exec_lo, s11
	v_lshrrev_b16 v0, 8, v11
	s_mov_b32 s11, exec_lo
	s_delay_alu instid0(VALU_DEP_1)
	v_cmpx_ne_u16_e32 0, v0
	s_cbranch_execz .LBB292_1607
; %bb.1600:                             ;   in Loop: Header=BB292_1062 Depth=1
	v_bfrev_b32_e32 v128, 1
	s_mov_b32 s14, exec_lo
	v_cmpx_ne_u16_e32 0x80, v0
	s_cbranch_execz .LBB292_1606
; %bb.1601:                             ;   in Loop: Header=BB292_1062 Depth=1
	v_and_b32_e32 v130, 0xffff, v0
	v_mov_b32_e32 v128, 0x7c010000
	s_mov_b32 s15, exec_lo
	s_delay_alu instid0(VALU_DEP_2) | instskip(NEXT) | instid1(VALU_DEP_1)
	v_and_b32_e32 v132, 0x7f, v130
	v_cmpx_ne_u32_e32 0x7f, v132
	s_cbranch_execz .LBB292_1605
; %bb.1602:                             ;   in Loop: Header=BB292_1062 Depth=1
	v_and_b32_e32 v128, 7, v130
	v_lshrrev_b32_e32 v131, 3, v132
	s_mov_b32 s16, exec_lo
	v_cmpx_gt_u32_e32 8, v132
; %bb.1603:                             ;   in Loop: Header=BB292_1062 Depth=1
	s_delay_alu instid0(VALU_DEP_3) | instskip(NEXT) | instid1(VALU_DEP_1)
	v_clz_i32_u32_e32 v128, v128
	v_min_u32_e32 v128, 32, v128
	s_delay_alu instid0(VALU_DEP_1) | instskip(NEXT) | instid1(VALU_DEP_1)
	v_subrev_nc_u32_e32 v131, 28, v128
	v_lshlrev_b64_e32 v[132:133], v131, v[0:1]
	v_sub_nc_u32_e32 v131, 29, v128
	s_delay_alu instid0(VALU_DEP_2)
	v_and_b32_e32 v128, 7, v132
; %bb.1604:                             ;   in Loop: Header=BB292_1062 Depth=1
	s_wait_alu 0xfffe
	s_or_b32 exec_lo, exec_lo, s16
	v_lshlrev_b32_e32 v0, 8, v130
	v_lshl_add_u32 v130, v131, 10, 0x2000
	v_lshlrev_b32_e32 v128, 23, v128
	s_delay_alu instid0(VALU_DEP_2) | instskip(NEXT) | instid1(VALU_DEP_1)
	v_and_or_b32 v0, 0x8000, v0, v130
	v_lshl_or_b32 v128, v0, 16, v128
.LBB292_1605:                           ;   in Loop: Header=BB292_1062 Depth=1
	s_wait_alu 0xfffe
	s_or_b32 exec_lo, exec_lo, s15
.LBB292_1606:                           ;   in Loop: Header=BB292_1062 Depth=1
	s_wait_alu 0xfffe
	s_or_b32 exec_lo, exec_lo, s14
.LBB292_1607:                           ;   in Loop: Header=BB292_1062 Depth=1
	s_wait_alu 0xfffe
	s_or_b32 exec_lo, exec_lo, s11
	v_lshrrev_b32_e32 v0, 16, v11
	v_mov_b32_e32 v130, 0
	s_mov_b32 s11, exec_lo
	s_delay_alu instid0(VALU_DEP_2) | instskip(NEXT) | instid1(VALU_DEP_1)
	v_dual_mov_b32 v131, 0 :: v_dual_and_b32 v132, 0xff, v0
	v_cmpx_ne_u16_e64 0, v132
	s_cbranch_execz .LBB292_1615
; %bb.1608:                             ;   in Loop: Header=BB292_1062 Depth=1
	v_mov_b32_e32 v131, 0x8000
	s_mov_b32 s14, exec_lo
	v_cmpx_ne_u16_e64 0x80, v132
	s_cbranch_execz .LBB292_1614
; %bb.1609:                             ;   in Loop: Header=BB292_1062 Depth=1
	v_bfe_u32 v133, v11, 16, 7
	v_mov_b32_e32 v131, 0x7c01
	s_mov_b32 s15, exec_lo
	s_delay_alu instid0(VALU_DEP_2)
	v_cmpx_ne_u32_e32 0x7f, v133
	s_cbranch_execz .LBB292_1613
; %bb.1610:                             ;   in Loop: Header=BB292_1062 Depth=1
	v_and_b32_e32 v131, 7, v0
	v_lshrrev_b32_e32 v132, 3, v133
	s_mov_b32 s16, exec_lo
	v_cmpx_gt_u32_e32 8, v133
; %bb.1611:                             ;   in Loop: Header=BB292_1062 Depth=1
	s_delay_alu instid0(VALU_DEP_3) | instskip(NEXT) | instid1(VALU_DEP_1)
	v_clz_i32_u32_e32 v131, v131
	v_min_u32_e32 v133, 32, v131
	s_delay_alu instid0(VALU_DEP_1) | instskip(NEXT) | instid1(VALU_DEP_1)
	v_subrev_nc_u32_e32 v131, 28, v133
	v_lshlrev_b64_e32 v[131:132], v131, v[0:1]
	v_sub_nc_u32_e32 v132, 29, v133
	s_delay_alu instid0(VALU_DEP_2)
	v_and_b32_e32 v131, 7, v131
; %bb.1612:                             ;   in Loop: Header=BB292_1062 Depth=1
	s_wait_alu 0xfffe
	s_or_b32 exec_lo, exec_lo, s16
	v_lshlrev_b32_e32 v0, 8, v0
	v_lshl_add_u32 v132, v132, 10, 0x2000
	v_lshlrev_b32_e32 v131, 7, v131
	s_delay_alu instid0(VALU_DEP_3) | instskip(NEXT) | instid1(VALU_DEP_3)
	v_and_b32_e32 v0, 0x8000, v0
	v_and_b32_e32 v132, 0xfc00, v132
	s_delay_alu instid0(VALU_DEP_1)
	v_or3_b32 v131, v0, v132, v131
.LBB292_1613:                           ;   in Loop: Header=BB292_1062 Depth=1
	s_wait_alu 0xfffe
	s_or_b32 exec_lo, exec_lo, s15
.LBB292_1614:                           ;   in Loop: Header=BB292_1062 Depth=1
	s_wait_alu 0xfffe
	s_or_b32 exec_lo, exec_lo, s14
.LBB292_1615:                           ;   in Loop: Header=BB292_1062 Depth=1
	s_wait_alu 0xfffe
	s_or_b32 exec_lo, exec_lo, s11
	s_delay_alu instid0(SALU_CYCLE_1)
	s_mov_b32 s11, exec_lo
	v_cmpx_lt_u32_e32 0xffffff, v11
	s_cbranch_execz .LBB292_1623
; %bb.1616:                             ;   in Loop: Header=BB292_1062 Depth=1
	v_lshrrev_b32_e32 v0, 24, v11
	v_bfrev_b32_e32 v130, 1
	s_mov_b32 s14, exec_lo
	s_delay_alu instid0(VALU_DEP_2)
	v_cmpx_ne_u32_e32 0x80, v0
	s_cbranch_execz .LBB292_1622
; %bb.1617:                             ;   in Loop: Header=BB292_1062 Depth=1
	v_and_b32_e32 v133, 0x7f, v0
	v_mov_b32_e32 v130, 0x7c010000
	s_mov_b32 s15, exec_lo
	s_delay_alu instid0(VALU_DEP_2)
	v_cmpx_ne_u32_e32 0x7f, v133
	s_cbranch_execz .LBB292_1621
; %bb.1618:                             ;   in Loop: Header=BB292_1062 Depth=1
	v_and_b32_e32 v130, 7, v0
	v_lshrrev_b32_e32 v132, 3, v133
	s_mov_b32 s16, exec_lo
	v_cmpx_gt_u32_e32 8, v133
; %bb.1619:                             ;   in Loop: Header=BB292_1062 Depth=1
	s_delay_alu instid0(VALU_DEP_3) | instskip(NEXT) | instid1(VALU_DEP_1)
	v_clz_i32_u32_e32 v130, v130
	v_min_u32_e32 v130, 32, v130
	s_delay_alu instid0(VALU_DEP_1) | instskip(NEXT) | instid1(VALU_DEP_1)
	v_subrev_nc_u32_e32 v132, 28, v130
	v_lshlrev_b64_e32 v[133:134], v132, v[0:1]
	v_sub_nc_u32_e32 v132, 29, v130
	s_delay_alu instid0(VALU_DEP_2)
	v_and_b32_e32 v130, 7, v133
; %bb.1620:                             ;   in Loop: Header=BB292_1062 Depth=1
	s_wait_alu 0xfffe
	s_or_b32 exec_lo, exec_lo, s16
	v_lshlrev_b32_e32 v0, 8, v0
	v_lshl_add_u32 v132, v132, 10, 0x2000
	v_lshlrev_b32_e32 v130, 23, v130
	s_delay_alu instid0(VALU_DEP_2) | instskip(NEXT) | instid1(VALU_DEP_1)
	v_and_or_b32 v0, 0x8000, v0, v132
	v_lshl_or_b32 v130, v0, 16, v130
.LBB292_1621:                           ;   in Loop: Header=BB292_1062 Depth=1
	s_wait_alu 0xfffe
	s_or_b32 exec_lo, exec_lo, s15
.LBB292_1622:                           ;   in Loop: Header=BB292_1062 Depth=1
	s_wait_alu 0xfffe
	s_or_b32 exec_lo, exec_lo, s14
.LBB292_1623:                           ;   in Loop: Header=BB292_1062 Depth=1
	s_wait_alu 0xfffe
	s_or_b32 exec_lo, exec_lo, s11
	v_dual_mov_b32 v133, 0 :: v_dual_and_b32 v134, 0xff, v12
	v_mov_b32_e32 v0, v12
	v_mov_b32_e32 v132, 0
	s_mov_b32 s11, exec_lo
	s_delay_alu instid0(VALU_DEP_3)
	v_cmpx_ne_u16_e64 0, v134
	s_cbranch_execz .LBB292_1631
; %bb.1624:                             ;   in Loop: Header=BB292_1062 Depth=1
	v_mov_b32_e32 v133, 0x8000
	s_mov_b32 s14, exec_lo
	v_cmpx_ne_u16_e64 0x80, v134
	s_cbranch_execz .LBB292_1630
; %bb.1625:                             ;   in Loop: Header=BB292_1062 Depth=1
	v_and_b32_e32 v135, 0x7f, v12
	v_mov_b32_e32 v133, 0x7c01
	s_mov_b32 s15, exec_lo
	s_delay_alu instid0(VALU_DEP_2)
	v_cmpx_ne_u32_e32 0x7f, v135
	s_cbranch_execz .LBB292_1629
; %bb.1626:                             ;   in Loop: Header=BB292_1062 Depth=1
	v_and_b32_e32 v133, 7, v12
	v_lshrrev_b32_e32 v134, 3, v135
	s_mov_b32 s16, exec_lo
	v_cmpx_gt_u32_e32 8, v135
; %bb.1627:                             ;   in Loop: Header=BB292_1062 Depth=1
	s_delay_alu instid0(VALU_DEP_3) | instskip(NEXT) | instid1(VALU_DEP_1)
	v_clz_i32_u32_e32 v133, v133
	v_min_u32_e32 v135, 32, v133
	s_delay_alu instid0(VALU_DEP_1) | instskip(NEXT) | instid1(VALU_DEP_1)
	v_subrev_nc_u32_e32 v133, 28, v135
	v_lshlrev_b64_e32 v[133:134], v133, v[0:1]
	v_sub_nc_u32_e32 v134, 29, v135
	s_delay_alu instid0(VALU_DEP_2)
	v_and_b32_e32 v133, 7, v133
; %bb.1628:                             ;   in Loop: Header=BB292_1062 Depth=1
	s_wait_alu 0xfffe
	s_or_b32 exec_lo, exec_lo, s16
	v_lshlrev_b32_e32 v135, 8, v12
	v_lshl_add_u32 v134, v134, 10, 0x2000
	v_lshlrev_b32_e32 v133, 7, v133
	s_delay_alu instid0(VALU_DEP_3) | instskip(NEXT) | instid1(VALU_DEP_3)
	v_and_b32_e32 v135, 0x8000, v135
	v_and_b32_e32 v134, 0xfc00, v134
	s_delay_alu instid0(VALU_DEP_1)
	v_or3_b32 v133, v135, v134, v133
.LBB292_1629:                           ;   in Loop: Header=BB292_1062 Depth=1
	s_wait_alu 0xfffe
	s_or_b32 exec_lo, exec_lo, s15
.LBB292_1630:                           ;   in Loop: Header=BB292_1062 Depth=1
	s_wait_alu 0xfffe
	s_or_b32 exec_lo, exec_lo, s14
.LBB292_1631:                           ;   in Loop: Header=BB292_1062 Depth=1
	s_wait_alu 0xfffe
	s_or_b32 exec_lo, exec_lo, s11
	v_lshrrev_b16 v0, 8, v0
	v_mov_b32_e32 v134, 0
	s_mov_b32 s11, exec_lo
	s_delay_alu instid0(VALU_DEP_2)
	v_cmpx_ne_u16_e32 0, v0
	s_cbranch_execz .LBB292_1639
; %bb.1632:                             ;   in Loop: Header=BB292_1062 Depth=1
	v_bfrev_b32_e32 v134, 1
	s_mov_b32 s14, exec_lo
	v_cmpx_ne_u16_e32 0x80, v0
	s_cbranch_execz .LBB292_1638
; %bb.1633:                             ;   in Loop: Header=BB292_1062 Depth=1
	v_and_b32_e32 v135, 0xffff, v0
	v_mov_b32_e32 v134, 0x7c010000
	s_mov_b32 s15, exec_lo
	s_delay_alu instid0(VALU_DEP_2) | instskip(NEXT) | instid1(VALU_DEP_1)
	v_and_b32_e32 v145, 0x7f, v135
	v_cmpx_ne_u32_e32 0x7f, v145
	s_cbranch_execz .LBB292_1637
; %bb.1634:                             ;   in Loop: Header=BB292_1062 Depth=1
	v_and_b32_e32 v134, 7, v135
	v_lshrrev_b32_e32 v144, 3, v145
	s_mov_b32 s16, exec_lo
	v_cmpx_gt_u32_e32 8, v145
; %bb.1635:                             ;   in Loop: Header=BB292_1062 Depth=1
	s_delay_alu instid0(VALU_DEP_3) | instskip(NEXT) | instid1(VALU_DEP_1)
	v_clz_i32_u32_e32 v134, v134
	v_min_u32_e32 v134, 32, v134
	s_delay_alu instid0(VALU_DEP_1) | instskip(NEXT) | instid1(VALU_DEP_1)
	v_subrev_nc_u32_e32 v144, 28, v134
	v_lshlrev_b64_e32 v[145:146], v144, v[0:1]
	v_sub_nc_u32_e32 v144, 29, v134
	s_delay_alu instid0(VALU_DEP_2)
	v_and_b32_e32 v134, 7, v145
; %bb.1636:                             ;   in Loop: Header=BB292_1062 Depth=1
	s_wait_alu 0xfffe
	s_or_b32 exec_lo, exec_lo, s16
	v_lshlrev_b32_e32 v0, 8, v135
	v_lshl_add_u32 v135, v144, 10, 0x2000
	v_lshlrev_b32_e32 v134, 23, v134
	s_delay_alu instid0(VALU_DEP_2) | instskip(NEXT) | instid1(VALU_DEP_1)
	v_and_or_b32 v0, 0x8000, v0, v135
	v_lshl_or_b32 v134, v0, 16, v134
.LBB292_1637:                           ;   in Loop: Header=BB292_1062 Depth=1
	s_wait_alu 0xfffe
	s_or_b32 exec_lo, exec_lo, s15
.LBB292_1638:                           ;   in Loop: Header=BB292_1062 Depth=1
	s_wait_alu 0xfffe
	s_or_b32 exec_lo, exec_lo, s14
.LBB292_1639:                           ;   in Loop: Header=BB292_1062 Depth=1
	s_wait_alu 0xfffe
	s_or_b32 exec_lo, exec_lo, s11
	v_lshrrev_b32_e32 v0, 16, v12
	s_mov_b32 s11, exec_lo
	s_delay_alu instid0(VALU_DEP_1) | instskip(NEXT) | instid1(VALU_DEP_1)
	v_and_b32_e32 v135, 0xff, v0
	v_cmpx_ne_u16_e64 0, v135
	s_cbranch_execz .LBB292_1647
; %bb.1640:                             ;   in Loop: Header=BB292_1062 Depth=1
	v_mov_b32_e32 v132, 0x8000
	s_mov_b32 s14, exec_lo
	v_cmpx_ne_u16_e64 0x80, v135
	s_cbranch_execz .LBB292_1646
; %bb.1641:                             ;   in Loop: Header=BB292_1062 Depth=1
	v_bfe_u32 v144, v12, 16, 7
	v_mov_b32_e32 v132, 0x7c01
	s_mov_b32 s15, exec_lo
	s_delay_alu instid0(VALU_DEP_2)
	v_cmpx_ne_u32_e32 0x7f, v144
	s_cbranch_execz .LBB292_1645
; %bb.1642:                             ;   in Loop: Header=BB292_1062 Depth=1
	v_and_b32_e32 v132, 7, v0
	v_lshrrev_b32_e32 v135, 3, v144
	s_mov_b32 s16, exec_lo
	v_cmpx_gt_u32_e32 8, v144
; %bb.1643:                             ;   in Loop: Header=BB292_1062 Depth=1
	s_delay_alu instid0(VALU_DEP_3) | instskip(NEXT) | instid1(VALU_DEP_1)
	v_clz_i32_u32_e32 v132, v132
	v_min_u32_e32 v132, 32, v132
	s_delay_alu instid0(VALU_DEP_1) | instskip(NEXT) | instid1(VALU_DEP_1)
	v_subrev_nc_u32_e32 v135, 28, v132
	v_lshlrev_b64_e32 v[144:145], v135, v[0:1]
	v_sub_nc_u32_e32 v135, 29, v132
	s_delay_alu instid0(VALU_DEP_2)
	v_and_b32_e32 v132, 7, v144
; %bb.1644:                             ;   in Loop: Header=BB292_1062 Depth=1
	s_wait_alu 0xfffe
	s_or_b32 exec_lo, exec_lo, s16
	v_lshlrev_b32_e32 v0, 8, v0
	v_lshl_add_u32 v135, v135, 10, 0x2000
	v_lshlrev_b32_e32 v132, 7, v132
	s_delay_alu instid0(VALU_DEP_3) | instskip(NEXT) | instid1(VALU_DEP_3)
	v_and_b32_e32 v0, 0x8000, v0
	v_and_b32_e32 v135, 0xfc00, v135
	s_delay_alu instid0(VALU_DEP_1)
	v_or3_b32 v132, v0, v135, v132
.LBB292_1645:                           ;   in Loop: Header=BB292_1062 Depth=1
	s_wait_alu 0xfffe
	s_or_b32 exec_lo, exec_lo, s15
.LBB292_1646:                           ;   in Loop: Header=BB292_1062 Depth=1
	s_wait_alu 0xfffe
	s_or_b32 exec_lo, exec_lo, s14
.LBB292_1647:                           ;   in Loop: Header=BB292_1062 Depth=1
	s_wait_alu 0xfffe
	s_or_b32 exec_lo, exec_lo, s11
	v_cmp_lt_u64_e64 s0, s[8:9], v[11:12]
	v_mov_b32_e32 v11, 0
	s_and_saveexec_b32 s11, s0
	s_cbranch_execz .LBB292_1655
; %bb.1648:                             ;   in Loop: Header=BB292_1062 Depth=1
	v_lshrrev_b32_e32 v0, 24, v12
	v_bfrev_b32_e32 v11, 1
	s_mov_b32 s14, exec_lo
	s_delay_alu instid0(VALU_DEP_2)
	v_cmpx_ne_u32_e32 0x80, v0
	s_cbranch_execz .LBB292_1654
; %bb.1649:                             ;   in Loop: Header=BB292_1062 Depth=1
	v_and_b32_e32 v135, 0x7f, v0
	v_mov_b32_e32 v11, 0x7c010000
	s_mov_b32 s15, exec_lo
	s_delay_alu instid0(VALU_DEP_2)
	v_cmpx_ne_u32_e32 0x7f, v135
	s_cbranch_execz .LBB292_1653
; %bb.1650:                             ;   in Loop: Header=BB292_1062 Depth=1
	v_and_b32_e32 v11, 7, v0
	v_lshrrev_b32_e32 v12, 3, v135
	s_mov_b32 s16, exec_lo
	v_cmpx_gt_u32_e32 8, v135
; %bb.1651:                             ;   in Loop: Header=BB292_1062 Depth=1
	s_delay_alu instid0(VALU_DEP_3) | instskip(NEXT) | instid1(VALU_DEP_1)
	v_clz_i32_u32_e32 v11, v11
	v_min_u32_e32 v135, 32, v11
	s_delay_alu instid0(VALU_DEP_1) | instskip(NEXT) | instid1(VALU_DEP_1)
	v_subrev_nc_u32_e32 v11, 28, v135
	v_lshlrev_b64_e32 v[11:12], v11, v[0:1]
	v_sub_nc_u32_e32 v12, 29, v135
	s_delay_alu instid0(VALU_DEP_2)
	v_and_b32_e32 v11, 7, v11
; %bb.1652:                             ;   in Loop: Header=BB292_1062 Depth=1
	s_wait_alu 0xfffe
	s_or_b32 exec_lo, exec_lo, s16
	v_lshlrev_b32_e32 v0, 8, v0
	v_lshl_add_u32 v12, v12, 10, 0x2000
	v_lshlrev_b32_e32 v11, 23, v11
	s_delay_alu instid0(VALU_DEP_2) | instskip(NEXT) | instid1(VALU_DEP_1)
	v_and_or_b32 v0, 0x8000, v0, v12
	v_lshl_or_b32 v11, v0, 16, v11
.LBB292_1653:                           ;   in Loop: Header=BB292_1062 Depth=1
	s_wait_alu 0xfffe
	s_or_b32 exec_lo, exec_lo, s15
.LBB292_1654:                           ;   in Loop: Header=BB292_1062 Depth=1
	s_wait_alu 0xfffe
	s_or_b32 exec_lo, exec_lo, s14
.LBB292_1655:                           ;   in Loop: Header=BB292_1062 Depth=1
	s_wait_alu 0xfffe
	s_or_b32 exec_lo, exec_lo, s11
	v_or_b32_e32 v0, v130, v131
	s_wait_loadcnt_dscnt 0x0
	v_fma_mixlo_f16 v12, v119, v130, 0 op_sel:[0,1,0] op_sel_hi:[0,1,0]
	v_or_b32_e32 v130, v128, v129
	v_fma_mixlo_f16 v128, v119, v128, 0 op_sel:[0,1,0] op_sel_hi:[0,1,0]
	v_or_b32_e32 v131, v134, v133
	v_or_b32_e32 v132, v11, v132
	v_fma_mixlo_f16 v133, v119, v0, 0 op_sel_hi:[0,1,0]
	v_fma_mixlo_f16 v11, v119, v11, 0 op_sel:[0,1,0] op_sel_hi:[0,1,0]
	v_lshlrev_b32_e32 v129, 16, v128
	v_fma_mixlo_f16 v128, v119, v130, 0 op_sel_hi:[0,1,0]
	v_fma_mixlo_f16 v130, v119, v134, 0 op_sel:[0,1,0] op_sel_hi:[0,1,0]
	v_fma_mixlo_f16 v131, v119, v131, 0 op_sel_hi:[0,1,0]
	v_fma_mixlo_f16 v132, v119, v132, 0 op_sel_hi:[0,1,0]
	v_lshlrev_b32_e32 v0, 16, v12
	v_and_b32_e32 v12, 0xffff, v133
	v_and_b32_e32 v135, 0xffff, v128
	v_lshlrev_b32_e32 v119, 16, v130
	v_and_b32_e32 v131, 0xffff, v131
	v_lshlrev_b32_e32 v11, 16, v11
	v_and_b32_e32 v128, 0xffff, v132
	v_or_b32_e32 v130, v0, v12
	v_or_b32_e32 v134, v129, v135
	;; [unrolled: 1-line block ×3, first 2 shown]
	s_delay_alu instid0(VALU_DEP_4)
	v_or_b32_e32 v132, v11, v128
	s_and_saveexec_b32 s11, vcc_lo
	s_cbranch_execz .LBB292_1657
; %bb.1656:                             ;   in Loop: Header=BB292_1062 Depth=1
	v_cmp_lt_i32_e64 s0, v17, v34
	s_wait_alu 0xf1ff
	s_delay_alu instid0(VALU_DEP_1) | instskip(SKIP_2) | instid1(VALU_DEP_1)
	v_cndmask_b32_e64 v130, 0, v135, s0
	v_cmp_lt_i32_e64 s0, v96, v34
	s_wait_alu 0xf1ff
	v_cndmask_b32_e64 v129, 0, v129, s0
	v_cmp_lt_i32_e64 s0, v87, v34
	s_delay_alu instid0(VALU_DEP_2) | instskip(SKIP_1) | instid1(VALU_DEP_2)
	v_or_b32_e32 v134, v130, v129
	s_wait_alu 0xf1ff
	v_cndmask_b32_e64 v12, 0, v12, s0
	v_cmp_lt_i32_e64 s0, v86, v34
	s_wait_alu 0xf1ff
	s_delay_alu instid0(VALU_DEP_1) | instskip(SKIP_1) | instid1(VALU_DEP_2)
	v_cndmask_b32_e64 v0, 0, v0, s0
	v_cmp_lt_i32_e64 s0, v85, v34
	v_or_b32_e32 v130, v12, v0
	s_wait_alu 0xf1ff
	s_delay_alu instid0(VALU_DEP_2) | instskip(SKIP_2) | instid1(VALU_DEP_1)
	v_cndmask_b32_e64 v131, 0, v131, s0
	v_cmp_lt_i32_e64 s0, v84, v34
	s_wait_alu 0xf1ff
	v_cndmask_b32_e64 v119, 0, v119, s0
	v_cmp_lt_i32_e64 s0, v83, v34
	s_delay_alu instid0(VALU_DEP_2) | instskip(SKIP_1) | instid1(VALU_DEP_2)
	v_or_b32_e32 v133, v131, v119
	s_wait_alu 0xf1ff
	v_cndmask_b32_e64 v128, 0, v128, s0
	v_cmp_lt_i32_e64 s0, v82, v34
	s_wait_alu 0xf1ff
	s_delay_alu instid0(VALU_DEP_1) | instskip(NEXT) | instid1(VALU_DEP_1)
	v_cndmask_b32_e64 v11, 0, v11, s0
	v_or_b32_e32 v132, v128, v11
.LBB292_1657:                           ;   in Loop: Header=BB292_1062 Depth=1
	s_wait_alu 0xfffe
	s_or_b32 exec_lo, exec_lo, s11
	;;#ASMSTART
	v_pk_mul_f16 v0, v81, v134;

	;;#ASMEND
	;;#ASMSTART
	v_pk_mul_f16 v11, v80, v130;

	;;#ASMEND
	;; [unrolled: 4-line block ×4, first 2 shown]
	;;#ASMSTART
	v_pk_add_f16 v0, v0, v11;

	;;#ASMEND
	;;#ASMSTART
	v_pk_add_f16 v0, v0, v12;

	;;#ASMEND
	;;#ASMSTART
	v_pk_add_f16 v0, v0, v119;

	;;#ASMEND
	v_dual_mov_b32 v130, 0 :: v_dual_and_b32 v11, 0xffff, v0
	v_lshrrev_b32_e32 v0, 16, v0
	;;#ASMSTART
	v_cvt_f32_f16 v119, v11;
	;;#ASMEND
	;;#ASMSTART
	v_cvt_f32_f16 v128, v0;
	;;#ASMEND
	flat_load_b64 v[11:12], v[9:10] offset:2304
	flat_load_b32 v129, v[26:27]
	s_mov_b32 s11, exec_lo
	s_wait_loadcnt_dscnt 0x101
	v_dual_mov_b32 v131, 0 :: v_dual_and_b32 v0, 0xff, v11
	s_delay_alu instid0(VALU_DEP_1)
	v_cmpx_ne_u16_e32 0, v0
	s_cbranch_execz .LBB292_1665
; %bb.1658:                             ;   in Loop: Header=BB292_1062 Depth=1
	v_mov_b32_e32 v131, 0x8000
	s_mov_b32 s14, exec_lo
	v_cmpx_ne_u16_e32 0x80, v0
	s_cbranch_execz .LBB292_1664
; %bb.1659:                             ;   in Loop: Header=BB292_1062 Depth=1
	v_and_b32_e32 v132, 0x7f, v11
	v_mov_b32_e32 v131, 0x7c01
	s_mov_b32 s15, exec_lo
	s_delay_alu instid0(VALU_DEP_2)
	v_cmpx_ne_u32_e32 0x7f, v132
	s_cbranch_execz .LBB292_1663
; %bb.1660:                             ;   in Loop: Header=BB292_1062 Depth=1
	v_and_b32_e32 v0, 7, v11
	v_lshrrev_b32_e32 v131, 3, v132
	s_mov_b32 s16, exec_lo
	v_cmpx_gt_u32_e32 8, v132
; %bb.1661:                             ;   in Loop: Header=BB292_1062 Depth=1
	s_delay_alu instid0(VALU_DEP_3) | instskip(NEXT) | instid1(VALU_DEP_1)
	v_clz_i32_u32_e32 v0, v0
	v_min_u32_e32 v0, 32, v0
	s_delay_alu instid0(VALU_DEP_1) | instskip(NEXT) | instid1(VALU_DEP_1)
	v_subrev_nc_u32_e32 v131, 28, v0
	v_lshlrev_b64_e32 v[132:133], v131, v[11:12]
	v_sub_nc_u32_e32 v131, 29, v0
	s_delay_alu instid0(VALU_DEP_2)
	v_and_b32_e32 v0, 7, v132
; %bb.1662:                             ;   in Loop: Header=BB292_1062 Depth=1
	s_wait_alu 0xfffe
	s_or_b32 exec_lo, exec_lo, s16
	v_lshlrev_b32_e32 v132, 8, v11
	v_lshl_add_u32 v131, v131, 10, 0x2000
	v_lshlrev_b32_e32 v0, 7, v0
	s_delay_alu instid0(VALU_DEP_3) | instskip(NEXT) | instid1(VALU_DEP_3)
	v_and_b32_e32 v132, 0x8000, v132
	v_and_b32_e32 v131, 0xfc00, v131
	s_delay_alu instid0(VALU_DEP_1)
	v_or3_b32 v131, v132, v131, v0
.LBB292_1663:                           ;   in Loop: Header=BB292_1062 Depth=1
	s_wait_alu 0xfffe
	s_or_b32 exec_lo, exec_lo, s15
.LBB292_1664:                           ;   in Loop: Header=BB292_1062 Depth=1
	s_wait_alu 0xfffe
	s_or_b32 exec_lo, exec_lo, s14
.LBB292_1665:                           ;   in Loop: Header=BB292_1062 Depth=1
	s_wait_alu 0xfffe
	s_or_b32 exec_lo, exec_lo, s11
	v_lshrrev_b16 v0, 8, v11
	s_mov_b32 s11, exec_lo
	s_delay_alu instid0(VALU_DEP_1)
	v_cmpx_ne_u16_e32 0, v0
	s_cbranch_execz .LBB292_1673
; %bb.1666:                             ;   in Loop: Header=BB292_1062 Depth=1
	v_bfrev_b32_e32 v130, 1
	s_mov_b32 s14, exec_lo
	v_cmpx_ne_u16_e32 0x80, v0
	s_cbranch_execz .LBB292_1672
; %bb.1667:                             ;   in Loop: Header=BB292_1062 Depth=1
	v_and_b32_e32 v132, 0xffff, v0
	v_mov_b32_e32 v130, 0x7c010000
	s_mov_b32 s15, exec_lo
	s_delay_alu instid0(VALU_DEP_2) | instskip(NEXT) | instid1(VALU_DEP_1)
	v_and_b32_e32 v134, 0x7f, v132
	v_cmpx_ne_u32_e32 0x7f, v134
	s_cbranch_execz .LBB292_1671
; %bb.1668:                             ;   in Loop: Header=BB292_1062 Depth=1
	v_and_b32_e32 v130, 7, v132
	v_lshrrev_b32_e32 v133, 3, v134
	s_mov_b32 s16, exec_lo
	v_cmpx_gt_u32_e32 8, v134
; %bb.1669:                             ;   in Loop: Header=BB292_1062 Depth=1
	s_delay_alu instid0(VALU_DEP_3) | instskip(NEXT) | instid1(VALU_DEP_1)
	v_clz_i32_u32_e32 v130, v130
	v_min_u32_e32 v130, 32, v130
	s_delay_alu instid0(VALU_DEP_1) | instskip(NEXT) | instid1(VALU_DEP_1)
	v_subrev_nc_u32_e32 v133, 28, v130
	v_lshlrev_b64_e32 v[134:135], v133, v[0:1]
	v_sub_nc_u32_e32 v133, 29, v130
	s_delay_alu instid0(VALU_DEP_2)
	v_and_b32_e32 v130, 7, v134
; %bb.1670:                             ;   in Loop: Header=BB292_1062 Depth=1
	s_wait_alu 0xfffe
	s_or_b32 exec_lo, exec_lo, s16
	v_lshlrev_b32_e32 v0, 8, v132
	v_lshl_add_u32 v132, v133, 10, 0x2000
	v_lshlrev_b32_e32 v130, 23, v130
	s_delay_alu instid0(VALU_DEP_2) | instskip(NEXT) | instid1(VALU_DEP_1)
	v_and_or_b32 v0, 0x8000, v0, v132
	v_lshl_or_b32 v130, v0, 16, v130
.LBB292_1671:                           ;   in Loop: Header=BB292_1062 Depth=1
	s_wait_alu 0xfffe
	s_or_b32 exec_lo, exec_lo, s15
.LBB292_1672:                           ;   in Loop: Header=BB292_1062 Depth=1
	s_wait_alu 0xfffe
	s_or_b32 exec_lo, exec_lo, s14
.LBB292_1673:                           ;   in Loop: Header=BB292_1062 Depth=1
	s_wait_alu 0xfffe
	s_or_b32 exec_lo, exec_lo, s11
	v_lshrrev_b32_e32 v0, 16, v11
	v_mov_b32_e32 v132, 0
	s_mov_b32 s11, exec_lo
	s_delay_alu instid0(VALU_DEP_2) | instskip(NEXT) | instid1(VALU_DEP_1)
	v_dual_mov_b32 v133, 0 :: v_dual_and_b32 v134, 0xff, v0
	v_cmpx_ne_u16_e64 0, v134
	s_cbranch_execz .LBB292_1681
; %bb.1674:                             ;   in Loop: Header=BB292_1062 Depth=1
	v_mov_b32_e32 v133, 0x8000
	s_mov_b32 s14, exec_lo
	v_cmpx_ne_u16_e64 0x80, v134
	s_cbranch_execz .LBB292_1680
; %bb.1675:                             ;   in Loop: Header=BB292_1062 Depth=1
	v_bfe_u32 v135, v11, 16, 7
	v_mov_b32_e32 v133, 0x7c01
	s_mov_b32 s15, exec_lo
	s_delay_alu instid0(VALU_DEP_2)
	v_cmpx_ne_u32_e32 0x7f, v135
	s_cbranch_execz .LBB292_1679
; %bb.1676:                             ;   in Loop: Header=BB292_1062 Depth=1
	v_and_b32_e32 v133, 7, v0
	v_lshrrev_b32_e32 v134, 3, v135
	s_mov_b32 s16, exec_lo
	v_cmpx_gt_u32_e32 8, v135
; %bb.1677:                             ;   in Loop: Header=BB292_1062 Depth=1
	s_delay_alu instid0(VALU_DEP_3) | instskip(NEXT) | instid1(VALU_DEP_1)
	v_clz_i32_u32_e32 v133, v133
	v_min_u32_e32 v135, 32, v133
	s_delay_alu instid0(VALU_DEP_1) | instskip(NEXT) | instid1(VALU_DEP_1)
	v_subrev_nc_u32_e32 v133, 28, v135
	v_lshlrev_b64_e32 v[133:134], v133, v[0:1]
	v_sub_nc_u32_e32 v134, 29, v135
	s_delay_alu instid0(VALU_DEP_2)
	v_and_b32_e32 v133, 7, v133
; %bb.1678:                             ;   in Loop: Header=BB292_1062 Depth=1
	s_wait_alu 0xfffe
	s_or_b32 exec_lo, exec_lo, s16
	v_lshlrev_b32_e32 v0, 8, v0
	v_lshl_add_u32 v134, v134, 10, 0x2000
	v_lshlrev_b32_e32 v133, 7, v133
	s_delay_alu instid0(VALU_DEP_3) | instskip(NEXT) | instid1(VALU_DEP_3)
	v_and_b32_e32 v0, 0x8000, v0
	v_and_b32_e32 v134, 0xfc00, v134
	s_delay_alu instid0(VALU_DEP_1)
	v_or3_b32 v133, v0, v134, v133
.LBB292_1679:                           ;   in Loop: Header=BB292_1062 Depth=1
	s_wait_alu 0xfffe
	s_or_b32 exec_lo, exec_lo, s15
.LBB292_1680:                           ;   in Loop: Header=BB292_1062 Depth=1
	s_wait_alu 0xfffe
	s_or_b32 exec_lo, exec_lo, s14
.LBB292_1681:                           ;   in Loop: Header=BB292_1062 Depth=1
	s_wait_alu 0xfffe
	s_or_b32 exec_lo, exec_lo, s11
	s_delay_alu instid0(SALU_CYCLE_1)
	s_mov_b32 s11, exec_lo
	v_cmpx_lt_u32_e32 0xffffff, v11
	s_cbranch_execz .LBB292_1689
; %bb.1682:                             ;   in Loop: Header=BB292_1062 Depth=1
	v_lshrrev_b32_e32 v0, 24, v11
	v_bfrev_b32_e32 v132, 1
	s_mov_b32 s14, exec_lo
	s_delay_alu instid0(VALU_DEP_2)
	v_cmpx_ne_u32_e32 0x80, v0
	s_cbranch_execz .LBB292_1688
; %bb.1683:                             ;   in Loop: Header=BB292_1062 Depth=1
	v_and_b32_e32 v135, 0x7f, v0
	v_mov_b32_e32 v132, 0x7c010000
	s_mov_b32 s15, exec_lo
	s_delay_alu instid0(VALU_DEP_2)
	v_cmpx_ne_u32_e32 0x7f, v135
	s_cbranch_execz .LBB292_1687
; %bb.1684:                             ;   in Loop: Header=BB292_1062 Depth=1
	v_and_b32_e32 v132, 7, v0
	v_lshrrev_b32_e32 v134, 3, v135
	s_mov_b32 s16, exec_lo
	v_cmpx_gt_u32_e32 8, v135
; %bb.1685:                             ;   in Loop: Header=BB292_1062 Depth=1
	s_delay_alu instid0(VALU_DEP_3) | instskip(NEXT) | instid1(VALU_DEP_1)
	v_clz_i32_u32_e32 v132, v132
	v_min_u32_e32 v132, 32, v132
	s_delay_alu instid0(VALU_DEP_1) | instskip(NEXT) | instid1(VALU_DEP_1)
	v_subrev_nc_u32_e32 v134, 28, v132
	v_lshlrev_b64_e32 v[144:145], v134, v[0:1]
	v_sub_nc_u32_e32 v134, 29, v132
	s_delay_alu instid0(VALU_DEP_2)
	v_and_b32_e32 v132, 7, v144
; %bb.1686:                             ;   in Loop: Header=BB292_1062 Depth=1
	s_wait_alu 0xfffe
	s_or_b32 exec_lo, exec_lo, s16
	v_lshlrev_b32_e32 v0, 8, v0
	v_lshl_add_u32 v134, v134, 10, 0x2000
	v_lshlrev_b32_e32 v132, 23, v132
	s_delay_alu instid0(VALU_DEP_2) | instskip(NEXT) | instid1(VALU_DEP_1)
	v_and_or_b32 v0, 0x8000, v0, v134
	v_lshl_or_b32 v132, v0, 16, v132
.LBB292_1687:                           ;   in Loop: Header=BB292_1062 Depth=1
	s_wait_alu 0xfffe
	s_or_b32 exec_lo, exec_lo, s15
.LBB292_1688:                           ;   in Loop: Header=BB292_1062 Depth=1
	s_wait_alu 0xfffe
	s_or_b32 exec_lo, exec_lo, s14
.LBB292_1689:                           ;   in Loop: Header=BB292_1062 Depth=1
	s_wait_alu 0xfffe
	s_or_b32 exec_lo, exec_lo, s11
	v_dual_mov_b32 v135, 0 :: v_dual_and_b32 v144, 0xff, v12
	v_mov_b32_e32 v0, v12
	v_mov_b32_e32 v134, 0
	s_mov_b32 s11, exec_lo
	s_delay_alu instid0(VALU_DEP_3)
	v_cmpx_ne_u16_e64 0, v144
	s_cbranch_execz .LBB292_1697
; %bb.1690:                             ;   in Loop: Header=BB292_1062 Depth=1
	v_mov_b32_e32 v135, 0x8000
	s_mov_b32 s14, exec_lo
	v_cmpx_ne_u16_e64 0x80, v144
	s_cbranch_execz .LBB292_1696
; %bb.1691:                             ;   in Loop: Header=BB292_1062 Depth=1
	v_and_b32_e32 v145, 0x7f, v12
	v_mov_b32_e32 v135, 0x7c01
	s_mov_b32 s15, exec_lo
	s_delay_alu instid0(VALU_DEP_2)
	v_cmpx_ne_u32_e32 0x7f, v145
	s_cbranch_execz .LBB292_1695
; %bb.1692:                             ;   in Loop: Header=BB292_1062 Depth=1
	v_and_b32_e32 v135, 7, v12
	v_lshrrev_b32_e32 v144, 3, v145
	s_mov_b32 s16, exec_lo
	v_cmpx_gt_u32_e32 8, v145
; %bb.1693:                             ;   in Loop: Header=BB292_1062 Depth=1
	s_delay_alu instid0(VALU_DEP_3) | instskip(NEXT) | instid1(VALU_DEP_1)
	v_clz_i32_u32_e32 v135, v135
	v_min_u32_e32 v135, 32, v135
	s_delay_alu instid0(VALU_DEP_1) | instskip(NEXT) | instid1(VALU_DEP_1)
	v_subrev_nc_u32_e32 v144, 28, v135
	v_lshlrev_b64_e32 v[145:146], v144, v[0:1]
	v_sub_nc_u32_e32 v144, 29, v135
	s_delay_alu instid0(VALU_DEP_2)
	v_and_b32_e32 v135, 7, v145
; %bb.1694:                             ;   in Loop: Header=BB292_1062 Depth=1
	s_wait_alu 0xfffe
	s_or_b32 exec_lo, exec_lo, s16
	v_lshlrev_b32_e32 v145, 8, v12
	v_lshl_add_u32 v144, v144, 10, 0x2000
	v_lshlrev_b32_e32 v135, 7, v135
	s_delay_alu instid0(VALU_DEP_3) | instskip(NEXT) | instid1(VALU_DEP_3)
	v_and_b32_e32 v145, 0x8000, v145
	v_and_b32_e32 v144, 0xfc00, v144
	s_delay_alu instid0(VALU_DEP_1)
	v_or3_b32 v135, v145, v144, v135
.LBB292_1695:                           ;   in Loop: Header=BB292_1062 Depth=1
	s_wait_alu 0xfffe
	s_or_b32 exec_lo, exec_lo, s15
.LBB292_1696:                           ;   in Loop: Header=BB292_1062 Depth=1
	s_wait_alu 0xfffe
	s_or_b32 exec_lo, exec_lo, s14
.LBB292_1697:                           ;   in Loop: Header=BB292_1062 Depth=1
	s_wait_alu 0xfffe
	s_or_b32 exec_lo, exec_lo, s11
	v_lshrrev_b16 v0, 8, v0
	v_mov_b32_e32 v144, 0
	s_mov_b32 s11, exec_lo
	s_delay_alu instid0(VALU_DEP_2)
	v_cmpx_ne_u16_e32 0, v0
	s_cbranch_execz .LBB292_1705
; %bb.1698:                             ;   in Loop: Header=BB292_1062 Depth=1
	v_bfrev_b32_e32 v144, 1
	s_mov_b32 s14, exec_lo
	v_cmpx_ne_u16_e32 0x80, v0
	s_cbranch_execz .LBB292_1704
; %bb.1699:                             ;   in Loop: Header=BB292_1062 Depth=1
	v_and_b32_e32 v145, 0xffff, v0
	v_mov_b32_e32 v144, 0x7c010000
	s_mov_b32 s15, exec_lo
	s_delay_alu instid0(VALU_DEP_2) | instskip(NEXT) | instid1(VALU_DEP_1)
	v_and_b32_e32 v147, 0x7f, v145
	v_cmpx_ne_u32_e32 0x7f, v147
	s_cbranch_execz .LBB292_1703
; %bb.1700:                             ;   in Loop: Header=BB292_1062 Depth=1
	v_and_b32_e32 v144, 7, v145
	v_lshrrev_b32_e32 v146, 3, v147
	s_mov_b32 s16, exec_lo
	v_cmpx_gt_u32_e32 8, v147
; %bb.1701:                             ;   in Loop: Header=BB292_1062 Depth=1
	s_delay_alu instid0(VALU_DEP_3) | instskip(NEXT) | instid1(VALU_DEP_1)
	v_clz_i32_u32_e32 v144, v144
	v_min_u32_e32 v144, 32, v144
	s_delay_alu instid0(VALU_DEP_1) | instskip(NEXT) | instid1(VALU_DEP_1)
	v_subrev_nc_u32_e32 v146, 28, v144
	v_lshlrev_b64_e32 v[147:148], v146, v[0:1]
	v_sub_nc_u32_e32 v146, 29, v144
	s_delay_alu instid0(VALU_DEP_2)
	v_and_b32_e32 v144, 7, v147
; %bb.1702:                             ;   in Loop: Header=BB292_1062 Depth=1
	s_wait_alu 0xfffe
	s_or_b32 exec_lo, exec_lo, s16
	v_lshlrev_b32_e32 v0, 8, v145
	v_lshl_add_u32 v145, v146, 10, 0x2000
	v_lshlrev_b32_e32 v144, 23, v144
	s_delay_alu instid0(VALU_DEP_2) | instskip(NEXT) | instid1(VALU_DEP_1)
	v_and_or_b32 v0, 0x8000, v0, v145
	v_lshl_or_b32 v144, v0, 16, v144
.LBB292_1703:                           ;   in Loop: Header=BB292_1062 Depth=1
	s_wait_alu 0xfffe
	s_or_b32 exec_lo, exec_lo, s15
.LBB292_1704:                           ;   in Loop: Header=BB292_1062 Depth=1
	s_wait_alu 0xfffe
	s_or_b32 exec_lo, exec_lo, s14
.LBB292_1705:                           ;   in Loop: Header=BB292_1062 Depth=1
	s_wait_alu 0xfffe
	s_or_b32 exec_lo, exec_lo, s11
	v_lshrrev_b32_e32 v0, 16, v12
	s_mov_b32 s11, exec_lo
	s_delay_alu instid0(VALU_DEP_1) | instskip(NEXT) | instid1(VALU_DEP_1)
	v_and_b32_e32 v145, 0xff, v0
	v_cmpx_ne_u16_e64 0, v145
	s_cbranch_execz .LBB292_1713
; %bb.1706:                             ;   in Loop: Header=BB292_1062 Depth=1
	v_mov_b32_e32 v134, 0x8000
	s_mov_b32 s14, exec_lo
	v_cmpx_ne_u16_e64 0x80, v145
	s_cbranch_execz .LBB292_1712
; %bb.1707:                             ;   in Loop: Header=BB292_1062 Depth=1
	v_bfe_u32 v146, v12, 16, 7
	v_mov_b32_e32 v134, 0x7c01
	s_mov_b32 s15, exec_lo
	s_delay_alu instid0(VALU_DEP_2)
	v_cmpx_ne_u32_e32 0x7f, v146
	s_cbranch_execz .LBB292_1711
; %bb.1708:                             ;   in Loop: Header=BB292_1062 Depth=1
	v_and_b32_e32 v134, 7, v0
	v_lshrrev_b32_e32 v145, 3, v146
	s_mov_b32 s16, exec_lo
	v_cmpx_gt_u32_e32 8, v146
; %bb.1709:                             ;   in Loop: Header=BB292_1062 Depth=1
	s_delay_alu instid0(VALU_DEP_3) | instskip(NEXT) | instid1(VALU_DEP_1)
	v_clz_i32_u32_e32 v134, v134
	v_min_u32_e32 v134, 32, v134
	s_delay_alu instid0(VALU_DEP_1) | instskip(NEXT) | instid1(VALU_DEP_1)
	v_subrev_nc_u32_e32 v145, 28, v134
	v_lshlrev_b64_e32 v[146:147], v145, v[0:1]
	v_sub_nc_u32_e32 v145, 29, v134
	s_delay_alu instid0(VALU_DEP_2)
	v_and_b32_e32 v134, 7, v146
; %bb.1710:                             ;   in Loop: Header=BB292_1062 Depth=1
	s_wait_alu 0xfffe
	s_or_b32 exec_lo, exec_lo, s16
	v_lshlrev_b32_e32 v0, 8, v0
	v_lshl_add_u32 v145, v145, 10, 0x2000
	v_lshlrev_b32_e32 v134, 7, v134
	s_delay_alu instid0(VALU_DEP_3) | instskip(NEXT) | instid1(VALU_DEP_3)
	v_and_b32_e32 v0, 0x8000, v0
	v_and_b32_e32 v145, 0xfc00, v145
	s_delay_alu instid0(VALU_DEP_1)
	v_or3_b32 v134, v0, v145, v134
.LBB292_1711:                           ;   in Loop: Header=BB292_1062 Depth=1
	s_wait_alu 0xfffe
	s_or_b32 exec_lo, exec_lo, s15
.LBB292_1712:                           ;   in Loop: Header=BB292_1062 Depth=1
	s_wait_alu 0xfffe
	s_or_b32 exec_lo, exec_lo, s14
.LBB292_1713:                           ;   in Loop: Header=BB292_1062 Depth=1
	s_wait_alu 0xfffe
	s_or_b32 exec_lo, exec_lo, s11
	v_cmp_lt_u64_e64 s0, s[8:9], v[11:12]
	v_mov_b32_e32 v11, 0
	s_and_saveexec_b32 s11, s0
	s_cbranch_execz .LBB292_1721
; %bb.1714:                             ;   in Loop: Header=BB292_1062 Depth=1
	v_lshrrev_b32_e32 v0, 24, v12
	v_bfrev_b32_e32 v11, 1
	s_mov_b32 s14, exec_lo
	s_delay_alu instid0(VALU_DEP_2)
	v_cmpx_ne_u32_e32 0x80, v0
	s_cbranch_execz .LBB292_1720
; %bb.1715:                             ;   in Loop: Header=BB292_1062 Depth=1
	v_and_b32_e32 v145, 0x7f, v0
	v_mov_b32_e32 v11, 0x7c010000
	s_mov_b32 s15, exec_lo
	s_delay_alu instid0(VALU_DEP_2)
	v_cmpx_ne_u32_e32 0x7f, v145
	s_cbranch_execz .LBB292_1719
; %bb.1716:                             ;   in Loop: Header=BB292_1062 Depth=1
	v_and_b32_e32 v11, 7, v0
	v_lshrrev_b32_e32 v12, 3, v145
	s_mov_b32 s16, exec_lo
	v_cmpx_gt_u32_e32 8, v145
; %bb.1717:                             ;   in Loop: Header=BB292_1062 Depth=1
	s_delay_alu instid0(VALU_DEP_3) | instskip(NEXT) | instid1(VALU_DEP_1)
	v_clz_i32_u32_e32 v11, v11
	v_min_u32_e32 v145, 32, v11
	s_delay_alu instid0(VALU_DEP_1) | instskip(NEXT) | instid1(VALU_DEP_1)
	v_subrev_nc_u32_e32 v11, 28, v145
	v_lshlrev_b64_e32 v[11:12], v11, v[0:1]
	v_sub_nc_u32_e32 v12, 29, v145
	s_delay_alu instid0(VALU_DEP_2)
	v_and_b32_e32 v11, 7, v11
; %bb.1718:                             ;   in Loop: Header=BB292_1062 Depth=1
	s_wait_alu 0xfffe
	s_or_b32 exec_lo, exec_lo, s16
	v_lshlrev_b32_e32 v0, 8, v0
	v_lshl_add_u32 v12, v12, 10, 0x2000
	v_lshlrev_b32_e32 v11, 23, v11
	s_delay_alu instid0(VALU_DEP_2) | instskip(NEXT) | instid1(VALU_DEP_1)
	v_and_or_b32 v0, 0x8000, v0, v12
	v_lshl_or_b32 v11, v0, 16, v11
.LBB292_1719:                           ;   in Loop: Header=BB292_1062 Depth=1
	s_wait_alu 0xfffe
	s_or_b32 exec_lo, exec_lo, s15
.LBB292_1720:                           ;   in Loop: Header=BB292_1062 Depth=1
	s_wait_alu 0xfffe
	s_or_b32 exec_lo, exec_lo, s14
.LBB292_1721:                           ;   in Loop: Header=BB292_1062 Depth=1
	s_wait_alu 0xfffe
	s_or_b32 exec_lo, exec_lo, s11
	v_or_b32_e32 v0, v132, v133
	s_wait_loadcnt_dscnt 0x0
	v_fma_mixlo_f16 v12, v129, v132, 0 op_sel:[0,1,0] op_sel_hi:[0,1,0]
	v_or_b32_e32 v132, v130, v131
	v_fma_mixlo_f16 v130, v129, v130, 0 op_sel:[0,1,0] op_sel_hi:[0,1,0]
	v_or_b32_e32 v133, v144, v135
	v_or_b32_e32 v134, v11, v134
	v_fma_mixlo_f16 v135, v129, v0, 0 op_sel_hi:[0,1,0]
	v_fma_mixlo_f16 v11, v129, v11, 0 op_sel:[0,1,0] op_sel_hi:[0,1,0]
	v_lshlrev_b32_e32 v131, 16, v130
	v_fma_mixlo_f16 v130, v129, v132, 0 op_sel_hi:[0,1,0]
	v_fma_mixlo_f16 v132, v129, v144, 0 op_sel:[0,1,0] op_sel_hi:[0,1,0]
	v_fma_mixlo_f16 v133, v129, v133, 0 op_sel_hi:[0,1,0]
	v_fma_mixlo_f16 v134, v129, v134, 0 op_sel_hi:[0,1,0]
	v_lshlrev_b32_e32 v0, 16, v12
	v_and_b32_e32 v12, 0xffff, v135
	v_and_b32_e32 v145, 0xffff, v130
	v_lshlrev_b32_e32 v129, 16, v132
	v_and_b32_e32 v133, 0xffff, v133
	v_lshlrev_b32_e32 v11, 16, v11
	v_and_b32_e32 v130, 0xffff, v134
	v_or_b32_e32 v132, v0, v12
	v_or_b32_e32 v144, v131, v145
	v_or_b32_e32 v135, v129, v133
	s_delay_alu instid0(VALU_DEP_4)
	v_or_b32_e32 v134, v11, v130
	s_and_saveexec_b32 s11, vcc_lo
	s_cbranch_execz .LBB292_1723
; %bb.1722:                             ;   in Loop: Header=BB292_1062 Depth=1
	v_cmp_lt_i32_e64 s0, v17, v34
	s_wait_alu 0xf1ff
	s_delay_alu instid0(VALU_DEP_1) | instskip(SKIP_2) | instid1(VALU_DEP_1)
	v_cndmask_b32_e64 v132, 0, v145, s0
	v_cmp_lt_i32_e64 s0, v96, v34
	s_wait_alu 0xf1ff
	v_cndmask_b32_e64 v131, 0, v131, s0
	v_cmp_lt_i32_e64 s0, v87, v34
	s_delay_alu instid0(VALU_DEP_2) | instskip(SKIP_1) | instid1(VALU_DEP_2)
	v_or_b32_e32 v144, v132, v131
	s_wait_alu 0xf1ff
	v_cndmask_b32_e64 v12, 0, v12, s0
	v_cmp_lt_i32_e64 s0, v86, v34
	s_wait_alu 0xf1ff
	s_delay_alu instid0(VALU_DEP_1) | instskip(SKIP_1) | instid1(VALU_DEP_2)
	v_cndmask_b32_e64 v0, 0, v0, s0
	v_cmp_lt_i32_e64 s0, v85, v34
	v_or_b32_e32 v132, v12, v0
	s_wait_alu 0xf1ff
	s_delay_alu instid0(VALU_DEP_2) | instskip(SKIP_2) | instid1(VALU_DEP_1)
	v_cndmask_b32_e64 v133, 0, v133, s0
	v_cmp_lt_i32_e64 s0, v84, v34
	s_wait_alu 0xf1ff
	v_cndmask_b32_e64 v129, 0, v129, s0
	v_cmp_lt_i32_e64 s0, v83, v34
	s_delay_alu instid0(VALU_DEP_2) | instskip(SKIP_1) | instid1(VALU_DEP_2)
	v_or_b32_e32 v135, v133, v129
	s_wait_alu 0xf1ff
	v_cndmask_b32_e64 v130, 0, v130, s0
	v_cmp_lt_i32_e64 s0, v82, v34
	s_wait_alu 0xf1ff
	s_delay_alu instid0(VALU_DEP_1) | instskip(NEXT) | instid1(VALU_DEP_1)
	v_cndmask_b32_e64 v11, 0, v11, s0
	v_or_b32_e32 v134, v130, v11
.LBB292_1723:                           ;   in Loop: Header=BB292_1062 Depth=1
	s_wait_alu 0xfffe
	s_or_b32 exec_lo, exec_lo, s11
	;;#ASMSTART
	v_pk_mul_f16 v0, v81, v144;

	;;#ASMEND
	;;#ASMSTART
	v_pk_mul_f16 v11, v80, v132;

	;;#ASMEND
	;; [unrolled: 4-line block ×4, first 2 shown]
	;;#ASMSTART
	v_pk_add_f16 v0, v0, v11;

	;;#ASMEND
	;;#ASMSTART
	v_pk_add_f16 v0, v0, v12;

	;;#ASMEND
	;; [unrolled: 4-line block ×3, first 2 shown]
	v_dual_mov_b32 v132, 0 :: v_dual_and_b32 v11, 0xffff, v0
	v_lshrrev_b32_e32 v0, 16, v0
	;;#ASMSTART
	v_cvt_f32_f16 v129, v11;
	;;#ASMEND
	;;#ASMSTART
	v_cvt_f32_f16 v130, v0;
	;;#ASMEND
	flat_load_b64 v[11:12], v[9:10] offset:2560
	flat_load_b32 v131, v[26:27]
	s_mov_b32 s11, exec_lo
	s_wait_loadcnt_dscnt 0x101
	v_dual_mov_b32 v133, 0 :: v_dual_and_b32 v0, 0xff, v11
	s_delay_alu instid0(VALU_DEP_1)
	v_cmpx_ne_u16_e32 0, v0
	s_cbranch_execz .LBB292_1731
; %bb.1724:                             ;   in Loop: Header=BB292_1062 Depth=1
	v_mov_b32_e32 v133, 0x8000
	s_mov_b32 s14, exec_lo
	v_cmpx_ne_u16_e32 0x80, v0
	s_cbranch_execz .LBB292_1730
; %bb.1725:                             ;   in Loop: Header=BB292_1062 Depth=1
	v_and_b32_e32 v134, 0x7f, v11
	v_mov_b32_e32 v133, 0x7c01
	s_mov_b32 s15, exec_lo
	s_delay_alu instid0(VALU_DEP_2)
	v_cmpx_ne_u32_e32 0x7f, v134
	s_cbranch_execz .LBB292_1729
; %bb.1726:                             ;   in Loop: Header=BB292_1062 Depth=1
	v_and_b32_e32 v0, 7, v11
	v_lshrrev_b32_e32 v133, 3, v134
	s_mov_b32 s16, exec_lo
	v_cmpx_gt_u32_e32 8, v134
; %bb.1727:                             ;   in Loop: Header=BB292_1062 Depth=1
	s_delay_alu instid0(VALU_DEP_3) | instskip(NEXT) | instid1(VALU_DEP_1)
	v_clz_i32_u32_e32 v0, v0
	v_min_u32_e32 v0, 32, v0
	s_delay_alu instid0(VALU_DEP_1) | instskip(NEXT) | instid1(VALU_DEP_1)
	v_subrev_nc_u32_e32 v133, 28, v0
	v_lshlrev_b64_e32 v[134:135], v133, v[11:12]
	v_sub_nc_u32_e32 v133, 29, v0
	s_delay_alu instid0(VALU_DEP_2)
	v_and_b32_e32 v0, 7, v134
; %bb.1728:                             ;   in Loop: Header=BB292_1062 Depth=1
	s_wait_alu 0xfffe
	s_or_b32 exec_lo, exec_lo, s16
	v_lshlrev_b32_e32 v134, 8, v11
	v_lshl_add_u32 v133, v133, 10, 0x2000
	v_lshlrev_b32_e32 v0, 7, v0
	s_delay_alu instid0(VALU_DEP_3) | instskip(NEXT) | instid1(VALU_DEP_3)
	v_and_b32_e32 v134, 0x8000, v134
	v_and_b32_e32 v133, 0xfc00, v133
	s_delay_alu instid0(VALU_DEP_1)
	v_or3_b32 v133, v134, v133, v0
.LBB292_1729:                           ;   in Loop: Header=BB292_1062 Depth=1
	s_wait_alu 0xfffe
	s_or_b32 exec_lo, exec_lo, s15
.LBB292_1730:                           ;   in Loop: Header=BB292_1062 Depth=1
	s_wait_alu 0xfffe
	s_or_b32 exec_lo, exec_lo, s14
.LBB292_1731:                           ;   in Loop: Header=BB292_1062 Depth=1
	s_wait_alu 0xfffe
	s_or_b32 exec_lo, exec_lo, s11
	v_lshrrev_b16 v0, 8, v11
	s_mov_b32 s11, exec_lo
	s_delay_alu instid0(VALU_DEP_1)
	v_cmpx_ne_u16_e32 0, v0
	s_cbranch_execz .LBB292_1739
; %bb.1732:                             ;   in Loop: Header=BB292_1062 Depth=1
	v_bfrev_b32_e32 v132, 1
	s_mov_b32 s14, exec_lo
	v_cmpx_ne_u16_e32 0x80, v0
	s_cbranch_execz .LBB292_1738
; %bb.1733:                             ;   in Loop: Header=BB292_1062 Depth=1
	v_and_b32_e32 v134, 0xffff, v0
	v_mov_b32_e32 v132, 0x7c010000
	s_mov_b32 s15, exec_lo
	s_delay_alu instid0(VALU_DEP_2) | instskip(NEXT) | instid1(VALU_DEP_1)
	v_and_b32_e32 v144, 0x7f, v134
	v_cmpx_ne_u32_e32 0x7f, v144
	s_cbranch_execz .LBB292_1737
; %bb.1734:                             ;   in Loop: Header=BB292_1062 Depth=1
	v_and_b32_e32 v132, 7, v134
	v_lshrrev_b32_e32 v135, 3, v144
	s_mov_b32 s16, exec_lo
	v_cmpx_gt_u32_e32 8, v144
; %bb.1735:                             ;   in Loop: Header=BB292_1062 Depth=1
	s_delay_alu instid0(VALU_DEP_3) | instskip(NEXT) | instid1(VALU_DEP_1)
	v_clz_i32_u32_e32 v132, v132
	v_min_u32_e32 v132, 32, v132
	s_delay_alu instid0(VALU_DEP_1) | instskip(NEXT) | instid1(VALU_DEP_1)
	v_subrev_nc_u32_e32 v135, 28, v132
	v_lshlrev_b64_e32 v[144:145], v135, v[0:1]
	v_sub_nc_u32_e32 v135, 29, v132
	s_delay_alu instid0(VALU_DEP_2)
	v_and_b32_e32 v132, 7, v144
; %bb.1736:                             ;   in Loop: Header=BB292_1062 Depth=1
	s_wait_alu 0xfffe
	s_or_b32 exec_lo, exec_lo, s16
	v_lshlrev_b32_e32 v0, 8, v134
	v_lshl_add_u32 v134, v135, 10, 0x2000
	v_lshlrev_b32_e32 v132, 23, v132
	s_delay_alu instid0(VALU_DEP_2) | instskip(NEXT) | instid1(VALU_DEP_1)
	v_and_or_b32 v0, 0x8000, v0, v134
	v_lshl_or_b32 v132, v0, 16, v132
.LBB292_1737:                           ;   in Loop: Header=BB292_1062 Depth=1
	s_wait_alu 0xfffe
	s_or_b32 exec_lo, exec_lo, s15
.LBB292_1738:                           ;   in Loop: Header=BB292_1062 Depth=1
	s_wait_alu 0xfffe
	s_or_b32 exec_lo, exec_lo, s14
.LBB292_1739:                           ;   in Loop: Header=BB292_1062 Depth=1
	s_wait_alu 0xfffe
	s_or_b32 exec_lo, exec_lo, s11
	v_lshrrev_b32_e32 v0, 16, v11
	v_mov_b32_e32 v134, 0
	s_mov_b32 s11, exec_lo
	s_delay_alu instid0(VALU_DEP_2) | instskip(NEXT) | instid1(VALU_DEP_1)
	v_dual_mov_b32 v135, 0 :: v_dual_and_b32 v144, 0xff, v0
	v_cmpx_ne_u16_e64 0, v144
	s_cbranch_execz .LBB292_1747
; %bb.1740:                             ;   in Loop: Header=BB292_1062 Depth=1
	v_mov_b32_e32 v135, 0x8000
	s_mov_b32 s14, exec_lo
	v_cmpx_ne_u16_e64 0x80, v144
	s_cbranch_execz .LBB292_1746
; %bb.1741:                             ;   in Loop: Header=BB292_1062 Depth=1
	v_bfe_u32 v145, v11, 16, 7
	v_mov_b32_e32 v135, 0x7c01
	s_mov_b32 s15, exec_lo
	s_delay_alu instid0(VALU_DEP_2)
	v_cmpx_ne_u32_e32 0x7f, v145
	s_cbranch_execz .LBB292_1745
; %bb.1742:                             ;   in Loop: Header=BB292_1062 Depth=1
	v_and_b32_e32 v135, 7, v0
	v_lshrrev_b32_e32 v144, 3, v145
	s_mov_b32 s16, exec_lo
	v_cmpx_gt_u32_e32 8, v145
; %bb.1743:                             ;   in Loop: Header=BB292_1062 Depth=1
	s_delay_alu instid0(VALU_DEP_3) | instskip(NEXT) | instid1(VALU_DEP_1)
	v_clz_i32_u32_e32 v135, v135
	v_min_u32_e32 v135, 32, v135
	s_delay_alu instid0(VALU_DEP_1) | instskip(NEXT) | instid1(VALU_DEP_1)
	v_subrev_nc_u32_e32 v144, 28, v135
	v_lshlrev_b64_e32 v[145:146], v144, v[0:1]
	v_sub_nc_u32_e32 v144, 29, v135
	s_delay_alu instid0(VALU_DEP_2)
	v_and_b32_e32 v135, 7, v145
; %bb.1744:                             ;   in Loop: Header=BB292_1062 Depth=1
	s_wait_alu 0xfffe
	s_or_b32 exec_lo, exec_lo, s16
	v_lshlrev_b32_e32 v0, 8, v0
	v_lshl_add_u32 v144, v144, 10, 0x2000
	v_lshlrev_b32_e32 v135, 7, v135
	s_delay_alu instid0(VALU_DEP_3) | instskip(NEXT) | instid1(VALU_DEP_3)
	v_and_b32_e32 v0, 0x8000, v0
	v_and_b32_e32 v144, 0xfc00, v144
	s_delay_alu instid0(VALU_DEP_1)
	v_or3_b32 v135, v0, v144, v135
.LBB292_1745:                           ;   in Loop: Header=BB292_1062 Depth=1
	s_wait_alu 0xfffe
	s_or_b32 exec_lo, exec_lo, s15
.LBB292_1746:                           ;   in Loop: Header=BB292_1062 Depth=1
	s_wait_alu 0xfffe
	s_or_b32 exec_lo, exec_lo, s14
.LBB292_1747:                           ;   in Loop: Header=BB292_1062 Depth=1
	s_wait_alu 0xfffe
	s_or_b32 exec_lo, exec_lo, s11
	s_delay_alu instid0(SALU_CYCLE_1)
	s_mov_b32 s11, exec_lo
	v_cmpx_lt_u32_e32 0xffffff, v11
	s_cbranch_execz .LBB292_1755
; %bb.1748:                             ;   in Loop: Header=BB292_1062 Depth=1
	v_lshrrev_b32_e32 v0, 24, v11
	v_bfrev_b32_e32 v134, 1
	s_mov_b32 s14, exec_lo
	s_delay_alu instid0(VALU_DEP_2)
	v_cmpx_ne_u32_e32 0x80, v0
	s_cbranch_execz .LBB292_1754
; %bb.1749:                             ;   in Loop: Header=BB292_1062 Depth=1
	v_and_b32_e32 v145, 0x7f, v0
	v_mov_b32_e32 v134, 0x7c010000
	s_mov_b32 s15, exec_lo
	s_delay_alu instid0(VALU_DEP_2)
	v_cmpx_ne_u32_e32 0x7f, v145
	s_cbranch_execz .LBB292_1753
; %bb.1750:                             ;   in Loop: Header=BB292_1062 Depth=1
	v_and_b32_e32 v134, 7, v0
	v_lshrrev_b32_e32 v144, 3, v145
	s_mov_b32 s16, exec_lo
	v_cmpx_gt_u32_e32 8, v145
; %bb.1751:                             ;   in Loop: Header=BB292_1062 Depth=1
	s_delay_alu instid0(VALU_DEP_3) | instskip(NEXT) | instid1(VALU_DEP_1)
	v_clz_i32_u32_e32 v134, v134
	v_min_u32_e32 v134, 32, v134
	s_delay_alu instid0(VALU_DEP_1) | instskip(NEXT) | instid1(VALU_DEP_1)
	v_subrev_nc_u32_e32 v144, 28, v134
	v_lshlrev_b64_e32 v[145:146], v144, v[0:1]
	v_sub_nc_u32_e32 v144, 29, v134
	s_delay_alu instid0(VALU_DEP_2)
	v_and_b32_e32 v134, 7, v145
; %bb.1752:                             ;   in Loop: Header=BB292_1062 Depth=1
	s_wait_alu 0xfffe
	s_or_b32 exec_lo, exec_lo, s16
	v_lshlrev_b32_e32 v0, 8, v0
	v_lshl_add_u32 v144, v144, 10, 0x2000
	v_lshlrev_b32_e32 v134, 23, v134
	s_delay_alu instid0(VALU_DEP_2) | instskip(NEXT) | instid1(VALU_DEP_1)
	v_and_or_b32 v0, 0x8000, v0, v144
	v_lshl_or_b32 v134, v0, 16, v134
.LBB292_1753:                           ;   in Loop: Header=BB292_1062 Depth=1
	s_wait_alu 0xfffe
	s_or_b32 exec_lo, exec_lo, s15
.LBB292_1754:                           ;   in Loop: Header=BB292_1062 Depth=1
	s_wait_alu 0xfffe
	s_or_b32 exec_lo, exec_lo, s14
.LBB292_1755:                           ;   in Loop: Header=BB292_1062 Depth=1
	s_wait_alu 0xfffe
	s_or_b32 exec_lo, exec_lo, s11
	v_dual_mov_b32 v145, 0 :: v_dual_and_b32 v146, 0xff, v12
	v_mov_b32_e32 v0, v12
	v_mov_b32_e32 v144, 0
	s_mov_b32 s11, exec_lo
	s_delay_alu instid0(VALU_DEP_3)
	v_cmpx_ne_u16_e64 0, v146
	s_cbranch_execz .LBB292_1763
; %bb.1756:                             ;   in Loop: Header=BB292_1062 Depth=1
	v_mov_b32_e32 v145, 0x8000
	s_mov_b32 s14, exec_lo
	v_cmpx_ne_u16_e64 0x80, v146
	s_cbranch_execz .LBB292_1762
; %bb.1757:                             ;   in Loop: Header=BB292_1062 Depth=1
	v_and_b32_e32 v147, 0x7f, v12
	v_mov_b32_e32 v145, 0x7c01
	s_mov_b32 s15, exec_lo
	s_delay_alu instid0(VALU_DEP_2)
	v_cmpx_ne_u32_e32 0x7f, v147
	s_cbranch_execz .LBB292_1761
; %bb.1758:                             ;   in Loop: Header=BB292_1062 Depth=1
	v_and_b32_e32 v145, 7, v12
	v_lshrrev_b32_e32 v146, 3, v147
	s_mov_b32 s16, exec_lo
	v_cmpx_gt_u32_e32 8, v147
; %bb.1759:                             ;   in Loop: Header=BB292_1062 Depth=1
	s_delay_alu instid0(VALU_DEP_3) | instskip(NEXT) | instid1(VALU_DEP_1)
	v_clz_i32_u32_e32 v145, v145
	v_min_u32_e32 v147, 32, v145
	s_delay_alu instid0(VALU_DEP_1) | instskip(NEXT) | instid1(VALU_DEP_1)
	v_subrev_nc_u32_e32 v145, 28, v147
	v_lshlrev_b64_e32 v[145:146], v145, v[0:1]
	v_sub_nc_u32_e32 v146, 29, v147
	s_delay_alu instid0(VALU_DEP_2)
	v_and_b32_e32 v145, 7, v145
; %bb.1760:                             ;   in Loop: Header=BB292_1062 Depth=1
	s_wait_alu 0xfffe
	s_or_b32 exec_lo, exec_lo, s16
	v_lshlrev_b32_e32 v147, 8, v12
	v_lshl_add_u32 v146, v146, 10, 0x2000
	v_lshlrev_b32_e32 v145, 7, v145
	s_delay_alu instid0(VALU_DEP_3) | instskip(NEXT) | instid1(VALU_DEP_3)
	v_and_b32_e32 v147, 0x8000, v147
	v_and_b32_e32 v146, 0xfc00, v146
	s_delay_alu instid0(VALU_DEP_1)
	v_or3_b32 v145, v147, v146, v145
.LBB292_1761:                           ;   in Loop: Header=BB292_1062 Depth=1
	s_wait_alu 0xfffe
	s_or_b32 exec_lo, exec_lo, s15
.LBB292_1762:                           ;   in Loop: Header=BB292_1062 Depth=1
	s_wait_alu 0xfffe
	s_or_b32 exec_lo, exec_lo, s14
.LBB292_1763:                           ;   in Loop: Header=BB292_1062 Depth=1
	s_wait_alu 0xfffe
	s_or_b32 exec_lo, exec_lo, s11
	v_lshrrev_b16 v0, 8, v0
	v_mov_b32_e32 v146, 0
	s_mov_b32 s11, exec_lo
	s_delay_alu instid0(VALU_DEP_2)
	v_cmpx_ne_u16_e32 0, v0
	s_cbranch_execz .LBB292_1771
; %bb.1764:                             ;   in Loop: Header=BB292_1062 Depth=1
	v_bfrev_b32_e32 v146, 1
	s_mov_b32 s14, exec_lo
	v_cmpx_ne_u16_e32 0x80, v0
	s_cbranch_execz .LBB292_1770
; %bb.1765:                             ;   in Loop: Header=BB292_1062 Depth=1
	v_and_b32_e32 v147, 0xffff, v0
	v_mov_b32_e32 v146, 0x7c010000
	s_mov_b32 s15, exec_lo
	s_delay_alu instid0(VALU_DEP_2) | instskip(NEXT) | instid1(VALU_DEP_1)
	v_and_b32_e32 v149, 0x7f, v147
	v_cmpx_ne_u32_e32 0x7f, v149
	s_cbranch_execz .LBB292_1769
; %bb.1766:                             ;   in Loop: Header=BB292_1062 Depth=1
	v_and_b32_e32 v146, 7, v147
	v_lshrrev_b32_e32 v148, 3, v149
	s_mov_b32 s16, exec_lo
	v_cmpx_gt_u32_e32 8, v149
; %bb.1767:                             ;   in Loop: Header=BB292_1062 Depth=1
	s_delay_alu instid0(VALU_DEP_3) | instskip(NEXT) | instid1(VALU_DEP_1)
	v_clz_i32_u32_e32 v146, v146
	v_min_u32_e32 v146, 32, v146
	s_delay_alu instid0(VALU_DEP_1) | instskip(NEXT) | instid1(VALU_DEP_1)
	v_subrev_nc_u32_e32 v148, 28, v146
	v_lshlrev_b64_e32 v[149:150], v148, v[0:1]
	v_sub_nc_u32_e32 v148, 29, v146
	s_delay_alu instid0(VALU_DEP_2)
	v_and_b32_e32 v146, 7, v149
; %bb.1768:                             ;   in Loop: Header=BB292_1062 Depth=1
	s_wait_alu 0xfffe
	s_or_b32 exec_lo, exec_lo, s16
	v_lshlrev_b32_e32 v0, 8, v147
	v_lshl_add_u32 v147, v148, 10, 0x2000
	v_lshlrev_b32_e32 v146, 23, v146
	s_delay_alu instid0(VALU_DEP_2) | instskip(NEXT) | instid1(VALU_DEP_1)
	v_and_or_b32 v0, 0x8000, v0, v147
	v_lshl_or_b32 v146, v0, 16, v146
.LBB292_1769:                           ;   in Loop: Header=BB292_1062 Depth=1
	s_wait_alu 0xfffe
	s_or_b32 exec_lo, exec_lo, s15
.LBB292_1770:                           ;   in Loop: Header=BB292_1062 Depth=1
	s_wait_alu 0xfffe
	s_or_b32 exec_lo, exec_lo, s14
.LBB292_1771:                           ;   in Loop: Header=BB292_1062 Depth=1
	s_wait_alu 0xfffe
	s_or_b32 exec_lo, exec_lo, s11
	v_lshrrev_b32_e32 v0, 16, v12
	s_mov_b32 s11, exec_lo
	s_delay_alu instid0(VALU_DEP_1) | instskip(NEXT) | instid1(VALU_DEP_1)
	v_and_b32_e32 v147, 0xff, v0
	v_cmpx_ne_u16_e64 0, v147
	s_cbranch_execz .LBB292_1779
; %bb.1772:                             ;   in Loop: Header=BB292_1062 Depth=1
	v_mov_b32_e32 v144, 0x8000
	s_mov_b32 s14, exec_lo
	v_cmpx_ne_u16_e64 0x80, v147
	s_cbranch_execz .LBB292_1778
; %bb.1773:                             ;   in Loop: Header=BB292_1062 Depth=1
	v_bfe_u32 v148, v12, 16, 7
	v_mov_b32_e32 v144, 0x7c01
	s_mov_b32 s15, exec_lo
	s_delay_alu instid0(VALU_DEP_2)
	v_cmpx_ne_u32_e32 0x7f, v148
	s_cbranch_execz .LBB292_1777
; %bb.1774:                             ;   in Loop: Header=BB292_1062 Depth=1
	v_and_b32_e32 v144, 7, v0
	v_lshrrev_b32_e32 v147, 3, v148
	s_mov_b32 s16, exec_lo
	v_cmpx_gt_u32_e32 8, v148
; %bb.1775:                             ;   in Loop: Header=BB292_1062 Depth=1
	s_delay_alu instid0(VALU_DEP_3) | instskip(NEXT) | instid1(VALU_DEP_1)
	v_clz_i32_u32_e32 v144, v144
	v_min_u32_e32 v144, 32, v144
	s_delay_alu instid0(VALU_DEP_1) | instskip(NEXT) | instid1(VALU_DEP_1)
	v_subrev_nc_u32_e32 v147, 28, v144
	v_lshlrev_b64_e32 v[148:149], v147, v[0:1]
	v_sub_nc_u32_e32 v147, 29, v144
	s_delay_alu instid0(VALU_DEP_2)
	v_and_b32_e32 v144, 7, v148
; %bb.1776:                             ;   in Loop: Header=BB292_1062 Depth=1
	s_wait_alu 0xfffe
	s_or_b32 exec_lo, exec_lo, s16
	v_lshlrev_b32_e32 v0, 8, v0
	v_lshl_add_u32 v147, v147, 10, 0x2000
	v_lshlrev_b32_e32 v144, 7, v144
	s_delay_alu instid0(VALU_DEP_3) | instskip(NEXT) | instid1(VALU_DEP_3)
	v_and_b32_e32 v0, 0x8000, v0
	v_and_b32_e32 v147, 0xfc00, v147
	s_delay_alu instid0(VALU_DEP_1)
	v_or3_b32 v144, v0, v147, v144
.LBB292_1777:                           ;   in Loop: Header=BB292_1062 Depth=1
	s_wait_alu 0xfffe
	s_or_b32 exec_lo, exec_lo, s15
.LBB292_1778:                           ;   in Loop: Header=BB292_1062 Depth=1
	s_wait_alu 0xfffe
	s_or_b32 exec_lo, exec_lo, s14
.LBB292_1779:                           ;   in Loop: Header=BB292_1062 Depth=1
	s_wait_alu 0xfffe
	s_or_b32 exec_lo, exec_lo, s11
	v_cmp_lt_u64_e64 s0, s[8:9], v[11:12]
	v_mov_b32_e32 v11, 0
	s_and_saveexec_b32 s11, s0
	s_cbranch_execz .LBB292_1787
; %bb.1780:                             ;   in Loop: Header=BB292_1062 Depth=1
	v_lshrrev_b32_e32 v0, 24, v12
	v_bfrev_b32_e32 v11, 1
	s_mov_b32 s14, exec_lo
	s_delay_alu instid0(VALU_DEP_2)
	v_cmpx_ne_u32_e32 0x80, v0
	s_cbranch_execz .LBB292_1786
; %bb.1781:                             ;   in Loop: Header=BB292_1062 Depth=1
	v_and_b32_e32 v147, 0x7f, v0
	v_mov_b32_e32 v11, 0x7c010000
	s_mov_b32 s15, exec_lo
	s_delay_alu instid0(VALU_DEP_2)
	v_cmpx_ne_u32_e32 0x7f, v147
	s_cbranch_execz .LBB292_1785
; %bb.1782:                             ;   in Loop: Header=BB292_1062 Depth=1
	v_and_b32_e32 v11, 7, v0
	v_lshrrev_b32_e32 v12, 3, v147
	s_mov_b32 s16, exec_lo
	v_cmpx_gt_u32_e32 8, v147
; %bb.1783:                             ;   in Loop: Header=BB292_1062 Depth=1
	s_delay_alu instid0(VALU_DEP_3) | instskip(NEXT) | instid1(VALU_DEP_1)
	v_clz_i32_u32_e32 v11, v11
	v_min_u32_e32 v147, 32, v11
	s_delay_alu instid0(VALU_DEP_1) | instskip(NEXT) | instid1(VALU_DEP_1)
	v_subrev_nc_u32_e32 v11, 28, v147
	v_lshlrev_b64_e32 v[11:12], v11, v[0:1]
	v_sub_nc_u32_e32 v12, 29, v147
	s_delay_alu instid0(VALU_DEP_2)
	v_and_b32_e32 v11, 7, v11
; %bb.1784:                             ;   in Loop: Header=BB292_1062 Depth=1
	s_wait_alu 0xfffe
	s_or_b32 exec_lo, exec_lo, s16
	v_lshlrev_b32_e32 v0, 8, v0
	v_lshl_add_u32 v12, v12, 10, 0x2000
	v_lshlrev_b32_e32 v11, 23, v11
	s_delay_alu instid0(VALU_DEP_2) | instskip(NEXT) | instid1(VALU_DEP_1)
	v_and_or_b32 v0, 0x8000, v0, v12
	v_lshl_or_b32 v11, v0, 16, v11
.LBB292_1785:                           ;   in Loop: Header=BB292_1062 Depth=1
	s_wait_alu 0xfffe
	s_or_b32 exec_lo, exec_lo, s15
.LBB292_1786:                           ;   in Loop: Header=BB292_1062 Depth=1
	s_wait_alu 0xfffe
	s_or_b32 exec_lo, exec_lo, s14
.LBB292_1787:                           ;   in Loop: Header=BB292_1062 Depth=1
	s_wait_alu 0xfffe
	s_or_b32 exec_lo, exec_lo, s11
	v_or_b32_e32 v0, v134, v135
	s_wait_loadcnt_dscnt 0x0
	v_fma_mixlo_f16 v12, v131, v134, 0 op_sel:[0,1,0] op_sel_hi:[0,1,0]
	v_or_b32_e32 v134, v132, v133
	v_fma_mixlo_f16 v132, v131, v132, 0 op_sel:[0,1,0] op_sel_hi:[0,1,0]
	v_or_b32_e32 v135, v146, v145
	v_or_b32_e32 v144, v11, v144
	v_fma_mixlo_f16 v145, v131, v0, 0 op_sel_hi:[0,1,0]
	v_fma_mixlo_f16 v11, v131, v11, 0 op_sel:[0,1,0] op_sel_hi:[0,1,0]
	v_lshlrev_b32_e32 v133, 16, v132
	v_fma_mixlo_f16 v132, v131, v134, 0 op_sel_hi:[0,1,0]
	v_fma_mixlo_f16 v134, v131, v146, 0 op_sel:[0,1,0] op_sel_hi:[0,1,0]
	v_fma_mixlo_f16 v135, v131, v135, 0 op_sel_hi:[0,1,0]
	v_fma_mixlo_f16 v144, v131, v144, 0 op_sel_hi:[0,1,0]
	v_lshlrev_b32_e32 v0, 16, v12
	v_and_b32_e32 v12, 0xffff, v145
	v_and_b32_e32 v147, 0xffff, v132
	v_lshlrev_b32_e32 v131, 16, v134
	v_and_b32_e32 v135, 0xffff, v135
	v_lshlrev_b32_e32 v11, 16, v11
	v_and_b32_e32 v132, 0xffff, v144
	v_or_b32_e32 v134, v0, v12
	v_or_b32_e32 v146, v133, v147
	;; [unrolled: 1-line block ×3, first 2 shown]
	s_delay_alu instid0(VALU_DEP_4)
	v_or_b32_e32 v144, v11, v132
	s_and_saveexec_b32 s11, vcc_lo
	s_cbranch_execz .LBB292_1789
; %bb.1788:                             ;   in Loop: Header=BB292_1062 Depth=1
	v_cmp_lt_i32_e64 s0, v17, v34
	s_wait_alu 0xf1ff
	s_delay_alu instid0(VALU_DEP_1) | instskip(SKIP_2) | instid1(VALU_DEP_1)
	v_cndmask_b32_e64 v134, 0, v147, s0
	v_cmp_lt_i32_e64 s0, v96, v34
	s_wait_alu 0xf1ff
	v_cndmask_b32_e64 v133, 0, v133, s0
	v_cmp_lt_i32_e64 s0, v87, v34
	s_delay_alu instid0(VALU_DEP_2) | instskip(SKIP_1) | instid1(VALU_DEP_2)
	v_or_b32_e32 v146, v134, v133
	s_wait_alu 0xf1ff
	v_cndmask_b32_e64 v12, 0, v12, s0
	v_cmp_lt_i32_e64 s0, v86, v34
	s_wait_alu 0xf1ff
	s_delay_alu instid0(VALU_DEP_1) | instskip(SKIP_1) | instid1(VALU_DEP_2)
	v_cndmask_b32_e64 v0, 0, v0, s0
	v_cmp_lt_i32_e64 s0, v85, v34
	v_or_b32_e32 v134, v12, v0
	s_wait_alu 0xf1ff
	s_delay_alu instid0(VALU_DEP_2) | instskip(SKIP_2) | instid1(VALU_DEP_1)
	v_cndmask_b32_e64 v135, 0, v135, s0
	v_cmp_lt_i32_e64 s0, v84, v34
	s_wait_alu 0xf1ff
	v_cndmask_b32_e64 v131, 0, v131, s0
	v_cmp_lt_i32_e64 s0, v83, v34
	s_delay_alu instid0(VALU_DEP_2) | instskip(SKIP_1) | instid1(VALU_DEP_2)
	v_or_b32_e32 v145, v135, v131
	s_wait_alu 0xf1ff
	v_cndmask_b32_e64 v132, 0, v132, s0
	v_cmp_lt_i32_e64 s0, v82, v34
	s_wait_alu 0xf1ff
	s_delay_alu instid0(VALU_DEP_1) | instskip(NEXT) | instid1(VALU_DEP_1)
	v_cndmask_b32_e64 v11, 0, v11, s0
	v_or_b32_e32 v144, v132, v11
.LBB292_1789:                           ;   in Loop: Header=BB292_1062 Depth=1
	s_wait_alu 0xfffe
	s_or_b32 exec_lo, exec_lo, s11
	;;#ASMSTART
	v_pk_mul_f16 v0, v81, v146;

	;;#ASMEND
	;;#ASMSTART
	v_pk_mul_f16 v11, v80, v134;

	;;#ASMEND
	;; [unrolled: 4-line block ×4, first 2 shown]
	;;#ASMSTART
	v_pk_add_f16 v0, v0, v11;

	;;#ASMEND
	;;#ASMSTART
	v_pk_add_f16 v0, v0, v12;

	;;#ASMEND
	;; [unrolled: 4-line block ×3, first 2 shown]
	v_dual_mov_b32 v134, 0 :: v_dual_and_b32 v11, 0xffff, v0
	v_lshrrev_b32_e32 v0, 16, v0
	;;#ASMSTART
	v_cvt_f32_f16 v131, v11;
	;;#ASMEND
	;;#ASMSTART
	v_cvt_f32_f16 v132, v0;
	;;#ASMEND
	flat_load_b64 v[11:12], v[9:10] offset:2816
	flat_load_b32 v133, v[26:27]
	s_mov_b32 s11, exec_lo
	s_wait_loadcnt_dscnt 0x101
	v_dual_mov_b32 v135, 0 :: v_dual_and_b32 v0, 0xff, v11
	s_delay_alu instid0(VALU_DEP_1)
	v_cmpx_ne_u16_e32 0, v0
	s_cbranch_execz .LBB292_1797
; %bb.1790:                             ;   in Loop: Header=BB292_1062 Depth=1
	v_mov_b32_e32 v135, 0x8000
	s_mov_b32 s14, exec_lo
	v_cmpx_ne_u16_e32 0x80, v0
	s_cbranch_execz .LBB292_1796
; %bb.1791:                             ;   in Loop: Header=BB292_1062 Depth=1
	v_and_b32_e32 v144, 0x7f, v11
	v_mov_b32_e32 v135, 0x7c01
	s_mov_b32 s15, exec_lo
	s_delay_alu instid0(VALU_DEP_2)
	v_cmpx_ne_u32_e32 0x7f, v144
	s_cbranch_execz .LBB292_1795
; %bb.1792:                             ;   in Loop: Header=BB292_1062 Depth=1
	v_and_b32_e32 v0, 7, v11
	v_lshrrev_b32_e32 v135, 3, v144
	s_mov_b32 s16, exec_lo
	v_cmpx_gt_u32_e32 8, v144
; %bb.1793:                             ;   in Loop: Header=BB292_1062 Depth=1
	s_delay_alu instid0(VALU_DEP_3) | instskip(NEXT) | instid1(VALU_DEP_1)
	v_clz_i32_u32_e32 v0, v0
	v_min_u32_e32 v0, 32, v0
	s_delay_alu instid0(VALU_DEP_1) | instskip(NEXT) | instid1(VALU_DEP_1)
	v_subrev_nc_u32_e32 v135, 28, v0
	v_lshlrev_b64_e32 v[144:145], v135, v[11:12]
	v_sub_nc_u32_e32 v135, 29, v0
	s_delay_alu instid0(VALU_DEP_2)
	v_and_b32_e32 v0, 7, v144
; %bb.1794:                             ;   in Loop: Header=BB292_1062 Depth=1
	s_wait_alu 0xfffe
	s_or_b32 exec_lo, exec_lo, s16
	v_lshlrev_b32_e32 v144, 8, v11
	v_lshl_add_u32 v135, v135, 10, 0x2000
	v_lshlrev_b32_e32 v0, 7, v0
	s_delay_alu instid0(VALU_DEP_3) | instskip(NEXT) | instid1(VALU_DEP_3)
	v_and_b32_e32 v144, 0x8000, v144
	v_and_b32_e32 v135, 0xfc00, v135
	s_delay_alu instid0(VALU_DEP_1)
	v_or3_b32 v135, v144, v135, v0
.LBB292_1795:                           ;   in Loop: Header=BB292_1062 Depth=1
	s_wait_alu 0xfffe
	s_or_b32 exec_lo, exec_lo, s15
.LBB292_1796:                           ;   in Loop: Header=BB292_1062 Depth=1
	s_wait_alu 0xfffe
	s_or_b32 exec_lo, exec_lo, s14
.LBB292_1797:                           ;   in Loop: Header=BB292_1062 Depth=1
	s_wait_alu 0xfffe
	s_or_b32 exec_lo, exec_lo, s11
	v_lshrrev_b16 v0, 8, v11
	s_mov_b32 s11, exec_lo
	s_delay_alu instid0(VALU_DEP_1)
	v_cmpx_ne_u16_e32 0, v0
	s_cbranch_execz .LBB292_1805
; %bb.1798:                             ;   in Loop: Header=BB292_1062 Depth=1
	v_bfrev_b32_e32 v134, 1
	s_mov_b32 s14, exec_lo
	v_cmpx_ne_u16_e32 0x80, v0
	s_cbranch_execz .LBB292_1804
; %bb.1799:                             ;   in Loop: Header=BB292_1062 Depth=1
	v_and_b32_e32 v144, 0xffff, v0
	v_mov_b32_e32 v134, 0x7c010000
	s_mov_b32 s15, exec_lo
	s_delay_alu instid0(VALU_DEP_2) | instskip(NEXT) | instid1(VALU_DEP_1)
	v_and_b32_e32 v146, 0x7f, v144
	v_cmpx_ne_u32_e32 0x7f, v146
	s_cbranch_execz .LBB292_1803
; %bb.1800:                             ;   in Loop: Header=BB292_1062 Depth=1
	v_and_b32_e32 v134, 7, v144
	v_lshrrev_b32_e32 v145, 3, v146
	s_mov_b32 s16, exec_lo
	v_cmpx_gt_u32_e32 8, v146
; %bb.1801:                             ;   in Loop: Header=BB292_1062 Depth=1
	s_delay_alu instid0(VALU_DEP_3) | instskip(NEXT) | instid1(VALU_DEP_1)
	v_clz_i32_u32_e32 v134, v134
	v_min_u32_e32 v134, 32, v134
	s_delay_alu instid0(VALU_DEP_1) | instskip(NEXT) | instid1(VALU_DEP_1)
	v_subrev_nc_u32_e32 v145, 28, v134
	v_lshlrev_b64_e32 v[146:147], v145, v[0:1]
	v_sub_nc_u32_e32 v145, 29, v134
	s_delay_alu instid0(VALU_DEP_2)
	v_and_b32_e32 v134, 7, v146
; %bb.1802:                             ;   in Loop: Header=BB292_1062 Depth=1
	s_wait_alu 0xfffe
	s_or_b32 exec_lo, exec_lo, s16
	v_lshlrev_b32_e32 v0, 8, v144
	v_lshl_add_u32 v144, v145, 10, 0x2000
	v_lshlrev_b32_e32 v134, 23, v134
	s_delay_alu instid0(VALU_DEP_2) | instskip(NEXT) | instid1(VALU_DEP_1)
	v_and_or_b32 v0, 0x8000, v0, v144
	v_lshl_or_b32 v134, v0, 16, v134
.LBB292_1803:                           ;   in Loop: Header=BB292_1062 Depth=1
	s_wait_alu 0xfffe
	s_or_b32 exec_lo, exec_lo, s15
.LBB292_1804:                           ;   in Loop: Header=BB292_1062 Depth=1
	s_wait_alu 0xfffe
	s_or_b32 exec_lo, exec_lo, s14
.LBB292_1805:                           ;   in Loop: Header=BB292_1062 Depth=1
	s_wait_alu 0xfffe
	s_or_b32 exec_lo, exec_lo, s11
	v_lshrrev_b32_e32 v0, 16, v11
	v_mov_b32_e32 v144, 0
	s_mov_b32 s11, exec_lo
	s_delay_alu instid0(VALU_DEP_2) | instskip(NEXT) | instid1(VALU_DEP_1)
	v_dual_mov_b32 v145, 0 :: v_dual_and_b32 v146, 0xff, v0
	v_cmpx_ne_u16_e64 0, v146
	s_cbranch_execz .LBB292_1813
; %bb.1806:                             ;   in Loop: Header=BB292_1062 Depth=1
	v_mov_b32_e32 v145, 0x8000
	s_mov_b32 s14, exec_lo
	v_cmpx_ne_u16_e64 0x80, v146
	s_cbranch_execz .LBB292_1812
; %bb.1807:                             ;   in Loop: Header=BB292_1062 Depth=1
	v_bfe_u32 v147, v11, 16, 7
	v_mov_b32_e32 v145, 0x7c01
	s_mov_b32 s15, exec_lo
	s_delay_alu instid0(VALU_DEP_2)
	v_cmpx_ne_u32_e32 0x7f, v147
	s_cbranch_execz .LBB292_1811
; %bb.1808:                             ;   in Loop: Header=BB292_1062 Depth=1
	v_and_b32_e32 v145, 7, v0
	v_lshrrev_b32_e32 v146, 3, v147
	s_mov_b32 s16, exec_lo
	v_cmpx_gt_u32_e32 8, v147
; %bb.1809:                             ;   in Loop: Header=BB292_1062 Depth=1
	s_delay_alu instid0(VALU_DEP_3) | instskip(NEXT) | instid1(VALU_DEP_1)
	v_clz_i32_u32_e32 v145, v145
	v_min_u32_e32 v147, 32, v145
	s_delay_alu instid0(VALU_DEP_1) | instskip(NEXT) | instid1(VALU_DEP_1)
	v_subrev_nc_u32_e32 v145, 28, v147
	v_lshlrev_b64_e32 v[145:146], v145, v[0:1]
	v_sub_nc_u32_e32 v146, 29, v147
	s_delay_alu instid0(VALU_DEP_2)
	v_and_b32_e32 v145, 7, v145
; %bb.1810:                             ;   in Loop: Header=BB292_1062 Depth=1
	s_wait_alu 0xfffe
	s_or_b32 exec_lo, exec_lo, s16
	v_lshlrev_b32_e32 v0, 8, v0
	v_lshl_add_u32 v146, v146, 10, 0x2000
	v_lshlrev_b32_e32 v145, 7, v145
	s_delay_alu instid0(VALU_DEP_3) | instskip(NEXT) | instid1(VALU_DEP_3)
	v_and_b32_e32 v0, 0x8000, v0
	v_and_b32_e32 v146, 0xfc00, v146
	s_delay_alu instid0(VALU_DEP_1)
	v_or3_b32 v145, v0, v146, v145
.LBB292_1811:                           ;   in Loop: Header=BB292_1062 Depth=1
	s_wait_alu 0xfffe
	s_or_b32 exec_lo, exec_lo, s15
.LBB292_1812:                           ;   in Loop: Header=BB292_1062 Depth=1
	s_wait_alu 0xfffe
	s_or_b32 exec_lo, exec_lo, s14
.LBB292_1813:                           ;   in Loop: Header=BB292_1062 Depth=1
	s_wait_alu 0xfffe
	s_or_b32 exec_lo, exec_lo, s11
	s_delay_alu instid0(SALU_CYCLE_1)
	s_mov_b32 s11, exec_lo
	v_cmpx_lt_u32_e32 0xffffff, v11
	s_cbranch_execz .LBB292_1821
; %bb.1814:                             ;   in Loop: Header=BB292_1062 Depth=1
	v_lshrrev_b32_e32 v0, 24, v11
	v_bfrev_b32_e32 v144, 1
	s_mov_b32 s14, exec_lo
	s_delay_alu instid0(VALU_DEP_2)
	v_cmpx_ne_u32_e32 0x80, v0
	s_cbranch_execz .LBB292_1820
; %bb.1815:                             ;   in Loop: Header=BB292_1062 Depth=1
	v_and_b32_e32 v147, 0x7f, v0
	v_mov_b32_e32 v144, 0x7c010000
	s_mov_b32 s15, exec_lo
	s_delay_alu instid0(VALU_DEP_2)
	v_cmpx_ne_u32_e32 0x7f, v147
	s_cbranch_execz .LBB292_1819
; %bb.1816:                             ;   in Loop: Header=BB292_1062 Depth=1
	v_and_b32_e32 v144, 7, v0
	v_lshrrev_b32_e32 v146, 3, v147
	s_mov_b32 s16, exec_lo
	v_cmpx_gt_u32_e32 8, v147
; %bb.1817:                             ;   in Loop: Header=BB292_1062 Depth=1
	s_delay_alu instid0(VALU_DEP_3) | instskip(NEXT) | instid1(VALU_DEP_1)
	v_clz_i32_u32_e32 v144, v144
	v_min_u32_e32 v144, 32, v144
	s_delay_alu instid0(VALU_DEP_1) | instskip(NEXT) | instid1(VALU_DEP_1)
	v_subrev_nc_u32_e32 v146, 28, v144
	v_lshlrev_b64_e32 v[147:148], v146, v[0:1]
	v_sub_nc_u32_e32 v146, 29, v144
	s_delay_alu instid0(VALU_DEP_2)
	v_and_b32_e32 v144, 7, v147
; %bb.1818:                             ;   in Loop: Header=BB292_1062 Depth=1
	s_wait_alu 0xfffe
	s_or_b32 exec_lo, exec_lo, s16
	v_lshlrev_b32_e32 v0, 8, v0
	v_lshl_add_u32 v146, v146, 10, 0x2000
	v_lshlrev_b32_e32 v144, 23, v144
	s_delay_alu instid0(VALU_DEP_2) | instskip(NEXT) | instid1(VALU_DEP_1)
	v_and_or_b32 v0, 0x8000, v0, v146
	v_lshl_or_b32 v144, v0, 16, v144
.LBB292_1819:                           ;   in Loop: Header=BB292_1062 Depth=1
	s_wait_alu 0xfffe
	s_or_b32 exec_lo, exec_lo, s15
.LBB292_1820:                           ;   in Loop: Header=BB292_1062 Depth=1
	s_wait_alu 0xfffe
	s_or_b32 exec_lo, exec_lo, s14
.LBB292_1821:                           ;   in Loop: Header=BB292_1062 Depth=1
	s_wait_alu 0xfffe
	s_or_b32 exec_lo, exec_lo, s11
	v_dual_mov_b32 v147, 0 :: v_dual_and_b32 v148, 0xff, v12
	v_mov_b32_e32 v0, v12
	v_mov_b32_e32 v146, 0
	s_mov_b32 s11, exec_lo
	s_delay_alu instid0(VALU_DEP_3)
	v_cmpx_ne_u16_e64 0, v148
	s_cbranch_execz .LBB292_1829
; %bb.1822:                             ;   in Loop: Header=BB292_1062 Depth=1
	v_mov_b32_e32 v147, 0x8000
	s_mov_b32 s14, exec_lo
	v_cmpx_ne_u16_e64 0x80, v148
	s_cbranch_execz .LBB292_1828
; %bb.1823:                             ;   in Loop: Header=BB292_1062 Depth=1
	v_and_b32_e32 v149, 0x7f, v12
	v_mov_b32_e32 v147, 0x7c01
	s_mov_b32 s15, exec_lo
	s_delay_alu instid0(VALU_DEP_2)
	v_cmpx_ne_u32_e32 0x7f, v149
	s_cbranch_execz .LBB292_1827
; %bb.1824:                             ;   in Loop: Header=BB292_1062 Depth=1
	v_and_b32_e32 v147, 7, v12
	v_lshrrev_b32_e32 v148, 3, v149
	s_mov_b32 s16, exec_lo
	v_cmpx_gt_u32_e32 8, v149
; %bb.1825:                             ;   in Loop: Header=BB292_1062 Depth=1
	s_delay_alu instid0(VALU_DEP_3) | instskip(NEXT) | instid1(VALU_DEP_1)
	v_clz_i32_u32_e32 v147, v147
	v_min_u32_e32 v149, 32, v147
	s_delay_alu instid0(VALU_DEP_1) | instskip(NEXT) | instid1(VALU_DEP_1)
	v_subrev_nc_u32_e32 v147, 28, v149
	v_lshlrev_b64_e32 v[147:148], v147, v[0:1]
	v_sub_nc_u32_e32 v148, 29, v149
	s_delay_alu instid0(VALU_DEP_2)
	v_and_b32_e32 v147, 7, v147
; %bb.1826:                             ;   in Loop: Header=BB292_1062 Depth=1
	s_wait_alu 0xfffe
	s_or_b32 exec_lo, exec_lo, s16
	v_lshlrev_b32_e32 v149, 8, v12
	v_lshl_add_u32 v148, v148, 10, 0x2000
	v_lshlrev_b32_e32 v147, 7, v147
	s_delay_alu instid0(VALU_DEP_3) | instskip(NEXT) | instid1(VALU_DEP_3)
	v_and_b32_e32 v149, 0x8000, v149
	v_and_b32_e32 v148, 0xfc00, v148
	s_delay_alu instid0(VALU_DEP_1)
	v_or3_b32 v147, v149, v148, v147
.LBB292_1827:                           ;   in Loop: Header=BB292_1062 Depth=1
	s_wait_alu 0xfffe
	s_or_b32 exec_lo, exec_lo, s15
.LBB292_1828:                           ;   in Loop: Header=BB292_1062 Depth=1
	s_wait_alu 0xfffe
	s_or_b32 exec_lo, exec_lo, s14
.LBB292_1829:                           ;   in Loop: Header=BB292_1062 Depth=1
	s_wait_alu 0xfffe
	s_or_b32 exec_lo, exec_lo, s11
	v_lshrrev_b16 v0, 8, v0
	v_mov_b32_e32 v148, 0
	s_mov_b32 s11, exec_lo
	s_delay_alu instid0(VALU_DEP_2)
	v_cmpx_ne_u16_e32 0, v0
	s_cbranch_execz .LBB292_1837
; %bb.1830:                             ;   in Loop: Header=BB292_1062 Depth=1
	v_bfrev_b32_e32 v148, 1
	s_mov_b32 s14, exec_lo
	v_cmpx_ne_u16_e32 0x80, v0
	s_cbranch_execz .LBB292_1836
; %bb.1831:                             ;   in Loop: Header=BB292_1062 Depth=1
	v_and_b32_e32 v149, 0xffff, v0
	v_mov_b32_e32 v148, 0x7c010000
	s_mov_b32 s15, exec_lo
	s_delay_alu instid0(VALU_DEP_2) | instskip(NEXT) | instid1(VALU_DEP_1)
	v_and_b32_e32 v151, 0x7f, v149
	v_cmpx_ne_u32_e32 0x7f, v151
	s_cbranch_execz .LBB292_1835
; %bb.1832:                             ;   in Loop: Header=BB292_1062 Depth=1
	v_and_b32_e32 v148, 7, v149
	v_lshrrev_b32_e32 v150, 3, v151
	s_mov_b32 s16, exec_lo
	v_cmpx_gt_u32_e32 8, v151
; %bb.1833:                             ;   in Loop: Header=BB292_1062 Depth=1
	s_delay_alu instid0(VALU_DEP_3) | instskip(NEXT) | instid1(VALU_DEP_1)
	v_clz_i32_u32_e32 v148, v148
	v_min_u32_e32 v148, 32, v148
	s_delay_alu instid0(VALU_DEP_1) | instskip(NEXT) | instid1(VALU_DEP_1)
	v_subrev_nc_u32_e32 v150, 28, v148
	v_lshlrev_b64_e32 v[160:161], v150, v[0:1]
	v_sub_nc_u32_e32 v150, 29, v148
	s_delay_alu instid0(VALU_DEP_2)
	v_and_b32_e32 v148, 7, v160
; %bb.1834:                             ;   in Loop: Header=BB292_1062 Depth=1
	s_wait_alu 0xfffe
	s_or_b32 exec_lo, exec_lo, s16
	v_lshlrev_b32_e32 v0, 8, v149
	v_lshl_add_u32 v149, v150, 10, 0x2000
	v_lshlrev_b32_e32 v148, 23, v148
	s_delay_alu instid0(VALU_DEP_2) | instskip(NEXT) | instid1(VALU_DEP_1)
	v_and_or_b32 v0, 0x8000, v0, v149
	v_lshl_or_b32 v148, v0, 16, v148
.LBB292_1835:                           ;   in Loop: Header=BB292_1062 Depth=1
	s_wait_alu 0xfffe
	s_or_b32 exec_lo, exec_lo, s15
.LBB292_1836:                           ;   in Loop: Header=BB292_1062 Depth=1
	s_wait_alu 0xfffe
	s_or_b32 exec_lo, exec_lo, s14
.LBB292_1837:                           ;   in Loop: Header=BB292_1062 Depth=1
	s_wait_alu 0xfffe
	s_or_b32 exec_lo, exec_lo, s11
	v_lshrrev_b32_e32 v0, 16, v12
	s_mov_b32 s11, exec_lo
	s_delay_alu instid0(VALU_DEP_1) | instskip(NEXT) | instid1(VALU_DEP_1)
	v_and_b32_e32 v149, 0xff, v0
	v_cmpx_ne_u16_e64 0, v149
	s_cbranch_execz .LBB292_1845
; %bb.1838:                             ;   in Loop: Header=BB292_1062 Depth=1
	v_mov_b32_e32 v146, 0x8000
	s_mov_b32 s14, exec_lo
	v_cmpx_ne_u16_e64 0x80, v149
	s_cbranch_execz .LBB292_1844
; %bb.1839:                             ;   in Loop: Header=BB292_1062 Depth=1
	v_bfe_u32 v150, v12, 16, 7
	v_mov_b32_e32 v146, 0x7c01
	s_mov_b32 s15, exec_lo
	s_delay_alu instid0(VALU_DEP_2)
	v_cmpx_ne_u32_e32 0x7f, v150
	s_cbranch_execz .LBB292_1843
; %bb.1840:                             ;   in Loop: Header=BB292_1062 Depth=1
	v_and_b32_e32 v146, 7, v0
	v_lshrrev_b32_e32 v149, 3, v150
	s_mov_b32 s16, exec_lo
	v_cmpx_gt_u32_e32 8, v150
; %bb.1841:                             ;   in Loop: Header=BB292_1062 Depth=1
	s_delay_alu instid0(VALU_DEP_3) | instskip(NEXT) | instid1(VALU_DEP_1)
	v_clz_i32_u32_e32 v146, v146
	v_min_u32_e32 v146, 32, v146
	s_delay_alu instid0(VALU_DEP_1) | instskip(NEXT) | instid1(VALU_DEP_1)
	v_subrev_nc_u32_e32 v149, 28, v146
	v_lshlrev_b64_e32 v[150:151], v149, v[0:1]
	v_sub_nc_u32_e32 v149, 29, v146
	s_delay_alu instid0(VALU_DEP_2)
	v_and_b32_e32 v146, 7, v150
; %bb.1842:                             ;   in Loop: Header=BB292_1062 Depth=1
	s_wait_alu 0xfffe
	s_or_b32 exec_lo, exec_lo, s16
	v_lshlrev_b32_e32 v0, 8, v0
	v_lshl_add_u32 v149, v149, 10, 0x2000
	v_lshlrev_b32_e32 v146, 7, v146
	s_delay_alu instid0(VALU_DEP_3) | instskip(NEXT) | instid1(VALU_DEP_3)
	v_and_b32_e32 v0, 0x8000, v0
	v_and_b32_e32 v149, 0xfc00, v149
	s_delay_alu instid0(VALU_DEP_1)
	v_or3_b32 v146, v0, v149, v146
.LBB292_1843:                           ;   in Loop: Header=BB292_1062 Depth=1
	s_wait_alu 0xfffe
	s_or_b32 exec_lo, exec_lo, s15
.LBB292_1844:                           ;   in Loop: Header=BB292_1062 Depth=1
	s_wait_alu 0xfffe
	s_or_b32 exec_lo, exec_lo, s14
.LBB292_1845:                           ;   in Loop: Header=BB292_1062 Depth=1
	s_wait_alu 0xfffe
	s_or_b32 exec_lo, exec_lo, s11
	v_cmp_lt_u64_e64 s0, s[8:9], v[11:12]
	v_mov_b32_e32 v11, 0
	s_and_saveexec_b32 s11, s0
	s_cbranch_execz .LBB292_1853
; %bb.1846:                             ;   in Loop: Header=BB292_1062 Depth=1
	v_lshrrev_b32_e32 v0, 24, v12
	v_bfrev_b32_e32 v11, 1
	s_mov_b32 s14, exec_lo
	s_delay_alu instid0(VALU_DEP_2)
	v_cmpx_ne_u32_e32 0x80, v0
	s_cbranch_execz .LBB292_1852
; %bb.1847:                             ;   in Loop: Header=BB292_1062 Depth=1
	v_and_b32_e32 v149, 0x7f, v0
	v_mov_b32_e32 v11, 0x7c010000
	s_mov_b32 s15, exec_lo
	s_delay_alu instid0(VALU_DEP_2)
	v_cmpx_ne_u32_e32 0x7f, v149
	s_cbranch_execz .LBB292_1851
; %bb.1848:                             ;   in Loop: Header=BB292_1062 Depth=1
	v_and_b32_e32 v11, 7, v0
	v_lshrrev_b32_e32 v12, 3, v149
	s_mov_b32 s16, exec_lo
	v_cmpx_gt_u32_e32 8, v149
; %bb.1849:                             ;   in Loop: Header=BB292_1062 Depth=1
	s_delay_alu instid0(VALU_DEP_3) | instskip(NEXT) | instid1(VALU_DEP_1)
	v_clz_i32_u32_e32 v11, v11
	v_min_u32_e32 v149, 32, v11
	s_delay_alu instid0(VALU_DEP_1) | instskip(NEXT) | instid1(VALU_DEP_1)
	v_subrev_nc_u32_e32 v11, 28, v149
	v_lshlrev_b64_e32 v[11:12], v11, v[0:1]
	v_sub_nc_u32_e32 v12, 29, v149
	s_delay_alu instid0(VALU_DEP_2)
	v_and_b32_e32 v11, 7, v11
; %bb.1850:                             ;   in Loop: Header=BB292_1062 Depth=1
	s_wait_alu 0xfffe
	s_or_b32 exec_lo, exec_lo, s16
	v_lshlrev_b32_e32 v0, 8, v0
	v_lshl_add_u32 v12, v12, 10, 0x2000
	v_lshlrev_b32_e32 v11, 23, v11
	s_delay_alu instid0(VALU_DEP_2) | instskip(NEXT) | instid1(VALU_DEP_1)
	v_and_or_b32 v0, 0x8000, v0, v12
	v_lshl_or_b32 v11, v0, 16, v11
.LBB292_1851:                           ;   in Loop: Header=BB292_1062 Depth=1
	s_wait_alu 0xfffe
	s_or_b32 exec_lo, exec_lo, s15
.LBB292_1852:                           ;   in Loop: Header=BB292_1062 Depth=1
	s_wait_alu 0xfffe
	s_or_b32 exec_lo, exec_lo, s14
.LBB292_1853:                           ;   in Loop: Header=BB292_1062 Depth=1
	s_wait_alu 0xfffe
	s_or_b32 exec_lo, exec_lo, s11
	v_or_b32_e32 v0, v144, v145
	s_wait_loadcnt_dscnt 0x0
	v_fma_mixlo_f16 v12, v133, v144, 0 op_sel:[0,1,0] op_sel_hi:[0,1,0]
	v_or_b32_e32 v144, v134, v135
	v_fma_mixlo_f16 v134, v133, v134, 0 op_sel:[0,1,0] op_sel_hi:[0,1,0]
	v_or_b32_e32 v145, v148, v147
	v_or_b32_e32 v146, v11, v146
	v_fma_mixlo_f16 v147, v133, v0, 0 op_sel_hi:[0,1,0]
	v_fma_mixlo_f16 v11, v133, v11, 0 op_sel:[0,1,0] op_sel_hi:[0,1,0]
	v_lshlrev_b32_e32 v135, 16, v134
	v_fma_mixlo_f16 v134, v133, v144, 0 op_sel_hi:[0,1,0]
	v_fma_mixlo_f16 v144, v133, v148, 0 op_sel:[0,1,0] op_sel_hi:[0,1,0]
	v_fma_mixlo_f16 v145, v133, v145, 0 op_sel_hi:[0,1,0]
	v_fma_mixlo_f16 v146, v133, v146, 0 op_sel_hi:[0,1,0]
	v_lshlrev_b32_e32 v0, 16, v12
	v_and_b32_e32 v12, 0xffff, v147
	v_and_b32_e32 v149, 0xffff, v134
	v_lshlrev_b32_e32 v133, 16, v144
	v_and_b32_e32 v145, 0xffff, v145
	v_lshlrev_b32_e32 v11, 16, v11
	v_and_b32_e32 v134, 0xffff, v146
	v_or_b32_e32 v144, v0, v12
	v_or_b32_e32 v148, v135, v149
	;; [unrolled: 1-line block ×3, first 2 shown]
	s_delay_alu instid0(VALU_DEP_4)
	v_or_b32_e32 v146, v11, v134
	s_and_saveexec_b32 s11, vcc_lo
	s_cbranch_execz .LBB292_1855
; %bb.1854:                             ;   in Loop: Header=BB292_1062 Depth=1
	v_cmp_lt_i32_e64 s0, v17, v34
	s_wait_alu 0xf1ff
	s_delay_alu instid0(VALU_DEP_1) | instskip(SKIP_2) | instid1(VALU_DEP_1)
	v_cndmask_b32_e64 v144, 0, v149, s0
	v_cmp_lt_i32_e64 s0, v96, v34
	s_wait_alu 0xf1ff
	v_cndmask_b32_e64 v135, 0, v135, s0
	v_cmp_lt_i32_e64 s0, v87, v34
	s_delay_alu instid0(VALU_DEP_2) | instskip(SKIP_1) | instid1(VALU_DEP_2)
	v_or_b32_e32 v148, v144, v135
	s_wait_alu 0xf1ff
	v_cndmask_b32_e64 v12, 0, v12, s0
	v_cmp_lt_i32_e64 s0, v86, v34
	s_wait_alu 0xf1ff
	s_delay_alu instid0(VALU_DEP_1) | instskip(SKIP_1) | instid1(VALU_DEP_2)
	v_cndmask_b32_e64 v0, 0, v0, s0
	v_cmp_lt_i32_e64 s0, v85, v34
	v_or_b32_e32 v144, v12, v0
	s_wait_alu 0xf1ff
	s_delay_alu instid0(VALU_DEP_2) | instskip(SKIP_2) | instid1(VALU_DEP_1)
	v_cndmask_b32_e64 v145, 0, v145, s0
	v_cmp_lt_i32_e64 s0, v84, v34
	s_wait_alu 0xf1ff
	v_cndmask_b32_e64 v133, 0, v133, s0
	v_cmp_lt_i32_e64 s0, v83, v34
	s_delay_alu instid0(VALU_DEP_2) | instskip(SKIP_1) | instid1(VALU_DEP_2)
	v_or_b32_e32 v147, v145, v133
	s_wait_alu 0xf1ff
	v_cndmask_b32_e64 v134, 0, v134, s0
	v_cmp_lt_i32_e64 s0, v82, v34
	s_wait_alu 0xf1ff
	s_delay_alu instid0(VALU_DEP_1) | instskip(NEXT) | instid1(VALU_DEP_1)
	v_cndmask_b32_e64 v11, 0, v11, s0
	v_or_b32_e32 v146, v134, v11
.LBB292_1855:                           ;   in Loop: Header=BB292_1062 Depth=1
	s_wait_alu 0xfffe
	s_or_b32 exec_lo, exec_lo, s11
	;;#ASMSTART
	v_pk_mul_f16 v0, v81, v148;

	;;#ASMEND
	;;#ASMSTART
	v_pk_mul_f16 v11, v80, v144;

	;;#ASMEND
	;; [unrolled: 4-line block ×4, first 2 shown]
	;;#ASMSTART
	v_pk_add_f16 v0, v0, v11;

	;;#ASMEND
	;;#ASMSTART
	v_pk_add_f16 v0, v0, v12;

	;;#ASMEND
	;; [unrolled: 4-line block ×3, first 2 shown]
	v_dual_mov_b32 v144, 0 :: v_dual_and_b32 v11, 0xffff, v0
	v_lshrrev_b32_e32 v0, 16, v0
	;;#ASMSTART
	v_cvt_f32_f16 v133, v11;
	;;#ASMEND
	;;#ASMSTART
	v_cvt_f32_f16 v134, v0;
	;;#ASMEND
	flat_load_b64 v[11:12], v[9:10] offset:3072
	flat_load_b32 v135, v[26:27]
	s_mov_b32 s11, exec_lo
	s_wait_loadcnt_dscnt 0x101
	v_dual_mov_b32 v145, 0 :: v_dual_and_b32 v0, 0xff, v11
	s_delay_alu instid0(VALU_DEP_1)
	v_cmpx_ne_u16_e32 0, v0
	s_cbranch_execz .LBB292_1863
; %bb.1856:                             ;   in Loop: Header=BB292_1062 Depth=1
	v_mov_b32_e32 v145, 0x8000
	s_mov_b32 s14, exec_lo
	v_cmpx_ne_u16_e32 0x80, v0
	s_cbranch_execz .LBB292_1862
; %bb.1857:                             ;   in Loop: Header=BB292_1062 Depth=1
	v_and_b32_e32 v146, 0x7f, v11
	v_mov_b32_e32 v145, 0x7c01
	s_mov_b32 s15, exec_lo
	s_delay_alu instid0(VALU_DEP_2)
	v_cmpx_ne_u32_e32 0x7f, v146
	s_cbranch_execz .LBB292_1861
; %bb.1858:                             ;   in Loop: Header=BB292_1062 Depth=1
	v_and_b32_e32 v0, 7, v11
	v_lshrrev_b32_e32 v145, 3, v146
	s_mov_b32 s16, exec_lo
	v_cmpx_gt_u32_e32 8, v146
; %bb.1859:                             ;   in Loop: Header=BB292_1062 Depth=1
	s_delay_alu instid0(VALU_DEP_3) | instskip(NEXT) | instid1(VALU_DEP_1)
	v_clz_i32_u32_e32 v0, v0
	v_min_u32_e32 v0, 32, v0
	s_delay_alu instid0(VALU_DEP_1) | instskip(NEXT) | instid1(VALU_DEP_1)
	v_subrev_nc_u32_e32 v145, 28, v0
	v_lshlrev_b64_e32 v[146:147], v145, v[11:12]
	v_sub_nc_u32_e32 v145, 29, v0
	s_delay_alu instid0(VALU_DEP_2)
	v_and_b32_e32 v0, 7, v146
; %bb.1860:                             ;   in Loop: Header=BB292_1062 Depth=1
	s_wait_alu 0xfffe
	s_or_b32 exec_lo, exec_lo, s16
	v_lshlrev_b32_e32 v146, 8, v11
	v_lshl_add_u32 v145, v145, 10, 0x2000
	v_lshlrev_b32_e32 v0, 7, v0
	s_delay_alu instid0(VALU_DEP_3) | instskip(NEXT) | instid1(VALU_DEP_3)
	v_and_b32_e32 v146, 0x8000, v146
	v_and_b32_e32 v145, 0xfc00, v145
	s_delay_alu instid0(VALU_DEP_1)
	v_or3_b32 v145, v146, v145, v0
.LBB292_1861:                           ;   in Loop: Header=BB292_1062 Depth=1
	s_wait_alu 0xfffe
	s_or_b32 exec_lo, exec_lo, s15
.LBB292_1862:                           ;   in Loop: Header=BB292_1062 Depth=1
	s_wait_alu 0xfffe
	s_or_b32 exec_lo, exec_lo, s14
.LBB292_1863:                           ;   in Loop: Header=BB292_1062 Depth=1
	s_wait_alu 0xfffe
	s_or_b32 exec_lo, exec_lo, s11
	v_lshrrev_b16 v0, 8, v11
	s_mov_b32 s11, exec_lo
	s_delay_alu instid0(VALU_DEP_1)
	v_cmpx_ne_u16_e32 0, v0
	s_cbranch_execz .LBB292_1871
; %bb.1864:                             ;   in Loop: Header=BB292_1062 Depth=1
	v_bfrev_b32_e32 v144, 1
	s_mov_b32 s14, exec_lo
	v_cmpx_ne_u16_e32 0x80, v0
	s_cbranch_execz .LBB292_1870
; %bb.1865:                             ;   in Loop: Header=BB292_1062 Depth=1
	v_and_b32_e32 v146, 0xffff, v0
	v_mov_b32_e32 v144, 0x7c010000
	s_mov_b32 s15, exec_lo
	s_delay_alu instid0(VALU_DEP_2) | instskip(NEXT) | instid1(VALU_DEP_1)
	v_and_b32_e32 v148, 0x7f, v146
	v_cmpx_ne_u32_e32 0x7f, v148
	s_cbranch_execz .LBB292_1869
; %bb.1866:                             ;   in Loop: Header=BB292_1062 Depth=1
	v_and_b32_e32 v144, 7, v146
	v_lshrrev_b32_e32 v147, 3, v148
	s_mov_b32 s16, exec_lo
	v_cmpx_gt_u32_e32 8, v148
; %bb.1867:                             ;   in Loop: Header=BB292_1062 Depth=1
	s_delay_alu instid0(VALU_DEP_3) | instskip(NEXT) | instid1(VALU_DEP_1)
	v_clz_i32_u32_e32 v144, v144
	v_min_u32_e32 v144, 32, v144
	s_delay_alu instid0(VALU_DEP_1) | instskip(NEXT) | instid1(VALU_DEP_1)
	v_subrev_nc_u32_e32 v147, 28, v144
	v_lshlrev_b64_e32 v[148:149], v147, v[0:1]
	v_sub_nc_u32_e32 v147, 29, v144
	s_delay_alu instid0(VALU_DEP_2)
	v_and_b32_e32 v144, 7, v148
; %bb.1868:                             ;   in Loop: Header=BB292_1062 Depth=1
	s_wait_alu 0xfffe
	s_or_b32 exec_lo, exec_lo, s16
	v_lshlrev_b32_e32 v0, 8, v146
	v_lshl_add_u32 v146, v147, 10, 0x2000
	v_lshlrev_b32_e32 v144, 23, v144
	s_delay_alu instid0(VALU_DEP_2) | instskip(NEXT) | instid1(VALU_DEP_1)
	v_and_or_b32 v0, 0x8000, v0, v146
	v_lshl_or_b32 v144, v0, 16, v144
.LBB292_1869:                           ;   in Loop: Header=BB292_1062 Depth=1
	s_wait_alu 0xfffe
	s_or_b32 exec_lo, exec_lo, s15
.LBB292_1870:                           ;   in Loop: Header=BB292_1062 Depth=1
	s_wait_alu 0xfffe
	s_or_b32 exec_lo, exec_lo, s14
.LBB292_1871:                           ;   in Loop: Header=BB292_1062 Depth=1
	s_wait_alu 0xfffe
	s_or_b32 exec_lo, exec_lo, s11
	v_lshrrev_b32_e32 v0, 16, v11
	v_mov_b32_e32 v146, 0
	s_mov_b32 s11, exec_lo
	s_delay_alu instid0(VALU_DEP_2) | instskip(NEXT) | instid1(VALU_DEP_1)
	v_dual_mov_b32 v147, 0 :: v_dual_and_b32 v148, 0xff, v0
	v_cmpx_ne_u16_e64 0, v148
	s_cbranch_execz .LBB292_1879
; %bb.1872:                             ;   in Loop: Header=BB292_1062 Depth=1
	v_mov_b32_e32 v147, 0x8000
	s_mov_b32 s14, exec_lo
	v_cmpx_ne_u16_e64 0x80, v148
	s_cbranch_execz .LBB292_1878
; %bb.1873:                             ;   in Loop: Header=BB292_1062 Depth=1
	v_bfe_u32 v149, v11, 16, 7
	v_mov_b32_e32 v147, 0x7c01
	s_mov_b32 s15, exec_lo
	s_delay_alu instid0(VALU_DEP_2)
	v_cmpx_ne_u32_e32 0x7f, v149
	s_cbranch_execz .LBB292_1877
; %bb.1874:                             ;   in Loop: Header=BB292_1062 Depth=1
	v_and_b32_e32 v147, 7, v0
	v_lshrrev_b32_e32 v148, 3, v149
	s_mov_b32 s16, exec_lo
	v_cmpx_gt_u32_e32 8, v149
; %bb.1875:                             ;   in Loop: Header=BB292_1062 Depth=1
	s_delay_alu instid0(VALU_DEP_3) | instskip(NEXT) | instid1(VALU_DEP_1)
	v_clz_i32_u32_e32 v147, v147
	v_min_u32_e32 v149, 32, v147
	s_delay_alu instid0(VALU_DEP_1) | instskip(NEXT) | instid1(VALU_DEP_1)
	v_subrev_nc_u32_e32 v147, 28, v149
	v_lshlrev_b64_e32 v[147:148], v147, v[0:1]
	v_sub_nc_u32_e32 v148, 29, v149
	s_delay_alu instid0(VALU_DEP_2)
	v_and_b32_e32 v147, 7, v147
; %bb.1876:                             ;   in Loop: Header=BB292_1062 Depth=1
	s_wait_alu 0xfffe
	s_or_b32 exec_lo, exec_lo, s16
	v_lshlrev_b32_e32 v0, 8, v0
	v_lshl_add_u32 v148, v148, 10, 0x2000
	v_lshlrev_b32_e32 v147, 7, v147
	s_delay_alu instid0(VALU_DEP_3) | instskip(NEXT) | instid1(VALU_DEP_3)
	v_and_b32_e32 v0, 0x8000, v0
	v_and_b32_e32 v148, 0xfc00, v148
	s_delay_alu instid0(VALU_DEP_1)
	v_or3_b32 v147, v0, v148, v147
.LBB292_1877:                           ;   in Loop: Header=BB292_1062 Depth=1
	s_wait_alu 0xfffe
	s_or_b32 exec_lo, exec_lo, s15
.LBB292_1878:                           ;   in Loop: Header=BB292_1062 Depth=1
	s_wait_alu 0xfffe
	s_or_b32 exec_lo, exec_lo, s14
.LBB292_1879:                           ;   in Loop: Header=BB292_1062 Depth=1
	s_wait_alu 0xfffe
	s_or_b32 exec_lo, exec_lo, s11
	s_delay_alu instid0(SALU_CYCLE_1)
	s_mov_b32 s11, exec_lo
	v_cmpx_lt_u32_e32 0xffffff, v11
	s_cbranch_execz .LBB292_1887
; %bb.1880:                             ;   in Loop: Header=BB292_1062 Depth=1
	v_lshrrev_b32_e32 v0, 24, v11
	v_bfrev_b32_e32 v146, 1
	s_mov_b32 s14, exec_lo
	s_delay_alu instid0(VALU_DEP_2)
	v_cmpx_ne_u32_e32 0x80, v0
	s_cbranch_execz .LBB292_1886
; %bb.1881:                             ;   in Loop: Header=BB292_1062 Depth=1
	v_and_b32_e32 v149, 0x7f, v0
	v_mov_b32_e32 v146, 0x7c010000
	s_mov_b32 s15, exec_lo
	s_delay_alu instid0(VALU_DEP_2)
	v_cmpx_ne_u32_e32 0x7f, v149
	s_cbranch_execz .LBB292_1885
; %bb.1882:                             ;   in Loop: Header=BB292_1062 Depth=1
	v_and_b32_e32 v146, 7, v0
	v_lshrrev_b32_e32 v148, 3, v149
	s_mov_b32 s16, exec_lo
	v_cmpx_gt_u32_e32 8, v149
; %bb.1883:                             ;   in Loop: Header=BB292_1062 Depth=1
	s_delay_alu instid0(VALU_DEP_3) | instskip(NEXT) | instid1(VALU_DEP_1)
	v_clz_i32_u32_e32 v146, v146
	v_min_u32_e32 v146, 32, v146
	s_delay_alu instid0(VALU_DEP_1) | instskip(NEXT) | instid1(VALU_DEP_1)
	v_subrev_nc_u32_e32 v148, 28, v146
	v_lshlrev_b64_e32 v[149:150], v148, v[0:1]
	v_sub_nc_u32_e32 v148, 29, v146
	s_delay_alu instid0(VALU_DEP_2)
	v_and_b32_e32 v146, 7, v149
; %bb.1884:                             ;   in Loop: Header=BB292_1062 Depth=1
	s_wait_alu 0xfffe
	s_or_b32 exec_lo, exec_lo, s16
	v_lshlrev_b32_e32 v0, 8, v0
	v_lshl_add_u32 v148, v148, 10, 0x2000
	v_lshlrev_b32_e32 v146, 23, v146
	s_delay_alu instid0(VALU_DEP_2) | instskip(NEXT) | instid1(VALU_DEP_1)
	v_and_or_b32 v0, 0x8000, v0, v148
	v_lshl_or_b32 v146, v0, 16, v146
.LBB292_1885:                           ;   in Loop: Header=BB292_1062 Depth=1
	s_wait_alu 0xfffe
	s_or_b32 exec_lo, exec_lo, s15
.LBB292_1886:                           ;   in Loop: Header=BB292_1062 Depth=1
	s_wait_alu 0xfffe
	s_or_b32 exec_lo, exec_lo, s14
.LBB292_1887:                           ;   in Loop: Header=BB292_1062 Depth=1
	s_wait_alu 0xfffe
	s_or_b32 exec_lo, exec_lo, s11
	v_dual_mov_b32 v149, 0 :: v_dual_and_b32 v150, 0xff, v12
	v_mov_b32_e32 v0, v12
	v_mov_b32_e32 v148, 0
	s_mov_b32 s11, exec_lo
	s_delay_alu instid0(VALU_DEP_3)
	v_cmpx_ne_u16_e64 0, v150
	s_cbranch_execz .LBB292_1895
; %bb.1888:                             ;   in Loop: Header=BB292_1062 Depth=1
	v_mov_b32_e32 v149, 0x8000
	s_mov_b32 s14, exec_lo
	v_cmpx_ne_u16_e64 0x80, v150
	s_cbranch_execz .LBB292_1894
; %bb.1889:                             ;   in Loop: Header=BB292_1062 Depth=1
	v_and_b32_e32 v151, 0x7f, v12
	v_mov_b32_e32 v149, 0x7c01
	s_mov_b32 s15, exec_lo
	s_delay_alu instid0(VALU_DEP_2)
	v_cmpx_ne_u32_e32 0x7f, v151
	s_cbranch_execz .LBB292_1893
; %bb.1890:                             ;   in Loop: Header=BB292_1062 Depth=1
	v_and_b32_e32 v149, 7, v12
	v_lshrrev_b32_e32 v150, 3, v151
	s_mov_b32 s16, exec_lo
	v_cmpx_gt_u32_e32 8, v151
; %bb.1891:                             ;   in Loop: Header=BB292_1062 Depth=1
	s_delay_alu instid0(VALU_DEP_3) | instskip(NEXT) | instid1(VALU_DEP_1)
	v_clz_i32_u32_e32 v149, v149
	v_min_u32_e32 v151, 32, v149
	s_delay_alu instid0(VALU_DEP_1) | instskip(NEXT) | instid1(VALU_DEP_1)
	v_subrev_nc_u32_e32 v149, 28, v151
	v_lshlrev_b64_e32 v[149:150], v149, v[0:1]
	v_sub_nc_u32_e32 v150, 29, v151
	s_delay_alu instid0(VALU_DEP_2)
	v_and_b32_e32 v149, 7, v149
; %bb.1892:                             ;   in Loop: Header=BB292_1062 Depth=1
	s_wait_alu 0xfffe
	s_or_b32 exec_lo, exec_lo, s16
	v_lshlrev_b32_e32 v151, 8, v12
	v_lshl_add_u32 v150, v150, 10, 0x2000
	v_lshlrev_b32_e32 v149, 7, v149
	s_delay_alu instid0(VALU_DEP_3) | instskip(NEXT) | instid1(VALU_DEP_3)
	v_and_b32_e32 v151, 0x8000, v151
	v_and_b32_e32 v150, 0xfc00, v150
	s_delay_alu instid0(VALU_DEP_1)
	v_or3_b32 v149, v151, v150, v149
.LBB292_1893:                           ;   in Loop: Header=BB292_1062 Depth=1
	s_wait_alu 0xfffe
	s_or_b32 exec_lo, exec_lo, s15
.LBB292_1894:                           ;   in Loop: Header=BB292_1062 Depth=1
	s_wait_alu 0xfffe
	s_or_b32 exec_lo, exec_lo, s14
.LBB292_1895:                           ;   in Loop: Header=BB292_1062 Depth=1
	s_wait_alu 0xfffe
	s_or_b32 exec_lo, exec_lo, s11
	v_lshrrev_b16 v0, 8, v0
	v_mov_b32_e32 v150, 0
	s_mov_b32 s11, exec_lo
	s_delay_alu instid0(VALU_DEP_2)
	v_cmpx_ne_u16_e32 0, v0
	s_cbranch_execz .LBB292_1903
; %bb.1896:                             ;   in Loop: Header=BB292_1062 Depth=1
	v_bfrev_b32_e32 v150, 1
	s_mov_b32 s14, exec_lo
	v_cmpx_ne_u16_e32 0x80, v0
	s_cbranch_execz .LBB292_1902
; %bb.1897:                             ;   in Loop: Header=BB292_1062 Depth=1
	v_and_b32_e32 v151, 0xffff, v0
	v_mov_b32_e32 v150, 0x7c010000
	s_mov_b32 s15, exec_lo
	s_delay_alu instid0(VALU_DEP_2) | instskip(NEXT) | instid1(VALU_DEP_1)
	v_and_b32_e32 v161, 0x7f, v151
	v_cmpx_ne_u32_e32 0x7f, v161
	s_cbranch_execz .LBB292_1901
; %bb.1898:                             ;   in Loop: Header=BB292_1062 Depth=1
	v_and_b32_e32 v150, 7, v151
	v_lshrrev_b32_e32 v160, 3, v161
	s_mov_b32 s16, exec_lo
	v_cmpx_gt_u32_e32 8, v161
; %bb.1899:                             ;   in Loop: Header=BB292_1062 Depth=1
	s_delay_alu instid0(VALU_DEP_3) | instskip(NEXT) | instid1(VALU_DEP_1)
	v_clz_i32_u32_e32 v150, v150
	v_min_u32_e32 v150, 32, v150
	s_delay_alu instid0(VALU_DEP_1) | instskip(NEXT) | instid1(VALU_DEP_1)
	v_subrev_nc_u32_e32 v160, 28, v150
	v_lshlrev_b64_e32 v[161:162], v160, v[0:1]
	v_sub_nc_u32_e32 v160, 29, v150
	s_delay_alu instid0(VALU_DEP_2)
	v_and_b32_e32 v150, 7, v161
; %bb.1900:                             ;   in Loop: Header=BB292_1062 Depth=1
	s_wait_alu 0xfffe
	s_or_b32 exec_lo, exec_lo, s16
	v_lshlrev_b32_e32 v0, 8, v151
	v_lshl_add_u32 v151, v160, 10, 0x2000
	v_lshlrev_b32_e32 v150, 23, v150
	s_delay_alu instid0(VALU_DEP_2) | instskip(NEXT) | instid1(VALU_DEP_1)
	v_and_or_b32 v0, 0x8000, v0, v151
	v_lshl_or_b32 v150, v0, 16, v150
.LBB292_1901:                           ;   in Loop: Header=BB292_1062 Depth=1
	s_wait_alu 0xfffe
	s_or_b32 exec_lo, exec_lo, s15
.LBB292_1902:                           ;   in Loop: Header=BB292_1062 Depth=1
	s_wait_alu 0xfffe
	s_or_b32 exec_lo, exec_lo, s14
.LBB292_1903:                           ;   in Loop: Header=BB292_1062 Depth=1
	s_wait_alu 0xfffe
	s_or_b32 exec_lo, exec_lo, s11
	v_lshrrev_b32_e32 v0, 16, v12
	s_mov_b32 s11, exec_lo
	s_delay_alu instid0(VALU_DEP_1) | instskip(NEXT) | instid1(VALU_DEP_1)
	v_and_b32_e32 v151, 0xff, v0
	v_cmpx_ne_u16_e64 0, v151
	s_cbranch_execz .LBB292_1911
; %bb.1904:                             ;   in Loop: Header=BB292_1062 Depth=1
	v_mov_b32_e32 v148, 0x8000
	s_mov_b32 s14, exec_lo
	v_cmpx_ne_u16_e64 0x80, v151
	s_cbranch_execz .LBB292_1910
; %bb.1905:                             ;   in Loop: Header=BB292_1062 Depth=1
	v_bfe_u32 v160, v12, 16, 7
	v_mov_b32_e32 v148, 0x7c01
	s_mov_b32 s15, exec_lo
	s_delay_alu instid0(VALU_DEP_2)
	v_cmpx_ne_u32_e32 0x7f, v160
	s_cbranch_execz .LBB292_1909
; %bb.1906:                             ;   in Loop: Header=BB292_1062 Depth=1
	v_and_b32_e32 v148, 7, v0
	v_lshrrev_b32_e32 v151, 3, v160
	s_mov_b32 s16, exec_lo
	v_cmpx_gt_u32_e32 8, v160
; %bb.1907:                             ;   in Loop: Header=BB292_1062 Depth=1
	s_delay_alu instid0(VALU_DEP_3) | instskip(NEXT) | instid1(VALU_DEP_1)
	v_clz_i32_u32_e32 v148, v148
	v_min_u32_e32 v148, 32, v148
	s_delay_alu instid0(VALU_DEP_1) | instskip(NEXT) | instid1(VALU_DEP_1)
	v_subrev_nc_u32_e32 v151, 28, v148
	v_lshlrev_b64_e32 v[160:161], v151, v[0:1]
	v_sub_nc_u32_e32 v151, 29, v148
	s_delay_alu instid0(VALU_DEP_2)
	v_and_b32_e32 v148, 7, v160
; %bb.1908:                             ;   in Loop: Header=BB292_1062 Depth=1
	s_wait_alu 0xfffe
	s_or_b32 exec_lo, exec_lo, s16
	v_lshlrev_b32_e32 v0, 8, v0
	v_lshl_add_u32 v151, v151, 10, 0x2000
	v_lshlrev_b32_e32 v148, 7, v148
	s_delay_alu instid0(VALU_DEP_3) | instskip(NEXT) | instid1(VALU_DEP_3)
	v_and_b32_e32 v0, 0x8000, v0
	v_and_b32_e32 v151, 0xfc00, v151
	s_delay_alu instid0(VALU_DEP_1)
	v_or3_b32 v148, v0, v151, v148
.LBB292_1909:                           ;   in Loop: Header=BB292_1062 Depth=1
	s_wait_alu 0xfffe
	s_or_b32 exec_lo, exec_lo, s15
.LBB292_1910:                           ;   in Loop: Header=BB292_1062 Depth=1
	s_wait_alu 0xfffe
	s_or_b32 exec_lo, exec_lo, s14
.LBB292_1911:                           ;   in Loop: Header=BB292_1062 Depth=1
	s_wait_alu 0xfffe
	s_or_b32 exec_lo, exec_lo, s11
	v_cmp_lt_u64_e64 s0, s[8:9], v[11:12]
	v_mov_b32_e32 v11, 0
	s_and_saveexec_b32 s11, s0
	s_cbranch_execz .LBB292_1919
; %bb.1912:                             ;   in Loop: Header=BB292_1062 Depth=1
	v_lshrrev_b32_e32 v0, 24, v12
	v_bfrev_b32_e32 v11, 1
	s_mov_b32 s14, exec_lo
	s_delay_alu instid0(VALU_DEP_2)
	v_cmpx_ne_u32_e32 0x80, v0
	s_cbranch_execz .LBB292_1918
; %bb.1913:                             ;   in Loop: Header=BB292_1062 Depth=1
	v_and_b32_e32 v151, 0x7f, v0
	v_mov_b32_e32 v11, 0x7c010000
	s_mov_b32 s15, exec_lo
	s_delay_alu instid0(VALU_DEP_2)
	v_cmpx_ne_u32_e32 0x7f, v151
	s_cbranch_execz .LBB292_1917
; %bb.1914:                             ;   in Loop: Header=BB292_1062 Depth=1
	v_and_b32_e32 v11, 7, v0
	v_lshrrev_b32_e32 v12, 3, v151
	s_mov_b32 s16, exec_lo
	v_cmpx_gt_u32_e32 8, v151
; %bb.1915:                             ;   in Loop: Header=BB292_1062 Depth=1
	s_delay_alu instid0(VALU_DEP_3) | instskip(NEXT) | instid1(VALU_DEP_1)
	v_clz_i32_u32_e32 v11, v11
	v_min_u32_e32 v151, 32, v11
	s_delay_alu instid0(VALU_DEP_1) | instskip(NEXT) | instid1(VALU_DEP_1)
	v_subrev_nc_u32_e32 v11, 28, v151
	v_lshlrev_b64_e32 v[11:12], v11, v[0:1]
	v_sub_nc_u32_e32 v12, 29, v151
	s_delay_alu instid0(VALU_DEP_2)
	v_and_b32_e32 v11, 7, v11
; %bb.1916:                             ;   in Loop: Header=BB292_1062 Depth=1
	s_wait_alu 0xfffe
	s_or_b32 exec_lo, exec_lo, s16
	v_lshlrev_b32_e32 v0, 8, v0
	v_lshl_add_u32 v12, v12, 10, 0x2000
	v_lshlrev_b32_e32 v11, 23, v11
	s_delay_alu instid0(VALU_DEP_2) | instskip(NEXT) | instid1(VALU_DEP_1)
	v_and_or_b32 v0, 0x8000, v0, v12
	v_lshl_or_b32 v11, v0, 16, v11
.LBB292_1917:                           ;   in Loop: Header=BB292_1062 Depth=1
	s_wait_alu 0xfffe
	s_or_b32 exec_lo, exec_lo, s15
.LBB292_1918:                           ;   in Loop: Header=BB292_1062 Depth=1
	s_wait_alu 0xfffe
	s_or_b32 exec_lo, exec_lo, s14
.LBB292_1919:                           ;   in Loop: Header=BB292_1062 Depth=1
	s_wait_alu 0xfffe
	s_or_b32 exec_lo, exec_lo, s11
	v_or_b32_e32 v0, v146, v147
	s_wait_loadcnt_dscnt 0x0
	v_fma_mixlo_f16 v12, v135, v146, 0 op_sel:[0,1,0] op_sel_hi:[0,1,0]
	v_or_b32_e32 v146, v144, v145
	v_fma_mixlo_f16 v144, v135, v144, 0 op_sel:[0,1,0] op_sel_hi:[0,1,0]
	v_or_b32_e32 v147, v150, v149
	v_or_b32_e32 v148, v11, v148
	v_fma_mixlo_f16 v149, v135, v0, 0 op_sel_hi:[0,1,0]
	v_fma_mixlo_f16 v11, v135, v11, 0 op_sel:[0,1,0] op_sel_hi:[0,1,0]
	v_lshlrev_b32_e32 v145, 16, v144
	v_fma_mixlo_f16 v144, v135, v146, 0 op_sel_hi:[0,1,0]
	v_fma_mixlo_f16 v146, v135, v150, 0 op_sel:[0,1,0] op_sel_hi:[0,1,0]
	v_fma_mixlo_f16 v147, v135, v147, 0 op_sel_hi:[0,1,0]
	v_fma_mixlo_f16 v148, v135, v148, 0 op_sel_hi:[0,1,0]
	v_lshlrev_b32_e32 v0, 16, v12
	v_and_b32_e32 v12, 0xffff, v149
	v_and_b32_e32 v151, 0xffff, v144
	v_lshlrev_b32_e32 v135, 16, v146
	v_and_b32_e32 v147, 0xffff, v147
	v_lshlrev_b32_e32 v11, 16, v11
	v_and_b32_e32 v144, 0xffff, v148
	v_or_b32_e32 v146, v0, v12
	v_or_b32_e32 v150, v145, v151
	;; [unrolled: 1-line block ×3, first 2 shown]
	s_delay_alu instid0(VALU_DEP_4)
	v_or_b32_e32 v148, v11, v144
	s_and_saveexec_b32 s11, vcc_lo
	s_cbranch_execz .LBB292_1921
; %bb.1920:                             ;   in Loop: Header=BB292_1062 Depth=1
	v_cmp_lt_i32_e64 s0, v17, v34
	s_wait_alu 0xf1ff
	s_delay_alu instid0(VALU_DEP_1) | instskip(SKIP_2) | instid1(VALU_DEP_1)
	v_cndmask_b32_e64 v146, 0, v151, s0
	v_cmp_lt_i32_e64 s0, v96, v34
	s_wait_alu 0xf1ff
	v_cndmask_b32_e64 v145, 0, v145, s0
	v_cmp_lt_i32_e64 s0, v87, v34
	s_delay_alu instid0(VALU_DEP_2) | instskip(SKIP_1) | instid1(VALU_DEP_2)
	v_or_b32_e32 v150, v146, v145
	s_wait_alu 0xf1ff
	v_cndmask_b32_e64 v12, 0, v12, s0
	v_cmp_lt_i32_e64 s0, v86, v34
	s_wait_alu 0xf1ff
	s_delay_alu instid0(VALU_DEP_1) | instskip(SKIP_1) | instid1(VALU_DEP_2)
	v_cndmask_b32_e64 v0, 0, v0, s0
	v_cmp_lt_i32_e64 s0, v85, v34
	v_or_b32_e32 v146, v12, v0
	s_wait_alu 0xf1ff
	s_delay_alu instid0(VALU_DEP_2) | instskip(SKIP_2) | instid1(VALU_DEP_1)
	v_cndmask_b32_e64 v147, 0, v147, s0
	v_cmp_lt_i32_e64 s0, v84, v34
	s_wait_alu 0xf1ff
	v_cndmask_b32_e64 v135, 0, v135, s0
	v_cmp_lt_i32_e64 s0, v83, v34
	s_delay_alu instid0(VALU_DEP_2) | instskip(SKIP_1) | instid1(VALU_DEP_2)
	v_or_b32_e32 v149, v147, v135
	s_wait_alu 0xf1ff
	v_cndmask_b32_e64 v144, 0, v144, s0
	v_cmp_lt_i32_e64 s0, v82, v34
	s_wait_alu 0xf1ff
	s_delay_alu instid0(VALU_DEP_1) | instskip(NEXT) | instid1(VALU_DEP_1)
	v_cndmask_b32_e64 v11, 0, v11, s0
	v_or_b32_e32 v148, v144, v11
.LBB292_1921:                           ;   in Loop: Header=BB292_1062 Depth=1
	s_wait_alu 0xfffe
	s_or_b32 exec_lo, exec_lo, s11
	;;#ASMSTART
	v_pk_mul_f16 v0, v81, v150;

	;;#ASMEND
	;;#ASMSTART
	v_pk_mul_f16 v11, v80, v146;

	;;#ASMEND
	;; [unrolled: 4-line block ×4, first 2 shown]
	;;#ASMSTART
	v_pk_add_f16 v0, v0, v11;

	;;#ASMEND
	;;#ASMSTART
	v_pk_add_f16 v0, v0, v12;

	;;#ASMEND
	;; [unrolled: 4-line block ×3, first 2 shown]
	v_dual_mov_b32 v146, 0 :: v_dual_and_b32 v11, 0xffff, v0
	v_lshrrev_b32_e32 v0, 16, v0
	;;#ASMSTART
	v_cvt_f32_f16 v135, v11;
	;;#ASMEND
	;;#ASMSTART
	v_cvt_f32_f16 v144, v0;
	;;#ASMEND
	flat_load_b64 v[11:12], v[9:10] offset:3328
	flat_load_b32 v145, v[26:27]
	s_mov_b32 s11, exec_lo
	s_wait_loadcnt_dscnt 0x101
	v_dual_mov_b32 v147, 0 :: v_dual_and_b32 v0, 0xff, v11
	s_delay_alu instid0(VALU_DEP_1)
	v_cmpx_ne_u16_e32 0, v0
	s_cbranch_execz .LBB292_1929
; %bb.1922:                             ;   in Loop: Header=BB292_1062 Depth=1
	v_mov_b32_e32 v147, 0x8000
	s_mov_b32 s14, exec_lo
	v_cmpx_ne_u16_e32 0x80, v0
	s_cbranch_execz .LBB292_1928
; %bb.1923:                             ;   in Loop: Header=BB292_1062 Depth=1
	v_and_b32_e32 v148, 0x7f, v11
	v_mov_b32_e32 v147, 0x7c01
	s_mov_b32 s15, exec_lo
	s_delay_alu instid0(VALU_DEP_2)
	v_cmpx_ne_u32_e32 0x7f, v148
	s_cbranch_execz .LBB292_1927
; %bb.1924:                             ;   in Loop: Header=BB292_1062 Depth=1
	v_and_b32_e32 v0, 7, v11
	v_lshrrev_b32_e32 v147, 3, v148
	s_mov_b32 s16, exec_lo
	v_cmpx_gt_u32_e32 8, v148
; %bb.1925:                             ;   in Loop: Header=BB292_1062 Depth=1
	s_delay_alu instid0(VALU_DEP_3) | instskip(NEXT) | instid1(VALU_DEP_1)
	v_clz_i32_u32_e32 v0, v0
	v_min_u32_e32 v0, 32, v0
	s_delay_alu instid0(VALU_DEP_1) | instskip(NEXT) | instid1(VALU_DEP_1)
	v_subrev_nc_u32_e32 v147, 28, v0
	v_lshlrev_b64_e32 v[148:149], v147, v[11:12]
	v_sub_nc_u32_e32 v147, 29, v0
	s_delay_alu instid0(VALU_DEP_2)
	v_and_b32_e32 v0, 7, v148
; %bb.1926:                             ;   in Loop: Header=BB292_1062 Depth=1
	s_wait_alu 0xfffe
	s_or_b32 exec_lo, exec_lo, s16
	v_lshlrev_b32_e32 v148, 8, v11
	v_lshl_add_u32 v147, v147, 10, 0x2000
	v_lshlrev_b32_e32 v0, 7, v0
	s_delay_alu instid0(VALU_DEP_3) | instskip(NEXT) | instid1(VALU_DEP_3)
	v_and_b32_e32 v148, 0x8000, v148
	v_and_b32_e32 v147, 0xfc00, v147
	s_delay_alu instid0(VALU_DEP_1)
	v_or3_b32 v147, v148, v147, v0
.LBB292_1927:                           ;   in Loop: Header=BB292_1062 Depth=1
	s_wait_alu 0xfffe
	s_or_b32 exec_lo, exec_lo, s15
.LBB292_1928:                           ;   in Loop: Header=BB292_1062 Depth=1
	s_wait_alu 0xfffe
	s_or_b32 exec_lo, exec_lo, s14
.LBB292_1929:                           ;   in Loop: Header=BB292_1062 Depth=1
	s_wait_alu 0xfffe
	s_or_b32 exec_lo, exec_lo, s11
	v_lshrrev_b16 v0, 8, v11
	s_mov_b32 s11, exec_lo
	s_delay_alu instid0(VALU_DEP_1)
	v_cmpx_ne_u16_e32 0, v0
	s_cbranch_execz .LBB292_1937
; %bb.1930:                             ;   in Loop: Header=BB292_1062 Depth=1
	v_bfrev_b32_e32 v146, 1
	s_mov_b32 s14, exec_lo
	v_cmpx_ne_u16_e32 0x80, v0
	s_cbranch_execz .LBB292_1936
; %bb.1931:                             ;   in Loop: Header=BB292_1062 Depth=1
	v_and_b32_e32 v148, 0xffff, v0
	v_mov_b32_e32 v146, 0x7c010000
	s_mov_b32 s15, exec_lo
	s_delay_alu instid0(VALU_DEP_2) | instskip(NEXT) | instid1(VALU_DEP_1)
	v_and_b32_e32 v150, 0x7f, v148
	v_cmpx_ne_u32_e32 0x7f, v150
	s_cbranch_execz .LBB292_1935
; %bb.1932:                             ;   in Loop: Header=BB292_1062 Depth=1
	v_and_b32_e32 v146, 7, v148
	v_lshrrev_b32_e32 v149, 3, v150
	s_mov_b32 s16, exec_lo
	v_cmpx_gt_u32_e32 8, v150
; %bb.1933:                             ;   in Loop: Header=BB292_1062 Depth=1
	s_delay_alu instid0(VALU_DEP_3) | instskip(NEXT) | instid1(VALU_DEP_1)
	v_clz_i32_u32_e32 v146, v146
	v_min_u32_e32 v146, 32, v146
	s_delay_alu instid0(VALU_DEP_1) | instskip(NEXT) | instid1(VALU_DEP_1)
	v_subrev_nc_u32_e32 v149, 28, v146
	v_lshlrev_b64_e32 v[150:151], v149, v[0:1]
	v_sub_nc_u32_e32 v149, 29, v146
	s_delay_alu instid0(VALU_DEP_2)
	v_and_b32_e32 v146, 7, v150
; %bb.1934:                             ;   in Loop: Header=BB292_1062 Depth=1
	s_wait_alu 0xfffe
	s_or_b32 exec_lo, exec_lo, s16
	v_lshlrev_b32_e32 v0, 8, v148
	v_lshl_add_u32 v148, v149, 10, 0x2000
	v_lshlrev_b32_e32 v146, 23, v146
	s_delay_alu instid0(VALU_DEP_2) | instskip(NEXT) | instid1(VALU_DEP_1)
	v_and_or_b32 v0, 0x8000, v0, v148
	v_lshl_or_b32 v146, v0, 16, v146
.LBB292_1935:                           ;   in Loop: Header=BB292_1062 Depth=1
	s_wait_alu 0xfffe
	s_or_b32 exec_lo, exec_lo, s15
.LBB292_1936:                           ;   in Loop: Header=BB292_1062 Depth=1
	s_wait_alu 0xfffe
	s_or_b32 exec_lo, exec_lo, s14
.LBB292_1937:                           ;   in Loop: Header=BB292_1062 Depth=1
	s_wait_alu 0xfffe
	s_or_b32 exec_lo, exec_lo, s11
	v_lshrrev_b32_e32 v0, 16, v11
	v_mov_b32_e32 v148, 0
	s_mov_b32 s11, exec_lo
	s_delay_alu instid0(VALU_DEP_2) | instskip(NEXT) | instid1(VALU_DEP_1)
	v_dual_mov_b32 v149, 0 :: v_dual_and_b32 v150, 0xff, v0
	v_cmpx_ne_u16_e64 0, v150
	s_cbranch_execz .LBB292_1945
; %bb.1938:                             ;   in Loop: Header=BB292_1062 Depth=1
	v_mov_b32_e32 v149, 0x8000
	s_mov_b32 s14, exec_lo
	v_cmpx_ne_u16_e64 0x80, v150
	s_cbranch_execz .LBB292_1944
; %bb.1939:                             ;   in Loop: Header=BB292_1062 Depth=1
	v_bfe_u32 v151, v11, 16, 7
	v_mov_b32_e32 v149, 0x7c01
	s_mov_b32 s15, exec_lo
	s_delay_alu instid0(VALU_DEP_2)
	v_cmpx_ne_u32_e32 0x7f, v151
	s_cbranch_execz .LBB292_1943
; %bb.1940:                             ;   in Loop: Header=BB292_1062 Depth=1
	v_and_b32_e32 v149, 7, v0
	v_lshrrev_b32_e32 v150, 3, v151
	s_mov_b32 s16, exec_lo
	v_cmpx_gt_u32_e32 8, v151
; %bb.1941:                             ;   in Loop: Header=BB292_1062 Depth=1
	s_delay_alu instid0(VALU_DEP_3) | instskip(NEXT) | instid1(VALU_DEP_1)
	v_clz_i32_u32_e32 v149, v149
	v_min_u32_e32 v151, 32, v149
	s_delay_alu instid0(VALU_DEP_1) | instskip(NEXT) | instid1(VALU_DEP_1)
	v_subrev_nc_u32_e32 v149, 28, v151
	v_lshlrev_b64_e32 v[149:150], v149, v[0:1]
	v_sub_nc_u32_e32 v150, 29, v151
	s_delay_alu instid0(VALU_DEP_2)
	v_and_b32_e32 v149, 7, v149
; %bb.1942:                             ;   in Loop: Header=BB292_1062 Depth=1
	s_wait_alu 0xfffe
	s_or_b32 exec_lo, exec_lo, s16
	v_lshlrev_b32_e32 v0, 8, v0
	v_lshl_add_u32 v150, v150, 10, 0x2000
	v_lshlrev_b32_e32 v149, 7, v149
	s_delay_alu instid0(VALU_DEP_3) | instskip(NEXT) | instid1(VALU_DEP_3)
	v_and_b32_e32 v0, 0x8000, v0
	v_and_b32_e32 v150, 0xfc00, v150
	s_delay_alu instid0(VALU_DEP_1)
	v_or3_b32 v149, v0, v150, v149
.LBB292_1943:                           ;   in Loop: Header=BB292_1062 Depth=1
	s_wait_alu 0xfffe
	s_or_b32 exec_lo, exec_lo, s15
.LBB292_1944:                           ;   in Loop: Header=BB292_1062 Depth=1
	s_wait_alu 0xfffe
	s_or_b32 exec_lo, exec_lo, s14
.LBB292_1945:                           ;   in Loop: Header=BB292_1062 Depth=1
	s_wait_alu 0xfffe
	s_or_b32 exec_lo, exec_lo, s11
	s_delay_alu instid0(SALU_CYCLE_1)
	s_mov_b32 s11, exec_lo
	v_cmpx_lt_u32_e32 0xffffff, v11
	s_cbranch_execz .LBB292_1953
; %bb.1946:                             ;   in Loop: Header=BB292_1062 Depth=1
	v_lshrrev_b32_e32 v0, 24, v11
	v_bfrev_b32_e32 v148, 1
	s_mov_b32 s14, exec_lo
	s_delay_alu instid0(VALU_DEP_2)
	v_cmpx_ne_u32_e32 0x80, v0
	s_cbranch_execz .LBB292_1952
; %bb.1947:                             ;   in Loop: Header=BB292_1062 Depth=1
	v_and_b32_e32 v151, 0x7f, v0
	v_mov_b32_e32 v148, 0x7c010000
	s_mov_b32 s15, exec_lo
	s_delay_alu instid0(VALU_DEP_2)
	v_cmpx_ne_u32_e32 0x7f, v151
	s_cbranch_execz .LBB292_1951
; %bb.1948:                             ;   in Loop: Header=BB292_1062 Depth=1
	v_and_b32_e32 v148, 7, v0
	v_lshrrev_b32_e32 v150, 3, v151
	s_mov_b32 s16, exec_lo
	v_cmpx_gt_u32_e32 8, v151
; %bb.1949:                             ;   in Loop: Header=BB292_1062 Depth=1
	s_delay_alu instid0(VALU_DEP_3) | instskip(NEXT) | instid1(VALU_DEP_1)
	v_clz_i32_u32_e32 v148, v148
	v_min_u32_e32 v148, 32, v148
	s_delay_alu instid0(VALU_DEP_1) | instskip(NEXT) | instid1(VALU_DEP_1)
	v_subrev_nc_u32_e32 v150, 28, v148
	v_lshlrev_b64_e32 v[160:161], v150, v[0:1]
	v_sub_nc_u32_e32 v150, 29, v148
	s_delay_alu instid0(VALU_DEP_2)
	v_and_b32_e32 v148, 7, v160
; %bb.1950:                             ;   in Loop: Header=BB292_1062 Depth=1
	s_wait_alu 0xfffe
	s_or_b32 exec_lo, exec_lo, s16
	v_lshlrev_b32_e32 v0, 8, v0
	v_lshl_add_u32 v150, v150, 10, 0x2000
	v_lshlrev_b32_e32 v148, 23, v148
	s_delay_alu instid0(VALU_DEP_2) | instskip(NEXT) | instid1(VALU_DEP_1)
	v_and_or_b32 v0, 0x8000, v0, v150
	v_lshl_or_b32 v148, v0, 16, v148
.LBB292_1951:                           ;   in Loop: Header=BB292_1062 Depth=1
	s_wait_alu 0xfffe
	s_or_b32 exec_lo, exec_lo, s15
.LBB292_1952:                           ;   in Loop: Header=BB292_1062 Depth=1
	s_wait_alu 0xfffe
	s_or_b32 exec_lo, exec_lo, s14
.LBB292_1953:                           ;   in Loop: Header=BB292_1062 Depth=1
	s_wait_alu 0xfffe
	s_or_b32 exec_lo, exec_lo, s11
	v_dual_mov_b32 v151, 0 :: v_dual_and_b32 v160, 0xff, v12
	v_mov_b32_e32 v0, v12
	v_mov_b32_e32 v150, 0
	s_mov_b32 s11, exec_lo
	s_delay_alu instid0(VALU_DEP_3)
	v_cmpx_ne_u16_e64 0, v160
	s_cbranch_execz .LBB292_1961
; %bb.1954:                             ;   in Loop: Header=BB292_1062 Depth=1
	v_mov_b32_e32 v151, 0x8000
	s_mov_b32 s14, exec_lo
	v_cmpx_ne_u16_e64 0x80, v160
	s_cbranch_execz .LBB292_1960
; %bb.1955:                             ;   in Loop: Header=BB292_1062 Depth=1
	v_and_b32_e32 v161, 0x7f, v12
	v_mov_b32_e32 v151, 0x7c01
	s_mov_b32 s15, exec_lo
	s_delay_alu instid0(VALU_DEP_2)
	v_cmpx_ne_u32_e32 0x7f, v161
	s_cbranch_execz .LBB292_1959
; %bb.1956:                             ;   in Loop: Header=BB292_1062 Depth=1
	v_and_b32_e32 v151, 7, v12
	v_lshrrev_b32_e32 v160, 3, v161
	s_mov_b32 s16, exec_lo
	v_cmpx_gt_u32_e32 8, v161
; %bb.1957:                             ;   in Loop: Header=BB292_1062 Depth=1
	s_delay_alu instid0(VALU_DEP_3) | instskip(NEXT) | instid1(VALU_DEP_1)
	v_clz_i32_u32_e32 v151, v151
	v_min_u32_e32 v151, 32, v151
	s_delay_alu instid0(VALU_DEP_1) | instskip(NEXT) | instid1(VALU_DEP_1)
	v_subrev_nc_u32_e32 v160, 28, v151
	v_lshlrev_b64_e32 v[161:162], v160, v[0:1]
	v_sub_nc_u32_e32 v160, 29, v151
	s_delay_alu instid0(VALU_DEP_2)
	v_and_b32_e32 v151, 7, v161
; %bb.1958:                             ;   in Loop: Header=BB292_1062 Depth=1
	s_wait_alu 0xfffe
	s_or_b32 exec_lo, exec_lo, s16
	v_lshlrev_b32_e32 v161, 8, v12
	v_lshl_add_u32 v160, v160, 10, 0x2000
	v_lshlrev_b32_e32 v151, 7, v151
	s_delay_alu instid0(VALU_DEP_3) | instskip(NEXT) | instid1(VALU_DEP_3)
	v_and_b32_e32 v161, 0x8000, v161
	v_and_b32_e32 v160, 0xfc00, v160
	s_delay_alu instid0(VALU_DEP_1)
	v_or3_b32 v151, v161, v160, v151
.LBB292_1959:                           ;   in Loop: Header=BB292_1062 Depth=1
	s_wait_alu 0xfffe
	s_or_b32 exec_lo, exec_lo, s15
.LBB292_1960:                           ;   in Loop: Header=BB292_1062 Depth=1
	s_wait_alu 0xfffe
	s_or_b32 exec_lo, exec_lo, s14
.LBB292_1961:                           ;   in Loop: Header=BB292_1062 Depth=1
	s_wait_alu 0xfffe
	s_or_b32 exec_lo, exec_lo, s11
	v_lshrrev_b16 v0, 8, v0
	v_mov_b32_e32 v160, 0
	s_mov_b32 s11, exec_lo
	s_delay_alu instid0(VALU_DEP_2)
	v_cmpx_ne_u16_e32 0, v0
	s_cbranch_execz .LBB292_1969
; %bb.1962:                             ;   in Loop: Header=BB292_1062 Depth=1
	v_bfrev_b32_e32 v160, 1
	s_mov_b32 s14, exec_lo
	v_cmpx_ne_u16_e32 0x80, v0
	s_cbranch_execz .LBB292_1968
; %bb.1963:                             ;   in Loop: Header=BB292_1062 Depth=1
	v_and_b32_e32 v161, 0xffff, v0
	v_mov_b32_e32 v160, 0x7c010000
	s_mov_b32 s15, exec_lo
	s_delay_alu instid0(VALU_DEP_2) | instskip(NEXT) | instid1(VALU_DEP_1)
	v_and_b32_e32 v163, 0x7f, v161
	v_cmpx_ne_u32_e32 0x7f, v163
	s_cbranch_execz .LBB292_1967
; %bb.1964:                             ;   in Loop: Header=BB292_1062 Depth=1
	v_and_b32_e32 v160, 7, v161
	v_lshrrev_b32_e32 v162, 3, v163
	s_mov_b32 s16, exec_lo
	v_cmpx_gt_u32_e32 8, v163
; %bb.1965:                             ;   in Loop: Header=BB292_1062 Depth=1
	s_delay_alu instid0(VALU_DEP_3) | instskip(NEXT) | instid1(VALU_DEP_1)
	v_clz_i32_u32_e32 v160, v160
	v_min_u32_e32 v160, 32, v160
	s_delay_alu instid0(VALU_DEP_1) | instskip(NEXT) | instid1(VALU_DEP_1)
	v_subrev_nc_u32_e32 v162, 28, v160
	v_lshlrev_b64_e32 v[163:164], v162, v[0:1]
	v_sub_nc_u32_e32 v162, 29, v160
	s_delay_alu instid0(VALU_DEP_2)
	v_and_b32_e32 v160, 7, v163
; %bb.1966:                             ;   in Loop: Header=BB292_1062 Depth=1
	s_wait_alu 0xfffe
	s_or_b32 exec_lo, exec_lo, s16
	v_lshlrev_b32_e32 v0, 8, v161
	v_lshl_add_u32 v161, v162, 10, 0x2000
	v_lshlrev_b32_e32 v160, 23, v160
	s_delay_alu instid0(VALU_DEP_2) | instskip(NEXT) | instid1(VALU_DEP_1)
	v_and_or_b32 v0, 0x8000, v0, v161
	v_lshl_or_b32 v160, v0, 16, v160
.LBB292_1967:                           ;   in Loop: Header=BB292_1062 Depth=1
	s_wait_alu 0xfffe
	s_or_b32 exec_lo, exec_lo, s15
.LBB292_1968:                           ;   in Loop: Header=BB292_1062 Depth=1
	s_wait_alu 0xfffe
	s_or_b32 exec_lo, exec_lo, s14
.LBB292_1969:                           ;   in Loop: Header=BB292_1062 Depth=1
	s_wait_alu 0xfffe
	s_or_b32 exec_lo, exec_lo, s11
	v_lshrrev_b32_e32 v0, 16, v12
	s_mov_b32 s11, exec_lo
	s_delay_alu instid0(VALU_DEP_1) | instskip(NEXT) | instid1(VALU_DEP_1)
	v_and_b32_e32 v161, 0xff, v0
	v_cmpx_ne_u16_e64 0, v161
	s_cbranch_execz .LBB292_1977
; %bb.1970:                             ;   in Loop: Header=BB292_1062 Depth=1
	v_mov_b32_e32 v150, 0x8000
	s_mov_b32 s14, exec_lo
	v_cmpx_ne_u16_e64 0x80, v161
	s_cbranch_execz .LBB292_1976
; %bb.1971:                             ;   in Loop: Header=BB292_1062 Depth=1
	v_bfe_u32 v162, v12, 16, 7
	v_mov_b32_e32 v150, 0x7c01
	s_mov_b32 s15, exec_lo
	s_delay_alu instid0(VALU_DEP_2)
	v_cmpx_ne_u32_e32 0x7f, v162
	s_cbranch_execz .LBB292_1975
; %bb.1972:                             ;   in Loop: Header=BB292_1062 Depth=1
	v_and_b32_e32 v150, 7, v0
	v_lshrrev_b32_e32 v161, 3, v162
	s_mov_b32 s16, exec_lo
	v_cmpx_gt_u32_e32 8, v162
; %bb.1973:                             ;   in Loop: Header=BB292_1062 Depth=1
	s_delay_alu instid0(VALU_DEP_3) | instskip(NEXT) | instid1(VALU_DEP_1)
	v_clz_i32_u32_e32 v150, v150
	v_min_u32_e32 v150, 32, v150
	s_delay_alu instid0(VALU_DEP_1) | instskip(NEXT) | instid1(VALU_DEP_1)
	v_subrev_nc_u32_e32 v161, 28, v150
	v_lshlrev_b64_e32 v[162:163], v161, v[0:1]
	v_sub_nc_u32_e32 v161, 29, v150
	s_delay_alu instid0(VALU_DEP_2)
	v_and_b32_e32 v150, 7, v162
; %bb.1974:                             ;   in Loop: Header=BB292_1062 Depth=1
	s_wait_alu 0xfffe
	s_or_b32 exec_lo, exec_lo, s16
	v_lshlrev_b32_e32 v0, 8, v0
	v_lshl_add_u32 v161, v161, 10, 0x2000
	v_lshlrev_b32_e32 v150, 7, v150
	s_delay_alu instid0(VALU_DEP_3) | instskip(NEXT) | instid1(VALU_DEP_3)
	v_and_b32_e32 v0, 0x8000, v0
	v_and_b32_e32 v161, 0xfc00, v161
	s_delay_alu instid0(VALU_DEP_1)
	v_or3_b32 v150, v0, v161, v150
.LBB292_1975:                           ;   in Loop: Header=BB292_1062 Depth=1
	s_wait_alu 0xfffe
	s_or_b32 exec_lo, exec_lo, s15
.LBB292_1976:                           ;   in Loop: Header=BB292_1062 Depth=1
	s_wait_alu 0xfffe
	s_or_b32 exec_lo, exec_lo, s14
.LBB292_1977:                           ;   in Loop: Header=BB292_1062 Depth=1
	s_wait_alu 0xfffe
	s_or_b32 exec_lo, exec_lo, s11
	v_cmp_lt_u64_e64 s0, s[8:9], v[11:12]
	v_mov_b32_e32 v11, 0
	s_and_saveexec_b32 s11, s0
	s_cbranch_execz .LBB292_1985
; %bb.1978:                             ;   in Loop: Header=BB292_1062 Depth=1
	v_lshrrev_b32_e32 v0, 24, v12
	v_bfrev_b32_e32 v11, 1
	s_mov_b32 s14, exec_lo
	s_delay_alu instid0(VALU_DEP_2)
	v_cmpx_ne_u32_e32 0x80, v0
	s_cbranch_execz .LBB292_1984
; %bb.1979:                             ;   in Loop: Header=BB292_1062 Depth=1
	v_and_b32_e32 v161, 0x7f, v0
	v_mov_b32_e32 v11, 0x7c010000
	s_mov_b32 s15, exec_lo
	s_delay_alu instid0(VALU_DEP_2)
	v_cmpx_ne_u32_e32 0x7f, v161
	s_cbranch_execz .LBB292_1983
; %bb.1980:                             ;   in Loop: Header=BB292_1062 Depth=1
	v_and_b32_e32 v11, 7, v0
	v_lshrrev_b32_e32 v12, 3, v161
	s_mov_b32 s16, exec_lo
	v_cmpx_gt_u32_e32 8, v161
; %bb.1981:                             ;   in Loop: Header=BB292_1062 Depth=1
	s_delay_alu instid0(VALU_DEP_3) | instskip(NEXT) | instid1(VALU_DEP_1)
	v_clz_i32_u32_e32 v11, v11
	v_min_u32_e32 v161, 32, v11
	s_delay_alu instid0(VALU_DEP_1) | instskip(NEXT) | instid1(VALU_DEP_1)
	v_subrev_nc_u32_e32 v11, 28, v161
	v_lshlrev_b64_e32 v[11:12], v11, v[0:1]
	v_sub_nc_u32_e32 v12, 29, v161
	s_delay_alu instid0(VALU_DEP_2)
	v_and_b32_e32 v11, 7, v11
; %bb.1982:                             ;   in Loop: Header=BB292_1062 Depth=1
	s_wait_alu 0xfffe
	s_or_b32 exec_lo, exec_lo, s16
	v_lshlrev_b32_e32 v0, 8, v0
	v_lshl_add_u32 v12, v12, 10, 0x2000
	v_lshlrev_b32_e32 v11, 23, v11
	s_delay_alu instid0(VALU_DEP_2) | instskip(NEXT) | instid1(VALU_DEP_1)
	v_and_or_b32 v0, 0x8000, v0, v12
	v_lshl_or_b32 v11, v0, 16, v11
.LBB292_1983:                           ;   in Loop: Header=BB292_1062 Depth=1
	s_wait_alu 0xfffe
	s_or_b32 exec_lo, exec_lo, s15
.LBB292_1984:                           ;   in Loop: Header=BB292_1062 Depth=1
	s_wait_alu 0xfffe
	s_or_b32 exec_lo, exec_lo, s14
.LBB292_1985:                           ;   in Loop: Header=BB292_1062 Depth=1
	s_wait_alu 0xfffe
	s_or_b32 exec_lo, exec_lo, s11
	v_or_b32_e32 v0, v148, v149
	s_wait_loadcnt_dscnt 0x0
	v_fma_mixlo_f16 v12, v145, v148, 0 op_sel:[0,1,0] op_sel_hi:[0,1,0]
	v_or_b32_e32 v148, v146, v147
	v_fma_mixlo_f16 v146, v145, v146, 0 op_sel:[0,1,0] op_sel_hi:[0,1,0]
	v_or_b32_e32 v149, v160, v151
	v_or_b32_e32 v150, v11, v150
	v_fma_mixlo_f16 v151, v145, v0, 0 op_sel_hi:[0,1,0]
	v_fma_mixlo_f16 v11, v145, v11, 0 op_sel:[0,1,0] op_sel_hi:[0,1,0]
	v_lshlrev_b32_e32 v147, 16, v146
	v_fma_mixlo_f16 v146, v145, v148, 0 op_sel_hi:[0,1,0]
	v_fma_mixlo_f16 v148, v145, v160, 0 op_sel:[0,1,0] op_sel_hi:[0,1,0]
	v_fma_mixlo_f16 v149, v145, v149, 0 op_sel_hi:[0,1,0]
	v_fma_mixlo_f16 v150, v145, v150, 0 op_sel_hi:[0,1,0]
	v_lshlrev_b32_e32 v0, 16, v12
	v_and_b32_e32 v12, 0xffff, v151
	v_and_b32_e32 v161, 0xffff, v146
	v_lshlrev_b32_e32 v145, 16, v148
	v_and_b32_e32 v149, 0xffff, v149
	v_lshlrev_b32_e32 v11, 16, v11
	v_and_b32_e32 v146, 0xffff, v150
	v_or_b32_e32 v148, v0, v12
	v_or_b32_e32 v160, v147, v161
	;; [unrolled: 1-line block ×3, first 2 shown]
	s_delay_alu instid0(VALU_DEP_4)
	v_or_b32_e32 v150, v11, v146
	s_and_saveexec_b32 s11, vcc_lo
	s_cbranch_execz .LBB292_1987
; %bb.1986:                             ;   in Loop: Header=BB292_1062 Depth=1
	v_cmp_lt_i32_e64 s0, v17, v34
	s_wait_alu 0xf1ff
	s_delay_alu instid0(VALU_DEP_1) | instskip(SKIP_2) | instid1(VALU_DEP_1)
	v_cndmask_b32_e64 v148, 0, v161, s0
	v_cmp_lt_i32_e64 s0, v96, v34
	s_wait_alu 0xf1ff
	v_cndmask_b32_e64 v147, 0, v147, s0
	v_cmp_lt_i32_e64 s0, v87, v34
	s_delay_alu instid0(VALU_DEP_2) | instskip(SKIP_1) | instid1(VALU_DEP_2)
	v_or_b32_e32 v160, v148, v147
	s_wait_alu 0xf1ff
	v_cndmask_b32_e64 v12, 0, v12, s0
	v_cmp_lt_i32_e64 s0, v86, v34
	s_wait_alu 0xf1ff
	s_delay_alu instid0(VALU_DEP_1) | instskip(SKIP_1) | instid1(VALU_DEP_2)
	v_cndmask_b32_e64 v0, 0, v0, s0
	v_cmp_lt_i32_e64 s0, v85, v34
	v_or_b32_e32 v148, v12, v0
	s_wait_alu 0xf1ff
	s_delay_alu instid0(VALU_DEP_2) | instskip(SKIP_2) | instid1(VALU_DEP_1)
	v_cndmask_b32_e64 v149, 0, v149, s0
	v_cmp_lt_i32_e64 s0, v84, v34
	s_wait_alu 0xf1ff
	v_cndmask_b32_e64 v145, 0, v145, s0
	v_cmp_lt_i32_e64 s0, v83, v34
	s_delay_alu instid0(VALU_DEP_2) | instskip(SKIP_1) | instid1(VALU_DEP_2)
	v_or_b32_e32 v151, v149, v145
	s_wait_alu 0xf1ff
	v_cndmask_b32_e64 v146, 0, v146, s0
	v_cmp_lt_i32_e64 s0, v82, v34
	s_wait_alu 0xf1ff
	s_delay_alu instid0(VALU_DEP_1) | instskip(NEXT) | instid1(VALU_DEP_1)
	v_cndmask_b32_e64 v11, 0, v11, s0
	v_or_b32_e32 v150, v146, v11
.LBB292_1987:                           ;   in Loop: Header=BB292_1062 Depth=1
	s_wait_alu 0xfffe
	s_or_b32 exec_lo, exec_lo, s11
	;;#ASMSTART
	v_pk_mul_f16 v0, v81, v160;

	;;#ASMEND
	;;#ASMSTART
	v_pk_mul_f16 v11, v80, v148;

	;;#ASMEND
	;; [unrolled: 4-line block ×4, first 2 shown]
	;;#ASMSTART
	v_pk_add_f16 v0, v0, v11;

	;;#ASMEND
	;;#ASMSTART
	v_pk_add_f16 v0, v0, v12;

	;;#ASMEND
	;;#ASMSTART
	v_pk_add_f16 v0, v0, v145;

	;;#ASMEND
	v_dual_mov_b32 v148, 0 :: v_dual_and_b32 v11, 0xffff, v0
	v_lshrrev_b32_e32 v0, 16, v0
	;;#ASMSTART
	v_cvt_f32_f16 v145, v11;
	;;#ASMEND
	;;#ASMSTART
	v_cvt_f32_f16 v146, v0;
	;;#ASMEND
	flat_load_b64 v[11:12], v[9:10] offset:3584
	flat_load_b32 v147, v[26:27]
	s_mov_b32 s11, exec_lo
	s_wait_loadcnt_dscnt 0x101
	v_dual_mov_b32 v149, 0 :: v_dual_and_b32 v0, 0xff, v11
	s_delay_alu instid0(VALU_DEP_1)
	v_cmpx_ne_u16_e32 0, v0
	s_cbranch_execz .LBB292_1995
; %bb.1988:                             ;   in Loop: Header=BB292_1062 Depth=1
	v_mov_b32_e32 v149, 0x8000
	s_mov_b32 s14, exec_lo
	v_cmpx_ne_u16_e32 0x80, v0
	s_cbranch_execz .LBB292_1994
; %bb.1989:                             ;   in Loop: Header=BB292_1062 Depth=1
	v_and_b32_e32 v150, 0x7f, v11
	v_mov_b32_e32 v149, 0x7c01
	s_mov_b32 s15, exec_lo
	s_delay_alu instid0(VALU_DEP_2)
	v_cmpx_ne_u32_e32 0x7f, v150
	s_cbranch_execz .LBB292_1993
; %bb.1990:                             ;   in Loop: Header=BB292_1062 Depth=1
	v_and_b32_e32 v0, 7, v11
	v_lshrrev_b32_e32 v149, 3, v150
	s_mov_b32 s16, exec_lo
	v_cmpx_gt_u32_e32 8, v150
; %bb.1991:                             ;   in Loop: Header=BB292_1062 Depth=1
	s_delay_alu instid0(VALU_DEP_3) | instskip(NEXT) | instid1(VALU_DEP_1)
	v_clz_i32_u32_e32 v0, v0
	v_min_u32_e32 v0, 32, v0
	s_delay_alu instid0(VALU_DEP_1) | instskip(NEXT) | instid1(VALU_DEP_1)
	v_subrev_nc_u32_e32 v149, 28, v0
	v_lshlrev_b64_e32 v[150:151], v149, v[11:12]
	v_sub_nc_u32_e32 v149, 29, v0
	s_delay_alu instid0(VALU_DEP_2)
	v_and_b32_e32 v0, 7, v150
; %bb.1992:                             ;   in Loop: Header=BB292_1062 Depth=1
	s_wait_alu 0xfffe
	s_or_b32 exec_lo, exec_lo, s16
	v_lshlrev_b32_e32 v150, 8, v11
	v_lshl_add_u32 v149, v149, 10, 0x2000
	v_lshlrev_b32_e32 v0, 7, v0
	s_delay_alu instid0(VALU_DEP_3) | instskip(NEXT) | instid1(VALU_DEP_3)
	v_and_b32_e32 v150, 0x8000, v150
	v_and_b32_e32 v149, 0xfc00, v149
	s_delay_alu instid0(VALU_DEP_1)
	v_or3_b32 v149, v150, v149, v0
.LBB292_1993:                           ;   in Loop: Header=BB292_1062 Depth=1
	s_wait_alu 0xfffe
	s_or_b32 exec_lo, exec_lo, s15
.LBB292_1994:                           ;   in Loop: Header=BB292_1062 Depth=1
	s_wait_alu 0xfffe
	s_or_b32 exec_lo, exec_lo, s14
.LBB292_1995:                           ;   in Loop: Header=BB292_1062 Depth=1
	s_wait_alu 0xfffe
	s_or_b32 exec_lo, exec_lo, s11
	v_lshrrev_b16 v0, 8, v11
	s_mov_b32 s11, exec_lo
	s_delay_alu instid0(VALU_DEP_1)
	v_cmpx_ne_u16_e32 0, v0
	s_cbranch_execz .LBB292_2003
; %bb.1996:                             ;   in Loop: Header=BB292_1062 Depth=1
	v_bfrev_b32_e32 v148, 1
	s_mov_b32 s14, exec_lo
	v_cmpx_ne_u16_e32 0x80, v0
	s_cbranch_execz .LBB292_2002
; %bb.1997:                             ;   in Loop: Header=BB292_1062 Depth=1
	v_and_b32_e32 v150, 0xffff, v0
	v_mov_b32_e32 v148, 0x7c010000
	s_mov_b32 s15, exec_lo
	s_delay_alu instid0(VALU_DEP_2) | instskip(NEXT) | instid1(VALU_DEP_1)
	v_and_b32_e32 v160, 0x7f, v150
	v_cmpx_ne_u32_e32 0x7f, v160
	s_cbranch_execz .LBB292_2001
; %bb.1998:                             ;   in Loop: Header=BB292_1062 Depth=1
	v_and_b32_e32 v148, 7, v150
	v_lshrrev_b32_e32 v151, 3, v160
	s_mov_b32 s16, exec_lo
	v_cmpx_gt_u32_e32 8, v160
; %bb.1999:                             ;   in Loop: Header=BB292_1062 Depth=1
	s_delay_alu instid0(VALU_DEP_3) | instskip(NEXT) | instid1(VALU_DEP_1)
	v_clz_i32_u32_e32 v148, v148
	v_min_u32_e32 v148, 32, v148
	s_delay_alu instid0(VALU_DEP_1) | instskip(NEXT) | instid1(VALU_DEP_1)
	v_subrev_nc_u32_e32 v151, 28, v148
	v_lshlrev_b64_e32 v[160:161], v151, v[0:1]
	v_sub_nc_u32_e32 v151, 29, v148
	s_delay_alu instid0(VALU_DEP_2)
	v_and_b32_e32 v148, 7, v160
; %bb.2000:                             ;   in Loop: Header=BB292_1062 Depth=1
	s_wait_alu 0xfffe
	s_or_b32 exec_lo, exec_lo, s16
	v_lshlrev_b32_e32 v0, 8, v150
	v_lshl_add_u32 v150, v151, 10, 0x2000
	v_lshlrev_b32_e32 v148, 23, v148
	s_delay_alu instid0(VALU_DEP_2) | instskip(NEXT) | instid1(VALU_DEP_1)
	v_and_or_b32 v0, 0x8000, v0, v150
	v_lshl_or_b32 v148, v0, 16, v148
.LBB292_2001:                           ;   in Loop: Header=BB292_1062 Depth=1
	s_wait_alu 0xfffe
	s_or_b32 exec_lo, exec_lo, s15
.LBB292_2002:                           ;   in Loop: Header=BB292_1062 Depth=1
	s_wait_alu 0xfffe
	s_or_b32 exec_lo, exec_lo, s14
.LBB292_2003:                           ;   in Loop: Header=BB292_1062 Depth=1
	s_wait_alu 0xfffe
	s_or_b32 exec_lo, exec_lo, s11
	v_lshrrev_b32_e32 v0, 16, v11
	v_mov_b32_e32 v150, 0
	s_mov_b32 s11, exec_lo
	s_delay_alu instid0(VALU_DEP_2) | instskip(NEXT) | instid1(VALU_DEP_1)
	v_dual_mov_b32 v151, 0 :: v_dual_and_b32 v160, 0xff, v0
	v_cmpx_ne_u16_e64 0, v160
	s_cbranch_execz .LBB292_2011
; %bb.2004:                             ;   in Loop: Header=BB292_1062 Depth=1
	v_mov_b32_e32 v151, 0x8000
	s_mov_b32 s14, exec_lo
	v_cmpx_ne_u16_e64 0x80, v160
	s_cbranch_execz .LBB292_2010
; %bb.2005:                             ;   in Loop: Header=BB292_1062 Depth=1
	v_bfe_u32 v161, v11, 16, 7
	v_mov_b32_e32 v151, 0x7c01
	s_mov_b32 s15, exec_lo
	s_delay_alu instid0(VALU_DEP_2)
	v_cmpx_ne_u32_e32 0x7f, v161
	s_cbranch_execz .LBB292_2009
; %bb.2006:                             ;   in Loop: Header=BB292_1062 Depth=1
	v_and_b32_e32 v151, 7, v0
	v_lshrrev_b32_e32 v160, 3, v161
	s_mov_b32 s16, exec_lo
	v_cmpx_gt_u32_e32 8, v161
; %bb.2007:                             ;   in Loop: Header=BB292_1062 Depth=1
	s_delay_alu instid0(VALU_DEP_3) | instskip(NEXT) | instid1(VALU_DEP_1)
	v_clz_i32_u32_e32 v151, v151
	v_min_u32_e32 v151, 32, v151
	s_delay_alu instid0(VALU_DEP_1) | instskip(NEXT) | instid1(VALU_DEP_1)
	v_subrev_nc_u32_e32 v160, 28, v151
	v_lshlrev_b64_e32 v[161:162], v160, v[0:1]
	v_sub_nc_u32_e32 v160, 29, v151
	s_delay_alu instid0(VALU_DEP_2)
	v_and_b32_e32 v151, 7, v161
; %bb.2008:                             ;   in Loop: Header=BB292_1062 Depth=1
	s_wait_alu 0xfffe
	s_or_b32 exec_lo, exec_lo, s16
	v_lshlrev_b32_e32 v0, 8, v0
	v_lshl_add_u32 v160, v160, 10, 0x2000
	v_lshlrev_b32_e32 v151, 7, v151
	s_delay_alu instid0(VALU_DEP_3) | instskip(NEXT) | instid1(VALU_DEP_3)
	v_and_b32_e32 v0, 0x8000, v0
	v_and_b32_e32 v160, 0xfc00, v160
	s_delay_alu instid0(VALU_DEP_1)
	v_or3_b32 v151, v0, v160, v151
.LBB292_2009:                           ;   in Loop: Header=BB292_1062 Depth=1
	s_wait_alu 0xfffe
	s_or_b32 exec_lo, exec_lo, s15
.LBB292_2010:                           ;   in Loop: Header=BB292_1062 Depth=1
	s_wait_alu 0xfffe
	s_or_b32 exec_lo, exec_lo, s14
.LBB292_2011:                           ;   in Loop: Header=BB292_1062 Depth=1
	s_wait_alu 0xfffe
	s_or_b32 exec_lo, exec_lo, s11
	s_delay_alu instid0(SALU_CYCLE_1)
	s_mov_b32 s11, exec_lo
	v_cmpx_lt_u32_e32 0xffffff, v11
	s_cbranch_execz .LBB292_2019
; %bb.2012:                             ;   in Loop: Header=BB292_1062 Depth=1
	v_lshrrev_b32_e32 v0, 24, v11
	v_bfrev_b32_e32 v150, 1
	s_mov_b32 s14, exec_lo
	s_delay_alu instid0(VALU_DEP_2)
	v_cmpx_ne_u32_e32 0x80, v0
	s_cbranch_execz .LBB292_2018
; %bb.2013:                             ;   in Loop: Header=BB292_1062 Depth=1
	v_and_b32_e32 v161, 0x7f, v0
	v_mov_b32_e32 v150, 0x7c010000
	s_mov_b32 s15, exec_lo
	s_delay_alu instid0(VALU_DEP_2)
	v_cmpx_ne_u32_e32 0x7f, v161
	s_cbranch_execz .LBB292_2017
; %bb.2014:                             ;   in Loop: Header=BB292_1062 Depth=1
	v_and_b32_e32 v150, 7, v0
	v_lshrrev_b32_e32 v160, 3, v161
	s_mov_b32 s16, exec_lo
	v_cmpx_gt_u32_e32 8, v161
; %bb.2015:                             ;   in Loop: Header=BB292_1062 Depth=1
	s_delay_alu instid0(VALU_DEP_3) | instskip(NEXT) | instid1(VALU_DEP_1)
	v_clz_i32_u32_e32 v150, v150
	v_min_u32_e32 v150, 32, v150
	s_delay_alu instid0(VALU_DEP_1) | instskip(NEXT) | instid1(VALU_DEP_1)
	v_subrev_nc_u32_e32 v160, 28, v150
	v_lshlrev_b64_e32 v[161:162], v160, v[0:1]
	v_sub_nc_u32_e32 v160, 29, v150
	s_delay_alu instid0(VALU_DEP_2)
	v_and_b32_e32 v150, 7, v161
; %bb.2016:                             ;   in Loop: Header=BB292_1062 Depth=1
	s_wait_alu 0xfffe
	s_or_b32 exec_lo, exec_lo, s16
	v_lshlrev_b32_e32 v0, 8, v0
	v_lshl_add_u32 v160, v160, 10, 0x2000
	v_lshlrev_b32_e32 v150, 23, v150
	s_delay_alu instid0(VALU_DEP_2) | instskip(NEXT) | instid1(VALU_DEP_1)
	v_and_or_b32 v0, 0x8000, v0, v160
	v_lshl_or_b32 v150, v0, 16, v150
.LBB292_2017:                           ;   in Loop: Header=BB292_1062 Depth=1
	s_wait_alu 0xfffe
	s_or_b32 exec_lo, exec_lo, s15
.LBB292_2018:                           ;   in Loop: Header=BB292_1062 Depth=1
	s_wait_alu 0xfffe
	s_or_b32 exec_lo, exec_lo, s14
.LBB292_2019:                           ;   in Loop: Header=BB292_1062 Depth=1
	s_wait_alu 0xfffe
	s_or_b32 exec_lo, exec_lo, s11
	v_dual_mov_b32 v161, 0 :: v_dual_and_b32 v162, 0xff, v12
	v_mov_b32_e32 v0, v12
	v_mov_b32_e32 v160, 0
	s_mov_b32 s11, exec_lo
	s_delay_alu instid0(VALU_DEP_3)
	v_cmpx_ne_u16_e64 0, v162
	s_cbranch_execz .LBB292_2027
; %bb.2020:                             ;   in Loop: Header=BB292_1062 Depth=1
	v_mov_b32_e32 v161, 0x8000
	s_mov_b32 s14, exec_lo
	v_cmpx_ne_u16_e64 0x80, v162
	s_cbranch_execz .LBB292_2026
; %bb.2021:                             ;   in Loop: Header=BB292_1062 Depth=1
	v_and_b32_e32 v163, 0x7f, v12
	v_mov_b32_e32 v161, 0x7c01
	s_mov_b32 s15, exec_lo
	s_delay_alu instid0(VALU_DEP_2)
	v_cmpx_ne_u32_e32 0x7f, v163
	s_cbranch_execz .LBB292_2025
; %bb.2022:                             ;   in Loop: Header=BB292_1062 Depth=1
	v_and_b32_e32 v161, 7, v12
	v_lshrrev_b32_e32 v162, 3, v163
	s_mov_b32 s16, exec_lo
	v_cmpx_gt_u32_e32 8, v163
; %bb.2023:                             ;   in Loop: Header=BB292_1062 Depth=1
	s_delay_alu instid0(VALU_DEP_3) | instskip(NEXT) | instid1(VALU_DEP_1)
	v_clz_i32_u32_e32 v161, v161
	v_min_u32_e32 v163, 32, v161
	s_delay_alu instid0(VALU_DEP_1) | instskip(NEXT) | instid1(VALU_DEP_1)
	v_subrev_nc_u32_e32 v161, 28, v163
	v_lshlrev_b64_e32 v[161:162], v161, v[0:1]
	v_sub_nc_u32_e32 v162, 29, v163
	s_delay_alu instid0(VALU_DEP_2)
	v_and_b32_e32 v161, 7, v161
; %bb.2024:                             ;   in Loop: Header=BB292_1062 Depth=1
	s_wait_alu 0xfffe
	s_or_b32 exec_lo, exec_lo, s16
	v_lshlrev_b32_e32 v163, 8, v12
	v_lshl_add_u32 v162, v162, 10, 0x2000
	v_lshlrev_b32_e32 v161, 7, v161
	s_delay_alu instid0(VALU_DEP_3) | instskip(NEXT) | instid1(VALU_DEP_3)
	v_and_b32_e32 v163, 0x8000, v163
	v_and_b32_e32 v162, 0xfc00, v162
	s_delay_alu instid0(VALU_DEP_1)
	v_or3_b32 v161, v163, v162, v161
.LBB292_2025:                           ;   in Loop: Header=BB292_1062 Depth=1
	s_wait_alu 0xfffe
	s_or_b32 exec_lo, exec_lo, s15
.LBB292_2026:                           ;   in Loop: Header=BB292_1062 Depth=1
	s_wait_alu 0xfffe
	s_or_b32 exec_lo, exec_lo, s14
.LBB292_2027:                           ;   in Loop: Header=BB292_1062 Depth=1
	s_wait_alu 0xfffe
	s_or_b32 exec_lo, exec_lo, s11
	v_lshrrev_b16 v0, 8, v0
	v_mov_b32_e32 v162, 0
	s_mov_b32 s11, exec_lo
	s_delay_alu instid0(VALU_DEP_2)
	v_cmpx_ne_u16_e32 0, v0
	s_cbranch_execz .LBB292_2035
; %bb.2028:                             ;   in Loop: Header=BB292_1062 Depth=1
	v_bfrev_b32_e32 v162, 1
	s_mov_b32 s14, exec_lo
	v_cmpx_ne_u16_e32 0x80, v0
	s_cbranch_execz .LBB292_2034
; %bb.2029:                             ;   in Loop: Header=BB292_1062 Depth=1
	v_and_b32_e32 v163, 0xffff, v0
	v_mov_b32_e32 v162, 0x7c010000
	s_mov_b32 s15, exec_lo
	s_delay_alu instid0(VALU_DEP_2) | instskip(NEXT) | instid1(VALU_DEP_1)
	v_and_b32_e32 v165, 0x7f, v163
	v_cmpx_ne_u32_e32 0x7f, v165
	s_cbranch_execz .LBB292_2033
; %bb.2030:                             ;   in Loop: Header=BB292_1062 Depth=1
	v_and_b32_e32 v162, 7, v163
	v_lshrrev_b32_e32 v164, 3, v165
	s_mov_b32 s16, exec_lo
	v_cmpx_gt_u32_e32 8, v165
; %bb.2031:                             ;   in Loop: Header=BB292_1062 Depth=1
	s_delay_alu instid0(VALU_DEP_3) | instskip(NEXT) | instid1(VALU_DEP_1)
	v_clz_i32_u32_e32 v162, v162
	v_min_u32_e32 v162, 32, v162
	s_delay_alu instid0(VALU_DEP_1) | instskip(NEXT) | instid1(VALU_DEP_1)
	v_subrev_nc_u32_e32 v164, 28, v162
	v_lshlrev_b64_e32 v[165:166], v164, v[0:1]
	v_sub_nc_u32_e32 v164, 29, v162
	s_delay_alu instid0(VALU_DEP_2)
	v_and_b32_e32 v162, 7, v165
; %bb.2032:                             ;   in Loop: Header=BB292_1062 Depth=1
	s_wait_alu 0xfffe
	s_or_b32 exec_lo, exec_lo, s16
	v_lshlrev_b32_e32 v0, 8, v163
	v_lshl_add_u32 v163, v164, 10, 0x2000
	v_lshlrev_b32_e32 v162, 23, v162
	s_delay_alu instid0(VALU_DEP_2) | instskip(NEXT) | instid1(VALU_DEP_1)
	v_and_or_b32 v0, 0x8000, v0, v163
	v_lshl_or_b32 v162, v0, 16, v162
.LBB292_2033:                           ;   in Loop: Header=BB292_1062 Depth=1
	s_wait_alu 0xfffe
	s_or_b32 exec_lo, exec_lo, s15
.LBB292_2034:                           ;   in Loop: Header=BB292_1062 Depth=1
	s_wait_alu 0xfffe
	s_or_b32 exec_lo, exec_lo, s14
.LBB292_2035:                           ;   in Loop: Header=BB292_1062 Depth=1
	s_wait_alu 0xfffe
	s_or_b32 exec_lo, exec_lo, s11
	v_lshrrev_b32_e32 v0, 16, v12
	s_mov_b32 s11, exec_lo
	s_delay_alu instid0(VALU_DEP_1) | instskip(NEXT) | instid1(VALU_DEP_1)
	v_and_b32_e32 v163, 0xff, v0
	v_cmpx_ne_u16_e64 0, v163
	s_cbranch_execz .LBB292_2043
; %bb.2036:                             ;   in Loop: Header=BB292_1062 Depth=1
	v_mov_b32_e32 v160, 0x8000
	s_mov_b32 s14, exec_lo
	v_cmpx_ne_u16_e64 0x80, v163
	s_cbranch_execz .LBB292_2042
; %bb.2037:                             ;   in Loop: Header=BB292_1062 Depth=1
	v_bfe_u32 v164, v12, 16, 7
	v_mov_b32_e32 v160, 0x7c01
	s_mov_b32 s15, exec_lo
	s_delay_alu instid0(VALU_DEP_2)
	v_cmpx_ne_u32_e32 0x7f, v164
	s_cbranch_execz .LBB292_2041
; %bb.2038:                             ;   in Loop: Header=BB292_1062 Depth=1
	v_and_b32_e32 v160, 7, v0
	v_lshrrev_b32_e32 v163, 3, v164
	s_mov_b32 s16, exec_lo
	v_cmpx_gt_u32_e32 8, v164
; %bb.2039:                             ;   in Loop: Header=BB292_1062 Depth=1
	s_delay_alu instid0(VALU_DEP_3) | instskip(NEXT) | instid1(VALU_DEP_1)
	v_clz_i32_u32_e32 v160, v160
	v_min_u32_e32 v160, 32, v160
	s_delay_alu instid0(VALU_DEP_1) | instskip(NEXT) | instid1(VALU_DEP_1)
	v_subrev_nc_u32_e32 v163, 28, v160
	v_lshlrev_b64_e32 v[164:165], v163, v[0:1]
	v_sub_nc_u32_e32 v163, 29, v160
	s_delay_alu instid0(VALU_DEP_2)
	v_and_b32_e32 v160, 7, v164
; %bb.2040:                             ;   in Loop: Header=BB292_1062 Depth=1
	s_wait_alu 0xfffe
	s_or_b32 exec_lo, exec_lo, s16
	v_lshlrev_b32_e32 v0, 8, v0
	v_lshl_add_u32 v163, v163, 10, 0x2000
	v_lshlrev_b32_e32 v160, 7, v160
	s_delay_alu instid0(VALU_DEP_3) | instskip(NEXT) | instid1(VALU_DEP_3)
	v_and_b32_e32 v0, 0x8000, v0
	v_and_b32_e32 v163, 0xfc00, v163
	s_delay_alu instid0(VALU_DEP_1)
	v_or3_b32 v160, v0, v163, v160
.LBB292_2041:                           ;   in Loop: Header=BB292_1062 Depth=1
	s_wait_alu 0xfffe
	s_or_b32 exec_lo, exec_lo, s15
.LBB292_2042:                           ;   in Loop: Header=BB292_1062 Depth=1
	s_wait_alu 0xfffe
	s_or_b32 exec_lo, exec_lo, s14
.LBB292_2043:                           ;   in Loop: Header=BB292_1062 Depth=1
	s_wait_alu 0xfffe
	s_or_b32 exec_lo, exec_lo, s11
	v_cmp_lt_u64_e64 s0, s[8:9], v[11:12]
	v_mov_b32_e32 v11, 0
	s_and_saveexec_b32 s11, s0
	s_cbranch_execz .LBB292_2051
; %bb.2044:                             ;   in Loop: Header=BB292_1062 Depth=1
	v_lshrrev_b32_e32 v0, 24, v12
	v_bfrev_b32_e32 v11, 1
	s_mov_b32 s14, exec_lo
	s_delay_alu instid0(VALU_DEP_2)
	v_cmpx_ne_u32_e32 0x80, v0
	s_cbranch_execz .LBB292_2050
; %bb.2045:                             ;   in Loop: Header=BB292_1062 Depth=1
	v_and_b32_e32 v163, 0x7f, v0
	v_mov_b32_e32 v11, 0x7c010000
	s_mov_b32 s15, exec_lo
	s_delay_alu instid0(VALU_DEP_2)
	v_cmpx_ne_u32_e32 0x7f, v163
	s_cbranch_execz .LBB292_2049
; %bb.2046:                             ;   in Loop: Header=BB292_1062 Depth=1
	v_and_b32_e32 v11, 7, v0
	v_lshrrev_b32_e32 v12, 3, v163
	s_mov_b32 s16, exec_lo
	v_cmpx_gt_u32_e32 8, v163
; %bb.2047:                             ;   in Loop: Header=BB292_1062 Depth=1
	s_delay_alu instid0(VALU_DEP_3) | instskip(NEXT) | instid1(VALU_DEP_1)
	v_clz_i32_u32_e32 v11, v11
	v_min_u32_e32 v163, 32, v11
	s_delay_alu instid0(VALU_DEP_1) | instskip(NEXT) | instid1(VALU_DEP_1)
	v_subrev_nc_u32_e32 v11, 28, v163
	v_lshlrev_b64_e32 v[11:12], v11, v[0:1]
	v_sub_nc_u32_e32 v12, 29, v163
	s_delay_alu instid0(VALU_DEP_2)
	v_and_b32_e32 v11, 7, v11
; %bb.2048:                             ;   in Loop: Header=BB292_1062 Depth=1
	s_wait_alu 0xfffe
	s_or_b32 exec_lo, exec_lo, s16
	v_lshlrev_b32_e32 v0, 8, v0
	v_lshl_add_u32 v12, v12, 10, 0x2000
	v_lshlrev_b32_e32 v11, 23, v11
	s_delay_alu instid0(VALU_DEP_2) | instskip(NEXT) | instid1(VALU_DEP_1)
	v_and_or_b32 v0, 0x8000, v0, v12
	v_lshl_or_b32 v11, v0, 16, v11
.LBB292_2049:                           ;   in Loop: Header=BB292_1062 Depth=1
	s_wait_alu 0xfffe
	s_or_b32 exec_lo, exec_lo, s15
.LBB292_2050:                           ;   in Loop: Header=BB292_1062 Depth=1
	s_wait_alu 0xfffe
	s_or_b32 exec_lo, exec_lo, s14
.LBB292_2051:                           ;   in Loop: Header=BB292_1062 Depth=1
	s_wait_alu 0xfffe
	s_or_b32 exec_lo, exec_lo, s11
	v_or_b32_e32 v0, v150, v151
	s_wait_loadcnt_dscnt 0x0
	v_fma_mixlo_f16 v12, v147, v150, 0 op_sel:[0,1,0] op_sel_hi:[0,1,0]
	v_or_b32_e32 v150, v148, v149
	v_fma_mixlo_f16 v148, v147, v148, 0 op_sel:[0,1,0] op_sel_hi:[0,1,0]
	v_or_b32_e32 v151, v162, v161
	v_or_b32_e32 v160, v11, v160
	v_fma_mixlo_f16 v161, v147, v0, 0 op_sel_hi:[0,1,0]
	v_fma_mixlo_f16 v11, v147, v11, 0 op_sel:[0,1,0] op_sel_hi:[0,1,0]
	v_lshlrev_b32_e32 v149, 16, v148
	v_fma_mixlo_f16 v148, v147, v150, 0 op_sel_hi:[0,1,0]
	v_fma_mixlo_f16 v150, v147, v162, 0 op_sel:[0,1,0] op_sel_hi:[0,1,0]
	v_fma_mixlo_f16 v151, v147, v151, 0 op_sel_hi:[0,1,0]
	v_fma_mixlo_f16 v160, v147, v160, 0 op_sel_hi:[0,1,0]
	v_lshlrev_b32_e32 v0, 16, v12
	v_and_b32_e32 v12, 0xffff, v161
	v_and_b32_e32 v163, 0xffff, v148
	v_lshlrev_b32_e32 v147, 16, v150
	v_and_b32_e32 v151, 0xffff, v151
	v_lshlrev_b32_e32 v11, 16, v11
	v_and_b32_e32 v148, 0xffff, v160
	v_or_b32_e32 v150, v0, v12
	v_or_b32_e32 v162, v149, v163
	v_or_b32_e32 v161, v147, v151
	s_delay_alu instid0(VALU_DEP_4)
	v_or_b32_e32 v160, v11, v148
	s_and_saveexec_b32 s11, vcc_lo
	s_cbranch_execz .LBB292_2053
; %bb.2052:                             ;   in Loop: Header=BB292_1062 Depth=1
	v_cmp_lt_i32_e64 s0, v17, v34
	s_wait_alu 0xf1ff
	s_delay_alu instid0(VALU_DEP_1) | instskip(SKIP_2) | instid1(VALU_DEP_1)
	v_cndmask_b32_e64 v150, 0, v163, s0
	v_cmp_lt_i32_e64 s0, v96, v34
	s_wait_alu 0xf1ff
	v_cndmask_b32_e64 v149, 0, v149, s0
	v_cmp_lt_i32_e64 s0, v87, v34
	s_delay_alu instid0(VALU_DEP_2) | instskip(SKIP_1) | instid1(VALU_DEP_2)
	v_or_b32_e32 v162, v150, v149
	s_wait_alu 0xf1ff
	v_cndmask_b32_e64 v12, 0, v12, s0
	v_cmp_lt_i32_e64 s0, v86, v34
	s_wait_alu 0xf1ff
	s_delay_alu instid0(VALU_DEP_1) | instskip(SKIP_1) | instid1(VALU_DEP_2)
	v_cndmask_b32_e64 v0, 0, v0, s0
	v_cmp_lt_i32_e64 s0, v85, v34
	v_or_b32_e32 v150, v12, v0
	s_wait_alu 0xf1ff
	s_delay_alu instid0(VALU_DEP_2) | instskip(SKIP_2) | instid1(VALU_DEP_1)
	v_cndmask_b32_e64 v151, 0, v151, s0
	v_cmp_lt_i32_e64 s0, v84, v34
	s_wait_alu 0xf1ff
	v_cndmask_b32_e64 v147, 0, v147, s0
	v_cmp_lt_i32_e64 s0, v83, v34
	s_delay_alu instid0(VALU_DEP_2) | instskip(SKIP_1) | instid1(VALU_DEP_2)
	v_or_b32_e32 v161, v151, v147
	s_wait_alu 0xf1ff
	v_cndmask_b32_e64 v148, 0, v148, s0
	v_cmp_lt_i32_e64 s0, v82, v34
	s_wait_alu 0xf1ff
	s_delay_alu instid0(VALU_DEP_1) | instskip(NEXT) | instid1(VALU_DEP_1)
	v_cndmask_b32_e64 v11, 0, v11, s0
	v_or_b32_e32 v160, v148, v11
.LBB292_2053:                           ;   in Loop: Header=BB292_1062 Depth=1
	s_wait_alu 0xfffe
	s_or_b32 exec_lo, exec_lo, s11
	;;#ASMSTART
	v_pk_mul_f16 v0, v81, v162;

	;;#ASMEND
	;;#ASMSTART
	v_pk_mul_f16 v11, v80, v150;

	;;#ASMEND
	;; [unrolled: 4-line block ×4, first 2 shown]
	;;#ASMSTART
	v_pk_add_f16 v0, v0, v11;

	;;#ASMEND
	;;#ASMSTART
	v_pk_add_f16 v0, v0, v12;

	;;#ASMEND
	;; [unrolled: 4-line block ×3, first 2 shown]
	v_dual_mov_b32 v148, 0 :: v_dual_and_b32 v11, 0xffff, v0
	v_lshrrev_b32_e32 v0, 16, v0
	;;#ASMSTART
	v_cvt_f32_f16 v11, v11;
	;;#ASMEND
	;;#ASMSTART
	v_cvt_f32_f16 v12, v0;
	;;#ASMEND
	flat_load_b64 v[9:10], v[9:10] offset:3840
	flat_load_b32 v147, v[26:27]
	s_mov_b32 s11, exec_lo
	s_wait_loadcnt_dscnt 0x101
	v_dual_mov_b32 v149, 0 :: v_dual_and_b32 v0, 0xff, v9
	s_delay_alu instid0(VALU_DEP_1)
	v_cmpx_ne_u16_e32 0, v0
	s_cbranch_execz .LBB292_2061
; %bb.2054:                             ;   in Loop: Header=BB292_1062 Depth=1
	v_mov_b32_e32 v149, 0x8000
	s_mov_b32 s14, exec_lo
	v_cmpx_ne_u16_e32 0x80, v0
	s_cbranch_execz .LBB292_2060
; %bb.2055:                             ;   in Loop: Header=BB292_1062 Depth=1
	v_and_b32_e32 v150, 0x7f, v9
	v_mov_b32_e32 v149, 0x7c01
	s_mov_b32 s15, exec_lo
	s_delay_alu instid0(VALU_DEP_2)
	v_cmpx_ne_u32_e32 0x7f, v150
	s_cbranch_execz .LBB292_2059
; %bb.2056:                             ;   in Loop: Header=BB292_1062 Depth=1
	v_and_b32_e32 v0, 7, v9
	v_lshrrev_b32_e32 v149, 3, v150
	s_mov_b32 s16, exec_lo
	v_cmpx_gt_u32_e32 8, v150
; %bb.2057:                             ;   in Loop: Header=BB292_1062 Depth=1
	s_delay_alu instid0(VALU_DEP_3) | instskip(NEXT) | instid1(VALU_DEP_1)
	v_clz_i32_u32_e32 v0, v0
	v_min_u32_e32 v0, 32, v0
	s_delay_alu instid0(VALU_DEP_1) | instskip(NEXT) | instid1(VALU_DEP_1)
	v_subrev_nc_u32_e32 v149, 28, v0
	v_lshlrev_b64_e32 v[150:151], v149, v[9:10]
	v_sub_nc_u32_e32 v149, 29, v0
	s_delay_alu instid0(VALU_DEP_2)
	v_and_b32_e32 v0, 7, v150
; %bb.2058:                             ;   in Loop: Header=BB292_1062 Depth=1
	s_wait_alu 0xfffe
	s_or_b32 exec_lo, exec_lo, s16
	v_lshlrev_b32_e32 v150, 8, v9
	v_lshl_add_u32 v149, v149, 10, 0x2000
	v_lshlrev_b32_e32 v0, 7, v0
	s_delay_alu instid0(VALU_DEP_3) | instskip(NEXT) | instid1(VALU_DEP_3)
	v_and_b32_e32 v150, 0x8000, v150
	v_and_b32_e32 v149, 0xfc00, v149
	s_delay_alu instid0(VALU_DEP_1)
	v_or3_b32 v149, v150, v149, v0
.LBB292_2059:                           ;   in Loop: Header=BB292_1062 Depth=1
	s_wait_alu 0xfffe
	s_or_b32 exec_lo, exec_lo, s15
.LBB292_2060:                           ;   in Loop: Header=BB292_1062 Depth=1
	s_wait_alu 0xfffe
	s_or_b32 exec_lo, exec_lo, s14
.LBB292_2061:                           ;   in Loop: Header=BB292_1062 Depth=1
	s_wait_alu 0xfffe
	s_or_b32 exec_lo, exec_lo, s11
	v_lshrrev_b16 v0, 8, v9
	s_mov_b32 s11, exec_lo
	s_delay_alu instid0(VALU_DEP_1)
	v_cmpx_ne_u16_e32 0, v0
	s_cbranch_execz .LBB292_2069
; %bb.2062:                             ;   in Loop: Header=BB292_1062 Depth=1
	v_bfrev_b32_e32 v148, 1
	s_mov_b32 s14, exec_lo
	v_cmpx_ne_u16_e32 0x80, v0
	s_cbranch_execz .LBB292_2068
; %bb.2063:                             ;   in Loop: Header=BB292_1062 Depth=1
	v_and_b32_e32 v150, 0xffff, v0
	v_mov_b32_e32 v148, 0x7c010000
	s_mov_b32 s15, exec_lo
	s_delay_alu instid0(VALU_DEP_2) | instskip(NEXT) | instid1(VALU_DEP_1)
	v_and_b32_e32 v160, 0x7f, v150
	v_cmpx_ne_u32_e32 0x7f, v160
	s_cbranch_execz .LBB292_2067
; %bb.2064:                             ;   in Loop: Header=BB292_1062 Depth=1
	v_and_b32_e32 v148, 7, v150
	v_lshrrev_b32_e32 v151, 3, v160
	s_mov_b32 s16, exec_lo
	v_cmpx_gt_u32_e32 8, v160
; %bb.2065:                             ;   in Loop: Header=BB292_1062 Depth=1
	s_delay_alu instid0(VALU_DEP_3) | instskip(NEXT) | instid1(VALU_DEP_1)
	v_clz_i32_u32_e32 v148, v148
	v_min_u32_e32 v148, 32, v148
	s_delay_alu instid0(VALU_DEP_1) | instskip(NEXT) | instid1(VALU_DEP_1)
	v_subrev_nc_u32_e32 v151, 28, v148
	v_lshlrev_b64_e32 v[160:161], v151, v[0:1]
	v_sub_nc_u32_e32 v151, 29, v148
	s_delay_alu instid0(VALU_DEP_2)
	v_and_b32_e32 v148, 7, v160
; %bb.2066:                             ;   in Loop: Header=BB292_1062 Depth=1
	s_wait_alu 0xfffe
	s_or_b32 exec_lo, exec_lo, s16
	v_lshlrev_b32_e32 v0, 8, v150
	v_lshl_add_u32 v150, v151, 10, 0x2000
	v_lshlrev_b32_e32 v148, 23, v148
	s_delay_alu instid0(VALU_DEP_2) | instskip(NEXT) | instid1(VALU_DEP_1)
	v_and_or_b32 v0, 0x8000, v0, v150
	v_lshl_or_b32 v148, v0, 16, v148
.LBB292_2067:                           ;   in Loop: Header=BB292_1062 Depth=1
	s_wait_alu 0xfffe
	s_or_b32 exec_lo, exec_lo, s15
.LBB292_2068:                           ;   in Loop: Header=BB292_1062 Depth=1
	s_wait_alu 0xfffe
	s_or_b32 exec_lo, exec_lo, s14
.LBB292_2069:                           ;   in Loop: Header=BB292_1062 Depth=1
	s_wait_alu 0xfffe
	s_or_b32 exec_lo, exec_lo, s11
	v_lshrrev_b32_e32 v0, 16, v9
	v_mov_b32_e32 v150, 0
	s_mov_b32 s11, exec_lo
	s_delay_alu instid0(VALU_DEP_2) | instskip(NEXT) | instid1(VALU_DEP_1)
	v_dual_mov_b32 v151, 0 :: v_dual_and_b32 v160, 0xff, v0
	v_cmpx_ne_u16_e64 0, v160
	s_cbranch_execz .LBB292_2077
; %bb.2070:                             ;   in Loop: Header=BB292_1062 Depth=1
	v_mov_b32_e32 v151, 0x8000
	s_mov_b32 s14, exec_lo
	v_cmpx_ne_u16_e64 0x80, v160
	s_cbranch_execz .LBB292_2076
; %bb.2071:                             ;   in Loop: Header=BB292_1062 Depth=1
	v_bfe_u32 v161, v9, 16, 7
	v_mov_b32_e32 v151, 0x7c01
	s_mov_b32 s15, exec_lo
	s_delay_alu instid0(VALU_DEP_2)
	v_cmpx_ne_u32_e32 0x7f, v161
	s_cbranch_execz .LBB292_2075
; %bb.2072:                             ;   in Loop: Header=BB292_1062 Depth=1
	v_and_b32_e32 v151, 7, v0
	v_lshrrev_b32_e32 v160, 3, v161
	s_mov_b32 s16, exec_lo
	v_cmpx_gt_u32_e32 8, v161
; %bb.2073:                             ;   in Loop: Header=BB292_1062 Depth=1
	s_delay_alu instid0(VALU_DEP_3) | instskip(NEXT) | instid1(VALU_DEP_1)
	v_clz_i32_u32_e32 v151, v151
	v_min_u32_e32 v151, 32, v151
	s_delay_alu instid0(VALU_DEP_1) | instskip(NEXT) | instid1(VALU_DEP_1)
	v_subrev_nc_u32_e32 v160, 28, v151
	v_lshlrev_b64_e32 v[161:162], v160, v[0:1]
	v_sub_nc_u32_e32 v160, 29, v151
	s_delay_alu instid0(VALU_DEP_2)
	v_and_b32_e32 v151, 7, v161
; %bb.2074:                             ;   in Loop: Header=BB292_1062 Depth=1
	s_wait_alu 0xfffe
	s_or_b32 exec_lo, exec_lo, s16
	v_lshlrev_b32_e32 v0, 8, v0
	v_lshl_add_u32 v160, v160, 10, 0x2000
	v_lshlrev_b32_e32 v151, 7, v151
	s_delay_alu instid0(VALU_DEP_3) | instskip(NEXT) | instid1(VALU_DEP_3)
	v_and_b32_e32 v0, 0x8000, v0
	v_and_b32_e32 v160, 0xfc00, v160
	s_delay_alu instid0(VALU_DEP_1)
	v_or3_b32 v151, v0, v160, v151
.LBB292_2075:                           ;   in Loop: Header=BB292_1062 Depth=1
	s_wait_alu 0xfffe
	s_or_b32 exec_lo, exec_lo, s15
.LBB292_2076:                           ;   in Loop: Header=BB292_1062 Depth=1
	s_wait_alu 0xfffe
	s_or_b32 exec_lo, exec_lo, s14
.LBB292_2077:                           ;   in Loop: Header=BB292_1062 Depth=1
	s_wait_alu 0xfffe
	s_or_b32 exec_lo, exec_lo, s11
	s_delay_alu instid0(SALU_CYCLE_1)
	s_mov_b32 s11, exec_lo
	v_cmpx_lt_u32_e32 0xffffff, v9
	s_cbranch_execz .LBB292_2085
; %bb.2078:                             ;   in Loop: Header=BB292_1062 Depth=1
	v_lshrrev_b32_e32 v0, 24, v9
	v_bfrev_b32_e32 v150, 1
	s_mov_b32 s14, exec_lo
	s_delay_alu instid0(VALU_DEP_2)
	v_cmpx_ne_u32_e32 0x80, v0
	s_cbranch_execz .LBB292_2084
; %bb.2079:                             ;   in Loop: Header=BB292_1062 Depth=1
	v_and_b32_e32 v161, 0x7f, v0
	v_mov_b32_e32 v150, 0x7c010000
	s_mov_b32 s15, exec_lo
	s_delay_alu instid0(VALU_DEP_2)
	v_cmpx_ne_u32_e32 0x7f, v161
	s_cbranch_execz .LBB292_2083
; %bb.2080:                             ;   in Loop: Header=BB292_1062 Depth=1
	v_and_b32_e32 v150, 7, v0
	v_lshrrev_b32_e32 v160, 3, v161
	s_mov_b32 s16, exec_lo
	v_cmpx_gt_u32_e32 8, v161
; %bb.2081:                             ;   in Loop: Header=BB292_1062 Depth=1
	s_delay_alu instid0(VALU_DEP_3) | instskip(NEXT) | instid1(VALU_DEP_1)
	v_clz_i32_u32_e32 v150, v150
	v_min_u32_e32 v150, 32, v150
	s_delay_alu instid0(VALU_DEP_1) | instskip(NEXT) | instid1(VALU_DEP_1)
	v_subrev_nc_u32_e32 v160, 28, v150
	v_lshlrev_b64_e32 v[161:162], v160, v[0:1]
	v_sub_nc_u32_e32 v160, 29, v150
	s_delay_alu instid0(VALU_DEP_2)
	v_and_b32_e32 v150, 7, v161
; %bb.2082:                             ;   in Loop: Header=BB292_1062 Depth=1
	s_wait_alu 0xfffe
	s_or_b32 exec_lo, exec_lo, s16
	v_lshlrev_b32_e32 v0, 8, v0
	v_lshl_add_u32 v160, v160, 10, 0x2000
	v_lshlrev_b32_e32 v150, 23, v150
	s_delay_alu instid0(VALU_DEP_2) | instskip(NEXT) | instid1(VALU_DEP_1)
	v_and_or_b32 v0, 0x8000, v0, v160
	v_lshl_or_b32 v150, v0, 16, v150
.LBB292_2083:                           ;   in Loop: Header=BB292_1062 Depth=1
	s_wait_alu 0xfffe
	s_or_b32 exec_lo, exec_lo, s15
.LBB292_2084:                           ;   in Loop: Header=BB292_1062 Depth=1
	s_wait_alu 0xfffe
	s_or_b32 exec_lo, exec_lo, s14
.LBB292_2085:                           ;   in Loop: Header=BB292_1062 Depth=1
	s_wait_alu 0xfffe
	s_or_b32 exec_lo, exec_lo, s11
	v_dual_mov_b32 v161, 0 :: v_dual_and_b32 v162, 0xff, v10
	v_mov_b32_e32 v0, v10
	v_mov_b32_e32 v160, 0
	s_mov_b32 s11, exec_lo
	s_delay_alu instid0(VALU_DEP_3)
	v_cmpx_ne_u16_e64 0, v162
	s_cbranch_execz .LBB292_2093
; %bb.2086:                             ;   in Loop: Header=BB292_1062 Depth=1
	v_mov_b32_e32 v161, 0x8000
	s_mov_b32 s14, exec_lo
	v_cmpx_ne_u16_e64 0x80, v162
	s_cbranch_execz .LBB292_2092
; %bb.2087:                             ;   in Loop: Header=BB292_1062 Depth=1
	v_and_b32_e32 v163, 0x7f, v10
	v_mov_b32_e32 v161, 0x7c01
	s_mov_b32 s15, exec_lo
	s_delay_alu instid0(VALU_DEP_2)
	v_cmpx_ne_u32_e32 0x7f, v163
	s_cbranch_execz .LBB292_2091
; %bb.2088:                             ;   in Loop: Header=BB292_1062 Depth=1
	v_and_b32_e32 v161, 7, v10
	v_lshrrev_b32_e32 v162, 3, v163
	s_mov_b32 s16, exec_lo
	v_cmpx_gt_u32_e32 8, v163
; %bb.2089:                             ;   in Loop: Header=BB292_1062 Depth=1
	s_delay_alu instid0(VALU_DEP_3) | instskip(NEXT) | instid1(VALU_DEP_1)
	v_clz_i32_u32_e32 v161, v161
	v_min_u32_e32 v163, 32, v161
	s_delay_alu instid0(VALU_DEP_1) | instskip(NEXT) | instid1(VALU_DEP_1)
	v_subrev_nc_u32_e32 v161, 28, v163
	v_lshlrev_b64_e32 v[161:162], v161, v[0:1]
	v_sub_nc_u32_e32 v162, 29, v163
	s_delay_alu instid0(VALU_DEP_2)
	v_and_b32_e32 v161, 7, v161
; %bb.2090:                             ;   in Loop: Header=BB292_1062 Depth=1
	s_wait_alu 0xfffe
	s_or_b32 exec_lo, exec_lo, s16
	v_lshlrev_b32_e32 v163, 8, v10
	v_lshl_add_u32 v162, v162, 10, 0x2000
	v_lshlrev_b32_e32 v161, 7, v161
	s_delay_alu instid0(VALU_DEP_3) | instskip(NEXT) | instid1(VALU_DEP_3)
	v_and_b32_e32 v163, 0x8000, v163
	v_and_b32_e32 v162, 0xfc00, v162
	s_delay_alu instid0(VALU_DEP_1)
	v_or3_b32 v161, v163, v162, v161
.LBB292_2091:                           ;   in Loop: Header=BB292_1062 Depth=1
	s_wait_alu 0xfffe
	s_or_b32 exec_lo, exec_lo, s15
.LBB292_2092:                           ;   in Loop: Header=BB292_1062 Depth=1
	s_wait_alu 0xfffe
	s_or_b32 exec_lo, exec_lo, s14
.LBB292_2093:                           ;   in Loop: Header=BB292_1062 Depth=1
	s_wait_alu 0xfffe
	s_or_b32 exec_lo, exec_lo, s11
	v_lshrrev_b16 v0, 8, v0
	v_mov_b32_e32 v162, 0
	s_mov_b32 s11, exec_lo
	s_delay_alu instid0(VALU_DEP_2)
	v_cmpx_ne_u16_e32 0, v0
	s_cbranch_execz .LBB292_2101
; %bb.2094:                             ;   in Loop: Header=BB292_1062 Depth=1
	v_bfrev_b32_e32 v162, 1
	s_mov_b32 s14, exec_lo
	v_cmpx_ne_u16_e32 0x80, v0
	s_cbranch_execz .LBB292_2100
; %bb.2095:                             ;   in Loop: Header=BB292_1062 Depth=1
	v_and_b32_e32 v163, 0xffff, v0
	v_mov_b32_e32 v162, 0x7c010000
	s_mov_b32 s15, exec_lo
	s_delay_alu instid0(VALU_DEP_2) | instskip(NEXT) | instid1(VALU_DEP_1)
	v_and_b32_e32 v165, 0x7f, v163
	v_cmpx_ne_u32_e32 0x7f, v165
	s_cbranch_execz .LBB292_2099
; %bb.2096:                             ;   in Loop: Header=BB292_1062 Depth=1
	v_and_b32_e32 v162, 7, v163
	v_lshrrev_b32_e32 v164, 3, v165
	s_mov_b32 s16, exec_lo
	v_cmpx_gt_u32_e32 8, v165
; %bb.2097:                             ;   in Loop: Header=BB292_1062 Depth=1
	s_delay_alu instid0(VALU_DEP_3) | instskip(NEXT) | instid1(VALU_DEP_1)
	v_clz_i32_u32_e32 v162, v162
	v_min_u32_e32 v162, 32, v162
	s_delay_alu instid0(VALU_DEP_1) | instskip(NEXT) | instid1(VALU_DEP_1)
	v_subrev_nc_u32_e32 v164, 28, v162
	v_lshlrev_b64_e32 v[165:166], v164, v[0:1]
	v_sub_nc_u32_e32 v164, 29, v162
	s_delay_alu instid0(VALU_DEP_2)
	v_and_b32_e32 v162, 7, v165
; %bb.2098:                             ;   in Loop: Header=BB292_1062 Depth=1
	s_wait_alu 0xfffe
	s_or_b32 exec_lo, exec_lo, s16
	v_lshlrev_b32_e32 v0, 8, v163
	v_lshl_add_u32 v163, v164, 10, 0x2000
	v_lshlrev_b32_e32 v162, 23, v162
	s_delay_alu instid0(VALU_DEP_2) | instskip(NEXT) | instid1(VALU_DEP_1)
	v_and_or_b32 v0, 0x8000, v0, v163
	v_lshl_or_b32 v162, v0, 16, v162
.LBB292_2099:                           ;   in Loop: Header=BB292_1062 Depth=1
	s_wait_alu 0xfffe
	s_or_b32 exec_lo, exec_lo, s15
.LBB292_2100:                           ;   in Loop: Header=BB292_1062 Depth=1
	s_wait_alu 0xfffe
	s_or_b32 exec_lo, exec_lo, s14
.LBB292_2101:                           ;   in Loop: Header=BB292_1062 Depth=1
	s_wait_alu 0xfffe
	s_or_b32 exec_lo, exec_lo, s11
	v_lshrrev_b32_e32 v0, 16, v10
	s_mov_b32 s11, exec_lo
	s_delay_alu instid0(VALU_DEP_1) | instskip(NEXT) | instid1(VALU_DEP_1)
	v_and_b32_e32 v163, 0xff, v0
	v_cmpx_ne_u16_e64 0, v163
	s_cbranch_execz .LBB292_2109
; %bb.2102:                             ;   in Loop: Header=BB292_1062 Depth=1
	v_mov_b32_e32 v160, 0x8000
	s_mov_b32 s14, exec_lo
	v_cmpx_ne_u16_e64 0x80, v163
	s_cbranch_execz .LBB292_2108
; %bb.2103:                             ;   in Loop: Header=BB292_1062 Depth=1
	v_bfe_u32 v164, v10, 16, 7
	v_mov_b32_e32 v160, 0x7c01
	s_mov_b32 s15, exec_lo
	s_delay_alu instid0(VALU_DEP_2)
	v_cmpx_ne_u32_e32 0x7f, v164
	s_cbranch_execz .LBB292_2107
; %bb.2104:                             ;   in Loop: Header=BB292_1062 Depth=1
	v_and_b32_e32 v160, 7, v0
	v_lshrrev_b32_e32 v163, 3, v164
	s_mov_b32 s16, exec_lo
	v_cmpx_gt_u32_e32 8, v164
; %bb.2105:                             ;   in Loop: Header=BB292_1062 Depth=1
	s_delay_alu instid0(VALU_DEP_3) | instskip(NEXT) | instid1(VALU_DEP_1)
	v_clz_i32_u32_e32 v160, v160
	v_min_u32_e32 v160, 32, v160
	s_delay_alu instid0(VALU_DEP_1) | instskip(NEXT) | instid1(VALU_DEP_1)
	v_subrev_nc_u32_e32 v163, 28, v160
	v_lshlrev_b64_e32 v[164:165], v163, v[0:1]
	v_sub_nc_u32_e32 v163, 29, v160
	s_delay_alu instid0(VALU_DEP_2)
	v_and_b32_e32 v160, 7, v164
; %bb.2106:                             ;   in Loop: Header=BB292_1062 Depth=1
	s_wait_alu 0xfffe
	s_or_b32 exec_lo, exec_lo, s16
	v_lshlrev_b32_e32 v0, 8, v0
	v_lshl_add_u32 v163, v163, 10, 0x2000
	v_lshlrev_b32_e32 v160, 7, v160
	s_delay_alu instid0(VALU_DEP_3) | instskip(NEXT) | instid1(VALU_DEP_3)
	v_and_b32_e32 v0, 0x8000, v0
	v_and_b32_e32 v163, 0xfc00, v163
	s_delay_alu instid0(VALU_DEP_1)
	v_or3_b32 v160, v0, v163, v160
.LBB292_2107:                           ;   in Loop: Header=BB292_1062 Depth=1
	s_wait_alu 0xfffe
	s_or_b32 exec_lo, exec_lo, s15
.LBB292_2108:                           ;   in Loop: Header=BB292_1062 Depth=1
	s_wait_alu 0xfffe
	s_or_b32 exec_lo, exec_lo, s14
.LBB292_2109:                           ;   in Loop: Header=BB292_1062 Depth=1
	s_wait_alu 0xfffe
	s_or_b32 exec_lo, exec_lo, s11
	v_cmp_lt_u64_e64 s0, s[8:9], v[9:10]
	v_mov_b32_e32 v9, 0
	s_and_saveexec_b32 s11, s0
	s_cbranch_execz .LBB292_2117
; %bb.2110:                             ;   in Loop: Header=BB292_1062 Depth=1
	v_lshrrev_b32_e32 v0, 24, v10
	v_bfrev_b32_e32 v9, 1
	s_mov_b32 s14, exec_lo
	s_delay_alu instid0(VALU_DEP_2)
	v_cmpx_ne_u32_e32 0x80, v0
	s_cbranch_execz .LBB292_2116
; %bb.2111:                             ;   in Loop: Header=BB292_1062 Depth=1
	v_and_b32_e32 v163, 0x7f, v0
	v_mov_b32_e32 v9, 0x7c010000
	s_mov_b32 s15, exec_lo
	s_delay_alu instid0(VALU_DEP_2)
	v_cmpx_ne_u32_e32 0x7f, v163
	s_cbranch_execz .LBB292_2115
; %bb.2112:                             ;   in Loop: Header=BB292_1062 Depth=1
	v_and_b32_e32 v9, 7, v0
	v_lshrrev_b32_e32 v10, 3, v163
	s_mov_b32 s16, exec_lo
	v_cmpx_gt_u32_e32 8, v163
; %bb.2113:                             ;   in Loop: Header=BB292_1062 Depth=1
	s_delay_alu instid0(VALU_DEP_3) | instskip(NEXT) | instid1(VALU_DEP_1)
	v_clz_i32_u32_e32 v9, v9
	v_min_u32_e32 v163, 32, v9
	s_delay_alu instid0(VALU_DEP_1) | instskip(NEXT) | instid1(VALU_DEP_1)
	v_subrev_nc_u32_e32 v9, 28, v163
	v_lshlrev_b64_e32 v[9:10], v9, v[0:1]
	v_sub_nc_u32_e32 v10, 29, v163
	s_delay_alu instid0(VALU_DEP_2)
	v_and_b32_e32 v9, 7, v9
; %bb.2114:                             ;   in Loop: Header=BB292_1062 Depth=1
	s_wait_alu 0xfffe
	s_or_b32 exec_lo, exec_lo, s16
	v_lshlrev_b32_e32 v0, 8, v0
	v_lshl_add_u32 v10, v10, 10, 0x2000
	v_lshlrev_b32_e32 v9, 23, v9
	s_delay_alu instid0(VALU_DEP_2) | instskip(NEXT) | instid1(VALU_DEP_1)
	v_and_or_b32 v0, 0x8000, v0, v10
	v_lshl_or_b32 v9, v0, 16, v9
.LBB292_2115:                           ;   in Loop: Header=BB292_1062 Depth=1
	s_wait_alu 0xfffe
	s_or_b32 exec_lo, exec_lo, s15
.LBB292_2116:                           ;   in Loop: Header=BB292_1062 Depth=1
	s_wait_alu 0xfffe
	s_or_b32 exec_lo, exec_lo, s14
.LBB292_2117:                           ;   in Loop: Header=BB292_1062 Depth=1
	s_wait_alu 0xfffe
	s_or_b32 exec_lo, exec_lo, s11
	v_or_b32_e32 v0, v150, v151
	s_wait_loadcnt_dscnt 0x0
	v_fma_mixlo_f16 v10, v147, v150, 0 op_sel:[0,1,0] op_sel_hi:[0,1,0]
	v_or_b32_e32 v149, v148, v149
	v_fma_mixlo_f16 v150, v147, v148, 0 op_sel:[0,1,0] op_sel_hi:[0,1,0]
	v_or_b32_e32 v151, v162, v161
	v_fma_mixlo_f16 v0, v147, v0, 0 op_sel_hi:[0,1,0]
	v_or_b32_e32 v160, v9, v160
	v_lshlrev_b32_e32 v148, 16, v10
	v_lshlrev_b32_e32 v161, 16, v150
	v_fma_mixlo_f16 v10, v147, v149, 0 op_sel_hi:[0,1,0]
	v_and_b32_e32 v150, 0xffff, v0
	v_fma_mixlo_f16 v0, v147, v162, 0 op_sel:[0,1,0] op_sel_hi:[0,1,0]
	v_fma_mixlo_f16 v149, v147, v151, 0 op_sel_hi:[0,1,0]
	v_fma_mixlo_f16 v9, v147, v9, 0 op_sel:[0,1,0] op_sel_hi:[0,1,0]
	v_fma_mixlo_f16 v147, v147, v160, 0 op_sel_hi:[0,1,0]
	v_and_b32_e32 v163, 0xffff, v10
	v_lshlrev_b32_e32 v151, 16, v0
	v_and_b32_e32 v162, 0xffff, v149
	v_lshlrev_b32_e32 v149, 16, v9
	v_and_b32_e32 v160, 0xffff, v147
	v_or_b32_e32 v10, v148, v150
	v_or_b32_e32 v147, v161, v163
	v_or_b32_e32 v9, v151, v162
	s_delay_alu instid0(VALU_DEP_4)
	v_or_b32_e32 v0, v149, v160
	s_and_saveexec_b32 s0, vcc_lo
	s_cbranch_execz .LBB292_1060
; %bb.2118:                             ;   in Loop: Header=BB292_1062 Depth=1
	v_cmp_lt_i32_e32 vcc_lo, v17, v34
	s_wait_alu 0xfffd
	v_cndmask_b32_e32 v0, 0, v163, vcc_lo
	v_cmp_lt_i32_e32 vcc_lo, v96, v34
	s_wait_alu 0xfffd
	v_cndmask_b32_e32 v9, 0, v161, vcc_lo
	v_cmp_lt_i32_e32 vcc_lo, v87, v34
	s_delay_alu instid0(VALU_DEP_2)
	v_or_b32_e32 v147, v0, v9
	s_wait_alu 0xfffd
	v_cndmask_b32_e32 v10, 0, v150, vcc_lo
	v_cmp_lt_i32_e32 vcc_lo, v86, v34
	s_wait_alu 0xfffd
	v_cndmask_b32_e32 v17, 0, v148, vcc_lo
	v_cmp_lt_i32_e32 vcc_lo, v85, v34
	s_delay_alu instid0(VALU_DEP_2)
	v_or_b32_e32 v10, v10, v17
	s_wait_alu 0xfffd
	v_cndmask_b32_e32 v85, 0, v162, vcc_lo
	v_cmp_lt_i32_e32 vcc_lo, v84, v34
	s_wait_alu 0xfffd
	v_cndmask_b32_e32 v84, 0, v151, vcc_lo
	v_cmp_lt_i32_e32 vcc_lo, v83, v34
	s_delay_alu instid0(VALU_DEP_2)
	v_or_b32_e32 v9, v85, v84
	s_wait_alu 0xfffd
	v_cndmask_b32_e32 v83, 0, v160, vcc_lo
	v_cmp_lt_i32_e32 vcc_lo, v82, v34
	s_wait_alu 0xfffd
	v_cndmask_b32_e32 v82, 0, v149, vcc_lo
	s_delay_alu instid0(VALU_DEP_1)
	v_or_b32_e32 v0, v83, v82
	s_branch .LBB292_1060
.LBB292_2119:
	s_or_b32 exec_lo, exec_lo, s5
.LBB292_2120:
	s_wait_alu 0xfffe
	s_or_b32 exec_lo, exec_lo, s3
	ds_bpermute_b32 v6, v18, v66
	ds_bpermute_b32 v8, v18, v64
	;; [unrolled: 1-line block ×16, first 2 shown]
	s_wait_storecnt 0x0
	s_wait_loadcnt_dscnt 0x0
	s_barrier_signal -1
	s_barrier_wait -1
	global_inv scope:SCOPE_SE
	v_add_f32_e32 v6, v66, v6
	v_dual_add_f32 v8, v64, v8 :: v_dual_add_f32 v9, v55, v9
	v_dual_add_f32 v32, v32, v10 :: v_dual_add_f32 v29, v29, v12
	v_add_f32_e32 v28, v28, v14
	v_dual_add_f32 v0, v69, v0 :: v_dual_add_f32 v1, v70, v1
	v_dual_add_f32 v2, v68, v2 :: v_dual_add_f32 v3, v67, v3
	v_add_f32_e32 v7, v65, v7
	ds_bpermute_b32 v30, v13, v6
	v_add_f32_e32 v31, v31, v11
	ds_bpermute_b32 v10, v13, v8
	ds_bpermute_b32 v37, v13, v9
	;; [unrolled: 1-line block ×3, first 2 shown]
	v_dual_add_f32 v25, v25, v15 :: v_dual_add_f32 v24, v24, v16
	v_dual_add_f32 v21, v21, v17 :: v_dual_add_f32 v18, v20, v18
	ds_bpermute_b32 v20, v13, v28
	ds_bpermute_b32 v22, v13, v0
	;; [unrolled: 1-line block ×12, first 2 shown]
	s_load_b32 s0, s[6:7], 0x0
	s_wait_dscnt 0xf
	v_add_f32_e32 v13, v6, v30
	s_wait_dscnt 0xd
	v_dual_add_f32 v11, v8, v10 :: v_dual_add_f32 v10, v9, v37
	s_wait_dscnt 0xc
	v_add_f32_e32 v9, v32, v38
	s_mov_b32 s3, exec_lo
	s_wait_dscnt 0xb
	v_add_f32_e32 v6, v28, v20
	s_wait_dscnt 0xa
	v_dual_add_f32 v17, v0, v22 :: v_dual_and_b32 v20, 28, v36
	s_wait_dscnt 0x8
	v_dual_add_f32 v16, v1, v23 :: v_dual_add_f32 v15, v2, v26
	s_wait_dscnt 0x7
	v_add_f32_e32 v14, v3, v27
	s_wait_dscnt 0x4
	v_dual_add_f32 v12, v7, v34 :: v_dual_add_f32 v7, v29, v48
	s_wait_dscnt 0x3
	v_dual_add_f32 v8, v31, v39 :: v_dual_add_f32 v3, v25, v49
	;; [unrolled: 2-line block ×3, first 2 shown]
	v_and_b32_e32 v22, 0x3c3, v33
	s_wait_dscnt 0x0
	v_dual_add_f32 v2, v18, v52 :: v_dual_lshlrev_b32 v21, 9, v35
	v_lshrrev_b32_e32 v18, 2, v36
	s_wait_kmcnt 0x0
	v_add_nc_u32_e32 v20, s0, v20
	v_cmpx_eq_u32_e32 64, v22
	s_cbranch_execz .LBB292_2122
; %bb.2121:
	s_delay_alu instid0(VALU_DEP_2) | instskip(NEXT) | instid1(VALU_DEP_1)
	v_add_nc_u32_e32 v22, v20, v21
	v_add_nc_u32_e32 v23, 0xfffffc00, v22
	;; [unrolled: 1-line block ×9, first 2 shown]
	ds_store_b32 v23, v17
	ds_store_b32 v24, v16
	;; [unrolled: 1-line block ×8, first 2 shown]
	v_add_nc_u32_e32 v23, 0xfffffd00, v22
	v_add_nc_u32_e32 v24, 0xfffffd20, v22
	;; [unrolled: 1-line block ×8, first 2 shown]
	ds_store_b32 v23, v9
	ds_store_b32 v24, v8
	;; [unrolled: 1-line block ×8, first 2 shown]
.LBB292_2122:
	s_wait_alu 0xfffe
	s_or_b32 exec_lo, exec_lo, s3
	v_lshlrev_b32_e32 v18, 2, v18
	s_mov_b32 s3, exec_lo
	v_cmp_eq_u32_e32 vcc_lo, 0, v19
	s_wait_loadcnt_dscnt 0x0
	s_barrier_signal -1
	v_add3_u32 v18, s0, v21, v18
	s_barrier_wait -1
	global_inv scope:SCOPE_SE
	v_cmpx_gt_u32_e32 64, v33
	s_cbranch_execz .LBB292_2141
; %bb.2123:
	s_and_saveexec_b32 s0, vcc_lo
	s_cbranch_execnz .LBB292_2165
; %bb.2124:
	s_wait_alu 0xfffe
	s_or_b32 exec_lo, exec_lo, s0
	s_and_saveexec_b32 s0, vcc_lo
	s_cbranch_execnz .LBB292_2166
.LBB292_2125:
	s_wait_alu 0xfffe
	s_or_b32 exec_lo, exec_lo, s0
	s_and_saveexec_b32 s0, vcc_lo
	s_cbranch_execnz .LBB292_2167
.LBB292_2126:
	s_wait_alu 0xfffe
	s_or_b32 exec_lo, exec_lo, s0
	s_and_saveexec_b32 s0, vcc_lo
	s_cbranch_execnz .LBB292_2168
.LBB292_2127:
	s_wait_alu 0xfffe
	s_or_b32 exec_lo, exec_lo, s0
	s_and_saveexec_b32 s0, vcc_lo
	s_cbranch_execnz .LBB292_2169
.LBB292_2128:
	s_wait_alu 0xfffe
	s_or_b32 exec_lo, exec_lo, s0
	s_and_saveexec_b32 s0, vcc_lo
	s_cbranch_execnz .LBB292_2170
.LBB292_2129:
	s_wait_alu 0xfffe
	s_or_b32 exec_lo, exec_lo, s0
	s_and_saveexec_b32 s0, vcc_lo
	s_cbranch_execnz .LBB292_2171
.LBB292_2130:
	s_wait_alu 0xfffe
	s_or_b32 exec_lo, exec_lo, s0
	s_and_saveexec_b32 s0, vcc_lo
	s_cbranch_execnz .LBB292_2172
.LBB292_2131:
	s_wait_alu 0xfffe
	s_or_b32 exec_lo, exec_lo, s0
	s_and_saveexec_b32 s0, vcc_lo
	s_cbranch_execnz .LBB292_2173
.LBB292_2132:
	s_wait_alu 0xfffe
	s_or_b32 exec_lo, exec_lo, s0
	s_and_saveexec_b32 s0, vcc_lo
	s_cbranch_execnz .LBB292_2174
.LBB292_2133:
	s_wait_alu 0xfffe
	s_or_b32 exec_lo, exec_lo, s0
	s_and_saveexec_b32 s0, vcc_lo
	s_cbranch_execnz .LBB292_2175
.LBB292_2134:
	s_wait_alu 0xfffe
	s_or_b32 exec_lo, exec_lo, s0
	s_and_saveexec_b32 s0, vcc_lo
	s_cbranch_execnz .LBB292_2176
.LBB292_2135:
	s_wait_alu 0xfffe
	s_or_b32 exec_lo, exec_lo, s0
	s_and_saveexec_b32 s0, vcc_lo
	s_cbranch_execnz .LBB292_2177
.LBB292_2136:
	s_wait_alu 0xfffe
	s_or_b32 exec_lo, exec_lo, s0
	s_and_saveexec_b32 s0, vcc_lo
	s_cbranch_execnz .LBB292_2178
.LBB292_2137:
	s_wait_alu 0xfffe
	s_or_b32 exec_lo, exec_lo, s0
	s_and_saveexec_b32 s0, vcc_lo
	s_cbranch_execnz .LBB292_2179
.LBB292_2138:
	s_wait_alu 0xfffe
	s_or_b32 exec_lo, exec_lo, s0
	s_and_saveexec_b32 s0, vcc_lo
	s_cbranch_execz .LBB292_2140
.LBB292_2139:
	ds_load_b32 v19, v18 offset:480
	s_wait_dscnt 0x0
	v_add_f32_e32 v2, v19, v2
.LBB292_2140:
	s_wait_alu 0xfffe
	s_or_b32 exec_lo, exec_lo, s0
.LBB292_2141:
	s_wait_alu 0xfffe
	s_or_b32 exec_lo, exec_lo, s3
	v_and_b32_e32 v19, 0x3e3, v33
	s_mov_b32 s3, exec_lo
	s_wait_loadcnt 0x0
	s_barrier_signal -1
	s_barrier_wait -1
	global_inv scope:SCOPE_SE
	v_cmpx_eq_u32_e32 32, v19
	s_cbranch_execz .LBB292_2143
; %bb.2142:
	ds_store_2addr_b32 v20, v17, v16 offset1:8
	ds_store_2addr_b32 v20, v15, v14 offset0:16 offset1:24
	ds_store_2addr_b32 v20, v13, v12 offset0:32 offset1:40
	;; [unrolled: 1-line block ×7, first 2 shown]
.LBB292_2143:
	s_wait_alu 0xfffe
	s_or_b32 exec_lo, exec_lo, s3
	s_delay_alu instid0(SALU_CYCLE_1)
	s_mov_b32 s3, exec_lo
	s_wait_loadcnt_dscnt 0x0
	s_barrier_signal -1
	s_barrier_wait -1
	global_inv scope:SCOPE_SE
	v_cmpx_gt_u32_e32 32, v33
	s_cbranch_execz .LBB292_2162
; %bb.2144:
	s_and_saveexec_b32 s0, vcc_lo
	s_cbranch_execnz .LBB292_2180
; %bb.2145:
	s_wait_alu 0xfffe
	s_or_b32 exec_lo, exec_lo, s0
	s_and_saveexec_b32 s0, vcc_lo
	s_cbranch_execnz .LBB292_2181
.LBB292_2146:
	s_wait_alu 0xfffe
	s_or_b32 exec_lo, exec_lo, s0
	s_and_saveexec_b32 s0, vcc_lo
	s_cbranch_execnz .LBB292_2182
.LBB292_2147:
	s_wait_alu 0xfffe
	s_or_b32 exec_lo, exec_lo, s0
	s_and_saveexec_b32 s0, vcc_lo
	s_cbranch_execnz .LBB292_2183
.LBB292_2148:
	s_wait_alu 0xfffe
	s_or_b32 exec_lo, exec_lo, s0
	s_and_saveexec_b32 s0, vcc_lo
	s_cbranch_execnz .LBB292_2184
.LBB292_2149:
	s_wait_alu 0xfffe
	s_or_b32 exec_lo, exec_lo, s0
	s_and_saveexec_b32 s0, vcc_lo
	s_cbranch_execnz .LBB292_2185
.LBB292_2150:
	s_wait_alu 0xfffe
	s_or_b32 exec_lo, exec_lo, s0
	s_and_saveexec_b32 s0, vcc_lo
	s_cbranch_execnz .LBB292_2186
.LBB292_2151:
	s_wait_alu 0xfffe
	s_or_b32 exec_lo, exec_lo, s0
	s_and_saveexec_b32 s0, vcc_lo
	s_cbranch_execnz .LBB292_2187
.LBB292_2152:
	s_wait_alu 0xfffe
	s_or_b32 exec_lo, exec_lo, s0
	s_and_saveexec_b32 s0, vcc_lo
	s_cbranch_execnz .LBB292_2188
.LBB292_2153:
	s_wait_alu 0xfffe
	s_or_b32 exec_lo, exec_lo, s0
	s_and_saveexec_b32 s0, vcc_lo
	s_cbranch_execnz .LBB292_2189
.LBB292_2154:
	s_wait_alu 0xfffe
	s_or_b32 exec_lo, exec_lo, s0
	s_and_saveexec_b32 s0, vcc_lo
	s_cbranch_execnz .LBB292_2190
.LBB292_2155:
	s_wait_alu 0xfffe
	s_or_b32 exec_lo, exec_lo, s0
	s_and_saveexec_b32 s0, vcc_lo
	s_cbranch_execnz .LBB292_2191
.LBB292_2156:
	s_wait_alu 0xfffe
	s_or_b32 exec_lo, exec_lo, s0
	s_and_saveexec_b32 s0, vcc_lo
	s_cbranch_execnz .LBB292_2192
.LBB292_2157:
	s_wait_alu 0xfffe
	s_or_b32 exec_lo, exec_lo, s0
	s_and_saveexec_b32 s0, vcc_lo
	s_cbranch_execnz .LBB292_2193
.LBB292_2158:
	s_wait_alu 0xfffe
	s_or_b32 exec_lo, exec_lo, s0
	s_and_saveexec_b32 s0, vcc_lo
	s_cbranch_execnz .LBB292_2194
.LBB292_2159:
	s_wait_alu 0xfffe
	s_or_b32 exec_lo, exec_lo, s0
	s_and_saveexec_b32 s0, vcc_lo
	s_cbranch_execz .LBB292_2161
.LBB292_2160:
	ds_load_b32 v18, v18 offset:480
	s_wait_dscnt 0x0
	v_add_f32_e32 v2, v18, v2
.LBB292_2161:
	s_wait_alu 0xfffe
	s_or_b32 exec_lo, exec_lo, s0
.LBB292_2162:
	s_wait_alu 0xfffe
	s_or_b32 exec_lo, exec_lo, s3
	v_cmp_eq_u32_e32 vcc_lo, 0, v19
	s_wait_loadcnt 0x0
	s_barrier_signal -1
	s_barrier_wait -1
	global_inv scope:SCOPE_SE
	s_and_b32 exec_lo, exec_lo, vcc_lo
	s_cbranch_execz .LBB292_2164
; %bb.2163:
	s_lshl_b32 s0, s2, 7
	s_mul_i32 s2, s4, s1
	s_wait_alu 0xfffe
	s_ashr_i32 s1, s0, 31
	s_ashr_i32 s3, s2, 31
	s_wait_alu 0xfffe
	s_lshl_b64 s[0:1], s[0:1], 1
	v_lshrrev_b32_e32 v18, 1, v33
	s_wait_alu 0xfffe
	v_add_co_u32 v4, vcc_lo, v4, s0
	s_wait_alu 0xfffd
	v_add_co_ci_u32_e64 v5, null, s1, v5, vcc_lo
	s_lshl_b64 s[0:1], s[2:3], 1
	;;#ASMSTART
	v_cvt_f16_f32 v17, v17;

	;;#ASMEND
	s_wait_alu 0xfffe
	v_add_co_u32 v4, vcc_lo, v4, s0
	s_wait_alu 0xfffd
	v_add_co_ci_u32_e64 v5, null, s1, v5, vcc_lo
	s_lshl_b32 s0, s13, 8
	s_wait_alu 0xfffe
	v_add_co_u32 v4, vcc_lo, v4, s0
	s_wait_alu 0xfffd
	v_add_co_ci_u32_e64 v5, null, 0, v5, vcc_lo
	s_delay_alu instid0(VALU_DEP_2) | instskip(SKIP_1) | instid1(VALU_DEP_2)
	v_add_co_u32 v4, vcc_lo, v4, v18
	s_wait_alu 0xfffd
	v_add_co_ci_u32_e64 v5, null, 0, v5, vcc_lo
	flat_store_b16 v[4:5], v17
	;;#ASMSTART
	v_cvt_f16_f32 v16, v16;

	;;#ASMEND
	flat_store_b16 v[4:5], v16 offset:16
	;;#ASMSTART
	v_cvt_f16_f32 v15, v15;

	;;#ASMEND
	flat_store_b16 v[4:5], v15 offset:32
	;; [unrolled: 5-line block ×15, first 2 shown]
.LBB292_2164:
	s_wait_alu 0xfffe
	s_or_b32 exec_lo, exec_lo, s12
	s_clause 0x1f
	scratch_load_b32 v191, off, s32 offset:8
	scratch_load_b32 v190, off, s32 offset:12
	;; [unrolled: 1-line block ×32, first 2 shown]
	s_clause 0x1f
	scratch_load_b32 v127, off, s32 offset:136
	scratch_load_b32 v126, off, s32 offset:140
	;; [unrolled: 1-line block ×32, first 2 shown]
	s_clause 0xf
	scratch_load_b32 v63, off, s32 offset:264
	scratch_load_b32 v62, off, s32 offset:268
	;; [unrolled: 1-line block ×16, first 2 shown]
	s_wait_loadcnt_dscnt 0x0
	s_setpc_b64 s[30:31]
.LBB292_2165:
	ds_load_b32 v19, v18
	s_wait_dscnt 0x0
	v_add_f32_e32 v17, v19, v17
	s_wait_alu 0xfffe
	s_or_b32 exec_lo, exec_lo, s0
	s_and_saveexec_b32 s0, vcc_lo
	s_cbranch_execz .LBB292_2125
.LBB292_2166:
	ds_load_b32 v19, v18 offset:32
	s_wait_dscnt 0x0
	v_add_f32_e32 v16, v19, v16
	s_wait_alu 0xfffe
	s_or_b32 exec_lo, exec_lo, s0
	s_and_saveexec_b32 s0, vcc_lo
	s_cbranch_execz .LBB292_2126
.LBB292_2167:
	ds_load_b32 v19, v18 offset:64
	s_wait_dscnt 0x0
	v_add_f32_e32 v15, v19, v15
	s_wait_alu 0xfffe
	s_or_b32 exec_lo, exec_lo, s0
	s_and_saveexec_b32 s0, vcc_lo
	s_cbranch_execz .LBB292_2127
.LBB292_2168:
	ds_load_b32 v19, v18 offset:96
	s_wait_dscnt 0x0
	v_add_f32_e32 v14, v19, v14
	s_wait_alu 0xfffe
	s_or_b32 exec_lo, exec_lo, s0
	s_and_saveexec_b32 s0, vcc_lo
	s_cbranch_execz .LBB292_2128
.LBB292_2169:
	ds_load_b32 v19, v18 offset:128
	s_wait_dscnt 0x0
	v_add_f32_e32 v13, v19, v13
	s_wait_alu 0xfffe
	s_or_b32 exec_lo, exec_lo, s0
	s_and_saveexec_b32 s0, vcc_lo
	s_cbranch_execz .LBB292_2129
.LBB292_2170:
	ds_load_b32 v19, v18 offset:160
	s_wait_dscnt 0x0
	v_add_f32_e32 v12, v19, v12
	s_wait_alu 0xfffe
	s_or_b32 exec_lo, exec_lo, s0
	s_and_saveexec_b32 s0, vcc_lo
	s_cbranch_execz .LBB292_2130
.LBB292_2171:
	ds_load_b32 v19, v18 offset:192
	s_wait_dscnt 0x0
	v_add_f32_e32 v11, v19, v11
	s_wait_alu 0xfffe
	s_or_b32 exec_lo, exec_lo, s0
	s_and_saveexec_b32 s0, vcc_lo
	s_cbranch_execz .LBB292_2131
.LBB292_2172:
	ds_load_b32 v19, v18 offset:224
	s_wait_dscnt 0x0
	v_add_f32_e32 v10, v19, v10
	s_wait_alu 0xfffe
	s_or_b32 exec_lo, exec_lo, s0
	s_and_saveexec_b32 s0, vcc_lo
	s_cbranch_execz .LBB292_2132
.LBB292_2173:
	ds_load_b32 v19, v18 offset:256
	s_wait_dscnt 0x0
	v_add_f32_e32 v9, v19, v9
	s_wait_alu 0xfffe
	s_or_b32 exec_lo, exec_lo, s0
	s_and_saveexec_b32 s0, vcc_lo
	s_cbranch_execz .LBB292_2133
.LBB292_2174:
	ds_load_b32 v19, v18 offset:288
	s_wait_dscnt 0x0
	v_add_f32_e32 v8, v19, v8
	s_wait_alu 0xfffe
	s_or_b32 exec_lo, exec_lo, s0
	s_and_saveexec_b32 s0, vcc_lo
	s_cbranch_execz .LBB292_2134
.LBB292_2175:
	ds_load_b32 v19, v18 offset:320
	s_wait_dscnt 0x0
	v_add_f32_e32 v7, v19, v7
	s_wait_alu 0xfffe
	s_or_b32 exec_lo, exec_lo, s0
	s_and_saveexec_b32 s0, vcc_lo
	s_cbranch_execz .LBB292_2135
.LBB292_2176:
	ds_load_b32 v19, v18 offset:352
	s_wait_dscnt 0x0
	v_add_f32_e32 v6, v19, v6
	s_wait_alu 0xfffe
	s_or_b32 exec_lo, exec_lo, s0
	s_and_saveexec_b32 s0, vcc_lo
	s_cbranch_execz .LBB292_2136
.LBB292_2177:
	ds_load_b32 v19, v18 offset:384
	s_wait_dscnt 0x0
	v_add_f32_e32 v3, v19, v3
	s_wait_alu 0xfffe
	s_or_b32 exec_lo, exec_lo, s0
	s_and_saveexec_b32 s0, vcc_lo
	s_cbranch_execz .LBB292_2137
.LBB292_2178:
	ds_load_b32 v19, v18 offset:416
	s_wait_dscnt 0x0
	v_add_f32_e32 v1, v19, v1
	s_wait_alu 0xfffe
	s_or_b32 exec_lo, exec_lo, s0
	s_and_saveexec_b32 s0, vcc_lo
	s_cbranch_execz .LBB292_2138
.LBB292_2179:
	ds_load_b32 v19, v18 offset:448
	s_wait_dscnt 0x0
	v_add_f32_e32 v0, v19, v0
	s_wait_alu 0xfffe
	s_or_b32 exec_lo, exec_lo, s0
	s_and_saveexec_b32 s0, vcc_lo
	s_cbranch_execnz .LBB292_2139
	s_branch .LBB292_2140
.LBB292_2180:
	ds_load_b32 v20, v18
	s_wait_dscnt 0x0
	v_add_f32_e32 v17, v20, v17
	s_wait_alu 0xfffe
	s_or_b32 exec_lo, exec_lo, s0
	s_and_saveexec_b32 s0, vcc_lo
	s_cbranch_execz .LBB292_2146
.LBB292_2181:
	ds_load_b32 v20, v18 offset:32
	s_wait_dscnt 0x0
	v_add_f32_e32 v16, v20, v16
	s_wait_alu 0xfffe
	s_or_b32 exec_lo, exec_lo, s0
	s_and_saveexec_b32 s0, vcc_lo
	s_cbranch_execz .LBB292_2147
.LBB292_2182:
	ds_load_b32 v20, v18 offset:64
	s_wait_dscnt 0x0
	v_add_f32_e32 v15, v20, v15
	s_wait_alu 0xfffe
	s_or_b32 exec_lo, exec_lo, s0
	s_and_saveexec_b32 s0, vcc_lo
	s_cbranch_execz .LBB292_2148
.LBB292_2183:
	ds_load_b32 v20, v18 offset:96
	s_wait_dscnt 0x0
	v_add_f32_e32 v14, v20, v14
	s_wait_alu 0xfffe
	s_or_b32 exec_lo, exec_lo, s0
	s_and_saveexec_b32 s0, vcc_lo
	s_cbranch_execz .LBB292_2149
.LBB292_2184:
	ds_load_b32 v20, v18 offset:128
	s_wait_dscnt 0x0
	v_add_f32_e32 v13, v20, v13
	s_wait_alu 0xfffe
	s_or_b32 exec_lo, exec_lo, s0
	s_and_saveexec_b32 s0, vcc_lo
	s_cbranch_execz .LBB292_2150
.LBB292_2185:
	ds_load_b32 v20, v18 offset:160
	s_wait_dscnt 0x0
	v_add_f32_e32 v12, v20, v12
	s_wait_alu 0xfffe
	s_or_b32 exec_lo, exec_lo, s0
	s_and_saveexec_b32 s0, vcc_lo
	s_cbranch_execz .LBB292_2151
.LBB292_2186:
	ds_load_b32 v20, v18 offset:192
	s_wait_dscnt 0x0
	v_add_f32_e32 v11, v20, v11
	s_wait_alu 0xfffe
	s_or_b32 exec_lo, exec_lo, s0
	s_and_saveexec_b32 s0, vcc_lo
	s_cbranch_execz .LBB292_2152
.LBB292_2187:
	ds_load_b32 v20, v18 offset:224
	s_wait_dscnt 0x0
	v_add_f32_e32 v10, v20, v10
	s_wait_alu 0xfffe
	s_or_b32 exec_lo, exec_lo, s0
	s_and_saveexec_b32 s0, vcc_lo
	s_cbranch_execz .LBB292_2153
.LBB292_2188:
	ds_load_b32 v20, v18 offset:256
	s_wait_dscnt 0x0
	v_add_f32_e32 v9, v20, v9
	s_wait_alu 0xfffe
	s_or_b32 exec_lo, exec_lo, s0
	s_and_saveexec_b32 s0, vcc_lo
	s_cbranch_execz .LBB292_2154
.LBB292_2189:
	ds_load_b32 v20, v18 offset:288
	s_wait_dscnt 0x0
	v_add_f32_e32 v8, v20, v8
	s_wait_alu 0xfffe
	s_or_b32 exec_lo, exec_lo, s0
	s_and_saveexec_b32 s0, vcc_lo
	s_cbranch_execz .LBB292_2155
.LBB292_2190:
	ds_load_b32 v20, v18 offset:320
	s_wait_dscnt 0x0
	v_add_f32_e32 v7, v20, v7
	s_wait_alu 0xfffe
	s_or_b32 exec_lo, exec_lo, s0
	s_and_saveexec_b32 s0, vcc_lo
	s_cbranch_execz .LBB292_2156
.LBB292_2191:
	ds_load_b32 v20, v18 offset:352
	s_wait_dscnt 0x0
	v_add_f32_e32 v6, v20, v6
	s_wait_alu 0xfffe
	s_or_b32 exec_lo, exec_lo, s0
	s_and_saveexec_b32 s0, vcc_lo
	s_cbranch_execz .LBB292_2157
.LBB292_2192:
	ds_load_b32 v20, v18 offset:384
	s_wait_dscnt 0x0
	v_add_f32_e32 v3, v20, v3
	s_wait_alu 0xfffe
	s_or_b32 exec_lo, exec_lo, s0
	s_and_saveexec_b32 s0, vcc_lo
	s_cbranch_execz .LBB292_2158
.LBB292_2193:
	ds_load_b32 v20, v18 offset:416
	s_wait_dscnt 0x0
	v_add_f32_e32 v1, v20, v1
	s_wait_alu 0xfffe
	s_or_b32 exec_lo, exec_lo, s0
	s_and_saveexec_b32 s0, vcc_lo
	s_cbranch_execz .LBB292_2159
.LBB292_2194:
	ds_load_b32 v20, v18 offset:448
	s_wait_dscnt 0x0
	v_add_f32_e32 v0, v20, v0
	s_wait_alu 0xfffe
	s_or_b32 exec_lo, exec_lo, s0
	s_and_saveexec_b32 s0, vcc_lo
	s_cbranch_execnz .LBB292_2160
	s_branch .LBB292_2161
.Lfunc_end292:
	.size	_ZN4vllm22paged_attention_kernelIthLi128ELi32ELi128ELNS_18Fp8KVCacheDataTypeE1ELb1ELi512EEEvPfS2_PT_PKS3_PKT0_S9_ifPKiSB_iPKfiiiSD_SD_iiiii, .Lfunc_end292-_ZN4vllm22paged_attention_kernelIthLi128ELi32ELi128ELNS_18Fp8KVCacheDataTypeE1ELb1ELi512EEEvPfS2_PT_PKS3_PKT0_S9_ifPKiSB_iPKfiiiSD_SD_iiiii
                                        ; -- End function
	.set .L_ZN4vllm22paged_attention_kernelIthLi128ELi32ELi128ELNS_18Fp8KVCacheDataTypeE1ELb1ELi512EEEvPfS2_PT_PKS3_PKT0_S9_ifPKiSB_iPKfiiiSD_SD_iiiii.num_vgpr, 192
	.set .L_ZN4vllm22paged_attention_kernelIthLi128ELi32ELi128ELNS_18Fp8KVCacheDataTypeE1ELb1ELi512EEEvPfS2_PT_PKS3_PKT0_S9_ifPKiSB_iPKfiiiSD_SD_iiiii.num_agpr, 0
	.set .L_ZN4vllm22paged_attention_kernelIthLi128ELi32ELi128ELNS_18Fp8KVCacheDataTypeE1ELb1ELi512EEEvPfS2_PT_PKS3_PKT0_S9_ifPKiSB_iPKfiiiSD_SD_iiiii.numbered_sgpr, 33
	.set .L_ZN4vllm22paged_attention_kernelIthLi128ELi32ELi128ELNS_18Fp8KVCacheDataTypeE1ELb1ELi512EEEvPfS2_PT_PKS3_PKT0_S9_ifPKiSB_iPKfiiiSD_SD_iiiii.num_named_barrier, 0
	.set .L_ZN4vllm22paged_attention_kernelIthLi128ELi32ELi128ELNS_18Fp8KVCacheDataTypeE1ELb1ELi512EEEvPfS2_PT_PKS3_PKT0_S9_ifPKiSB_iPKfiiiSD_SD_iiiii.private_seg_size, 332
	.set .L_ZN4vllm22paged_attention_kernelIthLi128ELi32ELi128ELNS_18Fp8KVCacheDataTypeE1ELb1ELi512EEEvPfS2_PT_PKS3_PKT0_S9_ifPKiSB_iPKfiiiSD_SD_iiiii.uses_vcc, 1
	.set .L_ZN4vllm22paged_attention_kernelIthLi128ELi32ELi128ELNS_18Fp8KVCacheDataTypeE1ELb1ELi512EEEvPfS2_PT_PKS3_PKT0_S9_ifPKiSB_iPKfiiiSD_SD_iiiii.uses_flat_scratch, 1
	.set .L_ZN4vllm22paged_attention_kernelIthLi128ELi32ELi128ELNS_18Fp8KVCacheDataTypeE1ELb1ELi512EEEvPfS2_PT_PKS3_PKT0_S9_ifPKiSB_iPKfiiiSD_SD_iiiii.has_dyn_sized_stack, 0
	.set .L_ZN4vllm22paged_attention_kernelIthLi128ELi32ELi128ELNS_18Fp8KVCacheDataTypeE1ELb1ELi512EEEvPfS2_PT_PKS3_PKT0_S9_ifPKiSB_iPKfiiiSD_SD_iiiii.has_recursion, 0
	.set .L_ZN4vllm22paged_attention_kernelIthLi128ELi32ELi128ELNS_18Fp8KVCacheDataTypeE1ELb1ELi512EEEvPfS2_PT_PKS3_PKT0_S9_ifPKiSB_iPKfiiiSD_SD_iiiii.has_indirect_call, 0
	.section	.AMDGPU.csdata,"",@progbits
; Function info:
; codeLenInByte = 85720
; TotalNumSgprs: 35
; NumVgprs: 192
; ScratchSize: 332
; MemoryBound: 0
	.section	.text._ZN4vllm25paged_attention_v2_kernelIthLi128ELi32ELi128ELNS_18Fp8KVCacheDataTypeE1ELb1ELi512EEEvPfS2_PT_PKS3_PKT0_S9_ifPKiSB_iPKfiiiSD_SD_iiiii,"axG",@progbits,_ZN4vllm25paged_attention_v2_kernelIthLi128ELi32ELi128ELNS_18Fp8KVCacheDataTypeE1ELb1ELi512EEEvPfS2_PT_PKS3_PKT0_S9_ifPKiSB_iPKfiiiSD_SD_iiiii,comdat
	.protected	_ZN4vllm25paged_attention_v2_kernelIthLi128ELi32ELi128ELNS_18Fp8KVCacheDataTypeE1ELb1ELi512EEEvPfS2_PT_PKS3_PKT0_S9_ifPKiSB_iPKfiiiSD_SD_iiiii ; -- Begin function _ZN4vllm25paged_attention_v2_kernelIthLi128ELi32ELi128ELNS_18Fp8KVCacheDataTypeE1ELb1ELi512EEEvPfS2_PT_PKS3_PKT0_S9_ifPKiSB_iPKfiiiSD_SD_iiiii
	.globl	_ZN4vllm25paged_attention_v2_kernelIthLi128ELi32ELi128ELNS_18Fp8KVCacheDataTypeE1ELb1ELi512EEEvPfS2_PT_PKS3_PKT0_S9_ifPKiSB_iPKfiiiSD_SD_iiiii
	.p2align	8
	.type	_ZN4vllm25paged_attention_v2_kernelIthLi128ELi32ELi128ELNS_18Fp8KVCacheDataTypeE1ELb1ELi512EEEvPfS2_PT_PKS3_PKT0_S9_ifPKiSB_iPKfiiiSD_SD_iiiii,@function
_ZN4vllm25paged_attention_v2_kernelIthLi128ELi32ELi128ELNS_18Fp8KVCacheDataTypeE1ELb1ELi512EEEvPfS2_PT_PKS3_PKT0_S9_ifPKiSB_iPKfiiiSD_SD_iiiii: ; @_ZN4vllm25paged_attention_v2_kernelIthLi128ELi32ELi128ELNS_18Fp8KVCacheDataTypeE1ELb1ELi512EEEvPfS2_PT_PKS3_PKT0_S9_ifPKiSB_iPKfiiiSD_SD_iiiii
; %bb.0:
	s_clause 0x3
	s_load_b256 s[12:19], s[0:1], 0x68
	s_load_b32 s4, s[0:1], 0x88
	s_load_b256 s[20:27], s[0:1], 0x0
	s_load_b256 s[36:43], s[0:1], 0x20
	s_mov_b32 s32, 0
	v_mov_b32_e32 v31, v0
	s_getpc_b64 s[2:3]
	s_sext_i32_i16 s3, s3
	s_add_co_u32 s2, s2, _ZN4vllm22paged_attention_kernelIthLi128ELi32ELi128ELNS_18Fp8KVCacheDataTypeE1ELb1ELi512EEEvPfS2_PT_PKS3_PKT0_S9_ifPKiSB_iPKfiiiSD_SD_iiiii@rel32@lo+8
	s_add_co_ci_u32 s3, s3, _ZN4vllm22paged_attention_kernelIthLi128ELi32ELi128ELNS_18Fp8KVCacheDataTypeE1ELb1ELi512EEEvPfS2_PT_PKS3_PKT0_S9_ifPKiSB_iPKfiiiSD_SD_iiiii@rel32@hi+16
	s_add_nc_u64 s[8:9], s[0:1], 0x90
	s_wait_kmcnt 0x0
	v_dual_mov_b32 v1, s19 :: v_dual_mov_b32 v2, s4
	s_clause 0x2
	s_load_b96 s[4:6], s[0:1], 0x40
	s_load_b64 s[10:11], s[0:1], 0x50
	s_load_b96 s[28:30], s[0:1], 0x58
	v_dual_mov_b32 v0, s20 :: v_dual_mov_b32 v3, s23
	v_mov_b32_e32 v4, s24
	scratch_store_b64 off, v[1:2], s32
	v_dual_mov_b32 v1, s21 :: v_dual_mov_b32 v2, s22
	v_dual_mov_b32 v5, s25 :: v_dual_mov_b32 v6, s26
	;; [unrolled: 1-line block ×6, first 2 shown]
	s_wait_kmcnt 0x0
	v_dual_mov_b32 v15, s43 :: v_dual_mov_b32 v16, s4
	v_dual_mov_b32 v17, s5 :: v_dual_mov_b32 v18, s6
	;; [unrolled: 1-line block ×8, first 2 shown]
	s_mov_b32 s15, 5
	s_wait_alu 0xfffe
	s_swappc_b64 s[30:31], s[2:3]
	s_endpgm
	.section	.rodata,"a",@progbits
	.p2align	6, 0x0
	.amdhsa_kernel _ZN4vllm25paged_attention_v2_kernelIthLi128ELi32ELi128ELNS_18Fp8KVCacheDataTypeE1ELb1ELi512EEEvPfS2_PT_PKS3_PKT0_S9_ifPKiSB_iPKfiiiSD_SD_iiiii
		.amdhsa_group_segment_fixed_size 288
		.amdhsa_private_segment_fixed_size 332
		.amdhsa_kernarg_size 400
		.amdhsa_user_sgpr_count 2
		.amdhsa_user_sgpr_dispatch_ptr 0
		.amdhsa_user_sgpr_queue_ptr 0
		.amdhsa_user_sgpr_kernarg_segment_ptr 1
		.amdhsa_user_sgpr_dispatch_id 0
		.amdhsa_user_sgpr_private_segment_size 0
		.amdhsa_wavefront_size32 1
		.amdhsa_uses_dynamic_stack 0
		.amdhsa_enable_private_segment 1
		.amdhsa_system_sgpr_workgroup_id_x 1
		.amdhsa_system_sgpr_workgroup_id_y 1
		.amdhsa_system_sgpr_workgroup_id_z 1
		.amdhsa_system_sgpr_workgroup_info 0
		.amdhsa_system_vgpr_workitem_id 0
		.amdhsa_next_free_vgpr 192
		.amdhsa_next_free_sgpr 44
		.amdhsa_reserve_vcc 1
		.amdhsa_float_round_mode_32 0
		.amdhsa_float_round_mode_16_64 0
		.amdhsa_float_denorm_mode_32 3
		.amdhsa_float_denorm_mode_16_64 3
		.amdhsa_fp16_overflow 0
		.amdhsa_workgroup_processor_mode 1
		.amdhsa_memory_ordered 1
		.amdhsa_forward_progress 1
		.amdhsa_inst_pref_size 3
		.amdhsa_round_robin_scheduling 0
		.amdhsa_exception_fp_ieee_invalid_op 0
		.amdhsa_exception_fp_denorm_src 0
		.amdhsa_exception_fp_ieee_div_zero 0
		.amdhsa_exception_fp_ieee_overflow 0
		.amdhsa_exception_fp_ieee_underflow 0
		.amdhsa_exception_fp_ieee_inexact 0
		.amdhsa_exception_int_div_zero 0
	.end_amdhsa_kernel
	.section	.text._ZN4vllm25paged_attention_v2_kernelIthLi128ELi32ELi128ELNS_18Fp8KVCacheDataTypeE1ELb1ELi512EEEvPfS2_PT_PKS3_PKT0_S9_ifPKiSB_iPKfiiiSD_SD_iiiii,"axG",@progbits,_ZN4vllm25paged_attention_v2_kernelIthLi128ELi32ELi128ELNS_18Fp8KVCacheDataTypeE1ELb1ELi512EEEvPfS2_PT_PKS3_PKT0_S9_ifPKiSB_iPKfiiiSD_SD_iiiii,comdat
.Lfunc_end293:
	.size	_ZN4vllm25paged_attention_v2_kernelIthLi128ELi32ELi128ELNS_18Fp8KVCacheDataTypeE1ELb1ELi512EEEvPfS2_PT_PKS3_PKT0_S9_ifPKiSB_iPKfiiiSD_SD_iiiii, .Lfunc_end293-_ZN4vllm25paged_attention_v2_kernelIthLi128ELi32ELi128ELNS_18Fp8KVCacheDataTypeE1ELb1ELi512EEEvPfS2_PT_PKS3_PKT0_S9_ifPKiSB_iPKfiiiSD_SD_iiiii
                                        ; -- End function
	.set _ZN4vllm25paged_attention_v2_kernelIthLi128ELi32ELi128ELNS_18Fp8KVCacheDataTypeE1ELb1ELi512EEEvPfS2_PT_PKS3_PKT0_S9_ifPKiSB_iPKfiiiSD_SD_iiiii.num_vgpr, max(32, .L_ZN4vllm22paged_attention_kernelIthLi128ELi32ELi128ELNS_18Fp8KVCacheDataTypeE1ELb1ELi512EEEvPfS2_PT_PKS3_PKT0_S9_ifPKiSB_iPKfiiiSD_SD_iiiii.num_vgpr)
	.set _ZN4vllm25paged_attention_v2_kernelIthLi128ELi32ELi128ELNS_18Fp8KVCacheDataTypeE1ELb1ELi512EEEvPfS2_PT_PKS3_PKT0_S9_ifPKiSB_iPKfiiiSD_SD_iiiii.num_agpr, max(0, .L_ZN4vllm22paged_attention_kernelIthLi128ELi32ELi128ELNS_18Fp8KVCacheDataTypeE1ELb1ELi512EEEvPfS2_PT_PKS3_PKT0_S9_ifPKiSB_iPKfiiiSD_SD_iiiii.num_agpr)
	.set _ZN4vllm25paged_attention_v2_kernelIthLi128ELi32ELi128ELNS_18Fp8KVCacheDataTypeE1ELb1ELi512EEEvPfS2_PT_PKS3_PKT0_S9_ifPKiSB_iPKfiiiSD_SD_iiiii.numbered_sgpr, max(44, .L_ZN4vllm22paged_attention_kernelIthLi128ELi32ELi128ELNS_18Fp8KVCacheDataTypeE1ELb1ELi512EEEvPfS2_PT_PKS3_PKT0_S9_ifPKiSB_iPKfiiiSD_SD_iiiii.numbered_sgpr)
	.set _ZN4vllm25paged_attention_v2_kernelIthLi128ELi32ELi128ELNS_18Fp8KVCacheDataTypeE1ELb1ELi512EEEvPfS2_PT_PKS3_PKT0_S9_ifPKiSB_iPKfiiiSD_SD_iiiii.num_named_barrier, max(0, .L_ZN4vllm22paged_attention_kernelIthLi128ELi32ELi128ELNS_18Fp8KVCacheDataTypeE1ELb1ELi512EEEvPfS2_PT_PKS3_PKT0_S9_ifPKiSB_iPKfiiiSD_SD_iiiii.num_named_barrier)
	.set _ZN4vllm25paged_attention_v2_kernelIthLi128ELi32ELi128ELNS_18Fp8KVCacheDataTypeE1ELb1ELi512EEEvPfS2_PT_PKS3_PKT0_S9_ifPKiSB_iPKfiiiSD_SD_iiiii.private_seg_size, 0+max(.L_ZN4vllm22paged_attention_kernelIthLi128ELi32ELi128ELNS_18Fp8KVCacheDataTypeE1ELb1ELi512EEEvPfS2_PT_PKS3_PKT0_S9_ifPKiSB_iPKfiiiSD_SD_iiiii.private_seg_size)
	.set _ZN4vllm25paged_attention_v2_kernelIthLi128ELi32ELi128ELNS_18Fp8KVCacheDataTypeE1ELb1ELi512EEEvPfS2_PT_PKS3_PKT0_S9_ifPKiSB_iPKfiiiSD_SD_iiiii.uses_vcc, or(1, .L_ZN4vllm22paged_attention_kernelIthLi128ELi32ELi128ELNS_18Fp8KVCacheDataTypeE1ELb1ELi512EEEvPfS2_PT_PKS3_PKT0_S9_ifPKiSB_iPKfiiiSD_SD_iiiii.uses_vcc)
	.set _ZN4vllm25paged_attention_v2_kernelIthLi128ELi32ELi128ELNS_18Fp8KVCacheDataTypeE1ELb1ELi512EEEvPfS2_PT_PKS3_PKT0_S9_ifPKiSB_iPKfiiiSD_SD_iiiii.uses_flat_scratch, or(0, .L_ZN4vllm22paged_attention_kernelIthLi128ELi32ELi128ELNS_18Fp8KVCacheDataTypeE1ELb1ELi512EEEvPfS2_PT_PKS3_PKT0_S9_ifPKiSB_iPKfiiiSD_SD_iiiii.uses_flat_scratch)
	.set _ZN4vllm25paged_attention_v2_kernelIthLi128ELi32ELi128ELNS_18Fp8KVCacheDataTypeE1ELb1ELi512EEEvPfS2_PT_PKS3_PKT0_S9_ifPKiSB_iPKfiiiSD_SD_iiiii.has_dyn_sized_stack, or(0, .L_ZN4vllm22paged_attention_kernelIthLi128ELi32ELi128ELNS_18Fp8KVCacheDataTypeE1ELb1ELi512EEEvPfS2_PT_PKS3_PKT0_S9_ifPKiSB_iPKfiiiSD_SD_iiiii.has_dyn_sized_stack)
	.set _ZN4vllm25paged_attention_v2_kernelIthLi128ELi32ELi128ELNS_18Fp8KVCacheDataTypeE1ELb1ELi512EEEvPfS2_PT_PKS3_PKT0_S9_ifPKiSB_iPKfiiiSD_SD_iiiii.has_recursion, or(0, .L_ZN4vllm22paged_attention_kernelIthLi128ELi32ELi128ELNS_18Fp8KVCacheDataTypeE1ELb1ELi512EEEvPfS2_PT_PKS3_PKT0_S9_ifPKiSB_iPKfiiiSD_SD_iiiii.has_recursion)
	.set _ZN4vllm25paged_attention_v2_kernelIthLi128ELi32ELi128ELNS_18Fp8KVCacheDataTypeE1ELb1ELi512EEEvPfS2_PT_PKS3_PKT0_S9_ifPKiSB_iPKfiiiSD_SD_iiiii.has_indirect_call, or(0, .L_ZN4vllm22paged_attention_kernelIthLi128ELi32ELi128ELNS_18Fp8KVCacheDataTypeE1ELb1ELi512EEEvPfS2_PT_PKS3_PKT0_S9_ifPKiSB_iPKfiiiSD_SD_iiiii.has_indirect_call)
	.section	.AMDGPU.csdata,"",@progbits
; Kernel info:
; codeLenInByte = 272
; TotalNumSgprs: 46
; NumVgprs: 192
; ScratchSize: 332
; MemoryBound: 0
; FloatMode: 240
; IeeeMode: 1
; LDSByteSize: 288 bytes/workgroup (compile time only)
; SGPRBlocks: 0
; VGPRBlocks: 23
; NumSGPRsForWavesPerEU: 46
; NumVGPRsForWavesPerEU: 192
; Occupancy: 8
; WaveLimiterHint : 1
; COMPUTE_PGM_RSRC2:SCRATCH_EN: 1
; COMPUTE_PGM_RSRC2:USER_SGPR: 2
; COMPUTE_PGM_RSRC2:TRAP_HANDLER: 0
; COMPUTE_PGM_RSRC2:TGID_X_EN: 1
; COMPUTE_PGM_RSRC2:TGID_Y_EN: 1
; COMPUTE_PGM_RSRC2:TGID_Z_EN: 1
; COMPUTE_PGM_RSRC2:TIDIG_COMP_CNT: 0
	.text
	.p2align	2                               ; -- Begin function _ZN4vllm22paged_attention_kernelIthLi192ELi32ELi128ELNS_18Fp8KVCacheDataTypeE1ELb1ELi512EEEvPfS2_PT_PKS3_PKT0_S9_ifPKiSB_iPKfiiiSD_SD_iiiii
	.type	_ZN4vllm22paged_attention_kernelIthLi192ELi32ELi128ELNS_18Fp8KVCacheDataTypeE1ELb1ELi512EEEvPfS2_PT_PKS3_PKT0_S9_ifPKiSB_iPKfiiiSD_SD_iiiii,@function
_ZN4vllm22paged_attention_kernelIthLi192ELi32ELi128ELNS_18Fp8KVCacheDataTypeE1ELb1ELi512EEEvPfS2_PT_PKS3_PKT0_S9_ifPKiSB_iPKfiiiSD_SD_iiiii: ; @_ZN4vllm22paged_attention_kernelIthLi192ELi32ELi128ELNS_18Fp8KVCacheDataTypeE1ELb1ELi512EEEvPfS2_PT_PKS3_PKT0_S9_ifPKiSB_iPKfiiiSD_SD_iiiii
; %bb.0:
	s_wait_loadcnt_dscnt 0x0
	s_wait_expcnt 0x0
	s_wait_samplecnt 0x0
	s_wait_bvhcnt 0x0
	s_wait_kmcnt 0x0
	s_mov_b32 s6, s15
	s_and_b32 s15, ttmp7, 0xffff
	s_clause 0x1f
	scratch_store_b32 off, v40, s32 offset:324
	; meta instruction
	scratch_store_b32 off, v41, s32 offset:320
	; meta instruction
	;; [unrolled: 2-line block ×31, first 2 shown]
	scratch_store_b32 off, v95, s32 offset:200
	s_clause 0x1f
	scratch_store_b32 off, v104, s32 offset:196
	; meta instruction
	scratch_store_b32 off, v105, s32 offset:192
	; meta instruction
	;; [unrolled: 2-line block ×31, first 2 shown]
	scratch_store_b32 off, v159, s32 offset:72
	s_clause 0x19
	scratch_store_b32 off, v168, s32 offset:68
	; meta instruction
	scratch_store_b32 off, v169, s32 offset:64
	; meta instruction
	;; [unrolled: 2-line block ×16, first 2 shown]
	scratch_store_b32 off, v30, s32 offset:580
	scratch_store_b64 off, v[24:25], s32 offset:548
	scratch_store_b32 off, v22, s32 offset:424
	scratch_store_b32 off, v15, s32 offset:588
	;; [unrolled: 1-line block ×8, first 2 shown]
	s_wait_alu 0xfffe
	s_lshl_b32 s0, s15, 2
	v_dual_mov_b32 v15, v1 :: v_dual_mov_b32 v22, v0
	s_wait_alu 0xfffe
	v_add_co_u32 v0, vcc_lo, v16, s0
	s_wait_alu 0xfffd
	v_add_co_ci_u32_e64 v1, null, 0, v17, vcc_lo
	v_dual_mov_b32 v24, v3 :: v_dual_mov_b32 v25, v2
	flat_load_b32 v34, v[0:1]
	s_clause 0x1
	scratch_load_b32 v0, off, s32 offset:4
	scratch_load_b32 v1, off, s32
	s_lshr_b32 s13, ttmp7, 16
	s_mov_b32 s12, exec_lo
	s_wait_alu 0xfffe
	s_lshl_b32 s14, s13, 9
	s_wait_loadcnt_dscnt 0x200
	s_wait_alu 0xfffe
	v_cmpx_lt_i32_e64 s14, v34
	s_cbranch_execz .LBB294_3220
; %bb.1:
	v_dual_mov_b32 v3, 0 :: v_dual_mov_b32 v2, 0
	s_clause 0x1
	s_load_u16 s0, s[8:9], 0x12
	s_load_b32 s1, s[8:9], 0x0
	global_load_u16 v4, v3, s[8:9] offset:22
	scratch_store_b32 off, v2, s32 offset:560 ; 4-byte Folded Spill
	v_sub_nc_u32_e32 v2, 0, v12
	s_delay_alu instid0(VALU_DEP_1) | instskip(NEXT) | instid1(VALU_DEP_1)
	v_max_i32_e32 v2, v12, v2
	v_cvt_f32_u32_e32 v3, v2
	v_sub_nc_u32_e32 v5, 0, v2
	s_delay_alu instid0(VALU_DEP_2)
	v_rcp_iflag_f32_e32 v3, v3
	s_wait_kmcnt 0x0
	s_cmp_lg_u32 s0, 0
	s_cselect_b32 s0, -1, 0
	s_wait_alu 0xfffe
	s_cmp_lg_u32 s0, 0
	s_add_co_ci_u32 s16, s1, 0
	s_mov_b32 s1, exec_lo
	s_wait_alu 0xfffe
	s_abs_i32 s0, s16
	v_mul_f32_e32 v3, 0x4f7ffffe, v3
	s_delay_alu instid0(VALU_DEP_1) | instskip(NEXT) | instid1(VALU_DEP_1)
	v_cvt_u32_f32_e32 v3, v3
	v_mul_lo_u32 v5, v5, v3
	s_delay_alu instid0(VALU_DEP_1) | instskip(NEXT) | instid1(VALU_DEP_1)
	v_mul_hi_u32 v5, v3, v5
	v_add_nc_u32_e32 v3, v3, v5
	s_wait_alu 0xfffe
	s_delay_alu instid0(VALU_DEP_1) | instskip(NEXT) | instid1(VALU_DEP_1)
	v_mul_hi_u32 v3, s0, v3
	v_mul_lo_u32 v5, v3, v2
	v_add_nc_u32_e32 v10, 1, v3
	s_delay_alu instid0(VALU_DEP_2) | instskip(SKIP_1) | instid1(VALU_DEP_1)
	v_sub_nc_u32_e32 v5, s0, v5
	s_abs_i32 s0, ttmp9
	v_sub_nc_u32_e32 v11, v5, v2
	v_cmp_ge_u32_e32 vcc_lo, v5, v2
	s_wait_alu 0xfffd
	v_cndmask_b32_e32 v3, v3, v10, vcc_lo
	s_delay_alu instid0(VALU_DEP_3) | instskip(SKIP_1) | instid1(VALU_DEP_3)
	v_cndmask_b32_e32 v5, v5, v11, vcc_lo
	v_xor_b32_e32 v10, s16, v12
	v_add_nc_u32_e32 v11, 1, v3
	s_delay_alu instid0(VALU_DEP_3) | instskip(NEXT) | instid1(VALU_DEP_3)
	v_cmp_ge_u32_e32 vcc_lo, v5, v2
	v_ashrrev_i32_e32 v10, 31, v10
	s_wait_alu 0xfffd
	s_delay_alu instid0(VALU_DEP_3) | instskip(NEXT) | instid1(VALU_DEP_1)
	v_cndmask_b32_e32 v2, v3, v11, vcc_lo
	v_xor_b32_e32 v2, v2, v10
	s_delay_alu instid0(VALU_DEP_1) | instskip(NEXT) | instid1(VALU_DEP_1)
	v_sub_nc_u32_e32 v3, v2, v10
	v_sub_nc_u32_e32 v2, 0, v3
	s_delay_alu instid0(VALU_DEP_1) | instskip(NEXT) | instid1(VALU_DEP_1)
	v_max_i32_e32 v2, v3, v2
	v_cvt_f32_u32_e32 v5, v2
	v_sub_nc_u32_e32 v10, 0, v2
	s_delay_alu instid0(VALU_DEP_2) | instskip(NEXT) | instid1(TRANS32_DEP_1)
	v_rcp_iflag_f32_e32 v5, v5
	v_mul_f32_e32 v5, 0x4f7ffffe, v5
	s_delay_alu instid0(VALU_DEP_1) | instskip(NEXT) | instid1(VALU_DEP_1)
	v_cvt_u32_f32_e32 v5, v5
	v_mul_lo_u32 v10, v10, v5
	s_delay_alu instid0(VALU_DEP_1) | instskip(NEXT) | instid1(VALU_DEP_1)
	v_mul_hi_u32 v10, v5, v10
	v_add_nc_u32_e32 v5, v5, v10
	s_wait_alu 0xfffe
	s_delay_alu instid0(VALU_DEP_1)
	v_mad_co_u64_u32 v[16:17], null, s0, v5, 0
	s_wait_loadcnt 0x0
	v_readfirstlane_b32 s17, v4
	v_cmpx_ne_u64_e32 0, v[19:20]
	s_cbranch_execz .LBB294_3
; %bb.2:
	s_mov_b32 s2, ttmp9
	s_ashr_i32 s3, ttmp9, 31
	s_wait_alu 0xfffe
	s_lshl_b64 s[2:3], s[2:3], 2
	s_wait_alu 0xfffe
	v_add_co_u32 v4, vcc_lo, v19, s2
	s_wait_alu 0xfffd
	v_add_co_ci_u32_e64 v5, null, s3, v20, vcc_lo
	flat_load_b32 v4, v[4:5]
	s_wait_loadcnt_dscnt 0x0
	scratch_store_b32 off, v4, s32 offset:560 ; 4-byte Folded Spill
.LBB294_3:
	s_or_b32 exec_lo, exec_lo, s1
	v_and_b32_e32 v14, 0x3ff, v31
	v_ashrrev_i32_e32 v3, 31, v3
	s_ashr_i32 s1, ttmp9, 31
	s_mul_i32 s4, ttmp9, 0xc0
	s_mov_b32 s2, exec_lo
	v_cmpx_gt_u32_e32 24, v14
	s_cbranch_execz .LBB294_5
; %bb.4:
	v_mul_lo_u32 v4, v21, s15
	s_wait_alu 0xfffe
	s_ashr_i32 s5, s4, 31
	v_lshlrev_b32_e32 v10, 4, v14
	s_wait_alu 0xfffe
	s_lshl_b64 s[10:11], s[4:5], 1
	s_delay_alu instid0(VALU_DEP_2) | instskip(NEXT) | instid1(VALU_DEP_1)
	v_ashrrev_i32_e32 v5, 31, v4
	v_lshlrev_b64_e32 v[4:5], 1, v[4:5]
	s_delay_alu instid0(VALU_DEP_1) | instskip(SKIP_1) | instid1(VALU_DEP_2)
	v_add_co_u32 v4, vcc_lo, v6, v4
	s_wait_alu 0xfffd
	v_add_co_ci_u32_e64 v5, null, v7, v5, vcc_lo
	s_wait_alu 0xfffe
	s_delay_alu instid0(VALU_DEP_2) | instskip(SKIP_1) | instid1(VALU_DEP_2)
	v_add_co_u32 v4, vcc_lo, v4, s10
	s_wait_alu 0xfffd
	v_add_co_ci_u32_e64 v5, null, s11, v5, vcc_lo
	s_delay_alu instid0(VALU_DEP_2) | instskip(SKIP_1) | instid1(VALU_DEP_2)
	v_add_co_u32 v4, vcc_lo, v4, v10
	s_wait_alu 0xfffd
	v_add_co_ci_u32_e64 v5, null, 0, v5, vcc_lo
	flat_load_b128 v[4:7], v[4:5]
	s_wait_loadcnt_dscnt 0x0
	ds_store_b128 v10, v[4:7]
.LBB294_5:
	s_wait_alu 0xfffe
	s_or_b32 exec_lo, exec_lo, s2
	v_sub_nc_u32_e32 v4, 0, v1
	v_mul_lo_u32 v5, v17, v2
	v_xor_b32_e32 v3, s1, v3
	s_delay_alu instid0(VALU_DEP_3) | instskip(NEXT) | instid1(VALU_DEP_3)
	v_max_i32_e32 v7, v1, v4
	v_sub_nc_u32_e32 v5, s0, v5
	s_delay_alu instid0(VALU_DEP_2) | instskip(SKIP_1) | instid1(VALU_DEP_2)
	v_cvt_f32_u32_e32 v4, v7
	s_mov_b32 s0, exec_lo
	v_sub_nc_u32_e32 v10, v5, v2
	s_delay_alu instid0(VALU_DEP_2) | instskip(SKIP_1) | instid1(TRANS32_DEP_1)
	v_rcp_iflag_f32_e32 v4, v4
	v_cmp_ge_u32_e32 vcc_lo, v5, v2
	v_mul_f32_e32 v4, 0x4f7ffffe, v4
	s_delay_alu instid0(VALU_DEP_1) | instskip(SKIP_1) | instid1(VALU_DEP_1)
	v_cvt_u32_f32_e32 v6, v4
	v_sub_nc_u32_e32 v4, 0, v7
	v_mul_lo_u32 v11, v4, v6
	v_add_nc_u32_e32 v4, -1, v34
	s_delay_alu instid0(VALU_DEP_1) | instskip(NEXT) | instid1(VALU_DEP_3)
	v_sub_nc_u32_e32 v13, 0, v4
	v_mul_hi_u32 v11, v6, v11
	s_delay_alu instid0(VALU_DEP_1)
	v_add_nc_u32_e32 v6, v6, v11
	scratch_store_b32 off, v7, s32 offset:328 ; 4-byte Folded Spill
	v_add_nc_u32_e32 v7, 1, v17
	scratch_store_b32 off, v6, s32 offset:348 ; 4-byte Folded Spill
	s_wait_storecnt_dscnt 0x0
	s_wait_alu 0xfffd
	v_cndmask_b32_e32 v7, v17, v7, vcc_lo
	v_cndmask_b32_e32 v5, v5, v10, vcc_lo
	s_barrier_signal -1
	s_barrier_wait -1
	global_inv scope:SCOPE_SE
	v_add_nc_u32_e32 v10, 1, v7
	v_cmp_ge_u32_e32 vcc_lo, v5, v2
	v_max_i32_e32 v2, v4, v13
	s_wait_alu 0xfffd
	s_delay_alu instid0(VALU_DEP_3) | instskip(NEXT) | instid1(VALU_DEP_2)
	v_cndmask_b32_e32 v5, v7, v10, vcc_lo
	v_mad_co_u64_u32 v[16:17], null, v2, v6, 0
	s_delay_alu instid0(VALU_DEP_2) | instskip(NEXT) | instid1(VALU_DEP_1)
	v_xor_b32_e32 v5, v5, v3
	v_sub_nc_u32_e32 v16, v5, v3
                                        ; implicit-def: $vgpr3
	scratch_store_b64 off, v[3:4], s32 offset:332 ; 8-byte Folded Spill
	v_cmpx_gt_i32_e32 0, v0
	s_wait_alu 0xfffe
	s_xor_b32 s0, exec_lo, s0
	s_cbranch_execz .LBB294_7
; %bb.6:
	v_mad_co_u64_u32 v[5:6], null, v28, v12, v[16:17]
                                        ; implicit-def: $vgpr28
	s_delay_alu instid0(VALU_DEP_1) | instskip(NEXT) | instid1(VALU_DEP_1)
	v_mul_lo_u32 v0, v5, v0
	v_sub_nc_u32_e32 v0, 1, v0
	scratch_store_b64 off, v[0:1], s32 offset:332 ; 8-byte Folded Spill
                                        ; implicit-def: $vgpr0
.LBB294_7:
	s_wait_alu 0xfffe
	s_or_saveexec_b32 s0, s0
	v_ashrrev_i32_e32 v3, 31, v4
	v_ashrrev_i32_e32 v1, 31, v1
	scratch_store_b32 off, v1, s32 offset:340 ; 4-byte Folded Spill
	s_wait_alu 0xfffe
	s_xor_b32 exec_lo, exec_lo, s0
	s_cbranch_execz .LBB294_9
; %bb.8:
	s_mov_b32 s2, ttmp9
	s_wait_alu 0xfffe
	v_mad_co_u64_u32 v[4:5], null, s16, v28, s[2:3]
	s_delay_alu instid0(VALU_DEP_1)
	v_mad_co_u64_u32 v[0:1], null, v4, v0, 1
	scratch_store_b64 off, v[0:1], s32 offset:332 ; 8-byte Folded Spill
.LBB294_9:
	s_or_b32 exec_lo, exec_lo, s0
	s_clause 0x1
	scratch_load_b32 v10, off, s32 offset:328
	scratch_load_b32 v7, off, s32 offset:340
	s_load_b32 s5, s[8:9], 0x8
	s_lshl_b32 s3, s13, 4
	v_mov_b32_e32 v11, 0xff7fffff
	s_wait_alu 0xfffe
	s_add_co_i32 s0, s3, 16
	s_wait_loadcnt 0x1
	v_mul_lo_u32 v0, v17, v10
	s_wait_loadcnt 0x0
	v_xor_b32_e32 v3, v3, v7
	v_lshrrev_b32_e32 v7, 5, v14
	scratch_store_b32 off, v14, s32 offset:576 ; 4-byte Folded Spill
	v_add_nc_u32_e32 v72, s3, v7
	v_sub_nc_u32_e32 v2, v2, v0
	v_add_nc_u32_e32 v0, 1, v17
	s_delay_alu instid0(VALU_DEP_2) | instskip(SKIP_2) | instid1(VALU_DEP_3)
	v_sub_nc_u32_e32 v5, v2, v10
	v_cmp_ge_u32_e32 vcc_lo, v2, v10
	s_wait_alu 0xfffd
	v_dual_cndmask_b32 v6, v17, v0 :: v_dual_add_nc_u32 v1, 31, v34
	s_delay_alu instid0(VALU_DEP_1) | instskip(SKIP_2) | instid1(VALU_DEP_4)
	v_ashrrev_i32_e32 v4, 31, v1
	v_cndmask_b32_e32 v2, v2, v5, vcc_lo
	v_mul_lo_u32 v0, v18, s15
	v_add_nc_u32_e32 v5, 1, v6
	s_delay_alu instid0(VALU_DEP_4) | instskip(NEXT) | instid1(VALU_DEP_4)
	v_lshrrev_b32_e32 v4, 27, v4
	v_cmp_ge_u32_e32 vcc_lo, v2, v10
	s_wait_alu 0xfffd
	s_delay_alu instid0(VALU_DEP_2) | instskip(SKIP_2) | instid1(VALU_DEP_3)
	v_dual_cndmask_b32 v2, v6, v5 :: v_dual_add_nc_u32 v1, v1, v4
	v_mul_lo_u32 v6, v16, v23
	v_and_b32_e32 v4, 31, v14
	v_ashrrev_i32_e32 v5, 5, v1
	s_delay_alu instid0(VALU_DEP_4)
	v_xor_b32_e32 v2, v2, v3
	v_ashrrev_i32_e32 v1, 31, v0
	scratch_store_b32 off, v7, s32 offset:584 ; 4-byte Folded Spill
	v_lshlrev_b32_e32 v10, 2, v4
	scratch_store_b32 off, v5, s32 offset:632 ; 4-byte Folded Spill
	v_sub_nc_u32_e32 v2, v2, v3
	scratch_load_b32 v3, off, s32 offset:580 ; 4-byte Folded Reload
	v_lshlrev_b64_e32 v[0:1], 2, v[0:1]
	s_wait_alu 0xfffe
	v_min_i32_e32 v5, s0, v5
	s_delay_alu instid0(VALU_DEP_1)
	v_cmp_lt_i32_e64 s0, v72, v5
	s_wait_loadcnt 0x0
	v_sub_nc_u32_e32 v3, 0, v3
	s_clause 0x1
	scratch_store_b32 off, v3, s32 offset:628
	scratch_store_b32 off, v6, s32 offset:612
	v_ashrrev_i32_e32 v3, 31, v6
	s_clause 0x2
	scratch_store_b32 off, v3, s32 offset:616
	scratch_store_b64 off, v[0:1], s32 offset:620
	scratch_store_b32 off, v5, s32 offset:344
	v_sub_nc_u32_e32 v0, v2, v29
	s_clause 0x1
	scratch_store_b32 off, v0, s32 offset:352
	scratch_store_b32 off, v4, s32 offset:544
	s_and_saveexec_b32 s18, s0
	s_cbranch_execz .LBB294_1553
; %bb.10:
	s_clause 0x3
	scratch_store_b32 off, v25, s32 offset:648
	scratch_store_b32 off, v24, s32 offset:644
	;; [unrolled: 1-line block ×4, first 2 shown]
	s_clause 0x5
	scratch_load_b32 v0, off, s32 offset:580
	scratch_load_b32 v1, off, s32 offset:628
	;; [unrolled: 1-line block ×6, first 2 shown]
	s_ashr_i32 s7, s6, 31
	s_getpc_b64 s[8:9]
	s_wait_alu 0xfffe
	s_sext_i32_i16 s9, s9
	s_add_co_u32 s8, s8, llvm.amdgcn.dynlds.offset.table@rel32@lo+12
	s_wait_alu 0xfffe
	s_add_co_ci_u32 s9, s9, llvm.amdgcn.dynlds.offset.table@rel32@hi+24
	s_lshl_b64 s[10:11], s[6:7], 2
	v_mov_b32_e32 v68, v72
	s_wait_alu 0xfffe
	s_add_nc_u64 s[8:9], s[8:9], s[10:11]
	s_mov_b32 s10, -1
	s_load_b32 s7, s[8:9], 0x0
	s_mov_b32 s19, 0
	s_mov_b32 s11, 0xffffff
	s_wait_loadcnt 0x4
	v_max_i32_e32 v5, v0, v1
	scratch_load_b32 v1, off, s32 offset:612 ; 4-byte Folded Reload
	s_wait_loadcnt 0x1
	v_lshl_add_u32 v64, v6, 5, s14
	v_cvt_f32_u32_e32 v0, v5
	v_lshl_or_b32 v65, v6, 7, v10
	v_sub_nc_u32_e32 v6, v7, v34
	v_mov_b32_e32 v11, 0xff7fffff
	s_delay_alu instid0(VALU_DEP_4) | instskip(NEXT) | instid1(TRANS32_DEP_1)
	v_rcp_iflag_f32_e32 v0, v0
	v_dual_mul_f32 v0, 0x4f7ffffe, v0 :: v_dual_lshlrev_b32 v3, 4, v7
	s_delay_alu instid0(VALU_DEP_1)
	v_cvt_u32_f32_e32 v0, v0
	s_wait_loadcnt 0x0
	v_add_co_u32 v1, vcc_lo, v8, v1
	s_wait_alu 0xfffd
	v_add_co_ci_u32_e64 v2, null, v9, v2, vcc_lo
	v_mov_b32_e32 v9, 0
	s_delay_alu instid0(VALU_DEP_3) | instskip(SKIP_1) | instid1(VALU_DEP_3)
	v_add_co_u32 v1, s1, v1, v3
	s_wait_alu 0xf1ff
	v_add_co_ci_u32_e64 v2, null, 0, v2, s1
	s_clause 0x1
	scratch_store_b32 off, v5, s32 offset:428
	scratch_store_b32 off, v10, s32 offset:652
	v_sub_nc_u32_e32 v5, 0, v5
	scratch_store_b64 off, v[1:2], s32 offset:564 ; 8-byte Folded Spill
	scratch_load_b64 v[2:3], off, s32 offset:620 ; 8-byte Folded Reload
	v_cmp_neq_f32_e32 vcc_lo, 0, v4
	v_lshlrev_b32_e32 v4, 2, v72
	v_mul_lo_u32 v5, v5, v0
	s_delay_alu instid0(VALU_DEP_1) | instskip(NEXT) | instid1(VALU_DEP_1)
	v_mul_hi_u32 v1, v0, v5
	v_add_nc_u32_e32 v0, v0, v1
	scratch_store_b32 off, v0, s32 offset:432 ; 4-byte Folded Spill
	s_wait_loadcnt 0x0
	v_add_co_u32 v2, s1, v2, v4
	v_add_nc_u32_e32 v4, 1, v6
	s_wait_alu 0xf1ff
	v_add_co_ci_u32_e64 v3, null, 0, v3, s1
	scratch_store_b32 off, v4, s32 offset:572 ; 4-byte Folded Spill
	scratch_load_b32 v4, off, s32 offset:592 ; 4-byte Folded Reload
	s_wait_loadcnt 0x0
	v_add_co_u32 v20, s1, v4, v2
	scratch_load_b32 v2, off, s32 offset:588 ; 4-byte Folded Reload
	s_wait_loadcnt 0x0
	s_wait_alu 0xf1ff
	v_add_co_ci_u32_e64 v21, null, v2, v3, s1
	s_branch .LBB294_16
.LBB294_11:                             ;   in Loop: Header=BB294_16 Depth=1
	s_wait_alu 0xfffe
	s_or_b32 exec_lo, exec_lo, s23
	v_lshlrev_b32_e32 v8, 8, v8
	v_lshl_add_u32 v29, v29, 10, 0x2000
	v_lshlrev_b32_e32 v28, 23, v28
	s_delay_alu instid0(VALU_DEP_2) | instskip(NEXT) | instid1(VALU_DEP_1)
	v_and_or_b32 v8, 0x8000, v8, v29
	v_lshl_or_b32 v191, v8, 16, v28
.LBB294_12:                             ;   in Loop: Header=BB294_16 Depth=1
	s_wait_alu 0xfffe
	s_or_b32 exec_lo, exec_lo, s22
.LBB294_13:                             ;   in Loop: Header=BB294_16 Depth=1
	s_wait_alu 0xfffe
	s_or_b32 exec_lo, exec_lo, s21
.LBB294_14:                             ;   in Loop: Header=BB294_16 Depth=1
	s_wait_alu 0xfffe
	s_or_b32 exec_lo, exec_lo, s20
	v_or_b32_e32 v8, v109, v107
	v_fma_mixlo_f16 v28, v69, v109, 0 op_sel:[0,1,0] op_sel_hi:[0,1,0]
	v_or_b32_e32 v0, v3, v0
	v_or_b32_e32 v1, v30, v1
	v_fma_mixlo_f16 v32, v69, v71, 0 op_sel:[0,1,0] op_sel_hi:[0,1,0]
	v_fma_mixlo_f16 v8, v69, v8, 0 op_sel_hi:[0,1,0]
	v_fma_mixlo_f16 v101, v69, v118, 0 op_sel:[0,1,0] op_sel_hi:[0,1,0]
	v_fma_mixlo_f16 v109, v69, v126, 0 op_sel:[0,1,0] op_sel_hi:[0,1,0]
	v_fma_mixlo_f16 v29, v69, v82, 0 op_sel:[0,1,0] op_sel_hi:[0,1,0]
	v_fma_mixlo_f16 v107, v69, v128, 0 op_sel:[0,1,0] op_sel_hi:[0,1,0]
	scratch_store_b32 off, v8, s32 offset:460 ; 4-byte Folded Spill
	v_or_b32_e32 v8, v106, v105
	s_delay_alu instid0(VALU_DEP_1) | instskip(SKIP_2) | instid1(VALU_DEP_1)
	v_fma_mixlo_f16 v8, v69, v8, 0 op_sel_hi:[0,1,0]
	scratch_store_b32 off, v8, s32 offset:468 ; 4-byte Folded Spill
	v_or_b32_e32 v8, v143, v108
	v_fma_mixlo_f16 v8, v69, v8, 0 op_sel_hi:[0,1,0]
	scratch_store_b32 off, v8, s32 offset:452 ; 4-byte Folded Spill
	v_or_b32_e32 v8, v172, v110
	s_delay_alu instid0(VALU_DEP_1)
	v_fma_mixlo_f16 v8, v69, v8, 0 op_sel_hi:[0,1,0]
	scratch_store_b32 off, v28, s32 offset:456 ; 4-byte Folded Spill
	v_fma_mixlo_f16 v28, v69, v106, 0 op_sel:[0,1,0] op_sel_hi:[0,1,0]
	scratch_store_b32 off, v8, s32 offset:444 ; 4-byte Folded Spill
	v_fma_mixlo_f16 v8, v69, v172, 0 op_sel:[0,1,0] op_sel_hi:[0,1,0]
	;; [unrolled: 2-line block ×3, first 2 shown]
	v_fma_mixlo_f16 v143, v69, v53, 0 op_sel:[0,1,0] op_sel_hi:[0,1,0]
	scratch_store_b32 off, v8, s32 offset:440 ; 4-byte Folded Spill
	v_or_b32_e32 v8, v94, v79
	scratch_store_b32 off, v28, s32 offset:448 ; 4-byte Folded Spill
	v_fma_mixlo_f16 v28, v69, v94, 0 op_sel:[0,1,0] op_sel_hi:[0,1,0]
	v_fma_mixlo_f16 v94, v69, v3, 0 op_sel:[0,1,0] op_sel_hi:[0,1,0]
	v_fma_mixlo_f16 v8, v69, v8, 0 op_sel_hi:[0,1,0]
	scratch_store_b32 off, v8, s32 offset:492 ; 4-byte Folded Spill
	v_or_b32_e32 v8, v78, v77
	s_delay_alu instid0(VALU_DEP_1) | instskip(SKIP_4) | instid1(VALU_DEP_3)
	v_fma_mixlo_f16 v8, v69, v8, 0 op_sel_hi:[0,1,0]
	scratch_store_b32 off, v8, s32 offset:500 ; 4-byte Folded Spill
	v_or_b32_e32 v8, v88, v93
	v_fma_mixlo_f16 v93, v69, v0, 0 op_sel_hi:[0,1,0]
	v_or_b32_e32 v0, v48, v12
	v_fma_mixlo_f16 v8, v69, v8, 0 op_sel_hi:[0,1,0]
	scratch_store_b32 off, v8, s32 offset:484 ; 4-byte Folded Spill
	v_or_b32_e32 v8, v90, v85
	s_delay_alu instid0(VALU_DEP_1)
	v_fma_mixlo_f16 v8, v69, v8, 0 op_sel_hi:[0,1,0]
	scratch_store_b32 off, v28, s32 offset:488 ; 4-byte Folded Spill
	v_fma_mixlo_f16 v28, v69, v78, 0 op_sel:[0,1,0] op_sel_hi:[0,1,0]
	v_fma_mixlo_f16 v78, v69, v86, 0 op_sel:[0,1,0] op_sel_hi:[0,1,0]
	scratch_store_b32 off, v8, s32 offset:476 ; 4-byte Folded Spill
	v_fma_mixlo_f16 v8, v69, v90, 0 op_sel:[0,1,0] op_sel_hi:[0,1,0]
	scratch_store_b32 off, v28, s32 offset:496 ; 4-byte Folded Spill
	v_fma_mixlo_f16 v28, v69, v88, 0 op_sel:[0,1,0] op_sel_hi:[0,1,0]
	scratch_store_b32 off, v8, s32 offset:472 ; 4-byte Folded Spill
	v_or_b32_e32 v8, v139, v137
	scratch_store_b32 off, v28, s32 offset:480 ; 4-byte Folded Spill
	v_fma_mixlo_f16 v28, v69, v139, 0 op_sel:[0,1,0] op_sel_hi:[0,1,0]
	v_fma_mixlo_f16 v137, v69, v0, 0 op_sel_hi:[0,1,0]
	v_or_b32_e32 v0, v53, v52
	v_fma_mixlo_f16 v8, v69, v8, 0 op_sel_hi:[0,1,0]
	s_delay_alu instid0(VALU_DEP_2) | instskip(SKIP_4) | instid1(VALU_DEP_3)
	v_fma_mixlo_f16 v139, v69, v0, 0 op_sel_hi:[0,1,0]
	scratch_store_b32 off, v8, s32 offset:524 ; 4-byte Folded Spill
	v_or_b32_e32 v8, v122, v121
	v_or_b32_e32 v0, v19, v18
	v_fma_mixlo_f16 v121, v69, v1, 0 op_sel_hi:[0,1,0]
	v_fma_mixlo_f16 v8, v69, v8, 0 op_sel_hi:[0,1,0]
	scratch_store_b32 off, v8, s32 offset:532 ; 4-byte Folded Spill
	v_or_b32_e32 v8, v171, v138
	v_fma_mixlo_f16 v138, v69, v48, 0 op_sel:[0,1,0] op_sel_hi:[0,1,0]
	v_fma_mixlo_f16 v48, v69, v16, 0 op_sel:[0,1,0] op_sel_hi:[0,1,0]
	s_delay_alu instid0(VALU_DEP_3) | instskip(SKIP_2) | instid1(VALU_DEP_1)
	v_fma_mixlo_f16 v8, v69, v8, 0 op_sel_hi:[0,1,0]
	scratch_store_b32 off, v8, s32 offset:516 ; 4-byte Folded Spill
	v_or_b32_e32 v8, v36, v169
	v_fma_mixlo_f16 v8, v69, v8, 0 op_sel_hi:[0,1,0]
	scratch_store_b32 off, v28, s32 offset:520 ; 4-byte Folded Spill
	v_fma_mixlo_f16 v28, v69, v122, 0 op_sel:[0,1,0] op_sel_hi:[0,1,0]
	v_fma_mixlo_f16 v122, v69, v30, 0 op_sel:[0,1,0] op_sel_hi:[0,1,0]
	scratch_store_b32 off, v8, s32 offset:508 ; 4-byte Folded Spill
	v_fma_mixlo_f16 v8, v69, v36, 0 op_sel:[0,1,0] op_sel_hi:[0,1,0]
	scratch_store_b32 off, v28, s32 offset:528 ; 4-byte Folded Spill
	v_fma_mixlo_f16 v28, v69, v171, 0 op_sel:[0,1,0] op_sel_hi:[0,1,0]
	v_fma_mixlo_f16 v171, v69, v154, 0 op_sel:[0,1,0] op_sel_hi:[0,1,0]
	;; [unrolled: 1-line block ×3, first 2 shown]
	scratch_store_b32 off, v8, s32 offset:504 ; 4-byte Folded Spill
	v_or_b32_e32 v8, v159, v157
	scratch_store_b32 off, v28, s32 offset:512 ; 4-byte Folded Spill
	v_fma_mixlo_f16 v28, v69, v83, 0 op_sel:[0,1,0] op_sel_hi:[0,1,0]
	v_fma_mixlo_f16 v157, v69, v189, 0 op_sel:[0,1,0] op_sel_hi:[0,1,0]
	;; [unrolled: 1-line block ×3, first 2 shown]
	v_fma_mixlo_f16 v169, v69, v8, 0 op_sel_hi:[0,1,0]
	v_or_b32_e32 v8, v154, v153
	v_fma_mixlo_f16 v154, v69, v50, 0 op_sel:[0,1,0] op_sel_hi:[0,1,0]
	s_delay_alu instid0(VALU_DEP_2) | instskip(SKIP_2) | instid1(VALU_DEP_2)
	v_fma_mixlo_f16 v172, v69, v8, 0 op_sel_hi:[0,1,0]
	v_or_b32_e32 v8, v189, v158
	v_fma_mixlo_f16 v189, v69, v173, 0 op_sel:[0,1,0] op_sel_hi:[0,1,0]
	v_fma_mixlo_f16 v158, v69, v8, 0 op_sel_hi:[0,1,0]
	v_or_b32_e32 v8, v190, v186
	s_delay_alu instid0(VALU_DEP_1)
	v_fma_mixlo_f16 v8, v69, v8, 0 op_sel_hi:[0,1,0]
	scratch_store_b32 off, v8, s32 offset:540 ; 4-byte Folded Spill
	v_fma_mixlo_f16 v8, v69, v190, 0 op_sel:[0,1,0] op_sel_hi:[0,1,0]
	scratch_store_b32 off, v8, s32 offset:536 ; 4-byte Folded Spill
	v_or_b32_e32 v8, v173, v51
	v_fma_mixlo_f16 v51, v69, v55, 0 op_sel:[0,1,0] op_sel_hi:[0,1,0]
	v_fma_mixlo_f16 v173, v69, v96, 0 op_sel:[0,1,0] op_sel_hi:[0,1,0]
	s_delay_alu instid0(VALU_DEP_3)
	v_fma_mixlo_f16 v190, v69, v8, 0 op_sel_hi:[0,1,0]
	v_or_b32_e32 v8, v50, v49
	v_fma_mixlo_f16 v49, v69, v0, 0 op_sel_hi:[0,1,0]
	v_or_b32_e32 v0, v16, v2
	v_fma_mixlo_f16 v50, v69, v19, 0 op_sel:[0,1,0] op_sel_hi:[0,1,0]
	v_fma_mixlo_f16 v19, v69, v22, 0 op_sel:[0,1,0] op_sel_hi:[0,1,0]
	v_fma_mixlo_f16 v153, v69, v8, 0 op_sel_hi:[0,1,0]
	v_or_b32_e32 v8, v185, v66
	v_fma_mixlo_f16 v52, v69, v0, 0 op_sel_hi:[0,1,0]
	v_or_b32_e32 v0, v55, v33
	v_fma_mixlo_f16 v185, v69, v185, 0 op_sel:[0,1,0] op_sel_hi:[0,1,0]
	s_delay_alu instid0(VALU_DEP_4) | instskip(SKIP_1) | instid1(VALU_DEP_4)
	v_fma_mixlo_f16 v186, v69, v8, 0 op_sel_hi:[0,1,0]
	v_or_b32_e32 v8, v96, v174
	v_fma_mixlo_f16 v66, v69, v0, 0 op_sel_hi:[0,1,0]
	v_or_b32_e32 v0, v118, v54
	v_fma_mixlo_f16 v54, v69, v37, 0 op_sel:[0,1,0] op_sel_hi:[0,1,0]
	v_fma_mixlo_f16 v96, v69, v97, 0 op_sel:[0,1,0] op_sel_hi:[0,1,0]
	v_fma_mixlo_f16 v174, v69, v8, 0 op_sel_hi:[0,1,0]
	s_delay_alu instid0(VALU_DEP_4) | instskip(SKIP_2) | instid1(VALU_DEP_2)
	v_fma_mixlo_f16 v53, v69, v0, 0 op_sel_hi:[0,1,0]
	v_or_b32_e32 v0, v38, v23
	v_fma_mixlo_f16 v38, v69, v38, 0 op_sel:[0,1,0] op_sel_hi:[0,1,0]
	v_fma_mixlo_f16 v30, v69, v0, 0 op_sel_hi:[0,1,0]
	v_or_b32_e32 v0, v37, v25
	v_fma_mixlo_f16 v25, v69, v24, 0 op_sel:[0,1,0] op_sel_hi:[0,1,0]
	s_delay_alu instid0(VALU_DEP_2) | instskip(SKIP_2) | instid1(VALU_DEP_2)
	v_fma_mixlo_f16 v55, v69, v0, 0 op_sel_hi:[0,1,0]
	v_or_b32_e32 v0, v113, v39
	v_fma_mixlo_f16 v39, v69, v113, 0 op_sel:[0,1,0] op_sel_hi:[0,1,0]
	v_fma_mixlo_f16 v37, v69, v0, 0 op_sel_hi:[0,1,0]
	v_or_b32_e32 v0, v115, v67
	v_fma_mixlo_f16 v67, v69, v115, 0 op_sel:[0,1,0] op_sel_hi:[0,1,0]
	s_delay_alu instid0(VALU_DEP_2) | instskip(SKIP_1) | instid1(VALU_DEP_1)
	v_fma_mixlo_f16 v33, v69, v0, 0 op_sel_hi:[0,1,0]
	v_or_b32_e32 v0, v83, v81
	v_fma_mixlo_f16 v115, v69, v0, 0 op_sel_hi:[0,1,0]
	v_or_b32_e32 v0, v71, v6
	s_delay_alu instid0(VALU_DEP_1) | instskip(SKIP_2) | instid1(VALU_DEP_2)
	v_fma_mixlo_f16 v71, v69, v0, 0 op_sel_hi:[0,1,0]
	v_or_b32_e32 v0, v112, v102
	v_fma_mixlo_f16 v112, v69, v112, 0 op_sel:[0,1,0] op_sel_hi:[0,1,0]
	v_fma_mixlo_f16 v113, v69, v0, 0 op_sel_hi:[0,1,0]
	v_or_b32_e32 v0, v82, v99
	v_fma_mixlo_f16 v82, v69, v175, 0 op_sel:[0,1,0] op_sel_hi:[0,1,0]
	s_delay_alu instid0(VALU_DEP_2) | instskip(SKIP_3) | instid1(VALU_DEP_3)
	v_fma_mixlo_f16 v102, v69, v0, 0 op_sel_hi:[0,1,0]
	v_or_b32_e32 v0, v14, v35
	v_fma_mixlo_f16 v35, v69, v14, 0 op_sel:[0,1,0] op_sel_hi:[0,1,0]
	v_fma_mixlo_f16 v14, v69, v168, 0 op_sel:[0,1,0] op_sel_hi:[0,1,0]
	v_fma_mixlo_f16 v118, v69, v0, 0 op_sel_hi:[0,1,0]
	v_or_b32_e32 v0, v17, v10
	v_fma_mixlo_f16 v17, v69, v17, 0 op_sel:[0,1,0] op_sel_hi:[0,1,0]
	s_delay_alu instid0(VALU_DEP_2) | instskip(SKIP_1) | instid1(VALU_DEP_1)
	v_fma_mixlo_f16 v81, v69, v0, 0 op_sel_hi:[0,1,0]
	v_or_b32_e32 v0, v22, v15
	v_fma_mixlo_f16 v18, v69, v0, 0 op_sel_hi:[0,1,0]
	v_or_b32_e32 v0, v24, v13
	v_fma_mixlo_f16 v13, v69, v127, 0 op_sel:[0,1,0] op_sel_hi:[0,1,0]
	v_fma_mixlo_f16 v24, v69, v11, 0 op_sel:[0,1,0] op_sel_hi:[0,1,0]
	s_delay_alu instid0(VALU_DEP_3) | instskip(SKIP_2) | instid1(VALU_DEP_2)
	v_fma_mixlo_f16 v23, v69, v0, 0 op_sel_hi:[0,1,0]
	v_or_b32_e32 v0, v188, v117
	v_fma_mixlo_f16 v188, v69, v188, 0 op_sel:[0,1,0] op_sel_hi:[0,1,0]
	v_fma_mixlo_f16 v22, v69, v0, 0 op_sel_hi:[0,1,0]
	v_or_b32_e32 v0, v175, v116
	v_fma_mixlo_f16 v175, v69, v4, 0 op_sel:[0,1,0] op_sel_hi:[0,1,0]
	s_delay_alu instid0(VALU_DEP_2) | instskip(SKIP_1) | instid1(VALU_DEP_1)
	v_fma_mixlo_f16 v83, v69, v0, 0 op_sel_hi:[0,1,0]
	v_or_b32_e32 v0, v4, v187
	v_fma_mixlo_f16 v15, v69, v0, 0 op_sel_hi:[0,1,0]
	v_or_b32_e32 v0, v11, v5
	s_delay_alu instid0(VALU_DEP_1) | instskip(SKIP_3) | instid1(VALU_DEP_3)
	v_fma_mixlo_f16 v16, v69, v0, 0 op_sel_hi:[0,1,0]
	v_or_b32_e32 v0, v142, v136
	v_fma_mixlo_f16 v136, v69, v156, 0 op_sel:[0,1,0] op_sel_hi:[0,1,0]
	v_fma_mixlo_f16 v142, v69, v142, 0 op_sel:[0,1,0] op_sel_hi:[0,1,0]
	v_fma_mixlo_f16 v187, v69, v0, 0 op_sel_hi:[0,1,0]
	v_or_b32_e32 v0, v127, v170
	s_delay_alu instid0(VALU_DEP_1) | instskip(SKIP_2) | instid1(VALU_DEP_2)
	v_fma_mixlo_f16 v12, v69, v0, 0 op_sel_hi:[0,1,0]
	v_or_b32_e32 v0, v156, v141
	v_fma_mixlo_f16 v156, v69, v95, 0 op_sel:[0,1,0] op_sel_hi:[0,1,0]
	v_fma_mixlo_f16 v141, v69, v0, 0 op_sel_hi:[0,1,0]
	v_or_b32_e32 v0, v168, v155
	s_delay_alu instid0(VALU_DEP_1) | instskip(SKIP_3) | instid1(VALU_DEP_3)
	v_fma_mixlo_f16 v127, v69, v0, 0 op_sel_hi:[0,1,0]
	v_or_b32_e32 v0, v120, v104
	v_fma_mixlo_f16 v104, v69, v124, 0 op_sel:[0,1,0] op_sel_hi:[0,1,0]
	v_fma_mixlo_f16 v120, v69, v120, 0 op_sel:[0,1,0] op_sel_hi:[0,1,0]
	v_fma_mixlo_f16 v155, v69, v0, 0 op_sel_hi:[0,1,0]
	v_or_b32_e32 v0, v95, v92
	v_fma_mixlo_f16 v92, v69, v125, 0 op_sel:[0,1,0] op_sel_hi:[0,1,0]
	s_delay_alu instid0(VALU_DEP_2) | instskip(SKIP_2) | instid1(VALU_DEP_2)
	v_fma_mixlo_f16 v168, v69, v0, 0 op_sel_hi:[0,1,0]
	v_or_b32_e32 v0, v124, v111
	v_fma_mixlo_f16 v124, v69, v63, 0 op_sel:[0,1,0] op_sel_hi:[0,1,0]
	v_fma_mixlo_f16 v111, v69, v0, 0 op_sel_hi:[0,1,0]
	v_or_b32_e32 v0, v125, v123
	s_delay_alu instid0(VALU_DEP_1) | instskip(SKIP_3) | instid1(VALU_DEP_3)
	v_fma_mixlo_f16 v95, v69, v0, 0 op_sel_hi:[0,1,0]
	v_or_b32_e32 v0, v74, v62
	v_fma_mixlo_f16 v62, v69, v132, 0 op_sel:[0,1,0] op_sel_hi:[0,1,0]
	v_fma_mixlo_f16 v74, v69, v74, 0 op_sel:[0,1,0] op_sel_hi:[0,1,0]
	v_fma_mixlo_f16 v123, v69, v0, 0 op_sel_hi:[0,1,0]
	v_or_b32_e32 v0, v63, v7
	v_fma_mixlo_f16 v63, v69, v91, 0 op_sel:[0,1,0] op_sel_hi:[0,1,0]
	s_delay_alu instid0(VALU_DEP_2) | instskip(SKIP_3) | instid1(VALU_DEP_3)
	v_fma_mixlo_f16 v125, v69, v0, 0 op_sel_hi:[0,1,0]
	v_or_b32_e32 v0, v76, v73
	v_fma_mixlo_f16 v73, v69, v76, 0 op_sel:[0,1,0] op_sel_hi:[0,1,0]
	v_fma_mixlo_f16 v76, v69, v47, 0 op_sel:[0,1,0] op_sel_hi:[0,1,0]
	v_fma_mixlo_f16 v6, v69, v0, 0 op_sel_hi:[0,1,0]
	v_or_b32_e32 v0, v91, v75
	s_delay_alu instid0(VALU_DEP_1) | instskip(SKIP_3) | instid1(VALU_DEP_3)
	v_fma_mixlo_f16 v10, v69, v0, 0 op_sel_hi:[0,1,0]
	v_or_b32_e32 v0, v58, v56
	v_fma_mixlo_f16 v56, v69, v60, 0 op_sel:[0,1,0] op_sel_hi:[0,1,0]
	v_fma_mixlo_f16 v58, v69, v58, 0 op_sel:[0,1,0] op_sel_hi:[0,1,0]
	v_fma_mixlo_f16 v75, v69, v0, 0 op_sel_hi:[0,1,0]
	v_or_b32_e32 v0, v47, v46
	v_fma_mixlo_f16 v46, v69, v61, 0 op_sel:[0,1,0] op_sel_hi:[0,1,0]
	s_delay_alu instid0(VALU_DEP_2) | instskip(SKIP_2) | instid1(VALU_DEP_2)
	v_fma_mixlo_f16 v91, v69, v0, 0 op_sel_hi:[0,1,0]
	v_or_b32_e32 v0, v60, v57
	v_fma_mixlo_f16 v60, v69, v183, 0 op_sel:[0,1,0] op_sel_hi:[0,1,0]
	v_fma_mixlo_f16 v57, v69, v0, 0 op_sel_hi:[0,1,0]
	v_or_b32_e32 v0, v61, v59
	s_delay_alu instid0(VALU_DEP_1) | instskip(SKIP_3) | instid1(VALU_DEP_3)
	v_fma_mixlo_f16 v47, v69, v0, 0 op_sel_hi:[0,1,0]
	v_or_b32_e32 v0, v42, v40
	v_fma_mixlo_f16 v40, v69, v44, 0 op_sel:[0,1,0] op_sel_hi:[0,1,0]
	v_fma_mixlo_f16 v42, v69, v42, 0 op_sel:[0,1,0] op_sel_hi:[0,1,0]
	v_fma_mixlo_f16 v59, v69, v0, 0 op_sel_hi:[0,1,0]
	v_or_b32_e32 v0, v183, v182
	v_fma_mixlo_f16 v182, v69, v45, 0 op_sel:[0,1,0] op_sel_hi:[0,1,0]
	s_delay_alu instid0(VALU_DEP_2) | instskip(SKIP_2) | instid1(VALU_DEP_2)
	v_fma_mixlo_f16 v61, v69, v0, 0 op_sel_hi:[0,1,0]
	v_or_b32_e32 v0, v44, v41
	;; [unrolled: 14-line block ×4, first 2 shown]
	v_fma_mixlo_f16 v164, v69, v135, 0 op_sel:[0,1,0] op_sel_hi:[0,1,0]
	v_fma_mixlo_f16 v161, v69, v0, 0 op_sel_hi:[0,1,0]
	v_or_b32_e32 v0, v165, v163
	s_delay_alu instid0(VALU_DEP_1) | instskip(SKIP_3) | instid1(VALU_DEP_3)
	v_fma_mixlo_f16 v151, v69, v0, 0 op_sel_hi:[0,1,0]
	v_or_b32_e32 v0, v146, v144
	v_fma_mixlo_f16 v144, v69, v148, 0 op_sel:[0,1,0] op_sel_hi:[0,1,0]
	v_fma_mixlo_f16 v146, v69, v146, 0 op_sel:[0,1,0] op_sel_hi:[0,1,0]
	v_fma_mixlo_f16 v163, v69, v0, 0 op_sel_hi:[0,1,0]
	v_or_b32_e32 v0, v135, v134
	v_fma_mixlo_f16 v134, v69, v149, 0 op_sel:[0,1,0] op_sel_hi:[0,1,0]
	s_delay_alu instid0(VALU_DEP_2) | instskip(SKIP_1) | instid1(VALU_DEP_1)
	v_fma_mixlo_f16 v165, v69, v0, 0 op_sel_hi:[0,1,0]
	v_or_b32_e32 v0, v148, v145
	v_fma_mixlo_f16 v145, v69, v0, 0 op_sel_hi:[0,1,0]
	v_or_b32_e32 v0, v149, v147
	v_fma_mixlo_f16 v147, v69, v130, 0 op_sel:[0,1,0] op_sel_hi:[0,1,0]
	v_fma_mixlo_f16 v149, v69, v119, 0 op_sel:[0,1,0] op_sel_hi:[0,1,0]
	s_delay_alu instid0(VALU_DEP_3) | instskip(SKIP_3) | instid1(VALU_DEP_1)
	v_fma_mixlo_f16 v135, v69, v0, 0 op_sel_hi:[0,1,0]
	scratch_load_b32 v0, off, s32 offset:404 th:TH_LOAD_LU ; 4-byte Folded Reload
	s_wait_loadcnt 0x0
	v_or_b32_e32 v0, v130, v0
	v_fma_mixlo_f16 v148, v69, v0, 0 op_sel_hi:[0,1,0]
	scratch_load_b32 v0, off, s32 offset:400 th:TH_LOAD_LU ; 4-byte Folded Reload
	s_wait_loadcnt 0x0
	v_or_b32_e32 v0, v119, v0
	v_fma_mixlo_f16 v119, v69, v133, 0 op_sel:[0,1,0] op_sel_hi:[0,1,0]
	s_delay_alu instid0(VALU_DEP_2) | instskip(SKIP_3) | instid1(VALU_DEP_1)
	v_fma_mixlo_f16 v11, v69, v0, 0 op_sel_hi:[0,1,0]
	scratch_load_b32 v0, off, s32 offset:408 th:TH_LOAD_LU ; 4-byte Folded Reload
	s_wait_loadcnt 0x0
	v_or_b32_e32 v0, v132, v0
	v_fma_mixlo_f16 v130, v69, v0, 0 op_sel_hi:[0,1,0]
	v_or_b32_e32 v0, v133, v131
	v_fma_mixlo_f16 v133, v69, v140, 0 op_sel:[0,1,0] op_sel_hi:[0,1,0]
	v_fma_mixlo_f16 v131, v69, v103, 0 op_sel:[0,1,0] op_sel_hi:[0,1,0]
	s_delay_alu instid0(VALU_DEP_3) | instskip(SKIP_3) | instid1(VALU_DEP_1)
	v_fma_mixlo_f16 v5, v69, v0, 0 op_sel_hi:[0,1,0]
	scratch_load_b32 v0, off, s32 offset:388 th:TH_LOAD_LU ; 4-byte Folded Reload
	s_wait_loadcnt 0x0
	v_or_b32_e32 v0, v114, v0
	v_fma_mixlo_f16 v77, v69, v0, 0 op_sel_hi:[0,1,0]
	scratch_load_b32 v0, off, s32 offset:384 th:TH_LOAD_LU ; 4-byte Folded Reload
	s_wait_loadcnt 0x0
	v_or_b32_e32 v0, v86, v0
	v_fma_mixlo_f16 v86, v69, v184, 0 op_sel:[0,1,0] op_sel_hi:[0,1,0]
	s_delay_alu instid0(VALU_DEP_2) | instskip(SKIP_4) | instid1(VALU_DEP_1)
	v_fma_mixlo_f16 v79, v69, v0, 0 op_sel_hi:[0,1,0]
	scratch_load_b32 v0, off, s32 offset:392 th:TH_LOAD_LU ; 4-byte Folded Reload
	v_and_b32_e32 v86, 0xffff, v86
	s_wait_loadcnt 0x0
	v_or_b32_e32 v0, v140, v0
	v_fma_mixlo_f16 v140, v69, v0, 0 op_sel_hi:[0,1,0]
	scratch_load_b32 v0, off, s32 offset:396 th:TH_LOAD_LU ; 4-byte Folded Reload
	s_wait_loadcnt 0x0
	v_or_b32_e32 v0, v103, v0
	s_delay_alu instid0(VALU_DEP_1) | instskip(SKIP_3) | instid1(VALU_DEP_1)
	v_fma_mixlo_f16 v132, v69, v0, 0 op_sel_hi:[0,1,0]
	scratch_load_b32 v0, off, s32 offset:368 th:TH_LOAD_LU ; 4-byte Folded Reload
	s_wait_loadcnt 0x0
	v_or_b32_e32 v0, v184, v0
	v_fma_mixlo_f16 v87, v69, v0, 0 op_sel_hi:[0,1,0]
	s_clause 0x1
	scratch_load_b32 v0, off, s32 offset:360 th:TH_LOAD_LU
	scratch_load_b32 v184, off, s32 offset:376 th:TH_LOAD_LU
	s_wait_loadcnt 0x0
	v_or_b32_e32 v0, v184, v0
	v_fma_mixlo_f16 v85, v69, v184, 0 op_sel:[0,1,0] op_sel_hi:[0,1,0]
	s_delay_alu instid0(VALU_DEP_2) | instskip(SKIP_4) | instid1(VALU_DEP_1)
	v_fma_mixlo_f16 v114, v69, v0, 0 op_sel_hi:[0,1,0]
	scratch_load_b32 v0, off, s32 offset:372 th:TH_LOAD_LU ; 4-byte Folded Reload
	v_and_b32_e32 v85, 0xffff, v85
	s_wait_loadcnt 0x0
	v_or_b32_e32 v0, v97, v0
	v_fma_mixlo_f16 v97, v69, v0, 0 op_sel_hi:[0,1,0]
	scratch_load_b32 v0, off, s32 offset:380 th:TH_LOAD_LU ; 4-byte Folded Reload
	s_wait_loadcnt 0x0
	v_or_b32_e32 v0, v98, v0
	v_fma_mixlo_f16 v98, v69, v98, 0 op_sel:[0,1,0] op_sel_hi:[0,1,0]
	s_delay_alu instid0(VALU_DEP_2) | instskip(SKIP_3) | instid1(VALU_DEP_3)
	v_fma_mixlo_f16 v99, v69, v0, 0 op_sel_hi:[0,1,0]
	v_or_b32_e32 v0, v128, v129
	v_fma_mixlo_f16 v129, v69, v84, 0 op_sel:[0,1,0] op_sel_hi:[0,1,0]
	v_fma_mixlo_f16 v128, v69, v191, 0 op_sel:[0,1,0] op_sel_hi:[0,1,0]
	v_fma_mixlo_f16 v108, v69, v0, 0 op_sel_hi:[0,1,0]
	scratch_load_b32 v0, off, s32 offset:416 th:TH_LOAD_LU ; 4-byte Folded Reload
	s_wait_loadcnt 0x0
	v_or_b32_e32 v0, v126, v0
	s_delay_alu instid0(VALU_DEP_1)
	v_fma_mixlo_f16 v110, v69, v0, 0 op_sel_hi:[0,1,0]
	s_clause 0x1
	scratch_load_b32 v0, off, s32 offset:412 th:TH_LOAD_LU
	scratch_load_b32 v184, off, s32 offset:364 th:TH_LOAD_LU
	s_wait_loadcnt 0x0
	v_or_b32_e32 v0, v184, v0
	v_fma_mixlo_f16 v105, v69, v184, 0 op_sel:[0,1,0] op_sel_hi:[0,1,0]
	s_delay_alu instid0(VALU_DEP_2)
	v_fma_mixlo_f16 v106, v69, v0, 0 op_sel_hi:[0,1,0]
	s_clause 0x2
	scratch_load_b32 v0, off, s32 offset:356 th:TH_LOAD_LU
	scratch_load_b32 v1, off, s32 offset:420 th:TH_LOAD_LU
	scratch_load_b32 v2, off, s32 offset:560
	s_load_b32 s20, s[8:9], 0x0
	s_wait_loadcnt 0x1
	v_or_b32_e32 v0, v1, v0
	v_fma_mixlo_f16 v88, v69, v1, 0 op_sel:[0,1,0] op_sel_hi:[0,1,0]
	scratch_load_b32 v1, off, s32 offset:572 ; 4-byte Folded Reload
	v_fma_mixlo_f16 v90, v69, v0, 0 op_sel_hi:[0,1,0]
	scratch_load_b32 v0, off, s32 offset:544 ; 4-byte Folded Reload
	s_wait_loadcnt 0x1
	v_add_nc_u32_e32 v1, v1, v64
	s_delay_alu instid0(VALU_DEP_1) | instskip(SKIP_1) | instid1(VALU_DEP_1)
	v_cvt_f32_i32_e32 v1, v1
	s_wait_loadcnt 0x0
	v_dual_mul_f32 v1, v2, v1 :: v_dual_add_nc_u32 v0, v0, v64
	s_delay_alu instid0(VALU_DEP_1) | instskip(NEXT) | instid1(VALU_DEP_2)
	v_cmp_lt_i32_e64 s1, v0, v34
	v_cndmask_b32_e32 v8, 0, v1, vcc_lo
	v_or_b32_e32 v1, v84, v70
	s_delay_alu instid0(VALU_DEP_1) | instskip(SKIP_2) | instid1(VALU_DEP_2)
	v_fma_mixlo_f16 v70, v69, v1, 0 op_sel_hi:[0,1,0]
	v_or_b32_e32 v1, v152, v31
	v_fma_mixlo_f16 v152, v69, v152, 0 op_sel:[0,1,0] op_sel_hi:[0,1,0]
	v_fma_mixlo_f16 v84, v69, v1, 0 op_sel_hi:[0,1,0]
	v_or_b32_e32 v1, v100, v80
	v_fma_mixlo_f16 v100, v69, v100, 0 op_sel:[0,1,0] op_sel_hi:[0,1,0]
	s_delay_alu instid0(VALU_DEP_2) | instskip(SKIP_1) | instid1(VALU_DEP_1)
	v_fma_mixlo_f16 v80, v69, v1, 0 op_sel_hi:[0,1,0]
	v_or_b32_e32 v1, v191, v89
	v_fma_mixlo_f16 v89, v69, v1, 0 op_sel_hi:[0,1,0]
	ds_load_b128 v[0:3], v9
	v_and_b32_e32 v69, 0xffff, v114
	s_wait_dscnt 0x0
	v_lshrrev_b32_e32 v4, 16, v0
	v_and_b32_e32 v0, 0xffff, v0
	;;#ASMSTART
	v_cvt_f32_f16 v116, v0;
	;;#ASMEND
	v_and_b32_e32 v0, 0xffff, v110
	;;#ASMSTART
	v_cvt_f32_f16 v103, v4;
	;;#ASMEND
	;;#ASMSTART
	v_cvt_f32_f16 v110, v0;
	;;#ASMEND
	v_and_b32_e32 v0, 0xffff, v109
	;;#ASMSTART
	v_cvt_f32_f16 v109, v0;
	;;#ASMEND
	v_lshrrev_b32_e32 v0, 16, v1
	v_and_b32_e32 v1, 0xffff, v1
	;;#ASMSTART
	v_cvt_f32_f16 v117, v1;
	;;#ASMEND
	;;#ASMSTART
	v_cvt_f32_f16 v170, v0;
	;;#ASMEND
	v_and_b32_e32 v0, 0xffff, v108
	;;#ASMSTART
	v_cvt_f32_f16 v108, v0;
	;;#ASMEND
	v_and_b32_e32 v0, 0xffff, v107
	;;#ASMSTART
	v_cvt_f32_f16 v107, v0;
	;;#ASMEND
	v_lshrrev_b32_e32 v0, 16, v2
	v_and_b32_e32 v1, 0xffff, v2
	;;#ASMSTART
	v_cvt_f32_f16 v184, v1;
	;;#ASMEND
	;;#ASMSTART
	v_cvt_f32_f16 v126, v0;
	;;#ASMEND
	v_and_b32_e32 v0, 0xffff, v106
	;; [unrolled: 16-line block ×3, first 2 shown]
	;;#ASMSTART
	v_cvt_f32_f16 v90, v0;
	;;#ASMEND
	v_and_b32_e32 v0, 0xffff, v88
	;;#ASMSTART
	v_cvt_f32_f16 v88, v0;
	;;#ASMEND
	ds_load_b128 v[0:3], v9 offset:16
	s_wait_dscnt 0x0
	v_lshrrev_b32_e32 v7, 16, v0
	v_and_b32_e32 v0, 0xffff, v0
	;;#ASMSTART
	v_cvt_f32_f16 v0, v0;
	;;#ASMEND
	;;#ASMSTART
	v_cvt_f32_f16 v7, v7;
	;;#ASMEND
	;; [unrolled: 3-line block ×4, first 2 shown]
	v_mul_f32_e32 v69, v0, v69
	v_mul_f32_e32 v85, v7, v85
	v_lshrrev_b32_e32 v7, 16, v1
	v_and_b32_e32 v0, 0xffff, v1
	;;#ASMSTART
	v_cvt_f32_f16 v0, v0;
	;;#ASMEND
	;;#ASMSTART
	v_cvt_f32_f16 v1, v7;
	;;#ASMEND
	v_and_b32_e32 v7, 0xffff, v87
	;;#ASMSTART
	v_cvt_f32_f16 v7, v7;
	;;#ASMEND
	;;#ASMSTART
	v_cvt_f32_f16 v86, v86;
	;;#ASMEND
	s_wait_kmcnt 0x0
	v_dual_mul_f32 v86, v1, v86 :: v_dual_add_nc_u32 v191, s20, v65
	v_dual_mul_f32 v87, v0, v7 :: v_dual_and_b32 v0, 0xffff, v2
	v_fmac_f32_e32 v69, v116, v110
	v_lshrrev_b32_e32 v1, 16, v2
	v_and_b32_e32 v2, 0xffff, v97
	;;#ASMSTART
	v_cvt_f32_f16 v0, v0;
	;;#ASMEND
	;;#ASMSTART
	v_cvt_f32_f16 v1, v1;
	;;#ASMEND
	;; [unrolled: 3-line block ×3, first 2 shown]
	v_and_b32_e32 v7, 0xffff, v96
	v_dual_fmac_f32 v87, v117, v108 :: v_dual_fmac_f32 v86, v170, v107
	;;#ASMSTART
	v_cvt_f32_f16 v7, v7;
	;;#ASMEND
	v_dual_mul_f32 v97, v0, v2 :: v_dual_and_b32 v0, 0xffff, v3
	s_delay_alu instid0(VALU_DEP_3)
	v_mul_f32_e32 v96, v1, v7
	v_lshrrev_b32_e32 v1, 16, v3
	v_and_b32_e32 v2, 0xffff, v99
	v_and_b32_e32 v3, 0xffff, v98
	;;#ASMSTART
	v_cvt_f32_f16 v0, v0;
	;;#ASMEND
	;;#ASMSTART
	v_cvt_f32_f16 v1, v1;
	;;#ASMEND
	;; [unrolled: 3-line block ×4, first 2 shown]
	v_dual_mul_f32 v99, v0, v2 :: v_dual_mul_f32 v98, v1, v3
	ds_load_b128 v[0:3], v9 offset:32
	v_dual_fmac_f32 v85, v103, v109 :: v_dual_fmac_f32 v96, v126, v4
	v_dual_fmac_f32 v97, v184, v106 :: v_dual_fmac_f32 v98, v31, v88
	v_and_b32_e32 v7, 0xffff, v79
	v_and_b32_e32 v31, 0xffff, v78
	s_wait_dscnt 0x0
	v_lshrrev_b32_e32 v4, 16, v0
	v_and_b32_e32 v0, 0xffff, v0
	;;#ASMSTART
	v_cvt_f32_f16 v0, v0;
	;;#ASMEND
	;;#ASMSTART
	v_cvt_f32_f16 v4, v4;
	;;#ASMEND
	;; [unrolled: 3-line block ×4, first 2 shown]
	v_fmac_f32_e32 v69, v0, v7
	v_fmac_f32_e32 v85, v4, v31
	v_lshrrev_b32_e32 v4, 16, v1
	v_dual_fmac_f32 v99, v105, v90 :: v_dual_and_b32 v0, 0xffff, v1
	;;#ASMSTART
	v_cvt_f32_f16 v0, v0;
	;;#ASMEND
	;;#ASMSTART
	v_cvt_f32_f16 v1, v4;
	;;#ASMEND
	v_and_b32_e32 v4, 0xffff, v77
	v_and_b32_e32 v7, 0xffff, v36
	;;#ASMSTART
	v_cvt_f32_f16 v4, v4;
	;;#ASMEND
	;;#ASMSTART
	v_cvt_f32_f16 v7, v7;
	;;#ASMEND
	s_delay_alu instid0(VALU_DEP_1)
	v_dual_fmac_f32 v87, v0, v4 :: v_dual_fmac_f32 v86, v1, v7
	v_lshrrev_b32_e32 v1, 16, v2
	v_and_b32_e32 v0, 0xffff, v2
	v_and_b32_e32 v2, 0xffff, v140
	;;#ASMSTART
	v_cvt_f32_f16 v0, v0;
	;;#ASMEND
	;;#ASMSTART
	v_cvt_f32_f16 v1, v1;
	;;#ASMEND
	;; [unrolled: 3-line block ×3, first 2 shown]
	v_and_b32_e32 v4, 0xffff, v133
	;;#ASMSTART
	v_cvt_f32_f16 v4, v4;
	;;#ASMEND
	s_delay_alu instid0(VALU_DEP_1)
	v_dual_fmac_f32 v97, v0, v2 :: v_dual_fmac_f32 v96, v1, v4
	v_lshrrev_b32_e32 v1, 16, v3
	v_and_b32_e32 v0, 0xffff, v3
	v_and_b32_e32 v2, 0xffff, v132
	;; [unrolled: 1-line block ×3, first 2 shown]
	;;#ASMSTART
	v_cvt_f32_f16 v0, v0;
	;;#ASMEND
	;;#ASMSTART
	v_cvt_f32_f16 v1, v1;
	;;#ASMEND
	;; [unrolled: 3-line block ×4, first 2 shown]
	v_dual_fmac_f32 v99, v0, v2 :: v_dual_fmac_f32 v98, v1, v3
	ds_load_b128 v[0:3], v9 offset:48
	v_and_b32_e32 v7, 0xffff, v11
	v_and_b32_e32 v11, 0xffff, v149
	s_wait_dscnt 0x0
	v_lshrrev_b32_e32 v4, 16, v0
	v_and_b32_e32 v0, 0xffff, v0
	;;#ASMSTART
	v_cvt_f32_f16 v0, v0;
	;;#ASMEND
	;;#ASMSTART
	v_cvt_f32_f16 v4, v4;
	;;#ASMEND
	;; [unrolled: 3-line block ×4, first 2 shown]
	v_fmac_f32_e32 v69, v0, v7
	v_fmac_f32_e32 v85, v4, v11
	v_lshrrev_b32_e32 v4, 16, v1
	v_and_b32_e32 v0, 0xffff, v1
	;;#ASMSTART
	v_cvt_f32_f16 v0, v0;
	;;#ASMEND
	;;#ASMSTART
	v_cvt_f32_f16 v1, v4;
	;;#ASMEND
	v_and_b32_e32 v4, 0xffff, v148
	v_and_b32_e32 v7, 0xffff, v147
	;;#ASMSTART
	v_cvt_f32_f16 v4, v4;
	;;#ASMEND
	;;#ASMSTART
	v_cvt_f32_f16 v7, v7;
	;;#ASMEND
	s_delay_alu instid0(VALU_DEP_2) | instskip(NEXT) | instid1(VALU_DEP_2)
	v_dual_fmac_f32 v87, v0, v4 :: v_dual_and_b32 v0, 0xffff, v2
	v_fmac_f32_e32 v86, v1, v7
	v_lshrrev_b32_e32 v1, 16, v2
	v_and_b32_e32 v2, 0xffff, v130
	;;#ASMSTART
	v_cvt_f32_f16 v0, v0;
	;;#ASMEND
	;;#ASMSTART
	v_cvt_f32_f16 v1, v1;
	;;#ASMEND
	;; [unrolled: 3-line block ×3, first 2 shown]
	v_and_b32_e32 v4, 0xffff, v62
	;;#ASMSTART
	v_cvt_f32_f16 v4, v4;
	;;#ASMEND
	s_delay_alu instid0(VALU_DEP_1)
	v_dual_fmac_f32 v97, v0, v2 :: v_dual_fmac_f32 v96, v1, v4
	v_lshrrev_b32_e32 v1, 16, v3
	v_and_b32_e32 v0, 0xffff, v3
	v_and_b32_e32 v2, 0xffff, v5
	;; [unrolled: 1-line block ×3, first 2 shown]
	;;#ASMSTART
	v_cvt_f32_f16 v0, v0;
	;;#ASMEND
	;;#ASMSTART
	v_cvt_f32_f16 v1, v1;
	;;#ASMEND
	;;#ASMSTART
	v_cvt_f32_f16 v2, v2;
	;;#ASMEND
	;;#ASMSTART
	v_cvt_f32_f16 v3, v3;
	;;#ASMEND
	v_dual_fmac_f32 v99, v0, v2 :: v_dual_fmac_f32 v98, v1, v3
	ds_load_b128 v[0:3], v9 offset:64
	v_and_b32_e32 v7, 0xffff, v165
	v_and_b32_e32 v11, 0xffff, v164
	;; [unrolled: 1-line block ×3, first 2 shown]
	s_wait_dscnt 0x0
	v_lshrrev_b32_e32 v4, 16, v0
	v_and_b32_e32 v0, 0xffff, v0
	;;#ASMSTART
	v_cvt_f32_f16 v0, v0;
	;;#ASMEND
	;;#ASMSTART
	v_cvt_f32_f16 v4, v4;
	;;#ASMEND
	;; [unrolled: 3-line block ×4, first 2 shown]
	v_fmac_f32_e32 v69, v0, v7
	v_fmac_f32_e32 v85, v4, v11
	v_lshrrev_b32_e32 v4, 16, v1
	v_and_b32_e32 v0, 0xffff, v1
	;;#ASMSTART
	v_cvt_f32_f16 v0, v0;
	;;#ASMEND
	;;#ASMSTART
	v_cvt_f32_f16 v1, v4;
	;;#ASMEND
	v_and_b32_e32 v4, 0xffff, v163
	v_and_b32_e32 v7, 0xffff, v146
	;;#ASMSTART
	v_cvt_f32_f16 v4, v4;
	;;#ASMEND
	;;#ASMSTART
	v_cvt_f32_f16 v7, v7;
	;;#ASMEND
	s_delay_alu instid0(VALU_DEP_1)
	v_dual_fmac_f32 v87, v0, v4 :: v_dual_fmac_f32 v86, v1, v7
	v_lshrrev_b32_e32 v1, 16, v2
	v_and_b32_e32 v0, 0xffff, v2
	v_and_b32_e32 v2, 0xffff, v145
	;;#ASMSTART
	v_cvt_f32_f16 v0, v0;
	;;#ASMEND
	;;#ASMSTART
	v_cvt_f32_f16 v1, v1;
	;;#ASMEND
	;; [unrolled: 3-line block ×3, first 2 shown]
	v_and_b32_e32 v4, 0xffff, v144
	;;#ASMSTART
	v_cvt_f32_f16 v4, v4;
	;;#ASMEND
	s_delay_alu instid0(VALU_DEP_1)
	v_dual_fmac_f32 v97, v0, v2 :: v_dual_fmac_f32 v96, v1, v4
	v_lshrrev_b32_e32 v1, 16, v3
	v_and_b32_e32 v0, 0xffff, v3
	v_and_b32_e32 v2, 0xffff, v135
	;; [unrolled: 1-line block ×3, first 2 shown]
	;;#ASMSTART
	v_cvt_f32_f16 v0, v0;
	;;#ASMEND
	;;#ASMSTART
	v_cvt_f32_f16 v1, v1;
	;;#ASMEND
	;; [unrolled: 3-line block ×4, first 2 shown]
	v_dual_fmac_f32 v99, v0, v2 :: v_dual_fmac_f32 v98, v1, v3
	ds_load_b128 v[0:3], v9 offset:80
	v_and_b32_e32 v7, 0xffff, v181
	v_and_b32_e32 v11, 0xffff, v180
	s_wait_dscnt 0x0
	v_lshrrev_b32_e32 v4, 16, v0
	v_and_b32_e32 v0, 0xffff, v0
	;;#ASMSTART
	v_cvt_f32_f16 v0, v0;
	;;#ASMEND
	;;#ASMSTART
	v_cvt_f32_f16 v4, v4;
	;;#ASMEND
	;; [unrolled: 3-line block ×4, first 2 shown]
	v_fmac_f32_e32 v69, v0, v7
	v_fmac_f32_e32 v85, v4, v11
	v_lshrrev_b32_e32 v4, 16, v1
	v_and_b32_e32 v0, 0xffff, v1
	;;#ASMSTART
	v_cvt_f32_f16 v0, v0;
	;;#ASMEND
	;;#ASMSTART
	v_cvt_f32_f16 v1, v4;
	;;#ASMEND
	v_and_b32_e32 v4, 0xffff, v179
	v_and_b32_e32 v7, 0xffff, v162
	;;#ASMSTART
	v_cvt_f32_f16 v4, v4;
	;;#ASMEND
	;;#ASMSTART
	v_cvt_f32_f16 v7, v7;
	;;#ASMEND
	s_delay_alu instid0(VALU_DEP_1)
	v_dual_fmac_f32 v87, v0, v4 :: v_dual_fmac_f32 v86, v1, v7
	v_lshrrev_b32_e32 v1, 16, v2
	v_and_b32_e32 v0, 0xffff, v2
	v_and_b32_e32 v2, 0xffff, v161
	;;#ASMSTART
	v_cvt_f32_f16 v0, v0;
	;;#ASMEND
	;;#ASMSTART
	v_cvt_f32_f16 v1, v1;
	;;#ASMEND
	;; [unrolled: 3-line block ×3, first 2 shown]
	v_and_b32_e32 v4, 0xffff, v160
	;;#ASMSTART
	v_cvt_f32_f16 v4, v4;
	;;#ASMEND
	s_delay_alu instid0(VALU_DEP_1)
	v_dual_fmac_f32 v97, v0, v2 :: v_dual_fmac_f32 v96, v1, v4
	v_lshrrev_b32_e32 v1, 16, v3
	v_and_b32_e32 v0, 0xffff, v3
	v_and_b32_e32 v2, 0xffff, v151
	;; [unrolled: 1-line block ×3, first 2 shown]
	;;#ASMSTART
	v_cvt_f32_f16 v0, v0;
	;;#ASMEND
	;;#ASMSTART
	v_cvt_f32_f16 v1, v1;
	;;#ASMEND
	;; [unrolled: 3-line block ×4, first 2 shown]
	v_dual_fmac_f32 v99, v0, v2 :: v_dual_fmac_f32 v98, v1, v3
	ds_load_b128 v[0:3], v9 offset:96
	v_and_b32_e32 v7, 0xffff, v45
	v_and_b32_e32 v11, 0xffff, v44
	s_wait_dscnt 0x0
	v_lshrrev_b32_e32 v4, 16, v0
	v_and_b32_e32 v0, 0xffff, v0
	;;#ASMSTART
	v_cvt_f32_f16 v0, v0;
	;;#ASMEND
	;;#ASMSTART
	v_cvt_f32_f16 v4, v4;
	;;#ASMEND
	;; [unrolled: 3-line block ×4, first 2 shown]
	v_fmac_f32_e32 v69, v0, v7
	v_fmac_f32_e32 v85, v4, v11
	v_lshrrev_b32_e32 v4, 16, v1
	v_and_b32_e32 v0, 0xffff, v1
	;;#ASMSTART
	v_cvt_f32_f16 v0, v0;
	;;#ASMEND
	;;#ASMSTART
	v_cvt_f32_f16 v1, v4;
	;;#ASMEND
	v_and_b32_e32 v4, 0xffff, v43
	v_and_b32_e32 v7, 0xffff, v178
	;;#ASMSTART
	v_cvt_f32_f16 v4, v4;
	;;#ASMEND
	;;#ASMSTART
	v_cvt_f32_f16 v7, v7;
	;;#ASMEND
	s_delay_alu instid0(VALU_DEP_1)
	v_dual_fmac_f32 v87, v0, v4 :: v_dual_fmac_f32 v86, v1, v7
	v_lshrrev_b32_e32 v1, 16, v2
	v_and_b32_e32 v0, 0xffff, v2
	v_and_b32_e32 v2, 0xffff, v177
	;;#ASMSTART
	v_cvt_f32_f16 v0, v0;
	;;#ASMEND
	;;#ASMSTART
	v_cvt_f32_f16 v1, v1;
	;;#ASMEND
	;; [unrolled: 3-line block ×3, first 2 shown]
	v_and_b32_e32 v4, 0xffff, v176
	;;#ASMSTART
	v_cvt_f32_f16 v4, v4;
	;;#ASMEND
	s_delay_alu instid0(VALU_DEP_1)
	v_dual_fmac_f32 v97, v0, v2 :: v_dual_fmac_f32 v96, v1, v4
	v_lshrrev_b32_e32 v1, 16, v3
	v_and_b32_e32 v0, 0xffff, v3
	v_and_b32_e32 v2, 0xffff, v167
	v_and_b32_e32 v3, 0xffff, v166
	;;#ASMSTART
	v_cvt_f32_f16 v0, v0;
	;;#ASMEND
	;;#ASMSTART
	v_cvt_f32_f16 v1, v1;
	;;#ASMEND
	;; [unrolled: 3-line block ×4, first 2 shown]
	v_dual_fmac_f32 v99, v0, v2 :: v_dual_fmac_f32 v98, v1, v3
	ds_load_b128 v[0:3], v9 offset:112
	v_and_b32_e32 v7, 0xffff, v61
	v_and_b32_e32 v11, 0xffff, v60
	s_wait_dscnt 0x0
	v_lshrrev_b32_e32 v4, 16, v0
	v_and_b32_e32 v0, 0xffff, v0
	;;#ASMSTART
	v_cvt_f32_f16 v0, v0;
	;;#ASMEND
	;;#ASMSTART
	v_cvt_f32_f16 v4, v4;
	;;#ASMEND
	;;#ASMSTART
	v_cvt_f32_f16 v7, v7;
	;;#ASMEND
	;;#ASMSTART
	v_cvt_f32_f16 v11, v11;
	;;#ASMEND
	v_fmac_f32_e32 v69, v0, v7
	v_fmac_f32_e32 v85, v4, v11
	v_lshrrev_b32_e32 v4, 16, v1
	v_and_b32_e32 v0, 0xffff, v1
	;;#ASMSTART
	v_cvt_f32_f16 v0, v0;
	;;#ASMEND
	;;#ASMSTART
	v_cvt_f32_f16 v1, v4;
	;;#ASMEND
	v_and_b32_e32 v4, 0xffff, v59
	v_and_b32_e32 v7, 0xffff, v42
	;;#ASMSTART
	v_cvt_f32_f16 v4, v4;
	;;#ASMEND
	;;#ASMSTART
	v_cvt_f32_f16 v7, v7;
	;;#ASMEND
	s_delay_alu instid0(VALU_DEP_1)
	v_dual_fmac_f32 v87, v0, v4 :: v_dual_fmac_f32 v86, v1, v7
	v_lshrrev_b32_e32 v1, 16, v2
	v_and_b32_e32 v0, 0xffff, v2
	v_and_b32_e32 v2, 0xffff, v41
	;;#ASMSTART
	v_cvt_f32_f16 v0, v0;
	;;#ASMEND
	;;#ASMSTART
	v_cvt_f32_f16 v1, v1;
	;;#ASMEND
	;; [unrolled: 3-line block ×3, first 2 shown]
	v_and_b32_e32 v4, 0xffff, v40
	;;#ASMSTART
	v_cvt_f32_f16 v4, v4;
	;;#ASMEND
	s_delay_alu instid0(VALU_DEP_1)
	v_dual_fmac_f32 v97, v0, v2 :: v_dual_fmac_f32 v96, v1, v4
	v_lshrrev_b32_e32 v1, 16, v3
	v_and_b32_e32 v0, 0xffff, v3
	v_and_b32_e32 v2, 0xffff, v183
	;; [unrolled: 1-line block ×3, first 2 shown]
	;;#ASMSTART
	v_cvt_f32_f16 v0, v0;
	;;#ASMEND
	;;#ASMSTART
	v_cvt_f32_f16 v1, v1;
	;;#ASMEND
	;; [unrolled: 3-line block ×4, first 2 shown]
	v_dual_fmac_f32 v99, v0, v2 :: v_dual_fmac_f32 v98, v1, v3
	ds_load_b128 v[0:3], v9 offset:128
	v_and_b32_e32 v7, 0xffff, v91
	v_and_b32_e32 v11, 0xffff, v76
	s_wait_dscnt 0x0
	v_lshrrev_b32_e32 v4, 16, v0
	v_and_b32_e32 v0, 0xffff, v0
	;;#ASMSTART
	v_cvt_f32_f16 v0, v0;
	;;#ASMEND
	;;#ASMSTART
	v_cvt_f32_f16 v4, v4;
	;;#ASMEND
	;; [unrolled: 3-line block ×4, first 2 shown]
	v_fmac_f32_e32 v69, v0, v7
	v_fmac_f32_e32 v85, v4, v11
	v_lshrrev_b32_e32 v4, 16, v1
	v_and_b32_e32 v0, 0xffff, v1
	;;#ASMSTART
	v_cvt_f32_f16 v0, v0;
	;;#ASMEND
	;;#ASMSTART
	v_cvt_f32_f16 v1, v4;
	;;#ASMEND
	v_and_b32_e32 v4, 0xffff, v75
	v_and_b32_e32 v7, 0xffff, v58
	;;#ASMSTART
	v_cvt_f32_f16 v4, v4;
	;;#ASMEND
	;;#ASMSTART
	v_cvt_f32_f16 v7, v7;
	;;#ASMEND
	s_delay_alu instid0(VALU_DEP_1)
	v_dual_fmac_f32 v87, v0, v4 :: v_dual_fmac_f32 v86, v1, v7
	v_lshrrev_b32_e32 v1, 16, v2
	v_and_b32_e32 v0, 0xffff, v2
	v_and_b32_e32 v2, 0xffff, v57
	;;#ASMSTART
	v_cvt_f32_f16 v0, v0;
	;;#ASMEND
	;;#ASMSTART
	v_cvt_f32_f16 v1, v1;
	;;#ASMEND
	;; [unrolled: 3-line block ×3, first 2 shown]
	v_and_b32_e32 v4, 0xffff, v56
	;;#ASMSTART
	v_cvt_f32_f16 v4, v4;
	;;#ASMEND
	s_delay_alu instid0(VALU_DEP_1)
	v_dual_fmac_f32 v97, v0, v2 :: v_dual_fmac_f32 v96, v1, v4
	v_lshrrev_b32_e32 v1, 16, v3
	v_and_b32_e32 v0, 0xffff, v3
	v_and_b32_e32 v2, 0xffff, v47
	;; [unrolled: 1-line block ×3, first 2 shown]
	;;#ASMSTART
	v_cvt_f32_f16 v0, v0;
	;;#ASMEND
	;;#ASMSTART
	v_cvt_f32_f16 v1, v1;
	;;#ASMEND
	;; [unrolled: 3-line block ×4, first 2 shown]
	v_dual_fmac_f32 v99, v0, v2 :: v_dual_fmac_f32 v98, v1, v3
	ds_load_b128 v[0:3], v9 offset:144
	v_and_b32_e32 v7, 0xffff, v125
	v_and_b32_e32 v11, 0xffff, v124
	s_wait_dscnt 0x0
	v_lshrrev_b32_e32 v4, 16, v0
	v_and_b32_e32 v0, 0xffff, v0
	;;#ASMSTART
	v_cvt_f32_f16 v0, v0;
	;;#ASMEND
	;;#ASMSTART
	v_cvt_f32_f16 v4, v4;
	;;#ASMEND
	;; [unrolled: 3-line block ×4, first 2 shown]
	v_fmac_f32_e32 v69, v0, v7
	v_fmac_f32_e32 v85, v4, v11
	v_lshrrev_b32_e32 v4, 16, v1
	v_and_b32_e32 v0, 0xffff, v1
	;;#ASMSTART
	v_cvt_f32_f16 v0, v0;
	;;#ASMEND
	;;#ASMSTART
	v_cvt_f32_f16 v1, v4;
	;;#ASMEND
	v_and_b32_e32 v4, 0xffff, v123
	v_and_b32_e32 v7, 0xffff, v74
	;;#ASMSTART
	v_cvt_f32_f16 v4, v4;
	;;#ASMEND
	;;#ASMSTART
	v_cvt_f32_f16 v7, v7;
	;;#ASMEND
	s_delay_alu instid0(VALU_DEP_1)
	v_dual_fmac_f32 v87, v0, v4 :: v_dual_fmac_f32 v86, v1, v7
	v_lshrrev_b32_e32 v1, 16, v2
	v_and_b32_e32 v0, 0xffff, v2
	v_and_b32_e32 v2, 0xffff, v6
	;;#ASMSTART
	v_cvt_f32_f16 v0, v0;
	;;#ASMEND
	;;#ASMSTART
	v_cvt_f32_f16 v1, v1;
	;;#ASMEND
	;; [unrolled: 3-line block ×3, first 2 shown]
	v_and_b32_e32 v4, 0xffff, v73
	;;#ASMSTART
	v_cvt_f32_f16 v4, v4;
	;;#ASMEND
	s_delay_alu instid0(VALU_DEP_1)
	v_dual_fmac_f32 v97, v0, v2 :: v_dual_fmac_f32 v96, v1, v4
	v_lshrrev_b32_e32 v1, 16, v3
	v_and_b32_e32 v0, 0xffff, v3
	v_and_b32_e32 v2, 0xffff, v10
	;; [unrolled: 1-line block ×3, first 2 shown]
	;;#ASMSTART
	v_cvt_f32_f16 v0, v0;
	;;#ASMEND
	;;#ASMSTART
	v_cvt_f32_f16 v1, v1;
	;;#ASMEND
	;; [unrolled: 3-line block ×4, first 2 shown]
	v_dual_fmac_f32 v99, v0, v2 :: v_dual_fmac_f32 v98, v1, v3
	ds_load_b128 v[0:3], v9 offset:160
	v_and_b32_e32 v7, 0xffff, v156
	s_wait_dscnt 0x0
	v_lshrrev_b32_e32 v4, 16, v0
	v_and_b32_e32 v0, 0xffff, v0
	;;#ASMSTART
	v_cvt_f32_f16 v0, v0;
	;;#ASMEND
	;;#ASMSTART
	v_cvt_f32_f16 v4, v4;
	;;#ASMEND
	;; [unrolled: 3-line block ×4, first 2 shown]
	v_fmac_f32_e32 v69, v0, v5
	v_fmac_f32_e32 v85, v4, v7
	v_lshrrev_b32_e32 v4, 16, v1
	v_and_b32_e32 v0, 0xffff, v1
	;;#ASMSTART
	v_cvt_f32_f16 v0, v0;
	;;#ASMEND
	;;#ASMSTART
	v_cvt_f32_f16 v1, v4;
	;;#ASMEND
	v_and_b32_e32 v4, 0xffff, v155
	v_and_b32_e32 v5, 0xffff, v120
	;;#ASMSTART
	v_cvt_f32_f16 v4, v4;
	;;#ASMEND
	;;#ASMSTART
	v_cvt_f32_f16 v5, v5;
	;;#ASMEND
	s_delay_alu instid0(VALU_DEP_1)
	v_dual_fmac_f32 v87, v0, v4 :: v_dual_fmac_f32 v86, v1, v5
	v_lshrrev_b32_e32 v1, 16, v2
	v_and_b32_e32 v0, 0xffff, v2
	v_and_b32_e32 v2, 0xffff, v111
	;;#ASMSTART
	v_cvt_f32_f16 v0, v0;
	;;#ASMEND
	;;#ASMSTART
	v_cvt_f32_f16 v1, v1;
	;;#ASMEND
	;; [unrolled: 3-line block ×3, first 2 shown]
	v_and_b32_e32 v4, 0xffff, v104
	;;#ASMSTART
	v_cvt_f32_f16 v4, v4;
	;;#ASMEND
	s_delay_alu instid0(VALU_DEP_1)
	v_dual_fmac_f32 v97, v0, v2 :: v_dual_fmac_f32 v96, v1, v4
	v_lshrrev_b32_e32 v1, 16, v3
	v_and_b32_e32 v0, 0xffff, v3
	v_and_b32_e32 v2, 0xffff, v95
	;; [unrolled: 1-line block ×3, first 2 shown]
	;;#ASMSTART
	v_cvt_f32_f16 v0, v0;
	;;#ASMEND
	;;#ASMSTART
	v_cvt_f32_f16 v1, v1;
	;;#ASMEND
	;; [unrolled: 3-line block ×4, first 2 shown]
	v_dual_fmac_f32 v99, v0, v2 :: v_dual_fmac_f32 v98, v1, v3
	ds_load_b128 v[0:3], v9 offset:176
	v_and_b32_e32 v5, 0xffff, v12
	v_and_b32_e32 v6, 0xffff, v13
	s_wait_dscnt 0x0
	v_lshrrev_b32_e32 v4, 16, v0
	v_and_b32_e32 v0, 0xffff, v0
	;;#ASMSTART
	v_cvt_f32_f16 v0, v0;
	;;#ASMEND
	;;#ASMSTART
	v_cvt_f32_f16 v4, v4;
	;;#ASMEND
	;; [unrolled: 3-line block ×4, first 2 shown]
	v_fmac_f32_e32 v69, v0, v5
	v_fmac_f32_e32 v85, v4, v6
	v_lshrrev_b32_e32 v4, 16, v1
	v_and_b32_e32 v0, 0xffff, v1
	;;#ASMSTART
	v_cvt_f32_f16 v0, v0;
	;;#ASMEND
	;;#ASMSTART
	v_cvt_f32_f16 v1, v4;
	;;#ASMEND
	v_and_b32_e32 v4, 0xffff, v187
	v_and_b32_e32 v5, 0xffff, v142
	;;#ASMSTART
	v_cvt_f32_f16 v4, v4;
	;;#ASMEND
	;;#ASMSTART
	v_cvt_f32_f16 v5, v5;
	;;#ASMEND
	s_delay_alu instid0(VALU_DEP_1)
	v_dual_fmac_f32 v87, v0, v4 :: v_dual_fmac_f32 v86, v1, v5
	v_lshrrev_b32_e32 v1, 16, v2
	v_and_b32_e32 v0, 0xffff, v2
	v_and_b32_e32 v2, 0xffff, v141
	;;#ASMSTART
	v_cvt_f32_f16 v0, v0;
	;;#ASMEND
	;;#ASMSTART
	v_cvt_f32_f16 v1, v1;
	;;#ASMEND
	;; [unrolled: 3-line block ×3, first 2 shown]
	s_delay_alu instid0(VALU_DEP_1) | instskip(SKIP_1) | instid1(VALU_DEP_1)
	v_dual_fmac_f32 v97, v0, v2 :: v_dual_and_b32 v4, 0xffff, v136
	;;#ASMSTART
	v_cvt_f32_f16 v4, v4;
	;;#ASMEND
	v_fmac_f32_e32 v96, v1, v4
	v_lshrrev_b32_e32 v1, 16, v3
	v_and_b32_e32 v0, 0xffff, v3
	v_and_b32_e32 v2, 0xffff, v127
	;; [unrolled: 1-line block ×3, first 2 shown]
	;;#ASMSTART
	v_cvt_f32_f16 v0, v0;
	;;#ASMEND
	;;#ASMSTART
	v_cvt_f32_f16 v1, v1;
	;;#ASMEND
	;; [unrolled: 3-line block ×4, first 2 shown]
	v_dual_fmac_f32 v99, v0, v2 :: v_dual_fmac_f32 v98, v1, v3
	ds_load_b128 v[0:3], v9 offset:192
	v_and_b32_e32 v5, 0xffff, v83
	v_and_b32_e32 v6, 0xffff, v82
	s_wait_dscnt 0x0
	v_lshrrev_b32_e32 v4, 16, v0
	v_and_b32_e32 v0, 0xffff, v0
	;;#ASMSTART
	v_cvt_f32_f16 v0, v0;
	;;#ASMEND
	;;#ASMSTART
	v_cvt_f32_f16 v4, v4;
	;;#ASMEND
	;;#ASMSTART
	v_cvt_f32_f16 v5, v5;
	;;#ASMEND
	;;#ASMSTART
	v_cvt_f32_f16 v6, v6;
	;;#ASMEND
	v_fmac_f32_e32 v69, v0, v5
	v_fmac_f32_e32 v85, v4, v6
	v_lshrrev_b32_e32 v4, 16, v1
	v_and_b32_e32 v0, 0xffff, v1
	;;#ASMSTART
	v_cvt_f32_f16 v0, v0;
	;;#ASMEND
	;;#ASMSTART
	v_cvt_f32_f16 v1, v4;
	;;#ASMEND
	v_and_b32_e32 v4, 0xffff, v22
	v_and_b32_e32 v5, 0xffff, v188
	;;#ASMSTART
	v_cvt_f32_f16 v4, v4;
	;;#ASMEND
	;;#ASMSTART
	v_cvt_f32_f16 v5, v5;
	;;#ASMEND
	s_delay_alu instid0(VALU_DEP_1)
	v_dual_fmac_f32 v87, v0, v4 :: v_dual_fmac_f32 v86, v1, v5
	v_lshrrev_b32_e32 v1, 16, v2
	v_and_b32_e32 v0, 0xffff, v2
	v_and_b32_e32 v2, 0xffff, v15
	;;#ASMSTART
	v_cvt_f32_f16 v0, v0;
	;;#ASMEND
	;;#ASMSTART
	v_cvt_f32_f16 v1, v1;
	;;#ASMEND
	;; [unrolled: 3-line block ×3, first 2 shown]
	v_and_b32_e32 v4, 0xffff, v175
	;;#ASMSTART
	v_cvt_f32_f16 v4, v4;
	;;#ASMEND
	s_delay_alu instid0(VALU_DEP_1)
	v_dual_fmac_f32 v97, v0, v2 :: v_dual_fmac_f32 v96, v1, v4
	v_lshrrev_b32_e32 v1, 16, v3
	v_and_b32_e32 v0, 0xffff, v3
	v_and_b32_e32 v2, 0xffff, v16
	;; [unrolled: 1-line block ×3, first 2 shown]
	;;#ASMSTART
	v_cvt_f32_f16 v0, v0;
	;;#ASMEND
	;;#ASMSTART
	v_cvt_f32_f16 v1, v1;
	;;#ASMEND
	;; [unrolled: 3-line block ×4, first 2 shown]
	v_dual_fmac_f32 v99, v0, v2 :: v_dual_fmac_f32 v98, v1, v3
	ds_load_b128 v[0:3], v9 offset:208
	v_and_b32_e32 v5, 0xffff, v81
	v_and_b32_e32 v6, 0xffff, v17
	s_wait_dscnt 0x0
	v_lshrrev_b32_e32 v4, 16, v0
	v_and_b32_e32 v0, 0xffff, v0
	;;#ASMSTART
	v_cvt_f32_f16 v0, v0;
	;;#ASMEND
	;;#ASMSTART
	v_cvt_f32_f16 v4, v4;
	;;#ASMEND
	;;#ASMSTART
	v_cvt_f32_f16 v5, v5;
	;;#ASMEND
	;;#ASMSTART
	v_cvt_f32_f16 v6, v6;
	;;#ASMEND
	v_fmac_f32_e32 v69, v0, v5
	v_fmac_f32_e32 v85, v4, v6
	v_lshrrev_b32_e32 v4, 16, v1
	v_and_b32_e32 v0, 0xffff, v1
	;;#ASMSTART
	v_cvt_f32_f16 v0, v0;
	;;#ASMEND
	;;#ASMSTART
	v_cvt_f32_f16 v1, v4;
	;;#ASMEND
	v_and_b32_e32 v4, 0xffff, v118
	v_and_b32_e32 v5, 0xffff, v35
	;;#ASMSTART
	v_cvt_f32_f16 v4, v4;
	;;#ASMEND
	;;#ASMSTART
	v_cvt_f32_f16 v5, v5;
	;;#ASMEND
	s_delay_alu instid0(VALU_DEP_1)
	v_dual_fmac_f32 v87, v0, v4 :: v_dual_fmac_f32 v86, v1, v5
	v_lshrrev_b32_e32 v1, 16, v2
	v_and_b32_e32 v0, 0xffff, v2
	v_and_b32_e32 v2, 0xffff, v18
	;;#ASMSTART
	v_cvt_f32_f16 v0, v0;
	;;#ASMEND
	;;#ASMSTART
	v_cvt_f32_f16 v1, v1;
	;;#ASMEND
	;; [unrolled: 3-line block ×3, first 2 shown]
	v_and_b32_e32 v4, 0xffff, v19
	;;#ASMSTART
	v_cvt_f32_f16 v4, v4;
	;;#ASMEND
	s_delay_alu instid0(VALU_DEP_1)
	v_dual_fmac_f32 v97, v0, v2 :: v_dual_fmac_f32 v96, v1, v4
	v_lshrrev_b32_e32 v1, 16, v3
	v_and_b32_e32 v0, 0xffff, v3
	v_and_b32_e32 v2, 0xffff, v23
	;; [unrolled: 1-line block ×3, first 2 shown]
	;;#ASMSTART
	v_cvt_f32_f16 v0, v0;
	;;#ASMEND
	;;#ASMSTART
	v_cvt_f32_f16 v1, v1;
	;;#ASMEND
	;; [unrolled: 3-line block ×4, first 2 shown]
	v_dual_fmac_f32 v99, v0, v2 :: v_dual_fmac_f32 v98, v1, v3
	ds_load_b128 v[0:3], v9 offset:224
	v_and_b32_e32 v5, 0xffff, v71
	v_and_b32_e32 v6, 0xffff, v32
	s_wait_dscnt 0x0
	v_lshrrev_b32_e32 v4, 16, v0
	v_and_b32_e32 v0, 0xffff, v0
	;;#ASMSTART
	v_cvt_f32_f16 v0, v0;
	;;#ASMEND
	;;#ASMSTART
	v_cvt_f32_f16 v4, v4;
	;;#ASMEND
	;; [unrolled: 3-line block ×4, first 2 shown]
	v_fmac_f32_e32 v69, v0, v5
	v_fmac_f32_e32 v85, v4, v6
	v_lshrrev_b32_e32 v4, 16, v1
	v_and_b32_e32 v0, 0xffff, v1
	;;#ASMSTART
	v_cvt_f32_f16 v0, v0;
	;;#ASMEND
	;;#ASMSTART
	v_cvt_f32_f16 v1, v4;
	;;#ASMEND
	v_and_b32_e32 v4, 0xffff, v115
	v_and_b32_e32 v5, 0xffff, v28
	;;#ASMSTART
	v_cvt_f32_f16 v4, v4;
	;;#ASMEND
	;;#ASMSTART
	v_cvt_f32_f16 v5, v5;
	;;#ASMEND
	s_delay_alu instid0(VALU_DEP_1)
	v_dual_fmac_f32 v87, v0, v4 :: v_dual_fmac_f32 v86, v1, v5
	v_lshrrev_b32_e32 v1, 16, v2
	v_and_b32_e32 v0, 0xffff, v2
	v_and_b32_e32 v2, 0xffff, v113
	;;#ASMSTART
	v_cvt_f32_f16 v0, v0;
	;;#ASMEND
	;;#ASMSTART
	v_cvt_f32_f16 v1, v1;
	;;#ASMEND
	;; [unrolled: 3-line block ×3, first 2 shown]
	s_delay_alu instid0(VALU_DEP_1) | instskip(SKIP_1) | instid1(VALU_DEP_1)
	v_dual_fmac_f32 v97, v0, v2 :: v_dual_and_b32 v4, 0xffff, v112
	;;#ASMSTART
	v_cvt_f32_f16 v4, v4;
	;;#ASMEND
	v_fmac_f32_e32 v96, v1, v4
	v_lshrrev_b32_e32 v1, 16, v3
	v_and_b32_e32 v0, 0xffff, v3
	v_and_b32_e32 v2, 0xffff, v102
	;; [unrolled: 1-line block ×3, first 2 shown]
	;;#ASMSTART
	v_cvt_f32_f16 v0, v0;
	;;#ASMEND
	;;#ASMSTART
	v_cvt_f32_f16 v1, v1;
	;;#ASMEND
	;; [unrolled: 3-line block ×4, first 2 shown]
	v_dual_fmac_f32 v99, v0, v2 :: v_dual_fmac_f32 v98, v1, v3
	ds_load_b128 v[0:3], v9 offset:240
	v_and_b32_e32 v5, 0xffff, v55
	v_and_b32_e32 v6, 0xffff, v54
	s_wait_dscnt 0x0
	v_lshrrev_b32_e32 v4, 16, v0
	v_and_b32_e32 v0, 0xffff, v0
	;;#ASMSTART
	v_cvt_f32_f16 v0, v0;
	;;#ASMEND
	;;#ASMSTART
	v_cvt_f32_f16 v4, v4;
	;;#ASMEND
	;; [unrolled: 3-line block ×4, first 2 shown]
	v_fmac_f32_e32 v69, v0, v5
	v_fmac_f32_e32 v85, v4, v6
	v_lshrrev_b32_e32 v4, 16, v1
	v_and_b32_e32 v0, 0xffff, v1
	;;#ASMSTART
	v_cvt_f32_f16 v0, v0;
	;;#ASMEND
	;;#ASMSTART
	v_cvt_f32_f16 v1, v4;
	;;#ASMEND
	v_and_b32_e32 v4, 0xffff, v30
	v_and_b32_e32 v5, 0xffff, v38
	;;#ASMSTART
	v_cvt_f32_f16 v4, v4;
	;;#ASMEND
	;;#ASMSTART
	v_cvt_f32_f16 v5, v5;
	;;#ASMEND
	s_delay_alu instid0(VALU_DEP_1)
	v_dual_fmac_f32 v87, v0, v4 :: v_dual_fmac_f32 v86, v1, v5
	v_lshrrev_b32_e32 v1, 16, v2
	v_and_b32_e32 v0, 0xffff, v2
	v_and_b32_e32 v2, 0xffff, v37
	;;#ASMSTART
	v_cvt_f32_f16 v0, v0;
	;;#ASMEND
	;;#ASMSTART
	v_cvt_f32_f16 v1, v1;
	;;#ASMEND
	;; [unrolled: 3-line block ×3, first 2 shown]
	v_and_b32_e32 v4, 0xffff, v39
	;;#ASMSTART
	v_cvt_f32_f16 v4, v4;
	;;#ASMEND
	s_delay_alu instid0(VALU_DEP_1)
	v_dual_fmac_f32 v97, v0, v2 :: v_dual_fmac_f32 v96, v1, v4
	v_lshrrev_b32_e32 v1, 16, v3
	v_and_b32_e32 v0, 0xffff, v3
	v_and_b32_e32 v2, 0xffff, v33
	;; [unrolled: 1-line block ×3, first 2 shown]
	;;#ASMSTART
	v_cvt_f32_f16 v0, v0;
	;;#ASMEND
	;;#ASMSTART
	v_cvt_f32_f16 v1, v1;
	;;#ASMEND
	;; [unrolled: 3-line block ×4, first 2 shown]
	v_dual_fmac_f32 v99, v0, v2 :: v_dual_fmac_f32 v98, v1, v3
	ds_load_b128 v[0:3], v9 offset:256
	v_and_b32_e32 v5, 0xffff, v52
	v_and_b32_e32 v6, 0xffff, v48
	s_wait_dscnt 0x0
	v_lshrrev_b32_e32 v4, 16, v0
	v_and_b32_e32 v0, 0xffff, v0
	;;#ASMSTART
	v_cvt_f32_f16 v0, v0;
	;;#ASMEND
	;;#ASMSTART
	v_cvt_f32_f16 v4, v4;
	;;#ASMEND
	;; [unrolled: 3-line block ×4, first 2 shown]
	v_fmac_f32_e32 v69, v0, v5
	v_fmac_f32_e32 v85, v4, v6
	v_lshrrev_b32_e32 v4, 16, v1
	v_and_b32_e32 v0, 0xffff, v1
	;;#ASMSTART
	v_cvt_f32_f16 v0, v0;
	;;#ASMEND
	;;#ASMSTART
	v_cvt_f32_f16 v1, v4;
	;;#ASMEND
	v_and_b32_e32 v4, 0xffff, v49
	v_and_b32_e32 v5, 0xffff, v50
	;;#ASMSTART
	v_cvt_f32_f16 v4, v4;
	;;#ASMEND
	;;#ASMSTART
	v_cvt_f32_f16 v5, v5;
	;;#ASMEND
	s_delay_alu instid0(VALU_DEP_1)
	v_dual_fmac_f32 v87, v0, v4 :: v_dual_fmac_f32 v86, v1, v5
	v_lshrrev_b32_e32 v1, 16, v2
	v_and_b32_e32 v0, 0xffff, v2
	v_and_b32_e32 v2, 0xffff, v66
	;;#ASMSTART
	v_cvt_f32_f16 v0, v0;
	;;#ASMEND
	;;#ASMSTART
	v_cvt_f32_f16 v1, v1;
	;;#ASMEND
	;; [unrolled: 3-line block ×3, first 2 shown]
	s_delay_alu instid0(VALU_DEP_1) | instskip(SKIP_1) | instid1(VALU_DEP_1)
	v_dual_fmac_f32 v97, v0, v2 :: v_dual_and_b32 v4, 0xffff, v51
	;;#ASMSTART
	v_cvt_f32_f16 v4, v4;
	;;#ASMEND
	v_fmac_f32_e32 v96, v1, v4
	v_lshrrev_b32_e32 v1, 16, v3
	v_and_b32_e32 v0, 0xffff, v3
	v_and_b32_e32 v2, 0xffff, v53
	;; [unrolled: 1-line block ×3, first 2 shown]
	;;#ASMSTART
	v_cvt_f32_f16 v0, v0;
	;;#ASMEND
	;;#ASMSTART
	v_cvt_f32_f16 v1, v1;
	;;#ASMEND
	;; [unrolled: 3-line block ×4, first 2 shown]
	v_dual_fmac_f32 v99, v0, v2 :: v_dual_fmac_f32 v98, v1, v3
	ds_load_b128 v[0:3], v9 offset:272
	v_and_b32_e32 v5, 0xffff, v93
	v_and_b32_e32 v6, 0xffff, v94
	s_wait_dscnt 0x0
	v_lshrrev_b32_e32 v4, 16, v0
	v_and_b32_e32 v0, 0xffff, v0
	;;#ASMSTART
	v_cvt_f32_f16 v0, v0;
	;;#ASMEND
	;;#ASMSTART
	v_cvt_f32_f16 v4, v4;
	;;#ASMEND
	;;#ASMSTART
	v_cvt_f32_f16 v5, v5;
	;;#ASMEND
	;;#ASMSTART
	v_cvt_f32_f16 v6, v6;
	;;#ASMEND
	v_fmac_f32_e32 v69, v0, v5
	v_fmac_f32_e32 v85, v4, v6
	v_lshrrev_b32_e32 v4, 16, v1
	v_and_b32_e32 v0, 0xffff, v1
	;;#ASMSTART
	v_cvt_f32_f16 v0, v0;
	;;#ASMEND
	;;#ASMSTART
	v_cvt_f32_f16 v1, v4;
	;;#ASMEND
	v_and_b32_e32 v4, 0xffff, v121
	v_and_b32_e32 v5, 0xffff, v122
	;;#ASMSTART
	v_cvt_f32_f16 v4, v4;
	;;#ASMEND
	;;#ASMSTART
	v_cvt_f32_f16 v5, v5;
	;;#ASMEND
	s_delay_alu instid0(VALU_DEP_1)
	v_dual_fmac_f32 v87, v0, v4 :: v_dual_fmac_f32 v86, v1, v5
	v_lshrrev_b32_e32 v1, 16, v2
	v_and_b32_e32 v0, 0xffff, v2
	v_and_b32_e32 v2, 0xffff, v137
	;;#ASMSTART
	v_cvt_f32_f16 v0, v0;
	;;#ASMEND
	;;#ASMSTART
	v_cvt_f32_f16 v1, v1;
	;;#ASMEND
	;;#ASMSTART
	v_cvt_f32_f16 v2, v2;
	;;#ASMEND
	v_and_b32_e32 v4, 0xffff, v138
	;;#ASMSTART
	v_cvt_f32_f16 v4, v4;
	;;#ASMEND
	s_delay_alu instid0(VALU_DEP_1)
	v_dual_fmac_f32 v97, v0, v2 :: v_dual_fmac_f32 v96, v1, v4
	v_lshrrev_b32_e32 v1, 16, v3
	v_and_b32_e32 v0, 0xffff, v3
	v_and_b32_e32 v2, 0xffff, v139
	;; [unrolled: 1-line block ×3, first 2 shown]
	;;#ASMSTART
	v_cvt_f32_f16 v0, v0;
	;;#ASMEND
	;;#ASMSTART
	v_cvt_f32_f16 v1, v1;
	;;#ASMEND
	;;#ASMSTART
	v_cvt_f32_f16 v2, v2;
	;;#ASMEND
	;;#ASMSTART
	v_cvt_f32_f16 v3, v3;
	;;#ASMEND
	v_dual_fmac_f32 v99, v0, v2 :: v_dual_fmac_f32 v98, v1, v3
	ds_load_b128 v[0:3], v9 offset:288
	v_and_b32_e32 v5, 0xffff, v153
	v_and_b32_e32 v6, 0xffff, v154
	s_wait_dscnt 0x0
	v_lshrrev_b32_e32 v4, 16, v0
	v_and_b32_e32 v0, 0xffff, v0
	;;#ASMSTART
	v_cvt_f32_f16 v0, v0;
	;;#ASMEND
	;;#ASMSTART
	v_cvt_f32_f16 v4, v4;
	;;#ASMEND
	;; [unrolled: 3-line block ×4, first 2 shown]
	v_fmac_f32_e32 v69, v0, v5
	v_fmac_f32_e32 v85, v4, v6
	v_lshrrev_b32_e32 v4, 16, v1
	v_and_b32_e32 v0, 0xffff, v1
	;;#ASMSTART
	v_cvt_f32_f16 v0, v0;
	;;#ASMEND
	;;#ASMSTART
	v_cvt_f32_f16 v1, v4;
	;;#ASMEND
	v_and_b32_e32 v4, 0xffff, v190
	v_and_b32_e32 v5, 0xffff, v189
	;;#ASMSTART
	v_cvt_f32_f16 v4, v4;
	;;#ASMEND
	;;#ASMSTART
	v_cvt_f32_f16 v5, v5;
	;;#ASMEND
	s_delay_alu instid0(VALU_DEP_1)
	v_dual_fmac_f32 v87, v0, v4 :: v_dual_fmac_f32 v86, v1, v5
	v_lshrrev_b32_e32 v1, 16, v2
	v_and_b32_e32 v0, 0xffff, v2
	v_and_b32_e32 v2, 0xffff, v186
	;;#ASMSTART
	v_cvt_f32_f16 v0, v0;
	;;#ASMEND
	;;#ASMSTART
	v_cvt_f32_f16 v1, v1;
	;;#ASMEND
	;; [unrolled: 3-line block ×3, first 2 shown]
	s_delay_alu instid0(VALU_DEP_1) | instskip(SKIP_1) | instid1(VALU_DEP_1)
	v_dual_fmac_f32 v97, v0, v2 :: v_dual_and_b32 v4, 0xffff, v185
	;;#ASMSTART
	v_cvt_f32_f16 v4, v4;
	;;#ASMEND
	v_fmac_f32_e32 v96, v1, v4
	v_lshrrev_b32_e32 v1, 16, v3
	v_and_b32_e32 v0, 0xffff, v3
	v_and_b32_e32 v2, 0xffff, v174
	v_and_b32_e32 v3, 0xffff, v173
	;;#ASMSTART
	v_cvt_f32_f16 v0, v0;
	;;#ASMEND
	;;#ASMSTART
	v_cvt_f32_f16 v1, v1;
	;;#ASMEND
	;; [unrolled: 3-line block ×4, first 2 shown]
	v_dual_fmac_f32 v99, v0, v2 :: v_dual_fmac_f32 v98, v1, v3
	ds_load_b128 v[0:3], v9 offset:304
	v_and_b32_e32 v5, 0xffff, v172
	v_and_b32_e32 v6, 0xffff, v171
	s_wait_dscnt 0x0
	v_lshrrev_b32_e32 v4, 16, v0
	v_and_b32_e32 v0, 0xffff, v0
	;;#ASMSTART
	v_cvt_f32_f16 v0, v0;
	;;#ASMEND
	;;#ASMSTART
	v_cvt_f32_f16 v4, v4;
	;;#ASMEND
	;; [unrolled: 3-line block ×4, first 2 shown]
	v_fmac_f32_e32 v69, v0, v5
	v_fmac_f32_e32 v85, v4, v6
	v_lshrrev_b32_e32 v4, 16, v1
	v_and_b32_e32 v0, 0xffff, v1
	;;#ASMSTART
	v_cvt_f32_f16 v0, v0;
	;;#ASMEND
	;;#ASMSTART
	v_cvt_f32_f16 v1, v4;
	;;#ASMEND
	v_and_b32_e32 v4, 0xffff, v169
	v_and_b32_e32 v5, 0xffff, v159
	;;#ASMSTART
	v_cvt_f32_f16 v4, v4;
	;;#ASMEND
	;;#ASMSTART
	v_cvt_f32_f16 v5, v5;
	;;#ASMEND
	s_delay_alu instid0(VALU_DEP_1)
	v_dual_fmac_f32 v87, v0, v4 :: v_dual_fmac_f32 v86, v1, v5
	v_lshrrev_b32_e32 v1, 16, v2
	v_and_b32_e32 v0, 0xffff, v2
	v_and_b32_e32 v2, 0xffff, v158
	;;#ASMSTART
	v_cvt_f32_f16 v0, v0;
	;;#ASMEND
	;;#ASMSTART
	v_cvt_f32_f16 v1, v1;
	;;#ASMEND
	;;#ASMSTART
	v_cvt_f32_f16 v2, v2;
	;;#ASMEND
	s_delay_alu instid0(VALU_DEP_1) | instskip(SKIP_1) | instid1(VALU_DEP_1)
	v_dual_fmac_f32 v97, v0, v2 :: v_dual_and_b32 v4, 0xffff, v157
	;;#ASMSTART
	v_cvt_f32_f16 v4, v4;
	;;#ASMEND
	v_fmac_f32_e32 v96, v1, v4
	v_lshrrev_b32_e32 v1, 16, v3
	v_and_b32_e32 v0, 0xffff, v3
	;;#ASMSTART
	v_cvt_f32_f16 v0, v0;
	;;#ASMEND
	;;#ASMSTART
	v_cvt_f32_f16 v1, v1;
	;;#ASMEND
	scratch_load_b32 v2, off, s32 offset:540 th:TH_LOAD_LU ; 4-byte Folded Reload
	s_wait_loadcnt 0x0
	v_and_b32_e32 v2, 0xffff, v2
	;;#ASMSTART
	v_cvt_f32_f16 v2, v2;
	;;#ASMEND
	scratch_load_b32 v3, off, s32 offset:536 th:TH_LOAD_LU ; 4-byte Folded Reload
	v_fmac_f32_e32 v99, v0, v2
	s_wait_loadcnt 0x0
	v_and_b32_e32 v3, 0xffff, v3
	;;#ASMSTART
	v_cvt_f32_f16 v3, v3;
	;;#ASMEND
	s_delay_alu instid0(VALU_DEP_1)
	v_fmac_f32_e32 v98, v1, v3
	ds_load_b128 v[0:3], v9 offset:320
	s_wait_dscnt 0x0
	v_lshrrev_b32_e32 v4, 16, v0
	v_and_b32_e32 v0, 0xffff, v0
	;;#ASMSTART
	v_cvt_f32_f16 v0, v0;
	;;#ASMEND
	;;#ASMSTART
	v_cvt_f32_f16 v4, v4;
	;;#ASMEND
	scratch_load_b32 v5, off, s32 offset:532 th:TH_LOAD_LU ; 4-byte Folded Reload
	s_wait_loadcnt 0x0
	v_and_b32_e32 v5, 0xffff, v5
	;;#ASMSTART
	v_cvt_f32_f16 v5, v5;
	;;#ASMEND
	scratch_load_b32 v6, off, s32 offset:528 th:TH_LOAD_LU ; 4-byte Folded Reload
	v_fmac_f32_e32 v69, v0, v5
	v_and_b32_e32 v0, 0xffff, v1
	s_wait_loadcnt 0x0
	v_and_b32_e32 v6, 0xffff, v6
	;;#ASMSTART
	v_cvt_f32_f16 v6, v6;
	;;#ASMEND
	s_delay_alu instid0(VALU_DEP_1)
	v_fmac_f32_e32 v85, v4, v6
	v_lshrrev_b32_e32 v4, 16, v1
	;;#ASMSTART
	v_cvt_f32_f16 v0, v0;
	;;#ASMEND
	;;#ASMSTART
	v_cvt_f32_f16 v1, v4;
	;;#ASMEND
	scratch_load_b32 v4, off, s32 offset:524 th:TH_LOAD_LU ; 4-byte Folded Reload
	s_wait_loadcnt 0x0
	v_and_b32_e32 v4, 0xffff, v4
	;;#ASMSTART
	v_cvt_f32_f16 v4, v4;
	;;#ASMEND
	scratch_load_b32 v5, off, s32 offset:520 th:TH_LOAD_LU ; 4-byte Folded Reload
	v_dual_fmac_f32 v87, v0, v4 :: v_dual_and_b32 v0, 0xffff, v2
	s_wait_loadcnt 0x0
	v_and_b32_e32 v5, 0xffff, v5
	;;#ASMSTART
	v_cvt_f32_f16 v5, v5;
	;;#ASMEND
	s_delay_alu instid0(VALU_DEP_1)
	v_fmac_f32_e32 v86, v1, v5
	v_lshrrev_b32_e32 v1, 16, v2
	;;#ASMSTART
	v_cvt_f32_f16 v0, v0;
	;;#ASMEND
	;;#ASMSTART
	v_cvt_f32_f16 v1, v1;
	;;#ASMEND
	scratch_load_b32 v2, off, s32 offset:516 th:TH_LOAD_LU ; 4-byte Folded Reload
	s_wait_loadcnt 0x0
	v_and_b32_e32 v2, 0xffff, v2
	;;#ASMSTART
	v_cvt_f32_f16 v2, v2;
	;;#ASMEND
	scratch_load_b32 v4, off, s32 offset:512 th:TH_LOAD_LU ; 4-byte Folded Reload
	v_fmac_f32_e32 v97, v0, v2
	v_lshrrev_b32_e32 v0, 16, v3
	s_wait_loadcnt 0x0
	v_and_b32_e32 v4, 0xffff, v4
	;;#ASMSTART
	v_cvt_f32_f16 v4, v4;
	;;#ASMEND
	s_delay_alu instid0(VALU_DEP_1)
	v_dual_fmac_f32 v96, v1, v4 :: v_dual_and_b32 v1, 0xffff, v3
	;;#ASMSTART
	v_cvt_f32_f16 v1, v1;
	;;#ASMEND
	;;#ASMSTART
	v_cvt_f32_f16 v0, v0;
	;;#ASMEND
	scratch_load_b32 v2, off, s32 offset:508 th:TH_LOAD_LU ; 4-byte Folded Reload
	s_wait_loadcnt 0x0
	v_and_b32_e32 v2, 0xffff, v2
	;;#ASMSTART
	v_cvt_f32_f16 v2, v2;
	;;#ASMEND
	scratch_load_b32 v3, off, s32 offset:504 th:TH_LOAD_LU ; 4-byte Folded Reload
	v_fmac_f32_e32 v99, v1, v2
	s_wait_loadcnt 0x0
	v_and_b32_e32 v3, 0xffff, v3
	;;#ASMSTART
	v_cvt_f32_f16 v3, v3;
	;;#ASMEND
	s_delay_alu instid0(VALU_DEP_1)
	v_fmac_f32_e32 v98, v0, v3
	ds_load_b128 v[0:3], v9 offset:336
	s_wait_dscnt 0x0
	v_lshrrev_b32_e32 v4, 16, v0
	v_and_b32_e32 v0, 0xffff, v0
	;;#ASMSTART
	v_cvt_f32_f16 v0, v0;
	;;#ASMEND
	;;#ASMSTART
	v_cvt_f32_f16 v4, v4;
	;;#ASMEND
	scratch_load_b32 v5, off, s32 offset:500 th:TH_LOAD_LU ; 4-byte Folded Reload
	s_wait_loadcnt 0x0
	v_and_b32_e32 v5, 0xffff, v5
	;;#ASMSTART
	v_cvt_f32_f16 v5, v5;
	;;#ASMEND
	scratch_load_b32 v6, off, s32 offset:496 th:TH_LOAD_LU ; 4-byte Folded Reload
	v_fmac_f32_e32 v69, v0, v5
	v_and_b32_e32 v0, 0xffff, v1
	s_wait_loadcnt 0x0
	v_and_b32_e32 v6, 0xffff, v6
	;;#ASMSTART
	v_cvt_f32_f16 v6, v6;
	;;#ASMEND
	s_delay_alu instid0(VALU_DEP_1)
	v_fmac_f32_e32 v85, v4, v6
	v_lshrrev_b32_e32 v4, 16, v1
	;;#ASMSTART
	v_cvt_f32_f16 v0, v0;
	;;#ASMEND
	;;#ASMSTART
	v_cvt_f32_f16 v1, v4;
	;;#ASMEND
	scratch_load_b32 v4, off, s32 offset:492 th:TH_LOAD_LU ; 4-byte Folded Reload
	s_wait_loadcnt 0x0
	v_and_b32_e32 v4, 0xffff, v4
	;;#ASMSTART
	v_cvt_f32_f16 v4, v4;
	;;#ASMEND
	scratch_load_b32 v5, off, s32 offset:488 th:TH_LOAD_LU ; 4-byte Folded Reload
	v_dual_fmac_f32 v87, v0, v4 :: v_dual_and_b32 v0, 0xffff, v2
	s_wait_loadcnt 0x0
	v_and_b32_e32 v5, 0xffff, v5
	;;#ASMSTART
	v_cvt_f32_f16 v5, v5;
	;;#ASMEND
	s_delay_alu instid0(VALU_DEP_1)
	v_fmac_f32_e32 v86, v1, v5
	v_lshrrev_b32_e32 v1, 16, v2
	;;#ASMSTART
	v_cvt_f32_f16 v0, v0;
	;;#ASMEND
	;;#ASMSTART
	v_cvt_f32_f16 v1, v1;
	;;#ASMEND
	scratch_load_b32 v2, off, s32 offset:484 th:TH_LOAD_LU ; 4-byte Folded Reload
	s_wait_loadcnt 0x0
	v_and_b32_e32 v2, 0xffff, v2
	;;#ASMSTART
	v_cvt_f32_f16 v2, v2;
	;;#ASMEND
	scratch_load_b32 v4, off, s32 offset:480 th:TH_LOAD_LU ; 4-byte Folded Reload
	v_dual_fmac_f32 v97, v0, v2 :: v_dual_and_b32 v0, 0xffff, v3
	s_wait_loadcnt 0x0
	v_and_b32_e32 v4, 0xffff, v4
	;;#ASMSTART
	v_cvt_f32_f16 v4, v4;
	;;#ASMEND
	s_delay_alu instid0(VALU_DEP_1)
	v_fmac_f32_e32 v96, v1, v4
	v_lshrrev_b32_e32 v1, 16, v3
	;;#ASMSTART
	v_cvt_f32_f16 v0, v0;
	;;#ASMEND
	;;#ASMSTART
	v_cvt_f32_f16 v1, v1;
	;;#ASMEND
	scratch_load_b32 v2, off, s32 offset:476 th:TH_LOAD_LU ; 4-byte Folded Reload
	s_wait_loadcnt 0x0
	v_and_b32_e32 v2, 0xffff, v2
	;;#ASMSTART
	v_cvt_f32_f16 v2, v2;
	;;#ASMEND
	scratch_load_b32 v3, off, s32 offset:472 th:TH_LOAD_LU ; 4-byte Folded Reload
	v_fmac_f32_e32 v99, v0, v2
	s_wait_loadcnt 0x0
	v_and_b32_e32 v3, 0xffff, v3
	;;#ASMSTART
	v_cvt_f32_f16 v3, v3;
	;;#ASMEND
	s_delay_alu instid0(VALU_DEP_1)
	v_fmac_f32_e32 v98, v1, v3
	ds_load_b128 v[0:3], v9 offset:352
	s_wait_dscnt 0x0
	v_lshrrev_b32_e32 v4, 16, v0
	v_and_b32_e32 v0, 0xffff, v0
	;;#ASMSTART
	v_cvt_f32_f16 v0, v0;
	;;#ASMEND
	;;#ASMSTART
	v_cvt_f32_f16 v4, v4;
	;;#ASMEND
	scratch_load_b32 v5, off, s32 offset:468 th:TH_LOAD_LU ; 4-byte Folded Reload
	s_wait_loadcnt 0x0
	v_and_b32_e32 v5, 0xffff, v5
	;;#ASMSTART
	v_cvt_f32_f16 v5, v5;
	;;#ASMEND
	scratch_load_b32 v6, off, s32 offset:464 th:TH_LOAD_LU ; 4-byte Folded Reload
	v_fmac_f32_e32 v69, v0, v5
	v_and_b32_e32 v0, 0xffff, v1
	s_wait_loadcnt 0x0
	v_and_b32_e32 v6, 0xffff, v6
	;;#ASMSTART
	v_cvt_f32_f16 v6, v6;
	;;#ASMEND
	s_delay_alu instid0(VALU_DEP_1)
	v_fmac_f32_e32 v85, v4, v6
	v_lshrrev_b32_e32 v4, 16, v1
	;;#ASMSTART
	v_cvt_f32_f16 v0, v0;
	;;#ASMEND
	;;#ASMSTART
	v_cvt_f32_f16 v1, v4;
	;;#ASMEND
	scratch_load_b32 v4, off, s32 offset:460 th:TH_LOAD_LU ; 4-byte Folded Reload
	v_and_b32_e32 v6, 0xffff, v152
	s_wait_loadcnt 0x0
	v_and_b32_e32 v4, 0xffff, v4
	;;#ASMSTART
	v_cvt_f32_f16 v4, v4;
	;;#ASMEND
	scratch_load_b32 v5, off, s32 offset:456 th:TH_LOAD_LU ; 4-byte Folded Reload
	v_dual_fmac_f32 v87, v0, v4 :: v_dual_and_b32 v0, 0xffff, v2
	s_wait_loadcnt 0x0
	v_and_b32_e32 v5, 0xffff, v5
	;;#ASMSTART
	v_cvt_f32_f16 v5, v5;
	;;#ASMEND
	s_delay_alu instid0(VALU_DEP_1)
	v_fmac_f32_e32 v86, v1, v5
	v_lshrrev_b32_e32 v1, 16, v2
	;;#ASMSTART
	v_cvt_f32_f16 v0, v0;
	;;#ASMEND
	;;#ASMSTART
	v_cvt_f32_f16 v1, v1;
	;;#ASMEND
	scratch_load_b32 v2, off, s32 offset:452 th:TH_LOAD_LU ; 4-byte Folded Reload
	v_and_b32_e32 v5, 0xffff, v84
	s_wait_loadcnt 0x0
	v_and_b32_e32 v2, 0xffff, v2
	;;#ASMSTART
	v_cvt_f32_f16 v2, v2;
	;;#ASMEND
	scratch_load_b32 v4, off, s32 offset:448 th:TH_LOAD_LU ; 4-byte Folded Reload
	v_dual_fmac_f32 v97, v0, v2 :: v_dual_and_b32 v0, 0xffff, v3
	s_wait_loadcnt 0x0
	v_and_b32_e32 v4, 0xffff, v4
	;;#ASMSTART
	v_cvt_f32_f16 v4, v4;
	;;#ASMEND
	s_delay_alu instid0(VALU_DEP_1)
	v_fmac_f32_e32 v96, v1, v4
	v_lshrrev_b32_e32 v1, 16, v3
	;;#ASMSTART
	v_cvt_f32_f16 v0, v0;
	;;#ASMEND
	;;#ASMSTART
	v_cvt_f32_f16 v1, v1;
	;;#ASMEND
	scratch_load_b32 v2, off, s32 offset:444 th:TH_LOAD_LU ; 4-byte Folded Reload
	s_wait_loadcnt 0x0
	v_and_b32_e32 v2, 0xffff, v2
	;;#ASMSTART
	v_cvt_f32_f16 v2, v2;
	;;#ASMEND
	scratch_load_b32 v3, off, s32 offset:440 th:TH_LOAD_LU ; 4-byte Folded Reload
	v_fmac_f32_e32 v99, v0, v2
	s_wait_loadcnt 0x0
	v_and_b32_e32 v3, 0xffff, v3
	;;#ASMSTART
	v_cvt_f32_f16 v3, v3;
	;;#ASMEND
	s_delay_alu instid0(VALU_DEP_1)
	v_fmac_f32_e32 v98, v1, v3
	ds_load_b128 v[0:3], v9 offset:368
	s_wait_dscnt 0x0
	v_lshrrev_b32_e32 v4, 16, v0
	v_and_b32_e32 v0, 0xffff, v0
	;;#ASMSTART
	v_cvt_f32_f16 v0, v0;
	;;#ASMEND
	;;#ASMSTART
	v_cvt_f32_f16 v4, v4;
	;;#ASMEND
	;; [unrolled: 3-line block ×4, first 2 shown]
	v_fmac_f32_e32 v69, v0, v5
	v_fmac_f32_e32 v85, v4, v6
	v_lshrrev_b32_e32 v4, 16, v1
	v_and_b32_e32 v0, 0xffff, v1
	;;#ASMSTART
	v_cvt_f32_f16 v0, v0;
	;;#ASMEND
	;;#ASMSTART
	v_cvt_f32_f16 v1, v4;
	;;#ASMEND
	v_and_b32_e32 v4, 0xffff, v70
	v_and_b32_e32 v5, 0xffff, v129
	;;#ASMSTART
	v_cvt_f32_f16 v4, v4;
	;;#ASMEND
	;;#ASMSTART
	v_cvt_f32_f16 v5, v5;
	;;#ASMEND
	s_delay_alu instid0(VALU_DEP_1)
	v_dual_fmac_f32 v87, v0, v4 :: v_dual_fmac_f32 v86, v1, v5
	v_lshrrev_b32_e32 v1, 16, v2
	v_and_b32_e32 v0, 0xffff, v2
	;;#ASMSTART
	v_cvt_f32_f16 v0, v0;
	;;#ASMEND
	;;#ASMSTART
	v_cvt_f32_f16 v1, v1;
	;;#ASMEND
	v_and_b32_e32 v2, 0xffff, v80
	v_and_b32_e32 v4, 0xffff, v100
	;;#ASMSTART
	v_cvt_f32_f16 v2, v2;
	;;#ASMEND
	;;#ASMSTART
	v_cvt_f32_f16 v4, v4;
	;;#ASMEND
	s_delay_alu instid0(VALU_DEP_1)
	v_dual_fmac_f32 v97, v0, v2 :: v_dual_fmac_f32 v96, v1, v4
	v_lshrrev_b32_e32 v1, 16, v3
	v_and_b32_e32 v0, 0xffff, v3
	;;#ASMSTART
	v_cvt_f32_f16 v0, v0;
	;;#ASMEND
	;;#ASMSTART
	v_cvt_f32_f16 v1, v1;
	;;#ASMEND
	v_and_b32_e32 v2, 0xffff, v89
	v_and_b32_e32 v3, 0xffff, v128
	;;#ASMSTART
	v_cvt_f32_f16 v2, v2;
	;;#ASMEND
	;;#ASMSTART
	v_cvt_f32_f16 v3, v3;
	;;#ASMEND
	s_delay_alu instid0(VALU_DEP_1) | instskip(SKIP_4) | instid1(VALU_DEP_1)
	v_fmac_f32_e32 v98, v1, v3
	s_clause 0x1
	scratch_load_b32 v1, off, s32 offset:556
	scratch_load_b32 v11, off, s32 offset:436 th:TH_LOAD_LU
	v_dual_fmac_f32 v99, v0, v2 :: v_dual_add_f32 v0, v69, v85
	v_add_f32_e32 v0, v0, v87
	s_delay_alu instid0(VALU_DEP_1) | instskip(NEXT) | instid1(VALU_DEP_1)
	v_add_f32_e32 v0, v86, v0
	v_add_f32_e32 v0, v0, v97
	s_delay_alu instid0(VALU_DEP_1) | instskip(NEXT) | instid1(VALU_DEP_1)
	v_add_f32_e32 v0, v96, v0
	v_add_f32_e32 v0, v0, v99
	s_delay_alu instid0(VALU_DEP_1) | instskip(SKIP_1) | instid1(VALU_DEP_1)
	v_add_f32_e32 v0, v98, v0
	s_wait_loadcnt 0x1
	v_fmac_f32_e32 v8, v1, v0
	s_wait_alu 0xf1ff
	s_delay_alu instid0(VALU_DEP_1) | instskip(SKIP_3) | instid1(VALU_DEP_1)
	v_cndmask_b32_e64 v0, 0, v8, s1
	ds_store_b32 v191, v0
	s_wait_loadcnt 0x0
	v_max_num_f32_e32 v0, v11, v11
	v_max_num_f32_e32 v0, v0, v8
	s_delay_alu instid0(VALU_DEP_1)
	v_cndmask_b32_e64 v11, v11, v0, s1
.LBB294_15:                             ;   in Loop: Header=BB294_16 Depth=1
	s_wait_alu 0xfffe
	s_or_b32 exec_lo, exec_lo, s2
	scratch_load_b32 v0, off, s32 offset:344 ; 4-byte Folded Reload
	v_add_nc_u32_e32 v68, 4, v68
	v_add_co_u32 v20, s2, v20, 16
	s_wait_alu 0xf1ff
	v_add_co_ci_u32_e64 v21, null, 0, v21, s2
	v_add_nc_u32_e32 v64, 0x80, v64
	v_add_nc_u32_e32 v65, 0x200, v65
	s_wait_loadcnt 0x0
	v_cmp_ge_i32_e64 s1, v68, v0
	s_or_b32 s19, s1, s19
	s_wait_alu 0xfffe
	s_and_not1_b32 exec_lo, exec_lo, s19
	s_cbranch_execz .LBB294_1552
.LBB294_16:                             ; =>This Inner Loop Header: Depth=1
	s_clause 0x2
	scratch_load_b32 v1, off, s32 offset:348
	scratch_load_b32 v4, off, s32 offset:328
	;; [unrolled: 1-line block ×3, first 2 shown]
	v_sub_nc_u32_e32 v0, 0, v64
	s_delay_alu instid0(VALU_DEP_1) | instskip(SKIP_1) | instid1(VALU_DEP_1)
	v_max_i32_e32 v0, v64, v0
	s_wait_loadcnt 0x2
	v_mul_hi_u32 v1, v0, v1
	s_wait_loadcnt 0x1
	s_delay_alu instid0(VALU_DEP_1) | instskip(NEXT) | instid1(VALU_DEP_1)
	v_mul_lo_u32 v2, v1, v4
	v_sub_nc_u32_e32 v0, v0, v2
	v_add_nc_u32_e32 v2, 1, v1
	s_delay_alu instid0(VALU_DEP_2) | instskip(SKIP_2) | instid1(VALU_DEP_1)
	v_sub_nc_u32_e32 v3, v0, v4
	v_cmp_ge_u32_e64 s1, v0, v4
	s_wait_alu 0xf1ff
	v_cndmask_b32_e64 v1, v1, v2, s1
	s_delay_alu instid0(VALU_DEP_3) | instskip(SKIP_1) | instid1(VALU_DEP_3)
	v_cndmask_b32_e64 v0, v0, v3, s1
	v_ashrrev_i32_e32 v2, 31, v64
	v_add_nc_u32_e32 v3, 1, v1
	s_delay_alu instid0(VALU_DEP_3) | instskip(SKIP_1) | instid1(VALU_DEP_3)
	v_cmp_ge_u32_e64 s1, v0, v4
	s_wait_loadcnt 0x0
	v_xor_b32_e32 v2, v2, v5
	scratch_load_b32 v4, off, s32 offset:428 ; 4-byte Folded Reload
	s_wait_alu 0xf1ff
	v_cndmask_b32_e64 v0, v1, v3, s1
	scratch_load_b32 v3, off, s32 offset:432 ; 4-byte Folded Reload
	v_xor_b32_e32 v0, v0, v2
	s_delay_alu instid0(VALU_DEP_1) | instskip(SKIP_3) | instid1(VALU_DEP_1)
	v_sub_nc_u32_e32 v0, v0, v2
	scratch_load_b64 v[1:2], off, s32 offset:332 ; 8-byte Folded Reload
	s_wait_loadcnt 0x0
	v_add_nc_u32_e32 v1, v0, v1
	v_sub_nc_u32_e32 v2, 0, v1
	s_delay_alu instid0(VALU_DEP_1) | instskip(SKIP_1) | instid1(VALU_DEP_2)
	v_max_i32_e32 v2, v1, v2
	v_ashrrev_i32_e32 v1, 31, v1
	v_mul_hi_u32 v3, v2, v3
	s_delay_alu instid0(VALU_DEP_1) | instskip(NEXT) | instid1(VALU_DEP_1)
	v_mul_lo_u32 v3, v3, v4
	v_sub_nc_u32_e32 v2, v2, v3
	s_delay_alu instid0(VALU_DEP_1) | instskip(SKIP_2) | instid1(VALU_DEP_1)
	v_sub_nc_u32_e32 v3, v2, v4
	v_cmp_ge_u32_e64 s1, v2, v4
	s_wait_alu 0xf1ff
	v_cndmask_b32_e64 v2, v2, v3, s1
	s_delay_alu instid0(VALU_DEP_1) | instskip(SKIP_2) | instid1(VALU_DEP_1)
	v_sub_nc_u32_e32 v3, v2, v4
	v_cmp_ge_u32_e64 s1, v2, v4
	s_wait_alu 0xf1ff
	v_cndmask_b32_e64 v2, v2, v3, s1
	s_delay_alu instid0(VALU_DEP_1) | instskip(NEXT) | instid1(VALU_DEP_1)
	v_xor_b32_e32 v2, v2, v1
	v_sub_nc_u32_e32 v1, v2, v1
	s_delay_alu instid0(VALU_DEP_1)
	v_cmp_ne_u32_e64 s1, 0, v1
	scratch_load_b32 v1, off, s32 offset:352 ; 4-byte Folded Reload
	s_wait_loadcnt 0x0
	v_cmp_le_i32_e64 s2, v0, v1
	s_and_b32 s1, s1, s2
	s_wait_alu 0xfffe
	s_and_saveexec_b32 s2, s1
	s_wait_alu 0xfffe
	s_xor_b32 s1, exec_lo, s2
	s_cbranch_execz .LBB294_18
; %bb.17:                               ;   in Loop: Header=BB294_16 Depth=1
	s_wait_kmcnt 0x0
	v_dual_mov_b32 v1, 0xff7fffff :: v_dual_add_nc_u32 v0, s7, v65
	ds_store_b32 v0, v1
.LBB294_18:                             ;   in Loop: Header=BB294_16 Depth=1
	s_wait_alu 0xfffe
	s_and_not1_saveexec_b32 s2, s1
	s_cbranch_execz .LBB294_15
; %bb.19:                               ;   in Loop: Header=BB294_16 Depth=1
	scratch_store_b32 off, v11, s32 offset:436 ; 4-byte Folded Spill
	flat_load_b32 v0, v[20:21]
	s_clause 0x1
	scratch_load_b32 v1, off, s32 offset:424
	scratch_load_b64 v[2:3], off, s32 offset:564
	v_mov_b32_e32 v126, 0
	s_mov_b32 s20, exec_lo
	s_wait_loadcnt_dscnt 0x0
	v_mad_co_i64_i32 v[28:29], null, v0, v1, v[2:3]
	flat_load_b64 v[31:32], v[28:29]
	scratch_load_b64 v[0:1], off, s32 offset:548 ; 8-byte Folded Reload
	s_wait_loadcnt 0x0
	flat_load_b32 v69, v[0:1]
	s_wait_dscnt 0x1
	v_dual_mov_b32 v1, 0 :: v_dual_and_b32 v0, 0xff, v31
	scratch_store_b32 off, v1, s32 offset:416 ; 4-byte Folded Spill
	v_cmpx_ne_u16_e32 0, v0
	s_cbranch_execz .LBB294_27
; %bb.20:                               ;   in Loop: Header=BB294_16 Depth=1
	v_cmp_ne_u16_e64 s1, 0x80, v0
	v_mov_b32_e32 v0, 0x8000
	s_and_saveexec_b32 s21, s1
	s_cbranch_execz .LBB294_26
; %bb.21:                               ;   in Loop: Header=BB294_16 Depth=1
	v_and_b32_e32 v2, 0x7f, v31
	v_mov_b32_e32 v0, 0x7c01
	s_mov_b32 s22, exec_lo
	s_delay_alu instid0(VALU_DEP_2)
	v_cmpx_ne_u32_e32 0x7f, v2
	s_cbranch_execz .LBB294_25
; %bb.22:                               ;   in Loop: Header=BB294_16 Depth=1
	v_and_b32_e32 v0, 7, v31
	v_lshrrev_b32_e32 v1, 3, v2
	s_mov_b32 s23, exec_lo
	v_cmpx_gt_u32_e32 8, v2
; %bb.23:                               ;   in Loop: Header=BB294_16 Depth=1
	s_delay_alu instid0(VALU_DEP_3) | instskip(NEXT) | instid1(VALU_DEP_1)
	v_clz_i32_u32_e32 v0, v0
	v_min_u32_e32 v2, 32, v0
	s_delay_alu instid0(VALU_DEP_1) | instskip(NEXT) | instid1(VALU_DEP_1)
	v_subrev_nc_u32_e32 v0, 28, v2
	v_lshlrev_b64_e32 v[0:1], v0, v[31:32]
	v_sub_nc_u32_e32 v1, 29, v2
	s_delay_alu instid0(VALU_DEP_2)
	v_and_b32_e32 v0, 7, v0
; %bb.24:                               ;   in Loop: Header=BB294_16 Depth=1
	s_wait_alu 0xfffe
	s_or_b32 exec_lo, exec_lo, s23
	v_lshlrev_b32_e32 v2, 8, v31
	v_lshl_add_u32 v1, v1, 10, 0x2000
	v_lshlrev_b32_e32 v0, 7, v0
	s_delay_alu instid0(VALU_DEP_3) | instskip(NEXT) | instid1(VALU_DEP_3)
	v_and_b32_e32 v2, 0x8000, v2
	v_and_b32_e32 v1, 0xfc00, v1
	s_delay_alu instid0(VALU_DEP_1)
	v_or3_b32 v0, v2, v1, v0
.LBB294_25:                             ;   in Loop: Header=BB294_16 Depth=1
	s_wait_alu 0xfffe
	s_or_b32 exec_lo, exec_lo, s22
.LBB294_26:                             ;   in Loop: Header=BB294_16 Depth=1
	s_wait_alu 0xfffe
	s_or_b32 exec_lo, exec_lo, s21
	scratch_store_b32 off, v0, s32 offset:416 ; 4-byte Folded Spill
.LBB294_27:                             ;   in Loop: Header=BB294_16 Depth=1
	s_wait_alu 0xfffe
	s_or_b32 exec_lo, exec_lo, s20
	v_lshrrev_b16 v8, 8, v31
	s_mov_b32 s20, exec_lo
	s_delay_alu instid0(VALU_DEP_1)
	v_cmpx_ne_u16_e32 0, v8
	s_cbranch_execz .LBB294_35
; %bb.28:                               ;   in Loop: Header=BB294_16 Depth=1
	v_bfrev_b32_e32 v126, 1
	s_mov_b32 s21, exec_lo
	v_cmpx_ne_u16_e32 0x80, v8
	s_cbranch_execz .LBB294_34
; %bb.29:                               ;   in Loop: Header=BB294_16 Depth=1
	v_and_b32_e32 v0, 0xffff, v8
	v_mov_b32_e32 v126, 0x7c010000
	s_mov_b32 s22, exec_lo
	s_delay_alu instid0(VALU_DEP_2) | instskip(NEXT) | instid1(VALU_DEP_1)
	v_and_b32_e32 v3, 0x7f, v0
	v_cmpx_ne_u32_e32 0x7f, v3
	s_cbranch_execz .LBB294_33
; %bb.30:                               ;   in Loop: Header=BB294_16 Depth=1
	v_and_b32_e32 v1, 7, v0
	v_lshrrev_b32_e32 v2, 3, v3
	s_mov_b32 s23, exec_lo
	v_cmpx_gt_u32_e32 8, v3
; %bb.31:                               ;   in Loop: Header=BB294_16 Depth=1
	s_delay_alu instid0(VALU_DEP_3) | instskip(NEXT) | instid1(VALU_DEP_1)
	v_clz_i32_u32_e32 v1, v1
	v_min_u32_e32 v3, 32, v1
	s_delay_alu instid0(VALU_DEP_1) | instskip(NEXT) | instid1(VALU_DEP_1)
	v_subrev_nc_u32_e32 v1, 28, v3
	v_lshlrev_b64_e32 v[1:2], v1, v[8:9]
	v_sub_nc_u32_e32 v2, 29, v3
	s_delay_alu instid0(VALU_DEP_2)
	v_and_b32_e32 v1, 7, v1
; %bb.32:                               ;   in Loop: Header=BB294_16 Depth=1
	s_wait_alu 0xfffe
	s_or_b32 exec_lo, exec_lo, s23
	v_lshlrev_b32_e32 v0, 8, v0
	v_lshl_add_u32 v2, v2, 10, 0x2000
	v_lshlrev_b32_e32 v1, 23, v1
	s_delay_alu instid0(VALU_DEP_2) | instskip(NEXT) | instid1(VALU_DEP_1)
	v_and_or_b32 v0, 0x8000, v0, v2
	v_lshl_or_b32 v126, v0, 16, v1
.LBB294_33:                             ;   in Loop: Header=BB294_16 Depth=1
	s_wait_alu 0xfffe
	s_or_b32 exec_lo, exec_lo, s22
.LBB294_34:                             ;   in Loop: Header=BB294_16 Depth=1
	s_wait_alu 0xfffe
	s_or_b32 exec_lo, exec_lo, s21
.LBB294_35:                             ;   in Loop: Header=BB294_16 Depth=1
	s_wait_alu 0xfffe
	s_or_b32 exec_lo, exec_lo, s20
	v_lshrrev_b32_e32 v8, 16, v31
	v_mov_b32_e32 v128, 0
	s_mov_b32 s20, exec_lo
	s_delay_alu instid0(VALU_DEP_2) | instskip(NEXT) | instid1(VALU_DEP_1)
	v_dual_mov_b32 v129, 0 :: v_dual_and_b32 v0, 0xff, v8
	v_cmpx_ne_u16_e32 0, v0
	s_cbranch_execz .LBB294_43
; %bb.36:                               ;   in Loop: Header=BB294_16 Depth=1
	v_mov_b32_e32 v129, 0x8000
	s_mov_b32 s21, exec_lo
	v_cmpx_ne_u16_e32 0x80, v0
	s_cbranch_execz .LBB294_42
; %bb.37:                               ;   in Loop: Header=BB294_16 Depth=1
	v_bfe_u32 v2, v31, 16, 7
	v_mov_b32_e32 v129, 0x7c01
	s_mov_b32 s22, exec_lo
	s_delay_alu instid0(VALU_DEP_2)
	v_cmpx_ne_u32_e32 0x7f, v2
	s_cbranch_execz .LBB294_41
; %bb.38:                               ;   in Loop: Header=BB294_16 Depth=1
	v_and_b32_e32 v0, 7, v8
	v_lshrrev_b32_e32 v1, 3, v2
	s_mov_b32 s23, exec_lo
	v_cmpx_gt_u32_e32 8, v2
; %bb.39:                               ;   in Loop: Header=BB294_16 Depth=1
	s_delay_alu instid0(VALU_DEP_3) | instskip(NEXT) | instid1(VALU_DEP_1)
	v_clz_i32_u32_e32 v0, v0
	v_min_u32_e32 v2, 32, v0
	s_delay_alu instid0(VALU_DEP_1) | instskip(NEXT) | instid1(VALU_DEP_1)
	v_subrev_nc_u32_e32 v0, 28, v2
	v_lshlrev_b64_e32 v[0:1], v0, v[8:9]
	v_sub_nc_u32_e32 v1, 29, v2
	s_delay_alu instid0(VALU_DEP_2)
	v_and_b32_e32 v0, 7, v0
; %bb.40:                               ;   in Loop: Header=BB294_16 Depth=1
	s_wait_alu 0xfffe
	s_or_b32 exec_lo, exec_lo, s23
	v_lshlrev_b32_e32 v2, 8, v8
	v_lshl_add_u32 v1, v1, 10, 0x2000
	v_lshlrev_b32_e32 v0, 7, v0
	s_delay_alu instid0(VALU_DEP_3) | instskip(NEXT) | instid1(VALU_DEP_3)
	v_and_b32_e32 v2, 0x8000, v2
	v_and_b32_e32 v1, 0xfc00, v1
	s_delay_alu instid0(VALU_DEP_1)
	v_or3_b32 v129, v2, v1, v0
.LBB294_41:                             ;   in Loop: Header=BB294_16 Depth=1
	s_wait_alu 0xfffe
	s_or_b32 exec_lo, exec_lo, s22
.LBB294_42:                             ;   in Loop: Header=BB294_16 Depth=1
	s_wait_alu 0xfffe
	s_or_b32 exec_lo, exec_lo, s21
.LBB294_43:                             ;   in Loop: Header=BB294_16 Depth=1
	s_wait_alu 0xfffe
	s_or_b32 exec_lo, exec_lo, s20
	s_delay_alu instid0(SALU_CYCLE_1)
	s_mov_b32 s20, exec_lo
	v_cmpx_lt_u32_e32 0xffffff, v31
	s_cbranch_execz .LBB294_51
; %bb.44:                               ;   in Loop: Header=BB294_16 Depth=1
	v_lshrrev_b32_e32 v8, 24, v31
	v_bfrev_b32_e32 v128, 1
	s_mov_b32 s21, exec_lo
	s_delay_alu instid0(VALU_DEP_2)
	v_cmpx_ne_u32_e32 0x80, v8
	s_cbranch_execz .LBB294_50
; %bb.45:                               ;   in Loop: Header=BB294_16 Depth=1
	v_and_b32_e32 v2, 0x7f, v8
	v_mov_b32_e32 v128, 0x7c010000
	s_mov_b32 s22, exec_lo
	s_delay_alu instid0(VALU_DEP_2)
	v_cmpx_ne_u32_e32 0x7f, v2
	s_cbranch_execz .LBB294_49
; %bb.46:                               ;   in Loop: Header=BB294_16 Depth=1
	v_and_b32_e32 v0, 7, v8
	v_lshrrev_b32_e32 v1, 3, v2
	s_mov_b32 s23, exec_lo
	v_cmpx_gt_u32_e32 8, v2
; %bb.47:                               ;   in Loop: Header=BB294_16 Depth=1
	s_delay_alu instid0(VALU_DEP_3) | instskip(NEXT) | instid1(VALU_DEP_1)
	v_clz_i32_u32_e32 v0, v0
	v_min_u32_e32 v2, 32, v0
	s_delay_alu instid0(VALU_DEP_1) | instskip(NEXT) | instid1(VALU_DEP_1)
	v_subrev_nc_u32_e32 v0, 28, v2
	v_lshlrev_b64_e32 v[0:1], v0, v[8:9]
	v_sub_nc_u32_e32 v1, 29, v2
	s_delay_alu instid0(VALU_DEP_2)
	v_and_b32_e32 v0, 7, v0
; %bb.48:                               ;   in Loop: Header=BB294_16 Depth=1
	s_wait_alu 0xfffe
	s_or_b32 exec_lo, exec_lo, s23
	v_lshlrev_b32_e32 v2, 8, v8
	v_lshl_add_u32 v1, v1, 10, 0x2000
	v_lshlrev_b32_e32 v0, 23, v0
	s_delay_alu instid0(VALU_DEP_2) | instskip(NEXT) | instid1(VALU_DEP_1)
	v_and_or_b32 v1, 0x8000, v2, v1
	v_lshl_or_b32 v128, v1, 16, v0
.LBB294_49:                             ;   in Loop: Header=BB294_16 Depth=1
	s_wait_alu 0xfffe
	s_or_b32 exec_lo, exec_lo, s22
.LBB294_50:                             ;   in Loop: Header=BB294_16 Depth=1
	s_wait_alu 0xfffe
	s_or_b32 exec_lo, exec_lo, s21
.LBB294_51:                             ;   in Loop: Header=BB294_16 Depth=1
	s_wait_alu 0xfffe
	s_or_b32 exec_lo, exec_lo, s20
	v_dual_mov_b32 v1, 0 :: v_dual_and_b32 v0, 0xff, v32
	v_mov_b32_e32 v8, v32
	s_mov_b32 s20, exec_lo
	scratch_store_b32 off, v1, s32 offset:356 ; 4-byte Folded Spill
	v_mov_b32_e32 v1, 0
	scratch_store_b32 off, v1, s32 offset:412 ; 4-byte Folded Spill
	v_cmpx_ne_u16_e32 0, v0
	s_cbranch_execz .LBB294_59
; %bb.52:                               ;   in Loop: Header=BB294_16 Depth=1
	v_cmp_ne_u16_e64 s1, 0x80, v0
	v_mov_b32_e32 v0, 0x8000
	s_and_saveexec_b32 s21, s1
	s_cbranch_execz .LBB294_58
; %bb.53:                               ;   in Loop: Header=BB294_16 Depth=1
	v_and_b32_e32 v2, 0x7f, v32
	v_mov_b32_e32 v0, 0x7c01
	s_mov_b32 s22, exec_lo
	s_delay_alu instid0(VALU_DEP_2)
	v_cmpx_ne_u32_e32 0x7f, v2
	s_cbranch_execz .LBB294_57
; %bb.54:                               ;   in Loop: Header=BB294_16 Depth=1
	v_and_b32_e32 v0, 7, v32
	v_lshrrev_b32_e32 v1, 3, v2
	s_mov_b32 s23, exec_lo
	v_cmpx_gt_u32_e32 8, v2
; %bb.55:                               ;   in Loop: Header=BB294_16 Depth=1
	s_delay_alu instid0(VALU_DEP_3) | instskip(NEXT) | instid1(VALU_DEP_1)
	v_clz_i32_u32_e32 v0, v0
	v_min_u32_e32 v2, 32, v0
	s_delay_alu instid0(VALU_DEP_1) | instskip(NEXT) | instid1(VALU_DEP_1)
	v_subrev_nc_u32_e32 v0, 28, v2
	v_lshlrev_b64_e32 v[0:1], v0, v[8:9]
	v_sub_nc_u32_e32 v1, 29, v2
	s_delay_alu instid0(VALU_DEP_2)
	v_and_b32_e32 v0, 7, v0
; %bb.56:                               ;   in Loop: Header=BB294_16 Depth=1
	s_wait_alu 0xfffe
	s_or_b32 exec_lo, exec_lo, s23
	v_lshlrev_b32_e32 v2, 8, v32
	v_lshl_add_u32 v1, v1, 10, 0x2000
	v_lshlrev_b32_e32 v0, 7, v0
	s_delay_alu instid0(VALU_DEP_3) | instskip(NEXT) | instid1(VALU_DEP_3)
	v_and_b32_e32 v2, 0x8000, v2
	v_and_b32_e32 v1, 0xfc00, v1
	s_delay_alu instid0(VALU_DEP_1)
	v_or3_b32 v0, v2, v1, v0
.LBB294_57:                             ;   in Loop: Header=BB294_16 Depth=1
	s_wait_alu 0xfffe
	s_or_b32 exec_lo, exec_lo, s22
.LBB294_58:                             ;   in Loop: Header=BB294_16 Depth=1
	s_wait_alu 0xfffe
	s_or_b32 exec_lo, exec_lo, s21
	scratch_store_b32 off, v0, s32 offset:412 ; 4-byte Folded Spill
.LBB294_59:                             ;   in Loop: Header=BB294_16 Depth=1
	s_wait_alu 0xfffe
	s_or_b32 exec_lo, exec_lo, s20
	v_lshrrev_b16 v8, 8, v8
	v_mov_b32_e32 v0, 0
	s_mov_b32 s20, exec_lo
	scratch_store_b32 off, v0, s32 offset:364 ; 4-byte Folded Spill
	v_cmpx_ne_u16_e32 0, v8
	s_cbranch_execz .LBB294_67
; %bb.60:                               ;   in Loop: Header=BB294_16 Depth=1
	v_bfrev_b32_e32 v0, 1
	s_mov_b32 s21, exec_lo
	scratch_store_b32 off, v0, s32 offset:364 ; 4-byte Folded Spill
	v_cmpx_ne_u16_e32 0x80, v8
	s_cbranch_execz .LBB294_66
; %bb.61:                               ;   in Loop: Header=BB294_16 Depth=1
	v_and_b32_e32 v0, 0xffff, v8
	v_mov_b32_e32 v1, 0x7c010000
	s_mov_b32 s22, exec_lo
	s_delay_alu instid0(VALU_DEP_2)
	v_and_b32_e32 v3, 0x7f, v0
	scratch_store_b32 off, v1, s32 offset:364 ; 4-byte Folded Spill
	v_cmpx_ne_u32_e32 0x7f, v3
	s_cbranch_execz .LBB294_65
; %bb.62:                               ;   in Loop: Header=BB294_16 Depth=1
	v_and_b32_e32 v1, 7, v0
	v_lshrrev_b32_e32 v2, 3, v3
	s_mov_b32 s23, exec_lo
	v_cmpx_gt_u32_e32 8, v3
; %bb.63:                               ;   in Loop: Header=BB294_16 Depth=1
	s_delay_alu instid0(VALU_DEP_3) | instskip(NEXT) | instid1(VALU_DEP_1)
	v_clz_i32_u32_e32 v1, v1
	v_min_u32_e32 v3, 32, v1
	s_delay_alu instid0(VALU_DEP_1) | instskip(NEXT) | instid1(VALU_DEP_1)
	v_subrev_nc_u32_e32 v1, 28, v3
	v_lshlrev_b64_e32 v[1:2], v1, v[8:9]
	v_sub_nc_u32_e32 v2, 29, v3
	s_delay_alu instid0(VALU_DEP_2)
	v_and_b32_e32 v1, 7, v1
; %bb.64:                               ;   in Loop: Header=BB294_16 Depth=1
	s_wait_alu 0xfffe
	s_or_b32 exec_lo, exec_lo, s23
	v_lshlrev_b32_e32 v0, 8, v0
	v_lshl_add_u32 v2, v2, 10, 0x2000
	v_lshlrev_b32_e32 v1, 23, v1
	s_delay_alu instid0(VALU_DEP_2) | instskip(NEXT) | instid1(VALU_DEP_1)
	v_and_or_b32 v0, 0x8000, v0, v2
	v_lshl_or_b32 v0, v0, 16, v1
	scratch_store_b32 off, v0, s32 offset:364 ; 4-byte Folded Spill
.LBB294_65:                             ;   in Loop: Header=BB294_16 Depth=1
	s_wait_alu 0xfffe
	s_or_b32 exec_lo, exec_lo, s22
.LBB294_66:                             ;   in Loop: Header=BB294_16 Depth=1
	s_wait_alu 0xfffe
	s_or_b32 exec_lo, exec_lo, s21
.LBB294_67:                             ;   in Loop: Header=BB294_16 Depth=1
	s_wait_alu 0xfffe
	s_or_b32 exec_lo, exec_lo, s20
	v_lshrrev_b32_e32 v8, 16, v32
	s_mov_b32 s20, exec_lo
	s_delay_alu instid0(VALU_DEP_1) | instskip(NEXT) | instid1(VALU_DEP_1)
	v_and_b32_e32 v0, 0xff, v8
	v_cmpx_ne_u16_e32 0, v0
	s_cbranch_execz .LBB294_75
; %bb.68:                               ;   in Loop: Header=BB294_16 Depth=1
	v_cmp_ne_u16_e64 s1, 0x80, v0
	v_mov_b32_e32 v0, 0x8000
	scratch_store_b32 off, v0, s32 offset:356 ; 4-byte Folded Spill
	s_and_saveexec_b32 s21, s1
	s_cbranch_execz .LBB294_74
; %bb.69:                               ;   in Loop: Header=BB294_16 Depth=1
	v_bfe_u32 v2, v32, 16, 7
	v_mov_b32_e32 v0, 0x7c01
	s_mov_b32 s22, exec_lo
	scratch_store_b32 off, v0, s32 offset:356 ; 4-byte Folded Spill
	v_cmpx_ne_u32_e32 0x7f, v2
	s_cbranch_execz .LBB294_73
; %bb.70:                               ;   in Loop: Header=BB294_16 Depth=1
	v_and_b32_e32 v0, 7, v8
	v_lshrrev_b32_e32 v1, 3, v2
	s_mov_b32 s23, exec_lo
	v_cmpx_gt_u32_e32 8, v2
; %bb.71:                               ;   in Loop: Header=BB294_16 Depth=1
	s_delay_alu instid0(VALU_DEP_3) | instskip(NEXT) | instid1(VALU_DEP_1)
	v_clz_i32_u32_e32 v0, v0
	v_min_u32_e32 v2, 32, v0
	s_delay_alu instid0(VALU_DEP_1) | instskip(NEXT) | instid1(VALU_DEP_1)
	v_subrev_nc_u32_e32 v0, 28, v2
	v_lshlrev_b64_e32 v[0:1], v0, v[8:9]
	v_sub_nc_u32_e32 v1, 29, v2
	s_delay_alu instid0(VALU_DEP_2)
	v_and_b32_e32 v0, 7, v0
; %bb.72:                               ;   in Loop: Header=BB294_16 Depth=1
	s_wait_alu 0xfffe
	s_or_b32 exec_lo, exec_lo, s23
	v_lshlrev_b32_e32 v2, 8, v8
	v_lshl_add_u32 v1, v1, 10, 0x2000
	v_lshlrev_b32_e32 v0, 7, v0
	s_delay_alu instid0(VALU_DEP_3) | instskip(NEXT) | instid1(VALU_DEP_3)
	v_and_b32_e32 v2, 0x8000, v2
	v_and_b32_e32 v1, 0xfc00, v1
	s_delay_alu instid0(VALU_DEP_1)
	v_or3_b32 v0, v2, v1, v0
	scratch_store_b32 off, v0, s32 offset:356 ; 4-byte Folded Spill
.LBB294_73:                             ;   in Loop: Header=BB294_16 Depth=1
	s_wait_alu 0xfffe
	s_or_b32 exec_lo, exec_lo, s22
.LBB294_74:                             ;   in Loop: Header=BB294_16 Depth=1
	s_wait_alu 0xfffe
	s_or_b32 exec_lo, exec_lo, s21
.LBB294_75:                             ;   in Loop: Header=BB294_16 Depth=1
	s_wait_alu 0xfffe
	s_or_b32 exec_lo, exec_lo, s20
	v_mov_b32_e32 v0, 0
	s_mov_b32 s20, exec_lo
	scratch_store_b32 off, v0, s32 offset:360 ; 4-byte Folded Spill
	v_mov_b32_e32 v0, 0
	scratch_store_b32 off, v0, s32 offset:420 ; 4-byte Folded Spill
	v_cmpx_lt_u64_e64 s[10:11], v[31:32]
	s_cbranch_execz .LBB294_83
; %bb.76:                               ;   in Loop: Header=BB294_16 Depth=1
	v_lshrrev_b32_e32 v8, 24, v32
	v_bfrev_b32_e32 v0, 1
	s_mov_b32 s21, exec_lo
	s_delay_alu instid0(VALU_DEP_2)
	v_cmpx_ne_u32_e32 0x80, v8
	s_cbranch_execz .LBB294_82
; %bb.77:                               ;   in Loop: Header=BB294_16 Depth=1
	v_and_b32_e32 v2, 0x7f, v8
	v_mov_b32_e32 v0, 0x7c010000
	s_mov_b32 s22, exec_lo
	s_delay_alu instid0(VALU_DEP_2)
	v_cmpx_ne_u32_e32 0x7f, v2
	s_cbranch_execz .LBB294_81
; %bb.78:                               ;   in Loop: Header=BB294_16 Depth=1
	v_and_b32_e32 v0, 7, v8
	v_lshrrev_b32_e32 v1, 3, v2
	s_mov_b32 s23, exec_lo
	v_cmpx_gt_u32_e32 8, v2
; %bb.79:                               ;   in Loop: Header=BB294_16 Depth=1
	s_delay_alu instid0(VALU_DEP_3) | instskip(NEXT) | instid1(VALU_DEP_1)
	v_clz_i32_u32_e32 v0, v0
	v_min_u32_e32 v2, 32, v0
	s_delay_alu instid0(VALU_DEP_1) | instskip(NEXT) | instid1(VALU_DEP_1)
	v_subrev_nc_u32_e32 v0, 28, v2
	v_lshlrev_b64_e32 v[0:1], v0, v[8:9]
	v_sub_nc_u32_e32 v1, 29, v2
	s_delay_alu instid0(VALU_DEP_2)
	v_and_b32_e32 v0, 7, v0
; %bb.80:                               ;   in Loop: Header=BB294_16 Depth=1
	s_wait_alu 0xfffe
	s_or_b32 exec_lo, exec_lo, s23
	v_lshlrev_b32_e32 v2, 8, v8
	v_lshl_add_u32 v1, v1, 10, 0x2000
	v_lshlrev_b32_e32 v0, 23, v0
	s_delay_alu instid0(VALU_DEP_2) | instskip(NEXT) | instid1(VALU_DEP_1)
	v_and_or_b32 v1, 0x8000, v2, v1
	v_lshl_or_b32 v0, v1, 16, v0
.LBB294_81:                             ;   in Loop: Header=BB294_16 Depth=1
	s_wait_alu 0xfffe
	s_or_b32 exec_lo, exec_lo, s22
.LBB294_82:                             ;   in Loop: Header=BB294_16 Depth=1
	s_wait_alu 0xfffe
	s_or_b32 exec_lo, exec_lo, s21
	scratch_store_b32 off, v0, s32 offset:420 ; 4-byte Folded Spill
.LBB294_83:                             ;   in Loop: Header=BB294_16 Depth=1
	s_wait_alu 0xfffe
	s_or_b32 exec_lo, exec_lo, s20
	flat_load_b64 v[31:32], v[28:29] offset:8
	s_mov_b32 s20, exec_lo
	s_wait_loadcnt_dscnt 0x0
	v_and_b32_e32 v0, 0xff, v31
	s_delay_alu instid0(VALU_DEP_1)
	v_cmpx_ne_u16_e32 0, v0
	s_cbranch_execz .LBB294_91
; %bb.84:                               ;   in Loop: Header=BB294_16 Depth=1
	v_cmp_ne_u16_e64 s1, 0x80, v0
	v_mov_b32_e32 v0, 0x8000
	scratch_store_b32 off, v0, s32 offset:360 ; 4-byte Folded Spill
	s_and_saveexec_b32 s21, s1
	s_cbranch_execz .LBB294_90
; %bb.85:                               ;   in Loop: Header=BB294_16 Depth=1
	v_and_b32_e32 v2, 0x7f, v31
	v_mov_b32_e32 v0, 0x7c01
	s_mov_b32 s22, exec_lo
	scratch_store_b32 off, v0, s32 offset:360 ; 4-byte Folded Spill
	v_cmpx_ne_u32_e32 0x7f, v2
	s_cbranch_execz .LBB294_89
; %bb.86:                               ;   in Loop: Header=BB294_16 Depth=1
	v_and_b32_e32 v0, 7, v31
	v_lshrrev_b32_e32 v1, 3, v2
	s_mov_b32 s23, exec_lo
	v_cmpx_gt_u32_e32 8, v2
; %bb.87:                               ;   in Loop: Header=BB294_16 Depth=1
	s_delay_alu instid0(VALU_DEP_3) | instskip(NEXT) | instid1(VALU_DEP_1)
	v_clz_i32_u32_e32 v0, v0
	v_min_u32_e32 v2, 32, v0
	s_delay_alu instid0(VALU_DEP_1) | instskip(NEXT) | instid1(VALU_DEP_1)
	v_subrev_nc_u32_e32 v0, 28, v2
	v_lshlrev_b64_e32 v[0:1], v0, v[31:32]
	v_sub_nc_u32_e32 v1, 29, v2
	s_delay_alu instid0(VALU_DEP_2)
	v_and_b32_e32 v0, 7, v0
; %bb.88:                               ;   in Loop: Header=BB294_16 Depth=1
	s_wait_alu 0xfffe
	s_or_b32 exec_lo, exec_lo, s23
	v_lshlrev_b32_e32 v2, 8, v31
	v_lshl_add_u32 v1, v1, 10, 0x2000
	v_lshlrev_b32_e32 v0, 7, v0
	s_delay_alu instid0(VALU_DEP_3) | instskip(NEXT) | instid1(VALU_DEP_3)
	v_and_b32_e32 v2, 0x8000, v2
	v_and_b32_e32 v1, 0xfc00, v1
	s_delay_alu instid0(VALU_DEP_1)
	v_or3_b32 v0, v2, v1, v0
	scratch_store_b32 off, v0, s32 offset:360 ; 4-byte Folded Spill
.LBB294_89:                             ;   in Loop: Header=BB294_16 Depth=1
	s_wait_alu 0xfffe
	s_or_b32 exec_lo, exec_lo, s22
.LBB294_90:                             ;   in Loop: Header=BB294_16 Depth=1
	s_wait_alu 0xfffe
	s_or_b32 exec_lo, exec_lo, s21
.LBB294_91:                             ;   in Loop: Header=BB294_16 Depth=1
	s_wait_alu 0xfffe
	s_or_b32 exec_lo, exec_lo, s20
	v_mov_b32_e32 v0, 0
	v_lshrrev_b16 v8, 8, v31
	s_mov_b32 s20, exec_lo
	scratch_store_b32 off, v0, s32 offset:368 ; 4-byte Folded Spill
	v_mov_b32_e32 v0, 0
	scratch_store_b32 off, v0, s32 offset:376 ; 4-byte Folded Spill
	v_cmpx_ne_u16_e32 0, v8
	s_cbranch_execz .LBB294_99
; %bb.92:                               ;   in Loop: Header=BB294_16 Depth=1
	v_bfrev_b32_e32 v0, 1
	s_mov_b32 s21, exec_lo
	scratch_store_b32 off, v0, s32 offset:376 ; 4-byte Folded Spill
	v_cmpx_ne_u16_e32 0x80, v8
	s_cbranch_execz .LBB294_98
; %bb.93:                               ;   in Loop: Header=BB294_16 Depth=1
	v_and_b32_e32 v0, 0xffff, v8
	v_mov_b32_e32 v1, 0x7c010000
	s_mov_b32 s22, exec_lo
	s_delay_alu instid0(VALU_DEP_2)
	v_and_b32_e32 v3, 0x7f, v0
	scratch_store_b32 off, v1, s32 offset:376 ; 4-byte Folded Spill
	v_cmpx_ne_u32_e32 0x7f, v3
	s_cbranch_execz .LBB294_97
; %bb.94:                               ;   in Loop: Header=BB294_16 Depth=1
	v_and_b32_e32 v1, 7, v0
	v_lshrrev_b32_e32 v2, 3, v3
	s_mov_b32 s23, exec_lo
	v_cmpx_gt_u32_e32 8, v3
; %bb.95:                               ;   in Loop: Header=BB294_16 Depth=1
	s_delay_alu instid0(VALU_DEP_3) | instskip(NEXT) | instid1(VALU_DEP_1)
	v_clz_i32_u32_e32 v1, v1
	v_min_u32_e32 v3, 32, v1
	s_delay_alu instid0(VALU_DEP_1) | instskip(NEXT) | instid1(VALU_DEP_1)
	v_subrev_nc_u32_e32 v1, 28, v3
	v_lshlrev_b64_e32 v[1:2], v1, v[8:9]
	v_sub_nc_u32_e32 v2, 29, v3
	s_delay_alu instid0(VALU_DEP_2)
	v_and_b32_e32 v1, 7, v1
; %bb.96:                               ;   in Loop: Header=BB294_16 Depth=1
	s_wait_alu 0xfffe
	s_or_b32 exec_lo, exec_lo, s23
	v_lshlrev_b32_e32 v0, 8, v0
	v_lshl_add_u32 v2, v2, 10, 0x2000
	v_lshlrev_b32_e32 v1, 23, v1
	s_delay_alu instid0(VALU_DEP_2) | instskip(NEXT) | instid1(VALU_DEP_1)
	v_and_or_b32 v0, 0x8000, v0, v2
	v_lshl_or_b32 v0, v0, 16, v1
	scratch_store_b32 off, v0, s32 offset:376 ; 4-byte Folded Spill
.LBB294_97:                             ;   in Loop: Header=BB294_16 Depth=1
	s_wait_alu 0xfffe
	s_or_b32 exec_lo, exec_lo, s22
.LBB294_98:                             ;   in Loop: Header=BB294_16 Depth=1
	s_wait_alu 0xfffe
	s_or_b32 exec_lo, exec_lo, s21
.LBB294_99:                             ;   in Loop: Header=BB294_16 Depth=1
	s_wait_alu 0xfffe
	s_or_b32 exec_lo, exec_lo, s20
	v_lshrrev_b32_e32 v8, 16, v31
	s_mov_b32 s20, exec_lo
	s_delay_alu instid0(VALU_DEP_1) | instskip(NEXT) | instid1(VALU_DEP_1)
	v_and_b32_e32 v0, 0xff, v8
	v_cmpx_ne_u16_e32 0, v0
	s_cbranch_execz .LBB294_107
; %bb.100:                              ;   in Loop: Header=BB294_16 Depth=1
	v_cmp_ne_u16_e64 s1, 0x80, v0
	v_mov_b32_e32 v0, 0x8000
	scratch_store_b32 off, v0, s32 offset:368 ; 4-byte Folded Spill
	s_and_saveexec_b32 s21, s1
	s_cbranch_execz .LBB294_106
; %bb.101:                              ;   in Loop: Header=BB294_16 Depth=1
	v_bfe_u32 v2, v31, 16, 7
	v_mov_b32_e32 v0, 0x7c01
	s_mov_b32 s22, exec_lo
	scratch_store_b32 off, v0, s32 offset:368 ; 4-byte Folded Spill
	v_cmpx_ne_u32_e32 0x7f, v2
	s_cbranch_execz .LBB294_105
; %bb.102:                              ;   in Loop: Header=BB294_16 Depth=1
	v_and_b32_e32 v0, 7, v8
	v_lshrrev_b32_e32 v1, 3, v2
	s_mov_b32 s23, exec_lo
	v_cmpx_gt_u32_e32 8, v2
; %bb.103:                              ;   in Loop: Header=BB294_16 Depth=1
	s_delay_alu instid0(VALU_DEP_3) | instskip(NEXT) | instid1(VALU_DEP_1)
	v_clz_i32_u32_e32 v0, v0
	v_min_u32_e32 v2, 32, v0
	s_delay_alu instid0(VALU_DEP_1) | instskip(NEXT) | instid1(VALU_DEP_1)
	v_subrev_nc_u32_e32 v0, 28, v2
	v_lshlrev_b64_e32 v[0:1], v0, v[8:9]
	v_sub_nc_u32_e32 v1, 29, v2
	s_delay_alu instid0(VALU_DEP_2)
	v_and_b32_e32 v0, 7, v0
; %bb.104:                              ;   in Loop: Header=BB294_16 Depth=1
	s_wait_alu 0xfffe
	s_or_b32 exec_lo, exec_lo, s23
	v_lshlrev_b32_e32 v2, 8, v8
	v_lshl_add_u32 v1, v1, 10, 0x2000
	v_lshlrev_b32_e32 v0, 7, v0
	s_delay_alu instid0(VALU_DEP_3) | instskip(NEXT) | instid1(VALU_DEP_3)
	v_and_b32_e32 v2, 0x8000, v2
	v_and_b32_e32 v1, 0xfc00, v1
	s_delay_alu instid0(VALU_DEP_1)
	v_or3_b32 v0, v2, v1, v0
	scratch_store_b32 off, v0, s32 offset:368 ; 4-byte Folded Spill
.LBB294_105:                            ;   in Loop: Header=BB294_16 Depth=1
	s_wait_alu 0xfffe
	s_or_b32 exec_lo, exec_lo, s22
.LBB294_106:                            ;   in Loop: Header=BB294_16 Depth=1
	s_wait_alu 0xfffe
	s_or_b32 exec_lo, exec_lo, s21
.LBB294_107:                            ;   in Loop: Header=BB294_16 Depth=1
	s_wait_alu 0xfffe
	s_or_b32 exec_lo, exec_lo, s20
	v_mov_b32_e32 v0, 0
	v_mov_b32_e32 v184, 0
	s_mov_b32 s20, exec_lo
	scratch_store_b32 off, v0, s32 offset:372 ; 4-byte Folded Spill
	v_cmpx_lt_u32_e32 0xffffff, v31
	s_cbranch_execz .LBB294_115
; %bb.108:                              ;   in Loop: Header=BB294_16 Depth=1
	v_lshrrev_b32_e32 v8, 24, v31
	v_bfrev_b32_e32 v184, 1
	s_mov_b32 s21, exec_lo
	s_delay_alu instid0(VALU_DEP_2)
	v_cmpx_ne_u32_e32 0x80, v8
	s_cbranch_execz .LBB294_114
; %bb.109:                              ;   in Loop: Header=BB294_16 Depth=1
	v_and_b32_e32 v2, 0x7f, v8
	v_mov_b32_e32 v184, 0x7c010000
	s_mov_b32 s22, exec_lo
	s_delay_alu instid0(VALU_DEP_2)
	v_cmpx_ne_u32_e32 0x7f, v2
	s_cbranch_execz .LBB294_113
; %bb.110:                              ;   in Loop: Header=BB294_16 Depth=1
	v_and_b32_e32 v0, 7, v8
	v_lshrrev_b32_e32 v1, 3, v2
	s_mov_b32 s23, exec_lo
	v_cmpx_gt_u32_e32 8, v2
; %bb.111:                              ;   in Loop: Header=BB294_16 Depth=1
	s_delay_alu instid0(VALU_DEP_3) | instskip(NEXT) | instid1(VALU_DEP_1)
	v_clz_i32_u32_e32 v0, v0
	v_min_u32_e32 v2, 32, v0
	s_delay_alu instid0(VALU_DEP_1) | instskip(NEXT) | instid1(VALU_DEP_1)
	v_subrev_nc_u32_e32 v0, 28, v2
	v_lshlrev_b64_e32 v[0:1], v0, v[8:9]
	v_sub_nc_u32_e32 v1, 29, v2
	s_delay_alu instid0(VALU_DEP_2)
	v_and_b32_e32 v0, 7, v0
; %bb.112:                              ;   in Loop: Header=BB294_16 Depth=1
	s_wait_alu 0xfffe
	s_or_b32 exec_lo, exec_lo, s23
	v_lshlrev_b32_e32 v2, 8, v8
	v_lshl_add_u32 v1, v1, 10, 0x2000
	v_lshlrev_b32_e32 v0, 23, v0
	s_delay_alu instid0(VALU_DEP_2) | instskip(NEXT) | instid1(VALU_DEP_1)
	v_and_or_b32 v1, 0x8000, v2, v1
	v_lshl_or_b32 v184, v1, 16, v0
.LBB294_113:                            ;   in Loop: Header=BB294_16 Depth=1
	s_wait_alu 0xfffe
	s_or_b32 exec_lo, exec_lo, s22
.LBB294_114:                            ;   in Loop: Header=BB294_16 Depth=1
	s_wait_alu 0xfffe
	s_or_b32 exec_lo, exec_lo, s21
.LBB294_115:                            ;   in Loop: Header=BB294_16 Depth=1
	s_wait_alu 0xfffe
	s_or_b32 exec_lo, exec_lo, s20
	v_and_b32_e32 v0, 0xff, v32
	v_mov_b32_e32 v8, v32
	s_mov_b32 s20, exec_lo
	s_delay_alu instid0(VALU_DEP_2)
	v_cmpx_ne_u16_e32 0, v0
	s_cbranch_execz .LBB294_123
; %bb.116:                              ;   in Loop: Header=BB294_16 Depth=1
	v_cmp_ne_u16_e64 s1, 0x80, v0
	v_mov_b32_e32 v0, 0x8000
	scratch_store_b32 off, v0, s32 offset:372 ; 4-byte Folded Spill
	s_and_saveexec_b32 s21, s1
	s_cbranch_execz .LBB294_122
; %bb.117:                              ;   in Loop: Header=BB294_16 Depth=1
	v_and_b32_e32 v2, 0x7f, v32
	v_mov_b32_e32 v0, 0x7c01
	s_mov_b32 s22, exec_lo
	scratch_store_b32 off, v0, s32 offset:372 ; 4-byte Folded Spill
	v_cmpx_ne_u32_e32 0x7f, v2
	s_cbranch_execz .LBB294_121
; %bb.118:                              ;   in Loop: Header=BB294_16 Depth=1
	v_and_b32_e32 v0, 7, v32
	v_lshrrev_b32_e32 v1, 3, v2
	s_mov_b32 s23, exec_lo
	v_cmpx_gt_u32_e32 8, v2
; %bb.119:                              ;   in Loop: Header=BB294_16 Depth=1
	s_delay_alu instid0(VALU_DEP_3) | instskip(NEXT) | instid1(VALU_DEP_1)
	v_clz_i32_u32_e32 v0, v0
	v_min_u32_e32 v2, 32, v0
	s_delay_alu instid0(VALU_DEP_1) | instskip(NEXT) | instid1(VALU_DEP_1)
	v_subrev_nc_u32_e32 v0, 28, v2
	v_lshlrev_b64_e32 v[0:1], v0, v[8:9]
	v_sub_nc_u32_e32 v1, 29, v2
	s_delay_alu instid0(VALU_DEP_2)
	v_and_b32_e32 v0, 7, v0
; %bb.120:                              ;   in Loop: Header=BB294_16 Depth=1
	s_wait_alu 0xfffe
	s_or_b32 exec_lo, exec_lo, s23
	v_lshlrev_b32_e32 v2, 8, v32
	v_lshl_add_u32 v1, v1, 10, 0x2000
	v_lshlrev_b32_e32 v0, 7, v0
	s_delay_alu instid0(VALU_DEP_3) | instskip(NEXT) | instid1(VALU_DEP_3)
	v_and_b32_e32 v2, 0x8000, v2
	v_and_b32_e32 v1, 0xfc00, v1
	s_delay_alu instid0(VALU_DEP_1)
	v_or3_b32 v0, v2, v1, v0
	scratch_store_b32 off, v0, s32 offset:372 ; 4-byte Folded Spill
.LBB294_121:                            ;   in Loop: Header=BB294_16 Depth=1
	s_wait_alu 0xfffe
	s_or_b32 exec_lo, exec_lo, s22
.LBB294_122:                            ;   in Loop: Header=BB294_16 Depth=1
	s_wait_alu 0xfffe
	s_or_b32 exec_lo, exec_lo, s21
.LBB294_123:                            ;   in Loop: Header=BB294_16 Depth=1
	s_wait_alu 0xfffe
	s_or_b32 exec_lo, exec_lo, s20
	v_lshrrev_b16 v8, 8, v8
	v_dual_mov_b32 v0, 0 :: v_dual_mov_b32 v97, 0
	s_mov_b32 s20, exec_lo
	scratch_store_b32 off, v0, s32 offset:380 ; 4-byte Folded Spill
	v_cmpx_ne_u16_e32 0, v8
	s_cbranch_execz .LBB294_131
; %bb.124:                              ;   in Loop: Header=BB294_16 Depth=1
	v_bfrev_b32_e32 v97, 1
	s_mov_b32 s21, exec_lo
	v_cmpx_ne_u16_e32 0x80, v8
	s_cbranch_execz .LBB294_130
; %bb.125:                              ;   in Loop: Header=BB294_16 Depth=1
	v_and_b32_e32 v0, 0xffff, v8
	v_mov_b32_e32 v97, 0x7c010000
	s_mov_b32 s22, exec_lo
	s_delay_alu instid0(VALU_DEP_2) | instskip(NEXT) | instid1(VALU_DEP_1)
	v_and_b32_e32 v3, 0x7f, v0
	v_cmpx_ne_u32_e32 0x7f, v3
	s_cbranch_execz .LBB294_129
; %bb.126:                              ;   in Loop: Header=BB294_16 Depth=1
	v_and_b32_e32 v1, 7, v0
	v_lshrrev_b32_e32 v2, 3, v3
	s_mov_b32 s23, exec_lo
	v_cmpx_gt_u32_e32 8, v3
; %bb.127:                              ;   in Loop: Header=BB294_16 Depth=1
	s_delay_alu instid0(VALU_DEP_3) | instskip(NEXT) | instid1(VALU_DEP_1)
	v_clz_i32_u32_e32 v1, v1
	v_min_u32_e32 v3, 32, v1
	s_delay_alu instid0(VALU_DEP_1) | instskip(NEXT) | instid1(VALU_DEP_1)
	v_subrev_nc_u32_e32 v1, 28, v3
	v_lshlrev_b64_e32 v[1:2], v1, v[8:9]
	v_sub_nc_u32_e32 v2, 29, v3
	s_delay_alu instid0(VALU_DEP_2)
	v_and_b32_e32 v1, 7, v1
; %bb.128:                              ;   in Loop: Header=BB294_16 Depth=1
	s_wait_alu 0xfffe
	s_or_b32 exec_lo, exec_lo, s23
	v_lshlrev_b32_e32 v0, 8, v0
	v_lshl_add_u32 v2, v2, 10, 0x2000
	v_lshlrev_b32_e32 v1, 23, v1
	s_delay_alu instid0(VALU_DEP_2) | instskip(NEXT) | instid1(VALU_DEP_1)
	v_and_or_b32 v0, 0x8000, v0, v2
	v_lshl_or_b32 v97, v0, 16, v1
.LBB294_129:                            ;   in Loop: Header=BB294_16 Depth=1
	s_wait_alu 0xfffe
	s_or_b32 exec_lo, exec_lo, s22
.LBB294_130:                            ;   in Loop: Header=BB294_16 Depth=1
	s_wait_alu 0xfffe
	s_or_b32 exec_lo, exec_lo, s21
.LBB294_131:                            ;   in Loop: Header=BB294_16 Depth=1
	s_wait_alu 0xfffe
	s_or_b32 exec_lo, exec_lo, s20
	v_lshrrev_b32_e32 v8, 16, v32
	s_mov_b32 s20, exec_lo
	s_delay_alu instid0(VALU_DEP_1) | instskip(NEXT) | instid1(VALU_DEP_1)
	v_and_b32_e32 v0, 0xff, v8
	v_cmpx_ne_u16_e32 0, v0
	s_cbranch_execz .LBB294_139
; %bb.132:                              ;   in Loop: Header=BB294_16 Depth=1
	v_cmp_ne_u16_e64 s1, 0x80, v0
	v_mov_b32_e32 v0, 0x8000
	scratch_store_b32 off, v0, s32 offset:380 ; 4-byte Folded Spill
	s_and_saveexec_b32 s21, s1
	s_cbranch_execz .LBB294_138
; %bb.133:                              ;   in Loop: Header=BB294_16 Depth=1
	v_bfe_u32 v2, v32, 16, 7
	v_mov_b32_e32 v0, 0x7c01
	s_mov_b32 s22, exec_lo
	scratch_store_b32 off, v0, s32 offset:380 ; 4-byte Folded Spill
	v_cmpx_ne_u32_e32 0x7f, v2
	s_cbranch_execz .LBB294_137
; %bb.134:                              ;   in Loop: Header=BB294_16 Depth=1
	v_and_b32_e32 v0, 7, v8
	v_lshrrev_b32_e32 v1, 3, v2
	s_mov_b32 s23, exec_lo
	v_cmpx_gt_u32_e32 8, v2
; %bb.135:                              ;   in Loop: Header=BB294_16 Depth=1
	s_delay_alu instid0(VALU_DEP_3) | instskip(NEXT) | instid1(VALU_DEP_1)
	v_clz_i32_u32_e32 v0, v0
	v_min_u32_e32 v2, 32, v0
	s_delay_alu instid0(VALU_DEP_1) | instskip(NEXT) | instid1(VALU_DEP_1)
	v_subrev_nc_u32_e32 v0, 28, v2
	v_lshlrev_b64_e32 v[0:1], v0, v[8:9]
	v_sub_nc_u32_e32 v1, 29, v2
	s_delay_alu instid0(VALU_DEP_2)
	v_and_b32_e32 v0, 7, v0
; %bb.136:                              ;   in Loop: Header=BB294_16 Depth=1
	s_wait_alu 0xfffe
	s_or_b32 exec_lo, exec_lo, s23
	v_lshlrev_b32_e32 v2, 8, v8
	v_lshl_add_u32 v1, v1, 10, 0x2000
	v_lshlrev_b32_e32 v0, 7, v0
	s_delay_alu instid0(VALU_DEP_3) | instskip(NEXT) | instid1(VALU_DEP_3)
	v_and_b32_e32 v2, 0x8000, v2
	v_and_b32_e32 v1, 0xfc00, v1
	s_delay_alu instid0(VALU_DEP_1)
	v_or3_b32 v0, v2, v1, v0
	scratch_store_b32 off, v0, s32 offset:380 ; 4-byte Folded Spill
.LBB294_137:                            ;   in Loop: Header=BB294_16 Depth=1
	s_wait_alu 0xfffe
	s_or_b32 exec_lo, exec_lo, s22
.LBB294_138:                            ;   in Loop: Header=BB294_16 Depth=1
	s_wait_alu 0xfffe
	s_or_b32 exec_lo, exec_lo, s21
.LBB294_139:                            ;   in Loop: Header=BB294_16 Depth=1
	s_wait_alu 0xfffe
	s_or_b32 exec_lo, exec_lo, s20
	v_mov_b32_e32 v0, 0
	v_mov_b32_e32 v98, 0
	s_mov_b32 s20, exec_lo
	scratch_store_b32 off, v0, s32 offset:384 ; 4-byte Folded Spill
	v_cmpx_lt_u64_e64 s[10:11], v[31:32]
	s_cbranch_execz .LBB294_147
; %bb.140:                              ;   in Loop: Header=BB294_16 Depth=1
	v_lshrrev_b32_e32 v8, 24, v32
	v_bfrev_b32_e32 v98, 1
	s_mov_b32 s21, exec_lo
	s_delay_alu instid0(VALU_DEP_2)
	v_cmpx_ne_u32_e32 0x80, v8
	s_cbranch_execz .LBB294_146
; %bb.141:                              ;   in Loop: Header=BB294_16 Depth=1
	v_and_b32_e32 v2, 0x7f, v8
	v_mov_b32_e32 v98, 0x7c010000
	s_mov_b32 s22, exec_lo
	s_delay_alu instid0(VALU_DEP_2)
	v_cmpx_ne_u32_e32 0x7f, v2
	s_cbranch_execz .LBB294_145
; %bb.142:                              ;   in Loop: Header=BB294_16 Depth=1
	v_and_b32_e32 v0, 7, v8
	v_lshrrev_b32_e32 v1, 3, v2
	s_mov_b32 s23, exec_lo
	v_cmpx_gt_u32_e32 8, v2
; %bb.143:                              ;   in Loop: Header=BB294_16 Depth=1
	s_delay_alu instid0(VALU_DEP_3) | instskip(NEXT) | instid1(VALU_DEP_1)
	v_clz_i32_u32_e32 v0, v0
	v_min_u32_e32 v2, 32, v0
	s_delay_alu instid0(VALU_DEP_1) | instskip(NEXT) | instid1(VALU_DEP_1)
	v_subrev_nc_u32_e32 v0, 28, v2
	v_lshlrev_b64_e32 v[0:1], v0, v[8:9]
	v_sub_nc_u32_e32 v1, 29, v2
	s_delay_alu instid0(VALU_DEP_2)
	v_and_b32_e32 v0, 7, v0
; %bb.144:                              ;   in Loop: Header=BB294_16 Depth=1
	s_wait_alu 0xfffe
	s_or_b32 exec_lo, exec_lo, s23
	v_lshlrev_b32_e32 v2, 8, v8
	v_lshl_add_u32 v1, v1, 10, 0x2000
	v_lshlrev_b32_e32 v0, 23, v0
	s_delay_alu instid0(VALU_DEP_2) | instskip(NEXT) | instid1(VALU_DEP_1)
	v_and_or_b32 v1, 0x8000, v2, v1
	v_lshl_or_b32 v98, v1, 16, v0
.LBB294_145:                            ;   in Loop: Header=BB294_16 Depth=1
	s_wait_alu 0xfffe
	s_or_b32 exec_lo, exec_lo, s22
.LBB294_146:                            ;   in Loop: Header=BB294_16 Depth=1
	s_wait_alu 0xfffe
	s_or_b32 exec_lo, exec_lo, s21
.LBB294_147:                            ;   in Loop: Header=BB294_16 Depth=1
	s_wait_alu 0xfffe
	s_or_b32 exec_lo, exec_lo, s20
	flat_load_b64 v[31:32], v[28:29] offset:512
	s_mov_b32 s20, exec_lo
	s_wait_loadcnt_dscnt 0x0
	v_and_b32_e32 v0, 0xff, v31
	s_delay_alu instid0(VALU_DEP_1)
	v_cmpx_ne_u16_e32 0, v0
	s_cbranch_execz .LBB294_155
; %bb.148:                              ;   in Loop: Header=BB294_16 Depth=1
	v_cmp_ne_u16_e64 s1, 0x80, v0
	v_mov_b32_e32 v0, 0x8000
	scratch_store_b32 off, v0, s32 offset:384 ; 4-byte Folded Spill
	s_and_saveexec_b32 s21, s1
	s_cbranch_execz .LBB294_154
; %bb.149:                              ;   in Loop: Header=BB294_16 Depth=1
	v_and_b32_e32 v2, 0x7f, v31
	v_mov_b32_e32 v0, 0x7c01
	s_mov_b32 s22, exec_lo
	scratch_store_b32 off, v0, s32 offset:384 ; 4-byte Folded Spill
	v_cmpx_ne_u32_e32 0x7f, v2
	s_cbranch_execz .LBB294_153
; %bb.150:                              ;   in Loop: Header=BB294_16 Depth=1
	v_and_b32_e32 v0, 7, v31
	v_lshrrev_b32_e32 v1, 3, v2
	s_mov_b32 s23, exec_lo
	v_cmpx_gt_u32_e32 8, v2
; %bb.151:                              ;   in Loop: Header=BB294_16 Depth=1
	s_delay_alu instid0(VALU_DEP_3) | instskip(NEXT) | instid1(VALU_DEP_1)
	v_clz_i32_u32_e32 v0, v0
	v_min_u32_e32 v2, 32, v0
	s_delay_alu instid0(VALU_DEP_1) | instskip(NEXT) | instid1(VALU_DEP_1)
	v_subrev_nc_u32_e32 v0, 28, v2
	v_lshlrev_b64_e32 v[0:1], v0, v[31:32]
	v_sub_nc_u32_e32 v1, 29, v2
	s_delay_alu instid0(VALU_DEP_2)
	v_and_b32_e32 v0, 7, v0
; %bb.152:                              ;   in Loop: Header=BB294_16 Depth=1
	s_wait_alu 0xfffe
	s_or_b32 exec_lo, exec_lo, s23
	v_lshlrev_b32_e32 v2, 8, v31
	v_lshl_add_u32 v1, v1, 10, 0x2000
	v_lshlrev_b32_e32 v0, 7, v0
	s_delay_alu instid0(VALU_DEP_3) | instskip(NEXT) | instid1(VALU_DEP_3)
	v_and_b32_e32 v2, 0x8000, v2
	v_and_b32_e32 v1, 0xfc00, v1
	s_delay_alu instid0(VALU_DEP_1)
	v_or3_b32 v0, v2, v1, v0
	scratch_store_b32 off, v0, s32 offset:384 ; 4-byte Folded Spill
.LBB294_153:                            ;   in Loop: Header=BB294_16 Depth=1
	s_wait_alu 0xfffe
	s_or_b32 exec_lo, exec_lo, s22
.LBB294_154:                            ;   in Loop: Header=BB294_16 Depth=1
	s_wait_alu 0xfffe
	s_or_b32 exec_lo, exec_lo, s21
.LBB294_155:                            ;   in Loop: Header=BB294_16 Depth=1
	s_wait_alu 0xfffe
	s_or_b32 exec_lo, exec_lo, s20
	v_lshrrev_b16 v8, 8, v31
	v_mov_b32_e32 v0, 0
	v_mov_b32_e32 v86, 0
	s_mov_b32 s20, exec_lo
	scratch_store_b32 off, v0, s32 offset:388 ; 4-byte Folded Spill
	v_cmpx_ne_u16_e32 0, v8
	s_cbranch_execz .LBB294_163
; %bb.156:                              ;   in Loop: Header=BB294_16 Depth=1
	v_bfrev_b32_e32 v86, 1
	s_mov_b32 s21, exec_lo
	v_cmpx_ne_u16_e32 0x80, v8
	s_cbranch_execz .LBB294_162
; %bb.157:                              ;   in Loop: Header=BB294_16 Depth=1
	v_and_b32_e32 v0, 0xffff, v8
	v_mov_b32_e32 v86, 0x7c010000
	s_mov_b32 s22, exec_lo
	s_delay_alu instid0(VALU_DEP_2) | instskip(NEXT) | instid1(VALU_DEP_1)
	v_and_b32_e32 v3, 0x7f, v0
	v_cmpx_ne_u32_e32 0x7f, v3
	s_cbranch_execz .LBB294_161
; %bb.158:                              ;   in Loop: Header=BB294_16 Depth=1
	v_and_b32_e32 v1, 7, v0
	v_lshrrev_b32_e32 v2, 3, v3
	s_mov_b32 s23, exec_lo
	v_cmpx_gt_u32_e32 8, v3
; %bb.159:                              ;   in Loop: Header=BB294_16 Depth=1
	s_delay_alu instid0(VALU_DEP_3) | instskip(NEXT) | instid1(VALU_DEP_1)
	v_clz_i32_u32_e32 v1, v1
	v_min_u32_e32 v3, 32, v1
	s_delay_alu instid0(VALU_DEP_1) | instskip(NEXT) | instid1(VALU_DEP_1)
	v_subrev_nc_u32_e32 v1, 28, v3
	v_lshlrev_b64_e32 v[1:2], v1, v[8:9]
	v_sub_nc_u32_e32 v2, 29, v3
	s_delay_alu instid0(VALU_DEP_2)
	v_and_b32_e32 v1, 7, v1
; %bb.160:                              ;   in Loop: Header=BB294_16 Depth=1
	s_wait_alu 0xfffe
	s_or_b32 exec_lo, exec_lo, s23
	v_lshlrev_b32_e32 v0, 8, v0
	v_lshl_add_u32 v2, v2, 10, 0x2000
	v_lshlrev_b32_e32 v1, 23, v1
	s_delay_alu instid0(VALU_DEP_2) | instskip(NEXT) | instid1(VALU_DEP_1)
	v_and_or_b32 v0, 0x8000, v0, v2
	v_lshl_or_b32 v86, v0, 16, v1
.LBB294_161:                            ;   in Loop: Header=BB294_16 Depth=1
	s_wait_alu 0xfffe
	s_or_b32 exec_lo, exec_lo, s22
.LBB294_162:                            ;   in Loop: Header=BB294_16 Depth=1
	s_wait_alu 0xfffe
	s_or_b32 exec_lo, exec_lo, s21
.LBB294_163:                            ;   in Loop: Header=BB294_16 Depth=1
	s_wait_alu 0xfffe
	s_or_b32 exec_lo, exec_lo, s20
	v_lshrrev_b32_e32 v8, 16, v31
	s_mov_b32 s20, exec_lo
	s_delay_alu instid0(VALU_DEP_1) | instskip(NEXT) | instid1(VALU_DEP_1)
	v_and_b32_e32 v0, 0xff, v8
	v_cmpx_ne_u16_e32 0, v0
	s_cbranch_execz .LBB294_171
; %bb.164:                              ;   in Loop: Header=BB294_16 Depth=1
	v_cmp_ne_u16_e64 s1, 0x80, v0
	v_mov_b32_e32 v0, 0x8000
	scratch_store_b32 off, v0, s32 offset:388 ; 4-byte Folded Spill
	s_and_saveexec_b32 s21, s1
	s_cbranch_execz .LBB294_170
; %bb.165:                              ;   in Loop: Header=BB294_16 Depth=1
	v_bfe_u32 v2, v31, 16, 7
	v_mov_b32_e32 v0, 0x7c01
	s_mov_b32 s22, exec_lo
	scratch_store_b32 off, v0, s32 offset:388 ; 4-byte Folded Spill
	v_cmpx_ne_u32_e32 0x7f, v2
	s_cbranch_execz .LBB294_169
; %bb.166:                              ;   in Loop: Header=BB294_16 Depth=1
	v_and_b32_e32 v0, 7, v8
	v_lshrrev_b32_e32 v1, 3, v2
	s_mov_b32 s23, exec_lo
	v_cmpx_gt_u32_e32 8, v2
; %bb.167:                              ;   in Loop: Header=BB294_16 Depth=1
	s_delay_alu instid0(VALU_DEP_3) | instskip(NEXT) | instid1(VALU_DEP_1)
	v_clz_i32_u32_e32 v0, v0
	v_min_u32_e32 v2, 32, v0
	s_delay_alu instid0(VALU_DEP_1) | instskip(NEXT) | instid1(VALU_DEP_1)
	v_subrev_nc_u32_e32 v0, 28, v2
	v_lshlrev_b64_e32 v[0:1], v0, v[8:9]
	v_sub_nc_u32_e32 v1, 29, v2
	s_delay_alu instid0(VALU_DEP_2)
	v_and_b32_e32 v0, 7, v0
; %bb.168:                              ;   in Loop: Header=BB294_16 Depth=1
	s_wait_alu 0xfffe
	s_or_b32 exec_lo, exec_lo, s23
	v_lshlrev_b32_e32 v2, 8, v8
	v_lshl_add_u32 v1, v1, 10, 0x2000
	v_lshlrev_b32_e32 v0, 7, v0
	s_delay_alu instid0(VALU_DEP_3) | instskip(NEXT) | instid1(VALU_DEP_3)
	v_and_b32_e32 v2, 0x8000, v2
	v_and_b32_e32 v1, 0xfc00, v1
	s_delay_alu instid0(VALU_DEP_1)
	v_or3_b32 v0, v2, v1, v0
	scratch_store_b32 off, v0, s32 offset:388 ; 4-byte Folded Spill
.LBB294_169:                            ;   in Loop: Header=BB294_16 Depth=1
	s_wait_alu 0xfffe
	s_or_b32 exec_lo, exec_lo, s22
.LBB294_170:                            ;   in Loop: Header=BB294_16 Depth=1
	s_wait_alu 0xfffe
	s_or_b32 exec_lo, exec_lo, s21
.LBB294_171:                            ;   in Loop: Header=BB294_16 Depth=1
	s_wait_alu 0xfffe
	s_or_b32 exec_lo, exec_lo, s20
	v_mov_b32_e32 v0, 0
	v_mov_b32_e32 v114, 0
	s_mov_b32 s20, exec_lo
	scratch_store_b32 off, v0, s32 offset:392 ; 4-byte Folded Spill
	v_cmpx_lt_u32_e32 0xffffff, v31
	s_cbranch_execz .LBB294_179
; %bb.172:                              ;   in Loop: Header=BB294_16 Depth=1
	v_lshrrev_b32_e32 v8, 24, v31
	v_bfrev_b32_e32 v114, 1
	s_mov_b32 s21, exec_lo
	s_delay_alu instid0(VALU_DEP_2)
	v_cmpx_ne_u32_e32 0x80, v8
	s_cbranch_execz .LBB294_178
; %bb.173:                              ;   in Loop: Header=BB294_16 Depth=1
	v_and_b32_e32 v2, 0x7f, v8
	v_mov_b32_e32 v114, 0x7c010000
	s_mov_b32 s22, exec_lo
	s_delay_alu instid0(VALU_DEP_2)
	v_cmpx_ne_u32_e32 0x7f, v2
	s_cbranch_execz .LBB294_177
; %bb.174:                              ;   in Loop: Header=BB294_16 Depth=1
	v_and_b32_e32 v0, 7, v8
	v_lshrrev_b32_e32 v1, 3, v2
	s_mov_b32 s23, exec_lo
	v_cmpx_gt_u32_e32 8, v2
; %bb.175:                              ;   in Loop: Header=BB294_16 Depth=1
	s_delay_alu instid0(VALU_DEP_3) | instskip(NEXT) | instid1(VALU_DEP_1)
	v_clz_i32_u32_e32 v0, v0
	v_min_u32_e32 v2, 32, v0
	s_delay_alu instid0(VALU_DEP_1) | instskip(NEXT) | instid1(VALU_DEP_1)
	v_subrev_nc_u32_e32 v0, 28, v2
	v_lshlrev_b64_e32 v[0:1], v0, v[8:9]
	v_sub_nc_u32_e32 v1, 29, v2
	s_delay_alu instid0(VALU_DEP_2)
	v_and_b32_e32 v0, 7, v0
; %bb.176:                              ;   in Loop: Header=BB294_16 Depth=1
	s_wait_alu 0xfffe
	s_or_b32 exec_lo, exec_lo, s23
	v_lshlrev_b32_e32 v2, 8, v8
	v_lshl_add_u32 v1, v1, 10, 0x2000
	v_lshlrev_b32_e32 v0, 23, v0
	s_delay_alu instid0(VALU_DEP_2) | instskip(NEXT) | instid1(VALU_DEP_1)
	v_and_or_b32 v1, 0x8000, v2, v1
	v_lshl_or_b32 v114, v1, 16, v0
.LBB294_177:                            ;   in Loop: Header=BB294_16 Depth=1
	s_wait_alu 0xfffe
	s_or_b32 exec_lo, exec_lo, s22
.LBB294_178:                            ;   in Loop: Header=BB294_16 Depth=1
	s_wait_alu 0xfffe
	s_or_b32 exec_lo, exec_lo, s21
.LBB294_179:                            ;   in Loop: Header=BB294_16 Depth=1
	s_wait_alu 0xfffe
	s_or_b32 exec_lo, exec_lo, s20
	v_and_b32_e32 v0, 0xff, v32
	v_mov_b32_e32 v8, v32
	s_mov_b32 s20, exec_lo
	s_delay_alu instid0(VALU_DEP_2)
	v_cmpx_ne_u16_e32 0, v0
	s_cbranch_execz .LBB294_187
; %bb.180:                              ;   in Loop: Header=BB294_16 Depth=1
	v_cmp_ne_u16_e64 s1, 0x80, v0
	v_mov_b32_e32 v0, 0x8000
	scratch_store_b32 off, v0, s32 offset:392 ; 4-byte Folded Spill
	s_and_saveexec_b32 s21, s1
	s_cbranch_execz .LBB294_186
; %bb.181:                              ;   in Loop: Header=BB294_16 Depth=1
	v_and_b32_e32 v2, 0x7f, v32
	v_mov_b32_e32 v0, 0x7c01
	s_mov_b32 s22, exec_lo
	scratch_store_b32 off, v0, s32 offset:392 ; 4-byte Folded Spill
	v_cmpx_ne_u32_e32 0x7f, v2
	s_cbranch_execz .LBB294_185
; %bb.182:                              ;   in Loop: Header=BB294_16 Depth=1
	v_and_b32_e32 v0, 7, v32
	v_lshrrev_b32_e32 v1, 3, v2
	s_mov_b32 s23, exec_lo
	v_cmpx_gt_u32_e32 8, v2
; %bb.183:                              ;   in Loop: Header=BB294_16 Depth=1
	s_delay_alu instid0(VALU_DEP_3) | instskip(NEXT) | instid1(VALU_DEP_1)
	v_clz_i32_u32_e32 v0, v0
	v_min_u32_e32 v2, 32, v0
	s_delay_alu instid0(VALU_DEP_1) | instskip(NEXT) | instid1(VALU_DEP_1)
	v_subrev_nc_u32_e32 v0, 28, v2
	v_lshlrev_b64_e32 v[0:1], v0, v[8:9]
	v_sub_nc_u32_e32 v1, 29, v2
	s_delay_alu instid0(VALU_DEP_2)
	v_and_b32_e32 v0, 7, v0
; %bb.184:                              ;   in Loop: Header=BB294_16 Depth=1
	s_wait_alu 0xfffe
	s_or_b32 exec_lo, exec_lo, s23
	v_lshlrev_b32_e32 v2, 8, v32
	v_lshl_add_u32 v1, v1, 10, 0x2000
	v_lshlrev_b32_e32 v0, 7, v0
	s_delay_alu instid0(VALU_DEP_3) | instskip(NEXT) | instid1(VALU_DEP_3)
	v_and_b32_e32 v2, 0x8000, v2
	v_and_b32_e32 v1, 0xfc00, v1
	s_delay_alu instid0(VALU_DEP_1)
	v_or3_b32 v0, v2, v1, v0
	scratch_store_b32 off, v0, s32 offset:392 ; 4-byte Folded Spill
.LBB294_185:                            ;   in Loop: Header=BB294_16 Depth=1
	s_wait_alu 0xfffe
	s_or_b32 exec_lo, exec_lo, s22
.LBB294_186:                            ;   in Loop: Header=BB294_16 Depth=1
	s_wait_alu 0xfffe
	s_or_b32 exec_lo, exec_lo, s21
.LBB294_187:                            ;   in Loop: Header=BB294_16 Depth=1
	s_wait_alu 0xfffe
	s_or_b32 exec_lo, exec_lo, s20
	v_lshrrev_b16 v8, 8, v8
	v_mov_b32_e32 v0, 0
	v_mov_b32_e32 v140, 0
	s_mov_b32 s20, exec_lo
	scratch_store_b32 off, v0, s32 offset:396 ; 4-byte Folded Spill
	v_cmpx_ne_u16_e32 0, v8
	s_cbranch_execz .LBB294_195
; %bb.188:                              ;   in Loop: Header=BB294_16 Depth=1
	v_bfrev_b32_e32 v140, 1
	s_mov_b32 s21, exec_lo
	v_cmpx_ne_u16_e32 0x80, v8
	s_cbranch_execz .LBB294_194
; %bb.189:                              ;   in Loop: Header=BB294_16 Depth=1
	v_and_b32_e32 v0, 0xffff, v8
	v_mov_b32_e32 v140, 0x7c010000
	s_mov_b32 s22, exec_lo
	s_delay_alu instid0(VALU_DEP_2) | instskip(NEXT) | instid1(VALU_DEP_1)
	v_and_b32_e32 v3, 0x7f, v0
	v_cmpx_ne_u32_e32 0x7f, v3
	s_cbranch_execz .LBB294_193
; %bb.190:                              ;   in Loop: Header=BB294_16 Depth=1
	v_and_b32_e32 v1, 7, v0
	v_lshrrev_b32_e32 v2, 3, v3
	s_mov_b32 s23, exec_lo
	v_cmpx_gt_u32_e32 8, v3
; %bb.191:                              ;   in Loop: Header=BB294_16 Depth=1
	s_delay_alu instid0(VALU_DEP_3) | instskip(NEXT) | instid1(VALU_DEP_1)
	v_clz_i32_u32_e32 v1, v1
	v_min_u32_e32 v3, 32, v1
	s_delay_alu instid0(VALU_DEP_1) | instskip(NEXT) | instid1(VALU_DEP_1)
	v_subrev_nc_u32_e32 v1, 28, v3
	v_lshlrev_b64_e32 v[1:2], v1, v[8:9]
	v_sub_nc_u32_e32 v2, 29, v3
	s_delay_alu instid0(VALU_DEP_2)
	v_and_b32_e32 v1, 7, v1
; %bb.192:                              ;   in Loop: Header=BB294_16 Depth=1
	s_wait_alu 0xfffe
	s_or_b32 exec_lo, exec_lo, s23
	v_lshlrev_b32_e32 v0, 8, v0
	v_lshl_add_u32 v2, v2, 10, 0x2000
	v_lshlrev_b32_e32 v1, 23, v1
	s_delay_alu instid0(VALU_DEP_2) | instskip(NEXT) | instid1(VALU_DEP_1)
	v_and_or_b32 v0, 0x8000, v0, v2
	v_lshl_or_b32 v140, v0, 16, v1
.LBB294_193:                            ;   in Loop: Header=BB294_16 Depth=1
	s_wait_alu 0xfffe
	s_or_b32 exec_lo, exec_lo, s22
.LBB294_194:                            ;   in Loop: Header=BB294_16 Depth=1
	s_wait_alu 0xfffe
	s_or_b32 exec_lo, exec_lo, s21
.LBB294_195:                            ;   in Loop: Header=BB294_16 Depth=1
	s_wait_alu 0xfffe
	s_or_b32 exec_lo, exec_lo, s20
	v_lshrrev_b32_e32 v8, 16, v32
	s_mov_b32 s20, exec_lo
	s_delay_alu instid0(VALU_DEP_1) | instskip(NEXT) | instid1(VALU_DEP_1)
	v_and_b32_e32 v0, 0xff, v8
	v_cmpx_ne_u16_e32 0, v0
	s_cbranch_execz .LBB294_203
; %bb.196:                              ;   in Loop: Header=BB294_16 Depth=1
	v_cmp_ne_u16_e64 s1, 0x80, v0
	v_mov_b32_e32 v0, 0x8000
	scratch_store_b32 off, v0, s32 offset:396 ; 4-byte Folded Spill
	s_and_saveexec_b32 s21, s1
	s_cbranch_execz .LBB294_202
; %bb.197:                              ;   in Loop: Header=BB294_16 Depth=1
	v_bfe_u32 v2, v32, 16, 7
	v_mov_b32_e32 v0, 0x7c01
	s_mov_b32 s22, exec_lo
	scratch_store_b32 off, v0, s32 offset:396 ; 4-byte Folded Spill
	v_cmpx_ne_u32_e32 0x7f, v2
	s_cbranch_execz .LBB294_201
; %bb.198:                              ;   in Loop: Header=BB294_16 Depth=1
	v_and_b32_e32 v0, 7, v8
	v_lshrrev_b32_e32 v1, 3, v2
	s_mov_b32 s23, exec_lo
	v_cmpx_gt_u32_e32 8, v2
; %bb.199:                              ;   in Loop: Header=BB294_16 Depth=1
	s_delay_alu instid0(VALU_DEP_3) | instskip(NEXT) | instid1(VALU_DEP_1)
	v_clz_i32_u32_e32 v0, v0
	v_min_u32_e32 v2, 32, v0
	s_delay_alu instid0(VALU_DEP_1) | instskip(NEXT) | instid1(VALU_DEP_1)
	v_subrev_nc_u32_e32 v0, 28, v2
	v_lshlrev_b64_e32 v[0:1], v0, v[8:9]
	v_sub_nc_u32_e32 v1, 29, v2
	s_delay_alu instid0(VALU_DEP_2)
	v_and_b32_e32 v0, 7, v0
; %bb.200:                              ;   in Loop: Header=BB294_16 Depth=1
	s_wait_alu 0xfffe
	s_or_b32 exec_lo, exec_lo, s23
	v_lshlrev_b32_e32 v2, 8, v8
	v_lshl_add_u32 v1, v1, 10, 0x2000
	v_lshlrev_b32_e32 v0, 7, v0
	s_delay_alu instid0(VALU_DEP_3) | instskip(NEXT) | instid1(VALU_DEP_3)
	v_and_b32_e32 v2, 0x8000, v2
	v_and_b32_e32 v1, 0xfc00, v1
	s_delay_alu instid0(VALU_DEP_1)
	v_or3_b32 v0, v2, v1, v0
	scratch_store_b32 off, v0, s32 offset:396 ; 4-byte Folded Spill
.LBB294_201:                            ;   in Loop: Header=BB294_16 Depth=1
	s_wait_alu 0xfffe
	s_or_b32 exec_lo, exec_lo, s22
.LBB294_202:                            ;   in Loop: Header=BB294_16 Depth=1
	s_wait_alu 0xfffe
	s_or_b32 exec_lo, exec_lo, s21
.LBB294_203:                            ;   in Loop: Header=BB294_16 Depth=1
	s_wait_alu 0xfffe
	s_or_b32 exec_lo, exec_lo, s20
	v_dual_mov_b32 v0, 0 :: v_dual_mov_b32 v103, 0
	s_mov_b32 s20, exec_lo
	scratch_store_b32 off, v0, s32 offset:400 ; 4-byte Folded Spill
	v_cmpx_lt_u64_e64 s[10:11], v[31:32]
	s_cbranch_execz .LBB294_211
; %bb.204:                              ;   in Loop: Header=BB294_16 Depth=1
	v_lshrrev_b32_e32 v8, 24, v32
	v_bfrev_b32_e32 v103, 1
	s_mov_b32 s21, exec_lo
	s_delay_alu instid0(VALU_DEP_2)
	v_cmpx_ne_u32_e32 0x80, v8
	s_cbranch_execz .LBB294_210
; %bb.205:                              ;   in Loop: Header=BB294_16 Depth=1
	v_and_b32_e32 v2, 0x7f, v8
	v_mov_b32_e32 v103, 0x7c010000
	s_mov_b32 s22, exec_lo
	s_delay_alu instid0(VALU_DEP_2)
	v_cmpx_ne_u32_e32 0x7f, v2
	s_cbranch_execz .LBB294_209
; %bb.206:                              ;   in Loop: Header=BB294_16 Depth=1
	v_and_b32_e32 v0, 7, v8
	v_lshrrev_b32_e32 v1, 3, v2
	s_mov_b32 s23, exec_lo
	v_cmpx_gt_u32_e32 8, v2
; %bb.207:                              ;   in Loop: Header=BB294_16 Depth=1
	s_delay_alu instid0(VALU_DEP_3) | instskip(NEXT) | instid1(VALU_DEP_1)
	v_clz_i32_u32_e32 v0, v0
	v_min_u32_e32 v2, 32, v0
	s_delay_alu instid0(VALU_DEP_1) | instskip(NEXT) | instid1(VALU_DEP_1)
	v_subrev_nc_u32_e32 v0, 28, v2
	v_lshlrev_b64_e32 v[0:1], v0, v[8:9]
	v_sub_nc_u32_e32 v1, 29, v2
	s_delay_alu instid0(VALU_DEP_2)
	v_and_b32_e32 v0, 7, v0
; %bb.208:                              ;   in Loop: Header=BB294_16 Depth=1
	s_wait_alu 0xfffe
	s_or_b32 exec_lo, exec_lo, s23
	v_lshlrev_b32_e32 v2, 8, v8
	v_lshl_add_u32 v1, v1, 10, 0x2000
	v_lshlrev_b32_e32 v0, 23, v0
	s_delay_alu instid0(VALU_DEP_2) | instskip(NEXT) | instid1(VALU_DEP_1)
	v_and_or_b32 v1, 0x8000, v2, v1
	v_lshl_or_b32 v103, v1, 16, v0
.LBB294_209:                            ;   in Loop: Header=BB294_16 Depth=1
	s_wait_alu 0xfffe
	s_or_b32 exec_lo, exec_lo, s22
.LBB294_210:                            ;   in Loop: Header=BB294_16 Depth=1
	s_wait_alu 0xfffe
	s_or_b32 exec_lo, exec_lo, s21
.LBB294_211:                            ;   in Loop: Header=BB294_16 Depth=1
	s_wait_alu 0xfffe
	s_or_b32 exec_lo, exec_lo, s20
	flat_load_b64 v[31:32], v[28:29] offset:520
	s_mov_b32 s20, exec_lo
	s_wait_loadcnt_dscnt 0x0
	v_and_b32_e32 v0, 0xff, v31
	s_delay_alu instid0(VALU_DEP_1)
	v_cmpx_ne_u16_e32 0, v0
	s_cbranch_execz .LBB294_219
; %bb.212:                              ;   in Loop: Header=BB294_16 Depth=1
	v_cmp_ne_u16_e64 s1, 0x80, v0
	v_mov_b32_e32 v0, 0x8000
	scratch_store_b32 off, v0, s32 offset:400 ; 4-byte Folded Spill
	s_and_saveexec_b32 s21, s1
	s_cbranch_execz .LBB294_218
; %bb.213:                              ;   in Loop: Header=BB294_16 Depth=1
	v_and_b32_e32 v2, 0x7f, v31
	v_mov_b32_e32 v0, 0x7c01
	s_mov_b32 s22, exec_lo
	scratch_store_b32 off, v0, s32 offset:400 ; 4-byte Folded Spill
	v_cmpx_ne_u32_e32 0x7f, v2
	s_cbranch_execz .LBB294_217
; %bb.214:                              ;   in Loop: Header=BB294_16 Depth=1
	v_and_b32_e32 v0, 7, v31
	v_lshrrev_b32_e32 v1, 3, v2
	s_mov_b32 s23, exec_lo
	v_cmpx_gt_u32_e32 8, v2
; %bb.215:                              ;   in Loop: Header=BB294_16 Depth=1
	s_delay_alu instid0(VALU_DEP_3) | instskip(NEXT) | instid1(VALU_DEP_1)
	v_clz_i32_u32_e32 v0, v0
	v_min_u32_e32 v2, 32, v0
	s_delay_alu instid0(VALU_DEP_1) | instskip(NEXT) | instid1(VALU_DEP_1)
	v_subrev_nc_u32_e32 v0, 28, v2
	v_lshlrev_b64_e32 v[0:1], v0, v[31:32]
	v_sub_nc_u32_e32 v1, 29, v2
	s_delay_alu instid0(VALU_DEP_2)
	v_and_b32_e32 v0, 7, v0
; %bb.216:                              ;   in Loop: Header=BB294_16 Depth=1
	s_wait_alu 0xfffe
	s_or_b32 exec_lo, exec_lo, s23
	v_lshlrev_b32_e32 v2, 8, v31
	v_lshl_add_u32 v1, v1, 10, 0x2000
	v_lshlrev_b32_e32 v0, 7, v0
	s_delay_alu instid0(VALU_DEP_3) | instskip(NEXT) | instid1(VALU_DEP_3)
	v_and_b32_e32 v2, 0x8000, v2
	v_and_b32_e32 v1, 0xfc00, v1
	s_delay_alu instid0(VALU_DEP_1)
	v_or3_b32 v0, v2, v1, v0
	scratch_store_b32 off, v0, s32 offset:400 ; 4-byte Folded Spill
.LBB294_217:                            ;   in Loop: Header=BB294_16 Depth=1
	s_wait_alu 0xfffe
	s_or_b32 exec_lo, exec_lo, s22
.LBB294_218:                            ;   in Loop: Header=BB294_16 Depth=1
	s_wait_alu 0xfffe
	s_or_b32 exec_lo, exec_lo, s21
.LBB294_219:                            ;   in Loop: Header=BB294_16 Depth=1
	s_wait_alu 0xfffe
	s_or_b32 exec_lo, exec_lo, s20
	v_lshrrev_b16 v8, 8, v31
	v_dual_mov_b32 v0, 0 :: v_dual_mov_b32 v119, 0
	s_mov_b32 s20, exec_lo
	scratch_store_b32 off, v0, s32 offset:404 ; 4-byte Folded Spill
	v_cmpx_ne_u16_e32 0, v8
	s_cbranch_execz .LBB294_227
; %bb.220:                              ;   in Loop: Header=BB294_16 Depth=1
	v_bfrev_b32_e32 v119, 1
	s_mov_b32 s21, exec_lo
	v_cmpx_ne_u16_e32 0x80, v8
	s_cbranch_execz .LBB294_226
; %bb.221:                              ;   in Loop: Header=BB294_16 Depth=1
	v_and_b32_e32 v0, 0xffff, v8
	v_mov_b32_e32 v119, 0x7c010000
	s_mov_b32 s22, exec_lo
	s_delay_alu instid0(VALU_DEP_2) | instskip(NEXT) | instid1(VALU_DEP_1)
	v_and_b32_e32 v3, 0x7f, v0
	v_cmpx_ne_u32_e32 0x7f, v3
	s_cbranch_execz .LBB294_225
; %bb.222:                              ;   in Loop: Header=BB294_16 Depth=1
	v_and_b32_e32 v1, 7, v0
	v_lshrrev_b32_e32 v2, 3, v3
	s_mov_b32 s23, exec_lo
	v_cmpx_gt_u32_e32 8, v3
; %bb.223:                              ;   in Loop: Header=BB294_16 Depth=1
	s_delay_alu instid0(VALU_DEP_3) | instskip(NEXT) | instid1(VALU_DEP_1)
	v_clz_i32_u32_e32 v1, v1
	v_min_u32_e32 v3, 32, v1
	s_delay_alu instid0(VALU_DEP_1) | instskip(NEXT) | instid1(VALU_DEP_1)
	v_subrev_nc_u32_e32 v1, 28, v3
	v_lshlrev_b64_e32 v[1:2], v1, v[8:9]
	v_sub_nc_u32_e32 v2, 29, v3
	s_delay_alu instid0(VALU_DEP_2)
	v_and_b32_e32 v1, 7, v1
; %bb.224:                              ;   in Loop: Header=BB294_16 Depth=1
	s_wait_alu 0xfffe
	s_or_b32 exec_lo, exec_lo, s23
	v_lshlrev_b32_e32 v0, 8, v0
	v_lshl_add_u32 v2, v2, 10, 0x2000
	v_lshlrev_b32_e32 v1, 23, v1
	s_delay_alu instid0(VALU_DEP_2) | instskip(NEXT) | instid1(VALU_DEP_1)
	v_and_or_b32 v0, 0x8000, v0, v2
	v_lshl_or_b32 v119, v0, 16, v1
.LBB294_225:                            ;   in Loop: Header=BB294_16 Depth=1
	s_wait_alu 0xfffe
	s_or_b32 exec_lo, exec_lo, s22
.LBB294_226:                            ;   in Loop: Header=BB294_16 Depth=1
	s_wait_alu 0xfffe
	s_or_b32 exec_lo, exec_lo, s21
.LBB294_227:                            ;   in Loop: Header=BB294_16 Depth=1
	s_wait_alu 0xfffe
	s_or_b32 exec_lo, exec_lo, s20
	v_lshrrev_b32_e32 v8, 16, v31
	s_mov_b32 s20, exec_lo
	s_delay_alu instid0(VALU_DEP_1) | instskip(NEXT) | instid1(VALU_DEP_1)
	v_and_b32_e32 v0, 0xff, v8
	v_cmpx_ne_u16_e32 0, v0
	s_cbranch_execz .LBB294_235
; %bb.228:                              ;   in Loop: Header=BB294_16 Depth=1
	v_cmp_ne_u16_e64 s1, 0x80, v0
	v_mov_b32_e32 v0, 0x8000
	scratch_store_b32 off, v0, s32 offset:404 ; 4-byte Folded Spill
	s_and_saveexec_b32 s21, s1
	s_cbranch_execz .LBB294_234
; %bb.229:                              ;   in Loop: Header=BB294_16 Depth=1
	v_bfe_u32 v2, v31, 16, 7
	v_mov_b32_e32 v0, 0x7c01
	s_mov_b32 s22, exec_lo
	scratch_store_b32 off, v0, s32 offset:404 ; 4-byte Folded Spill
	v_cmpx_ne_u32_e32 0x7f, v2
	s_cbranch_execz .LBB294_233
; %bb.230:                              ;   in Loop: Header=BB294_16 Depth=1
	v_and_b32_e32 v0, 7, v8
	v_lshrrev_b32_e32 v1, 3, v2
	s_mov_b32 s23, exec_lo
	v_cmpx_gt_u32_e32 8, v2
; %bb.231:                              ;   in Loop: Header=BB294_16 Depth=1
	s_delay_alu instid0(VALU_DEP_3) | instskip(NEXT) | instid1(VALU_DEP_1)
	v_clz_i32_u32_e32 v0, v0
	v_min_u32_e32 v2, 32, v0
	s_delay_alu instid0(VALU_DEP_1) | instskip(NEXT) | instid1(VALU_DEP_1)
	v_subrev_nc_u32_e32 v0, 28, v2
	v_lshlrev_b64_e32 v[0:1], v0, v[8:9]
	v_sub_nc_u32_e32 v1, 29, v2
	s_delay_alu instid0(VALU_DEP_2)
	v_and_b32_e32 v0, 7, v0
; %bb.232:                              ;   in Loop: Header=BB294_16 Depth=1
	s_wait_alu 0xfffe
	s_or_b32 exec_lo, exec_lo, s23
	v_lshlrev_b32_e32 v2, 8, v8
	v_lshl_add_u32 v1, v1, 10, 0x2000
	v_lshlrev_b32_e32 v0, 7, v0
	s_delay_alu instid0(VALU_DEP_3) | instskip(NEXT) | instid1(VALU_DEP_3)
	v_and_b32_e32 v2, 0x8000, v2
	v_and_b32_e32 v1, 0xfc00, v1
	s_delay_alu instid0(VALU_DEP_1)
	v_or3_b32 v0, v2, v1, v0
	scratch_store_b32 off, v0, s32 offset:404 ; 4-byte Folded Spill
.LBB294_233:                            ;   in Loop: Header=BB294_16 Depth=1
	s_wait_alu 0xfffe
	s_or_b32 exec_lo, exec_lo, s22
.LBB294_234:                            ;   in Loop: Header=BB294_16 Depth=1
	s_wait_alu 0xfffe
	s_or_b32 exec_lo, exec_lo, s21
.LBB294_235:                            ;   in Loop: Header=BB294_16 Depth=1
	s_wait_alu 0xfffe
	s_or_b32 exec_lo, exec_lo, s20
	v_mov_b32_e32 v0, 0
	v_mov_b32_e32 v130, 0
	s_mov_b32 s20, exec_lo
	scratch_store_b32 off, v0, s32 offset:408 ; 4-byte Folded Spill
	v_cmpx_lt_u32_e32 0xffffff, v31
	s_cbranch_execz .LBB294_243
; %bb.236:                              ;   in Loop: Header=BB294_16 Depth=1
	v_lshrrev_b32_e32 v8, 24, v31
	v_bfrev_b32_e32 v130, 1
	s_mov_b32 s21, exec_lo
	s_delay_alu instid0(VALU_DEP_2)
	v_cmpx_ne_u32_e32 0x80, v8
	s_cbranch_execz .LBB294_242
; %bb.237:                              ;   in Loop: Header=BB294_16 Depth=1
	v_and_b32_e32 v2, 0x7f, v8
	v_mov_b32_e32 v130, 0x7c010000
	s_mov_b32 s22, exec_lo
	s_delay_alu instid0(VALU_DEP_2)
	v_cmpx_ne_u32_e32 0x7f, v2
	s_cbranch_execz .LBB294_241
; %bb.238:                              ;   in Loop: Header=BB294_16 Depth=1
	v_and_b32_e32 v0, 7, v8
	v_lshrrev_b32_e32 v1, 3, v2
	s_mov_b32 s23, exec_lo
	v_cmpx_gt_u32_e32 8, v2
; %bb.239:                              ;   in Loop: Header=BB294_16 Depth=1
	s_delay_alu instid0(VALU_DEP_3) | instskip(NEXT) | instid1(VALU_DEP_1)
	v_clz_i32_u32_e32 v0, v0
	v_min_u32_e32 v2, 32, v0
	s_delay_alu instid0(VALU_DEP_1) | instskip(NEXT) | instid1(VALU_DEP_1)
	v_subrev_nc_u32_e32 v0, 28, v2
	v_lshlrev_b64_e32 v[0:1], v0, v[8:9]
	v_sub_nc_u32_e32 v1, 29, v2
	s_delay_alu instid0(VALU_DEP_2)
	v_and_b32_e32 v0, 7, v0
; %bb.240:                              ;   in Loop: Header=BB294_16 Depth=1
	s_wait_alu 0xfffe
	s_or_b32 exec_lo, exec_lo, s23
	v_lshlrev_b32_e32 v2, 8, v8
	v_lshl_add_u32 v1, v1, 10, 0x2000
	v_lshlrev_b32_e32 v0, 23, v0
	s_delay_alu instid0(VALU_DEP_2) | instskip(NEXT) | instid1(VALU_DEP_1)
	v_and_or_b32 v1, 0x8000, v2, v1
	v_lshl_or_b32 v130, v1, 16, v0
.LBB294_241:                            ;   in Loop: Header=BB294_16 Depth=1
	s_wait_alu 0xfffe
	s_or_b32 exec_lo, exec_lo, s22
.LBB294_242:                            ;   in Loop: Header=BB294_16 Depth=1
	s_wait_alu 0xfffe
	s_or_b32 exec_lo, exec_lo, s21
.LBB294_243:                            ;   in Loop: Header=BB294_16 Depth=1
	s_wait_alu 0xfffe
	s_or_b32 exec_lo, exec_lo, s20
	v_and_b32_e32 v0, 0xff, v32
	v_mov_b32_e32 v8, v32
	s_mov_b32 s20, exec_lo
	s_delay_alu instid0(VALU_DEP_2)
	v_cmpx_ne_u16_e32 0, v0
	s_cbranch_execz .LBB294_251
; %bb.244:                              ;   in Loop: Header=BB294_16 Depth=1
	v_cmp_ne_u16_e64 s1, 0x80, v0
	v_mov_b32_e32 v0, 0x8000
	scratch_store_b32 off, v0, s32 offset:408 ; 4-byte Folded Spill
	s_and_saveexec_b32 s21, s1
	s_cbranch_execz .LBB294_250
; %bb.245:                              ;   in Loop: Header=BB294_16 Depth=1
	v_and_b32_e32 v2, 0x7f, v32
	v_mov_b32_e32 v0, 0x7c01
	s_mov_b32 s22, exec_lo
	scratch_store_b32 off, v0, s32 offset:408 ; 4-byte Folded Spill
	v_cmpx_ne_u32_e32 0x7f, v2
	s_cbranch_execz .LBB294_249
; %bb.246:                              ;   in Loop: Header=BB294_16 Depth=1
	v_and_b32_e32 v0, 7, v32
	v_lshrrev_b32_e32 v1, 3, v2
	s_mov_b32 s23, exec_lo
	v_cmpx_gt_u32_e32 8, v2
; %bb.247:                              ;   in Loop: Header=BB294_16 Depth=1
	s_delay_alu instid0(VALU_DEP_3) | instskip(NEXT) | instid1(VALU_DEP_1)
	v_clz_i32_u32_e32 v0, v0
	v_min_u32_e32 v2, 32, v0
	s_delay_alu instid0(VALU_DEP_1) | instskip(NEXT) | instid1(VALU_DEP_1)
	v_subrev_nc_u32_e32 v0, 28, v2
	v_lshlrev_b64_e32 v[0:1], v0, v[8:9]
	v_sub_nc_u32_e32 v1, 29, v2
	s_delay_alu instid0(VALU_DEP_2)
	v_and_b32_e32 v0, 7, v0
; %bb.248:                              ;   in Loop: Header=BB294_16 Depth=1
	s_wait_alu 0xfffe
	s_or_b32 exec_lo, exec_lo, s23
	v_lshlrev_b32_e32 v2, 8, v32
	v_lshl_add_u32 v1, v1, 10, 0x2000
	v_lshlrev_b32_e32 v0, 7, v0
	s_delay_alu instid0(VALU_DEP_3) | instskip(NEXT) | instid1(VALU_DEP_3)
	v_and_b32_e32 v2, 0x8000, v2
	v_and_b32_e32 v1, 0xfc00, v1
	s_delay_alu instid0(VALU_DEP_1)
	v_or3_b32 v0, v2, v1, v0
	scratch_store_b32 off, v0, s32 offset:408 ; 4-byte Folded Spill
.LBB294_249:                            ;   in Loop: Header=BB294_16 Depth=1
	s_wait_alu 0xfffe
	s_or_b32 exec_lo, exec_lo, s22
.LBB294_250:                            ;   in Loop: Header=BB294_16 Depth=1
	s_wait_alu 0xfffe
	s_or_b32 exec_lo, exec_lo, s21
.LBB294_251:                            ;   in Loop: Header=BB294_16 Depth=1
	s_wait_alu 0xfffe
	s_or_b32 exec_lo, exec_lo, s20
	v_lshrrev_b16 v8, 8, v8
	v_dual_mov_b32 v131, 0 :: v_dual_mov_b32 v132, 0
	s_mov_b32 s20, exec_lo
	s_delay_alu instid0(VALU_DEP_2)
	v_cmpx_ne_u16_e32 0, v8
	s_cbranch_execz .LBB294_259
; %bb.252:                              ;   in Loop: Header=BB294_16 Depth=1
	v_bfrev_b32_e32 v132, 1
	s_mov_b32 s21, exec_lo
	v_cmpx_ne_u16_e32 0x80, v8
	s_cbranch_execz .LBB294_258
; %bb.253:                              ;   in Loop: Header=BB294_16 Depth=1
	v_and_b32_e32 v0, 0xffff, v8
	v_mov_b32_e32 v132, 0x7c010000
	s_mov_b32 s22, exec_lo
	s_delay_alu instid0(VALU_DEP_2) | instskip(NEXT) | instid1(VALU_DEP_1)
	v_and_b32_e32 v3, 0x7f, v0
	v_cmpx_ne_u32_e32 0x7f, v3
	s_cbranch_execz .LBB294_257
; %bb.254:                              ;   in Loop: Header=BB294_16 Depth=1
	v_and_b32_e32 v1, 7, v0
	v_lshrrev_b32_e32 v2, 3, v3
	s_mov_b32 s23, exec_lo
	v_cmpx_gt_u32_e32 8, v3
; %bb.255:                              ;   in Loop: Header=BB294_16 Depth=1
	s_delay_alu instid0(VALU_DEP_3) | instskip(NEXT) | instid1(VALU_DEP_1)
	v_clz_i32_u32_e32 v1, v1
	v_min_u32_e32 v3, 32, v1
	s_delay_alu instid0(VALU_DEP_1) | instskip(NEXT) | instid1(VALU_DEP_1)
	v_subrev_nc_u32_e32 v1, 28, v3
	v_lshlrev_b64_e32 v[1:2], v1, v[8:9]
	v_sub_nc_u32_e32 v2, 29, v3
	s_delay_alu instid0(VALU_DEP_2)
	v_and_b32_e32 v1, 7, v1
; %bb.256:                              ;   in Loop: Header=BB294_16 Depth=1
	s_wait_alu 0xfffe
	s_or_b32 exec_lo, exec_lo, s23
	v_lshlrev_b32_e32 v0, 8, v0
	v_lshl_add_u32 v2, v2, 10, 0x2000
	v_lshlrev_b32_e32 v1, 23, v1
	s_delay_alu instid0(VALU_DEP_2) | instskip(NEXT) | instid1(VALU_DEP_1)
	v_and_or_b32 v0, 0x8000, v0, v2
	v_lshl_or_b32 v132, v0, 16, v1
.LBB294_257:                            ;   in Loop: Header=BB294_16 Depth=1
	s_wait_alu 0xfffe
	s_or_b32 exec_lo, exec_lo, s22
.LBB294_258:                            ;   in Loop: Header=BB294_16 Depth=1
	s_wait_alu 0xfffe
	s_or_b32 exec_lo, exec_lo, s21
.LBB294_259:                            ;   in Loop: Header=BB294_16 Depth=1
	s_wait_alu 0xfffe
	s_or_b32 exec_lo, exec_lo, s20
	v_lshrrev_b32_e32 v8, 16, v32
	s_mov_b32 s20, exec_lo
	s_delay_alu instid0(VALU_DEP_1) | instskip(NEXT) | instid1(VALU_DEP_1)
	v_and_b32_e32 v0, 0xff, v8
	v_cmpx_ne_u16_e32 0, v0
	s_cbranch_execz .LBB294_267
; %bb.260:                              ;   in Loop: Header=BB294_16 Depth=1
	v_mov_b32_e32 v131, 0x8000
	s_mov_b32 s21, exec_lo
	v_cmpx_ne_u16_e32 0x80, v0
	s_cbranch_execz .LBB294_266
; %bb.261:                              ;   in Loop: Header=BB294_16 Depth=1
	v_bfe_u32 v2, v32, 16, 7
	v_mov_b32_e32 v131, 0x7c01
	s_mov_b32 s22, exec_lo
	s_delay_alu instid0(VALU_DEP_2)
	v_cmpx_ne_u32_e32 0x7f, v2
	s_cbranch_execz .LBB294_265
; %bb.262:                              ;   in Loop: Header=BB294_16 Depth=1
	v_and_b32_e32 v0, 7, v8
	v_lshrrev_b32_e32 v1, 3, v2
	s_mov_b32 s23, exec_lo
	v_cmpx_gt_u32_e32 8, v2
; %bb.263:                              ;   in Loop: Header=BB294_16 Depth=1
	s_delay_alu instid0(VALU_DEP_3) | instskip(NEXT) | instid1(VALU_DEP_1)
	v_clz_i32_u32_e32 v0, v0
	v_min_u32_e32 v2, 32, v0
	s_delay_alu instid0(VALU_DEP_1) | instskip(NEXT) | instid1(VALU_DEP_1)
	v_subrev_nc_u32_e32 v0, 28, v2
	v_lshlrev_b64_e32 v[0:1], v0, v[8:9]
	v_sub_nc_u32_e32 v1, 29, v2
	s_delay_alu instid0(VALU_DEP_2)
	v_and_b32_e32 v0, 7, v0
; %bb.264:                              ;   in Loop: Header=BB294_16 Depth=1
	s_wait_alu 0xfffe
	s_or_b32 exec_lo, exec_lo, s23
	v_lshlrev_b32_e32 v2, 8, v8
	v_lshl_add_u32 v1, v1, 10, 0x2000
	v_lshlrev_b32_e32 v0, 7, v0
	s_delay_alu instid0(VALU_DEP_3) | instskip(NEXT) | instid1(VALU_DEP_3)
	v_and_b32_e32 v2, 0x8000, v2
	v_and_b32_e32 v1, 0xfc00, v1
	s_delay_alu instid0(VALU_DEP_1)
	v_or3_b32 v131, v2, v1, v0
.LBB294_265:                            ;   in Loop: Header=BB294_16 Depth=1
	s_wait_alu 0xfffe
	s_or_b32 exec_lo, exec_lo, s22
.LBB294_266:                            ;   in Loop: Header=BB294_16 Depth=1
	s_wait_alu 0xfffe
	s_or_b32 exec_lo, exec_lo, s21
.LBB294_267:                            ;   in Loop: Header=BB294_16 Depth=1
	s_wait_alu 0xfffe
	s_or_b32 exec_lo, exec_lo, s20
	v_dual_mov_b32 v134, 0 :: v_dual_mov_b32 v133, 0
	s_mov_b32 s20, exec_lo
	v_cmpx_lt_u64_e64 s[10:11], v[31:32]
	s_cbranch_execz .LBB294_275
; %bb.268:                              ;   in Loop: Header=BB294_16 Depth=1
	v_lshrrev_b32_e32 v8, 24, v32
	v_bfrev_b32_e32 v133, 1
	s_mov_b32 s21, exec_lo
	s_delay_alu instid0(VALU_DEP_2)
	v_cmpx_ne_u32_e32 0x80, v8
	s_cbranch_execz .LBB294_274
; %bb.269:                              ;   in Loop: Header=BB294_16 Depth=1
	v_and_b32_e32 v2, 0x7f, v8
	v_mov_b32_e32 v133, 0x7c010000
	s_mov_b32 s22, exec_lo
	s_delay_alu instid0(VALU_DEP_2)
	v_cmpx_ne_u32_e32 0x7f, v2
	s_cbranch_execz .LBB294_273
; %bb.270:                              ;   in Loop: Header=BB294_16 Depth=1
	v_and_b32_e32 v0, 7, v8
	v_lshrrev_b32_e32 v1, 3, v2
	s_mov_b32 s23, exec_lo
	v_cmpx_gt_u32_e32 8, v2
; %bb.271:                              ;   in Loop: Header=BB294_16 Depth=1
	s_delay_alu instid0(VALU_DEP_3) | instskip(NEXT) | instid1(VALU_DEP_1)
	v_clz_i32_u32_e32 v0, v0
	v_min_u32_e32 v2, 32, v0
	s_delay_alu instid0(VALU_DEP_1) | instskip(NEXT) | instid1(VALU_DEP_1)
	v_subrev_nc_u32_e32 v0, 28, v2
	v_lshlrev_b64_e32 v[0:1], v0, v[8:9]
	v_sub_nc_u32_e32 v1, 29, v2
	s_delay_alu instid0(VALU_DEP_2)
	v_and_b32_e32 v0, 7, v0
; %bb.272:                              ;   in Loop: Header=BB294_16 Depth=1
	s_wait_alu 0xfffe
	s_or_b32 exec_lo, exec_lo, s23
	v_lshlrev_b32_e32 v2, 8, v8
	v_lshl_add_u32 v1, v1, 10, 0x2000
	v_lshlrev_b32_e32 v0, 23, v0
	s_delay_alu instid0(VALU_DEP_2) | instskip(NEXT) | instid1(VALU_DEP_1)
	v_and_or_b32 v1, 0x8000, v2, v1
	v_lshl_or_b32 v133, v1, 16, v0
.LBB294_273:                            ;   in Loop: Header=BB294_16 Depth=1
	s_wait_alu 0xfffe
	s_or_b32 exec_lo, exec_lo, s22
.LBB294_274:                            ;   in Loop: Header=BB294_16 Depth=1
	s_wait_alu 0xfffe
	s_or_b32 exec_lo, exec_lo, s21
.LBB294_275:                            ;   in Loop: Header=BB294_16 Depth=1
	s_wait_alu 0xfffe
	s_or_b32 exec_lo, exec_lo, s20
	flat_load_b64 v[31:32], v[28:29] offset:1024
	s_mov_b32 s20, exec_lo
	s_wait_loadcnt_dscnt 0x0
	v_and_b32_e32 v0, 0xff, v31
	s_delay_alu instid0(VALU_DEP_1)
	v_cmpx_ne_u16_e32 0, v0
	s_cbranch_execz .LBB294_283
; %bb.276:                              ;   in Loop: Header=BB294_16 Depth=1
	v_mov_b32_e32 v134, 0x8000
	s_mov_b32 s21, exec_lo
	v_cmpx_ne_u16_e32 0x80, v0
	s_cbranch_execz .LBB294_282
; %bb.277:                              ;   in Loop: Header=BB294_16 Depth=1
	v_and_b32_e32 v2, 0x7f, v31
	v_mov_b32_e32 v134, 0x7c01
	s_mov_b32 s22, exec_lo
	s_delay_alu instid0(VALU_DEP_2)
	v_cmpx_ne_u32_e32 0x7f, v2
	s_cbranch_execz .LBB294_281
; %bb.278:                              ;   in Loop: Header=BB294_16 Depth=1
	v_and_b32_e32 v0, 7, v31
	v_lshrrev_b32_e32 v1, 3, v2
	s_mov_b32 s23, exec_lo
	v_cmpx_gt_u32_e32 8, v2
; %bb.279:                              ;   in Loop: Header=BB294_16 Depth=1
	s_delay_alu instid0(VALU_DEP_3) | instskip(NEXT) | instid1(VALU_DEP_1)
	v_clz_i32_u32_e32 v0, v0
	v_min_u32_e32 v2, 32, v0
	s_delay_alu instid0(VALU_DEP_1) | instskip(NEXT) | instid1(VALU_DEP_1)
	v_subrev_nc_u32_e32 v0, 28, v2
	v_lshlrev_b64_e32 v[0:1], v0, v[31:32]
	v_sub_nc_u32_e32 v1, 29, v2
	s_delay_alu instid0(VALU_DEP_2)
	v_and_b32_e32 v0, 7, v0
; %bb.280:                              ;   in Loop: Header=BB294_16 Depth=1
	s_wait_alu 0xfffe
	s_or_b32 exec_lo, exec_lo, s23
	v_lshlrev_b32_e32 v2, 8, v31
	v_lshl_add_u32 v1, v1, 10, 0x2000
	v_lshlrev_b32_e32 v0, 7, v0
	s_delay_alu instid0(VALU_DEP_3) | instskip(NEXT) | instid1(VALU_DEP_3)
	v_and_b32_e32 v2, 0x8000, v2
	v_and_b32_e32 v1, 0xfc00, v1
	s_delay_alu instid0(VALU_DEP_1)
	v_or3_b32 v134, v2, v1, v0
.LBB294_281:                            ;   in Loop: Header=BB294_16 Depth=1
	s_wait_alu 0xfffe
	s_or_b32 exec_lo, exec_lo, s22
.LBB294_282:                            ;   in Loop: Header=BB294_16 Depth=1
	s_wait_alu 0xfffe
	s_or_b32 exec_lo, exec_lo, s21
.LBB294_283:                            ;   in Loop: Header=BB294_16 Depth=1
	s_wait_alu 0xfffe
	s_or_b32 exec_lo, exec_lo, s20
	v_lshrrev_b16 v8, 8, v31
	v_dual_mov_b32 v144, 0 :: v_dual_mov_b32 v135, 0
	s_mov_b32 s20, exec_lo
	s_delay_alu instid0(VALU_DEP_2)
	v_cmpx_ne_u16_e32 0, v8
	s_cbranch_execz .LBB294_291
; %bb.284:                              ;   in Loop: Header=BB294_16 Depth=1
	v_bfrev_b32_e32 v135, 1
	s_mov_b32 s21, exec_lo
	v_cmpx_ne_u16_e32 0x80, v8
	s_cbranch_execz .LBB294_290
; %bb.285:                              ;   in Loop: Header=BB294_16 Depth=1
	v_and_b32_e32 v0, 0xffff, v8
	v_mov_b32_e32 v135, 0x7c010000
	s_mov_b32 s22, exec_lo
	s_delay_alu instid0(VALU_DEP_2) | instskip(NEXT) | instid1(VALU_DEP_1)
	v_and_b32_e32 v3, 0x7f, v0
	v_cmpx_ne_u32_e32 0x7f, v3
	s_cbranch_execz .LBB294_289
; %bb.286:                              ;   in Loop: Header=BB294_16 Depth=1
	v_and_b32_e32 v1, 7, v0
	v_lshrrev_b32_e32 v2, 3, v3
	s_mov_b32 s23, exec_lo
	v_cmpx_gt_u32_e32 8, v3
; %bb.287:                              ;   in Loop: Header=BB294_16 Depth=1
	s_delay_alu instid0(VALU_DEP_3) | instskip(NEXT) | instid1(VALU_DEP_1)
	v_clz_i32_u32_e32 v1, v1
	v_min_u32_e32 v3, 32, v1
	s_delay_alu instid0(VALU_DEP_1) | instskip(NEXT) | instid1(VALU_DEP_1)
	v_subrev_nc_u32_e32 v1, 28, v3
	v_lshlrev_b64_e32 v[1:2], v1, v[8:9]
	v_sub_nc_u32_e32 v2, 29, v3
	s_delay_alu instid0(VALU_DEP_2)
	v_and_b32_e32 v1, 7, v1
; %bb.288:                              ;   in Loop: Header=BB294_16 Depth=1
	s_wait_alu 0xfffe
	s_or_b32 exec_lo, exec_lo, s23
	v_lshlrev_b32_e32 v0, 8, v0
	v_lshl_add_u32 v2, v2, 10, 0x2000
	v_lshlrev_b32_e32 v1, 23, v1
	s_delay_alu instid0(VALU_DEP_2) | instskip(NEXT) | instid1(VALU_DEP_1)
	v_and_or_b32 v0, 0x8000, v0, v2
	v_lshl_or_b32 v135, v0, 16, v1
.LBB294_289:                            ;   in Loop: Header=BB294_16 Depth=1
	s_wait_alu 0xfffe
	s_or_b32 exec_lo, exec_lo, s22
.LBB294_290:                            ;   in Loop: Header=BB294_16 Depth=1
	s_wait_alu 0xfffe
	s_or_b32 exec_lo, exec_lo, s21
.LBB294_291:                            ;   in Loop: Header=BB294_16 Depth=1
	s_wait_alu 0xfffe
	s_or_b32 exec_lo, exec_lo, s20
	v_lshrrev_b32_e32 v8, 16, v31
	s_mov_b32 s20, exec_lo
	s_delay_alu instid0(VALU_DEP_1) | instskip(NEXT) | instid1(VALU_DEP_1)
	v_and_b32_e32 v0, 0xff, v8
	v_cmpx_ne_u16_e32 0, v0
	s_cbranch_execz .LBB294_299
; %bb.292:                              ;   in Loop: Header=BB294_16 Depth=1
	v_mov_b32_e32 v144, 0x8000
	s_mov_b32 s21, exec_lo
	v_cmpx_ne_u16_e32 0x80, v0
	s_cbranch_execz .LBB294_298
; %bb.293:                              ;   in Loop: Header=BB294_16 Depth=1
	v_bfe_u32 v2, v31, 16, 7
	v_mov_b32_e32 v144, 0x7c01
	s_mov_b32 s22, exec_lo
	s_delay_alu instid0(VALU_DEP_2)
	v_cmpx_ne_u32_e32 0x7f, v2
	s_cbranch_execz .LBB294_297
; %bb.294:                              ;   in Loop: Header=BB294_16 Depth=1
	v_and_b32_e32 v0, 7, v8
	v_lshrrev_b32_e32 v1, 3, v2
	s_mov_b32 s23, exec_lo
	v_cmpx_gt_u32_e32 8, v2
; %bb.295:                              ;   in Loop: Header=BB294_16 Depth=1
	s_delay_alu instid0(VALU_DEP_3) | instskip(NEXT) | instid1(VALU_DEP_1)
	v_clz_i32_u32_e32 v0, v0
	v_min_u32_e32 v2, 32, v0
	s_delay_alu instid0(VALU_DEP_1) | instskip(NEXT) | instid1(VALU_DEP_1)
	v_subrev_nc_u32_e32 v0, 28, v2
	v_lshlrev_b64_e32 v[0:1], v0, v[8:9]
	v_sub_nc_u32_e32 v1, 29, v2
	s_delay_alu instid0(VALU_DEP_2)
	v_and_b32_e32 v0, 7, v0
; %bb.296:                              ;   in Loop: Header=BB294_16 Depth=1
	s_wait_alu 0xfffe
	s_or_b32 exec_lo, exec_lo, s23
	v_lshlrev_b32_e32 v2, 8, v8
	v_lshl_add_u32 v1, v1, 10, 0x2000
	v_lshlrev_b32_e32 v0, 7, v0
	s_delay_alu instid0(VALU_DEP_3) | instskip(NEXT) | instid1(VALU_DEP_3)
	v_and_b32_e32 v2, 0x8000, v2
	v_and_b32_e32 v1, 0xfc00, v1
	s_delay_alu instid0(VALU_DEP_1)
	v_or3_b32 v144, v2, v1, v0
.LBB294_297:                            ;   in Loop: Header=BB294_16 Depth=1
	s_wait_alu 0xfffe
	s_or_b32 exec_lo, exec_lo, s22
.LBB294_298:                            ;   in Loop: Header=BB294_16 Depth=1
	s_wait_alu 0xfffe
	s_or_b32 exec_lo, exec_lo, s21
.LBB294_299:                            ;   in Loop: Header=BB294_16 Depth=1
	s_wait_alu 0xfffe
	s_or_b32 exec_lo, exec_lo, s20
	v_dual_mov_b32 v145, 0 :: v_dual_mov_b32 v146, 0
	s_mov_b32 s20, exec_lo
	v_cmpx_lt_u32_e32 0xffffff, v31
	s_cbranch_execz .LBB294_307
; %bb.300:                              ;   in Loop: Header=BB294_16 Depth=1
	v_lshrrev_b32_e32 v8, 24, v31
	v_bfrev_b32_e32 v146, 1
	s_mov_b32 s21, exec_lo
	s_delay_alu instid0(VALU_DEP_2)
	v_cmpx_ne_u32_e32 0x80, v8
	s_cbranch_execz .LBB294_306
; %bb.301:                              ;   in Loop: Header=BB294_16 Depth=1
	v_and_b32_e32 v2, 0x7f, v8
	v_mov_b32_e32 v146, 0x7c010000
	s_mov_b32 s22, exec_lo
	s_delay_alu instid0(VALU_DEP_2)
	v_cmpx_ne_u32_e32 0x7f, v2
	s_cbranch_execz .LBB294_305
; %bb.302:                              ;   in Loop: Header=BB294_16 Depth=1
	v_and_b32_e32 v0, 7, v8
	v_lshrrev_b32_e32 v1, 3, v2
	s_mov_b32 s23, exec_lo
	v_cmpx_gt_u32_e32 8, v2
; %bb.303:                              ;   in Loop: Header=BB294_16 Depth=1
	s_delay_alu instid0(VALU_DEP_3) | instskip(NEXT) | instid1(VALU_DEP_1)
	v_clz_i32_u32_e32 v0, v0
	v_min_u32_e32 v2, 32, v0
	s_delay_alu instid0(VALU_DEP_1) | instskip(NEXT) | instid1(VALU_DEP_1)
	v_subrev_nc_u32_e32 v0, 28, v2
	v_lshlrev_b64_e32 v[0:1], v0, v[8:9]
	v_sub_nc_u32_e32 v1, 29, v2
	s_delay_alu instid0(VALU_DEP_2)
	v_and_b32_e32 v0, 7, v0
; %bb.304:                              ;   in Loop: Header=BB294_16 Depth=1
	s_wait_alu 0xfffe
	s_or_b32 exec_lo, exec_lo, s23
	v_lshlrev_b32_e32 v2, 8, v8
	v_lshl_add_u32 v1, v1, 10, 0x2000
	v_lshlrev_b32_e32 v0, 23, v0
	s_delay_alu instid0(VALU_DEP_2) | instskip(NEXT) | instid1(VALU_DEP_1)
	v_and_or_b32 v1, 0x8000, v2, v1
	v_lshl_or_b32 v146, v1, 16, v0
.LBB294_305:                            ;   in Loop: Header=BB294_16 Depth=1
	s_wait_alu 0xfffe
	s_or_b32 exec_lo, exec_lo, s22
.LBB294_306:                            ;   in Loop: Header=BB294_16 Depth=1
	s_wait_alu 0xfffe
	s_or_b32 exec_lo, exec_lo, s21
.LBB294_307:                            ;   in Loop: Header=BB294_16 Depth=1
	s_wait_alu 0xfffe
	s_or_b32 exec_lo, exec_lo, s20
	v_and_b32_e32 v0, 0xff, v32
	v_mov_b32_e32 v8, v32
	s_mov_b32 s20, exec_lo
	s_delay_alu instid0(VALU_DEP_2)
	v_cmpx_ne_u16_e32 0, v0
	s_cbranch_execz .LBB294_315
; %bb.308:                              ;   in Loop: Header=BB294_16 Depth=1
	v_mov_b32_e32 v145, 0x8000
	s_mov_b32 s21, exec_lo
	v_cmpx_ne_u16_e32 0x80, v0
	s_cbranch_execz .LBB294_314
; %bb.309:                              ;   in Loop: Header=BB294_16 Depth=1
	v_and_b32_e32 v2, 0x7f, v32
	v_mov_b32_e32 v145, 0x7c01
	s_mov_b32 s22, exec_lo
	s_delay_alu instid0(VALU_DEP_2)
	v_cmpx_ne_u32_e32 0x7f, v2
	s_cbranch_execz .LBB294_313
; %bb.310:                              ;   in Loop: Header=BB294_16 Depth=1
	v_and_b32_e32 v0, 7, v32
	v_lshrrev_b32_e32 v1, 3, v2
	s_mov_b32 s23, exec_lo
	v_cmpx_gt_u32_e32 8, v2
; %bb.311:                              ;   in Loop: Header=BB294_16 Depth=1
	s_delay_alu instid0(VALU_DEP_3) | instskip(NEXT) | instid1(VALU_DEP_1)
	v_clz_i32_u32_e32 v0, v0
	v_min_u32_e32 v2, 32, v0
	s_delay_alu instid0(VALU_DEP_1) | instskip(NEXT) | instid1(VALU_DEP_1)
	v_subrev_nc_u32_e32 v0, 28, v2
	v_lshlrev_b64_e32 v[0:1], v0, v[8:9]
	v_sub_nc_u32_e32 v1, 29, v2
	s_delay_alu instid0(VALU_DEP_2)
	v_and_b32_e32 v0, 7, v0
; %bb.312:                              ;   in Loop: Header=BB294_16 Depth=1
	s_wait_alu 0xfffe
	s_or_b32 exec_lo, exec_lo, s23
	v_lshlrev_b32_e32 v2, 8, v32
	v_lshl_add_u32 v1, v1, 10, 0x2000
	v_lshlrev_b32_e32 v0, 7, v0
	s_delay_alu instid0(VALU_DEP_3) | instskip(NEXT) | instid1(VALU_DEP_3)
	v_and_b32_e32 v2, 0x8000, v2
	v_and_b32_e32 v1, 0xfc00, v1
	s_delay_alu instid0(VALU_DEP_1)
	v_or3_b32 v145, v2, v1, v0
.LBB294_313:                            ;   in Loop: Header=BB294_16 Depth=1
	s_wait_alu 0xfffe
	s_or_b32 exec_lo, exec_lo, s22
.LBB294_314:                            ;   in Loop: Header=BB294_16 Depth=1
	s_wait_alu 0xfffe
	s_or_b32 exec_lo, exec_lo, s21
.LBB294_315:                            ;   in Loop: Header=BB294_16 Depth=1
	s_wait_alu 0xfffe
	s_or_b32 exec_lo, exec_lo, s20
	v_lshrrev_b16 v8, 8, v8
	v_dual_mov_b32 v147, 0 :: v_dual_mov_b32 v148, 0
	s_mov_b32 s20, exec_lo
	s_delay_alu instid0(VALU_DEP_2)
	v_cmpx_ne_u16_e32 0, v8
	s_cbranch_execz .LBB294_323
; %bb.316:                              ;   in Loop: Header=BB294_16 Depth=1
	v_bfrev_b32_e32 v148, 1
	s_mov_b32 s21, exec_lo
	v_cmpx_ne_u16_e32 0x80, v8
	s_cbranch_execz .LBB294_322
; %bb.317:                              ;   in Loop: Header=BB294_16 Depth=1
	v_and_b32_e32 v0, 0xffff, v8
	v_mov_b32_e32 v148, 0x7c010000
	s_mov_b32 s22, exec_lo
	s_delay_alu instid0(VALU_DEP_2) | instskip(NEXT) | instid1(VALU_DEP_1)
	v_and_b32_e32 v3, 0x7f, v0
	v_cmpx_ne_u32_e32 0x7f, v3
	s_cbranch_execz .LBB294_321
; %bb.318:                              ;   in Loop: Header=BB294_16 Depth=1
	v_and_b32_e32 v1, 7, v0
	v_lshrrev_b32_e32 v2, 3, v3
	s_mov_b32 s23, exec_lo
	v_cmpx_gt_u32_e32 8, v3
; %bb.319:                              ;   in Loop: Header=BB294_16 Depth=1
	s_delay_alu instid0(VALU_DEP_3) | instskip(NEXT) | instid1(VALU_DEP_1)
	v_clz_i32_u32_e32 v1, v1
	v_min_u32_e32 v3, 32, v1
	s_delay_alu instid0(VALU_DEP_1) | instskip(NEXT) | instid1(VALU_DEP_1)
	v_subrev_nc_u32_e32 v1, 28, v3
	v_lshlrev_b64_e32 v[1:2], v1, v[8:9]
	v_sub_nc_u32_e32 v2, 29, v3
	s_delay_alu instid0(VALU_DEP_2)
	v_and_b32_e32 v1, 7, v1
; %bb.320:                              ;   in Loop: Header=BB294_16 Depth=1
	s_wait_alu 0xfffe
	s_or_b32 exec_lo, exec_lo, s23
	v_lshlrev_b32_e32 v0, 8, v0
	v_lshl_add_u32 v2, v2, 10, 0x2000
	v_lshlrev_b32_e32 v1, 23, v1
	s_delay_alu instid0(VALU_DEP_2) | instskip(NEXT) | instid1(VALU_DEP_1)
	v_and_or_b32 v0, 0x8000, v0, v2
	v_lshl_or_b32 v148, v0, 16, v1
.LBB294_321:                            ;   in Loop: Header=BB294_16 Depth=1
	s_wait_alu 0xfffe
	s_or_b32 exec_lo, exec_lo, s22
.LBB294_322:                            ;   in Loop: Header=BB294_16 Depth=1
	s_wait_alu 0xfffe
	s_or_b32 exec_lo, exec_lo, s21
.LBB294_323:                            ;   in Loop: Header=BB294_16 Depth=1
	s_wait_alu 0xfffe
	s_or_b32 exec_lo, exec_lo, s20
	v_lshrrev_b32_e32 v8, 16, v32
	s_mov_b32 s20, exec_lo
	s_delay_alu instid0(VALU_DEP_1) | instskip(NEXT) | instid1(VALU_DEP_1)
	v_and_b32_e32 v0, 0xff, v8
	v_cmpx_ne_u16_e32 0, v0
	s_cbranch_execz .LBB294_331
; %bb.324:                              ;   in Loop: Header=BB294_16 Depth=1
	v_mov_b32_e32 v147, 0x8000
	s_mov_b32 s21, exec_lo
	v_cmpx_ne_u16_e32 0x80, v0
	s_cbranch_execz .LBB294_330
; %bb.325:                              ;   in Loop: Header=BB294_16 Depth=1
	v_bfe_u32 v2, v32, 16, 7
	v_mov_b32_e32 v147, 0x7c01
	s_mov_b32 s22, exec_lo
	s_delay_alu instid0(VALU_DEP_2)
	v_cmpx_ne_u32_e32 0x7f, v2
	s_cbranch_execz .LBB294_329
; %bb.326:                              ;   in Loop: Header=BB294_16 Depth=1
	v_and_b32_e32 v0, 7, v8
	v_lshrrev_b32_e32 v1, 3, v2
	s_mov_b32 s23, exec_lo
	v_cmpx_gt_u32_e32 8, v2
; %bb.327:                              ;   in Loop: Header=BB294_16 Depth=1
	s_delay_alu instid0(VALU_DEP_3) | instskip(NEXT) | instid1(VALU_DEP_1)
	v_clz_i32_u32_e32 v0, v0
	v_min_u32_e32 v2, 32, v0
	s_delay_alu instid0(VALU_DEP_1) | instskip(NEXT) | instid1(VALU_DEP_1)
	v_subrev_nc_u32_e32 v0, 28, v2
	v_lshlrev_b64_e32 v[0:1], v0, v[8:9]
	v_sub_nc_u32_e32 v1, 29, v2
	s_delay_alu instid0(VALU_DEP_2)
	v_and_b32_e32 v0, 7, v0
; %bb.328:                              ;   in Loop: Header=BB294_16 Depth=1
	s_wait_alu 0xfffe
	s_or_b32 exec_lo, exec_lo, s23
	v_lshlrev_b32_e32 v2, 8, v8
	v_lshl_add_u32 v1, v1, 10, 0x2000
	v_lshlrev_b32_e32 v0, 7, v0
	s_delay_alu instid0(VALU_DEP_3) | instskip(NEXT) | instid1(VALU_DEP_3)
	v_and_b32_e32 v2, 0x8000, v2
	v_and_b32_e32 v1, 0xfc00, v1
	s_delay_alu instid0(VALU_DEP_1)
	v_or3_b32 v147, v2, v1, v0
.LBB294_329:                            ;   in Loop: Header=BB294_16 Depth=1
	s_wait_alu 0xfffe
	s_or_b32 exec_lo, exec_lo, s22
.LBB294_330:                            ;   in Loop: Header=BB294_16 Depth=1
	s_wait_alu 0xfffe
	s_or_b32 exec_lo, exec_lo, s21
.LBB294_331:                            ;   in Loop: Header=BB294_16 Depth=1
	s_wait_alu 0xfffe
	s_or_b32 exec_lo, exec_lo, s20
	v_dual_mov_b32 v150, 0 :: v_dual_mov_b32 v149, 0
	s_mov_b32 s20, exec_lo
	v_cmpx_lt_u64_e64 s[10:11], v[31:32]
	s_cbranch_execz .LBB294_339
; %bb.332:                              ;   in Loop: Header=BB294_16 Depth=1
	v_lshrrev_b32_e32 v8, 24, v32
	v_bfrev_b32_e32 v149, 1
	s_mov_b32 s21, exec_lo
	s_delay_alu instid0(VALU_DEP_2)
	v_cmpx_ne_u32_e32 0x80, v8
	s_cbranch_execz .LBB294_338
; %bb.333:                              ;   in Loop: Header=BB294_16 Depth=1
	v_and_b32_e32 v2, 0x7f, v8
	v_mov_b32_e32 v149, 0x7c010000
	s_mov_b32 s22, exec_lo
	s_delay_alu instid0(VALU_DEP_2)
	v_cmpx_ne_u32_e32 0x7f, v2
	s_cbranch_execz .LBB294_337
; %bb.334:                              ;   in Loop: Header=BB294_16 Depth=1
	v_and_b32_e32 v0, 7, v8
	v_lshrrev_b32_e32 v1, 3, v2
	s_mov_b32 s23, exec_lo
	v_cmpx_gt_u32_e32 8, v2
; %bb.335:                              ;   in Loop: Header=BB294_16 Depth=1
	s_delay_alu instid0(VALU_DEP_3) | instskip(NEXT) | instid1(VALU_DEP_1)
	v_clz_i32_u32_e32 v0, v0
	v_min_u32_e32 v2, 32, v0
	s_delay_alu instid0(VALU_DEP_1) | instskip(NEXT) | instid1(VALU_DEP_1)
	v_subrev_nc_u32_e32 v0, 28, v2
	v_lshlrev_b64_e32 v[0:1], v0, v[8:9]
	v_sub_nc_u32_e32 v1, 29, v2
	s_delay_alu instid0(VALU_DEP_2)
	v_and_b32_e32 v0, 7, v0
; %bb.336:                              ;   in Loop: Header=BB294_16 Depth=1
	s_wait_alu 0xfffe
	s_or_b32 exec_lo, exec_lo, s23
	v_lshlrev_b32_e32 v2, 8, v8
	v_lshl_add_u32 v1, v1, 10, 0x2000
	v_lshlrev_b32_e32 v0, 23, v0
	s_delay_alu instid0(VALU_DEP_2) | instskip(NEXT) | instid1(VALU_DEP_1)
	v_and_or_b32 v1, 0x8000, v2, v1
	v_lshl_or_b32 v149, v1, 16, v0
.LBB294_337:                            ;   in Loop: Header=BB294_16 Depth=1
	s_wait_alu 0xfffe
	s_or_b32 exec_lo, exec_lo, s22
.LBB294_338:                            ;   in Loop: Header=BB294_16 Depth=1
	s_wait_alu 0xfffe
	s_or_b32 exec_lo, exec_lo, s21
.LBB294_339:                            ;   in Loop: Header=BB294_16 Depth=1
	s_wait_alu 0xfffe
	s_or_b32 exec_lo, exec_lo, s20
	flat_load_b64 v[31:32], v[28:29] offset:1032
	s_mov_b32 s20, exec_lo
	s_wait_loadcnt_dscnt 0x0
	v_and_b32_e32 v0, 0xff, v31
	s_delay_alu instid0(VALU_DEP_1)
	v_cmpx_ne_u16_e32 0, v0
	s_cbranch_execz .LBB294_347
; %bb.340:                              ;   in Loop: Header=BB294_16 Depth=1
	v_mov_b32_e32 v150, 0x8000
	s_mov_b32 s21, exec_lo
	v_cmpx_ne_u16_e32 0x80, v0
	s_cbranch_execz .LBB294_346
; %bb.341:                              ;   in Loop: Header=BB294_16 Depth=1
	v_and_b32_e32 v2, 0x7f, v31
	v_mov_b32_e32 v150, 0x7c01
	s_mov_b32 s22, exec_lo
	s_delay_alu instid0(VALU_DEP_2)
	v_cmpx_ne_u32_e32 0x7f, v2
	s_cbranch_execz .LBB294_345
; %bb.342:                              ;   in Loop: Header=BB294_16 Depth=1
	v_and_b32_e32 v0, 7, v31
	v_lshrrev_b32_e32 v1, 3, v2
	s_mov_b32 s23, exec_lo
	v_cmpx_gt_u32_e32 8, v2
; %bb.343:                              ;   in Loop: Header=BB294_16 Depth=1
	s_delay_alu instid0(VALU_DEP_3) | instskip(NEXT) | instid1(VALU_DEP_1)
	v_clz_i32_u32_e32 v0, v0
	v_min_u32_e32 v2, 32, v0
	s_delay_alu instid0(VALU_DEP_1) | instskip(NEXT) | instid1(VALU_DEP_1)
	v_subrev_nc_u32_e32 v0, 28, v2
	v_lshlrev_b64_e32 v[0:1], v0, v[31:32]
	v_sub_nc_u32_e32 v1, 29, v2
	s_delay_alu instid0(VALU_DEP_2)
	v_and_b32_e32 v0, 7, v0
; %bb.344:                              ;   in Loop: Header=BB294_16 Depth=1
	s_wait_alu 0xfffe
	s_or_b32 exec_lo, exec_lo, s23
	v_lshlrev_b32_e32 v2, 8, v31
	v_lshl_add_u32 v1, v1, 10, 0x2000
	v_lshlrev_b32_e32 v0, 7, v0
	s_delay_alu instid0(VALU_DEP_3) | instskip(NEXT) | instid1(VALU_DEP_3)
	v_and_b32_e32 v2, 0x8000, v2
	v_and_b32_e32 v1, 0xfc00, v1
	s_delay_alu instid0(VALU_DEP_1)
	v_or3_b32 v150, v2, v1, v0
.LBB294_345:                            ;   in Loop: Header=BB294_16 Depth=1
	s_wait_alu 0xfffe
	s_or_b32 exec_lo, exec_lo, s22
.LBB294_346:                            ;   in Loop: Header=BB294_16 Depth=1
	s_wait_alu 0xfffe
	s_or_b32 exec_lo, exec_lo, s21
.LBB294_347:                            ;   in Loop: Header=BB294_16 Depth=1
	s_wait_alu 0xfffe
	s_or_b32 exec_lo, exec_lo, s20
	v_lshrrev_b16 v8, 8, v31
	v_dual_mov_b32 v160, 0 :: v_dual_mov_b32 v151, 0
	s_mov_b32 s20, exec_lo
	s_delay_alu instid0(VALU_DEP_2)
	v_cmpx_ne_u16_e32 0, v8
	s_cbranch_execz .LBB294_355
; %bb.348:                              ;   in Loop: Header=BB294_16 Depth=1
	v_bfrev_b32_e32 v151, 1
	s_mov_b32 s21, exec_lo
	v_cmpx_ne_u16_e32 0x80, v8
	s_cbranch_execz .LBB294_354
; %bb.349:                              ;   in Loop: Header=BB294_16 Depth=1
	v_and_b32_e32 v0, 0xffff, v8
	v_mov_b32_e32 v151, 0x7c010000
	s_mov_b32 s22, exec_lo
	s_delay_alu instid0(VALU_DEP_2) | instskip(NEXT) | instid1(VALU_DEP_1)
	v_and_b32_e32 v3, 0x7f, v0
	v_cmpx_ne_u32_e32 0x7f, v3
	s_cbranch_execz .LBB294_353
; %bb.350:                              ;   in Loop: Header=BB294_16 Depth=1
	v_and_b32_e32 v1, 7, v0
	v_lshrrev_b32_e32 v2, 3, v3
	s_mov_b32 s23, exec_lo
	v_cmpx_gt_u32_e32 8, v3
; %bb.351:                              ;   in Loop: Header=BB294_16 Depth=1
	s_delay_alu instid0(VALU_DEP_3) | instskip(NEXT) | instid1(VALU_DEP_1)
	v_clz_i32_u32_e32 v1, v1
	v_min_u32_e32 v3, 32, v1
	s_delay_alu instid0(VALU_DEP_1) | instskip(NEXT) | instid1(VALU_DEP_1)
	v_subrev_nc_u32_e32 v1, 28, v3
	v_lshlrev_b64_e32 v[1:2], v1, v[8:9]
	v_sub_nc_u32_e32 v2, 29, v3
	s_delay_alu instid0(VALU_DEP_2)
	v_and_b32_e32 v1, 7, v1
; %bb.352:                              ;   in Loop: Header=BB294_16 Depth=1
	s_wait_alu 0xfffe
	s_or_b32 exec_lo, exec_lo, s23
	v_lshlrev_b32_e32 v0, 8, v0
	v_lshl_add_u32 v2, v2, 10, 0x2000
	v_lshlrev_b32_e32 v1, 23, v1
	s_delay_alu instid0(VALU_DEP_2) | instskip(NEXT) | instid1(VALU_DEP_1)
	v_and_or_b32 v0, 0x8000, v0, v2
	v_lshl_or_b32 v151, v0, 16, v1
.LBB294_353:                            ;   in Loop: Header=BB294_16 Depth=1
	s_wait_alu 0xfffe
	s_or_b32 exec_lo, exec_lo, s22
.LBB294_354:                            ;   in Loop: Header=BB294_16 Depth=1
	s_wait_alu 0xfffe
	s_or_b32 exec_lo, exec_lo, s21
.LBB294_355:                            ;   in Loop: Header=BB294_16 Depth=1
	s_wait_alu 0xfffe
	s_or_b32 exec_lo, exec_lo, s20
	v_lshrrev_b32_e32 v8, 16, v31
	s_mov_b32 s20, exec_lo
	s_delay_alu instid0(VALU_DEP_1) | instskip(NEXT) | instid1(VALU_DEP_1)
	v_and_b32_e32 v0, 0xff, v8
	v_cmpx_ne_u16_e32 0, v0
	s_cbranch_execz .LBB294_363
; %bb.356:                              ;   in Loop: Header=BB294_16 Depth=1
	v_mov_b32_e32 v160, 0x8000
	s_mov_b32 s21, exec_lo
	v_cmpx_ne_u16_e32 0x80, v0
	s_cbranch_execz .LBB294_362
; %bb.357:                              ;   in Loop: Header=BB294_16 Depth=1
	v_bfe_u32 v2, v31, 16, 7
	v_mov_b32_e32 v160, 0x7c01
	s_mov_b32 s22, exec_lo
	s_delay_alu instid0(VALU_DEP_2)
	v_cmpx_ne_u32_e32 0x7f, v2
	s_cbranch_execz .LBB294_361
; %bb.358:                              ;   in Loop: Header=BB294_16 Depth=1
	v_and_b32_e32 v0, 7, v8
	v_lshrrev_b32_e32 v1, 3, v2
	s_mov_b32 s23, exec_lo
	v_cmpx_gt_u32_e32 8, v2
; %bb.359:                              ;   in Loop: Header=BB294_16 Depth=1
	s_delay_alu instid0(VALU_DEP_3) | instskip(NEXT) | instid1(VALU_DEP_1)
	v_clz_i32_u32_e32 v0, v0
	v_min_u32_e32 v2, 32, v0
	s_delay_alu instid0(VALU_DEP_1) | instskip(NEXT) | instid1(VALU_DEP_1)
	v_subrev_nc_u32_e32 v0, 28, v2
	v_lshlrev_b64_e32 v[0:1], v0, v[8:9]
	v_sub_nc_u32_e32 v1, 29, v2
	s_delay_alu instid0(VALU_DEP_2)
	v_and_b32_e32 v0, 7, v0
; %bb.360:                              ;   in Loop: Header=BB294_16 Depth=1
	s_wait_alu 0xfffe
	s_or_b32 exec_lo, exec_lo, s23
	v_lshlrev_b32_e32 v2, 8, v8
	v_lshl_add_u32 v1, v1, 10, 0x2000
	v_lshlrev_b32_e32 v0, 7, v0
	s_delay_alu instid0(VALU_DEP_3) | instskip(NEXT) | instid1(VALU_DEP_3)
	v_and_b32_e32 v2, 0x8000, v2
	v_and_b32_e32 v1, 0xfc00, v1
	s_delay_alu instid0(VALU_DEP_1)
	v_or3_b32 v160, v2, v1, v0
.LBB294_361:                            ;   in Loop: Header=BB294_16 Depth=1
	s_wait_alu 0xfffe
	s_or_b32 exec_lo, exec_lo, s22
.LBB294_362:                            ;   in Loop: Header=BB294_16 Depth=1
	s_wait_alu 0xfffe
	s_or_b32 exec_lo, exec_lo, s21
.LBB294_363:                            ;   in Loop: Header=BB294_16 Depth=1
	s_wait_alu 0xfffe
	s_or_b32 exec_lo, exec_lo, s20
	v_dual_mov_b32 v161, 0 :: v_dual_mov_b32 v162, 0
	s_mov_b32 s20, exec_lo
	v_cmpx_lt_u32_e32 0xffffff, v31
	s_cbranch_execz .LBB294_371
; %bb.364:                              ;   in Loop: Header=BB294_16 Depth=1
	v_lshrrev_b32_e32 v8, 24, v31
	v_bfrev_b32_e32 v162, 1
	s_mov_b32 s21, exec_lo
	s_delay_alu instid0(VALU_DEP_2)
	v_cmpx_ne_u32_e32 0x80, v8
	s_cbranch_execz .LBB294_370
; %bb.365:                              ;   in Loop: Header=BB294_16 Depth=1
	v_and_b32_e32 v2, 0x7f, v8
	v_mov_b32_e32 v162, 0x7c010000
	s_mov_b32 s22, exec_lo
	s_delay_alu instid0(VALU_DEP_2)
	v_cmpx_ne_u32_e32 0x7f, v2
	s_cbranch_execz .LBB294_369
; %bb.366:                              ;   in Loop: Header=BB294_16 Depth=1
	v_and_b32_e32 v0, 7, v8
	v_lshrrev_b32_e32 v1, 3, v2
	s_mov_b32 s23, exec_lo
	v_cmpx_gt_u32_e32 8, v2
; %bb.367:                              ;   in Loop: Header=BB294_16 Depth=1
	s_delay_alu instid0(VALU_DEP_3) | instskip(NEXT) | instid1(VALU_DEP_1)
	v_clz_i32_u32_e32 v0, v0
	v_min_u32_e32 v2, 32, v0
	s_delay_alu instid0(VALU_DEP_1) | instskip(NEXT) | instid1(VALU_DEP_1)
	v_subrev_nc_u32_e32 v0, 28, v2
	v_lshlrev_b64_e32 v[0:1], v0, v[8:9]
	v_sub_nc_u32_e32 v1, 29, v2
	s_delay_alu instid0(VALU_DEP_2)
	v_and_b32_e32 v0, 7, v0
; %bb.368:                              ;   in Loop: Header=BB294_16 Depth=1
	s_wait_alu 0xfffe
	s_or_b32 exec_lo, exec_lo, s23
	v_lshlrev_b32_e32 v2, 8, v8
	v_lshl_add_u32 v1, v1, 10, 0x2000
	v_lshlrev_b32_e32 v0, 23, v0
	s_delay_alu instid0(VALU_DEP_2) | instskip(NEXT) | instid1(VALU_DEP_1)
	v_and_or_b32 v1, 0x8000, v2, v1
	v_lshl_or_b32 v162, v1, 16, v0
.LBB294_369:                            ;   in Loop: Header=BB294_16 Depth=1
	s_wait_alu 0xfffe
	s_or_b32 exec_lo, exec_lo, s22
.LBB294_370:                            ;   in Loop: Header=BB294_16 Depth=1
	s_wait_alu 0xfffe
	s_or_b32 exec_lo, exec_lo, s21
.LBB294_371:                            ;   in Loop: Header=BB294_16 Depth=1
	s_wait_alu 0xfffe
	s_or_b32 exec_lo, exec_lo, s20
	v_and_b32_e32 v0, 0xff, v32
	v_mov_b32_e32 v8, v32
	s_mov_b32 s20, exec_lo
	s_delay_alu instid0(VALU_DEP_2)
	v_cmpx_ne_u16_e32 0, v0
	s_cbranch_execz .LBB294_379
; %bb.372:                              ;   in Loop: Header=BB294_16 Depth=1
	v_mov_b32_e32 v161, 0x8000
	s_mov_b32 s21, exec_lo
	v_cmpx_ne_u16_e32 0x80, v0
	s_cbranch_execz .LBB294_378
; %bb.373:                              ;   in Loop: Header=BB294_16 Depth=1
	v_and_b32_e32 v2, 0x7f, v32
	v_mov_b32_e32 v161, 0x7c01
	s_mov_b32 s22, exec_lo
	s_delay_alu instid0(VALU_DEP_2)
	v_cmpx_ne_u32_e32 0x7f, v2
	s_cbranch_execz .LBB294_377
; %bb.374:                              ;   in Loop: Header=BB294_16 Depth=1
	v_and_b32_e32 v0, 7, v32
	v_lshrrev_b32_e32 v1, 3, v2
	s_mov_b32 s23, exec_lo
	v_cmpx_gt_u32_e32 8, v2
; %bb.375:                              ;   in Loop: Header=BB294_16 Depth=1
	s_delay_alu instid0(VALU_DEP_3) | instskip(NEXT) | instid1(VALU_DEP_1)
	v_clz_i32_u32_e32 v0, v0
	v_min_u32_e32 v2, 32, v0
	s_delay_alu instid0(VALU_DEP_1) | instskip(NEXT) | instid1(VALU_DEP_1)
	v_subrev_nc_u32_e32 v0, 28, v2
	v_lshlrev_b64_e32 v[0:1], v0, v[8:9]
	v_sub_nc_u32_e32 v1, 29, v2
	s_delay_alu instid0(VALU_DEP_2)
	v_and_b32_e32 v0, 7, v0
; %bb.376:                              ;   in Loop: Header=BB294_16 Depth=1
	s_wait_alu 0xfffe
	s_or_b32 exec_lo, exec_lo, s23
	v_lshlrev_b32_e32 v2, 8, v32
	v_lshl_add_u32 v1, v1, 10, 0x2000
	v_lshlrev_b32_e32 v0, 7, v0
	s_delay_alu instid0(VALU_DEP_3) | instskip(NEXT) | instid1(VALU_DEP_3)
	v_and_b32_e32 v2, 0x8000, v2
	v_and_b32_e32 v1, 0xfc00, v1
	s_delay_alu instid0(VALU_DEP_1)
	v_or3_b32 v161, v2, v1, v0
.LBB294_377:                            ;   in Loop: Header=BB294_16 Depth=1
	s_wait_alu 0xfffe
	s_or_b32 exec_lo, exec_lo, s22
.LBB294_378:                            ;   in Loop: Header=BB294_16 Depth=1
	s_wait_alu 0xfffe
	s_or_b32 exec_lo, exec_lo, s21
.LBB294_379:                            ;   in Loop: Header=BB294_16 Depth=1
	s_wait_alu 0xfffe
	s_or_b32 exec_lo, exec_lo, s20
	v_lshrrev_b16 v8, 8, v8
	v_dual_mov_b32 v163, 0 :: v_dual_mov_b32 v164, 0
	s_mov_b32 s20, exec_lo
	s_delay_alu instid0(VALU_DEP_2)
	v_cmpx_ne_u16_e32 0, v8
	s_cbranch_execz .LBB294_387
; %bb.380:                              ;   in Loop: Header=BB294_16 Depth=1
	v_bfrev_b32_e32 v164, 1
	s_mov_b32 s21, exec_lo
	v_cmpx_ne_u16_e32 0x80, v8
	s_cbranch_execz .LBB294_386
; %bb.381:                              ;   in Loop: Header=BB294_16 Depth=1
	v_and_b32_e32 v0, 0xffff, v8
	v_mov_b32_e32 v164, 0x7c010000
	s_mov_b32 s22, exec_lo
	s_delay_alu instid0(VALU_DEP_2) | instskip(NEXT) | instid1(VALU_DEP_1)
	v_and_b32_e32 v3, 0x7f, v0
	v_cmpx_ne_u32_e32 0x7f, v3
	s_cbranch_execz .LBB294_385
; %bb.382:                              ;   in Loop: Header=BB294_16 Depth=1
	v_and_b32_e32 v1, 7, v0
	v_lshrrev_b32_e32 v2, 3, v3
	s_mov_b32 s23, exec_lo
	v_cmpx_gt_u32_e32 8, v3
; %bb.383:                              ;   in Loop: Header=BB294_16 Depth=1
	s_delay_alu instid0(VALU_DEP_3) | instskip(NEXT) | instid1(VALU_DEP_1)
	v_clz_i32_u32_e32 v1, v1
	v_min_u32_e32 v3, 32, v1
	s_delay_alu instid0(VALU_DEP_1) | instskip(NEXT) | instid1(VALU_DEP_1)
	v_subrev_nc_u32_e32 v1, 28, v3
	v_lshlrev_b64_e32 v[1:2], v1, v[8:9]
	v_sub_nc_u32_e32 v2, 29, v3
	s_delay_alu instid0(VALU_DEP_2)
	v_and_b32_e32 v1, 7, v1
; %bb.384:                              ;   in Loop: Header=BB294_16 Depth=1
	s_wait_alu 0xfffe
	s_or_b32 exec_lo, exec_lo, s23
	v_lshlrev_b32_e32 v0, 8, v0
	v_lshl_add_u32 v2, v2, 10, 0x2000
	v_lshlrev_b32_e32 v1, 23, v1
	s_delay_alu instid0(VALU_DEP_2) | instskip(NEXT) | instid1(VALU_DEP_1)
	v_and_or_b32 v0, 0x8000, v0, v2
	v_lshl_or_b32 v164, v0, 16, v1
.LBB294_385:                            ;   in Loop: Header=BB294_16 Depth=1
	s_wait_alu 0xfffe
	s_or_b32 exec_lo, exec_lo, s22
.LBB294_386:                            ;   in Loop: Header=BB294_16 Depth=1
	s_wait_alu 0xfffe
	s_or_b32 exec_lo, exec_lo, s21
.LBB294_387:                            ;   in Loop: Header=BB294_16 Depth=1
	s_wait_alu 0xfffe
	s_or_b32 exec_lo, exec_lo, s20
	v_lshrrev_b32_e32 v8, 16, v32
	s_mov_b32 s20, exec_lo
	s_delay_alu instid0(VALU_DEP_1) | instskip(NEXT) | instid1(VALU_DEP_1)
	v_and_b32_e32 v0, 0xff, v8
	v_cmpx_ne_u16_e32 0, v0
	s_cbranch_execz .LBB294_395
; %bb.388:                              ;   in Loop: Header=BB294_16 Depth=1
	v_mov_b32_e32 v163, 0x8000
	s_mov_b32 s21, exec_lo
	v_cmpx_ne_u16_e32 0x80, v0
	s_cbranch_execz .LBB294_394
; %bb.389:                              ;   in Loop: Header=BB294_16 Depth=1
	v_bfe_u32 v2, v32, 16, 7
	v_mov_b32_e32 v163, 0x7c01
	s_mov_b32 s22, exec_lo
	s_delay_alu instid0(VALU_DEP_2)
	v_cmpx_ne_u32_e32 0x7f, v2
	s_cbranch_execz .LBB294_393
; %bb.390:                              ;   in Loop: Header=BB294_16 Depth=1
	v_and_b32_e32 v0, 7, v8
	v_lshrrev_b32_e32 v1, 3, v2
	s_mov_b32 s23, exec_lo
	v_cmpx_gt_u32_e32 8, v2
; %bb.391:                              ;   in Loop: Header=BB294_16 Depth=1
	s_delay_alu instid0(VALU_DEP_3) | instskip(NEXT) | instid1(VALU_DEP_1)
	v_clz_i32_u32_e32 v0, v0
	v_min_u32_e32 v2, 32, v0
	s_delay_alu instid0(VALU_DEP_1) | instskip(NEXT) | instid1(VALU_DEP_1)
	v_subrev_nc_u32_e32 v0, 28, v2
	v_lshlrev_b64_e32 v[0:1], v0, v[8:9]
	v_sub_nc_u32_e32 v1, 29, v2
	s_delay_alu instid0(VALU_DEP_2)
	v_and_b32_e32 v0, 7, v0
; %bb.392:                              ;   in Loop: Header=BB294_16 Depth=1
	s_wait_alu 0xfffe
	s_or_b32 exec_lo, exec_lo, s23
	v_lshlrev_b32_e32 v2, 8, v8
	v_lshl_add_u32 v1, v1, 10, 0x2000
	v_lshlrev_b32_e32 v0, 7, v0
	s_delay_alu instid0(VALU_DEP_3) | instskip(NEXT) | instid1(VALU_DEP_3)
	v_and_b32_e32 v2, 0x8000, v2
	v_and_b32_e32 v1, 0xfc00, v1
	s_delay_alu instid0(VALU_DEP_1)
	v_or3_b32 v163, v2, v1, v0
.LBB294_393:                            ;   in Loop: Header=BB294_16 Depth=1
	s_wait_alu 0xfffe
	s_or_b32 exec_lo, exec_lo, s22
.LBB294_394:                            ;   in Loop: Header=BB294_16 Depth=1
	s_wait_alu 0xfffe
	s_or_b32 exec_lo, exec_lo, s21
.LBB294_395:                            ;   in Loop: Header=BB294_16 Depth=1
	s_wait_alu 0xfffe
	s_or_b32 exec_lo, exec_lo, s20
	v_dual_mov_b32 v166, 0 :: v_dual_mov_b32 v165, 0
	s_mov_b32 s20, exec_lo
	v_cmpx_lt_u64_e64 s[10:11], v[31:32]
	s_cbranch_execz .LBB294_403
; %bb.396:                              ;   in Loop: Header=BB294_16 Depth=1
	v_lshrrev_b32_e32 v8, 24, v32
	v_bfrev_b32_e32 v165, 1
	s_mov_b32 s21, exec_lo
	s_delay_alu instid0(VALU_DEP_2)
	v_cmpx_ne_u32_e32 0x80, v8
	s_cbranch_execz .LBB294_402
; %bb.397:                              ;   in Loop: Header=BB294_16 Depth=1
	v_and_b32_e32 v2, 0x7f, v8
	v_mov_b32_e32 v165, 0x7c010000
	s_mov_b32 s22, exec_lo
	s_delay_alu instid0(VALU_DEP_2)
	v_cmpx_ne_u32_e32 0x7f, v2
	s_cbranch_execz .LBB294_401
; %bb.398:                              ;   in Loop: Header=BB294_16 Depth=1
	v_and_b32_e32 v0, 7, v8
	v_lshrrev_b32_e32 v1, 3, v2
	s_mov_b32 s23, exec_lo
	v_cmpx_gt_u32_e32 8, v2
; %bb.399:                              ;   in Loop: Header=BB294_16 Depth=1
	s_delay_alu instid0(VALU_DEP_3) | instskip(NEXT) | instid1(VALU_DEP_1)
	v_clz_i32_u32_e32 v0, v0
	v_min_u32_e32 v2, 32, v0
	s_delay_alu instid0(VALU_DEP_1) | instskip(NEXT) | instid1(VALU_DEP_1)
	v_subrev_nc_u32_e32 v0, 28, v2
	v_lshlrev_b64_e32 v[0:1], v0, v[8:9]
	v_sub_nc_u32_e32 v1, 29, v2
	s_delay_alu instid0(VALU_DEP_2)
	v_and_b32_e32 v0, 7, v0
; %bb.400:                              ;   in Loop: Header=BB294_16 Depth=1
	s_wait_alu 0xfffe
	s_or_b32 exec_lo, exec_lo, s23
	v_lshlrev_b32_e32 v2, 8, v8
	v_lshl_add_u32 v1, v1, 10, 0x2000
	v_lshlrev_b32_e32 v0, 23, v0
	s_delay_alu instid0(VALU_DEP_2) | instskip(NEXT) | instid1(VALU_DEP_1)
	v_and_or_b32 v1, 0x8000, v2, v1
	v_lshl_or_b32 v165, v1, 16, v0
.LBB294_401:                            ;   in Loop: Header=BB294_16 Depth=1
	s_wait_alu 0xfffe
	s_or_b32 exec_lo, exec_lo, s22
.LBB294_402:                            ;   in Loop: Header=BB294_16 Depth=1
	s_wait_alu 0xfffe
	s_or_b32 exec_lo, exec_lo, s21
.LBB294_403:                            ;   in Loop: Header=BB294_16 Depth=1
	s_wait_alu 0xfffe
	s_or_b32 exec_lo, exec_lo, s20
	flat_load_b64 v[31:32], v[28:29] offset:1536
	s_mov_b32 s20, exec_lo
	s_wait_loadcnt_dscnt 0x0
	v_and_b32_e32 v0, 0xff, v31
	s_delay_alu instid0(VALU_DEP_1)
	v_cmpx_ne_u16_e32 0, v0
	s_cbranch_execz .LBB294_411
; %bb.404:                              ;   in Loop: Header=BB294_16 Depth=1
	v_mov_b32_e32 v166, 0x8000
	s_mov_b32 s21, exec_lo
	v_cmpx_ne_u16_e32 0x80, v0
	s_cbranch_execz .LBB294_410
; %bb.405:                              ;   in Loop: Header=BB294_16 Depth=1
	v_and_b32_e32 v2, 0x7f, v31
	v_mov_b32_e32 v166, 0x7c01
	s_mov_b32 s22, exec_lo
	s_delay_alu instid0(VALU_DEP_2)
	v_cmpx_ne_u32_e32 0x7f, v2
	s_cbranch_execz .LBB294_409
; %bb.406:                              ;   in Loop: Header=BB294_16 Depth=1
	v_and_b32_e32 v0, 7, v31
	v_lshrrev_b32_e32 v1, 3, v2
	s_mov_b32 s23, exec_lo
	v_cmpx_gt_u32_e32 8, v2
; %bb.407:                              ;   in Loop: Header=BB294_16 Depth=1
	s_delay_alu instid0(VALU_DEP_3) | instskip(NEXT) | instid1(VALU_DEP_1)
	v_clz_i32_u32_e32 v0, v0
	v_min_u32_e32 v2, 32, v0
	s_delay_alu instid0(VALU_DEP_1) | instskip(NEXT) | instid1(VALU_DEP_1)
	v_subrev_nc_u32_e32 v0, 28, v2
	v_lshlrev_b64_e32 v[0:1], v0, v[31:32]
	v_sub_nc_u32_e32 v1, 29, v2
	s_delay_alu instid0(VALU_DEP_2)
	v_and_b32_e32 v0, 7, v0
; %bb.408:                              ;   in Loop: Header=BB294_16 Depth=1
	s_wait_alu 0xfffe
	s_or_b32 exec_lo, exec_lo, s23
	v_lshlrev_b32_e32 v2, 8, v31
	v_lshl_add_u32 v1, v1, 10, 0x2000
	v_lshlrev_b32_e32 v0, 7, v0
	s_delay_alu instid0(VALU_DEP_3) | instskip(NEXT) | instid1(VALU_DEP_3)
	v_and_b32_e32 v2, 0x8000, v2
	v_and_b32_e32 v1, 0xfc00, v1
	s_delay_alu instid0(VALU_DEP_1)
	v_or3_b32 v166, v2, v1, v0
.LBB294_409:                            ;   in Loop: Header=BB294_16 Depth=1
	s_wait_alu 0xfffe
	s_or_b32 exec_lo, exec_lo, s22
.LBB294_410:                            ;   in Loop: Header=BB294_16 Depth=1
	s_wait_alu 0xfffe
	s_or_b32 exec_lo, exec_lo, s21
.LBB294_411:                            ;   in Loop: Header=BB294_16 Depth=1
	s_wait_alu 0xfffe
	s_or_b32 exec_lo, exec_lo, s20
	v_lshrrev_b16 v8, 8, v31
	v_dual_mov_b32 v176, 0 :: v_dual_mov_b32 v167, 0
	s_mov_b32 s20, exec_lo
	s_delay_alu instid0(VALU_DEP_2)
	v_cmpx_ne_u16_e32 0, v8
	s_cbranch_execz .LBB294_419
; %bb.412:                              ;   in Loop: Header=BB294_16 Depth=1
	v_bfrev_b32_e32 v167, 1
	s_mov_b32 s21, exec_lo
	v_cmpx_ne_u16_e32 0x80, v8
	s_cbranch_execz .LBB294_418
; %bb.413:                              ;   in Loop: Header=BB294_16 Depth=1
	v_and_b32_e32 v0, 0xffff, v8
	v_mov_b32_e32 v167, 0x7c010000
	s_mov_b32 s22, exec_lo
	s_delay_alu instid0(VALU_DEP_2) | instskip(NEXT) | instid1(VALU_DEP_1)
	v_and_b32_e32 v3, 0x7f, v0
	v_cmpx_ne_u32_e32 0x7f, v3
	s_cbranch_execz .LBB294_417
; %bb.414:                              ;   in Loop: Header=BB294_16 Depth=1
	v_and_b32_e32 v1, 7, v0
	v_lshrrev_b32_e32 v2, 3, v3
	s_mov_b32 s23, exec_lo
	v_cmpx_gt_u32_e32 8, v3
; %bb.415:                              ;   in Loop: Header=BB294_16 Depth=1
	s_delay_alu instid0(VALU_DEP_3) | instskip(NEXT) | instid1(VALU_DEP_1)
	v_clz_i32_u32_e32 v1, v1
	v_min_u32_e32 v3, 32, v1
	s_delay_alu instid0(VALU_DEP_1) | instskip(NEXT) | instid1(VALU_DEP_1)
	v_subrev_nc_u32_e32 v1, 28, v3
	v_lshlrev_b64_e32 v[1:2], v1, v[8:9]
	v_sub_nc_u32_e32 v2, 29, v3
	s_delay_alu instid0(VALU_DEP_2)
	v_and_b32_e32 v1, 7, v1
; %bb.416:                              ;   in Loop: Header=BB294_16 Depth=1
	s_wait_alu 0xfffe
	s_or_b32 exec_lo, exec_lo, s23
	v_lshlrev_b32_e32 v0, 8, v0
	v_lshl_add_u32 v2, v2, 10, 0x2000
	v_lshlrev_b32_e32 v1, 23, v1
	s_delay_alu instid0(VALU_DEP_2) | instskip(NEXT) | instid1(VALU_DEP_1)
	v_and_or_b32 v0, 0x8000, v0, v2
	v_lshl_or_b32 v167, v0, 16, v1
.LBB294_417:                            ;   in Loop: Header=BB294_16 Depth=1
	s_wait_alu 0xfffe
	s_or_b32 exec_lo, exec_lo, s22
.LBB294_418:                            ;   in Loop: Header=BB294_16 Depth=1
	s_wait_alu 0xfffe
	s_or_b32 exec_lo, exec_lo, s21
.LBB294_419:                            ;   in Loop: Header=BB294_16 Depth=1
	s_wait_alu 0xfffe
	s_or_b32 exec_lo, exec_lo, s20
	v_lshrrev_b32_e32 v8, 16, v31
	s_mov_b32 s20, exec_lo
	s_delay_alu instid0(VALU_DEP_1) | instskip(NEXT) | instid1(VALU_DEP_1)
	v_and_b32_e32 v0, 0xff, v8
	v_cmpx_ne_u16_e32 0, v0
	s_cbranch_execz .LBB294_427
; %bb.420:                              ;   in Loop: Header=BB294_16 Depth=1
	v_mov_b32_e32 v176, 0x8000
	s_mov_b32 s21, exec_lo
	v_cmpx_ne_u16_e32 0x80, v0
	s_cbranch_execz .LBB294_426
; %bb.421:                              ;   in Loop: Header=BB294_16 Depth=1
	v_bfe_u32 v2, v31, 16, 7
	v_mov_b32_e32 v176, 0x7c01
	s_mov_b32 s22, exec_lo
	s_delay_alu instid0(VALU_DEP_2)
	v_cmpx_ne_u32_e32 0x7f, v2
	s_cbranch_execz .LBB294_425
; %bb.422:                              ;   in Loop: Header=BB294_16 Depth=1
	v_and_b32_e32 v0, 7, v8
	v_lshrrev_b32_e32 v1, 3, v2
	s_mov_b32 s23, exec_lo
	v_cmpx_gt_u32_e32 8, v2
; %bb.423:                              ;   in Loop: Header=BB294_16 Depth=1
	s_delay_alu instid0(VALU_DEP_3) | instskip(NEXT) | instid1(VALU_DEP_1)
	v_clz_i32_u32_e32 v0, v0
	v_min_u32_e32 v2, 32, v0
	s_delay_alu instid0(VALU_DEP_1) | instskip(NEXT) | instid1(VALU_DEP_1)
	v_subrev_nc_u32_e32 v0, 28, v2
	v_lshlrev_b64_e32 v[0:1], v0, v[8:9]
	v_sub_nc_u32_e32 v1, 29, v2
	s_delay_alu instid0(VALU_DEP_2)
	v_and_b32_e32 v0, 7, v0
; %bb.424:                              ;   in Loop: Header=BB294_16 Depth=1
	s_wait_alu 0xfffe
	s_or_b32 exec_lo, exec_lo, s23
	v_lshlrev_b32_e32 v2, 8, v8
	v_lshl_add_u32 v1, v1, 10, 0x2000
	v_lshlrev_b32_e32 v0, 7, v0
	s_delay_alu instid0(VALU_DEP_3) | instskip(NEXT) | instid1(VALU_DEP_3)
	v_and_b32_e32 v2, 0x8000, v2
	v_and_b32_e32 v1, 0xfc00, v1
	s_delay_alu instid0(VALU_DEP_1)
	v_or3_b32 v176, v2, v1, v0
.LBB294_425:                            ;   in Loop: Header=BB294_16 Depth=1
	s_wait_alu 0xfffe
	s_or_b32 exec_lo, exec_lo, s22
.LBB294_426:                            ;   in Loop: Header=BB294_16 Depth=1
	s_wait_alu 0xfffe
	s_or_b32 exec_lo, exec_lo, s21
.LBB294_427:                            ;   in Loop: Header=BB294_16 Depth=1
	s_wait_alu 0xfffe
	s_or_b32 exec_lo, exec_lo, s20
	v_dual_mov_b32 v177, 0 :: v_dual_mov_b32 v178, 0
	s_mov_b32 s20, exec_lo
	v_cmpx_lt_u32_e32 0xffffff, v31
	s_cbranch_execz .LBB294_435
; %bb.428:                              ;   in Loop: Header=BB294_16 Depth=1
	v_lshrrev_b32_e32 v8, 24, v31
	v_bfrev_b32_e32 v178, 1
	s_mov_b32 s21, exec_lo
	s_delay_alu instid0(VALU_DEP_2)
	v_cmpx_ne_u32_e32 0x80, v8
	s_cbranch_execz .LBB294_434
; %bb.429:                              ;   in Loop: Header=BB294_16 Depth=1
	v_and_b32_e32 v2, 0x7f, v8
	v_mov_b32_e32 v178, 0x7c010000
	s_mov_b32 s22, exec_lo
	s_delay_alu instid0(VALU_DEP_2)
	v_cmpx_ne_u32_e32 0x7f, v2
	s_cbranch_execz .LBB294_433
; %bb.430:                              ;   in Loop: Header=BB294_16 Depth=1
	v_and_b32_e32 v0, 7, v8
	v_lshrrev_b32_e32 v1, 3, v2
	s_mov_b32 s23, exec_lo
	v_cmpx_gt_u32_e32 8, v2
; %bb.431:                              ;   in Loop: Header=BB294_16 Depth=1
	s_delay_alu instid0(VALU_DEP_3) | instskip(NEXT) | instid1(VALU_DEP_1)
	v_clz_i32_u32_e32 v0, v0
	v_min_u32_e32 v2, 32, v0
	s_delay_alu instid0(VALU_DEP_1) | instskip(NEXT) | instid1(VALU_DEP_1)
	v_subrev_nc_u32_e32 v0, 28, v2
	v_lshlrev_b64_e32 v[0:1], v0, v[8:9]
	v_sub_nc_u32_e32 v1, 29, v2
	s_delay_alu instid0(VALU_DEP_2)
	v_and_b32_e32 v0, 7, v0
; %bb.432:                              ;   in Loop: Header=BB294_16 Depth=1
	s_wait_alu 0xfffe
	s_or_b32 exec_lo, exec_lo, s23
	v_lshlrev_b32_e32 v2, 8, v8
	v_lshl_add_u32 v1, v1, 10, 0x2000
	v_lshlrev_b32_e32 v0, 23, v0
	s_delay_alu instid0(VALU_DEP_2) | instskip(NEXT) | instid1(VALU_DEP_1)
	v_and_or_b32 v1, 0x8000, v2, v1
	v_lshl_or_b32 v178, v1, 16, v0
.LBB294_433:                            ;   in Loop: Header=BB294_16 Depth=1
	s_wait_alu 0xfffe
	s_or_b32 exec_lo, exec_lo, s22
.LBB294_434:                            ;   in Loop: Header=BB294_16 Depth=1
	s_wait_alu 0xfffe
	s_or_b32 exec_lo, exec_lo, s21
.LBB294_435:                            ;   in Loop: Header=BB294_16 Depth=1
	s_wait_alu 0xfffe
	s_or_b32 exec_lo, exec_lo, s20
	v_and_b32_e32 v0, 0xff, v32
	v_mov_b32_e32 v8, v32
	s_mov_b32 s20, exec_lo
	s_delay_alu instid0(VALU_DEP_2)
	v_cmpx_ne_u16_e32 0, v0
	s_cbranch_execz .LBB294_443
; %bb.436:                              ;   in Loop: Header=BB294_16 Depth=1
	v_mov_b32_e32 v177, 0x8000
	s_mov_b32 s21, exec_lo
	v_cmpx_ne_u16_e32 0x80, v0
	s_cbranch_execz .LBB294_442
; %bb.437:                              ;   in Loop: Header=BB294_16 Depth=1
	v_and_b32_e32 v2, 0x7f, v32
	v_mov_b32_e32 v177, 0x7c01
	s_mov_b32 s22, exec_lo
	s_delay_alu instid0(VALU_DEP_2)
	v_cmpx_ne_u32_e32 0x7f, v2
	s_cbranch_execz .LBB294_441
; %bb.438:                              ;   in Loop: Header=BB294_16 Depth=1
	v_and_b32_e32 v0, 7, v32
	v_lshrrev_b32_e32 v1, 3, v2
	s_mov_b32 s23, exec_lo
	v_cmpx_gt_u32_e32 8, v2
; %bb.439:                              ;   in Loop: Header=BB294_16 Depth=1
	s_delay_alu instid0(VALU_DEP_3) | instskip(NEXT) | instid1(VALU_DEP_1)
	v_clz_i32_u32_e32 v0, v0
	v_min_u32_e32 v2, 32, v0
	s_delay_alu instid0(VALU_DEP_1) | instskip(NEXT) | instid1(VALU_DEP_1)
	v_subrev_nc_u32_e32 v0, 28, v2
	v_lshlrev_b64_e32 v[0:1], v0, v[8:9]
	v_sub_nc_u32_e32 v1, 29, v2
	s_delay_alu instid0(VALU_DEP_2)
	v_and_b32_e32 v0, 7, v0
; %bb.440:                              ;   in Loop: Header=BB294_16 Depth=1
	s_wait_alu 0xfffe
	s_or_b32 exec_lo, exec_lo, s23
	v_lshlrev_b32_e32 v2, 8, v32
	v_lshl_add_u32 v1, v1, 10, 0x2000
	v_lshlrev_b32_e32 v0, 7, v0
	s_delay_alu instid0(VALU_DEP_3) | instskip(NEXT) | instid1(VALU_DEP_3)
	v_and_b32_e32 v2, 0x8000, v2
	v_and_b32_e32 v1, 0xfc00, v1
	s_delay_alu instid0(VALU_DEP_1)
	v_or3_b32 v177, v2, v1, v0
.LBB294_441:                            ;   in Loop: Header=BB294_16 Depth=1
	s_wait_alu 0xfffe
	s_or_b32 exec_lo, exec_lo, s22
.LBB294_442:                            ;   in Loop: Header=BB294_16 Depth=1
	s_wait_alu 0xfffe
	s_or_b32 exec_lo, exec_lo, s21
.LBB294_443:                            ;   in Loop: Header=BB294_16 Depth=1
	s_wait_alu 0xfffe
	s_or_b32 exec_lo, exec_lo, s20
	v_lshrrev_b16 v8, 8, v8
	v_dual_mov_b32 v179, 0 :: v_dual_mov_b32 v180, 0
	s_mov_b32 s20, exec_lo
	s_delay_alu instid0(VALU_DEP_2)
	v_cmpx_ne_u16_e32 0, v8
	s_cbranch_execz .LBB294_451
; %bb.444:                              ;   in Loop: Header=BB294_16 Depth=1
	v_bfrev_b32_e32 v180, 1
	s_mov_b32 s21, exec_lo
	v_cmpx_ne_u16_e32 0x80, v8
	s_cbranch_execz .LBB294_450
; %bb.445:                              ;   in Loop: Header=BB294_16 Depth=1
	v_and_b32_e32 v0, 0xffff, v8
	v_mov_b32_e32 v180, 0x7c010000
	s_mov_b32 s22, exec_lo
	s_delay_alu instid0(VALU_DEP_2) | instskip(NEXT) | instid1(VALU_DEP_1)
	v_and_b32_e32 v3, 0x7f, v0
	v_cmpx_ne_u32_e32 0x7f, v3
	s_cbranch_execz .LBB294_449
; %bb.446:                              ;   in Loop: Header=BB294_16 Depth=1
	v_and_b32_e32 v1, 7, v0
	v_lshrrev_b32_e32 v2, 3, v3
	s_mov_b32 s23, exec_lo
	v_cmpx_gt_u32_e32 8, v3
; %bb.447:                              ;   in Loop: Header=BB294_16 Depth=1
	s_delay_alu instid0(VALU_DEP_3) | instskip(NEXT) | instid1(VALU_DEP_1)
	v_clz_i32_u32_e32 v1, v1
	v_min_u32_e32 v3, 32, v1
	s_delay_alu instid0(VALU_DEP_1) | instskip(NEXT) | instid1(VALU_DEP_1)
	v_subrev_nc_u32_e32 v1, 28, v3
	v_lshlrev_b64_e32 v[1:2], v1, v[8:9]
	v_sub_nc_u32_e32 v2, 29, v3
	s_delay_alu instid0(VALU_DEP_2)
	v_and_b32_e32 v1, 7, v1
; %bb.448:                              ;   in Loop: Header=BB294_16 Depth=1
	s_wait_alu 0xfffe
	s_or_b32 exec_lo, exec_lo, s23
	v_lshlrev_b32_e32 v0, 8, v0
	v_lshl_add_u32 v2, v2, 10, 0x2000
	v_lshlrev_b32_e32 v1, 23, v1
	s_delay_alu instid0(VALU_DEP_2) | instskip(NEXT) | instid1(VALU_DEP_1)
	v_and_or_b32 v0, 0x8000, v0, v2
	v_lshl_or_b32 v180, v0, 16, v1
.LBB294_449:                            ;   in Loop: Header=BB294_16 Depth=1
	s_wait_alu 0xfffe
	s_or_b32 exec_lo, exec_lo, s22
.LBB294_450:                            ;   in Loop: Header=BB294_16 Depth=1
	s_wait_alu 0xfffe
	s_or_b32 exec_lo, exec_lo, s21
.LBB294_451:                            ;   in Loop: Header=BB294_16 Depth=1
	s_wait_alu 0xfffe
	s_or_b32 exec_lo, exec_lo, s20
	v_lshrrev_b32_e32 v8, 16, v32
	s_mov_b32 s20, exec_lo
	s_delay_alu instid0(VALU_DEP_1) | instskip(NEXT) | instid1(VALU_DEP_1)
	v_and_b32_e32 v0, 0xff, v8
	v_cmpx_ne_u16_e32 0, v0
	s_cbranch_execz .LBB294_459
; %bb.452:                              ;   in Loop: Header=BB294_16 Depth=1
	v_mov_b32_e32 v179, 0x8000
	s_mov_b32 s21, exec_lo
	v_cmpx_ne_u16_e32 0x80, v0
	s_cbranch_execz .LBB294_458
; %bb.453:                              ;   in Loop: Header=BB294_16 Depth=1
	v_bfe_u32 v2, v32, 16, 7
	v_mov_b32_e32 v179, 0x7c01
	s_mov_b32 s22, exec_lo
	s_delay_alu instid0(VALU_DEP_2)
	v_cmpx_ne_u32_e32 0x7f, v2
	s_cbranch_execz .LBB294_457
; %bb.454:                              ;   in Loop: Header=BB294_16 Depth=1
	v_and_b32_e32 v0, 7, v8
	v_lshrrev_b32_e32 v1, 3, v2
	s_mov_b32 s23, exec_lo
	v_cmpx_gt_u32_e32 8, v2
; %bb.455:                              ;   in Loop: Header=BB294_16 Depth=1
	s_delay_alu instid0(VALU_DEP_3) | instskip(NEXT) | instid1(VALU_DEP_1)
	v_clz_i32_u32_e32 v0, v0
	v_min_u32_e32 v2, 32, v0
	s_delay_alu instid0(VALU_DEP_1) | instskip(NEXT) | instid1(VALU_DEP_1)
	v_subrev_nc_u32_e32 v0, 28, v2
	v_lshlrev_b64_e32 v[0:1], v0, v[8:9]
	v_sub_nc_u32_e32 v1, 29, v2
	s_delay_alu instid0(VALU_DEP_2)
	v_and_b32_e32 v0, 7, v0
; %bb.456:                              ;   in Loop: Header=BB294_16 Depth=1
	s_wait_alu 0xfffe
	s_or_b32 exec_lo, exec_lo, s23
	v_lshlrev_b32_e32 v2, 8, v8
	v_lshl_add_u32 v1, v1, 10, 0x2000
	v_lshlrev_b32_e32 v0, 7, v0
	s_delay_alu instid0(VALU_DEP_3) | instskip(NEXT) | instid1(VALU_DEP_3)
	v_and_b32_e32 v2, 0x8000, v2
	v_and_b32_e32 v1, 0xfc00, v1
	s_delay_alu instid0(VALU_DEP_1)
	v_or3_b32 v179, v2, v1, v0
.LBB294_457:                            ;   in Loop: Header=BB294_16 Depth=1
	s_wait_alu 0xfffe
	s_or_b32 exec_lo, exec_lo, s22
.LBB294_458:                            ;   in Loop: Header=BB294_16 Depth=1
	s_wait_alu 0xfffe
	s_or_b32 exec_lo, exec_lo, s21
.LBB294_459:                            ;   in Loop: Header=BB294_16 Depth=1
	s_wait_alu 0xfffe
	s_or_b32 exec_lo, exec_lo, s20
	v_dual_mov_b32 v182, 0 :: v_dual_mov_b32 v181, 0
	s_mov_b32 s20, exec_lo
	v_cmpx_lt_u64_e64 s[10:11], v[31:32]
	s_cbranch_execz .LBB294_467
; %bb.460:                              ;   in Loop: Header=BB294_16 Depth=1
	v_lshrrev_b32_e32 v8, 24, v32
	v_bfrev_b32_e32 v181, 1
	s_mov_b32 s21, exec_lo
	s_delay_alu instid0(VALU_DEP_2)
	v_cmpx_ne_u32_e32 0x80, v8
	s_cbranch_execz .LBB294_466
; %bb.461:                              ;   in Loop: Header=BB294_16 Depth=1
	v_and_b32_e32 v2, 0x7f, v8
	v_mov_b32_e32 v181, 0x7c010000
	s_mov_b32 s22, exec_lo
	s_delay_alu instid0(VALU_DEP_2)
	v_cmpx_ne_u32_e32 0x7f, v2
	s_cbranch_execz .LBB294_465
; %bb.462:                              ;   in Loop: Header=BB294_16 Depth=1
	v_and_b32_e32 v0, 7, v8
	v_lshrrev_b32_e32 v1, 3, v2
	s_mov_b32 s23, exec_lo
	v_cmpx_gt_u32_e32 8, v2
; %bb.463:                              ;   in Loop: Header=BB294_16 Depth=1
	s_delay_alu instid0(VALU_DEP_3) | instskip(NEXT) | instid1(VALU_DEP_1)
	v_clz_i32_u32_e32 v0, v0
	v_min_u32_e32 v2, 32, v0
	s_delay_alu instid0(VALU_DEP_1) | instskip(NEXT) | instid1(VALU_DEP_1)
	v_subrev_nc_u32_e32 v0, 28, v2
	v_lshlrev_b64_e32 v[0:1], v0, v[8:9]
	v_sub_nc_u32_e32 v1, 29, v2
	s_delay_alu instid0(VALU_DEP_2)
	v_and_b32_e32 v0, 7, v0
; %bb.464:                              ;   in Loop: Header=BB294_16 Depth=1
	s_wait_alu 0xfffe
	s_or_b32 exec_lo, exec_lo, s23
	v_lshlrev_b32_e32 v2, 8, v8
	v_lshl_add_u32 v1, v1, 10, 0x2000
	v_lshlrev_b32_e32 v0, 23, v0
	s_delay_alu instid0(VALU_DEP_2) | instskip(NEXT) | instid1(VALU_DEP_1)
	v_and_or_b32 v1, 0x8000, v2, v1
	v_lshl_or_b32 v181, v1, 16, v0
.LBB294_465:                            ;   in Loop: Header=BB294_16 Depth=1
	s_wait_alu 0xfffe
	s_or_b32 exec_lo, exec_lo, s22
.LBB294_466:                            ;   in Loop: Header=BB294_16 Depth=1
	s_wait_alu 0xfffe
	s_or_b32 exec_lo, exec_lo, s21
.LBB294_467:                            ;   in Loop: Header=BB294_16 Depth=1
	s_wait_alu 0xfffe
	s_or_b32 exec_lo, exec_lo, s20
	flat_load_b64 v[31:32], v[28:29] offset:1544
	s_mov_b32 s20, exec_lo
	s_wait_loadcnt_dscnt 0x0
	v_and_b32_e32 v0, 0xff, v31
	s_delay_alu instid0(VALU_DEP_1)
	v_cmpx_ne_u16_e32 0, v0
	s_cbranch_execz .LBB294_475
; %bb.468:                              ;   in Loop: Header=BB294_16 Depth=1
	v_mov_b32_e32 v182, 0x8000
	s_mov_b32 s21, exec_lo
	v_cmpx_ne_u16_e32 0x80, v0
	s_cbranch_execz .LBB294_474
; %bb.469:                              ;   in Loop: Header=BB294_16 Depth=1
	v_and_b32_e32 v2, 0x7f, v31
	v_mov_b32_e32 v182, 0x7c01
	s_mov_b32 s22, exec_lo
	s_delay_alu instid0(VALU_DEP_2)
	v_cmpx_ne_u32_e32 0x7f, v2
	s_cbranch_execz .LBB294_473
; %bb.470:                              ;   in Loop: Header=BB294_16 Depth=1
	v_and_b32_e32 v0, 7, v31
	v_lshrrev_b32_e32 v1, 3, v2
	s_mov_b32 s23, exec_lo
	v_cmpx_gt_u32_e32 8, v2
; %bb.471:                              ;   in Loop: Header=BB294_16 Depth=1
	s_delay_alu instid0(VALU_DEP_3) | instskip(NEXT) | instid1(VALU_DEP_1)
	v_clz_i32_u32_e32 v0, v0
	v_min_u32_e32 v2, 32, v0
	s_delay_alu instid0(VALU_DEP_1) | instskip(NEXT) | instid1(VALU_DEP_1)
	v_subrev_nc_u32_e32 v0, 28, v2
	v_lshlrev_b64_e32 v[0:1], v0, v[31:32]
	v_sub_nc_u32_e32 v1, 29, v2
	s_delay_alu instid0(VALU_DEP_2)
	v_and_b32_e32 v0, 7, v0
; %bb.472:                              ;   in Loop: Header=BB294_16 Depth=1
	s_wait_alu 0xfffe
	s_or_b32 exec_lo, exec_lo, s23
	v_lshlrev_b32_e32 v2, 8, v31
	v_lshl_add_u32 v1, v1, 10, 0x2000
	v_lshlrev_b32_e32 v0, 7, v0
	s_delay_alu instid0(VALU_DEP_3) | instskip(NEXT) | instid1(VALU_DEP_3)
	v_and_b32_e32 v2, 0x8000, v2
	v_and_b32_e32 v1, 0xfc00, v1
	s_delay_alu instid0(VALU_DEP_1)
	v_or3_b32 v182, v2, v1, v0
.LBB294_473:                            ;   in Loop: Header=BB294_16 Depth=1
	s_wait_alu 0xfffe
	s_or_b32 exec_lo, exec_lo, s22
.LBB294_474:                            ;   in Loop: Header=BB294_16 Depth=1
	s_wait_alu 0xfffe
	s_or_b32 exec_lo, exec_lo, s21
.LBB294_475:                            ;   in Loop: Header=BB294_16 Depth=1
	s_wait_alu 0xfffe
	s_or_b32 exec_lo, exec_lo, s20
	v_lshrrev_b16 v8, 8, v31
	v_dual_mov_b32 v40, 0 :: v_dual_mov_b32 v183, 0
	s_mov_b32 s20, exec_lo
	s_delay_alu instid0(VALU_DEP_2)
	v_cmpx_ne_u16_e32 0, v8
	s_cbranch_execz .LBB294_483
; %bb.476:                              ;   in Loop: Header=BB294_16 Depth=1
	v_bfrev_b32_e32 v183, 1
	s_mov_b32 s21, exec_lo
	v_cmpx_ne_u16_e32 0x80, v8
	s_cbranch_execz .LBB294_482
; %bb.477:                              ;   in Loop: Header=BB294_16 Depth=1
	v_and_b32_e32 v0, 0xffff, v8
	v_mov_b32_e32 v183, 0x7c010000
	s_mov_b32 s22, exec_lo
	s_delay_alu instid0(VALU_DEP_2) | instskip(NEXT) | instid1(VALU_DEP_1)
	v_and_b32_e32 v3, 0x7f, v0
	v_cmpx_ne_u32_e32 0x7f, v3
	s_cbranch_execz .LBB294_481
; %bb.478:                              ;   in Loop: Header=BB294_16 Depth=1
	v_and_b32_e32 v1, 7, v0
	v_lshrrev_b32_e32 v2, 3, v3
	s_mov_b32 s23, exec_lo
	v_cmpx_gt_u32_e32 8, v3
; %bb.479:                              ;   in Loop: Header=BB294_16 Depth=1
	s_delay_alu instid0(VALU_DEP_3) | instskip(NEXT) | instid1(VALU_DEP_1)
	v_clz_i32_u32_e32 v1, v1
	v_min_u32_e32 v3, 32, v1
	s_delay_alu instid0(VALU_DEP_1) | instskip(NEXT) | instid1(VALU_DEP_1)
	v_subrev_nc_u32_e32 v1, 28, v3
	v_lshlrev_b64_e32 v[1:2], v1, v[8:9]
	v_sub_nc_u32_e32 v2, 29, v3
	s_delay_alu instid0(VALU_DEP_2)
	v_and_b32_e32 v1, 7, v1
; %bb.480:                              ;   in Loop: Header=BB294_16 Depth=1
	s_wait_alu 0xfffe
	s_or_b32 exec_lo, exec_lo, s23
	v_lshlrev_b32_e32 v0, 8, v0
	v_lshl_add_u32 v2, v2, 10, 0x2000
	v_lshlrev_b32_e32 v1, 23, v1
	s_delay_alu instid0(VALU_DEP_2) | instskip(NEXT) | instid1(VALU_DEP_1)
	v_and_or_b32 v0, 0x8000, v0, v2
	v_lshl_or_b32 v183, v0, 16, v1
.LBB294_481:                            ;   in Loop: Header=BB294_16 Depth=1
	s_wait_alu 0xfffe
	s_or_b32 exec_lo, exec_lo, s22
.LBB294_482:                            ;   in Loop: Header=BB294_16 Depth=1
	s_wait_alu 0xfffe
	s_or_b32 exec_lo, exec_lo, s21
.LBB294_483:                            ;   in Loop: Header=BB294_16 Depth=1
	s_wait_alu 0xfffe
	s_or_b32 exec_lo, exec_lo, s20
	v_lshrrev_b32_e32 v8, 16, v31
	s_mov_b32 s20, exec_lo
	s_delay_alu instid0(VALU_DEP_1) | instskip(NEXT) | instid1(VALU_DEP_1)
	v_and_b32_e32 v0, 0xff, v8
	v_cmpx_ne_u16_e32 0, v0
	s_cbranch_execz .LBB294_491
; %bb.484:                              ;   in Loop: Header=BB294_16 Depth=1
	v_mov_b32_e32 v40, 0x8000
	s_mov_b32 s21, exec_lo
	v_cmpx_ne_u16_e32 0x80, v0
	s_cbranch_execz .LBB294_490
; %bb.485:                              ;   in Loop: Header=BB294_16 Depth=1
	v_bfe_u32 v2, v31, 16, 7
	v_mov_b32_e32 v40, 0x7c01
	s_mov_b32 s22, exec_lo
	s_delay_alu instid0(VALU_DEP_2)
	v_cmpx_ne_u32_e32 0x7f, v2
	s_cbranch_execz .LBB294_489
; %bb.486:                              ;   in Loop: Header=BB294_16 Depth=1
	v_and_b32_e32 v0, 7, v8
	v_lshrrev_b32_e32 v1, 3, v2
	s_mov_b32 s23, exec_lo
	v_cmpx_gt_u32_e32 8, v2
; %bb.487:                              ;   in Loop: Header=BB294_16 Depth=1
	s_delay_alu instid0(VALU_DEP_3) | instskip(NEXT) | instid1(VALU_DEP_1)
	v_clz_i32_u32_e32 v0, v0
	v_min_u32_e32 v2, 32, v0
	s_delay_alu instid0(VALU_DEP_1) | instskip(NEXT) | instid1(VALU_DEP_1)
	v_subrev_nc_u32_e32 v0, 28, v2
	v_lshlrev_b64_e32 v[0:1], v0, v[8:9]
	v_sub_nc_u32_e32 v1, 29, v2
	s_delay_alu instid0(VALU_DEP_2)
	v_and_b32_e32 v0, 7, v0
; %bb.488:                              ;   in Loop: Header=BB294_16 Depth=1
	s_wait_alu 0xfffe
	s_or_b32 exec_lo, exec_lo, s23
	v_lshlrev_b32_e32 v2, 8, v8
	v_lshl_add_u32 v1, v1, 10, 0x2000
	v_lshlrev_b32_e32 v0, 7, v0
	s_delay_alu instid0(VALU_DEP_3) | instskip(NEXT) | instid1(VALU_DEP_3)
	v_and_b32_e32 v2, 0x8000, v2
	v_and_b32_e32 v1, 0xfc00, v1
	s_delay_alu instid0(VALU_DEP_1)
	v_or3_b32 v40, v2, v1, v0
.LBB294_489:                            ;   in Loop: Header=BB294_16 Depth=1
	s_wait_alu 0xfffe
	s_or_b32 exec_lo, exec_lo, s22
.LBB294_490:                            ;   in Loop: Header=BB294_16 Depth=1
	s_wait_alu 0xfffe
	s_or_b32 exec_lo, exec_lo, s21
.LBB294_491:                            ;   in Loop: Header=BB294_16 Depth=1
	s_wait_alu 0xfffe
	s_or_b32 exec_lo, exec_lo, s20
	v_dual_mov_b32 v41, 0 :: v_dual_mov_b32 v42, 0
	s_mov_b32 s20, exec_lo
	v_cmpx_lt_u32_e32 0xffffff, v31
	s_cbranch_execz .LBB294_499
; %bb.492:                              ;   in Loop: Header=BB294_16 Depth=1
	v_lshrrev_b32_e32 v8, 24, v31
	v_bfrev_b32_e32 v42, 1
	s_mov_b32 s21, exec_lo
	s_delay_alu instid0(VALU_DEP_2)
	v_cmpx_ne_u32_e32 0x80, v8
	s_cbranch_execz .LBB294_498
; %bb.493:                              ;   in Loop: Header=BB294_16 Depth=1
	v_and_b32_e32 v2, 0x7f, v8
	v_mov_b32_e32 v42, 0x7c010000
	s_mov_b32 s22, exec_lo
	s_delay_alu instid0(VALU_DEP_2)
	v_cmpx_ne_u32_e32 0x7f, v2
	s_cbranch_execz .LBB294_497
; %bb.494:                              ;   in Loop: Header=BB294_16 Depth=1
	v_and_b32_e32 v0, 7, v8
	v_lshrrev_b32_e32 v1, 3, v2
	s_mov_b32 s23, exec_lo
	v_cmpx_gt_u32_e32 8, v2
; %bb.495:                              ;   in Loop: Header=BB294_16 Depth=1
	s_delay_alu instid0(VALU_DEP_3) | instskip(NEXT) | instid1(VALU_DEP_1)
	v_clz_i32_u32_e32 v0, v0
	v_min_u32_e32 v2, 32, v0
	s_delay_alu instid0(VALU_DEP_1) | instskip(NEXT) | instid1(VALU_DEP_1)
	v_subrev_nc_u32_e32 v0, 28, v2
	v_lshlrev_b64_e32 v[0:1], v0, v[8:9]
	v_sub_nc_u32_e32 v1, 29, v2
	s_delay_alu instid0(VALU_DEP_2)
	v_and_b32_e32 v0, 7, v0
; %bb.496:                              ;   in Loop: Header=BB294_16 Depth=1
	s_wait_alu 0xfffe
	s_or_b32 exec_lo, exec_lo, s23
	v_lshlrev_b32_e32 v2, 8, v8
	v_lshl_add_u32 v1, v1, 10, 0x2000
	v_lshlrev_b32_e32 v0, 23, v0
	s_delay_alu instid0(VALU_DEP_2) | instskip(NEXT) | instid1(VALU_DEP_1)
	v_and_or_b32 v1, 0x8000, v2, v1
	v_lshl_or_b32 v42, v1, 16, v0
.LBB294_497:                            ;   in Loop: Header=BB294_16 Depth=1
	s_wait_alu 0xfffe
	s_or_b32 exec_lo, exec_lo, s22
.LBB294_498:                            ;   in Loop: Header=BB294_16 Depth=1
	s_wait_alu 0xfffe
	s_or_b32 exec_lo, exec_lo, s21
.LBB294_499:                            ;   in Loop: Header=BB294_16 Depth=1
	s_wait_alu 0xfffe
	s_or_b32 exec_lo, exec_lo, s20
	v_and_b32_e32 v0, 0xff, v32
	v_mov_b32_e32 v8, v32
	s_mov_b32 s20, exec_lo
	s_delay_alu instid0(VALU_DEP_2)
	v_cmpx_ne_u16_e32 0, v0
	s_cbranch_execz .LBB294_507
; %bb.500:                              ;   in Loop: Header=BB294_16 Depth=1
	v_mov_b32_e32 v41, 0x8000
	s_mov_b32 s21, exec_lo
	v_cmpx_ne_u16_e32 0x80, v0
	s_cbranch_execz .LBB294_506
; %bb.501:                              ;   in Loop: Header=BB294_16 Depth=1
	v_and_b32_e32 v2, 0x7f, v32
	v_mov_b32_e32 v41, 0x7c01
	s_mov_b32 s22, exec_lo
	s_delay_alu instid0(VALU_DEP_2)
	v_cmpx_ne_u32_e32 0x7f, v2
	s_cbranch_execz .LBB294_505
; %bb.502:                              ;   in Loop: Header=BB294_16 Depth=1
	v_and_b32_e32 v0, 7, v32
	v_lshrrev_b32_e32 v1, 3, v2
	s_mov_b32 s23, exec_lo
	v_cmpx_gt_u32_e32 8, v2
; %bb.503:                              ;   in Loop: Header=BB294_16 Depth=1
	s_delay_alu instid0(VALU_DEP_3) | instskip(NEXT) | instid1(VALU_DEP_1)
	v_clz_i32_u32_e32 v0, v0
	v_min_u32_e32 v2, 32, v0
	s_delay_alu instid0(VALU_DEP_1) | instskip(NEXT) | instid1(VALU_DEP_1)
	v_subrev_nc_u32_e32 v0, 28, v2
	v_lshlrev_b64_e32 v[0:1], v0, v[8:9]
	v_sub_nc_u32_e32 v1, 29, v2
	s_delay_alu instid0(VALU_DEP_2)
	v_and_b32_e32 v0, 7, v0
; %bb.504:                              ;   in Loop: Header=BB294_16 Depth=1
	s_wait_alu 0xfffe
	s_or_b32 exec_lo, exec_lo, s23
	v_lshlrev_b32_e32 v2, 8, v32
	v_lshl_add_u32 v1, v1, 10, 0x2000
	v_lshlrev_b32_e32 v0, 7, v0
	s_delay_alu instid0(VALU_DEP_3) | instskip(NEXT) | instid1(VALU_DEP_3)
	v_and_b32_e32 v2, 0x8000, v2
	v_and_b32_e32 v1, 0xfc00, v1
	s_delay_alu instid0(VALU_DEP_1)
	v_or3_b32 v41, v2, v1, v0
.LBB294_505:                            ;   in Loop: Header=BB294_16 Depth=1
	s_wait_alu 0xfffe
	s_or_b32 exec_lo, exec_lo, s22
.LBB294_506:                            ;   in Loop: Header=BB294_16 Depth=1
	s_wait_alu 0xfffe
	s_or_b32 exec_lo, exec_lo, s21
.LBB294_507:                            ;   in Loop: Header=BB294_16 Depth=1
	s_wait_alu 0xfffe
	s_or_b32 exec_lo, exec_lo, s20
	v_lshrrev_b16 v8, 8, v8
	v_dual_mov_b32 v43, 0 :: v_dual_mov_b32 v44, 0
	s_mov_b32 s20, exec_lo
	s_delay_alu instid0(VALU_DEP_2)
	v_cmpx_ne_u16_e32 0, v8
	s_cbranch_execz .LBB294_515
; %bb.508:                              ;   in Loop: Header=BB294_16 Depth=1
	v_bfrev_b32_e32 v44, 1
	s_mov_b32 s21, exec_lo
	v_cmpx_ne_u16_e32 0x80, v8
	s_cbranch_execz .LBB294_514
; %bb.509:                              ;   in Loop: Header=BB294_16 Depth=1
	v_and_b32_e32 v0, 0xffff, v8
	v_mov_b32_e32 v44, 0x7c010000
	s_mov_b32 s22, exec_lo
	s_delay_alu instid0(VALU_DEP_2) | instskip(NEXT) | instid1(VALU_DEP_1)
	v_and_b32_e32 v3, 0x7f, v0
	v_cmpx_ne_u32_e32 0x7f, v3
	s_cbranch_execz .LBB294_513
; %bb.510:                              ;   in Loop: Header=BB294_16 Depth=1
	v_and_b32_e32 v1, 7, v0
	v_lshrrev_b32_e32 v2, 3, v3
	s_mov_b32 s23, exec_lo
	v_cmpx_gt_u32_e32 8, v3
; %bb.511:                              ;   in Loop: Header=BB294_16 Depth=1
	s_delay_alu instid0(VALU_DEP_3) | instskip(NEXT) | instid1(VALU_DEP_1)
	v_clz_i32_u32_e32 v1, v1
	v_min_u32_e32 v3, 32, v1
	s_delay_alu instid0(VALU_DEP_1) | instskip(NEXT) | instid1(VALU_DEP_1)
	v_subrev_nc_u32_e32 v1, 28, v3
	v_lshlrev_b64_e32 v[1:2], v1, v[8:9]
	v_sub_nc_u32_e32 v2, 29, v3
	s_delay_alu instid0(VALU_DEP_2)
	v_and_b32_e32 v1, 7, v1
; %bb.512:                              ;   in Loop: Header=BB294_16 Depth=1
	s_wait_alu 0xfffe
	s_or_b32 exec_lo, exec_lo, s23
	v_lshlrev_b32_e32 v0, 8, v0
	v_lshl_add_u32 v2, v2, 10, 0x2000
	v_lshlrev_b32_e32 v1, 23, v1
	s_delay_alu instid0(VALU_DEP_2) | instskip(NEXT) | instid1(VALU_DEP_1)
	v_and_or_b32 v0, 0x8000, v0, v2
	v_lshl_or_b32 v44, v0, 16, v1
.LBB294_513:                            ;   in Loop: Header=BB294_16 Depth=1
	s_wait_alu 0xfffe
	s_or_b32 exec_lo, exec_lo, s22
.LBB294_514:                            ;   in Loop: Header=BB294_16 Depth=1
	s_wait_alu 0xfffe
	s_or_b32 exec_lo, exec_lo, s21
.LBB294_515:                            ;   in Loop: Header=BB294_16 Depth=1
	s_wait_alu 0xfffe
	s_or_b32 exec_lo, exec_lo, s20
	v_lshrrev_b32_e32 v8, 16, v32
	s_mov_b32 s20, exec_lo
	s_delay_alu instid0(VALU_DEP_1) | instskip(NEXT) | instid1(VALU_DEP_1)
	v_and_b32_e32 v0, 0xff, v8
	v_cmpx_ne_u16_e32 0, v0
	s_cbranch_execz .LBB294_523
; %bb.516:                              ;   in Loop: Header=BB294_16 Depth=1
	v_mov_b32_e32 v43, 0x8000
	s_mov_b32 s21, exec_lo
	v_cmpx_ne_u16_e32 0x80, v0
	s_cbranch_execz .LBB294_522
; %bb.517:                              ;   in Loop: Header=BB294_16 Depth=1
	v_bfe_u32 v2, v32, 16, 7
	v_mov_b32_e32 v43, 0x7c01
	s_mov_b32 s22, exec_lo
	s_delay_alu instid0(VALU_DEP_2)
	v_cmpx_ne_u32_e32 0x7f, v2
	s_cbranch_execz .LBB294_521
; %bb.518:                              ;   in Loop: Header=BB294_16 Depth=1
	v_and_b32_e32 v0, 7, v8
	v_lshrrev_b32_e32 v1, 3, v2
	s_mov_b32 s23, exec_lo
	v_cmpx_gt_u32_e32 8, v2
; %bb.519:                              ;   in Loop: Header=BB294_16 Depth=1
	s_delay_alu instid0(VALU_DEP_3) | instskip(NEXT) | instid1(VALU_DEP_1)
	v_clz_i32_u32_e32 v0, v0
	v_min_u32_e32 v2, 32, v0
	s_delay_alu instid0(VALU_DEP_1) | instskip(NEXT) | instid1(VALU_DEP_1)
	v_subrev_nc_u32_e32 v0, 28, v2
	v_lshlrev_b64_e32 v[0:1], v0, v[8:9]
	v_sub_nc_u32_e32 v1, 29, v2
	s_delay_alu instid0(VALU_DEP_2)
	v_and_b32_e32 v0, 7, v0
; %bb.520:                              ;   in Loop: Header=BB294_16 Depth=1
	s_wait_alu 0xfffe
	s_or_b32 exec_lo, exec_lo, s23
	v_lshlrev_b32_e32 v2, 8, v8
	v_lshl_add_u32 v1, v1, 10, 0x2000
	v_lshlrev_b32_e32 v0, 7, v0
	s_delay_alu instid0(VALU_DEP_3) | instskip(NEXT) | instid1(VALU_DEP_3)
	v_and_b32_e32 v2, 0x8000, v2
	v_and_b32_e32 v1, 0xfc00, v1
	s_delay_alu instid0(VALU_DEP_1)
	v_or3_b32 v43, v2, v1, v0
.LBB294_521:                            ;   in Loop: Header=BB294_16 Depth=1
	s_wait_alu 0xfffe
	s_or_b32 exec_lo, exec_lo, s22
.LBB294_522:                            ;   in Loop: Header=BB294_16 Depth=1
	s_wait_alu 0xfffe
	s_or_b32 exec_lo, exec_lo, s21
.LBB294_523:                            ;   in Loop: Header=BB294_16 Depth=1
	s_wait_alu 0xfffe
	s_or_b32 exec_lo, exec_lo, s20
	v_dual_mov_b32 v46, 0 :: v_dual_mov_b32 v45, 0
	s_mov_b32 s20, exec_lo
	v_cmpx_lt_u64_e64 s[10:11], v[31:32]
	s_cbranch_execz .LBB294_531
; %bb.524:                              ;   in Loop: Header=BB294_16 Depth=1
	v_lshrrev_b32_e32 v8, 24, v32
	v_bfrev_b32_e32 v45, 1
	s_mov_b32 s21, exec_lo
	s_delay_alu instid0(VALU_DEP_2)
	v_cmpx_ne_u32_e32 0x80, v8
	s_cbranch_execz .LBB294_530
; %bb.525:                              ;   in Loop: Header=BB294_16 Depth=1
	v_and_b32_e32 v2, 0x7f, v8
	v_mov_b32_e32 v45, 0x7c010000
	s_mov_b32 s22, exec_lo
	s_delay_alu instid0(VALU_DEP_2)
	v_cmpx_ne_u32_e32 0x7f, v2
	s_cbranch_execz .LBB294_529
; %bb.526:                              ;   in Loop: Header=BB294_16 Depth=1
	v_and_b32_e32 v0, 7, v8
	v_lshrrev_b32_e32 v1, 3, v2
	s_mov_b32 s23, exec_lo
	v_cmpx_gt_u32_e32 8, v2
; %bb.527:                              ;   in Loop: Header=BB294_16 Depth=1
	s_delay_alu instid0(VALU_DEP_3) | instskip(NEXT) | instid1(VALU_DEP_1)
	v_clz_i32_u32_e32 v0, v0
	v_min_u32_e32 v2, 32, v0
	s_delay_alu instid0(VALU_DEP_1) | instskip(NEXT) | instid1(VALU_DEP_1)
	v_subrev_nc_u32_e32 v0, 28, v2
	v_lshlrev_b64_e32 v[0:1], v0, v[8:9]
	v_sub_nc_u32_e32 v1, 29, v2
	s_delay_alu instid0(VALU_DEP_2)
	v_and_b32_e32 v0, 7, v0
; %bb.528:                              ;   in Loop: Header=BB294_16 Depth=1
	s_wait_alu 0xfffe
	s_or_b32 exec_lo, exec_lo, s23
	v_lshlrev_b32_e32 v2, 8, v8
	v_lshl_add_u32 v1, v1, 10, 0x2000
	v_lshlrev_b32_e32 v0, 23, v0
	s_delay_alu instid0(VALU_DEP_2) | instskip(NEXT) | instid1(VALU_DEP_1)
	v_and_or_b32 v1, 0x8000, v2, v1
	v_lshl_or_b32 v45, v1, 16, v0
.LBB294_529:                            ;   in Loop: Header=BB294_16 Depth=1
	s_wait_alu 0xfffe
	s_or_b32 exec_lo, exec_lo, s22
.LBB294_530:                            ;   in Loop: Header=BB294_16 Depth=1
	s_wait_alu 0xfffe
	s_or_b32 exec_lo, exec_lo, s21
.LBB294_531:                            ;   in Loop: Header=BB294_16 Depth=1
	s_wait_alu 0xfffe
	s_or_b32 exec_lo, exec_lo, s20
	flat_load_b64 v[31:32], v[28:29] offset:2048
	s_mov_b32 s20, exec_lo
	s_wait_loadcnt_dscnt 0x0
	v_and_b32_e32 v0, 0xff, v31
	s_delay_alu instid0(VALU_DEP_1)
	v_cmpx_ne_u16_e32 0, v0
	s_cbranch_execz .LBB294_539
; %bb.532:                              ;   in Loop: Header=BB294_16 Depth=1
	v_mov_b32_e32 v46, 0x8000
	s_mov_b32 s21, exec_lo
	v_cmpx_ne_u16_e32 0x80, v0
	s_cbranch_execz .LBB294_538
; %bb.533:                              ;   in Loop: Header=BB294_16 Depth=1
	v_and_b32_e32 v2, 0x7f, v31
	v_mov_b32_e32 v46, 0x7c01
	s_mov_b32 s22, exec_lo
	s_delay_alu instid0(VALU_DEP_2)
	v_cmpx_ne_u32_e32 0x7f, v2
	s_cbranch_execz .LBB294_537
; %bb.534:                              ;   in Loop: Header=BB294_16 Depth=1
	v_and_b32_e32 v0, 7, v31
	v_lshrrev_b32_e32 v1, 3, v2
	s_mov_b32 s23, exec_lo
	v_cmpx_gt_u32_e32 8, v2
; %bb.535:                              ;   in Loop: Header=BB294_16 Depth=1
	s_delay_alu instid0(VALU_DEP_3) | instskip(NEXT) | instid1(VALU_DEP_1)
	v_clz_i32_u32_e32 v0, v0
	v_min_u32_e32 v2, 32, v0
	s_delay_alu instid0(VALU_DEP_1) | instskip(NEXT) | instid1(VALU_DEP_1)
	v_subrev_nc_u32_e32 v0, 28, v2
	v_lshlrev_b64_e32 v[0:1], v0, v[31:32]
	v_sub_nc_u32_e32 v1, 29, v2
	s_delay_alu instid0(VALU_DEP_2)
	v_and_b32_e32 v0, 7, v0
; %bb.536:                              ;   in Loop: Header=BB294_16 Depth=1
	s_wait_alu 0xfffe
	s_or_b32 exec_lo, exec_lo, s23
	v_lshlrev_b32_e32 v2, 8, v31
	v_lshl_add_u32 v1, v1, 10, 0x2000
	v_lshlrev_b32_e32 v0, 7, v0
	s_delay_alu instid0(VALU_DEP_3) | instskip(NEXT) | instid1(VALU_DEP_3)
	v_and_b32_e32 v2, 0x8000, v2
	v_and_b32_e32 v1, 0xfc00, v1
	s_delay_alu instid0(VALU_DEP_1)
	v_or3_b32 v46, v2, v1, v0
.LBB294_537:                            ;   in Loop: Header=BB294_16 Depth=1
	s_wait_alu 0xfffe
	s_or_b32 exec_lo, exec_lo, s22
.LBB294_538:                            ;   in Loop: Header=BB294_16 Depth=1
	s_wait_alu 0xfffe
	s_or_b32 exec_lo, exec_lo, s21
.LBB294_539:                            ;   in Loop: Header=BB294_16 Depth=1
	s_wait_alu 0xfffe
	s_or_b32 exec_lo, exec_lo, s20
	v_lshrrev_b16 v8, 8, v31
	v_dual_mov_b32 v56, 0 :: v_dual_mov_b32 v47, 0
	s_mov_b32 s20, exec_lo
	s_delay_alu instid0(VALU_DEP_2)
	v_cmpx_ne_u16_e32 0, v8
	s_cbranch_execz .LBB294_547
; %bb.540:                              ;   in Loop: Header=BB294_16 Depth=1
	v_bfrev_b32_e32 v47, 1
	s_mov_b32 s21, exec_lo
	v_cmpx_ne_u16_e32 0x80, v8
	s_cbranch_execz .LBB294_546
; %bb.541:                              ;   in Loop: Header=BB294_16 Depth=1
	v_and_b32_e32 v0, 0xffff, v8
	v_mov_b32_e32 v47, 0x7c010000
	s_mov_b32 s22, exec_lo
	s_delay_alu instid0(VALU_DEP_2) | instskip(NEXT) | instid1(VALU_DEP_1)
	v_and_b32_e32 v3, 0x7f, v0
	v_cmpx_ne_u32_e32 0x7f, v3
	s_cbranch_execz .LBB294_545
; %bb.542:                              ;   in Loop: Header=BB294_16 Depth=1
	v_and_b32_e32 v1, 7, v0
	v_lshrrev_b32_e32 v2, 3, v3
	s_mov_b32 s23, exec_lo
	v_cmpx_gt_u32_e32 8, v3
; %bb.543:                              ;   in Loop: Header=BB294_16 Depth=1
	s_delay_alu instid0(VALU_DEP_3) | instskip(NEXT) | instid1(VALU_DEP_1)
	v_clz_i32_u32_e32 v1, v1
	v_min_u32_e32 v3, 32, v1
	s_delay_alu instid0(VALU_DEP_1) | instskip(NEXT) | instid1(VALU_DEP_1)
	v_subrev_nc_u32_e32 v1, 28, v3
	v_lshlrev_b64_e32 v[1:2], v1, v[8:9]
	v_sub_nc_u32_e32 v2, 29, v3
	s_delay_alu instid0(VALU_DEP_2)
	v_and_b32_e32 v1, 7, v1
; %bb.544:                              ;   in Loop: Header=BB294_16 Depth=1
	s_wait_alu 0xfffe
	s_or_b32 exec_lo, exec_lo, s23
	v_lshlrev_b32_e32 v0, 8, v0
	v_lshl_add_u32 v2, v2, 10, 0x2000
	v_lshlrev_b32_e32 v1, 23, v1
	s_delay_alu instid0(VALU_DEP_2) | instskip(NEXT) | instid1(VALU_DEP_1)
	v_and_or_b32 v0, 0x8000, v0, v2
	v_lshl_or_b32 v47, v0, 16, v1
.LBB294_545:                            ;   in Loop: Header=BB294_16 Depth=1
	s_wait_alu 0xfffe
	s_or_b32 exec_lo, exec_lo, s22
.LBB294_546:                            ;   in Loop: Header=BB294_16 Depth=1
	s_wait_alu 0xfffe
	s_or_b32 exec_lo, exec_lo, s21
.LBB294_547:                            ;   in Loop: Header=BB294_16 Depth=1
	s_wait_alu 0xfffe
	s_or_b32 exec_lo, exec_lo, s20
	v_lshrrev_b32_e32 v8, 16, v31
	s_mov_b32 s20, exec_lo
	s_delay_alu instid0(VALU_DEP_1) | instskip(NEXT) | instid1(VALU_DEP_1)
	v_and_b32_e32 v0, 0xff, v8
	v_cmpx_ne_u16_e32 0, v0
	s_cbranch_execz .LBB294_555
; %bb.548:                              ;   in Loop: Header=BB294_16 Depth=1
	v_mov_b32_e32 v56, 0x8000
	s_mov_b32 s21, exec_lo
	v_cmpx_ne_u16_e32 0x80, v0
	s_cbranch_execz .LBB294_554
; %bb.549:                              ;   in Loop: Header=BB294_16 Depth=1
	v_bfe_u32 v2, v31, 16, 7
	v_mov_b32_e32 v56, 0x7c01
	s_mov_b32 s22, exec_lo
	s_delay_alu instid0(VALU_DEP_2)
	v_cmpx_ne_u32_e32 0x7f, v2
	s_cbranch_execz .LBB294_553
; %bb.550:                              ;   in Loop: Header=BB294_16 Depth=1
	v_and_b32_e32 v0, 7, v8
	v_lshrrev_b32_e32 v1, 3, v2
	s_mov_b32 s23, exec_lo
	v_cmpx_gt_u32_e32 8, v2
; %bb.551:                              ;   in Loop: Header=BB294_16 Depth=1
	s_delay_alu instid0(VALU_DEP_3) | instskip(NEXT) | instid1(VALU_DEP_1)
	v_clz_i32_u32_e32 v0, v0
	v_min_u32_e32 v2, 32, v0
	s_delay_alu instid0(VALU_DEP_1) | instskip(NEXT) | instid1(VALU_DEP_1)
	v_subrev_nc_u32_e32 v0, 28, v2
	v_lshlrev_b64_e32 v[0:1], v0, v[8:9]
	v_sub_nc_u32_e32 v1, 29, v2
	s_delay_alu instid0(VALU_DEP_2)
	v_and_b32_e32 v0, 7, v0
; %bb.552:                              ;   in Loop: Header=BB294_16 Depth=1
	s_wait_alu 0xfffe
	s_or_b32 exec_lo, exec_lo, s23
	v_lshlrev_b32_e32 v2, 8, v8
	v_lshl_add_u32 v1, v1, 10, 0x2000
	v_lshlrev_b32_e32 v0, 7, v0
	s_delay_alu instid0(VALU_DEP_3) | instskip(NEXT) | instid1(VALU_DEP_3)
	v_and_b32_e32 v2, 0x8000, v2
	v_and_b32_e32 v1, 0xfc00, v1
	s_delay_alu instid0(VALU_DEP_1)
	v_or3_b32 v56, v2, v1, v0
.LBB294_553:                            ;   in Loop: Header=BB294_16 Depth=1
	s_wait_alu 0xfffe
	s_or_b32 exec_lo, exec_lo, s22
.LBB294_554:                            ;   in Loop: Header=BB294_16 Depth=1
	s_wait_alu 0xfffe
	s_or_b32 exec_lo, exec_lo, s21
.LBB294_555:                            ;   in Loop: Header=BB294_16 Depth=1
	s_wait_alu 0xfffe
	s_or_b32 exec_lo, exec_lo, s20
	v_dual_mov_b32 v57, 0 :: v_dual_mov_b32 v58, 0
	s_mov_b32 s20, exec_lo
	v_cmpx_lt_u32_e32 0xffffff, v31
	s_cbranch_execz .LBB294_563
; %bb.556:                              ;   in Loop: Header=BB294_16 Depth=1
	v_lshrrev_b32_e32 v8, 24, v31
	v_bfrev_b32_e32 v58, 1
	s_mov_b32 s21, exec_lo
	s_delay_alu instid0(VALU_DEP_2)
	v_cmpx_ne_u32_e32 0x80, v8
	s_cbranch_execz .LBB294_562
; %bb.557:                              ;   in Loop: Header=BB294_16 Depth=1
	v_and_b32_e32 v2, 0x7f, v8
	v_mov_b32_e32 v58, 0x7c010000
	s_mov_b32 s22, exec_lo
	s_delay_alu instid0(VALU_DEP_2)
	v_cmpx_ne_u32_e32 0x7f, v2
	s_cbranch_execz .LBB294_561
; %bb.558:                              ;   in Loop: Header=BB294_16 Depth=1
	v_and_b32_e32 v0, 7, v8
	v_lshrrev_b32_e32 v1, 3, v2
	s_mov_b32 s23, exec_lo
	v_cmpx_gt_u32_e32 8, v2
; %bb.559:                              ;   in Loop: Header=BB294_16 Depth=1
	s_delay_alu instid0(VALU_DEP_3) | instskip(NEXT) | instid1(VALU_DEP_1)
	v_clz_i32_u32_e32 v0, v0
	v_min_u32_e32 v2, 32, v0
	s_delay_alu instid0(VALU_DEP_1) | instskip(NEXT) | instid1(VALU_DEP_1)
	v_subrev_nc_u32_e32 v0, 28, v2
	v_lshlrev_b64_e32 v[0:1], v0, v[8:9]
	v_sub_nc_u32_e32 v1, 29, v2
	s_delay_alu instid0(VALU_DEP_2)
	v_and_b32_e32 v0, 7, v0
; %bb.560:                              ;   in Loop: Header=BB294_16 Depth=1
	s_wait_alu 0xfffe
	s_or_b32 exec_lo, exec_lo, s23
	v_lshlrev_b32_e32 v2, 8, v8
	v_lshl_add_u32 v1, v1, 10, 0x2000
	v_lshlrev_b32_e32 v0, 23, v0
	s_delay_alu instid0(VALU_DEP_2) | instskip(NEXT) | instid1(VALU_DEP_1)
	v_and_or_b32 v1, 0x8000, v2, v1
	v_lshl_or_b32 v58, v1, 16, v0
.LBB294_561:                            ;   in Loop: Header=BB294_16 Depth=1
	s_wait_alu 0xfffe
	s_or_b32 exec_lo, exec_lo, s22
.LBB294_562:                            ;   in Loop: Header=BB294_16 Depth=1
	s_wait_alu 0xfffe
	s_or_b32 exec_lo, exec_lo, s21
.LBB294_563:                            ;   in Loop: Header=BB294_16 Depth=1
	s_wait_alu 0xfffe
	s_or_b32 exec_lo, exec_lo, s20
	v_and_b32_e32 v0, 0xff, v32
	v_mov_b32_e32 v8, v32
	s_mov_b32 s20, exec_lo
	s_delay_alu instid0(VALU_DEP_2)
	v_cmpx_ne_u16_e32 0, v0
	s_cbranch_execz .LBB294_571
; %bb.564:                              ;   in Loop: Header=BB294_16 Depth=1
	v_mov_b32_e32 v57, 0x8000
	s_mov_b32 s21, exec_lo
	v_cmpx_ne_u16_e32 0x80, v0
	s_cbranch_execz .LBB294_570
; %bb.565:                              ;   in Loop: Header=BB294_16 Depth=1
	v_and_b32_e32 v2, 0x7f, v32
	v_mov_b32_e32 v57, 0x7c01
	s_mov_b32 s22, exec_lo
	s_delay_alu instid0(VALU_DEP_2)
	v_cmpx_ne_u32_e32 0x7f, v2
	s_cbranch_execz .LBB294_569
; %bb.566:                              ;   in Loop: Header=BB294_16 Depth=1
	v_and_b32_e32 v0, 7, v32
	v_lshrrev_b32_e32 v1, 3, v2
	s_mov_b32 s23, exec_lo
	v_cmpx_gt_u32_e32 8, v2
; %bb.567:                              ;   in Loop: Header=BB294_16 Depth=1
	s_delay_alu instid0(VALU_DEP_3) | instskip(NEXT) | instid1(VALU_DEP_1)
	v_clz_i32_u32_e32 v0, v0
	v_min_u32_e32 v2, 32, v0
	s_delay_alu instid0(VALU_DEP_1) | instskip(NEXT) | instid1(VALU_DEP_1)
	v_subrev_nc_u32_e32 v0, 28, v2
	v_lshlrev_b64_e32 v[0:1], v0, v[8:9]
	v_sub_nc_u32_e32 v1, 29, v2
	s_delay_alu instid0(VALU_DEP_2)
	v_and_b32_e32 v0, 7, v0
; %bb.568:                              ;   in Loop: Header=BB294_16 Depth=1
	s_wait_alu 0xfffe
	s_or_b32 exec_lo, exec_lo, s23
	v_lshlrev_b32_e32 v2, 8, v32
	v_lshl_add_u32 v1, v1, 10, 0x2000
	v_lshlrev_b32_e32 v0, 7, v0
	s_delay_alu instid0(VALU_DEP_3) | instskip(NEXT) | instid1(VALU_DEP_3)
	v_and_b32_e32 v2, 0x8000, v2
	v_and_b32_e32 v1, 0xfc00, v1
	s_delay_alu instid0(VALU_DEP_1)
	v_or3_b32 v57, v2, v1, v0
.LBB294_569:                            ;   in Loop: Header=BB294_16 Depth=1
	s_wait_alu 0xfffe
	s_or_b32 exec_lo, exec_lo, s22
.LBB294_570:                            ;   in Loop: Header=BB294_16 Depth=1
	s_wait_alu 0xfffe
	s_or_b32 exec_lo, exec_lo, s21
.LBB294_571:                            ;   in Loop: Header=BB294_16 Depth=1
	s_wait_alu 0xfffe
	s_or_b32 exec_lo, exec_lo, s20
	v_lshrrev_b16 v8, 8, v8
	v_dual_mov_b32 v59, 0 :: v_dual_mov_b32 v60, 0
	s_mov_b32 s20, exec_lo
	s_delay_alu instid0(VALU_DEP_2)
	v_cmpx_ne_u16_e32 0, v8
	s_cbranch_execz .LBB294_579
; %bb.572:                              ;   in Loop: Header=BB294_16 Depth=1
	v_bfrev_b32_e32 v60, 1
	s_mov_b32 s21, exec_lo
	v_cmpx_ne_u16_e32 0x80, v8
	s_cbranch_execz .LBB294_578
; %bb.573:                              ;   in Loop: Header=BB294_16 Depth=1
	v_and_b32_e32 v0, 0xffff, v8
	v_mov_b32_e32 v60, 0x7c010000
	s_mov_b32 s22, exec_lo
	s_delay_alu instid0(VALU_DEP_2) | instskip(NEXT) | instid1(VALU_DEP_1)
	v_and_b32_e32 v3, 0x7f, v0
	v_cmpx_ne_u32_e32 0x7f, v3
	s_cbranch_execz .LBB294_577
; %bb.574:                              ;   in Loop: Header=BB294_16 Depth=1
	v_and_b32_e32 v1, 7, v0
	v_lshrrev_b32_e32 v2, 3, v3
	s_mov_b32 s23, exec_lo
	v_cmpx_gt_u32_e32 8, v3
; %bb.575:                              ;   in Loop: Header=BB294_16 Depth=1
	s_delay_alu instid0(VALU_DEP_3) | instskip(NEXT) | instid1(VALU_DEP_1)
	v_clz_i32_u32_e32 v1, v1
	v_min_u32_e32 v3, 32, v1
	s_delay_alu instid0(VALU_DEP_1) | instskip(NEXT) | instid1(VALU_DEP_1)
	v_subrev_nc_u32_e32 v1, 28, v3
	v_lshlrev_b64_e32 v[1:2], v1, v[8:9]
	v_sub_nc_u32_e32 v2, 29, v3
	s_delay_alu instid0(VALU_DEP_2)
	v_and_b32_e32 v1, 7, v1
; %bb.576:                              ;   in Loop: Header=BB294_16 Depth=1
	s_wait_alu 0xfffe
	s_or_b32 exec_lo, exec_lo, s23
	v_lshlrev_b32_e32 v0, 8, v0
	v_lshl_add_u32 v2, v2, 10, 0x2000
	v_lshlrev_b32_e32 v1, 23, v1
	s_delay_alu instid0(VALU_DEP_2) | instskip(NEXT) | instid1(VALU_DEP_1)
	v_and_or_b32 v0, 0x8000, v0, v2
	v_lshl_or_b32 v60, v0, 16, v1
.LBB294_577:                            ;   in Loop: Header=BB294_16 Depth=1
	s_wait_alu 0xfffe
	s_or_b32 exec_lo, exec_lo, s22
.LBB294_578:                            ;   in Loop: Header=BB294_16 Depth=1
	s_wait_alu 0xfffe
	s_or_b32 exec_lo, exec_lo, s21
.LBB294_579:                            ;   in Loop: Header=BB294_16 Depth=1
	s_wait_alu 0xfffe
	s_or_b32 exec_lo, exec_lo, s20
	v_lshrrev_b32_e32 v8, 16, v32
	s_mov_b32 s20, exec_lo
	s_delay_alu instid0(VALU_DEP_1) | instskip(NEXT) | instid1(VALU_DEP_1)
	v_and_b32_e32 v0, 0xff, v8
	v_cmpx_ne_u16_e32 0, v0
	s_cbranch_execz .LBB294_587
; %bb.580:                              ;   in Loop: Header=BB294_16 Depth=1
	v_mov_b32_e32 v59, 0x8000
	s_mov_b32 s21, exec_lo
	v_cmpx_ne_u16_e32 0x80, v0
	s_cbranch_execz .LBB294_586
; %bb.581:                              ;   in Loop: Header=BB294_16 Depth=1
	v_bfe_u32 v2, v32, 16, 7
	v_mov_b32_e32 v59, 0x7c01
	s_mov_b32 s22, exec_lo
	s_delay_alu instid0(VALU_DEP_2)
	v_cmpx_ne_u32_e32 0x7f, v2
	s_cbranch_execz .LBB294_585
; %bb.582:                              ;   in Loop: Header=BB294_16 Depth=1
	v_and_b32_e32 v0, 7, v8
	v_lshrrev_b32_e32 v1, 3, v2
	s_mov_b32 s23, exec_lo
	v_cmpx_gt_u32_e32 8, v2
; %bb.583:                              ;   in Loop: Header=BB294_16 Depth=1
	s_delay_alu instid0(VALU_DEP_3) | instskip(NEXT) | instid1(VALU_DEP_1)
	v_clz_i32_u32_e32 v0, v0
	v_min_u32_e32 v2, 32, v0
	s_delay_alu instid0(VALU_DEP_1) | instskip(NEXT) | instid1(VALU_DEP_1)
	v_subrev_nc_u32_e32 v0, 28, v2
	v_lshlrev_b64_e32 v[0:1], v0, v[8:9]
	v_sub_nc_u32_e32 v1, 29, v2
	s_delay_alu instid0(VALU_DEP_2)
	v_and_b32_e32 v0, 7, v0
; %bb.584:                              ;   in Loop: Header=BB294_16 Depth=1
	s_wait_alu 0xfffe
	s_or_b32 exec_lo, exec_lo, s23
	v_lshlrev_b32_e32 v2, 8, v8
	v_lshl_add_u32 v1, v1, 10, 0x2000
	v_lshlrev_b32_e32 v0, 7, v0
	s_delay_alu instid0(VALU_DEP_3) | instskip(NEXT) | instid1(VALU_DEP_3)
	v_and_b32_e32 v2, 0x8000, v2
	v_and_b32_e32 v1, 0xfc00, v1
	s_delay_alu instid0(VALU_DEP_1)
	v_or3_b32 v59, v2, v1, v0
.LBB294_585:                            ;   in Loop: Header=BB294_16 Depth=1
	s_wait_alu 0xfffe
	s_or_b32 exec_lo, exec_lo, s22
.LBB294_586:                            ;   in Loop: Header=BB294_16 Depth=1
	s_wait_alu 0xfffe
	s_or_b32 exec_lo, exec_lo, s21
.LBB294_587:                            ;   in Loop: Header=BB294_16 Depth=1
	s_wait_alu 0xfffe
	s_or_b32 exec_lo, exec_lo, s20
	v_mov_b32_e32 v7, 0
	v_mov_b32_e32 v61, 0
	s_mov_b32 s20, exec_lo
	v_cmpx_lt_u64_e64 s[10:11], v[31:32]
	s_cbranch_execz .LBB294_595
; %bb.588:                              ;   in Loop: Header=BB294_16 Depth=1
	v_lshrrev_b32_e32 v8, 24, v32
	v_bfrev_b32_e32 v61, 1
	s_mov_b32 s21, exec_lo
	s_delay_alu instid0(VALU_DEP_2)
	v_cmpx_ne_u32_e32 0x80, v8
	s_cbranch_execz .LBB294_594
; %bb.589:                              ;   in Loop: Header=BB294_16 Depth=1
	v_and_b32_e32 v2, 0x7f, v8
	v_mov_b32_e32 v61, 0x7c010000
	s_mov_b32 s22, exec_lo
	s_delay_alu instid0(VALU_DEP_2)
	v_cmpx_ne_u32_e32 0x7f, v2
	s_cbranch_execz .LBB294_593
; %bb.590:                              ;   in Loop: Header=BB294_16 Depth=1
	v_and_b32_e32 v0, 7, v8
	v_lshrrev_b32_e32 v1, 3, v2
	s_mov_b32 s23, exec_lo
	v_cmpx_gt_u32_e32 8, v2
; %bb.591:                              ;   in Loop: Header=BB294_16 Depth=1
	s_delay_alu instid0(VALU_DEP_3) | instskip(NEXT) | instid1(VALU_DEP_1)
	v_clz_i32_u32_e32 v0, v0
	v_min_u32_e32 v2, 32, v0
	s_delay_alu instid0(VALU_DEP_1) | instskip(NEXT) | instid1(VALU_DEP_1)
	v_subrev_nc_u32_e32 v0, 28, v2
	v_lshlrev_b64_e32 v[0:1], v0, v[8:9]
	v_sub_nc_u32_e32 v1, 29, v2
	s_delay_alu instid0(VALU_DEP_2)
	v_and_b32_e32 v0, 7, v0
; %bb.592:                              ;   in Loop: Header=BB294_16 Depth=1
	s_wait_alu 0xfffe
	s_or_b32 exec_lo, exec_lo, s23
	v_lshlrev_b32_e32 v2, 8, v8
	v_lshl_add_u32 v1, v1, 10, 0x2000
	v_lshlrev_b32_e32 v0, 23, v0
	s_delay_alu instid0(VALU_DEP_2) | instskip(NEXT) | instid1(VALU_DEP_1)
	v_and_or_b32 v1, 0x8000, v2, v1
	v_lshl_or_b32 v61, v1, 16, v0
.LBB294_593:                            ;   in Loop: Header=BB294_16 Depth=1
	s_wait_alu 0xfffe
	s_or_b32 exec_lo, exec_lo, s22
.LBB294_594:                            ;   in Loop: Header=BB294_16 Depth=1
	s_wait_alu 0xfffe
	s_or_b32 exec_lo, exec_lo, s21
.LBB294_595:                            ;   in Loop: Header=BB294_16 Depth=1
	s_wait_alu 0xfffe
	s_or_b32 exec_lo, exec_lo, s20
	flat_load_b64 v[31:32], v[28:29] offset:2056
	s_mov_b32 s20, exec_lo
	s_wait_loadcnt_dscnt 0x0
	v_and_b32_e32 v0, 0xff, v31
	s_delay_alu instid0(VALU_DEP_1)
	v_cmpx_ne_u16_e32 0, v0
	s_cbranch_execz .LBB294_603
; %bb.596:                              ;   in Loop: Header=BB294_16 Depth=1
	v_mov_b32_e32 v7, 0x8000
	s_mov_b32 s21, exec_lo
	v_cmpx_ne_u16_e32 0x80, v0
	s_cbranch_execz .LBB294_602
; %bb.597:                              ;   in Loop: Header=BB294_16 Depth=1
	v_and_b32_e32 v2, 0x7f, v31
	v_mov_b32_e32 v7, 0x7c01
	s_mov_b32 s22, exec_lo
	s_delay_alu instid0(VALU_DEP_2)
	v_cmpx_ne_u32_e32 0x7f, v2
	s_cbranch_execz .LBB294_601
; %bb.598:                              ;   in Loop: Header=BB294_16 Depth=1
	v_and_b32_e32 v0, 7, v31
	v_lshrrev_b32_e32 v1, 3, v2
	s_mov_b32 s23, exec_lo
	v_cmpx_gt_u32_e32 8, v2
; %bb.599:                              ;   in Loop: Header=BB294_16 Depth=1
	s_delay_alu instid0(VALU_DEP_3) | instskip(NEXT) | instid1(VALU_DEP_1)
	v_clz_i32_u32_e32 v0, v0
	v_min_u32_e32 v2, 32, v0
	s_delay_alu instid0(VALU_DEP_1) | instskip(NEXT) | instid1(VALU_DEP_1)
	v_subrev_nc_u32_e32 v0, 28, v2
	v_lshlrev_b64_e32 v[0:1], v0, v[31:32]
	v_sub_nc_u32_e32 v1, 29, v2
	s_delay_alu instid0(VALU_DEP_2)
	v_and_b32_e32 v0, 7, v0
; %bb.600:                              ;   in Loop: Header=BB294_16 Depth=1
	s_wait_alu 0xfffe
	s_or_b32 exec_lo, exec_lo, s23
	v_lshlrev_b32_e32 v2, 8, v31
	v_lshl_add_u32 v1, v1, 10, 0x2000
	v_lshlrev_b32_e32 v0, 7, v0
	s_delay_alu instid0(VALU_DEP_3) | instskip(NEXT) | instid1(VALU_DEP_3)
	v_and_b32_e32 v2, 0x8000, v2
	v_and_b32_e32 v1, 0xfc00, v1
	s_delay_alu instid0(VALU_DEP_1)
	v_or3_b32 v7, v2, v1, v0
.LBB294_601:                            ;   in Loop: Header=BB294_16 Depth=1
	s_wait_alu 0xfffe
	s_or_b32 exec_lo, exec_lo, s22
.LBB294_602:                            ;   in Loop: Header=BB294_16 Depth=1
	s_wait_alu 0xfffe
	s_or_b32 exec_lo, exec_lo, s21
.LBB294_603:                            ;   in Loop: Header=BB294_16 Depth=1
	s_wait_alu 0xfffe
	s_or_b32 exec_lo, exec_lo, s20
	v_lshrrev_b16 v8, 8, v31
	v_dual_mov_b32 v62, 0 :: v_dual_mov_b32 v63, 0
	s_mov_b32 s20, exec_lo
	s_delay_alu instid0(VALU_DEP_2)
	v_cmpx_ne_u16_e32 0, v8
	s_cbranch_execz .LBB294_611
; %bb.604:                              ;   in Loop: Header=BB294_16 Depth=1
	v_bfrev_b32_e32 v63, 1
	s_mov_b32 s21, exec_lo
	v_cmpx_ne_u16_e32 0x80, v8
	s_cbranch_execz .LBB294_610
; %bb.605:                              ;   in Loop: Header=BB294_16 Depth=1
	v_and_b32_e32 v0, 0xffff, v8
	v_mov_b32_e32 v63, 0x7c010000
	s_mov_b32 s22, exec_lo
	s_delay_alu instid0(VALU_DEP_2) | instskip(NEXT) | instid1(VALU_DEP_1)
	v_and_b32_e32 v3, 0x7f, v0
	v_cmpx_ne_u32_e32 0x7f, v3
	s_cbranch_execz .LBB294_609
; %bb.606:                              ;   in Loop: Header=BB294_16 Depth=1
	v_and_b32_e32 v1, 7, v0
	v_lshrrev_b32_e32 v2, 3, v3
	s_mov_b32 s23, exec_lo
	v_cmpx_gt_u32_e32 8, v3
; %bb.607:                              ;   in Loop: Header=BB294_16 Depth=1
	s_delay_alu instid0(VALU_DEP_3) | instskip(NEXT) | instid1(VALU_DEP_1)
	v_clz_i32_u32_e32 v1, v1
	v_min_u32_e32 v3, 32, v1
	s_delay_alu instid0(VALU_DEP_1) | instskip(NEXT) | instid1(VALU_DEP_1)
	v_subrev_nc_u32_e32 v1, 28, v3
	v_lshlrev_b64_e32 v[1:2], v1, v[8:9]
	v_sub_nc_u32_e32 v2, 29, v3
	s_delay_alu instid0(VALU_DEP_2)
	v_and_b32_e32 v1, 7, v1
; %bb.608:                              ;   in Loop: Header=BB294_16 Depth=1
	s_wait_alu 0xfffe
	s_or_b32 exec_lo, exec_lo, s23
	v_lshlrev_b32_e32 v0, 8, v0
	v_lshl_add_u32 v2, v2, 10, 0x2000
	v_lshlrev_b32_e32 v1, 23, v1
	s_delay_alu instid0(VALU_DEP_2) | instskip(NEXT) | instid1(VALU_DEP_1)
	v_and_or_b32 v0, 0x8000, v0, v2
	v_lshl_or_b32 v63, v0, 16, v1
.LBB294_609:                            ;   in Loop: Header=BB294_16 Depth=1
	s_wait_alu 0xfffe
	s_or_b32 exec_lo, exec_lo, s22
.LBB294_610:                            ;   in Loop: Header=BB294_16 Depth=1
	s_wait_alu 0xfffe
	s_or_b32 exec_lo, exec_lo, s21
.LBB294_611:                            ;   in Loop: Header=BB294_16 Depth=1
	s_wait_alu 0xfffe
	s_or_b32 exec_lo, exec_lo, s20
	v_lshrrev_b32_e32 v8, 16, v31
	s_mov_b32 s20, exec_lo
	s_delay_alu instid0(VALU_DEP_1) | instskip(NEXT) | instid1(VALU_DEP_1)
	v_and_b32_e32 v0, 0xff, v8
	v_cmpx_ne_u16_e32 0, v0
	s_cbranch_execz .LBB294_619
; %bb.612:                              ;   in Loop: Header=BB294_16 Depth=1
	v_mov_b32_e32 v62, 0x8000
	s_mov_b32 s21, exec_lo
	v_cmpx_ne_u16_e32 0x80, v0
	s_cbranch_execz .LBB294_618
; %bb.613:                              ;   in Loop: Header=BB294_16 Depth=1
	v_bfe_u32 v2, v31, 16, 7
	v_mov_b32_e32 v62, 0x7c01
	s_mov_b32 s22, exec_lo
	s_delay_alu instid0(VALU_DEP_2)
	v_cmpx_ne_u32_e32 0x7f, v2
	s_cbranch_execz .LBB294_617
; %bb.614:                              ;   in Loop: Header=BB294_16 Depth=1
	v_and_b32_e32 v0, 7, v8
	v_lshrrev_b32_e32 v1, 3, v2
	s_mov_b32 s23, exec_lo
	v_cmpx_gt_u32_e32 8, v2
; %bb.615:                              ;   in Loop: Header=BB294_16 Depth=1
	s_delay_alu instid0(VALU_DEP_3) | instskip(NEXT) | instid1(VALU_DEP_1)
	v_clz_i32_u32_e32 v0, v0
	v_min_u32_e32 v2, 32, v0
	s_delay_alu instid0(VALU_DEP_1) | instskip(NEXT) | instid1(VALU_DEP_1)
	v_subrev_nc_u32_e32 v0, 28, v2
	v_lshlrev_b64_e32 v[0:1], v0, v[8:9]
	v_sub_nc_u32_e32 v1, 29, v2
	s_delay_alu instid0(VALU_DEP_2)
	v_and_b32_e32 v0, 7, v0
; %bb.616:                              ;   in Loop: Header=BB294_16 Depth=1
	s_wait_alu 0xfffe
	s_or_b32 exec_lo, exec_lo, s23
	v_lshlrev_b32_e32 v2, 8, v8
	v_lshl_add_u32 v1, v1, 10, 0x2000
	v_lshlrev_b32_e32 v0, 7, v0
	s_delay_alu instid0(VALU_DEP_3) | instskip(NEXT) | instid1(VALU_DEP_3)
	v_and_b32_e32 v2, 0x8000, v2
	v_and_b32_e32 v1, 0xfc00, v1
	s_delay_alu instid0(VALU_DEP_1)
	v_or3_b32 v62, v2, v1, v0
.LBB294_617:                            ;   in Loop: Header=BB294_16 Depth=1
	s_wait_alu 0xfffe
	s_or_b32 exec_lo, exec_lo, s22
.LBB294_618:                            ;   in Loop: Header=BB294_16 Depth=1
	s_wait_alu 0xfffe
	s_or_b32 exec_lo, exec_lo, s21
.LBB294_619:                            ;   in Loop: Header=BB294_16 Depth=1
	s_wait_alu 0xfffe
	s_or_b32 exec_lo, exec_lo, s20
	v_dual_mov_b32 v73, 0 :: v_dual_mov_b32 v74, 0
	s_mov_b32 s20, exec_lo
	v_cmpx_lt_u32_e32 0xffffff, v31
	s_cbranch_execz .LBB294_627
; %bb.620:                              ;   in Loop: Header=BB294_16 Depth=1
	v_lshrrev_b32_e32 v8, 24, v31
	v_bfrev_b32_e32 v74, 1
	s_mov_b32 s21, exec_lo
	s_delay_alu instid0(VALU_DEP_2)
	v_cmpx_ne_u32_e32 0x80, v8
	s_cbranch_execz .LBB294_626
; %bb.621:                              ;   in Loop: Header=BB294_16 Depth=1
	v_and_b32_e32 v2, 0x7f, v8
	v_mov_b32_e32 v74, 0x7c010000
	s_mov_b32 s22, exec_lo
	s_delay_alu instid0(VALU_DEP_2)
	v_cmpx_ne_u32_e32 0x7f, v2
	s_cbranch_execz .LBB294_625
; %bb.622:                              ;   in Loop: Header=BB294_16 Depth=1
	v_and_b32_e32 v0, 7, v8
	v_lshrrev_b32_e32 v1, 3, v2
	s_mov_b32 s23, exec_lo
	v_cmpx_gt_u32_e32 8, v2
; %bb.623:                              ;   in Loop: Header=BB294_16 Depth=1
	s_delay_alu instid0(VALU_DEP_3) | instskip(NEXT) | instid1(VALU_DEP_1)
	v_clz_i32_u32_e32 v0, v0
	v_min_u32_e32 v2, 32, v0
	s_delay_alu instid0(VALU_DEP_1) | instskip(NEXT) | instid1(VALU_DEP_1)
	v_subrev_nc_u32_e32 v0, 28, v2
	v_lshlrev_b64_e32 v[0:1], v0, v[8:9]
	v_sub_nc_u32_e32 v1, 29, v2
	s_delay_alu instid0(VALU_DEP_2)
	v_and_b32_e32 v0, 7, v0
; %bb.624:                              ;   in Loop: Header=BB294_16 Depth=1
	s_wait_alu 0xfffe
	s_or_b32 exec_lo, exec_lo, s23
	v_lshlrev_b32_e32 v2, 8, v8
	v_lshl_add_u32 v1, v1, 10, 0x2000
	v_lshlrev_b32_e32 v0, 23, v0
	s_delay_alu instid0(VALU_DEP_2) | instskip(NEXT) | instid1(VALU_DEP_1)
	v_and_or_b32 v1, 0x8000, v2, v1
	v_lshl_or_b32 v74, v1, 16, v0
.LBB294_625:                            ;   in Loop: Header=BB294_16 Depth=1
	s_wait_alu 0xfffe
	s_or_b32 exec_lo, exec_lo, s22
.LBB294_626:                            ;   in Loop: Header=BB294_16 Depth=1
	s_wait_alu 0xfffe
	s_or_b32 exec_lo, exec_lo, s21
.LBB294_627:                            ;   in Loop: Header=BB294_16 Depth=1
	s_wait_alu 0xfffe
	s_or_b32 exec_lo, exec_lo, s20
	v_and_b32_e32 v0, 0xff, v32
	v_mov_b32_e32 v8, v32
	s_mov_b32 s20, exec_lo
	s_delay_alu instid0(VALU_DEP_2)
	v_cmpx_ne_u16_e32 0, v0
	s_cbranch_execz .LBB294_635
; %bb.628:                              ;   in Loop: Header=BB294_16 Depth=1
	v_mov_b32_e32 v73, 0x8000
	s_mov_b32 s21, exec_lo
	v_cmpx_ne_u16_e32 0x80, v0
	s_cbranch_execz .LBB294_634
; %bb.629:                              ;   in Loop: Header=BB294_16 Depth=1
	v_and_b32_e32 v2, 0x7f, v32
	v_mov_b32_e32 v73, 0x7c01
	s_mov_b32 s22, exec_lo
	s_delay_alu instid0(VALU_DEP_2)
	v_cmpx_ne_u32_e32 0x7f, v2
	s_cbranch_execz .LBB294_633
; %bb.630:                              ;   in Loop: Header=BB294_16 Depth=1
	v_and_b32_e32 v0, 7, v32
	v_lshrrev_b32_e32 v1, 3, v2
	s_mov_b32 s23, exec_lo
	v_cmpx_gt_u32_e32 8, v2
; %bb.631:                              ;   in Loop: Header=BB294_16 Depth=1
	s_delay_alu instid0(VALU_DEP_3) | instskip(NEXT) | instid1(VALU_DEP_1)
	v_clz_i32_u32_e32 v0, v0
	v_min_u32_e32 v2, 32, v0
	s_delay_alu instid0(VALU_DEP_1) | instskip(NEXT) | instid1(VALU_DEP_1)
	v_subrev_nc_u32_e32 v0, 28, v2
	v_lshlrev_b64_e32 v[0:1], v0, v[8:9]
	v_sub_nc_u32_e32 v1, 29, v2
	s_delay_alu instid0(VALU_DEP_2)
	v_and_b32_e32 v0, 7, v0
; %bb.632:                              ;   in Loop: Header=BB294_16 Depth=1
	s_wait_alu 0xfffe
	s_or_b32 exec_lo, exec_lo, s23
	v_lshlrev_b32_e32 v2, 8, v32
	v_lshl_add_u32 v1, v1, 10, 0x2000
	v_lshlrev_b32_e32 v0, 7, v0
	s_delay_alu instid0(VALU_DEP_3) | instskip(NEXT) | instid1(VALU_DEP_3)
	v_and_b32_e32 v2, 0x8000, v2
	v_and_b32_e32 v1, 0xfc00, v1
	s_delay_alu instid0(VALU_DEP_1)
	v_or3_b32 v73, v2, v1, v0
.LBB294_633:                            ;   in Loop: Header=BB294_16 Depth=1
	s_wait_alu 0xfffe
	s_or_b32 exec_lo, exec_lo, s22
.LBB294_634:                            ;   in Loop: Header=BB294_16 Depth=1
	s_wait_alu 0xfffe
	s_or_b32 exec_lo, exec_lo, s21
.LBB294_635:                            ;   in Loop: Header=BB294_16 Depth=1
	s_wait_alu 0xfffe
	s_or_b32 exec_lo, exec_lo, s20
	v_lshrrev_b16 v8, 8, v8
	v_dual_mov_b32 v75, 0 :: v_dual_mov_b32 v76, 0
	s_mov_b32 s20, exec_lo
	s_delay_alu instid0(VALU_DEP_2)
	v_cmpx_ne_u16_e32 0, v8
	s_cbranch_execz .LBB294_643
; %bb.636:                              ;   in Loop: Header=BB294_16 Depth=1
	v_bfrev_b32_e32 v76, 1
	s_mov_b32 s21, exec_lo
	v_cmpx_ne_u16_e32 0x80, v8
	s_cbranch_execz .LBB294_642
; %bb.637:                              ;   in Loop: Header=BB294_16 Depth=1
	v_and_b32_e32 v0, 0xffff, v8
	v_mov_b32_e32 v76, 0x7c010000
	s_mov_b32 s22, exec_lo
	s_delay_alu instid0(VALU_DEP_2) | instskip(NEXT) | instid1(VALU_DEP_1)
	v_and_b32_e32 v3, 0x7f, v0
	v_cmpx_ne_u32_e32 0x7f, v3
	s_cbranch_execz .LBB294_641
; %bb.638:                              ;   in Loop: Header=BB294_16 Depth=1
	v_and_b32_e32 v1, 7, v0
	v_lshrrev_b32_e32 v2, 3, v3
	s_mov_b32 s23, exec_lo
	v_cmpx_gt_u32_e32 8, v3
; %bb.639:                              ;   in Loop: Header=BB294_16 Depth=1
	s_delay_alu instid0(VALU_DEP_3) | instskip(NEXT) | instid1(VALU_DEP_1)
	v_clz_i32_u32_e32 v1, v1
	v_min_u32_e32 v3, 32, v1
	s_delay_alu instid0(VALU_DEP_1) | instskip(NEXT) | instid1(VALU_DEP_1)
	v_subrev_nc_u32_e32 v1, 28, v3
	v_lshlrev_b64_e32 v[1:2], v1, v[8:9]
	v_sub_nc_u32_e32 v2, 29, v3
	s_delay_alu instid0(VALU_DEP_2)
	v_and_b32_e32 v1, 7, v1
; %bb.640:                              ;   in Loop: Header=BB294_16 Depth=1
	s_wait_alu 0xfffe
	s_or_b32 exec_lo, exec_lo, s23
	v_lshlrev_b32_e32 v0, 8, v0
	v_lshl_add_u32 v2, v2, 10, 0x2000
	v_lshlrev_b32_e32 v1, 23, v1
	s_delay_alu instid0(VALU_DEP_2) | instskip(NEXT) | instid1(VALU_DEP_1)
	v_and_or_b32 v0, 0x8000, v0, v2
	v_lshl_or_b32 v76, v0, 16, v1
.LBB294_641:                            ;   in Loop: Header=BB294_16 Depth=1
	s_wait_alu 0xfffe
	s_or_b32 exec_lo, exec_lo, s22
.LBB294_642:                            ;   in Loop: Header=BB294_16 Depth=1
	s_wait_alu 0xfffe
	s_or_b32 exec_lo, exec_lo, s21
.LBB294_643:                            ;   in Loop: Header=BB294_16 Depth=1
	s_wait_alu 0xfffe
	s_or_b32 exec_lo, exec_lo, s20
	v_lshrrev_b32_e32 v8, 16, v32
	s_mov_b32 s20, exec_lo
	s_delay_alu instid0(VALU_DEP_1) | instskip(NEXT) | instid1(VALU_DEP_1)
	v_and_b32_e32 v0, 0xff, v8
	v_cmpx_ne_u16_e32 0, v0
	s_cbranch_execz .LBB294_651
; %bb.644:                              ;   in Loop: Header=BB294_16 Depth=1
	v_mov_b32_e32 v75, 0x8000
	s_mov_b32 s21, exec_lo
	v_cmpx_ne_u16_e32 0x80, v0
	s_cbranch_execz .LBB294_650
; %bb.645:                              ;   in Loop: Header=BB294_16 Depth=1
	v_bfe_u32 v2, v32, 16, 7
	v_mov_b32_e32 v75, 0x7c01
	s_mov_b32 s22, exec_lo
	s_delay_alu instid0(VALU_DEP_2)
	v_cmpx_ne_u32_e32 0x7f, v2
	s_cbranch_execz .LBB294_649
; %bb.646:                              ;   in Loop: Header=BB294_16 Depth=1
	v_and_b32_e32 v0, 7, v8
	v_lshrrev_b32_e32 v1, 3, v2
	s_mov_b32 s23, exec_lo
	v_cmpx_gt_u32_e32 8, v2
; %bb.647:                              ;   in Loop: Header=BB294_16 Depth=1
	s_delay_alu instid0(VALU_DEP_3) | instskip(NEXT) | instid1(VALU_DEP_1)
	v_clz_i32_u32_e32 v0, v0
	v_min_u32_e32 v2, 32, v0
	s_delay_alu instid0(VALU_DEP_1) | instskip(NEXT) | instid1(VALU_DEP_1)
	v_subrev_nc_u32_e32 v0, 28, v2
	v_lshlrev_b64_e32 v[0:1], v0, v[8:9]
	v_sub_nc_u32_e32 v1, 29, v2
	s_delay_alu instid0(VALU_DEP_2)
	v_and_b32_e32 v0, 7, v0
; %bb.648:                              ;   in Loop: Header=BB294_16 Depth=1
	s_wait_alu 0xfffe
	s_or_b32 exec_lo, exec_lo, s23
	v_lshlrev_b32_e32 v2, 8, v8
	v_lshl_add_u32 v1, v1, 10, 0x2000
	v_lshlrev_b32_e32 v0, 7, v0
	s_delay_alu instid0(VALU_DEP_3) | instskip(NEXT) | instid1(VALU_DEP_3)
	v_and_b32_e32 v2, 0x8000, v2
	v_and_b32_e32 v1, 0xfc00, v1
	s_delay_alu instid0(VALU_DEP_1)
	v_or3_b32 v75, v2, v1, v0
.LBB294_649:                            ;   in Loop: Header=BB294_16 Depth=1
	s_wait_alu 0xfffe
	s_or_b32 exec_lo, exec_lo, s22
.LBB294_650:                            ;   in Loop: Header=BB294_16 Depth=1
	s_wait_alu 0xfffe
	s_or_b32 exec_lo, exec_lo, s21
.LBB294_651:                            ;   in Loop: Header=BB294_16 Depth=1
	s_wait_alu 0xfffe
	s_or_b32 exec_lo, exec_lo, s20
	v_dual_mov_b32 v92, 0 :: v_dual_mov_b32 v91, 0
	s_mov_b32 s20, exec_lo
	v_cmpx_lt_u64_e64 s[10:11], v[31:32]
	s_cbranch_execz .LBB294_659
; %bb.652:                              ;   in Loop: Header=BB294_16 Depth=1
	v_lshrrev_b32_e32 v8, 24, v32
	v_bfrev_b32_e32 v91, 1
	s_mov_b32 s21, exec_lo
	s_delay_alu instid0(VALU_DEP_2)
	v_cmpx_ne_u32_e32 0x80, v8
	s_cbranch_execz .LBB294_658
; %bb.653:                              ;   in Loop: Header=BB294_16 Depth=1
	v_and_b32_e32 v2, 0x7f, v8
	v_mov_b32_e32 v91, 0x7c010000
	s_mov_b32 s22, exec_lo
	s_delay_alu instid0(VALU_DEP_2)
	v_cmpx_ne_u32_e32 0x7f, v2
	s_cbranch_execz .LBB294_657
; %bb.654:                              ;   in Loop: Header=BB294_16 Depth=1
	v_and_b32_e32 v0, 7, v8
	v_lshrrev_b32_e32 v1, 3, v2
	s_mov_b32 s23, exec_lo
	v_cmpx_gt_u32_e32 8, v2
; %bb.655:                              ;   in Loop: Header=BB294_16 Depth=1
	s_delay_alu instid0(VALU_DEP_3) | instskip(NEXT) | instid1(VALU_DEP_1)
	v_clz_i32_u32_e32 v0, v0
	v_min_u32_e32 v2, 32, v0
	s_delay_alu instid0(VALU_DEP_1) | instskip(NEXT) | instid1(VALU_DEP_1)
	v_subrev_nc_u32_e32 v0, 28, v2
	v_lshlrev_b64_e32 v[0:1], v0, v[8:9]
	v_sub_nc_u32_e32 v1, 29, v2
	s_delay_alu instid0(VALU_DEP_2)
	v_and_b32_e32 v0, 7, v0
; %bb.656:                              ;   in Loop: Header=BB294_16 Depth=1
	s_wait_alu 0xfffe
	s_or_b32 exec_lo, exec_lo, s23
	v_lshlrev_b32_e32 v2, 8, v8
	v_lshl_add_u32 v1, v1, 10, 0x2000
	v_lshlrev_b32_e32 v0, 23, v0
	s_delay_alu instid0(VALU_DEP_2) | instskip(NEXT) | instid1(VALU_DEP_1)
	v_and_or_b32 v1, 0x8000, v2, v1
	v_lshl_or_b32 v91, v1, 16, v0
.LBB294_657:                            ;   in Loop: Header=BB294_16 Depth=1
	s_wait_alu 0xfffe
	s_or_b32 exec_lo, exec_lo, s22
.LBB294_658:                            ;   in Loop: Header=BB294_16 Depth=1
	s_wait_alu 0xfffe
	s_or_b32 exec_lo, exec_lo, s21
.LBB294_659:                            ;   in Loop: Header=BB294_16 Depth=1
	s_wait_alu 0xfffe
	s_or_b32 exec_lo, exec_lo, s20
	flat_load_b64 v[31:32], v[28:29] offset:2560
	s_mov_b32 s20, exec_lo
	s_wait_loadcnt_dscnt 0x0
	v_and_b32_e32 v0, 0xff, v31
	s_delay_alu instid0(VALU_DEP_1)
	v_cmpx_ne_u16_e32 0, v0
	s_cbranch_execz .LBB294_667
; %bb.660:                              ;   in Loop: Header=BB294_16 Depth=1
	v_mov_b32_e32 v92, 0x8000
	s_mov_b32 s21, exec_lo
	v_cmpx_ne_u16_e32 0x80, v0
	s_cbranch_execz .LBB294_666
; %bb.661:                              ;   in Loop: Header=BB294_16 Depth=1
	v_and_b32_e32 v2, 0x7f, v31
	v_mov_b32_e32 v92, 0x7c01
	s_mov_b32 s22, exec_lo
	s_delay_alu instid0(VALU_DEP_2)
	v_cmpx_ne_u32_e32 0x7f, v2
	s_cbranch_execz .LBB294_665
; %bb.662:                              ;   in Loop: Header=BB294_16 Depth=1
	v_and_b32_e32 v0, 7, v31
	v_lshrrev_b32_e32 v1, 3, v2
	s_mov_b32 s23, exec_lo
	v_cmpx_gt_u32_e32 8, v2
; %bb.663:                              ;   in Loop: Header=BB294_16 Depth=1
	s_delay_alu instid0(VALU_DEP_3) | instskip(NEXT) | instid1(VALU_DEP_1)
	v_clz_i32_u32_e32 v0, v0
	v_min_u32_e32 v2, 32, v0
	s_delay_alu instid0(VALU_DEP_1) | instskip(NEXT) | instid1(VALU_DEP_1)
	v_subrev_nc_u32_e32 v0, 28, v2
	v_lshlrev_b64_e32 v[0:1], v0, v[31:32]
	v_sub_nc_u32_e32 v1, 29, v2
	s_delay_alu instid0(VALU_DEP_2)
	v_and_b32_e32 v0, 7, v0
; %bb.664:                              ;   in Loop: Header=BB294_16 Depth=1
	s_wait_alu 0xfffe
	s_or_b32 exec_lo, exec_lo, s23
	v_lshlrev_b32_e32 v2, 8, v31
	v_lshl_add_u32 v1, v1, 10, 0x2000
	v_lshlrev_b32_e32 v0, 7, v0
	s_delay_alu instid0(VALU_DEP_3) | instskip(NEXT) | instid1(VALU_DEP_3)
	v_and_b32_e32 v2, 0x8000, v2
	v_and_b32_e32 v1, 0xfc00, v1
	s_delay_alu instid0(VALU_DEP_1)
	v_or3_b32 v92, v2, v1, v0
.LBB294_665:                            ;   in Loop: Header=BB294_16 Depth=1
	s_wait_alu 0xfffe
	s_or_b32 exec_lo, exec_lo, s22
.LBB294_666:                            ;   in Loop: Header=BB294_16 Depth=1
	s_wait_alu 0xfffe
	s_or_b32 exec_lo, exec_lo, s21
.LBB294_667:                            ;   in Loop: Header=BB294_16 Depth=1
	s_wait_alu 0xfffe
	s_or_b32 exec_lo, exec_lo, s20
	v_lshrrev_b16 v8, 8, v31
	v_dual_mov_b32 v104, 0 :: v_dual_mov_b32 v95, 0
	s_mov_b32 s20, exec_lo
	s_delay_alu instid0(VALU_DEP_2)
	v_cmpx_ne_u16_e32 0, v8
	s_cbranch_execz .LBB294_675
; %bb.668:                              ;   in Loop: Header=BB294_16 Depth=1
	v_bfrev_b32_e32 v95, 1
	s_mov_b32 s21, exec_lo
	v_cmpx_ne_u16_e32 0x80, v8
	s_cbranch_execz .LBB294_674
; %bb.669:                              ;   in Loop: Header=BB294_16 Depth=1
	v_and_b32_e32 v0, 0xffff, v8
	v_mov_b32_e32 v95, 0x7c010000
	s_mov_b32 s22, exec_lo
	s_delay_alu instid0(VALU_DEP_2) | instskip(NEXT) | instid1(VALU_DEP_1)
	v_and_b32_e32 v3, 0x7f, v0
	v_cmpx_ne_u32_e32 0x7f, v3
	s_cbranch_execz .LBB294_673
; %bb.670:                              ;   in Loop: Header=BB294_16 Depth=1
	v_and_b32_e32 v1, 7, v0
	v_lshrrev_b32_e32 v2, 3, v3
	s_mov_b32 s23, exec_lo
	v_cmpx_gt_u32_e32 8, v3
; %bb.671:                              ;   in Loop: Header=BB294_16 Depth=1
	s_delay_alu instid0(VALU_DEP_3) | instskip(NEXT) | instid1(VALU_DEP_1)
	v_clz_i32_u32_e32 v1, v1
	v_min_u32_e32 v3, 32, v1
	s_delay_alu instid0(VALU_DEP_1) | instskip(NEXT) | instid1(VALU_DEP_1)
	v_subrev_nc_u32_e32 v1, 28, v3
	v_lshlrev_b64_e32 v[1:2], v1, v[8:9]
	v_sub_nc_u32_e32 v2, 29, v3
	s_delay_alu instid0(VALU_DEP_2)
	v_and_b32_e32 v1, 7, v1
; %bb.672:                              ;   in Loop: Header=BB294_16 Depth=1
	s_wait_alu 0xfffe
	s_or_b32 exec_lo, exec_lo, s23
	v_lshlrev_b32_e32 v0, 8, v0
	v_lshl_add_u32 v2, v2, 10, 0x2000
	v_lshlrev_b32_e32 v1, 23, v1
	s_delay_alu instid0(VALU_DEP_2) | instskip(NEXT) | instid1(VALU_DEP_1)
	v_and_or_b32 v0, 0x8000, v0, v2
	v_lshl_or_b32 v95, v0, 16, v1
.LBB294_673:                            ;   in Loop: Header=BB294_16 Depth=1
	s_wait_alu 0xfffe
	s_or_b32 exec_lo, exec_lo, s22
.LBB294_674:                            ;   in Loop: Header=BB294_16 Depth=1
	s_wait_alu 0xfffe
	s_or_b32 exec_lo, exec_lo, s21
.LBB294_675:                            ;   in Loop: Header=BB294_16 Depth=1
	s_wait_alu 0xfffe
	s_or_b32 exec_lo, exec_lo, s20
	v_lshrrev_b32_e32 v8, 16, v31
	s_mov_b32 s20, exec_lo
	s_delay_alu instid0(VALU_DEP_1) | instskip(NEXT) | instid1(VALU_DEP_1)
	v_and_b32_e32 v0, 0xff, v8
	v_cmpx_ne_u16_e32 0, v0
	s_cbranch_execz .LBB294_683
; %bb.676:                              ;   in Loop: Header=BB294_16 Depth=1
	v_mov_b32_e32 v104, 0x8000
	s_mov_b32 s21, exec_lo
	v_cmpx_ne_u16_e32 0x80, v0
	s_cbranch_execz .LBB294_682
; %bb.677:                              ;   in Loop: Header=BB294_16 Depth=1
	v_bfe_u32 v2, v31, 16, 7
	v_mov_b32_e32 v104, 0x7c01
	s_mov_b32 s22, exec_lo
	s_delay_alu instid0(VALU_DEP_2)
	v_cmpx_ne_u32_e32 0x7f, v2
	s_cbranch_execz .LBB294_681
; %bb.678:                              ;   in Loop: Header=BB294_16 Depth=1
	v_and_b32_e32 v0, 7, v8
	v_lshrrev_b32_e32 v1, 3, v2
	s_mov_b32 s23, exec_lo
	v_cmpx_gt_u32_e32 8, v2
; %bb.679:                              ;   in Loop: Header=BB294_16 Depth=1
	s_delay_alu instid0(VALU_DEP_3) | instskip(NEXT) | instid1(VALU_DEP_1)
	v_clz_i32_u32_e32 v0, v0
	v_min_u32_e32 v2, 32, v0
	s_delay_alu instid0(VALU_DEP_1) | instskip(NEXT) | instid1(VALU_DEP_1)
	v_subrev_nc_u32_e32 v0, 28, v2
	v_lshlrev_b64_e32 v[0:1], v0, v[8:9]
	v_sub_nc_u32_e32 v1, 29, v2
	s_delay_alu instid0(VALU_DEP_2)
	v_and_b32_e32 v0, 7, v0
; %bb.680:                              ;   in Loop: Header=BB294_16 Depth=1
	s_wait_alu 0xfffe
	s_or_b32 exec_lo, exec_lo, s23
	v_lshlrev_b32_e32 v2, 8, v8
	v_lshl_add_u32 v1, v1, 10, 0x2000
	v_lshlrev_b32_e32 v0, 7, v0
	s_delay_alu instid0(VALU_DEP_3) | instskip(NEXT) | instid1(VALU_DEP_3)
	v_and_b32_e32 v2, 0x8000, v2
	v_and_b32_e32 v1, 0xfc00, v1
	s_delay_alu instid0(VALU_DEP_1)
	v_or3_b32 v104, v2, v1, v0
.LBB294_681:                            ;   in Loop: Header=BB294_16 Depth=1
	s_wait_alu 0xfffe
	s_or_b32 exec_lo, exec_lo, s22
.LBB294_682:                            ;   in Loop: Header=BB294_16 Depth=1
	s_wait_alu 0xfffe
	s_or_b32 exec_lo, exec_lo, s21
.LBB294_683:                            ;   in Loop: Header=BB294_16 Depth=1
	s_wait_alu 0xfffe
	s_or_b32 exec_lo, exec_lo, s20
	v_dual_mov_b32 v111, 0 :: v_dual_mov_b32 v120, 0
	s_mov_b32 s20, exec_lo
	v_cmpx_lt_u32_e32 0xffffff, v31
	s_cbranch_execz .LBB294_691
; %bb.684:                              ;   in Loop: Header=BB294_16 Depth=1
	v_lshrrev_b32_e32 v8, 24, v31
	v_bfrev_b32_e32 v120, 1
	s_mov_b32 s21, exec_lo
	s_delay_alu instid0(VALU_DEP_2)
	v_cmpx_ne_u32_e32 0x80, v8
	s_cbranch_execz .LBB294_690
; %bb.685:                              ;   in Loop: Header=BB294_16 Depth=1
	v_and_b32_e32 v2, 0x7f, v8
	v_mov_b32_e32 v120, 0x7c010000
	s_mov_b32 s22, exec_lo
	s_delay_alu instid0(VALU_DEP_2)
	v_cmpx_ne_u32_e32 0x7f, v2
	s_cbranch_execz .LBB294_689
; %bb.686:                              ;   in Loop: Header=BB294_16 Depth=1
	v_and_b32_e32 v0, 7, v8
	v_lshrrev_b32_e32 v1, 3, v2
	s_mov_b32 s23, exec_lo
	v_cmpx_gt_u32_e32 8, v2
; %bb.687:                              ;   in Loop: Header=BB294_16 Depth=1
	s_delay_alu instid0(VALU_DEP_3) | instskip(NEXT) | instid1(VALU_DEP_1)
	v_clz_i32_u32_e32 v0, v0
	v_min_u32_e32 v2, 32, v0
	s_delay_alu instid0(VALU_DEP_1) | instskip(NEXT) | instid1(VALU_DEP_1)
	v_subrev_nc_u32_e32 v0, 28, v2
	v_lshlrev_b64_e32 v[0:1], v0, v[8:9]
	v_sub_nc_u32_e32 v1, 29, v2
	s_delay_alu instid0(VALU_DEP_2)
	v_and_b32_e32 v0, 7, v0
; %bb.688:                              ;   in Loop: Header=BB294_16 Depth=1
	s_wait_alu 0xfffe
	s_or_b32 exec_lo, exec_lo, s23
	v_lshlrev_b32_e32 v2, 8, v8
	v_lshl_add_u32 v1, v1, 10, 0x2000
	v_lshlrev_b32_e32 v0, 23, v0
	s_delay_alu instid0(VALU_DEP_2) | instskip(NEXT) | instid1(VALU_DEP_1)
	v_and_or_b32 v1, 0x8000, v2, v1
	v_lshl_or_b32 v120, v1, 16, v0
.LBB294_689:                            ;   in Loop: Header=BB294_16 Depth=1
	s_wait_alu 0xfffe
	s_or_b32 exec_lo, exec_lo, s22
.LBB294_690:                            ;   in Loop: Header=BB294_16 Depth=1
	s_wait_alu 0xfffe
	s_or_b32 exec_lo, exec_lo, s21
.LBB294_691:                            ;   in Loop: Header=BB294_16 Depth=1
	s_wait_alu 0xfffe
	s_or_b32 exec_lo, exec_lo, s20
	v_and_b32_e32 v0, 0xff, v32
	v_mov_b32_e32 v8, v32
	s_mov_b32 s20, exec_lo
	s_delay_alu instid0(VALU_DEP_2)
	v_cmpx_ne_u16_e32 0, v0
	s_cbranch_execz .LBB294_699
; %bb.692:                              ;   in Loop: Header=BB294_16 Depth=1
	v_mov_b32_e32 v111, 0x8000
	s_mov_b32 s21, exec_lo
	v_cmpx_ne_u16_e32 0x80, v0
	s_cbranch_execz .LBB294_698
; %bb.693:                              ;   in Loop: Header=BB294_16 Depth=1
	v_and_b32_e32 v2, 0x7f, v32
	v_mov_b32_e32 v111, 0x7c01
	s_mov_b32 s22, exec_lo
	s_delay_alu instid0(VALU_DEP_2)
	v_cmpx_ne_u32_e32 0x7f, v2
	s_cbranch_execz .LBB294_697
; %bb.694:                              ;   in Loop: Header=BB294_16 Depth=1
	v_and_b32_e32 v0, 7, v32
	v_lshrrev_b32_e32 v1, 3, v2
	s_mov_b32 s23, exec_lo
	v_cmpx_gt_u32_e32 8, v2
; %bb.695:                              ;   in Loop: Header=BB294_16 Depth=1
	s_delay_alu instid0(VALU_DEP_3) | instskip(NEXT) | instid1(VALU_DEP_1)
	v_clz_i32_u32_e32 v0, v0
	v_min_u32_e32 v2, 32, v0
	s_delay_alu instid0(VALU_DEP_1) | instskip(NEXT) | instid1(VALU_DEP_1)
	v_subrev_nc_u32_e32 v0, 28, v2
	v_lshlrev_b64_e32 v[0:1], v0, v[8:9]
	v_sub_nc_u32_e32 v1, 29, v2
	s_delay_alu instid0(VALU_DEP_2)
	v_and_b32_e32 v0, 7, v0
; %bb.696:                              ;   in Loop: Header=BB294_16 Depth=1
	s_wait_alu 0xfffe
	s_or_b32 exec_lo, exec_lo, s23
	v_lshlrev_b32_e32 v2, 8, v32
	v_lshl_add_u32 v1, v1, 10, 0x2000
	v_lshlrev_b32_e32 v0, 7, v0
	s_delay_alu instid0(VALU_DEP_3) | instskip(NEXT) | instid1(VALU_DEP_3)
	v_and_b32_e32 v2, 0x8000, v2
	v_and_b32_e32 v1, 0xfc00, v1
	s_delay_alu instid0(VALU_DEP_1)
	v_or3_b32 v111, v2, v1, v0
.LBB294_697:                            ;   in Loop: Header=BB294_16 Depth=1
	s_wait_alu 0xfffe
	s_or_b32 exec_lo, exec_lo, s22
.LBB294_698:                            ;   in Loop: Header=BB294_16 Depth=1
	s_wait_alu 0xfffe
	s_or_b32 exec_lo, exec_lo, s21
.LBB294_699:                            ;   in Loop: Header=BB294_16 Depth=1
	s_wait_alu 0xfffe
	s_or_b32 exec_lo, exec_lo, s20
	v_lshrrev_b16 v8, 8, v8
	v_dual_mov_b32 v123, 0 :: v_dual_mov_b32 v124, 0
	s_mov_b32 s20, exec_lo
	s_delay_alu instid0(VALU_DEP_2)
	v_cmpx_ne_u16_e32 0, v8
	s_cbranch_execz .LBB294_707
; %bb.700:                              ;   in Loop: Header=BB294_16 Depth=1
	v_bfrev_b32_e32 v124, 1
	s_mov_b32 s21, exec_lo
	v_cmpx_ne_u16_e32 0x80, v8
	s_cbranch_execz .LBB294_706
; %bb.701:                              ;   in Loop: Header=BB294_16 Depth=1
	v_and_b32_e32 v0, 0xffff, v8
	v_mov_b32_e32 v124, 0x7c010000
	s_mov_b32 s22, exec_lo
	s_delay_alu instid0(VALU_DEP_2) | instskip(NEXT) | instid1(VALU_DEP_1)
	v_and_b32_e32 v3, 0x7f, v0
	v_cmpx_ne_u32_e32 0x7f, v3
	s_cbranch_execz .LBB294_705
; %bb.702:                              ;   in Loop: Header=BB294_16 Depth=1
	v_and_b32_e32 v1, 7, v0
	v_lshrrev_b32_e32 v2, 3, v3
	s_mov_b32 s23, exec_lo
	v_cmpx_gt_u32_e32 8, v3
; %bb.703:                              ;   in Loop: Header=BB294_16 Depth=1
	s_delay_alu instid0(VALU_DEP_3) | instskip(NEXT) | instid1(VALU_DEP_1)
	v_clz_i32_u32_e32 v1, v1
	v_min_u32_e32 v3, 32, v1
	s_delay_alu instid0(VALU_DEP_1) | instskip(NEXT) | instid1(VALU_DEP_1)
	v_subrev_nc_u32_e32 v1, 28, v3
	v_lshlrev_b64_e32 v[1:2], v1, v[8:9]
	v_sub_nc_u32_e32 v2, 29, v3
	s_delay_alu instid0(VALU_DEP_2)
	v_and_b32_e32 v1, 7, v1
; %bb.704:                              ;   in Loop: Header=BB294_16 Depth=1
	s_wait_alu 0xfffe
	s_or_b32 exec_lo, exec_lo, s23
	v_lshlrev_b32_e32 v0, 8, v0
	v_lshl_add_u32 v2, v2, 10, 0x2000
	v_lshlrev_b32_e32 v1, 23, v1
	s_delay_alu instid0(VALU_DEP_2) | instskip(NEXT) | instid1(VALU_DEP_1)
	v_and_or_b32 v0, 0x8000, v0, v2
	v_lshl_or_b32 v124, v0, 16, v1
.LBB294_705:                            ;   in Loop: Header=BB294_16 Depth=1
	s_wait_alu 0xfffe
	s_or_b32 exec_lo, exec_lo, s22
.LBB294_706:                            ;   in Loop: Header=BB294_16 Depth=1
	s_wait_alu 0xfffe
	s_or_b32 exec_lo, exec_lo, s21
.LBB294_707:                            ;   in Loop: Header=BB294_16 Depth=1
	s_wait_alu 0xfffe
	s_or_b32 exec_lo, exec_lo, s20
	v_lshrrev_b32_e32 v8, 16, v32
	s_mov_b32 s20, exec_lo
	s_delay_alu instid0(VALU_DEP_1) | instskip(NEXT) | instid1(VALU_DEP_1)
	v_and_b32_e32 v0, 0xff, v8
	v_cmpx_ne_u16_e32 0, v0
	s_cbranch_execz .LBB294_715
; %bb.708:                              ;   in Loop: Header=BB294_16 Depth=1
	v_mov_b32_e32 v123, 0x8000
	s_mov_b32 s21, exec_lo
	v_cmpx_ne_u16_e32 0x80, v0
	s_cbranch_execz .LBB294_714
; %bb.709:                              ;   in Loop: Header=BB294_16 Depth=1
	v_bfe_u32 v2, v32, 16, 7
	v_mov_b32_e32 v123, 0x7c01
	s_mov_b32 s22, exec_lo
	s_delay_alu instid0(VALU_DEP_2)
	v_cmpx_ne_u32_e32 0x7f, v2
	s_cbranch_execz .LBB294_713
; %bb.710:                              ;   in Loop: Header=BB294_16 Depth=1
	v_and_b32_e32 v0, 7, v8
	v_lshrrev_b32_e32 v1, 3, v2
	s_mov_b32 s23, exec_lo
	v_cmpx_gt_u32_e32 8, v2
; %bb.711:                              ;   in Loop: Header=BB294_16 Depth=1
	s_delay_alu instid0(VALU_DEP_3) | instskip(NEXT) | instid1(VALU_DEP_1)
	v_clz_i32_u32_e32 v0, v0
	v_min_u32_e32 v2, 32, v0
	s_delay_alu instid0(VALU_DEP_1) | instskip(NEXT) | instid1(VALU_DEP_1)
	v_subrev_nc_u32_e32 v0, 28, v2
	v_lshlrev_b64_e32 v[0:1], v0, v[8:9]
	v_sub_nc_u32_e32 v1, 29, v2
	s_delay_alu instid0(VALU_DEP_2)
	v_and_b32_e32 v0, 7, v0
; %bb.712:                              ;   in Loop: Header=BB294_16 Depth=1
	s_wait_alu 0xfffe
	s_or_b32 exec_lo, exec_lo, s23
	v_lshlrev_b32_e32 v2, 8, v8
	v_lshl_add_u32 v1, v1, 10, 0x2000
	v_lshlrev_b32_e32 v0, 7, v0
	s_delay_alu instid0(VALU_DEP_3) | instskip(NEXT) | instid1(VALU_DEP_3)
	v_and_b32_e32 v2, 0x8000, v2
	v_and_b32_e32 v1, 0xfc00, v1
	s_delay_alu instid0(VALU_DEP_1)
	v_or3_b32 v123, v2, v1, v0
.LBB294_713:                            ;   in Loop: Header=BB294_16 Depth=1
	s_wait_alu 0xfffe
	s_or_b32 exec_lo, exec_lo, s22
.LBB294_714:                            ;   in Loop: Header=BB294_16 Depth=1
	s_wait_alu 0xfffe
	s_or_b32 exec_lo, exec_lo, s21
.LBB294_715:                            ;   in Loop: Header=BB294_16 Depth=1
	s_wait_alu 0xfffe
	s_or_b32 exec_lo, exec_lo, s20
	v_dual_mov_b32 v170, 0 :: v_dual_mov_b32 v125, 0
	s_mov_b32 s20, exec_lo
	v_cmpx_lt_u64_e64 s[10:11], v[31:32]
	s_cbranch_execz .LBB294_723
; %bb.716:                              ;   in Loop: Header=BB294_16 Depth=1
	v_lshrrev_b32_e32 v8, 24, v32
	v_bfrev_b32_e32 v125, 1
	s_mov_b32 s21, exec_lo
	s_delay_alu instid0(VALU_DEP_2)
	v_cmpx_ne_u32_e32 0x80, v8
	s_cbranch_execz .LBB294_722
; %bb.717:                              ;   in Loop: Header=BB294_16 Depth=1
	v_and_b32_e32 v2, 0x7f, v8
	v_mov_b32_e32 v125, 0x7c010000
	s_mov_b32 s22, exec_lo
	s_delay_alu instid0(VALU_DEP_2)
	v_cmpx_ne_u32_e32 0x7f, v2
	s_cbranch_execz .LBB294_721
; %bb.718:                              ;   in Loop: Header=BB294_16 Depth=1
	v_and_b32_e32 v0, 7, v8
	v_lshrrev_b32_e32 v1, 3, v2
	s_mov_b32 s23, exec_lo
	v_cmpx_gt_u32_e32 8, v2
; %bb.719:                              ;   in Loop: Header=BB294_16 Depth=1
	s_delay_alu instid0(VALU_DEP_3) | instskip(NEXT) | instid1(VALU_DEP_1)
	v_clz_i32_u32_e32 v0, v0
	v_min_u32_e32 v2, 32, v0
	s_delay_alu instid0(VALU_DEP_1) | instskip(NEXT) | instid1(VALU_DEP_1)
	v_subrev_nc_u32_e32 v0, 28, v2
	v_lshlrev_b64_e32 v[0:1], v0, v[8:9]
	v_sub_nc_u32_e32 v1, 29, v2
	s_delay_alu instid0(VALU_DEP_2)
	v_and_b32_e32 v0, 7, v0
; %bb.720:                              ;   in Loop: Header=BB294_16 Depth=1
	s_wait_alu 0xfffe
	s_or_b32 exec_lo, exec_lo, s23
	v_lshlrev_b32_e32 v2, 8, v8
	v_lshl_add_u32 v1, v1, 10, 0x2000
	v_lshlrev_b32_e32 v0, 23, v0
	s_delay_alu instid0(VALU_DEP_2) | instskip(NEXT) | instid1(VALU_DEP_1)
	v_and_or_b32 v1, 0x8000, v2, v1
	v_lshl_or_b32 v125, v1, 16, v0
.LBB294_721:                            ;   in Loop: Header=BB294_16 Depth=1
	s_wait_alu 0xfffe
	s_or_b32 exec_lo, exec_lo, s22
.LBB294_722:                            ;   in Loop: Header=BB294_16 Depth=1
	s_wait_alu 0xfffe
	s_or_b32 exec_lo, exec_lo, s21
.LBB294_723:                            ;   in Loop: Header=BB294_16 Depth=1
	s_wait_alu 0xfffe
	s_or_b32 exec_lo, exec_lo, s20
	flat_load_b64 v[31:32], v[28:29] offset:2568
	s_mov_b32 s20, exec_lo
	s_wait_loadcnt_dscnt 0x0
	v_and_b32_e32 v0, 0xff, v31
	s_delay_alu instid0(VALU_DEP_1)
	v_cmpx_ne_u16_e32 0, v0
	s_cbranch_execz .LBB294_731
; %bb.724:                              ;   in Loop: Header=BB294_16 Depth=1
	v_mov_b32_e32 v170, 0x8000
	s_mov_b32 s21, exec_lo
	v_cmpx_ne_u16_e32 0x80, v0
	s_cbranch_execz .LBB294_730
; %bb.725:                              ;   in Loop: Header=BB294_16 Depth=1
	v_and_b32_e32 v2, 0x7f, v31
	v_mov_b32_e32 v170, 0x7c01
	s_mov_b32 s22, exec_lo
	s_delay_alu instid0(VALU_DEP_2)
	v_cmpx_ne_u32_e32 0x7f, v2
	s_cbranch_execz .LBB294_729
; %bb.726:                              ;   in Loop: Header=BB294_16 Depth=1
	v_and_b32_e32 v0, 7, v31
	v_lshrrev_b32_e32 v1, 3, v2
	s_mov_b32 s23, exec_lo
	v_cmpx_gt_u32_e32 8, v2
; %bb.727:                              ;   in Loop: Header=BB294_16 Depth=1
	s_delay_alu instid0(VALU_DEP_3) | instskip(NEXT) | instid1(VALU_DEP_1)
	v_clz_i32_u32_e32 v0, v0
	v_min_u32_e32 v2, 32, v0
	s_delay_alu instid0(VALU_DEP_1) | instskip(NEXT) | instid1(VALU_DEP_1)
	v_subrev_nc_u32_e32 v0, 28, v2
	v_lshlrev_b64_e32 v[0:1], v0, v[31:32]
	v_sub_nc_u32_e32 v1, 29, v2
	s_delay_alu instid0(VALU_DEP_2)
	v_and_b32_e32 v0, 7, v0
; %bb.728:                              ;   in Loop: Header=BB294_16 Depth=1
	s_wait_alu 0xfffe
	s_or_b32 exec_lo, exec_lo, s23
	v_lshlrev_b32_e32 v2, 8, v31
	v_lshl_add_u32 v1, v1, 10, 0x2000
	v_lshlrev_b32_e32 v0, 7, v0
	s_delay_alu instid0(VALU_DEP_3) | instskip(NEXT) | instid1(VALU_DEP_3)
	v_and_b32_e32 v2, 0x8000, v2
	v_and_b32_e32 v1, 0xfc00, v1
	s_delay_alu instid0(VALU_DEP_1)
	v_or3_b32 v170, v2, v1, v0
.LBB294_729:                            ;   in Loop: Header=BB294_16 Depth=1
	s_wait_alu 0xfffe
	s_or_b32 exec_lo, exec_lo, s22
.LBB294_730:                            ;   in Loop: Header=BB294_16 Depth=1
	s_wait_alu 0xfffe
	s_or_b32 exec_lo, exec_lo, s21
.LBB294_731:                            ;   in Loop: Header=BB294_16 Depth=1
	s_wait_alu 0xfffe
	s_or_b32 exec_lo, exec_lo, s20
	v_lshrrev_b16 v8, 8, v31
	v_dual_mov_b32 v136, 0 :: v_dual_mov_b32 v127, 0
	s_mov_b32 s20, exec_lo
	s_delay_alu instid0(VALU_DEP_2)
	v_cmpx_ne_u16_e32 0, v8
	s_cbranch_execz .LBB294_739
; %bb.732:                              ;   in Loop: Header=BB294_16 Depth=1
	v_bfrev_b32_e32 v127, 1
	s_mov_b32 s21, exec_lo
	v_cmpx_ne_u16_e32 0x80, v8
	s_cbranch_execz .LBB294_738
; %bb.733:                              ;   in Loop: Header=BB294_16 Depth=1
	v_and_b32_e32 v0, 0xffff, v8
	v_mov_b32_e32 v127, 0x7c010000
	s_mov_b32 s22, exec_lo
	s_delay_alu instid0(VALU_DEP_2) | instskip(NEXT) | instid1(VALU_DEP_1)
	v_and_b32_e32 v3, 0x7f, v0
	v_cmpx_ne_u32_e32 0x7f, v3
	s_cbranch_execz .LBB294_737
; %bb.734:                              ;   in Loop: Header=BB294_16 Depth=1
	v_and_b32_e32 v1, 7, v0
	v_lshrrev_b32_e32 v2, 3, v3
	s_mov_b32 s23, exec_lo
	v_cmpx_gt_u32_e32 8, v3
; %bb.735:                              ;   in Loop: Header=BB294_16 Depth=1
	s_delay_alu instid0(VALU_DEP_3) | instskip(NEXT) | instid1(VALU_DEP_1)
	v_clz_i32_u32_e32 v1, v1
	v_min_u32_e32 v3, 32, v1
	s_delay_alu instid0(VALU_DEP_1) | instskip(NEXT) | instid1(VALU_DEP_1)
	v_subrev_nc_u32_e32 v1, 28, v3
	v_lshlrev_b64_e32 v[1:2], v1, v[8:9]
	v_sub_nc_u32_e32 v2, 29, v3
	s_delay_alu instid0(VALU_DEP_2)
	v_and_b32_e32 v1, 7, v1
; %bb.736:                              ;   in Loop: Header=BB294_16 Depth=1
	s_wait_alu 0xfffe
	s_or_b32 exec_lo, exec_lo, s23
	v_lshlrev_b32_e32 v0, 8, v0
	v_lshl_add_u32 v2, v2, 10, 0x2000
	v_lshlrev_b32_e32 v1, 23, v1
	s_delay_alu instid0(VALU_DEP_2) | instskip(NEXT) | instid1(VALU_DEP_1)
	v_and_or_b32 v0, 0x8000, v0, v2
	v_lshl_or_b32 v127, v0, 16, v1
.LBB294_737:                            ;   in Loop: Header=BB294_16 Depth=1
	s_wait_alu 0xfffe
	s_or_b32 exec_lo, exec_lo, s22
.LBB294_738:                            ;   in Loop: Header=BB294_16 Depth=1
	s_wait_alu 0xfffe
	s_or_b32 exec_lo, exec_lo, s21
.LBB294_739:                            ;   in Loop: Header=BB294_16 Depth=1
	s_wait_alu 0xfffe
	s_or_b32 exec_lo, exec_lo, s20
	v_lshrrev_b32_e32 v8, 16, v31
	s_mov_b32 s20, exec_lo
	s_delay_alu instid0(VALU_DEP_1) | instskip(NEXT) | instid1(VALU_DEP_1)
	v_and_b32_e32 v0, 0xff, v8
	v_cmpx_ne_u16_e32 0, v0
	s_cbranch_execz .LBB294_747
; %bb.740:                              ;   in Loop: Header=BB294_16 Depth=1
	v_mov_b32_e32 v136, 0x8000
	s_mov_b32 s21, exec_lo
	v_cmpx_ne_u16_e32 0x80, v0
	s_cbranch_execz .LBB294_746
; %bb.741:                              ;   in Loop: Header=BB294_16 Depth=1
	v_bfe_u32 v2, v31, 16, 7
	v_mov_b32_e32 v136, 0x7c01
	s_mov_b32 s22, exec_lo
	s_delay_alu instid0(VALU_DEP_2)
	v_cmpx_ne_u32_e32 0x7f, v2
	s_cbranch_execz .LBB294_745
; %bb.742:                              ;   in Loop: Header=BB294_16 Depth=1
	v_and_b32_e32 v0, 7, v8
	v_lshrrev_b32_e32 v1, 3, v2
	s_mov_b32 s23, exec_lo
	v_cmpx_gt_u32_e32 8, v2
; %bb.743:                              ;   in Loop: Header=BB294_16 Depth=1
	s_delay_alu instid0(VALU_DEP_3) | instskip(NEXT) | instid1(VALU_DEP_1)
	v_clz_i32_u32_e32 v0, v0
	v_min_u32_e32 v2, 32, v0
	s_delay_alu instid0(VALU_DEP_1) | instskip(NEXT) | instid1(VALU_DEP_1)
	v_subrev_nc_u32_e32 v0, 28, v2
	v_lshlrev_b64_e32 v[0:1], v0, v[8:9]
	v_sub_nc_u32_e32 v1, 29, v2
	s_delay_alu instid0(VALU_DEP_2)
	v_and_b32_e32 v0, 7, v0
; %bb.744:                              ;   in Loop: Header=BB294_16 Depth=1
	s_wait_alu 0xfffe
	s_or_b32 exec_lo, exec_lo, s23
	v_lshlrev_b32_e32 v2, 8, v8
	v_lshl_add_u32 v1, v1, 10, 0x2000
	v_lshlrev_b32_e32 v0, 7, v0
	s_delay_alu instid0(VALU_DEP_3) | instskip(NEXT) | instid1(VALU_DEP_3)
	v_and_b32_e32 v2, 0x8000, v2
	v_and_b32_e32 v1, 0xfc00, v1
	s_delay_alu instid0(VALU_DEP_1)
	v_or3_b32 v136, v2, v1, v0
.LBB294_745:                            ;   in Loop: Header=BB294_16 Depth=1
	s_wait_alu 0xfffe
	s_or_b32 exec_lo, exec_lo, s22
.LBB294_746:                            ;   in Loop: Header=BB294_16 Depth=1
	s_wait_alu 0xfffe
	s_or_b32 exec_lo, exec_lo, s21
.LBB294_747:                            ;   in Loop: Header=BB294_16 Depth=1
	s_wait_alu 0xfffe
	s_or_b32 exec_lo, exec_lo, s20
	v_dual_mov_b32 v141, 0 :: v_dual_mov_b32 v142, 0
	s_mov_b32 s20, exec_lo
	v_cmpx_lt_u32_e32 0xffffff, v31
	s_cbranch_execz .LBB294_755
; %bb.748:                              ;   in Loop: Header=BB294_16 Depth=1
	v_lshrrev_b32_e32 v8, 24, v31
	v_bfrev_b32_e32 v142, 1
	s_mov_b32 s21, exec_lo
	s_delay_alu instid0(VALU_DEP_2)
	v_cmpx_ne_u32_e32 0x80, v8
	s_cbranch_execz .LBB294_754
; %bb.749:                              ;   in Loop: Header=BB294_16 Depth=1
	v_and_b32_e32 v2, 0x7f, v8
	v_mov_b32_e32 v142, 0x7c010000
	s_mov_b32 s22, exec_lo
	s_delay_alu instid0(VALU_DEP_2)
	v_cmpx_ne_u32_e32 0x7f, v2
	s_cbranch_execz .LBB294_753
; %bb.750:                              ;   in Loop: Header=BB294_16 Depth=1
	v_and_b32_e32 v0, 7, v8
	v_lshrrev_b32_e32 v1, 3, v2
	s_mov_b32 s23, exec_lo
	v_cmpx_gt_u32_e32 8, v2
; %bb.751:                              ;   in Loop: Header=BB294_16 Depth=1
	s_delay_alu instid0(VALU_DEP_3) | instskip(NEXT) | instid1(VALU_DEP_1)
	v_clz_i32_u32_e32 v0, v0
	v_min_u32_e32 v2, 32, v0
	s_delay_alu instid0(VALU_DEP_1) | instskip(NEXT) | instid1(VALU_DEP_1)
	v_subrev_nc_u32_e32 v0, 28, v2
	v_lshlrev_b64_e32 v[0:1], v0, v[8:9]
	v_sub_nc_u32_e32 v1, 29, v2
	s_delay_alu instid0(VALU_DEP_2)
	v_and_b32_e32 v0, 7, v0
; %bb.752:                              ;   in Loop: Header=BB294_16 Depth=1
	s_wait_alu 0xfffe
	s_or_b32 exec_lo, exec_lo, s23
	v_lshlrev_b32_e32 v2, 8, v8
	v_lshl_add_u32 v1, v1, 10, 0x2000
	v_lshlrev_b32_e32 v0, 23, v0
	s_delay_alu instid0(VALU_DEP_2) | instskip(NEXT) | instid1(VALU_DEP_1)
	v_and_or_b32 v1, 0x8000, v2, v1
	v_lshl_or_b32 v142, v1, 16, v0
.LBB294_753:                            ;   in Loop: Header=BB294_16 Depth=1
	s_wait_alu 0xfffe
	s_or_b32 exec_lo, exec_lo, s22
.LBB294_754:                            ;   in Loop: Header=BB294_16 Depth=1
	s_wait_alu 0xfffe
	s_or_b32 exec_lo, exec_lo, s21
.LBB294_755:                            ;   in Loop: Header=BB294_16 Depth=1
	s_wait_alu 0xfffe
	s_or_b32 exec_lo, exec_lo, s20
	v_and_b32_e32 v0, 0xff, v32
	v_mov_b32_e32 v8, v32
	s_mov_b32 s20, exec_lo
	s_delay_alu instid0(VALU_DEP_2)
	v_cmpx_ne_u16_e32 0, v0
	s_cbranch_execz .LBB294_763
; %bb.756:                              ;   in Loop: Header=BB294_16 Depth=1
	v_mov_b32_e32 v141, 0x8000
	s_mov_b32 s21, exec_lo
	v_cmpx_ne_u16_e32 0x80, v0
	s_cbranch_execz .LBB294_762
; %bb.757:                              ;   in Loop: Header=BB294_16 Depth=1
	v_and_b32_e32 v2, 0x7f, v32
	v_mov_b32_e32 v141, 0x7c01
	s_mov_b32 s22, exec_lo
	s_delay_alu instid0(VALU_DEP_2)
	v_cmpx_ne_u32_e32 0x7f, v2
	s_cbranch_execz .LBB294_761
; %bb.758:                              ;   in Loop: Header=BB294_16 Depth=1
	v_and_b32_e32 v0, 7, v32
	v_lshrrev_b32_e32 v1, 3, v2
	s_mov_b32 s23, exec_lo
	v_cmpx_gt_u32_e32 8, v2
; %bb.759:                              ;   in Loop: Header=BB294_16 Depth=1
	s_delay_alu instid0(VALU_DEP_3) | instskip(NEXT) | instid1(VALU_DEP_1)
	v_clz_i32_u32_e32 v0, v0
	v_min_u32_e32 v2, 32, v0
	s_delay_alu instid0(VALU_DEP_1) | instskip(NEXT) | instid1(VALU_DEP_1)
	v_subrev_nc_u32_e32 v0, 28, v2
	v_lshlrev_b64_e32 v[0:1], v0, v[8:9]
	v_sub_nc_u32_e32 v1, 29, v2
	s_delay_alu instid0(VALU_DEP_2)
	v_and_b32_e32 v0, 7, v0
; %bb.760:                              ;   in Loop: Header=BB294_16 Depth=1
	s_wait_alu 0xfffe
	s_or_b32 exec_lo, exec_lo, s23
	v_lshlrev_b32_e32 v2, 8, v32
	v_lshl_add_u32 v1, v1, 10, 0x2000
	v_lshlrev_b32_e32 v0, 7, v0
	s_delay_alu instid0(VALU_DEP_3) | instskip(NEXT) | instid1(VALU_DEP_3)
	v_and_b32_e32 v2, 0x8000, v2
	v_and_b32_e32 v1, 0xfc00, v1
	s_delay_alu instid0(VALU_DEP_1)
	v_or3_b32 v141, v2, v1, v0
.LBB294_761:                            ;   in Loop: Header=BB294_16 Depth=1
	s_wait_alu 0xfffe
	s_or_b32 exec_lo, exec_lo, s22
.LBB294_762:                            ;   in Loop: Header=BB294_16 Depth=1
	s_wait_alu 0xfffe
	s_or_b32 exec_lo, exec_lo, s21
.LBB294_763:                            ;   in Loop: Header=BB294_16 Depth=1
	s_wait_alu 0xfffe
	s_or_b32 exec_lo, exec_lo, s20
	v_lshrrev_b16 v8, 8, v8
	v_dual_mov_b32 v155, 0 :: v_dual_mov_b32 v156, 0
	s_mov_b32 s20, exec_lo
	s_delay_alu instid0(VALU_DEP_2)
	v_cmpx_ne_u16_e32 0, v8
	s_cbranch_execz .LBB294_771
; %bb.764:                              ;   in Loop: Header=BB294_16 Depth=1
	v_bfrev_b32_e32 v156, 1
	s_mov_b32 s21, exec_lo
	v_cmpx_ne_u16_e32 0x80, v8
	s_cbranch_execz .LBB294_770
; %bb.765:                              ;   in Loop: Header=BB294_16 Depth=1
	v_and_b32_e32 v0, 0xffff, v8
	v_mov_b32_e32 v156, 0x7c010000
	s_mov_b32 s22, exec_lo
	s_delay_alu instid0(VALU_DEP_2) | instskip(NEXT) | instid1(VALU_DEP_1)
	v_and_b32_e32 v3, 0x7f, v0
	v_cmpx_ne_u32_e32 0x7f, v3
	s_cbranch_execz .LBB294_769
; %bb.766:                              ;   in Loop: Header=BB294_16 Depth=1
	v_and_b32_e32 v1, 7, v0
	v_lshrrev_b32_e32 v2, 3, v3
	s_mov_b32 s23, exec_lo
	v_cmpx_gt_u32_e32 8, v3
; %bb.767:                              ;   in Loop: Header=BB294_16 Depth=1
	s_delay_alu instid0(VALU_DEP_3) | instskip(NEXT) | instid1(VALU_DEP_1)
	v_clz_i32_u32_e32 v1, v1
	v_min_u32_e32 v3, 32, v1
	s_delay_alu instid0(VALU_DEP_1) | instskip(NEXT) | instid1(VALU_DEP_1)
	v_subrev_nc_u32_e32 v1, 28, v3
	v_lshlrev_b64_e32 v[1:2], v1, v[8:9]
	v_sub_nc_u32_e32 v2, 29, v3
	s_delay_alu instid0(VALU_DEP_2)
	v_and_b32_e32 v1, 7, v1
; %bb.768:                              ;   in Loop: Header=BB294_16 Depth=1
	s_wait_alu 0xfffe
	s_or_b32 exec_lo, exec_lo, s23
	v_lshlrev_b32_e32 v0, 8, v0
	v_lshl_add_u32 v2, v2, 10, 0x2000
	v_lshlrev_b32_e32 v1, 23, v1
	s_delay_alu instid0(VALU_DEP_2) | instskip(NEXT) | instid1(VALU_DEP_1)
	v_and_or_b32 v0, 0x8000, v0, v2
	v_lshl_or_b32 v156, v0, 16, v1
.LBB294_769:                            ;   in Loop: Header=BB294_16 Depth=1
	s_wait_alu 0xfffe
	s_or_b32 exec_lo, exec_lo, s22
.LBB294_770:                            ;   in Loop: Header=BB294_16 Depth=1
	s_wait_alu 0xfffe
	s_or_b32 exec_lo, exec_lo, s21
.LBB294_771:                            ;   in Loop: Header=BB294_16 Depth=1
	s_wait_alu 0xfffe
	s_or_b32 exec_lo, exec_lo, s20
	v_lshrrev_b32_e32 v8, 16, v32
	s_mov_b32 s20, exec_lo
	s_delay_alu instid0(VALU_DEP_1) | instskip(NEXT) | instid1(VALU_DEP_1)
	v_and_b32_e32 v0, 0xff, v8
	v_cmpx_ne_u16_e32 0, v0
	s_cbranch_execz .LBB294_779
; %bb.772:                              ;   in Loop: Header=BB294_16 Depth=1
	v_mov_b32_e32 v155, 0x8000
	s_mov_b32 s21, exec_lo
	v_cmpx_ne_u16_e32 0x80, v0
	s_cbranch_execz .LBB294_778
; %bb.773:                              ;   in Loop: Header=BB294_16 Depth=1
	v_bfe_u32 v2, v32, 16, 7
	v_mov_b32_e32 v155, 0x7c01
	s_mov_b32 s22, exec_lo
	s_delay_alu instid0(VALU_DEP_2)
	v_cmpx_ne_u32_e32 0x7f, v2
	s_cbranch_execz .LBB294_777
; %bb.774:                              ;   in Loop: Header=BB294_16 Depth=1
	v_and_b32_e32 v0, 7, v8
	v_lshrrev_b32_e32 v1, 3, v2
	s_mov_b32 s23, exec_lo
	v_cmpx_gt_u32_e32 8, v2
; %bb.775:                              ;   in Loop: Header=BB294_16 Depth=1
	s_delay_alu instid0(VALU_DEP_3) | instskip(NEXT) | instid1(VALU_DEP_1)
	v_clz_i32_u32_e32 v0, v0
	v_min_u32_e32 v2, 32, v0
	s_delay_alu instid0(VALU_DEP_1) | instskip(NEXT) | instid1(VALU_DEP_1)
	v_subrev_nc_u32_e32 v0, 28, v2
	v_lshlrev_b64_e32 v[0:1], v0, v[8:9]
	v_sub_nc_u32_e32 v1, 29, v2
	s_delay_alu instid0(VALU_DEP_2)
	v_and_b32_e32 v0, 7, v0
; %bb.776:                              ;   in Loop: Header=BB294_16 Depth=1
	s_wait_alu 0xfffe
	s_or_b32 exec_lo, exec_lo, s23
	v_lshlrev_b32_e32 v2, 8, v8
	v_lshl_add_u32 v1, v1, 10, 0x2000
	v_lshlrev_b32_e32 v0, 7, v0
	s_delay_alu instid0(VALU_DEP_3) | instskip(NEXT) | instid1(VALU_DEP_3)
	v_and_b32_e32 v2, 0x8000, v2
	v_and_b32_e32 v1, 0xfc00, v1
	s_delay_alu instid0(VALU_DEP_1)
	v_or3_b32 v155, v2, v1, v0
.LBB294_777:                            ;   in Loop: Header=BB294_16 Depth=1
	s_wait_alu 0xfffe
	s_or_b32 exec_lo, exec_lo, s22
.LBB294_778:                            ;   in Loop: Header=BB294_16 Depth=1
	s_wait_alu 0xfffe
	s_or_b32 exec_lo, exec_lo, s21
.LBB294_779:                            ;   in Loop: Header=BB294_16 Depth=1
	s_wait_alu 0xfffe
	s_or_b32 exec_lo, exec_lo, s20
	v_mov_b32_e32 v116, 0
	v_mov_b32_e32 v168, 0
	s_mov_b32 s20, exec_lo
	v_cmpx_lt_u64_e64 s[10:11], v[31:32]
	s_cbranch_execz .LBB294_787
; %bb.780:                              ;   in Loop: Header=BB294_16 Depth=1
	v_lshrrev_b32_e32 v8, 24, v32
	v_bfrev_b32_e32 v168, 1
	s_mov_b32 s21, exec_lo
	s_delay_alu instid0(VALU_DEP_2)
	v_cmpx_ne_u32_e32 0x80, v8
	s_cbranch_execz .LBB294_786
; %bb.781:                              ;   in Loop: Header=BB294_16 Depth=1
	v_and_b32_e32 v2, 0x7f, v8
	v_mov_b32_e32 v168, 0x7c010000
	s_mov_b32 s22, exec_lo
	s_delay_alu instid0(VALU_DEP_2)
	v_cmpx_ne_u32_e32 0x7f, v2
	s_cbranch_execz .LBB294_785
; %bb.782:                              ;   in Loop: Header=BB294_16 Depth=1
	v_and_b32_e32 v0, 7, v8
	v_lshrrev_b32_e32 v1, 3, v2
	s_mov_b32 s23, exec_lo
	v_cmpx_gt_u32_e32 8, v2
; %bb.783:                              ;   in Loop: Header=BB294_16 Depth=1
	s_delay_alu instid0(VALU_DEP_3) | instskip(NEXT) | instid1(VALU_DEP_1)
	v_clz_i32_u32_e32 v0, v0
	v_min_u32_e32 v2, 32, v0
	s_delay_alu instid0(VALU_DEP_1) | instskip(NEXT) | instid1(VALU_DEP_1)
	v_subrev_nc_u32_e32 v0, 28, v2
	v_lshlrev_b64_e32 v[0:1], v0, v[8:9]
	v_sub_nc_u32_e32 v1, 29, v2
	s_delay_alu instid0(VALU_DEP_2)
	v_and_b32_e32 v0, 7, v0
; %bb.784:                              ;   in Loop: Header=BB294_16 Depth=1
	s_wait_alu 0xfffe
	s_or_b32 exec_lo, exec_lo, s23
	v_lshlrev_b32_e32 v2, 8, v8
	v_lshl_add_u32 v1, v1, 10, 0x2000
	v_lshlrev_b32_e32 v0, 23, v0
	s_delay_alu instid0(VALU_DEP_2) | instskip(NEXT) | instid1(VALU_DEP_1)
	v_and_or_b32 v1, 0x8000, v2, v1
	v_lshl_or_b32 v168, v1, 16, v0
.LBB294_785:                            ;   in Loop: Header=BB294_16 Depth=1
	s_wait_alu 0xfffe
	s_or_b32 exec_lo, exec_lo, s22
.LBB294_786:                            ;   in Loop: Header=BB294_16 Depth=1
	s_wait_alu 0xfffe
	s_or_b32 exec_lo, exec_lo, s21
.LBB294_787:                            ;   in Loop: Header=BB294_16 Depth=1
	s_wait_alu 0xfffe
	s_or_b32 exec_lo, exec_lo, s20
	flat_load_b64 v[31:32], v[28:29] offset:3072
	s_mov_b32 s20, exec_lo
	s_wait_loadcnt_dscnt 0x0
	v_and_b32_e32 v0, 0xff, v31
	s_delay_alu instid0(VALU_DEP_1)
	v_cmpx_ne_u16_e32 0, v0
	s_cbranch_execz .LBB294_795
; %bb.788:                              ;   in Loop: Header=BB294_16 Depth=1
	v_mov_b32_e32 v116, 0x8000
	s_mov_b32 s21, exec_lo
	v_cmpx_ne_u16_e32 0x80, v0
	s_cbranch_execz .LBB294_794
; %bb.789:                              ;   in Loop: Header=BB294_16 Depth=1
	v_and_b32_e32 v2, 0x7f, v31
	v_mov_b32_e32 v116, 0x7c01
	s_mov_b32 s22, exec_lo
	s_delay_alu instid0(VALU_DEP_2)
	v_cmpx_ne_u32_e32 0x7f, v2
	s_cbranch_execz .LBB294_793
; %bb.790:                              ;   in Loop: Header=BB294_16 Depth=1
	v_and_b32_e32 v0, 7, v31
	v_lshrrev_b32_e32 v1, 3, v2
	s_mov_b32 s23, exec_lo
	v_cmpx_gt_u32_e32 8, v2
; %bb.791:                              ;   in Loop: Header=BB294_16 Depth=1
	s_delay_alu instid0(VALU_DEP_3) | instskip(NEXT) | instid1(VALU_DEP_1)
	v_clz_i32_u32_e32 v0, v0
	v_min_u32_e32 v2, 32, v0
	s_delay_alu instid0(VALU_DEP_1) | instskip(NEXT) | instid1(VALU_DEP_1)
	v_subrev_nc_u32_e32 v0, 28, v2
	v_lshlrev_b64_e32 v[0:1], v0, v[31:32]
	v_sub_nc_u32_e32 v1, 29, v2
	s_delay_alu instid0(VALU_DEP_2)
	v_and_b32_e32 v0, 7, v0
; %bb.792:                              ;   in Loop: Header=BB294_16 Depth=1
	s_wait_alu 0xfffe
	s_or_b32 exec_lo, exec_lo, s23
	v_lshlrev_b32_e32 v2, 8, v31
	v_lshl_add_u32 v1, v1, 10, 0x2000
	v_lshlrev_b32_e32 v0, 7, v0
	s_delay_alu instid0(VALU_DEP_3) | instskip(NEXT) | instid1(VALU_DEP_3)
	v_and_b32_e32 v2, 0x8000, v2
	v_and_b32_e32 v1, 0xfc00, v1
	s_delay_alu instid0(VALU_DEP_1)
	v_or3_b32 v116, v2, v1, v0
.LBB294_793:                            ;   in Loop: Header=BB294_16 Depth=1
	s_wait_alu 0xfffe
	s_or_b32 exec_lo, exec_lo, s22
.LBB294_794:                            ;   in Loop: Header=BB294_16 Depth=1
	s_wait_alu 0xfffe
	s_or_b32 exec_lo, exec_lo, s21
.LBB294_795:                            ;   in Loop: Header=BB294_16 Depth=1
	s_wait_alu 0xfffe
	s_or_b32 exec_lo, exec_lo, s20
	v_lshrrev_b16 v8, 8, v31
	v_mov_b32_e32 v117, 0
	v_mov_b32_e32 v175, 0
	s_mov_b32 s20, exec_lo
	s_delay_alu instid0(VALU_DEP_3)
	v_cmpx_ne_u16_e32 0, v8
	s_cbranch_execz .LBB294_803
; %bb.796:                              ;   in Loop: Header=BB294_16 Depth=1
	v_bfrev_b32_e32 v175, 1
	s_mov_b32 s21, exec_lo
	v_cmpx_ne_u16_e32 0x80, v8
	s_cbranch_execz .LBB294_802
; %bb.797:                              ;   in Loop: Header=BB294_16 Depth=1
	v_and_b32_e32 v0, 0xffff, v8
	v_mov_b32_e32 v175, 0x7c010000
	s_mov_b32 s22, exec_lo
	s_delay_alu instid0(VALU_DEP_2) | instskip(NEXT) | instid1(VALU_DEP_1)
	v_and_b32_e32 v3, 0x7f, v0
	v_cmpx_ne_u32_e32 0x7f, v3
	s_cbranch_execz .LBB294_801
; %bb.798:                              ;   in Loop: Header=BB294_16 Depth=1
	v_and_b32_e32 v1, 7, v0
	v_lshrrev_b32_e32 v2, 3, v3
	s_mov_b32 s23, exec_lo
	v_cmpx_gt_u32_e32 8, v3
; %bb.799:                              ;   in Loop: Header=BB294_16 Depth=1
	s_delay_alu instid0(VALU_DEP_3) | instskip(NEXT) | instid1(VALU_DEP_1)
	v_clz_i32_u32_e32 v1, v1
	v_min_u32_e32 v3, 32, v1
	s_delay_alu instid0(VALU_DEP_1) | instskip(NEXT) | instid1(VALU_DEP_1)
	v_subrev_nc_u32_e32 v1, 28, v3
	v_lshlrev_b64_e32 v[1:2], v1, v[8:9]
	v_sub_nc_u32_e32 v2, 29, v3
	s_delay_alu instid0(VALU_DEP_2)
	v_and_b32_e32 v1, 7, v1
; %bb.800:                              ;   in Loop: Header=BB294_16 Depth=1
	s_wait_alu 0xfffe
	s_or_b32 exec_lo, exec_lo, s23
	v_lshlrev_b32_e32 v0, 8, v0
	v_lshl_add_u32 v2, v2, 10, 0x2000
	v_lshlrev_b32_e32 v1, 23, v1
	s_delay_alu instid0(VALU_DEP_2) | instskip(NEXT) | instid1(VALU_DEP_1)
	v_and_or_b32 v0, 0x8000, v0, v2
	v_lshl_or_b32 v175, v0, 16, v1
.LBB294_801:                            ;   in Loop: Header=BB294_16 Depth=1
	s_wait_alu 0xfffe
	s_or_b32 exec_lo, exec_lo, s22
.LBB294_802:                            ;   in Loop: Header=BB294_16 Depth=1
	s_wait_alu 0xfffe
	s_or_b32 exec_lo, exec_lo, s21
.LBB294_803:                            ;   in Loop: Header=BB294_16 Depth=1
	s_wait_alu 0xfffe
	s_or_b32 exec_lo, exec_lo, s20
	v_lshrrev_b32_e32 v8, 16, v31
	s_mov_b32 s20, exec_lo
	s_delay_alu instid0(VALU_DEP_1) | instskip(NEXT) | instid1(VALU_DEP_1)
	v_and_b32_e32 v0, 0xff, v8
	v_cmpx_ne_u16_e32 0, v0
	s_cbranch_execz .LBB294_811
; %bb.804:                              ;   in Loop: Header=BB294_16 Depth=1
	v_mov_b32_e32 v117, 0x8000
	s_mov_b32 s21, exec_lo
	v_cmpx_ne_u16_e32 0x80, v0
	s_cbranch_execz .LBB294_810
; %bb.805:                              ;   in Loop: Header=BB294_16 Depth=1
	v_bfe_u32 v2, v31, 16, 7
	v_mov_b32_e32 v117, 0x7c01
	s_mov_b32 s22, exec_lo
	s_delay_alu instid0(VALU_DEP_2)
	v_cmpx_ne_u32_e32 0x7f, v2
	s_cbranch_execz .LBB294_809
; %bb.806:                              ;   in Loop: Header=BB294_16 Depth=1
	v_and_b32_e32 v0, 7, v8
	v_lshrrev_b32_e32 v1, 3, v2
	s_mov_b32 s23, exec_lo
	v_cmpx_gt_u32_e32 8, v2
; %bb.807:                              ;   in Loop: Header=BB294_16 Depth=1
	s_delay_alu instid0(VALU_DEP_3) | instskip(NEXT) | instid1(VALU_DEP_1)
	v_clz_i32_u32_e32 v0, v0
	v_min_u32_e32 v2, 32, v0
	s_delay_alu instid0(VALU_DEP_1) | instskip(NEXT) | instid1(VALU_DEP_1)
	v_subrev_nc_u32_e32 v0, 28, v2
	v_lshlrev_b64_e32 v[0:1], v0, v[8:9]
	v_sub_nc_u32_e32 v1, 29, v2
	s_delay_alu instid0(VALU_DEP_2)
	v_and_b32_e32 v0, 7, v0
; %bb.808:                              ;   in Loop: Header=BB294_16 Depth=1
	s_wait_alu 0xfffe
	s_or_b32 exec_lo, exec_lo, s23
	v_lshlrev_b32_e32 v2, 8, v8
	v_lshl_add_u32 v1, v1, 10, 0x2000
	v_lshlrev_b32_e32 v0, 7, v0
	s_delay_alu instid0(VALU_DEP_3) | instskip(NEXT) | instid1(VALU_DEP_3)
	v_and_b32_e32 v2, 0x8000, v2
	v_and_b32_e32 v1, 0xfc00, v1
	s_delay_alu instid0(VALU_DEP_1)
	v_or3_b32 v117, v2, v1, v0
.LBB294_809:                            ;   in Loop: Header=BB294_16 Depth=1
	s_wait_alu 0xfffe
	s_or_b32 exec_lo, exec_lo, s22
.LBB294_810:                            ;   in Loop: Header=BB294_16 Depth=1
	s_wait_alu 0xfffe
	s_or_b32 exec_lo, exec_lo, s21
.LBB294_811:                            ;   in Loop: Header=BB294_16 Depth=1
	s_wait_alu 0xfffe
	s_or_b32 exec_lo, exec_lo, s20
	v_dual_mov_b32 v187, 0 :: v_dual_mov_b32 v188, 0
	s_mov_b32 s20, exec_lo
	v_cmpx_lt_u32_e32 0xffffff, v31
	s_cbranch_execz .LBB294_819
; %bb.812:                              ;   in Loop: Header=BB294_16 Depth=1
	v_lshrrev_b32_e32 v8, 24, v31
	v_bfrev_b32_e32 v188, 1
	s_mov_b32 s21, exec_lo
	s_delay_alu instid0(VALU_DEP_2)
	v_cmpx_ne_u32_e32 0x80, v8
	s_cbranch_execz .LBB294_818
; %bb.813:                              ;   in Loop: Header=BB294_16 Depth=1
	v_and_b32_e32 v2, 0x7f, v8
	v_mov_b32_e32 v188, 0x7c010000
	s_mov_b32 s22, exec_lo
	s_delay_alu instid0(VALU_DEP_2)
	v_cmpx_ne_u32_e32 0x7f, v2
	s_cbranch_execz .LBB294_817
; %bb.814:                              ;   in Loop: Header=BB294_16 Depth=1
	v_and_b32_e32 v0, 7, v8
	v_lshrrev_b32_e32 v1, 3, v2
	s_mov_b32 s23, exec_lo
	v_cmpx_gt_u32_e32 8, v2
; %bb.815:                              ;   in Loop: Header=BB294_16 Depth=1
	s_delay_alu instid0(VALU_DEP_3) | instskip(NEXT) | instid1(VALU_DEP_1)
	v_clz_i32_u32_e32 v0, v0
	v_min_u32_e32 v2, 32, v0
	s_delay_alu instid0(VALU_DEP_1) | instskip(NEXT) | instid1(VALU_DEP_1)
	v_subrev_nc_u32_e32 v0, 28, v2
	v_lshlrev_b64_e32 v[0:1], v0, v[8:9]
	v_sub_nc_u32_e32 v1, 29, v2
	s_delay_alu instid0(VALU_DEP_2)
	v_and_b32_e32 v0, 7, v0
; %bb.816:                              ;   in Loop: Header=BB294_16 Depth=1
	s_wait_alu 0xfffe
	s_or_b32 exec_lo, exec_lo, s23
	v_lshlrev_b32_e32 v2, 8, v8
	v_lshl_add_u32 v1, v1, 10, 0x2000
	v_lshlrev_b32_e32 v0, 23, v0
	s_delay_alu instid0(VALU_DEP_2) | instskip(NEXT) | instid1(VALU_DEP_1)
	v_and_or_b32 v1, 0x8000, v2, v1
	v_lshl_or_b32 v188, v1, 16, v0
.LBB294_817:                            ;   in Loop: Header=BB294_16 Depth=1
	s_wait_alu 0xfffe
	s_or_b32 exec_lo, exec_lo, s22
.LBB294_818:                            ;   in Loop: Header=BB294_16 Depth=1
	s_wait_alu 0xfffe
	s_or_b32 exec_lo, exec_lo, s21
.LBB294_819:                            ;   in Loop: Header=BB294_16 Depth=1
	s_wait_alu 0xfffe
	s_or_b32 exec_lo, exec_lo, s20
	v_and_b32_e32 v0, 0xff, v32
	v_mov_b32_e32 v8, v32
	s_mov_b32 s20, exec_lo
	s_delay_alu instid0(VALU_DEP_2)
	v_cmpx_ne_u16_e32 0, v0
	s_cbranch_execz .LBB294_827
; %bb.820:                              ;   in Loop: Header=BB294_16 Depth=1
	v_mov_b32_e32 v187, 0x8000
	s_mov_b32 s21, exec_lo
	v_cmpx_ne_u16_e32 0x80, v0
	s_cbranch_execz .LBB294_826
; %bb.821:                              ;   in Loop: Header=BB294_16 Depth=1
	v_and_b32_e32 v2, 0x7f, v32
	v_mov_b32_e32 v187, 0x7c01
	s_mov_b32 s22, exec_lo
	s_delay_alu instid0(VALU_DEP_2)
	v_cmpx_ne_u32_e32 0x7f, v2
	s_cbranch_execz .LBB294_825
; %bb.822:                              ;   in Loop: Header=BB294_16 Depth=1
	v_and_b32_e32 v0, 7, v32
	v_lshrrev_b32_e32 v1, 3, v2
	s_mov_b32 s23, exec_lo
	v_cmpx_gt_u32_e32 8, v2
; %bb.823:                              ;   in Loop: Header=BB294_16 Depth=1
	s_delay_alu instid0(VALU_DEP_3) | instskip(NEXT) | instid1(VALU_DEP_1)
	v_clz_i32_u32_e32 v0, v0
	v_min_u32_e32 v2, 32, v0
	s_delay_alu instid0(VALU_DEP_1) | instskip(NEXT) | instid1(VALU_DEP_1)
	v_subrev_nc_u32_e32 v0, 28, v2
	v_lshlrev_b64_e32 v[0:1], v0, v[8:9]
	v_sub_nc_u32_e32 v1, 29, v2
	s_delay_alu instid0(VALU_DEP_2)
	v_and_b32_e32 v0, 7, v0
; %bb.824:                              ;   in Loop: Header=BB294_16 Depth=1
	s_wait_alu 0xfffe
	s_or_b32 exec_lo, exec_lo, s23
	v_lshlrev_b32_e32 v2, 8, v32
	v_lshl_add_u32 v1, v1, 10, 0x2000
	v_lshlrev_b32_e32 v0, 7, v0
	s_delay_alu instid0(VALU_DEP_3) | instskip(NEXT) | instid1(VALU_DEP_3)
	v_and_b32_e32 v2, 0x8000, v2
	v_and_b32_e32 v1, 0xfc00, v1
	s_delay_alu instid0(VALU_DEP_1)
	v_or3_b32 v187, v2, v1, v0
.LBB294_825:                            ;   in Loop: Header=BB294_16 Depth=1
	s_wait_alu 0xfffe
	s_or_b32 exec_lo, exec_lo, s22
.LBB294_826:                            ;   in Loop: Header=BB294_16 Depth=1
	s_wait_alu 0xfffe
	s_or_b32 exec_lo, exec_lo, s21
.LBB294_827:                            ;   in Loop: Header=BB294_16 Depth=1
	s_wait_alu 0xfffe
	s_or_b32 exec_lo, exec_lo, s20
	v_lshrrev_b16 v8, 8, v8
	v_dual_mov_b32 v5, 0 :: v_dual_mov_b32 v4, 0
	s_mov_b32 s20, exec_lo
	s_delay_alu instid0(VALU_DEP_2)
	v_cmpx_ne_u16_e32 0, v8
	s_cbranch_execz .LBB294_835
; %bb.828:                              ;   in Loop: Header=BB294_16 Depth=1
	v_bfrev_b32_e32 v4, 1
	s_mov_b32 s21, exec_lo
	v_cmpx_ne_u16_e32 0x80, v8
	s_cbranch_execz .LBB294_834
; %bb.829:                              ;   in Loop: Header=BB294_16 Depth=1
	v_and_b32_e32 v0, 0xffff, v8
	v_mov_b32_e32 v4, 0x7c010000
	s_mov_b32 s22, exec_lo
	s_delay_alu instid0(VALU_DEP_2) | instskip(NEXT) | instid1(VALU_DEP_1)
	v_and_b32_e32 v3, 0x7f, v0
	v_cmpx_ne_u32_e32 0x7f, v3
	s_cbranch_execz .LBB294_833
; %bb.830:                              ;   in Loop: Header=BB294_16 Depth=1
	v_and_b32_e32 v1, 7, v0
	v_lshrrev_b32_e32 v2, 3, v3
	s_mov_b32 s23, exec_lo
	v_cmpx_gt_u32_e32 8, v3
; %bb.831:                              ;   in Loop: Header=BB294_16 Depth=1
	s_delay_alu instid0(VALU_DEP_3) | instskip(NEXT) | instid1(VALU_DEP_1)
	v_clz_i32_u32_e32 v1, v1
	v_min_u32_e32 v3, 32, v1
	s_delay_alu instid0(VALU_DEP_1) | instskip(NEXT) | instid1(VALU_DEP_1)
	v_subrev_nc_u32_e32 v1, 28, v3
	v_lshlrev_b64_e32 v[1:2], v1, v[8:9]
	v_sub_nc_u32_e32 v2, 29, v3
	s_delay_alu instid0(VALU_DEP_2)
	v_and_b32_e32 v1, 7, v1
; %bb.832:                              ;   in Loop: Header=BB294_16 Depth=1
	s_wait_alu 0xfffe
	s_or_b32 exec_lo, exec_lo, s23
	v_lshlrev_b32_e32 v0, 8, v0
	v_lshl_add_u32 v2, v2, 10, 0x2000
	v_lshlrev_b32_e32 v1, 23, v1
	s_delay_alu instid0(VALU_DEP_2) | instskip(NEXT) | instid1(VALU_DEP_1)
	v_and_or_b32 v0, 0x8000, v0, v2
	v_lshl_or_b32 v4, v0, 16, v1
.LBB294_833:                            ;   in Loop: Header=BB294_16 Depth=1
	s_wait_alu 0xfffe
	s_or_b32 exec_lo, exec_lo, s22
.LBB294_834:                            ;   in Loop: Header=BB294_16 Depth=1
	s_wait_alu 0xfffe
	s_or_b32 exec_lo, exec_lo, s21
.LBB294_835:                            ;   in Loop: Header=BB294_16 Depth=1
	s_wait_alu 0xfffe
	s_or_b32 exec_lo, exec_lo, s20
	v_lshrrev_b32_e32 v8, 16, v32
	s_mov_b32 s20, exec_lo
	s_delay_alu instid0(VALU_DEP_1) | instskip(NEXT) | instid1(VALU_DEP_1)
	v_and_b32_e32 v0, 0xff, v8
	v_cmpx_ne_u16_e32 0, v0
	s_cbranch_execz .LBB294_843
; %bb.836:                              ;   in Loop: Header=BB294_16 Depth=1
	v_mov_b32_e32 v5, 0x8000
	s_mov_b32 s21, exec_lo
	v_cmpx_ne_u16_e32 0x80, v0
	s_cbranch_execz .LBB294_842
; %bb.837:                              ;   in Loop: Header=BB294_16 Depth=1
	v_bfe_u32 v2, v32, 16, 7
	v_mov_b32_e32 v5, 0x7c01
	s_mov_b32 s22, exec_lo
	s_delay_alu instid0(VALU_DEP_2)
	v_cmpx_ne_u32_e32 0x7f, v2
	s_cbranch_execz .LBB294_841
; %bb.838:                              ;   in Loop: Header=BB294_16 Depth=1
	v_and_b32_e32 v0, 7, v8
	v_lshrrev_b32_e32 v1, 3, v2
	s_mov_b32 s23, exec_lo
	v_cmpx_gt_u32_e32 8, v2
; %bb.839:                              ;   in Loop: Header=BB294_16 Depth=1
	s_delay_alu instid0(VALU_DEP_3) | instskip(NEXT) | instid1(VALU_DEP_1)
	v_clz_i32_u32_e32 v0, v0
	v_min_u32_e32 v2, 32, v0
	s_delay_alu instid0(VALU_DEP_1) | instskip(NEXT) | instid1(VALU_DEP_1)
	v_subrev_nc_u32_e32 v0, 28, v2
	v_lshlrev_b64_e32 v[0:1], v0, v[8:9]
	v_sub_nc_u32_e32 v1, 29, v2
	s_delay_alu instid0(VALU_DEP_2)
	v_and_b32_e32 v0, 7, v0
; %bb.840:                              ;   in Loop: Header=BB294_16 Depth=1
	s_wait_alu 0xfffe
	s_or_b32 exec_lo, exec_lo, s23
	v_lshlrev_b32_e32 v2, 8, v8
	v_lshl_add_u32 v1, v1, 10, 0x2000
	v_lshlrev_b32_e32 v0, 7, v0
	s_delay_alu instid0(VALU_DEP_3) | instskip(NEXT) | instid1(VALU_DEP_3)
	v_and_b32_e32 v2, 0x8000, v2
	v_and_b32_e32 v1, 0xfc00, v1
	s_delay_alu instid0(VALU_DEP_1)
	v_or3_b32 v5, v2, v1, v0
.LBB294_841:                            ;   in Loop: Header=BB294_16 Depth=1
	s_wait_alu 0xfffe
	s_or_b32 exec_lo, exec_lo, s22
.LBB294_842:                            ;   in Loop: Header=BB294_16 Depth=1
	s_wait_alu 0xfffe
	s_or_b32 exec_lo, exec_lo, s21
.LBB294_843:                            ;   in Loop: Header=BB294_16 Depth=1
	s_wait_alu 0xfffe
	s_or_b32 exec_lo, exec_lo, s20
	v_dual_mov_b32 v10, 0 :: v_dual_mov_b32 v11, 0
	s_mov_b32 s20, exec_lo
	v_cmpx_lt_u64_e64 s[10:11], v[31:32]
	s_cbranch_execz .LBB294_851
; %bb.844:                              ;   in Loop: Header=BB294_16 Depth=1
	v_lshrrev_b32_e32 v8, 24, v32
	v_bfrev_b32_e32 v11, 1
	s_mov_b32 s21, exec_lo
	s_delay_alu instid0(VALU_DEP_2)
	v_cmpx_ne_u32_e32 0x80, v8
	s_cbranch_execz .LBB294_850
; %bb.845:                              ;   in Loop: Header=BB294_16 Depth=1
	v_and_b32_e32 v2, 0x7f, v8
	v_mov_b32_e32 v11, 0x7c010000
	s_mov_b32 s22, exec_lo
	s_delay_alu instid0(VALU_DEP_2)
	v_cmpx_ne_u32_e32 0x7f, v2
	s_cbranch_execz .LBB294_849
; %bb.846:                              ;   in Loop: Header=BB294_16 Depth=1
	v_and_b32_e32 v0, 7, v8
	v_lshrrev_b32_e32 v1, 3, v2
	s_mov_b32 s23, exec_lo
	v_cmpx_gt_u32_e32 8, v2
; %bb.847:                              ;   in Loop: Header=BB294_16 Depth=1
	s_delay_alu instid0(VALU_DEP_3) | instskip(NEXT) | instid1(VALU_DEP_1)
	v_clz_i32_u32_e32 v0, v0
	v_min_u32_e32 v2, 32, v0
	s_delay_alu instid0(VALU_DEP_1) | instskip(NEXT) | instid1(VALU_DEP_1)
	v_subrev_nc_u32_e32 v0, 28, v2
	v_lshlrev_b64_e32 v[0:1], v0, v[8:9]
	v_sub_nc_u32_e32 v1, 29, v2
	s_delay_alu instid0(VALU_DEP_2)
	v_and_b32_e32 v0, 7, v0
; %bb.848:                              ;   in Loop: Header=BB294_16 Depth=1
	s_wait_alu 0xfffe
	s_or_b32 exec_lo, exec_lo, s23
	v_lshlrev_b32_e32 v2, 8, v8
	v_lshl_add_u32 v1, v1, 10, 0x2000
	v_lshlrev_b32_e32 v0, 23, v0
	s_delay_alu instid0(VALU_DEP_2) | instskip(NEXT) | instid1(VALU_DEP_1)
	v_and_or_b32 v1, 0x8000, v2, v1
	v_lshl_or_b32 v11, v1, 16, v0
.LBB294_849:                            ;   in Loop: Header=BB294_16 Depth=1
	s_wait_alu 0xfffe
	s_or_b32 exec_lo, exec_lo, s22
.LBB294_850:                            ;   in Loop: Header=BB294_16 Depth=1
	s_wait_alu 0xfffe
	s_or_b32 exec_lo, exec_lo, s21
.LBB294_851:                            ;   in Loop: Header=BB294_16 Depth=1
	s_wait_alu 0xfffe
	s_or_b32 exec_lo, exec_lo, s20
	flat_load_b64 v[31:32], v[28:29] offset:3080
	s_mov_b32 s20, exec_lo
	s_wait_loadcnt_dscnt 0x0
	v_and_b32_e32 v0, 0xff, v31
	s_delay_alu instid0(VALU_DEP_1)
	v_cmpx_ne_u16_e32 0, v0
	s_cbranch_execz .LBB294_859
; %bb.852:                              ;   in Loop: Header=BB294_16 Depth=1
	v_mov_b32_e32 v10, 0x8000
	s_mov_b32 s21, exec_lo
	v_cmpx_ne_u16_e32 0x80, v0
	s_cbranch_execz .LBB294_858
; %bb.853:                              ;   in Loop: Header=BB294_16 Depth=1
	v_and_b32_e32 v2, 0x7f, v31
	v_mov_b32_e32 v10, 0x7c01
	s_mov_b32 s22, exec_lo
	s_delay_alu instid0(VALU_DEP_2)
	v_cmpx_ne_u32_e32 0x7f, v2
	s_cbranch_execz .LBB294_857
; %bb.854:                              ;   in Loop: Header=BB294_16 Depth=1
	v_and_b32_e32 v0, 7, v31
	v_lshrrev_b32_e32 v1, 3, v2
	s_mov_b32 s23, exec_lo
	v_cmpx_gt_u32_e32 8, v2
; %bb.855:                              ;   in Loop: Header=BB294_16 Depth=1
	s_delay_alu instid0(VALU_DEP_3) | instskip(NEXT) | instid1(VALU_DEP_1)
	v_clz_i32_u32_e32 v0, v0
	v_min_u32_e32 v2, 32, v0
	s_delay_alu instid0(VALU_DEP_1) | instskip(NEXT) | instid1(VALU_DEP_1)
	v_subrev_nc_u32_e32 v0, 28, v2
	v_lshlrev_b64_e32 v[0:1], v0, v[31:32]
	v_sub_nc_u32_e32 v1, 29, v2
	s_delay_alu instid0(VALU_DEP_2)
	v_and_b32_e32 v0, 7, v0
; %bb.856:                              ;   in Loop: Header=BB294_16 Depth=1
	s_wait_alu 0xfffe
	s_or_b32 exec_lo, exec_lo, s23
	v_lshlrev_b32_e32 v2, 8, v31
	v_lshl_add_u32 v1, v1, 10, 0x2000
	v_lshlrev_b32_e32 v0, 7, v0
	s_delay_alu instid0(VALU_DEP_3) | instskip(NEXT) | instid1(VALU_DEP_3)
	v_and_b32_e32 v2, 0x8000, v2
	v_and_b32_e32 v1, 0xfc00, v1
	s_delay_alu instid0(VALU_DEP_1)
	v_or3_b32 v10, v2, v1, v0
.LBB294_857:                            ;   in Loop: Header=BB294_16 Depth=1
	s_wait_alu 0xfffe
	s_or_b32 exec_lo, exec_lo, s22
.LBB294_858:                            ;   in Loop: Header=BB294_16 Depth=1
	s_wait_alu 0xfffe
	s_or_b32 exec_lo, exec_lo, s21
.LBB294_859:                            ;   in Loop: Header=BB294_16 Depth=1
	s_wait_alu 0xfffe
	s_or_b32 exec_lo, exec_lo, s20
	v_lshrrev_b16 v8, 8, v31
	v_mov_b32_e32 v35, 0
	v_mov_b32_e32 v17, 0
	s_mov_b32 s20, exec_lo
	s_delay_alu instid0(VALU_DEP_3)
	v_cmpx_ne_u16_e32 0, v8
	s_cbranch_execz .LBB294_867
; %bb.860:                              ;   in Loop: Header=BB294_16 Depth=1
	v_bfrev_b32_e32 v17, 1
	s_mov_b32 s21, exec_lo
	v_cmpx_ne_u16_e32 0x80, v8
	s_cbranch_execz .LBB294_866
; %bb.861:                              ;   in Loop: Header=BB294_16 Depth=1
	v_and_b32_e32 v0, 0xffff, v8
	v_mov_b32_e32 v17, 0x7c010000
	s_mov_b32 s22, exec_lo
	s_delay_alu instid0(VALU_DEP_2) | instskip(NEXT) | instid1(VALU_DEP_1)
	v_and_b32_e32 v3, 0x7f, v0
	v_cmpx_ne_u32_e32 0x7f, v3
	s_cbranch_execz .LBB294_865
; %bb.862:                              ;   in Loop: Header=BB294_16 Depth=1
	v_and_b32_e32 v1, 7, v0
	v_lshrrev_b32_e32 v2, 3, v3
	s_mov_b32 s23, exec_lo
	v_cmpx_gt_u32_e32 8, v3
; %bb.863:                              ;   in Loop: Header=BB294_16 Depth=1
	s_delay_alu instid0(VALU_DEP_3) | instskip(NEXT) | instid1(VALU_DEP_1)
	v_clz_i32_u32_e32 v1, v1
	v_min_u32_e32 v3, 32, v1
	s_delay_alu instid0(VALU_DEP_1) | instskip(NEXT) | instid1(VALU_DEP_1)
	v_subrev_nc_u32_e32 v1, 28, v3
	v_lshlrev_b64_e32 v[1:2], v1, v[8:9]
	v_sub_nc_u32_e32 v2, 29, v3
	s_delay_alu instid0(VALU_DEP_2)
	v_and_b32_e32 v1, 7, v1
; %bb.864:                              ;   in Loop: Header=BB294_16 Depth=1
	s_wait_alu 0xfffe
	s_or_b32 exec_lo, exec_lo, s23
	v_lshlrev_b32_e32 v0, 8, v0
	v_lshl_add_u32 v2, v2, 10, 0x2000
	v_lshlrev_b32_e32 v1, 23, v1
	s_delay_alu instid0(VALU_DEP_2) | instskip(NEXT) | instid1(VALU_DEP_1)
	v_and_or_b32 v0, 0x8000, v0, v2
	v_lshl_or_b32 v17, v0, 16, v1
.LBB294_865:                            ;   in Loop: Header=BB294_16 Depth=1
	s_wait_alu 0xfffe
	s_or_b32 exec_lo, exec_lo, s22
.LBB294_866:                            ;   in Loop: Header=BB294_16 Depth=1
	s_wait_alu 0xfffe
	s_or_b32 exec_lo, exec_lo, s21
.LBB294_867:                            ;   in Loop: Header=BB294_16 Depth=1
	s_wait_alu 0xfffe
	s_or_b32 exec_lo, exec_lo, s20
	v_lshrrev_b32_e32 v8, 16, v31
	s_mov_b32 s20, exec_lo
	s_delay_alu instid0(VALU_DEP_1) | instskip(NEXT) | instid1(VALU_DEP_1)
	v_and_b32_e32 v0, 0xff, v8
	v_cmpx_ne_u16_e32 0, v0
	s_cbranch_execz .LBB294_875
; %bb.868:                              ;   in Loop: Header=BB294_16 Depth=1
	v_mov_b32_e32 v35, 0x8000
	s_mov_b32 s21, exec_lo
	v_cmpx_ne_u16_e32 0x80, v0
	s_cbranch_execz .LBB294_874
; %bb.869:                              ;   in Loop: Header=BB294_16 Depth=1
	v_bfe_u32 v2, v31, 16, 7
	v_mov_b32_e32 v35, 0x7c01
	s_mov_b32 s22, exec_lo
	s_delay_alu instid0(VALU_DEP_2)
	v_cmpx_ne_u32_e32 0x7f, v2
	s_cbranch_execz .LBB294_873
; %bb.870:                              ;   in Loop: Header=BB294_16 Depth=1
	v_and_b32_e32 v0, 7, v8
	v_lshrrev_b32_e32 v1, 3, v2
	s_mov_b32 s23, exec_lo
	v_cmpx_gt_u32_e32 8, v2
; %bb.871:                              ;   in Loop: Header=BB294_16 Depth=1
	s_delay_alu instid0(VALU_DEP_3) | instskip(NEXT) | instid1(VALU_DEP_1)
	v_clz_i32_u32_e32 v0, v0
	v_min_u32_e32 v2, 32, v0
	s_delay_alu instid0(VALU_DEP_1) | instskip(NEXT) | instid1(VALU_DEP_1)
	v_subrev_nc_u32_e32 v0, 28, v2
	v_lshlrev_b64_e32 v[0:1], v0, v[8:9]
	v_sub_nc_u32_e32 v1, 29, v2
	s_delay_alu instid0(VALU_DEP_2)
	v_and_b32_e32 v0, 7, v0
; %bb.872:                              ;   in Loop: Header=BB294_16 Depth=1
	s_wait_alu 0xfffe
	s_or_b32 exec_lo, exec_lo, s23
	v_lshlrev_b32_e32 v2, 8, v8
	v_lshl_add_u32 v1, v1, 10, 0x2000
	v_lshlrev_b32_e32 v0, 7, v0
	s_delay_alu instid0(VALU_DEP_3) | instskip(NEXT) | instid1(VALU_DEP_3)
	v_and_b32_e32 v2, 0x8000, v2
	v_and_b32_e32 v1, 0xfc00, v1
	s_delay_alu instid0(VALU_DEP_1)
	v_or3_b32 v35, v2, v1, v0
.LBB294_873:                            ;   in Loop: Header=BB294_16 Depth=1
	s_wait_alu 0xfffe
	s_or_b32 exec_lo, exec_lo, s22
.LBB294_874:                            ;   in Loop: Header=BB294_16 Depth=1
	s_wait_alu 0xfffe
	s_or_b32 exec_lo, exec_lo, s21
.LBB294_875:                            ;   in Loop: Header=BB294_16 Depth=1
	s_wait_alu 0xfffe
	s_or_b32 exec_lo, exec_lo, s20
	v_dual_mov_b32 v15, 0 :: v_dual_mov_b32 v14, 0
	s_mov_b32 s20, exec_lo
	v_cmpx_lt_u32_e32 0xffffff, v31
	s_cbranch_execz .LBB294_883
; %bb.876:                              ;   in Loop: Header=BB294_16 Depth=1
	v_lshrrev_b32_e32 v8, 24, v31
	v_bfrev_b32_e32 v14, 1
	s_mov_b32 s21, exec_lo
	s_delay_alu instid0(VALU_DEP_2)
	v_cmpx_ne_u32_e32 0x80, v8
	s_cbranch_execz .LBB294_882
; %bb.877:                              ;   in Loop: Header=BB294_16 Depth=1
	v_and_b32_e32 v2, 0x7f, v8
	v_mov_b32_e32 v14, 0x7c010000
	s_mov_b32 s22, exec_lo
	s_delay_alu instid0(VALU_DEP_2)
	v_cmpx_ne_u32_e32 0x7f, v2
	s_cbranch_execz .LBB294_881
; %bb.878:                              ;   in Loop: Header=BB294_16 Depth=1
	v_and_b32_e32 v0, 7, v8
	v_lshrrev_b32_e32 v1, 3, v2
	s_mov_b32 s23, exec_lo
	v_cmpx_gt_u32_e32 8, v2
; %bb.879:                              ;   in Loop: Header=BB294_16 Depth=1
	s_delay_alu instid0(VALU_DEP_3) | instskip(NEXT) | instid1(VALU_DEP_1)
	v_clz_i32_u32_e32 v0, v0
	v_min_u32_e32 v2, 32, v0
	s_delay_alu instid0(VALU_DEP_1) | instskip(NEXT) | instid1(VALU_DEP_1)
	v_subrev_nc_u32_e32 v0, 28, v2
	v_lshlrev_b64_e32 v[0:1], v0, v[8:9]
	v_sub_nc_u32_e32 v1, 29, v2
	s_delay_alu instid0(VALU_DEP_2)
	v_and_b32_e32 v0, 7, v0
; %bb.880:                              ;   in Loop: Header=BB294_16 Depth=1
	s_wait_alu 0xfffe
	s_or_b32 exec_lo, exec_lo, s23
	v_lshlrev_b32_e32 v2, 8, v8
	v_lshl_add_u32 v1, v1, 10, 0x2000
	v_lshlrev_b32_e32 v0, 23, v0
	s_delay_alu instid0(VALU_DEP_2) | instskip(NEXT) | instid1(VALU_DEP_1)
	v_and_or_b32 v1, 0x8000, v2, v1
	v_lshl_or_b32 v14, v1, 16, v0
.LBB294_881:                            ;   in Loop: Header=BB294_16 Depth=1
	s_wait_alu 0xfffe
	s_or_b32 exec_lo, exec_lo, s22
.LBB294_882:                            ;   in Loop: Header=BB294_16 Depth=1
	s_wait_alu 0xfffe
	s_or_b32 exec_lo, exec_lo, s21
.LBB294_883:                            ;   in Loop: Header=BB294_16 Depth=1
	s_wait_alu 0xfffe
	s_or_b32 exec_lo, exec_lo, s20
	v_and_b32_e32 v0, 0xff, v32
	v_mov_b32_e32 v8, v32
	s_mov_b32 s20, exec_lo
	s_delay_alu instid0(VALU_DEP_2)
	v_cmpx_ne_u16_e32 0, v0
	s_cbranch_execz .LBB294_891
; %bb.884:                              ;   in Loop: Header=BB294_16 Depth=1
	v_mov_b32_e32 v15, 0x8000
	s_mov_b32 s21, exec_lo
	v_cmpx_ne_u16_e32 0x80, v0
	s_cbranch_execz .LBB294_890
; %bb.885:                              ;   in Loop: Header=BB294_16 Depth=1
	v_and_b32_e32 v2, 0x7f, v32
	v_mov_b32_e32 v15, 0x7c01
	s_mov_b32 s22, exec_lo
	s_delay_alu instid0(VALU_DEP_2)
	v_cmpx_ne_u32_e32 0x7f, v2
	s_cbranch_execz .LBB294_889
; %bb.886:                              ;   in Loop: Header=BB294_16 Depth=1
	v_and_b32_e32 v0, 7, v32
	v_lshrrev_b32_e32 v1, 3, v2
	s_mov_b32 s23, exec_lo
	v_cmpx_gt_u32_e32 8, v2
; %bb.887:                              ;   in Loop: Header=BB294_16 Depth=1
	s_delay_alu instid0(VALU_DEP_3) | instskip(NEXT) | instid1(VALU_DEP_1)
	v_clz_i32_u32_e32 v0, v0
	v_min_u32_e32 v2, 32, v0
	s_delay_alu instid0(VALU_DEP_1) | instskip(NEXT) | instid1(VALU_DEP_1)
	v_subrev_nc_u32_e32 v0, 28, v2
	v_lshlrev_b64_e32 v[0:1], v0, v[8:9]
	v_sub_nc_u32_e32 v1, 29, v2
	s_delay_alu instid0(VALU_DEP_2)
	v_and_b32_e32 v0, 7, v0
; %bb.888:                              ;   in Loop: Header=BB294_16 Depth=1
	s_wait_alu 0xfffe
	s_or_b32 exec_lo, exec_lo, s23
	v_lshlrev_b32_e32 v2, 8, v32
	v_lshl_add_u32 v1, v1, 10, 0x2000
	v_lshlrev_b32_e32 v0, 7, v0
	s_delay_alu instid0(VALU_DEP_3) | instskip(NEXT) | instid1(VALU_DEP_3)
	v_and_b32_e32 v2, 0x8000, v2
	v_and_b32_e32 v1, 0xfc00, v1
	s_delay_alu instid0(VALU_DEP_1)
	v_or3_b32 v15, v2, v1, v0
.LBB294_889:                            ;   in Loop: Header=BB294_16 Depth=1
	s_wait_alu 0xfffe
	s_or_b32 exec_lo, exec_lo, s22
.LBB294_890:                            ;   in Loop: Header=BB294_16 Depth=1
	s_wait_alu 0xfffe
	s_or_b32 exec_lo, exec_lo, s21
.LBB294_891:                            ;   in Loop: Header=BB294_16 Depth=1
	s_wait_alu 0xfffe
	s_or_b32 exec_lo, exec_lo, s20
	v_lshrrev_b16 v8, 8, v8
	v_dual_mov_b32 v13, 0 :: v_dual_mov_b32 v22, 0
	s_mov_b32 s20, exec_lo
	s_delay_alu instid0(VALU_DEP_2)
	v_cmpx_ne_u16_e32 0, v8
	s_cbranch_execz .LBB294_899
; %bb.892:                              ;   in Loop: Header=BB294_16 Depth=1
	v_bfrev_b32_e32 v22, 1
	s_mov_b32 s21, exec_lo
	v_cmpx_ne_u16_e32 0x80, v8
	s_cbranch_execz .LBB294_898
; %bb.893:                              ;   in Loop: Header=BB294_16 Depth=1
	v_and_b32_e32 v0, 0xffff, v8
	v_mov_b32_e32 v22, 0x7c010000
	s_mov_b32 s22, exec_lo
	s_delay_alu instid0(VALU_DEP_2) | instskip(NEXT) | instid1(VALU_DEP_1)
	v_and_b32_e32 v3, 0x7f, v0
	v_cmpx_ne_u32_e32 0x7f, v3
	s_cbranch_execz .LBB294_897
; %bb.894:                              ;   in Loop: Header=BB294_16 Depth=1
	v_and_b32_e32 v1, 7, v0
	v_lshrrev_b32_e32 v2, 3, v3
	s_mov_b32 s23, exec_lo
	v_cmpx_gt_u32_e32 8, v3
; %bb.895:                              ;   in Loop: Header=BB294_16 Depth=1
	s_delay_alu instid0(VALU_DEP_3) | instskip(NEXT) | instid1(VALU_DEP_1)
	v_clz_i32_u32_e32 v1, v1
	v_min_u32_e32 v3, 32, v1
	s_delay_alu instid0(VALU_DEP_1) | instskip(NEXT) | instid1(VALU_DEP_1)
	v_subrev_nc_u32_e32 v1, 28, v3
	v_lshlrev_b64_e32 v[1:2], v1, v[8:9]
	v_sub_nc_u32_e32 v2, 29, v3
	s_delay_alu instid0(VALU_DEP_2)
	v_and_b32_e32 v1, 7, v1
; %bb.896:                              ;   in Loop: Header=BB294_16 Depth=1
	s_wait_alu 0xfffe
	s_or_b32 exec_lo, exec_lo, s23
	v_lshlrev_b32_e32 v0, 8, v0
	v_lshl_add_u32 v2, v2, 10, 0x2000
	v_lshlrev_b32_e32 v1, 23, v1
	s_delay_alu instid0(VALU_DEP_2) | instskip(NEXT) | instid1(VALU_DEP_1)
	v_and_or_b32 v0, 0x8000, v0, v2
	v_lshl_or_b32 v22, v0, 16, v1
.LBB294_897:                            ;   in Loop: Header=BB294_16 Depth=1
	s_wait_alu 0xfffe
	s_or_b32 exec_lo, exec_lo, s22
.LBB294_898:                            ;   in Loop: Header=BB294_16 Depth=1
	s_wait_alu 0xfffe
	s_or_b32 exec_lo, exec_lo, s21
.LBB294_899:                            ;   in Loop: Header=BB294_16 Depth=1
	s_wait_alu 0xfffe
	s_or_b32 exec_lo, exec_lo, s20
	v_lshrrev_b32_e32 v8, 16, v32
	s_mov_b32 s20, exec_lo
	s_delay_alu instid0(VALU_DEP_1) | instskip(NEXT) | instid1(VALU_DEP_1)
	v_and_b32_e32 v0, 0xff, v8
	v_cmpx_ne_u16_e32 0, v0
	s_cbranch_execz .LBB294_907
; %bb.900:                              ;   in Loop: Header=BB294_16 Depth=1
	v_mov_b32_e32 v13, 0x8000
	s_mov_b32 s21, exec_lo
	v_cmpx_ne_u16_e32 0x80, v0
	s_cbranch_execz .LBB294_906
; %bb.901:                              ;   in Loop: Header=BB294_16 Depth=1
	v_bfe_u32 v2, v32, 16, 7
	v_mov_b32_e32 v13, 0x7c01
	s_mov_b32 s22, exec_lo
	s_delay_alu instid0(VALU_DEP_2)
	v_cmpx_ne_u32_e32 0x7f, v2
	s_cbranch_execz .LBB294_905
; %bb.902:                              ;   in Loop: Header=BB294_16 Depth=1
	v_and_b32_e32 v0, 7, v8
	v_lshrrev_b32_e32 v1, 3, v2
	s_mov_b32 s23, exec_lo
	v_cmpx_gt_u32_e32 8, v2
; %bb.903:                              ;   in Loop: Header=BB294_16 Depth=1
	s_delay_alu instid0(VALU_DEP_3) | instskip(NEXT) | instid1(VALU_DEP_1)
	v_clz_i32_u32_e32 v0, v0
	v_min_u32_e32 v2, 32, v0
	s_delay_alu instid0(VALU_DEP_1) | instskip(NEXT) | instid1(VALU_DEP_1)
	v_subrev_nc_u32_e32 v0, 28, v2
	v_lshlrev_b64_e32 v[0:1], v0, v[8:9]
	v_sub_nc_u32_e32 v1, 29, v2
	s_delay_alu instid0(VALU_DEP_2)
	v_and_b32_e32 v0, 7, v0
; %bb.904:                              ;   in Loop: Header=BB294_16 Depth=1
	s_wait_alu 0xfffe
	s_or_b32 exec_lo, exec_lo, s23
	v_lshlrev_b32_e32 v2, 8, v8
	v_lshl_add_u32 v1, v1, 10, 0x2000
	v_lshlrev_b32_e32 v0, 7, v0
	s_delay_alu instid0(VALU_DEP_3) | instskip(NEXT) | instid1(VALU_DEP_3)
	v_and_b32_e32 v2, 0x8000, v2
	v_and_b32_e32 v1, 0xfc00, v1
	s_delay_alu instid0(VALU_DEP_1)
	v_or3_b32 v13, v2, v1, v0
.LBB294_905:                            ;   in Loop: Header=BB294_16 Depth=1
	s_wait_alu 0xfffe
	s_or_b32 exec_lo, exec_lo, s22
.LBB294_906:                            ;   in Loop: Header=BB294_16 Depth=1
	s_wait_alu 0xfffe
	s_or_b32 exec_lo, exec_lo, s21
.LBB294_907:                            ;   in Loop: Header=BB294_16 Depth=1
	s_wait_alu 0xfffe
	s_or_b32 exec_lo, exec_lo, s20
	v_mov_b32_e32 v6, 0
	v_mov_b32_e32 v24, 0
	s_mov_b32 s20, exec_lo
	v_cmpx_lt_u64_e64 s[10:11], v[31:32]
	s_cbranch_execz .LBB294_915
; %bb.908:                              ;   in Loop: Header=BB294_16 Depth=1
	v_lshrrev_b32_e32 v8, 24, v32
	v_bfrev_b32_e32 v24, 1
	s_mov_b32 s21, exec_lo
	s_delay_alu instid0(VALU_DEP_2)
	v_cmpx_ne_u32_e32 0x80, v8
	s_cbranch_execz .LBB294_914
; %bb.909:                              ;   in Loop: Header=BB294_16 Depth=1
	v_and_b32_e32 v2, 0x7f, v8
	v_mov_b32_e32 v24, 0x7c010000
	s_mov_b32 s22, exec_lo
	s_delay_alu instid0(VALU_DEP_2)
	v_cmpx_ne_u32_e32 0x7f, v2
	s_cbranch_execz .LBB294_913
; %bb.910:                              ;   in Loop: Header=BB294_16 Depth=1
	v_and_b32_e32 v0, 7, v8
	v_lshrrev_b32_e32 v1, 3, v2
	s_mov_b32 s23, exec_lo
	v_cmpx_gt_u32_e32 8, v2
; %bb.911:                              ;   in Loop: Header=BB294_16 Depth=1
	s_delay_alu instid0(VALU_DEP_3) | instskip(NEXT) | instid1(VALU_DEP_1)
	v_clz_i32_u32_e32 v0, v0
	v_min_u32_e32 v2, 32, v0
	s_delay_alu instid0(VALU_DEP_1) | instskip(NEXT) | instid1(VALU_DEP_1)
	v_subrev_nc_u32_e32 v0, 28, v2
	v_lshlrev_b64_e32 v[0:1], v0, v[8:9]
	v_sub_nc_u32_e32 v1, 29, v2
	s_delay_alu instid0(VALU_DEP_2)
	v_and_b32_e32 v0, 7, v0
; %bb.912:                              ;   in Loop: Header=BB294_16 Depth=1
	s_wait_alu 0xfffe
	s_or_b32 exec_lo, exec_lo, s23
	v_lshlrev_b32_e32 v2, 8, v8
	v_lshl_add_u32 v1, v1, 10, 0x2000
	v_lshlrev_b32_e32 v0, 23, v0
	s_delay_alu instid0(VALU_DEP_2) | instskip(NEXT) | instid1(VALU_DEP_1)
	v_and_or_b32 v1, 0x8000, v2, v1
	v_lshl_or_b32 v24, v1, 16, v0
.LBB294_913:                            ;   in Loop: Header=BB294_16 Depth=1
	s_wait_alu 0xfffe
	s_or_b32 exec_lo, exec_lo, s22
.LBB294_914:                            ;   in Loop: Header=BB294_16 Depth=1
	s_wait_alu 0xfffe
	s_or_b32 exec_lo, exec_lo, s21
.LBB294_915:                            ;   in Loop: Header=BB294_16 Depth=1
	s_wait_alu 0xfffe
	s_or_b32 exec_lo, exec_lo, s20
	flat_load_b64 v[31:32], v[28:29] offset:3584
	s_mov_b32 s20, exec_lo
	s_wait_loadcnt_dscnt 0x0
	v_and_b32_e32 v0, 0xff, v31
	s_delay_alu instid0(VALU_DEP_1)
	v_cmpx_ne_u16_e32 0, v0
	s_cbranch_execz .LBB294_923
; %bb.916:                              ;   in Loop: Header=BB294_16 Depth=1
	v_mov_b32_e32 v6, 0x8000
	s_mov_b32 s21, exec_lo
	v_cmpx_ne_u16_e32 0x80, v0
	s_cbranch_execz .LBB294_922
; %bb.917:                              ;   in Loop: Header=BB294_16 Depth=1
	v_and_b32_e32 v2, 0x7f, v31
	v_mov_b32_e32 v6, 0x7c01
	s_mov_b32 s22, exec_lo
	s_delay_alu instid0(VALU_DEP_2)
	v_cmpx_ne_u32_e32 0x7f, v2
	s_cbranch_execz .LBB294_921
; %bb.918:                              ;   in Loop: Header=BB294_16 Depth=1
	v_and_b32_e32 v0, 7, v31
	v_lshrrev_b32_e32 v1, 3, v2
	s_mov_b32 s23, exec_lo
	v_cmpx_gt_u32_e32 8, v2
; %bb.919:                              ;   in Loop: Header=BB294_16 Depth=1
	s_delay_alu instid0(VALU_DEP_3) | instskip(NEXT) | instid1(VALU_DEP_1)
	v_clz_i32_u32_e32 v0, v0
	v_min_u32_e32 v2, 32, v0
	s_delay_alu instid0(VALU_DEP_1) | instskip(NEXT) | instid1(VALU_DEP_1)
	v_subrev_nc_u32_e32 v0, 28, v2
	v_lshlrev_b64_e32 v[0:1], v0, v[31:32]
	v_sub_nc_u32_e32 v1, 29, v2
	s_delay_alu instid0(VALU_DEP_2)
	v_and_b32_e32 v0, 7, v0
; %bb.920:                              ;   in Loop: Header=BB294_16 Depth=1
	s_wait_alu 0xfffe
	s_or_b32 exec_lo, exec_lo, s23
	v_lshlrev_b32_e32 v2, 8, v31
	v_lshl_add_u32 v1, v1, 10, 0x2000
	v_lshlrev_b32_e32 v0, 7, v0
	s_delay_alu instid0(VALU_DEP_3) | instskip(NEXT) | instid1(VALU_DEP_3)
	v_and_b32_e32 v2, 0x8000, v2
	v_and_b32_e32 v1, 0xfc00, v1
	s_delay_alu instid0(VALU_DEP_1)
	v_or3_b32 v6, v2, v1, v0
.LBB294_921:                            ;   in Loop: Header=BB294_16 Depth=1
	s_wait_alu 0xfffe
	s_or_b32 exec_lo, exec_lo, s22
.LBB294_922:                            ;   in Loop: Header=BB294_16 Depth=1
	s_wait_alu 0xfffe
	s_or_b32 exec_lo, exec_lo, s21
.LBB294_923:                            ;   in Loop: Header=BB294_16 Depth=1
	s_wait_alu 0xfffe
	s_or_b32 exec_lo, exec_lo, s20
	v_lshrrev_b16 v8, 8, v31
	v_mov_b32_e32 v81, 0
	v_mov_b32_e32 v71, 0
	s_mov_b32 s20, exec_lo
	s_delay_alu instid0(VALU_DEP_3)
	v_cmpx_ne_u16_e32 0, v8
	s_cbranch_execz .LBB294_931
; %bb.924:                              ;   in Loop: Header=BB294_16 Depth=1
	v_bfrev_b32_e32 v71, 1
	s_mov_b32 s21, exec_lo
	v_cmpx_ne_u16_e32 0x80, v8
	s_cbranch_execz .LBB294_930
; %bb.925:                              ;   in Loop: Header=BB294_16 Depth=1
	v_and_b32_e32 v0, 0xffff, v8
	v_mov_b32_e32 v71, 0x7c010000
	s_mov_b32 s22, exec_lo
	s_delay_alu instid0(VALU_DEP_2) | instskip(NEXT) | instid1(VALU_DEP_1)
	v_and_b32_e32 v3, 0x7f, v0
	v_cmpx_ne_u32_e32 0x7f, v3
	s_cbranch_execz .LBB294_929
; %bb.926:                              ;   in Loop: Header=BB294_16 Depth=1
	v_and_b32_e32 v1, 7, v0
	v_lshrrev_b32_e32 v2, 3, v3
	s_mov_b32 s23, exec_lo
	v_cmpx_gt_u32_e32 8, v3
; %bb.927:                              ;   in Loop: Header=BB294_16 Depth=1
	s_delay_alu instid0(VALU_DEP_3) | instskip(NEXT) | instid1(VALU_DEP_1)
	v_clz_i32_u32_e32 v1, v1
	v_min_u32_e32 v3, 32, v1
	s_delay_alu instid0(VALU_DEP_1) | instskip(NEXT) | instid1(VALU_DEP_1)
	v_subrev_nc_u32_e32 v1, 28, v3
	v_lshlrev_b64_e32 v[1:2], v1, v[8:9]
	v_sub_nc_u32_e32 v2, 29, v3
	s_delay_alu instid0(VALU_DEP_2)
	v_and_b32_e32 v1, 7, v1
; %bb.928:                              ;   in Loop: Header=BB294_16 Depth=1
	s_wait_alu 0xfffe
	s_or_b32 exec_lo, exec_lo, s23
	v_lshlrev_b32_e32 v0, 8, v0
	v_lshl_add_u32 v2, v2, 10, 0x2000
	v_lshlrev_b32_e32 v1, 23, v1
	s_delay_alu instid0(VALU_DEP_2) | instskip(NEXT) | instid1(VALU_DEP_1)
	v_and_or_b32 v0, 0x8000, v0, v2
	v_lshl_or_b32 v71, v0, 16, v1
.LBB294_929:                            ;   in Loop: Header=BB294_16 Depth=1
	s_wait_alu 0xfffe
	s_or_b32 exec_lo, exec_lo, s22
.LBB294_930:                            ;   in Loop: Header=BB294_16 Depth=1
	s_wait_alu 0xfffe
	s_or_b32 exec_lo, exec_lo, s21
.LBB294_931:                            ;   in Loop: Header=BB294_16 Depth=1
	s_wait_alu 0xfffe
	s_or_b32 exec_lo, exec_lo, s20
	v_lshrrev_b32_e32 v8, 16, v31
	s_mov_b32 s20, exec_lo
	s_delay_alu instid0(VALU_DEP_1) | instskip(NEXT) | instid1(VALU_DEP_1)
	v_and_b32_e32 v0, 0xff, v8
	v_cmpx_ne_u16_e32 0, v0
	s_cbranch_execz .LBB294_939
; %bb.932:                              ;   in Loop: Header=BB294_16 Depth=1
	v_mov_b32_e32 v81, 0x8000
	s_mov_b32 s21, exec_lo
	v_cmpx_ne_u16_e32 0x80, v0
	s_cbranch_execz .LBB294_938
; %bb.933:                              ;   in Loop: Header=BB294_16 Depth=1
	v_bfe_u32 v2, v31, 16, 7
	v_mov_b32_e32 v81, 0x7c01
	s_mov_b32 s22, exec_lo
	s_delay_alu instid0(VALU_DEP_2)
	v_cmpx_ne_u32_e32 0x7f, v2
	s_cbranch_execz .LBB294_937
; %bb.934:                              ;   in Loop: Header=BB294_16 Depth=1
	v_and_b32_e32 v0, 7, v8
	v_lshrrev_b32_e32 v1, 3, v2
	s_mov_b32 s23, exec_lo
	v_cmpx_gt_u32_e32 8, v2
; %bb.935:                              ;   in Loop: Header=BB294_16 Depth=1
	s_delay_alu instid0(VALU_DEP_3) | instskip(NEXT) | instid1(VALU_DEP_1)
	v_clz_i32_u32_e32 v0, v0
	v_min_u32_e32 v2, 32, v0
	s_delay_alu instid0(VALU_DEP_1) | instskip(NEXT) | instid1(VALU_DEP_1)
	v_subrev_nc_u32_e32 v0, 28, v2
	v_lshlrev_b64_e32 v[0:1], v0, v[8:9]
	v_sub_nc_u32_e32 v1, 29, v2
	s_delay_alu instid0(VALU_DEP_2)
	v_and_b32_e32 v0, 7, v0
; %bb.936:                              ;   in Loop: Header=BB294_16 Depth=1
	s_wait_alu 0xfffe
	s_or_b32 exec_lo, exec_lo, s23
	v_lshlrev_b32_e32 v2, 8, v8
	v_lshl_add_u32 v1, v1, 10, 0x2000
	v_lshlrev_b32_e32 v0, 7, v0
	s_delay_alu instid0(VALU_DEP_3) | instskip(NEXT) | instid1(VALU_DEP_3)
	v_and_b32_e32 v2, 0x8000, v2
	v_and_b32_e32 v1, 0xfc00, v1
	s_delay_alu instid0(VALU_DEP_1)
	v_or3_b32 v81, v2, v1, v0
.LBB294_937:                            ;   in Loop: Header=BB294_16 Depth=1
	s_wait_alu 0xfffe
	s_or_b32 exec_lo, exec_lo, s22
.LBB294_938:                            ;   in Loop: Header=BB294_16 Depth=1
	s_wait_alu 0xfffe
	s_or_b32 exec_lo, exec_lo, s21
.LBB294_939:                            ;   in Loop: Header=BB294_16 Depth=1
	s_wait_alu 0xfffe
	s_or_b32 exec_lo, exec_lo, s20
	v_dual_mov_b32 v102, 0 :: v_dual_mov_b32 v83, 0
	s_mov_b32 s20, exec_lo
	v_cmpx_lt_u32_e32 0xffffff, v31
	s_cbranch_execz .LBB294_947
; %bb.940:                              ;   in Loop: Header=BB294_16 Depth=1
	v_lshrrev_b32_e32 v8, 24, v31
	v_bfrev_b32_e32 v83, 1
	s_mov_b32 s21, exec_lo
	s_delay_alu instid0(VALU_DEP_2)
	v_cmpx_ne_u32_e32 0x80, v8
	s_cbranch_execz .LBB294_946
; %bb.941:                              ;   in Loop: Header=BB294_16 Depth=1
	v_and_b32_e32 v2, 0x7f, v8
	v_mov_b32_e32 v83, 0x7c010000
	s_mov_b32 s22, exec_lo
	s_delay_alu instid0(VALU_DEP_2)
	v_cmpx_ne_u32_e32 0x7f, v2
	s_cbranch_execz .LBB294_945
; %bb.942:                              ;   in Loop: Header=BB294_16 Depth=1
	v_and_b32_e32 v0, 7, v8
	v_lshrrev_b32_e32 v1, 3, v2
	s_mov_b32 s23, exec_lo
	v_cmpx_gt_u32_e32 8, v2
; %bb.943:                              ;   in Loop: Header=BB294_16 Depth=1
	s_delay_alu instid0(VALU_DEP_3) | instskip(NEXT) | instid1(VALU_DEP_1)
	v_clz_i32_u32_e32 v0, v0
	v_min_u32_e32 v2, 32, v0
	s_delay_alu instid0(VALU_DEP_1) | instskip(NEXT) | instid1(VALU_DEP_1)
	v_subrev_nc_u32_e32 v0, 28, v2
	v_lshlrev_b64_e32 v[0:1], v0, v[8:9]
	v_sub_nc_u32_e32 v1, 29, v2
	s_delay_alu instid0(VALU_DEP_2)
	v_and_b32_e32 v0, 7, v0
; %bb.944:                              ;   in Loop: Header=BB294_16 Depth=1
	s_wait_alu 0xfffe
	s_or_b32 exec_lo, exec_lo, s23
	v_lshlrev_b32_e32 v2, 8, v8
	v_lshl_add_u32 v1, v1, 10, 0x2000
	v_lshlrev_b32_e32 v0, 23, v0
	s_delay_alu instid0(VALU_DEP_2) | instskip(NEXT) | instid1(VALU_DEP_1)
	v_and_or_b32 v1, 0x8000, v2, v1
	v_lshl_or_b32 v83, v1, 16, v0
.LBB294_945:                            ;   in Loop: Header=BB294_16 Depth=1
	s_wait_alu 0xfffe
	s_or_b32 exec_lo, exec_lo, s22
.LBB294_946:                            ;   in Loop: Header=BB294_16 Depth=1
	s_wait_alu 0xfffe
	s_or_b32 exec_lo, exec_lo, s21
.LBB294_947:                            ;   in Loop: Header=BB294_16 Depth=1
	s_wait_alu 0xfffe
	s_or_b32 exec_lo, exec_lo, s20
	v_and_b32_e32 v0, 0xff, v32
	v_mov_b32_e32 v8, v32
	s_mov_b32 s20, exec_lo
	s_delay_alu instid0(VALU_DEP_2)
	v_cmpx_ne_u16_e32 0, v0
	s_cbranch_execz .LBB294_955
; %bb.948:                              ;   in Loop: Header=BB294_16 Depth=1
	v_mov_b32_e32 v102, 0x8000
	s_mov_b32 s21, exec_lo
	v_cmpx_ne_u16_e32 0x80, v0
	s_cbranch_execz .LBB294_954
; %bb.949:                              ;   in Loop: Header=BB294_16 Depth=1
	v_and_b32_e32 v2, 0x7f, v32
	v_mov_b32_e32 v102, 0x7c01
	s_mov_b32 s22, exec_lo
	s_delay_alu instid0(VALU_DEP_2)
	v_cmpx_ne_u32_e32 0x7f, v2
	s_cbranch_execz .LBB294_953
; %bb.950:                              ;   in Loop: Header=BB294_16 Depth=1
	v_and_b32_e32 v0, 7, v32
	v_lshrrev_b32_e32 v1, 3, v2
	s_mov_b32 s23, exec_lo
	v_cmpx_gt_u32_e32 8, v2
; %bb.951:                              ;   in Loop: Header=BB294_16 Depth=1
	s_delay_alu instid0(VALU_DEP_3) | instskip(NEXT) | instid1(VALU_DEP_1)
	v_clz_i32_u32_e32 v0, v0
	v_min_u32_e32 v2, 32, v0
	s_delay_alu instid0(VALU_DEP_1) | instskip(NEXT) | instid1(VALU_DEP_1)
	v_subrev_nc_u32_e32 v0, 28, v2
	v_lshlrev_b64_e32 v[0:1], v0, v[8:9]
	v_sub_nc_u32_e32 v1, 29, v2
	s_delay_alu instid0(VALU_DEP_2)
	v_and_b32_e32 v0, 7, v0
; %bb.952:                              ;   in Loop: Header=BB294_16 Depth=1
	s_wait_alu 0xfffe
	s_or_b32 exec_lo, exec_lo, s23
	v_lshlrev_b32_e32 v2, 8, v32
	v_lshl_add_u32 v1, v1, 10, 0x2000
	v_lshlrev_b32_e32 v0, 7, v0
	s_delay_alu instid0(VALU_DEP_3) | instskip(NEXT) | instid1(VALU_DEP_3)
	v_and_b32_e32 v2, 0x8000, v2
	v_and_b32_e32 v1, 0xfc00, v1
	s_delay_alu instid0(VALU_DEP_1)
	v_or3_b32 v102, v2, v1, v0
.LBB294_953:                            ;   in Loop: Header=BB294_16 Depth=1
	s_wait_alu 0xfffe
	s_or_b32 exec_lo, exec_lo, s22
.LBB294_954:                            ;   in Loop: Header=BB294_16 Depth=1
	s_wait_alu 0xfffe
	s_or_b32 exec_lo, exec_lo, s21
.LBB294_955:                            ;   in Loop: Header=BB294_16 Depth=1
	s_wait_alu 0xfffe
	s_or_b32 exec_lo, exec_lo, s20
	v_lshrrev_b16 v8, 8, v8
	v_dual_mov_b32 v99, 0 :: v_dual_mov_b32 v112, 0
	s_mov_b32 s20, exec_lo
	s_delay_alu instid0(VALU_DEP_2)
	v_cmpx_ne_u16_e32 0, v8
	s_cbranch_execz .LBB294_963
; %bb.956:                              ;   in Loop: Header=BB294_16 Depth=1
	v_bfrev_b32_e32 v112, 1
	s_mov_b32 s21, exec_lo
	v_cmpx_ne_u16_e32 0x80, v8
	s_cbranch_execz .LBB294_962
; %bb.957:                              ;   in Loop: Header=BB294_16 Depth=1
	v_and_b32_e32 v0, 0xffff, v8
	v_mov_b32_e32 v112, 0x7c010000
	s_mov_b32 s22, exec_lo
	s_delay_alu instid0(VALU_DEP_2) | instskip(NEXT) | instid1(VALU_DEP_1)
	v_and_b32_e32 v3, 0x7f, v0
	v_cmpx_ne_u32_e32 0x7f, v3
	s_cbranch_execz .LBB294_961
; %bb.958:                              ;   in Loop: Header=BB294_16 Depth=1
	v_and_b32_e32 v1, 7, v0
	v_lshrrev_b32_e32 v2, 3, v3
	s_mov_b32 s23, exec_lo
	v_cmpx_gt_u32_e32 8, v3
; %bb.959:                              ;   in Loop: Header=BB294_16 Depth=1
	s_delay_alu instid0(VALU_DEP_3) | instskip(NEXT) | instid1(VALU_DEP_1)
	v_clz_i32_u32_e32 v1, v1
	v_min_u32_e32 v3, 32, v1
	s_delay_alu instid0(VALU_DEP_1) | instskip(NEXT) | instid1(VALU_DEP_1)
	v_subrev_nc_u32_e32 v1, 28, v3
	v_lshlrev_b64_e32 v[1:2], v1, v[8:9]
	v_sub_nc_u32_e32 v2, 29, v3
	s_delay_alu instid0(VALU_DEP_2)
	v_and_b32_e32 v1, 7, v1
; %bb.960:                              ;   in Loop: Header=BB294_16 Depth=1
	s_wait_alu 0xfffe
	s_or_b32 exec_lo, exec_lo, s23
	v_lshlrev_b32_e32 v0, 8, v0
	v_lshl_add_u32 v2, v2, 10, 0x2000
	v_lshlrev_b32_e32 v1, 23, v1
	s_delay_alu instid0(VALU_DEP_2) | instskip(NEXT) | instid1(VALU_DEP_1)
	v_and_or_b32 v0, 0x8000, v0, v2
	v_lshl_or_b32 v112, v0, 16, v1
.LBB294_961:                            ;   in Loop: Header=BB294_16 Depth=1
	s_wait_alu 0xfffe
	s_or_b32 exec_lo, exec_lo, s22
.LBB294_962:                            ;   in Loop: Header=BB294_16 Depth=1
	s_wait_alu 0xfffe
	s_or_b32 exec_lo, exec_lo, s21
.LBB294_963:                            ;   in Loop: Header=BB294_16 Depth=1
	s_wait_alu 0xfffe
	s_or_b32 exec_lo, exec_lo, s20
	v_lshrrev_b32_e32 v8, 16, v32
	s_mov_b32 s20, exec_lo
	s_delay_alu instid0(VALU_DEP_1) | instskip(NEXT) | instid1(VALU_DEP_1)
	v_and_b32_e32 v0, 0xff, v8
	v_cmpx_ne_u16_e32 0, v0
	s_cbranch_execz .LBB294_971
; %bb.964:                              ;   in Loop: Header=BB294_16 Depth=1
	v_mov_b32_e32 v99, 0x8000
	s_mov_b32 s21, exec_lo
	v_cmpx_ne_u16_e32 0x80, v0
	s_cbranch_execz .LBB294_970
; %bb.965:                              ;   in Loop: Header=BB294_16 Depth=1
	v_bfe_u32 v2, v32, 16, 7
	v_mov_b32_e32 v99, 0x7c01
	s_mov_b32 s22, exec_lo
	s_delay_alu instid0(VALU_DEP_2)
	v_cmpx_ne_u32_e32 0x7f, v2
	s_cbranch_execz .LBB294_969
; %bb.966:                              ;   in Loop: Header=BB294_16 Depth=1
	v_and_b32_e32 v0, 7, v8
	v_lshrrev_b32_e32 v1, 3, v2
	s_mov_b32 s23, exec_lo
	v_cmpx_gt_u32_e32 8, v2
; %bb.967:                              ;   in Loop: Header=BB294_16 Depth=1
	s_delay_alu instid0(VALU_DEP_3) | instskip(NEXT) | instid1(VALU_DEP_1)
	v_clz_i32_u32_e32 v0, v0
	v_min_u32_e32 v2, 32, v0
	s_delay_alu instid0(VALU_DEP_1) | instskip(NEXT) | instid1(VALU_DEP_1)
	v_subrev_nc_u32_e32 v0, 28, v2
	v_lshlrev_b64_e32 v[0:1], v0, v[8:9]
	v_sub_nc_u32_e32 v1, 29, v2
	s_delay_alu instid0(VALU_DEP_2)
	v_and_b32_e32 v0, 7, v0
; %bb.968:                              ;   in Loop: Header=BB294_16 Depth=1
	s_wait_alu 0xfffe
	s_or_b32 exec_lo, exec_lo, s23
	v_lshlrev_b32_e32 v2, 8, v8
	v_lshl_add_u32 v1, v1, 10, 0x2000
	v_lshlrev_b32_e32 v0, 7, v0
	s_delay_alu instid0(VALU_DEP_3) | instskip(NEXT) | instid1(VALU_DEP_3)
	v_and_b32_e32 v2, 0x8000, v2
	v_and_b32_e32 v1, 0xfc00, v1
	s_delay_alu instid0(VALU_DEP_1)
	v_or3_b32 v99, v2, v1, v0
.LBB294_969:                            ;   in Loop: Header=BB294_16 Depth=1
	s_wait_alu 0xfffe
	s_or_b32 exec_lo, exec_lo, s22
.LBB294_970:                            ;   in Loop: Header=BB294_16 Depth=1
	s_wait_alu 0xfffe
	s_or_b32 exec_lo, exec_lo, s21
.LBB294_971:                            ;   in Loop: Header=BB294_16 Depth=1
	s_wait_alu 0xfffe
	s_or_b32 exec_lo, exec_lo, s20
	v_dual_mov_b32 v25, 0 :: v_dual_mov_b32 v82, 0
	s_mov_b32 s20, exec_lo
	v_cmpx_lt_u64_e64 s[10:11], v[31:32]
	s_cbranch_execz .LBB294_979
; %bb.972:                              ;   in Loop: Header=BB294_16 Depth=1
	v_lshrrev_b32_e32 v8, 24, v32
	v_bfrev_b32_e32 v82, 1
	s_mov_b32 s21, exec_lo
	s_delay_alu instid0(VALU_DEP_2)
	v_cmpx_ne_u32_e32 0x80, v8
	s_cbranch_execz .LBB294_978
; %bb.973:                              ;   in Loop: Header=BB294_16 Depth=1
	v_and_b32_e32 v2, 0x7f, v8
	v_mov_b32_e32 v82, 0x7c010000
	s_mov_b32 s22, exec_lo
	s_delay_alu instid0(VALU_DEP_2)
	v_cmpx_ne_u32_e32 0x7f, v2
	s_cbranch_execz .LBB294_977
; %bb.974:                              ;   in Loop: Header=BB294_16 Depth=1
	v_and_b32_e32 v0, 7, v8
	v_lshrrev_b32_e32 v1, 3, v2
	s_mov_b32 s23, exec_lo
	v_cmpx_gt_u32_e32 8, v2
; %bb.975:                              ;   in Loop: Header=BB294_16 Depth=1
	s_delay_alu instid0(VALU_DEP_3) | instskip(NEXT) | instid1(VALU_DEP_1)
	v_clz_i32_u32_e32 v0, v0
	v_min_u32_e32 v2, 32, v0
	s_delay_alu instid0(VALU_DEP_1) | instskip(NEXT) | instid1(VALU_DEP_1)
	v_subrev_nc_u32_e32 v0, 28, v2
	v_lshlrev_b64_e32 v[0:1], v0, v[8:9]
	v_sub_nc_u32_e32 v1, 29, v2
	s_delay_alu instid0(VALU_DEP_2)
	v_and_b32_e32 v0, 7, v0
; %bb.976:                              ;   in Loop: Header=BB294_16 Depth=1
	s_wait_alu 0xfffe
	s_or_b32 exec_lo, exec_lo, s23
	v_lshlrev_b32_e32 v2, 8, v8
	v_lshl_add_u32 v1, v1, 10, 0x2000
	v_lshlrev_b32_e32 v0, 23, v0
	s_delay_alu instid0(VALU_DEP_2) | instskip(NEXT) | instid1(VALU_DEP_1)
	v_and_or_b32 v1, 0x8000, v2, v1
	v_lshl_or_b32 v82, v1, 16, v0
.LBB294_977:                            ;   in Loop: Header=BB294_16 Depth=1
	s_wait_alu 0xfffe
	s_or_b32 exec_lo, exec_lo, s22
.LBB294_978:                            ;   in Loop: Header=BB294_16 Depth=1
	s_wait_alu 0xfffe
	s_or_b32 exec_lo, exec_lo, s21
.LBB294_979:                            ;   in Loop: Header=BB294_16 Depth=1
	s_wait_alu 0xfffe
	s_or_b32 exec_lo, exec_lo, s20
	flat_load_b64 v[31:32], v[28:29] offset:3592
	s_mov_b32 s20, exec_lo
	s_wait_loadcnt_dscnt 0x0
	v_and_b32_e32 v0, 0xff, v31
	s_delay_alu instid0(VALU_DEP_1)
	v_cmpx_ne_u16_e32 0, v0
	s_cbranch_execz .LBB294_987
; %bb.980:                              ;   in Loop: Header=BB294_16 Depth=1
	v_mov_b32_e32 v25, 0x8000
	s_mov_b32 s21, exec_lo
	v_cmpx_ne_u16_e32 0x80, v0
	s_cbranch_execz .LBB294_986
; %bb.981:                              ;   in Loop: Header=BB294_16 Depth=1
	v_and_b32_e32 v2, 0x7f, v31
	v_mov_b32_e32 v25, 0x7c01
	s_mov_b32 s22, exec_lo
	s_delay_alu instid0(VALU_DEP_2)
	v_cmpx_ne_u32_e32 0x7f, v2
	s_cbranch_execz .LBB294_985
; %bb.982:                              ;   in Loop: Header=BB294_16 Depth=1
	v_and_b32_e32 v0, 7, v31
	v_lshrrev_b32_e32 v1, 3, v2
	s_mov_b32 s23, exec_lo
	v_cmpx_gt_u32_e32 8, v2
; %bb.983:                              ;   in Loop: Header=BB294_16 Depth=1
	s_delay_alu instid0(VALU_DEP_3) | instskip(NEXT) | instid1(VALU_DEP_1)
	v_clz_i32_u32_e32 v0, v0
	v_min_u32_e32 v2, 32, v0
	s_delay_alu instid0(VALU_DEP_1) | instskip(NEXT) | instid1(VALU_DEP_1)
	v_subrev_nc_u32_e32 v0, 28, v2
	v_lshlrev_b64_e32 v[0:1], v0, v[31:32]
	v_sub_nc_u32_e32 v1, 29, v2
	s_delay_alu instid0(VALU_DEP_2)
	v_and_b32_e32 v0, 7, v0
; %bb.984:                              ;   in Loop: Header=BB294_16 Depth=1
	s_wait_alu 0xfffe
	s_or_b32 exec_lo, exec_lo, s23
	v_lshlrev_b32_e32 v2, 8, v31
	v_lshl_add_u32 v1, v1, 10, 0x2000
	v_lshlrev_b32_e32 v0, 7, v0
	s_delay_alu instid0(VALU_DEP_3) | instskip(NEXT) | instid1(VALU_DEP_3)
	v_and_b32_e32 v2, 0x8000, v2
	v_and_b32_e32 v1, 0xfc00, v1
	s_delay_alu instid0(VALU_DEP_1)
	v_or3_b32 v25, v2, v1, v0
.LBB294_985:                            ;   in Loop: Header=BB294_16 Depth=1
	s_wait_alu 0xfffe
	s_or_b32 exec_lo, exec_lo, s22
.LBB294_986:                            ;   in Loop: Header=BB294_16 Depth=1
	s_wait_alu 0xfffe
	s_or_b32 exec_lo, exec_lo, s21
.LBB294_987:                            ;   in Loop: Header=BB294_16 Depth=1
	s_wait_alu 0xfffe
	s_or_b32 exec_lo, exec_lo, s20
	v_lshrrev_b16 v8, 8, v31
	v_mov_b32_e32 v23, 0
	v_mov_b32_e32 v37, 0
	s_mov_b32 s20, exec_lo
	s_delay_alu instid0(VALU_DEP_3)
	v_cmpx_ne_u16_e32 0, v8
	s_cbranch_execz .LBB294_995
; %bb.988:                              ;   in Loop: Header=BB294_16 Depth=1
	v_bfrev_b32_e32 v37, 1
	s_mov_b32 s21, exec_lo
	v_cmpx_ne_u16_e32 0x80, v8
	s_cbranch_execz .LBB294_994
; %bb.989:                              ;   in Loop: Header=BB294_16 Depth=1
	v_and_b32_e32 v0, 0xffff, v8
	v_mov_b32_e32 v37, 0x7c010000
	s_mov_b32 s22, exec_lo
	s_delay_alu instid0(VALU_DEP_2) | instskip(NEXT) | instid1(VALU_DEP_1)
	v_and_b32_e32 v3, 0x7f, v0
	v_cmpx_ne_u32_e32 0x7f, v3
	s_cbranch_execz .LBB294_993
; %bb.990:                              ;   in Loop: Header=BB294_16 Depth=1
	v_and_b32_e32 v1, 7, v0
	v_lshrrev_b32_e32 v2, 3, v3
	s_mov_b32 s23, exec_lo
	v_cmpx_gt_u32_e32 8, v3
; %bb.991:                              ;   in Loop: Header=BB294_16 Depth=1
	s_delay_alu instid0(VALU_DEP_3) | instskip(NEXT) | instid1(VALU_DEP_1)
	v_clz_i32_u32_e32 v1, v1
	v_min_u32_e32 v3, 32, v1
	s_delay_alu instid0(VALU_DEP_1) | instskip(NEXT) | instid1(VALU_DEP_1)
	v_subrev_nc_u32_e32 v1, 28, v3
	v_lshlrev_b64_e32 v[1:2], v1, v[8:9]
	v_sub_nc_u32_e32 v2, 29, v3
	s_delay_alu instid0(VALU_DEP_2)
	v_and_b32_e32 v1, 7, v1
; %bb.992:                              ;   in Loop: Header=BB294_16 Depth=1
	s_wait_alu 0xfffe
	s_or_b32 exec_lo, exec_lo, s23
	v_lshlrev_b32_e32 v0, 8, v0
	v_lshl_add_u32 v2, v2, 10, 0x2000
	v_lshlrev_b32_e32 v1, 23, v1
	s_delay_alu instid0(VALU_DEP_2) | instskip(NEXT) | instid1(VALU_DEP_1)
	v_and_or_b32 v0, 0x8000, v0, v2
	v_lshl_or_b32 v37, v0, 16, v1
.LBB294_993:                            ;   in Loop: Header=BB294_16 Depth=1
	s_wait_alu 0xfffe
	s_or_b32 exec_lo, exec_lo, s22
.LBB294_994:                            ;   in Loop: Header=BB294_16 Depth=1
	s_wait_alu 0xfffe
	s_or_b32 exec_lo, exec_lo, s21
.LBB294_995:                            ;   in Loop: Header=BB294_16 Depth=1
	s_wait_alu 0xfffe
	s_or_b32 exec_lo, exec_lo, s20
	v_lshrrev_b32_e32 v8, 16, v31
	s_mov_b32 s20, exec_lo
	s_delay_alu instid0(VALU_DEP_1) | instskip(NEXT) | instid1(VALU_DEP_1)
	v_and_b32_e32 v0, 0xff, v8
	v_cmpx_ne_u16_e32 0, v0
	s_cbranch_execz .LBB294_1003
; %bb.996:                              ;   in Loop: Header=BB294_16 Depth=1
	v_mov_b32_e32 v23, 0x8000
	s_mov_b32 s21, exec_lo
	v_cmpx_ne_u16_e32 0x80, v0
	s_cbranch_execz .LBB294_1002
; %bb.997:                              ;   in Loop: Header=BB294_16 Depth=1
	v_bfe_u32 v2, v31, 16, 7
	v_mov_b32_e32 v23, 0x7c01
	s_mov_b32 s22, exec_lo
	s_delay_alu instid0(VALU_DEP_2)
	v_cmpx_ne_u32_e32 0x7f, v2
	s_cbranch_execz .LBB294_1001
; %bb.998:                              ;   in Loop: Header=BB294_16 Depth=1
	v_and_b32_e32 v0, 7, v8
	v_lshrrev_b32_e32 v1, 3, v2
	s_mov_b32 s23, exec_lo
	v_cmpx_gt_u32_e32 8, v2
; %bb.999:                              ;   in Loop: Header=BB294_16 Depth=1
	s_delay_alu instid0(VALU_DEP_3) | instskip(NEXT) | instid1(VALU_DEP_1)
	v_clz_i32_u32_e32 v0, v0
	v_min_u32_e32 v2, 32, v0
	s_delay_alu instid0(VALU_DEP_1) | instskip(NEXT) | instid1(VALU_DEP_1)
	v_subrev_nc_u32_e32 v0, 28, v2
	v_lshlrev_b64_e32 v[0:1], v0, v[8:9]
	v_sub_nc_u32_e32 v1, 29, v2
	s_delay_alu instid0(VALU_DEP_2)
	v_and_b32_e32 v0, 7, v0
; %bb.1000:                             ;   in Loop: Header=BB294_16 Depth=1
	s_wait_alu 0xfffe
	s_or_b32 exec_lo, exec_lo, s23
	v_lshlrev_b32_e32 v2, 8, v8
	v_lshl_add_u32 v1, v1, 10, 0x2000
	v_lshlrev_b32_e32 v0, 7, v0
	s_delay_alu instid0(VALU_DEP_3) | instskip(NEXT) | instid1(VALU_DEP_3)
	v_and_b32_e32 v2, 0x8000, v2
	v_and_b32_e32 v1, 0xfc00, v1
	s_delay_alu instid0(VALU_DEP_1)
	v_or3_b32 v23, v2, v1, v0
.LBB294_1001:                           ;   in Loop: Header=BB294_16 Depth=1
	s_wait_alu 0xfffe
	s_or_b32 exec_lo, exec_lo, s22
.LBB294_1002:                           ;   in Loop: Header=BB294_16 Depth=1
	s_wait_alu 0xfffe
	s_or_b32 exec_lo, exec_lo, s21
.LBB294_1003:                           ;   in Loop: Header=BB294_16 Depth=1
	s_wait_alu 0xfffe
	s_or_b32 exec_lo, exec_lo, s20
	v_dual_mov_b32 v39, 0 :: v_dual_mov_b32 v38, 0
	s_mov_b32 s20, exec_lo
	v_cmpx_lt_u32_e32 0xffffff, v31
	s_cbranch_execz .LBB294_1011
; %bb.1004:                             ;   in Loop: Header=BB294_16 Depth=1
	v_lshrrev_b32_e32 v8, 24, v31
	v_bfrev_b32_e32 v38, 1
	s_mov_b32 s21, exec_lo
	s_delay_alu instid0(VALU_DEP_2)
	v_cmpx_ne_u32_e32 0x80, v8
	s_cbranch_execz .LBB294_1010
; %bb.1005:                             ;   in Loop: Header=BB294_16 Depth=1
	v_and_b32_e32 v2, 0x7f, v8
	v_mov_b32_e32 v38, 0x7c010000
	s_mov_b32 s22, exec_lo
	s_delay_alu instid0(VALU_DEP_2)
	v_cmpx_ne_u32_e32 0x7f, v2
	s_cbranch_execz .LBB294_1009
; %bb.1006:                             ;   in Loop: Header=BB294_16 Depth=1
	v_and_b32_e32 v0, 7, v8
	v_lshrrev_b32_e32 v1, 3, v2
	s_mov_b32 s23, exec_lo
	v_cmpx_gt_u32_e32 8, v2
; %bb.1007:                             ;   in Loop: Header=BB294_16 Depth=1
	s_delay_alu instid0(VALU_DEP_3) | instskip(NEXT) | instid1(VALU_DEP_1)
	v_clz_i32_u32_e32 v0, v0
	v_min_u32_e32 v2, 32, v0
	s_delay_alu instid0(VALU_DEP_1) | instskip(NEXT) | instid1(VALU_DEP_1)
	v_subrev_nc_u32_e32 v0, 28, v2
	v_lshlrev_b64_e32 v[0:1], v0, v[8:9]
	v_sub_nc_u32_e32 v1, 29, v2
	s_delay_alu instid0(VALU_DEP_2)
	v_and_b32_e32 v0, 7, v0
; %bb.1008:                             ;   in Loop: Header=BB294_16 Depth=1
	s_wait_alu 0xfffe
	s_or_b32 exec_lo, exec_lo, s23
	v_lshlrev_b32_e32 v2, 8, v8
	v_lshl_add_u32 v1, v1, 10, 0x2000
	v_lshlrev_b32_e32 v0, 23, v0
	s_delay_alu instid0(VALU_DEP_2) | instskip(NEXT) | instid1(VALU_DEP_1)
	v_and_or_b32 v1, 0x8000, v2, v1
	v_lshl_or_b32 v38, v1, 16, v0
.LBB294_1009:                           ;   in Loop: Header=BB294_16 Depth=1
	s_wait_alu 0xfffe
	s_or_b32 exec_lo, exec_lo, s22
.LBB294_1010:                           ;   in Loop: Header=BB294_16 Depth=1
	s_wait_alu 0xfffe
	s_or_b32 exec_lo, exec_lo, s21
.LBB294_1011:                           ;   in Loop: Header=BB294_16 Depth=1
	s_wait_alu 0xfffe
	s_or_b32 exec_lo, exec_lo, s20
	v_and_b32_e32 v0, 0xff, v32
	v_mov_b32_e32 v8, v32
	s_mov_b32 s20, exec_lo
	s_delay_alu instid0(VALU_DEP_2)
	v_cmpx_ne_u16_e32 0, v0
	s_cbranch_execz .LBB294_1019
; %bb.1012:                             ;   in Loop: Header=BB294_16 Depth=1
	v_mov_b32_e32 v39, 0x8000
	s_mov_b32 s21, exec_lo
	v_cmpx_ne_u16_e32 0x80, v0
	s_cbranch_execz .LBB294_1018
; %bb.1013:                             ;   in Loop: Header=BB294_16 Depth=1
	v_and_b32_e32 v2, 0x7f, v32
	v_mov_b32_e32 v39, 0x7c01
	s_mov_b32 s22, exec_lo
	s_delay_alu instid0(VALU_DEP_2)
	v_cmpx_ne_u32_e32 0x7f, v2
	s_cbranch_execz .LBB294_1017
; %bb.1014:                             ;   in Loop: Header=BB294_16 Depth=1
	v_and_b32_e32 v0, 7, v32
	v_lshrrev_b32_e32 v1, 3, v2
	s_mov_b32 s23, exec_lo
	v_cmpx_gt_u32_e32 8, v2
; %bb.1015:                             ;   in Loop: Header=BB294_16 Depth=1
	s_delay_alu instid0(VALU_DEP_3) | instskip(NEXT) | instid1(VALU_DEP_1)
	v_clz_i32_u32_e32 v0, v0
	v_min_u32_e32 v2, 32, v0
	s_delay_alu instid0(VALU_DEP_1) | instskip(NEXT) | instid1(VALU_DEP_1)
	v_subrev_nc_u32_e32 v0, 28, v2
	v_lshlrev_b64_e32 v[0:1], v0, v[8:9]
	v_sub_nc_u32_e32 v1, 29, v2
	s_delay_alu instid0(VALU_DEP_2)
	v_and_b32_e32 v0, 7, v0
; %bb.1016:                             ;   in Loop: Header=BB294_16 Depth=1
	s_wait_alu 0xfffe
	s_or_b32 exec_lo, exec_lo, s23
	v_lshlrev_b32_e32 v2, 8, v32
	v_lshl_add_u32 v1, v1, 10, 0x2000
	v_lshlrev_b32_e32 v0, 7, v0
	s_delay_alu instid0(VALU_DEP_3) | instskip(NEXT) | instid1(VALU_DEP_3)
	v_and_b32_e32 v2, 0x8000, v2
	v_and_b32_e32 v1, 0xfc00, v1
	s_delay_alu instid0(VALU_DEP_1)
	v_or3_b32 v39, v2, v1, v0
.LBB294_1017:                           ;   in Loop: Header=BB294_16 Depth=1
	s_wait_alu 0xfffe
	s_or_b32 exec_lo, exec_lo, s22
.LBB294_1018:                           ;   in Loop: Header=BB294_16 Depth=1
	s_wait_alu 0xfffe
	s_or_b32 exec_lo, exec_lo, s21
.LBB294_1019:                           ;   in Loop: Header=BB294_16 Depth=1
	s_wait_alu 0xfffe
	s_or_b32 exec_lo, exec_lo, s20
	v_lshrrev_b16 v8, 8, v8
	v_mov_b32_e32 v67, 0
	v_mov_b32_e32 v113, 0
	s_mov_b32 s20, exec_lo
	s_delay_alu instid0(VALU_DEP_3)
	v_cmpx_ne_u16_e32 0, v8
	s_cbranch_execz .LBB294_1027
; %bb.1020:                             ;   in Loop: Header=BB294_16 Depth=1
	v_bfrev_b32_e32 v113, 1
	s_mov_b32 s21, exec_lo
	v_cmpx_ne_u16_e32 0x80, v8
	s_cbranch_execz .LBB294_1026
; %bb.1021:                             ;   in Loop: Header=BB294_16 Depth=1
	v_and_b32_e32 v0, 0xffff, v8
	v_mov_b32_e32 v113, 0x7c010000
	s_mov_b32 s22, exec_lo
	s_delay_alu instid0(VALU_DEP_2) | instskip(NEXT) | instid1(VALU_DEP_1)
	v_and_b32_e32 v3, 0x7f, v0
	v_cmpx_ne_u32_e32 0x7f, v3
	s_cbranch_execz .LBB294_1025
; %bb.1022:                             ;   in Loop: Header=BB294_16 Depth=1
	v_and_b32_e32 v1, 7, v0
	v_lshrrev_b32_e32 v2, 3, v3
	s_mov_b32 s23, exec_lo
	v_cmpx_gt_u32_e32 8, v3
; %bb.1023:                             ;   in Loop: Header=BB294_16 Depth=1
	s_delay_alu instid0(VALU_DEP_3) | instskip(NEXT) | instid1(VALU_DEP_1)
	v_clz_i32_u32_e32 v1, v1
	v_min_u32_e32 v3, 32, v1
	s_delay_alu instid0(VALU_DEP_1) | instskip(NEXT) | instid1(VALU_DEP_1)
	v_subrev_nc_u32_e32 v1, 28, v3
	v_lshlrev_b64_e32 v[1:2], v1, v[8:9]
	v_sub_nc_u32_e32 v2, 29, v3
	s_delay_alu instid0(VALU_DEP_2)
	v_and_b32_e32 v1, 7, v1
; %bb.1024:                             ;   in Loop: Header=BB294_16 Depth=1
	s_wait_alu 0xfffe
	s_or_b32 exec_lo, exec_lo, s23
	v_lshlrev_b32_e32 v0, 8, v0
	v_lshl_add_u32 v2, v2, 10, 0x2000
	v_lshlrev_b32_e32 v1, 23, v1
	s_delay_alu instid0(VALU_DEP_2) | instskip(NEXT) | instid1(VALU_DEP_1)
	v_and_or_b32 v0, 0x8000, v0, v2
	v_lshl_or_b32 v113, v0, 16, v1
.LBB294_1025:                           ;   in Loop: Header=BB294_16 Depth=1
	s_wait_alu 0xfffe
	s_or_b32 exec_lo, exec_lo, s22
.LBB294_1026:                           ;   in Loop: Header=BB294_16 Depth=1
	s_wait_alu 0xfffe
	s_or_b32 exec_lo, exec_lo, s21
.LBB294_1027:                           ;   in Loop: Header=BB294_16 Depth=1
	s_wait_alu 0xfffe
	s_or_b32 exec_lo, exec_lo, s20
	v_lshrrev_b32_e32 v8, 16, v32
	s_mov_b32 s20, exec_lo
	s_delay_alu instid0(VALU_DEP_1) | instskip(NEXT) | instid1(VALU_DEP_1)
	v_and_b32_e32 v0, 0xff, v8
	v_cmpx_ne_u16_e32 0, v0
	s_cbranch_execz .LBB294_1035
; %bb.1028:                             ;   in Loop: Header=BB294_16 Depth=1
	v_mov_b32_e32 v67, 0x8000
	s_mov_b32 s21, exec_lo
	v_cmpx_ne_u16_e32 0x80, v0
	s_cbranch_execz .LBB294_1034
; %bb.1029:                             ;   in Loop: Header=BB294_16 Depth=1
	v_bfe_u32 v2, v32, 16, 7
	v_mov_b32_e32 v67, 0x7c01
	s_mov_b32 s22, exec_lo
	s_delay_alu instid0(VALU_DEP_2)
	v_cmpx_ne_u32_e32 0x7f, v2
	s_cbranch_execz .LBB294_1033
; %bb.1030:                             ;   in Loop: Header=BB294_16 Depth=1
	v_and_b32_e32 v0, 7, v8
	v_lshrrev_b32_e32 v1, 3, v2
	s_mov_b32 s23, exec_lo
	v_cmpx_gt_u32_e32 8, v2
; %bb.1031:                             ;   in Loop: Header=BB294_16 Depth=1
	s_delay_alu instid0(VALU_DEP_3) | instskip(NEXT) | instid1(VALU_DEP_1)
	v_clz_i32_u32_e32 v0, v0
	v_min_u32_e32 v2, 32, v0
	s_delay_alu instid0(VALU_DEP_1) | instskip(NEXT) | instid1(VALU_DEP_1)
	v_subrev_nc_u32_e32 v0, 28, v2
	v_lshlrev_b64_e32 v[0:1], v0, v[8:9]
	v_sub_nc_u32_e32 v1, 29, v2
	s_delay_alu instid0(VALU_DEP_2)
	v_and_b32_e32 v0, 7, v0
; %bb.1032:                             ;   in Loop: Header=BB294_16 Depth=1
	s_wait_alu 0xfffe
	s_or_b32 exec_lo, exec_lo, s23
	v_lshlrev_b32_e32 v2, 8, v8
	v_lshl_add_u32 v1, v1, 10, 0x2000
	v_lshlrev_b32_e32 v0, 7, v0
	s_delay_alu instid0(VALU_DEP_3) | instskip(NEXT) | instid1(VALU_DEP_3)
	v_and_b32_e32 v2, 0x8000, v2
	v_and_b32_e32 v1, 0xfc00, v1
	s_delay_alu instid0(VALU_DEP_1)
	v_or3_b32 v67, v2, v1, v0
.LBB294_1033:                           ;   in Loop: Header=BB294_16 Depth=1
	s_wait_alu 0xfffe
	s_or_b32 exec_lo, exec_lo, s22
.LBB294_1034:                           ;   in Loop: Header=BB294_16 Depth=1
	s_wait_alu 0xfffe
	s_or_b32 exec_lo, exec_lo, s21
.LBB294_1035:                           ;   in Loop: Header=BB294_16 Depth=1
	s_wait_alu 0xfffe
	s_or_b32 exec_lo, exec_lo, s20
	v_dual_mov_b32 v2, 0 :: v_dual_mov_b32 v115, 0
	s_mov_b32 s20, exec_lo
	v_cmpx_lt_u64_e64 s[10:11], v[31:32]
	s_cbranch_execz .LBB294_1043
; %bb.1036:                             ;   in Loop: Header=BB294_16 Depth=1
	v_lshrrev_b32_e32 v8, 24, v32
	v_bfrev_b32_e32 v115, 1
	s_mov_b32 s21, exec_lo
	s_delay_alu instid0(VALU_DEP_2)
	v_cmpx_ne_u32_e32 0x80, v8
	s_cbranch_execz .LBB294_1042
; %bb.1037:                             ;   in Loop: Header=BB294_16 Depth=1
	v_and_b32_e32 v3, 0x7f, v8
	v_mov_b32_e32 v115, 0x7c010000
	s_mov_b32 s22, exec_lo
	s_delay_alu instid0(VALU_DEP_2)
	v_cmpx_ne_u32_e32 0x7f, v3
	s_cbranch_execz .LBB294_1041
; %bb.1038:                             ;   in Loop: Header=BB294_16 Depth=1
	v_and_b32_e32 v0, 7, v8
	v_lshrrev_b32_e32 v1, 3, v3
	s_mov_b32 s23, exec_lo
	v_cmpx_gt_u32_e32 8, v3
; %bb.1039:                             ;   in Loop: Header=BB294_16 Depth=1
	s_delay_alu instid0(VALU_DEP_3) | instskip(NEXT) | instid1(VALU_DEP_1)
	v_clz_i32_u32_e32 v0, v0
	v_min_u32_e32 v3, 32, v0
	s_delay_alu instid0(VALU_DEP_1) | instskip(NEXT) | instid1(VALU_DEP_1)
	v_subrev_nc_u32_e32 v0, 28, v3
	v_lshlrev_b64_e32 v[0:1], v0, v[8:9]
	v_sub_nc_u32_e32 v1, 29, v3
	s_delay_alu instid0(VALU_DEP_2)
	v_and_b32_e32 v0, 7, v0
; %bb.1040:                             ;   in Loop: Header=BB294_16 Depth=1
	s_wait_alu 0xfffe
	s_or_b32 exec_lo, exec_lo, s23
	v_lshlrev_b32_e32 v3, 8, v8
	v_lshl_add_u32 v1, v1, 10, 0x2000
	v_lshlrev_b32_e32 v0, 23, v0
	s_delay_alu instid0(VALU_DEP_2) | instskip(NEXT) | instid1(VALU_DEP_1)
	v_and_or_b32 v1, 0x8000, v3, v1
	v_lshl_or_b32 v115, v1, 16, v0
.LBB294_1041:                           ;   in Loop: Header=BB294_16 Depth=1
	s_wait_alu 0xfffe
	s_or_b32 exec_lo, exec_lo, s22
.LBB294_1042:                           ;   in Loop: Header=BB294_16 Depth=1
	s_wait_alu 0xfffe
	s_or_b32 exec_lo, exec_lo, s21
.LBB294_1043:                           ;   in Loop: Header=BB294_16 Depth=1
	s_wait_alu 0xfffe
	s_or_b32 exec_lo, exec_lo, s20
	flat_load_b64 v[31:32], v[28:29] offset:4096
	s_mov_b32 s20, exec_lo
	s_wait_loadcnt_dscnt 0x0
	v_and_b32_e32 v0, 0xff, v31
	s_delay_alu instid0(VALU_DEP_1)
	v_cmpx_ne_u16_e32 0, v0
	s_cbranch_execz .LBB294_1051
; %bb.1044:                             ;   in Loop: Header=BB294_16 Depth=1
	v_mov_b32_e32 v2, 0x8000
	s_mov_b32 s21, exec_lo
	v_cmpx_ne_u16_e32 0x80, v0
	s_cbranch_execz .LBB294_1050
; %bb.1045:                             ;   in Loop: Header=BB294_16 Depth=1
	v_and_b32_e32 v3, 0x7f, v31
	v_mov_b32_e32 v2, 0x7c01
	s_mov_b32 s22, exec_lo
	s_delay_alu instid0(VALU_DEP_2)
	v_cmpx_ne_u32_e32 0x7f, v3
	s_cbranch_execz .LBB294_1049
; %bb.1046:                             ;   in Loop: Header=BB294_16 Depth=1
	v_and_b32_e32 v0, 7, v31
	v_lshrrev_b32_e32 v1, 3, v3
	s_mov_b32 s23, exec_lo
	v_cmpx_gt_u32_e32 8, v3
; %bb.1047:                             ;   in Loop: Header=BB294_16 Depth=1
	s_delay_alu instid0(VALU_DEP_3) | instskip(NEXT) | instid1(VALU_DEP_1)
	v_clz_i32_u32_e32 v0, v0
	v_min_u32_e32 v2, 32, v0
	s_delay_alu instid0(VALU_DEP_1) | instskip(NEXT) | instid1(VALU_DEP_1)
	v_subrev_nc_u32_e32 v0, 28, v2
	v_lshlrev_b64_e32 v[0:1], v0, v[31:32]
	v_sub_nc_u32_e32 v1, 29, v2
	s_delay_alu instid0(VALU_DEP_2)
	v_and_b32_e32 v0, 7, v0
; %bb.1048:                             ;   in Loop: Header=BB294_16 Depth=1
	s_wait_alu 0xfffe
	s_or_b32 exec_lo, exec_lo, s23
	v_lshlrev_b32_e32 v2, 8, v31
	v_lshl_add_u32 v1, v1, 10, 0x2000
	v_lshlrev_b32_e32 v0, 7, v0
	s_delay_alu instid0(VALU_DEP_3) | instskip(NEXT) | instid1(VALU_DEP_3)
	v_and_b32_e32 v2, 0x8000, v2
	v_and_b32_e32 v1, 0xfc00, v1
	s_delay_alu instid0(VALU_DEP_1)
	v_or3_b32 v2, v2, v1, v0
.LBB294_1049:                           ;   in Loop: Header=BB294_16 Depth=1
	s_wait_alu 0xfffe
	s_or_b32 exec_lo, exec_lo, s22
.LBB294_1050:                           ;   in Loop: Header=BB294_16 Depth=1
	s_wait_alu 0xfffe
	s_or_b32 exec_lo, exec_lo, s21
.LBB294_1051:                           ;   in Loop: Header=BB294_16 Depth=1
	s_wait_alu 0xfffe
	s_or_b32 exec_lo, exec_lo, s20
	v_lshrrev_b16 v8, 8, v31
	v_mov_b32_e32 v18, 0
	v_mov_b32_e32 v16, 0
	s_mov_b32 s20, exec_lo
	s_delay_alu instid0(VALU_DEP_3)
	v_cmpx_ne_u16_e32 0, v8
	s_cbranch_execz .LBB294_1059
; %bb.1052:                             ;   in Loop: Header=BB294_16 Depth=1
	v_bfrev_b32_e32 v16, 1
	s_mov_b32 s21, exec_lo
	v_cmpx_ne_u16_e32 0x80, v8
	s_cbranch_execz .LBB294_1058
; %bb.1053:                             ;   in Loop: Header=BB294_16 Depth=1
	v_and_b32_e32 v0, 0xffff, v8
	v_mov_b32_e32 v16, 0x7c010000
	s_mov_b32 s22, exec_lo
	s_delay_alu instid0(VALU_DEP_2) | instskip(NEXT) | instid1(VALU_DEP_1)
	v_and_b32_e32 v12, 0x7f, v0
	v_cmpx_ne_u32_e32 0x7f, v12
	s_cbranch_execz .LBB294_1057
; %bb.1054:                             ;   in Loop: Header=BB294_16 Depth=1
	v_and_b32_e32 v1, 7, v0
	v_lshrrev_b32_e32 v3, 3, v12
	s_mov_b32 s23, exec_lo
	v_cmpx_gt_u32_e32 8, v12
; %bb.1055:                             ;   in Loop: Header=BB294_16 Depth=1
	s_delay_alu instid0(VALU_DEP_3) | instskip(NEXT) | instid1(VALU_DEP_1)
	v_clz_i32_u32_e32 v1, v1
	v_min_u32_e32 v1, 32, v1
	s_delay_alu instid0(VALU_DEP_1) | instskip(NEXT) | instid1(VALU_DEP_1)
	v_subrev_nc_u32_e32 v3, 28, v1
	v_lshlrev_b64_e32 v[48:49], v3, v[8:9]
	v_sub_nc_u32_e32 v3, 29, v1
	s_delay_alu instid0(VALU_DEP_2)
	v_and_b32_e32 v1, 7, v48
; %bb.1056:                             ;   in Loop: Header=BB294_16 Depth=1
	s_wait_alu 0xfffe
	s_or_b32 exec_lo, exec_lo, s23
	v_lshlrev_b32_e32 v0, 8, v0
	v_lshl_add_u32 v3, v3, 10, 0x2000
	v_lshlrev_b32_e32 v1, 23, v1
	s_delay_alu instid0(VALU_DEP_2) | instskip(NEXT) | instid1(VALU_DEP_1)
	v_and_or_b32 v0, 0x8000, v0, v3
	v_lshl_or_b32 v16, v0, 16, v1
.LBB294_1057:                           ;   in Loop: Header=BB294_16 Depth=1
	s_wait_alu 0xfffe
	s_or_b32 exec_lo, exec_lo, s22
.LBB294_1058:                           ;   in Loop: Header=BB294_16 Depth=1
	s_wait_alu 0xfffe
	s_or_b32 exec_lo, exec_lo, s21
.LBB294_1059:                           ;   in Loop: Header=BB294_16 Depth=1
	s_wait_alu 0xfffe
	s_or_b32 exec_lo, exec_lo, s20
	v_lshrrev_b32_e32 v8, 16, v31
	s_mov_b32 s20, exec_lo
	s_delay_alu instid0(VALU_DEP_1) | instskip(NEXT) | instid1(VALU_DEP_1)
	v_and_b32_e32 v0, 0xff, v8
	v_cmpx_ne_u16_e32 0, v0
	s_cbranch_execz .LBB294_1067
; %bb.1060:                             ;   in Loop: Header=BB294_16 Depth=1
	v_mov_b32_e32 v18, 0x8000
	s_mov_b32 s21, exec_lo
	v_cmpx_ne_u16_e32 0x80, v0
	s_cbranch_execz .LBB294_1066
; %bb.1061:                             ;   in Loop: Header=BB294_16 Depth=1
	v_bfe_u32 v3, v31, 16, 7
	v_mov_b32_e32 v18, 0x7c01
	s_mov_b32 s22, exec_lo
	s_delay_alu instid0(VALU_DEP_2)
	v_cmpx_ne_u32_e32 0x7f, v3
	s_cbranch_execz .LBB294_1065
; %bb.1062:                             ;   in Loop: Header=BB294_16 Depth=1
	v_and_b32_e32 v0, 7, v8
	v_lshrrev_b32_e32 v1, 3, v3
	s_mov_b32 s23, exec_lo
	v_cmpx_gt_u32_e32 8, v3
; %bb.1063:                             ;   in Loop: Header=BB294_16 Depth=1
	s_delay_alu instid0(VALU_DEP_3) | instskip(NEXT) | instid1(VALU_DEP_1)
	v_clz_i32_u32_e32 v0, v0
	v_min_u32_e32 v3, 32, v0
	s_delay_alu instid0(VALU_DEP_1) | instskip(NEXT) | instid1(VALU_DEP_1)
	v_subrev_nc_u32_e32 v0, 28, v3
	v_lshlrev_b64_e32 v[0:1], v0, v[8:9]
	v_sub_nc_u32_e32 v1, 29, v3
	s_delay_alu instid0(VALU_DEP_2)
	v_and_b32_e32 v0, 7, v0
; %bb.1064:                             ;   in Loop: Header=BB294_16 Depth=1
	s_wait_alu 0xfffe
	s_or_b32 exec_lo, exec_lo, s23
	v_lshlrev_b32_e32 v3, 8, v8
	v_lshl_add_u32 v1, v1, 10, 0x2000
	v_lshlrev_b32_e32 v0, 7, v0
	s_delay_alu instid0(VALU_DEP_3) | instskip(NEXT) | instid1(VALU_DEP_3)
	v_and_b32_e32 v3, 0x8000, v3
	v_and_b32_e32 v1, 0xfc00, v1
	s_delay_alu instid0(VALU_DEP_1)
	v_or3_b32 v18, v3, v1, v0
.LBB294_1065:                           ;   in Loop: Header=BB294_16 Depth=1
	s_wait_alu 0xfffe
	s_or_b32 exec_lo, exec_lo, s22
.LBB294_1066:                           ;   in Loop: Header=BB294_16 Depth=1
	s_wait_alu 0xfffe
	s_or_b32 exec_lo, exec_lo, s21
.LBB294_1067:                           ;   in Loop: Header=BB294_16 Depth=1
	s_wait_alu 0xfffe
	s_or_b32 exec_lo, exec_lo, s20
	v_mov_b32_e32 v33, 0
	v_mov_b32_e32 v19, 0
	s_mov_b32 s20, exec_lo
	v_cmpx_lt_u32_e32 0xffffff, v31
	s_cbranch_execz .LBB294_1075
; %bb.1068:                             ;   in Loop: Header=BB294_16 Depth=1
	v_lshrrev_b32_e32 v8, 24, v31
	v_bfrev_b32_e32 v19, 1
	s_mov_b32 s21, exec_lo
	s_delay_alu instid0(VALU_DEP_2)
	v_cmpx_ne_u32_e32 0x80, v8
	s_cbranch_execz .LBB294_1074
; %bb.1069:                             ;   in Loop: Header=BB294_16 Depth=1
	v_and_b32_e32 v3, 0x7f, v8
	v_mov_b32_e32 v19, 0x7c010000
	s_mov_b32 s22, exec_lo
	s_delay_alu instid0(VALU_DEP_2)
	v_cmpx_ne_u32_e32 0x7f, v3
	s_cbranch_execz .LBB294_1073
; %bb.1070:                             ;   in Loop: Header=BB294_16 Depth=1
	v_and_b32_e32 v0, 7, v8
	v_lshrrev_b32_e32 v1, 3, v3
	s_mov_b32 s23, exec_lo
	v_cmpx_gt_u32_e32 8, v3
; %bb.1071:                             ;   in Loop: Header=BB294_16 Depth=1
	s_delay_alu instid0(VALU_DEP_3) | instskip(NEXT) | instid1(VALU_DEP_1)
	v_clz_i32_u32_e32 v0, v0
	v_min_u32_e32 v3, 32, v0
	s_delay_alu instid0(VALU_DEP_1) | instskip(NEXT) | instid1(VALU_DEP_1)
	v_subrev_nc_u32_e32 v0, 28, v3
	v_lshlrev_b64_e32 v[0:1], v0, v[8:9]
	v_sub_nc_u32_e32 v1, 29, v3
	s_delay_alu instid0(VALU_DEP_2)
	v_and_b32_e32 v0, 7, v0
; %bb.1072:                             ;   in Loop: Header=BB294_16 Depth=1
	s_wait_alu 0xfffe
	s_or_b32 exec_lo, exec_lo, s23
	v_lshlrev_b32_e32 v3, 8, v8
	v_lshl_add_u32 v1, v1, 10, 0x2000
	v_lshlrev_b32_e32 v0, 23, v0
	s_delay_alu instid0(VALU_DEP_2) | instskip(NEXT) | instid1(VALU_DEP_1)
	v_and_or_b32 v1, 0x8000, v3, v1
	v_lshl_or_b32 v19, v1, 16, v0
.LBB294_1073:                           ;   in Loop: Header=BB294_16 Depth=1
	s_wait_alu 0xfffe
	s_or_b32 exec_lo, exec_lo, s22
.LBB294_1074:                           ;   in Loop: Header=BB294_16 Depth=1
	s_wait_alu 0xfffe
	s_or_b32 exec_lo, exec_lo, s21
.LBB294_1075:                           ;   in Loop: Header=BB294_16 Depth=1
	s_wait_alu 0xfffe
	s_or_b32 exec_lo, exec_lo, s20
	v_and_b32_e32 v0, 0xff, v32
	v_mov_b32_e32 v8, v32
	s_mov_b32 s20, exec_lo
	s_delay_alu instid0(VALU_DEP_2)
	v_cmpx_ne_u16_e32 0, v0
	s_cbranch_execz .LBB294_1083
; %bb.1076:                             ;   in Loop: Header=BB294_16 Depth=1
	v_mov_b32_e32 v33, 0x8000
	s_mov_b32 s21, exec_lo
	v_cmpx_ne_u16_e32 0x80, v0
	s_cbranch_execz .LBB294_1082
; %bb.1077:                             ;   in Loop: Header=BB294_16 Depth=1
	v_and_b32_e32 v3, 0x7f, v32
	v_mov_b32_e32 v33, 0x7c01
	s_mov_b32 s22, exec_lo
	s_delay_alu instid0(VALU_DEP_2)
	v_cmpx_ne_u32_e32 0x7f, v3
	s_cbranch_execz .LBB294_1081
; %bb.1078:                             ;   in Loop: Header=BB294_16 Depth=1
	v_and_b32_e32 v0, 7, v32
	v_lshrrev_b32_e32 v1, 3, v3
	s_mov_b32 s23, exec_lo
	v_cmpx_gt_u32_e32 8, v3
; %bb.1079:                             ;   in Loop: Header=BB294_16 Depth=1
	s_delay_alu instid0(VALU_DEP_3) | instskip(NEXT) | instid1(VALU_DEP_1)
	v_clz_i32_u32_e32 v0, v0
	v_min_u32_e32 v3, 32, v0
	s_delay_alu instid0(VALU_DEP_1) | instskip(NEXT) | instid1(VALU_DEP_1)
	v_subrev_nc_u32_e32 v0, 28, v3
	v_lshlrev_b64_e32 v[0:1], v0, v[8:9]
	v_sub_nc_u32_e32 v1, 29, v3
	s_delay_alu instid0(VALU_DEP_2)
	v_and_b32_e32 v0, 7, v0
; %bb.1080:                             ;   in Loop: Header=BB294_16 Depth=1
	s_wait_alu 0xfffe
	s_or_b32 exec_lo, exec_lo, s23
	v_lshlrev_b32_e32 v3, 8, v32
	v_lshl_add_u32 v1, v1, 10, 0x2000
	v_lshlrev_b32_e32 v0, 7, v0
	s_delay_alu instid0(VALU_DEP_3) | instskip(NEXT) | instid1(VALU_DEP_3)
	v_and_b32_e32 v3, 0x8000, v3
	v_and_b32_e32 v1, 0xfc00, v1
	s_delay_alu instid0(VALU_DEP_1)
	v_or3_b32 v33, v3, v1, v0
.LBB294_1081:                           ;   in Loop: Header=BB294_16 Depth=1
	s_wait_alu 0xfffe
	s_or_b32 exec_lo, exec_lo, s22
.LBB294_1082:                           ;   in Loop: Header=BB294_16 Depth=1
	s_wait_alu 0xfffe
	s_or_b32 exec_lo, exec_lo, s21
.LBB294_1083:                           ;   in Loop: Header=BB294_16 Depth=1
	s_wait_alu 0xfffe
	s_or_b32 exec_lo, exec_lo, s20
	v_lshrrev_b16 v8, 8, v8
	v_dual_mov_b32 v54, 0 :: v_dual_mov_b32 v55, 0
	s_mov_b32 s20, exec_lo
	s_delay_alu instid0(VALU_DEP_2)
	v_cmpx_ne_u16_e32 0, v8
	s_cbranch_execz .LBB294_1091
; %bb.1084:                             ;   in Loop: Header=BB294_16 Depth=1
	v_bfrev_b32_e32 v55, 1
	s_mov_b32 s21, exec_lo
	v_cmpx_ne_u16_e32 0x80, v8
	s_cbranch_execz .LBB294_1090
; %bb.1085:                             ;   in Loop: Header=BB294_16 Depth=1
	v_and_b32_e32 v0, 0xffff, v8
	v_mov_b32_e32 v55, 0x7c010000
	s_mov_b32 s22, exec_lo
	s_delay_alu instid0(VALU_DEP_2) | instskip(NEXT) | instid1(VALU_DEP_1)
	v_and_b32_e32 v12, 0x7f, v0
	v_cmpx_ne_u32_e32 0x7f, v12
	s_cbranch_execz .LBB294_1089
; %bb.1086:                             ;   in Loop: Header=BB294_16 Depth=1
	v_and_b32_e32 v1, 7, v0
	v_lshrrev_b32_e32 v3, 3, v12
	s_mov_b32 s23, exec_lo
	v_cmpx_gt_u32_e32 8, v12
; %bb.1087:                             ;   in Loop: Header=BB294_16 Depth=1
	s_delay_alu instid0(VALU_DEP_3) | instskip(NEXT) | instid1(VALU_DEP_1)
	v_clz_i32_u32_e32 v1, v1
	v_min_u32_e32 v1, 32, v1
	s_delay_alu instid0(VALU_DEP_1) | instskip(NEXT) | instid1(VALU_DEP_1)
	v_subrev_nc_u32_e32 v3, 28, v1
	v_lshlrev_b64_e32 v[48:49], v3, v[8:9]
	v_sub_nc_u32_e32 v3, 29, v1
	s_delay_alu instid0(VALU_DEP_2)
	v_and_b32_e32 v1, 7, v48
; %bb.1088:                             ;   in Loop: Header=BB294_16 Depth=1
	s_wait_alu 0xfffe
	s_or_b32 exec_lo, exec_lo, s23
	v_lshlrev_b32_e32 v0, 8, v0
	v_lshl_add_u32 v3, v3, 10, 0x2000
	v_lshlrev_b32_e32 v1, 23, v1
	s_delay_alu instid0(VALU_DEP_2) | instskip(NEXT) | instid1(VALU_DEP_1)
	v_and_or_b32 v0, 0x8000, v0, v3
	v_lshl_or_b32 v55, v0, 16, v1
.LBB294_1089:                           ;   in Loop: Header=BB294_16 Depth=1
	s_wait_alu 0xfffe
	s_or_b32 exec_lo, exec_lo, s22
.LBB294_1090:                           ;   in Loop: Header=BB294_16 Depth=1
	s_wait_alu 0xfffe
	s_or_b32 exec_lo, exec_lo, s21
.LBB294_1091:                           ;   in Loop: Header=BB294_16 Depth=1
	s_wait_alu 0xfffe
	s_or_b32 exec_lo, exec_lo, s20
	v_lshrrev_b32_e32 v8, 16, v32
	s_mov_b32 s20, exec_lo
	s_delay_alu instid0(VALU_DEP_1) | instskip(NEXT) | instid1(VALU_DEP_1)
	v_and_b32_e32 v0, 0xff, v8
	v_cmpx_ne_u16_e32 0, v0
	s_cbranch_execz .LBB294_1099
; %bb.1092:                             ;   in Loop: Header=BB294_16 Depth=1
	v_mov_b32_e32 v54, 0x8000
	s_mov_b32 s21, exec_lo
	v_cmpx_ne_u16_e32 0x80, v0
	s_cbranch_execz .LBB294_1098
; %bb.1093:                             ;   in Loop: Header=BB294_16 Depth=1
	v_bfe_u32 v3, v32, 16, 7
	v_mov_b32_e32 v54, 0x7c01
	s_mov_b32 s22, exec_lo
	s_delay_alu instid0(VALU_DEP_2)
	v_cmpx_ne_u32_e32 0x7f, v3
	s_cbranch_execz .LBB294_1097
; %bb.1094:                             ;   in Loop: Header=BB294_16 Depth=1
	v_and_b32_e32 v0, 7, v8
	v_lshrrev_b32_e32 v1, 3, v3
	s_mov_b32 s23, exec_lo
	v_cmpx_gt_u32_e32 8, v3
; %bb.1095:                             ;   in Loop: Header=BB294_16 Depth=1
	s_delay_alu instid0(VALU_DEP_3) | instskip(NEXT) | instid1(VALU_DEP_1)
	v_clz_i32_u32_e32 v0, v0
	v_min_u32_e32 v3, 32, v0
	s_delay_alu instid0(VALU_DEP_1) | instskip(NEXT) | instid1(VALU_DEP_1)
	v_subrev_nc_u32_e32 v0, 28, v3
	v_lshlrev_b64_e32 v[0:1], v0, v[8:9]
	v_sub_nc_u32_e32 v1, 29, v3
	s_delay_alu instid0(VALU_DEP_2)
	v_and_b32_e32 v0, 7, v0
; %bb.1096:                             ;   in Loop: Header=BB294_16 Depth=1
	s_wait_alu 0xfffe
	s_or_b32 exec_lo, exec_lo, s23
	v_lshlrev_b32_e32 v3, 8, v8
	v_lshl_add_u32 v1, v1, 10, 0x2000
	v_lshlrev_b32_e32 v0, 7, v0
	s_delay_alu instid0(VALU_DEP_3) | instskip(NEXT) | instid1(VALU_DEP_3)
	v_and_b32_e32 v3, 0x8000, v3
	v_and_b32_e32 v1, 0xfc00, v1
	s_delay_alu instid0(VALU_DEP_1)
	v_or3_b32 v54, v3, v1, v0
.LBB294_1097:                           ;   in Loop: Header=BB294_16 Depth=1
	s_wait_alu 0xfffe
	s_or_b32 exec_lo, exec_lo, s22
.LBB294_1098:                           ;   in Loop: Header=BB294_16 Depth=1
	s_wait_alu 0xfffe
	s_or_b32 exec_lo, exec_lo, s21
.LBB294_1099:                           ;   in Loop: Header=BB294_16 Depth=1
	s_wait_alu 0xfffe
	s_or_b32 exec_lo, exec_lo, s20
	v_mov_b32_e32 v0, 0
	v_mov_b32_e32 v118, 0
	s_mov_b32 s20, exec_lo
	v_cmpx_lt_u64_e64 s[10:11], v[31:32]
	s_cbranch_execz .LBB294_1107
; %bb.1100:                             ;   in Loop: Header=BB294_16 Depth=1
	v_lshrrev_b32_e32 v8, 24, v32
	v_bfrev_b32_e32 v118, 1
	s_mov_b32 s21, exec_lo
	s_delay_alu instid0(VALU_DEP_2)
	v_cmpx_ne_u32_e32 0x80, v8
	s_cbranch_execz .LBB294_1106
; %bb.1101:                             ;   in Loop: Header=BB294_16 Depth=1
	v_and_b32_e32 v12, 0x7f, v8
	v_mov_b32_e32 v118, 0x7c010000
	s_mov_b32 s22, exec_lo
	s_delay_alu instid0(VALU_DEP_2)
	v_cmpx_ne_u32_e32 0x7f, v12
	s_cbranch_execz .LBB294_1105
; %bb.1102:                             ;   in Loop: Header=BB294_16 Depth=1
	v_and_b32_e32 v1, 7, v8
	v_lshrrev_b32_e32 v3, 3, v12
	s_mov_b32 s23, exec_lo
	v_cmpx_gt_u32_e32 8, v12
; %bb.1103:                             ;   in Loop: Header=BB294_16 Depth=1
	s_delay_alu instid0(VALU_DEP_3) | instskip(NEXT) | instid1(VALU_DEP_1)
	v_clz_i32_u32_e32 v1, v1
	v_min_u32_e32 v1, 32, v1
	s_delay_alu instid0(VALU_DEP_1) | instskip(NEXT) | instid1(VALU_DEP_1)
	v_subrev_nc_u32_e32 v3, 28, v1
	v_lshlrev_b64_e32 v[30:31], v3, v[8:9]
	v_sub_nc_u32_e32 v3, 29, v1
	s_delay_alu instid0(VALU_DEP_2)
	v_and_b32_e32 v1, 7, v30
; %bb.1104:                             ;   in Loop: Header=BB294_16 Depth=1
	s_wait_alu 0xfffe
	s_or_b32 exec_lo, exec_lo, s23
	v_lshlrev_b32_e32 v8, 8, v8
	v_lshl_add_u32 v3, v3, 10, 0x2000
	v_lshlrev_b32_e32 v1, 23, v1
	s_delay_alu instid0(VALU_DEP_2) | instskip(NEXT) | instid1(VALU_DEP_1)
	v_and_or_b32 v3, 0x8000, v8, v3
	v_lshl_or_b32 v118, v3, 16, v1
.LBB294_1105:                           ;   in Loop: Header=BB294_16 Depth=1
	s_wait_alu 0xfffe
	s_or_b32 exec_lo, exec_lo, s22
.LBB294_1106:                           ;   in Loop: Header=BB294_16 Depth=1
	s_wait_alu 0xfffe
	s_or_b32 exec_lo, exec_lo, s21
.LBB294_1107:                           ;   in Loop: Header=BB294_16 Depth=1
	s_wait_alu 0xfffe
	s_or_b32 exec_lo, exec_lo, s20
	flat_load_b64 v[31:32], v[28:29] offset:4104
	s_mov_b32 s20, exec_lo
	s_wait_loadcnt_dscnt 0x0
	v_and_b32_e32 v1, 0xff, v31
	s_delay_alu instid0(VALU_DEP_1)
	v_cmpx_ne_u16_e32 0, v1
	s_cbranch_execz .LBB294_1115
; %bb.1108:                             ;   in Loop: Header=BB294_16 Depth=1
	v_mov_b32_e32 v0, 0x8000
	s_mov_b32 s21, exec_lo
	v_cmpx_ne_u16_e32 0x80, v1
	s_cbranch_execz .LBB294_1114
; %bb.1109:                             ;   in Loop: Header=BB294_16 Depth=1
	v_and_b32_e32 v3, 0x7f, v31
	v_mov_b32_e32 v0, 0x7c01
	s_mov_b32 s22, exec_lo
	s_delay_alu instid0(VALU_DEP_2)
	v_cmpx_ne_u32_e32 0x7f, v3
	s_cbranch_execz .LBB294_1113
; %bb.1110:                             ;   in Loop: Header=BB294_16 Depth=1
	v_and_b32_e32 v0, 7, v31
	v_lshrrev_b32_e32 v1, 3, v3
	s_mov_b32 s23, exec_lo
	v_cmpx_gt_u32_e32 8, v3
; %bb.1111:                             ;   in Loop: Header=BB294_16 Depth=1
	s_delay_alu instid0(VALU_DEP_3) | instskip(NEXT) | instid1(VALU_DEP_1)
	v_clz_i32_u32_e32 v0, v0
	v_min_u32_e32 v3, 32, v0
	s_delay_alu instid0(VALU_DEP_1) | instskip(NEXT) | instid1(VALU_DEP_1)
	v_subrev_nc_u32_e32 v0, 28, v3
	v_lshlrev_b64_e32 v[0:1], v0, v[31:32]
	v_sub_nc_u32_e32 v1, 29, v3
	s_delay_alu instid0(VALU_DEP_2)
	v_and_b32_e32 v0, 7, v0
; %bb.1112:                             ;   in Loop: Header=BB294_16 Depth=1
	s_wait_alu 0xfffe
	s_or_b32 exec_lo, exec_lo, s23
	v_lshlrev_b32_e32 v3, 8, v31
	v_lshl_add_u32 v1, v1, 10, 0x2000
	v_lshlrev_b32_e32 v0, 7, v0
	s_delay_alu instid0(VALU_DEP_3) | instskip(NEXT) | instid1(VALU_DEP_3)
	v_and_b32_e32 v3, 0x8000, v3
	v_and_b32_e32 v1, 0xfc00, v1
	s_delay_alu instid0(VALU_DEP_1)
	v_or3_b32 v0, v3, v1, v0
.LBB294_1113:                           ;   in Loop: Header=BB294_16 Depth=1
	s_wait_alu 0xfffe
	s_or_b32 exec_lo, exec_lo, s22
.LBB294_1114:                           ;   in Loop: Header=BB294_16 Depth=1
	s_wait_alu 0xfffe
	s_or_b32 exec_lo, exec_lo, s21
.LBB294_1115:                           ;   in Loop: Header=BB294_16 Depth=1
	s_wait_alu 0xfffe
	s_or_b32 exec_lo, exec_lo, s20
	v_lshrrev_b16 v8, 8, v31
	v_mov_b32_e32 v1, 0
	v_mov_b32_e32 v3, 0
	s_mov_b32 s20, exec_lo
	s_delay_alu instid0(VALU_DEP_3)
	v_cmpx_ne_u16_e32 0, v8
	s_cbranch_execz .LBB294_1123
; %bb.1116:                             ;   in Loop: Header=BB294_16 Depth=1
	v_bfrev_b32_e32 v3, 1
	s_mov_b32 s21, exec_lo
	v_cmpx_ne_u16_e32 0x80, v8
	s_cbranch_execz .LBB294_1122
; %bb.1117:                             ;   in Loop: Header=BB294_16 Depth=1
	v_and_b32_e32 v12, 0xffff, v8
	v_mov_b32_e32 v3, 0x7c010000
	s_mov_b32 s22, exec_lo
	s_delay_alu instid0(VALU_DEP_2) | instskip(NEXT) | instid1(VALU_DEP_1)
	v_and_b32_e32 v36, 0x7f, v12
	v_cmpx_ne_u32_e32 0x7f, v36
	s_cbranch_execz .LBB294_1121
; %bb.1118:                             ;   in Loop: Header=BB294_16 Depth=1
	v_and_b32_e32 v3, 7, v12
	v_lshrrev_b32_e32 v30, 3, v36
	s_mov_b32 s23, exec_lo
	v_cmpx_gt_u32_e32 8, v36
; %bb.1119:                             ;   in Loop: Header=BB294_16 Depth=1
	s_delay_alu instid0(VALU_DEP_3) | instskip(NEXT) | instid1(VALU_DEP_1)
	v_clz_i32_u32_e32 v3, v3
	v_min_u32_e32 v3, 32, v3
	s_delay_alu instid0(VALU_DEP_1) | instskip(NEXT) | instid1(VALU_DEP_1)
	v_subrev_nc_u32_e32 v30, 28, v3
	v_lshlrev_b64_e32 v[48:49], v30, v[8:9]
	v_sub_nc_u32_e32 v30, 29, v3
	s_delay_alu instid0(VALU_DEP_2)
	v_and_b32_e32 v3, 7, v48
; %bb.1120:                             ;   in Loop: Header=BB294_16 Depth=1
	s_wait_alu 0xfffe
	s_or_b32 exec_lo, exec_lo, s23
	v_lshlrev_b32_e32 v8, 8, v12
	v_lshl_add_u32 v12, v30, 10, 0x2000
	v_lshlrev_b32_e32 v3, 23, v3
	s_delay_alu instid0(VALU_DEP_2) | instskip(NEXT) | instid1(VALU_DEP_1)
	v_and_or_b32 v8, 0x8000, v8, v12
	v_lshl_or_b32 v3, v8, 16, v3
.LBB294_1121:                           ;   in Loop: Header=BB294_16 Depth=1
	s_wait_alu 0xfffe
	s_or_b32 exec_lo, exec_lo, s22
.LBB294_1122:                           ;   in Loop: Header=BB294_16 Depth=1
	s_wait_alu 0xfffe
	s_or_b32 exec_lo, exec_lo, s21
.LBB294_1123:                           ;   in Loop: Header=BB294_16 Depth=1
	s_wait_alu 0xfffe
	s_or_b32 exec_lo, exec_lo, s20
	v_lshrrev_b32_e32 v8, 16, v31
	s_mov_b32 s20, exec_lo
	s_delay_alu instid0(VALU_DEP_1) | instskip(NEXT) | instid1(VALU_DEP_1)
	v_and_b32_e32 v12, 0xff, v8
	v_cmpx_ne_u16_e32 0, v12
	s_cbranch_execz .LBB294_1131
; %bb.1124:                             ;   in Loop: Header=BB294_16 Depth=1
	v_mov_b32_e32 v1, 0x8000
	s_mov_b32 s21, exec_lo
	v_cmpx_ne_u16_e32 0x80, v12
	s_cbranch_execz .LBB294_1130
; %bb.1125:                             ;   in Loop: Header=BB294_16 Depth=1
	v_bfe_u32 v30, v31, 16, 7
	v_mov_b32_e32 v1, 0x7c01
	s_mov_b32 s22, exec_lo
	s_delay_alu instid0(VALU_DEP_2)
	v_cmpx_ne_u32_e32 0x7f, v30
	s_cbranch_execz .LBB294_1129
; %bb.1126:                             ;   in Loop: Header=BB294_16 Depth=1
	v_and_b32_e32 v1, 7, v8
	v_lshrrev_b32_e32 v12, 3, v30
	s_mov_b32 s23, exec_lo
	v_cmpx_gt_u32_e32 8, v30
; %bb.1127:                             ;   in Loop: Header=BB294_16 Depth=1
	s_delay_alu instid0(VALU_DEP_3) | instskip(NEXT) | instid1(VALU_DEP_1)
	v_clz_i32_u32_e32 v1, v1
	v_min_u32_e32 v1, 32, v1
	s_delay_alu instid0(VALU_DEP_1) | instskip(NEXT) | instid1(VALU_DEP_1)
	v_subrev_nc_u32_e32 v12, 28, v1
	v_lshlrev_b64_e32 v[48:49], v12, v[8:9]
	v_sub_nc_u32_e32 v12, 29, v1
	s_delay_alu instid0(VALU_DEP_2)
	v_and_b32_e32 v1, 7, v48
; %bb.1128:                             ;   in Loop: Header=BB294_16 Depth=1
	s_wait_alu 0xfffe
	s_or_b32 exec_lo, exec_lo, s23
	v_lshlrev_b32_e32 v8, 8, v8
	v_lshl_add_u32 v12, v12, 10, 0x2000
	v_lshlrev_b32_e32 v1, 7, v1
	s_delay_alu instid0(VALU_DEP_3) | instskip(NEXT) | instid1(VALU_DEP_3)
	v_and_b32_e32 v8, 0x8000, v8
	v_and_b32_e32 v12, 0xfc00, v12
	s_delay_alu instid0(VALU_DEP_1)
	v_or3_b32 v1, v8, v12, v1
.LBB294_1129:                           ;   in Loop: Header=BB294_16 Depth=1
	s_wait_alu 0xfffe
	s_or_b32 exec_lo, exec_lo, s22
.LBB294_1130:                           ;   in Loop: Header=BB294_16 Depth=1
	s_wait_alu 0xfffe
	s_or_b32 exec_lo, exec_lo, s21
.LBB294_1131:                           ;   in Loop: Header=BB294_16 Depth=1
	s_wait_alu 0xfffe
	s_or_b32 exec_lo, exec_lo, s20
	v_mov_b32_e32 v12, 0
	v_mov_b32_e32 v30, 0
	s_mov_b32 s20, exec_lo
	v_cmpx_lt_u32_e32 0xffffff, v31
	s_cbranch_execz .LBB294_1139
; %bb.1132:                             ;   in Loop: Header=BB294_16 Depth=1
	v_lshrrev_b32_e32 v8, 24, v31
	v_bfrev_b32_e32 v30, 1
	s_mov_b32 s21, exec_lo
	s_delay_alu instid0(VALU_DEP_2)
	v_cmpx_ne_u32_e32 0x80, v8
	s_cbranch_execz .LBB294_1138
; %bb.1133:                             ;   in Loop: Header=BB294_16 Depth=1
	v_and_b32_e32 v48, 0x7f, v8
	v_mov_b32_e32 v30, 0x7c010000
	s_mov_b32 s22, exec_lo
	s_delay_alu instid0(VALU_DEP_2)
	v_cmpx_ne_u32_e32 0x7f, v48
	s_cbranch_execz .LBB294_1137
; %bb.1134:                             ;   in Loop: Header=BB294_16 Depth=1
	v_and_b32_e32 v30, 7, v8
	v_lshrrev_b32_e32 v36, 3, v48
	s_mov_b32 s23, exec_lo
	v_cmpx_gt_u32_e32 8, v48
; %bb.1135:                             ;   in Loop: Header=BB294_16 Depth=1
	s_delay_alu instid0(VALU_DEP_3) | instskip(NEXT) | instid1(VALU_DEP_1)
	v_clz_i32_u32_e32 v30, v30
	v_min_u32_e32 v30, 32, v30
	s_delay_alu instid0(VALU_DEP_1) | instskip(NEXT) | instid1(VALU_DEP_1)
	v_subrev_nc_u32_e32 v36, 28, v30
	v_lshlrev_b64_e32 v[48:49], v36, v[8:9]
	v_sub_nc_u32_e32 v36, 29, v30
	s_delay_alu instid0(VALU_DEP_2)
	v_and_b32_e32 v30, 7, v48
; %bb.1136:                             ;   in Loop: Header=BB294_16 Depth=1
	s_wait_alu 0xfffe
	s_or_b32 exec_lo, exec_lo, s23
	v_lshlrev_b32_e32 v8, 8, v8
	v_lshl_add_u32 v36, v36, 10, 0x2000
	v_lshlrev_b32_e32 v30, 23, v30
	s_delay_alu instid0(VALU_DEP_2) | instskip(NEXT) | instid1(VALU_DEP_1)
	v_and_or_b32 v8, 0x8000, v8, v36
	v_lshl_or_b32 v30, v8, 16, v30
.LBB294_1137:                           ;   in Loop: Header=BB294_16 Depth=1
	s_wait_alu 0xfffe
	s_or_b32 exec_lo, exec_lo, s22
.LBB294_1138:                           ;   in Loop: Header=BB294_16 Depth=1
	s_wait_alu 0xfffe
	s_or_b32 exec_lo, exec_lo, s21
.LBB294_1139:                           ;   in Loop: Header=BB294_16 Depth=1
	s_wait_alu 0xfffe
	s_or_b32 exec_lo, exec_lo, s20
	v_and_b32_e32 v36, 0xff, v32
	v_mov_b32_e32 v8, v32
	s_mov_b32 s20, exec_lo
	s_delay_alu instid0(VALU_DEP_2)
	v_cmpx_ne_u16_e32 0, v36
	s_cbranch_execz .LBB294_1147
; %bb.1140:                             ;   in Loop: Header=BB294_16 Depth=1
	v_mov_b32_e32 v12, 0x8000
	s_mov_b32 s21, exec_lo
	v_cmpx_ne_u16_e32 0x80, v36
	s_cbranch_execz .LBB294_1146
; %bb.1141:                             ;   in Loop: Header=BB294_16 Depth=1
	v_and_b32_e32 v48, 0x7f, v32
	v_mov_b32_e32 v12, 0x7c01
	s_mov_b32 s22, exec_lo
	s_delay_alu instid0(VALU_DEP_2)
	v_cmpx_ne_u32_e32 0x7f, v48
	s_cbranch_execz .LBB294_1145
; %bb.1142:                             ;   in Loop: Header=BB294_16 Depth=1
	v_and_b32_e32 v12, 7, v32
	v_lshrrev_b32_e32 v36, 3, v48
	s_mov_b32 s23, exec_lo
	v_cmpx_gt_u32_e32 8, v48
; %bb.1143:                             ;   in Loop: Header=BB294_16 Depth=1
	s_delay_alu instid0(VALU_DEP_3) | instskip(NEXT) | instid1(VALU_DEP_1)
	v_clz_i32_u32_e32 v12, v12
	v_min_u32_e32 v12, 32, v12
	s_delay_alu instid0(VALU_DEP_1) | instskip(NEXT) | instid1(VALU_DEP_1)
	v_subrev_nc_u32_e32 v36, 28, v12
	v_lshlrev_b64_e32 v[48:49], v36, v[8:9]
	v_sub_nc_u32_e32 v36, 29, v12
	s_delay_alu instid0(VALU_DEP_2)
	v_and_b32_e32 v12, 7, v48
; %bb.1144:                             ;   in Loop: Header=BB294_16 Depth=1
	s_wait_alu 0xfffe
	s_or_b32 exec_lo, exec_lo, s23
	v_lshlrev_b32_e32 v48, 8, v32
	v_lshl_add_u32 v36, v36, 10, 0x2000
	v_lshlrev_b32_e32 v12, 7, v12
	s_delay_alu instid0(VALU_DEP_3) | instskip(NEXT) | instid1(VALU_DEP_3)
	v_and_b32_e32 v48, 0x8000, v48
	v_and_b32_e32 v36, 0xfc00, v36
	s_delay_alu instid0(VALU_DEP_1)
	v_or3_b32 v12, v48, v36, v12
.LBB294_1145:                           ;   in Loop: Header=BB294_16 Depth=1
	s_wait_alu 0xfffe
	s_or_b32 exec_lo, exec_lo, s22
.LBB294_1146:                           ;   in Loop: Header=BB294_16 Depth=1
	s_wait_alu 0xfffe
	s_or_b32 exec_lo, exec_lo, s21
.LBB294_1147:                           ;   in Loop: Header=BB294_16 Depth=1
	s_wait_alu 0xfffe
	s_or_b32 exec_lo, exec_lo, s20
	v_lshrrev_b16 v8, 8, v8
	v_mov_b32_e32 v52, 0
	v_mov_b32_e32 v48, 0
	s_mov_b32 s20, exec_lo
	s_delay_alu instid0(VALU_DEP_3)
	v_cmpx_ne_u16_e32 0, v8
	s_cbranch_execz .LBB294_1155
; %bb.1148:                             ;   in Loop: Header=BB294_16 Depth=1
	v_bfrev_b32_e32 v48, 1
	s_mov_b32 s21, exec_lo
	v_cmpx_ne_u16_e32 0x80, v8
	s_cbranch_execz .LBB294_1154
; %bb.1149:                             ;   in Loop: Header=BB294_16 Depth=1
	v_and_b32_e32 v36, 0xffff, v8
	v_mov_b32_e32 v48, 0x7c010000
	s_mov_b32 s22, exec_lo
	s_delay_alu instid0(VALU_DEP_2) | instskip(NEXT) | instid1(VALU_DEP_1)
	v_and_b32_e32 v50, 0x7f, v36
	v_cmpx_ne_u32_e32 0x7f, v50
	s_cbranch_execz .LBB294_1153
; %bb.1150:                             ;   in Loop: Header=BB294_16 Depth=1
	v_and_b32_e32 v48, 7, v36
	v_lshrrev_b32_e32 v49, 3, v50
	s_mov_b32 s23, exec_lo
	v_cmpx_gt_u32_e32 8, v50
; %bb.1151:                             ;   in Loop: Header=BB294_16 Depth=1
	s_delay_alu instid0(VALU_DEP_3) | instskip(NEXT) | instid1(VALU_DEP_1)
	v_clz_i32_u32_e32 v48, v48
	v_min_u32_e32 v50, 32, v48
	s_delay_alu instid0(VALU_DEP_1) | instskip(NEXT) | instid1(VALU_DEP_1)
	v_subrev_nc_u32_e32 v48, 28, v50
	v_lshlrev_b64_e32 v[48:49], v48, v[8:9]
	v_sub_nc_u32_e32 v49, 29, v50
	s_delay_alu instid0(VALU_DEP_2)
	v_and_b32_e32 v48, 7, v48
; %bb.1152:                             ;   in Loop: Header=BB294_16 Depth=1
	s_wait_alu 0xfffe
	s_or_b32 exec_lo, exec_lo, s23
	v_lshlrev_b32_e32 v8, 8, v36
	v_lshl_add_u32 v36, v49, 10, 0x2000
	s_delay_alu instid0(VALU_DEP_1) | instskip(SKIP_1) | instid1(VALU_DEP_1)
	v_and_or_b32 v8, 0x8000, v8, v36
	v_lshlrev_b32_e32 v36, 23, v48
	v_lshl_or_b32 v48, v8, 16, v36
.LBB294_1153:                           ;   in Loop: Header=BB294_16 Depth=1
	s_wait_alu 0xfffe
	s_or_b32 exec_lo, exec_lo, s22
.LBB294_1154:                           ;   in Loop: Header=BB294_16 Depth=1
	s_wait_alu 0xfffe
	s_or_b32 exec_lo, exec_lo, s21
.LBB294_1155:                           ;   in Loop: Header=BB294_16 Depth=1
	s_wait_alu 0xfffe
	s_or_b32 exec_lo, exec_lo, s20
	v_lshrrev_b32_e32 v8, 16, v32
	s_mov_b32 s20, exec_lo
	s_delay_alu instid0(VALU_DEP_1) | instskip(NEXT) | instid1(VALU_DEP_1)
	v_and_b32_e32 v36, 0xff, v8
	v_cmpx_ne_u16_e32 0, v36
	s_cbranch_execz .LBB294_1163
; %bb.1156:                             ;   in Loop: Header=BB294_16 Depth=1
	v_mov_b32_e32 v52, 0x8000
	s_mov_b32 s21, exec_lo
	v_cmpx_ne_u16_e32 0x80, v36
	s_cbranch_execz .LBB294_1162
; %bb.1157:                             ;   in Loop: Header=BB294_16 Depth=1
	v_bfe_u32 v50, v32, 16, 7
	v_mov_b32_e32 v52, 0x7c01
	s_mov_b32 s22, exec_lo
	s_delay_alu instid0(VALU_DEP_2)
	v_cmpx_ne_u32_e32 0x7f, v50
	s_cbranch_execz .LBB294_1161
; %bb.1158:                             ;   in Loop: Header=BB294_16 Depth=1
	v_and_b32_e32 v36, 7, v8
	v_lshrrev_b32_e32 v49, 3, v50
	s_mov_b32 s23, exec_lo
	v_cmpx_gt_u32_e32 8, v50
; %bb.1159:                             ;   in Loop: Header=BB294_16 Depth=1
	s_delay_alu instid0(VALU_DEP_3) | instskip(NEXT) | instid1(VALU_DEP_1)
	v_clz_i32_u32_e32 v36, v36
	v_min_u32_e32 v36, 32, v36
	s_delay_alu instid0(VALU_DEP_1) | instskip(NEXT) | instid1(VALU_DEP_1)
	v_subrev_nc_u32_e32 v49, 28, v36
	v_lshlrev_b64_e32 v[50:51], v49, v[8:9]
	v_sub_nc_u32_e32 v49, 29, v36
	s_delay_alu instid0(VALU_DEP_2)
	v_and_b32_e32 v36, 7, v50
; %bb.1160:                             ;   in Loop: Header=BB294_16 Depth=1
	s_wait_alu 0xfffe
	s_or_b32 exec_lo, exec_lo, s23
	v_lshlrev_b32_e32 v8, 8, v8
	v_lshl_add_u32 v49, v49, 10, 0x2000
	v_lshlrev_b32_e32 v36, 7, v36
	s_delay_alu instid0(VALU_DEP_3) | instskip(NEXT) | instid1(VALU_DEP_3)
	v_and_b32_e32 v8, 0x8000, v8
	v_and_b32_e32 v49, 0xfc00, v49
	s_delay_alu instid0(VALU_DEP_1)
	v_or3_b32 v52, v8, v49, v36
.LBB294_1161:                           ;   in Loop: Header=BB294_16 Depth=1
	s_wait_alu 0xfffe
	s_or_b32 exec_lo, exec_lo, s22
.LBB294_1162:                           ;   in Loop: Header=BB294_16 Depth=1
	s_wait_alu 0xfffe
	s_or_b32 exec_lo, exec_lo, s21
.LBB294_1163:                           ;   in Loop: Header=BB294_16 Depth=1
	s_wait_alu 0xfffe
	s_or_b32 exec_lo, exec_lo, s20
	v_mov_b32_e32 v49, 0
	v_mov_b32_e32 v53, 0
	s_mov_b32 s20, exec_lo
	v_cmpx_lt_u64_e64 s[10:11], v[31:32]
	s_cbranch_execz .LBB294_1171
; %bb.1164:                             ;   in Loop: Header=BB294_16 Depth=1
	v_lshrrev_b32_e32 v8, 24, v32
	v_bfrev_b32_e32 v53, 1
	s_mov_b32 s21, exec_lo
	s_delay_alu instid0(VALU_DEP_2)
	v_cmpx_ne_u32_e32 0x80, v8
	s_cbranch_execz .LBB294_1170
; %bb.1165:                             ;   in Loop: Header=BB294_16 Depth=1
	v_and_b32_e32 v36, 0x7f, v8
	v_mov_b32_e32 v53, 0x7c010000
	s_mov_b32 s22, exec_lo
	s_delay_alu instid0(VALU_DEP_2)
	v_cmpx_ne_u32_e32 0x7f, v36
	s_cbranch_execz .LBB294_1169
; %bb.1166:                             ;   in Loop: Header=BB294_16 Depth=1
	v_and_b32_e32 v31, 7, v8
	v_lshrrev_b32_e32 v32, 3, v36
	s_mov_b32 s23, exec_lo
	v_cmpx_gt_u32_e32 8, v36
; %bb.1167:                             ;   in Loop: Header=BB294_16 Depth=1
	s_delay_alu instid0(VALU_DEP_3) | instskip(NEXT) | instid1(VALU_DEP_1)
	v_clz_i32_u32_e32 v31, v31
	v_min_u32_e32 v36, 32, v31
	s_delay_alu instid0(VALU_DEP_1) | instskip(NEXT) | instid1(VALU_DEP_1)
	v_subrev_nc_u32_e32 v31, 28, v36
	v_lshlrev_b64_e32 v[31:32], v31, v[8:9]
	v_sub_nc_u32_e32 v32, 29, v36
	s_delay_alu instid0(VALU_DEP_2)
	v_and_b32_e32 v31, 7, v31
; %bb.1168:                             ;   in Loop: Header=BB294_16 Depth=1
	s_wait_alu 0xfffe
	s_or_b32 exec_lo, exec_lo, s23
	v_lshlrev_b32_e32 v8, 8, v8
	v_lshl_add_u32 v32, v32, 10, 0x2000
	v_lshlrev_b32_e32 v31, 23, v31
	s_delay_alu instid0(VALU_DEP_2) | instskip(NEXT) | instid1(VALU_DEP_1)
	v_and_or_b32 v8, 0x8000, v8, v32
	v_lshl_or_b32 v53, v8, 16, v31
.LBB294_1169:                           ;   in Loop: Header=BB294_16 Depth=1
	s_wait_alu 0xfffe
	s_or_b32 exec_lo, exec_lo, s22
.LBB294_1170:                           ;   in Loop: Header=BB294_16 Depth=1
	s_wait_alu 0xfffe
	s_or_b32 exec_lo, exec_lo, s21
.LBB294_1171:                           ;   in Loop: Header=BB294_16 Depth=1
	s_wait_alu 0xfffe
	s_or_b32 exec_lo, exec_lo, s20
	flat_load_b64 v[31:32], v[28:29] offset:4608
	s_mov_b32 s20, exec_lo
	s_wait_loadcnt_dscnt 0x0
	v_and_b32_e32 v8, 0xff, v31
	s_delay_alu instid0(VALU_DEP_1)
	v_cmpx_ne_u16_e32 0, v8
	s_cbranch_execz .LBB294_1179
; %bb.1172:                             ;   in Loop: Header=BB294_16 Depth=1
	v_mov_b32_e32 v49, 0x8000
	s_mov_b32 s21, exec_lo
	v_cmpx_ne_u16_e32 0x80, v8
	s_cbranch_execz .LBB294_1178
; %bb.1173:                             ;   in Loop: Header=BB294_16 Depth=1
	v_and_b32_e32 v50, 0x7f, v31
	v_mov_b32_e32 v49, 0x7c01
	s_mov_b32 s22, exec_lo
	s_delay_alu instid0(VALU_DEP_2)
	v_cmpx_ne_u32_e32 0x7f, v50
	s_cbranch_execz .LBB294_1177
; %bb.1174:                             ;   in Loop: Header=BB294_16 Depth=1
	v_and_b32_e32 v8, 7, v31
	v_lshrrev_b32_e32 v36, 3, v50
	s_mov_b32 s23, exec_lo
	v_cmpx_gt_u32_e32 8, v50
; %bb.1175:                             ;   in Loop: Header=BB294_16 Depth=1
	s_delay_alu instid0(VALU_DEP_3) | instskip(NEXT) | instid1(VALU_DEP_1)
	v_clz_i32_u32_e32 v8, v8
	v_min_u32_e32 v8, 32, v8
	s_delay_alu instid0(VALU_DEP_1) | instskip(NEXT) | instid1(VALU_DEP_1)
	v_subrev_nc_u32_e32 v36, 28, v8
	v_lshlrev_b64_e32 v[49:50], v36, v[31:32]
	v_sub_nc_u32_e32 v36, 29, v8
	s_delay_alu instid0(VALU_DEP_2)
	v_and_b32_e32 v8, 7, v49
; %bb.1176:                             ;   in Loop: Header=BB294_16 Depth=1
	s_wait_alu 0xfffe
	s_or_b32 exec_lo, exec_lo, s23
	v_lshlrev_b32_e32 v49, 8, v31
	v_lshl_add_u32 v36, v36, 10, 0x2000
	v_lshlrev_b32_e32 v8, 7, v8
	s_delay_alu instid0(VALU_DEP_3) | instskip(NEXT) | instid1(VALU_DEP_3)
	v_and_b32_e32 v49, 0x8000, v49
	v_and_b32_e32 v36, 0xfc00, v36
	s_delay_alu instid0(VALU_DEP_1)
	v_or3_b32 v49, v49, v36, v8
.LBB294_1177:                           ;   in Loop: Header=BB294_16 Depth=1
	s_wait_alu 0xfffe
	s_or_b32 exec_lo, exec_lo, s22
.LBB294_1178:                           ;   in Loop: Header=BB294_16 Depth=1
	s_wait_alu 0xfffe
	s_or_b32 exec_lo, exec_lo, s21
.LBB294_1179:                           ;   in Loop: Header=BB294_16 Depth=1
	s_wait_alu 0xfffe
	s_or_b32 exec_lo, exec_lo, s20
	v_lshrrev_b16 v8, 8, v31
	v_dual_mov_b32 v51, 0 :: v_dual_mov_b32 v50, 0
	s_mov_b32 s20, exec_lo
	s_delay_alu instid0(VALU_DEP_2)
	v_cmpx_ne_u16_e32 0, v8
	s_cbranch_execz .LBB294_1187
; %bb.1180:                             ;   in Loop: Header=BB294_16 Depth=1
	v_bfrev_b32_e32 v50, 1
	s_mov_b32 s21, exec_lo
	v_cmpx_ne_u16_e32 0x80, v8
	s_cbranch_execz .LBB294_1186
; %bb.1181:                             ;   in Loop: Header=BB294_16 Depth=1
	v_and_b32_e32 v36, 0xffff, v8
	v_mov_b32_e32 v50, 0x7c010000
	s_mov_b32 s22, exec_lo
	s_delay_alu instid0(VALU_DEP_2) | instskip(NEXT) | instid1(VALU_DEP_1)
	v_and_b32_e32 v70, 0x7f, v36
	v_cmpx_ne_u32_e32 0x7f, v70
	s_cbranch_execz .LBB294_1185
; %bb.1182:                             ;   in Loop: Header=BB294_16 Depth=1
	v_and_b32_e32 v50, 7, v36
	v_lshrrev_b32_e32 v66, 3, v70
	s_mov_b32 s23, exec_lo
	v_cmpx_gt_u32_e32 8, v70
; %bb.1183:                             ;   in Loop: Header=BB294_16 Depth=1
	s_delay_alu instid0(VALU_DEP_3) | instskip(NEXT) | instid1(VALU_DEP_1)
	v_clz_i32_u32_e32 v50, v50
	v_min_u32_e32 v50, 32, v50
	s_delay_alu instid0(VALU_DEP_1) | instskip(NEXT) | instid1(VALU_DEP_1)
	v_subrev_nc_u32_e32 v66, 28, v50
	v_lshlrev_b64_e32 v[84:85], v66, v[8:9]
	v_sub_nc_u32_e32 v66, 29, v50
	s_delay_alu instid0(VALU_DEP_2)
	v_and_b32_e32 v50, 7, v84
; %bb.1184:                             ;   in Loop: Header=BB294_16 Depth=1
	s_wait_alu 0xfffe
	s_or_b32 exec_lo, exec_lo, s23
	v_lshlrev_b32_e32 v8, 8, v36
	v_lshl_add_u32 v36, v66, 10, 0x2000
	s_delay_alu instid0(VALU_DEP_1) | instskip(SKIP_1) | instid1(VALU_DEP_1)
	v_and_or_b32 v8, 0x8000, v8, v36
	v_lshlrev_b32_e32 v36, 23, v50
	v_lshl_or_b32 v50, v8, 16, v36
.LBB294_1185:                           ;   in Loop: Header=BB294_16 Depth=1
	s_wait_alu 0xfffe
	s_or_b32 exec_lo, exec_lo, s22
.LBB294_1186:                           ;   in Loop: Header=BB294_16 Depth=1
	s_wait_alu 0xfffe
	s_or_b32 exec_lo, exec_lo, s21
.LBB294_1187:                           ;   in Loop: Header=BB294_16 Depth=1
	s_wait_alu 0xfffe
	s_or_b32 exec_lo, exec_lo, s20
	v_lshrrev_b32_e32 v8, 16, v31
	s_mov_b32 s20, exec_lo
	s_delay_alu instid0(VALU_DEP_1) | instskip(NEXT) | instid1(VALU_DEP_1)
	v_and_b32_e32 v36, 0xff, v8
	v_cmpx_ne_u16_e32 0, v36
	s_cbranch_execz .LBB294_1195
; %bb.1188:                             ;   in Loop: Header=BB294_16 Depth=1
	v_mov_b32_e32 v51, 0x8000
	s_mov_b32 s21, exec_lo
	v_cmpx_ne_u16_e32 0x80, v36
	s_cbranch_execz .LBB294_1194
; %bb.1189:                             ;   in Loop: Header=BB294_16 Depth=1
	v_bfe_u32 v66, v31, 16, 7
	v_mov_b32_e32 v51, 0x7c01
	s_mov_b32 s22, exec_lo
	s_delay_alu instid0(VALU_DEP_2)
	v_cmpx_ne_u32_e32 0x7f, v66
	s_cbranch_execz .LBB294_1193
; %bb.1190:                             ;   in Loop: Header=BB294_16 Depth=1
	v_and_b32_e32 v36, 7, v8
	v_lshrrev_b32_e32 v51, 3, v66
	s_mov_b32 s23, exec_lo
	v_cmpx_gt_u32_e32 8, v66
; %bb.1191:                             ;   in Loop: Header=BB294_16 Depth=1
	s_delay_alu instid0(VALU_DEP_3) | instskip(NEXT) | instid1(VALU_DEP_1)
	v_clz_i32_u32_e32 v36, v36
	v_min_u32_e32 v36, 32, v36
	s_delay_alu instid0(VALU_DEP_1) | instskip(NEXT) | instid1(VALU_DEP_1)
	v_subrev_nc_u32_e32 v51, 28, v36
	v_lshlrev_b64_e32 v[84:85], v51, v[8:9]
	v_sub_nc_u32_e32 v51, 29, v36
	s_delay_alu instid0(VALU_DEP_2)
	v_and_b32_e32 v36, 7, v84
; %bb.1192:                             ;   in Loop: Header=BB294_16 Depth=1
	s_wait_alu 0xfffe
	s_or_b32 exec_lo, exec_lo, s23
	v_lshlrev_b32_e32 v8, 8, v8
	v_lshl_add_u32 v51, v51, 10, 0x2000
	v_lshlrev_b32_e32 v36, 7, v36
	s_delay_alu instid0(VALU_DEP_3) | instskip(NEXT) | instid1(VALU_DEP_3)
	v_and_b32_e32 v8, 0x8000, v8
	v_and_b32_e32 v51, 0xfc00, v51
	s_delay_alu instid0(VALU_DEP_1)
	v_or3_b32 v51, v8, v51, v36
.LBB294_1193:                           ;   in Loop: Header=BB294_16 Depth=1
	s_wait_alu 0xfffe
	s_or_b32 exec_lo, exec_lo, s22
.LBB294_1194:                           ;   in Loop: Header=BB294_16 Depth=1
	s_wait_alu 0xfffe
	s_or_b32 exec_lo, exec_lo, s21
.LBB294_1195:                           ;   in Loop: Header=BB294_16 Depth=1
	s_wait_alu 0xfffe
	s_or_b32 exec_lo, exec_lo, s20
	v_dual_mov_b32 v66, 0 :: v_dual_mov_b32 v173, 0
	s_mov_b32 s20, exec_lo
	v_cmpx_lt_u32_e32 0xffffff, v31
	s_cbranch_execz .LBB294_1203
; %bb.1196:                             ;   in Loop: Header=BB294_16 Depth=1
	v_lshrrev_b32_e32 v8, 24, v31
	v_bfrev_b32_e32 v173, 1
	s_mov_b32 s21, exec_lo
	s_delay_alu instid0(VALU_DEP_2)
	v_cmpx_ne_u32_e32 0x80, v8
	s_cbranch_execz .LBB294_1202
; %bb.1197:                             ;   in Loop: Header=BB294_16 Depth=1
	v_and_b32_e32 v80, 0x7f, v8
	v_mov_b32_e32 v173, 0x7c010000
	s_mov_b32 s22, exec_lo
	s_delay_alu instid0(VALU_DEP_2)
	v_cmpx_ne_u32_e32 0x7f, v80
	s_cbranch_execz .LBB294_1201
; %bb.1198:                             ;   in Loop: Header=BB294_16 Depth=1
	v_and_b32_e32 v36, 7, v8
	v_lshrrev_b32_e32 v70, 3, v80
	s_mov_b32 s23, exec_lo
	v_cmpx_gt_u32_e32 8, v80
; %bb.1199:                             ;   in Loop: Header=BB294_16 Depth=1
	s_delay_alu instid0(VALU_DEP_3) | instskip(NEXT) | instid1(VALU_DEP_1)
	v_clz_i32_u32_e32 v36, v36
	v_min_u32_e32 v36, 32, v36
	s_delay_alu instid0(VALU_DEP_1) | instskip(NEXT) | instid1(VALU_DEP_1)
	v_subrev_nc_u32_e32 v70, 28, v36
	v_lshlrev_b64_e32 v[84:85], v70, v[8:9]
	v_sub_nc_u32_e32 v70, 29, v36
	s_delay_alu instid0(VALU_DEP_2)
	v_and_b32_e32 v36, 7, v84
; %bb.1200:                             ;   in Loop: Header=BB294_16 Depth=1
	s_wait_alu 0xfffe
	s_or_b32 exec_lo, exec_lo, s23
	v_lshlrev_b32_e32 v8, 8, v8
	v_lshl_add_u32 v70, v70, 10, 0x2000
	v_lshlrev_b32_e32 v36, 23, v36
	s_delay_alu instid0(VALU_DEP_2) | instskip(NEXT) | instid1(VALU_DEP_1)
	v_and_or_b32 v8, 0x8000, v8, v70
	v_lshl_or_b32 v173, v8, 16, v36
.LBB294_1201:                           ;   in Loop: Header=BB294_16 Depth=1
	s_wait_alu 0xfffe
	s_or_b32 exec_lo, exec_lo, s22
.LBB294_1202:                           ;   in Loop: Header=BB294_16 Depth=1
	s_wait_alu 0xfffe
	s_or_b32 exec_lo, exec_lo, s21
.LBB294_1203:                           ;   in Loop: Header=BB294_16 Depth=1
	s_wait_alu 0xfffe
	s_or_b32 exec_lo, exec_lo, s20
	v_and_b32_e32 v36, 0xff, v32
	v_mov_b32_e32 v8, v32
	s_mov_b32 s20, exec_lo
	s_delay_alu instid0(VALU_DEP_2)
	v_cmpx_ne_u16_e32 0, v36
	s_cbranch_execz .LBB294_1211
; %bb.1204:                             ;   in Loop: Header=BB294_16 Depth=1
	v_mov_b32_e32 v66, 0x8000
	s_mov_b32 s21, exec_lo
	v_cmpx_ne_u16_e32 0x80, v36
	s_cbranch_execz .LBB294_1210
; %bb.1205:                             ;   in Loop: Header=BB294_16 Depth=1
	v_and_b32_e32 v70, 0x7f, v32
	v_mov_b32_e32 v66, 0x7c01
	s_mov_b32 s22, exec_lo
	s_delay_alu instid0(VALU_DEP_2)
	v_cmpx_ne_u32_e32 0x7f, v70
	s_cbranch_execz .LBB294_1209
; %bb.1206:                             ;   in Loop: Header=BB294_16 Depth=1
	v_and_b32_e32 v36, 7, v32
	v_lshrrev_b32_e32 v66, 3, v70
	s_mov_b32 s23, exec_lo
	v_cmpx_gt_u32_e32 8, v70
; %bb.1207:                             ;   in Loop: Header=BB294_16 Depth=1
	s_delay_alu instid0(VALU_DEP_3) | instskip(NEXT) | instid1(VALU_DEP_1)
	v_clz_i32_u32_e32 v36, v36
	v_min_u32_e32 v36, 32, v36
	s_delay_alu instid0(VALU_DEP_1) | instskip(NEXT) | instid1(VALU_DEP_1)
	v_subrev_nc_u32_e32 v66, 28, v36
	v_lshlrev_b64_e32 v[84:85], v66, v[8:9]
	v_sub_nc_u32_e32 v66, 29, v36
	s_delay_alu instid0(VALU_DEP_2)
	v_and_b32_e32 v36, 7, v84
; %bb.1208:                             ;   in Loop: Header=BB294_16 Depth=1
	s_wait_alu 0xfffe
	s_or_b32 exec_lo, exec_lo, s23
	v_lshlrev_b32_e32 v70, 8, v32
	v_lshl_add_u32 v66, v66, 10, 0x2000
	v_lshlrev_b32_e32 v36, 7, v36
	s_delay_alu instid0(VALU_DEP_3) | instskip(NEXT) | instid1(VALU_DEP_3)
	v_and_b32_e32 v70, 0x8000, v70
	v_and_b32_e32 v66, 0xfc00, v66
	s_delay_alu instid0(VALU_DEP_1)
	v_or3_b32 v66, v70, v66, v36
.LBB294_1209:                           ;   in Loop: Header=BB294_16 Depth=1
	s_wait_alu 0xfffe
	s_or_b32 exec_lo, exec_lo, s22
.LBB294_1210:                           ;   in Loop: Header=BB294_16 Depth=1
	s_wait_alu 0xfffe
	s_or_b32 exec_lo, exec_lo, s21
.LBB294_1211:                           ;   in Loop: Header=BB294_16 Depth=1
	s_wait_alu 0xfffe
	s_or_b32 exec_lo, exec_lo, s20
	v_lshrrev_b16 v8, 8, v8
	v_dual_mov_b32 v174, 0 :: v_dual_mov_b32 v185, 0
	s_mov_b32 s20, exec_lo
	s_delay_alu instid0(VALU_DEP_2)
	v_cmpx_ne_u16_e32 0, v8
	s_cbranch_execz .LBB294_1219
; %bb.1212:                             ;   in Loop: Header=BB294_16 Depth=1
	v_bfrev_b32_e32 v185, 1
	s_mov_b32 s21, exec_lo
	v_cmpx_ne_u16_e32 0x80, v8
	s_cbranch_execz .LBB294_1218
; %bb.1213:                             ;   in Loop: Header=BB294_16 Depth=1
	v_and_b32_e32 v36, 0xffff, v8
	v_mov_b32_e32 v185, 0x7c010000
	s_mov_b32 s22, exec_lo
	s_delay_alu instid0(VALU_DEP_2) | instskip(NEXT) | instid1(VALU_DEP_1)
	v_and_b32_e32 v84, 0x7f, v36
	v_cmpx_ne_u32_e32 0x7f, v84
	s_cbranch_execz .LBB294_1217
; %bb.1214:                             ;   in Loop: Header=BB294_16 Depth=1
	v_and_b32_e32 v70, 7, v36
	v_lshrrev_b32_e32 v80, 3, v84
	s_mov_b32 s23, exec_lo
	v_cmpx_gt_u32_e32 8, v84
; %bb.1215:                             ;   in Loop: Header=BB294_16 Depth=1
	s_delay_alu instid0(VALU_DEP_3) | instskip(NEXT) | instid1(VALU_DEP_1)
	v_clz_i32_u32_e32 v70, v70
	v_min_u32_e32 v70, 32, v70
	s_delay_alu instid0(VALU_DEP_1) | instskip(NEXT) | instid1(VALU_DEP_1)
	v_subrev_nc_u32_e32 v80, 28, v70
	v_lshlrev_b64_e32 v[84:85], v80, v[8:9]
	v_sub_nc_u32_e32 v80, 29, v70
	s_delay_alu instid0(VALU_DEP_2)
	v_and_b32_e32 v70, 7, v84
; %bb.1216:                             ;   in Loop: Header=BB294_16 Depth=1
	s_wait_alu 0xfffe
	s_or_b32 exec_lo, exec_lo, s23
	v_lshlrev_b32_e32 v8, 8, v36
	v_lshl_add_u32 v36, v80, 10, 0x2000
	s_delay_alu instid0(VALU_DEP_1) | instskip(SKIP_1) | instid1(VALU_DEP_1)
	v_and_or_b32 v8, 0x8000, v8, v36
	v_lshlrev_b32_e32 v36, 23, v70
	v_lshl_or_b32 v185, v8, 16, v36
.LBB294_1217:                           ;   in Loop: Header=BB294_16 Depth=1
	s_wait_alu 0xfffe
	s_or_b32 exec_lo, exec_lo, s22
.LBB294_1218:                           ;   in Loop: Header=BB294_16 Depth=1
	s_wait_alu 0xfffe
	s_or_b32 exec_lo, exec_lo, s21
.LBB294_1219:                           ;   in Loop: Header=BB294_16 Depth=1
	s_wait_alu 0xfffe
	s_or_b32 exec_lo, exec_lo, s20
	v_lshrrev_b32_e32 v8, 16, v32
	s_mov_b32 s20, exec_lo
	s_delay_alu instid0(VALU_DEP_1) | instskip(NEXT) | instid1(VALU_DEP_1)
	v_and_b32_e32 v36, 0xff, v8
	v_cmpx_ne_u16_e32 0, v36
	s_cbranch_execz .LBB294_1227
; %bb.1220:                             ;   in Loop: Header=BB294_16 Depth=1
	v_mov_b32_e32 v174, 0x8000
	s_mov_b32 s21, exec_lo
	v_cmpx_ne_u16_e32 0x80, v36
	s_cbranch_execz .LBB294_1226
; %bb.1221:                             ;   in Loop: Header=BB294_16 Depth=1
	v_bfe_u32 v80, v32, 16, 7
	v_mov_b32_e32 v174, 0x7c01
	s_mov_b32 s22, exec_lo
	s_delay_alu instid0(VALU_DEP_2)
	v_cmpx_ne_u32_e32 0x7f, v80
	s_cbranch_execz .LBB294_1225
; %bb.1222:                             ;   in Loop: Header=BB294_16 Depth=1
	v_and_b32_e32 v36, 7, v8
	v_lshrrev_b32_e32 v70, 3, v80
	s_mov_b32 s23, exec_lo
	v_cmpx_gt_u32_e32 8, v80
; %bb.1223:                             ;   in Loop: Header=BB294_16 Depth=1
	s_delay_alu instid0(VALU_DEP_3) | instskip(NEXT) | instid1(VALU_DEP_1)
	v_clz_i32_u32_e32 v36, v36
	v_min_u32_e32 v36, 32, v36
	s_delay_alu instid0(VALU_DEP_1) | instskip(NEXT) | instid1(VALU_DEP_1)
	v_subrev_nc_u32_e32 v70, 28, v36
	v_lshlrev_b64_e32 v[84:85], v70, v[8:9]
	v_sub_nc_u32_e32 v70, 29, v36
	s_delay_alu instid0(VALU_DEP_2)
	v_and_b32_e32 v36, 7, v84
; %bb.1224:                             ;   in Loop: Header=BB294_16 Depth=1
	s_wait_alu 0xfffe
	s_or_b32 exec_lo, exec_lo, s23
	v_lshlrev_b32_e32 v8, 8, v8
	v_lshl_add_u32 v70, v70, 10, 0x2000
	v_lshlrev_b32_e32 v36, 7, v36
	s_delay_alu instid0(VALU_DEP_3) | instskip(NEXT) | instid1(VALU_DEP_3)
	v_and_b32_e32 v8, 0x8000, v8
	v_and_b32_e32 v70, 0xfc00, v70
	s_delay_alu instid0(VALU_DEP_1)
	v_or3_b32 v174, v8, v70, v36
.LBB294_1225:                           ;   in Loop: Header=BB294_16 Depth=1
	s_wait_alu 0xfffe
	s_or_b32 exec_lo, exec_lo, s22
.LBB294_1226:                           ;   in Loop: Header=BB294_16 Depth=1
	s_wait_alu 0xfffe
	s_or_b32 exec_lo, exec_lo, s21
.LBB294_1227:                           ;   in Loop: Header=BB294_16 Depth=1
	s_wait_alu 0xfffe
	s_or_b32 exec_lo, exec_lo, s20
	v_dual_mov_b32 v153, 0 :: v_dual_mov_b32 v96, 0
	s_mov_b32 s20, exec_lo
	v_cmpx_lt_u64_e64 s[10:11], v[31:32]
	s_cbranch_execz .LBB294_1235
; %bb.1228:                             ;   in Loop: Header=BB294_16 Depth=1
	v_lshrrev_b32_e32 v8, 24, v32
	v_bfrev_b32_e32 v96, 1
	s_mov_b32 s21, exec_lo
	s_delay_alu instid0(VALU_DEP_2)
	v_cmpx_ne_u32_e32 0x80, v8
	s_cbranch_execz .LBB294_1234
; %bb.1229:                             ;   in Loop: Header=BB294_16 Depth=1
	v_and_b32_e32 v36, 0x7f, v8
	v_mov_b32_e32 v96, 0x7c010000
	s_mov_b32 s22, exec_lo
	s_delay_alu instid0(VALU_DEP_2)
	v_cmpx_ne_u32_e32 0x7f, v36
	s_cbranch_execz .LBB294_1233
; %bb.1230:                             ;   in Loop: Header=BB294_16 Depth=1
	v_and_b32_e32 v31, 7, v8
	v_lshrrev_b32_e32 v32, 3, v36
	s_mov_b32 s23, exec_lo
	v_cmpx_gt_u32_e32 8, v36
; %bb.1231:                             ;   in Loop: Header=BB294_16 Depth=1
	s_delay_alu instid0(VALU_DEP_3) | instskip(NEXT) | instid1(VALU_DEP_1)
	v_clz_i32_u32_e32 v31, v31
	v_min_u32_e32 v36, 32, v31
	s_delay_alu instid0(VALU_DEP_1) | instskip(NEXT) | instid1(VALU_DEP_1)
	v_subrev_nc_u32_e32 v31, 28, v36
	v_lshlrev_b64_e32 v[31:32], v31, v[8:9]
	v_sub_nc_u32_e32 v32, 29, v36
	s_delay_alu instid0(VALU_DEP_2)
	v_and_b32_e32 v31, 7, v31
; %bb.1232:                             ;   in Loop: Header=BB294_16 Depth=1
	s_wait_alu 0xfffe
	s_or_b32 exec_lo, exec_lo, s23
	v_lshlrev_b32_e32 v8, 8, v8
	v_lshl_add_u32 v32, v32, 10, 0x2000
	v_lshlrev_b32_e32 v31, 23, v31
	s_delay_alu instid0(VALU_DEP_2) | instskip(NEXT) | instid1(VALU_DEP_1)
	v_and_or_b32 v8, 0x8000, v8, v32
	v_lshl_or_b32 v96, v8, 16, v31
.LBB294_1233:                           ;   in Loop: Header=BB294_16 Depth=1
	s_wait_alu 0xfffe
	s_or_b32 exec_lo, exec_lo, s22
.LBB294_1234:                           ;   in Loop: Header=BB294_16 Depth=1
	s_wait_alu 0xfffe
	s_or_b32 exec_lo, exec_lo, s21
.LBB294_1235:                           ;   in Loop: Header=BB294_16 Depth=1
	s_wait_alu 0xfffe
	s_or_b32 exec_lo, exec_lo, s20
	flat_load_b64 v[31:32], v[28:29] offset:4616
	s_mov_b32 s20, exec_lo
	s_wait_loadcnt_dscnt 0x0
	v_and_b32_e32 v8, 0xff, v31
	s_delay_alu instid0(VALU_DEP_1)
	v_cmpx_ne_u16_e32 0, v8
	s_cbranch_execz .LBB294_1243
; %bb.1236:                             ;   in Loop: Header=BB294_16 Depth=1
	v_mov_b32_e32 v153, 0x8000
	s_mov_b32 s21, exec_lo
	v_cmpx_ne_u16_e32 0x80, v8
	s_cbranch_execz .LBB294_1242
; %bb.1237:                             ;   in Loop: Header=BB294_16 Depth=1
	v_and_b32_e32 v70, 0x7f, v31
	v_mov_b32_e32 v153, 0x7c01
	s_mov_b32 s22, exec_lo
	s_delay_alu instid0(VALU_DEP_2)
	v_cmpx_ne_u32_e32 0x7f, v70
	s_cbranch_execz .LBB294_1241
; %bb.1238:                             ;   in Loop: Header=BB294_16 Depth=1
	v_and_b32_e32 v8, 7, v31
	v_lshrrev_b32_e32 v36, 3, v70
	s_mov_b32 s23, exec_lo
	v_cmpx_gt_u32_e32 8, v70
; %bb.1239:                             ;   in Loop: Header=BB294_16 Depth=1
	s_delay_alu instid0(VALU_DEP_3) | instskip(NEXT) | instid1(VALU_DEP_1)
	v_clz_i32_u32_e32 v8, v8
	v_min_u32_e32 v8, 32, v8
	s_delay_alu instid0(VALU_DEP_1) | instskip(NEXT) | instid1(VALU_DEP_1)
	v_subrev_nc_u32_e32 v36, 28, v8
	v_lshlrev_b64_e32 v[84:85], v36, v[31:32]
	v_sub_nc_u32_e32 v36, 29, v8
	s_delay_alu instid0(VALU_DEP_2)
	v_and_b32_e32 v8, 7, v84
; %bb.1240:                             ;   in Loop: Header=BB294_16 Depth=1
	s_wait_alu 0xfffe
	s_or_b32 exec_lo, exec_lo, s23
	v_lshlrev_b32_e32 v70, 8, v31
	v_lshl_add_u32 v36, v36, 10, 0x2000
	v_lshlrev_b32_e32 v8, 7, v8
	s_delay_alu instid0(VALU_DEP_3) | instskip(NEXT) | instid1(VALU_DEP_3)
	v_and_b32_e32 v70, 0x8000, v70
	v_and_b32_e32 v36, 0xfc00, v36
	s_delay_alu instid0(VALU_DEP_1)
	v_or3_b32 v153, v70, v36, v8
.LBB294_1241:                           ;   in Loop: Header=BB294_16 Depth=1
	s_wait_alu 0xfffe
	s_or_b32 exec_lo, exec_lo, s22
.LBB294_1242:                           ;   in Loop: Header=BB294_16 Depth=1
	s_wait_alu 0xfffe
	s_or_b32 exec_lo, exec_lo, s21
.LBB294_1243:                           ;   in Loop: Header=BB294_16 Depth=1
	s_wait_alu 0xfffe
	s_or_b32 exec_lo, exec_lo, s20
	v_lshrrev_b16 v8, 8, v31
	v_dual_mov_b32 v157, 0 :: v_dual_mov_b32 v154, 0
	s_mov_b32 s20, exec_lo
	s_delay_alu instid0(VALU_DEP_2)
	v_cmpx_ne_u16_e32 0, v8
	s_cbranch_execz .LBB294_1251
; %bb.1244:                             ;   in Loop: Header=BB294_16 Depth=1
	v_bfrev_b32_e32 v154, 1
	s_mov_b32 s21, exec_lo
	v_cmpx_ne_u16_e32 0x80, v8
	s_cbranch_execz .LBB294_1250
; %bb.1245:                             ;   in Loop: Header=BB294_16 Depth=1
	v_and_b32_e32 v36, 0xffff, v8
	v_mov_b32_e32 v154, 0x7c010000
	s_mov_b32 s22, exec_lo
	s_delay_alu instid0(VALU_DEP_2) | instskip(NEXT) | instid1(VALU_DEP_1)
	v_and_b32_e32 v84, 0x7f, v36
	v_cmpx_ne_u32_e32 0x7f, v84
	s_cbranch_execz .LBB294_1249
; %bb.1246:                             ;   in Loop: Header=BB294_16 Depth=1
	v_and_b32_e32 v70, 7, v36
	v_lshrrev_b32_e32 v80, 3, v84
	s_mov_b32 s23, exec_lo
	v_cmpx_gt_u32_e32 8, v84
; %bb.1247:                             ;   in Loop: Header=BB294_16 Depth=1
	s_delay_alu instid0(VALU_DEP_3) | instskip(NEXT) | instid1(VALU_DEP_1)
	v_clz_i32_u32_e32 v70, v70
	v_min_u32_e32 v70, 32, v70
	s_delay_alu instid0(VALU_DEP_1) | instskip(NEXT) | instid1(VALU_DEP_1)
	v_subrev_nc_u32_e32 v80, 28, v70
	v_lshlrev_b64_e32 v[84:85], v80, v[8:9]
	v_sub_nc_u32_e32 v80, 29, v70
	s_delay_alu instid0(VALU_DEP_2)
	v_and_b32_e32 v70, 7, v84
; %bb.1248:                             ;   in Loop: Header=BB294_16 Depth=1
	s_wait_alu 0xfffe
	s_or_b32 exec_lo, exec_lo, s23
	v_lshlrev_b32_e32 v8, 8, v36
	v_lshl_add_u32 v36, v80, 10, 0x2000
	s_delay_alu instid0(VALU_DEP_1) | instskip(SKIP_1) | instid1(VALU_DEP_1)
	v_and_or_b32 v8, 0x8000, v8, v36
	v_lshlrev_b32_e32 v36, 23, v70
	v_lshl_or_b32 v154, v8, 16, v36
.LBB294_1249:                           ;   in Loop: Header=BB294_16 Depth=1
	s_wait_alu 0xfffe
	s_or_b32 exec_lo, exec_lo, s22
.LBB294_1250:                           ;   in Loop: Header=BB294_16 Depth=1
	s_wait_alu 0xfffe
	s_or_b32 exec_lo, exec_lo, s21
.LBB294_1251:                           ;   in Loop: Header=BB294_16 Depth=1
	s_wait_alu 0xfffe
	s_or_b32 exec_lo, exec_lo, s20
	v_lshrrev_b32_e32 v8, 16, v31
	s_mov_b32 s20, exec_lo
	s_delay_alu instid0(VALU_DEP_1) | instskip(NEXT) | instid1(VALU_DEP_1)
	v_and_b32_e32 v36, 0xff, v8
	v_cmpx_ne_u16_e32 0, v36
	s_cbranch_execz .LBB294_1259
; %bb.1252:                             ;   in Loop: Header=BB294_16 Depth=1
	v_mov_b32_e32 v157, 0x8000
	s_mov_b32 s21, exec_lo
	v_cmpx_ne_u16_e32 0x80, v36
	s_cbranch_execz .LBB294_1258
; %bb.1253:                             ;   in Loop: Header=BB294_16 Depth=1
	v_bfe_u32 v80, v31, 16, 7
	v_mov_b32_e32 v157, 0x7c01
	s_mov_b32 s22, exec_lo
	s_delay_alu instid0(VALU_DEP_2)
	v_cmpx_ne_u32_e32 0x7f, v80
	s_cbranch_execz .LBB294_1257
; %bb.1254:                             ;   in Loop: Header=BB294_16 Depth=1
	v_and_b32_e32 v36, 7, v8
	v_lshrrev_b32_e32 v70, 3, v80
	s_mov_b32 s23, exec_lo
	v_cmpx_gt_u32_e32 8, v80
; %bb.1255:                             ;   in Loop: Header=BB294_16 Depth=1
	s_delay_alu instid0(VALU_DEP_3) | instskip(NEXT) | instid1(VALU_DEP_1)
	v_clz_i32_u32_e32 v36, v36
	v_min_u32_e32 v36, 32, v36
	s_delay_alu instid0(VALU_DEP_1) | instskip(NEXT) | instid1(VALU_DEP_1)
	v_subrev_nc_u32_e32 v70, 28, v36
	v_lshlrev_b64_e32 v[84:85], v70, v[8:9]
	v_sub_nc_u32_e32 v70, 29, v36
	s_delay_alu instid0(VALU_DEP_2)
	v_and_b32_e32 v36, 7, v84
; %bb.1256:                             ;   in Loop: Header=BB294_16 Depth=1
	s_wait_alu 0xfffe
	s_or_b32 exec_lo, exec_lo, s23
	v_lshlrev_b32_e32 v8, 8, v8
	v_lshl_add_u32 v70, v70, 10, 0x2000
	v_lshlrev_b32_e32 v36, 7, v36
	s_delay_alu instid0(VALU_DEP_3) | instskip(NEXT) | instid1(VALU_DEP_3)
	v_and_b32_e32 v8, 0x8000, v8
	v_and_b32_e32 v70, 0xfc00, v70
	s_delay_alu instid0(VALU_DEP_1)
	v_or3_b32 v157, v8, v70, v36
.LBB294_1257:                           ;   in Loop: Header=BB294_16 Depth=1
	s_wait_alu 0xfffe
	s_or_b32 exec_lo, exec_lo, s22
.LBB294_1258:                           ;   in Loop: Header=BB294_16 Depth=1
	s_wait_alu 0xfffe
	s_or_b32 exec_lo, exec_lo, s21
.LBB294_1259:                           ;   in Loop: Header=BB294_16 Depth=1
	s_wait_alu 0xfffe
	s_or_b32 exec_lo, exec_lo, s20
	v_dual_mov_b32 v158, 0 :: v_dual_mov_b32 v159, 0
	s_mov_b32 s20, exec_lo
	v_cmpx_lt_u32_e32 0xffffff, v31
	s_cbranch_execz .LBB294_1267
; %bb.1260:                             ;   in Loop: Header=BB294_16 Depth=1
	v_lshrrev_b32_e32 v8, 24, v31
	v_bfrev_b32_e32 v159, 1
	s_mov_b32 s21, exec_lo
	s_delay_alu instid0(VALU_DEP_2)
	v_cmpx_ne_u32_e32 0x80, v8
	s_cbranch_execz .LBB294_1266
; %bb.1261:                             ;   in Loop: Header=BB294_16 Depth=1
	v_and_b32_e32 v80, 0x7f, v8
	v_mov_b32_e32 v159, 0x7c010000
	s_mov_b32 s22, exec_lo
	s_delay_alu instid0(VALU_DEP_2)
	v_cmpx_ne_u32_e32 0x7f, v80
	s_cbranch_execz .LBB294_1265
; %bb.1262:                             ;   in Loop: Header=BB294_16 Depth=1
	v_and_b32_e32 v36, 7, v8
	v_lshrrev_b32_e32 v70, 3, v80
	s_mov_b32 s23, exec_lo
	v_cmpx_gt_u32_e32 8, v80
; %bb.1263:                             ;   in Loop: Header=BB294_16 Depth=1
	s_delay_alu instid0(VALU_DEP_3) | instskip(NEXT) | instid1(VALU_DEP_1)
	v_clz_i32_u32_e32 v36, v36
	v_min_u32_e32 v36, 32, v36
	s_delay_alu instid0(VALU_DEP_1) | instskip(NEXT) | instid1(VALU_DEP_1)
	v_subrev_nc_u32_e32 v70, 28, v36
	v_lshlrev_b64_e32 v[84:85], v70, v[8:9]
	v_sub_nc_u32_e32 v70, 29, v36
	s_delay_alu instid0(VALU_DEP_2)
	v_and_b32_e32 v36, 7, v84
; %bb.1264:                             ;   in Loop: Header=BB294_16 Depth=1
	s_wait_alu 0xfffe
	s_or_b32 exec_lo, exec_lo, s23
	v_lshlrev_b32_e32 v8, 8, v8
	v_lshl_add_u32 v70, v70, 10, 0x2000
	v_lshlrev_b32_e32 v36, 23, v36
	s_delay_alu instid0(VALU_DEP_2) | instskip(NEXT) | instid1(VALU_DEP_1)
	v_and_or_b32 v8, 0x8000, v8, v70
	v_lshl_or_b32 v159, v8, 16, v36
.LBB294_1265:                           ;   in Loop: Header=BB294_16 Depth=1
	s_wait_alu 0xfffe
	s_or_b32 exec_lo, exec_lo, s22
.LBB294_1266:                           ;   in Loop: Header=BB294_16 Depth=1
	s_wait_alu 0xfffe
	s_or_b32 exec_lo, exec_lo, s21
.LBB294_1267:                           ;   in Loop: Header=BB294_16 Depth=1
	s_wait_alu 0xfffe
	s_or_b32 exec_lo, exec_lo, s20
	v_and_b32_e32 v36, 0xff, v32
	v_mov_b32_e32 v8, v32
	s_mov_b32 s20, exec_lo
	s_delay_alu instid0(VALU_DEP_2)
	v_cmpx_ne_u16_e32 0, v36
	s_cbranch_execz .LBB294_1275
; %bb.1268:                             ;   in Loop: Header=BB294_16 Depth=1
	v_mov_b32_e32 v158, 0x8000
	s_mov_b32 s21, exec_lo
	v_cmpx_ne_u16_e32 0x80, v36
	s_cbranch_execz .LBB294_1274
; %bb.1269:                             ;   in Loop: Header=BB294_16 Depth=1
	v_and_b32_e32 v80, 0x7f, v32
	v_mov_b32_e32 v158, 0x7c01
	s_mov_b32 s22, exec_lo
	s_delay_alu instid0(VALU_DEP_2)
	v_cmpx_ne_u32_e32 0x7f, v80
	s_cbranch_execz .LBB294_1273
; %bb.1270:                             ;   in Loop: Header=BB294_16 Depth=1
	v_and_b32_e32 v36, 7, v32
	v_lshrrev_b32_e32 v70, 3, v80
	s_mov_b32 s23, exec_lo
	v_cmpx_gt_u32_e32 8, v80
; %bb.1271:                             ;   in Loop: Header=BB294_16 Depth=1
	s_delay_alu instid0(VALU_DEP_3) | instskip(NEXT) | instid1(VALU_DEP_1)
	v_clz_i32_u32_e32 v36, v36
	v_min_u32_e32 v36, 32, v36
	s_delay_alu instid0(VALU_DEP_1) | instskip(NEXT) | instid1(VALU_DEP_1)
	v_subrev_nc_u32_e32 v70, 28, v36
	v_lshlrev_b64_e32 v[84:85], v70, v[8:9]
	v_sub_nc_u32_e32 v70, 29, v36
	s_delay_alu instid0(VALU_DEP_2)
	v_and_b32_e32 v36, 7, v84
; %bb.1272:                             ;   in Loop: Header=BB294_16 Depth=1
	s_wait_alu 0xfffe
	s_or_b32 exec_lo, exec_lo, s23
	v_lshlrev_b32_e32 v80, 8, v32
	v_lshl_add_u32 v70, v70, 10, 0x2000
	v_lshlrev_b32_e32 v36, 7, v36
	s_delay_alu instid0(VALU_DEP_3) | instskip(NEXT) | instid1(VALU_DEP_3)
	v_and_b32_e32 v80, 0x8000, v80
	v_and_b32_e32 v70, 0xfc00, v70
	s_delay_alu instid0(VALU_DEP_1)
	v_or3_b32 v158, v80, v70, v36
.LBB294_1273:                           ;   in Loop: Header=BB294_16 Depth=1
	s_wait_alu 0xfffe
	s_or_b32 exec_lo, exec_lo, s22
.LBB294_1274:                           ;   in Loop: Header=BB294_16 Depth=1
	s_wait_alu 0xfffe
	s_or_b32 exec_lo, exec_lo, s21
.LBB294_1275:                           ;   in Loop: Header=BB294_16 Depth=1
	s_wait_alu 0xfffe
	s_or_b32 exec_lo, exec_lo, s20
	v_lshrrev_b16 v8, 8, v8
	v_dual_mov_b32 v186, 0 :: v_dual_mov_b32 v189, 0
	s_mov_b32 s20, exec_lo
	s_delay_alu instid0(VALU_DEP_2)
	v_cmpx_ne_u16_e32 0, v8
	s_cbranch_execz .LBB294_1283
; %bb.1276:                             ;   in Loop: Header=BB294_16 Depth=1
	v_bfrev_b32_e32 v189, 1
	s_mov_b32 s21, exec_lo
	v_cmpx_ne_u16_e32 0x80, v8
	s_cbranch_execz .LBB294_1282
; %bb.1277:                             ;   in Loop: Header=BB294_16 Depth=1
	v_and_b32_e32 v36, 0xffff, v8
	v_mov_b32_e32 v189, 0x7c010000
	s_mov_b32 s22, exec_lo
	s_delay_alu instid0(VALU_DEP_2) | instskip(NEXT) | instid1(VALU_DEP_1)
	v_and_b32_e32 v84, 0x7f, v36
	v_cmpx_ne_u32_e32 0x7f, v84
	s_cbranch_execz .LBB294_1281
; %bb.1278:                             ;   in Loop: Header=BB294_16 Depth=1
	v_and_b32_e32 v70, 7, v36
	v_lshrrev_b32_e32 v80, 3, v84
	s_mov_b32 s23, exec_lo
	v_cmpx_gt_u32_e32 8, v84
; %bb.1279:                             ;   in Loop: Header=BB294_16 Depth=1
	s_delay_alu instid0(VALU_DEP_3) | instskip(NEXT) | instid1(VALU_DEP_1)
	v_clz_i32_u32_e32 v70, v70
	v_min_u32_e32 v70, 32, v70
	s_delay_alu instid0(VALU_DEP_1) | instskip(NEXT) | instid1(VALU_DEP_1)
	v_subrev_nc_u32_e32 v80, 28, v70
	v_lshlrev_b64_e32 v[84:85], v80, v[8:9]
	v_sub_nc_u32_e32 v80, 29, v70
	s_delay_alu instid0(VALU_DEP_2)
	v_and_b32_e32 v70, 7, v84
; %bb.1280:                             ;   in Loop: Header=BB294_16 Depth=1
	s_wait_alu 0xfffe
	s_or_b32 exec_lo, exec_lo, s23
	v_lshlrev_b32_e32 v8, 8, v36
	v_lshl_add_u32 v36, v80, 10, 0x2000
	s_delay_alu instid0(VALU_DEP_1) | instskip(SKIP_1) | instid1(VALU_DEP_1)
	v_and_or_b32 v8, 0x8000, v8, v36
	v_lshlrev_b32_e32 v36, 23, v70
	v_lshl_or_b32 v189, v8, 16, v36
.LBB294_1281:                           ;   in Loop: Header=BB294_16 Depth=1
	s_wait_alu 0xfffe
	s_or_b32 exec_lo, exec_lo, s22
.LBB294_1282:                           ;   in Loop: Header=BB294_16 Depth=1
	s_wait_alu 0xfffe
	s_or_b32 exec_lo, exec_lo, s21
.LBB294_1283:                           ;   in Loop: Header=BB294_16 Depth=1
	s_wait_alu 0xfffe
	s_or_b32 exec_lo, exec_lo, s20
	v_lshrrev_b32_e32 v8, 16, v32
	s_mov_b32 s20, exec_lo
	s_delay_alu instid0(VALU_DEP_1) | instskip(NEXT) | instid1(VALU_DEP_1)
	v_and_b32_e32 v36, 0xff, v8
	v_cmpx_ne_u16_e32 0, v36
	s_cbranch_execz .LBB294_1291
; %bb.1284:                             ;   in Loop: Header=BB294_16 Depth=1
	v_mov_b32_e32 v186, 0x8000
	s_mov_b32 s21, exec_lo
	v_cmpx_ne_u16_e32 0x80, v36
	s_cbranch_execz .LBB294_1290
; %bb.1285:                             ;   in Loop: Header=BB294_16 Depth=1
	v_bfe_u32 v80, v32, 16, 7
	v_mov_b32_e32 v186, 0x7c01
	s_mov_b32 s22, exec_lo
	s_delay_alu instid0(VALU_DEP_2)
	v_cmpx_ne_u32_e32 0x7f, v80
	s_cbranch_execz .LBB294_1289
; %bb.1286:                             ;   in Loop: Header=BB294_16 Depth=1
	v_and_b32_e32 v36, 7, v8
	v_lshrrev_b32_e32 v70, 3, v80
	s_mov_b32 s23, exec_lo
	v_cmpx_gt_u32_e32 8, v80
; %bb.1287:                             ;   in Loop: Header=BB294_16 Depth=1
	s_delay_alu instid0(VALU_DEP_3) | instskip(NEXT) | instid1(VALU_DEP_1)
	v_clz_i32_u32_e32 v36, v36
	v_min_u32_e32 v36, 32, v36
	s_delay_alu instid0(VALU_DEP_1) | instskip(NEXT) | instid1(VALU_DEP_1)
	v_subrev_nc_u32_e32 v70, 28, v36
	v_lshlrev_b64_e32 v[84:85], v70, v[8:9]
	v_sub_nc_u32_e32 v70, 29, v36
	s_delay_alu instid0(VALU_DEP_2)
	v_and_b32_e32 v36, 7, v84
; %bb.1288:                             ;   in Loop: Header=BB294_16 Depth=1
	s_wait_alu 0xfffe
	s_or_b32 exec_lo, exec_lo, s23
	v_lshlrev_b32_e32 v8, 8, v8
	v_lshl_add_u32 v70, v70, 10, 0x2000
	v_lshlrev_b32_e32 v36, 7, v36
	s_delay_alu instid0(VALU_DEP_3) | instskip(NEXT) | instid1(VALU_DEP_3)
	v_and_b32_e32 v8, 0x8000, v8
	v_and_b32_e32 v70, 0xfc00, v70
	s_delay_alu instid0(VALU_DEP_1)
	v_or3_b32 v186, v8, v70, v36
.LBB294_1289:                           ;   in Loop: Header=BB294_16 Depth=1
	s_wait_alu 0xfffe
	s_or_b32 exec_lo, exec_lo, s22
.LBB294_1290:                           ;   in Loop: Header=BB294_16 Depth=1
	s_wait_alu 0xfffe
	s_or_b32 exec_lo, exec_lo, s21
.LBB294_1291:                           ;   in Loop: Header=BB294_16 Depth=1
	s_wait_alu 0xfffe
	s_or_b32 exec_lo, exec_lo, s20
	v_dual_mov_b32 v121, 0 :: v_dual_mov_b32 v190, 0
	s_mov_b32 s20, exec_lo
	v_cmpx_lt_u64_e64 s[10:11], v[31:32]
	s_cbranch_execz .LBB294_1299
; %bb.1292:                             ;   in Loop: Header=BB294_16 Depth=1
	v_lshrrev_b32_e32 v8, 24, v32
	v_bfrev_b32_e32 v190, 1
	s_mov_b32 s21, exec_lo
	s_delay_alu instid0(VALU_DEP_2)
	v_cmpx_ne_u32_e32 0x80, v8
	s_cbranch_execz .LBB294_1298
; %bb.1293:                             ;   in Loop: Header=BB294_16 Depth=1
	v_and_b32_e32 v36, 0x7f, v8
	v_mov_b32_e32 v190, 0x7c010000
	s_mov_b32 s22, exec_lo
	s_delay_alu instid0(VALU_DEP_2)
	v_cmpx_ne_u32_e32 0x7f, v36
	s_cbranch_execz .LBB294_1297
; %bb.1294:                             ;   in Loop: Header=BB294_16 Depth=1
	v_and_b32_e32 v31, 7, v8
	v_lshrrev_b32_e32 v32, 3, v36
	s_mov_b32 s23, exec_lo
	v_cmpx_gt_u32_e32 8, v36
; %bb.1295:                             ;   in Loop: Header=BB294_16 Depth=1
	s_delay_alu instid0(VALU_DEP_3) | instskip(NEXT) | instid1(VALU_DEP_1)
	v_clz_i32_u32_e32 v31, v31
	v_min_u32_e32 v36, 32, v31
	s_delay_alu instid0(VALU_DEP_1) | instskip(NEXT) | instid1(VALU_DEP_1)
	v_subrev_nc_u32_e32 v31, 28, v36
	v_lshlrev_b64_e32 v[31:32], v31, v[8:9]
	v_sub_nc_u32_e32 v32, 29, v36
	s_delay_alu instid0(VALU_DEP_2)
	v_and_b32_e32 v31, 7, v31
; %bb.1296:                             ;   in Loop: Header=BB294_16 Depth=1
	s_wait_alu 0xfffe
	s_or_b32 exec_lo, exec_lo, s23
	v_lshlrev_b32_e32 v8, 8, v8
	v_lshl_add_u32 v32, v32, 10, 0x2000
	v_lshlrev_b32_e32 v31, 23, v31
	s_delay_alu instid0(VALU_DEP_2) | instskip(NEXT) | instid1(VALU_DEP_1)
	v_and_or_b32 v8, 0x8000, v8, v32
	v_lshl_or_b32 v190, v8, 16, v31
.LBB294_1297:                           ;   in Loop: Header=BB294_16 Depth=1
	s_wait_alu 0xfffe
	s_or_b32 exec_lo, exec_lo, s22
.LBB294_1298:                           ;   in Loop: Header=BB294_16 Depth=1
	s_wait_alu 0xfffe
	s_or_b32 exec_lo, exec_lo, s21
.LBB294_1299:                           ;   in Loop: Header=BB294_16 Depth=1
	s_wait_alu 0xfffe
	s_or_b32 exec_lo, exec_lo, s20
	flat_load_b64 v[31:32], v[28:29] offset:5120
	s_mov_b32 s20, exec_lo
	s_wait_loadcnt_dscnt 0x0
	v_and_b32_e32 v8, 0xff, v31
	s_delay_alu instid0(VALU_DEP_1)
	v_cmpx_ne_u16_e32 0, v8
	s_cbranch_execz .LBB294_1307
; %bb.1300:                             ;   in Loop: Header=BB294_16 Depth=1
	v_mov_b32_e32 v121, 0x8000
	s_mov_b32 s21, exec_lo
	v_cmpx_ne_u16_e32 0x80, v8
	s_cbranch_execz .LBB294_1306
; %bb.1301:                             ;   in Loop: Header=BB294_16 Depth=1
	v_and_b32_e32 v70, 0x7f, v31
	v_mov_b32_e32 v121, 0x7c01
	s_mov_b32 s22, exec_lo
	s_delay_alu instid0(VALU_DEP_2)
	v_cmpx_ne_u32_e32 0x7f, v70
	s_cbranch_execz .LBB294_1305
; %bb.1302:                             ;   in Loop: Header=BB294_16 Depth=1
	v_and_b32_e32 v8, 7, v31
	v_lshrrev_b32_e32 v36, 3, v70
	s_mov_b32 s23, exec_lo
	v_cmpx_gt_u32_e32 8, v70
; %bb.1303:                             ;   in Loop: Header=BB294_16 Depth=1
	s_delay_alu instid0(VALU_DEP_3) | instskip(NEXT) | instid1(VALU_DEP_1)
	v_clz_i32_u32_e32 v8, v8
	v_min_u32_e32 v8, 32, v8
	s_delay_alu instid0(VALU_DEP_1) | instskip(NEXT) | instid1(VALU_DEP_1)
	v_subrev_nc_u32_e32 v36, 28, v8
	v_lshlrev_b64_e32 v[84:85], v36, v[31:32]
	v_sub_nc_u32_e32 v36, 29, v8
	s_delay_alu instid0(VALU_DEP_2)
	v_and_b32_e32 v8, 7, v84
; %bb.1304:                             ;   in Loop: Header=BB294_16 Depth=1
	s_wait_alu 0xfffe
	s_or_b32 exec_lo, exec_lo, s23
	v_lshlrev_b32_e32 v70, 8, v31
	v_lshl_add_u32 v36, v36, 10, 0x2000
	v_lshlrev_b32_e32 v8, 7, v8
	s_delay_alu instid0(VALU_DEP_3) | instskip(NEXT) | instid1(VALU_DEP_3)
	v_and_b32_e32 v70, 0x8000, v70
	v_and_b32_e32 v36, 0xfc00, v36
	s_delay_alu instid0(VALU_DEP_1)
	v_or3_b32 v121, v70, v36, v8
.LBB294_1305:                           ;   in Loop: Header=BB294_16 Depth=1
	s_wait_alu 0xfffe
	s_or_b32 exec_lo, exec_lo, s22
.LBB294_1306:                           ;   in Loop: Header=BB294_16 Depth=1
	s_wait_alu 0xfffe
	s_or_b32 exec_lo, exec_lo, s21
.LBB294_1307:                           ;   in Loop: Header=BB294_16 Depth=1
	s_wait_alu 0xfffe
	s_or_b32 exec_lo, exec_lo, s20
	v_lshrrev_b16 v8, 8, v31
	v_dual_mov_b32 v137, 0 :: v_dual_mov_b32 v122, 0
	s_mov_b32 s20, exec_lo
	s_delay_alu instid0(VALU_DEP_2)
	v_cmpx_ne_u16_e32 0, v8
	s_cbranch_execz .LBB294_1315
; %bb.1308:                             ;   in Loop: Header=BB294_16 Depth=1
	v_bfrev_b32_e32 v122, 1
	s_mov_b32 s21, exec_lo
	v_cmpx_ne_u16_e32 0x80, v8
	s_cbranch_execz .LBB294_1314
; %bb.1309:                             ;   in Loop: Header=BB294_16 Depth=1
	v_and_b32_e32 v36, 0xffff, v8
	v_mov_b32_e32 v122, 0x7c010000
	s_mov_b32 s22, exec_lo
	s_delay_alu instid0(VALU_DEP_2) | instskip(NEXT) | instid1(VALU_DEP_1)
	v_and_b32_e32 v84, 0x7f, v36
	v_cmpx_ne_u32_e32 0x7f, v84
	s_cbranch_execz .LBB294_1313
; %bb.1310:                             ;   in Loop: Header=BB294_16 Depth=1
	v_and_b32_e32 v70, 7, v36
	v_lshrrev_b32_e32 v80, 3, v84
	s_mov_b32 s23, exec_lo
	v_cmpx_gt_u32_e32 8, v84
; %bb.1311:                             ;   in Loop: Header=BB294_16 Depth=1
	s_delay_alu instid0(VALU_DEP_3) | instskip(NEXT) | instid1(VALU_DEP_1)
	v_clz_i32_u32_e32 v70, v70
	v_min_u32_e32 v70, 32, v70
	s_delay_alu instid0(VALU_DEP_1) | instskip(NEXT) | instid1(VALU_DEP_1)
	v_subrev_nc_u32_e32 v80, 28, v70
	v_lshlrev_b64_e32 v[84:85], v80, v[8:9]
	v_sub_nc_u32_e32 v80, 29, v70
	s_delay_alu instid0(VALU_DEP_2)
	v_and_b32_e32 v70, 7, v84
; %bb.1312:                             ;   in Loop: Header=BB294_16 Depth=1
	s_wait_alu 0xfffe
	s_or_b32 exec_lo, exec_lo, s23
	v_lshlrev_b32_e32 v8, 8, v36
	v_lshl_add_u32 v36, v80, 10, 0x2000
	s_delay_alu instid0(VALU_DEP_1) | instskip(SKIP_1) | instid1(VALU_DEP_1)
	v_and_or_b32 v8, 0x8000, v8, v36
	v_lshlrev_b32_e32 v36, 23, v70
	v_lshl_or_b32 v122, v8, 16, v36
.LBB294_1313:                           ;   in Loop: Header=BB294_16 Depth=1
	s_wait_alu 0xfffe
	s_or_b32 exec_lo, exec_lo, s22
.LBB294_1314:                           ;   in Loop: Header=BB294_16 Depth=1
	s_wait_alu 0xfffe
	s_or_b32 exec_lo, exec_lo, s21
.LBB294_1315:                           ;   in Loop: Header=BB294_16 Depth=1
	s_wait_alu 0xfffe
	s_or_b32 exec_lo, exec_lo, s20
	v_lshrrev_b32_e32 v8, 16, v31
	s_mov_b32 s20, exec_lo
	s_delay_alu instid0(VALU_DEP_1) | instskip(NEXT) | instid1(VALU_DEP_1)
	v_and_b32_e32 v36, 0xff, v8
	v_cmpx_ne_u16_e32 0, v36
	s_cbranch_execz .LBB294_1323
; %bb.1316:                             ;   in Loop: Header=BB294_16 Depth=1
	v_mov_b32_e32 v137, 0x8000
	s_mov_b32 s21, exec_lo
	v_cmpx_ne_u16_e32 0x80, v36
	s_cbranch_execz .LBB294_1322
; %bb.1317:                             ;   in Loop: Header=BB294_16 Depth=1
	v_bfe_u32 v80, v31, 16, 7
	v_mov_b32_e32 v137, 0x7c01
	s_mov_b32 s22, exec_lo
	s_delay_alu instid0(VALU_DEP_2)
	v_cmpx_ne_u32_e32 0x7f, v80
	s_cbranch_execz .LBB294_1321
; %bb.1318:                             ;   in Loop: Header=BB294_16 Depth=1
	v_and_b32_e32 v36, 7, v8
	v_lshrrev_b32_e32 v70, 3, v80
	s_mov_b32 s23, exec_lo
	v_cmpx_gt_u32_e32 8, v80
; %bb.1319:                             ;   in Loop: Header=BB294_16 Depth=1
	s_delay_alu instid0(VALU_DEP_3) | instskip(NEXT) | instid1(VALU_DEP_1)
	v_clz_i32_u32_e32 v36, v36
	v_min_u32_e32 v36, 32, v36
	s_delay_alu instid0(VALU_DEP_1) | instskip(NEXT) | instid1(VALU_DEP_1)
	v_subrev_nc_u32_e32 v70, 28, v36
	v_lshlrev_b64_e32 v[84:85], v70, v[8:9]
	v_sub_nc_u32_e32 v70, 29, v36
	s_delay_alu instid0(VALU_DEP_2)
	v_and_b32_e32 v36, 7, v84
; %bb.1320:                             ;   in Loop: Header=BB294_16 Depth=1
	s_wait_alu 0xfffe
	s_or_b32 exec_lo, exec_lo, s23
	v_lshlrev_b32_e32 v8, 8, v8
	v_lshl_add_u32 v70, v70, 10, 0x2000
	v_lshlrev_b32_e32 v36, 7, v36
	s_delay_alu instid0(VALU_DEP_3) | instskip(NEXT) | instid1(VALU_DEP_3)
	v_and_b32_e32 v8, 0x8000, v8
	v_and_b32_e32 v70, 0xfc00, v70
	s_delay_alu instid0(VALU_DEP_1)
	v_or3_b32 v137, v8, v70, v36
.LBB294_1321:                           ;   in Loop: Header=BB294_16 Depth=1
	s_wait_alu 0xfffe
	s_or_b32 exec_lo, exec_lo, s22
.LBB294_1322:                           ;   in Loop: Header=BB294_16 Depth=1
	s_wait_alu 0xfffe
	s_or_b32 exec_lo, exec_lo, s21
.LBB294_1323:                           ;   in Loop: Header=BB294_16 Depth=1
	s_wait_alu 0xfffe
	s_or_b32 exec_lo, exec_lo, s20
	v_dual_mov_b32 v138, 0 :: v_dual_mov_b32 v139, 0
	s_mov_b32 s20, exec_lo
	v_cmpx_lt_u32_e32 0xffffff, v31
	s_cbranch_execz .LBB294_1331
; %bb.1324:                             ;   in Loop: Header=BB294_16 Depth=1
	v_lshrrev_b32_e32 v8, 24, v31
	v_bfrev_b32_e32 v139, 1
	s_mov_b32 s21, exec_lo
	s_delay_alu instid0(VALU_DEP_2)
	v_cmpx_ne_u32_e32 0x80, v8
	s_cbranch_execz .LBB294_1330
; %bb.1325:                             ;   in Loop: Header=BB294_16 Depth=1
	v_and_b32_e32 v80, 0x7f, v8
	v_mov_b32_e32 v139, 0x7c010000
	s_mov_b32 s22, exec_lo
	s_delay_alu instid0(VALU_DEP_2)
	v_cmpx_ne_u32_e32 0x7f, v80
	s_cbranch_execz .LBB294_1329
; %bb.1326:                             ;   in Loop: Header=BB294_16 Depth=1
	v_and_b32_e32 v36, 7, v8
	v_lshrrev_b32_e32 v70, 3, v80
	s_mov_b32 s23, exec_lo
	v_cmpx_gt_u32_e32 8, v80
; %bb.1327:                             ;   in Loop: Header=BB294_16 Depth=1
	s_delay_alu instid0(VALU_DEP_3) | instskip(NEXT) | instid1(VALU_DEP_1)
	v_clz_i32_u32_e32 v36, v36
	v_min_u32_e32 v36, 32, v36
	s_delay_alu instid0(VALU_DEP_1) | instskip(NEXT) | instid1(VALU_DEP_1)
	v_subrev_nc_u32_e32 v70, 28, v36
	v_lshlrev_b64_e32 v[84:85], v70, v[8:9]
	v_sub_nc_u32_e32 v70, 29, v36
	s_delay_alu instid0(VALU_DEP_2)
	v_and_b32_e32 v36, 7, v84
; %bb.1328:                             ;   in Loop: Header=BB294_16 Depth=1
	s_wait_alu 0xfffe
	s_or_b32 exec_lo, exec_lo, s23
	v_lshlrev_b32_e32 v8, 8, v8
	v_lshl_add_u32 v70, v70, 10, 0x2000
	v_lshlrev_b32_e32 v36, 23, v36
	s_delay_alu instid0(VALU_DEP_2) | instskip(NEXT) | instid1(VALU_DEP_1)
	v_and_or_b32 v8, 0x8000, v8, v70
	v_lshl_or_b32 v139, v8, 16, v36
.LBB294_1329:                           ;   in Loop: Header=BB294_16 Depth=1
	s_wait_alu 0xfffe
	s_or_b32 exec_lo, exec_lo, s22
.LBB294_1330:                           ;   in Loop: Header=BB294_16 Depth=1
	s_wait_alu 0xfffe
	s_or_b32 exec_lo, exec_lo, s21
.LBB294_1331:                           ;   in Loop: Header=BB294_16 Depth=1
	s_wait_alu 0xfffe
	s_or_b32 exec_lo, exec_lo, s20
	v_and_b32_e32 v36, 0xff, v32
	v_mov_b32_e32 v8, v32
	s_mov_b32 s20, exec_lo
	s_delay_alu instid0(VALU_DEP_2)
	v_cmpx_ne_u16_e32 0, v36
	s_cbranch_execz .LBB294_1339
; %bb.1332:                             ;   in Loop: Header=BB294_16 Depth=1
	v_mov_b32_e32 v138, 0x8000
	s_mov_b32 s21, exec_lo
	v_cmpx_ne_u16_e32 0x80, v36
	s_cbranch_execz .LBB294_1338
; %bb.1333:                             ;   in Loop: Header=BB294_16 Depth=1
	v_and_b32_e32 v80, 0x7f, v32
	v_mov_b32_e32 v138, 0x7c01
	s_mov_b32 s22, exec_lo
	s_delay_alu instid0(VALU_DEP_2)
	v_cmpx_ne_u32_e32 0x7f, v80
	s_cbranch_execz .LBB294_1337
; %bb.1334:                             ;   in Loop: Header=BB294_16 Depth=1
	v_and_b32_e32 v36, 7, v32
	v_lshrrev_b32_e32 v70, 3, v80
	s_mov_b32 s23, exec_lo
	v_cmpx_gt_u32_e32 8, v80
; %bb.1335:                             ;   in Loop: Header=BB294_16 Depth=1
	s_delay_alu instid0(VALU_DEP_3) | instskip(NEXT) | instid1(VALU_DEP_1)
	v_clz_i32_u32_e32 v36, v36
	v_min_u32_e32 v36, 32, v36
	s_delay_alu instid0(VALU_DEP_1) | instskip(NEXT) | instid1(VALU_DEP_1)
	v_subrev_nc_u32_e32 v70, 28, v36
	v_lshlrev_b64_e32 v[84:85], v70, v[8:9]
	v_sub_nc_u32_e32 v70, 29, v36
	s_delay_alu instid0(VALU_DEP_2)
	v_and_b32_e32 v36, 7, v84
; %bb.1336:                             ;   in Loop: Header=BB294_16 Depth=1
	s_wait_alu 0xfffe
	s_or_b32 exec_lo, exec_lo, s23
	v_lshlrev_b32_e32 v80, 8, v32
	v_lshl_add_u32 v70, v70, 10, 0x2000
	v_lshlrev_b32_e32 v36, 7, v36
	s_delay_alu instid0(VALU_DEP_3) | instskip(NEXT) | instid1(VALU_DEP_3)
	v_and_b32_e32 v80, 0x8000, v80
	v_and_b32_e32 v70, 0xfc00, v70
	s_delay_alu instid0(VALU_DEP_1)
	v_or3_b32 v138, v80, v70, v36
.LBB294_1337:                           ;   in Loop: Header=BB294_16 Depth=1
	s_wait_alu 0xfffe
	s_or_b32 exec_lo, exec_lo, s22
.LBB294_1338:                           ;   in Loop: Header=BB294_16 Depth=1
	s_wait_alu 0xfffe
	s_or_b32 exec_lo, exec_lo, s21
.LBB294_1339:                           ;   in Loop: Header=BB294_16 Depth=1
	s_wait_alu 0xfffe
	s_or_b32 exec_lo, exec_lo, s20
	v_lshrrev_b16 v8, 8, v8
	v_mov_b32_e32 v169, 0
	v_mov_b32_e32 v171, 0
	s_mov_b32 s20, exec_lo
	s_delay_alu instid0(VALU_DEP_3)
	v_cmpx_ne_u16_e32 0, v8
	s_cbranch_execz .LBB294_1347
; %bb.1340:                             ;   in Loop: Header=BB294_16 Depth=1
	v_bfrev_b32_e32 v171, 1
	s_mov_b32 s21, exec_lo
	v_cmpx_ne_u16_e32 0x80, v8
	s_cbranch_execz .LBB294_1346
; %bb.1341:                             ;   in Loop: Header=BB294_16 Depth=1
	v_and_b32_e32 v36, 0xffff, v8
	v_mov_b32_e32 v171, 0x7c010000
	s_mov_b32 s22, exec_lo
	s_delay_alu instid0(VALU_DEP_2) | instskip(NEXT) | instid1(VALU_DEP_1)
	v_and_b32_e32 v84, 0x7f, v36
	v_cmpx_ne_u32_e32 0x7f, v84
	s_cbranch_execz .LBB294_1345
; %bb.1342:                             ;   in Loop: Header=BB294_16 Depth=1
	v_and_b32_e32 v70, 7, v36
	v_lshrrev_b32_e32 v80, 3, v84
	s_mov_b32 s23, exec_lo
	v_cmpx_gt_u32_e32 8, v84
; %bb.1343:                             ;   in Loop: Header=BB294_16 Depth=1
	s_delay_alu instid0(VALU_DEP_3) | instskip(NEXT) | instid1(VALU_DEP_1)
	v_clz_i32_u32_e32 v70, v70
	v_min_u32_e32 v70, 32, v70
	s_delay_alu instid0(VALU_DEP_1) | instskip(NEXT) | instid1(VALU_DEP_1)
	v_subrev_nc_u32_e32 v80, 28, v70
	v_lshlrev_b64_e32 v[84:85], v80, v[8:9]
	v_sub_nc_u32_e32 v80, 29, v70
	s_delay_alu instid0(VALU_DEP_2)
	v_and_b32_e32 v70, 7, v84
; %bb.1344:                             ;   in Loop: Header=BB294_16 Depth=1
	s_wait_alu 0xfffe
	s_or_b32 exec_lo, exec_lo, s23
	v_lshlrev_b32_e32 v8, 8, v36
	v_lshl_add_u32 v36, v80, 10, 0x2000
	s_delay_alu instid0(VALU_DEP_1) | instskip(SKIP_1) | instid1(VALU_DEP_1)
	v_and_or_b32 v8, 0x8000, v8, v36
	v_lshlrev_b32_e32 v36, 23, v70
	v_lshl_or_b32 v171, v8, 16, v36
.LBB294_1345:                           ;   in Loop: Header=BB294_16 Depth=1
	s_wait_alu 0xfffe
	s_or_b32 exec_lo, exec_lo, s22
.LBB294_1346:                           ;   in Loop: Header=BB294_16 Depth=1
	s_wait_alu 0xfffe
	s_or_b32 exec_lo, exec_lo, s21
.LBB294_1347:                           ;   in Loop: Header=BB294_16 Depth=1
	s_wait_alu 0xfffe
	s_or_b32 exec_lo, exec_lo, s20
	v_lshrrev_b32_e32 v8, 16, v32
	s_mov_b32 s20, exec_lo
	s_delay_alu instid0(VALU_DEP_1) | instskip(NEXT) | instid1(VALU_DEP_1)
	v_and_b32_e32 v36, 0xff, v8
	v_cmpx_ne_u16_e32 0, v36
	s_cbranch_execz .LBB294_1355
; %bb.1348:                             ;   in Loop: Header=BB294_16 Depth=1
	v_mov_b32_e32 v169, 0x8000
	s_mov_b32 s21, exec_lo
	v_cmpx_ne_u16_e32 0x80, v36
	s_cbranch_execz .LBB294_1354
; %bb.1349:                             ;   in Loop: Header=BB294_16 Depth=1
	v_bfe_u32 v80, v32, 16, 7
	v_mov_b32_e32 v169, 0x7c01
	s_mov_b32 s22, exec_lo
	s_delay_alu instid0(VALU_DEP_2)
	v_cmpx_ne_u32_e32 0x7f, v80
	s_cbranch_execz .LBB294_1353
; %bb.1350:                             ;   in Loop: Header=BB294_16 Depth=1
	v_and_b32_e32 v36, 7, v8
	v_lshrrev_b32_e32 v70, 3, v80
	s_mov_b32 s23, exec_lo
	v_cmpx_gt_u32_e32 8, v80
; %bb.1351:                             ;   in Loop: Header=BB294_16 Depth=1
	s_delay_alu instid0(VALU_DEP_3) | instskip(NEXT) | instid1(VALU_DEP_1)
	v_clz_i32_u32_e32 v36, v36
	v_min_u32_e32 v36, 32, v36
	s_delay_alu instid0(VALU_DEP_1) | instskip(NEXT) | instid1(VALU_DEP_1)
	v_subrev_nc_u32_e32 v70, 28, v36
	v_lshlrev_b64_e32 v[84:85], v70, v[8:9]
	v_sub_nc_u32_e32 v70, 29, v36
	s_delay_alu instid0(VALU_DEP_2)
	v_and_b32_e32 v36, 7, v84
; %bb.1352:                             ;   in Loop: Header=BB294_16 Depth=1
	s_wait_alu 0xfffe
	s_or_b32 exec_lo, exec_lo, s23
	v_lshlrev_b32_e32 v8, 8, v8
	v_lshl_add_u32 v70, v70, 10, 0x2000
	v_lshlrev_b32_e32 v36, 7, v36
	s_delay_alu instid0(VALU_DEP_3) | instskip(NEXT) | instid1(VALU_DEP_3)
	v_and_b32_e32 v8, 0x8000, v8
	v_and_b32_e32 v70, 0xfc00, v70
	s_delay_alu instid0(VALU_DEP_1)
	v_or3_b32 v169, v8, v70, v36
.LBB294_1353:                           ;   in Loop: Header=BB294_16 Depth=1
	s_wait_alu 0xfffe
	s_or_b32 exec_lo, exec_lo, s22
.LBB294_1354:                           ;   in Loop: Header=BB294_16 Depth=1
	s_wait_alu 0xfffe
	s_or_b32 exec_lo, exec_lo, s21
.LBB294_1355:                           ;   in Loop: Header=BB294_16 Depth=1
	s_wait_alu 0xfffe
	s_or_b32 exec_lo, exec_lo, s20
	v_dual_mov_b32 v77, 0 :: v_dual_mov_b32 v36, 0
	s_mov_b32 s20, exec_lo
	v_cmpx_lt_u64_e64 s[10:11], v[31:32]
	s_cbranch_execz .LBB294_1363
; %bb.1356:                             ;   in Loop: Header=BB294_16 Depth=1
	v_lshrrev_b32_e32 v8, 24, v32
	v_bfrev_b32_e32 v36, 1
	s_mov_b32 s21, exec_lo
	s_delay_alu instid0(VALU_DEP_2)
	v_cmpx_ne_u32_e32 0x80, v8
	s_cbranch_execz .LBB294_1362
; %bb.1357:                             ;   in Loop: Header=BB294_16 Depth=1
	v_and_b32_e32 v70, 0x7f, v8
	v_mov_b32_e32 v36, 0x7c010000
	s_mov_b32 s22, exec_lo
	s_delay_alu instid0(VALU_DEP_2)
	v_cmpx_ne_u32_e32 0x7f, v70
	s_cbranch_execz .LBB294_1361
; %bb.1358:                             ;   in Loop: Header=BB294_16 Depth=1
	v_and_b32_e32 v31, 7, v8
	v_lshrrev_b32_e32 v32, 3, v70
	s_mov_b32 s23, exec_lo
	v_cmpx_gt_u32_e32 8, v70
; %bb.1359:                             ;   in Loop: Header=BB294_16 Depth=1
	s_delay_alu instid0(VALU_DEP_3) | instskip(NEXT) | instid1(VALU_DEP_1)
	v_clz_i32_u32_e32 v31, v31
	v_min_u32_e32 v36, 32, v31
	s_delay_alu instid0(VALU_DEP_1) | instskip(NEXT) | instid1(VALU_DEP_1)
	v_subrev_nc_u32_e32 v31, 28, v36
	v_lshlrev_b64_e32 v[31:32], v31, v[8:9]
	v_sub_nc_u32_e32 v32, 29, v36
	s_delay_alu instid0(VALU_DEP_2)
	v_and_b32_e32 v31, 7, v31
; %bb.1360:                             ;   in Loop: Header=BB294_16 Depth=1
	s_wait_alu 0xfffe
	s_or_b32 exec_lo, exec_lo, s23
	v_lshlrev_b32_e32 v8, 8, v8
	v_lshl_add_u32 v32, v32, 10, 0x2000
	v_lshlrev_b32_e32 v31, 23, v31
	s_delay_alu instid0(VALU_DEP_2) | instskip(NEXT) | instid1(VALU_DEP_1)
	v_and_or_b32 v8, 0x8000, v8, v32
	v_lshl_or_b32 v36, v8, 16, v31
.LBB294_1361:                           ;   in Loop: Header=BB294_16 Depth=1
	s_wait_alu 0xfffe
	s_or_b32 exec_lo, exec_lo, s22
.LBB294_1362:                           ;   in Loop: Header=BB294_16 Depth=1
	s_wait_alu 0xfffe
	s_or_b32 exec_lo, exec_lo, s21
.LBB294_1363:                           ;   in Loop: Header=BB294_16 Depth=1
	s_wait_alu 0xfffe
	s_or_b32 exec_lo, exec_lo, s20
	flat_load_b64 v[31:32], v[28:29] offset:5128
	s_mov_b32 s20, exec_lo
	s_wait_loadcnt_dscnt 0x0
	v_and_b32_e32 v8, 0xff, v31
	s_delay_alu instid0(VALU_DEP_1)
	v_cmpx_ne_u16_e32 0, v8
	s_cbranch_execz .LBB294_1371
; %bb.1364:                             ;   in Loop: Header=BB294_16 Depth=1
	v_mov_b32_e32 v77, 0x8000
	s_mov_b32 s21, exec_lo
	v_cmpx_ne_u16_e32 0x80, v8
	s_cbranch_execz .LBB294_1370
; %bb.1365:                             ;   in Loop: Header=BB294_16 Depth=1
	v_and_b32_e32 v80, 0x7f, v31
	v_mov_b32_e32 v77, 0x7c01
	s_mov_b32 s22, exec_lo
	s_delay_alu instid0(VALU_DEP_2)
	v_cmpx_ne_u32_e32 0x7f, v80
	s_cbranch_execz .LBB294_1369
; %bb.1366:                             ;   in Loop: Header=BB294_16 Depth=1
	v_and_b32_e32 v8, 7, v31
	v_lshrrev_b32_e32 v70, 3, v80
	s_mov_b32 s23, exec_lo
	v_cmpx_gt_u32_e32 8, v80
; %bb.1367:                             ;   in Loop: Header=BB294_16 Depth=1
	s_delay_alu instid0(VALU_DEP_3) | instskip(NEXT) | instid1(VALU_DEP_1)
	v_clz_i32_u32_e32 v8, v8
	v_min_u32_e32 v8, 32, v8
	s_delay_alu instid0(VALU_DEP_1) | instskip(NEXT) | instid1(VALU_DEP_1)
	v_subrev_nc_u32_e32 v70, 28, v8
	v_lshlrev_b64_e32 v[84:85], v70, v[31:32]
	v_sub_nc_u32_e32 v70, 29, v8
	s_delay_alu instid0(VALU_DEP_2)
	v_and_b32_e32 v8, 7, v84
; %bb.1368:                             ;   in Loop: Header=BB294_16 Depth=1
	s_wait_alu 0xfffe
	s_or_b32 exec_lo, exec_lo, s23
	v_lshlrev_b32_e32 v80, 8, v31
	v_lshl_add_u32 v70, v70, 10, 0x2000
	v_lshlrev_b32_e32 v8, 7, v8
	s_delay_alu instid0(VALU_DEP_3) | instskip(NEXT) | instid1(VALU_DEP_3)
	v_and_b32_e32 v80, 0x8000, v80
	v_and_b32_e32 v70, 0xfc00, v70
	s_delay_alu instid0(VALU_DEP_1)
	v_or3_b32 v77, v80, v70, v8
.LBB294_1369:                           ;   in Loop: Header=BB294_16 Depth=1
	s_wait_alu 0xfffe
	s_or_b32 exec_lo, exec_lo, s22
.LBB294_1370:                           ;   in Loop: Header=BB294_16 Depth=1
	s_wait_alu 0xfffe
	s_or_b32 exec_lo, exec_lo, s21
.LBB294_1371:                           ;   in Loop: Header=BB294_16 Depth=1
	s_wait_alu 0xfffe
	s_or_b32 exec_lo, exec_lo, s20
	v_lshrrev_b16 v8, 8, v31
	v_dual_mov_b32 v79, 0 :: v_dual_mov_b32 v78, 0
	s_mov_b32 s20, exec_lo
	s_delay_alu instid0(VALU_DEP_2)
	v_cmpx_ne_u16_e32 0, v8
	s_cbranch_execz .LBB294_1379
; %bb.1372:                             ;   in Loop: Header=BB294_16 Depth=1
	v_bfrev_b32_e32 v78, 1
	s_mov_b32 s21, exec_lo
	v_cmpx_ne_u16_e32 0x80, v8
	s_cbranch_execz .LBB294_1378
; %bb.1373:                             ;   in Loop: Header=BB294_16 Depth=1
	v_and_b32_e32 v70, 0xffff, v8
	v_mov_b32_e32 v78, 0x7c010000
	s_mov_b32 s22, exec_lo
	s_delay_alu instid0(VALU_DEP_2) | instskip(NEXT) | instid1(VALU_DEP_1)
	v_and_b32_e32 v85, 0x7f, v70
	v_cmpx_ne_u32_e32 0x7f, v85
	s_cbranch_execz .LBB294_1377
; %bb.1374:                             ;   in Loop: Header=BB294_16 Depth=1
	v_and_b32_e32 v80, 7, v70
	v_lshrrev_b32_e32 v84, 3, v85
	s_mov_b32 s23, exec_lo
	v_cmpx_gt_u32_e32 8, v85
; %bb.1375:                             ;   in Loop: Header=BB294_16 Depth=1
	s_delay_alu instid0(VALU_DEP_3) | instskip(NEXT) | instid1(VALU_DEP_1)
	v_clz_i32_u32_e32 v80, v80
	v_min_u32_e32 v80, 32, v80
	s_delay_alu instid0(VALU_DEP_1) | instskip(NEXT) | instid1(VALU_DEP_1)
	v_subrev_nc_u32_e32 v84, 28, v80
	v_lshlrev_b64_e32 v[100:101], v84, v[8:9]
	v_sub_nc_u32_e32 v84, 29, v80
	s_delay_alu instid0(VALU_DEP_2)
	v_and_b32_e32 v80, 7, v100
; %bb.1376:                             ;   in Loop: Header=BB294_16 Depth=1
	s_wait_alu 0xfffe
	s_or_b32 exec_lo, exec_lo, s23
	v_lshlrev_b32_e32 v8, 8, v70
	v_lshl_add_u32 v70, v84, 10, 0x2000
	s_delay_alu instid0(VALU_DEP_1) | instskip(SKIP_1) | instid1(VALU_DEP_1)
	v_and_or_b32 v8, 0x8000, v8, v70
	v_lshlrev_b32_e32 v70, 23, v80
	v_lshl_or_b32 v78, v8, 16, v70
.LBB294_1377:                           ;   in Loop: Header=BB294_16 Depth=1
	s_wait_alu 0xfffe
	s_or_b32 exec_lo, exec_lo, s22
.LBB294_1378:                           ;   in Loop: Header=BB294_16 Depth=1
	s_wait_alu 0xfffe
	s_or_b32 exec_lo, exec_lo, s21
.LBB294_1379:                           ;   in Loop: Header=BB294_16 Depth=1
	s_wait_alu 0xfffe
	s_or_b32 exec_lo, exec_lo, s20
	v_lshrrev_b32_e32 v8, 16, v31
	s_mov_b32 s20, exec_lo
	s_delay_alu instid0(VALU_DEP_1) | instskip(NEXT) | instid1(VALU_DEP_1)
	v_and_b32_e32 v70, 0xff, v8
	v_cmpx_ne_u16_e32 0, v70
	s_cbranch_execz .LBB294_1387
; %bb.1380:                             ;   in Loop: Header=BB294_16 Depth=1
	v_mov_b32_e32 v79, 0x8000
	s_mov_b32 s21, exec_lo
	v_cmpx_ne_u16_e32 0x80, v70
	s_cbranch_execz .LBB294_1386
; %bb.1381:                             ;   in Loop: Header=BB294_16 Depth=1
	v_bfe_u32 v84, v31, 16, 7
	v_mov_b32_e32 v79, 0x7c01
	s_mov_b32 s22, exec_lo
	s_delay_alu instid0(VALU_DEP_2)
	v_cmpx_ne_u32_e32 0x7f, v84
	s_cbranch_execz .LBB294_1385
; %bb.1382:                             ;   in Loop: Header=BB294_16 Depth=1
	v_and_b32_e32 v70, 7, v8
	v_lshrrev_b32_e32 v80, 3, v84
	s_mov_b32 s23, exec_lo
	v_cmpx_gt_u32_e32 8, v84
; %bb.1383:                             ;   in Loop: Header=BB294_16 Depth=1
	s_delay_alu instid0(VALU_DEP_3) | instskip(NEXT) | instid1(VALU_DEP_1)
	v_clz_i32_u32_e32 v70, v70
	v_min_u32_e32 v70, 32, v70
	s_delay_alu instid0(VALU_DEP_1) | instskip(NEXT) | instid1(VALU_DEP_1)
	v_subrev_nc_u32_e32 v80, 28, v70
	v_lshlrev_b64_e32 v[84:85], v80, v[8:9]
	v_sub_nc_u32_e32 v80, 29, v70
	s_delay_alu instid0(VALU_DEP_2)
	v_and_b32_e32 v70, 7, v84
; %bb.1384:                             ;   in Loop: Header=BB294_16 Depth=1
	s_wait_alu 0xfffe
	s_or_b32 exec_lo, exec_lo, s23
	v_lshlrev_b32_e32 v8, 8, v8
	v_lshl_add_u32 v80, v80, 10, 0x2000
	v_lshlrev_b32_e32 v70, 7, v70
	s_delay_alu instid0(VALU_DEP_3) | instskip(NEXT) | instid1(VALU_DEP_3)
	v_and_b32_e32 v8, 0x8000, v8
	v_and_b32_e32 v80, 0xfc00, v80
	s_delay_alu instid0(VALU_DEP_1)
	v_or3_b32 v79, v8, v80, v70
.LBB294_1385:                           ;   in Loop: Header=BB294_16 Depth=1
	s_wait_alu 0xfffe
	s_or_b32 exec_lo, exec_lo, s22
.LBB294_1386:                           ;   in Loop: Header=BB294_16 Depth=1
	s_wait_alu 0xfffe
	s_or_b32 exec_lo, exec_lo, s21
.LBB294_1387:                           ;   in Loop: Header=BB294_16 Depth=1
	s_wait_alu 0xfffe
	s_or_b32 exec_lo, exec_lo, s20
	v_dual_mov_b32 v93, 0 :: v_dual_mov_b32 v94, 0
	s_mov_b32 s20, exec_lo
	v_cmpx_lt_u32_e32 0xffffff, v31
	s_cbranch_execz .LBB294_1395
; %bb.1388:                             ;   in Loop: Header=BB294_16 Depth=1
	v_lshrrev_b32_e32 v8, 24, v31
	v_bfrev_b32_e32 v94, 1
	s_mov_b32 s21, exec_lo
	s_delay_alu instid0(VALU_DEP_2)
	v_cmpx_ne_u32_e32 0x80, v8
	s_cbranch_execz .LBB294_1394
; %bb.1389:                             ;   in Loop: Header=BB294_16 Depth=1
	v_and_b32_e32 v84, 0x7f, v8
	v_mov_b32_e32 v94, 0x7c010000
	s_mov_b32 s22, exec_lo
	s_delay_alu instid0(VALU_DEP_2)
	v_cmpx_ne_u32_e32 0x7f, v84
	s_cbranch_execz .LBB294_1393
; %bb.1390:                             ;   in Loop: Header=BB294_16 Depth=1
	v_and_b32_e32 v70, 7, v8
	v_lshrrev_b32_e32 v80, 3, v84
	s_mov_b32 s23, exec_lo
	v_cmpx_gt_u32_e32 8, v84
; %bb.1391:                             ;   in Loop: Header=BB294_16 Depth=1
	s_delay_alu instid0(VALU_DEP_3) | instskip(NEXT) | instid1(VALU_DEP_1)
	v_clz_i32_u32_e32 v70, v70
	v_min_u32_e32 v70, 32, v70
	s_delay_alu instid0(VALU_DEP_1) | instskip(NEXT) | instid1(VALU_DEP_1)
	v_subrev_nc_u32_e32 v80, 28, v70
	v_lshlrev_b64_e32 v[84:85], v80, v[8:9]
	v_sub_nc_u32_e32 v80, 29, v70
	s_delay_alu instid0(VALU_DEP_2)
	v_and_b32_e32 v70, 7, v84
; %bb.1392:                             ;   in Loop: Header=BB294_16 Depth=1
	s_wait_alu 0xfffe
	s_or_b32 exec_lo, exec_lo, s23
	v_lshlrev_b32_e32 v8, 8, v8
	v_lshl_add_u32 v80, v80, 10, 0x2000
	v_lshlrev_b32_e32 v70, 23, v70
	s_delay_alu instid0(VALU_DEP_2) | instskip(NEXT) | instid1(VALU_DEP_1)
	v_and_or_b32 v8, 0x8000, v8, v80
	v_lshl_or_b32 v94, v8, 16, v70
.LBB294_1393:                           ;   in Loop: Header=BB294_16 Depth=1
	s_wait_alu 0xfffe
	s_or_b32 exec_lo, exec_lo, s22
.LBB294_1394:                           ;   in Loop: Header=BB294_16 Depth=1
	s_wait_alu 0xfffe
	s_or_b32 exec_lo, exec_lo, s21
.LBB294_1395:                           ;   in Loop: Header=BB294_16 Depth=1
	s_wait_alu 0xfffe
	s_or_b32 exec_lo, exec_lo, s20
	v_and_b32_e32 v70, 0xff, v32
	v_mov_b32_e32 v8, v32
	s_mov_b32 s20, exec_lo
	s_delay_alu instid0(VALU_DEP_2)
	v_cmpx_ne_u16_e32 0, v70
	s_cbranch_execz .LBB294_1403
; %bb.1396:                             ;   in Loop: Header=BB294_16 Depth=1
	v_mov_b32_e32 v93, 0x8000
	s_mov_b32 s21, exec_lo
	v_cmpx_ne_u16_e32 0x80, v70
	s_cbranch_execz .LBB294_1402
; %bb.1397:                             ;   in Loop: Header=BB294_16 Depth=1
	v_and_b32_e32 v84, 0x7f, v32
	v_mov_b32_e32 v93, 0x7c01
	s_mov_b32 s22, exec_lo
	s_delay_alu instid0(VALU_DEP_2)
	v_cmpx_ne_u32_e32 0x7f, v84
	s_cbranch_execz .LBB294_1401
; %bb.1398:                             ;   in Loop: Header=BB294_16 Depth=1
	v_and_b32_e32 v70, 7, v32
	v_lshrrev_b32_e32 v80, 3, v84
	s_mov_b32 s23, exec_lo
	v_cmpx_gt_u32_e32 8, v84
; %bb.1399:                             ;   in Loop: Header=BB294_16 Depth=1
	s_delay_alu instid0(VALU_DEP_3) | instskip(NEXT) | instid1(VALU_DEP_1)
	v_clz_i32_u32_e32 v70, v70
	v_min_u32_e32 v70, 32, v70
	s_delay_alu instid0(VALU_DEP_1) | instskip(NEXT) | instid1(VALU_DEP_1)
	v_subrev_nc_u32_e32 v80, 28, v70
	v_lshlrev_b64_e32 v[84:85], v80, v[8:9]
	v_sub_nc_u32_e32 v80, 29, v70
	s_delay_alu instid0(VALU_DEP_2)
	v_and_b32_e32 v70, 7, v84
; %bb.1400:                             ;   in Loop: Header=BB294_16 Depth=1
	s_wait_alu 0xfffe
	s_or_b32 exec_lo, exec_lo, s23
	v_lshlrev_b32_e32 v84, 8, v32
	v_lshl_add_u32 v80, v80, 10, 0x2000
	v_lshlrev_b32_e32 v70, 7, v70
	s_delay_alu instid0(VALU_DEP_3) | instskip(NEXT) | instid1(VALU_DEP_3)
	v_and_b32_e32 v84, 0x8000, v84
	v_and_b32_e32 v80, 0xfc00, v80
	s_delay_alu instid0(VALU_DEP_1)
	v_or3_b32 v93, v84, v80, v70
.LBB294_1401:                           ;   in Loop: Header=BB294_16 Depth=1
	s_wait_alu 0xfffe
	s_or_b32 exec_lo, exec_lo, s22
.LBB294_1402:                           ;   in Loop: Header=BB294_16 Depth=1
	s_wait_alu 0xfffe
	s_or_b32 exec_lo, exec_lo, s21
.LBB294_1403:                           ;   in Loop: Header=BB294_16 Depth=1
	s_wait_alu 0xfffe
	s_or_b32 exec_lo, exec_lo, s20
	v_lshrrev_b16 v8, 8, v8
	v_dual_mov_b32 v85, 0 :: v_dual_mov_b32 v88, 0
	s_mov_b32 s20, exec_lo
	s_delay_alu instid0(VALU_DEP_2)
	v_cmpx_ne_u16_e32 0, v8
	s_cbranch_execz .LBB294_1411
; %bb.1404:                             ;   in Loop: Header=BB294_16 Depth=1
	v_bfrev_b32_e32 v88, 1
	s_mov_b32 s21, exec_lo
	v_cmpx_ne_u16_e32 0x80, v8
	s_cbranch_execz .LBB294_1410
; %bb.1405:                             ;   in Loop: Header=BB294_16 Depth=1
	v_and_b32_e32 v70, 0xffff, v8
	v_mov_b32_e32 v88, 0x7c010000
	s_mov_b32 s22, exec_lo
	s_delay_alu instid0(VALU_DEP_2) | instskip(NEXT) | instid1(VALU_DEP_1)
	v_and_b32_e32 v100, 0x7f, v70
	v_cmpx_ne_u32_e32 0x7f, v100
	s_cbranch_execz .LBB294_1409
; %bb.1406:                             ;   in Loop: Header=BB294_16 Depth=1
	v_and_b32_e32 v80, 7, v70
	v_lshrrev_b32_e32 v84, 3, v100
	s_mov_b32 s23, exec_lo
	v_cmpx_gt_u32_e32 8, v100
; %bb.1407:                             ;   in Loop: Header=BB294_16 Depth=1
	s_delay_alu instid0(VALU_DEP_3) | instskip(NEXT) | instid1(VALU_DEP_1)
	v_clz_i32_u32_e32 v80, v80
	v_min_u32_e32 v80, 32, v80
	s_delay_alu instid0(VALU_DEP_1) | instskip(NEXT) | instid1(VALU_DEP_1)
	v_subrev_nc_u32_e32 v84, 28, v80
	v_lshlrev_b64_e32 v[100:101], v84, v[8:9]
	v_sub_nc_u32_e32 v84, 29, v80
	s_delay_alu instid0(VALU_DEP_2)
	v_and_b32_e32 v80, 7, v100
; %bb.1408:                             ;   in Loop: Header=BB294_16 Depth=1
	s_wait_alu 0xfffe
	s_or_b32 exec_lo, exec_lo, s23
	v_lshlrev_b32_e32 v8, 8, v70
	v_lshl_add_u32 v70, v84, 10, 0x2000
	s_delay_alu instid0(VALU_DEP_1) | instskip(SKIP_1) | instid1(VALU_DEP_1)
	v_and_or_b32 v8, 0x8000, v8, v70
	v_lshlrev_b32_e32 v70, 23, v80
	v_lshl_or_b32 v88, v8, 16, v70
.LBB294_1409:                           ;   in Loop: Header=BB294_16 Depth=1
	s_wait_alu 0xfffe
	s_or_b32 exec_lo, exec_lo, s22
.LBB294_1410:                           ;   in Loop: Header=BB294_16 Depth=1
	s_wait_alu 0xfffe
	s_or_b32 exec_lo, exec_lo, s21
.LBB294_1411:                           ;   in Loop: Header=BB294_16 Depth=1
	s_wait_alu 0xfffe
	s_or_b32 exec_lo, exec_lo, s20
	v_lshrrev_b32_e32 v8, 16, v32
	s_mov_b32 s20, exec_lo
	s_delay_alu instid0(VALU_DEP_1) | instskip(NEXT) | instid1(VALU_DEP_1)
	v_and_b32_e32 v70, 0xff, v8
	v_cmpx_ne_u16_e32 0, v70
	s_cbranch_execz .LBB294_1419
; %bb.1412:                             ;   in Loop: Header=BB294_16 Depth=1
	v_mov_b32_e32 v85, 0x8000
	s_mov_b32 s21, exec_lo
	v_cmpx_ne_u16_e32 0x80, v70
	s_cbranch_execz .LBB294_1418
; %bb.1413:                             ;   in Loop: Header=BB294_16 Depth=1
	v_bfe_u32 v84, v32, 16, 7
	v_mov_b32_e32 v85, 0x7c01
	s_mov_b32 s22, exec_lo
	s_delay_alu instid0(VALU_DEP_2)
	v_cmpx_ne_u32_e32 0x7f, v84
	s_cbranch_execz .LBB294_1417
; %bb.1414:                             ;   in Loop: Header=BB294_16 Depth=1
	v_and_b32_e32 v70, 7, v8
	v_lshrrev_b32_e32 v80, 3, v84
	s_mov_b32 s23, exec_lo
	v_cmpx_gt_u32_e32 8, v84
; %bb.1415:                             ;   in Loop: Header=BB294_16 Depth=1
	s_delay_alu instid0(VALU_DEP_3) | instskip(NEXT) | instid1(VALU_DEP_1)
	v_clz_i32_u32_e32 v70, v70
	v_min_u32_e32 v70, 32, v70
	s_delay_alu instid0(VALU_DEP_1) | instskip(NEXT) | instid1(VALU_DEP_1)
	v_subrev_nc_u32_e32 v80, 28, v70
	v_lshlrev_b64_e32 v[84:85], v80, v[8:9]
	v_sub_nc_u32_e32 v80, 29, v70
	s_delay_alu instid0(VALU_DEP_2)
	v_and_b32_e32 v70, 7, v84
; %bb.1416:                             ;   in Loop: Header=BB294_16 Depth=1
	s_wait_alu 0xfffe
	s_or_b32 exec_lo, exec_lo, s23
	v_lshlrev_b32_e32 v8, 8, v8
	v_lshl_add_u32 v80, v80, 10, 0x2000
	v_lshlrev_b32_e32 v70, 7, v70
	s_delay_alu instid0(VALU_DEP_3) | instskip(NEXT) | instid1(VALU_DEP_3)
	v_and_b32_e32 v8, 0x8000, v8
	v_and_b32_e32 v80, 0xfc00, v80
	s_delay_alu instid0(VALU_DEP_1)
	v_or3_b32 v85, v8, v80, v70
.LBB294_1417:                           ;   in Loop: Header=BB294_16 Depth=1
	s_wait_alu 0xfffe
	s_or_b32 exec_lo, exec_lo, s22
.LBB294_1418:                           ;   in Loop: Header=BB294_16 Depth=1
	s_wait_alu 0xfffe
	s_or_b32 exec_lo, exec_lo, s21
.LBB294_1419:                           ;   in Loop: Header=BB294_16 Depth=1
	s_wait_alu 0xfffe
	s_or_b32 exec_lo, exec_lo, s20
	v_dual_mov_b32 v105, 0 :: v_dual_mov_b32 v90, 0
	s_mov_b32 s20, exec_lo
	v_cmpx_lt_u64_e64 s[10:11], v[31:32]
	s_cbranch_execz .LBB294_1427
; %bb.1420:                             ;   in Loop: Header=BB294_16 Depth=1
	v_lshrrev_b32_e32 v8, 24, v32
	v_bfrev_b32_e32 v90, 1
	s_mov_b32 s21, exec_lo
	s_delay_alu instid0(VALU_DEP_2)
	v_cmpx_ne_u32_e32 0x80, v8
	s_cbranch_execz .LBB294_1426
; %bb.1421:                             ;   in Loop: Header=BB294_16 Depth=1
	v_and_b32_e32 v70, 0x7f, v8
	v_mov_b32_e32 v90, 0x7c010000
	s_mov_b32 s22, exec_lo
	s_delay_alu instid0(VALU_DEP_2)
	v_cmpx_ne_u32_e32 0x7f, v70
	s_cbranch_execz .LBB294_1425
; %bb.1422:                             ;   in Loop: Header=BB294_16 Depth=1
	v_and_b32_e32 v31, 7, v8
	v_lshrrev_b32_e32 v32, 3, v70
	s_mov_b32 s23, exec_lo
	v_cmpx_gt_u32_e32 8, v70
; %bb.1423:                             ;   in Loop: Header=BB294_16 Depth=1
	s_delay_alu instid0(VALU_DEP_3) | instskip(NEXT) | instid1(VALU_DEP_1)
	v_clz_i32_u32_e32 v31, v31
	v_min_u32_e32 v70, 32, v31
	s_delay_alu instid0(VALU_DEP_1) | instskip(NEXT) | instid1(VALU_DEP_1)
	v_subrev_nc_u32_e32 v31, 28, v70
	v_lshlrev_b64_e32 v[31:32], v31, v[8:9]
	v_sub_nc_u32_e32 v32, 29, v70
	s_delay_alu instid0(VALU_DEP_2)
	v_and_b32_e32 v31, 7, v31
; %bb.1424:                             ;   in Loop: Header=BB294_16 Depth=1
	s_wait_alu 0xfffe
	s_or_b32 exec_lo, exec_lo, s23
	v_lshlrev_b32_e32 v8, 8, v8
	v_lshl_add_u32 v32, v32, 10, 0x2000
	v_lshlrev_b32_e32 v31, 23, v31
	s_delay_alu instid0(VALU_DEP_2) | instskip(NEXT) | instid1(VALU_DEP_1)
	v_and_or_b32 v8, 0x8000, v8, v32
	v_lshl_or_b32 v90, v8, 16, v31
.LBB294_1425:                           ;   in Loop: Header=BB294_16 Depth=1
	s_wait_alu 0xfffe
	s_or_b32 exec_lo, exec_lo, s22
.LBB294_1426:                           ;   in Loop: Header=BB294_16 Depth=1
	s_wait_alu 0xfffe
	s_or_b32 exec_lo, exec_lo, s21
.LBB294_1427:                           ;   in Loop: Header=BB294_16 Depth=1
	s_wait_alu 0xfffe
	s_or_b32 exec_lo, exec_lo, s20
	flat_load_b64 v[31:32], v[28:29] offset:5632
	s_mov_b32 s20, exec_lo
	s_wait_loadcnt_dscnt 0x0
	v_and_b32_e32 v8, 0xff, v31
	s_delay_alu instid0(VALU_DEP_1)
	v_cmpx_ne_u16_e32 0, v8
	s_cbranch_execz .LBB294_1435
; %bb.1428:                             ;   in Loop: Header=BB294_16 Depth=1
	v_mov_b32_e32 v105, 0x8000
	s_mov_b32 s21, exec_lo
	v_cmpx_ne_u16_e32 0x80, v8
	s_cbranch_execz .LBB294_1434
; %bb.1429:                             ;   in Loop: Header=BB294_16 Depth=1
	v_and_b32_e32 v80, 0x7f, v31
	v_mov_b32_e32 v105, 0x7c01
	s_mov_b32 s22, exec_lo
	s_delay_alu instid0(VALU_DEP_2)
	v_cmpx_ne_u32_e32 0x7f, v80
	s_cbranch_execz .LBB294_1433
; %bb.1430:                             ;   in Loop: Header=BB294_16 Depth=1
	v_and_b32_e32 v8, 7, v31
	v_lshrrev_b32_e32 v70, 3, v80
	s_mov_b32 s23, exec_lo
	v_cmpx_gt_u32_e32 8, v80
; %bb.1431:                             ;   in Loop: Header=BB294_16 Depth=1
	s_delay_alu instid0(VALU_DEP_3) | instskip(NEXT) | instid1(VALU_DEP_1)
	v_clz_i32_u32_e32 v8, v8
	v_min_u32_e32 v8, 32, v8
	s_delay_alu instid0(VALU_DEP_1) | instskip(NEXT) | instid1(VALU_DEP_1)
	v_subrev_nc_u32_e32 v70, 28, v8
	v_lshlrev_b64_e32 v[100:101], v70, v[31:32]
	v_sub_nc_u32_e32 v70, 29, v8
	s_delay_alu instid0(VALU_DEP_2)
	v_and_b32_e32 v8, 7, v100
; %bb.1432:                             ;   in Loop: Header=BB294_16 Depth=1
	s_wait_alu 0xfffe
	s_or_b32 exec_lo, exec_lo, s23
	v_lshlrev_b32_e32 v80, 8, v31
	v_lshl_add_u32 v70, v70, 10, 0x2000
	v_lshlrev_b32_e32 v8, 7, v8
	s_delay_alu instid0(VALU_DEP_3) | instskip(NEXT) | instid1(VALU_DEP_3)
	v_and_b32_e32 v80, 0x8000, v80
	v_and_b32_e32 v70, 0xfc00, v70
	s_delay_alu instid0(VALU_DEP_1)
	v_or3_b32 v105, v80, v70, v8
.LBB294_1433:                           ;   in Loop: Header=BB294_16 Depth=1
	s_wait_alu 0xfffe
	s_or_b32 exec_lo, exec_lo, s22
.LBB294_1434:                           ;   in Loop: Header=BB294_16 Depth=1
	s_wait_alu 0xfffe
	s_or_b32 exec_lo, exec_lo, s21
.LBB294_1435:                           ;   in Loop: Header=BB294_16 Depth=1
	s_wait_alu 0xfffe
	s_or_b32 exec_lo, exec_lo, s20
	v_lshrrev_b16 v8, 8, v31
	v_dual_mov_b32 v107, 0 :: v_dual_mov_b32 v106, 0
	s_mov_b32 s20, exec_lo
	s_delay_alu instid0(VALU_DEP_2)
	v_cmpx_ne_u16_e32 0, v8
	s_cbranch_execz .LBB294_1443
; %bb.1436:                             ;   in Loop: Header=BB294_16 Depth=1
	v_bfrev_b32_e32 v106, 1
	s_mov_b32 s21, exec_lo
	v_cmpx_ne_u16_e32 0x80, v8
	s_cbranch_execz .LBB294_1442
; %bb.1437:                             ;   in Loop: Header=BB294_16 Depth=1
	v_and_b32_e32 v70, 0xffff, v8
	v_mov_b32_e32 v106, 0x7c010000
	s_mov_b32 s22, exec_lo
	s_delay_alu instid0(VALU_DEP_2) | instskip(NEXT) | instid1(VALU_DEP_1)
	v_and_b32_e32 v100, 0x7f, v70
	v_cmpx_ne_u32_e32 0x7f, v100
	s_cbranch_execz .LBB294_1441
; %bb.1438:                             ;   in Loop: Header=BB294_16 Depth=1
	v_and_b32_e32 v80, 7, v70
	v_lshrrev_b32_e32 v84, 3, v100
	s_mov_b32 s23, exec_lo
	v_cmpx_gt_u32_e32 8, v100
; %bb.1439:                             ;   in Loop: Header=BB294_16 Depth=1
	s_delay_alu instid0(VALU_DEP_3) | instskip(NEXT) | instid1(VALU_DEP_1)
	v_clz_i32_u32_e32 v80, v80
	v_min_u32_e32 v80, 32, v80
	s_delay_alu instid0(VALU_DEP_1) | instskip(NEXT) | instid1(VALU_DEP_1)
	v_subrev_nc_u32_e32 v84, 28, v80
	v_lshlrev_b64_e32 v[100:101], v84, v[8:9]
	v_sub_nc_u32_e32 v84, 29, v80
	s_delay_alu instid0(VALU_DEP_2)
	v_and_b32_e32 v80, 7, v100
; %bb.1440:                             ;   in Loop: Header=BB294_16 Depth=1
	s_wait_alu 0xfffe
	s_or_b32 exec_lo, exec_lo, s23
	v_lshlrev_b32_e32 v8, 8, v70
	v_lshl_add_u32 v70, v84, 10, 0x2000
	s_delay_alu instid0(VALU_DEP_1) | instskip(SKIP_1) | instid1(VALU_DEP_1)
	v_and_or_b32 v8, 0x8000, v8, v70
	v_lshlrev_b32_e32 v70, 23, v80
	v_lshl_or_b32 v106, v8, 16, v70
.LBB294_1441:                           ;   in Loop: Header=BB294_16 Depth=1
	s_wait_alu 0xfffe
	s_or_b32 exec_lo, exec_lo, s22
.LBB294_1442:                           ;   in Loop: Header=BB294_16 Depth=1
	s_wait_alu 0xfffe
	s_or_b32 exec_lo, exec_lo, s21
.LBB294_1443:                           ;   in Loop: Header=BB294_16 Depth=1
	s_wait_alu 0xfffe
	s_or_b32 exec_lo, exec_lo, s20
	v_lshrrev_b32_e32 v8, 16, v31
	s_mov_b32 s20, exec_lo
	s_delay_alu instid0(VALU_DEP_1) | instskip(NEXT) | instid1(VALU_DEP_1)
	v_and_b32_e32 v70, 0xff, v8
	v_cmpx_ne_u16_e32 0, v70
	s_cbranch_execz .LBB294_1451
; %bb.1444:                             ;   in Loop: Header=BB294_16 Depth=1
	v_mov_b32_e32 v107, 0x8000
	s_mov_b32 s21, exec_lo
	v_cmpx_ne_u16_e32 0x80, v70
	s_cbranch_execz .LBB294_1450
; %bb.1445:                             ;   in Loop: Header=BB294_16 Depth=1
	v_bfe_u32 v84, v31, 16, 7
	v_mov_b32_e32 v107, 0x7c01
	s_mov_b32 s22, exec_lo
	s_delay_alu instid0(VALU_DEP_2)
	v_cmpx_ne_u32_e32 0x7f, v84
	s_cbranch_execz .LBB294_1449
; %bb.1446:                             ;   in Loop: Header=BB294_16 Depth=1
	v_and_b32_e32 v70, 7, v8
	v_lshrrev_b32_e32 v80, 3, v84
	s_mov_b32 s23, exec_lo
	v_cmpx_gt_u32_e32 8, v84
; %bb.1447:                             ;   in Loop: Header=BB294_16 Depth=1
	s_delay_alu instid0(VALU_DEP_3) | instskip(NEXT) | instid1(VALU_DEP_1)
	v_clz_i32_u32_e32 v70, v70
	v_min_u32_e32 v70, 32, v70
	s_delay_alu instid0(VALU_DEP_1) | instskip(NEXT) | instid1(VALU_DEP_1)
	v_subrev_nc_u32_e32 v80, 28, v70
	v_lshlrev_b64_e32 v[100:101], v80, v[8:9]
	v_sub_nc_u32_e32 v80, 29, v70
	s_delay_alu instid0(VALU_DEP_2)
	v_and_b32_e32 v70, 7, v100
; %bb.1448:                             ;   in Loop: Header=BB294_16 Depth=1
	s_wait_alu 0xfffe
	s_or_b32 exec_lo, exec_lo, s23
	v_lshlrev_b32_e32 v8, 8, v8
	v_lshl_add_u32 v80, v80, 10, 0x2000
	v_lshlrev_b32_e32 v70, 7, v70
	s_delay_alu instid0(VALU_DEP_3) | instskip(NEXT) | instid1(VALU_DEP_3)
	v_and_b32_e32 v8, 0x8000, v8
	v_and_b32_e32 v80, 0xfc00, v80
	s_delay_alu instid0(VALU_DEP_1)
	v_or3_b32 v107, v8, v80, v70
.LBB294_1449:                           ;   in Loop: Header=BB294_16 Depth=1
	s_wait_alu 0xfffe
	s_or_b32 exec_lo, exec_lo, s22
.LBB294_1450:                           ;   in Loop: Header=BB294_16 Depth=1
	s_wait_alu 0xfffe
	s_or_b32 exec_lo, exec_lo, s21
.LBB294_1451:                           ;   in Loop: Header=BB294_16 Depth=1
	s_wait_alu 0xfffe
	s_or_b32 exec_lo, exec_lo, s20
	v_dual_mov_b32 v108, 0 :: v_dual_mov_b32 v109, 0
	s_mov_b32 s20, exec_lo
	v_cmpx_lt_u32_e32 0xffffff, v31
	s_cbranch_execz .LBB294_1459
; %bb.1452:                             ;   in Loop: Header=BB294_16 Depth=1
	v_lshrrev_b32_e32 v8, 24, v31
	v_bfrev_b32_e32 v109, 1
	s_mov_b32 s21, exec_lo
	s_delay_alu instid0(VALU_DEP_2)
	v_cmpx_ne_u32_e32 0x80, v8
	s_cbranch_execz .LBB294_1458
; %bb.1453:                             ;   in Loop: Header=BB294_16 Depth=1
	v_and_b32_e32 v84, 0x7f, v8
	v_mov_b32_e32 v109, 0x7c010000
	s_mov_b32 s22, exec_lo
	s_delay_alu instid0(VALU_DEP_2)
	v_cmpx_ne_u32_e32 0x7f, v84
	s_cbranch_execz .LBB294_1457
; %bb.1454:                             ;   in Loop: Header=BB294_16 Depth=1
	v_and_b32_e32 v70, 7, v8
	v_lshrrev_b32_e32 v80, 3, v84
	s_mov_b32 s23, exec_lo
	v_cmpx_gt_u32_e32 8, v84
; %bb.1455:                             ;   in Loop: Header=BB294_16 Depth=1
	s_delay_alu instid0(VALU_DEP_3) | instskip(NEXT) | instid1(VALU_DEP_1)
	v_clz_i32_u32_e32 v70, v70
	v_min_u32_e32 v70, 32, v70
	s_delay_alu instid0(VALU_DEP_1) | instskip(NEXT) | instid1(VALU_DEP_1)
	v_subrev_nc_u32_e32 v80, 28, v70
	v_lshlrev_b64_e32 v[100:101], v80, v[8:9]
	v_sub_nc_u32_e32 v80, 29, v70
	s_delay_alu instid0(VALU_DEP_2)
	v_and_b32_e32 v70, 7, v100
; %bb.1456:                             ;   in Loop: Header=BB294_16 Depth=1
	s_wait_alu 0xfffe
	s_or_b32 exec_lo, exec_lo, s23
	v_lshlrev_b32_e32 v8, 8, v8
	v_lshl_add_u32 v80, v80, 10, 0x2000
	v_lshlrev_b32_e32 v70, 23, v70
	s_delay_alu instid0(VALU_DEP_2) | instskip(NEXT) | instid1(VALU_DEP_1)
	v_and_or_b32 v8, 0x8000, v8, v80
	v_lshl_or_b32 v109, v8, 16, v70
.LBB294_1457:                           ;   in Loop: Header=BB294_16 Depth=1
	s_wait_alu 0xfffe
	s_or_b32 exec_lo, exec_lo, s22
.LBB294_1458:                           ;   in Loop: Header=BB294_16 Depth=1
	s_wait_alu 0xfffe
	s_or_b32 exec_lo, exec_lo, s21
.LBB294_1459:                           ;   in Loop: Header=BB294_16 Depth=1
	s_wait_alu 0xfffe
	s_or_b32 exec_lo, exec_lo, s20
	v_and_b32_e32 v70, 0xff, v32
	v_mov_b32_e32 v8, v32
	s_mov_b32 s20, exec_lo
	s_delay_alu instid0(VALU_DEP_2)
	v_cmpx_ne_u16_e32 0, v70
	s_cbranch_execz .LBB294_1467
; %bb.1460:                             ;   in Loop: Header=BB294_16 Depth=1
	v_mov_b32_e32 v108, 0x8000
	s_mov_b32 s21, exec_lo
	v_cmpx_ne_u16_e32 0x80, v70
	s_cbranch_execz .LBB294_1466
; %bb.1461:                             ;   in Loop: Header=BB294_16 Depth=1
	v_and_b32_e32 v84, 0x7f, v32
	v_mov_b32_e32 v108, 0x7c01
	s_mov_b32 s22, exec_lo
	s_delay_alu instid0(VALU_DEP_2)
	v_cmpx_ne_u32_e32 0x7f, v84
	s_cbranch_execz .LBB294_1465
; %bb.1462:                             ;   in Loop: Header=BB294_16 Depth=1
	v_and_b32_e32 v70, 7, v32
	v_lshrrev_b32_e32 v80, 3, v84
	s_mov_b32 s23, exec_lo
	v_cmpx_gt_u32_e32 8, v84
; %bb.1463:                             ;   in Loop: Header=BB294_16 Depth=1
	s_delay_alu instid0(VALU_DEP_3) | instskip(NEXT) | instid1(VALU_DEP_1)
	v_clz_i32_u32_e32 v70, v70
	v_min_u32_e32 v70, 32, v70
	s_delay_alu instid0(VALU_DEP_1) | instskip(NEXT) | instid1(VALU_DEP_1)
	v_subrev_nc_u32_e32 v80, 28, v70
	v_lshlrev_b64_e32 v[100:101], v80, v[8:9]
	v_sub_nc_u32_e32 v80, 29, v70
	s_delay_alu instid0(VALU_DEP_2)
	v_and_b32_e32 v70, 7, v100
; %bb.1464:                             ;   in Loop: Header=BB294_16 Depth=1
	s_wait_alu 0xfffe
	s_or_b32 exec_lo, exec_lo, s23
	v_lshlrev_b32_e32 v84, 8, v32
	v_lshl_add_u32 v80, v80, 10, 0x2000
	v_lshlrev_b32_e32 v70, 7, v70
	s_delay_alu instid0(VALU_DEP_3) | instskip(NEXT) | instid1(VALU_DEP_3)
	v_and_b32_e32 v84, 0x8000, v84
	v_and_b32_e32 v80, 0xfc00, v80
	s_delay_alu instid0(VALU_DEP_1)
	v_or3_b32 v108, v84, v80, v70
.LBB294_1465:                           ;   in Loop: Header=BB294_16 Depth=1
	s_wait_alu 0xfffe
	s_or_b32 exec_lo, exec_lo, s22
.LBB294_1466:                           ;   in Loop: Header=BB294_16 Depth=1
	s_wait_alu 0xfffe
	s_or_b32 exec_lo, exec_lo, s21
.LBB294_1467:                           ;   in Loop: Header=BB294_16 Depth=1
	s_wait_alu 0xfffe
	s_or_b32 exec_lo, exec_lo, s20
	v_lshrrev_b16 v8, 8, v8
	v_dual_mov_b32 v110, 0 :: v_dual_mov_b32 v143, 0
	s_mov_b32 s20, exec_lo
	s_delay_alu instid0(VALU_DEP_2)
	v_cmpx_ne_u16_e32 0, v8
	s_cbranch_execz .LBB294_1475
; %bb.1468:                             ;   in Loop: Header=BB294_16 Depth=1
	v_bfrev_b32_e32 v143, 1
	s_mov_b32 s21, exec_lo
	v_cmpx_ne_u16_e32 0x80, v8
	s_cbranch_execz .LBB294_1474
; %bb.1469:                             ;   in Loop: Header=BB294_16 Depth=1
	v_and_b32_e32 v70, 0xffff, v8
	v_mov_b32_e32 v143, 0x7c010000
	s_mov_b32 s22, exec_lo
	s_delay_alu instid0(VALU_DEP_2) | instskip(NEXT) | instid1(VALU_DEP_1)
	v_and_b32_e32 v100, 0x7f, v70
	v_cmpx_ne_u32_e32 0x7f, v100
	s_cbranch_execz .LBB294_1473
; %bb.1470:                             ;   in Loop: Header=BB294_16 Depth=1
	v_and_b32_e32 v80, 7, v70
	v_lshrrev_b32_e32 v84, 3, v100
	s_mov_b32 s23, exec_lo
	v_cmpx_gt_u32_e32 8, v100
; %bb.1471:                             ;   in Loop: Header=BB294_16 Depth=1
	s_delay_alu instid0(VALU_DEP_3) | instskip(NEXT) | instid1(VALU_DEP_1)
	v_clz_i32_u32_e32 v80, v80
	v_min_u32_e32 v80, 32, v80
	s_delay_alu instid0(VALU_DEP_1) | instskip(NEXT) | instid1(VALU_DEP_1)
	v_subrev_nc_u32_e32 v84, 28, v80
	v_lshlrev_b64_e32 v[100:101], v84, v[8:9]
	v_sub_nc_u32_e32 v84, 29, v80
	s_delay_alu instid0(VALU_DEP_2)
	v_and_b32_e32 v80, 7, v100
; %bb.1472:                             ;   in Loop: Header=BB294_16 Depth=1
	s_wait_alu 0xfffe
	s_or_b32 exec_lo, exec_lo, s23
	v_lshlrev_b32_e32 v8, 8, v70
	v_lshl_add_u32 v70, v84, 10, 0x2000
	s_delay_alu instid0(VALU_DEP_1) | instskip(SKIP_1) | instid1(VALU_DEP_1)
	v_and_or_b32 v8, 0x8000, v8, v70
	v_lshlrev_b32_e32 v70, 23, v80
	v_lshl_or_b32 v143, v8, 16, v70
.LBB294_1473:                           ;   in Loop: Header=BB294_16 Depth=1
	s_wait_alu 0xfffe
	s_or_b32 exec_lo, exec_lo, s22
.LBB294_1474:                           ;   in Loop: Header=BB294_16 Depth=1
	s_wait_alu 0xfffe
	s_or_b32 exec_lo, exec_lo, s21
.LBB294_1475:                           ;   in Loop: Header=BB294_16 Depth=1
	s_wait_alu 0xfffe
	s_or_b32 exec_lo, exec_lo, s20
	v_lshrrev_b32_e32 v8, 16, v32
	s_mov_b32 s20, exec_lo
	s_delay_alu instid0(VALU_DEP_1) | instskip(NEXT) | instid1(VALU_DEP_1)
	v_and_b32_e32 v70, 0xff, v8
	v_cmpx_ne_u16_e32 0, v70
	s_cbranch_execz .LBB294_1483
; %bb.1476:                             ;   in Loop: Header=BB294_16 Depth=1
	v_mov_b32_e32 v110, 0x8000
	s_mov_b32 s21, exec_lo
	v_cmpx_ne_u16_e32 0x80, v70
	s_cbranch_execz .LBB294_1482
; %bb.1477:                             ;   in Loop: Header=BB294_16 Depth=1
	v_bfe_u32 v84, v32, 16, 7
	v_mov_b32_e32 v110, 0x7c01
	s_mov_b32 s22, exec_lo
	s_delay_alu instid0(VALU_DEP_2)
	v_cmpx_ne_u32_e32 0x7f, v84
	s_cbranch_execz .LBB294_1481
; %bb.1478:                             ;   in Loop: Header=BB294_16 Depth=1
	v_and_b32_e32 v70, 7, v8
	v_lshrrev_b32_e32 v80, 3, v84
	s_mov_b32 s23, exec_lo
	v_cmpx_gt_u32_e32 8, v84
; %bb.1479:                             ;   in Loop: Header=BB294_16 Depth=1
	s_delay_alu instid0(VALU_DEP_3) | instskip(NEXT) | instid1(VALU_DEP_1)
	v_clz_i32_u32_e32 v70, v70
	v_min_u32_e32 v70, 32, v70
	s_delay_alu instid0(VALU_DEP_1) | instskip(NEXT) | instid1(VALU_DEP_1)
	v_subrev_nc_u32_e32 v80, 28, v70
	v_lshlrev_b64_e32 v[100:101], v80, v[8:9]
	v_sub_nc_u32_e32 v80, 29, v70
	s_delay_alu instid0(VALU_DEP_2)
	v_and_b32_e32 v70, 7, v100
; %bb.1480:                             ;   in Loop: Header=BB294_16 Depth=1
	s_wait_alu 0xfffe
	s_or_b32 exec_lo, exec_lo, s23
	v_lshlrev_b32_e32 v8, 8, v8
	v_lshl_add_u32 v80, v80, 10, 0x2000
	v_lshlrev_b32_e32 v70, 7, v70
	s_delay_alu instid0(VALU_DEP_3) | instskip(NEXT) | instid1(VALU_DEP_3)
	v_and_b32_e32 v8, 0x8000, v8
	v_and_b32_e32 v80, 0xfc00, v80
	s_delay_alu instid0(VALU_DEP_1)
	v_or3_b32 v110, v8, v80, v70
.LBB294_1481:                           ;   in Loop: Header=BB294_16 Depth=1
	s_wait_alu 0xfffe
	s_or_b32 exec_lo, exec_lo, s22
.LBB294_1482:                           ;   in Loop: Header=BB294_16 Depth=1
	s_wait_alu 0xfffe
	s_or_b32 exec_lo, exec_lo, s21
.LBB294_1483:                           ;   in Loop: Header=BB294_16 Depth=1
	s_wait_alu 0xfffe
	s_or_b32 exec_lo, exec_lo, s20
	v_cmp_lt_u64_e64 s1, s[10:11], v[31:32]
	v_dual_mov_b32 v31, 0 :: v_dual_mov_b32 v172, 0
	s_and_saveexec_b32 s20, s1
	s_cbranch_execz .LBB294_1491
; %bb.1484:                             ;   in Loop: Header=BB294_16 Depth=1
	v_lshrrev_b32_e32 v8, 24, v32
	v_bfrev_b32_e32 v172, 1
	s_mov_b32 s21, exec_lo
	s_delay_alu instid0(VALU_DEP_2)
	v_cmpx_ne_u32_e32 0x80, v8
	s_cbranch_execz .LBB294_1490
; %bb.1485:                             ;   in Loop: Header=BB294_16 Depth=1
	v_and_b32_e32 v80, 0x7f, v8
	v_mov_b32_e32 v172, 0x7c010000
	s_mov_b32 s22, exec_lo
	s_delay_alu instid0(VALU_DEP_2)
	v_cmpx_ne_u32_e32 0x7f, v80
	s_cbranch_execz .LBB294_1489
; %bb.1486:                             ;   in Loop: Header=BB294_16 Depth=1
	v_and_b32_e32 v32, 7, v8
	v_lshrrev_b32_e32 v70, 3, v80
	s_mov_b32 s23, exec_lo
	v_cmpx_gt_u32_e32 8, v80
; %bb.1487:                             ;   in Loop: Header=BB294_16 Depth=1
	s_delay_alu instid0(VALU_DEP_3) | instskip(NEXT) | instid1(VALU_DEP_1)
	v_clz_i32_u32_e32 v32, v32
	v_min_u32_e32 v32, 32, v32
	s_delay_alu instid0(VALU_DEP_1) | instskip(NEXT) | instid1(VALU_DEP_1)
	v_subrev_nc_u32_e32 v70, 28, v32
	v_lshlrev_b64_e32 v[100:101], v70, v[8:9]
	v_sub_nc_u32_e32 v70, 29, v32
	s_delay_alu instid0(VALU_DEP_2)
	v_and_b32_e32 v32, 7, v100
; %bb.1488:                             ;   in Loop: Header=BB294_16 Depth=1
	s_wait_alu 0xfffe
	s_or_b32 exec_lo, exec_lo, s23
	v_lshlrev_b32_e32 v8, 8, v8
	v_lshl_add_u32 v70, v70, 10, 0x2000
	v_lshlrev_b32_e32 v32, 23, v32
	s_delay_alu instid0(VALU_DEP_2) | instskip(NEXT) | instid1(VALU_DEP_1)
	v_and_or_b32 v8, 0x8000, v8, v70
	v_lshl_or_b32 v172, v8, 16, v32
.LBB294_1489:                           ;   in Loop: Header=BB294_16 Depth=1
	s_wait_alu 0xfffe
	s_or_b32 exec_lo, exec_lo, s22
.LBB294_1490:                           ;   in Loop: Header=BB294_16 Depth=1
	s_wait_alu 0xfffe
	s_or_b32 exec_lo, exec_lo, s21
.LBB294_1491:                           ;   in Loop: Header=BB294_16 Depth=1
	s_wait_alu 0xfffe
	s_or_b32 exec_lo, exec_lo, s20
	flat_load_b64 v[28:29], v[28:29] offset:5640
	s_mov_b32 s20, exec_lo
	s_wait_loadcnt_dscnt 0x0
	v_and_b32_e32 v8, 0xff, v28
	s_delay_alu instid0(VALU_DEP_1)
	v_cmpx_ne_u16_e32 0, v8
	s_cbranch_execz .LBB294_1499
; %bb.1492:                             ;   in Loop: Header=BB294_16 Depth=1
	v_mov_b32_e32 v31, 0x8000
	s_mov_b32 s21, exec_lo
	v_cmpx_ne_u16_e32 0x80, v8
	s_cbranch_execz .LBB294_1498
; %bb.1493:                             ;   in Loop: Header=BB294_16 Depth=1
	v_and_b32_e32 v32, 0x7f, v28
	v_mov_b32_e32 v31, 0x7c01
	s_mov_b32 s22, exec_lo
	s_delay_alu instid0(VALU_DEP_2)
	v_cmpx_ne_u32_e32 0x7f, v32
	s_cbranch_execz .LBB294_1497
; %bb.1494:                             ;   in Loop: Header=BB294_16 Depth=1
	v_and_b32_e32 v8, 7, v28
	v_lshrrev_b32_e32 v31, 3, v32
	s_mov_b32 s23, exec_lo
	v_cmpx_gt_u32_e32 8, v32
; %bb.1495:                             ;   in Loop: Header=BB294_16 Depth=1
	s_delay_alu instid0(VALU_DEP_3) | instskip(NEXT) | instid1(VALU_DEP_1)
	v_clz_i32_u32_e32 v8, v8
	v_min_u32_e32 v8, 32, v8
	s_delay_alu instid0(VALU_DEP_1) | instskip(NEXT) | instid1(VALU_DEP_1)
	v_subrev_nc_u32_e32 v31, 28, v8
	v_lshlrev_b64_e32 v[100:101], v31, v[28:29]
	v_sub_nc_u32_e32 v31, 29, v8
	s_delay_alu instid0(VALU_DEP_2)
	v_and_b32_e32 v8, 7, v100
; %bb.1496:                             ;   in Loop: Header=BB294_16 Depth=1
	s_wait_alu 0xfffe
	s_or_b32 exec_lo, exec_lo, s23
	v_lshlrev_b32_e32 v32, 8, v28
	v_lshl_add_u32 v31, v31, 10, 0x2000
	v_lshlrev_b32_e32 v8, 7, v8
	s_delay_alu instid0(VALU_DEP_3) | instskip(NEXT) | instid1(VALU_DEP_3)
	v_and_b32_e32 v32, 0x8000, v32
	v_and_b32_e32 v31, 0xfc00, v31
	s_delay_alu instid0(VALU_DEP_1)
	v_or3_b32 v31, v32, v31, v8
.LBB294_1497:                           ;   in Loop: Header=BB294_16 Depth=1
	s_wait_alu 0xfffe
	s_or_b32 exec_lo, exec_lo, s22
.LBB294_1498:                           ;   in Loop: Header=BB294_16 Depth=1
	s_wait_alu 0xfffe
	s_or_b32 exec_lo, exec_lo, s21
.LBB294_1499:                           ;   in Loop: Header=BB294_16 Depth=1
	s_wait_alu 0xfffe
	s_or_b32 exec_lo, exec_lo, s20
	v_lshrrev_b16 v8, 8, v28
	v_mov_b32_e32 v70, 0
	v_mov_b32_e32 v152, 0
	s_mov_b32 s20, exec_lo
	s_delay_alu instid0(VALU_DEP_3)
	v_cmpx_ne_u16_e32 0, v8
	s_cbranch_execz .LBB294_1507
; %bb.1500:                             ;   in Loop: Header=BB294_16 Depth=1
	v_bfrev_b32_e32 v152, 1
	s_mov_b32 s21, exec_lo
	v_cmpx_ne_u16_e32 0x80, v8
	s_cbranch_execz .LBB294_1506
; %bb.1501:                             ;   in Loop: Header=BB294_16 Depth=1
	v_and_b32_e32 v32, 0xffff, v8
	v_mov_b32_e32 v152, 0x7c010000
	s_mov_b32 s22, exec_lo
	s_delay_alu instid0(VALU_DEP_2) | instskip(NEXT) | instid1(VALU_DEP_1)
	v_and_b32_e32 v100, 0x7f, v32
	v_cmpx_ne_u32_e32 0x7f, v100
	s_cbranch_execz .LBB294_1505
; %bb.1502:                             ;   in Loop: Header=BB294_16 Depth=1
	v_and_b32_e32 v80, 7, v32
	v_lshrrev_b32_e32 v84, 3, v100
	s_mov_b32 s23, exec_lo
	v_cmpx_gt_u32_e32 8, v100
; %bb.1503:                             ;   in Loop: Header=BB294_16 Depth=1
	s_delay_alu instid0(VALU_DEP_3) | instskip(NEXT) | instid1(VALU_DEP_1)
	v_clz_i32_u32_e32 v80, v80
	v_min_u32_e32 v80, 32, v80
	s_delay_alu instid0(VALU_DEP_1) | instskip(NEXT) | instid1(VALU_DEP_1)
	v_subrev_nc_u32_e32 v84, 28, v80
	v_lshlrev_b64_e32 v[100:101], v84, v[8:9]
	v_sub_nc_u32_e32 v84, 29, v80
	s_delay_alu instid0(VALU_DEP_2)
	v_and_b32_e32 v80, 7, v100
; %bb.1504:                             ;   in Loop: Header=BB294_16 Depth=1
	s_wait_alu 0xfffe
	s_or_b32 exec_lo, exec_lo, s23
	v_lshlrev_b32_e32 v8, 8, v32
	v_lshl_add_u32 v32, v84, 10, 0x2000
	s_delay_alu instid0(VALU_DEP_1) | instskip(SKIP_1) | instid1(VALU_DEP_1)
	v_and_or_b32 v8, 0x8000, v8, v32
	v_lshlrev_b32_e32 v32, 23, v80
	v_lshl_or_b32 v152, v8, 16, v32
.LBB294_1505:                           ;   in Loop: Header=BB294_16 Depth=1
	s_wait_alu 0xfffe
	s_or_b32 exec_lo, exec_lo, s22
.LBB294_1506:                           ;   in Loop: Header=BB294_16 Depth=1
	s_wait_alu 0xfffe
	s_or_b32 exec_lo, exec_lo, s21
.LBB294_1507:                           ;   in Loop: Header=BB294_16 Depth=1
	s_wait_alu 0xfffe
	s_or_b32 exec_lo, exec_lo, s20
	v_lshrrev_b32_e32 v8, 16, v28
	s_mov_b32 s20, exec_lo
	s_delay_alu instid0(VALU_DEP_1) | instskip(NEXT) | instid1(VALU_DEP_1)
	v_and_b32_e32 v32, 0xff, v8
	v_cmpx_ne_u16_e32 0, v32
	s_cbranch_execz .LBB294_1515
; %bb.1508:                             ;   in Loop: Header=BB294_16 Depth=1
	v_mov_b32_e32 v70, 0x8000
	s_mov_b32 s21, exec_lo
	v_cmpx_ne_u16_e32 0x80, v32
	s_cbranch_execz .LBB294_1514
; %bb.1509:                             ;   in Loop: Header=BB294_16 Depth=1
	v_bfe_u32 v80, v28, 16, 7
	v_mov_b32_e32 v70, 0x7c01
	s_mov_b32 s22, exec_lo
	s_delay_alu instid0(VALU_DEP_2)
	v_cmpx_ne_u32_e32 0x7f, v80
	s_cbranch_execz .LBB294_1513
; %bb.1510:                             ;   in Loop: Header=BB294_16 Depth=1
	v_and_b32_e32 v32, 7, v8
	v_lshrrev_b32_e32 v70, 3, v80
	s_mov_b32 s23, exec_lo
	v_cmpx_gt_u32_e32 8, v80
; %bb.1511:                             ;   in Loop: Header=BB294_16 Depth=1
	s_delay_alu instid0(VALU_DEP_3) | instskip(NEXT) | instid1(VALU_DEP_1)
	v_clz_i32_u32_e32 v32, v32
	v_min_u32_e32 v32, 32, v32
	s_delay_alu instid0(VALU_DEP_1) | instskip(NEXT) | instid1(VALU_DEP_1)
	v_subrev_nc_u32_e32 v70, 28, v32
	v_lshlrev_b64_e32 v[100:101], v70, v[8:9]
	v_sub_nc_u32_e32 v70, 29, v32
	s_delay_alu instid0(VALU_DEP_2)
	v_and_b32_e32 v32, 7, v100
; %bb.1512:                             ;   in Loop: Header=BB294_16 Depth=1
	s_wait_alu 0xfffe
	s_or_b32 exec_lo, exec_lo, s23
	v_lshlrev_b32_e32 v8, 8, v8
	v_lshl_add_u32 v70, v70, 10, 0x2000
	v_lshlrev_b32_e32 v32, 7, v32
	s_delay_alu instid0(VALU_DEP_3) | instskip(NEXT) | instid1(VALU_DEP_3)
	v_and_b32_e32 v8, 0x8000, v8
	v_and_b32_e32 v70, 0xfc00, v70
	s_delay_alu instid0(VALU_DEP_1)
	v_or3_b32 v70, v8, v70, v32
.LBB294_1513:                           ;   in Loop: Header=BB294_16 Depth=1
	s_wait_alu 0xfffe
	s_or_b32 exec_lo, exec_lo, s22
.LBB294_1514:                           ;   in Loop: Header=BB294_16 Depth=1
	s_wait_alu 0xfffe
	s_or_b32 exec_lo, exec_lo, s21
.LBB294_1515:                           ;   in Loop: Header=BB294_16 Depth=1
	s_wait_alu 0xfffe
	s_or_b32 exec_lo, exec_lo, s20
	v_mov_b32_e32 v80, 0
	v_mov_b32_e32 v84, 0
	s_mov_b32 s20, exec_lo
	v_cmpx_lt_u32_e32 0xffffff, v28
	s_cbranch_execz .LBB294_1523
; %bb.1516:                             ;   in Loop: Header=BB294_16 Depth=1
	v_lshrrev_b32_e32 v8, 24, v28
	v_bfrev_b32_e32 v84, 1
	s_mov_b32 s21, exec_lo
	s_delay_alu instid0(VALU_DEP_2)
	v_cmpx_ne_u32_e32 0x80, v8
	s_cbranch_execz .LBB294_1522
; %bb.1517:                             ;   in Loop: Header=BB294_16 Depth=1
	v_and_b32_e32 v100, 0x7f, v8
	v_mov_b32_e32 v84, 0x7c010000
	s_mov_b32 s22, exec_lo
	s_delay_alu instid0(VALU_DEP_2)
	v_cmpx_ne_u32_e32 0x7f, v100
	s_cbranch_execz .LBB294_1521
; %bb.1518:                             ;   in Loop: Header=BB294_16 Depth=1
	v_and_b32_e32 v32, 7, v8
	v_lshrrev_b32_e32 v84, 3, v100
	s_mov_b32 s23, exec_lo
	v_cmpx_gt_u32_e32 8, v100
; %bb.1519:                             ;   in Loop: Header=BB294_16 Depth=1
	s_delay_alu instid0(VALU_DEP_3) | instskip(NEXT) | instid1(VALU_DEP_1)
	v_clz_i32_u32_e32 v32, v32
	v_min_u32_e32 v32, 32, v32
	s_delay_alu instid0(VALU_DEP_1) | instskip(NEXT) | instid1(VALU_DEP_1)
	v_subrev_nc_u32_e32 v84, 28, v32
	v_lshlrev_b64_e32 v[100:101], v84, v[8:9]
	v_sub_nc_u32_e32 v84, 29, v32
	s_delay_alu instid0(VALU_DEP_2)
	v_and_b32_e32 v32, 7, v100
; %bb.1520:                             ;   in Loop: Header=BB294_16 Depth=1
	s_wait_alu 0xfffe
	s_or_b32 exec_lo, exec_lo, s23
	v_lshlrev_b32_e32 v8, 8, v8
	v_lshl_add_u32 v84, v84, 10, 0x2000
	v_lshlrev_b32_e32 v32, 23, v32
	s_delay_alu instid0(VALU_DEP_2) | instskip(NEXT) | instid1(VALU_DEP_1)
	v_and_or_b32 v8, 0x8000, v8, v84
	v_lshl_or_b32 v84, v8, 16, v32
.LBB294_1521:                           ;   in Loop: Header=BB294_16 Depth=1
	s_wait_alu 0xfffe
	s_or_b32 exec_lo, exec_lo, s22
.LBB294_1522:                           ;   in Loop: Header=BB294_16 Depth=1
	s_wait_alu 0xfffe
	s_or_b32 exec_lo, exec_lo, s21
.LBB294_1523:                           ;   in Loop: Header=BB294_16 Depth=1
	s_wait_alu 0xfffe
	s_or_b32 exec_lo, exec_lo, s20
	v_and_b32_e32 v32, 0xff, v29
	v_mov_b32_e32 v8, v29
	s_mov_b32 s20, exec_lo
	s_delay_alu instid0(VALU_DEP_2)
	v_cmpx_ne_u16_e32 0, v32
	s_cbranch_execz .LBB294_1531
; %bb.1524:                             ;   in Loop: Header=BB294_16 Depth=1
	v_mov_b32_e32 v80, 0x8000
	s_mov_b32 s21, exec_lo
	v_cmpx_ne_u16_e32 0x80, v32
	s_cbranch_execz .LBB294_1530
; %bb.1525:                             ;   in Loop: Header=BB294_16 Depth=1
	v_and_b32_e32 v100, 0x7f, v29
	v_mov_b32_e32 v80, 0x7c01
	s_mov_b32 s22, exec_lo
	s_delay_alu instid0(VALU_DEP_2)
	v_cmpx_ne_u32_e32 0x7f, v100
	s_cbranch_execz .LBB294_1529
; %bb.1526:                             ;   in Loop: Header=BB294_16 Depth=1
	v_and_b32_e32 v32, 7, v29
	v_lshrrev_b32_e32 v80, 3, v100
	s_mov_b32 s23, exec_lo
	v_cmpx_gt_u32_e32 8, v100
; %bb.1527:                             ;   in Loop: Header=BB294_16 Depth=1
	s_delay_alu instid0(VALU_DEP_3) | instskip(NEXT) | instid1(VALU_DEP_1)
	v_clz_i32_u32_e32 v32, v32
	v_min_u32_e32 v32, 32, v32
	s_delay_alu instid0(VALU_DEP_1) | instskip(NEXT) | instid1(VALU_DEP_1)
	v_subrev_nc_u32_e32 v80, 28, v32
	v_lshlrev_b64_e32 v[100:101], v80, v[8:9]
	v_sub_nc_u32_e32 v80, 29, v32
	s_delay_alu instid0(VALU_DEP_2)
	v_and_b32_e32 v32, 7, v100
; %bb.1528:                             ;   in Loop: Header=BB294_16 Depth=1
	s_wait_alu 0xfffe
	s_or_b32 exec_lo, exec_lo, s23
	v_lshlrev_b32_e32 v87, 8, v29
	v_lshl_add_u32 v80, v80, 10, 0x2000
	v_lshlrev_b32_e32 v32, 7, v32
	s_delay_alu instid0(VALU_DEP_3) | instskip(NEXT) | instid1(VALU_DEP_3)
	v_and_b32_e32 v87, 0x8000, v87
	v_and_b32_e32 v80, 0xfc00, v80
	s_delay_alu instid0(VALU_DEP_1)
	v_or3_b32 v80, v87, v80, v32
.LBB294_1529:                           ;   in Loop: Header=BB294_16 Depth=1
	s_wait_alu 0xfffe
	s_or_b32 exec_lo, exec_lo, s22
.LBB294_1530:                           ;   in Loop: Header=BB294_16 Depth=1
	s_wait_alu 0xfffe
	s_or_b32 exec_lo, exec_lo, s21
.LBB294_1531:                           ;   in Loop: Header=BB294_16 Depth=1
	s_wait_alu 0xfffe
	s_or_b32 exec_lo, exec_lo, s20
	v_lshrrev_b16 v8, 8, v8
	v_dual_mov_b32 v89, 0 :: v_dual_mov_b32 v100, 0
	s_mov_b32 s20, exec_lo
	s_delay_alu instid0(VALU_DEP_2)
	v_cmpx_ne_u16_e32 0, v8
	s_cbranch_execz .LBB294_1539
; %bb.1532:                             ;   in Loop: Header=BB294_16 Depth=1
	v_bfrev_b32_e32 v100, 1
	s_mov_b32 s21, exec_lo
	v_cmpx_ne_u16_e32 0x80, v8
	s_cbranch_execz .LBB294_1538
; %bb.1533:                             ;   in Loop: Header=BB294_16 Depth=1
	v_and_b32_e32 v32, 0xffff, v8
	v_mov_b32_e32 v100, 0x7c010000
	s_mov_b32 s22, exec_lo
	s_delay_alu instid0(VALU_DEP_2) | instskip(NEXT) | instid1(VALU_DEP_1)
	v_and_b32_e32 v87, 0x7f, v32
	v_cmpx_ne_u32_e32 0x7f, v87
	s_cbranch_execz .LBB294_1537
; %bb.1534:                             ;   in Loop: Header=BB294_16 Depth=1
	v_and_b32_e32 v100, 7, v32
	v_lshrrev_b32_e32 v191, 3, v87
	s_mov_b32 s23, exec_lo
	v_cmpx_gt_u32_e32 8, v87
; %bb.1535:                             ;   in Loop: Header=BB294_16 Depth=1
	s_delay_alu instid0(VALU_DEP_3) | instskip(NEXT) | instid1(VALU_DEP_1)
	v_clz_i32_u32_e32 v87, v100
	v_min_u32_e32 v87, 32, v87
	s_delay_alu instid0(VALU_DEP_1) | instskip(SKIP_1) | instid1(VALU_DEP_2)
	v_subrev_nc_u32_e32 v100, 28, v87
	v_sub_nc_u32_e32 v191, 29, v87
	v_lshlrev_b64_e32 v[100:101], v100, v[8:9]
	s_delay_alu instid0(VALU_DEP_1)
	v_and_b32_e32 v100, 7, v100
; %bb.1536:                             ;   in Loop: Header=BB294_16 Depth=1
	s_wait_alu 0xfffe
	s_or_b32 exec_lo, exec_lo, s23
	v_lshlrev_b32_e32 v8, 8, v32
	v_lshl_add_u32 v32, v191, 10, 0x2000
	s_delay_alu instid0(VALU_DEP_1) | instskip(SKIP_1) | instid1(VALU_DEP_1)
	v_and_or_b32 v8, 0x8000, v8, v32
	v_lshlrev_b32_e32 v32, 23, v100
	v_lshl_or_b32 v100, v8, 16, v32
.LBB294_1537:                           ;   in Loop: Header=BB294_16 Depth=1
	s_wait_alu 0xfffe
	s_or_b32 exec_lo, exec_lo, s22
.LBB294_1538:                           ;   in Loop: Header=BB294_16 Depth=1
	s_wait_alu 0xfffe
	s_or_b32 exec_lo, exec_lo, s21
.LBB294_1539:                           ;   in Loop: Header=BB294_16 Depth=1
	s_wait_alu 0xfffe
	s_or_b32 exec_lo, exec_lo, s20
	v_lshrrev_b32_e32 v8, 16, v29
	s_mov_b32 s20, exec_lo
	s_delay_alu instid0(VALU_DEP_1) | instskip(NEXT) | instid1(VALU_DEP_1)
	v_and_b32_e32 v32, 0xff, v8
	v_cmpx_ne_u16_e32 0, v32
	s_cbranch_execz .LBB294_1547
; %bb.1540:                             ;   in Loop: Header=BB294_16 Depth=1
	v_mov_b32_e32 v89, 0x8000
	s_mov_b32 s21, exec_lo
	v_cmpx_ne_u16_e32 0x80, v32
	s_cbranch_execz .LBB294_1546
; %bb.1541:                             ;   in Loop: Header=BB294_16 Depth=1
	v_bfe_u32 v87, v29, 16, 7
	v_mov_b32_e32 v89, 0x7c01
	s_mov_b32 s22, exec_lo
	s_delay_alu instid0(VALU_DEP_2)
	v_cmpx_ne_u32_e32 0x7f, v87
	s_cbranch_execz .LBB294_1545
; %bb.1542:                             ;   in Loop: Header=BB294_16 Depth=1
	v_and_b32_e32 v32, 7, v8
	v_lshrrev_b32_e32 v89, 3, v87
	s_mov_b32 s23, exec_lo
	v_cmpx_gt_u32_e32 8, v87
	s_cbranch_execz .LBB294_1544
; %bb.1543:                             ;   in Loop: Header=BB294_16 Depth=1
	v_clz_i32_u32_e32 v32, v32
	v_mov_b32_e32 v101, v128
	v_mov_b32_e32 v89, v129
	s_delay_alu instid0(VALU_DEP_3) | instskip(NEXT) | instid1(VALU_DEP_1)
	v_min_u32_e32 v32, 32, v32
	v_subrev_nc_u32_e32 v87, 28, v32
	s_delay_alu instid0(VALU_DEP_1) | instskip(NEXT) | instid1(VALU_DEP_4)
	v_lshlrev_b64_e32 v[128:129], v87, v[8:9]
	v_mov_b32_e32 v129, v89
	v_sub_nc_u32_e32 v89, 29, v32
	s_delay_alu instid0(VALU_DEP_3)
	v_and_b32_e32 v32, 7, v128
	v_mov_b32_e32 v128, v101
.LBB294_1544:                           ;   in Loop: Header=BB294_16 Depth=1
	s_wait_alu 0xfffe
	s_or_b32 exec_lo, exec_lo, s23
	v_lshlrev_b32_e32 v8, 8, v8
	v_lshl_add_u32 v87, v89, 10, 0x2000
	v_lshlrev_b32_e32 v32, 7, v32
	s_delay_alu instid0(VALU_DEP_3) | instskip(NEXT) | instid1(VALU_DEP_3)
	v_and_b32_e32 v8, 0x8000, v8
	v_and_b32_e32 v87, 0xfc00, v87
	s_delay_alu instid0(VALU_DEP_1)
	v_or3_b32 v89, v8, v87, v32
.LBB294_1545:                           ;   in Loop: Header=BB294_16 Depth=1
	s_wait_alu 0xfffe
	s_or_b32 exec_lo, exec_lo, s22
.LBB294_1546:                           ;   in Loop: Header=BB294_16 Depth=1
	s_wait_alu 0xfffe
	s_or_b32 exec_lo, exec_lo, s21
.LBB294_1547:                           ;   in Loop: Header=BB294_16 Depth=1
	s_wait_alu 0xfffe
	s_or_b32 exec_lo, exec_lo, s20
	v_mov_b32_e32 v191, 0
	s_mov_b32 s20, exec_lo
	v_cmpx_lt_u64_e64 s[10:11], v[28:29]
	s_cbranch_execz .LBB294_14
; %bb.1548:                             ;   in Loop: Header=BB294_16 Depth=1
	v_lshrrev_b32_e32 v8, 24, v29
	v_bfrev_b32_e32 v191, 1
	s_mov_b32 s21, exec_lo
	s_delay_alu instid0(VALU_DEP_2)
	v_cmpx_ne_u32_e32 0x80, v8
	s_cbranch_execz .LBB294_13
; %bb.1549:                             ;   in Loop: Header=BB294_16 Depth=1
	v_and_b32_e32 v32, 0x7f, v8
	v_mov_b32_e32 v191, 0x7c010000
	s_mov_b32 s22, exec_lo
	s_delay_alu instid0(VALU_DEP_2)
	v_cmpx_ne_u32_e32 0x7f, v32
	s_cbranch_execz .LBB294_12
; %bb.1550:                             ;   in Loop: Header=BB294_16 Depth=1
	v_and_b32_e32 v28, 7, v8
	v_lshrrev_b32_e32 v29, 3, v32
	s_mov_b32 s23, exec_lo
	v_cmpx_gt_u32_e32 8, v32
	s_cbranch_execz .LBB294_11
; %bb.1551:                             ;   in Loop: Header=BB294_16 Depth=1
	v_clz_i32_u32_e32 v28, v28
	s_delay_alu instid0(VALU_DEP_1) | instskip(NEXT) | instid1(VALU_DEP_1)
	v_min_u32_e32 v32, 32, v28
	v_subrev_nc_u32_e32 v28, 28, v32
	s_delay_alu instid0(VALU_DEP_1) | instskip(SKIP_1) | instid1(VALU_DEP_2)
	v_lshlrev_b64_e32 v[28:29], v28, v[8:9]
	v_sub_nc_u32_e32 v29, 29, v32
	v_and_b32_e32 v28, 7, v28
	s_branch .LBB294_11
.LBB294_1552:
	s_or_b32 exec_lo, exec_lo, s19
	s_clause 0x4
	scratch_load_b32 v15, off, s32 offset:636
	scratch_load_b32 v22, off, s32 offset:640
	;; [unrolled: 1-line block ×5, first 2 shown]
.LBB294_1553:
	s_wait_alu 0xfffe
	s_or_b32 exec_lo, exec_lo, s18
	v_mbcnt_lo_u32_b32 v0, -1, 0
	v_max_num_f32_e32 v4, v11, v11
	s_delay_alu instid0(VALU_DEP_2) | instskip(SKIP_2) | instid1(VALU_DEP_3)
	v_xor_b32_e32 v1, 16, v0
	v_xor_b32_e32 v3, 8, v0
	;; [unrolled: 1-line block ×3, first 2 shown]
	v_cmp_gt_i32_e32 vcc_lo, 32, v1
	s_wait_alu 0xfffd
	v_cndmask_b32_e32 v1, v0, v1, vcc_lo
	v_cmp_gt_i32_e32 vcc_lo, 32, v3
	s_wait_alu 0xfffd
	s_delay_alu instid0(VALU_DEP_2)
	v_dual_cndmask_b32 v3, v0, v3 :: v_dual_lshlrev_b32 v2, 2, v1
	v_cmp_gt_i32_e32 vcc_lo, 32, v5
	ds_bpermute_b32 v1, v2, v11
	v_lshlrev_b32_e32 v3, 2, v3
	s_wait_alu 0xfffd
	v_cndmask_b32_e32 v5, v0, v5, vcc_lo
	s_wait_dscnt 0x0
	v_max_num_f32_e32 v1, v1, v1
	s_delay_alu instid0(VALU_DEP_1) | instskip(SKIP_3) | instid1(VALU_DEP_1)
	v_max_num_f32_e32 v1, v4, v1
	ds_bpermute_b32 v4, v3, v1
	s_wait_dscnt 0x0
	v_max_num_f32_e32 v6, v4, v4
	v_dual_max_num_f32 v1, v1, v6 :: v_dual_lshlrev_b32 v4, 2, v5
	v_xor_b32_e32 v6, 2, v0
	ds_bpermute_b32 v5, v4, v1
	v_cmp_gt_i32_e32 vcc_lo, 32, v6
	s_wait_alu 0xfffd
	v_cndmask_b32_e32 v6, v0, v6, vcc_lo
	s_delay_alu instid0(VALU_DEP_1) | instskip(SKIP_1) | instid1(VALU_DEP_1)
	v_lshlrev_b32_e32 v18, 2, v6
	v_xor_b32_e32 v6, 1, v0
	v_cmp_gt_i32_e32 vcc_lo, 32, v6
	s_wait_dscnt 0x0
	s_wait_alu 0xfffd
	v_dual_max_num_f32 v5, v5, v5 :: v_dual_cndmask_b32 v6, v0, v6
	s_delay_alu instid0(VALU_DEP_1) | instskip(NEXT) | instid1(VALU_DEP_2)
	v_max_num_f32_e32 v1, v1, v5
	v_lshlrev_b32_e32 v13, 2, v6
	ds_bpermute_b32 v5, v18, v1
	s_wait_dscnt 0x0
	v_max_num_f32_e32 v5, v5, v5
	s_delay_alu instid0(VALU_DEP_1)
	v_max_num_f32_e32 v0, v1, v5
	scratch_load_b32 v5, off, s32 offset:544 ; 4-byte Folded Reload
	ds_bpermute_b32 v1, v13, v0
	s_wait_loadcnt 0x0
	v_cmp_eq_u32_e32 vcc_lo, 0, v5
	scratch_load_b32 v5, off, s32 offset:584 ; 4-byte Folded Reload
	s_wait_loadcnt 0x0
	v_lshlrev_b32_e32 v5, 2, v5
	s_and_saveexec_b32 s1, vcc_lo
	s_cbranch_execz .LBB294_1555
; %bb.1554:
	s_wait_dscnt 0x0
	v_dual_max_num_f32 v1, v1, v1 :: v_dual_max_num_f32 v0, v0, v0
	s_delay_alu instid0(VALU_DEP_1)
	v_max_num_f32_e32 v0, v0, v1
	ds_store_b32 v5, v0 offset:384
.LBB294_1555:
	s_wait_alu 0xfffe
	s_or_b32 exec_lo, exec_lo, s1
	scratch_load_b32 v0, off, s32 offset:544 ; 4-byte Folded Reload
	s_wait_storecnt 0x0
	s_wait_loadcnt_dscnt 0x0
	s_barrier_signal -1
	s_barrier_wait -1
	global_inv scope:SCOPE_SE
	v_cmp_gt_u32_e64 s1, 4, v0
	v_mov_b32_e32 v0, 0xff7fffff
	s_and_saveexec_b32 s2, s1
; %bb.1556:
	ds_load_b32 v0, v10 offset:384
; %bb.1557:
	s_wait_alu 0xfffe
	s_or_b32 exec_lo, exec_lo, s2
	scratch_load_b32 v6, off, s32 offset:344 ; 4-byte Folded Reload
	s_wait_dscnt 0x0
	ds_bpermute_b32 v1, v18, v0
	s_wait_dscnt 0x0
	v_dual_max_num_f32 v0, v0, v0 :: v_dual_max_num_f32 v1, v1, v1
	s_delay_alu instid0(VALU_DEP_1)
	v_max_num_f32_e32 v0, v0, v1
	ds_bpermute_b32 v1, v13, v0
	s_wait_dscnt 0x0
	v_max_num_f32_e32 v1, v1, v1
	s_wait_loadcnt 0x0
	v_subrev_nc_u32_e32 v7, s3, v6
	v_mov_b32_e32 v6, 0
	s_delay_alu instid0(VALU_DEP_3) | instskip(NEXT) | instid1(VALU_DEP_3)
	v_max_num_f32_e32 v0, v0, v1
	v_lshl_add_u32 v1, v7, 5, s14
	scratch_load_b32 v7, off, s32 offset:576 ; 4-byte Folded Reload
	ds_bpermute_b32 v0, v6, v0
	v_min_i32_e32 v1, v1, v34
	s_delay_alu instid0(VALU_DEP_1) | instskip(SKIP_1) | instid1(VALU_DEP_1)
	v_subrev_nc_u32_e32 v1, s14, v1
	s_wait_loadcnt 0x0
	v_cmp_lt_i32_e64 s2, v7, v1
	s_and_saveexec_b32 s8, s2
	s_cbranch_execz .LBB294_1561
; %bb.1558:
	scratch_load_b32 v9, off, s32 offset:576 ; 4-byte Folded Reload
	s_getpc_b64 s[10:11]
	s_wait_alu 0xfffe
	s_sext_i32_i16 s11, s11
	s_add_co_u32 s10, s10, llvm.amdgcn.dynlds.offset.table@rel32@lo+12
	s_wait_alu 0xfffe
	s_add_co_ci_u32 s11, s11, llvm.amdgcn.dynlds.offset.table@rel32@hi+24
	s_wait_kmcnt 0x0
	s_ashr_i32 s7, s6, 31
	v_mov_b32_e32 v6, 0
	s_wait_alu 0xfffe
	s_lshl_b64 s[18:19], s[6:7], 2
	s_mov_b32 s7, 0
	s_wait_alu 0xfffe
	s_add_nc_u64 s[10:11], s[10:11], s[18:19]
	s_load_b32 s3, s[10:11], 0x0
	s_wait_loadcnt 0x0
	s_wait_kmcnt 0x0
	v_lshl_add_u32 v8, v9, 2, s3
.LBB294_1559:                           ; =>This Inner Loop Header: Depth=1
	ds_load_b32 v7, v8
	s_wait_dscnt 0x0
	v_sub_f32_e32 v7, v7, v0
	s_delay_alu instid0(VALU_DEP_1) | instskip(NEXT) | instid1(VALU_DEP_1)
	v_mul_f32_e32 v7, 0x3fb8aa3b, v7
	v_exp_f32_e32 v7, v7
	s_delay_alu instid0(TRANS32_DEP_1) | instskip(NEXT) | instid1(VALU_DEP_1)
	v_dual_add_f32 v6, v6, v7 :: v_dual_add_nc_u32 v9, 0x80, v9
	v_cmp_ge_i32_e64 s3, v9, v1
	ds_store_b32 v8, v7
	v_add_nc_u32_e32 v8, 0x200, v8
	s_or_b32 s7, s3, s7
	s_wait_alu 0xfffe
	s_and_not1_b32 exec_lo, exec_lo, s7
	s_cbranch_execnz .LBB294_1559
; %bb.1560:
	s_or_b32 exec_lo, exec_lo, s7
.LBB294_1561:
	s_wait_alu 0xfffe
	s_or_b32 exec_lo, exec_lo, s8
	ds_bpermute_b32 v2, v2, v6
	s_wait_dscnt 0x0
	v_add_f32_e32 v2, v6, v2
	ds_bpermute_b32 v3, v3, v2
	s_wait_dscnt 0x0
	v_add_f32_e32 v2, v2, v3
	;; [unrolled: 3-line block ×5, first 2 shown]
	s_and_saveexec_b32 s3, vcc_lo
; %bb.1562:
	ds_store_b32 v5, v2 offset:400
; %bb.1563:
	s_wait_alu 0xfffe
	s_or_b32 exec_lo, exec_lo, s3
	s_wait_dscnt 0x0
	s_barrier_signal -1
	s_barrier_wait -1
	global_inv scope:SCOPE_SE
	s_and_saveexec_b32 s3, s1
; %bb.1564:
	ds_load_b32 v2, v10 offset:400
; %bb.1565:
	s_wait_alu 0xfffe
	s_or_b32 exec_lo, exec_lo, s3
	s_wait_dscnt 0x0
	ds_bpermute_b32 v3, v18, v2
	s_wait_dscnt 0x0
	v_add_f32_e32 v2, v2, v3
	ds_bpermute_b32 v3, v13, v2
	s_wait_dscnt 0x0
	v_dual_add_f32 v2, v2, v3 :: v_dual_mov_b32 v3, 0
	ds_bpermute_b32 v2, v3, v2
	s_and_saveexec_b32 s1, s2
	s_cbranch_execz .LBB294_1568
; %bb.1566:
	s_wait_dscnt 0x0
	v_add_f32_e32 v4, 0x358637bd, v2
	s_wait_kmcnt 0x0
	s_ashr_i32 s7, s6, 31
	s_getpc_b64 s[2:3]
	s_wait_alu 0xfffe
	s_sext_i32_i16 s3, s3
	s_add_co_u32 s2, s2, llvm.amdgcn.dynlds.offset.table@rel32@lo+12
	s_wait_alu 0xfffe
	s_add_co_ci_u32 s3, s3, llvm.amdgcn.dynlds.offset.table@rel32@hi+24
	s_lshl_b64 s[8:9], s[6:7], 2
	s_wait_alu 0xfffe
	s_add_nc_u64 s[2:3], s[2:3], s[8:9]
	v_div_scale_f32 v3, null, v4, v4, 1.0
	s_load_b32 s2, s[2:3], 0x0
	v_rcp_f32_e32 v5, v3
	s_delay_alu instid0(TRANS32_DEP_1) | instskip(NEXT) | instid1(VALU_DEP_1)
	v_fma_f32 v6, -v3, v5, 1.0
	v_fmac_f32_e32 v5, v6, v5
	v_div_scale_f32 v7, vcc_lo, 1.0, v4, 1.0
	s_delay_alu instid0(VALU_DEP_1) | instskip(NEXT) | instid1(VALU_DEP_1)
	v_mul_f32_e32 v6, v7, v5
	v_fma_f32 v8, -v3, v6, v7
	s_delay_alu instid0(VALU_DEP_1) | instskip(NEXT) | instid1(VALU_DEP_1)
	v_fmac_f32_e32 v6, v8, v5
	v_fma_f32 v3, -v3, v6, v7
	s_wait_alu 0xfffd
	s_delay_alu instid0(VALU_DEP_1)
	v_div_fmas_f32 v5, v3, v5, v6
	scratch_load_b32 v6, off, s32 offset:576 ; 4-byte Folded Reload
	v_div_fixup_f32 v4, v5, v4, 1.0
	s_wait_loadcnt 0x0
	s_wait_kmcnt 0x0
	v_lshl_add_u32 v3, v6, 2, s2
	v_mov_b32_e32 v5, v6
	s_mov_b32 s2, 0
.LBB294_1567:                           ; =>This Inner Loop Header: Depth=1
	ds_load_b32 v6, v3
	s_wait_dscnt 0x0
	v_dual_mul_f32 v6, v4, v6 :: v_dual_add_nc_u32 v5, 0x80, v5
	s_delay_alu instid0(VALU_DEP_1)
	v_cmp_ge_i32_e32 vcc_lo, v5, v1
	ds_store_b32 v3, v6
	v_add_nc_u32_e32 v3, 0x200, v3
	s_wait_alu 0xfffe
	s_or_b32 s2, vcc_lo, s2
	s_wait_alu 0xfffe
	s_and_not1_b32 exec_lo, exec_lo, s2
	s_cbranch_execnz .LBB294_1567
.LBB294_1568:
	s_wait_alu 0xfffe
	s_or_b32 exec_lo, exec_lo, s1
	s_wait_loadcnt_dscnt 0x0
	s_barrier_signal -1
	scratch_load_b32 v1, off, s32 offset:576 ; 4-byte Folded Reload
	s_and_b32 s1, 0xffff, s17
	s_barrier_wait -1
	s_wait_alu 0xfffe
	s_cmp_lg_u32 s1, 0
	s_wait_loadcnt 0x0
	global_inv scope:SCOPE_SE
	s_cselect_b32 s1, -1, 0
	s_wait_alu 0xfffe
	s_cmp_lg_u32 s1, 0
	s_wait_kmcnt 0x0
	s_add_co_ci_u32 s1, s5, 0
	s_mov_b32 s5, exec_lo
	s_wait_alu 0xfffe
	s_mul_i32 s2, s1, s15
	s_wait_alu 0xfffe
	s_mul_i32 s2, s2, s16
	v_cmpx_eq_u32_e32 0, v1
	s_cbranch_execz .LBB294_1570
; %bb.1569:
	s_wait_alu 0xfffe
	s_ashr_i32 s3, s2, 31
	s_mul_i32 s8, s1, ttmp9
	s_wait_alu 0xfffe
	s_lshl_b64 s[10:11], s[2:3], 2
	s_ashr_i32 s9, s8, 31
	s_wait_alu 0xfffe
	v_add_co_u32 v1, vcc_lo, v25, s10
	s_wait_alu 0xfffd
	v_add_co_ci_u32_e64 v3, null, s11, v24, vcc_lo
	s_lshl_b64 s[8:9], s[8:9], 2
	s_lshl_b32 s3, s13, 2
	s_wait_alu 0xfffe
	v_add_co_u32 v1, vcc_lo, v1, s8
	s_wait_alu 0xfffd
	v_add_co_ci_u32_e64 v4, null, s9, v3, vcc_lo
	v_add_co_u32 v3, vcc_lo, v22, s10
	s_wait_alu 0xfffd
	v_add_co_ci_u32_e64 v5, null, s11, v15, vcc_lo
	s_delay_alu instid0(VALU_DEP_2) | instskip(SKIP_1) | instid1(VALU_DEP_2)
	v_add_co_u32 v6, vcc_lo, v3, s8
	s_wait_alu 0xfffd
	v_add_co_ci_u32_e64 v7, null, s9, v5, vcc_lo
	v_add_co_u32 v3, vcc_lo, v1, s3
	s_wait_alu 0xfffd
	v_add_co_ci_u32_e64 v4, null, 0, v4, vcc_lo
	;; [unrolled: 3-line block ×3, first 2 shown]
	flat_store_b32 v[3:4], v0
	flat_store_b32 v[5:6], v2
.LBB294_1570:
	s_or_b32 exec_lo, exec_lo, s5
	s_ashr_i32 s7, s6, 31
	s_getpc_b64 s[8:9]
	s_wait_alu 0xfffe
	s_sext_i32_i16 s9, s9
	s_add_co_u32 s8, s8, llvm.amdgcn.dynlds.offset.table@rel32@lo+12
	s_wait_alu 0xfffe
	s_add_co_ci_u32 s9, s9, llvm.amdgcn.dynlds.offset.table@rel32@hi+24
	v_dual_mov_b32 v82, 0 :: v_dual_mov_b32 v81, 0
	v_dual_mov_b32 v80, 0 :: v_dual_mov_b32 v71, 0
	v_dual_mov_b32 v70, 0 :: v_dual_mov_b32 v69, 0
	v_dual_mov_b32 v68, 0 :: v_dual_mov_b32 v67, 0
	v_dual_mov_b32 v66, 0 :: v_dual_mov_b32 v65, 0
	v_dual_mov_b32 v64, 0 :: v_dual_mov_b32 v55, 0
	v_dual_mov_b32 v54, 0 :: v_dual_mov_b32 v53, 0
	v_dual_mov_b32 v52, 0 :: v_dual_mov_b32 v31, 0
	v_dual_mov_b32 v32, 0 :: v_dual_mov_b32 v29, 0
	v_dual_mov_b32 v28, 0 :: v_dual_mov_b32 v25, 0
	v_dual_mov_b32 v24, 0 :: v_dual_mov_b32 v21, 0
	v_dual_mov_b32 v20, 0 :: v_dual_mov_b32 v19, 0
	s_lshl_b64 s[6:7], s[6:7], 2
	s_wait_alu 0xfffe
	s_add_nc_u64 s[6:7], s[8:9], s[6:7]
	s_and_saveexec_b32 s3, s0
	s_cbranch_execz .LBB294_3160
; %bb.1571:
	s_clause 0x1
	scratch_load_b32 v0, off, s32 offset:580 th:TH_LOAD_LU
	scratch_load_b32 v1, off, s32 offset:628 th:TH_LOAD_LU
	s_load_b32 s0, s[6:7], 0x0
	v_dual_mov_b32 v20, 0 :: v_dual_mov_b32 v21, 0
	v_dual_mov_b32 v24, 0 :: v_dual_mov_b32 v25, 0
	;; [unrolled: 1-line block ×8, first 2 shown]
	v_mov_b32_e32 v70, 0
	v_mov_b32_e32 v80, 0
	;; [unrolled: 1-line block ×3, first 2 shown]
	s_lshl_b32 s5, s14, 2
	s_mov_b32 s8, -1
	s_wait_kmcnt 0x0
	s_wait_alu 0xfffe
	s_sub_co_i32 s5, s0, s5
	s_mov_b32 s9, 0xffffff
	s_mov_b32 s10, 0
	v_mov_b32_e32 v29, 0
	v_mov_b32_e32 v81, 0
	v_mov_b32_e32 v69, 0
	v_mov_b32_e32 v19, 0
	s_wait_loadcnt 0x0
	v_max_i32_e32 v30, v0, v1
	s_clause 0x1
	scratch_load_b32 v1, off, s32 offset:592 th:TH_LOAD_LU
	scratch_load_b64 v[2:3], off, s32 offset:620 th:TH_LOAD_LU
	v_cvt_f32_u32_e32 v0, v30
	v_sub_nc_u32_e32 v5, 0, v30
	s_delay_alu instid0(VALU_DEP_2) | instskip(NEXT) | instid1(TRANS32_DEP_1)
	v_rcp_iflag_f32_e32 v0, v0
	v_mul_f32_e32 v0, 0x4f7ffffe, v0
	s_delay_alu instid0(VALU_DEP_1) | instskip(NEXT) | instid1(VALU_DEP_1)
	v_cvt_u32_f32_e32 v0, v0
	v_mul_lo_u32 v5, v5, v0
	s_delay_alu instid0(VALU_DEP_1) | instskip(NEXT) | instid1(VALU_DEP_1)
	v_mul_hi_u32 v5, v0, v5
	v_add_nc_u32_e32 v48, v0, v5
	s_wait_loadcnt 0x0
	v_add_co_u32 v14, vcc_lo, v1, v2
	scratch_load_b32 v1, off, s32 offset:588 th:TH_LOAD_LU ; 4-byte Folded Reload
	s_wait_loadcnt 0x0
	s_wait_alu 0xfffd
	v_add_co_ci_u32_e64 v15, null, v1, v3, vcc_lo
	scratch_load_b32 v1, off, s32 offset:576 ; 4-byte Folded Reload
	s_wait_loadcnt 0x0
	v_lshlrev_b32_e32 v2, 3, v1
	s_clause 0x1
	scratch_load_b32 v1, off, s32 offset:608 th:TH_LOAD_LU
	scratch_load_b32 v3, off, s32 offset:612 th:TH_LOAD_LU
	s_wait_loadcnt 0x0
	v_add_co_u32 v3, vcc_lo, v1, v3
	s_clause 0x1
	scratch_load_b32 v1, off, s32 offset:604 th:TH_LOAD_LU
	scratch_load_b32 v4, off, s32 offset:616 th:TH_LOAD_LU
	s_wait_loadcnt 0x0
	s_wait_alu 0xfffd
	v_add_co_ci_u32_e64 v4, null, v1, v4, vcc_lo
	scratch_load_b32 v1, off, s32 offset:632 th:TH_LOAD_LU ; 4-byte Folded Reload
	s_wait_loadcnt 0x0
	v_dual_mov_b32 v1, 0 :: v_dual_add_nc_u32 v16, -1, v1
	v_and_b32_e32 v6, 0xf8, v2
	v_dual_mov_b32 v66, 0 :: v_dual_and_b32 v17, 24, v2
	s_delay_alu instid0(VALU_DEP_2)
	v_add_co_u32 v2, vcc_lo, v3, v6
	s_wait_alu 0xfffd
	v_add_co_ci_u32_e64 v3, null, 0, v4, vcc_lo
	s_branch .LBB294_1574
.LBB294_1572:                           ;   in Loop: Header=BB294_1574 Depth=1
	s_wait_alu 0xfffe
	s_or_b32 exec_lo, exec_lo, s0
	v_add_f32_e32 v7, v10, v11
	v_dual_add_f32 v10, v36, v163 :: v_dual_add_f32 v11, v161, v162
	v_add_f32_e32 v36, v39, v160
	v_add_f32_e32 v6, v6, v12
	s_delay_alu instid0(VALU_DEP_3) | instskip(NEXT) | instid1(VALU_DEP_3)
	v_dual_add_f32 v20, v20, v7 :: v_dual_add_f32 v21, v21, v10
	v_dual_add_f32 v24, v24, v11 :: v_dual_add_f32 v25, v25, v36
	v_add_f32_e32 v7, v37, v38
	v_dual_add_f32 v11, v22, v23 :: v_dual_add_f32 v4, v4, v5
	v_dual_add_f32 v10, v33, v35 :: v_dual_add_f32 v5, v148, v149
	s_delay_alu instid0(VALU_DEP_2) | instskip(SKIP_1) | instid1(VALU_DEP_4)
	v_dual_add_f32 v32, v32, v6 :: v_dual_add_f32 v31, v31, v11
	v_add_f32_e32 v6, v146, v147
	v_add_f32_e32 v52, v52, v4
	;; [unrolled: 1-line block ×3, first 2 shown]
	v_dual_add_f32 v28, v28, v7 :: v_dual_add_f32 v29, v29, v10
	v_add_f32_e32 v7, v144, v145
	s_delay_alu instid0(VALU_DEP_3) | instskip(SKIP_1) | instid1(VALU_DEP_3)
	v_dual_add_f32 v54, v54, v5 :: v_dual_add_f32 v53, v53, v4
	v_dual_add_f32 v4, v132, v133 :: v_dual_add_f32 v5, v130, v131
	;; [unrolled: 1-line block ×4, first 2 shown]
	s_delay_alu instid0(VALU_DEP_3) | instskip(SKIP_1) | instid1(VALU_DEP_2)
	v_dual_add_f32 v10, v134, v135 :: v_dual_add_f32 v67, v67, v5
	;;#ASMSTART
	v_pk_mul_f16 v5, v86, v164;

	;;#ASMEND
	v_dual_add_f32 v66, v66, v4 :: v_dual_add_f32 v69, v69, v7
	s_delay_alu instid0(VALU_DEP_3)
	v_add_f32_e32 v68, v68, v6
	;;#ASMSTART
	v_pk_mul_f16 v6, v85, v9;

	;;#ASMEND
	;;#ASMSTART
	v_pk_mul_f16 v7, v84, v8;

	;;#ASMEND
	;; [unrolled: 4-line block ×3, first 2 shown]
	;;#ASMSTART
	v_pk_add_f16 v5, v5, v6;

	;;#ASMEND
	;;#ASMSTART
	v_pk_add_f16 v5, v5, v7;

	;;#ASMEND
	;; [unrolled: 4-line block ×3, first 2 shown]
	v_and_b32_e32 v7, 0xffff, v0
	v_lshrrev_b32_e32 v8, 16, v0
	;;#ASMSTART
	v_cvt_f32_f16 v7, v7;
	;;#ASMEND
	v_dual_add_f32 v65, v65, v10 :: v_dual_add_f32 v10, v183, v103
	v_add_f32_e32 v5, v102, v116
	v_add_f32_e32 v4, v114, v115
	;; [unrolled: 1-line block ×3, first 2 shown]
	;;#ASMSTART
	v_cvt_f32_f16 v8, v8;
	;;#ASMEND
	v_dual_add_f32 v7, v7, v8 :: v_dual_add_f32 v0, v112, v113
	v_dual_add_f32 v81, v81, v5 :: v_dual_add_f32 v70, v70, v10
	s_delay_alu instid0(VALU_DEP_3) | instskip(NEXT) | instid1(VALU_DEP_3)
	v_dual_add_f32 v71, v71, v4 :: v_dual_add_f32 v82, v82, v6
	v_dual_add_f32 v19, v19, v7 :: v_dual_add_f32 v80, v80, v0
.LBB294_1573:                           ;   in Loop: Header=BB294_1574 Depth=1
	s_wait_alu 0xfffe
	s_or_b32 exec_lo, exec_lo, s11
	scratch_load_b32 v0, off, s32 offset:344 ; 4-byte Folded Reload
	v_add_nc_u32_e32 v72, 4, v72
	s_wait_loadcnt 0x0
	s_delay_alu instid0(VALU_DEP_1)
	v_cmp_ge_i32_e32 vcc_lo, v72, v0
	s_or_b32 s10, vcc_lo, s10
	s_wait_alu 0xfffe
	s_and_not1_b32 exec_lo, exec_lo, s10
	s_cbranch_execz .LBB294_3159
.LBB294_1574:                           ; =>This Inner Loop Header: Depth=1
	s_clause 0x2
	scratch_load_b32 v5, off, s32 offset:348
	scratch_load_b32 v8, off, s32 offset:328
	;; [unrolled: 1-line block ×3, first 2 shown]
	v_lshlrev_b32_e32 v0, 5, v72
	s_delay_alu instid0(VALU_DEP_1) | instskip(NEXT) | instid1(VALU_DEP_1)
	v_sub_nc_u32_e32 v4, 0, v0
	v_max_i32_e32 v4, v0, v4
	s_wait_loadcnt 0x2
	s_delay_alu instid0(VALU_DEP_1) | instskip(SKIP_1) | instid1(VALU_DEP_1)
	v_mul_hi_u32 v5, v4, v5
	s_wait_loadcnt 0x1
	v_mul_lo_u32 v6, v5, v8
	s_delay_alu instid0(VALU_DEP_1) | instskip(SKIP_1) | instid1(VALU_DEP_2)
	v_sub_nc_u32_e32 v4, v4, v6
	v_add_nc_u32_e32 v6, 1, v5
	v_sub_nc_u32_e32 v7, v4, v8
	v_cmp_ge_u32_e32 vcc_lo, v4, v8
	s_wait_alu 0xfffd
	s_delay_alu instid0(VALU_DEP_2) | instskip(SKIP_1) | instid1(VALU_DEP_2)
	v_dual_cndmask_b32 v5, v5, v6 :: v_dual_cndmask_b32 v4, v4, v7
	v_ashrrev_i32_e32 v6, 31, v0
	v_add_nc_u32_e32 v7, 1, v5
	s_delay_alu instid0(VALU_DEP_3) | instskip(SKIP_1) | instid1(VALU_DEP_3)
	v_cmp_ge_u32_e32 vcc_lo, v4, v8
	s_wait_loadcnt 0x0
	v_xor_b32_e32 v6, v6, v9
	s_wait_alu 0xfffd
	v_cndmask_b32_e32 v4, v5, v7, vcc_lo
	s_delay_alu instid0(VALU_DEP_1) | instskip(NEXT) | instid1(VALU_DEP_1)
	v_xor_b32_e32 v4, v4, v6
	v_sub_nc_u32_e32 v4, v4, v6
	scratch_load_b64 v[5:6], off, s32 offset:332 ; 8-byte Folded Reload
	s_wait_loadcnt 0x0
	v_add_nc_u32_e32 v5, v4, v5
	s_delay_alu instid0(VALU_DEP_1) | instskip(NEXT) | instid1(VALU_DEP_1)
	v_sub_nc_u32_e32 v6, 0, v5
	v_max_i32_e32 v6, v5, v6
	s_delay_alu instid0(VALU_DEP_1) | instskip(NEXT) | instid1(VALU_DEP_1)
	v_mul_hi_u32 v7, v6, v48
	v_mul_lo_u32 v7, v7, v30
	s_delay_alu instid0(VALU_DEP_1) | instskip(NEXT) | instid1(VALU_DEP_1)
	v_sub_nc_u32_e32 v6, v6, v7
	v_sub_nc_u32_e32 v7, v6, v30
	v_cmp_ge_u32_e32 vcc_lo, v6, v30
	s_wait_alu 0xfffd
	s_delay_alu instid0(VALU_DEP_2) | instskip(SKIP_1) | instid1(VALU_DEP_2)
	v_cndmask_b32_e32 v6, v6, v7, vcc_lo
	v_ashrrev_i32_e32 v5, 31, v5
	v_sub_nc_u32_e32 v7, v6, v30
	v_cmp_ge_u32_e32 vcc_lo, v6, v30
	s_wait_alu 0xfffd
	s_delay_alu instid0(VALU_DEP_2) | instskip(NEXT) | instid1(VALU_DEP_1)
	v_cndmask_b32_e32 v6, v6, v7, vcc_lo
	v_xor_b32_e32 v6, v6, v5
	s_delay_alu instid0(VALU_DEP_1) | instskip(NEXT) | instid1(VALU_DEP_1)
	v_sub_nc_u32_e32 v5, v6, v5
	v_cmp_eq_u32_e32 vcc_lo, 0, v5
	scratch_load_b32 v5, off, s32 offset:352 ; 4-byte Folded Reload
	s_wait_loadcnt 0x0
	v_cmp_gt_i32_e64 s0, v4, v5
	s_or_b32 s0, vcc_lo, s0
	s_wait_alu 0xfffe
	s_and_saveexec_b32 s11, s0
	s_cbranch_execz .LBB294_1573
; %bb.1575:                             ;   in Loop: Header=BB294_1574 Depth=1
	v_ashrrev_i32_e32 v73, 31, v72
	v_or_b32_e32 v49, v0, v17
	s_mov_b32 s0, exec_lo
	s_delay_alu instid0(VALU_DEP_2) | instskip(NEXT) | instid1(VALU_DEP_2)
	v_lshlrev_b64_e32 v[4:5], 2, v[72:73]
	v_lshl_add_u32 v0, v49, 2, s5
	s_delay_alu instid0(VALU_DEP_2) | instskip(SKIP_1) | instid1(VALU_DEP_3)
	v_add_co_u32 v4, vcc_lo, v14, v4
	s_wait_alu 0xfffd
	v_add_co_ci_u32_e64 v5, null, v15, v5, vcc_lo
	flat_load_b32 v5, v[4:5]
	ds_load_2addr_b64 v[9:12], v0 offset1:1
	ds_load_2addr_b64 v[35:38], v0 offset0:2 offset1:3
	s_wait_dscnt 0x1
	;;#ASMSTART
	v_cvt_f16_f32 v4, v9;

	;;#ASMEND
	scratch_load_b32 v0, off, s32 offset:424 ; 4-byte Folded Reload
	s_wait_loadcnt 0x0
	v_mad_co_i64_i32 v[8:9], null, v5, v0, v[2:3]
	;;#ASMSTART
	v_cvt_f16_f32 v5, v10;

	;;#ASMEND
	;;#ASMSTART
	v_cvt_f16_f32 v23, v11;

	;;#ASMEND
	;;#ASMSTART
	v_cvt_f16_f32 v6, v12;

	;;#ASMEND
	s_wait_dscnt 0x0
	;;#ASMSTART
	v_cvt_f16_f32 v33, v35;

	;;#ASMEND
	;;#ASMSTART
	v_cvt_f16_f32 v12, v36;

	;;#ASMEND
	;; [unrolled: 4-line block ×4, first 2 shown]
	flat_load_b64 v[10:11], v[8:9]
	flat_load_b32 v36, v[26:27]
	v_dual_mov_b32 v38, 0 :: v_dual_mov_b32 v37, 0
	s_wait_loadcnt_dscnt 0x101
	v_and_b32_e32 v0, 0xff, v10
	s_delay_alu instid0(VALU_DEP_1)
	v_cmpx_ne_u16_e32 0, v0
	s_cbranch_execz .LBB294_1583
; %bb.1576:                             ;   in Loop: Header=BB294_1574 Depth=1
	v_mov_b32_e32 v38, 0x8000
	s_mov_b32 s14, exec_lo
	v_cmpx_ne_u16_e32 0x80, v0
	s_cbranch_execz .LBB294_1582
; %bb.1577:                             ;   in Loop: Header=BB294_1574 Depth=1
	v_and_b32_e32 v39, 0x7f, v10
	v_mov_b32_e32 v38, 0x7c01
	s_mov_b32 s15, exec_lo
	s_delay_alu instid0(VALU_DEP_2)
	v_cmpx_ne_u32_e32 0x7f, v39
	s_cbranch_execz .LBB294_1581
; %bb.1578:                             ;   in Loop: Header=BB294_1574 Depth=1
	v_and_b32_e32 v0, 7, v10
	v_lshrrev_b32_e32 v38, 3, v39
	s_mov_b32 s16, exec_lo
	v_cmpx_gt_u32_e32 8, v39
; %bb.1579:                             ;   in Loop: Header=BB294_1574 Depth=1
	s_delay_alu instid0(VALU_DEP_3) | instskip(NEXT) | instid1(VALU_DEP_1)
	v_clz_i32_u32_e32 v0, v0
	v_min_u32_e32 v0, 32, v0
	s_delay_alu instid0(VALU_DEP_1) | instskip(SKIP_1) | instid1(VALU_DEP_2)
	v_subrev_nc_u32_e32 v7, 28, v0
	v_sub_nc_u32_e32 v38, 29, v0
	v_lshlrev_b64_e32 v[50:51], v7, v[10:11]
	s_delay_alu instid0(VALU_DEP_1)
	v_and_b32_e32 v0, 7, v50
; %bb.1580:                             ;   in Loop: Header=BB294_1574 Depth=1
	s_wait_alu 0xfffe
	s_or_b32 exec_lo, exec_lo, s16
	v_lshlrev_b32_e32 v7, 8, v10
	v_lshl_add_u32 v38, v38, 10, 0x2000
	v_lshlrev_b32_e32 v0, 7, v0
	s_delay_alu instid0(VALU_DEP_3) | instskip(NEXT) | instid1(VALU_DEP_3)
	v_and_b32_e32 v7, 0x8000, v7
	v_and_b32_e32 v38, 0xfc00, v38
	s_delay_alu instid0(VALU_DEP_1)
	v_or3_b32 v38, v7, v38, v0
.LBB294_1581:                           ;   in Loop: Header=BB294_1574 Depth=1
	s_wait_alu 0xfffe
	s_or_b32 exec_lo, exec_lo, s15
.LBB294_1582:                           ;   in Loop: Header=BB294_1574 Depth=1
	s_wait_alu 0xfffe
	s_or_b32 exec_lo, exec_lo, s14
.LBB294_1583:                           ;   in Loop: Header=BB294_1574 Depth=1
	s_wait_alu 0xfffe
	s_or_b32 exec_lo, exec_lo, s0
	v_lshrrev_b16 v0, 8, v10
	s_mov_b32 s0, exec_lo
	s_delay_alu instid0(VALU_DEP_1)
	v_cmpx_ne_u16_e32 0, v0
	s_cbranch_execz .LBB294_1591
; %bb.1584:                             ;   in Loop: Header=BB294_1574 Depth=1
	v_bfrev_b32_e32 v37, 1
	s_mov_b32 s14, exec_lo
	v_cmpx_ne_u16_e32 0x80, v0
	s_cbranch_execz .LBB294_1590
; %bb.1585:                             ;   in Loop: Header=BB294_1574 Depth=1
	v_and_b32_e32 v39, 0xffff, v0
	v_mov_b32_e32 v37, 0x7c010000
	s_mov_b32 s15, exec_lo
	s_delay_alu instid0(VALU_DEP_2) | instskip(NEXT) | instid1(VALU_DEP_1)
	v_and_b32_e32 v51, 0x7f, v39
	v_cmpx_ne_u32_e32 0x7f, v51
	s_cbranch_execz .LBB294_1589
; %bb.1586:                             ;   in Loop: Header=BB294_1574 Depth=1
	v_and_b32_e32 v37, 7, v39
	v_lshrrev_b32_e32 v50, 3, v51
	s_mov_b32 s16, exec_lo
	v_cmpx_gt_u32_e32 8, v51
; %bb.1587:                             ;   in Loop: Header=BB294_1574 Depth=1
	s_delay_alu instid0(VALU_DEP_3) | instskip(NEXT) | instid1(VALU_DEP_1)
	v_clz_i32_u32_e32 v7, v37
	v_min_u32_e32 v7, 32, v7
	s_delay_alu instid0(VALU_DEP_1) | instskip(SKIP_1) | instid1(VALU_DEP_2)
	v_subrev_nc_u32_e32 v37, 28, v7
	v_sub_nc_u32_e32 v50, 29, v7
	v_lshlrev_b64_e32 v[83:84], v37, v[0:1]
	s_delay_alu instid0(VALU_DEP_1)
	v_and_b32_e32 v37, 7, v83
; %bb.1588:                             ;   in Loop: Header=BB294_1574 Depth=1
	s_wait_alu 0xfffe
	s_or_b32 exec_lo, exec_lo, s16
	v_lshlrev_b32_e32 v0, 8, v39
	v_lshl_add_u32 v7, v50, 10, 0x2000
	s_delay_alu instid0(VALU_DEP_1) | instskip(SKIP_1) | instid1(VALU_DEP_1)
	v_and_or_b32 v0, 0x8000, v0, v7
	v_lshlrev_b32_e32 v7, 23, v37
	v_lshl_or_b32 v37, v0, 16, v7
.LBB294_1589:                           ;   in Loop: Header=BB294_1574 Depth=1
	s_wait_alu 0xfffe
	s_or_b32 exec_lo, exec_lo, s15
.LBB294_1590:                           ;   in Loop: Header=BB294_1574 Depth=1
	s_wait_alu 0xfffe
	s_or_b32 exec_lo, exec_lo, s14
.LBB294_1591:                           ;   in Loop: Header=BB294_1574 Depth=1
	s_wait_alu 0xfffe
	s_or_b32 exec_lo, exec_lo, s0
	v_lshrrev_b32_e32 v0, 16, v10
	v_mov_b32_e32 v39, 0
	s_mov_b32 s0, exec_lo
	s_delay_alu instid0(VALU_DEP_2) | instskip(NEXT) | instid1(VALU_DEP_1)
	v_dual_mov_b32 v50, 0 :: v_dual_and_b32 v51, 0xff, v0
	v_cmpx_ne_u16_e32 0, v51
	s_cbranch_execz .LBB294_1599
; %bb.1592:                             ;   in Loop: Header=BB294_1574 Depth=1
	v_mov_b32_e32 v50, 0x8000
	s_mov_b32 s14, exec_lo
	v_cmpx_ne_u16_e32 0x80, v51
	s_cbranch_execz .LBB294_1598
; %bb.1593:                             ;   in Loop: Header=BB294_1574 Depth=1
	v_bfe_u32 v83, v10, 16, 7
	v_mov_b32_e32 v50, 0x7c01
	s_mov_b32 s15, exec_lo
	s_delay_alu instid0(VALU_DEP_2)
	v_cmpx_ne_u32_e32 0x7f, v83
	s_cbranch_execz .LBB294_1597
; %bb.1594:                             ;   in Loop: Header=BB294_1574 Depth=1
	v_and_b32_e32 v50, 7, v0
	v_lshrrev_b32_e32 v51, 3, v83
	s_mov_b32 s16, exec_lo
	v_cmpx_gt_u32_e32 8, v83
; %bb.1595:                             ;   in Loop: Header=BB294_1574 Depth=1
	s_delay_alu instid0(VALU_DEP_3) | instskip(NEXT) | instid1(VALU_DEP_1)
	v_clz_i32_u32_e32 v7, v50
	v_min_u32_e32 v7, 32, v7
	s_delay_alu instid0(VALU_DEP_1) | instskip(NEXT) | instid1(VALU_DEP_1)
	v_subrev_nc_u32_e32 v50, 28, v7
	v_lshlrev_b64_e32 v[50:51], v50, v[0:1]
	v_sub_nc_u32_e32 v51, 29, v7
	s_delay_alu instid0(VALU_DEP_2)
	v_and_b32_e32 v50, 7, v50
; %bb.1596:                             ;   in Loop: Header=BB294_1574 Depth=1
	s_wait_alu 0xfffe
	s_or_b32 exec_lo, exec_lo, s16
	v_lshlrev_b32_e32 v0, 8, v0
	v_lshl_add_u32 v7, v51, 10, 0x2000
	v_lshlrev_b32_e32 v50, 7, v50
	s_delay_alu instid0(VALU_DEP_3) | instskip(NEXT) | instid1(VALU_DEP_3)
	v_and_b32_e32 v0, 0x8000, v0
	v_and_b32_e32 v7, 0xfc00, v7
	s_delay_alu instid0(VALU_DEP_1)
	v_or3_b32 v50, v0, v7, v50
.LBB294_1597:                           ;   in Loop: Header=BB294_1574 Depth=1
	s_wait_alu 0xfffe
	s_or_b32 exec_lo, exec_lo, s15
.LBB294_1598:                           ;   in Loop: Header=BB294_1574 Depth=1
	s_wait_alu 0xfffe
	s_or_b32 exec_lo, exec_lo, s14
.LBB294_1599:                           ;   in Loop: Header=BB294_1574 Depth=1
	s_wait_alu 0xfffe
	s_or_b32 exec_lo, exec_lo, s0
	s_delay_alu instid0(SALU_CYCLE_1)
	s_mov_b32 s0, exec_lo
	v_cmpx_lt_u32_e32 0xffffff, v10
	s_cbranch_execz .LBB294_1607
; %bb.1600:                             ;   in Loop: Header=BB294_1574 Depth=1
	v_lshrrev_b32_e32 v0, 24, v10
	v_bfrev_b32_e32 v39, 1
	s_mov_b32 s14, exec_lo
	s_delay_alu instid0(VALU_DEP_2)
	v_cmpx_ne_u32_e32 0x80, v0
	s_cbranch_execz .LBB294_1606
; %bb.1601:                             ;   in Loop: Header=BB294_1574 Depth=1
	v_and_b32_e32 v83, 0x7f, v0
	v_mov_b32_e32 v39, 0x7c010000
	s_mov_b32 s15, exec_lo
	s_delay_alu instid0(VALU_DEP_2)
	v_cmpx_ne_u32_e32 0x7f, v83
	s_cbranch_execz .LBB294_1605
; %bb.1602:                             ;   in Loop: Header=BB294_1574 Depth=1
	v_and_b32_e32 v39, 7, v0
	v_lshrrev_b32_e32 v51, 3, v83
	s_mov_b32 s16, exec_lo
	v_cmpx_gt_u32_e32 8, v83
; %bb.1603:                             ;   in Loop: Header=BB294_1574 Depth=1
	s_delay_alu instid0(VALU_DEP_3) | instskip(NEXT) | instid1(VALU_DEP_1)
	v_clz_i32_u32_e32 v7, v39
	v_min_u32_e32 v7, 32, v7
	s_delay_alu instid0(VALU_DEP_1) | instskip(SKIP_1) | instid1(VALU_DEP_2)
	v_subrev_nc_u32_e32 v39, 28, v7
	v_sub_nc_u32_e32 v51, 29, v7
	v_lshlrev_b64_e32 v[83:84], v39, v[0:1]
	s_delay_alu instid0(VALU_DEP_1)
	v_and_b32_e32 v39, 7, v83
; %bb.1604:                             ;   in Loop: Header=BB294_1574 Depth=1
	s_wait_alu 0xfffe
	s_or_b32 exec_lo, exec_lo, s16
	v_lshlrev_b32_e32 v0, 8, v0
	v_lshl_add_u32 v7, v51, 10, 0x2000
	s_delay_alu instid0(VALU_DEP_1) | instskip(SKIP_1) | instid1(VALU_DEP_1)
	v_and_or_b32 v0, 0x8000, v0, v7
	v_lshlrev_b32_e32 v7, 23, v39
	v_lshl_or_b32 v39, v0, 16, v7
.LBB294_1605:                           ;   in Loop: Header=BB294_1574 Depth=1
	s_wait_alu 0xfffe
	s_or_b32 exec_lo, exec_lo, s15
.LBB294_1606:                           ;   in Loop: Header=BB294_1574 Depth=1
	s_wait_alu 0xfffe
	s_or_b32 exec_lo, exec_lo, s14
.LBB294_1607:                           ;   in Loop: Header=BB294_1574 Depth=1
	s_wait_alu 0xfffe
	s_or_b32 exec_lo, exec_lo, s0
	v_dual_mov_b32 v51, 0 :: v_dual_and_b32 v84, 0xff, v11
	v_dual_mov_b32 v0, v11 :: v_dual_mov_b32 v83, 0
	s_mov_b32 s0, exec_lo
	s_delay_alu instid0(VALU_DEP_2)
	v_cmpx_ne_u16_e32 0, v84
	s_cbranch_execz .LBB294_1615
; %bb.1608:                             ;   in Loop: Header=BB294_1574 Depth=1
	v_mov_b32_e32 v83, 0x8000
	s_mov_b32 s14, exec_lo
	v_cmpx_ne_u16_e32 0x80, v84
	s_cbranch_execz .LBB294_1614
; %bb.1609:                             ;   in Loop: Header=BB294_1574 Depth=1
	v_and_b32_e32 v85, 0x7f, v11
	v_mov_b32_e32 v83, 0x7c01
	s_mov_b32 s15, exec_lo
	s_delay_alu instid0(VALU_DEP_2)
	v_cmpx_ne_u32_e32 0x7f, v85
	s_cbranch_execz .LBB294_1613
; %bb.1610:                             ;   in Loop: Header=BB294_1574 Depth=1
	v_and_b32_e32 v83, 7, v11
	v_lshrrev_b32_e32 v84, 3, v85
	s_mov_b32 s16, exec_lo
	v_cmpx_gt_u32_e32 8, v85
; %bb.1611:                             ;   in Loop: Header=BB294_1574 Depth=1
	s_delay_alu instid0(VALU_DEP_3) | instskip(NEXT) | instid1(VALU_DEP_1)
	v_clz_i32_u32_e32 v7, v83
	v_min_u32_e32 v7, 32, v7
	s_delay_alu instid0(VALU_DEP_1) | instskip(NEXT) | instid1(VALU_DEP_1)
	v_subrev_nc_u32_e32 v83, 28, v7
	v_lshlrev_b64_e32 v[83:84], v83, v[0:1]
	v_sub_nc_u32_e32 v84, 29, v7
	s_delay_alu instid0(VALU_DEP_2)
	v_and_b32_e32 v83, 7, v83
; %bb.1612:                             ;   in Loop: Header=BB294_1574 Depth=1
	s_wait_alu 0xfffe
	s_or_b32 exec_lo, exec_lo, s16
	v_lshlrev_b32_e32 v7, 8, v11
	v_lshl_add_u32 v84, v84, 10, 0x2000
	v_lshlrev_b32_e32 v83, 7, v83
	s_delay_alu instid0(VALU_DEP_3) | instskip(NEXT) | instid1(VALU_DEP_3)
	v_and_b32_e32 v7, 0x8000, v7
	v_and_b32_e32 v84, 0xfc00, v84
	s_delay_alu instid0(VALU_DEP_1)
	v_or3_b32 v83, v7, v84, v83
.LBB294_1613:                           ;   in Loop: Header=BB294_1574 Depth=1
	s_wait_alu 0xfffe
	s_or_b32 exec_lo, exec_lo, s15
.LBB294_1614:                           ;   in Loop: Header=BB294_1574 Depth=1
	s_wait_alu 0xfffe
	s_or_b32 exec_lo, exec_lo, s14
.LBB294_1615:                           ;   in Loop: Header=BB294_1574 Depth=1
	s_wait_alu 0xfffe
	s_or_b32 exec_lo, exec_lo, s0
	v_lshrrev_b16 v0, 8, v0
	v_mov_b32_e32 v84, 0
	s_mov_b32 s0, exec_lo
	s_delay_alu instid0(VALU_DEP_2)
	v_cmpx_ne_u16_e32 0, v0
	s_cbranch_execz .LBB294_1623
; %bb.1616:                             ;   in Loop: Header=BB294_1574 Depth=1
	v_bfrev_b32_e32 v84, 1
	s_mov_b32 s14, exec_lo
	v_cmpx_ne_u16_e32 0x80, v0
	s_cbranch_execz .LBB294_1622
; %bb.1617:                             ;   in Loop: Header=BB294_1574 Depth=1
	v_and_b32_e32 v85, 0xffff, v0
	v_mov_b32_e32 v84, 0x7c010000
	s_mov_b32 s15, exec_lo
	s_delay_alu instid0(VALU_DEP_2) | instskip(NEXT) | instid1(VALU_DEP_1)
	v_and_b32_e32 v87, 0x7f, v85
	v_cmpx_ne_u32_e32 0x7f, v87
	s_cbranch_execz .LBB294_1621
; %bb.1618:                             ;   in Loop: Header=BB294_1574 Depth=1
	v_and_b32_e32 v84, 7, v85
	v_lshrrev_b32_e32 v86, 3, v87
	s_mov_b32 s16, exec_lo
	v_cmpx_gt_u32_e32 8, v87
; %bb.1619:                             ;   in Loop: Header=BB294_1574 Depth=1
	s_delay_alu instid0(VALU_DEP_3) | instskip(NEXT) | instid1(VALU_DEP_1)
	v_clz_i32_u32_e32 v7, v84
	v_min_u32_e32 v7, 32, v7
	s_delay_alu instid0(VALU_DEP_1) | instskip(SKIP_1) | instid1(VALU_DEP_2)
	v_subrev_nc_u32_e32 v84, 28, v7
	v_sub_nc_u32_e32 v86, 29, v7
	v_lshlrev_b64_e32 v[96:97], v84, v[0:1]
	s_delay_alu instid0(VALU_DEP_1)
	v_and_b32_e32 v84, 7, v96
; %bb.1620:                             ;   in Loop: Header=BB294_1574 Depth=1
	s_wait_alu 0xfffe
	s_or_b32 exec_lo, exec_lo, s16
	v_lshlrev_b32_e32 v0, 8, v85
	v_lshl_add_u32 v7, v86, 10, 0x2000
	s_delay_alu instid0(VALU_DEP_1) | instskip(SKIP_1) | instid1(VALU_DEP_1)
	v_and_or_b32 v0, 0x8000, v0, v7
	v_lshlrev_b32_e32 v7, 23, v84
	v_lshl_or_b32 v84, v0, 16, v7
.LBB294_1621:                           ;   in Loop: Header=BB294_1574 Depth=1
	s_wait_alu 0xfffe
	s_or_b32 exec_lo, exec_lo, s15
.LBB294_1622:                           ;   in Loop: Header=BB294_1574 Depth=1
	s_wait_alu 0xfffe
	s_or_b32 exec_lo, exec_lo, s14
.LBB294_1623:                           ;   in Loop: Header=BB294_1574 Depth=1
	s_wait_alu 0xfffe
	s_or_b32 exec_lo, exec_lo, s0
	v_lshrrev_b32_e32 v0, 16, v11
	s_mov_b32 s0, exec_lo
	s_delay_alu instid0(VALU_DEP_1) | instskip(NEXT) | instid1(VALU_DEP_1)
	v_and_b32_e32 v85, 0xff, v0
	v_cmpx_ne_u16_e32 0, v85
	s_cbranch_execz .LBB294_1631
; %bb.1624:                             ;   in Loop: Header=BB294_1574 Depth=1
	v_mov_b32_e32 v51, 0x8000
	s_mov_b32 s14, exec_lo
	v_cmpx_ne_u16_e32 0x80, v85
	s_cbranch_execz .LBB294_1630
; %bb.1625:                             ;   in Loop: Header=BB294_1574 Depth=1
	v_bfe_u32 v86, v11, 16, 7
	v_mov_b32_e32 v51, 0x7c01
	s_mov_b32 s15, exec_lo
	s_delay_alu instid0(VALU_DEP_2)
	v_cmpx_ne_u32_e32 0x7f, v86
	s_cbranch_execz .LBB294_1629
; %bb.1626:                             ;   in Loop: Header=BB294_1574 Depth=1
	v_and_b32_e32 v51, 7, v0
	v_lshrrev_b32_e32 v85, 3, v86
	s_mov_b32 s16, exec_lo
	v_cmpx_gt_u32_e32 8, v86
; %bb.1627:                             ;   in Loop: Header=BB294_1574 Depth=1
	s_delay_alu instid0(VALU_DEP_3) | instskip(NEXT) | instid1(VALU_DEP_1)
	v_clz_i32_u32_e32 v7, v51
	v_min_u32_e32 v7, 32, v7
	s_delay_alu instid0(VALU_DEP_1) | instskip(SKIP_1) | instid1(VALU_DEP_2)
	v_subrev_nc_u32_e32 v51, 28, v7
	v_sub_nc_u32_e32 v85, 29, v7
	v_lshlrev_b64_e32 v[86:87], v51, v[0:1]
	s_delay_alu instid0(VALU_DEP_1)
	v_and_b32_e32 v51, 7, v86
; %bb.1628:                             ;   in Loop: Header=BB294_1574 Depth=1
	s_wait_alu 0xfffe
	s_or_b32 exec_lo, exec_lo, s16
	v_lshlrev_b32_e32 v0, 8, v0
	v_lshl_add_u32 v7, v85, 10, 0x2000
	v_lshlrev_b32_e32 v51, 7, v51
	s_delay_alu instid0(VALU_DEP_3) | instskip(NEXT) | instid1(VALU_DEP_3)
	v_and_b32_e32 v0, 0x8000, v0
	v_and_b32_e32 v7, 0xfc00, v7
	s_delay_alu instid0(VALU_DEP_1)
	v_or3_b32 v51, v0, v7, v51
.LBB294_1629:                           ;   in Loop: Header=BB294_1574 Depth=1
	s_wait_alu 0xfffe
	s_or_b32 exec_lo, exec_lo, s15
.LBB294_1630:                           ;   in Loop: Header=BB294_1574 Depth=1
	s_wait_alu 0xfffe
	s_or_b32 exec_lo, exec_lo, s14
.LBB294_1631:                           ;   in Loop: Header=BB294_1574 Depth=1
	s_wait_alu 0xfffe
	s_or_b32 exec_lo, exec_lo, s0
	v_cmp_lt_u64_e32 vcc_lo, s[8:9], v[10:11]
	v_mov_b32_e32 v10, 0
	s_and_saveexec_b32 s0, vcc_lo
	s_cbranch_execz .LBB294_1639
; %bb.1632:                             ;   in Loop: Header=BB294_1574 Depth=1
	v_lshrrev_b32_e32 v0, 24, v11
	v_bfrev_b32_e32 v10, 1
	s_mov_b32 s14, exec_lo
	s_delay_alu instid0(VALU_DEP_2)
	v_cmpx_ne_u32_e32 0x80, v0
	s_cbranch_execz .LBB294_1638
; %bb.1633:                             ;   in Loop: Header=BB294_1574 Depth=1
	v_and_b32_e32 v85, 0x7f, v0
	v_mov_b32_e32 v10, 0x7c010000
	s_mov_b32 s15, exec_lo
	s_delay_alu instid0(VALU_DEP_2)
	v_cmpx_ne_u32_e32 0x7f, v85
	s_cbranch_execz .LBB294_1637
; %bb.1634:                             ;   in Loop: Header=BB294_1574 Depth=1
	v_and_b32_e32 v10, 7, v0
	v_lshrrev_b32_e32 v11, 3, v85
	s_mov_b32 s16, exec_lo
	v_cmpx_gt_u32_e32 8, v85
; %bb.1635:                             ;   in Loop: Header=BB294_1574 Depth=1
	s_delay_alu instid0(VALU_DEP_3) | instskip(NEXT) | instid1(VALU_DEP_1)
	v_clz_i32_u32_e32 v7, v10
	v_min_u32_e32 v7, 32, v7
	s_delay_alu instid0(VALU_DEP_1) | instskip(NEXT) | instid1(VALU_DEP_1)
	v_subrev_nc_u32_e32 v10, 28, v7
	v_lshlrev_b64_e32 v[10:11], v10, v[0:1]
	v_sub_nc_u32_e32 v11, 29, v7
	s_delay_alu instid0(VALU_DEP_2)
	v_and_b32_e32 v10, 7, v10
; %bb.1636:                             ;   in Loop: Header=BB294_1574 Depth=1
	s_wait_alu 0xfffe
	s_or_b32 exec_lo, exec_lo, s16
	v_lshlrev_b32_e32 v0, 8, v0
	v_lshl_add_u32 v7, v11, 10, 0x2000
	s_delay_alu instid0(VALU_DEP_1) | instskip(SKIP_1) | instid1(VALU_DEP_1)
	v_and_or_b32 v0, 0x8000, v0, v7
	v_lshlrev_b32_e32 v7, 23, v10
	v_lshl_or_b32 v10, v0, 16, v7
.LBB294_1637:                           ;   in Loop: Header=BB294_1574 Depth=1
	s_wait_alu 0xfffe
	s_or_b32 exec_lo, exec_lo, s15
.LBB294_1638:                           ;   in Loop: Header=BB294_1574 Depth=1
	s_wait_alu 0xfffe
	s_or_b32 exec_lo, exec_lo, s14
.LBB294_1639:                           ;   in Loop: Header=BB294_1574 Depth=1
	s_wait_alu 0xfffe
	s_or_b32 exec_lo, exec_lo, s0
	v_or_b32_e32 v0, v39, v50
	s_wait_loadcnt_dscnt 0x0
	v_fma_mixlo_f16 v7, v36, v39, 0 op_sel:[0,1,0] op_sel_hi:[0,1,0]
	v_or_b32_e32 v38, v37, v38
	v_fma_mixlo_f16 v37, v36, v37, 0 op_sel:[0,1,0] op_sel_hi:[0,1,0]
	v_or_b32_e32 v50, v84, v83
	v_fma_mixlo_f16 v0, v36, v0, 0 op_sel_hi:[0,1,0]
	v_or_b32_e32 v51, v10, v51
	v_lshlrev_b32_e32 v11, 16, v7
	v_lshlrev_b32_e32 v83, 16, v37
	v_fma_mixlo_f16 v7, v36, v38, 0 op_sel_hi:[0,1,0]
	v_and_b32_e32 v39, 0xffff, v0
	v_fma_mixlo_f16 v0, v36, v84, 0 op_sel:[0,1,0] op_sel_hi:[0,1,0]
	v_fma_mixlo_f16 v37, v36, v50, 0 op_sel_hi:[0,1,0]
	v_fma_mixlo_f16 v10, v36, v10, 0 op_sel:[0,1,0] op_sel_hi:[0,1,0]
	v_fma_mixlo_f16 v36, v36, v51, 0 op_sel_hi:[0,1,0]
	v_and_b32_e32 v85, 0xffff, v7
	v_lshlrev_b32_e32 v50, 16, v0
	v_and_b32_e32 v84, 0xffff, v37
	v_lshlrev_b32_e32 v37, 16, v10
	v_and_b32_e32 v51, 0xffff, v36
	v_cmp_eq_u32_e32 vcc_lo, v72, v16
	v_or_b32_e32 v0, v11, v39
	v_or_b32_e32 v10, v83, v85
	;; [unrolled: 1-line block ×11, first 2 shown]
	s_and_saveexec_b32 s14, vcc_lo
	s_cbranch_execz .LBB294_1641
; %bb.1640:                             ;   in Loop: Header=BB294_1574 Depth=1
	v_cmp_lt_i32_e64 s0, v49, v34
	s_wait_alu 0xf1ff
	s_delay_alu instid0(VALU_DEP_1) | instskip(SKIP_2) | instid1(VALU_DEP_1)
	v_cndmask_b32_e64 v0, 0, v85, s0
	v_cmp_lt_i32_e64 s0, v101, v34
	s_wait_alu 0xf1ff
	v_cndmask_b32_e64 v7, 0, v83, s0
	v_cmp_lt_i32_e64 s0, v100, v34
	s_delay_alu instid0(VALU_DEP_2) | instskip(SKIP_1) | instid1(VALU_DEP_2)
	v_or_b32_e32 v10, v0, v7
	s_wait_alu 0xf1ff
	v_cndmask_b32_e64 v36, 0, v39, s0
	v_cmp_lt_i32_e64 s0, v99, v34
	s_wait_alu 0xf1ff
	s_delay_alu instid0(VALU_DEP_1) | instskip(SKIP_1) | instid1(VALU_DEP_2)
	v_cndmask_b32_e64 v11, 0, v11, s0
	v_cmp_lt_i32_e64 s0, v98, v34
	v_or_b32_e32 v0, v36, v11
	s_wait_alu 0xf1ff
	s_delay_alu instid0(VALU_DEP_2) | instskip(SKIP_2) | instid1(VALU_DEP_1)
	v_cndmask_b32_e64 v38, 0, v84, s0
	v_cmp_lt_i32_e64 s0, v97, v34
	s_wait_alu 0xf1ff
	v_cndmask_b32_e64 v39, 0, v50, s0
	v_cmp_lt_i32_e64 s0, v96, v34
	s_delay_alu instid0(VALU_DEP_2) | instskip(SKIP_1) | instid1(VALU_DEP_2)
	v_or_b32_e32 v36, v38, v39
	s_wait_alu 0xf1ff
	v_cndmask_b32_e64 v50, 0, v51, s0
	v_cmp_lt_i32_e64 s0, v87, v34
	s_wait_alu 0xf1ff
	s_delay_alu instid0(VALU_DEP_1) | instskip(NEXT) | instid1(VALU_DEP_1)
	v_cndmask_b32_e64 v37, 0, v37, s0
	v_or_b32_e32 v38, v50, v37
.LBB294_1641:                           ;   in Loop: Header=BB294_1574 Depth=1
	s_wait_alu 0xfffe
	s_or_b32 exec_lo, exec_lo, s14
	v_and_b32_e32 v4, 0xffff, v4
	v_and_b32_e32 v7, 0xffff, v23
	;; [unrolled: 1-line block ×4, first 2 shown]
	s_mov_b32 s14, exec_lo
	v_lshl_or_b32 v86, v5, 16, v4
	v_lshl_or_b32 v85, v6, 16, v7
	;;#ASMSTART
	v_pk_mul_f16 v4, v86, v10;

	;;#ASMEND
	;;#ASMSTART
	v_pk_mul_f16 v0, v85, v0;

	;;#ASMEND
	v_lshl_or_b32 v84, v12, 16, v11
	v_lshl_or_b32 v83, v22, 16, v23
	;;#ASMSTART
	v_pk_mul_f16 v5, v84, v36;

	;;#ASMEND
	;;#ASMSTART
	v_pk_mul_f16 v6, v83, v38;

	;;#ASMEND
	;;#ASMSTART
	v_pk_add_f16 v0, v4, v0;

	;;#ASMEND
	;;#ASMSTART
	v_pk_add_f16 v0, v0, v5;
	;; [unrolled: 4-line block ×3, first 2 shown]

	;;#ASMEND
	v_and_b32_e32 v4, 0xffff, v0
	v_lshrrev_b32_e32 v0, 16, v0
	;;#ASMSTART
	v_cvt_f32_f16 v50, v4;
	;;#ASMEND
	;;#ASMSTART
	v_cvt_f32_f16 v51, v0;
	;;#ASMEND
	flat_load_b64 v[10:11], v[8:9] offset:256
	flat_load_b32 v4, v[26:27]
	v_dual_mov_b32 v5, 0 :: v_dual_mov_b32 v6, 0
	s_wait_loadcnt_dscnt 0x101
	v_and_b32_e32 v0, 0xff, v10
	s_delay_alu instid0(VALU_DEP_1)
	v_cmpx_ne_u16_e32 0, v0
	s_cbranch_execz .LBB294_1649
; %bb.1642:                             ;   in Loop: Header=BB294_1574 Depth=1
	v_mov_b32_e32 v6, 0x8000
	s_mov_b32 s15, exec_lo
	v_cmpx_ne_u16_e32 0x80, v0
	s_cbranch_execz .LBB294_1648
; %bb.1643:                             ;   in Loop: Header=BB294_1574 Depth=1
	v_and_b32_e32 v12, 0x7f, v10
	v_mov_b32_e32 v6, 0x7c01
	s_mov_b32 s16, exec_lo
	s_delay_alu instid0(VALU_DEP_2)
	v_cmpx_ne_u32_e32 0x7f, v12
	s_cbranch_execz .LBB294_1647
; %bb.1644:                             ;   in Loop: Header=BB294_1574 Depth=1
	v_and_b32_e32 v0, 7, v10
	v_lshrrev_b32_e32 v6, 3, v12
	s_mov_b32 s17, exec_lo
	v_cmpx_gt_u32_e32 8, v12
; %bb.1645:                             ;   in Loop: Header=BB294_1574 Depth=1
	s_delay_alu instid0(VALU_DEP_3) | instskip(NEXT) | instid1(VALU_DEP_1)
	v_clz_i32_u32_e32 v0, v0
	v_min_u32_e32 v0, 32, v0
	s_delay_alu instid0(VALU_DEP_1) | instskip(NEXT) | instid1(VALU_DEP_1)
	v_subrev_nc_u32_e32 v6, 28, v0
	v_lshlrev_b64_e32 v[22:23], v6, v[10:11]
	v_sub_nc_u32_e32 v6, 29, v0
	s_delay_alu instid0(VALU_DEP_2)
	v_and_b32_e32 v0, 7, v22
; %bb.1646:                             ;   in Loop: Header=BB294_1574 Depth=1
	s_wait_alu 0xfffe
	s_or_b32 exec_lo, exec_lo, s17
	v_lshlrev_b32_e32 v7, 8, v10
	v_lshl_add_u32 v6, v6, 10, 0x2000
	v_lshlrev_b32_e32 v0, 7, v0
	s_delay_alu instid0(VALU_DEP_3) | instskip(NEXT) | instid1(VALU_DEP_3)
	v_and_b32_e32 v7, 0x8000, v7
	v_and_b32_e32 v6, 0xfc00, v6
	s_delay_alu instid0(VALU_DEP_1)
	v_or3_b32 v6, v7, v6, v0
.LBB294_1647:                           ;   in Loop: Header=BB294_1574 Depth=1
	s_wait_alu 0xfffe
	s_or_b32 exec_lo, exec_lo, s16
.LBB294_1648:                           ;   in Loop: Header=BB294_1574 Depth=1
	s_wait_alu 0xfffe
	s_or_b32 exec_lo, exec_lo, s15
.LBB294_1649:                           ;   in Loop: Header=BB294_1574 Depth=1
	s_wait_alu 0xfffe
	s_or_b32 exec_lo, exec_lo, s14
	v_lshrrev_b16 v0, 8, v10
	s_mov_b32 s14, exec_lo
	s_delay_alu instid0(VALU_DEP_1)
	v_cmpx_ne_u16_e32 0, v0
	s_cbranch_execz .LBB294_1657
; %bb.1650:                             ;   in Loop: Header=BB294_1574 Depth=1
	v_bfrev_b32_e32 v5, 1
	s_mov_b32 s15, exec_lo
	v_cmpx_ne_u16_e32 0x80, v0
	s_cbranch_execz .LBB294_1656
; %bb.1651:                             ;   in Loop: Header=BB294_1574 Depth=1
	v_and_b32_e32 v12, 0xffff, v0
	v_mov_b32_e32 v5, 0x7c010000
	s_mov_b32 s16, exec_lo
	s_delay_alu instid0(VALU_DEP_2) | instskip(NEXT) | instid1(VALU_DEP_1)
	v_and_b32_e32 v23, 0x7f, v12
	v_cmpx_ne_u32_e32 0x7f, v23
	s_cbranch_execz .LBB294_1655
; %bb.1652:                             ;   in Loop: Header=BB294_1574 Depth=1
	v_and_b32_e32 v5, 7, v12
	v_lshrrev_b32_e32 v22, 3, v23
	s_mov_b32 s17, exec_lo
	v_cmpx_gt_u32_e32 8, v23
; %bb.1653:                             ;   in Loop: Header=BB294_1574 Depth=1
	s_delay_alu instid0(VALU_DEP_3) | instskip(NEXT) | instid1(VALU_DEP_1)
	v_clz_i32_u32_e32 v5, v5
	v_min_u32_e32 v5, 32, v5
	s_delay_alu instid0(VALU_DEP_1) | instskip(SKIP_1) | instid1(VALU_DEP_2)
	v_subrev_nc_u32_e32 v7, 28, v5
	v_sub_nc_u32_e32 v22, 29, v5
	v_lshlrev_b64_e32 v[35:36], v7, v[0:1]
	s_delay_alu instid0(VALU_DEP_1)
	v_and_b32_e32 v5, 7, v35
; %bb.1654:                             ;   in Loop: Header=BB294_1574 Depth=1
	s_wait_alu 0xfffe
	s_or_b32 exec_lo, exec_lo, s17
	v_lshlrev_b32_e32 v0, 8, v12
	v_lshl_add_u32 v7, v22, 10, 0x2000
	v_lshlrev_b32_e32 v5, 23, v5
	s_delay_alu instid0(VALU_DEP_2) | instskip(NEXT) | instid1(VALU_DEP_1)
	v_and_or_b32 v0, 0x8000, v0, v7
	v_lshl_or_b32 v5, v0, 16, v5
.LBB294_1655:                           ;   in Loop: Header=BB294_1574 Depth=1
	s_wait_alu 0xfffe
	s_or_b32 exec_lo, exec_lo, s16
.LBB294_1656:                           ;   in Loop: Header=BB294_1574 Depth=1
	s_wait_alu 0xfffe
	s_or_b32 exec_lo, exec_lo, s15
.LBB294_1657:                           ;   in Loop: Header=BB294_1574 Depth=1
	s_wait_alu 0xfffe
	s_or_b32 exec_lo, exec_lo, s14
	v_lshrrev_b32_e32 v0, 16, v10
	v_mov_b32_e32 v22, 0
	s_mov_b32 s14, exec_lo
	s_delay_alu instid0(VALU_DEP_2) | instskip(NEXT) | instid1(VALU_DEP_1)
	v_dual_mov_b32 v12, 0 :: v_dual_and_b32 v23, 0xff, v0
	v_cmpx_ne_u16_e32 0, v23
	s_cbranch_execz .LBB294_1665
; %bb.1658:                             ;   in Loop: Header=BB294_1574 Depth=1
	v_mov_b32_e32 v22, 0x8000
	s_mov_b32 s15, exec_lo
	v_cmpx_ne_u16_e32 0x80, v23
	s_cbranch_execz .LBB294_1664
; %bb.1659:                             ;   in Loop: Header=BB294_1574 Depth=1
	v_bfe_u32 v33, v10, 16, 7
	v_mov_b32_e32 v22, 0x7c01
	s_mov_b32 s16, exec_lo
	s_delay_alu instid0(VALU_DEP_2)
	v_cmpx_ne_u32_e32 0x7f, v33
	s_cbranch_execz .LBB294_1663
; %bb.1660:                             ;   in Loop: Header=BB294_1574 Depth=1
	v_and_b32_e32 v22, 7, v0
	v_lshrrev_b32_e32 v23, 3, v33
	s_mov_b32 s17, exec_lo
	v_cmpx_gt_u32_e32 8, v33
; %bb.1661:                             ;   in Loop: Header=BB294_1574 Depth=1
	s_delay_alu instid0(VALU_DEP_3) | instskip(NEXT) | instid1(VALU_DEP_1)
	v_clz_i32_u32_e32 v7, v22
	v_min_u32_e32 v7, 32, v7
	s_delay_alu instid0(VALU_DEP_1) | instskip(NEXT) | instid1(VALU_DEP_1)
	v_subrev_nc_u32_e32 v22, 28, v7
	v_lshlrev_b64_e32 v[22:23], v22, v[0:1]
	v_sub_nc_u32_e32 v23, 29, v7
	s_delay_alu instid0(VALU_DEP_2)
	v_and_b32_e32 v22, 7, v22
; %bb.1662:                             ;   in Loop: Header=BB294_1574 Depth=1
	s_wait_alu 0xfffe
	s_or_b32 exec_lo, exec_lo, s17
	v_lshlrev_b32_e32 v0, 8, v0
	v_lshl_add_u32 v7, v23, 10, 0x2000
	v_lshlrev_b32_e32 v22, 7, v22
	s_delay_alu instid0(VALU_DEP_3) | instskip(NEXT) | instid1(VALU_DEP_3)
	v_and_b32_e32 v0, 0x8000, v0
	v_and_b32_e32 v7, 0xfc00, v7
	s_delay_alu instid0(VALU_DEP_1)
	v_or3_b32 v22, v0, v7, v22
.LBB294_1663:                           ;   in Loop: Header=BB294_1574 Depth=1
	s_wait_alu 0xfffe
	s_or_b32 exec_lo, exec_lo, s16
.LBB294_1664:                           ;   in Loop: Header=BB294_1574 Depth=1
	s_wait_alu 0xfffe
	s_or_b32 exec_lo, exec_lo, s15
.LBB294_1665:                           ;   in Loop: Header=BB294_1574 Depth=1
	s_wait_alu 0xfffe
	s_or_b32 exec_lo, exec_lo, s14
	s_delay_alu instid0(SALU_CYCLE_1)
	s_mov_b32 s14, exec_lo
	v_cmpx_lt_u32_e32 0xffffff, v10
	s_cbranch_execz .LBB294_1673
; %bb.1666:                             ;   in Loop: Header=BB294_1574 Depth=1
	v_lshrrev_b32_e32 v0, 24, v10
	v_bfrev_b32_e32 v12, 1
	s_mov_b32 s15, exec_lo
	s_delay_alu instid0(VALU_DEP_2)
	v_cmpx_ne_u32_e32 0x80, v0
	s_cbranch_execz .LBB294_1672
; %bb.1667:                             ;   in Loop: Header=BB294_1574 Depth=1
	v_and_b32_e32 v33, 0x7f, v0
	v_mov_b32_e32 v12, 0x7c010000
	s_mov_b32 s16, exec_lo
	s_delay_alu instid0(VALU_DEP_2)
	v_cmpx_ne_u32_e32 0x7f, v33
	s_cbranch_execz .LBB294_1671
; %bb.1668:                             ;   in Loop: Header=BB294_1574 Depth=1
	v_and_b32_e32 v12, 7, v0
	v_lshrrev_b32_e32 v23, 3, v33
	s_mov_b32 s17, exec_lo
	v_cmpx_gt_u32_e32 8, v33
; %bb.1669:                             ;   in Loop: Header=BB294_1574 Depth=1
	s_delay_alu instid0(VALU_DEP_3) | instskip(NEXT) | instid1(VALU_DEP_1)
	v_clz_i32_u32_e32 v7, v12
	v_min_u32_e32 v7, 32, v7
	s_delay_alu instid0(VALU_DEP_1) | instskip(SKIP_1) | instid1(VALU_DEP_2)
	v_subrev_nc_u32_e32 v12, 28, v7
	v_sub_nc_u32_e32 v23, 29, v7
	v_lshlrev_b64_e32 v[35:36], v12, v[0:1]
	s_delay_alu instid0(VALU_DEP_1)
	v_and_b32_e32 v12, 7, v35
; %bb.1670:                             ;   in Loop: Header=BB294_1574 Depth=1
	s_wait_alu 0xfffe
	s_or_b32 exec_lo, exec_lo, s17
	v_lshlrev_b32_e32 v0, 8, v0
	v_lshl_add_u32 v7, v23, 10, 0x2000
	s_delay_alu instid0(VALU_DEP_1) | instskip(SKIP_1) | instid1(VALU_DEP_1)
	v_and_or_b32 v0, 0x8000, v0, v7
	v_lshlrev_b32_e32 v7, 23, v12
	v_lshl_or_b32 v12, v0, 16, v7
.LBB294_1671:                           ;   in Loop: Header=BB294_1574 Depth=1
	s_wait_alu 0xfffe
	s_or_b32 exec_lo, exec_lo, s16
.LBB294_1672:                           ;   in Loop: Header=BB294_1574 Depth=1
	s_wait_alu 0xfffe
	s_or_b32 exec_lo, exec_lo, s15
.LBB294_1673:                           ;   in Loop: Header=BB294_1574 Depth=1
	s_wait_alu 0xfffe
	s_or_b32 exec_lo, exec_lo, s14
	v_dual_mov_b32 v0, v11 :: v_dual_and_b32 v35, 0xff, v11
	v_mov_b32_e32 v23, 0
	v_mov_b32_e32 v33, 0
	s_mov_b32 s14, exec_lo
	s_delay_alu instid0(VALU_DEP_3)
	v_cmpx_ne_u16_e32 0, v35
	s_cbranch_execz .LBB294_1681
; %bb.1674:                             ;   in Loop: Header=BB294_1574 Depth=1
	v_mov_b32_e32 v33, 0x8000
	s_mov_b32 s15, exec_lo
	v_cmpx_ne_u16_e32 0x80, v35
	s_cbranch_execz .LBB294_1680
; %bb.1675:                             ;   in Loop: Header=BB294_1574 Depth=1
	v_and_b32_e32 v36, 0x7f, v11
	v_mov_b32_e32 v33, 0x7c01
	s_mov_b32 s16, exec_lo
	s_delay_alu instid0(VALU_DEP_2)
	v_cmpx_ne_u32_e32 0x7f, v36
	s_cbranch_execz .LBB294_1679
; %bb.1676:                             ;   in Loop: Header=BB294_1574 Depth=1
	v_and_b32_e32 v33, 7, v11
	v_lshrrev_b32_e32 v35, 3, v36
	s_mov_b32 s17, exec_lo
	v_cmpx_gt_u32_e32 8, v36
; %bb.1677:                             ;   in Loop: Header=BB294_1574 Depth=1
	s_delay_alu instid0(VALU_DEP_3) | instskip(NEXT) | instid1(VALU_DEP_1)
	v_clz_i32_u32_e32 v7, v33
	v_min_u32_e32 v7, 32, v7
	s_delay_alu instid0(VALU_DEP_1) | instskip(SKIP_1) | instid1(VALU_DEP_2)
	v_subrev_nc_u32_e32 v33, 28, v7
	v_sub_nc_u32_e32 v35, 29, v7
	v_lshlrev_b64_e32 v[36:37], v33, v[0:1]
	s_delay_alu instid0(VALU_DEP_1)
	v_and_b32_e32 v33, 7, v36
; %bb.1678:                             ;   in Loop: Header=BB294_1574 Depth=1
	s_wait_alu 0xfffe
	s_or_b32 exec_lo, exec_lo, s17
	v_lshlrev_b32_e32 v7, 8, v11
	v_lshl_add_u32 v35, v35, 10, 0x2000
	v_lshlrev_b32_e32 v33, 7, v33
	s_delay_alu instid0(VALU_DEP_3) | instskip(NEXT) | instid1(VALU_DEP_3)
	v_and_b32_e32 v7, 0x8000, v7
	v_and_b32_e32 v35, 0xfc00, v35
	s_delay_alu instid0(VALU_DEP_1)
	v_or3_b32 v33, v7, v35, v33
.LBB294_1679:                           ;   in Loop: Header=BB294_1574 Depth=1
	s_wait_alu 0xfffe
	s_or_b32 exec_lo, exec_lo, s16
.LBB294_1680:                           ;   in Loop: Header=BB294_1574 Depth=1
	s_wait_alu 0xfffe
	s_or_b32 exec_lo, exec_lo, s15
.LBB294_1681:                           ;   in Loop: Header=BB294_1574 Depth=1
	s_wait_alu 0xfffe
	s_or_b32 exec_lo, exec_lo, s14
	v_lshrrev_b16 v0, 8, v0
	v_mov_b32_e32 v35, 0
	s_mov_b32 s14, exec_lo
	s_delay_alu instid0(VALU_DEP_2)
	v_cmpx_ne_u16_e32 0, v0
	s_cbranch_execz .LBB294_1689
; %bb.1682:                             ;   in Loop: Header=BB294_1574 Depth=1
	v_bfrev_b32_e32 v35, 1
	s_mov_b32 s15, exec_lo
	v_cmpx_ne_u16_e32 0x80, v0
	s_cbranch_execz .LBB294_1688
; %bb.1683:                             ;   in Loop: Header=BB294_1574 Depth=1
	v_and_b32_e32 v36, 0xffff, v0
	v_mov_b32_e32 v35, 0x7c010000
	s_mov_b32 s16, exec_lo
	s_delay_alu instid0(VALU_DEP_2) | instskip(NEXT) | instid1(VALU_DEP_1)
	v_and_b32_e32 v38, 0x7f, v36
	v_cmpx_ne_u32_e32 0x7f, v38
	s_cbranch_execz .LBB294_1687
; %bb.1684:                             ;   in Loop: Header=BB294_1574 Depth=1
	v_and_b32_e32 v35, 7, v36
	v_lshrrev_b32_e32 v37, 3, v38
	s_mov_b32 s17, exec_lo
	v_cmpx_gt_u32_e32 8, v38
; %bb.1685:                             ;   in Loop: Header=BB294_1574 Depth=1
	s_delay_alu instid0(VALU_DEP_3) | instskip(NEXT) | instid1(VALU_DEP_1)
	v_clz_i32_u32_e32 v7, v35
	v_min_u32_e32 v7, 32, v7
	s_delay_alu instid0(VALU_DEP_1) | instskip(SKIP_1) | instid1(VALU_DEP_2)
	v_subrev_nc_u32_e32 v35, 28, v7
	v_sub_nc_u32_e32 v37, 29, v7
	v_lshlrev_b64_e32 v[38:39], v35, v[0:1]
	s_delay_alu instid0(VALU_DEP_1)
	v_and_b32_e32 v35, 7, v38
; %bb.1686:                             ;   in Loop: Header=BB294_1574 Depth=1
	s_wait_alu 0xfffe
	s_or_b32 exec_lo, exec_lo, s17
	v_lshlrev_b32_e32 v0, 8, v36
	v_lshl_add_u32 v7, v37, 10, 0x2000
	s_delay_alu instid0(VALU_DEP_1) | instskip(SKIP_1) | instid1(VALU_DEP_1)
	v_and_or_b32 v0, 0x8000, v0, v7
	v_lshlrev_b32_e32 v7, 23, v35
	v_lshl_or_b32 v35, v0, 16, v7
.LBB294_1687:                           ;   in Loop: Header=BB294_1574 Depth=1
	s_wait_alu 0xfffe
	s_or_b32 exec_lo, exec_lo, s16
.LBB294_1688:                           ;   in Loop: Header=BB294_1574 Depth=1
	s_wait_alu 0xfffe
	s_or_b32 exec_lo, exec_lo, s15
.LBB294_1689:                           ;   in Loop: Header=BB294_1574 Depth=1
	s_wait_alu 0xfffe
	s_or_b32 exec_lo, exec_lo, s14
	v_lshrrev_b32_e32 v0, 16, v11
	s_mov_b32 s14, exec_lo
	s_delay_alu instid0(VALU_DEP_1) | instskip(NEXT) | instid1(VALU_DEP_1)
	v_and_b32_e32 v36, 0xff, v0
	v_cmpx_ne_u16_e32 0, v36
	s_cbranch_execz .LBB294_1697
; %bb.1690:                             ;   in Loop: Header=BB294_1574 Depth=1
	v_mov_b32_e32 v23, 0x8000
	s_mov_b32 s15, exec_lo
	v_cmpx_ne_u16_e32 0x80, v36
	s_cbranch_execz .LBB294_1696
; %bb.1691:                             ;   in Loop: Header=BB294_1574 Depth=1
	v_bfe_u32 v37, v11, 16, 7
	v_mov_b32_e32 v23, 0x7c01
	s_mov_b32 s16, exec_lo
	s_delay_alu instid0(VALU_DEP_2)
	v_cmpx_ne_u32_e32 0x7f, v37
	s_cbranch_execz .LBB294_1695
; %bb.1692:                             ;   in Loop: Header=BB294_1574 Depth=1
	v_and_b32_e32 v23, 7, v0
	v_lshrrev_b32_e32 v36, 3, v37
	s_mov_b32 s17, exec_lo
	v_cmpx_gt_u32_e32 8, v37
; %bb.1693:                             ;   in Loop: Header=BB294_1574 Depth=1
	s_delay_alu instid0(VALU_DEP_3) | instskip(NEXT) | instid1(VALU_DEP_1)
	v_clz_i32_u32_e32 v7, v23
	v_min_u32_e32 v7, 32, v7
	s_delay_alu instid0(VALU_DEP_1) | instskip(SKIP_1) | instid1(VALU_DEP_2)
	v_subrev_nc_u32_e32 v23, 28, v7
	v_sub_nc_u32_e32 v36, 29, v7
	v_lshlrev_b64_e32 v[37:38], v23, v[0:1]
	s_delay_alu instid0(VALU_DEP_1)
	v_and_b32_e32 v23, 7, v37
; %bb.1694:                             ;   in Loop: Header=BB294_1574 Depth=1
	s_wait_alu 0xfffe
	s_or_b32 exec_lo, exec_lo, s17
	v_lshlrev_b32_e32 v0, 8, v0
	v_lshl_add_u32 v7, v36, 10, 0x2000
	v_lshlrev_b32_e32 v23, 7, v23
	s_delay_alu instid0(VALU_DEP_3) | instskip(NEXT) | instid1(VALU_DEP_3)
	v_and_b32_e32 v0, 0x8000, v0
	v_and_b32_e32 v7, 0xfc00, v7
	s_delay_alu instid0(VALU_DEP_1)
	v_or3_b32 v23, v0, v7, v23
.LBB294_1695:                           ;   in Loop: Header=BB294_1574 Depth=1
	s_wait_alu 0xfffe
	s_or_b32 exec_lo, exec_lo, s16
.LBB294_1696:                           ;   in Loop: Header=BB294_1574 Depth=1
	s_wait_alu 0xfffe
	s_or_b32 exec_lo, exec_lo, s15
.LBB294_1697:                           ;   in Loop: Header=BB294_1574 Depth=1
	s_wait_alu 0xfffe
	s_or_b32 exec_lo, exec_lo, s14
	v_cmp_lt_u64_e64 s0, s[8:9], v[10:11]
	v_mov_b32_e32 v10, 0
	s_and_saveexec_b32 s14, s0
	s_cbranch_execz .LBB294_1705
; %bb.1698:                             ;   in Loop: Header=BB294_1574 Depth=1
	v_lshrrev_b32_e32 v0, 24, v11
	v_bfrev_b32_e32 v10, 1
	s_mov_b32 s15, exec_lo
	s_delay_alu instid0(VALU_DEP_2)
	v_cmpx_ne_u32_e32 0x80, v0
	s_cbranch_execz .LBB294_1704
; %bb.1699:                             ;   in Loop: Header=BB294_1574 Depth=1
	v_and_b32_e32 v36, 0x7f, v0
	v_mov_b32_e32 v10, 0x7c010000
	s_mov_b32 s16, exec_lo
	s_delay_alu instid0(VALU_DEP_2)
	v_cmpx_ne_u32_e32 0x7f, v36
	s_cbranch_execz .LBB294_1703
; %bb.1700:                             ;   in Loop: Header=BB294_1574 Depth=1
	v_and_b32_e32 v10, 7, v0
	v_lshrrev_b32_e32 v11, 3, v36
	s_mov_b32 s17, exec_lo
	v_cmpx_gt_u32_e32 8, v36
; %bb.1701:                             ;   in Loop: Header=BB294_1574 Depth=1
	s_delay_alu instid0(VALU_DEP_3) | instskip(NEXT) | instid1(VALU_DEP_1)
	v_clz_i32_u32_e32 v7, v10
	v_min_u32_e32 v7, 32, v7
	s_delay_alu instid0(VALU_DEP_1) | instskip(NEXT) | instid1(VALU_DEP_1)
	v_subrev_nc_u32_e32 v10, 28, v7
	v_lshlrev_b64_e32 v[10:11], v10, v[0:1]
	v_sub_nc_u32_e32 v11, 29, v7
	s_delay_alu instid0(VALU_DEP_2)
	v_and_b32_e32 v10, 7, v10
; %bb.1702:                             ;   in Loop: Header=BB294_1574 Depth=1
	s_wait_alu 0xfffe
	s_or_b32 exec_lo, exec_lo, s17
	v_lshlrev_b32_e32 v0, 8, v0
	v_lshl_add_u32 v7, v11, 10, 0x2000
	s_delay_alu instid0(VALU_DEP_1) | instskip(SKIP_1) | instid1(VALU_DEP_1)
	v_and_or_b32 v0, 0x8000, v0, v7
	v_lshlrev_b32_e32 v7, 23, v10
	v_lshl_or_b32 v10, v0, 16, v7
.LBB294_1703:                           ;   in Loop: Header=BB294_1574 Depth=1
	s_wait_alu 0xfffe
	s_or_b32 exec_lo, exec_lo, s16
.LBB294_1704:                           ;   in Loop: Header=BB294_1574 Depth=1
	s_wait_alu 0xfffe
	s_or_b32 exec_lo, exec_lo, s15
.LBB294_1705:                           ;   in Loop: Header=BB294_1574 Depth=1
	s_wait_alu 0xfffe
	s_or_b32 exec_lo, exec_lo, s14
	v_or_b32_e32 v0, v12, v22
	s_wait_loadcnt_dscnt 0x0
	v_fma_mixlo_f16 v7, v4, v12, 0 op_sel:[0,1,0] op_sel_hi:[0,1,0]
	v_or_b32_e32 v6, v5, v6
	v_or_b32_e32 v12, v35, v33
	;; [unrolled: 1-line block ×3, first 2 shown]
	v_fma_mixlo_f16 v5, v4, v5, 0 op_sel:[0,1,0] op_sel_hi:[0,1,0]
	v_fma_mixlo_f16 v22, v4, v0, 0 op_sel_hi:[0,1,0]
	v_lshlrev_b32_e32 v0, 16, v7
	v_fma_mixlo_f16 v6, v4, v6, 0 op_sel_hi:[0,1,0]
	v_fma_mixlo_f16 v7, v4, v35, 0 op_sel:[0,1,0] op_sel_hi:[0,1,0]
	v_fma_mixlo_f16 v12, v4, v12, 0 op_sel_hi:[0,1,0]
	v_fma_mixlo_f16 v10, v4, v10, 0 op_sel:[0,1,0] op_sel_hi:[0,1,0]
	v_fma_mixlo_f16 v23, v4, v23, 0 op_sel_hi:[0,1,0]
	v_lshlrev_b32_e32 v11, 16, v5
	v_and_b32_e32 v5, 0xffff, v22
	v_and_b32_e32 v36, 0xffff, v6
	v_lshlrev_b32_e32 v6, 16, v7
	v_and_b32_e32 v22, 0xffff, v12
	v_lshlrev_b32_e32 v4, 16, v10
	v_and_b32_e32 v10, 0xffff, v23
	v_or_b32_e32 v12, v0, v5
	v_or_b32_e32 v35, v11, v36
	;; [unrolled: 1-line block ×3, first 2 shown]
	s_delay_alu instid0(VALU_DEP_4)
	v_or_b32_e32 v23, v4, v10
	s_and_saveexec_b32 s14, vcc_lo
	s_cbranch_execz .LBB294_1707
; %bb.1706:                             ;   in Loop: Header=BB294_1574 Depth=1
	v_cmp_lt_i32_e64 s0, v49, v34
	s_wait_alu 0xf1ff
	s_delay_alu instid0(VALU_DEP_1) | instskip(SKIP_2) | instid1(VALU_DEP_1)
	v_cndmask_b32_e64 v7, 0, v36, s0
	v_cmp_lt_i32_e64 s0, v101, v34
	s_wait_alu 0xf1ff
	v_cndmask_b32_e64 v11, 0, v11, s0
	v_cmp_lt_i32_e64 s0, v100, v34
	s_delay_alu instid0(VALU_DEP_2) | instskip(SKIP_1) | instid1(VALU_DEP_2)
	v_or_b32_e32 v35, v7, v11
	s_wait_alu 0xf1ff
	v_cndmask_b32_e64 v5, 0, v5, s0
	v_cmp_lt_i32_e64 s0, v99, v34
	s_wait_alu 0xf1ff
	s_delay_alu instid0(VALU_DEP_1) | instskip(SKIP_1) | instid1(VALU_DEP_2)
	v_cndmask_b32_e64 v0, 0, v0, s0
	v_cmp_lt_i32_e64 s0, v98, v34
	v_or_b32_e32 v12, v5, v0
	s_wait_alu 0xf1ff
	s_delay_alu instid0(VALU_DEP_2) | instskip(SKIP_2) | instid1(VALU_DEP_1)
	v_cndmask_b32_e64 v22, 0, v22, s0
	v_cmp_lt_i32_e64 s0, v97, v34
	s_wait_alu 0xf1ff
	v_cndmask_b32_e64 v6, 0, v6, s0
	v_cmp_lt_i32_e64 s0, v96, v34
	s_delay_alu instid0(VALU_DEP_2) | instskip(SKIP_1) | instid1(VALU_DEP_2)
	v_or_b32_e32 v33, v22, v6
	s_wait_alu 0xf1ff
	v_cndmask_b32_e64 v10, 0, v10, s0
	v_cmp_lt_i32_e64 s0, v87, v34
	s_wait_alu 0xf1ff
	s_delay_alu instid0(VALU_DEP_1) | instskip(NEXT) | instid1(VALU_DEP_1)
	v_cndmask_b32_e64 v4, 0, v4, s0
	v_or_b32_e32 v23, v10, v4
.LBB294_1707:                           ;   in Loop: Header=BB294_1574 Depth=1
	s_wait_alu 0xfffe
	s_or_b32 exec_lo, exec_lo, s14
	;;#ASMSTART
	v_pk_mul_f16 v0, v86, v35;

	;;#ASMEND
	;;#ASMSTART
	v_pk_mul_f16 v4, v85, v12;

	;;#ASMEND
	;; [unrolled: 4-line block ×4, first 2 shown]
	;;#ASMSTART
	v_pk_add_f16 v0, v0, v4;

	;;#ASMEND
	;;#ASMSTART
	v_pk_add_f16 v0, v0, v5;

	;;#ASMEND
	;; [unrolled: 4-line block ×3, first 2 shown]
	v_dual_mov_b32 v5, 0 :: v_dual_and_b32 v4, 0xffff, v0
	v_lshrrev_b32_e32 v0, 16, v0
	;;#ASMSTART
	v_cvt_f32_f16 v102, v4;
	;;#ASMEND
	;;#ASMSTART
	v_cvt_f32_f16 v116, v0;
	;;#ASMEND
	flat_load_b64 v[10:11], v[8:9] offset:512
	flat_load_b32 v4, v[26:27]
	v_mov_b32_e32 v6, 0
	s_mov_b32 s14, exec_lo
	s_wait_loadcnt_dscnt 0x101
	v_and_b32_e32 v0, 0xff, v10
	s_delay_alu instid0(VALU_DEP_1)
	v_cmpx_ne_u16_e32 0, v0
	s_cbranch_execz .LBB294_1715
; %bb.1708:                             ;   in Loop: Header=BB294_1574 Depth=1
	v_mov_b32_e32 v6, 0x8000
	s_mov_b32 s15, exec_lo
	v_cmpx_ne_u16_e32 0x80, v0
	s_cbranch_execz .LBB294_1714
; %bb.1709:                             ;   in Loop: Header=BB294_1574 Depth=1
	v_and_b32_e32 v12, 0x7f, v10
	v_mov_b32_e32 v6, 0x7c01
	s_mov_b32 s16, exec_lo
	s_delay_alu instid0(VALU_DEP_2)
	v_cmpx_ne_u32_e32 0x7f, v12
	s_cbranch_execz .LBB294_1713
; %bb.1710:                             ;   in Loop: Header=BB294_1574 Depth=1
	v_and_b32_e32 v0, 7, v10
	v_lshrrev_b32_e32 v6, 3, v12
	s_mov_b32 s17, exec_lo
	v_cmpx_gt_u32_e32 8, v12
; %bb.1711:                             ;   in Loop: Header=BB294_1574 Depth=1
	s_delay_alu instid0(VALU_DEP_3) | instskip(NEXT) | instid1(VALU_DEP_1)
	v_clz_i32_u32_e32 v0, v0
	v_min_u32_e32 v0, 32, v0
	s_delay_alu instid0(VALU_DEP_1) | instskip(NEXT) | instid1(VALU_DEP_1)
	v_subrev_nc_u32_e32 v6, 28, v0
	v_lshlrev_b64_e32 v[22:23], v6, v[10:11]
	v_sub_nc_u32_e32 v6, 29, v0
	s_delay_alu instid0(VALU_DEP_2)
	v_and_b32_e32 v0, 7, v22
; %bb.1712:                             ;   in Loop: Header=BB294_1574 Depth=1
	s_wait_alu 0xfffe
	s_or_b32 exec_lo, exec_lo, s17
	v_lshlrev_b32_e32 v7, 8, v10
	v_lshl_add_u32 v6, v6, 10, 0x2000
	v_lshlrev_b32_e32 v0, 7, v0
	s_delay_alu instid0(VALU_DEP_3) | instskip(NEXT) | instid1(VALU_DEP_3)
	v_and_b32_e32 v7, 0x8000, v7
	v_and_b32_e32 v6, 0xfc00, v6
	s_delay_alu instid0(VALU_DEP_1)
	v_or3_b32 v6, v7, v6, v0
.LBB294_1713:                           ;   in Loop: Header=BB294_1574 Depth=1
	s_wait_alu 0xfffe
	s_or_b32 exec_lo, exec_lo, s16
.LBB294_1714:                           ;   in Loop: Header=BB294_1574 Depth=1
	s_wait_alu 0xfffe
	s_or_b32 exec_lo, exec_lo, s15
.LBB294_1715:                           ;   in Loop: Header=BB294_1574 Depth=1
	s_wait_alu 0xfffe
	s_or_b32 exec_lo, exec_lo, s14
	v_lshrrev_b16 v0, 8, v10
	s_mov_b32 s14, exec_lo
	s_delay_alu instid0(VALU_DEP_1)
	v_cmpx_ne_u16_e32 0, v0
	s_cbranch_execz .LBB294_1723
; %bb.1716:                             ;   in Loop: Header=BB294_1574 Depth=1
	v_bfrev_b32_e32 v5, 1
	s_mov_b32 s15, exec_lo
	v_cmpx_ne_u16_e32 0x80, v0
	s_cbranch_execz .LBB294_1722
; %bb.1717:                             ;   in Loop: Header=BB294_1574 Depth=1
	v_and_b32_e32 v12, 0xffff, v0
	v_mov_b32_e32 v5, 0x7c010000
	s_mov_b32 s16, exec_lo
	s_delay_alu instid0(VALU_DEP_2) | instskip(NEXT) | instid1(VALU_DEP_1)
	v_and_b32_e32 v23, 0x7f, v12
	v_cmpx_ne_u32_e32 0x7f, v23
	s_cbranch_execz .LBB294_1721
; %bb.1718:                             ;   in Loop: Header=BB294_1574 Depth=1
	v_and_b32_e32 v5, 7, v12
	v_lshrrev_b32_e32 v22, 3, v23
	s_mov_b32 s17, exec_lo
	v_cmpx_gt_u32_e32 8, v23
; %bb.1719:                             ;   in Loop: Header=BB294_1574 Depth=1
	s_delay_alu instid0(VALU_DEP_3) | instskip(NEXT) | instid1(VALU_DEP_1)
	v_clz_i32_u32_e32 v5, v5
	v_min_u32_e32 v5, 32, v5
	s_delay_alu instid0(VALU_DEP_1) | instskip(SKIP_1) | instid1(VALU_DEP_2)
	v_subrev_nc_u32_e32 v7, 28, v5
	v_sub_nc_u32_e32 v22, 29, v5
	v_lshlrev_b64_e32 v[35:36], v7, v[0:1]
	s_delay_alu instid0(VALU_DEP_1)
	v_and_b32_e32 v5, 7, v35
; %bb.1720:                             ;   in Loop: Header=BB294_1574 Depth=1
	s_wait_alu 0xfffe
	s_or_b32 exec_lo, exec_lo, s17
	v_lshlrev_b32_e32 v0, 8, v12
	v_lshl_add_u32 v7, v22, 10, 0x2000
	v_lshlrev_b32_e32 v5, 23, v5
	s_delay_alu instid0(VALU_DEP_2) | instskip(NEXT) | instid1(VALU_DEP_1)
	v_and_or_b32 v0, 0x8000, v0, v7
	v_lshl_or_b32 v5, v0, 16, v5
.LBB294_1721:                           ;   in Loop: Header=BB294_1574 Depth=1
	s_wait_alu 0xfffe
	s_or_b32 exec_lo, exec_lo, s16
.LBB294_1722:                           ;   in Loop: Header=BB294_1574 Depth=1
	s_wait_alu 0xfffe
	s_or_b32 exec_lo, exec_lo, s15
.LBB294_1723:                           ;   in Loop: Header=BB294_1574 Depth=1
	s_wait_alu 0xfffe
	s_or_b32 exec_lo, exec_lo, s14
	v_lshrrev_b32_e32 v0, 16, v10
	v_mov_b32_e32 v22, 0
	s_mov_b32 s14, exec_lo
	s_delay_alu instid0(VALU_DEP_2) | instskip(NEXT) | instid1(VALU_DEP_1)
	v_dual_mov_b32 v12, 0 :: v_dual_and_b32 v23, 0xff, v0
	v_cmpx_ne_u16_e32 0, v23
	s_cbranch_execz .LBB294_1731
; %bb.1724:                             ;   in Loop: Header=BB294_1574 Depth=1
	v_mov_b32_e32 v22, 0x8000
	s_mov_b32 s15, exec_lo
	v_cmpx_ne_u16_e32 0x80, v23
	s_cbranch_execz .LBB294_1730
; %bb.1725:                             ;   in Loop: Header=BB294_1574 Depth=1
	v_bfe_u32 v33, v10, 16, 7
	v_mov_b32_e32 v22, 0x7c01
	s_mov_b32 s16, exec_lo
	s_delay_alu instid0(VALU_DEP_2)
	v_cmpx_ne_u32_e32 0x7f, v33
	s_cbranch_execz .LBB294_1729
; %bb.1726:                             ;   in Loop: Header=BB294_1574 Depth=1
	v_and_b32_e32 v22, 7, v0
	v_lshrrev_b32_e32 v23, 3, v33
	s_mov_b32 s17, exec_lo
	v_cmpx_gt_u32_e32 8, v33
; %bb.1727:                             ;   in Loop: Header=BB294_1574 Depth=1
	s_delay_alu instid0(VALU_DEP_3) | instskip(NEXT) | instid1(VALU_DEP_1)
	v_clz_i32_u32_e32 v7, v22
	v_min_u32_e32 v7, 32, v7
	s_delay_alu instid0(VALU_DEP_1) | instskip(NEXT) | instid1(VALU_DEP_1)
	v_subrev_nc_u32_e32 v22, 28, v7
	v_lshlrev_b64_e32 v[22:23], v22, v[0:1]
	v_sub_nc_u32_e32 v23, 29, v7
	s_delay_alu instid0(VALU_DEP_2)
	v_and_b32_e32 v22, 7, v22
; %bb.1728:                             ;   in Loop: Header=BB294_1574 Depth=1
	s_wait_alu 0xfffe
	s_or_b32 exec_lo, exec_lo, s17
	v_lshlrev_b32_e32 v0, 8, v0
	v_lshl_add_u32 v7, v23, 10, 0x2000
	v_lshlrev_b32_e32 v22, 7, v22
	s_delay_alu instid0(VALU_DEP_3) | instskip(NEXT) | instid1(VALU_DEP_3)
	v_and_b32_e32 v0, 0x8000, v0
	v_and_b32_e32 v7, 0xfc00, v7
	s_delay_alu instid0(VALU_DEP_1)
	v_or3_b32 v22, v0, v7, v22
.LBB294_1729:                           ;   in Loop: Header=BB294_1574 Depth=1
	s_wait_alu 0xfffe
	s_or_b32 exec_lo, exec_lo, s16
.LBB294_1730:                           ;   in Loop: Header=BB294_1574 Depth=1
	s_wait_alu 0xfffe
	s_or_b32 exec_lo, exec_lo, s15
.LBB294_1731:                           ;   in Loop: Header=BB294_1574 Depth=1
	s_wait_alu 0xfffe
	s_or_b32 exec_lo, exec_lo, s14
	s_delay_alu instid0(SALU_CYCLE_1)
	s_mov_b32 s14, exec_lo
	v_cmpx_lt_u32_e32 0xffffff, v10
	s_cbranch_execz .LBB294_1739
; %bb.1732:                             ;   in Loop: Header=BB294_1574 Depth=1
	v_lshrrev_b32_e32 v0, 24, v10
	v_bfrev_b32_e32 v12, 1
	s_mov_b32 s15, exec_lo
	s_delay_alu instid0(VALU_DEP_2)
	v_cmpx_ne_u32_e32 0x80, v0
	s_cbranch_execz .LBB294_1738
; %bb.1733:                             ;   in Loop: Header=BB294_1574 Depth=1
	v_and_b32_e32 v33, 0x7f, v0
	v_mov_b32_e32 v12, 0x7c010000
	s_mov_b32 s16, exec_lo
	s_delay_alu instid0(VALU_DEP_2)
	v_cmpx_ne_u32_e32 0x7f, v33
	s_cbranch_execz .LBB294_1737
; %bb.1734:                             ;   in Loop: Header=BB294_1574 Depth=1
	v_and_b32_e32 v12, 7, v0
	v_lshrrev_b32_e32 v23, 3, v33
	s_mov_b32 s17, exec_lo
	v_cmpx_gt_u32_e32 8, v33
; %bb.1735:                             ;   in Loop: Header=BB294_1574 Depth=1
	s_delay_alu instid0(VALU_DEP_3) | instskip(NEXT) | instid1(VALU_DEP_1)
	v_clz_i32_u32_e32 v7, v12
	v_min_u32_e32 v7, 32, v7
	s_delay_alu instid0(VALU_DEP_1) | instskip(SKIP_1) | instid1(VALU_DEP_2)
	v_subrev_nc_u32_e32 v12, 28, v7
	v_sub_nc_u32_e32 v23, 29, v7
	v_lshlrev_b64_e32 v[35:36], v12, v[0:1]
	s_delay_alu instid0(VALU_DEP_1)
	v_and_b32_e32 v12, 7, v35
; %bb.1736:                             ;   in Loop: Header=BB294_1574 Depth=1
	s_wait_alu 0xfffe
	s_or_b32 exec_lo, exec_lo, s17
	v_lshlrev_b32_e32 v0, 8, v0
	v_lshl_add_u32 v7, v23, 10, 0x2000
	s_delay_alu instid0(VALU_DEP_1) | instskip(SKIP_1) | instid1(VALU_DEP_1)
	v_and_or_b32 v0, 0x8000, v0, v7
	v_lshlrev_b32_e32 v7, 23, v12
	v_lshl_or_b32 v12, v0, 16, v7
.LBB294_1737:                           ;   in Loop: Header=BB294_1574 Depth=1
	s_wait_alu 0xfffe
	s_or_b32 exec_lo, exec_lo, s16
.LBB294_1738:                           ;   in Loop: Header=BB294_1574 Depth=1
	s_wait_alu 0xfffe
	s_or_b32 exec_lo, exec_lo, s15
.LBB294_1739:                           ;   in Loop: Header=BB294_1574 Depth=1
	s_wait_alu 0xfffe
	s_or_b32 exec_lo, exec_lo, s14
	v_dual_mov_b32 v0, v11 :: v_dual_and_b32 v35, 0xff, v11
	v_mov_b32_e32 v23, 0
	v_mov_b32_e32 v33, 0
	s_mov_b32 s14, exec_lo
	s_delay_alu instid0(VALU_DEP_3)
	v_cmpx_ne_u16_e32 0, v35
	s_cbranch_execz .LBB294_1747
; %bb.1740:                             ;   in Loop: Header=BB294_1574 Depth=1
	v_mov_b32_e32 v33, 0x8000
	s_mov_b32 s15, exec_lo
	v_cmpx_ne_u16_e32 0x80, v35
	s_cbranch_execz .LBB294_1746
; %bb.1741:                             ;   in Loop: Header=BB294_1574 Depth=1
	v_and_b32_e32 v36, 0x7f, v11
	v_mov_b32_e32 v33, 0x7c01
	s_mov_b32 s16, exec_lo
	s_delay_alu instid0(VALU_DEP_2)
	v_cmpx_ne_u32_e32 0x7f, v36
	s_cbranch_execz .LBB294_1745
; %bb.1742:                             ;   in Loop: Header=BB294_1574 Depth=1
	v_and_b32_e32 v33, 7, v11
	v_lshrrev_b32_e32 v35, 3, v36
	s_mov_b32 s17, exec_lo
	v_cmpx_gt_u32_e32 8, v36
; %bb.1743:                             ;   in Loop: Header=BB294_1574 Depth=1
	s_delay_alu instid0(VALU_DEP_3) | instskip(NEXT) | instid1(VALU_DEP_1)
	v_clz_i32_u32_e32 v7, v33
	v_min_u32_e32 v7, 32, v7
	s_delay_alu instid0(VALU_DEP_1) | instskip(SKIP_1) | instid1(VALU_DEP_2)
	v_subrev_nc_u32_e32 v33, 28, v7
	v_sub_nc_u32_e32 v35, 29, v7
	v_lshlrev_b64_e32 v[36:37], v33, v[0:1]
	s_delay_alu instid0(VALU_DEP_1)
	v_and_b32_e32 v33, 7, v36
; %bb.1744:                             ;   in Loop: Header=BB294_1574 Depth=1
	s_wait_alu 0xfffe
	s_or_b32 exec_lo, exec_lo, s17
	v_lshlrev_b32_e32 v7, 8, v11
	v_lshl_add_u32 v35, v35, 10, 0x2000
	v_lshlrev_b32_e32 v33, 7, v33
	s_delay_alu instid0(VALU_DEP_3) | instskip(NEXT) | instid1(VALU_DEP_3)
	v_and_b32_e32 v7, 0x8000, v7
	v_and_b32_e32 v35, 0xfc00, v35
	s_delay_alu instid0(VALU_DEP_1)
	v_or3_b32 v33, v7, v35, v33
.LBB294_1745:                           ;   in Loop: Header=BB294_1574 Depth=1
	s_wait_alu 0xfffe
	s_or_b32 exec_lo, exec_lo, s16
.LBB294_1746:                           ;   in Loop: Header=BB294_1574 Depth=1
	s_wait_alu 0xfffe
	s_or_b32 exec_lo, exec_lo, s15
.LBB294_1747:                           ;   in Loop: Header=BB294_1574 Depth=1
	s_wait_alu 0xfffe
	s_or_b32 exec_lo, exec_lo, s14
	v_lshrrev_b16 v0, 8, v0
	v_mov_b32_e32 v35, 0
	s_mov_b32 s14, exec_lo
	s_delay_alu instid0(VALU_DEP_2)
	v_cmpx_ne_u16_e32 0, v0
	s_cbranch_execz .LBB294_1755
; %bb.1748:                             ;   in Loop: Header=BB294_1574 Depth=1
	v_bfrev_b32_e32 v35, 1
	s_mov_b32 s15, exec_lo
	v_cmpx_ne_u16_e32 0x80, v0
	s_cbranch_execz .LBB294_1754
; %bb.1749:                             ;   in Loop: Header=BB294_1574 Depth=1
	v_and_b32_e32 v36, 0xffff, v0
	v_mov_b32_e32 v35, 0x7c010000
	s_mov_b32 s16, exec_lo
	s_delay_alu instid0(VALU_DEP_2) | instskip(NEXT) | instid1(VALU_DEP_1)
	v_and_b32_e32 v38, 0x7f, v36
	v_cmpx_ne_u32_e32 0x7f, v38
	s_cbranch_execz .LBB294_1753
; %bb.1750:                             ;   in Loop: Header=BB294_1574 Depth=1
	v_and_b32_e32 v35, 7, v36
	v_lshrrev_b32_e32 v37, 3, v38
	s_mov_b32 s17, exec_lo
	v_cmpx_gt_u32_e32 8, v38
; %bb.1751:                             ;   in Loop: Header=BB294_1574 Depth=1
	s_delay_alu instid0(VALU_DEP_3) | instskip(NEXT) | instid1(VALU_DEP_1)
	v_clz_i32_u32_e32 v7, v35
	v_min_u32_e32 v7, 32, v7
	s_delay_alu instid0(VALU_DEP_1) | instskip(SKIP_1) | instid1(VALU_DEP_2)
	v_subrev_nc_u32_e32 v35, 28, v7
	v_sub_nc_u32_e32 v37, 29, v7
	v_lshlrev_b64_e32 v[38:39], v35, v[0:1]
	s_delay_alu instid0(VALU_DEP_1)
	v_and_b32_e32 v35, 7, v38
; %bb.1752:                             ;   in Loop: Header=BB294_1574 Depth=1
	s_wait_alu 0xfffe
	s_or_b32 exec_lo, exec_lo, s17
	v_lshlrev_b32_e32 v0, 8, v36
	v_lshl_add_u32 v7, v37, 10, 0x2000
	s_delay_alu instid0(VALU_DEP_1) | instskip(SKIP_1) | instid1(VALU_DEP_1)
	v_and_or_b32 v0, 0x8000, v0, v7
	v_lshlrev_b32_e32 v7, 23, v35
	v_lshl_or_b32 v35, v0, 16, v7
.LBB294_1753:                           ;   in Loop: Header=BB294_1574 Depth=1
	s_wait_alu 0xfffe
	s_or_b32 exec_lo, exec_lo, s16
.LBB294_1754:                           ;   in Loop: Header=BB294_1574 Depth=1
	s_wait_alu 0xfffe
	s_or_b32 exec_lo, exec_lo, s15
.LBB294_1755:                           ;   in Loop: Header=BB294_1574 Depth=1
	s_wait_alu 0xfffe
	s_or_b32 exec_lo, exec_lo, s14
	v_lshrrev_b32_e32 v0, 16, v11
	s_mov_b32 s14, exec_lo
	s_delay_alu instid0(VALU_DEP_1) | instskip(NEXT) | instid1(VALU_DEP_1)
	v_and_b32_e32 v36, 0xff, v0
	v_cmpx_ne_u16_e32 0, v36
	s_cbranch_execz .LBB294_1763
; %bb.1756:                             ;   in Loop: Header=BB294_1574 Depth=1
	v_mov_b32_e32 v23, 0x8000
	s_mov_b32 s15, exec_lo
	v_cmpx_ne_u16_e32 0x80, v36
	s_cbranch_execz .LBB294_1762
; %bb.1757:                             ;   in Loop: Header=BB294_1574 Depth=1
	v_bfe_u32 v37, v11, 16, 7
	v_mov_b32_e32 v23, 0x7c01
	s_mov_b32 s16, exec_lo
	s_delay_alu instid0(VALU_DEP_2)
	v_cmpx_ne_u32_e32 0x7f, v37
	s_cbranch_execz .LBB294_1761
; %bb.1758:                             ;   in Loop: Header=BB294_1574 Depth=1
	v_and_b32_e32 v23, 7, v0
	v_lshrrev_b32_e32 v36, 3, v37
	s_mov_b32 s17, exec_lo
	v_cmpx_gt_u32_e32 8, v37
; %bb.1759:                             ;   in Loop: Header=BB294_1574 Depth=1
	s_delay_alu instid0(VALU_DEP_3) | instskip(NEXT) | instid1(VALU_DEP_1)
	v_clz_i32_u32_e32 v7, v23
	v_min_u32_e32 v7, 32, v7
	s_delay_alu instid0(VALU_DEP_1) | instskip(SKIP_1) | instid1(VALU_DEP_2)
	v_subrev_nc_u32_e32 v23, 28, v7
	v_sub_nc_u32_e32 v36, 29, v7
	v_lshlrev_b64_e32 v[37:38], v23, v[0:1]
	s_delay_alu instid0(VALU_DEP_1)
	v_and_b32_e32 v23, 7, v37
; %bb.1760:                             ;   in Loop: Header=BB294_1574 Depth=1
	s_wait_alu 0xfffe
	s_or_b32 exec_lo, exec_lo, s17
	v_lshlrev_b32_e32 v0, 8, v0
	v_lshl_add_u32 v7, v36, 10, 0x2000
	v_lshlrev_b32_e32 v23, 7, v23
	s_delay_alu instid0(VALU_DEP_3) | instskip(NEXT) | instid1(VALU_DEP_3)
	v_and_b32_e32 v0, 0x8000, v0
	v_and_b32_e32 v7, 0xfc00, v7
	s_delay_alu instid0(VALU_DEP_1)
	v_or3_b32 v23, v0, v7, v23
.LBB294_1761:                           ;   in Loop: Header=BB294_1574 Depth=1
	s_wait_alu 0xfffe
	s_or_b32 exec_lo, exec_lo, s16
.LBB294_1762:                           ;   in Loop: Header=BB294_1574 Depth=1
	s_wait_alu 0xfffe
	s_or_b32 exec_lo, exec_lo, s15
.LBB294_1763:                           ;   in Loop: Header=BB294_1574 Depth=1
	s_wait_alu 0xfffe
	s_or_b32 exec_lo, exec_lo, s14
	v_cmp_lt_u64_e64 s0, s[8:9], v[10:11]
	v_mov_b32_e32 v10, 0
	s_and_saveexec_b32 s14, s0
	s_cbranch_execz .LBB294_1771
; %bb.1764:                             ;   in Loop: Header=BB294_1574 Depth=1
	v_lshrrev_b32_e32 v0, 24, v11
	v_bfrev_b32_e32 v10, 1
	s_mov_b32 s15, exec_lo
	s_delay_alu instid0(VALU_DEP_2)
	v_cmpx_ne_u32_e32 0x80, v0
	s_cbranch_execz .LBB294_1770
; %bb.1765:                             ;   in Loop: Header=BB294_1574 Depth=1
	v_and_b32_e32 v36, 0x7f, v0
	v_mov_b32_e32 v10, 0x7c010000
	s_mov_b32 s16, exec_lo
	s_delay_alu instid0(VALU_DEP_2)
	v_cmpx_ne_u32_e32 0x7f, v36
	s_cbranch_execz .LBB294_1769
; %bb.1766:                             ;   in Loop: Header=BB294_1574 Depth=1
	v_and_b32_e32 v10, 7, v0
	v_lshrrev_b32_e32 v11, 3, v36
	s_mov_b32 s17, exec_lo
	v_cmpx_gt_u32_e32 8, v36
; %bb.1767:                             ;   in Loop: Header=BB294_1574 Depth=1
	s_delay_alu instid0(VALU_DEP_3) | instskip(NEXT) | instid1(VALU_DEP_1)
	v_clz_i32_u32_e32 v7, v10
	v_min_u32_e32 v7, 32, v7
	s_delay_alu instid0(VALU_DEP_1) | instskip(NEXT) | instid1(VALU_DEP_1)
	v_subrev_nc_u32_e32 v10, 28, v7
	v_lshlrev_b64_e32 v[10:11], v10, v[0:1]
	v_sub_nc_u32_e32 v11, 29, v7
	s_delay_alu instid0(VALU_DEP_2)
	v_and_b32_e32 v10, 7, v10
; %bb.1768:                             ;   in Loop: Header=BB294_1574 Depth=1
	s_wait_alu 0xfffe
	s_or_b32 exec_lo, exec_lo, s17
	v_lshlrev_b32_e32 v0, 8, v0
	v_lshl_add_u32 v7, v11, 10, 0x2000
	s_delay_alu instid0(VALU_DEP_1) | instskip(SKIP_1) | instid1(VALU_DEP_1)
	v_and_or_b32 v0, 0x8000, v0, v7
	v_lshlrev_b32_e32 v7, 23, v10
	v_lshl_or_b32 v10, v0, 16, v7
.LBB294_1769:                           ;   in Loop: Header=BB294_1574 Depth=1
	s_wait_alu 0xfffe
	s_or_b32 exec_lo, exec_lo, s16
.LBB294_1770:                           ;   in Loop: Header=BB294_1574 Depth=1
	s_wait_alu 0xfffe
	s_or_b32 exec_lo, exec_lo, s15
.LBB294_1771:                           ;   in Loop: Header=BB294_1574 Depth=1
	s_wait_alu 0xfffe
	s_or_b32 exec_lo, exec_lo, s14
	v_or_b32_e32 v0, v12, v22
	s_wait_loadcnt_dscnt 0x0
	v_fma_mixlo_f16 v7, v4, v12, 0 op_sel:[0,1,0] op_sel_hi:[0,1,0]
	v_or_b32_e32 v6, v5, v6
	v_or_b32_e32 v12, v35, v33
	;; [unrolled: 1-line block ×3, first 2 shown]
	v_fma_mixlo_f16 v5, v4, v5, 0 op_sel:[0,1,0] op_sel_hi:[0,1,0]
	v_fma_mixlo_f16 v22, v4, v0, 0 op_sel_hi:[0,1,0]
	v_lshlrev_b32_e32 v0, 16, v7
	v_fma_mixlo_f16 v6, v4, v6, 0 op_sel_hi:[0,1,0]
	v_fma_mixlo_f16 v7, v4, v35, 0 op_sel:[0,1,0] op_sel_hi:[0,1,0]
	v_fma_mixlo_f16 v12, v4, v12, 0 op_sel_hi:[0,1,0]
	v_fma_mixlo_f16 v10, v4, v10, 0 op_sel:[0,1,0] op_sel_hi:[0,1,0]
	v_fma_mixlo_f16 v23, v4, v23, 0 op_sel_hi:[0,1,0]
	v_lshlrev_b32_e32 v11, 16, v5
	v_and_b32_e32 v5, 0xffff, v22
	v_and_b32_e32 v36, 0xffff, v6
	v_lshlrev_b32_e32 v6, 16, v7
	v_and_b32_e32 v22, 0xffff, v12
	v_lshlrev_b32_e32 v4, 16, v10
	v_and_b32_e32 v10, 0xffff, v23
	v_or_b32_e32 v12, v0, v5
	v_or_b32_e32 v35, v11, v36
	;; [unrolled: 1-line block ×3, first 2 shown]
	s_delay_alu instid0(VALU_DEP_4)
	v_or_b32_e32 v23, v4, v10
	s_and_saveexec_b32 s14, vcc_lo
	s_cbranch_execz .LBB294_1773
; %bb.1772:                             ;   in Loop: Header=BB294_1574 Depth=1
	v_cmp_lt_i32_e64 s0, v49, v34
	s_wait_alu 0xf1ff
	s_delay_alu instid0(VALU_DEP_1) | instskip(SKIP_2) | instid1(VALU_DEP_1)
	v_cndmask_b32_e64 v7, 0, v36, s0
	v_cmp_lt_i32_e64 s0, v101, v34
	s_wait_alu 0xf1ff
	v_cndmask_b32_e64 v11, 0, v11, s0
	v_cmp_lt_i32_e64 s0, v100, v34
	s_delay_alu instid0(VALU_DEP_2) | instskip(SKIP_1) | instid1(VALU_DEP_2)
	v_or_b32_e32 v35, v7, v11
	s_wait_alu 0xf1ff
	v_cndmask_b32_e64 v5, 0, v5, s0
	v_cmp_lt_i32_e64 s0, v99, v34
	s_wait_alu 0xf1ff
	s_delay_alu instid0(VALU_DEP_1) | instskip(SKIP_1) | instid1(VALU_DEP_2)
	v_cndmask_b32_e64 v0, 0, v0, s0
	v_cmp_lt_i32_e64 s0, v98, v34
	v_or_b32_e32 v12, v5, v0
	s_wait_alu 0xf1ff
	s_delay_alu instid0(VALU_DEP_2) | instskip(SKIP_2) | instid1(VALU_DEP_1)
	v_cndmask_b32_e64 v22, 0, v22, s0
	v_cmp_lt_i32_e64 s0, v97, v34
	s_wait_alu 0xf1ff
	v_cndmask_b32_e64 v6, 0, v6, s0
	v_cmp_lt_i32_e64 s0, v96, v34
	s_delay_alu instid0(VALU_DEP_2) | instskip(SKIP_1) | instid1(VALU_DEP_2)
	v_or_b32_e32 v33, v22, v6
	s_wait_alu 0xf1ff
	v_cndmask_b32_e64 v10, 0, v10, s0
	v_cmp_lt_i32_e64 s0, v87, v34
	s_wait_alu 0xf1ff
	s_delay_alu instid0(VALU_DEP_1) | instskip(NEXT) | instid1(VALU_DEP_1)
	v_cndmask_b32_e64 v4, 0, v4, s0
	v_or_b32_e32 v23, v10, v4
.LBB294_1773:                           ;   in Loop: Header=BB294_1574 Depth=1
	s_wait_alu 0xfffe
	s_or_b32 exec_lo, exec_lo, s14
	;;#ASMSTART
	v_pk_mul_f16 v0, v86, v35;

	;;#ASMEND
	;;#ASMSTART
	v_pk_mul_f16 v4, v85, v12;

	;;#ASMEND
	;; [unrolled: 4-line block ×4, first 2 shown]
	;;#ASMSTART
	v_pk_add_f16 v0, v0, v4;

	;;#ASMEND
	;;#ASMSTART
	v_pk_add_f16 v0, v0, v5;

	;;#ASMEND
	;; [unrolled: 4-line block ×3, first 2 shown]
	v_dual_mov_b32 v5, 0 :: v_dual_and_b32 v4, 0xffff, v0
	v_lshrrev_b32_e32 v0, 16, v0
	;;#ASMSTART
	v_cvt_f32_f16 v112, v4;
	;;#ASMEND
	;;#ASMSTART
	v_cvt_f32_f16 v113, v0;
	;;#ASMEND
	flat_load_b64 v[10:11], v[8:9] offset:768
	flat_load_b32 v4, v[26:27]
	v_mov_b32_e32 v6, 0
	s_mov_b32 s14, exec_lo
	s_wait_loadcnt_dscnt 0x101
	v_and_b32_e32 v0, 0xff, v10
	s_delay_alu instid0(VALU_DEP_1)
	v_cmpx_ne_u16_e32 0, v0
	s_cbranch_execz .LBB294_1781
; %bb.1774:                             ;   in Loop: Header=BB294_1574 Depth=1
	v_mov_b32_e32 v6, 0x8000
	s_mov_b32 s15, exec_lo
	v_cmpx_ne_u16_e32 0x80, v0
	s_cbranch_execz .LBB294_1780
; %bb.1775:                             ;   in Loop: Header=BB294_1574 Depth=1
	v_and_b32_e32 v12, 0x7f, v10
	v_mov_b32_e32 v6, 0x7c01
	s_mov_b32 s16, exec_lo
	s_delay_alu instid0(VALU_DEP_2)
	v_cmpx_ne_u32_e32 0x7f, v12
	s_cbranch_execz .LBB294_1779
; %bb.1776:                             ;   in Loop: Header=BB294_1574 Depth=1
	v_and_b32_e32 v0, 7, v10
	v_lshrrev_b32_e32 v6, 3, v12
	s_mov_b32 s17, exec_lo
	v_cmpx_gt_u32_e32 8, v12
; %bb.1777:                             ;   in Loop: Header=BB294_1574 Depth=1
	s_delay_alu instid0(VALU_DEP_3) | instskip(NEXT) | instid1(VALU_DEP_1)
	v_clz_i32_u32_e32 v0, v0
	v_min_u32_e32 v0, 32, v0
	s_delay_alu instid0(VALU_DEP_1) | instskip(NEXT) | instid1(VALU_DEP_1)
	v_subrev_nc_u32_e32 v6, 28, v0
	v_lshlrev_b64_e32 v[22:23], v6, v[10:11]
	v_sub_nc_u32_e32 v6, 29, v0
	s_delay_alu instid0(VALU_DEP_2)
	v_and_b32_e32 v0, 7, v22
; %bb.1778:                             ;   in Loop: Header=BB294_1574 Depth=1
	s_wait_alu 0xfffe
	s_or_b32 exec_lo, exec_lo, s17
	v_lshlrev_b32_e32 v7, 8, v10
	v_lshl_add_u32 v6, v6, 10, 0x2000
	v_lshlrev_b32_e32 v0, 7, v0
	s_delay_alu instid0(VALU_DEP_3) | instskip(NEXT) | instid1(VALU_DEP_3)
	v_and_b32_e32 v7, 0x8000, v7
	v_and_b32_e32 v6, 0xfc00, v6
	s_delay_alu instid0(VALU_DEP_1)
	v_or3_b32 v6, v7, v6, v0
.LBB294_1779:                           ;   in Loop: Header=BB294_1574 Depth=1
	s_wait_alu 0xfffe
	s_or_b32 exec_lo, exec_lo, s16
.LBB294_1780:                           ;   in Loop: Header=BB294_1574 Depth=1
	s_wait_alu 0xfffe
	s_or_b32 exec_lo, exec_lo, s15
.LBB294_1781:                           ;   in Loop: Header=BB294_1574 Depth=1
	s_wait_alu 0xfffe
	s_or_b32 exec_lo, exec_lo, s14
	v_lshrrev_b16 v0, 8, v10
	s_mov_b32 s14, exec_lo
	s_delay_alu instid0(VALU_DEP_1)
	v_cmpx_ne_u16_e32 0, v0
	s_cbranch_execz .LBB294_1789
; %bb.1782:                             ;   in Loop: Header=BB294_1574 Depth=1
	v_bfrev_b32_e32 v5, 1
	s_mov_b32 s15, exec_lo
	v_cmpx_ne_u16_e32 0x80, v0
	s_cbranch_execz .LBB294_1788
; %bb.1783:                             ;   in Loop: Header=BB294_1574 Depth=1
	v_and_b32_e32 v12, 0xffff, v0
	v_mov_b32_e32 v5, 0x7c010000
	s_mov_b32 s16, exec_lo
	s_delay_alu instid0(VALU_DEP_2) | instskip(NEXT) | instid1(VALU_DEP_1)
	v_and_b32_e32 v23, 0x7f, v12
	v_cmpx_ne_u32_e32 0x7f, v23
	s_cbranch_execz .LBB294_1787
; %bb.1784:                             ;   in Loop: Header=BB294_1574 Depth=1
	v_and_b32_e32 v5, 7, v12
	v_lshrrev_b32_e32 v22, 3, v23
	s_mov_b32 s17, exec_lo
	v_cmpx_gt_u32_e32 8, v23
; %bb.1785:                             ;   in Loop: Header=BB294_1574 Depth=1
	s_delay_alu instid0(VALU_DEP_3) | instskip(NEXT) | instid1(VALU_DEP_1)
	v_clz_i32_u32_e32 v5, v5
	v_min_u32_e32 v5, 32, v5
	s_delay_alu instid0(VALU_DEP_1) | instskip(SKIP_1) | instid1(VALU_DEP_2)
	v_subrev_nc_u32_e32 v7, 28, v5
	v_sub_nc_u32_e32 v22, 29, v5
	v_lshlrev_b64_e32 v[35:36], v7, v[0:1]
	s_delay_alu instid0(VALU_DEP_1)
	v_and_b32_e32 v5, 7, v35
; %bb.1786:                             ;   in Loop: Header=BB294_1574 Depth=1
	s_wait_alu 0xfffe
	s_or_b32 exec_lo, exec_lo, s17
	v_lshlrev_b32_e32 v0, 8, v12
	v_lshl_add_u32 v7, v22, 10, 0x2000
	v_lshlrev_b32_e32 v5, 23, v5
	s_delay_alu instid0(VALU_DEP_2) | instskip(NEXT) | instid1(VALU_DEP_1)
	v_and_or_b32 v0, 0x8000, v0, v7
	v_lshl_or_b32 v5, v0, 16, v5
.LBB294_1787:                           ;   in Loop: Header=BB294_1574 Depth=1
	s_wait_alu 0xfffe
	s_or_b32 exec_lo, exec_lo, s16
.LBB294_1788:                           ;   in Loop: Header=BB294_1574 Depth=1
	s_wait_alu 0xfffe
	s_or_b32 exec_lo, exec_lo, s15
.LBB294_1789:                           ;   in Loop: Header=BB294_1574 Depth=1
	s_wait_alu 0xfffe
	s_or_b32 exec_lo, exec_lo, s14
	v_lshrrev_b32_e32 v0, 16, v10
	v_mov_b32_e32 v22, 0
	s_mov_b32 s14, exec_lo
	s_delay_alu instid0(VALU_DEP_2) | instskip(NEXT) | instid1(VALU_DEP_1)
	v_dual_mov_b32 v12, 0 :: v_dual_and_b32 v23, 0xff, v0
	v_cmpx_ne_u16_e32 0, v23
	s_cbranch_execz .LBB294_1797
; %bb.1790:                             ;   in Loop: Header=BB294_1574 Depth=1
	v_mov_b32_e32 v22, 0x8000
	s_mov_b32 s15, exec_lo
	v_cmpx_ne_u16_e32 0x80, v23
	s_cbranch_execz .LBB294_1796
; %bb.1791:                             ;   in Loop: Header=BB294_1574 Depth=1
	v_bfe_u32 v33, v10, 16, 7
	v_mov_b32_e32 v22, 0x7c01
	s_mov_b32 s16, exec_lo
	s_delay_alu instid0(VALU_DEP_2)
	v_cmpx_ne_u32_e32 0x7f, v33
	s_cbranch_execz .LBB294_1795
; %bb.1792:                             ;   in Loop: Header=BB294_1574 Depth=1
	v_and_b32_e32 v22, 7, v0
	v_lshrrev_b32_e32 v23, 3, v33
	s_mov_b32 s17, exec_lo
	v_cmpx_gt_u32_e32 8, v33
; %bb.1793:                             ;   in Loop: Header=BB294_1574 Depth=1
	s_delay_alu instid0(VALU_DEP_3) | instskip(NEXT) | instid1(VALU_DEP_1)
	v_clz_i32_u32_e32 v7, v22
	v_min_u32_e32 v7, 32, v7
	s_delay_alu instid0(VALU_DEP_1) | instskip(NEXT) | instid1(VALU_DEP_1)
	v_subrev_nc_u32_e32 v22, 28, v7
	v_lshlrev_b64_e32 v[22:23], v22, v[0:1]
	v_sub_nc_u32_e32 v23, 29, v7
	s_delay_alu instid0(VALU_DEP_2)
	v_and_b32_e32 v22, 7, v22
; %bb.1794:                             ;   in Loop: Header=BB294_1574 Depth=1
	s_wait_alu 0xfffe
	s_or_b32 exec_lo, exec_lo, s17
	v_lshlrev_b32_e32 v0, 8, v0
	v_lshl_add_u32 v7, v23, 10, 0x2000
	v_lshlrev_b32_e32 v22, 7, v22
	s_delay_alu instid0(VALU_DEP_3) | instskip(NEXT) | instid1(VALU_DEP_3)
	v_and_b32_e32 v0, 0x8000, v0
	v_and_b32_e32 v7, 0xfc00, v7
	s_delay_alu instid0(VALU_DEP_1)
	v_or3_b32 v22, v0, v7, v22
.LBB294_1795:                           ;   in Loop: Header=BB294_1574 Depth=1
	s_wait_alu 0xfffe
	s_or_b32 exec_lo, exec_lo, s16
.LBB294_1796:                           ;   in Loop: Header=BB294_1574 Depth=1
	s_wait_alu 0xfffe
	s_or_b32 exec_lo, exec_lo, s15
.LBB294_1797:                           ;   in Loop: Header=BB294_1574 Depth=1
	s_wait_alu 0xfffe
	s_or_b32 exec_lo, exec_lo, s14
	s_delay_alu instid0(SALU_CYCLE_1)
	s_mov_b32 s14, exec_lo
	v_cmpx_lt_u32_e32 0xffffff, v10
	s_cbranch_execz .LBB294_1805
; %bb.1798:                             ;   in Loop: Header=BB294_1574 Depth=1
	v_lshrrev_b32_e32 v0, 24, v10
	v_bfrev_b32_e32 v12, 1
	s_mov_b32 s15, exec_lo
	s_delay_alu instid0(VALU_DEP_2)
	v_cmpx_ne_u32_e32 0x80, v0
	s_cbranch_execz .LBB294_1804
; %bb.1799:                             ;   in Loop: Header=BB294_1574 Depth=1
	v_and_b32_e32 v33, 0x7f, v0
	v_mov_b32_e32 v12, 0x7c010000
	s_mov_b32 s16, exec_lo
	s_delay_alu instid0(VALU_DEP_2)
	v_cmpx_ne_u32_e32 0x7f, v33
	s_cbranch_execz .LBB294_1803
; %bb.1800:                             ;   in Loop: Header=BB294_1574 Depth=1
	v_and_b32_e32 v12, 7, v0
	v_lshrrev_b32_e32 v23, 3, v33
	s_mov_b32 s17, exec_lo
	v_cmpx_gt_u32_e32 8, v33
; %bb.1801:                             ;   in Loop: Header=BB294_1574 Depth=1
	s_delay_alu instid0(VALU_DEP_3) | instskip(NEXT) | instid1(VALU_DEP_1)
	v_clz_i32_u32_e32 v7, v12
	v_min_u32_e32 v7, 32, v7
	s_delay_alu instid0(VALU_DEP_1) | instskip(SKIP_1) | instid1(VALU_DEP_2)
	v_subrev_nc_u32_e32 v12, 28, v7
	v_sub_nc_u32_e32 v23, 29, v7
	v_lshlrev_b64_e32 v[35:36], v12, v[0:1]
	s_delay_alu instid0(VALU_DEP_1)
	v_and_b32_e32 v12, 7, v35
; %bb.1802:                             ;   in Loop: Header=BB294_1574 Depth=1
	s_wait_alu 0xfffe
	s_or_b32 exec_lo, exec_lo, s17
	v_lshlrev_b32_e32 v0, 8, v0
	v_lshl_add_u32 v7, v23, 10, 0x2000
	s_delay_alu instid0(VALU_DEP_1) | instskip(SKIP_1) | instid1(VALU_DEP_1)
	v_and_or_b32 v0, 0x8000, v0, v7
	v_lshlrev_b32_e32 v7, 23, v12
	v_lshl_or_b32 v12, v0, 16, v7
.LBB294_1803:                           ;   in Loop: Header=BB294_1574 Depth=1
	s_wait_alu 0xfffe
	s_or_b32 exec_lo, exec_lo, s16
.LBB294_1804:                           ;   in Loop: Header=BB294_1574 Depth=1
	s_wait_alu 0xfffe
	s_or_b32 exec_lo, exec_lo, s15
.LBB294_1805:                           ;   in Loop: Header=BB294_1574 Depth=1
	s_wait_alu 0xfffe
	s_or_b32 exec_lo, exec_lo, s14
	v_dual_mov_b32 v0, v11 :: v_dual_and_b32 v35, 0xff, v11
	v_mov_b32_e32 v23, 0
	v_mov_b32_e32 v33, 0
	s_mov_b32 s14, exec_lo
	s_delay_alu instid0(VALU_DEP_3)
	v_cmpx_ne_u16_e32 0, v35
	s_cbranch_execz .LBB294_1813
; %bb.1806:                             ;   in Loop: Header=BB294_1574 Depth=1
	v_mov_b32_e32 v33, 0x8000
	s_mov_b32 s15, exec_lo
	v_cmpx_ne_u16_e32 0x80, v35
	s_cbranch_execz .LBB294_1812
; %bb.1807:                             ;   in Loop: Header=BB294_1574 Depth=1
	v_and_b32_e32 v36, 0x7f, v11
	v_mov_b32_e32 v33, 0x7c01
	s_mov_b32 s16, exec_lo
	s_delay_alu instid0(VALU_DEP_2)
	v_cmpx_ne_u32_e32 0x7f, v36
	s_cbranch_execz .LBB294_1811
; %bb.1808:                             ;   in Loop: Header=BB294_1574 Depth=1
	v_and_b32_e32 v33, 7, v11
	v_lshrrev_b32_e32 v35, 3, v36
	s_mov_b32 s17, exec_lo
	v_cmpx_gt_u32_e32 8, v36
; %bb.1809:                             ;   in Loop: Header=BB294_1574 Depth=1
	s_delay_alu instid0(VALU_DEP_3) | instskip(NEXT) | instid1(VALU_DEP_1)
	v_clz_i32_u32_e32 v7, v33
	v_min_u32_e32 v7, 32, v7
	s_delay_alu instid0(VALU_DEP_1) | instskip(SKIP_1) | instid1(VALU_DEP_2)
	v_subrev_nc_u32_e32 v33, 28, v7
	v_sub_nc_u32_e32 v35, 29, v7
	v_lshlrev_b64_e32 v[36:37], v33, v[0:1]
	s_delay_alu instid0(VALU_DEP_1)
	v_and_b32_e32 v33, 7, v36
; %bb.1810:                             ;   in Loop: Header=BB294_1574 Depth=1
	s_wait_alu 0xfffe
	s_or_b32 exec_lo, exec_lo, s17
	v_lshlrev_b32_e32 v7, 8, v11
	v_lshl_add_u32 v35, v35, 10, 0x2000
	v_lshlrev_b32_e32 v33, 7, v33
	s_delay_alu instid0(VALU_DEP_3) | instskip(NEXT) | instid1(VALU_DEP_3)
	v_and_b32_e32 v7, 0x8000, v7
	v_and_b32_e32 v35, 0xfc00, v35
	s_delay_alu instid0(VALU_DEP_1)
	v_or3_b32 v33, v7, v35, v33
.LBB294_1811:                           ;   in Loop: Header=BB294_1574 Depth=1
	s_wait_alu 0xfffe
	s_or_b32 exec_lo, exec_lo, s16
.LBB294_1812:                           ;   in Loop: Header=BB294_1574 Depth=1
	s_wait_alu 0xfffe
	s_or_b32 exec_lo, exec_lo, s15
.LBB294_1813:                           ;   in Loop: Header=BB294_1574 Depth=1
	s_wait_alu 0xfffe
	s_or_b32 exec_lo, exec_lo, s14
	v_lshrrev_b16 v0, 8, v0
	v_mov_b32_e32 v35, 0
	s_mov_b32 s14, exec_lo
	s_delay_alu instid0(VALU_DEP_2)
	v_cmpx_ne_u16_e32 0, v0
	s_cbranch_execz .LBB294_1821
; %bb.1814:                             ;   in Loop: Header=BB294_1574 Depth=1
	v_bfrev_b32_e32 v35, 1
	s_mov_b32 s15, exec_lo
	v_cmpx_ne_u16_e32 0x80, v0
	s_cbranch_execz .LBB294_1820
; %bb.1815:                             ;   in Loop: Header=BB294_1574 Depth=1
	v_and_b32_e32 v36, 0xffff, v0
	v_mov_b32_e32 v35, 0x7c010000
	s_mov_b32 s16, exec_lo
	s_delay_alu instid0(VALU_DEP_2) | instskip(NEXT) | instid1(VALU_DEP_1)
	v_and_b32_e32 v38, 0x7f, v36
	v_cmpx_ne_u32_e32 0x7f, v38
	s_cbranch_execz .LBB294_1819
; %bb.1816:                             ;   in Loop: Header=BB294_1574 Depth=1
	v_and_b32_e32 v35, 7, v36
	v_lshrrev_b32_e32 v37, 3, v38
	s_mov_b32 s17, exec_lo
	v_cmpx_gt_u32_e32 8, v38
; %bb.1817:                             ;   in Loop: Header=BB294_1574 Depth=1
	s_delay_alu instid0(VALU_DEP_3) | instskip(NEXT) | instid1(VALU_DEP_1)
	v_clz_i32_u32_e32 v7, v35
	v_min_u32_e32 v7, 32, v7
	s_delay_alu instid0(VALU_DEP_1) | instskip(SKIP_1) | instid1(VALU_DEP_2)
	v_subrev_nc_u32_e32 v35, 28, v7
	v_sub_nc_u32_e32 v37, 29, v7
	v_lshlrev_b64_e32 v[38:39], v35, v[0:1]
	s_delay_alu instid0(VALU_DEP_1)
	v_and_b32_e32 v35, 7, v38
; %bb.1818:                             ;   in Loop: Header=BB294_1574 Depth=1
	s_wait_alu 0xfffe
	s_or_b32 exec_lo, exec_lo, s17
	v_lshlrev_b32_e32 v0, 8, v36
	v_lshl_add_u32 v7, v37, 10, 0x2000
	s_delay_alu instid0(VALU_DEP_1) | instskip(SKIP_1) | instid1(VALU_DEP_1)
	v_and_or_b32 v0, 0x8000, v0, v7
	v_lshlrev_b32_e32 v7, 23, v35
	v_lshl_or_b32 v35, v0, 16, v7
.LBB294_1819:                           ;   in Loop: Header=BB294_1574 Depth=1
	s_wait_alu 0xfffe
	s_or_b32 exec_lo, exec_lo, s16
.LBB294_1820:                           ;   in Loop: Header=BB294_1574 Depth=1
	s_wait_alu 0xfffe
	s_or_b32 exec_lo, exec_lo, s15
.LBB294_1821:                           ;   in Loop: Header=BB294_1574 Depth=1
	s_wait_alu 0xfffe
	s_or_b32 exec_lo, exec_lo, s14
	v_lshrrev_b32_e32 v0, 16, v11
	s_mov_b32 s14, exec_lo
	s_delay_alu instid0(VALU_DEP_1) | instskip(NEXT) | instid1(VALU_DEP_1)
	v_and_b32_e32 v36, 0xff, v0
	v_cmpx_ne_u16_e32 0, v36
	s_cbranch_execz .LBB294_1829
; %bb.1822:                             ;   in Loop: Header=BB294_1574 Depth=1
	v_mov_b32_e32 v23, 0x8000
	s_mov_b32 s15, exec_lo
	v_cmpx_ne_u16_e32 0x80, v36
	s_cbranch_execz .LBB294_1828
; %bb.1823:                             ;   in Loop: Header=BB294_1574 Depth=1
	v_bfe_u32 v37, v11, 16, 7
	v_mov_b32_e32 v23, 0x7c01
	s_mov_b32 s16, exec_lo
	s_delay_alu instid0(VALU_DEP_2)
	v_cmpx_ne_u32_e32 0x7f, v37
	s_cbranch_execz .LBB294_1827
; %bb.1824:                             ;   in Loop: Header=BB294_1574 Depth=1
	v_and_b32_e32 v23, 7, v0
	v_lshrrev_b32_e32 v36, 3, v37
	s_mov_b32 s17, exec_lo
	v_cmpx_gt_u32_e32 8, v37
; %bb.1825:                             ;   in Loop: Header=BB294_1574 Depth=1
	s_delay_alu instid0(VALU_DEP_3) | instskip(NEXT) | instid1(VALU_DEP_1)
	v_clz_i32_u32_e32 v7, v23
	v_min_u32_e32 v7, 32, v7
	s_delay_alu instid0(VALU_DEP_1) | instskip(SKIP_1) | instid1(VALU_DEP_2)
	v_subrev_nc_u32_e32 v23, 28, v7
	v_sub_nc_u32_e32 v36, 29, v7
	v_lshlrev_b64_e32 v[37:38], v23, v[0:1]
	s_delay_alu instid0(VALU_DEP_1)
	v_and_b32_e32 v23, 7, v37
; %bb.1826:                             ;   in Loop: Header=BB294_1574 Depth=1
	s_wait_alu 0xfffe
	s_or_b32 exec_lo, exec_lo, s17
	v_lshlrev_b32_e32 v0, 8, v0
	v_lshl_add_u32 v7, v36, 10, 0x2000
	v_lshlrev_b32_e32 v23, 7, v23
	s_delay_alu instid0(VALU_DEP_3) | instskip(NEXT) | instid1(VALU_DEP_3)
	v_and_b32_e32 v0, 0x8000, v0
	v_and_b32_e32 v7, 0xfc00, v7
	s_delay_alu instid0(VALU_DEP_1)
	v_or3_b32 v23, v0, v7, v23
.LBB294_1827:                           ;   in Loop: Header=BB294_1574 Depth=1
	s_wait_alu 0xfffe
	s_or_b32 exec_lo, exec_lo, s16
.LBB294_1828:                           ;   in Loop: Header=BB294_1574 Depth=1
	s_wait_alu 0xfffe
	s_or_b32 exec_lo, exec_lo, s15
.LBB294_1829:                           ;   in Loop: Header=BB294_1574 Depth=1
	s_wait_alu 0xfffe
	s_or_b32 exec_lo, exec_lo, s14
	v_cmp_lt_u64_e64 s0, s[8:9], v[10:11]
	v_mov_b32_e32 v10, 0
	s_and_saveexec_b32 s14, s0
	s_cbranch_execz .LBB294_1837
; %bb.1830:                             ;   in Loop: Header=BB294_1574 Depth=1
	v_lshrrev_b32_e32 v0, 24, v11
	v_bfrev_b32_e32 v10, 1
	s_mov_b32 s15, exec_lo
	s_delay_alu instid0(VALU_DEP_2)
	v_cmpx_ne_u32_e32 0x80, v0
	s_cbranch_execz .LBB294_1836
; %bb.1831:                             ;   in Loop: Header=BB294_1574 Depth=1
	v_and_b32_e32 v36, 0x7f, v0
	v_mov_b32_e32 v10, 0x7c010000
	s_mov_b32 s16, exec_lo
	s_delay_alu instid0(VALU_DEP_2)
	v_cmpx_ne_u32_e32 0x7f, v36
	s_cbranch_execz .LBB294_1835
; %bb.1832:                             ;   in Loop: Header=BB294_1574 Depth=1
	v_and_b32_e32 v10, 7, v0
	v_lshrrev_b32_e32 v11, 3, v36
	s_mov_b32 s17, exec_lo
	v_cmpx_gt_u32_e32 8, v36
; %bb.1833:                             ;   in Loop: Header=BB294_1574 Depth=1
	s_delay_alu instid0(VALU_DEP_3) | instskip(NEXT) | instid1(VALU_DEP_1)
	v_clz_i32_u32_e32 v7, v10
	v_min_u32_e32 v7, 32, v7
	s_delay_alu instid0(VALU_DEP_1) | instskip(NEXT) | instid1(VALU_DEP_1)
	v_subrev_nc_u32_e32 v10, 28, v7
	v_lshlrev_b64_e32 v[10:11], v10, v[0:1]
	v_sub_nc_u32_e32 v11, 29, v7
	s_delay_alu instid0(VALU_DEP_2)
	v_and_b32_e32 v10, 7, v10
; %bb.1834:                             ;   in Loop: Header=BB294_1574 Depth=1
	s_wait_alu 0xfffe
	s_or_b32 exec_lo, exec_lo, s17
	v_lshlrev_b32_e32 v0, 8, v0
	v_lshl_add_u32 v7, v11, 10, 0x2000
	s_delay_alu instid0(VALU_DEP_1) | instskip(SKIP_1) | instid1(VALU_DEP_1)
	v_and_or_b32 v0, 0x8000, v0, v7
	v_lshlrev_b32_e32 v7, 23, v10
	v_lshl_or_b32 v10, v0, 16, v7
.LBB294_1835:                           ;   in Loop: Header=BB294_1574 Depth=1
	s_wait_alu 0xfffe
	s_or_b32 exec_lo, exec_lo, s16
.LBB294_1836:                           ;   in Loop: Header=BB294_1574 Depth=1
	s_wait_alu 0xfffe
	s_or_b32 exec_lo, exec_lo, s15
.LBB294_1837:                           ;   in Loop: Header=BB294_1574 Depth=1
	s_wait_alu 0xfffe
	s_or_b32 exec_lo, exec_lo, s14
	v_or_b32_e32 v0, v12, v22
	s_wait_loadcnt_dscnt 0x0
	v_fma_mixlo_f16 v7, v4, v12, 0 op_sel:[0,1,0] op_sel_hi:[0,1,0]
	v_or_b32_e32 v6, v5, v6
	v_or_b32_e32 v12, v35, v33
	v_or_b32_e32 v23, v10, v23
	v_fma_mixlo_f16 v5, v4, v5, 0 op_sel:[0,1,0] op_sel_hi:[0,1,0]
	v_fma_mixlo_f16 v22, v4, v0, 0 op_sel_hi:[0,1,0]
	v_lshlrev_b32_e32 v0, 16, v7
	v_fma_mixlo_f16 v6, v4, v6, 0 op_sel_hi:[0,1,0]
	v_fma_mixlo_f16 v7, v4, v35, 0 op_sel:[0,1,0] op_sel_hi:[0,1,0]
	v_fma_mixlo_f16 v12, v4, v12, 0 op_sel_hi:[0,1,0]
	v_fma_mixlo_f16 v10, v4, v10, 0 op_sel:[0,1,0] op_sel_hi:[0,1,0]
	v_fma_mixlo_f16 v23, v4, v23, 0 op_sel_hi:[0,1,0]
	v_lshlrev_b32_e32 v11, 16, v5
	v_and_b32_e32 v5, 0xffff, v22
	v_and_b32_e32 v36, 0xffff, v6
	v_lshlrev_b32_e32 v6, 16, v7
	v_and_b32_e32 v22, 0xffff, v12
	v_lshlrev_b32_e32 v4, 16, v10
	v_and_b32_e32 v10, 0xffff, v23
	v_or_b32_e32 v12, v0, v5
	v_or_b32_e32 v35, v11, v36
	;; [unrolled: 1-line block ×3, first 2 shown]
	s_delay_alu instid0(VALU_DEP_4)
	v_or_b32_e32 v23, v4, v10
	s_and_saveexec_b32 s14, vcc_lo
	s_cbranch_execz .LBB294_1839
; %bb.1838:                             ;   in Loop: Header=BB294_1574 Depth=1
	v_cmp_lt_i32_e64 s0, v49, v34
	s_wait_alu 0xf1ff
	s_delay_alu instid0(VALU_DEP_1) | instskip(SKIP_2) | instid1(VALU_DEP_1)
	v_cndmask_b32_e64 v7, 0, v36, s0
	v_cmp_lt_i32_e64 s0, v101, v34
	s_wait_alu 0xf1ff
	v_cndmask_b32_e64 v11, 0, v11, s0
	v_cmp_lt_i32_e64 s0, v100, v34
	s_delay_alu instid0(VALU_DEP_2) | instskip(SKIP_1) | instid1(VALU_DEP_2)
	v_or_b32_e32 v35, v7, v11
	s_wait_alu 0xf1ff
	v_cndmask_b32_e64 v5, 0, v5, s0
	v_cmp_lt_i32_e64 s0, v99, v34
	s_wait_alu 0xf1ff
	s_delay_alu instid0(VALU_DEP_1) | instskip(SKIP_1) | instid1(VALU_DEP_2)
	v_cndmask_b32_e64 v0, 0, v0, s0
	v_cmp_lt_i32_e64 s0, v98, v34
	v_or_b32_e32 v12, v5, v0
	s_wait_alu 0xf1ff
	s_delay_alu instid0(VALU_DEP_2) | instskip(SKIP_2) | instid1(VALU_DEP_1)
	v_cndmask_b32_e64 v22, 0, v22, s0
	v_cmp_lt_i32_e64 s0, v97, v34
	s_wait_alu 0xf1ff
	v_cndmask_b32_e64 v6, 0, v6, s0
	v_cmp_lt_i32_e64 s0, v96, v34
	s_delay_alu instid0(VALU_DEP_2) | instskip(SKIP_1) | instid1(VALU_DEP_2)
	v_or_b32_e32 v33, v22, v6
	s_wait_alu 0xf1ff
	v_cndmask_b32_e64 v10, 0, v10, s0
	v_cmp_lt_i32_e64 s0, v87, v34
	s_wait_alu 0xf1ff
	s_delay_alu instid0(VALU_DEP_1) | instskip(NEXT) | instid1(VALU_DEP_1)
	v_cndmask_b32_e64 v4, 0, v4, s0
	v_or_b32_e32 v23, v10, v4
.LBB294_1839:                           ;   in Loop: Header=BB294_1574 Depth=1
	s_wait_alu 0xfffe
	s_or_b32 exec_lo, exec_lo, s14
	;;#ASMSTART
	v_pk_mul_f16 v0, v86, v35;

	;;#ASMEND
	;;#ASMSTART
	v_pk_mul_f16 v4, v85, v12;

	;;#ASMEND
	;; [unrolled: 4-line block ×4, first 2 shown]
	;;#ASMSTART
	v_pk_add_f16 v0, v0, v4;

	;;#ASMEND
	;;#ASMSTART
	v_pk_add_f16 v0, v0, v5;

	;;#ASMEND
	;;#ASMSTART
	v_pk_add_f16 v0, v0, v6;

	;;#ASMEND
	v_dual_mov_b32 v5, 0 :: v_dual_and_b32 v4, 0xffff, v0
	v_lshrrev_b32_e32 v0, 16, v0
	;;#ASMSTART
	v_cvt_f32_f16 v114, v4;
	;;#ASMEND
	;;#ASMSTART
	v_cvt_f32_f16 v115, v0;
	;;#ASMEND
	flat_load_b64 v[10:11], v[8:9] offset:1024
	flat_load_b32 v4, v[26:27]
	v_mov_b32_e32 v6, 0
	s_mov_b32 s14, exec_lo
	s_wait_loadcnt_dscnt 0x101
	v_and_b32_e32 v0, 0xff, v10
	s_delay_alu instid0(VALU_DEP_1)
	v_cmpx_ne_u16_e32 0, v0
	s_cbranch_execz .LBB294_1847
; %bb.1840:                             ;   in Loop: Header=BB294_1574 Depth=1
	v_mov_b32_e32 v6, 0x8000
	s_mov_b32 s15, exec_lo
	v_cmpx_ne_u16_e32 0x80, v0
	s_cbranch_execz .LBB294_1846
; %bb.1841:                             ;   in Loop: Header=BB294_1574 Depth=1
	v_and_b32_e32 v12, 0x7f, v10
	v_mov_b32_e32 v6, 0x7c01
	s_mov_b32 s16, exec_lo
	s_delay_alu instid0(VALU_DEP_2)
	v_cmpx_ne_u32_e32 0x7f, v12
	s_cbranch_execz .LBB294_1845
; %bb.1842:                             ;   in Loop: Header=BB294_1574 Depth=1
	v_and_b32_e32 v0, 7, v10
	v_lshrrev_b32_e32 v6, 3, v12
	s_mov_b32 s17, exec_lo
	v_cmpx_gt_u32_e32 8, v12
; %bb.1843:                             ;   in Loop: Header=BB294_1574 Depth=1
	s_delay_alu instid0(VALU_DEP_3) | instskip(NEXT) | instid1(VALU_DEP_1)
	v_clz_i32_u32_e32 v0, v0
	v_min_u32_e32 v0, 32, v0
	s_delay_alu instid0(VALU_DEP_1) | instskip(NEXT) | instid1(VALU_DEP_1)
	v_subrev_nc_u32_e32 v6, 28, v0
	v_lshlrev_b64_e32 v[22:23], v6, v[10:11]
	v_sub_nc_u32_e32 v6, 29, v0
	s_delay_alu instid0(VALU_DEP_2)
	v_and_b32_e32 v0, 7, v22
; %bb.1844:                             ;   in Loop: Header=BB294_1574 Depth=1
	s_wait_alu 0xfffe
	s_or_b32 exec_lo, exec_lo, s17
	v_lshlrev_b32_e32 v7, 8, v10
	v_lshl_add_u32 v6, v6, 10, 0x2000
	v_lshlrev_b32_e32 v0, 7, v0
	s_delay_alu instid0(VALU_DEP_3) | instskip(NEXT) | instid1(VALU_DEP_3)
	v_and_b32_e32 v7, 0x8000, v7
	v_and_b32_e32 v6, 0xfc00, v6
	s_delay_alu instid0(VALU_DEP_1)
	v_or3_b32 v6, v7, v6, v0
.LBB294_1845:                           ;   in Loop: Header=BB294_1574 Depth=1
	s_wait_alu 0xfffe
	s_or_b32 exec_lo, exec_lo, s16
.LBB294_1846:                           ;   in Loop: Header=BB294_1574 Depth=1
	s_wait_alu 0xfffe
	s_or_b32 exec_lo, exec_lo, s15
.LBB294_1847:                           ;   in Loop: Header=BB294_1574 Depth=1
	s_wait_alu 0xfffe
	s_or_b32 exec_lo, exec_lo, s14
	v_lshrrev_b16 v0, 8, v10
	s_mov_b32 s14, exec_lo
	s_delay_alu instid0(VALU_DEP_1)
	v_cmpx_ne_u16_e32 0, v0
	s_cbranch_execz .LBB294_1855
; %bb.1848:                             ;   in Loop: Header=BB294_1574 Depth=1
	v_bfrev_b32_e32 v5, 1
	s_mov_b32 s15, exec_lo
	v_cmpx_ne_u16_e32 0x80, v0
	s_cbranch_execz .LBB294_1854
; %bb.1849:                             ;   in Loop: Header=BB294_1574 Depth=1
	v_and_b32_e32 v12, 0xffff, v0
	v_mov_b32_e32 v5, 0x7c010000
	s_mov_b32 s16, exec_lo
	s_delay_alu instid0(VALU_DEP_2) | instskip(NEXT) | instid1(VALU_DEP_1)
	v_and_b32_e32 v23, 0x7f, v12
	v_cmpx_ne_u32_e32 0x7f, v23
	s_cbranch_execz .LBB294_1853
; %bb.1850:                             ;   in Loop: Header=BB294_1574 Depth=1
	v_and_b32_e32 v5, 7, v12
	v_lshrrev_b32_e32 v22, 3, v23
	s_mov_b32 s17, exec_lo
	v_cmpx_gt_u32_e32 8, v23
; %bb.1851:                             ;   in Loop: Header=BB294_1574 Depth=1
	s_delay_alu instid0(VALU_DEP_3) | instskip(NEXT) | instid1(VALU_DEP_1)
	v_clz_i32_u32_e32 v5, v5
	v_min_u32_e32 v5, 32, v5
	s_delay_alu instid0(VALU_DEP_1) | instskip(SKIP_1) | instid1(VALU_DEP_2)
	v_subrev_nc_u32_e32 v7, 28, v5
	v_sub_nc_u32_e32 v22, 29, v5
	v_lshlrev_b64_e32 v[35:36], v7, v[0:1]
	s_delay_alu instid0(VALU_DEP_1)
	v_and_b32_e32 v5, 7, v35
; %bb.1852:                             ;   in Loop: Header=BB294_1574 Depth=1
	s_wait_alu 0xfffe
	s_or_b32 exec_lo, exec_lo, s17
	v_lshlrev_b32_e32 v0, 8, v12
	v_lshl_add_u32 v7, v22, 10, 0x2000
	v_lshlrev_b32_e32 v5, 23, v5
	s_delay_alu instid0(VALU_DEP_2) | instskip(NEXT) | instid1(VALU_DEP_1)
	v_and_or_b32 v0, 0x8000, v0, v7
	v_lshl_or_b32 v5, v0, 16, v5
.LBB294_1853:                           ;   in Loop: Header=BB294_1574 Depth=1
	s_wait_alu 0xfffe
	s_or_b32 exec_lo, exec_lo, s16
.LBB294_1854:                           ;   in Loop: Header=BB294_1574 Depth=1
	s_wait_alu 0xfffe
	s_or_b32 exec_lo, exec_lo, s15
.LBB294_1855:                           ;   in Loop: Header=BB294_1574 Depth=1
	s_wait_alu 0xfffe
	s_or_b32 exec_lo, exec_lo, s14
	v_lshrrev_b32_e32 v0, 16, v10
	v_mov_b32_e32 v22, 0
	s_mov_b32 s14, exec_lo
	s_delay_alu instid0(VALU_DEP_2) | instskip(NEXT) | instid1(VALU_DEP_1)
	v_dual_mov_b32 v12, 0 :: v_dual_and_b32 v23, 0xff, v0
	v_cmpx_ne_u16_e32 0, v23
	s_cbranch_execz .LBB294_1863
; %bb.1856:                             ;   in Loop: Header=BB294_1574 Depth=1
	v_mov_b32_e32 v22, 0x8000
	s_mov_b32 s15, exec_lo
	v_cmpx_ne_u16_e32 0x80, v23
	s_cbranch_execz .LBB294_1862
; %bb.1857:                             ;   in Loop: Header=BB294_1574 Depth=1
	v_bfe_u32 v33, v10, 16, 7
	v_mov_b32_e32 v22, 0x7c01
	s_mov_b32 s16, exec_lo
	s_delay_alu instid0(VALU_DEP_2)
	v_cmpx_ne_u32_e32 0x7f, v33
	s_cbranch_execz .LBB294_1861
; %bb.1858:                             ;   in Loop: Header=BB294_1574 Depth=1
	v_and_b32_e32 v22, 7, v0
	v_lshrrev_b32_e32 v23, 3, v33
	s_mov_b32 s17, exec_lo
	v_cmpx_gt_u32_e32 8, v33
; %bb.1859:                             ;   in Loop: Header=BB294_1574 Depth=1
	s_delay_alu instid0(VALU_DEP_3) | instskip(NEXT) | instid1(VALU_DEP_1)
	v_clz_i32_u32_e32 v7, v22
	v_min_u32_e32 v7, 32, v7
	s_delay_alu instid0(VALU_DEP_1) | instskip(NEXT) | instid1(VALU_DEP_1)
	v_subrev_nc_u32_e32 v22, 28, v7
	v_lshlrev_b64_e32 v[22:23], v22, v[0:1]
	v_sub_nc_u32_e32 v23, 29, v7
	s_delay_alu instid0(VALU_DEP_2)
	v_and_b32_e32 v22, 7, v22
; %bb.1860:                             ;   in Loop: Header=BB294_1574 Depth=1
	s_wait_alu 0xfffe
	s_or_b32 exec_lo, exec_lo, s17
	v_lshlrev_b32_e32 v0, 8, v0
	v_lshl_add_u32 v7, v23, 10, 0x2000
	v_lshlrev_b32_e32 v22, 7, v22
	s_delay_alu instid0(VALU_DEP_3) | instskip(NEXT) | instid1(VALU_DEP_3)
	v_and_b32_e32 v0, 0x8000, v0
	v_and_b32_e32 v7, 0xfc00, v7
	s_delay_alu instid0(VALU_DEP_1)
	v_or3_b32 v22, v0, v7, v22
.LBB294_1861:                           ;   in Loop: Header=BB294_1574 Depth=1
	s_wait_alu 0xfffe
	s_or_b32 exec_lo, exec_lo, s16
.LBB294_1862:                           ;   in Loop: Header=BB294_1574 Depth=1
	s_wait_alu 0xfffe
	s_or_b32 exec_lo, exec_lo, s15
.LBB294_1863:                           ;   in Loop: Header=BB294_1574 Depth=1
	s_wait_alu 0xfffe
	s_or_b32 exec_lo, exec_lo, s14
	s_delay_alu instid0(SALU_CYCLE_1)
	s_mov_b32 s14, exec_lo
	v_cmpx_lt_u32_e32 0xffffff, v10
	s_cbranch_execz .LBB294_1871
; %bb.1864:                             ;   in Loop: Header=BB294_1574 Depth=1
	v_lshrrev_b32_e32 v0, 24, v10
	v_bfrev_b32_e32 v12, 1
	s_mov_b32 s15, exec_lo
	s_delay_alu instid0(VALU_DEP_2)
	v_cmpx_ne_u32_e32 0x80, v0
	s_cbranch_execz .LBB294_1870
; %bb.1865:                             ;   in Loop: Header=BB294_1574 Depth=1
	v_and_b32_e32 v33, 0x7f, v0
	v_mov_b32_e32 v12, 0x7c010000
	s_mov_b32 s16, exec_lo
	s_delay_alu instid0(VALU_DEP_2)
	v_cmpx_ne_u32_e32 0x7f, v33
	s_cbranch_execz .LBB294_1869
; %bb.1866:                             ;   in Loop: Header=BB294_1574 Depth=1
	v_and_b32_e32 v12, 7, v0
	v_lshrrev_b32_e32 v23, 3, v33
	s_mov_b32 s17, exec_lo
	v_cmpx_gt_u32_e32 8, v33
; %bb.1867:                             ;   in Loop: Header=BB294_1574 Depth=1
	s_delay_alu instid0(VALU_DEP_3) | instskip(NEXT) | instid1(VALU_DEP_1)
	v_clz_i32_u32_e32 v7, v12
	v_min_u32_e32 v7, 32, v7
	s_delay_alu instid0(VALU_DEP_1) | instskip(SKIP_1) | instid1(VALU_DEP_2)
	v_subrev_nc_u32_e32 v12, 28, v7
	v_sub_nc_u32_e32 v23, 29, v7
	v_lshlrev_b64_e32 v[35:36], v12, v[0:1]
	s_delay_alu instid0(VALU_DEP_1)
	v_and_b32_e32 v12, 7, v35
; %bb.1868:                             ;   in Loop: Header=BB294_1574 Depth=1
	s_wait_alu 0xfffe
	s_or_b32 exec_lo, exec_lo, s17
	v_lshlrev_b32_e32 v0, 8, v0
	v_lshl_add_u32 v7, v23, 10, 0x2000
	s_delay_alu instid0(VALU_DEP_1) | instskip(SKIP_1) | instid1(VALU_DEP_1)
	v_and_or_b32 v0, 0x8000, v0, v7
	v_lshlrev_b32_e32 v7, 23, v12
	v_lshl_or_b32 v12, v0, 16, v7
.LBB294_1869:                           ;   in Loop: Header=BB294_1574 Depth=1
	s_wait_alu 0xfffe
	s_or_b32 exec_lo, exec_lo, s16
.LBB294_1870:                           ;   in Loop: Header=BB294_1574 Depth=1
	s_wait_alu 0xfffe
	s_or_b32 exec_lo, exec_lo, s15
.LBB294_1871:                           ;   in Loop: Header=BB294_1574 Depth=1
	s_wait_alu 0xfffe
	s_or_b32 exec_lo, exec_lo, s14
	v_dual_mov_b32 v0, v11 :: v_dual_and_b32 v35, 0xff, v11
	v_mov_b32_e32 v23, 0
	v_mov_b32_e32 v33, 0
	s_mov_b32 s14, exec_lo
	s_delay_alu instid0(VALU_DEP_3)
	v_cmpx_ne_u16_e32 0, v35
	s_cbranch_execz .LBB294_1879
; %bb.1872:                             ;   in Loop: Header=BB294_1574 Depth=1
	v_mov_b32_e32 v33, 0x8000
	s_mov_b32 s15, exec_lo
	v_cmpx_ne_u16_e32 0x80, v35
	s_cbranch_execz .LBB294_1878
; %bb.1873:                             ;   in Loop: Header=BB294_1574 Depth=1
	v_and_b32_e32 v36, 0x7f, v11
	v_mov_b32_e32 v33, 0x7c01
	s_mov_b32 s16, exec_lo
	s_delay_alu instid0(VALU_DEP_2)
	v_cmpx_ne_u32_e32 0x7f, v36
	s_cbranch_execz .LBB294_1877
; %bb.1874:                             ;   in Loop: Header=BB294_1574 Depth=1
	v_and_b32_e32 v33, 7, v11
	v_lshrrev_b32_e32 v35, 3, v36
	s_mov_b32 s17, exec_lo
	v_cmpx_gt_u32_e32 8, v36
; %bb.1875:                             ;   in Loop: Header=BB294_1574 Depth=1
	s_delay_alu instid0(VALU_DEP_3) | instskip(NEXT) | instid1(VALU_DEP_1)
	v_clz_i32_u32_e32 v7, v33
	v_min_u32_e32 v7, 32, v7
	s_delay_alu instid0(VALU_DEP_1) | instskip(SKIP_1) | instid1(VALU_DEP_2)
	v_subrev_nc_u32_e32 v33, 28, v7
	v_sub_nc_u32_e32 v35, 29, v7
	v_lshlrev_b64_e32 v[36:37], v33, v[0:1]
	s_delay_alu instid0(VALU_DEP_1)
	v_and_b32_e32 v33, 7, v36
; %bb.1876:                             ;   in Loop: Header=BB294_1574 Depth=1
	s_wait_alu 0xfffe
	s_or_b32 exec_lo, exec_lo, s17
	v_lshlrev_b32_e32 v7, 8, v11
	v_lshl_add_u32 v35, v35, 10, 0x2000
	v_lshlrev_b32_e32 v33, 7, v33
	s_delay_alu instid0(VALU_DEP_3) | instskip(NEXT) | instid1(VALU_DEP_3)
	v_and_b32_e32 v7, 0x8000, v7
	v_and_b32_e32 v35, 0xfc00, v35
	s_delay_alu instid0(VALU_DEP_1)
	v_or3_b32 v33, v7, v35, v33
.LBB294_1877:                           ;   in Loop: Header=BB294_1574 Depth=1
	s_wait_alu 0xfffe
	s_or_b32 exec_lo, exec_lo, s16
.LBB294_1878:                           ;   in Loop: Header=BB294_1574 Depth=1
	s_wait_alu 0xfffe
	s_or_b32 exec_lo, exec_lo, s15
.LBB294_1879:                           ;   in Loop: Header=BB294_1574 Depth=1
	s_wait_alu 0xfffe
	s_or_b32 exec_lo, exec_lo, s14
	v_lshrrev_b16 v0, 8, v0
	v_mov_b32_e32 v35, 0
	s_mov_b32 s14, exec_lo
	s_delay_alu instid0(VALU_DEP_2)
	v_cmpx_ne_u16_e32 0, v0
	s_cbranch_execz .LBB294_1887
; %bb.1880:                             ;   in Loop: Header=BB294_1574 Depth=1
	v_bfrev_b32_e32 v35, 1
	s_mov_b32 s15, exec_lo
	v_cmpx_ne_u16_e32 0x80, v0
	s_cbranch_execz .LBB294_1886
; %bb.1881:                             ;   in Loop: Header=BB294_1574 Depth=1
	v_and_b32_e32 v36, 0xffff, v0
	v_mov_b32_e32 v35, 0x7c010000
	s_mov_b32 s16, exec_lo
	s_delay_alu instid0(VALU_DEP_2) | instskip(NEXT) | instid1(VALU_DEP_1)
	v_and_b32_e32 v38, 0x7f, v36
	v_cmpx_ne_u32_e32 0x7f, v38
	s_cbranch_execz .LBB294_1885
; %bb.1882:                             ;   in Loop: Header=BB294_1574 Depth=1
	v_and_b32_e32 v35, 7, v36
	v_lshrrev_b32_e32 v37, 3, v38
	s_mov_b32 s17, exec_lo
	v_cmpx_gt_u32_e32 8, v38
; %bb.1883:                             ;   in Loop: Header=BB294_1574 Depth=1
	s_delay_alu instid0(VALU_DEP_3) | instskip(NEXT) | instid1(VALU_DEP_1)
	v_clz_i32_u32_e32 v7, v35
	v_min_u32_e32 v7, 32, v7
	s_delay_alu instid0(VALU_DEP_1) | instskip(SKIP_1) | instid1(VALU_DEP_2)
	v_subrev_nc_u32_e32 v35, 28, v7
	v_sub_nc_u32_e32 v37, 29, v7
	v_lshlrev_b64_e32 v[38:39], v35, v[0:1]
	s_delay_alu instid0(VALU_DEP_1)
	v_and_b32_e32 v35, 7, v38
; %bb.1884:                             ;   in Loop: Header=BB294_1574 Depth=1
	s_wait_alu 0xfffe
	s_or_b32 exec_lo, exec_lo, s17
	v_lshlrev_b32_e32 v0, 8, v36
	v_lshl_add_u32 v7, v37, 10, 0x2000
	s_delay_alu instid0(VALU_DEP_1) | instskip(SKIP_1) | instid1(VALU_DEP_1)
	v_and_or_b32 v0, 0x8000, v0, v7
	v_lshlrev_b32_e32 v7, 23, v35
	v_lshl_or_b32 v35, v0, 16, v7
.LBB294_1885:                           ;   in Loop: Header=BB294_1574 Depth=1
	s_wait_alu 0xfffe
	s_or_b32 exec_lo, exec_lo, s16
.LBB294_1886:                           ;   in Loop: Header=BB294_1574 Depth=1
	s_wait_alu 0xfffe
	s_or_b32 exec_lo, exec_lo, s15
.LBB294_1887:                           ;   in Loop: Header=BB294_1574 Depth=1
	s_wait_alu 0xfffe
	s_or_b32 exec_lo, exec_lo, s14
	v_lshrrev_b32_e32 v0, 16, v11
	s_mov_b32 s14, exec_lo
	s_delay_alu instid0(VALU_DEP_1) | instskip(NEXT) | instid1(VALU_DEP_1)
	v_and_b32_e32 v36, 0xff, v0
	v_cmpx_ne_u16_e32 0, v36
	s_cbranch_execz .LBB294_1895
; %bb.1888:                             ;   in Loop: Header=BB294_1574 Depth=1
	v_mov_b32_e32 v23, 0x8000
	s_mov_b32 s15, exec_lo
	v_cmpx_ne_u16_e32 0x80, v36
	s_cbranch_execz .LBB294_1894
; %bb.1889:                             ;   in Loop: Header=BB294_1574 Depth=1
	v_bfe_u32 v37, v11, 16, 7
	v_mov_b32_e32 v23, 0x7c01
	s_mov_b32 s16, exec_lo
	s_delay_alu instid0(VALU_DEP_2)
	v_cmpx_ne_u32_e32 0x7f, v37
	s_cbranch_execz .LBB294_1893
; %bb.1890:                             ;   in Loop: Header=BB294_1574 Depth=1
	v_and_b32_e32 v23, 7, v0
	v_lshrrev_b32_e32 v36, 3, v37
	s_mov_b32 s17, exec_lo
	v_cmpx_gt_u32_e32 8, v37
; %bb.1891:                             ;   in Loop: Header=BB294_1574 Depth=1
	s_delay_alu instid0(VALU_DEP_3) | instskip(NEXT) | instid1(VALU_DEP_1)
	v_clz_i32_u32_e32 v7, v23
	v_min_u32_e32 v7, 32, v7
	s_delay_alu instid0(VALU_DEP_1) | instskip(SKIP_1) | instid1(VALU_DEP_2)
	v_subrev_nc_u32_e32 v23, 28, v7
	v_sub_nc_u32_e32 v36, 29, v7
	v_lshlrev_b64_e32 v[37:38], v23, v[0:1]
	s_delay_alu instid0(VALU_DEP_1)
	v_and_b32_e32 v23, 7, v37
; %bb.1892:                             ;   in Loop: Header=BB294_1574 Depth=1
	s_wait_alu 0xfffe
	s_or_b32 exec_lo, exec_lo, s17
	v_lshlrev_b32_e32 v0, 8, v0
	v_lshl_add_u32 v7, v36, 10, 0x2000
	v_lshlrev_b32_e32 v23, 7, v23
	s_delay_alu instid0(VALU_DEP_3) | instskip(NEXT) | instid1(VALU_DEP_3)
	v_and_b32_e32 v0, 0x8000, v0
	v_and_b32_e32 v7, 0xfc00, v7
	s_delay_alu instid0(VALU_DEP_1)
	v_or3_b32 v23, v0, v7, v23
.LBB294_1893:                           ;   in Loop: Header=BB294_1574 Depth=1
	s_wait_alu 0xfffe
	s_or_b32 exec_lo, exec_lo, s16
.LBB294_1894:                           ;   in Loop: Header=BB294_1574 Depth=1
	s_wait_alu 0xfffe
	s_or_b32 exec_lo, exec_lo, s15
.LBB294_1895:                           ;   in Loop: Header=BB294_1574 Depth=1
	s_wait_alu 0xfffe
	s_or_b32 exec_lo, exec_lo, s14
	v_cmp_lt_u64_e64 s0, s[8:9], v[10:11]
	v_mov_b32_e32 v10, 0
	s_and_saveexec_b32 s14, s0
	s_cbranch_execz .LBB294_1903
; %bb.1896:                             ;   in Loop: Header=BB294_1574 Depth=1
	v_lshrrev_b32_e32 v0, 24, v11
	v_bfrev_b32_e32 v10, 1
	s_mov_b32 s15, exec_lo
	s_delay_alu instid0(VALU_DEP_2)
	v_cmpx_ne_u32_e32 0x80, v0
	s_cbranch_execz .LBB294_1902
; %bb.1897:                             ;   in Loop: Header=BB294_1574 Depth=1
	v_and_b32_e32 v36, 0x7f, v0
	v_mov_b32_e32 v10, 0x7c010000
	s_mov_b32 s16, exec_lo
	s_delay_alu instid0(VALU_DEP_2)
	v_cmpx_ne_u32_e32 0x7f, v36
	s_cbranch_execz .LBB294_1901
; %bb.1898:                             ;   in Loop: Header=BB294_1574 Depth=1
	v_and_b32_e32 v10, 7, v0
	v_lshrrev_b32_e32 v11, 3, v36
	s_mov_b32 s17, exec_lo
	v_cmpx_gt_u32_e32 8, v36
; %bb.1899:                             ;   in Loop: Header=BB294_1574 Depth=1
	s_delay_alu instid0(VALU_DEP_3) | instskip(NEXT) | instid1(VALU_DEP_1)
	v_clz_i32_u32_e32 v7, v10
	v_min_u32_e32 v7, 32, v7
	s_delay_alu instid0(VALU_DEP_1) | instskip(NEXT) | instid1(VALU_DEP_1)
	v_subrev_nc_u32_e32 v10, 28, v7
	v_lshlrev_b64_e32 v[10:11], v10, v[0:1]
	v_sub_nc_u32_e32 v11, 29, v7
	s_delay_alu instid0(VALU_DEP_2)
	v_and_b32_e32 v10, 7, v10
; %bb.1900:                             ;   in Loop: Header=BB294_1574 Depth=1
	s_wait_alu 0xfffe
	s_or_b32 exec_lo, exec_lo, s17
	v_lshlrev_b32_e32 v0, 8, v0
	v_lshl_add_u32 v7, v11, 10, 0x2000
	s_delay_alu instid0(VALU_DEP_1) | instskip(SKIP_1) | instid1(VALU_DEP_1)
	v_and_or_b32 v0, 0x8000, v0, v7
	v_lshlrev_b32_e32 v7, 23, v10
	v_lshl_or_b32 v10, v0, 16, v7
.LBB294_1901:                           ;   in Loop: Header=BB294_1574 Depth=1
	s_wait_alu 0xfffe
	s_or_b32 exec_lo, exec_lo, s16
.LBB294_1902:                           ;   in Loop: Header=BB294_1574 Depth=1
	s_wait_alu 0xfffe
	s_or_b32 exec_lo, exec_lo, s15
.LBB294_1903:                           ;   in Loop: Header=BB294_1574 Depth=1
	s_wait_alu 0xfffe
	s_or_b32 exec_lo, exec_lo, s14
	v_or_b32_e32 v0, v12, v22
	s_wait_loadcnt_dscnt 0x0
	v_fma_mixlo_f16 v7, v4, v12, 0 op_sel:[0,1,0] op_sel_hi:[0,1,0]
	v_or_b32_e32 v6, v5, v6
	v_or_b32_e32 v12, v35, v33
	;; [unrolled: 1-line block ×3, first 2 shown]
	v_fma_mixlo_f16 v5, v4, v5, 0 op_sel:[0,1,0] op_sel_hi:[0,1,0]
	v_fma_mixlo_f16 v22, v4, v0, 0 op_sel_hi:[0,1,0]
	v_lshlrev_b32_e32 v0, 16, v7
	v_fma_mixlo_f16 v6, v4, v6, 0 op_sel_hi:[0,1,0]
	v_fma_mixlo_f16 v7, v4, v35, 0 op_sel:[0,1,0] op_sel_hi:[0,1,0]
	v_fma_mixlo_f16 v12, v4, v12, 0 op_sel_hi:[0,1,0]
	v_fma_mixlo_f16 v10, v4, v10, 0 op_sel:[0,1,0] op_sel_hi:[0,1,0]
	v_fma_mixlo_f16 v23, v4, v23, 0 op_sel_hi:[0,1,0]
	v_lshlrev_b32_e32 v11, 16, v5
	v_and_b32_e32 v5, 0xffff, v22
	v_and_b32_e32 v36, 0xffff, v6
	v_lshlrev_b32_e32 v6, 16, v7
	v_and_b32_e32 v22, 0xffff, v12
	v_lshlrev_b32_e32 v4, 16, v10
	v_and_b32_e32 v10, 0xffff, v23
	v_or_b32_e32 v12, v0, v5
	v_or_b32_e32 v35, v11, v36
	;; [unrolled: 1-line block ×3, first 2 shown]
	s_delay_alu instid0(VALU_DEP_4)
	v_or_b32_e32 v23, v4, v10
	s_and_saveexec_b32 s14, vcc_lo
	s_cbranch_execz .LBB294_1905
; %bb.1904:                             ;   in Loop: Header=BB294_1574 Depth=1
	v_cmp_lt_i32_e64 s0, v49, v34
	s_wait_alu 0xf1ff
	s_delay_alu instid0(VALU_DEP_1) | instskip(SKIP_2) | instid1(VALU_DEP_1)
	v_cndmask_b32_e64 v7, 0, v36, s0
	v_cmp_lt_i32_e64 s0, v101, v34
	s_wait_alu 0xf1ff
	v_cndmask_b32_e64 v11, 0, v11, s0
	v_cmp_lt_i32_e64 s0, v100, v34
	s_delay_alu instid0(VALU_DEP_2) | instskip(SKIP_1) | instid1(VALU_DEP_2)
	v_or_b32_e32 v35, v7, v11
	s_wait_alu 0xf1ff
	v_cndmask_b32_e64 v5, 0, v5, s0
	v_cmp_lt_i32_e64 s0, v99, v34
	s_wait_alu 0xf1ff
	s_delay_alu instid0(VALU_DEP_1) | instskip(SKIP_1) | instid1(VALU_DEP_2)
	v_cndmask_b32_e64 v0, 0, v0, s0
	v_cmp_lt_i32_e64 s0, v98, v34
	v_or_b32_e32 v12, v5, v0
	s_wait_alu 0xf1ff
	s_delay_alu instid0(VALU_DEP_2) | instskip(SKIP_2) | instid1(VALU_DEP_1)
	v_cndmask_b32_e64 v22, 0, v22, s0
	v_cmp_lt_i32_e64 s0, v97, v34
	s_wait_alu 0xf1ff
	v_cndmask_b32_e64 v6, 0, v6, s0
	v_cmp_lt_i32_e64 s0, v96, v34
	s_delay_alu instid0(VALU_DEP_2) | instskip(SKIP_1) | instid1(VALU_DEP_2)
	v_or_b32_e32 v33, v22, v6
	s_wait_alu 0xf1ff
	v_cndmask_b32_e64 v10, 0, v10, s0
	v_cmp_lt_i32_e64 s0, v87, v34
	s_wait_alu 0xf1ff
	s_delay_alu instid0(VALU_DEP_1) | instskip(NEXT) | instid1(VALU_DEP_1)
	v_cndmask_b32_e64 v4, 0, v4, s0
	v_or_b32_e32 v23, v10, v4
.LBB294_1905:                           ;   in Loop: Header=BB294_1574 Depth=1
	s_wait_alu 0xfffe
	s_or_b32 exec_lo, exec_lo, s14
	;;#ASMSTART
	v_pk_mul_f16 v0, v86, v35;

	;;#ASMEND
	;;#ASMSTART
	v_pk_mul_f16 v4, v85, v12;

	;;#ASMEND
	;; [unrolled: 4-line block ×4, first 2 shown]
	;;#ASMSTART
	v_pk_add_f16 v0, v0, v4;

	;;#ASMEND
	;;#ASMSTART
	v_pk_add_f16 v0, v0, v5;

	;;#ASMEND
	;; [unrolled: 4-line block ×3, first 2 shown]
	v_dual_mov_b32 v5, 0 :: v_dual_and_b32 v4, 0xffff, v0
	v_lshrrev_b32_e32 v0, 16, v0
	;;#ASMSTART
	v_cvt_f32_f16 v183, v4;
	;;#ASMEND
	;;#ASMSTART
	v_cvt_f32_f16 v103, v0;
	;;#ASMEND
	flat_load_b64 v[10:11], v[8:9] offset:1280
	flat_load_b32 v4, v[26:27]
	v_mov_b32_e32 v6, 0
	s_mov_b32 s14, exec_lo
	s_wait_loadcnt_dscnt 0x101
	v_and_b32_e32 v0, 0xff, v10
	s_delay_alu instid0(VALU_DEP_1)
	v_cmpx_ne_u16_e32 0, v0
	s_cbranch_execz .LBB294_1913
; %bb.1906:                             ;   in Loop: Header=BB294_1574 Depth=1
	v_mov_b32_e32 v6, 0x8000
	s_mov_b32 s15, exec_lo
	v_cmpx_ne_u16_e32 0x80, v0
	s_cbranch_execz .LBB294_1912
; %bb.1907:                             ;   in Loop: Header=BB294_1574 Depth=1
	v_and_b32_e32 v12, 0x7f, v10
	v_mov_b32_e32 v6, 0x7c01
	s_mov_b32 s16, exec_lo
	s_delay_alu instid0(VALU_DEP_2)
	v_cmpx_ne_u32_e32 0x7f, v12
	s_cbranch_execz .LBB294_1911
; %bb.1908:                             ;   in Loop: Header=BB294_1574 Depth=1
	v_and_b32_e32 v0, 7, v10
	v_lshrrev_b32_e32 v6, 3, v12
	s_mov_b32 s17, exec_lo
	v_cmpx_gt_u32_e32 8, v12
; %bb.1909:                             ;   in Loop: Header=BB294_1574 Depth=1
	s_delay_alu instid0(VALU_DEP_3) | instskip(NEXT) | instid1(VALU_DEP_1)
	v_clz_i32_u32_e32 v0, v0
	v_min_u32_e32 v0, 32, v0
	s_delay_alu instid0(VALU_DEP_1) | instskip(NEXT) | instid1(VALU_DEP_1)
	v_subrev_nc_u32_e32 v6, 28, v0
	v_lshlrev_b64_e32 v[22:23], v6, v[10:11]
	v_sub_nc_u32_e32 v6, 29, v0
	s_delay_alu instid0(VALU_DEP_2)
	v_and_b32_e32 v0, 7, v22
; %bb.1910:                             ;   in Loop: Header=BB294_1574 Depth=1
	s_wait_alu 0xfffe
	s_or_b32 exec_lo, exec_lo, s17
	v_lshlrev_b32_e32 v7, 8, v10
	v_lshl_add_u32 v6, v6, 10, 0x2000
	v_lshlrev_b32_e32 v0, 7, v0
	s_delay_alu instid0(VALU_DEP_3) | instskip(NEXT) | instid1(VALU_DEP_3)
	v_and_b32_e32 v7, 0x8000, v7
	v_and_b32_e32 v6, 0xfc00, v6
	s_delay_alu instid0(VALU_DEP_1)
	v_or3_b32 v6, v7, v6, v0
.LBB294_1911:                           ;   in Loop: Header=BB294_1574 Depth=1
	s_wait_alu 0xfffe
	s_or_b32 exec_lo, exec_lo, s16
.LBB294_1912:                           ;   in Loop: Header=BB294_1574 Depth=1
	s_wait_alu 0xfffe
	s_or_b32 exec_lo, exec_lo, s15
.LBB294_1913:                           ;   in Loop: Header=BB294_1574 Depth=1
	s_wait_alu 0xfffe
	s_or_b32 exec_lo, exec_lo, s14
	v_lshrrev_b16 v0, 8, v10
	s_mov_b32 s14, exec_lo
	s_delay_alu instid0(VALU_DEP_1)
	v_cmpx_ne_u16_e32 0, v0
	s_cbranch_execz .LBB294_1921
; %bb.1914:                             ;   in Loop: Header=BB294_1574 Depth=1
	v_bfrev_b32_e32 v5, 1
	s_mov_b32 s15, exec_lo
	v_cmpx_ne_u16_e32 0x80, v0
	s_cbranch_execz .LBB294_1920
; %bb.1915:                             ;   in Loop: Header=BB294_1574 Depth=1
	v_and_b32_e32 v12, 0xffff, v0
	v_mov_b32_e32 v5, 0x7c010000
	s_mov_b32 s16, exec_lo
	s_delay_alu instid0(VALU_DEP_2) | instskip(NEXT) | instid1(VALU_DEP_1)
	v_and_b32_e32 v23, 0x7f, v12
	v_cmpx_ne_u32_e32 0x7f, v23
	s_cbranch_execz .LBB294_1919
; %bb.1916:                             ;   in Loop: Header=BB294_1574 Depth=1
	v_and_b32_e32 v5, 7, v12
	v_lshrrev_b32_e32 v22, 3, v23
	s_mov_b32 s17, exec_lo
	v_cmpx_gt_u32_e32 8, v23
; %bb.1917:                             ;   in Loop: Header=BB294_1574 Depth=1
	s_delay_alu instid0(VALU_DEP_3) | instskip(NEXT) | instid1(VALU_DEP_1)
	v_clz_i32_u32_e32 v5, v5
	v_min_u32_e32 v5, 32, v5
	s_delay_alu instid0(VALU_DEP_1) | instskip(SKIP_1) | instid1(VALU_DEP_2)
	v_subrev_nc_u32_e32 v7, 28, v5
	v_sub_nc_u32_e32 v22, 29, v5
	v_lshlrev_b64_e32 v[35:36], v7, v[0:1]
	s_delay_alu instid0(VALU_DEP_1)
	v_and_b32_e32 v5, 7, v35
; %bb.1918:                             ;   in Loop: Header=BB294_1574 Depth=1
	s_wait_alu 0xfffe
	s_or_b32 exec_lo, exec_lo, s17
	v_lshlrev_b32_e32 v0, 8, v12
	v_lshl_add_u32 v7, v22, 10, 0x2000
	v_lshlrev_b32_e32 v5, 23, v5
	s_delay_alu instid0(VALU_DEP_2) | instskip(NEXT) | instid1(VALU_DEP_1)
	v_and_or_b32 v0, 0x8000, v0, v7
	v_lshl_or_b32 v5, v0, 16, v5
.LBB294_1919:                           ;   in Loop: Header=BB294_1574 Depth=1
	s_wait_alu 0xfffe
	s_or_b32 exec_lo, exec_lo, s16
.LBB294_1920:                           ;   in Loop: Header=BB294_1574 Depth=1
	s_wait_alu 0xfffe
	s_or_b32 exec_lo, exec_lo, s15
.LBB294_1921:                           ;   in Loop: Header=BB294_1574 Depth=1
	s_wait_alu 0xfffe
	s_or_b32 exec_lo, exec_lo, s14
	v_lshrrev_b32_e32 v0, 16, v10
	v_mov_b32_e32 v22, 0
	s_mov_b32 s14, exec_lo
	s_delay_alu instid0(VALU_DEP_2) | instskip(NEXT) | instid1(VALU_DEP_1)
	v_dual_mov_b32 v12, 0 :: v_dual_and_b32 v23, 0xff, v0
	v_cmpx_ne_u16_e32 0, v23
	s_cbranch_execz .LBB294_1929
; %bb.1922:                             ;   in Loop: Header=BB294_1574 Depth=1
	v_mov_b32_e32 v22, 0x8000
	s_mov_b32 s15, exec_lo
	v_cmpx_ne_u16_e32 0x80, v23
	s_cbranch_execz .LBB294_1928
; %bb.1923:                             ;   in Loop: Header=BB294_1574 Depth=1
	v_bfe_u32 v33, v10, 16, 7
	v_mov_b32_e32 v22, 0x7c01
	s_mov_b32 s16, exec_lo
	s_delay_alu instid0(VALU_DEP_2)
	v_cmpx_ne_u32_e32 0x7f, v33
	s_cbranch_execz .LBB294_1927
; %bb.1924:                             ;   in Loop: Header=BB294_1574 Depth=1
	v_and_b32_e32 v22, 7, v0
	v_lshrrev_b32_e32 v23, 3, v33
	s_mov_b32 s17, exec_lo
	v_cmpx_gt_u32_e32 8, v33
; %bb.1925:                             ;   in Loop: Header=BB294_1574 Depth=1
	s_delay_alu instid0(VALU_DEP_3) | instskip(NEXT) | instid1(VALU_DEP_1)
	v_clz_i32_u32_e32 v7, v22
	v_min_u32_e32 v7, 32, v7
	s_delay_alu instid0(VALU_DEP_1) | instskip(NEXT) | instid1(VALU_DEP_1)
	v_subrev_nc_u32_e32 v22, 28, v7
	v_lshlrev_b64_e32 v[22:23], v22, v[0:1]
	v_sub_nc_u32_e32 v23, 29, v7
	s_delay_alu instid0(VALU_DEP_2)
	v_and_b32_e32 v22, 7, v22
; %bb.1926:                             ;   in Loop: Header=BB294_1574 Depth=1
	s_wait_alu 0xfffe
	s_or_b32 exec_lo, exec_lo, s17
	v_lshlrev_b32_e32 v0, 8, v0
	v_lshl_add_u32 v7, v23, 10, 0x2000
	v_lshlrev_b32_e32 v22, 7, v22
	s_delay_alu instid0(VALU_DEP_3) | instskip(NEXT) | instid1(VALU_DEP_3)
	v_and_b32_e32 v0, 0x8000, v0
	v_and_b32_e32 v7, 0xfc00, v7
	s_delay_alu instid0(VALU_DEP_1)
	v_or3_b32 v22, v0, v7, v22
.LBB294_1927:                           ;   in Loop: Header=BB294_1574 Depth=1
	s_wait_alu 0xfffe
	s_or_b32 exec_lo, exec_lo, s16
.LBB294_1928:                           ;   in Loop: Header=BB294_1574 Depth=1
	s_wait_alu 0xfffe
	s_or_b32 exec_lo, exec_lo, s15
.LBB294_1929:                           ;   in Loop: Header=BB294_1574 Depth=1
	s_wait_alu 0xfffe
	s_or_b32 exec_lo, exec_lo, s14
	s_delay_alu instid0(SALU_CYCLE_1)
	s_mov_b32 s14, exec_lo
	v_cmpx_lt_u32_e32 0xffffff, v10
	s_cbranch_execz .LBB294_1937
; %bb.1930:                             ;   in Loop: Header=BB294_1574 Depth=1
	v_lshrrev_b32_e32 v0, 24, v10
	v_bfrev_b32_e32 v12, 1
	s_mov_b32 s15, exec_lo
	s_delay_alu instid0(VALU_DEP_2)
	v_cmpx_ne_u32_e32 0x80, v0
	s_cbranch_execz .LBB294_1936
; %bb.1931:                             ;   in Loop: Header=BB294_1574 Depth=1
	v_and_b32_e32 v33, 0x7f, v0
	v_mov_b32_e32 v12, 0x7c010000
	s_mov_b32 s16, exec_lo
	s_delay_alu instid0(VALU_DEP_2)
	v_cmpx_ne_u32_e32 0x7f, v33
	s_cbranch_execz .LBB294_1935
; %bb.1932:                             ;   in Loop: Header=BB294_1574 Depth=1
	v_and_b32_e32 v12, 7, v0
	v_lshrrev_b32_e32 v23, 3, v33
	s_mov_b32 s17, exec_lo
	v_cmpx_gt_u32_e32 8, v33
; %bb.1933:                             ;   in Loop: Header=BB294_1574 Depth=1
	s_delay_alu instid0(VALU_DEP_3) | instskip(NEXT) | instid1(VALU_DEP_1)
	v_clz_i32_u32_e32 v7, v12
	v_min_u32_e32 v7, 32, v7
	s_delay_alu instid0(VALU_DEP_1) | instskip(SKIP_1) | instid1(VALU_DEP_2)
	v_subrev_nc_u32_e32 v12, 28, v7
	v_sub_nc_u32_e32 v23, 29, v7
	v_lshlrev_b64_e32 v[35:36], v12, v[0:1]
	s_delay_alu instid0(VALU_DEP_1)
	v_and_b32_e32 v12, 7, v35
; %bb.1934:                             ;   in Loop: Header=BB294_1574 Depth=1
	s_wait_alu 0xfffe
	s_or_b32 exec_lo, exec_lo, s17
	v_lshlrev_b32_e32 v0, 8, v0
	v_lshl_add_u32 v7, v23, 10, 0x2000
	s_delay_alu instid0(VALU_DEP_1) | instskip(SKIP_1) | instid1(VALU_DEP_1)
	v_and_or_b32 v0, 0x8000, v0, v7
	v_lshlrev_b32_e32 v7, 23, v12
	v_lshl_or_b32 v12, v0, 16, v7
.LBB294_1935:                           ;   in Loop: Header=BB294_1574 Depth=1
	s_wait_alu 0xfffe
	s_or_b32 exec_lo, exec_lo, s16
.LBB294_1936:                           ;   in Loop: Header=BB294_1574 Depth=1
	s_wait_alu 0xfffe
	s_or_b32 exec_lo, exec_lo, s15
.LBB294_1937:                           ;   in Loop: Header=BB294_1574 Depth=1
	s_wait_alu 0xfffe
	s_or_b32 exec_lo, exec_lo, s14
	v_dual_mov_b32 v0, v11 :: v_dual_and_b32 v35, 0xff, v11
	v_mov_b32_e32 v23, 0
	v_mov_b32_e32 v33, 0
	s_mov_b32 s14, exec_lo
	s_delay_alu instid0(VALU_DEP_3)
	v_cmpx_ne_u16_e32 0, v35
	s_cbranch_execz .LBB294_1945
; %bb.1938:                             ;   in Loop: Header=BB294_1574 Depth=1
	v_mov_b32_e32 v33, 0x8000
	s_mov_b32 s15, exec_lo
	v_cmpx_ne_u16_e32 0x80, v35
	s_cbranch_execz .LBB294_1944
; %bb.1939:                             ;   in Loop: Header=BB294_1574 Depth=1
	v_and_b32_e32 v36, 0x7f, v11
	v_mov_b32_e32 v33, 0x7c01
	s_mov_b32 s16, exec_lo
	s_delay_alu instid0(VALU_DEP_2)
	v_cmpx_ne_u32_e32 0x7f, v36
	s_cbranch_execz .LBB294_1943
; %bb.1940:                             ;   in Loop: Header=BB294_1574 Depth=1
	v_and_b32_e32 v33, 7, v11
	v_lshrrev_b32_e32 v35, 3, v36
	s_mov_b32 s17, exec_lo
	v_cmpx_gt_u32_e32 8, v36
; %bb.1941:                             ;   in Loop: Header=BB294_1574 Depth=1
	s_delay_alu instid0(VALU_DEP_3) | instskip(NEXT) | instid1(VALU_DEP_1)
	v_clz_i32_u32_e32 v7, v33
	v_min_u32_e32 v7, 32, v7
	s_delay_alu instid0(VALU_DEP_1) | instskip(SKIP_1) | instid1(VALU_DEP_2)
	v_subrev_nc_u32_e32 v33, 28, v7
	v_sub_nc_u32_e32 v35, 29, v7
	v_lshlrev_b64_e32 v[36:37], v33, v[0:1]
	s_delay_alu instid0(VALU_DEP_1)
	v_and_b32_e32 v33, 7, v36
; %bb.1942:                             ;   in Loop: Header=BB294_1574 Depth=1
	s_wait_alu 0xfffe
	s_or_b32 exec_lo, exec_lo, s17
	v_lshlrev_b32_e32 v7, 8, v11
	v_lshl_add_u32 v35, v35, 10, 0x2000
	v_lshlrev_b32_e32 v33, 7, v33
	s_delay_alu instid0(VALU_DEP_3) | instskip(NEXT) | instid1(VALU_DEP_3)
	v_and_b32_e32 v7, 0x8000, v7
	v_and_b32_e32 v35, 0xfc00, v35
	s_delay_alu instid0(VALU_DEP_1)
	v_or3_b32 v33, v7, v35, v33
.LBB294_1943:                           ;   in Loop: Header=BB294_1574 Depth=1
	s_wait_alu 0xfffe
	s_or_b32 exec_lo, exec_lo, s16
.LBB294_1944:                           ;   in Loop: Header=BB294_1574 Depth=1
	s_wait_alu 0xfffe
	s_or_b32 exec_lo, exec_lo, s15
.LBB294_1945:                           ;   in Loop: Header=BB294_1574 Depth=1
	s_wait_alu 0xfffe
	s_or_b32 exec_lo, exec_lo, s14
	v_lshrrev_b16 v0, 8, v0
	v_mov_b32_e32 v35, 0
	s_mov_b32 s14, exec_lo
	s_delay_alu instid0(VALU_DEP_2)
	v_cmpx_ne_u16_e32 0, v0
	s_cbranch_execz .LBB294_1953
; %bb.1946:                             ;   in Loop: Header=BB294_1574 Depth=1
	v_bfrev_b32_e32 v35, 1
	s_mov_b32 s15, exec_lo
	v_cmpx_ne_u16_e32 0x80, v0
	s_cbranch_execz .LBB294_1952
; %bb.1947:                             ;   in Loop: Header=BB294_1574 Depth=1
	v_and_b32_e32 v36, 0xffff, v0
	v_mov_b32_e32 v35, 0x7c010000
	s_mov_b32 s16, exec_lo
	s_delay_alu instid0(VALU_DEP_2) | instskip(NEXT) | instid1(VALU_DEP_1)
	v_and_b32_e32 v38, 0x7f, v36
	v_cmpx_ne_u32_e32 0x7f, v38
	s_cbranch_execz .LBB294_1951
; %bb.1948:                             ;   in Loop: Header=BB294_1574 Depth=1
	v_and_b32_e32 v35, 7, v36
	v_lshrrev_b32_e32 v37, 3, v38
	s_mov_b32 s17, exec_lo
	v_cmpx_gt_u32_e32 8, v38
; %bb.1949:                             ;   in Loop: Header=BB294_1574 Depth=1
	s_delay_alu instid0(VALU_DEP_3) | instskip(NEXT) | instid1(VALU_DEP_1)
	v_clz_i32_u32_e32 v7, v35
	v_min_u32_e32 v7, 32, v7
	s_delay_alu instid0(VALU_DEP_1) | instskip(SKIP_1) | instid1(VALU_DEP_2)
	v_subrev_nc_u32_e32 v35, 28, v7
	v_sub_nc_u32_e32 v37, 29, v7
	v_lshlrev_b64_e32 v[38:39], v35, v[0:1]
	s_delay_alu instid0(VALU_DEP_1)
	v_and_b32_e32 v35, 7, v38
; %bb.1950:                             ;   in Loop: Header=BB294_1574 Depth=1
	s_wait_alu 0xfffe
	s_or_b32 exec_lo, exec_lo, s17
	v_lshlrev_b32_e32 v0, 8, v36
	v_lshl_add_u32 v7, v37, 10, 0x2000
	s_delay_alu instid0(VALU_DEP_1) | instskip(SKIP_1) | instid1(VALU_DEP_1)
	v_and_or_b32 v0, 0x8000, v0, v7
	v_lshlrev_b32_e32 v7, 23, v35
	v_lshl_or_b32 v35, v0, 16, v7
.LBB294_1951:                           ;   in Loop: Header=BB294_1574 Depth=1
	s_wait_alu 0xfffe
	s_or_b32 exec_lo, exec_lo, s16
.LBB294_1952:                           ;   in Loop: Header=BB294_1574 Depth=1
	s_wait_alu 0xfffe
	s_or_b32 exec_lo, exec_lo, s15
.LBB294_1953:                           ;   in Loop: Header=BB294_1574 Depth=1
	s_wait_alu 0xfffe
	s_or_b32 exec_lo, exec_lo, s14
	v_lshrrev_b32_e32 v0, 16, v11
	s_mov_b32 s14, exec_lo
	s_delay_alu instid0(VALU_DEP_1) | instskip(NEXT) | instid1(VALU_DEP_1)
	v_and_b32_e32 v36, 0xff, v0
	v_cmpx_ne_u16_e32 0, v36
	s_cbranch_execz .LBB294_1961
; %bb.1954:                             ;   in Loop: Header=BB294_1574 Depth=1
	v_mov_b32_e32 v23, 0x8000
	s_mov_b32 s15, exec_lo
	v_cmpx_ne_u16_e32 0x80, v36
	s_cbranch_execz .LBB294_1960
; %bb.1955:                             ;   in Loop: Header=BB294_1574 Depth=1
	v_bfe_u32 v37, v11, 16, 7
	v_mov_b32_e32 v23, 0x7c01
	s_mov_b32 s16, exec_lo
	s_delay_alu instid0(VALU_DEP_2)
	v_cmpx_ne_u32_e32 0x7f, v37
	s_cbranch_execz .LBB294_1959
; %bb.1956:                             ;   in Loop: Header=BB294_1574 Depth=1
	v_and_b32_e32 v23, 7, v0
	v_lshrrev_b32_e32 v36, 3, v37
	s_mov_b32 s17, exec_lo
	v_cmpx_gt_u32_e32 8, v37
; %bb.1957:                             ;   in Loop: Header=BB294_1574 Depth=1
	s_delay_alu instid0(VALU_DEP_3) | instskip(NEXT) | instid1(VALU_DEP_1)
	v_clz_i32_u32_e32 v7, v23
	v_min_u32_e32 v7, 32, v7
	s_delay_alu instid0(VALU_DEP_1) | instskip(SKIP_1) | instid1(VALU_DEP_2)
	v_subrev_nc_u32_e32 v23, 28, v7
	v_sub_nc_u32_e32 v36, 29, v7
	v_lshlrev_b64_e32 v[37:38], v23, v[0:1]
	s_delay_alu instid0(VALU_DEP_1)
	v_and_b32_e32 v23, 7, v37
; %bb.1958:                             ;   in Loop: Header=BB294_1574 Depth=1
	s_wait_alu 0xfffe
	s_or_b32 exec_lo, exec_lo, s17
	v_lshlrev_b32_e32 v0, 8, v0
	v_lshl_add_u32 v7, v36, 10, 0x2000
	v_lshlrev_b32_e32 v23, 7, v23
	s_delay_alu instid0(VALU_DEP_3) | instskip(NEXT) | instid1(VALU_DEP_3)
	v_and_b32_e32 v0, 0x8000, v0
	v_and_b32_e32 v7, 0xfc00, v7
	s_delay_alu instid0(VALU_DEP_1)
	v_or3_b32 v23, v0, v7, v23
.LBB294_1959:                           ;   in Loop: Header=BB294_1574 Depth=1
	s_wait_alu 0xfffe
	s_or_b32 exec_lo, exec_lo, s16
.LBB294_1960:                           ;   in Loop: Header=BB294_1574 Depth=1
	s_wait_alu 0xfffe
	s_or_b32 exec_lo, exec_lo, s15
.LBB294_1961:                           ;   in Loop: Header=BB294_1574 Depth=1
	s_wait_alu 0xfffe
	s_or_b32 exec_lo, exec_lo, s14
	v_cmp_lt_u64_e64 s0, s[8:9], v[10:11]
	v_mov_b32_e32 v10, 0
	s_and_saveexec_b32 s14, s0
	s_cbranch_execz .LBB294_1969
; %bb.1962:                             ;   in Loop: Header=BB294_1574 Depth=1
	v_lshrrev_b32_e32 v0, 24, v11
	v_bfrev_b32_e32 v10, 1
	s_mov_b32 s15, exec_lo
	s_delay_alu instid0(VALU_DEP_2)
	v_cmpx_ne_u32_e32 0x80, v0
	s_cbranch_execz .LBB294_1968
; %bb.1963:                             ;   in Loop: Header=BB294_1574 Depth=1
	v_and_b32_e32 v36, 0x7f, v0
	v_mov_b32_e32 v10, 0x7c010000
	s_mov_b32 s16, exec_lo
	s_delay_alu instid0(VALU_DEP_2)
	v_cmpx_ne_u32_e32 0x7f, v36
	s_cbranch_execz .LBB294_1967
; %bb.1964:                             ;   in Loop: Header=BB294_1574 Depth=1
	v_and_b32_e32 v10, 7, v0
	v_lshrrev_b32_e32 v11, 3, v36
	s_mov_b32 s17, exec_lo
	v_cmpx_gt_u32_e32 8, v36
; %bb.1965:                             ;   in Loop: Header=BB294_1574 Depth=1
	s_delay_alu instid0(VALU_DEP_3) | instskip(NEXT) | instid1(VALU_DEP_1)
	v_clz_i32_u32_e32 v7, v10
	v_min_u32_e32 v7, 32, v7
	s_delay_alu instid0(VALU_DEP_1) | instskip(NEXT) | instid1(VALU_DEP_1)
	v_subrev_nc_u32_e32 v10, 28, v7
	v_lshlrev_b64_e32 v[10:11], v10, v[0:1]
	v_sub_nc_u32_e32 v11, 29, v7
	s_delay_alu instid0(VALU_DEP_2)
	v_and_b32_e32 v10, 7, v10
; %bb.1966:                             ;   in Loop: Header=BB294_1574 Depth=1
	s_wait_alu 0xfffe
	s_or_b32 exec_lo, exec_lo, s17
	v_lshlrev_b32_e32 v0, 8, v0
	v_lshl_add_u32 v7, v11, 10, 0x2000
	s_delay_alu instid0(VALU_DEP_1) | instskip(SKIP_1) | instid1(VALU_DEP_1)
	v_and_or_b32 v0, 0x8000, v0, v7
	v_lshlrev_b32_e32 v7, 23, v10
	v_lshl_or_b32 v10, v0, 16, v7
.LBB294_1967:                           ;   in Loop: Header=BB294_1574 Depth=1
	s_wait_alu 0xfffe
	s_or_b32 exec_lo, exec_lo, s16
.LBB294_1968:                           ;   in Loop: Header=BB294_1574 Depth=1
	s_wait_alu 0xfffe
	s_or_b32 exec_lo, exec_lo, s15
.LBB294_1969:                           ;   in Loop: Header=BB294_1574 Depth=1
	s_wait_alu 0xfffe
	s_or_b32 exec_lo, exec_lo, s14
	v_or_b32_e32 v0, v12, v22
	s_wait_loadcnt_dscnt 0x0
	v_fma_mixlo_f16 v7, v4, v12, 0 op_sel:[0,1,0] op_sel_hi:[0,1,0]
	v_or_b32_e32 v6, v5, v6
	v_or_b32_e32 v12, v35, v33
	;; [unrolled: 1-line block ×3, first 2 shown]
	v_fma_mixlo_f16 v5, v4, v5, 0 op_sel:[0,1,0] op_sel_hi:[0,1,0]
	v_fma_mixlo_f16 v22, v4, v0, 0 op_sel_hi:[0,1,0]
	v_lshlrev_b32_e32 v0, 16, v7
	v_fma_mixlo_f16 v6, v4, v6, 0 op_sel_hi:[0,1,0]
	v_fma_mixlo_f16 v7, v4, v35, 0 op_sel:[0,1,0] op_sel_hi:[0,1,0]
	v_fma_mixlo_f16 v12, v4, v12, 0 op_sel_hi:[0,1,0]
	v_fma_mixlo_f16 v10, v4, v10, 0 op_sel:[0,1,0] op_sel_hi:[0,1,0]
	v_fma_mixlo_f16 v23, v4, v23, 0 op_sel_hi:[0,1,0]
	v_lshlrev_b32_e32 v11, 16, v5
	v_and_b32_e32 v5, 0xffff, v22
	v_and_b32_e32 v36, 0xffff, v6
	v_lshlrev_b32_e32 v6, 16, v7
	v_and_b32_e32 v22, 0xffff, v12
	v_lshlrev_b32_e32 v4, 16, v10
	v_and_b32_e32 v10, 0xffff, v23
	v_or_b32_e32 v12, v0, v5
	v_or_b32_e32 v35, v11, v36
	;; [unrolled: 1-line block ×3, first 2 shown]
	s_delay_alu instid0(VALU_DEP_4)
	v_or_b32_e32 v23, v4, v10
	s_and_saveexec_b32 s14, vcc_lo
	s_cbranch_execz .LBB294_1971
; %bb.1970:                             ;   in Loop: Header=BB294_1574 Depth=1
	v_cmp_lt_i32_e64 s0, v49, v34
	s_wait_alu 0xf1ff
	s_delay_alu instid0(VALU_DEP_1) | instskip(SKIP_2) | instid1(VALU_DEP_1)
	v_cndmask_b32_e64 v7, 0, v36, s0
	v_cmp_lt_i32_e64 s0, v101, v34
	s_wait_alu 0xf1ff
	v_cndmask_b32_e64 v11, 0, v11, s0
	v_cmp_lt_i32_e64 s0, v100, v34
	s_delay_alu instid0(VALU_DEP_2) | instskip(SKIP_1) | instid1(VALU_DEP_2)
	v_or_b32_e32 v35, v7, v11
	s_wait_alu 0xf1ff
	v_cndmask_b32_e64 v5, 0, v5, s0
	v_cmp_lt_i32_e64 s0, v99, v34
	s_wait_alu 0xf1ff
	s_delay_alu instid0(VALU_DEP_1) | instskip(SKIP_1) | instid1(VALU_DEP_2)
	v_cndmask_b32_e64 v0, 0, v0, s0
	v_cmp_lt_i32_e64 s0, v98, v34
	v_or_b32_e32 v12, v5, v0
	s_wait_alu 0xf1ff
	s_delay_alu instid0(VALU_DEP_2) | instskip(SKIP_2) | instid1(VALU_DEP_1)
	v_cndmask_b32_e64 v22, 0, v22, s0
	v_cmp_lt_i32_e64 s0, v97, v34
	s_wait_alu 0xf1ff
	v_cndmask_b32_e64 v6, 0, v6, s0
	v_cmp_lt_i32_e64 s0, v96, v34
	s_delay_alu instid0(VALU_DEP_2) | instskip(SKIP_1) | instid1(VALU_DEP_2)
	v_or_b32_e32 v33, v22, v6
	s_wait_alu 0xf1ff
	v_cndmask_b32_e64 v10, 0, v10, s0
	v_cmp_lt_i32_e64 s0, v87, v34
	s_wait_alu 0xf1ff
	s_delay_alu instid0(VALU_DEP_1) | instskip(NEXT) | instid1(VALU_DEP_1)
	v_cndmask_b32_e64 v4, 0, v4, s0
	v_or_b32_e32 v23, v10, v4
.LBB294_1971:                           ;   in Loop: Header=BB294_1574 Depth=1
	s_wait_alu 0xfffe
	s_or_b32 exec_lo, exec_lo, s14
	;;#ASMSTART
	v_pk_mul_f16 v0, v86, v35;

	;;#ASMEND
	;;#ASMSTART
	v_pk_mul_f16 v4, v85, v12;

	;;#ASMEND
	;; [unrolled: 4-line block ×4, first 2 shown]
	;;#ASMSTART
	v_pk_add_f16 v0, v0, v4;

	;;#ASMEND
	;;#ASMSTART
	v_pk_add_f16 v0, v0, v5;

	;;#ASMEND
	;; [unrolled: 4-line block ×3, first 2 shown]
	v_dual_mov_b32 v5, 0 :: v_dual_and_b32 v4, 0xffff, v0
	v_lshrrev_b32_e32 v0, 16, v0
	;;#ASMSTART
	v_cvt_f32_f16 v118, v4;
	;;#ASMEND
	;;#ASMSTART
	v_cvt_f32_f16 v119, v0;
	;;#ASMEND
	flat_load_b64 v[10:11], v[8:9] offset:1536
	flat_load_b32 v4, v[26:27]
	v_mov_b32_e32 v6, 0
	s_mov_b32 s14, exec_lo
	s_wait_loadcnt_dscnt 0x101
	v_and_b32_e32 v0, 0xff, v10
	s_delay_alu instid0(VALU_DEP_1)
	v_cmpx_ne_u16_e32 0, v0
	s_cbranch_execz .LBB294_1979
; %bb.1972:                             ;   in Loop: Header=BB294_1574 Depth=1
	v_mov_b32_e32 v6, 0x8000
	s_mov_b32 s15, exec_lo
	v_cmpx_ne_u16_e32 0x80, v0
	s_cbranch_execz .LBB294_1978
; %bb.1973:                             ;   in Loop: Header=BB294_1574 Depth=1
	v_and_b32_e32 v12, 0x7f, v10
	v_mov_b32_e32 v6, 0x7c01
	s_mov_b32 s16, exec_lo
	s_delay_alu instid0(VALU_DEP_2)
	v_cmpx_ne_u32_e32 0x7f, v12
	s_cbranch_execz .LBB294_1977
; %bb.1974:                             ;   in Loop: Header=BB294_1574 Depth=1
	v_and_b32_e32 v0, 7, v10
	v_lshrrev_b32_e32 v6, 3, v12
	s_mov_b32 s17, exec_lo
	v_cmpx_gt_u32_e32 8, v12
; %bb.1975:                             ;   in Loop: Header=BB294_1574 Depth=1
	s_delay_alu instid0(VALU_DEP_3) | instskip(NEXT) | instid1(VALU_DEP_1)
	v_clz_i32_u32_e32 v0, v0
	v_min_u32_e32 v0, 32, v0
	s_delay_alu instid0(VALU_DEP_1) | instskip(NEXT) | instid1(VALU_DEP_1)
	v_subrev_nc_u32_e32 v6, 28, v0
	v_lshlrev_b64_e32 v[22:23], v6, v[10:11]
	v_sub_nc_u32_e32 v6, 29, v0
	s_delay_alu instid0(VALU_DEP_2)
	v_and_b32_e32 v0, 7, v22
; %bb.1976:                             ;   in Loop: Header=BB294_1574 Depth=1
	s_wait_alu 0xfffe
	s_or_b32 exec_lo, exec_lo, s17
	v_lshlrev_b32_e32 v7, 8, v10
	v_lshl_add_u32 v6, v6, 10, 0x2000
	v_lshlrev_b32_e32 v0, 7, v0
	s_delay_alu instid0(VALU_DEP_3) | instskip(NEXT) | instid1(VALU_DEP_3)
	v_and_b32_e32 v7, 0x8000, v7
	v_and_b32_e32 v6, 0xfc00, v6
	s_delay_alu instid0(VALU_DEP_1)
	v_or3_b32 v6, v7, v6, v0
.LBB294_1977:                           ;   in Loop: Header=BB294_1574 Depth=1
	s_wait_alu 0xfffe
	s_or_b32 exec_lo, exec_lo, s16
.LBB294_1978:                           ;   in Loop: Header=BB294_1574 Depth=1
	s_wait_alu 0xfffe
	s_or_b32 exec_lo, exec_lo, s15
.LBB294_1979:                           ;   in Loop: Header=BB294_1574 Depth=1
	s_wait_alu 0xfffe
	s_or_b32 exec_lo, exec_lo, s14
	v_lshrrev_b16 v0, 8, v10
	s_mov_b32 s14, exec_lo
	s_delay_alu instid0(VALU_DEP_1)
	v_cmpx_ne_u16_e32 0, v0
	s_cbranch_execz .LBB294_1987
; %bb.1980:                             ;   in Loop: Header=BB294_1574 Depth=1
	v_bfrev_b32_e32 v5, 1
	s_mov_b32 s15, exec_lo
	v_cmpx_ne_u16_e32 0x80, v0
	s_cbranch_execz .LBB294_1986
; %bb.1981:                             ;   in Loop: Header=BB294_1574 Depth=1
	v_and_b32_e32 v12, 0xffff, v0
	v_mov_b32_e32 v5, 0x7c010000
	s_mov_b32 s16, exec_lo
	s_delay_alu instid0(VALU_DEP_2) | instskip(NEXT) | instid1(VALU_DEP_1)
	v_and_b32_e32 v23, 0x7f, v12
	v_cmpx_ne_u32_e32 0x7f, v23
	s_cbranch_execz .LBB294_1985
; %bb.1982:                             ;   in Loop: Header=BB294_1574 Depth=1
	v_and_b32_e32 v5, 7, v12
	v_lshrrev_b32_e32 v22, 3, v23
	s_mov_b32 s17, exec_lo
	v_cmpx_gt_u32_e32 8, v23
; %bb.1983:                             ;   in Loop: Header=BB294_1574 Depth=1
	s_delay_alu instid0(VALU_DEP_3) | instskip(NEXT) | instid1(VALU_DEP_1)
	v_clz_i32_u32_e32 v5, v5
	v_min_u32_e32 v5, 32, v5
	s_delay_alu instid0(VALU_DEP_1) | instskip(SKIP_1) | instid1(VALU_DEP_2)
	v_subrev_nc_u32_e32 v7, 28, v5
	v_sub_nc_u32_e32 v22, 29, v5
	v_lshlrev_b64_e32 v[35:36], v7, v[0:1]
	s_delay_alu instid0(VALU_DEP_1)
	v_and_b32_e32 v5, 7, v35
; %bb.1984:                             ;   in Loop: Header=BB294_1574 Depth=1
	s_wait_alu 0xfffe
	s_or_b32 exec_lo, exec_lo, s17
	v_lshlrev_b32_e32 v0, 8, v12
	v_lshl_add_u32 v7, v22, 10, 0x2000
	v_lshlrev_b32_e32 v5, 23, v5
	s_delay_alu instid0(VALU_DEP_2) | instskip(NEXT) | instid1(VALU_DEP_1)
	v_and_or_b32 v0, 0x8000, v0, v7
	v_lshl_or_b32 v5, v0, 16, v5
.LBB294_1985:                           ;   in Loop: Header=BB294_1574 Depth=1
	s_wait_alu 0xfffe
	s_or_b32 exec_lo, exec_lo, s16
.LBB294_1986:                           ;   in Loop: Header=BB294_1574 Depth=1
	s_wait_alu 0xfffe
	s_or_b32 exec_lo, exec_lo, s15
.LBB294_1987:                           ;   in Loop: Header=BB294_1574 Depth=1
	s_wait_alu 0xfffe
	s_or_b32 exec_lo, exec_lo, s14
	v_lshrrev_b32_e32 v0, 16, v10
	v_mov_b32_e32 v22, 0
	s_mov_b32 s14, exec_lo
	s_delay_alu instid0(VALU_DEP_2) | instskip(NEXT) | instid1(VALU_DEP_1)
	v_dual_mov_b32 v12, 0 :: v_dual_and_b32 v23, 0xff, v0
	v_cmpx_ne_u16_e32 0, v23
	s_cbranch_execz .LBB294_1995
; %bb.1988:                             ;   in Loop: Header=BB294_1574 Depth=1
	v_mov_b32_e32 v22, 0x8000
	s_mov_b32 s15, exec_lo
	v_cmpx_ne_u16_e32 0x80, v23
	s_cbranch_execz .LBB294_1994
; %bb.1989:                             ;   in Loop: Header=BB294_1574 Depth=1
	v_bfe_u32 v33, v10, 16, 7
	v_mov_b32_e32 v22, 0x7c01
	s_mov_b32 s16, exec_lo
	s_delay_alu instid0(VALU_DEP_2)
	v_cmpx_ne_u32_e32 0x7f, v33
	s_cbranch_execz .LBB294_1993
; %bb.1990:                             ;   in Loop: Header=BB294_1574 Depth=1
	v_and_b32_e32 v22, 7, v0
	v_lshrrev_b32_e32 v23, 3, v33
	s_mov_b32 s17, exec_lo
	v_cmpx_gt_u32_e32 8, v33
; %bb.1991:                             ;   in Loop: Header=BB294_1574 Depth=1
	s_delay_alu instid0(VALU_DEP_3) | instskip(NEXT) | instid1(VALU_DEP_1)
	v_clz_i32_u32_e32 v7, v22
	v_min_u32_e32 v7, 32, v7
	s_delay_alu instid0(VALU_DEP_1) | instskip(NEXT) | instid1(VALU_DEP_1)
	v_subrev_nc_u32_e32 v22, 28, v7
	v_lshlrev_b64_e32 v[22:23], v22, v[0:1]
	v_sub_nc_u32_e32 v23, 29, v7
	s_delay_alu instid0(VALU_DEP_2)
	v_and_b32_e32 v22, 7, v22
; %bb.1992:                             ;   in Loop: Header=BB294_1574 Depth=1
	s_wait_alu 0xfffe
	s_or_b32 exec_lo, exec_lo, s17
	v_lshlrev_b32_e32 v0, 8, v0
	v_lshl_add_u32 v7, v23, 10, 0x2000
	v_lshlrev_b32_e32 v22, 7, v22
	s_delay_alu instid0(VALU_DEP_3) | instskip(NEXT) | instid1(VALU_DEP_3)
	v_and_b32_e32 v0, 0x8000, v0
	v_and_b32_e32 v7, 0xfc00, v7
	s_delay_alu instid0(VALU_DEP_1)
	v_or3_b32 v22, v0, v7, v22
.LBB294_1993:                           ;   in Loop: Header=BB294_1574 Depth=1
	s_wait_alu 0xfffe
	s_or_b32 exec_lo, exec_lo, s16
.LBB294_1994:                           ;   in Loop: Header=BB294_1574 Depth=1
	s_wait_alu 0xfffe
	s_or_b32 exec_lo, exec_lo, s15
.LBB294_1995:                           ;   in Loop: Header=BB294_1574 Depth=1
	s_wait_alu 0xfffe
	s_or_b32 exec_lo, exec_lo, s14
	s_delay_alu instid0(SALU_CYCLE_1)
	s_mov_b32 s14, exec_lo
	v_cmpx_lt_u32_e32 0xffffff, v10
	s_cbranch_execz .LBB294_2003
; %bb.1996:                             ;   in Loop: Header=BB294_1574 Depth=1
	v_lshrrev_b32_e32 v0, 24, v10
	v_bfrev_b32_e32 v12, 1
	s_mov_b32 s15, exec_lo
	s_delay_alu instid0(VALU_DEP_2)
	v_cmpx_ne_u32_e32 0x80, v0
	s_cbranch_execz .LBB294_2002
; %bb.1997:                             ;   in Loop: Header=BB294_1574 Depth=1
	v_and_b32_e32 v33, 0x7f, v0
	v_mov_b32_e32 v12, 0x7c010000
	s_mov_b32 s16, exec_lo
	s_delay_alu instid0(VALU_DEP_2)
	v_cmpx_ne_u32_e32 0x7f, v33
	s_cbranch_execz .LBB294_2001
; %bb.1998:                             ;   in Loop: Header=BB294_1574 Depth=1
	v_and_b32_e32 v12, 7, v0
	v_lshrrev_b32_e32 v23, 3, v33
	s_mov_b32 s17, exec_lo
	v_cmpx_gt_u32_e32 8, v33
; %bb.1999:                             ;   in Loop: Header=BB294_1574 Depth=1
	s_delay_alu instid0(VALU_DEP_3) | instskip(NEXT) | instid1(VALU_DEP_1)
	v_clz_i32_u32_e32 v7, v12
	v_min_u32_e32 v7, 32, v7
	s_delay_alu instid0(VALU_DEP_1) | instskip(SKIP_1) | instid1(VALU_DEP_2)
	v_subrev_nc_u32_e32 v12, 28, v7
	v_sub_nc_u32_e32 v23, 29, v7
	v_lshlrev_b64_e32 v[35:36], v12, v[0:1]
	s_delay_alu instid0(VALU_DEP_1)
	v_and_b32_e32 v12, 7, v35
; %bb.2000:                             ;   in Loop: Header=BB294_1574 Depth=1
	s_wait_alu 0xfffe
	s_or_b32 exec_lo, exec_lo, s17
	v_lshlrev_b32_e32 v0, 8, v0
	v_lshl_add_u32 v7, v23, 10, 0x2000
	s_delay_alu instid0(VALU_DEP_1) | instskip(SKIP_1) | instid1(VALU_DEP_1)
	v_and_or_b32 v0, 0x8000, v0, v7
	v_lshlrev_b32_e32 v7, 23, v12
	v_lshl_or_b32 v12, v0, 16, v7
.LBB294_2001:                           ;   in Loop: Header=BB294_1574 Depth=1
	s_wait_alu 0xfffe
	s_or_b32 exec_lo, exec_lo, s16
.LBB294_2002:                           ;   in Loop: Header=BB294_1574 Depth=1
	s_wait_alu 0xfffe
	s_or_b32 exec_lo, exec_lo, s15
.LBB294_2003:                           ;   in Loop: Header=BB294_1574 Depth=1
	s_wait_alu 0xfffe
	s_or_b32 exec_lo, exec_lo, s14
	v_dual_mov_b32 v0, v11 :: v_dual_and_b32 v35, 0xff, v11
	v_mov_b32_e32 v23, 0
	v_mov_b32_e32 v33, 0
	s_mov_b32 s14, exec_lo
	s_delay_alu instid0(VALU_DEP_3)
	v_cmpx_ne_u16_e32 0, v35
	s_cbranch_execz .LBB294_2011
; %bb.2004:                             ;   in Loop: Header=BB294_1574 Depth=1
	v_mov_b32_e32 v33, 0x8000
	s_mov_b32 s15, exec_lo
	v_cmpx_ne_u16_e32 0x80, v35
	s_cbranch_execz .LBB294_2010
; %bb.2005:                             ;   in Loop: Header=BB294_1574 Depth=1
	v_and_b32_e32 v36, 0x7f, v11
	v_mov_b32_e32 v33, 0x7c01
	s_mov_b32 s16, exec_lo
	s_delay_alu instid0(VALU_DEP_2)
	v_cmpx_ne_u32_e32 0x7f, v36
	s_cbranch_execz .LBB294_2009
; %bb.2006:                             ;   in Loop: Header=BB294_1574 Depth=1
	v_and_b32_e32 v33, 7, v11
	v_lshrrev_b32_e32 v35, 3, v36
	s_mov_b32 s17, exec_lo
	v_cmpx_gt_u32_e32 8, v36
; %bb.2007:                             ;   in Loop: Header=BB294_1574 Depth=1
	s_delay_alu instid0(VALU_DEP_3) | instskip(NEXT) | instid1(VALU_DEP_1)
	v_clz_i32_u32_e32 v7, v33
	v_min_u32_e32 v7, 32, v7
	s_delay_alu instid0(VALU_DEP_1) | instskip(SKIP_1) | instid1(VALU_DEP_2)
	v_subrev_nc_u32_e32 v33, 28, v7
	v_sub_nc_u32_e32 v35, 29, v7
	v_lshlrev_b64_e32 v[36:37], v33, v[0:1]
	s_delay_alu instid0(VALU_DEP_1)
	v_and_b32_e32 v33, 7, v36
; %bb.2008:                             ;   in Loop: Header=BB294_1574 Depth=1
	s_wait_alu 0xfffe
	s_or_b32 exec_lo, exec_lo, s17
	v_lshlrev_b32_e32 v7, 8, v11
	v_lshl_add_u32 v35, v35, 10, 0x2000
	v_lshlrev_b32_e32 v33, 7, v33
	s_delay_alu instid0(VALU_DEP_3) | instskip(NEXT) | instid1(VALU_DEP_3)
	v_and_b32_e32 v7, 0x8000, v7
	v_and_b32_e32 v35, 0xfc00, v35
	s_delay_alu instid0(VALU_DEP_1)
	v_or3_b32 v33, v7, v35, v33
.LBB294_2009:                           ;   in Loop: Header=BB294_1574 Depth=1
	s_wait_alu 0xfffe
	s_or_b32 exec_lo, exec_lo, s16
.LBB294_2010:                           ;   in Loop: Header=BB294_1574 Depth=1
	s_wait_alu 0xfffe
	s_or_b32 exec_lo, exec_lo, s15
.LBB294_2011:                           ;   in Loop: Header=BB294_1574 Depth=1
	s_wait_alu 0xfffe
	s_or_b32 exec_lo, exec_lo, s14
	v_lshrrev_b16 v0, 8, v0
	v_mov_b32_e32 v35, 0
	s_mov_b32 s14, exec_lo
	s_delay_alu instid0(VALU_DEP_2)
	v_cmpx_ne_u16_e32 0, v0
	s_cbranch_execz .LBB294_2019
; %bb.2012:                             ;   in Loop: Header=BB294_1574 Depth=1
	v_bfrev_b32_e32 v35, 1
	s_mov_b32 s15, exec_lo
	v_cmpx_ne_u16_e32 0x80, v0
	s_cbranch_execz .LBB294_2018
; %bb.2013:                             ;   in Loop: Header=BB294_1574 Depth=1
	v_and_b32_e32 v36, 0xffff, v0
	v_mov_b32_e32 v35, 0x7c010000
	s_mov_b32 s16, exec_lo
	s_delay_alu instid0(VALU_DEP_2) | instskip(NEXT) | instid1(VALU_DEP_1)
	v_and_b32_e32 v38, 0x7f, v36
	v_cmpx_ne_u32_e32 0x7f, v38
	s_cbranch_execz .LBB294_2017
; %bb.2014:                             ;   in Loop: Header=BB294_1574 Depth=1
	v_and_b32_e32 v35, 7, v36
	v_lshrrev_b32_e32 v37, 3, v38
	s_mov_b32 s17, exec_lo
	v_cmpx_gt_u32_e32 8, v38
; %bb.2015:                             ;   in Loop: Header=BB294_1574 Depth=1
	s_delay_alu instid0(VALU_DEP_3) | instskip(NEXT) | instid1(VALU_DEP_1)
	v_clz_i32_u32_e32 v7, v35
	v_min_u32_e32 v7, 32, v7
	s_delay_alu instid0(VALU_DEP_1) | instskip(SKIP_1) | instid1(VALU_DEP_2)
	v_subrev_nc_u32_e32 v35, 28, v7
	v_sub_nc_u32_e32 v37, 29, v7
	v_lshlrev_b64_e32 v[38:39], v35, v[0:1]
	s_delay_alu instid0(VALU_DEP_1)
	v_and_b32_e32 v35, 7, v38
; %bb.2016:                             ;   in Loop: Header=BB294_1574 Depth=1
	s_wait_alu 0xfffe
	s_or_b32 exec_lo, exec_lo, s17
	v_lshlrev_b32_e32 v0, 8, v36
	v_lshl_add_u32 v7, v37, 10, 0x2000
	s_delay_alu instid0(VALU_DEP_1) | instskip(SKIP_1) | instid1(VALU_DEP_1)
	v_and_or_b32 v0, 0x8000, v0, v7
	v_lshlrev_b32_e32 v7, 23, v35
	v_lshl_or_b32 v35, v0, 16, v7
.LBB294_2017:                           ;   in Loop: Header=BB294_1574 Depth=1
	s_wait_alu 0xfffe
	s_or_b32 exec_lo, exec_lo, s16
.LBB294_2018:                           ;   in Loop: Header=BB294_1574 Depth=1
	s_wait_alu 0xfffe
	s_or_b32 exec_lo, exec_lo, s15
.LBB294_2019:                           ;   in Loop: Header=BB294_1574 Depth=1
	s_wait_alu 0xfffe
	s_or_b32 exec_lo, exec_lo, s14
	v_lshrrev_b32_e32 v0, 16, v11
	s_mov_b32 s14, exec_lo
	s_delay_alu instid0(VALU_DEP_1) | instskip(NEXT) | instid1(VALU_DEP_1)
	v_and_b32_e32 v36, 0xff, v0
	v_cmpx_ne_u16_e32 0, v36
	s_cbranch_execz .LBB294_2027
; %bb.2020:                             ;   in Loop: Header=BB294_1574 Depth=1
	v_mov_b32_e32 v23, 0x8000
	s_mov_b32 s15, exec_lo
	v_cmpx_ne_u16_e32 0x80, v36
	s_cbranch_execz .LBB294_2026
; %bb.2021:                             ;   in Loop: Header=BB294_1574 Depth=1
	v_bfe_u32 v37, v11, 16, 7
	v_mov_b32_e32 v23, 0x7c01
	s_mov_b32 s16, exec_lo
	s_delay_alu instid0(VALU_DEP_2)
	v_cmpx_ne_u32_e32 0x7f, v37
	s_cbranch_execz .LBB294_2025
; %bb.2022:                             ;   in Loop: Header=BB294_1574 Depth=1
	v_and_b32_e32 v23, 7, v0
	v_lshrrev_b32_e32 v36, 3, v37
	s_mov_b32 s17, exec_lo
	v_cmpx_gt_u32_e32 8, v37
; %bb.2023:                             ;   in Loop: Header=BB294_1574 Depth=1
	s_delay_alu instid0(VALU_DEP_3) | instskip(NEXT) | instid1(VALU_DEP_1)
	v_clz_i32_u32_e32 v7, v23
	v_min_u32_e32 v7, 32, v7
	s_delay_alu instid0(VALU_DEP_1) | instskip(SKIP_1) | instid1(VALU_DEP_2)
	v_subrev_nc_u32_e32 v23, 28, v7
	v_sub_nc_u32_e32 v36, 29, v7
	v_lshlrev_b64_e32 v[37:38], v23, v[0:1]
	s_delay_alu instid0(VALU_DEP_1)
	v_and_b32_e32 v23, 7, v37
; %bb.2024:                             ;   in Loop: Header=BB294_1574 Depth=1
	s_wait_alu 0xfffe
	s_or_b32 exec_lo, exec_lo, s17
	v_lshlrev_b32_e32 v0, 8, v0
	v_lshl_add_u32 v7, v36, 10, 0x2000
	v_lshlrev_b32_e32 v23, 7, v23
	s_delay_alu instid0(VALU_DEP_3) | instskip(NEXT) | instid1(VALU_DEP_3)
	v_and_b32_e32 v0, 0x8000, v0
	v_and_b32_e32 v7, 0xfc00, v7
	s_delay_alu instid0(VALU_DEP_1)
	v_or3_b32 v23, v0, v7, v23
.LBB294_2025:                           ;   in Loop: Header=BB294_1574 Depth=1
	s_wait_alu 0xfffe
	s_or_b32 exec_lo, exec_lo, s16
.LBB294_2026:                           ;   in Loop: Header=BB294_1574 Depth=1
	s_wait_alu 0xfffe
	s_or_b32 exec_lo, exec_lo, s15
.LBB294_2027:                           ;   in Loop: Header=BB294_1574 Depth=1
	s_wait_alu 0xfffe
	s_or_b32 exec_lo, exec_lo, s14
	v_cmp_lt_u64_e64 s0, s[8:9], v[10:11]
	v_mov_b32_e32 v10, 0
	s_and_saveexec_b32 s14, s0
	s_cbranch_execz .LBB294_2035
; %bb.2028:                             ;   in Loop: Header=BB294_1574 Depth=1
	v_lshrrev_b32_e32 v0, 24, v11
	v_bfrev_b32_e32 v10, 1
	s_mov_b32 s15, exec_lo
	s_delay_alu instid0(VALU_DEP_2)
	v_cmpx_ne_u32_e32 0x80, v0
	s_cbranch_execz .LBB294_2034
; %bb.2029:                             ;   in Loop: Header=BB294_1574 Depth=1
	v_and_b32_e32 v36, 0x7f, v0
	v_mov_b32_e32 v10, 0x7c010000
	s_mov_b32 s16, exec_lo
	s_delay_alu instid0(VALU_DEP_2)
	v_cmpx_ne_u32_e32 0x7f, v36
	s_cbranch_execz .LBB294_2033
; %bb.2030:                             ;   in Loop: Header=BB294_1574 Depth=1
	v_and_b32_e32 v10, 7, v0
	v_lshrrev_b32_e32 v11, 3, v36
	s_mov_b32 s17, exec_lo
	v_cmpx_gt_u32_e32 8, v36
; %bb.2031:                             ;   in Loop: Header=BB294_1574 Depth=1
	s_delay_alu instid0(VALU_DEP_3) | instskip(NEXT) | instid1(VALU_DEP_1)
	v_clz_i32_u32_e32 v7, v10
	v_min_u32_e32 v7, 32, v7
	s_delay_alu instid0(VALU_DEP_1) | instskip(NEXT) | instid1(VALU_DEP_1)
	v_subrev_nc_u32_e32 v10, 28, v7
	v_lshlrev_b64_e32 v[10:11], v10, v[0:1]
	v_sub_nc_u32_e32 v11, 29, v7
	s_delay_alu instid0(VALU_DEP_2)
	v_and_b32_e32 v10, 7, v10
; %bb.2032:                             ;   in Loop: Header=BB294_1574 Depth=1
	s_wait_alu 0xfffe
	s_or_b32 exec_lo, exec_lo, s17
	v_lshlrev_b32_e32 v0, 8, v0
	v_lshl_add_u32 v7, v11, 10, 0x2000
	s_delay_alu instid0(VALU_DEP_1) | instskip(SKIP_1) | instid1(VALU_DEP_1)
	v_and_or_b32 v0, 0x8000, v0, v7
	v_lshlrev_b32_e32 v7, 23, v10
	v_lshl_or_b32 v10, v0, 16, v7
.LBB294_2033:                           ;   in Loop: Header=BB294_1574 Depth=1
	s_wait_alu 0xfffe
	s_or_b32 exec_lo, exec_lo, s16
.LBB294_2034:                           ;   in Loop: Header=BB294_1574 Depth=1
	s_wait_alu 0xfffe
	s_or_b32 exec_lo, exec_lo, s15
.LBB294_2035:                           ;   in Loop: Header=BB294_1574 Depth=1
	s_wait_alu 0xfffe
	s_or_b32 exec_lo, exec_lo, s14
	v_or_b32_e32 v0, v12, v22
	s_wait_loadcnt_dscnt 0x0
	v_fma_mixlo_f16 v7, v4, v12, 0 op_sel:[0,1,0] op_sel_hi:[0,1,0]
	v_or_b32_e32 v6, v5, v6
	v_or_b32_e32 v12, v35, v33
	;; [unrolled: 1-line block ×3, first 2 shown]
	v_fma_mixlo_f16 v5, v4, v5, 0 op_sel:[0,1,0] op_sel_hi:[0,1,0]
	v_fma_mixlo_f16 v22, v4, v0, 0 op_sel_hi:[0,1,0]
	v_lshlrev_b32_e32 v0, 16, v7
	v_fma_mixlo_f16 v6, v4, v6, 0 op_sel_hi:[0,1,0]
	v_fma_mixlo_f16 v7, v4, v35, 0 op_sel:[0,1,0] op_sel_hi:[0,1,0]
	v_fma_mixlo_f16 v12, v4, v12, 0 op_sel_hi:[0,1,0]
	v_fma_mixlo_f16 v10, v4, v10, 0 op_sel:[0,1,0] op_sel_hi:[0,1,0]
	v_fma_mixlo_f16 v23, v4, v23, 0 op_sel_hi:[0,1,0]
	v_lshlrev_b32_e32 v11, 16, v5
	v_and_b32_e32 v5, 0xffff, v22
	v_and_b32_e32 v36, 0xffff, v6
	v_lshlrev_b32_e32 v6, 16, v7
	v_and_b32_e32 v22, 0xffff, v12
	v_lshlrev_b32_e32 v4, 16, v10
	v_and_b32_e32 v10, 0xffff, v23
	v_or_b32_e32 v12, v0, v5
	v_or_b32_e32 v35, v11, v36
	;; [unrolled: 1-line block ×3, first 2 shown]
	s_delay_alu instid0(VALU_DEP_4)
	v_or_b32_e32 v23, v4, v10
	s_and_saveexec_b32 s14, vcc_lo
	s_cbranch_execz .LBB294_2037
; %bb.2036:                             ;   in Loop: Header=BB294_1574 Depth=1
	v_cmp_lt_i32_e64 s0, v49, v34
	s_wait_alu 0xf1ff
	s_delay_alu instid0(VALU_DEP_1) | instskip(SKIP_2) | instid1(VALU_DEP_1)
	v_cndmask_b32_e64 v7, 0, v36, s0
	v_cmp_lt_i32_e64 s0, v101, v34
	s_wait_alu 0xf1ff
	v_cndmask_b32_e64 v11, 0, v11, s0
	v_cmp_lt_i32_e64 s0, v100, v34
	s_delay_alu instid0(VALU_DEP_2) | instskip(SKIP_1) | instid1(VALU_DEP_2)
	v_or_b32_e32 v35, v7, v11
	s_wait_alu 0xf1ff
	v_cndmask_b32_e64 v5, 0, v5, s0
	v_cmp_lt_i32_e64 s0, v99, v34
	s_wait_alu 0xf1ff
	s_delay_alu instid0(VALU_DEP_1) | instskip(SKIP_1) | instid1(VALU_DEP_2)
	v_cndmask_b32_e64 v0, 0, v0, s0
	v_cmp_lt_i32_e64 s0, v98, v34
	v_or_b32_e32 v12, v5, v0
	s_wait_alu 0xf1ff
	s_delay_alu instid0(VALU_DEP_2) | instskip(SKIP_2) | instid1(VALU_DEP_1)
	v_cndmask_b32_e64 v22, 0, v22, s0
	v_cmp_lt_i32_e64 s0, v97, v34
	s_wait_alu 0xf1ff
	v_cndmask_b32_e64 v6, 0, v6, s0
	v_cmp_lt_i32_e64 s0, v96, v34
	s_delay_alu instid0(VALU_DEP_2) | instskip(SKIP_1) | instid1(VALU_DEP_2)
	v_or_b32_e32 v33, v22, v6
	s_wait_alu 0xf1ff
	v_cndmask_b32_e64 v10, 0, v10, s0
	v_cmp_lt_i32_e64 s0, v87, v34
	s_wait_alu 0xf1ff
	s_delay_alu instid0(VALU_DEP_1) | instskip(NEXT) | instid1(VALU_DEP_1)
	v_cndmask_b32_e64 v4, 0, v4, s0
	v_or_b32_e32 v23, v10, v4
.LBB294_2037:                           ;   in Loop: Header=BB294_1574 Depth=1
	s_wait_alu 0xfffe
	s_or_b32 exec_lo, exec_lo, s14
	;;#ASMSTART
	v_pk_mul_f16 v0, v86, v35;

	;;#ASMEND
	;;#ASMSTART
	v_pk_mul_f16 v4, v85, v12;

	;;#ASMEND
	;; [unrolled: 4-line block ×4, first 2 shown]
	;;#ASMSTART
	v_pk_add_f16 v0, v0, v4;

	;;#ASMEND
	;;#ASMSTART
	v_pk_add_f16 v0, v0, v5;

	;;#ASMEND
	;; [unrolled: 4-line block ×3, first 2 shown]
	v_dual_mov_b32 v5, 0 :: v_dual_and_b32 v4, 0xffff, v0
	v_lshrrev_b32_e32 v0, 16, v0
	;;#ASMSTART
	v_cvt_f32_f16 v128, v4;
	;;#ASMEND
	;;#ASMSTART
	v_cvt_f32_f16 v129, v0;
	;;#ASMEND
	flat_load_b64 v[10:11], v[8:9] offset:1792
	flat_load_b32 v4, v[26:27]
	v_mov_b32_e32 v6, 0
	s_mov_b32 s14, exec_lo
	s_wait_loadcnt_dscnt 0x101
	v_and_b32_e32 v0, 0xff, v10
	s_delay_alu instid0(VALU_DEP_1)
	v_cmpx_ne_u16_e32 0, v0
	s_cbranch_execz .LBB294_2045
; %bb.2038:                             ;   in Loop: Header=BB294_1574 Depth=1
	v_mov_b32_e32 v6, 0x8000
	s_mov_b32 s15, exec_lo
	v_cmpx_ne_u16_e32 0x80, v0
	s_cbranch_execz .LBB294_2044
; %bb.2039:                             ;   in Loop: Header=BB294_1574 Depth=1
	v_and_b32_e32 v12, 0x7f, v10
	v_mov_b32_e32 v6, 0x7c01
	s_mov_b32 s16, exec_lo
	s_delay_alu instid0(VALU_DEP_2)
	v_cmpx_ne_u32_e32 0x7f, v12
	s_cbranch_execz .LBB294_2043
; %bb.2040:                             ;   in Loop: Header=BB294_1574 Depth=1
	v_and_b32_e32 v0, 7, v10
	v_lshrrev_b32_e32 v6, 3, v12
	s_mov_b32 s17, exec_lo
	v_cmpx_gt_u32_e32 8, v12
; %bb.2041:                             ;   in Loop: Header=BB294_1574 Depth=1
	s_delay_alu instid0(VALU_DEP_3) | instskip(NEXT) | instid1(VALU_DEP_1)
	v_clz_i32_u32_e32 v0, v0
	v_min_u32_e32 v0, 32, v0
	s_delay_alu instid0(VALU_DEP_1) | instskip(NEXT) | instid1(VALU_DEP_1)
	v_subrev_nc_u32_e32 v6, 28, v0
	v_lshlrev_b64_e32 v[22:23], v6, v[10:11]
	v_sub_nc_u32_e32 v6, 29, v0
	s_delay_alu instid0(VALU_DEP_2)
	v_and_b32_e32 v0, 7, v22
; %bb.2042:                             ;   in Loop: Header=BB294_1574 Depth=1
	s_wait_alu 0xfffe
	s_or_b32 exec_lo, exec_lo, s17
	v_lshlrev_b32_e32 v7, 8, v10
	v_lshl_add_u32 v6, v6, 10, 0x2000
	v_lshlrev_b32_e32 v0, 7, v0
	s_delay_alu instid0(VALU_DEP_3) | instskip(NEXT) | instid1(VALU_DEP_3)
	v_and_b32_e32 v7, 0x8000, v7
	v_and_b32_e32 v6, 0xfc00, v6
	s_delay_alu instid0(VALU_DEP_1)
	v_or3_b32 v6, v7, v6, v0
.LBB294_2043:                           ;   in Loop: Header=BB294_1574 Depth=1
	s_wait_alu 0xfffe
	s_or_b32 exec_lo, exec_lo, s16
.LBB294_2044:                           ;   in Loop: Header=BB294_1574 Depth=1
	s_wait_alu 0xfffe
	s_or_b32 exec_lo, exec_lo, s15
.LBB294_2045:                           ;   in Loop: Header=BB294_1574 Depth=1
	s_wait_alu 0xfffe
	s_or_b32 exec_lo, exec_lo, s14
	v_lshrrev_b16 v0, 8, v10
	s_mov_b32 s14, exec_lo
	s_delay_alu instid0(VALU_DEP_1)
	v_cmpx_ne_u16_e32 0, v0
	s_cbranch_execz .LBB294_2053
; %bb.2046:                             ;   in Loop: Header=BB294_1574 Depth=1
	v_bfrev_b32_e32 v5, 1
	s_mov_b32 s15, exec_lo
	v_cmpx_ne_u16_e32 0x80, v0
	s_cbranch_execz .LBB294_2052
; %bb.2047:                             ;   in Loop: Header=BB294_1574 Depth=1
	v_and_b32_e32 v12, 0xffff, v0
	v_mov_b32_e32 v5, 0x7c010000
	s_mov_b32 s16, exec_lo
	s_delay_alu instid0(VALU_DEP_2) | instskip(NEXT) | instid1(VALU_DEP_1)
	v_and_b32_e32 v23, 0x7f, v12
	v_cmpx_ne_u32_e32 0x7f, v23
	s_cbranch_execz .LBB294_2051
; %bb.2048:                             ;   in Loop: Header=BB294_1574 Depth=1
	v_and_b32_e32 v5, 7, v12
	v_lshrrev_b32_e32 v22, 3, v23
	s_mov_b32 s17, exec_lo
	v_cmpx_gt_u32_e32 8, v23
; %bb.2049:                             ;   in Loop: Header=BB294_1574 Depth=1
	s_delay_alu instid0(VALU_DEP_3) | instskip(NEXT) | instid1(VALU_DEP_1)
	v_clz_i32_u32_e32 v5, v5
	v_min_u32_e32 v5, 32, v5
	s_delay_alu instid0(VALU_DEP_1) | instskip(SKIP_1) | instid1(VALU_DEP_2)
	v_subrev_nc_u32_e32 v7, 28, v5
	v_sub_nc_u32_e32 v22, 29, v5
	v_lshlrev_b64_e32 v[35:36], v7, v[0:1]
	s_delay_alu instid0(VALU_DEP_1)
	v_and_b32_e32 v5, 7, v35
; %bb.2050:                             ;   in Loop: Header=BB294_1574 Depth=1
	s_wait_alu 0xfffe
	s_or_b32 exec_lo, exec_lo, s17
	v_lshlrev_b32_e32 v0, 8, v12
	v_lshl_add_u32 v7, v22, 10, 0x2000
	v_lshlrev_b32_e32 v5, 23, v5
	s_delay_alu instid0(VALU_DEP_2) | instskip(NEXT) | instid1(VALU_DEP_1)
	v_and_or_b32 v0, 0x8000, v0, v7
	v_lshl_or_b32 v5, v0, 16, v5
.LBB294_2051:                           ;   in Loop: Header=BB294_1574 Depth=1
	s_wait_alu 0xfffe
	s_or_b32 exec_lo, exec_lo, s16
.LBB294_2052:                           ;   in Loop: Header=BB294_1574 Depth=1
	s_wait_alu 0xfffe
	s_or_b32 exec_lo, exec_lo, s15
.LBB294_2053:                           ;   in Loop: Header=BB294_1574 Depth=1
	s_wait_alu 0xfffe
	s_or_b32 exec_lo, exec_lo, s14
	v_lshrrev_b32_e32 v0, 16, v10
	v_mov_b32_e32 v22, 0
	s_mov_b32 s14, exec_lo
	s_delay_alu instid0(VALU_DEP_2) | instskip(NEXT) | instid1(VALU_DEP_1)
	v_dual_mov_b32 v12, 0 :: v_dual_and_b32 v23, 0xff, v0
	v_cmpx_ne_u16_e32 0, v23
	s_cbranch_execz .LBB294_2061
; %bb.2054:                             ;   in Loop: Header=BB294_1574 Depth=1
	v_mov_b32_e32 v22, 0x8000
	s_mov_b32 s15, exec_lo
	v_cmpx_ne_u16_e32 0x80, v23
	s_cbranch_execz .LBB294_2060
; %bb.2055:                             ;   in Loop: Header=BB294_1574 Depth=1
	v_bfe_u32 v33, v10, 16, 7
	v_mov_b32_e32 v22, 0x7c01
	s_mov_b32 s16, exec_lo
	s_delay_alu instid0(VALU_DEP_2)
	v_cmpx_ne_u32_e32 0x7f, v33
	s_cbranch_execz .LBB294_2059
; %bb.2056:                             ;   in Loop: Header=BB294_1574 Depth=1
	v_and_b32_e32 v22, 7, v0
	v_lshrrev_b32_e32 v23, 3, v33
	s_mov_b32 s17, exec_lo
	v_cmpx_gt_u32_e32 8, v33
; %bb.2057:                             ;   in Loop: Header=BB294_1574 Depth=1
	s_delay_alu instid0(VALU_DEP_3) | instskip(NEXT) | instid1(VALU_DEP_1)
	v_clz_i32_u32_e32 v7, v22
	v_min_u32_e32 v7, 32, v7
	s_delay_alu instid0(VALU_DEP_1) | instskip(NEXT) | instid1(VALU_DEP_1)
	v_subrev_nc_u32_e32 v22, 28, v7
	v_lshlrev_b64_e32 v[22:23], v22, v[0:1]
	v_sub_nc_u32_e32 v23, 29, v7
	s_delay_alu instid0(VALU_DEP_2)
	v_and_b32_e32 v22, 7, v22
; %bb.2058:                             ;   in Loop: Header=BB294_1574 Depth=1
	s_wait_alu 0xfffe
	s_or_b32 exec_lo, exec_lo, s17
	v_lshlrev_b32_e32 v0, 8, v0
	v_lshl_add_u32 v7, v23, 10, 0x2000
	v_lshlrev_b32_e32 v22, 7, v22
	s_delay_alu instid0(VALU_DEP_3) | instskip(NEXT) | instid1(VALU_DEP_3)
	v_and_b32_e32 v0, 0x8000, v0
	v_and_b32_e32 v7, 0xfc00, v7
	s_delay_alu instid0(VALU_DEP_1)
	v_or3_b32 v22, v0, v7, v22
.LBB294_2059:                           ;   in Loop: Header=BB294_1574 Depth=1
	s_wait_alu 0xfffe
	s_or_b32 exec_lo, exec_lo, s16
.LBB294_2060:                           ;   in Loop: Header=BB294_1574 Depth=1
	s_wait_alu 0xfffe
	s_or_b32 exec_lo, exec_lo, s15
.LBB294_2061:                           ;   in Loop: Header=BB294_1574 Depth=1
	s_wait_alu 0xfffe
	s_or_b32 exec_lo, exec_lo, s14
	s_delay_alu instid0(SALU_CYCLE_1)
	s_mov_b32 s14, exec_lo
	v_cmpx_lt_u32_e32 0xffffff, v10
	s_cbranch_execz .LBB294_2069
; %bb.2062:                             ;   in Loop: Header=BB294_1574 Depth=1
	v_lshrrev_b32_e32 v0, 24, v10
	v_bfrev_b32_e32 v12, 1
	s_mov_b32 s15, exec_lo
	s_delay_alu instid0(VALU_DEP_2)
	v_cmpx_ne_u32_e32 0x80, v0
	s_cbranch_execz .LBB294_2068
; %bb.2063:                             ;   in Loop: Header=BB294_1574 Depth=1
	v_and_b32_e32 v33, 0x7f, v0
	v_mov_b32_e32 v12, 0x7c010000
	s_mov_b32 s16, exec_lo
	s_delay_alu instid0(VALU_DEP_2)
	v_cmpx_ne_u32_e32 0x7f, v33
	s_cbranch_execz .LBB294_2067
; %bb.2064:                             ;   in Loop: Header=BB294_1574 Depth=1
	v_and_b32_e32 v12, 7, v0
	v_lshrrev_b32_e32 v23, 3, v33
	s_mov_b32 s17, exec_lo
	v_cmpx_gt_u32_e32 8, v33
; %bb.2065:                             ;   in Loop: Header=BB294_1574 Depth=1
	s_delay_alu instid0(VALU_DEP_3) | instskip(NEXT) | instid1(VALU_DEP_1)
	v_clz_i32_u32_e32 v7, v12
	v_min_u32_e32 v7, 32, v7
	s_delay_alu instid0(VALU_DEP_1) | instskip(SKIP_1) | instid1(VALU_DEP_2)
	v_subrev_nc_u32_e32 v12, 28, v7
	v_sub_nc_u32_e32 v23, 29, v7
	v_lshlrev_b64_e32 v[35:36], v12, v[0:1]
	s_delay_alu instid0(VALU_DEP_1)
	v_and_b32_e32 v12, 7, v35
; %bb.2066:                             ;   in Loop: Header=BB294_1574 Depth=1
	s_wait_alu 0xfffe
	s_or_b32 exec_lo, exec_lo, s17
	v_lshlrev_b32_e32 v0, 8, v0
	v_lshl_add_u32 v7, v23, 10, 0x2000
	s_delay_alu instid0(VALU_DEP_1) | instskip(SKIP_1) | instid1(VALU_DEP_1)
	v_and_or_b32 v0, 0x8000, v0, v7
	v_lshlrev_b32_e32 v7, 23, v12
	v_lshl_or_b32 v12, v0, 16, v7
.LBB294_2067:                           ;   in Loop: Header=BB294_1574 Depth=1
	s_wait_alu 0xfffe
	s_or_b32 exec_lo, exec_lo, s16
.LBB294_2068:                           ;   in Loop: Header=BB294_1574 Depth=1
	s_wait_alu 0xfffe
	s_or_b32 exec_lo, exec_lo, s15
.LBB294_2069:                           ;   in Loop: Header=BB294_1574 Depth=1
	s_wait_alu 0xfffe
	s_or_b32 exec_lo, exec_lo, s14
	v_dual_mov_b32 v0, v11 :: v_dual_and_b32 v35, 0xff, v11
	v_mov_b32_e32 v23, 0
	v_mov_b32_e32 v33, 0
	s_mov_b32 s14, exec_lo
	s_delay_alu instid0(VALU_DEP_3)
	v_cmpx_ne_u16_e32 0, v35
	s_cbranch_execz .LBB294_2077
; %bb.2070:                             ;   in Loop: Header=BB294_1574 Depth=1
	v_mov_b32_e32 v33, 0x8000
	s_mov_b32 s15, exec_lo
	v_cmpx_ne_u16_e32 0x80, v35
	s_cbranch_execz .LBB294_2076
; %bb.2071:                             ;   in Loop: Header=BB294_1574 Depth=1
	v_and_b32_e32 v36, 0x7f, v11
	v_mov_b32_e32 v33, 0x7c01
	s_mov_b32 s16, exec_lo
	s_delay_alu instid0(VALU_DEP_2)
	v_cmpx_ne_u32_e32 0x7f, v36
	s_cbranch_execz .LBB294_2075
; %bb.2072:                             ;   in Loop: Header=BB294_1574 Depth=1
	v_and_b32_e32 v33, 7, v11
	v_lshrrev_b32_e32 v35, 3, v36
	s_mov_b32 s17, exec_lo
	v_cmpx_gt_u32_e32 8, v36
; %bb.2073:                             ;   in Loop: Header=BB294_1574 Depth=1
	s_delay_alu instid0(VALU_DEP_3) | instskip(NEXT) | instid1(VALU_DEP_1)
	v_clz_i32_u32_e32 v7, v33
	v_min_u32_e32 v7, 32, v7
	s_delay_alu instid0(VALU_DEP_1) | instskip(SKIP_1) | instid1(VALU_DEP_2)
	v_subrev_nc_u32_e32 v33, 28, v7
	v_sub_nc_u32_e32 v35, 29, v7
	v_lshlrev_b64_e32 v[36:37], v33, v[0:1]
	s_delay_alu instid0(VALU_DEP_1)
	v_and_b32_e32 v33, 7, v36
; %bb.2074:                             ;   in Loop: Header=BB294_1574 Depth=1
	s_wait_alu 0xfffe
	s_or_b32 exec_lo, exec_lo, s17
	v_lshlrev_b32_e32 v7, 8, v11
	v_lshl_add_u32 v35, v35, 10, 0x2000
	v_lshlrev_b32_e32 v33, 7, v33
	s_delay_alu instid0(VALU_DEP_3) | instskip(NEXT) | instid1(VALU_DEP_3)
	v_and_b32_e32 v7, 0x8000, v7
	v_and_b32_e32 v35, 0xfc00, v35
	s_delay_alu instid0(VALU_DEP_1)
	v_or3_b32 v33, v7, v35, v33
.LBB294_2075:                           ;   in Loop: Header=BB294_1574 Depth=1
	s_wait_alu 0xfffe
	s_or_b32 exec_lo, exec_lo, s16
.LBB294_2076:                           ;   in Loop: Header=BB294_1574 Depth=1
	s_wait_alu 0xfffe
	s_or_b32 exec_lo, exec_lo, s15
.LBB294_2077:                           ;   in Loop: Header=BB294_1574 Depth=1
	s_wait_alu 0xfffe
	s_or_b32 exec_lo, exec_lo, s14
	v_lshrrev_b16 v0, 8, v0
	v_mov_b32_e32 v35, 0
	s_mov_b32 s14, exec_lo
	s_delay_alu instid0(VALU_DEP_2)
	v_cmpx_ne_u16_e32 0, v0
	s_cbranch_execz .LBB294_2085
; %bb.2078:                             ;   in Loop: Header=BB294_1574 Depth=1
	v_bfrev_b32_e32 v35, 1
	s_mov_b32 s15, exec_lo
	v_cmpx_ne_u16_e32 0x80, v0
	s_cbranch_execz .LBB294_2084
; %bb.2079:                             ;   in Loop: Header=BB294_1574 Depth=1
	v_and_b32_e32 v36, 0xffff, v0
	v_mov_b32_e32 v35, 0x7c010000
	s_mov_b32 s16, exec_lo
	s_delay_alu instid0(VALU_DEP_2) | instskip(NEXT) | instid1(VALU_DEP_1)
	v_and_b32_e32 v38, 0x7f, v36
	v_cmpx_ne_u32_e32 0x7f, v38
	s_cbranch_execz .LBB294_2083
; %bb.2080:                             ;   in Loop: Header=BB294_1574 Depth=1
	v_and_b32_e32 v35, 7, v36
	v_lshrrev_b32_e32 v37, 3, v38
	s_mov_b32 s17, exec_lo
	v_cmpx_gt_u32_e32 8, v38
; %bb.2081:                             ;   in Loop: Header=BB294_1574 Depth=1
	s_delay_alu instid0(VALU_DEP_3) | instskip(NEXT) | instid1(VALU_DEP_1)
	v_clz_i32_u32_e32 v7, v35
	v_min_u32_e32 v7, 32, v7
	s_delay_alu instid0(VALU_DEP_1) | instskip(SKIP_1) | instid1(VALU_DEP_2)
	v_subrev_nc_u32_e32 v35, 28, v7
	v_sub_nc_u32_e32 v37, 29, v7
	v_lshlrev_b64_e32 v[38:39], v35, v[0:1]
	s_delay_alu instid0(VALU_DEP_1)
	v_and_b32_e32 v35, 7, v38
; %bb.2082:                             ;   in Loop: Header=BB294_1574 Depth=1
	s_wait_alu 0xfffe
	s_or_b32 exec_lo, exec_lo, s17
	v_lshlrev_b32_e32 v0, 8, v36
	v_lshl_add_u32 v7, v37, 10, 0x2000
	s_delay_alu instid0(VALU_DEP_1) | instskip(SKIP_1) | instid1(VALU_DEP_1)
	v_and_or_b32 v0, 0x8000, v0, v7
	v_lshlrev_b32_e32 v7, 23, v35
	v_lshl_or_b32 v35, v0, 16, v7
.LBB294_2083:                           ;   in Loop: Header=BB294_1574 Depth=1
	s_wait_alu 0xfffe
	s_or_b32 exec_lo, exec_lo, s16
.LBB294_2084:                           ;   in Loop: Header=BB294_1574 Depth=1
	s_wait_alu 0xfffe
	s_or_b32 exec_lo, exec_lo, s15
.LBB294_2085:                           ;   in Loop: Header=BB294_1574 Depth=1
	s_wait_alu 0xfffe
	s_or_b32 exec_lo, exec_lo, s14
	v_lshrrev_b32_e32 v0, 16, v11
	s_mov_b32 s14, exec_lo
	s_delay_alu instid0(VALU_DEP_1) | instskip(NEXT) | instid1(VALU_DEP_1)
	v_and_b32_e32 v36, 0xff, v0
	v_cmpx_ne_u16_e32 0, v36
	s_cbranch_execz .LBB294_2093
; %bb.2086:                             ;   in Loop: Header=BB294_1574 Depth=1
	v_mov_b32_e32 v23, 0x8000
	s_mov_b32 s15, exec_lo
	v_cmpx_ne_u16_e32 0x80, v36
	s_cbranch_execz .LBB294_2092
; %bb.2087:                             ;   in Loop: Header=BB294_1574 Depth=1
	v_bfe_u32 v37, v11, 16, 7
	v_mov_b32_e32 v23, 0x7c01
	s_mov_b32 s16, exec_lo
	s_delay_alu instid0(VALU_DEP_2)
	v_cmpx_ne_u32_e32 0x7f, v37
	s_cbranch_execz .LBB294_2091
; %bb.2088:                             ;   in Loop: Header=BB294_1574 Depth=1
	v_and_b32_e32 v23, 7, v0
	v_lshrrev_b32_e32 v36, 3, v37
	s_mov_b32 s17, exec_lo
	v_cmpx_gt_u32_e32 8, v37
; %bb.2089:                             ;   in Loop: Header=BB294_1574 Depth=1
	s_delay_alu instid0(VALU_DEP_3) | instskip(NEXT) | instid1(VALU_DEP_1)
	v_clz_i32_u32_e32 v7, v23
	v_min_u32_e32 v7, 32, v7
	s_delay_alu instid0(VALU_DEP_1) | instskip(SKIP_1) | instid1(VALU_DEP_2)
	v_subrev_nc_u32_e32 v23, 28, v7
	v_sub_nc_u32_e32 v36, 29, v7
	v_lshlrev_b64_e32 v[37:38], v23, v[0:1]
	s_delay_alu instid0(VALU_DEP_1)
	v_and_b32_e32 v23, 7, v37
; %bb.2090:                             ;   in Loop: Header=BB294_1574 Depth=1
	s_wait_alu 0xfffe
	s_or_b32 exec_lo, exec_lo, s17
	v_lshlrev_b32_e32 v0, 8, v0
	v_lshl_add_u32 v7, v36, 10, 0x2000
	v_lshlrev_b32_e32 v23, 7, v23
	s_delay_alu instid0(VALU_DEP_3) | instskip(NEXT) | instid1(VALU_DEP_3)
	v_and_b32_e32 v0, 0x8000, v0
	v_and_b32_e32 v7, 0xfc00, v7
	s_delay_alu instid0(VALU_DEP_1)
	v_or3_b32 v23, v0, v7, v23
.LBB294_2091:                           ;   in Loop: Header=BB294_1574 Depth=1
	s_wait_alu 0xfffe
	s_or_b32 exec_lo, exec_lo, s16
.LBB294_2092:                           ;   in Loop: Header=BB294_1574 Depth=1
	s_wait_alu 0xfffe
	s_or_b32 exec_lo, exec_lo, s15
.LBB294_2093:                           ;   in Loop: Header=BB294_1574 Depth=1
	s_wait_alu 0xfffe
	s_or_b32 exec_lo, exec_lo, s14
	v_cmp_lt_u64_e64 s0, s[8:9], v[10:11]
	v_mov_b32_e32 v10, 0
	s_and_saveexec_b32 s14, s0
	s_cbranch_execz .LBB294_2101
; %bb.2094:                             ;   in Loop: Header=BB294_1574 Depth=1
	v_lshrrev_b32_e32 v0, 24, v11
	v_bfrev_b32_e32 v10, 1
	s_mov_b32 s15, exec_lo
	s_delay_alu instid0(VALU_DEP_2)
	v_cmpx_ne_u32_e32 0x80, v0
	s_cbranch_execz .LBB294_2100
; %bb.2095:                             ;   in Loop: Header=BB294_1574 Depth=1
	v_and_b32_e32 v36, 0x7f, v0
	v_mov_b32_e32 v10, 0x7c010000
	s_mov_b32 s16, exec_lo
	s_delay_alu instid0(VALU_DEP_2)
	v_cmpx_ne_u32_e32 0x7f, v36
	s_cbranch_execz .LBB294_2099
; %bb.2096:                             ;   in Loop: Header=BB294_1574 Depth=1
	v_and_b32_e32 v10, 7, v0
	v_lshrrev_b32_e32 v11, 3, v36
	s_mov_b32 s17, exec_lo
	v_cmpx_gt_u32_e32 8, v36
; %bb.2097:                             ;   in Loop: Header=BB294_1574 Depth=1
	s_delay_alu instid0(VALU_DEP_3) | instskip(NEXT) | instid1(VALU_DEP_1)
	v_clz_i32_u32_e32 v7, v10
	v_min_u32_e32 v7, 32, v7
	s_delay_alu instid0(VALU_DEP_1) | instskip(NEXT) | instid1(VALU_DEP_1)
	v_subrev_nc_u32_e32 v10, 28, v7
	v_lshlrev_b64_e32 v[10:11], v10, v[0:1]
	v_sub_nc_u32_e32 v11, 29, v7
	s_delay_alu instid0(VALU_DEP_2)
	v_and_b32_e32 v10, 7, v10
; %bb.2098:                             ;   in Loop: Header=BB294_1574 Depth=1
	s_wait_alu 0xfffe
	s_or_b32 exec_lo, exec_lo, s17
	v_lshlrev_b32_e32 v0, 8, v0
	v_lshl_add_u32 v7, v11, 10, 0x2000
	s_delay_alu instid0(VALU_DEP_1) | instskip(SKIP_1) | instid1(VALU_DEP_1)
	v_and_or_b32 v0, 0x8000, v0, v7
	v_lshlrev_b32_e32 v7, 23, v10
	v_lshl_or_b32 v10, v0, 16, v7
.LBB294_2099:                           ;   in Loop: Header=BB294_1574 Depth=1
	s_wait_alu 0xfffe
	s_or_b32 exec_lo, exec_lo, s16
.LBB294_2100:                           ;   in Loop: Header=BB294_1574 Depth=1
	s_wait_alu 0xfffe
	s_or_b32 exec_lo, exec_lo, s15
.LBB294_2101:                           ;   in Loop: Header=BB294_1574 Depth=1
	s_wait_alu 0xfffe
	s_or_b32 exec_lo, exec_lo, s14
	v_or_b32_e32 v0, v12, v22
	s_wait_loadcnt_dscnt 0x0
	v_fma_mixlo_f16 v7, v4, v12, 0 op_sel:[0,1,0] op_sel_hi:[0,1,0]
	v_or_b32_e32 v6, v5, v6
	v_or_b32_e32 v12, v35, v33
	;; [unrolled: 1-line block ×3, first 2 shown]
	v_fma_mixlo_f16 v5, v4, v5, 0 op_sel:[0,1,0] op_sel_hi:[0,1,0]
	v_fma_mixlo_f16 v22, v4, v0, 0 op_sel_hi:[0,1,0]
	v_lshlrev_b32_e32 v0, 16, v7
	v_fma_mixlo_f16 v6, v4, v6, 0 op_sel_hi:[0,1,0]
	v_fma_mixlo_f16 v7, v4, v35, 0 op_sel:[0,1,0] op_sel_hi:[0,1,0]
	v_fma_mixlo_f16 v12, v4, v12, 0 op_sel_hi:[0,1,0]
	v_fma_mixlo_f16 v10, v4, v10, 0 op_sel:[0,1,0] op_sel_hi:[0,1,0]
	v_fma_mixlo_f16 v23, v4, v23, 0 op_sel_hi:[0,1,0]
	v_lshlrev_b32_e32 v11, 16, v5
	v_and_b32_e32 v5, 0xffff, v22
	v_and_b32_e32 v36, 0xffff, v6
	v_lshlrev_b32_e32 v6, 16, v7
	v_and_b32_e32 v22, 0xffff, v12
	v_lshlrev_b32_e32 v4, 16, v10
	v_and_b32_e32 v10, 0xffff, v23
	v_or_b32_e32 v12, v0, v5
	v_or_b32_e32 v35, v11, v36
	;; [unrolled: 1-line block ×3, first 2 shown]
	s_delay_alu instid0(VALU_DEP_4)
	v_or_b32_e32 v23, v4, v10
	s_and_saveexec_b32 s14, vcc_lo
	s_cbranch_execz .LBB294_2103
; %bb.2102:                             ;   in Loop: Header=BB294_1574 Depth=1
	v_cmp_lt_i32_e64 s0, v49, v34
	s_wait_alu 0xf1ff
	s_delay_alu instid0(VALU_DEP_1) | instskip(SKIP_2) | instid1(VALU_DEP_1)
	v_cndmask_b32_e64 v7, 0, v36, s0
	v_cmp_lt_i32_e64 s0, v101, v34
	s_wait_alu 0xf1ff
	v_cndmask_b32_e64 v11, 0, v11, s0
	v_cmp_lt_i32_e64 s0, v100, v34
	s_delay_alu instid0(VALU_DEP_2) | instskip(SKIP_1) | instid1(VALU_DEP_2)
	v_or_b32_e32 v35, v7, v11
	s_wait_alu 0xf1ff
	v_cndmask_b32_e64 v5, 0, v5, s0
	v_cmp_lt_i32_e64 s0, v99, v34
	s_wait_alu 0xf1ff
	s_delay_alu instid0(VALU_DEP_1) | instskip(SKIP_1) | instid1(VALU_DEP_2)
	v_cndmask_b32_e64 v0, 0, v0, s0
	v_cmp_lt_i32_e64 s0, v98, v34
	v_or_b32_e32 v12, v5, v0
	s_wait_alu 0xf1ff
	s_delay_alu instid0(VALU_DEP_2) | instskip(SKIP_2) | instid1(VALU_DEP_1)
	v_cndmask_b32_e64 v22, 0, v22, s0
	v_cmp_lt_i32_e64 s0, v97, v34
	s_wait_alu 0xf1ff
	v_cndmask_b32_e64 v6, 0, v6, s0
	v_cmp_lt_i32_e64 s0, v96, v34
	s_delay_alu instid0(VALU_DEP_2) | instskip(SKIP_1) | instid1(VALU_DEP_2)
	v_or_b32_e32 v33, v22, v6
	s_wait_alu 0xf1ff
	v_cndmask_b32_e64 v10, 0, v10, s0
	v_cmp_lt_i32_e64 s0, v87, v34
	s_wait_alu 0xf1ff
	s_delay_alu instid0(VALU_DEP_1) | instskip(NEXT) | instid1(VALU_DEP_1)
	v_cndmask_b32_e64 v4, 0, v4, s0
	v_or_b32_e32 v23, v10, v4
.LBB294_2103:                           ;   in Loop: Header=BB294_1574 Depth=1
	s_wait_alu 0xfffe
	s_or_b32 exec_lo, exec_lo, s14
	;;#ASMSTART
	v_pk_mul_f16 v0, v86, v35;

	;;#ASMEND
	;;#ASMSTART
	v_pk_mul_f16 v4, v85, v12;

	;;#ASMEND
	;; [unrolled: 4-line block ×4, first 2 shown]
	;;#ASMSTART
	v_pk_add_f16 v0, v0, v4;

	;;#ASMEND
	;;#ASMSTART
	v_pk_add_f16 v0, v0, v5;

	;;#ASMEND
	;; [unrolled: 4-line block ×3, first 2 shown]
	v_dual_mov_b32 v5, 0 :: v_dual_and_b32 v4, 0xffff, v0
	v_lshrrev_b32_e32 v0, 16, v0
	;;#ASMSTART
	v_cvt_f32_f16 v130, v4;
	;;#ASMEND
	;;#ASMSTART
	v_cvt_f32_f16 v131, v0;
	;;#ASMEND
	flat_load_b64 v[10:11], v[8:9] offset:2048
	flat_load_b32 v4, v[26:27]
	v_mov_b32_e32 v6, 0
	s_mov_b32 s14, exec_lo
	s_wait_loadcnt_dscnt 0x101
	v_and_b32_e32 v0, 0xff, v10
	s_delay_alu instid0(VALU_DEP_1)
	v_cmpx_ne_u16_e32 0, v0
	s_cbranch_execz .LBB294_2111
; %bb.2104:                             ;   in Loop: Header=BB294_1574 Depth=1
	v_mov_b32_e32 v6, 0x8000
	s_mov_b32 s15, exec_lo
	v_cmpx_ne_u16_e32 0x80, v0
	s_cbranch_execz .LBB294_2110
; %bb.2105:                             ;   in Loop: Header=BB294_1574 Depth=1
	v_and_b32_e32 v12, 0x7f, v10
	v_mov_b32_e32 v6, 0x7c01
	s_mov_b32 s16, exec_lo
	s_delay_alu instid0(VALU_DEP_2)
	v_cmpx_ne_u32_e32 0x7f, v12
	s_cbranch_execz .LBB294_2109
; %bb.2106:                             ;   in Loop: Header=BB294_1574 Depth=1
	v_and_b32_e32 v0, 7, v10
	v_lshrrev_b32_e32 v6, 3, v12
	s_mov_b32 s17, exec_lo
	v_cmpx_gt_u32_e32 8, v12
; %bb.2107:                             ;   in Loop: Header=BB294_1574 Depth=1
	s_delay_alu instid0(VALU_DEP_3) | instskip(NEXT) | instid1(VALU_DEP_1)
	v_clz_i32_u32_e32 v0, v0
	v_min_u32_e32 v0, 32, v0
	s_delay_alu instid0(VALU_DEP_1) | instskip(NEXT) | instid1(VALU_DEP_1)
	v_subrev_nc_u32_e32 v6, 28, v0
	v_lshlrev_b64_e32 v[22:23], v6, v[10:11]
	v_sub_nc_u32_e32 v6, 29, v0
	s_delay_alu instid0(VALU_DEP_2)
	v_and_b32_e32 v0, 7, v22
; %bb.2108:                             ;   in Loop: Header=BB294_1574 Depth=1
	s_wait_alu 0xfffe
	s_or_b32 exec_lo, exec_lo, s17
	v_lshlrev_b32_e32 v7, 8, v10
	v_lshl_add_u32 v6, v6, 10, 0x2000
	v_lshlrev_b32_e32 v0, 7, v0
	s_delay_alu instid0(VALU_DEP_3) | instskip(NEXT) | instid1(VALU_DEP_3)
	v_and_b32_e32 v7, 0x8000, v7
	v_and_b32_e32 v6, 0xfc00, v6
	s_delay_alu instid0(VALU_DEP_1)
	v_or3_b32 v6, v7, v6, v0
.LBB294_2109:                           ;   in Loop: Header=BB294_1574 Depth=1
	s_wait_alu 0xfffe
	s_or_b32 exec_lo, exec_lo, s16
.LBB294_2110:                           ;   in Loop: Header=BB294_1574 Depth=1
	s_wait_alu 0xfffe
	s_or_b32 exec_lo, exec_lo, s15
.LBB294_2111:                           ;   in Loop: Header=BB294_1574 Depth=1
	s_wait_alu 0xfffe
	s_or_b32 exec_lo, exec_lo, s14
	v_lshrrev_b16 v0, 8, v10
	s_mov_b32 s14, exec_lo
	s_delay_alu instid0(VALU_DEP_1)
	v_cmpx_ne_u16_e32 0, v0
	s_cbranch_execz .LBB294_2119
; %bb.2112:                             ;   in Loop: Header=BB294_1574 Depth=1
	v_bfrev_b32_e32 v5, 1
	s_mov_b32 s15, exec_lo
	v_cmpx_ne_u16_e32 0x80, v0
	s_cbranch_execz .LBB294_2118
; %bb.2113:                             ;   in Loop: Header=BB294_1574 Depth=1
	v_and_b32_e32 v12, 0xffff, v0
	v_mov_b32_e32 v5, 0x7c010000
	s_mov_b32 s16, exec_lo
	s_delay_alu instid0(VALU_DEP_2) | instskip(NEXT) | instid1(VALU_DEP_1)
	v_and_b32_e32 v23, 0x7f, v12
	v_cmpx_ne_u32_e32 0x7f, v23
	s_cbranch_execz .LBB294_2117
; %bb.2114:                             ;   in Loop: Header=BB294_1574 Depth=1
	v_and_b32_e32 v5, 7, v12
	v_lshrrev_b32_e32 v22, 3, v23
	s_mov_b32 s17, exec_lo
	v_cmpx_gt_u32_e32 8, v23
; %bb.2115:                             ;   in Loop: Header=BB294_1574 Depth=1
	s_delay_alu instid0(VALU_DEP_3) | instskip(NEXT) | instid1(VALU_DEP_1)
	v_clz_i32_u32_e32 v5, v5
	v_min_u32_e32 v5, 32, v5
	s_delay_alu instid0(VALU_DEP_1) | instskip(SKIP_1) | instid1(VALU_DEP_2)
	v_subrev_nc_u32_e32 v7, 28, v5
	v_sub_nc_u32_e32 v22, 29, v5
	v_lshlrev_b64_e32 v[35:36], v7, v[0:1]
	s_delay_alu instid0(VALU_DEP_1)
	v_and_b32_e32 v5, 7, v35
; %bb.2116:                             ;   in Loop: Header=BB294_1574 Depth=1
	s_wait_alu 0xfffe
	s_or_b32 exec_lo, exec_lo, s17
	v_lshlrev_b32_e32 v0, 8, v12
	v_lshl_add_u32 v7, v22, 10, 0x2000
	v_lshlrev_b32_e32 v5, 23, v5
	s_delay_alu instid0(VALU_DEP_2) | instskip(NEXT) | instid1(VALU_DEP_1)
	v_and_or_b32 v0, 0x8000, v0, v7
	v_lshl_or_b32 v5, v0, 16, v5
.LBB294_2117:                           ;   in Loop: Header=BB294_1574 Depth=1
	s_wait_alu 0xfffe
	s_or_b32 exec_lo, exec_lo, s16
.LBB294_2118:                           ;   in Loop: Header=BB294_1574 Depth=1
	s_wait_alu 0xfffe
	s_or_b32 exec_lo, exec_lo, s15
.LBB294_2119:                           ;   in Loop: Header=BB294_1574 Depth=1
	s_wait_alu 0xfffe
	s_or_b32 exec_lo, exec_lo, s14
	v_lshrrev_b32_e32 v0, 16, v10
	v_mov_b32_e32 v22, 0
	s_mov_b32 s14, exec_lo
	s_delay_alu instid0(VALU_DEP_2) | instskip(NEXT) | instid1(VALU_DEP_1)
	v_dual_mov_b32 v12, 0 :: v_dual_and_b32 v23, 0xff, v0
	v_cmpx_ne_u16_e32 0, v23
	s_cbranch_execz .LBB294_2127
; %bb.2120:                             ;   in Loop: Header=BB294_1574 Depth=1
	v_mov_b32_e32 v22, 0x8000
	s_mov_b32 s15, exec_lo
	v_cmpx_ne_u16_e32 0x80, v23
	s_cbranch_execz .LBB294_2126
; %bb.2121:                             ;   in Loop: Header=BB294_1574 Depth=1
	v_bfe_u32 v33, v10, 16, 7
	v_mov_b32_e32 v22, 0x7c01
	s_mov_b32 s16, exec_lo
	s_delay_alu instid0(VALU_DEP_2)
	v_cmpx_ne_u32_e32 0x7f, v33
	s_cbranch_execz .LBB294_2125
; %bb.2122:                             ;   in Loop: Header=BB294_1574 Depth=1
	v_and_b32_e32 v22, 7, v0
	v_lshrrev_b32_e32 v23, 3, v33
	s_mov_b32 s17, exec_lo
	v_cmpx_gt_u32_e32 8, v33
; %bb.2123:                             ;   in Loop: Header=BB294_1574 Depth=1
	s_delay_alu instid0(VALU_DEP_3) | instskip(NEXT) | instid1(VALU_DEP_1)
	v_clz_i32_u32_e32 v7, v22
	v_min_u32_e32 v7, 32, v7
	s_delay_alu instid0(VALU_DEP_1) | instskip(NEXT) | instid1(VALU_DEP_1)
	v_subrev_nc_u32_e32 v22, 28, v7
	v_lshlrev_b64_e32 v[22:23], v22, v[0:1]
	v_sub_nc_u32_e32 v23, 29, v7
	s_delay_alu instid0(VALU_DEP_2)
	v_and_b32_e32 v22, 7, v22
; %bb.2124:                             ;   in Loop: Header=BB294_1574 Depth=1
	s_wait_alu 0xfffe
	s_or_b32 exec_lo, exec_lo, s17
	v_lshlrev_b32_e32 v0, 8, v0
	v_lshl_add_u32 v7, v23, 10, 0x2000
	v_lshlrev_b32_e32 v22, 7, v22
	s_delay_alu instid0(VALU_DEP_3) | instskip(NEXT) | instid1(VALU_DEP_3)
	v_and_b32_e32 v0, 0x8000, v0
	v_and_b32_e32 v7, 0xfc00, v7
	s_delay_alu instid0(VALU_DEP_1)
	v_or3_b32 v22, v0, v7, v22
.LBB294_2125:                           ;   in Loop: Header=BB294_1574 Depth=1
	s_wait_alu 0xfffe
	s_or_b32 exec_lo, exec_lo, s16
.LBB294_2126:                           ;   in Loop: Header=BB294_1574 Depth=1
	s_wait_alu 0xfffe
	s_or_b32 exec_lo, exec_lo, s15
.LBB294_2127:                           ;   in Loop: Header=BB294_1574 Depth=1
	s_wait_alu 0xfffe
	s_or_b32 exec_lo, exec_lo, s14
	s_delay_alu instid0(SALU_CYCLE_1)
	s_mov_b32 s14, exec_lo
	v_cmpx_lt_u32_e32 0xffffff, v10
	s_cbranch_execz .LBB294_2135
; %bb.2128:                             ;   in Loop: Header=BB294_1574 Depth=1
	v_lshrrev_b32_e32 v0, 24, v10
	v_bfrev_b32_e32 v12, 1
	s_mov_b32 s15, exec_lo
	s_delay_alu instid0(VALU_DEP_2)
	v_cmpx_ne_u32_e32 0x80, v0
	s_cbranch_execz .LBB294_2134
; %bb.2129:                             ;   in Loop: Header=BB294_1574 Depth=1
	v_and_b32_e32 v33, 0x7f, v0
	v_mov_b32_e32 v12, 0x7c010000
	s_mov_b32 s16, exec_lo
	s_delay_alu instid0(VALU_DEP_2)
	v_cmpx_ne_u32_e32 0x7f, v33
	s_cbranch_execz .LBB294_2133
; %bb.2130:                             ;   in Loop: Header=BB294_1574 Depth=1
	v_and_b32_e32 v12, 7, v0
	v_lshrrev_b32_e32 v23, 3, v33
	s_mov_b32 s17, exec_lo
	v_cmpx_gt_u32_e32 8, v33
; %bb.2131:                             ;   in Loop: Header=BB294_1574 Depth=1
	s_delay_alu instid0(VALU_DEP_3) | instskip(NEXT) | instid1(VALU_DEP_1)
	v_clz_i32_u32_e32 v7, v12
	v_min_u32_e32 v7, 32, v7
	s_delay_alu instid0(VALU_DEP_1) | instskip(SKIP_1) | instid1(VALU_DEP_2)
	v_subrev_nc_u32_e32 v12, 28, v7
	v_sub_nc_u32_e32 v23, 29, v7
	v_lshlrev_b64_e32 v[35:36], v12, v[0:1]
	s_delay_alu instid0(VALU_DEP_1)
	v_and_b32_e32 v12, 7, v35
; %bb.2132:                             ;   in Loop: Header=BB294_1574 Depth=1
	s_wait_alu 0xfffe
	s_or_b32 exec_lo, exec_lo, s17
	v_lshlrev_b32_e32 v0, 8, v0
	v_lshl_add_u32 v7, v23, 10, 0x2000
	s_delay_alu instid0(VALU_DEP_1) | instskip(SKIP_1) | instid1(VALU_DEP_1)
	v_and_or_b32 v0, 0x8000, v0, v7
	v_lshlrev_b32_e32 v7, 23, v12
	v_lshl_or_b32 v12, v0, 16, v7
.LBB294_2133:                           ;   in Loop: Header=BB294_1574 Depth=1
	s_wait_alu 0xfffe
	s_or_b32 exec_lo, exec_lo, s16
.LBB294_2134:                           ;   in Loop: Header=BB294_1574 Depth=1
	s_wait_alu 0xfffe
	s_or_b32 exec_lo, exec_lo, s15
.LBB294_2135:                           ;   in Loop: Header=BB294_1574 Depth=1
	s_wait_alu 0xfffe
	s_or_b32 exec_lo, exec_lo, s14
	v_dual_mov_b32 v0, v11 :: v_dual_and_b32 v35, 0xff, v11
	v_mov_b32_e32 v23, 0
	v_mov_b32_e32 v33, 0
	s_mov_b32 s14, exec_lo
	s_delay_alu instid0(VALU_DEP_3)
	v_cmpx_ne_u16_e32 0, v35
	s_cbranch_execz .LBB294_2143
; %bb.2136:                             ;   in Loop: Header=BB294_1574 Depth=1
	v_mov_b32_e32 v33, 0x8000
	s_mov_b32 s15, exec_lo
	v_cmpx_ne_u16_e32 0x80, v35
	s_cbranch_execz .LBB294_2142
; %bb.2137:                             ;   in Loop: Header=BB294_1574 Depth=1
	v_and_b32_e32 v36, 0x7f, v11
	v_mov_b32_e32 v33, 0x7c01
	s_mov_b32 s16, exec_lo
	s_delay_alu instid0(VALU_DEP_2)
	v_cmpx_ne_u32_e32 0x7f, v36
	s_cbranch_execz .LBB294_2141
; %bb.2138:                             ;   in Loop: Header=BB294_1574 Depth=1
	v_and_b32_e32 v33, 7, v11
	v_lshrrev_b32_e32 v35, 3, v36
	s_mov_b32 s17, exec_lo
	v_cmpx_gt_u32_e32 8, v36
; %bb.2139:                             ;   in Loop: Header=BB294_1574 Depth=1
	s_delay_alu instid0(VALU_DEP_3) | instskip(NEXT) | instid1(VALU_DEP_1)
	v_clz_i32_u32_e32 v7, v33
	v_min_u32_e32 v7, 32, v7
	s_delay_alu instid0(VALU_DEP_1) | instskip(SKIP_1) | instid1(VALU_DEP_2)
	v_subrev_nc_u32_e32 v33, 28, v7
	v_sub_nc_u32_e32 v35, 29, v7
	v_lshlrev_b64_e32 v[36:37], v33, v[0:1]
	s_delay_alu instid0(VALU_DEP_1)
	v_and_b32_e32 v33, 7, v36
; %bb.2140:                             ;   in Loop: Header=BB294_1574 Depth=1
	s_wait_alu 0xfffe
	s_or_b32 exec_lo, exec_lo, s17
	v_lshlrev_b32_e32 v7, 8, v11
	v_lshl_add_u32 v35, v35, 10, 0x2000
	v_lshlrev_b32_e32 v33, 7, v33
	s_delay_alu instid0(VALU_DEP_3) | instskip(NEXT) | instid1(VALU_DEP_3)
	v_and_b32_e32 v7, 0x8000, v7
	v_and_b32_e32 v35, 0xfc00, v35
	s_delay_alu instid0(VALU_DEP_1)
	v_or3_b32 v33, v7, v35, v33
.LBB294_2141:                           ;   in Loop: Header=BB294_1574 Depth=1
	s_wait_alu 0xfffe
	s_or_b32 exec_lo, exec_lo, s16
.LBB294_2142:                           ;   in Loop: Header=BB294_1574 Depth=1
	s_wait_alu 0xfffe
	s_or_b32 exec_lo, exec_lo, s15
.LBB294_2143:                           ;   in Loop: Header=BB294_1574 Depth=1
	s_wait_alu 0xfffe
	s_or_b32 exec_lo, exec_lo, s14
	v_lshrrev_b16 v0, 8, v0
	v_mov_b32_e32 v35, 0
	s_mov_b32 s14, exec_lo
	s_delay_alu instid0(VALU_DEP_2)
	v_cmpx_ne_u16_e32 0, v0
	s_cbranch_execz .LBB294_2151
; %bb.2144:                             ;   in Loop: Header=BB294_1574 Depth=1
	v_bfrev_b32_e32 v35, 1
	s_mov_b32 s15, exec_lo
	v_cmpx_ne_u16_e32 0x80, v0
	s_cbranch_execz .LBB294_2150
; %bb.2145:                             ;   in Loop: Header=BB294_1574 Depth=1
	v_and_b32_e32 v36, 0xffff, v0
	v_mov_b32_e32 v35, 0x7c010000
	s_mov_b32 s16, exec_lo
	s_delay_alu instid0(VALU_DEP_2) | instskip(NEXT) | instid1(VALU_DEP_1)
	v_and_b32_e32 v38, 0x7f, v36
	v_cmpx_ne_u32_e32 0x7f, v38
	s_cbranch_execz .LBB294_2149
; %bb.2146:                             ;   in Loop: Header=BB294_1574 Depth=1
	v_and_b32_e32 v35, 7, v36
	v_lshrrev_b32_e32 v37, 3, v38
	s_mov_b32 s17, exec_lo
	v_cmpx_gt_u32_e32 8, v38
; %bb.2147:                             ;   in Loop: Header=BB294_1574 Depth=1
	s_delay_alu instid0(VALU_DEP_3) | instskip(NEXT) | instid1(VALU_DEP_1)
	v_clz_i32_u32_e32 v7, v35
	v_min_u32_e32 v7, 32, v7
	s_delay_alu instid0(VALU_DEP_1) | instskip(SKIP_1) | instid1(VALU_DEP_2)
	v_subrev_nc_u32_e32 v35, 28, v7
	v_sub_nc_u32_e32 v37, 29, v7
	v_lshlrev_b64_e32 v[38:39], v35, v[0:1]
	s_delay_alu instid0(VALU_DEP_1)
	v_and_b32_e32 v35, 7, v38
; %bb.2148:                             ;   in Loop: Header=BB294_1574 Depth=1
	s_wait_alu 0xfffe
	s_or_b32 exec_lo, exec_lo, s17
	v_lshlrev_b32_e32 v0, 8, v36
	v_lshl_add_u32 v7, v37, 10, 0x2000
	s_delay_alu instid0(VALU_DEP_1) | instskip(SKIP_1) | instid1(VALU_DEP_1)
	v_and_or_b32 v0, 0x8000, v0, v7
	v_lshlrev_b32_e32 v7, 23, v35
	v_lshl_or_b32 v35, v0, 16, v7
.LBB294_2149:                           ;   in Loop: Header=BB294_1574 Depth=1
	s_wait_alu 0xfffe
	s_or_b32 exec_lo, exec_lo, s16
.LBB294_2150:                           ;   in Loop: Header=BB294_1574 Depth=1
	s_wait_alu 0xfffe
	s_or_b32 exec_lo, exec_lo, s15
.LBB294_2151:                           ;   in Loop: Header=BB294_1574 Depth=1
	s_wait_alu 0xfffe
	s_or_b32 exec_lo, exec_lo, s14
	v_lshrrev_b32_e32 v0, 16, v11
	s_mov_b32 s14, exec_lo
	s_delay_alu instid0(VALU_DEP_1) | instskip(NEXT) | instid1(VALU_DEP_1)
	v_and_b32_e32 v36, 0xff, v0
	v_cmpx_ne_u16_e32 0, v36
	s_cbranch_execz .LBB294_2159
; %bb.2152:                             ;   in Loop: Header=BB294_1574 Depth=1
	v_mov_b32_e32 v23, 0x8000
	s_mov_b32 s15, exec_lo
	v_cmpx_ne_u16_e32 0x80, v36
	s_cbranch_execz .LBB294_2158
; %bb.2153:                             ;   in Loop: Header=BB294_1574 Depth=1
	v_bfe_u32 v37, v11, 16, 7
	v_mov_b32_e32 v23, 0x7c01
	s_mov_b32 s16, exec_lo
	s_delay_alu instid0(VALU_DEP_2)
	v_cmpx_ne_u32_e32 0x7f, v37
	s_cbranch_execz .LBB294_2157
; %bb.2154:                             ;   in Loop: Header=BB294_1574 Depth=1
	v_and_b32_e32 v23, 7, v0
	v_lshrrev_b32_e32 v36, 3, v37
	s_mov_b32 s17, exec_lo
	v_cmpx_gt_u32_e32 8, v37
; %bb.2155:                             ;   in Loop: Header=BB294_1574 Depth=1
	s_delay_alu instid0(VALU_DEP_3) | instskip(NEXT) | instid1(VALU_DEP_1)
	v_clz_i32_u32_e32 v7, v23
	v_min_u32_e32 v7, 32, v7
	s_delay_alu instid0(VALU_DEP_1) | instskip(SKIP_1) | instid1(VALU_DEP_2)
	v_subrev_nc_u32_e32 v23, 28, v7
	v_sub_nc_u32_e32 v36, 29, v7
	v_lshlrev_b64_e32 v[37:38], v23, v[0:1]
	s_delay_alu instid0(VALU_DEP_1)
	v_and_b32_e32 v23, 7, v37
; %bb.2156:                             ;   in Loop: Header=BB294_1574 Depth=1
	s_wait_alu 0xfffe
	s_or_b32 exec_lo, exec_lo, s17
	v_lshlrev_b32_e32 v0, 8, v0
	v_lshl_add_u32 v7, v36, 10, 0x2000
	v_lshlrev_b32_e32 v23, 7, v23
	s_delay_alu instid0(VALU_DEP_3) | instskip(NEXT) | instid1(VALU_DEP_3)
	v_and_b32_e32 v0, 0x8000, v0
	v_and_b32_e32 v7, 0xfc00, v7
	s_delay_alu instid0(VALU_DEP_1)
	v_or3_b32 v23, v0, v7, v23
.LBB294_2157:                           ;   in Loop: Header=BB294_1574 Depth=1
	s_wait_alu 0xfffe
	s_or_b32 exec_lo, exec_lo, s16
.LBB294_2158:                           ;   in Loop: Header=BB294_1574 Depth=1
	s_wait_alu 0xfffe
	s_or_b32 exec_lo, exec_lo, s15
.LBB294_2159:                           ;   in Loop: Header=BB294_1574 Depth=1
	s_wait_alu 0xfffe
	s_or_b32 exec_lo, exec_lo, s14
	v_cmp_lt_u64_e64 s0, s[8:9], v[10:11]
	v_mov_b32_e32 v10, 0
	s_and_saveexec_b32 s14, s0
	s_cbranch_execz .LBB294_2167
; %bb.2160:                             ;   in Loop: Header=BB294_1574 Depth=1
	v_lshrrev_b32_e32 v0, 24, v11
	v_bfrev_b32_e32 v10, 1
	s_mov_b32 s15, exec_lo
	s_delay_alu instid0(VALU_DEP_2)
	v_cmpx_ne_u32_e32 0x80, v0
	s_cbranch_execz .LBB294_2166
; %bb.2161:                             ;   in Loop: Header=BB294_1574 Depth=1
	v_and_b32_e32 v36, 0x7f, v0
	v_mov_b32_e32 v10, 0x7c010000
	s_mov_b32 s16, exec_lo
	s_delay_alu instid0(VALU_DEP_2)
	v_cmpx_ne_u32_e32 0x7f, v36
	s_cbranch_execz .LBB294_2165
; %bb.2162:                             ;   in Loop: Header=BB294_1574 Depth=1
	v_and_b32_e32 v10, 7, v0
	v_lshrrev_b32_e32 v11, 3, v36
	s_mov_b32 s17, exec_lo
	v_cmpx_gt_u32_e32 8, v36
; %bb.2163:                             ;   in Loop: Header=BB294_1574 Depth=1
	s_delay_alu instid0(VALU_DEP_3) | instskip(NEXT) | instid1(VALU_DEP_1)
	v_clz_i32_u32_e32 v7, v10
	v_min_u32_e32 v7, 32, v7
	s_delay_alu instid0(VALU_DEP_1) | instskip(NEXT) | instid1(VALU_DEP_1)
	v_subrev_nc_u32_e32 v10, 28, v7
	v_lshlrev_b64_e32 v[10:11], v10, v[0:1]
	v_sub_nc_u32_e32 v11, 29, v7
	s_delay_alu instid0(VALU_DEP_2)
	v_and_b32_e32 v10, 7, v10
; %bb.2164:                             ;   in Loop: Header=BB294_1574 Depth=1
	s_wait_alu 0xfffe
	s_or_b32 exec_lo, exec_lo, s17
	v_lshlrev_b32_e32 v0, 8, v0
	v_lshl_add_u32 v7, v11, 10, 0x2000
	s_delay_alu instid0(VALU_DEP_1) | instskip(SKIP_1) | instid1(VALU_DEP_1)
	v_and_or_b32 v0, 0x8000, v0, v7
	v_lshlrev_b32_e32 v7, 23, v10
	v_lshl_or_b32 v10, v0, 16, v7
.LBB294_2165:                           ;   in Loop: Header=BB294_1574 Depth=1
	s_wait_alu 0xfffe
	s_or_b32 exec_lo, exec_lo, s16
.LBB294_2166:                           ;   in Loop: Header=BB294_1574 Depth=1
	s_wait_alu 0xfffe
	s_or_b32 exec_lo, exec_lo, s15
.LBB294_2167:                           ;   in Loop: Header=BB294_1574 Depth=1
	s_wait_alu 0xfffe
	s_or_b32 exec_lo, exec_lo, s14
	v_or_b32_e32 v0, v12, v22
	s_wait_loadcnt_dscnt 0x0
	v_fma_mixlo_f16 v7, v4, v12, 0 op_sel:[0,1,0] op_sel_hi:[0,1,0]
	v_or_b32_e32 v6, v5, v6
	v_or_b32_e32 v12, v35, v33
	;; [unrolled: 1-line block ×3, first 2 shown]
	v_fma_mixlo_f16 v5, v4, v5, 0 op_sel:[0,1,0] op_sel_hi:[0,1,0]
	v_fma_mixlo_f16 v22, v4, v0, 0 op_sel_hi:[0,1,0]
	v_lshlrev_b32_e32 v0, 16, v7
	v_fma_mixlo_f16 v6, v4, v6, 0 op_sel_hi:[0,1,0]
	v_fma_mixlo_f16 v7, v4, v35, 0 op_sel:[0,1,0] op_sel_hi:[0,1,0]
	v_fma_mixlo_f16 v12, v4, v12, 0 op_sel_hi:[0,1,0]
	v_fma_mixlo_f16 v10, v4, v10, 0 op_sel:[0,1,0] op_sel_hi:[0,1,0]
	v_fma_mixlo_f16 v23, v4, v23, 0 op_sel_hi:[0,1,0]
	v_lshlrev_b32_e32 v11, 16, v5
	v_and_b32_e32 v5, 0xffff, v22
	v_and_b32_e32 v36, 0xffff, v6
	v_lshlrev_b32_e32 v6, 16, v7
	v_and_b32_e32 v22, 0xffff, v12
	v_lshlrev_b32_e32 v4, 16, v10
	v_and_b32_e32 v10, 0xffff, v23
	v_or_b32_e32 v12, v0, v5
	v_or_b32_e32 v35, v11, v36
	;; [unrolled: 1-line block ×3, first 2 shown]
	s_delay_alu instid0(VALU_DEP_4)
	v_or_b32_e32 v23, v4, v10
	s_and_saveexec_b32 s14, vcc_lo
	s_cbranch_execz .LBB294_2169
; %bb.2168:                             ;   in Loop: Header=BB294_1574 Depth=1
	v_cmp_lt_i32_e64 s0, v49, v34
	s_wait_alu 0xf1ff
	s_delay_alu instid0(VALU_DEP_1) | instskip(SKIP_2) | instid1(VALU_DEP_1)
	v_cndmask_b32_e64 v7, 0, v36, s0
	v_cmp_lt_i32_e64 s0, v101, v34
	s_wait_alu 0xf1ff
	v_cndmask_b32_e64 v11, 0, v11, s0
	v_cmp_lt_i32_e64 s0, v100, v34
	s_delay_alu instid0(VALU_DEP_2) | instskip(SKIP_1) | instid1(VALU_DEP_2)
	v_or_b32_e32 v35, v7, v11
	s_wait_alu 0xf1ff
	v_cndmask_b32_e64 v5, 0, v5, s0
	v_cmp_lt_i32_e64 s0, v99, v34
	s_wait_alu 0xf1ff
	s_delay_alu instid0(VALU_DEP_1) | instskip(SKIP_1) | instid1(VALU_DEP_2)
	v_cndmask_b32_e64 v0, 0, v0, s0
	v_cmp_lt_i32_e64 s0, v98, v34
	v_or_b32_e32 v12, v5, v0
	s_wait_alu 0xf1ff
	s_delay_alu instid0(VALU_DEP_2) | instskip(SKIP_2) | instid1(VALU_DEP_1)
	v_cndmask_b32_e64 v22, 0, v22, s0
	v_cmp_lt_i32_e64 s0, v97, v34
	s_wait_alu 0xf1ff
	v_cndmask_b32_e64 v6, 0, v6, s0
	v_cmp_lt_i32_e64 s0, v96, v34
	s_delay_alu instid0(VALU_DEP_2) | instskip(SKIP_1) | instid1(VALU_DEP_2)
	v_or_b32_e32 v33, v22, v6
	s_wait_alu 0xf1ff
	v_cndmask_b32_e64 v10, 0, v10, s0
	v_cmp_lt_i32_e64 s0, v87, v34
	s_wait_alu 0xf1ff
	s_delay_alu instid0(VALU_DEP_1) | instskip(NEXT) | instid1(VALU_DEP_1)
	v_cndmask_b32_e64 v4, 0, v4, s0
	v_or_b32_e32 v23, v10, v4
.LBB294_2169:                           ;   in Loop: Header=BB294_1574 Depth=1
	s_wait_alu 0xfffe
	s_or_b32 exec_lo, exec_lo, s14
	;;#ASMSTART
	v_pk_mul_f16 v0, v86, v35;

	;;#ASMEND
	;;#ASMSTART
	v_pk_mul_f16 v4, v85, v12;

	;;#ASMEND
	;; [unrolled: 4-line block ×4, first 2 shown]
	;;#ASMSTART
	v_pk_add_f16 v0, v0, v4;

	;;#ASMEND
	;;#ASMSTART
	v_pk_add_f16 v0, v0, v5;

	;;#ASMEND
	;; [unrolled: 4-line block ×3, first 2 shown]
	v_dual_mov_b32 v5, 0 :: v_dual_and_b32 v4, 0xffff, v0
	v_lshrrev_b32_e32 v0, 16, v0
	;;#ASMSTART
	v_cvt_f32_f16 v132, v4;
	;;#ASMEND
	;;#ASMSTART
	v_cvt_f32_f16 v133, v0;
	;;#ASMEND
	flat_load_b64 v[10:11], v[8:9] offset:2304
	flat_load_b32 v4, v[26:27]
	v_mov_b32_e32 v6, 0
	s_mov_b32 s14, exec_lo
	s_wait_loadcnt_dscnt 0x101
	v_and_b32_e32 v0, 0xff, v10
	s_delay_alu instid0(VALU_DEP_1)
	v_cmpx_ne_u16_e32 0, v0
	s_cbranch_execz .LBB294_2177
; %bb.2170:                             ;   in Loop: Header=BB294_1574 Depth=1
	v_mov_b32_e32 v6, 0x8000
	s_mov_b32 s15, exec_lo
	v_cmpx_ne_u16_e32 0x80, v0
	s_cbranch_execz .LBB294_2176
; %bb.2171:                             ;   in Loop: Header=BB294_1574 Depth=1
	v_and_b32_e32 v12, 0x7f, v10
	v_mov_b32_e32 v6, 0x7c01
	s_mov_b32 s16, exec_lo
	s_delay_alu instid0(VALU_DEP_2)
	v_cmpx_ne_u32_e32 0x7f, v12
	s_cbranch_execz .LBB294_2175
; %bb.2172:                             ;   in Loop: Header=BB294_1574 Depth=1
	v_and_b32_e32 v0, 7, v10
	v_lshrrev_b32_e32 v6, 3, v12
	s_mov_b32 s17, exec_lo
	v_cmpx_gt_u32_e32 8, v12
; %bb.2173:                             ;   in Loop: Header=BB294_1574 Depth=1
	s_delay_alu instid0(VALU_DEP_3) | instskip(NEXT) | instid1(VALU_DEP_1)
	v_clz_i32_u32_e32 v0, v0
	v_min_u32_e32 v0, 32, v0
	s_delay_alu instid0(VALU_DEP_1) | instskip(NEXT) | instid1(VALU_DEP_1)
	v_subrev_nc_u32_e32 v6, 28, v0
	v_lshlrev_b64_e32 v[22:23], v6, v[10:11]
	v_sub_nc_u32_e32 v6, 29, v0
	s_delay_alu instid0(VALU_DEP_2)
	v_and_b32_e32 v0, 7, v22
; %bb.2174:                             ;   in Loop: Header=BB294_1574 Depth=1
	s_wait_alu 0xfffe
	s_or_b32 exec_lo, exec_lo, s17
	v_lshlrev_b32_e32 v7, 8, v10
	v_lshl_add_u32 v6, v6, 10, 0x2000
	v_lshlrev_b32_e32 v0, 7, v0
	s_delay_alu instid0(VALU_DEP_3) | instskip(NEXT) | instid1(VALU_DEP_3)
	v_and_b32_e32 v7, 0x8000, v7
	v_and_b32_e32 v6, 0xfc00, v6
	s_delay_alu instid0(VALU_DEP_1)
	v_or3_b32 v6, v7, v6, v0
.LBB294_2175:                           ;   in Loop: Header=BB294_1574 Depth=1
	s_wait_alu 0xfffe
	s_or_b32 exec_lo, exec_lo, s16
.LBB294_2176:                           ;   in Loop: Header=BB294_1574 Depth=1
	s_wait_alu 0xfffe
	s_or_b32 exec_lo, exec_lo, s15
.LBB294_2177:                           ;   in Loop: Header=BB294_1574 Depth=1
	s_wait_alu 0xfffe
	s_or_b32 exec_lo, exec_lo, s14
	v_lshrrev_b16 v0, 8, v10
	s_mov_b32 s14, exec_lo
	s_delay_alu instid0(VALU_DEP_1)
	v_cmpx_ne_u16_e32 0, v0
	s_cbranch_execz .LBB294_2185
; %bb.2178:                             ;   in Loop: Header=BB294_1574 Depth=1
	v_bfrev_b32_e32 v5, 1
	s_mov_b32 s15, exec_lo
	v_cmpx_ne_u16_e32 0x80, v0
	s_cbranch_execz .LBB294_2184
; %bb.2179:                             ;   in Loop: Header=BB294_1574 Depth=1
	v_and_b32_e32 v12, 0xffff, v0
	v_mov_b32_e32 v5, 0x7c010000
	s_mov_b32 s16, exec_lo
	s_delay_alu instid0(VALU_DEP_2) | instskip(NEXT) | instid1(VALU_DEP_1)
	v_and_b32_e32 v23, 0x7f, v12
	v_cmpx_ne_u32_e32 0x7f, v23
	s_cbranch_execz .LBB294_2183
; %bb.2180:                             ;   in Loop: Header=BB294_1574 Depth=1
	v_and_b32_e32 v5, 7, v12
	v_lshrrev_b32_e32 v22, 3, v23
	s_mov_b32 s17, exec_lo
	v_cmpx_gt_u32_e32 8, v23
; %bb.2181:                             ;   in Loop: Header=BB294_1574 Depth=1
	s_delay_alu instid0(VALU_DEP_3) | instskip(NEXT) | instid1(VALU_DEP_1)
	v_clz_i32_u32_e32 v5, v5
	v_min_u32_e32 v5, 32, v5
	s_delay_alu instid0(VALU_DEP_1) | instskip(SKIP_1) | instid1(VALU_DEP_2)
	v_subrev_nc_u32_e32 v7, 28, v5
	v_sub_nc_u32_e32 v22, 29, v5
	v_lshlrev_b64_e32 v[35:36], v7, v[0:1]
	s_delay_alu instid0(VALU_DEP_1)
	v_and_b32_e32 v5, 7, v35
; %bb.2182:                             ;   in Loop: Header=BB294_1574 Depth=1
	s_wait_alu 0xfffe
	s_or_b32 exec_lo, exec_lo, s17
	v_lshlrev_b32_e32 v0, 8, v12
	v_lshl_add_u32 v7, v22, 10, 0x2000
	v_lshlrev_b32_e32 v5, 23, v5
	s_delay_alu instid0(VALU_DEP_2) | instskip(NEXT) | instid1(VALU_DEP_1)
	v_and_or_b32 v0, 0x8000, v0, v7
	v_lshl_or_b32 v5, v0, 16, v5
.LBB294_2183:                           ;   in Loop: Header=BB294_1574 Depth=1
	s_wait_alu 0xfffe
	s_or_b32 exec_lo, exec_lo, s16
.LBB294_2184:                           ;   in Loop: Header=BB294_1574 Depth=1
	s_wait_alu 0xfffe
	s_or_b32 exec_lo, exec_lo, s15
.LBB294_2185:                           ;   in Loop: Header=BB294_1574 Depth=1
	s_wait_alu 0xfffe
	s_or_b32 exec_lo, exec_lo, s14
	v_lshrrev_b32_e32 v0, 16, v10
	v_mov_b32_e32 v22, 0
	s_mov_b32 s14, exec_lo
	s_delay_alu instid0(VALU_DEP_2) | instskip(NEXT) | instid1(VALU_DEP_1)
	v_dual_mov_b32 v12, 0 :: v_dual_and_b32 v23, 0xff, v0
	v_cmpx_ne_u16_e32 0, v23
	s_cbranch_execz .LBB294_2193
; %bb.2186:                             ;   in Loop: Header=BB294_1574 Depth=1
	v_mov_b32_e32 v22, 0x8000
	s_mov_b32 s15, exec_lo
	v_cmpx_ne_u16_e32 0x80, v23
	s_cbranch_execz .LBB294_2192
; %bb.2187:                             ;   in Loop: Header=BB294_1574 Depth=1
	v_bfe_u32 v33, v10, 16, 7
	v_mov_b32_e32 v22, 0x7c01
	s_mov_b32 s16, exec_lo
	s_delay_alu instid0(VALU_DEP_2)
	v_cmpx_ne_u32_e32 0x7f, v33
	s_cbranch_execz .LBB294_2191
; %bb.2188:                             ;   in Loop: Header=BB294_1574 Depth=1
	v_and_b32_e32 v22, 7, v0
	v_lshrrev_b32_e32 v23, 3, v33
	s_mov_b32 s17, exec_lo
	v_cmpx_gt_u32_e32 8, v33
; %bb.2189:                             ;   in Loop: Header=BB294_1574 Depth=1
	s_delay_alu instid0(VALU_DEP_3) | instskip(NEXT) | instid1(VALU_DEP_1)
	v_clz_i32_u32_e32 v7, v22
	v_min_u32_e32 v7, 32, v7
	s_delay_alu instid0(VALU_DEP_1) | instskip(NEXT) | instid1(VALU_DEP_1)
	v_subrev_nc_u32_e32 v22, 28, v7
	v_lshlrev_b64_e32 v[22:23], v22, v[0:1]
	v_sub_nc_u32_e32 v23, 29, v7
	s_delay_alu instid0(VALU_DEP_2)
	v_and_b32_e32 v22, 7, v22
; %bb.2190:                             ;   in Loop: Header=BB294_1574 Depth=1
	s_wait_alu 0xfffe
	s_or_b32 exec_lo, exec_lo, s17
	v_lshlrev_b32_e32 v0, 8, v0
	v_lshl_add_u32 v7, v23, 10, 0x2000
	v_lshlrev_b32_e32 v22, 7, v22
	s_delay_alu instid0(VALU_DEP_3) | instskip(NEXT) | instid1(VALU_DEP_3)
	v_and_b32_e32 v0, 0x8000, v0
	v_and_b32_e32 v7, 0xfc00, v7
	s_delay_alu instid0(VALU_DEP_1)
	v_or3_b32 v22, v0, v7, v22
.LBB294_2191:                           ;   in Loop: Header=BB294_1574 Depth=1
	s_wait_alu 0xfffe
	s_or_b32 exec_lo, exec_lo, s16
.LBB294_2192:                           ;   in Loop: Header=BB294_1574 Depth=1
	s_wait_alu 0xfffe
	s_or_b32 exec_lo, exec_lo, s15
.LBB294_2193:                           ;   in Loop: Header=BB294_1574 Depth=1
	s_wait_alu 0xfffe
	s_or_b32 exec_lo, exec_lo, s14
	s_delay_alu instid0(SALU_CYCLE_1)
	s_mov_b32 s14, exec_lo
	v_cmpx_lt_u32_e32 0xffffff, v10
	s_cbranch_execz .LBB294_2201
; %bb.2194:                             ;   in Loop: Header=BB294_1574 Depth=1
	v_lshrrev_b32_e32 v0, 24, v10
	v_bfrev_b32_e32 v12, 1
	s_mov_b32 s15, exec_lo
	s_delay_alu instid0(VALU_DEP_2)
	v_cmpx_ne_u32_e32 0x80, v0
	s_cbranch_execz .LBB294_2200
; %bb.2195:                             ;   in Loop: Header=BB294_1574 Depth=1
	v_and_b32_e32 v33, 0x7f, v0
	v_mov_b32_e32 v12, 0x7c010000
	s_mov_b32 s16, exec_lo
	s_delay_alu instid0(VALU_DEP_2)
	v_cmpx_ne_u32_e32 0x7f, v33
	s_cbranch_execz .LBB294_2199
; %bb.2196:                             ;   in Loop: Header=BB294_1574 Depth=1
	v_and_b32_e32 v12, 7, v0
	v_lshrrev_b32_e32 v23, 3, v33
	s_mov_b32 s17, exec_lo
	v_cmpx_gt_u32_e32 8, v33
; %bb.2197:                             ;   in Loop: Header=BB294_1574 Depth=1
	s_delay_alu instid0(VALU_DEP_3) | instskip(NEXT) | instid1(VALU_DEP_1)
	v_clz_i32_u32_e32 v7, v12
	v_min_u32_e32 v7, 32, v7
	s_delay_alu instid0(VALU_DEP_1) | instskip(SKIP_1) | instid1(VALU_DEP_2)
	v_subrev_nc_u32_e32 v12, 28, v7
	v_sub_nc_u32_e32 v23, 29, v7
	v_lshlrev_b64_e32 v[35:36], v12, v[0:1]
	s_delay_alu instid0(VALU_DEP_1)
	v_and_b32_e32 v12, 7, v35
; %bb.2198:                             ;   in Loop: Header=BB294_1574 Depth=1
	s_wait_alu 0xfffe
	s_or_b32 exec_lo, exec_lo, s17
	v_lshlrev_b32_e32 v0, 8, v0
	v_lshl_add_u32 v7, v23, 10, 0x2000
	s_delay_alu instid0(VALU_DEP_1) | instskip(SKIP_1) | instid1(VALU_DEP_1)
	v_and_or_b32 v0, 0x8000, v0, v7
	v_lshlrev_b32_e32 v7, 23, v12
	v_lshl_or_b32 v12, v0, 16, v7
.LBB294_2199:                           ;   in Loop: Header=BB294_1574 Depth=1
	s_wait_alu 0xfffe
	s_or_b32 exec_lo, exec_lo, s16
.LBB294_2200:                           ;   in Loop: Header=BB294_1574 Depth=1
	s_wait_alu 0xfffe
	s_or_b32 exec_lo, exec_lo, s15
.LBB294_2201:                           ;   in Loop: Header=BB294_1574 Depth=1
	s_wait_alu 0xfffe
	s_or_b32 exec_lo, exec_lo, s14
	v_dual_mov_b32 v0, v11 :: v_dual_and_b32 v35, 0xff, v11
	v_mov_b32_e32 v23, 0
	v_mov_b32_e32 v33, 0
	s_mov_b32 s14, exec_lo
	s_delay_alu instid0(VALU_DEP_3)
	v_cmpx_ne_u16_e32 0, v35
	s_cbranch_execz .LBB294_2209
; %bb.2202:                             ;   in Loop: Header=BB294_1574 Depth=1
	v_mov_b32_e32 v33, 0x8000
	s_mov_b32 s15, exec_lo
	v_cmpx_ne_u16_e32 0x80, v35
	s_cbranch_execz .LBB294_2208
; %bb.2203:                             ;   in Loop: Header=BB294_1574 Depth=1
	v_and_b32_e32 v36, 0x7f, v11
	v_mov_b32_e32 v33, 0x7c01
	s_mov_b32 s16, exec_lo
	s_delay_alu instid0(VALU_DEP_2)
	v_cmpx_ne_u32_e32 0x7f, v36
	s_cbranch_execz .LBB294_2207
; %bb.2204:                             ;   in Loop: Header=BB294_1574 Depth=1
	v_and_b32_e32 v33, 7, v11
	v_lshrrev_b32_e32 v35, 3, v36
	s_mov_b32 s17, exec_lo
	v_cmpx_gt_u32_e32 8, v36
; %bb.2205:                             ;   in Loop: Header=BB294_1574 Depth=1
	s_delay_alu instid0(VALU_DEP_3) | instskip(NEXT) | instid1(VALU_DEP_1)
	v_clz_i32_u32_e32 v7, v33
	v_min_u32_e32 v7, 32, v7
	s_delay_alu instid0(VALU_DEP_1) | instskip(SKIP_1) | instid1(VALU_DEP_2)
	v_subrev_nc_u32_e32 v33, 28, v7
	v_sub_nc_u32_e32 v35, 29, v7
	v_lshlrev_b64_e32 v[36:37], v33, v[0:1]
	s_delay_alu instid0(VALU_DEP_1)
	v_and_b32_e32 v33, 7, v36
; %bb.2206:                             ;   in Loop: Header=BB294_1574 Depth=1
	s_wait_alu 0xfffe
	s_or_b32 exec_lo, exec_lo, s17
	v_lshlrev_b32_e32 v7, 8, v11
	v_lshl_add_u32 v35, v35, 10, 0x2000
	v_lshlrev_b32_e32 v33, 7, v33
	s_delay_alu instid0(VALU_DEP_3) | instskip(NEXT) | instid1(VALU_DEP_3)
	v_and_b32_e32 v7, 0x8000, v7
	v_and_b32_e32 v35, 0xfc00, v35
	s_delay_alu instid0(VALU_DEP_1)
	v_or3_b32 v33, v7, v35, v33
.LBB294_2207:                           ;   in Loop: Header=BB294_1574 Depth=1
	s_wait_alu 0xfffe
	s_or_b32 exec_lo, exec_lo, s16
.LBB294_2208:                           ;   in Loop: Header=BB294_1574 Depth=1
	s_wait_alu 0xfffe
	s_or_b32 exec_lo, exec_lo, s15
.LBB294_2209:                           ;   in Loop: Header=BB294_1574 Depth=1
	s_wait_alu 0xfffe
	s_or_b32 exec_lo, exec_lo, s14
	v_lshrrev_b16 v0, 8, v0
	v_mov_b32_e32 v35, 0
	s_mov_b32 s14, exec_lo
	s_delay_alu instid0(VALU_DEP_2)
	v_cmpx_ne_u16_e32 0, v0
	s_cbranch_execz .LBB294_2217
; %bb.2210:                             ;   in Loop: Header=BB294_1574 Depth=1
	v_bfrev_b32_e32 v35, 1
	s_mov_b32 s15, exec_lo
	v_cmpx_ne_u16_e32 0x80, v0
	s_cbranch_execz .LBB294_2216
; %bb.2211:                             ;   in Loop: Header=BB294_1574 Depth=1
	v_and_b32_e32 v36, 0xffff, v0
	v_mov_b32_e32 v35, 0x7c010000
	s_mov_b32 s16, exec_lo
	s_delay_alu instid0(VALU_DEP_2) | instskip(NEXT) | instid1(VALU_DEP_1)
	v_and_b32_e32 v38, 0x7f, v36
	v_cmpx_ne_u32_e32 0x7f, v38
	s_cbranch_execz .LBB294_2215
; %bb.2212:                             ;   in Loop: Header=BB294_1574 Depth=1
	v_and_b32_e32 v35, 7, v36
	v_lshrrev_b32_e32 v37, 3, v38
	s_mov_b32 s17, exec_lo
	v_cmpx_gt_u32_e32 8, v38
; %bb.2213:                             ;   in Loop: Header=BB294_1574 Depth=1
	s_delay_alu instid0(VALU_DEP_3) | instskip(NEXT) | instid1(VALU_DEP_1)
	v_clz_i32_u32_e32 v7, v35
	v_min_u32_e32 v7, 32, v7
	s_delay_alu instid0(VALU_DEP_1) | instskip(SKIP_1) | instid1(VALU_DEP_2)
	v_subrev_nc_u32_e32 v35, 28, v7
	v_sub_nc_u32_e32 v37, 29, v7
	v_lshlrev_b64_e32 v[38:39], v35, v[0:1]
	s_delay_alu instid0(VALU_DEP_1)
	v_and_b32_e32 v35, 7, v38
; %bb.2214:                             ;   in Loop: Header=BB294_1574 Depth=1
	s_wait_alu 0xfffe
	s_or_b32 exec_lo, exec_lo, s17
	v_lshlrev_b32_e32 v0, 8, v36
	v_lshl_add_u32 v7, v37, 10, 0x2000
	s_delay_alu instid0(VALU_DEP_1) | instskip(SKIP_1) | instid1(VALU_DEP_1)
	v_and_or_b32 v0, 0x8000, v0, v7
	v_lshlrev_b32_e32 v7, 23, v35
	v_lshl_or_b32 v35, v0, 16, v7
.LBB294_2215:                           ;   in Loop: Header=BB294_1574 Depth=1
	s_wait_alu 0xfffe
	s_or_b32 exec_lo, exec_lo, s16
.LBB294_2216:                           ;   in Loop: Header=BB294_1574 Depth=1
	s_wait_alu 0xfffe
	s_or_b32 exec_lo, exec_lo, s15
.LBB294_2217:                           ;   in Loop: Header=BB294_1574 Depth=1
	s_wait_alu 0xfffe
	s_or_b32 exec_lo, exec_lo, s14
	v_lshrrev_b32_e32 v0, 16, v11
	s_mov_b32 s14, exec_lo
	s_delay_alu instid0(VALU_DEP_1) | instskip(NEXT) | instid1(VALU_DEP_1)
	v_and_b32_e32 v36, 0xff, v0
	v_cmpx_ne_u16_e32 0, v36
	s_cbranch_execz .LBB294_2225
; %bb.2218:                             ;   in Loop: Header=BB294_1574 Depth=1
	v_mov_b32_e32 v23, 0x8000
	s_mov_b32 s15, exec_lo
	v_cmpx_ne_u16_e32 0x80, v36
	s_cbranch_execz .LBB294_2224
; %bb.2219:                             ;   in Loop: Header=BB294_1574 Depth=1
	v_bfe_u32 v37, v11, 16, 7
	v_mov_b32_e32 v23, 0x7c01
	s_mov_b32 s16, exec_lo
	s_delay_alu instid0(VALU_DEP_2)
	v_cmpx_ne_u32_e32 0x7f, v37
	s_cbranch_execz .LBB294_2223
; %bb.2220:                             ;   in Loop: Header=BB294_1574 Depth=1
	v_and_b32_e32 v23, 7, v0
	v_lshrrev_b32_e32 v36, 3, v37
	s_mov_b32 s17, exec_lo
	v_cmpx_gt_u32_e32 8, v37
; %bb.2221:                             ;   in Loop: Header=BB294_1574 Depth=1
	s_delay_alu instid0(VALU_DEP_3) | instskip(NEXT) | instid1(VALU_DEP_1)
	v_clz_i32_u32_e32 v7, v23
	v_min_u32_e32 v7, 32, v7
	s_delay_alu instid0(VALU_DEP_1) | instskip(SKIP_1) | instid1(VALU_DEP_2)
	v_subrev_nc_u32_e32 v23, 28, v7
	v_sub_nc_u32_e32 v36, 29, v7
	v_lshlrev_b64_e32 v[37:38], v23, v[0:1]
	s_delay_alu instid0(VALU_DEP_1)
	v_and_b32_e32 v23, 7, v37
; %bb.2222:                             ;   in Loop: Header=BB294_1574 Depth=1
	s_wait_alu 0xfffe
	s_or_b32 exec_lo, exec_lo, s17
	v_lshlrev_b32_e32 v0, 8, v0
	v_lshl_add_u32 v7, v36, 10, 0x2000
	v_lshlrev_b32_e32 v23, 7, v23
	s_delay_alu instid0(VALU_DEP_3) | instskip(NEXT) | instid1(VALU_DEP_3)
	v_and_b32_e32 v0, 0x8000, v0
	v_and_b32_e32 v7, 0xfc00, v7
	s_delay_alu instid0(VALU_DEP_1)
	v_or3_b32 v23, v0, v7, v23
.LBB294_2223:                           ;   in Loop: Header=BB294_1574 Depth=1
	s_wait_alu 0xfffe
	s_or_b32 exec_lo, exec_lo, s16
.LBB294_2224:                           ;   in Loop: Header=BB294_1574 Depth=1
	s_wait_alu 0xfffe
	s_or_b32 exec_lo, exec_lo, s15
.LBB294_2225:                           ;   in Loop: Header=BB294_1574 Depth=1
	s_wait_alu 0xfffe
	s_or_b32 exec_lo, exec_lo, s14
	v_cmp_lt_u64_e64 s0, s[8:9], v[10:11]
	v_mov_b32_e32 v10, 0
	s_and_saveexec_b32 s14, s0
	s_cbranch_execz .LBB294_2233
; %bb.2226:                             ;   in Loop: Header=BB294_1574 Depth=1
	v_lshrrev_b32_e32 v0, 24, v11
	v_bfrev_b32_e32 v10, 1
	s_mov_b32 s15, exec_lo
	s_delay_alu instid0(VALU_DEP_2)
	v_cmpx_ne_u32_e32 0x80, v0
	s_cbranch_execz .LBB294_2232
; %bb.2227:                             ;   in Loop: Header=BB294_1574 Depth=1
	v_and_b32_e32 v36, 0x7f, v0
	v_mov_b32_e32 v10, 0x7c010000
	s_mov_b32 s16, exec_lo
	s_delay_alu instid0(VALU_DEP_2)
	v_cmpx_ne_u32_e32 0x7f, v36
	s_cbranch_execz .LBB294_2231
; %bb.2228:                             ;   in Loop: Header=BB294_1574 Depth=1
	v_and_b32_e32 v10, 7, v0
	v_lshrrev_b32_e32 v11, 3, v36
	s_mov_b32 s17, exec_lo
	v_cmpx_gt_u32_e32 8, v36
; %bb.2229:                             ;   in Loop: Header=BB294_1574 Depth=1
	s_delay_alu instid0(VALU_DEP_3) | instskip(NEXT) | instid1(VALU_DEP_1)
	v_clz_i32_u32_e32 v7, v10
	v_min_u32_e32 v7, 32, v7
	s_delay_alu instid0(VALU_DEP_1) | instskip(NEXT) | instid1(VALU_DEP_1)
	v_subrev_nc_u32_e32 v10, 28, v7
	v_lshlrev_b64_e32 v[10:11], v10, v[0:1]
	v_sub_nc_u32_e32 v11, 29, v7
	s_delay_alu instid0(VALU_DEP_2)
	v_and_b32_e32 v10, 7, v10
; %bb.2230:                             ;   in Loop: Header=BB294_1574 Depth=1
	s_wait_alu 0xfffe
	s_or_b32 exec_lo, exec_lo, s17
	v_lshlrev_b32_e32 v0, 8, v0
	v_lshl_add_u32 v7, v11, 10, 0x2000
	s_delay_alu instid0(VALU_DEP_1) | instskip(SKIP_1) | instid1(VALU_DEP_1)
	v_and_or_b32 v0, 0x8000, v0, v7
	v_lshlrev_b32_e32 v7, 23, v10
	v_lshl_or_b32 v10, v0, 16, v7
.LBB294_2231:                           ;   in Loop: Header=BB294_1574 Depth=1
	s_wait_alu 0xfffe
	s_or_b32 exec_lo, exec_lo, s16
.LBB294_2232:                           ;   in Loop: Header=BB294_1574 Depth=1
	s_wait_alu 0xfffe
	s_or_b32 exec_lo, exec_lo, s15
.LBB294_2233:                           ;   in Loop: Header=BB294_1574 Depth=1
	s_wait_alu 0xfffe
	s_or_b32 exec_lo, exec_lo, s14
	v_or_b32_e32 v0, v12, v22
	s_wait_loadcnt_dscnt 0x0
	v_fma_mixlo_f16 v7, v4, v12, 0 op_sel:[0,1,0] op_sel_hi:[0,1,0]
	v_or_b32_e32 v6, v5, v6
	v_or_b32_e32 v12, v35, v33
	;; [unrolled: 1-line block ×3, first 2 shown]
	v_fma_mixlo_f16 v5, v4, v5, 0 op_sel:[0,1,0] op_sel_hi:[0,1,0]
	v_fma_mixlo_f16 v22, v4, v0, 0 op_sel_hi:[0,1,0]
	v_lshlrev_b32_e32 v0, 16, v7
	v_fma_mixlo_f16 v6, v4, v6, 0 op_sel_hi:[0,1,0]
	v_fma_mixlo_f16 v7, v4, v35, 0 op_sel:[0,1,0] op_sel_hi:[0,1,0]
	v_fma_mixlo_f16 v12, v4, v12, 0 op_sel_hi:[0,1,0]
	v_fma_mixlo_f16 v10, v4, v10, 0 op_sel:[0,1,0] op_sel_hi:[0,1,0]
	v_fma_mixlo_f16 v23, v4, v23, 0 op_sel_hi:[0,1,0]
	v_lshlrev_b32_e32 v11, 16, v5
	v_and_b32_e32 v5, 0xffff, v22
	v_and_b32_e32 v36, 0xffff, v6
	v_lshlrev_b32_e32 v6, 16, v7
	v_and_b32_e32 v22, 0xffff, v12
	v_lshlrev_b32_e32 v4, 16, v10
	v_and_b32_e32 v10, 0xffff, v23
	v_or_b32_e32 v12, v0, v5
	v_or_b32_e32 v35, v11, v36
	;; [unrolled: 1-line block ×3, first 2 shown]
	s_delay_alu instid0(VALU_DEP_4)
	v_or_b32_e32 v23, v4, v10
	s_and_saveexec_b32 s14, vcc_lo
	s_cbranch_execz .LBB294_2235
; %bb.2234:                             ;   in Loop: Header=BB294_1574 Depth=1
	v_cmp_lt_i32_e64 s0, v49, v34
	s_wait_alu 0xf1ff
	s_delay_alu instid0(VALU_DEP_1) | instskip(SKIP_2) | instid1(VALU_DEP_1)
	v_cndmask_b32_e64 v7, 0, v36, s0
	v_cmp_lt_i32_e64 s0, v101, v34
	s_wait_alu 0xf1ff
	v_cndmask_b32_e64 v11, 0, v11, s0
	v_cmp_lt_i32_e64 s0, v100, v34
	s_delay_alu instid0(VALU_DEP_2) | instskip(SKIP_1) | instid1(VALU_DEP_2)
	v_or_b32_e32 v35, v7, v11
	s_wait_alu 0xf1ff
	v_cndmask_b32_e64 v5, 0, v5, s0
	v_cmp_lt_i32_e64 s0, v99, v34
	s_wait_alu 0xf1ff
	s_delay_alu instid0(VALU_DEP_1) | instskip(SKIP_1) | instid1(VALU_DEP_2)
	v_cndmask_b32_e64 v0, 0, v0, s0
	v_cmp_lt_i32_e64 s0, v98, v34
	v_or_b32_e32 v12, v5, v0
	s_wait_alu 0xf1ff
	s_delay_alu instid0(VALU_DEP_2) | instskip(SKIP_2) | instid1(VALU_DEP_1)
	v_cndmask_b32_e64 v22, 0, v22, s0
	v_cmp_lt_i32_e64 s0, v97, v34
	s_wait_alu 0xf1ff
	v_cndmask_b32_e64 v6, 0, v6, s0
	v_cmp_lt_i32_e64 s0, v96, v34
	s_delay_alu instid0(VALU_DEP_2) | instskip(SKIP_1) | instid1(VALU_DEP_2)
	v_or_b32_e32 v33, v22, v6
	s_wait_alu 0xf1ff
	v_cndmask_b32_e64 v10, 0, v10, s0
	v_cmp_lt_i32_e64 s0, v87, v34
	s_wait_alu 0xf1ff
	s_delay_alu instid0(VALU_DEP_1) | instskip(NEXT) | instid1(VALU_DEP_1)
	v_cndmask_b32_e64 v4, 0, v4, s0
	v_or_b32_e32 v23, v10, v4
.LBB294_2235:                           ;   in Loop: Header=BB294_1574 Depth=1
	s_wait_alu 0xfffe
	s_or_b32 exec_lo, exec_lo, s14
	;;#ASMSTART
	v_pk_mul_f16 v0, v86, v35;

	;;#ASMEND
	;;#ASMSTART
	v_pk_mul_f16 v4, v85, v12;

	;;#ASMEND
	;; [unrolled: 4-line block ×4, first 2 shown]
	;;#ASMSTART
	v_pk_add_f16 v0, v0, v4;

	;;#ASMEND
	;;#ASMSTART
	v_pk_add_f16 v0, v0, v5;

	;;#ASMEND
	;; [unrolled: 4-line block ×3, first 2 shown]
	v_dual_mov_b32 v5, 0 :: v_dual_and_b32 v4, 0xffff, v0
	v_lshrrev_b32_e32 v0, 16, v0
	;;#ASMSTART
	v_cvt_f32_f16 v134, v4;
	;;#ASMEND
	;;#ASMSTART
	v_cvt_f32_f16 v135, v0;
	;;#ASMEND
	flat_load_b64 v[10:11], v[8:9] offset:2560
	flat_load_b32 v4, v[26:27]
	v_mov_b32_e32 v6, 0
	s_mov_b32 s14, exec_lo
	s_wait_loadcnt_dscnt 0x101
	v_and_b32_e32 v0, 0xff, v10
	s_delay_alu instid0(VALU_DEP_1)
	v_cmpx_ne_u16_e32 0, v0
	s_cbranch_execz .LBB294_2243
; %bb.2236:                             ;   in Loop: Header=BB294_1574 Depth=1
	v_mov_b32_e32 v6, 0x8000
	s_mov_b32 s15, exec_lo
	v_cmpx_ne_u16_e32 0x80, v0
	s_cbranch_execz .LBB294_2242
; %bb.2237:                             ;   in Loop: Header=BB294_1574 Depth=1
	v_and_b32_e32 v12, 0x7f, v10
	v_mov_b32_e32 v6, 0x7c01
	s_mov_b32 s16, exec_lo
	s_delay_alu instid0(VALU_DEP_2)
	v_cmpx_ne_u32_e32 0x7f, v12
	s_cbranch_execz .LBB294_2241
; %bb.2238:                             ;   in Loop: Header=BB294_1574 Depth=1
	v_and_b32_e32 v0, 7, v10
	v_lshrrev_b32_e32 v6, 3, v12
	s_mov_b32 s17, exec_lo
	v_cmpx_gt_u32_e32 8, v12
; %bb.2239:                             ;   in Loop: Header=BB294_1574 Depth=1
	s_delay_alu instid0(VALU_DEP_3) | instskip(NEXT) | instid1(VALU_DEP_1)
	v_clz_i32_u32_e32 v0, v0
	v_min_u32_e32 v0, 32, v0
	s_delay_alu instid0(VALU_DEP_1) | instskip(NEXT) | instid1(VALU_DEP_1)
	v_subrev_nc_u32_e32 v6, 28, v0
	v_lshlrev_b64_e32 v[22:23], v6, v[10:11]
	v_sub_nc_u32_e32 v6, 29, v0
	s_delay_alu instid0(VALU_DEP_2)
	v_and_b32_e32 v0, 7, v22
; %bb.2240:                             ;   in Loop: Header=BB294_1574 Depth=1
	s_wait_alu 0xfffe
	s_or_b32 exec_lo, exec_lo, s17
	v_lshlrev_b32_e32 v7, 8, v10
	v_lshl_add_u32 v6, v6, 10, 0x2000
	v_lshlrev_b32_e32 v0, 7, v0
	s_delay_alu instid0(VALU_DEP_3) | instskip(NEXT) | instid1(VALU_DEP_3)
	v_and_b32_e32 v7, 0x8000, v7
	v_and_b32_e32 v6, 0xfc00, v6
	s_delay_alu instid0(VALU_DEP_1)
	v_or3_b32 v6, v7, v6, v0
.LBB294_2241:                           ;   in Loop: Header=BB294_1574 Depth=1
	s_wait_alu 0xfffe
	s_or_b32 exec_lo, exec_lo, s16
.LBB294_2242:                           ;   in Loop: Header=BB294_1574 Depth=1
	s_wait_alu 0xfffe
	s_or_b32 exec_lo, exec_lo, s15
.LBB294_2243:                           ;   in Loop: Header=BB294_1574 Depth=1
	s_wait_alu 0xfffe
	s_or_b32 exec_lo, exec_lo, s14
	v_lshrrev_b16 v0, 8, v10
	s_mov_b32 s14, exec_lo
	s_delay_alu instid0(VALU_DEP_1)
	v_cmpx_ne_u16_e32 0, v0
	s_cbranch_execz .LBB294_2251
; %bb.2244:                             ;   in Loop: Header=BB294_1574 Depth=1
	v_bfrev_b32_e32 v5, 1
	s_mov_b32 s15, exec_lo
	v_cmpx_ne_u16_e32 0x80, v0
	s_cbranch_execz .LBB294_2250
; %bb.2245:                             ;   in Loop: Header=BB294_1574 Depth=1
	v_and_b32_e32 v12, 0xffff, v0
	v_mov_b32_e32 v5, 0x7c010000
	s_mov_b32 s16, exec_lo
	s_delay_alu instid0(VALU_DEP_2) | instskip(NEXT) | instid1(VALU_DEP_1)
	v_and_b32_e32 v23, 0x7f, v12
	v_cmpx_ne_u32_e32 0x7f, v23
	s_cbranch_execz .LBB294_2249
; %bb.2246:                             ;   in Loop: Header=BB294_1574 Depth=1
	v_and_b32_e32 v5, 7, v12
	v_lshrrev_b32_e32 v22, 3, v23
	s_mov_b32 s17, exec_lo
	v_cmpx_gt_u32_e32 8, v23
; %bb.2247:                             ;   in Loop: Header=BB294_1574 Depth=1
	s_delay_alu instid0(VALU_DEP_3) | instskip(NEXT) | instid1(VALU_DEP_1)
	v_clz_i32_u32_e32 v5, v5
	v_min_u32_e32 v5, 32, v5
	s_delay_alu instid0(VALU_DEP_1) | instskip(SKIP_1) | instid1(VALU_DEP_2)
	v_subrev_nc_u32_e32 v7, 28, v5
	v_sub_nc_u32_e32 v22, 29, v5
	v_lshlrev_b64_e32 v[35:36], v7, v[0:1]
	s_delay_alu instid0(VALU_DEP_1)
	v_and_b32_e32 v5, 7, v35
; %bb.2248:                             ;   in Loop: Header=BB294_1574 Depth=1
	s_wait_alu 0xfffe
	s_or_b32 exec_lo, exec_lo, s17
	v_lshlrev_b32_e32 v0, 8, v12
	v_lshl_add_u32 v7, v22, 10, 0x2000
	v_lshlrev_b32_e32 v5, 23, v5
	s_delay_alu instid0(VALU_DEP_2) | instskip(NEXT) | instid1(VALU_DEP_1)
	v_and_or_b32 v0, 0x8000, v0, v7
	v_lshl_or_b32 v5, v0, 16, v5
.LBB294_2249:                           ;   in Loop: Header=BB294_1574 Depth=1
	s_wait_alu 0xfffe
	s_or_b32 exec_lo, exec_lo, s16
.LBB294_2250:                           ;   in Loop: Header=BB294_1574 Depth=1
	s_wait_alu 0xfffe
	s_or_b32 exec_lo, exec_lo, s15
.LBB294_2251:                           ;   in Loop: Header=BB294_1574 Depth=1
	s_wait_alu 0xfffe
	s_or_b32 exec_lo, exec_lo, s14
	v_lshrrev_b32_e32 v0, 16, v10
	v_mov_b32_e32 v22, 0
	s_mov_b32 s14, exec_lo
	s_delay_alu instid0(VALU_DEP_2) | instskip(NEXT) | instid1(VALU_DEP_1)
	v_dual_mov_b32 v12, 0 :: v_dual_and_b32 v23, 0xff, v0
	v_cmpx_ne_u16_e32 0, v23
	s_cbranch_execz .LBB294_2259
; %bb.2252:                             ;   in Loop: Header=BB294_1574 Depth=1
	v_mov_b32_e32 v22, 0x8000
	s_mov_b32 s15, exec_lo
	v_cmpx_ne_u16_e32 0x80, v23
	s_cbranch_execz .LBB294_2258
; %bb.2253:                             ;   in Loop: Header=BB294_1574 Depth=1
	v_bfe_u32 v33, v10, 16, 7
	v_mov_b32_e32 v22, 0x7c01
	s_mov_b32 s16, exec_lo
	s_delay_alu instid0(VALU_DEP_2)
	v_cmpx_ne_u32_e32 0x7f, v33
	s_cbranch_execz .LBB294_2257
; %bb.2254:                             ;   in Loop: Header=BB294_1574 Depth=1
	v_and_b32_e32 v22, 7, v0
	v_lshrrev_b32_e32 v23, 3, v33
	s_mov_b32 s17, exec_lo
	v_cmpx_gt_u32_e32 8, v33
; %bb.2255:                             ;   in Loop: Header=BB294_1574 Depth=1
	s_delay_alu instid0(VALU_DEP_3) | instskip(NEXT) | instid1(VALU_DEP_1)
	v_clz_i32_u32_e32 v7, v22
	v_min_u32_e32 v7, 32, v7
	s_delay_alu instid0(VALU_DEP_1) | instskip(NEXT) | instid1(VALU_DEP_1)
	v_subrev_nc_u32_e32 v22, 28, v7
	v_lshlrev_b64_e32 v[22:23], v22, v[0:1]
	v_sub_nc_u32_e32 v23, 29, v7
	s_delay_alu instid0(VALU_DEP_2)
	v_and_b32_e32 v22, 7, v22
; %bb.2256:                             ;   in Loop: Header=BB294_1574 Depth=1
	s_wait_alu 0xfffe
	s_or_b32 exec_lo, exec_lo, s17
	v_lshlrev_b32_e32 v0, 8, v0
	v_lshl_add_u32 v7, v23, 10, 0x2000
	v_lshlrev_b32_e32 v22, 7, v22
	s_delay_alu instid0(VALU_DEP_3) | instskip(NEXT) | instid1(VALU_DEP_3)
	v_and_b32_e32 v0, 0x8000, v0
	v_and_b32_e32 v7, 0xfc00, v7
	s_delay_alu instid0(VALU_DEP_1)
	v_or3_b32 v22, v0, v7, v22
.LBB294_2257:                           ;   in Loop: Header=BB294_1574 Depth=1
	s_wait_alu 0xfffe
	s_or_b32 exec_lo, exec_lo, s16
.LBB294_2258:                           ;   in Loop: Header=BB294_1574 Depth=1
	s_wait_alu 0xfffe
	s_or_b32 exec_lo, exec_lo, s15
.LBB294_2259:                           ;   in Loop: Header=BB294_1574 Depth=1
	s_wait_alu 0xfffe
	s_or_b32 exec_lo, exec_lo, s14
	s_delay_alu instid0(SALU_CYCLE_1)
	s_mov_b32 s14, exec_lo
	v_cmpx_lt_u32_e32 0xffffff, v10
	s_cbranch_execz .LBB294_2267
; %bb.2260:                             ;   in Loop: Header=BB294_1574 Depth=1
	v_lshrrev_b32_e32 v0, 24, v10
	v_bfrev_b32_e32 v12, 1
	s_mov_b32 s15, exec_lo
	s_delay_alu instid0(VALU_DEP_2)
	v_cmpx_ne_u32_e32 0x80, v0
	s_cbranch_execz .LBB294_2266
; %bb.2261:                             ;   in Loop: Header=BB294_1574 Depth=1
	v_and_b32_e32 v33, 0x7f, v0
	v_mov_b32_e32 v12, 0x7c010000
	s_mov_b32 s16, exec_lo
	s_delay_alu instid0(VALU_DEP_2)
	v_cmpx_ne_u32_e32 0x7f, v33
	s_cbranch_execz .LBB294_2265
; %bb.2262:                             ;   in Loop: Header=BB294_1574 Depth=1
	v_and_b32_e32 v12, 7, v0
	v_lshrrev_b32_e32 v23, 3, v33
	s_mov_b32 s17, exec_lo
	v_cmpx_gt_u32_e32 8, v33
; %bb.2263:                             ;   in Loop: Header=BB294_1574 Depth=1
	s_delay_alu instid0(VALU_DEP_3) | instskip(NEXT) | instid1(VALU_DEP_1)
	v_clz_i32_u32_e32 v7, v12
	v_min_u32_e32 v7, 32, v7
	s_delay_alu instid0(VALU_DEP_1) | instskip(SKIP_1) | instid1(VALU_DEP_2)
	v_subrev_nc_u32_e32 v12, 28, v7
	v_sub_nc_u32_e32 v23, 29, v7
	v_lshlrev_b64_e32 v[35:36], v12, v[0:1]
	s_delay_alu instid0(VALU_DEP_1)
	v_and_b32_e32 v12, 7, v35
; %bb.2264:                             ;   in Loop: Header=BB294_1574 Depth=1
	s_wait_alu 0xfffe
	s_or_b32 exec_lo, exec_lo, s17
	v_lshlrev_b32_e32 v0, 8, v0
	v_lshl_add_u32 v7, v23, 10, 0x2000
	s_delay_alu instid0(VALU_DEP_1) | instskip(SKIP_1) | instid1(VALU_DEP_1)
	v_and_or_b32 v0, 0x8000, v0, v7
	v_lshlrev_b32_e32 v7, 23, v12
	v_lshl_or_b32 v12, v0, 16, v7
.LBB294_2265:                           ;   in Loop: Header=BB294_1574 Depth=1
	s_wait_alu 0xfffe
	s_or_b32 exec_lo, exec_lo, s16
.LBB294_2266:                           ;   in Loop: Header=BB294_1574 Depth=1
	s_wait_alu 0xfffe
	s_or_b32 exec_lo, exec_lo, s15
.LBB294_2267:                           ;   in Loop: Header=BB294_1574 Depth=1
	s_wait_alu 0xfffe
	s_or_b32 exec_lo, exec_lo, s14
	v_dual_mov_b32 v0, v11 :: v_dual_and_b32 v35, 0xff, v11
	v_mov_b32_e32 v23, 0
	v_mov_b32_e32 v33, 0
	s_mov_b32 s14, exec_lo
	s_delay_alu instid0(VALU_DEP_3)
	v_cmpx_ne_u16_e32 0, v35
	s_cbranch_execz .LBB294_2275
; %bb.2268:                             ;   in Loop: Header=BB294_1574 Depth=1
	v_mov_b32_e32 v33, 0x8000
	s_mov_b32 s15, exec_lo
	v_cmpx_ne_u16_e32 0x80, v35
	s_cbranch_execz .LBB294_2274
; %bb.2269:                             ;   in Loop: Header=BB294_1574 Depth=1
	v_and_b32_e32 v36, 0x7f, v11
	v_mov_b32_e32 v33, 0x7c01
	s_mov_b32 s16, exec_lo
	s_delay_alu instid0(VALU_DEP_2)
	v_cmpx_ne_u32_e32 0x7f, v36
	s_cbranch_execz .LBB294_2273
; %bb.2270:                             ;   in Loop: Header=BB294_1574 Depth=1
	v_and_b32_e32 v33, 7, v11
	v_lshrrev_b32_e32 v35, 3, v36
	s_mov_b32 s17, exec_lo
	v_cmpx_gt_u32_e32 8, v36
; %bb.2271:                             ;   in Loop: Header=BB294_1574 Depth=1
	s_delay_alu instid0(VALU_DEP_3) | instskip(NEXT) | instid1(VALU_DEP_1)
	v_clz_i32_u32_e32 v7, v33
	v_min_u32_e32 v7, 32, v7
	s_delay_alu instid0(VALU_DEP_1) | instskip(SKIP_1) | instid1(VALU_DEP_2)
	v_subrev_nc_u32_e32 v33, 28, v7
	v_sub_nc_u32_e32 v35, 29, v7
	v_lshlrev_b64_e32 v[36:37], v33, v[0:1]
	s_delay_alu instid0(VALU_DEP_1)
	v_and_b32_e32 v33, 7, v36
; %bb.2272:                             ;   in Loop: Header=BB294_1574 Depth=1
	s_wait_alu 0xfffe
	s_or_b32 exec_lo, exec_lo, s17
	v_lshlrev_b32_e32 v7, 8, v11
	v_lshl_add_u32 v35, v35, 10, 0x2000
	v_lshlrev_b32_e32 v33, 7, v33
	s_delay_alu instid0(VALU_DEP_3) | instskip(NEXT) | instid1(VALU_DEP_3)
	v_and_b32_e32 v7, 0x8000, v7
	v_and_b32_e32 v35, 0xfc00, v35
	s_delay_alu instid0(VALU_DEP_1)
	v_or3_b32 v33, v7, v35, v33
.LBB294_2273:                           ;   in Loop: Header=BB294_1574 Depth=1
	s_wait_alu 0xfffe
	s_or_b32 exec_lo, exec_lo, s16
.LBB294_2274:                           ;   in Loop: Header=BB294_1574 Depth=1
	s_wait_alu 0xfffe
	s_or_b32 exec_lo, exec_lo, s15
.LBB294_2275:                           ;   in Loop: Header=BB294_1574 Depth=1
	s_wait_alu 0xfffe
	s_or_b32 exec_lo, exec_lo, s14
	v_lshrrev_b16 v0, 8, v0
	v_mov_b32_e32 v35, 0
	s_mov_b32 s14, exec_lo
	s_delay_alu instid0(VALU_DEP_2)
	v_cmpx_ne_u16_e32 0, v0
	s_cbranch_execz .LBB294_2283
; %bb.2276:                             ;   in Loop: Header=BB294_1574 Depth=1
	v_bfrev_b32_e32 v35, 1
	s_mov_b32 s15, exec_lo
	v_cmpx_ne_u16_e32 0x80, v0
	s_cbranch_execz .LBB294_2282
; %bb.2277:                             ;   in Loop: Header=BB294_1574 Depth=1
	v_and_b32_e32 v36, 0xffff, v0
	v_mov_b32_e32 v35, 0x7c010000
	s_mov_b32 s16, exec_lo
	s_delay_alu instid0(VALU_DEP_2) | instskip(NEXT) | instid1(VALU_DEP_1)
	v_and_b32_e32 v38, 0x7f, v36
	v_cmpx_ne_u32_e32 0x7f, v38
	s_cbranch_execz .LBB294_2281
; %bb.2278:                             ;   in Loop: Header=BB294_1574 Depth=1
	v_and_b32_e32 v35, 7, v36
	v_lshrrev_b32_e32 v37, 3, v38
	s_mov_b32 s17, exec_lo
	v_cmpx_gt_u32_e32 8, v38
; %bb.2279:                             ;   in Loop: Header=BB294_1574 Depth=1
	s_delay_alu instid0(VALU_DEP_3) | instskip(NEXT) | instid1(VALU_DEP_1)
	v_clz_i32_u32_e32 v7, v35
	v_min_u32_e32 v7, 32, v7
	s_delay_alu instid0(VALU_DEP_1) | instskip(SKIP_1) | instid1(VALU_DEP_2)
	v_subrev_nc_u32_e32 v35, 28, v7
	v_sub_nc_u32_e32 v37, 29, v7
	v_lshlrev_b64_e32 v[38:39], v35, v[0:1]
	s_delay_alu instid0(VALU_DEP_1)
	v_and_b32_e32 v35, 7, v38
; %bb.2280:                             ;   in Loop: Header=BB294_1574 Depth=1
	s_wait_alu 0xfffe
	s_or_b32 exec_lo, exec_lo, s17
	v_lshlrev_b32_e32 v0, 8, v36
	v_lshl_add_u32 v7, v37, 10, 0x2000
	s_delay_alu instid0(VALU_DEP_1) | instskip(SKIP_1) | instid1(VALU_DEP_1)
	v_and_or_b32 v0, 0x8000, v0, v7
	v_lshlrev_b32_e32 v7, 23, v35
	v_lshl_or_b32 v35, v0, 16, v7
.LBB294_2281:                           ;   in Loop: Header=BB294_1574 Depth=1
	s_wait_alu 0xfffe
	s_or_b32 exec_lo, exec_lo, s16
.LBB294_2282:                           ;   in Loop: Header=BB294_1574 Depth=1
	s_wait_alu 0xfffe
	s_or_b32 exec_lo, exec_lo, s15
.LBB294_2283:                           ;   in Loop: Header=BB294_1574 Depth=1
	s_wait_alu 0xfffe
	s_or_b32 exec_lo, exec_lo, s14
	v_lshrrev_b32_e32 v0, 16, v11
	s_mov_b32 s14, exec_lo
	s_delay_alu instid0(VALU_DEP_1) | instskip(NEXT) | instid1(VALU_DEP_1)
	v_and_b32_e32 v36, 0xff, v0
	v_cmpx_ne_u16_e32 0, v36
	s_cbranch_execz .LBB294_2291
; %bb.2284:                             ;   in Loop: Header=BB294_1574 Depth=1
	v_mov_b32_e32 v23, 0x8000
	s_mov_b32 s15, exec_lo
	v_cmpx_ne_u16_e32 0x80, v36
	s_cbranch_execz .LBB294_2290
; %bb.2285:                             ;   in Loop: Header=BB294_1574 Depth=1
	v_bfe_u32 v37, v11, 16, 7
	v_mov_b32_e32 v23, 0x7c01
	s_mov_b32 s16, exec_lo
	s_delay_alu instid0(VALU_DEP_2)
	v_cmpx_ne_u32_e32 0x7f, v37
	s_cbranch_execz .LBB294_2289
; %bb.2286:                             ;   in Loop: Header=BB294_1574 Depth=1
	v_and_b32_e32 v23, 7, v0
	v_lshrrev_b32_e32 v36, 3, v37
	s_mov_b32 s17, exec_lo
	v_cmpx_gt_u32_e32 8, v37
; %bb.2287:                             ;   in Loop: Header=BB294_1574 Depth=1
	s_delay_alu instid0(VALU_DEP_3) | instskip(NEXT) | instid1(VALU_DEP_1)
	v_clz_i32_u32_e32 v7, v23
	v_min_u32_e32 v7, 32, v7
	s_delay_alu instid0(VALU_DEP_1) | instskip(SKIP_1) | instid1(VALU_DEP_2)
	v_subrev_nc_u32_e32 v23, 28, v7
	v_sub_nc_u32_e32 v36, 29, v7
	v_lshlrev_b64_e32 v[37:38], v23, v[0:1]
	s_delay_alu instid0(VALU_DEP_1)
	v_and_b32_e32 v23, 7, v37
; %bb.2288:                             ;   in Loop: Header=BB294_1574 Depth=1
	s_wait_alu 0xfffe
	s_or_b32 exec_lo, exec_lo, s17
	v_lshlrev_b32_e32 v0, 8, v0
	v_lshl_add_u32 v7, v36, 10, 0x2000
	v_lshlrev_b32_e32 v23, 7, v23
	s_delay_alu instid0(VALU_DEP_3) | instskip(NEXT) | instid1(VALU_DEP_3)
	v_and_b32_e32 v0, 0x8000, v0
	v_and_b32_e32 v7, 0xfc00, v7
	s_delay_alu instid0(VALU_DEP_1)
	v_or3_b32 v23, v0, v7, v23
.LBB294_2289:                           ;   in Loop: Header=BB294_1574 Depth=1
	s_wait_alu 0xfffe
	s_or_b32 exec_lo, exec_lo, s16
.LBB294_2290:                           ;   in Loop: Header=BB294_1574 Depth=1
	s_wait_alu 0xfffe
	s_or_b32 exec_lo, exec_lo, s15
.LBB294_2291:                           ;   in Loop: Header=BB294_1574 Depth=1
	s_wait_alu 0xfffe
	s_or_b32 exec_lo, exec_lo, s14
	v_cmp_lt_u64_e64 s0, s[8:9], v[10:11]
	v_mov_b32_e32 v10, 0
	s_and_saveexec_b32 s14, s0
	s_cbranch_execz .LBB294_2299
; %bb.2292:                             ;   in Loop: Header=BB294_1574 Depth=1
	v_lshrrev_b32_e32 v0, 24, v11
	v_bfrev_b32_e32 v10, 1
	s_mov_b32 s15, exec_lo
	s_delay_alu instid0(VALU_DEP_2)
	v_cmpx_ne_u32_e32 0x80, v0
	s_cbranch_execz .LBB294_2298
; %bb.2293:                             ;   in Loop: Header=BB294_1574 Depth=1
	v_and_b32_e32 v36, 0x7f, v0
	v_mov_b32_e32 v10, 0x7c010000
	s_mov_b32 s16, exec_lo
	s_delay_alu instid0(VALU_DEP_2)
	v_cmpx_ne_u32_e32 0x7f, v36
	s_cbranch_execz .LBB294_2297
; %bb.2294:                             ;   in Loop: Header=BB294_1574 Depth=1
	v_and_b32_e32 v10, 7, v0
	v_lshrrev_b32_e32 v11, 3, v36
	s_mov_b32 s17, exec_lo
	v_cmpx_gt_u32_e32 8, v36
; %bb.2295:                             ;   in Loop: Header=BB294_1574 Depth=1
	s_delay_alu instid0(VALU_DEP_3) | instskip(NEXT) | instid1(VALU_DEP_1)
	v_clz_i32_u32_e32 v7, v10
	v_min_u32_e32 v7, 32, v7
	s_delay_alu instid0(VALU_DEP_1) | instskip(NEXT) | instid1(VALU_DEP_1)
	v_subrev_nc_u32_e32 v10, 28, v7
	v_lshlrev_b64_e32 v[10:11], v10, v[0:1]
	v_sub_nc_u32_e32 v11, 29, v7
	s_delay_alu instid0(VALU_DEP_2)
	v_and_b32_e32 v10, 7, v10
; %bb.2296:                             ;   in Loop: Header=BB294_1574 Depth=1
	s_wait_alu 0xfffe
	s_or_b32 exec_lo, exec_lo, s17
	v_lshlrev_b32_e32 v0, 8, v0
	v_lshl_add_u32 v7, v11, 10, 0x2000
	s_delay_alu instid0(VALU_DEP_1) | instskip(SKIP_1) | instid1(VALU_DEP_1)
	v_and_or_b32 v0, 0x8000, v0, v7
	v_lshlrev_b32_e32 v7, 23, v10
	v_lshl_or_b32 v10, v0, 16, v7
.LBB294_2297:                           ;   in Loop: Header=BB294_1574 Depth=1
	s_wait_alu 0xfffe
	s_or_b32 exec_lo, exec_lo, s16
.LBB294_2298:                           ;   in Loop: Header=BB294_1574 Depth=1
	s_wait_alu 0xfffe
	s_or_b32 exec_lo, exec_lo, s15
.LBB294_2299:                           ;   in Loop: Header=BB294_1574 Depth=1
	s_wait_alu 0xfffe
	s_or_b32 exec_lo, exec_lo, s14
	v_or_b32_e32 v0, v12, v22
	s_wait_loadcnt_dscnt 0x0
	v_fma_mixlo_f16 v7, v4, v12, 0 op_sel:[0,1,0] op_sel_hi:[0,1,0]
	v_or_b32_e32 v6, v5, v6
	v_or_b32_e32 v12, v35, v33
	;; [unrolled: 1-line block ×3, first 2 shown]
	v_fma_mixlo_f16 v5, v4, v5, 0 op_sel:[0,1,0] op_sel_hi:[0,1,0]
	v_fma_mixlo_f16 v22, v4, v0, 0 op_sel_hi:[0,1,0]
	v_lshlrev_b32_e32 v0, 16, v7
	v_fma_mixlo_f16 v6, v4, v6, 0 op_sel_hi:[0,1,0]
	v_fma_mixlo_f16 v7, v4, v35, 0 op_sel:[0,1,0] op_sel_hi:[0,1,0]
	v_fma_mixlo_f16 v12, v4, v12, 0 op_sel_hi:[0,1,0]
	v_fma_mixlo_f16 v10, v4, v10, 0 op_sel:[0,1,0] op_sel_hi:[0,1,0]
	v_fma_mixlo_f16 v23, v4, v23, 0 op_sel_hi:[0,1,0]
	v_lshlrev_b32_e32 v11, 16, v5
	v_and_b32_e32 v5, 0xffff, v22
	v_and_b32_e32 v36, 0xffff, v6
	v_lshlrev_b32_e32 v6, 16, v7
	v_and_b32_e32 v22, 0xffff, v12
	v_lshlrev_b32_e32 v4, 16, v10
	v_and_b32_e32 v10, 0xffff, v23
	v_or_b32_e32 v12, v0, v5
	v_or_b32_e32 v35, v11, v36
	;; [unrolled: 1-line block ×3, first 2 shown]
	s_delay_alu instid0(VALU_DEP_4)
	v_or_b32_e32 v23, v4, v10
	s_and_saveexec_b32 s14, vcc_lo
	s_cbranch_execz .LBB294_2301
; %bb.2300:                             ;   in Loop: Header=BB294_1574 Depth=1
	v_cmp_lt_i32_e64 s0, v49, v34
	s_wait_alu 0xf1ff
	s_delay_alu instid0(VALU_DEP_1) | instskip(SKIP_2) | instid1(VALU_DEP_1)
	v_cndmask_b32_e64 v7, 0, v36, s0
	v_cmp_lt_i32_e64 s0, v101, v34
	s_wait_alu 0xf1ff
	v_cndmask_b32_e64 v11, 0, v11, s0
	v_cmp_lt_i32_e64 s0, v100, v34
	s_delay_alu instid0(VALU_DEP_2) | instskip(SKIP_1) | instid1(VALU_DEP_2)
	v_or_b32_e32 v35, v7, v11
	s_wait_alu 0xf1ff
	v_cndmask_b32_e64 v5, 0, v5, s0
	v_cmp_lt_i32_e64 s0, v99, v34
	s_wait_alu 0xf1ff
	s_delay_alu instid0(VALU_DEP_1) | instskip(SKIP_1) | instid1(VALU_DEP_2)
	v_cndmask_b32_e64 v0, 0, v0, s0
	v_cmp_lt_i32_e64 s0, v98, v34
	v_or_b32_e32 v12, v5, v0
	s_wait_alu 0xf1ff
	s_delay_alu instid0(VALU_DEP_2) | instskip(SKIP_2) | instid1(VALU_DEP_1)
	v_cndmask_b32_e64 v22, 0, v22, s0
	v_cmp_lt_i32_e64 s0, v97, v34
	s_wait_alu 0xf1ff
	v_cndmask_b32_e64 v6, 0, v6, s0
	v_cmp_lt_i32_e64 s0, v96, v34
	s_delay_alu instid0(VALU_DEP_2) | instskip(SKIP_1) | instid1(VALU_DEP_2)
	v_or_b32_e32 v33, v22, v6
	s_wait_alu 0xf1ff
	v_cndmask_b32_e64 v10, 0, v10, s0
	v_cmp_lt_i32_e64 s0, v87, v34
	s_wait_alu 0xf1ff
	s_delay_alu instid0(VALU_DEP_1) | instskip(NEXT) | instid1(VALU_DEP_1)
	v_cndmask_b32_e64 v4, 0, v4, s0
	v_or_b32_e32 v23, v10, v4
.LBB294_2301:                           ;   in Loop: Header=BB294_1574 Depth=1
	s_wait_alu 0xfffe
	s_or_b32 exec_lo, exec_lo, s14
	;;#ASMSTART
	v_pk_mul_f16 v0, v86, v35;

	;;#ASMEND
	;;#ASMSTART
	v_pk_mul_f16 v4, v85, v12;

	;;#ASMEND
	;; [unrolled: 4-line block ×4, first 2 shown]
	;;#ASMSTART
	v_pk_add_f16 v0, v0, v4;

	;;#ASMEND
	;;#ASMSTART
	v_pk_add_f16 v0, v0, v5;

	;;#ASMEND
	;; [unrolled: 4-line block ×3, first 2 shown]
	v_dual_mov_b32 v5, 0 :: v_dual_and_b32 v4, 0xffff, v0
	v_lshrrev_b32_e32 v0, 16, v0
	;;#ASMSTART
	v_cvt_f32_f16 v144, v4;
	;;#ASMEND
	;;#ASMSTART
	v_cvt_f32_f16 v145, v0;
	;;#ASMEND
	flat_load_b64 v[10:11], v[8:9] offset:2816
	flat_load_b32 v4, v[26:27]
	v_mov_b32_e32 v6, 0
	s_mov_b32 s14, exec_lo
	s_wait_loadcnt_dscnt 0x101
	v_and_b32_e32 v0, 0xff, v10
	s_delay_alu instid0(VALU_DEP_1)
	v_cmpx_ne_u16_e32 0, v0
	s_cbranch_execz .LBB294_2309
; %bb.2302:                             ;   in Loop: Header=BB294_1574 Depth=1
	v_mov_b32_e32 v6, 0x8000
	s_mov_b32 s15, exec_lo
	v_cmpx_ne_u16_e32 0x80, v0
	s_cbranch_execz .LBB294_2308
; %bb.2303:                             ;   in Loop: Header=BB294_1574 Depth=1
	v_and_b32_e32 v12, 0x7f, v10
	v_mov_b32_e32 v6, 0x7c01
	s_mov_b32 s16, exec_lo
	s_delay_alu instid0(VALU_DEP_2)
	v_cmpx_ne_u32_e32 0x7f, v12
	s_cbranch_execz .LBB294_2307
; %bb.2304:                             ;   in Loop: Header=BB294_1574 Depth=1
	v_and_b32_e32 v0, 7, v10
	v_lshrrev_b32_e32 v6, 3, v12
	s_mov_b32 s17, exec_lo
	v_cmpx_gt_u32_e32 8, v12
; %bb.2305:                             ;   in Loop: Header=BB294_1574 Depth=1
	s_delay_alu instid0(VALU_DEP_3) | instskip(NEXT) | instid1(VALU_DEP_1)
	v_clz_i32_u32_e32 v0, v0
	v_min_u32_e32 v0, 32, v0
	s_delay_alu instid0(VALU_DEP_1) | instskip(NEXT) | instid1(VALU_DEP_1)
	v_subrev_nc_u32_e32 v6, 28, v0
	v_lshlrev_b64_e32 v[22:23], v6, v[10:11]
	v_sub_nc_u32_e32 v6, 29, v0
	s_delay_alu instid0(VALU_DEP_2)
	v_and_b32_e32 v0, 7, v22
; %bb.2306:                             ;   in Loop: Header=BB294_1574 Depth=1
	s_wait_alu 0xfffe
	s_or_b32 exec_lo, exec_lo, s17
	v_lshlrev_b32_e32 v7, 8, v10
	v_lshl_add_u32 v6, v6, 10, 0x2000
	v_lshlrev_b32_e32 v0, 7, v0
	s_delay_alu instid0(VALU_DEP_3) | instskip(NEXT) | instid1(VALU_DEP_3)
	v_and_b32_e32 v7, 0x8000, v7
	v_and_b32_e32 v6, 0xfc00, v6
	s_delay_alu instid0(VALU_DEP_1)
	v_or3_b32 v6, v7, v6, v0
.LBB294_2307:                           ;   in Loop: Header=BB294_1574 Depth=1
	s_wait_alu 0xfffe
	s_or_b32 exec_lo, exec_lo, s16
.LBB294_2308:                           ;   in Loop: Header=BB294_1574 Depth=1
	s_wait_alu 0xfffe
	s_or_b32 exec_lo, exec_lo, s15
.LBB294_2309:                           ;   in Loop: Header=BB294_1574 Depth=1
	s_wait_alu 0xfffe
	s_or_b32 exec_lo, exec_lo, s14
	v_lshrrev_b16 v0, 8, v10
	s_mov_b32 s14, exec_lo
	s_delay_alu instid0(VALU_DEP_1)
	v_cmpx_ne_u16_e32 0, v0
	s_cbranch_execz .LBB294_2317
; %bb.2310:                             ;   in Loop: Header=BB294_1574 Depth=1
	v_bfrev_b32_e32 v5, 1
	s_mov_b32 s15, exec_lo
	v_cmpx_ne_u16_e32 0x80, v0
	s_cbranch_execz .LBB294_2316
; %bb.2311:                             ;   in Loop: Header=BB294_1574 Depth=1
	v_and_b32_e32 v12, 0xffff, v0
	v_mov_b32_e32 v5, 0x7c010000
	s_mov_b32 s16, exec_lo
	s_delay_alu instid0(VALU_DEP_2) | instskip(NEXT) | instid1(VALU_DEP_1)
	v_and_b32_e32 v23, 0x7f, v12
	v_cmpx_ne_u32_e32 0x7f, v23
	s_cbranch_execz .LBB294_2315
; %bb.2312:                             ;   in Loop: Header=BB294_1574 Depth=1
	v_and_b32_e32 v5, 7, v12
	v_lshrrev_b32_e32 v22, 3, v23
	s_mov_b32 s17, exec_lo
	v_cmpx_gt_u32_e32 8, v23
; %bb.2313:                             ;   in Loop: Header=BB294_1574 Depth=1
	s_delay_alu instid0(VALU_DEP_3) | instskip(NEXT) | instid1(VALU_DEP_1)
	v_clz_i32_u32_e32 v5, v5
	v_min_u32_e32 v5, 32, v5
	s_delay_alu instid0(VALU_DEP_1) | instskip(SKIP_1) | instid1(VALU_DEP_2)
	v_subrev_nc_u32_e32 v7, 28, v5
	v_sub_nc_u32_e32 v22, 29, v5
	v_lshlrev_b64_e32 v[35:36], v7, v[0:1]
	s_delay_alu instid0(VALU_DEP_1)
	v_and_b32_e32 v5, 7, v35
; %bb.2314:                             ;   in Loop: Header=BB294_1574 Depth=1
	s_wait_alu 0xfffe
	s_or_b32 exec_lo, exec_lo, s17
	v_lshlrev_b32_e32 v0, 8, v12
	v_lshl_add_u32 v7, v22, 10, 0x2000
	v_lshlrev_b32_e32 v5, 23, v5
	s_delay_alu instid0(VALU_DEP_2) | instskip(NEXT) | instid1(VALU_DEP_1)
	v_and_or_b32 v0, 0x8000, v0, v7
	v_lshl_or_b32 v5, v0, 16, v5
.LBB294_2315:                           ;   in Loop: Header=BB294_1574 Depth=1
	s_wait_alu 0xfffe
	s_or_b32 exec_lo, exec_lo, s16
.LBB294_2316:                           ;   in Loop: Header=BB294_1574 Depth=1
	s_wait_alu 0xfffe
	s_or_b32 exec_lo, exec_lo, s15
.LBB294_2317:                           ;   in Loop: Header=BB294_1574 Depth=1
	s_wait_alu 0xfffe
	s_or_b32 exec_lo, exec_lo, s14
	v_lshrrev_b32_e32 v0, 16, v10
	v_mov_b32_e32 v22, 0
	s_mov_b32 s14, exec_lo
	s_delay_alu instid0(VALU_DEP_2) | instskip(NEXT) | instid1(VALU_DEP_1)
	v_dual_mov_b32 v12, 0 :: v_dual_and_b32 v23, 0xff, v0
	v_cmpx_ne_u16_e32 0, v23
	s_cbranch_execz .LBB294_2325
; %bb.2318:                             ;   in Loop: Header=BB294_1574 Depth=1
	v_mov_b32_e32 v22, 0x8000
	s_mov_b32 s15, exec_lo
	v_cmpx_ne_u16_e32 0x80, v23
	s_cbranch_execz .LBB294_2324
; %bb.2319:                             ;   in Loop: Header=BB294_1574 Depth=1
	v_bfe_u32 v33, v10, 16, 7
	v_mov_b32_e32 v22, 0x7c01
	s_mov_b32 s16, exec_lo
	s_delay_alu instid0(VALU_DEP_2)
	v_cmpx_ne_u32_e32 0x7f, v33
	s_cbranch_execz .LBB294_2323
; %bb.2320:                             ;   in Loop: Header=BB294_1574 Depth=1
	v_and_b32_e32 v22, 7, v0
	v_lshrrev_b32_e32 v23, 3, v33
	s_mov_b32 s17, exec_lo
	v_cmpx_gt_u32_e32 8, v33
; %bb.2321:                             ;   in Loop: Header=BB294_1574 Depth=1
	s_delay_alu instid0(VALU_DEP_3) | instskip(NEXT) | instid1(VALU_DEP_1)
	v_clz_i32_u32_e32 v7, v22
	v_min_u32_e32 v7, 32, v7
	s_delay_alu instid0(VALU_DEP_1) | instskip(NEXT) | instid1(VALU_DEP_1)
	v_subrev_nc_u32_e32 v22, 28, v7
	v_lshlrev_b64_e32 v[22:23], v22, v[0:1]
	v_sub_nc_u32_e32 v23, 29, v7
	s_delay_alu instid0(VALU_DEP_2)
	v_and_b32_e32 v22, 7, v22
; %bb.2322:                             ;   in Loop: Header=BB294_1574 Depth=1
	s_wait_alu 0xfffe
	s_or_b32 exec_lo, exec_lo, s17
	v_lshlrev_b32_e32 v0, 8, v0
	v_lshl_add_u32 v7, v23, 10, 0x2000
	v_lshlrev_b32_e32 v22, 7, v22
	s_delay_alu instid0(VALU_DEP_3) | instskip(NEXT) | instid1(VALU_DEP_3)
	v_and_b32_e32 v0, 0x8000, v0
	v_and_b32_e32 v7, 0xfc00, v7
	s_delay_alu instid0(VALU_DEP_1)
	v_or3_b32 v22, v0, v7, v22
.LBB294_2323:                           ;   in Loop: Header=BB294_1574 Depth=1
	s_wait_alu 0xfffe
	s_or_b32 exec_lo, exec_lo, s16
.LBB294_2324:                           ;   in Loop: Header=BB294_1574 Depth=1
	s_wait_alu 0xfffe
	s_or_b32 exec_lo, exec_lo, s15
.LBB294_2325:                           ;   in Loop: Header=BB294_1574 Depth=1
	s_wait_alu 0xfffe
	s_or_b32 exec_lo, exec_lo, s14
	s_delay_alu instid0(SALU_CYCLE_1)
	s_mov_b32 s14, exec_lo
	v_cmpx_lt_u32_e32 0xffffff, v10
	s_cbranch_execz .LBB294_2333
; %bb.2326:                             ;   in Loop: Header=BB294_1574 Depth=1
	v_lshrrev_b32_e32 v0, 24, v10
	v_bfrev_b32_e32 v12, 1
	s_mov_b32 s15, exec_lo
	s_delay_alu instid0(VALU_DEP_2)
	v_cmpx_ne_u32_e32 0x80, v0
	s_cbranch_execz .LBB294_2332
; %bb.2327:                             ;   in Loop: Header=BB294_1574 Depth=1
	v_and_b32_e32 v33, 0x7f, v0
	v_mov_b32_e32 v12, 0x7c010000
	s_mov_b32 s16, exec_lo
	s_delay_alu instid0(VALU_DEP_2)
	v_cmpx_ne_u32_e32 0x7f, v33
	s_cbranch_execz .LBB294_2331
; %bb.2328:                             ;   in Loop: Header=BB294_1574 Depth=1
	v_and_b32_e32 v12, 7, v0
	v_lshrrev_b32_e32 v23, 3, v33
	s_mov_b32 s17, exec_lo
	v_cmpx_gt_u32_e32 8, v33
; %bb.2329:                             ;   in Loop: Header=BB294_1574 Depth=1
	s_delay_alu instid0(VALU_DEP_3) | instskip(NEXT) | instid1(VALU_DEP_1)
	v_clz_i32_u32_e32 v7, v12
	v_min_u32_e32 v7, 32, v7
	s_delay_alu instid0(VALU_DEP_1) | instskip(SKIP_1) | instid1(VALU_DEP_2)
	v_subrev_nc_u32_e32 v12, 28, v7
	v_sub_nc_u32_e32 v23, 29, v7
	v_lshlrev_b64_e32 v[35:36], v12, v[0:1]
	s_delay_alu instid0(VALU_DEP_1)
	v_and_b32_e32 v12, 7, v35
; %bb.2330:                             ;   in Loop: Header=BB294_1574 Depth=1
	s_wait_alu 0xfffe
	s_or_b32 exec_lo, exec_lo, s17
	v_lshlrev_b32_e32 v0, 8, v0
	v_lshl_add_u32 v7, v23, 10, 0x2000
	s_delay_alu instid0(VALU_DEP_1) | instskip(SKIP_1) | instid1(VALU_DEP_1)
	v_and_or_b32 v0, 0x8000, v0, v7
	v_lshlrev_b32_e32 v7, 23, v12
	v_lshl_or_b32 v12, v0, 16, v7
.LBB294_2331:                           ;   in Loop: Header=BB294_1574 Depth=1
	s_wait_alu 0xfffe
	s_or_b32 exec_lo, exec_lo, s16
.LBB294_2332:                           ;   in Loop: Header=BB294_1574 Depth=1
	s_wait_alu 0xfffe
	s_or_b32 exec_lo, exec_lo, s15
.LBB294_2333:                           ;   in Loop: Header=BB294_1574 Depth=1
	s_wait_alu 0xfffe
	s_or_b32 exec_lo, exec_lo, s14
	v_dual_mov_b32 v0, v11 :: v_dual_and_b32 v35, 0xff, v11
	v_mov_b32_e32 v23, 0
	v_mov_b32_e32 v33, 0
	s_mov_b32 s14, exec_lo
	s_delay_alu instid0(VALU_DEP_3)
	v_cmpx_ne_u16_e32 0, v35
	s_cbranch_execz .LBB294_2341
; %bb.2334:                             ;   in Loop: Header=BB294_1574 Depth=1
	v_mov_b32_e32 v33, 0x8000
	s_mov_b32 s15, exec_lo
	v_cmpx_ne_u16_e32 0x80, v35
	s_cbranch_execz .LBB294_2340
; %bb.2335:                             ;   in Loop: Header=BB294_1574 Depth=1
	v_and_b32_e32 v36, 0x7f, v11
	v_mov_b32_e32 v33, 0x7c01
	s_mov_b32 s16, exec_lo
	s_delay_alu instid0(VALU_DEP_2)
	v_cmpx_ne_u32_e32 0x7f, v36
	s_cbranch_execz .LBB294_2339
; %bb.2336:                             ;   in Loop: Header=BB294_1574 Depth=1
	v_and_b32_e32 v33, 7, v11
	v_lshrrev_b32_e32 v35, 3, v36
	s_mov_b32 s17, exec_lo
	v_cmpx_gt_u32_e32 8, v36
; %bb.2337:                             ;   in Loop: Header=BB294_1574 Depth=1
	s_delay_alu instid0(VALU_DEP_3) | instskip(NEXT) | instid1(VALU_DEP_1)
	v_clz_i32_u32_e32 v7, v33
	v_min_u32_e32 v7, 32, v7
	s_delay_alu instid0(VALU_DEP_1) | instskip(SKIP_1) | instid1(VALU_DEP_2)
	v_subrev_nc_u32_e32 v33, 28, v7
	v_sub_nc_u32_e32 v35, 29, v7
	v_lshlrev_b64_e32 v[36:37], v33, v[0:1]
	s_delay_alu instid0(VALU_DEP_1)
	v_and_b32_e32 v33, 7, v36
; %bb.2338:                             ;   in Loop: Header=BB294_1574 Depth=1
	s_wait_alu 0xfffe
	s_or_b32 exec_lo, exec_lo, s17
	v_lshlrev_b32_e32 v7, 8, v11
	v_lshl_add_u32 v35, v35, 10, 0x2000
	v_lshlrev_b32_e32 v33, 7, v33
	s_delay_alu instid0(VALU_DEP_3) | instskip(NEXT) | instid1(VALU_DEP_3)
	v_and_b32_e32 v7, 0x8000, v7
	v_and_b32_e32 v35, 0xfc00, v35
	s_delay_alu instid0(VALU_DEP_1)
	v_or3_b32 v33, v7, v35, v33
.LBB294_2339:                           ;   in Loop: Header=BB294_1574 Depth=1
	s_wait_alu 0xfffe
	s_or_b32 exec_lo, exec_lo, s16
.LBB294_2340:                           ;   in Loop: Header=BB294_1574 Depth=1
	s_wait_alu 0xfffe
	s_or_b32 exec_lo, exec_lo, s15
.LBB294_2341:                           ;   in Loop: Header=BB294_1574 Depth=1
	s_wait_alu 0xfffe
	s_or_b32 exec_lo, exec_lo, s14
	v_lshrrev_b16 v0, 8, v0
	v_mov_b32_e32 v35, 0
	s_mov_b32 s14, exec_lo
	s_delay_alu instid0(VALU_DEP_2)
	v_cmpx_ne_u16_e32 0, v0
	s_cbranch_execz .LBB294_2349
; %bb.2342:                             ;   in Loop: Header=BB294_1574 Depth=1
	v_bfrev_b32_e32 v35, 1
	s_mov_b32 s15, exec_lo
	v_cmpx_ne_u16_e32 0x80, v0
	s_cbranch_execz .LBB294_2348
; %bb.2343:                             ;   in Loop: Header=BB294_1574 Depth=1
	v_and_b32_e32 v36, 0xffff, v0
	v_mov_b32_e32 v35, 0x7c010000
	s_mov_b32 s16, exec_lo
	s_delay_alu instid0(VALU_DEP_2) | instskip(NEXT) | instid1(VALU_DEP_1)
	v_and_b32_e32 v38, 0x7f, v36
	v_cmpx_ne_u32_e32 0x7f, v38
	s_cbranch_execz .LBB294_2347
; %bb.2344:                             ;   in Loop: Header=BB294_1574 Depth=1
	v_and_b32_e32 v35, 7, v36
	v_lshrrev_b32_e32 v37, 3, v38
	s_mov_b32 s17, exec_lo
	v_cmpx_gt_u32_e32 8, v38
; %bb.2345:                             ;   in Loop: Header=BB294_1574 Depth=1
	s_delay_alu instid0(VALU_DEP_3) | instskip(NEXT) | instid1(VALU_DEP_1)
	v_clz_i32_u32_e32 v7, v35
	v_min_u32_e32 v7, 32, v7
	s_delay_alu instid0(VALU_DEP_1) | instskip(SKIP_1) | instid1(VALU_DEP_2)
	v_subrev_nc_u32_e32 v35, 28, v7
	v_sub_nc_u32_e32 v37, 29, v7
	v_lshlrev_b64_e32 v[38:39], v35, v[0:1]
	s_delay_alu instid0(VALU_DEP_1)
	v_and_b32_e32 v35, 7, v38
; %bb.2346:                             ;   in Loop: Header=BB294_1574 Depth=1
	s_wait_alu 0xfffe
	s_or_b32 exec_lo, exec_lo, s17
	v_lshlrev_b32_e32 v0, 8, v36
	v_lshl_add_u32 v7, v37, 10, 0x2000
	s_delay_alu instid0(VALU_DEP_1) | instskip(SKIP_1) | instid1(VALU_DEP_1)
	v_and_or_b32 v0, 0x8000, v0, v7
	v_lshlrev_b32_e32 v7, 23, v35
	v_lshl_or_b32 v35, v0, 16, v7
.LBB294_2347:                           ;   in Loop: Header=BB294_1574 Depth=1
	s_wait_alu 0xfffe
	s_or_b32 exec_lo, exec_lo, s16
.LBB294_2348:                           ;   in Loop: Header=BB294_1574 Depth=1
	s_wait_alu 0xfffe
	s_or_b32 exec_lo, exec_lo, s15
.LBB294_2349:                           ;   in Loop: Header=BB294_1574 Depth=1
	s_wait_alu 0xfffe
	s_or_b32 exec_lo, exec_lo, s14
	v_lshrrev_b32_e32 v0, 16, v11
	s_mov_b32 s14, exec_lo
	s_delay_alu instid0(VALU_DEP_1) | instskip(NEXT) | instid1(VALU_DEP_1)
	v_and_b32_e32 v36, 0xff, v0
	v_cmpx_ne_u16_e32 0, v36
	s_cbranch_execz .LBB294_2357
; %bb.2350:                             ;   in Loop: Header=BB294_1574 Depth=1
	v_mov_b32_e32 v23, 0x8000
	s_mov_b32 s15, exec_lo
	v_cmpx_ne_u16_e32 0x80, v36
	s_cbranch_execz .LBB294_2356
; %bb.2351:                             ;   in Loop: Header=BB294_1574 Depth=1
	v_bfe_u32 v37, v11, 16, 7
	v_mov_b32_e32 v23, 0x7c01
	s_mov_b32 s16, exec_lo
	s_delay_alu instid0(VALU_DEP_2)
	v_cmpx_ne_u32_e32 0x7f, v37
	s_cbranch_execz .LBB294_2355
; %bb.2352:                             ;   in Loop: Header=BB294_1574 Depth=1
	v_and_b32_e32 v23, 7, v0
	v_lshrrev_b32_e32 v36, 3, v37
	s_mov_b32 s17, exec_lo
	v_cmpx_gt_u32_e32 8, v37
; %bb.2353:                             ;   in Loop: Header=BB294_1574 Depth=1
	s_delay_alu instid0(VALU_DEP_3) | instskip(NEXT) | instid1(VALU_DEP_1)
	v_clz_i32_u32_e32 v7, v23
	v_min_u32_e32 v7, 32, v7
	s_delay_alu instid0(VALU_DEP_1) | instskip(SKIP_1) | instid1(VALU_DEP_2)
	v_subrev_nc_u32_e32 v23, 28, v7
	v_sub_nc_u32_e32 v36, 29, v7
	v_lshlrev_b64_e32 v[37:38], v23, v[0:1]
	s_delay_alu instid0(VALU_DEP_1)
	v_and_b32_e32 v23, 7, v37
; %bb.2354:                             ;   in Loop: Header=BB294_1574 Depth=1
	s_wait_alu 0xfffe
	s_or_b32 exec_lo, exec_lo, s17
	v_lshlrev_b32_e32 v0, 8, v0
	v_lshl_add_u32 v7, v36, 10, 0x2000
	v_lshlrev_b32_e32 v23, 7, v23
	s_delay_alu instid0(VALU_DEP_3) | instskip(NEXT) | instid1(VALU_DEP_3)
	v_and_b32_e32 v0, 0x8000, v0
	v_and_b32_e32 v7, 0xfc00, v7
	s_delay_alu instid0(VALU_DEP_1)
	v_or3_b32 v23, v0, v7, v23
.LBB294_2355:                           ;   in Loop: Header=BB294_1574 Depth=1
	s_wait_alu 0xfffe
	s_or_b32 exec_lo, exec_lo, s16
.LBB294_2356:                           ;   in Loop: Header=BB294_1574 Depth=1
	s_wait_alu 0xfffe
	s_or_b32 exec_lo, exec_lo, s15
.LBB294_2357:                           ;   in Loop: Header=BB294_1574 Depth=1
	s_wait_alu 0xfffe
	s_or_b32 exec_lo, exec_lo, s14
	v_cmp_lt_u64_e64 s0, s[8:9], v[10:11]
	v_mov_b32_e32 v10, 0
	s_and_saveexec_b32 s14, s0
	s_cbranch_execz .LBB294_2365
; %bb.2358:                             ;   in Loop: Header=BB294_1574 Depth=1
	v_lshrrev_b32_e32 v0, 24, v11
	v_bfrev_b32_e32 v10, 1
	s_mov_b32 s15, exec_lo
	s_delay_alu instid0(VALU_DEP_2)
	v_cmpx_ne_u32_e32 0x80, v0
	s_cbranch_execz .LBB294_2364
; %bb.2359:                             ;   in Loop: Header=BB294_1574 Depth=1
	v_and_b32_e32 v36, 0x7f, v0
	v_mov_b32_e32 v10, 0x7c010000
	s_mov_b32 s16, exec_lo
	s_delay_alu instid0(VALU_DEP_2)
	v_cmpx_ne_u32_e32 0x7f, v36
	s_cbranch_execz .LBB294_2363
; %bb.2360:                             ;   in Loop: Header=BB294_1574 Depth=1
	v_and_b32_e32 v10, 7, v0
	v_lshrrev_b32_e32 v11, 3, v36
	s_mov_b32 s17, exec_lo
	v_cmpx_gt_u32_e32 8, v36
; %bb.2361:                             ;   in Loop: Header=BB294_1574 Depth=1
	s_delay_alu instid0(VALU_DEP_3) | instskip(NEXT) | instid1(VALU_DEP_1)
	v_clz_i32_u32_e32 v7, v10
	v_min_u32_e32 v7, 32, v7
	s_delay_alu instid0(VALU_DEP_1) | instskip(NEXT) | instid1(VALU_DEP_1)
	v_subrev_nc_u32_e32 v10, 28, v7
	v_lshlrev_b64_e32 v[10:11], v10, v[0:1]
	v_sub_nc_u32_e32 v11, 29, v7
	s_delay_alu instid0(VALU_DEP_2)
	v_and_b32_e32 v10, 7, v10
; %bb.2362:                             ;   in Loop: Header=BB294_1574 Depth=1
	s_wait_alu 0xfffe
	s_or_b32 exec_lo, exec_lo, s17
	v_lshlrev_b32_e32 v0, 8, v0
	v_lshl_add_u32 v7, v11, 10, 0x2000
	s_delay_alu instid0(VALU_DEP_1) | instskip(SKIP_1) | instid1(VALU_DEP_1)
	v_and_or_b32 v0, 0x8000, v0, v7
	v_lshlrev_b32_e32 v7, 23, v10
	v_lshl_or_b32 v10, v0, 16, v7
.LBB294_2363:                           ;   in Loop: Header=BB294_1574 Depth=1
	s_wait_alu 0xfffe
	s_or_b32 exec_lo, exec_lo, s16
.LBB294_2364:                           ;   in Loop: Header=BB294_1574 Depth=1
	s_wait_alu 0xfffe
	s_or_b32 exec_lo, exec_lo, s15
.LBB294_2365:                           ;   in Loop: Header=BB294_1574 Depth=1
	s_wait_alu 0xfffe
	s_or_b32 exec_lo, exec_lo, s14
	v_or_b32_e32 v0, v12, v22
	s_wait_loadcnt_dscnt 0x0
	v_fma_mixlo_f16 v7, v4, v12, 0 op_sel:[0,1,0] op_sel_hi:[0,1,0]
	v_or_b32_e32 v6, v5, v6
	v_or_b32_e32 v12, v35, v33
	v_or_b32_e32 v23, v10, v23
	v_fma_mixlo_f16 v5, v4, v5, 0 op_sel:[0,1,0] op_sel_hi:[0,1,0]
	v_fma_mixlo_f16 v22, v4, v0, 0 op_sel_hi:[0,1,0]
	v_lshlrev_b32_e32 v0, 16, v7
	v_fma_mixlo_f16 v6, v4, v6, 0 op_sel_hi:[0,1,0]
	v_fma_mixlo_f16 v7, v4, v35, 0 op_sel:[0,1,0] op_sel_hi:[0,1,0]
	v_fma_mixlo_f16 v12, v4, v12, 0 op_sel_hi:[0,1,0]
	v_fma_mixlo_f16 v10, v4, v10, 0 op_sel:[0,1,0] op_sel_hi:[0,1,0]
	v_fma_mixlo_f16 v23, v4, v23, 0 op_sel_hi:[0,1,0]
	v_lshlrev_b32_e32 v11, 16, v5
	v_and_b32_e32 v5, 0xffff, v22
	v_and_b32_e32 v36, 0xffff, v6
	v_lshlrev_b32_e32 v6, 16, v7
	v_and_b32_e32 v22, 0xffff, v12
	v_lshlrev_b32_e32 v4, 16, v10
	v_and_b32_e32 v10, 0xffff, v23
	v_or_b32_e32 v12, v0, v5
	v_or_b32_e32 v35, v11, v36
	;; [unrolled: 1-line block ×3, first 2 shown]
	s_delay_alu instid0(VALU_DEP_4)
	v_or_b32_e32 v23, v4, v10
	s_and_saveexec_b32 s14, vcc_lo
	s_cbranch_execz .LBB294_2367
; %bb.2366:                             ;   in Loop: Header=BB294_1574 Depth=1
	v_cmp_lt_i32_e64 s0, v49, v34
	s_wait_alu 0xf1ff
	s_delay_alu instid0(VALU_DEP_1) | instskip(SKIP_2) | instid1(VALU_DEP_1)
	v_cndmask_b32_e64 v7, 0, v36, s0
	v_cmp_lt_i32_e64 s0, v101, v34
	s_wait_alu 0xf1ff
	v_cndmask_b32_e64 v11, 0, v11, s0
	v_cmp_lt_i32_e64 s0, v100, v34
	s_delay_alu instid0(VALU_DEP_2) | instskip(SKIP_1) | instid1(VALU_DEP_2)
	v_or_b32_e32 v35, v7, v11
	s_wait_alu 0xf1ff
	v_cndmask_b32_e64 v5, 0, v5, s0
	v_cmp_lt_i32_e64 s0, v99, v34
	s_wait_alu 0xf1ff
	s_delay_alu instid0(VALU_DEP_1) | instskip(SKIP_1) | instid1(VALU_DEP_2)
	v_cndmask_b32_e64 v0, 0, v0, s0
	v_cmp_lt_i32_e64 s0, v98, v34
	v_or_b32_e32 v12, v5, v0
	s_wait_alu 0xf1ff
	s_delay_alu instid0(VALU_DEP_2) | instskip(SKIP_2) | instid1(VALU_DEP_1)
	v_cndmask_b32_e64 v22, 0, v22, s0
	v_cmp_lt_i32_e64 s0, v97, v34
	s_wait_alu 0xf1ff
	v_cndmask_b32_e64 v6, 0, v6, s0
	v_cmp_lt_i32_e64 s0, v96, v34
	s_delay_alu instid0(VALU_DEP_2) | instskip(SKIP_1) | instid1(VALU_DEP_2)
	v_or_b32_e32 v33, v22, v6
	s_wait_alu 0xf1ff
	v_cndmask_b32_e64 v10, 0, v10, s0
	v_cmp_lt_i32_e64 s0, v87, v34
	s_wait_alu 0xf1ff
	s_delay_alu instid0(VALU_DEP_1) | instskip(NEXT) | instid1(VALU_DEP_1)
	v_cndmask_b32_e64 v4, 0, v4, s0
	v_or_b32_e32 v23, v10, v4
.LBB294_2367:                           ;   in Loop: Header=BB294_1574 Depth=1
	s_wait_alu 0xfffe
	s_or_b32 exec_lo, exec_lo, s14
	;;#ASMSTART
	v_pk_mul_f16 v0, v86, v35;

	;;#ASMEND
	;;#ASMSTART
	v_pk_mul_f16 v4, v85, v12;

	;;#ASMEND
	;; [unrolled: 4-line block ×4, first 2 shown]
	;;#ASMSTART
	v_pk_add_f16 v0, v0, v4;

	;;#ASMEND
	;;#ASMSTART
	v_pk_add_f16 v0, v0, v5;

	;;#ASMEND
	;;#ASMSTART
	v_pk_add_f16 v0, v0, v6;

	;;#ASMEND
	v_dual_mov_b32 v5, 0 :: v_dual_and_b32 v4, 0xffff, v0
	v_lshrrev_b32_e32 v0, 16, v0
	;;#ASMSTART
	v_cvt_f32_f16 v146, v4;
	;;#ASMEND
	;;#ASMSTART
	v_cvt_f32_f16 v147, v0;
	;;#ASMEND
	flat_load_b64 v[10:11], v[8:9] offset:3072
	flat_load_b32 v4, v[26:27]
	v_mov_b32_e32 v6, 0
	s_mov_b32 s14, exec_lo
	s_wait_loadcnt_dscnt 0x101
	v_and_b32_e32 v0, 0xff, v10
	s_delay_alu instid0(VALU_DEP_1)
	v_cmpx_ne_u16_e32 0, v0
	s_cbranch_execz .LBB294_2375
; %bb.2368:                             ;   in Loop: Header=BB294_1574 Depth=1
	v_mov_b32_e32 v6, 0x8000
	s_mov_b32 s15, exec_lo
	v_cmpx_ne_u16_e32 0x80, v0
	s_cbranch_execz .LBB294_2374
; %bb.2369:                             ;   in Loop: Header=BB294_1574 Depth=1
	v_and_b32_e32 v12, 0x7f, v10
	v_mov_b32_e32 v6, 0x7c01
	s_mov_b32 s16, exec_lo
	s_delay_alu instid0(VALU_DEP_2)
	v_cmpx_ne_u32_e32 0x7f, v12
	s_cbranch_execz .LBB294_2373
; %bb.2370:                             ;   in Loop: Header=BB294_1574 Depth=1
	v_and_b32_e32 v0, 7, v10
	v_lshrrev_b32_e32 v6, 3, v12
	s_mov_b32 s17, exec_lo
	v_cmpx_gt_u32_e32 8, v12
; %bb.2371:                             ;   in Loop: Header=BB294_1574 Depth=1
	s_delay_alu instid0(VALU_DEP_3) | instskip(NEXT) | instid1(VALU_DEP_1)
	v_clz_i32_u32_e32 v0, v0
	v_min_u32_e32 v0, 32, v0
	s_delay_alu instid0(VALU_DEP_1) | instskip(NEXT) | instid1(VALU_DEP_1)
	v_subrev_nc_u32_e32 v6, 28, v0
	v_lshlrev_b64_e32 v[22:23], v6, v[10:11]
	v_sub_nc_u32_e32 v6, 29, v0
	s_delay_alu instid0(VALU_DEP_2)
	v_and_b32_e32 v0, 7, v22
; %bb.2372:                             ;   in Loop: Header=BB294_1574 Depth=1
	s_wait_alu 0xfffe
	s_or_b32 exec_lo, exec_lo, s17
	v_lshlrev_b32_e32 v7, 8, v10
	v_lshl_add_u32 v6, v6, 10, 0x2000
	v_lshlrev_b32_e32 v0, 7, v0
	s_delay_alu instid0(VALU_DEP_3) | instskip(NEXT) | instid1(VALU_DEP_3)
	v_and_b32_e32 v7, 0x8000, v7
	v_and_b32_e32 v6, 0xfc00, v6
	s_delay_alu instid0(VALU_DEP_1)
	v_or3_b32 v6, v7, v6, v0
.LBB294_2373:                           ;   in Loop: Header=BB294_1574 Depth=1
	s_wait_alu 0xfffe
	s_or_b32 exec_lo, exec_lo, s16
.LBB294_2374:                           ;   in Loop: Header=BB294_1574 Depth=1
	s_wait_alu 0xfffe
	s_or_b32 exec_lo, exec_lo, s15
.LBB294_2375:                           ;   in Loop: Header=BB294_1574 Depth=1
	s_wait_alu 0xfffe
	s_or_b32 exec_lo, exec_lo, s14
	v_lshrrev_b16 v0, 8, v10
	s_mov_b32 s14, exec_lo
	s_delay_alu instid0(VALU_DEP_1)
	v_cmpx_ne_u16_e32 0, v0
	s_cbranch_execz .LBB294_2383
; %bb.2376:                             ;   in Loop: Header=BB294_1574 Depth=1
	v_bfrev_b32_e32 v5, 1
	s_mov_b32 s15, exec_lo
	v_cmpx_ne_u16_e32 0x80, v0
	s_cbranch_execz .LBB294_2382
; %bb.2377:                             ;   in Loop: Header=BB294_1574 Depth=1
	v_and_b32_e32 v12, 0xffff, v0
	v_mov_b32_e32 v5, 0x7c010000
	s_mov_b32 s16, exec_lo
	s_delay_alu instid0(VALU_DEP_2) | instskip(NEXT) | instid1(VALU_DEP_1)
	v_and_b32_e32 v23, 0x7f, v12
	v_cmpx_ne_u32_e32 0x7f, v23
	s_cbranch_execz .LBB294_2381
; %bb.2378:                             ;   in Loop: Header=BB294_1574 Depth=1
	v_and_b32_e32 v5, 7, v12
	v_lshrrev_b32_e32 v22, 3, v23
	s_mov_b32 s17, exec_lo
	v_cmpx_gt_u32_e32 8, v23
; %bb.2379:                             ;   in Loop: Header=BB294_1574 Depth=1
	s_delay_alu instid0(VALU_DEP_3) | instskip(NEXT) | instid1(VALU_DEP_1)
	v_clz_i32_u32_e32 v5, v5
	v_min_u32_e32 v5, 32, v5
	s_delay_alu instid0(VALU_DEP_1) | instskip(SKIP_1) | instid1(VALU_DEP_2)
	v_subrev_nc_u32_e32 v7, 28, v5
	v_sub_nc_u32_e32 v22, 29, v5
	v_lshlrev_b64_e32 v[35:36], v7, v[0:1]
	s_delay_alu instid0(VALU_DEP_1)
	v_and_b32_e32 v5, 7, v35
; %bb.2380:                             ;   in Loop: Header=BB294_1574 Depth=1
	s_wait_alu 0xfffe
	s_or_b32 exec_lo, exec_lo, s17
	v_lshlrev_b32_e32 v0, 8, v12
	v_lshl_add_u32 v7, v22, 10, 0x2000
	v_lshlrev_b32_e32 v5, 23, v5
	s_delay_alu instid0(VALU_DEP_2) | instskip(NEXT) | instid1(VALU_DEP_1)
	v_and_or_b32 v0, 0x8000, v0, v7
	v_lshl_or_b32 v5, v0, 16, v5
.LBB294_2381:                           ;   in Loop: Header=BB294_1574 Depth=1
	s_wait_alu 0xfffe
	s_or_b32 exec_lo, exec_lo, s16
.LBB294_2382:                           ;   in Loop: Header=BB294_1574 Depth=1
	s_wait_alu 0xfffe
	s_or_b32 exec_lo, exec_lo, s15
.LBB294_2383:                           ;   in Loop: Header=BB294_1574 Depth=1
	s_wait_alu 0xfffe
	s_or_b32 exec_lo, exec_lo, s14
	v_lshrrev_b32_e32 v0, 16, v10
	v_mov_b32_e32 v22, 0
	s_mov_b32 s14, exec_lo
	s_delay_alu instid0(VALU_DEP_2) | instskip(NEXT) | instid1(VALU_DEP_1)
	v_dual_mov_b32 v12, 0 :: v_dual_and_b32 v23, 0xff, v0
	v_cmpx_ne_u16_e32 0, v23
	s_cbranch_execz .LBB294_2391
; %bb.2384:                             ;   in Loop: Header=BB294_1574 Depth=1
	v_mov_b32_e32 v22, 0x8000
	s_mov_b32 s15, exec_lo
	v_cmpx_ne_u16_e32 0x80, v23
	s_cbranch_execz .LBB294_2390
; %bb.2385:                             ;   in Loop: Header=BB294_1574 Depth=1
	v_bfe_u32 v33, v10, 16, 7
	v_mov_b32_e32 v22, 0x7c01
	s_mov_b32 s16, exec_lo
	s_delay_alu instid0(VALU_DEP_2)
	v_cmpx_ne_u32_e32 0x7f, v33
	s_cbranch_execz .LBB294_2389
; %bb.2386:                             ;   in Loop: Header=BB294_1574 Depth=1
	v_and_b32_e32 v22, 7, v0
	v_lshrrev_b32_e32 v23, 3, v33
	s_mov_b32 s17, exec_lo
	v_cmpx_gt_u32_e32 8, v33
; %bb.2387:                             ;   in Loop: Header=BB294_1574 Depth=1
	s_delay_alu instid0(VALU_DEP_3) | instskip(NEXT) | instid1(VALU_DEP_1)
	v_clz_i32_u32_e32 v7, v22
	v_min_u32_e32 v7, 32, v7
	s_delay_alu instid0(VALU_DEP_1) | instskip(NEXT) | instid1(VALU_DEP_1)
	v_subrev_nc_u32_e32 v22, 28, v7
	v_lshlrev_b64_e32 v[22:23], v22, v[0:1]
	v_sub_nc_u32_e32 v23, 29, v7
	s_delay_alu instid0(VALU_DEP_2)
	v_and_b32_e32 v22, 7, v22
; %bb.2388:                             ;   in Loop: Header=BB294_1574 Depth=1
	s_wait_alu 0xfffe
	s_or_b32 exec_lo, exec_lo, s17
	v_lshlrev_b32_e32 v0, 8, v0
	v_lshl_add_u32 v7, v23, 10, 0x2000
	v_lshlrev_b32_e32 v22, 7, v22
	s_delay_alu instid0(VALU_DEP_3) | instskip(NEXT) | instid1(VALU_DEP_3)
	v_and_b32_e32 v0, 0x8000, v0
	v_and_b32_e32 v7, 0xfc00, v7
	s_delay_alu instid0(VALU_DEP_1)
	v_or3_b32 v22, v0, v7, v22
.LBB294_2389:                           ;   in Loop: Header=BB294_1574 Depth=1
	s_wait_alu 0xfffe
	s_or_b32 exec_lo, exec_lo, s16
.LBB294_2390:                           ;   in Loop: Header=BB294_1574 Depth=1
	s_wait_alu 0xfffe
	s_or_b32 exec_lo, exec_lo, s15
.LBB294_2391:                           ;   in Loop: Header=BB294_1574 Depth=1
	s_wait_alu 0xfffe
	s_or_b32 exec_lo, exec_lo, s14
	s_delay_alu instid0(SALU_CYCLE_1)
	s_mov_b32 s14, exec_lo
	v_cmpx_lt_u32_e32 0xffffff, v10
	s_cbranch_execz .LBB294_2399
; %bb.2392:                             ;   in Loop: Header=BB294_1574 Depth=1
	v_lshrrev_b32_e32 v0, 24, v10
	v_bfrev_b32_e32 v12, 1
	s_mov_b32 s15, exec_lo
	s_delay_alu instid0(VALU_DEP_2)
	v_cmpx_ne_u32_e32 0x80, v0
	s_cbranch_execz .LBB294_2398
; %bb.2393:                             ;   in Loop: Header=BB294_1574 Depth=1
	v_and_b32_e32 v33, 0x7f, v0
	v_mov_b32_e32 v12, 0x7c010000
	s_mov_b32 s16, exec_lo
	s_delay_alu instid0(VALU_DEP_2)
	v_cmpx_ne_u32_e32 0x7f, v33
	s_cbranch_execz .LBB294_2397
; %bb.2394:                             ;   in Loop: Header=BB294_1574 Depth=1
	v_and_b32_e32 v12, 7, v0
	v_lshrrev_b32_e32 v23, 3, v33
	s_mov_b32 s17, exec_lo
	v_cmpx_gt_u32_e32 8, v33
; %bb.2395:                             ;   in Loop: Header=BB294_1574 Depth=1
	s_delay_alu instid0(VALU_DEP_3) | instskip(NEXT) | instid1(VALU_DEP_1)
	v_clz_i32_u32_e32 v7, v12
	v_min_u32_e32 v7, 32, v7
	s_delay_alu instid0(VALU_DEP_1) | instskip(SKIP_1) | instid1(VALU_DEP_2)
	v_subrev_nc_u32_e32 v12, 28, v7
	v_sub_nc_u32_e32 v23, 29, v7
	v_lshlrev_b64_e32 v[35:36], v12, v[0:1]
	s_delay_alu instid0(VALU_DEP_1)
	v_and_b32_e32 v12, 7, v35
; %bb.2396:                             ;   in Loop: Header=BB294_1574 Depth=1
	s_wait_alu 0xfffe
	s_or_b32 exec_lo, exec_lo, s17
	v_lshlrev_b32_e32 v0, 8, v0
	v_lshl_add_u32 v7, v23, 10, 0x2000
	s_delay_alu instid0(VALU_DEP_1) | instskip(SKIP_1) | instid1(VALU_DEP_1)
	v_and_or_b32 v0, 0x8000, v0, v7
	v_lshlrev_b32_e32 v7, 23, v12
	v_lshl_or_b32 v12, v0, 16, v7
.LBB294_2397:                           ;   in Loop: Header=BB294_1574 Depth=1
	s_wait_alu 0xfffe
	s_or_b32 exec_lo, exec_lo, s16
.LBB294_2398:                           ;   in Loop: Header=BB294_1574 Depth=1
	s_wait_alu 0xfffe
	s_or_b32 exec_lo, exec_lo, s15
.LBB294_2399:                           ;   in Loop: Header=BB294_1574 Depth=1
	s_wait_alu 0xfffe
	s_or_b32 exec_lo, exec_lo, s14
	v_dual_mov_b32 v0, v11 :: v_dual_and_b32 v35, 0xff, v11
	v_mov_b32_e32 v23, 0
	v_mov_b32_e32 v33, 0
	s_mov_b32 s14, exec_lo
	s_delay_alu instid0(VALU_DEP_3)
	v_cmpx_ne_u16_e32 0, v35
	s_cbranch_execz .LBB294_2407
; %bb.2400:                             ;   in Loop: Header=BB294_1574 Depth=1
	v_mov_b32_e32 v33, 0x8000
	s_mov_b32 s15, exec_lo
	v_cmpx_ne_u16_e32 0x80, v35
	s_cbranch_execz .LBB294_2406
; %bb.2401:                             ;   in Loop: Header=BB294_1574 Depth=1
	v_and_b32_e32 v36, 0x7f, v11
	v_mov_b32_e32 v33, 0x7c01
	s_mov_b32 s16, exec_lo
	s_delay_alu instid0(VALU_DEP_2)
	v_cmpx_ne_u32_e32 0x7f, v36
	s_cbranch_execz .LBB294_2405
; %bb.2402:                             ;   in Loop: Header=BB294_1574 Depth=1
	v_and_b32_e32 v33, 7, v11
	v_lshrrev_b32_e32 v35, 3, v36
	s_mov_b32 s17, exec_lo
	v_cmpx_gt_u32_e32 8, v36
; %bb.2403:                             ;   in Loop: Header=BB294_1574 Depth=1
	s_delay_alu instid0(VALU_DEP_3) | instskip(NEXT) | instid1(VALU_DEP_1)
	v_clz_i32_u32_e32 v7, v33
	v_min_u32_e32 v7, 32, v7
	s_delay_alu instid0(VALU_DEP_1) | instskip(SKIP_1) | instid1(VALU_DEP_2)
	v_subrev_nc_u32_e32 v33, 28, v7
	v_sub_nc_u32_e32 v35, 29, v7
	v_lshlrev_b64_e32 v[36:37], v33, v[0:1]
	s_delay_alu instid0(VALU_DEP_1)
	v_and_b32_e32 v33, 7, v36
; %bb.2404:                             ;   in Loop: Header=BB294_1574 Depth=1
	s_wait_alu 0xfffe
	s_or_b32 exec_lo, exec_lo, s17
	v_lshlrev_b32_e32 v7, 8, v11
	v_lshl_add_u32 v35, v35, 10, 0x2000
	v_lshlrev_b32_e32 v33, 7, v33
	s_delay_alu instid0(VALU_DEP_3) | instskip(NEXT) | instid1(VALU_DEP_3)
	v_and_b32_e32 v7, 0x8000, v7
	v_and_b32_e32 v35, 0xfc00, v35
	s_delay_alu instid0(VALU_DEP_1)
	v_or3_b32 v33, v7, v35, v33
.LBB294_2405:                           ;   in Loop: Header=BB294_1574 Depth=1
	s_wait_alu 0xfffe
	s_or_b32 exec_lo, exec_lo, s16
.LBB294_2406:                           ;   in Loop: Header=BB294_1574 Depth=1
	s_wait_alu 0xfffe
	s_or_b32 exec_lo, exec_lo, s15
.LBB294_2407:                           ;   in Loop: Header=BB294_1574 Depth=1
	s_wait_alu 0xfffe
	s_or_b32 exec_lo, exec_lo, s14
	v_lshrrev_b16 v0, 8, v0
	v_mov_b32_e32 v35, 0
	s_mov_b32 s14, exec_lo
	s_delay_alu instid0(VALU_DEP_2)
	v_cmpx_ne_u16_e32 0, v0
	s_cbranch_execz .LBB294_2415
; %bb.2408:                             ;   in Loop: Header=BB294_1574 Depth=1
	v_bfrev_b32_e32 v35, 1
	s_mov_b32 s15, exec_lo
	v_cmpx_ne_u16_e32 0x80, v0
	s_cbranch_execz .LBB294_2414
; %bb.2409:                             ;   in Loop: Header=BB294_1574 Depth=1
	v_and_b32_e32 v36, 0xffff, v0
	v_mov_b32_e32 v35, 0x7c010000
	s_mov_b32 s16, exec_lo
	s_delay_alu instid0(VALU_DEP_2) | instskip(NEXT) | instid1(VALU_DEP_1)
	v_and_b32_e32 v38, 0x7f, v36
	v_cmpx_ne_u32_e32 0x7f, v38
	s_cbranch_execz .LBB294_2413
; %bb.2410:                             ;   in Loop: Header=BB294_1574 Depth=1
	v_and_b32_e32 v35, 7, v36
	v_lshrrev_b32_e32 v37, 3, v38
	s_mov_b32 s17, exec_lo
	v_cmpx_gt_u32_e32 8, v38
; %bb.2411:                             ;   in Loop: Header=BB294_1574 Depth=1
	s_delay_alu instid0(VALU_DEP_3) | instskip(NEXT) | instid1(VALU_DEP_1)
	v_clz_i32_u32_e32 v7, v35
	v_min_u32_e32 v7, 32, v7
	s_delay_alu instid0(VALU_DEP_1) | instskip(SKIP_1) | instid1(VALU_DEP_2)
	v_subrev_nc_u32_e32 v35, 28, v7
	v_sub_nc_u32_e32 v37, 29, v7
	v_lshlrev_b64_e32 v[38:39], v35, v[0:1]
	s_delay_alu instid0(VALU_DEP_1)
	v_and_b32_e32 v35, 7, v38
; %bb.2412:                             ;   in Loop: Header=BB294_1574 Depth=1
	s_wait_alu 0xfffe
	s_or_b32 exec_lo, exec_lo, s17
	v_lshlrev_b32_e32 v0, 8, v36
	v_lshl_add_u32 v7, v37, 10, 0x2000
	s_delay_alu instid0(VALU_DEP_1) | instskip(SKIP_1) | instid1(VALU_DEP_1)
	v_and_or_b32 v0, 0x8000, v0, v7
	v_lshlrev_b32_e32 v7, 23, v35
	v_lshl_or_b32 v35, v0, 16, v7
.LBB294_2413:                           ;   in Loop: Header=BB294_1574 Depth=1
	s_wait_alu 0xfffe
	s_or_b32 exec_lo, exec_lo, s16
.LBB294_2414:                           ;   in Loop: Header=BB294_1574 Depth=1
	s_wait_alu 0xfffe
	s_or_b32 exec_lo, exec_lo, s15
.LBB294_2415:                           ;   in Loop: Header=BB294_1574 Depth=1
	s_wait_alu 0xfffe
	s_or_b32 exec_lo, exec_lo, s14
	v_lshrrev_b32_e32 v0, 16, v11
	s_mov_b32 s14, exec_lo
	s_delay_alu instid0(VALU_DEP_1) | instskip(NEXT) | instid1(VALU_DEP_1)
	v_and_b32_e32 v36, 0xff, v0
	v_cmpx_ne_u16_e32 0, v36
	s_cbranch_execz .LBB294_2423
; %bb.2416:                             ;   in Loop: Header=BB294_1574 Depth=1
	v_mov_b32_e32 v23, 0x8000
	s_mov_b32 s15, exec_lo
	v_cmpx_ne_u16_e32 0x80, v36
	s_cbranch_execz .LBB294_2422
; %bb.2417:                             ;   in Loop: Header=BB294_1574 Depth=1
	v_bfe_u32 v37, v11, 16, 7
	v_mov_b32_e32 v23, 0x7c01
	s_mov_b32 s16, exec_lo
	s_delay_alu instid0(VALU_DEP_2)
	v_cmpx_ne_u32_e32 0x7f, v37
	s_cbranch_execz .LBB294_2421
; %bb.2418:                             ;   in Loop: Header=BB294_1574 Depth=1
	v_and_b32_e32 v23, 7, v0
	v_lshrrev_b32_e32 v36, 3, v37
	s_mov_b32 s17, exec_lo
	v_cmpx_gt_u32_e32 8, v37
; %bb.2419:                             ;   in Loop: Header=BB294_1574 Depth=1
	s_delay_alu instid0(VALU_DEP_3) | instskip(NEXT) | instid1(VALU_DEP_1)
	v_clz_i32_u32_e32 v7, v23
	v_min_u32_e32 v7, 32, v7
	s_delay_alu instid0(VALU_DEP_1) | instskip(SKIP_1) | instid1(VALU_DEP_2)
	v_subrev_nc_u32_e32 v23, 28, v7
	v_sub_nc_u32_e32 v36, 29, v7
	v_lshlrev_b64_e32 v[37:38], v23, v[0:1]
	s_delay_alu instid0(VALU_DEP_1)
	v_and_b32_e32 v23, 7, v37
; %bb.2420:                             ;   in Loop: Header=BB294_1574 Depth=1
	s_wait_alu 0xfffe
	s_or_b32 exec_lo, exec_lo, s17
	v_lshlrev_b32_e32 v0, 8, v0
	v_lshl_add_u32 v7, v36, 10, 0x2000
	v_lshlrev_b32_e32 v23, 7, v23
	s_delay_alu instid0(VALU_DEP_3) | instskip(NEXT) | instid1(VALU_DEP_3)
	v_and_b32_e32 v0, 0x8000, v0
	v_and_b32_e32 v7, 0xfc00, v7
	s_delay_alu instid0(VALU_DEP_1)
	v_or3_b32 v23, v0, v7, v23
.LBB294_2421:                           ;   in Loop: Header=BB294_1574 Depth=1
	s_wait_alu 0xfffe
	s_or_b32 exec_lo, exec_lo, s16
.LBB294_2422:                           ;   in Loop: Header=BB294_1574 Depth=1
	s_wait_alu 0xfffe
	s_or_b32 exec_lo, exec_lo, s15
.LBB294_2423:                           ;   in Loop: Header=BB294_1574 Depth=1
	s_wait_alu 0xfffe
	s_or_b32 exec_lo, exec_lo, s14
	v_cmp_lt_u64_e64 s0, s[8:9], v[10:11]
	v_mov_b32_e32 v10, 0
	s_and_saveexec_b32 s14, s0
	s_cbranch_execz .LBB294_2431
; %bb.2424:                             ;   in Loop: Header=BB294_1574 Depth=1
	v_lshrrev_b32_e32 v0, 24, v11
	v_bfrev_b32_e32 v10, 1
	s_mov_b32 s15, exec_lo
	s_delay_alu instid0(VALU_DEP_2)
	v_cmpx_ne_u32_e32 0x80, v0
	s_cbranch_execz .LBB294_2430
; %bb.2425:                             ;   in Loop: Header=BB294_1574 Depth=1
	v_and_b32_e32 v36, 0x7f, v0
	v_mov_b32_e32 v10, 0x7c010000
	s_mov_b32 s16, exec_lo
	s_delay_alu instid0(VALU_DEP_2)
	v_cmpx_ne_u32_e32 0x7f, v36
	s_cbranch_execz .LBB294_2429
; %bb.2426:                             ;   in Loop: Header=BB294_1574 Depth=1
	v_and_b32_e32 v10, 7, v0
	v_lshrrev_b32_e32 v11, 3, v36
	s_mov_b32 s17, exec_lo
	v_cmpx_gt_u32_e32 8, v36
; %bb.2427:                             ;   in Loop: Header=BB294_1574 Depth=1
	s_delay_alu instid0(VALU_DEP_3) | instskip(NEXT) | instid1(VALU_DEP_1)
	v_clz_i32_u32_e32 v7, v10
	v_min_u32_e32 v7, 32, v7
	s_delay_alu instid0(VALU_DEP_1) | instskip(NEXT) | instid1(VALU_DEP_1)
	v_subrev_nc_u32_e32 v10, 28, v7
	v_lshlrev_b64_e32 v[10:11], v10, v[0:1]
	v_sub_nc_u32_e32 v11, 29, v7
	s_delay_alu instid0(VALU_DEP_2)
	v_and_b32_e32 v10, 7, v10
; %bb.2428:                             ;   in Loop: Header=BB294_1574 Depth=1
	s_wait_alu 0xfffe
	s_or_b32 exec_lo, exec_lo, s17
	v_lshlrev_b32_e32 v0, 8, v0
	v_lshl_add_u32 v7, v11, 10, 0x2000
	s_delay_alu instid0(VALU_DEP_1) | instskip(SKIP_1) | instid1(VALU_DEP_1)
	v_and_or_b32 v0, 0x8000, v0, v7
	v_lshlrev_b32_e32 v7, 23, v10
	v_lshl_or_b32 v10, v0, 16, v7
.LBB294_2429:                           ;   in Loop: Header=BB294_1574 Depth=1
	s_wait_alu 0xfffe
	s_or_b32 exec_lo, exec_lo, s16
.LBB294_2430:                           ;   in Loop: Header=BB294_1574 Depth=1
	s_wait_alu 0xfffe
	s_or_b32 exec_lo, exec_lo, s15
.LBB294_2431:                           ;   in Loop: Header=BB294_1574 Depth=1
	s_wait_alu 0xfffe
	s_or_b32 exec_lo, exec_lo, s14
	v_or_b32_e32 v0, v12, v22
	s_wait_loadcnt_dscnt 0x0
	v_fma_mixlo_f16 v7, v4, v12, 0 op_sel:[0,1,0] op_sel_hi:[0,1,0]
	v_or_b32_e32 v6, v5, v6
	v_or_b32_e32 v12, v35, v33
	;; [unrolled: 1-line block ×3, first 2 shown]
	v_fma_mixlo_f16 v5, v4, v5, 0 op_sel:[0,1,0] op_sel_hi:[0,1,0]
	v_fma_mixlo_f16 v22, v4, v0, 0 op_sel_hi:[0,1,0]
	v_lshlrev_b32_e32 v0, 16, v7
	v_fma_mixlo_f16 v6, v4, v6, 0 op_sel_hi:[0,1,0]
	v_fma_mixlo_f16 v7, v4, v35, 0 op_sel:[0,1,0] op_sel_hi:[0,1,0]
	v_fma_mixlo_f16 v12, v4, v12, 0 op_sel_hi:[0,1,0]
	v_fma_mixlo_f16 v10, v4, v10, 0 op_sel:[0,1,0] op_sel_hi:[0,1,0]
	v_fma_mixlo_f16 v23, v4, v23, 0 op_sel_hi:[0,1,0]
	v_lshlrev_b32_e32 v11, 16, v5
	v_and_b32_e32 v5, 0xffff, v22
	v_and_b32_e32 v36, 0xffff, v6
	v_lshlrev_b32_e32 v6, 16, v7
	v_and_b32_e32 v22, 0xffff, v12
	v_lshlrev_b32_e32 v4, 16, v10
	v_and_b32_e32 v10, 0xffff, v23
	v_or_b32_e32 v12, v0, v5
	v_or_b32_e32 v35, v11, v36
	;; [unrolled: 1-line block ×3, first 2 shown]
	s_delay_alu instid0(VALU_DEP_4)
	v_or_b32_e32 v23, v4, v10
	s_and_saveexec_b32 s14, vcc_lo
	s_cbranch_execz .LBB294_2433
; %bb.2432:                             ;   in Loop: Header=BB294_1574 Depth=1
	v_cmp_lt_i32_e64 s0, v49, v34
	s_wait_alu 0xf1ff
	s_delay_alu instid0(VALU_DEP_1) | instskip(SKIP_2) | instid1(VALU_DEP_1)
	v_cndmask_b32_e64 v7, 0, v36, s0
	v_cmp_lt_i32_e64 s0, v101, v34
	s_wait_alu 0xf1ff
	v_cndmask_b32_e64 v11, 0, v11, s0
	v_cmp_lt_i32_e64 s0, v100, v34
	s_delay_alu instid0(VALU_DEP_2) | instskip(SKIP_1) | instid1(VALU_DEP_2)
	v_or_b32_e32 v35, v7, v11
	s_wait_alu 0xf1ff
	v_cndmask_b32_e64 v5, 0, v5, s0
	v_cmp_lt_i32_e64 s0, v99, v34
	s_wait_alu 0xf1ff
	s_delay_alu instid0(VALU_DEP_1) | instskip(SKIP_1) | instid1(VALU_DEP_2)
	v_cndmask_b32_e64 v0, 0, v0, s0
	v_cmp_lt_i32_e64 s0, v98, v34
	v_or_b32_e32 v12, v5, v0
	s_wait_alu 0xf1ff
	s_delay_alu instid0(VALU_DEP_2) | instskip(SKIP_2) | instid1(VALU_DEP_1)
	v_cndmask_b32_e64 v22, 0, v22, s0
	v_cmp_lt_i32_e64 s0, v97, v34
	s_wait_alu 0xf1ff
	v_cndmask_b32_e64 v6, 0, v6, s0
	v_cmp_lt_i32_e64 s0, v96, v34
	s_delay_alu instid0(VALU_DEP_2) | instskip(SKIP_1) | instid1(VALU_DEP_2)
	v_or_b32_e32 v33, v22, v6
	s_wait_alu 0xf1ff
	v_cndmask_b32_e64 v10, 0, v10, s0
	v_cmp_lt_i32_e64 s0, v87, v34
	s_wait_alu 0xf1ff
	s_delay_alu instid0(VALU_DEP_1) | instskip(NEXT) | instid1(VALU_DEP_1)
	v_cndmask_b32_e64 v4, 0, v4, s0
	v_or_b32_e32 v23, v10, v4
.LBB294_2433:                           ;   in Loop: Header=BB294_1574 Depth=1
	s_wait_alu 0xfffe
	s_or_b32 exec_lo, exec_lo, s14
	;;#ASMSTART
	v_pk_mul_f16 v0, v86, v35;

	;;#ASMEND
	;;#ASMSTART
	v_pk_mul_f16 v4, v85, v12;

	;;#ASMEND
	;; [unrolled: 4-line block ×4, first 2 shown]
	;;#ASMSTART
	v_pk_add_f16 v0, v0, v4;

	;;#ASMEND
	;;#ASMSTART
	v_pk_add_f16 v0, v0, v5;

	;;#ASMEND
	;;#ASMSTART
	v_pk_add_f16 v0, v0, v6;

	;;#ASMEND
	v_dual_mov_b32 v5, 0 :: v_dual_and_b32 v4, 0xffff, v0
	v_lshrrev_b32_e32 v0, 16, v0
	;;#ASMSTART
	v_cvt_f32_f16 v148, v4;
	;;#ASMEND
	;;#ASMSTART
	v_cvt_f32_f16 v149, v0;
	;;#ASMEND
	flat_load_b64 v[10:11], v[8:9] offset:3328
	flat_load_b32 v4, v[26:27]
	v_mov_b32_e32 v6, 0
	s_mov_b32 s14, exec_lo
	s_wait_loadcnt_dscnt 0x101
	v_and_b32_e32 v0, 0xff, v10
	s_delay_alu instid0(VALU_DEP_1)
	v_cmpx_ne_u16_e32 0, v0
	s_cbranch_execz .LBB294_2441
; %bb.2434:                             ;   in Loop: Header=BB294_1574 Depth=1
	v_mov_b32_e32 v6, 0x8000
	s_mov_b32 s15, exec_lo
	v_cmpx_ne_u16_e32 0x80, v0
	s_cbranch_execz .LBB294_2440
; %bb.2435:                             ;   in Loop: Header=BB294_1574 Depth=1
	v_and_b32_e32 v12, 0x7f, v10
	v_mov_b32_e32 v6, 0x7c01
	s_mov_b32 s16, exec_lo
	s_delay_alu instid0(VALU_DEP_2)
	v_cmpx_ne_u32_e32 0x7f, v12
	s_cbranch_execz .LBB294_2439
; %bb.2436:                             ;   in Loop: Header=BB294_1574 Depth=1
	v_and_b32_e32 v0, 7, v10
	v_lshrrev_b32_e32 v6, 3, v12
	s_mov_b32 s17, exec_lo
	v_cmpx_gt_u32_e32 8, v12
; %bb.2437:                             ;   in Loop: Header=BB294_1574 Depth=1
	s_delay_alu instid0(VALU_DEP_3) | instskip(NEXT) | instid1(VALU_DEP_1)
	v_clz_i32_u32_e32 v0, v0
	v_min_u32_e32 v0, 32, v0
	s_delay_alu instid0(VALU_DEP_1) | instskip(NEXT) | instid1(VALU_DEP_1)
	v_subrev_nc_u32_e32 v6, 28, v0
	v_lshlrev_b64_e32 v[22:23], v6, v[10:11]
	v_sub_nc_u32_e32 v6, 29, v0
	s_delay_alu instid0(VALU_DEP_2)
	v_and_b32_e32 v0, 7, v22
; %bb.2438:                             ;   in Loop: Header=BB294_1574 Depth=1
	s_wait_alu 0xfffe
	s_or_b32 exec_lo, exec_lo, s17
	v_lshlrev_b32_e32 v7, 8, v10
	v_lshl_add_u32 v6, v6, 10, 0x2000
	v_lshlrev_b32_e32 v0, 7, v0
	s_delay_alu instid0(VALU_DEP_3) | instskip(NEXT) | instid1(VALU_DEP_3)
	v_and_b32_e32 v7, 0x8000, v7
	v_and_b32_e32 v6, 0xfc00, v6
	s_delay_alu instid0(VALU_DEP_1)
	v_or3_b32 v6, v7, v6, v0
.LBB294_2439:                           ;   in Loop: Header=BB294_1574 Depth=1
	s_wait_alu 0xfffe
	s_or_b32 exec_lo, exec_lo, s16
.LBB294_2440:                           ;   in Loop: Header=BB294_1574 Depth=1
	s_wait_alu 0xfffe
	s_or_b32 exec_lo, exec_lo, s15
.LBB294_2441:                           ;   in Loop: Header=BB294_1574 Depth=1
	s_wait_alu 0xfffe
	s_or_b32 exec_lo, exec_lo, s14
	v_lshrrev_b16 v0, 8, v10
	s_mov_b32 s14, exec_lo
	s_delay_alu instid0(VALU_DEP_1)
	v_cmpx_ne_u16_e32 0, v0
	s_cbranch_execz .LBB294_2449
; %bb.2442:                             ;   in Loop: Header=BB294_1574 Depth=1
	v_bfrev_b32_e32 v5, 1
	s_mov_b32 s15, exec_lo
	v_cmpx_ne_u16_e32 0x80, v0
	s_cbranch_execz .LBB294_2448
; %bb.2443:                             ;   in Loop: Header=BB294_1574 Depth=1
	v_and_b32_e32 v12, 0xffff, v0
	v_mov_b32_e32 v5, 0x7c010000
	s_mov_b32 s16, exec_lo
	s_delay_alu instid0(VALU_DEP_2) | instskip(NEXT) | instid1(VALU_DEP_1)
	v_and_b32_e32 v23, 0x7f, v12
	v_cmpx_ne_u32_e32 0x7f, v23
	s_cbranch_execz .LBB294_2447
; %bb.2444:                             ;   in Loop: Header=BB294_1574 Depth=1
	v_and_b32_e32 v5, 7, v12
	v_lshrrev_b32_e32 v22, 3, v23
	s_mov_b32 s17, exec_lo
	v_cmpx_gt_u32_e32 8, v23
; %bb.2445:                             ;   in Loop: Header=BB294_1574 Depth=1
	s_delay_alu instid0(VALU_DEP_3) | instskip(NEXT) | instid1(VALU_DEP_1)
	v_clz_i32_u32_e32 v5, v5
	v_min_u32_e32 v5, 32, v5
	s_delay_alu instid0(VALU_DEP_1) | instskip(SKIP_1) | instid1(VALU_DEP_2)
	v_subrev_nc_u32_e32 v7, 28, v5
	v_sub_nc_u32_e32 v22, 29, v5
	v_lshlrev_b64_e32 v[35:36], v7, v[0:1]
	s_delay_alu instid0(VALU_DEP_1)
	v_and_b32_e32 v5, 7, v35
; %bb.2446:                             ;   in Loop: Header=BB294_1574 Depth=1
	s_wait_alu 0xfffe
	s_or_b32 exec_lo, exec_lo, s17
	v_lshlrev_b32_e32 v0, 8, v12
	v_lshl_add_u32 v7, v22, 10, 0x2000
	v_lshlrev_b32_e32 v5, 23, v5
	s_delay_alu instid0(VALU_DEP_2) | instskip(NEXT) | instid1(VALU_DEP_1)
	v_and_or_b32 v0, 0x8000, v0, v7
	v_lshl_or_b32 v5, v0, 16, v5
.LBB294_2447:                           ;   in Loop: Header=BB294_1574 Depth=1
	s_wait_alu 0xfffe
	s_or_b32 exec_lo, exec_lo, s16
.LBB294_2448:                           ;   in Loop: Header=BB294_1574 Depth=1
	s_wait_alu 0xfffe
	s_or_b32 exec_lo, exec_lo, s15
.LBB294_2449:                           ;   in Loop: Header=BB294_1574 Depth=1
	s_wait_alu 0xfffe
	s_or_b32 exec_lo, exec_lo, s14
	v_lshrrev_b32_e32 v0, 16, v10
	v_mov_b32_e32 v22, 0
	s_mov_b32 s14, exec_lo
	s_delay_alu instid0(VALU_DEP_2) | instskip(NEXT) | instid1(VALU_DEP_1)
	v_dual_mov_b32 v12, 0 :: v_dual_and_b32 v23, 0xff, v0
	v_cmpx_ne_u16_e32 0, v23
	s_cbranch_execz .LBB294_2457
; %bb.2450:                             ;   in Loop: Header=BB294_1574 Depth=1
	v_mov_b32_e32 v22, 0x8000
	s_mov_b32 s15, exec_lo
	v_cmpx_ne_u16_e32 0x80, v23
	s_cbranch_execz .LBB294_2456
; %bb.2451:                             ;   in Loop: Header=BB294_1574 Depth=1
	v_bfe_u32 v33, v10, 16, 7
	v_mov_b32_e32 v22, 0x7c01
	s_mov_b32 s16, exec_lo
	s_delay_alu instid0(VALU_DEP_2)
	v_cmpx_ne_u32_e32 0x7f, v33
	s_cbranch_execz .LBB294_2455
; %bb.2452:                             ;   in Loop: Header=BB294_1574 Depth=1
	v_and_b32_e32 v22, 7, v0
	v_lshrrev_b32_e32 v23, 3, v33
	s_mov_b32 s17, exec_lo
	v_cmpx_gt_u32_e32 8, v33
; %bb.2453:                             ;   in Loop: Header=BB294_1574 Depth=1
	s_delay_alu instid0(VALU_DEP_3) | instskip(NEXT) | instid1(VALU_DEP_1)
	v_clz_i32_u32_e32 v7, v22
	v_min_u32_e32 v7, 32, v7
	s_delay_alu instid0(VALU_DEP_1) | instskip(NEXT) | instid1(VALU_DEP_1)
	v_subrev_nc_u32_e32 v22, 28, v7
	v_lshlrev_b64_e32 v[22:23], v22, v[0:1]
	v_sub_nc_u32_e32 v23, 29, v7
	s_delay_alu instid0(VALU_DEP_2)
	v_and_b32_e32 v22, 7, v22
; %bb.2454:                             ;   in Loop: Header=BB294_1574 Depth=1
	s_wait_alu 0xfffe
	s_or_b32 exec_lo, exec_lo, s17
	v_lshlrev_b32_e32 v0, 8, v0
	v_lshl_add_u32 v7, v23, 10, 0x2000
	v_lshlrev_b32_e32 v22, 7, v22
	s_delay_alu instid0(VALU_DEP_3) | instskip(NEXT) | instid1(VALU_DEP_3)
	v_and_b32_e32 v0, 0x8000, v0
	v_and_b32_e32 v7, 0xfc00, v7
	s_delay_alu instid0(VALU_DEP_1)
	v_or3_b32 v22, v0, v7, v22
.LBB294_2455:                           ;   in Loop: Header=BB294_1574 Depth=1
	s_wait_alu 0xfffe
	s_or_b32 exec_lo, exec_lo, s16
.LBB294_2456:                           ;   in Loop: Header=BB294_1574 Depth=1
	s_wait_alu 0xfffe
	s_or_b32 exec_lo, exec_lo, s15
.LBB294_2457:                           ;   in Loop: Header=BB294_1574 Depth=1
	s_wait_alu 0xfffe
	s_or_b32 exec_lo, exec_lo, s14
	s_delay_alu instid0(SALU_CYCLE_1)
	s_mov_b32 s14, exec_lo
	v_cmpx_lt_u32_e32 0xffffff, v10
	s_cbranch_execz .LBB294_2465
; %bb.2458:                             ;   in Loop: Header=BB294_1574 Depth=1
	v_lshrrev_b32_e32 v0, 24, v10
	v_bfrev_b32_e32 v12, 1
	s_mov_b32 s15, exec_lo
	s_delay_alu instid0(VALU_DEP_2)
	v_cmpx_ne_u32_e32 0x80, v0
	s_cbranch_execz .LBB294_2464
; %bb.2459:                             ;   in Loop: Header=BB294_1574 Depth=1
	v_and_b32_e32 v33, 0x7f, v0
	v_mov_b32_e32 v12, 0x7c010000
	s_mov_b32 s16, exec_lo
	s_delay_alu instid0(VALU_DEP_2)
	v_cmpx_ne_u32_e32 0x7f, v33
	s_cbranch_execz .LBB294_2463
; %bb.2460:                             ;   in Loop: Header=BB294_1574 Depth=1
	v_and_b32_e32 v12, 7, v0
	v_lshrrev_b32_e32 v23, 3, v33
	s_mov_b32 s17, exec_lo
	v_cmpx_gt_u32_e32 8, v33
; %bb.2461:                             ;   in Loop: Header=BB294_1574 Depth=1
	s_delay_alu instid0(VALU_DEP_3) | instskip(NEXT) | instid1(VALU_DEP_1)
	v_clz_i32_u32_e32 v7, v12
	v_min_u32_e32 v7, 32, v7
	s_delay_alu instid0(VALU_DEP_1) | instskip(SKIP_1) | instid1(VALU_DEP_2)
	v_subrev_nc_u32_e32 v12, 28, v7
	v_sub_nc_u32_e32 v23, 29, v7
	v_lshlrev_b64_e32 v[35:36], v12, v[0:1]
	s_delay_alu instid0(VALU_DEP_1)
	v_and_b32_e32 v12, 7, v35
; %bb.2462:                             ;   in Loop: Header=BB294_1574 Depth=1
	s_wait_alu 0xfffe
	s_or_b32 exec_lo, exec_lo, s17
	v_lshlrev_b32_e32 v0, 8, v0
	v_lshl_add_u32 v7, v23, 10, 0x2000
	s_delay_alu instid0(VALU_DEP_1) | instskip(SKIP_1) | instid1(VALU_DEP_1)
	v_and_or_b32 v0, 0x8000, v0, v7
	v_lshlrev_b32_e32 v7, 23, v12
	v_lshl_or_b32 v12, v0, 16, v7
.LBB294_2463:                           ;   in Loop: Header=BB294_1574 Depth=1
	s_wait_alu 0xfffe
	s_or_b32 exec_lo, exec_lo, s16
.LBB294_2464:                           ;   in Loop: Header=BB294_1574 Depth=1
	s_wait_alu 0xfffe
	s_or_b32 exec_lo, exec_lo, s15
.LBB294_2465:                           ;   in Loop: Header=BB294_1574 Depth=1
	s_wait_alu 0xfffe
	s_or_b32 exec_lo, exec_lo, s14
	v_dual_mov_b32 v0, v11 :: v_dual_and_b32 v35, 0xff, v11
	v_mov_b32_e32 v23, 0
	v_mov_b32_e32 v33, 0
	s_mov_b32 s14, exec_lo
	s_delay_alu instid0(VALU_DEP_3)
	v_cmpx_ne_u16_e32 0, v35
	s_cbranch_execz .LBB294_2473
; %bb.2466:                             ;   in Loop: Header=BB294_1574 Depth=1
	v_mov_b32_e32 v33, 0x8000
	s_mov_b32 s15, exec_lo
	v_cmpx_ne_u16_e32 0x80, v35
	s_cbranch_execz .LBB294_2472
; %bb.2467:                             ;   in Loop: Header=BB294_1574 Depth=1
	v_and_b32_e32 v36, 0x7f, v11
	v_mov_b32_e32 v33, 0x7c01
	s_mov_b32 s16, exec_lo
	s_delay_alu instid0(VALU_DEP_2)
	v_cmpx_ne_u32_e32 0x7f, v36
	s_cbranch_execz .LBB294_2471
; %bb.2468:                             ;   in Loop: Header=BB294_1574 Depth=1
	v_and_b32_e32 v33, 7, v11
	v_lshrrev_b32_e32 v35, 3, v36
	s_mov_b32 s17, exec_lo
	v_cmpx_gt_u32_e32 8, v36
; %bb.2469:                             ;   in Loop: Header=BB294_1574 Depth=1
	s_delay_alu instid0(VALU_DEP_3) | instskip(NEXT) | instid1(VALU_DEP_1)
	v_clz_i32_u32_e32 v7, v33
	v_min_u32_e32 v7, 32, v7
	s_delay_alu instid0(VALU_DEP_1) | instskip(SKIP_1) | instid1(VALU_DEP_2)
	v_subrev_nc_u32_e32 v33, 28, v7
	v_sub_nc_u32_e32 v35, 29, v7
	v_lshlrev_b64_e32 v[36:37], v33, v[0:1]
	s_delay_alu instid0(VALU_DEP_1)
	v_and_b32_e32 v33, 7, v36
; %bb.2470:                             ;   in Loop: Header=BB294_1574 Depth=1
	s_wait_alu 0xfffe
	s_or_b32 exec_lo, exec_lo, s17
	v_lshlrev_b32_e32 v7, 8, v11
	v_lshl_add_u32 v35, v35, 10, 0x2000
	v_lshlrev_b32_e32 v33, 7, v33
	s_delay_alu instid0(VALU_DEP_3) | instskip(NEXT) | instid1(VALU_DEP_3)
	v_and_b32_e32 v7, 0x8000, v7
	v_and_b32_e32 v35, 0xfc00, v35
	s_delay_alu instid0(VALU_DEP_1)
	v_or3_b32 v33, v7, v35, v33
.LBB294_2471:                           ;   in Loop: Header=BB294_1574 Depth=1
	s_wait_alu 0xfffe
	s_or_b32 exec_lo, exec_lo, s16
.LBB294_2472:                           ;   in Loop: Header=BB294_1574 Depth=1
	s_wait_alu 0xfffe
	s_or_b32 exec_lo, exec_lo, s15
.LBB294_2473:                           ;   in Loop: Header=BB294_1574 Depth=1
	s_wait_alu 0xfffe
	s_or_b32 exec_lo, exec_lo, s14
	v_lshrrev_b16 v0, 8, v0
	v_mov_b32_e32 v35, 0
	s_mov_b32 s14, exec_lo
	s_delay_alu instid0(VALU_DEP_2)
	v_cmpx_ne_u16_e32 0, v0
	s_cbranch_execz .LBB294_2481
; %bb.2474:                             ;   in Loop: Header=BB294_1574 Depth=1
	v_bfrev_b32_e32 v35, 1
	s_mov_b32 s15, exec_lo
	v_cmpx_ne_u16_e32 0x80, v0
	s_cbranch_execz .LBB294_2480
; %bb.2475:                             ;   in Loop: Header=BB294_1574 Depth=1
	v_and_b32_e32 v36, 0xffff, v0
	v_mov_b32_e32 v35, 0x7c010000
	s_mov_b32 s16, exec_lo
	s_delay_alu instid0(VALU_DEP_2) | instskip(NEXT) | instid1(VALU_DEP_1)
	v_and_b32_e32 v38, 0x7f, v36
	v_cmpx_ne_u32_e32 0x7f, v38
	s_cbranch_execz .LBB294_2479
; %bb.2476:                             ;   in Loop: Header=BB294_1574 Depth=1
	v_and_b32_e32 v35, 7, v36
	v_lshrrev_b32_e32 v37, 3, v38
	s_mov_b32 s17, exec_lo
	v_cmpx_gt_u32_e32 8, v38
; %bb.2477:                             ;   in Loop: Header=BB294_1574 Depth=1
	s_delay_alu instid0(VALU_DEP_3) | instskip(NEXT) | instid1(VALU_DEP_1)
	v_clz_i32_u32_e32 v7, v35
	v_min_u32_e32 v7, 32, v7
	s_delay_alu instid0(VALU_DEP_1) | instskip(SKIP_1) | instid1(VALU_DEP_2)
	v_subrev_nc_u32_e32 v35, 28, v7
	v_sub_nc_u32_e32 v37, 29, v7
	v_lshlrev_b64_e32 v[38:39], v35, v[0:1]
	s_delay_alu instid0(VALU_DEP_1)
	v_and_b32_e32 v35, 7, v38
; %bb.2478:                             ;   in Loop: Header=BB294_1574 Depth=1
	s_wait_alu 0xfffe
	s_or_b32 exec_lo, exec_lo, s17
	v_lshlrev_b32_e32 v0, 8, v36
	v_lshl_add_u32 v7, v37, 10, 0x2000
	s_delay_alu instid0(VALU_DEP_1) | instskip(SKIP_1) | instid1(VALU_DEP_1)
	v_and_or_b32 v0, 0x8000, v0, v7
	v_lshlrev_b32_e32 v7, 23, v35
	v_lshl_or_b32 v35, v0, 16, v7
.LBB294_2479:                           ;   in Loop: Header=BB294_1574 Depth=1
	s_wait_alu 0xfffe
	s_or_b32 exec_lo, exec_lo, s16
.LBB294_2480:                           ;   in Loop: Header=BB294_1574 Depth=1
	s_wait_alu 0xfffe
	s_or_b32 exec_lo, exec_lo, s15
.LBB294_2481:                           ;   in Loop: Header=BB294_1574 Depth=1
	s_wait_alu 0xfffe
	s_or_b32 exec_lo, exec_lo, s14
	v_lshrrev_b32_e32 v0, 16, v11
	s_mov_b32 s14, exec_lo
	s_delay_alu instid0(VALU_DEP_1) | instskip(NEXT) | instid1(VALU_DEP_1)
	v_and_b32_e32 v36, 0xff, v0
	v_cmpx_ne_u16_e32 0, v36
	s_cbranch_execz .LBB294_2489
; %bb.2482:                             ;   in Loop: Header=BB294_1574 Depth=1
	v_mov_b32_e32 v23, 0x8000
	s_mov_b32 s15, exec_lo
	v_cmpx_ne_u16_e32 0x80, v36
	s_cbranch_execz .LBB294_2488
; %bb.2483:                             ;   in Loop: Header=BB294_1574 Depth=1
	v_bfe_u32 v37, v11, 16, 7
	v_mov_b32_e32 v23, 0x7c01
	s_mov_b32 s16, exec_lo
	s_delay_alu instid0(VALU_DEP_2)
	v_cmpx_ne_u32_e32 0x7f, v37
	s_cbranch_execz .LBB294_2487
; %bb.2484:                             ;   in Loop: Header=BB294_1574 Depth=1
	v_and_b32_e32 v23, 7, v0
	v_lshrrev_b32_e32 v36, 3, v37
	s_mov_b32 s17, exec_lo
	v_cmpx_gt_u32_e32 8, v37
; %bb.2485:                             ;   in Loop: Header=BB294_1574 Depth=1
	s_delay_alu instid0(VALU_DEP_3) | instskip(NEXT) | instid1(VALU_DEP_1)
	v_clz_i32_u32_e32 v7, v23
	v_min_u32_e32 v7, 32, v7
	s_delay_alu instid0(VALU_DEP_1) | instskip(SKIP_1) | instid1(VALU_DEP_2)
	v_subrev_nc_u32_e32 v23, 28, v7
	v_sub_nc_u32_e32 v36, 29, v7
	v_lshlrev_b64_e32 v[37:38], v23, v[0:1]
	s_delay_alu instid0(VALU_DEP_1)
	v_and_b32_e32 v23, 7, v37
; %bb.2486:                             ;   in Loop: Header=BB294_1574 Depth=1
	s_wait_alu 0xfffe
	s_or_b32 exec_lo, exec_lo, s17
	v_lshlrev_b32_e32 v0, 8, v0
	v_lshl_add_u32 v7, v36, 10, 0x2000
	v_lshlrev_b32_e32 v23, 7, v23
	s_delay_alu instid0(VALU_DEP_3) | instskip(NEXT) | instid1(VALU_DEP_3)
	v_and_b32_e32 v0, 0x8000, v0
	v_and_b32_e32 v7, 0xfc00, v7
	s_delay_alu instid0(VALU_DEP_1)
	v_or3_b32 v23, v0, v7, v23
.LBB294_2487:                           ;   in Loop: Header=BB294_1574 Depth=1
	s_wait_alu 0xfffe
	s_or_b32 exec_lo, exec_lo, s16
.LBB294_2488:                           ;   in Loop: Header=BB294_1574 Depth=1
	s_wait_alu 0xfffe
	s_or_b32 exec_lo, exec_lo, s15
.LBB294_2489:                           ;   in Loop: Header=BB294_1574 Depth=1
	s_wait_alu 0xfffe
	s_or_b32 exec_lo, exec_lo, s14
	v_cmp_lt_u64_e64 s0, s[8:9], v[10:11]
	v_mov_b32_e32 v10, 0
	s_and_saveexec_b32 s14, s0
	s_cbranch_execz .LBB294_2497
; %bb.2490:                             ;   in Loop: Header=BB294_1574 Depth=1
	v_lshrrev_b32_e32 v0, 24, v11
	v_bfrev_b32_e32 v10, 1
	s_mov_b32 s15, exec_lo
	s_delay_alu instid0(VALU_DEP_2)
	v_cmpx_ne_u32_e32 0x80, v0
	s_cbranch_execz .LBB294_2496
; %bb.2491:                             ;   in Loop: Header=BB294_1574 Depth=1
	v_and_b32_e32 v36, 0x7f, v0
	v_mov_b32_e32 v10, 0x7c010000
	s_mov_b32 s16, exec_lo
	s_delay_alu instid0(VALU_DEP_2)
	v_cmpx_ne_u32_e32 0x7f, v36
	s_cbranch_execz .LBB294_2495
; %bb.2492:                             ;   in Loop: Header=BB294_1574 Depth=1
	v_and_b32_e32 v10, 7, v0
	v_lshrrev_b32_e32 v11, 3, v36
	s_mov_b32 s17, exec_lo
	v_cmpx_gt_u32_e32 8, v36
; %bb.2493:                             ;   in Loop: Header=BB294_1574 Depth=1
	s_delay_alu instid0(VALU_DEP_3) | instskip(NEXT) | instid1(VALU_DEP_1)
	v_clz_i32_u32_e32 v7, v10
	v_min_u32_e32 v7, 32, v7
	s_delay_alu instid0(VALU_DEP_1) | instskip(NEXT) | instid1(VALU_DEP_1)
	v_subrev_nc_u32_e32 v10, 28, v7
	v_lshlrev_b64_e32 v[10:11], v10, v[0:1]
	v_sub_nc_u32_e32 v11, 29, v7
	s_delay_alu instid0(VALU_DEP_2)
	v_and_b32_e32 v10, 7, v10
; %bb.2494:                             ;   in Loop: Header=BB294_1574 Depth=1
	s_wait_alu 0xfffe
	s_or_b32 exec_lo, exec_lo, s17
	v_lshlrev_b32_e32 v0, 8, v0
	v_lshl_add_u32 v7, v11, 10, 0x2000
	s_delay_alu instid0(VALU_DEP_1) | instskip(SKIP_1) | instid1(VALU_DEP_1)
	v_and_or_b32 v0, 0x8000, v0, v7
	v_lshlrev_b32_e32 v7, 23, v10
	v_lshl_or_b32 v10, v0, 16, v7
.LBB294_2495:                           ;   in Loop: Header=BB294_1574 Depth=1
	s_wait_alu 0xfffe
	s_or_b32 exec_lo, exec_lo, s16
.LBB294_2496:                           ;   in Loop: Header=BB294_1574 Depth=1
	s_wait_alu 0xfffe
	s_or_b32 exec_lo, exec_lo, s15
.LBB294_2497:                           ;   in Loop: Header=BB294_1574 Depth=1
	s_wait_alu 0xfffe
	s_or_b32 exec_lo, exec_lo, s14
	v_or_b32_e32 v0, v12, v22
	s_wait_loadcnt_dscnt 0x0
	v_fma_mixlo_f16 v7, v4, v12, 0 op_sel:[0,1,0] op_sel_hi:[0,1,0]
	v_or_b32_e32 v6, v5, v6
	v_or_b32_e32 v12, v35, v33
	;; [unrolled: 1-line block ×3, first 2 shown]
	v_fma_mixlo_f16 v5, v4, v5, 0 op_sel:[0,1,0] op_sel_hi:[0,1,0]
	v_fma_mixlo_f16 v22, v4, v0, 0 op_sel_hi:[0,1,0]
	v_lshlrev_b32_e32 v0, 16, v7
	v_fma_mixlo_f16 v6, v4, v6, 0 op_sel_hi:[0,1,0]
	v_fma_mixlo_f16 v7, v4, v35, 0 op_sel:[0,1,0] op_sel_hi:[0,1,0]
	v_fma_mixlo_f16 v12, v4, v12, 0 op_sel_hi:[0,1,0]
	v_fma_mixlo_f16 v10, v4, v10, 0 op_sel:[0,1,0] op_sel_hi:[0,1,0]
	v_fma_mixlo_f16 v23, v4, v23, 0 op_sel_hi:[0,1,0]
	v_lshlrev_b32_e32 v11, 16, v5
	v_and_b32_e32 v5, 0xffff, v22
	v_and_b32_e32 v36, 0xffff, v6
	v_lshlrev_b32_e32 v6, 16, v7
	v_and_b32_e32 v22, 0xffff, v12
	v_lshlrev_b32_e32 v4, 16, v10
	v_and_b32_e32 v10, 0xffff, v23
	v_or_b32_e32 v12, v0, v5
	v_or_b32_e32 v35, v11, v36
	;; [unrolled: 1-line block ×3, first 2 shown]
	s_delay_alu instid0(VALU_DEP_4)
	v_or_b32_e32 v23, v4, v10
	s_and_saveexec_b32 s14, vcc_lo
	s_cbranch_execz .LBB294_2499
; %bb.2498:                             ;   in Loop: Header=BB294_1574 Depth=1
	v_cmp_lt_i32_e64 s0, v49, v34
	s_wait_alu 0xf1ff
	s_delay_alu instid0(VALU_DEP_1) | instskip(SKIP_2) | instid1(VALU_DEP_1)
	v_cndmask_b32_e64 v7, 0, v36, s0
	v_cmp_lt_i32_e64 s0, v101, v34
	s_wait_alu 0xf1ff
	v_cndmask_b32_e64 v11, 0, v11, s0
	v_cmp_lt_i32_e64 s0, v100, v34
	s_delay_alu instid0(VALU_DEP_2) | instskip(SKIP_1) | instid1(VALU_DEP_2)
	v_or_b32_e32 v35, v7, v11
	s_wait_alu 0xf1ff
	v_cndmask_b32_e64 v5, 0, v5, s0
	v_cmp_lt_i32_e64 s0, v99, v34
	s_wait_alu 0xf1ff
	s_delay_alu instid0(VALU_DEP_1) | instskip(SKIP_1) | instid1(VALU_DEP_2)
	v_cndmask_b32_e64 v0, 0, v0, s0
	v_cmp_lt_i32_e64 s0, v98, v34
	v_or_b32_e32 v12, v5, v0
	s_wait_alu 0xf1ff
	s_delay_alu instid0(VALU_DEP_2) | instskip(SKIP_2) | instid1(VALU_DEP_1)
	v_cndmask_b32_e64 v22, 0, v22, s0
	v_cmp_lt_i32_e64 s0, v97, v34
	s_wait_alu 0xf1ff
	v_cndmask_b32_e64 v6, 0, v6, s0
	v_cmp_lt_i32_e64 s0, v96, v34
	s_delay_alu instid0(VALU_DEP_2) | instskip(SKIP_1) | instid1(VALU_DEP_2)
	v_or_b32_e32 v33, v22, v6
	s_wait_alu 0xf1ff
	v_cndmask_b32_e64 v10, 0, v10, s0
	v_cmp_lt_i32_e64 s0, v87, v34
	s_wait_alu 0xf1ff
	s_delay_alu instid0(VALU_DEP_1) | instskip(NEXT) | instid1(VALU_DEP_1)
	v_cndmask_b32_e64 v4, 0, v4, s0
	v_or_b32_e32 v23, v10, v4
.LBB294_2499:                           ;   in Loop: Header=BB294_1574 Depth=1
	s_wait_alu 0xfffe
	s_or_b32 exec_lo, exec_lo, s14
	;;#ASMSTART
	v_pk_mul_f16 v0, v86, v35;

	;;#ASMEND
	;;#ASMSTART
	v_pk_mul_f16 v4, v85, v12;

	;;#ASMEND
	;; [unrolled: 4-line block ×4, first 2 shown]
	;;#ASMSTART
	v_pk_add_f16 v0, v0, v4;

	;;#ASMEND
	;;#ASMSTART
	v_pk_add_f16 v0, v0, v5;

	;;#ASMEND
	;; [unrolled: 4-line block ×3, first 2 shown]
	v_dual_mov_b32 v5, 0 :: v_dual_and_b32 v4, 0xffff, v0
	v_lshrrev_b32_e32 v0, 16, v0
	;;#ASMSTART
	v_cvt_f32_f16 v150, v4;
	;;#ASMEND
	;;#ASMSTART
	v_cvt_f32_f16 v151, v0;
	;;#ASMEND
	flat_load_b64 v[10:11], v[8:9] offset:3584
	flat_load_b32 v4, v[26:27]
	v_mov_b32_e32 v6, 0
	s_mov_b32 s14, exec_lo
	s_wait_loadcnt_dscnt 0x101
	v_and_b32_e32 v0, 0xff, v10
	s_delay_alu instid0(VALU_DEP_1)
	v_cmpx_ne_u16_e32 0, v0
	s_cbranch_execz .LBB294_2507
; %bb.2500:                             ;   in Loop: Header=BB294_1574 Depth=1
	v_mov_b32_e32 v6, 0x8000
	s_mov_b32 s15, exec_lo
	v_cmpx_ne_u16_e32 0x80, v0
	s_cbranch_execz .LBB294_2506
; %bb.2501:                             ;   in Loop: Header=BB294_1574 Depth=1
	v_and_b32_e32 v12, 0x7f, v10
	v_mov_b32_e32 v6, 0x7c01
	s_mov_b32 s16, exec_lo
	s_delay_alu instid0(VALU_DEP_2)
	v_cmpx_ne_u32_e32 0x7f, v12
	s_cbranch_execz .LBB294_2505
; %bb.2502:                             ;   in Loop: Header=BB294_1574 Depth=1
	v_and_b32_e32 v0, 7, v10
	v_lshrrev_b32_e32 v6, 3, v12
	s_mov_b32 s17, exec_lo
	v_cmpx_gt_u32_e32 8, v12
; %bb.2503:                             ;   in Loop: Header=BB294_1574 Depth=1
	s_delay_alu instid0(VALU_DEP_3) | instskip(NEXT) | instid1(VALU_DEP_1)
	v_clz_i32_u32_e32 v0, v0
	v_min_u32_e32 v0, 32, v0
	s_delay_alu instid0(VALU_DEP_1) | instskip(NEXT) | instid1(VALU_DEP_1)
	v_subrev_nc_u32_e32 v6, 28, v0
	v_lshlrev_b64_e32 v[22:23], v6, v[10:11]
	v_sub_nc_u32_e32 v6, 29, v0
	s_delay_alu instid0(VALU_DEP_2)
	v_and_b32_e32 v0, 7, v22
; %bb.2504:                             ;   in Loop: Header=BB294_1574 Depth=1
	s_wait_alu 0xfffe
	s_or_b32 exec_lo, exec_lo, s17
	v_lshlrev_b32_e32 v7, 8, v10
	v_lshl_add_u32 v6, v6, 10, 0x2000
	v_lshlrev_b32_e32 v0, 7, v0
	s_delay_alu instid0(VALU_DEP_3) | instskip(NEXT) | instid1(VALU_DEP_3)
	v_and_b32_e32 v7, 0x8000, v7
	v_and_b32_e32 v6, 0xfc00, v6
	s_delay_alu instid0(VALU_DEP_1)
	v_or3_b32 v6, v7, v6, v0
.LBB294_2505:                           ;   in Loop: Header=BB294_1574 Depth=1
	s_wait_alu 0xfffe
	s_or_b32 exec_lo, exec_lo, s16
.LBB294_2506:                           ;   in Loop: Header=BB294_1574 Depth=1
	s_wait_alu 0xfffe
	s_or_b32 exec_lo, exec_lo, s15
.LBB294_2507:                           ;   in Loop: Header=BB294_1574 Depth=1
	s_wait_alu 0xfffe
	s_or_b32 exec_lo, exec_lo, s14
	v_lshrrev_b16 v0, 8, v10
	s_mov_b32 s14, exec_lo
	s_delay_alu instid0(VALU_DEP_1)
	v_cmpx_ne_u16_e32 0, v0
	s_cbranch_execz .LBB294_2515
; %bb.2508:                             ;   in Loop: Header=BB294_1574 Depth=1
	v_bfrev_b32_e32 v5, 1
	s_mov_b32 s15, exec_lo
	v_cmpx_ne_u16_e32 0x80, v0
	s_cbranch_execz .LBB294_2514
; %bb.2509:                             ;   in Loop: Header=BB294_1574 Depth=1
	v_and_b32_e32 v12, 0xffff, v0
	v_mov_b32_e32 v5, 0x7c010000
	s_mov_b32 s16, exec_lo
	s_delay_alu instid0(VALU_DEP_2) | instskip(NEXT) | instid1(VALU_DEP_1)
	v_and_b32_e32 v23, 0x7f, v12
	v_cmpx_ne_u32_e32 0x7f, v23
	s_cbranch_execz .LBB294_2513
; %bb.2510:                             ;   in Loop: Header=BB294_1574 Depth=1
	v_and_b32_e32 v5, 7, v12
	v_lshrrev_b32_e32 v22, 3, v23
	s_mov_b32 s17, exec_lo
	v_cmpx_gt_u32_e32 8, v23
; %bb.2511:                             ;   in Loop: Header=BB294_1574 Depth=1
	s_delay_alu instid0(VALU_DEP_3) | instskip(NEXT) | instid1(VALU_DEP_1)
	v_clz_i32_u32_e32 v5, v5
	v_min_u32_e32 v5, 32, v5
	s_delay_alu instid0(VALU_DEP_1) | instskip(SKIP_1) | instid1(VALU_DEP_2)
	v_subrev_nc_u32_e32 v7, 28, v5
	v_sub_nc_u32_e32 v22, 29, v5
	v_lshlrev_b64_e32 v[35:36], v7, v[0:1]
	s_delay_alu instid0(VALU_DEP_1)
	v_and_b32_e32 v5, 7, v35
; %bb.2512:                             ;   in Loop: Header=BB294_1574 Depth=1
	s_wait_alu 0xfffe
	s_or_b32 exec_lo, exec_lo, s17
	v_lshlrev_b32_e32 v0, 8, v12
	v_lshl_add_u32 v7, v22, 10, 0x2000
	v_lshlrev_b32_e32 v5, 23, v5
	s_delay_alu instid0(VALU_DEP_2) | instskip(NEXT) | instid1(VALU_DEP_1)
	v_and_or_b32 v0, 0x8000, v0, v7
	v_lshl_or_b32 v5, v0, 16, v5
.LBB294_2513:                           ;   in Loop: Header=BB294_1574 Depth=1
	s_wait_alu 0xfffe
	s_or_b32 exec_lo, exec_lo, s16
.LBB294_2514:                           ;   in Loop: Header=BB294_1574 Depth=1
	s_wait_alu 0xfffe
	s_or_b32 exec_lo, exec_lo, s15
.LBB294_2515:                           ;   in Loop: Header=BB294_1574 Depth=1
	s_wait_alu 0xfffe
	s_or_b32 exec_lo, exec_lo, s14
	v_lshrrev_b32_e32 v0, 16, v10
	v_mov_b32_e32 v22, 0
	s_mov_b32 s14, exec_lo
	s_delay_alu instid0(VALU_DEP_2) | instskip(NEXT) | instid1(VALU_DEP_1)
	v_dual_mov_b32 v12, 0 :: v_dual_and_b32 v23, 0xff, v0
	v_cmpx_ne_u16_e32 0, v23
	s_cbranch_execz .LBB294_2523
; %bb.2516:                             ;   in Loop: Header=BB294_1574 Depth=1
	v_mov_b32_e32 v22, 0x8000
	s_mov_b32 s15, exec_lo
	v_cmpx_ne_u16_e32 0x80, v23
	s_cbranch_execz .LBB294_2522
; %bb.2517:                             ;   in Loop: Header=BB294_1574 Depth=1
	v_bfe_u32 v33, v10, 16, 7
	v_mov_b32_e32 v22, 0x7c01
	s_mov_b32 s16, exec_lo
	s_delay_alu instid0(VALU_DEP_2)
	v_cmpx_ne_u32_e32 0x7f, v33
	s_cbranch_execz .LBB294_2521
; %bb.2518:                             ;   in Loop: Header=BB294_1574 Depth=1
	v_and_b32_e32 v22, 7, v0
	v_lshrrev_b32_e32 v23, 3, v33
	s_mov_b32 s17, exec_lo
	v_cmpx_gt_u32_e32 8, v33
; %bb.2519:                             ;   in Loop: Header=BB294_1574 Depth=1
	s_delay_alu instid0(VALU_DEP_3) | instskip(NEXT) | instid1(VALU_DEP_1)
	v_clz_i32_u32_e32 v7, v22
	v_min_u32_e32 v7, 32, v7
	s_delay_alu instid0(VALU_DEP_1) | instskip(NEXT) | instid1(VALU_DEP_1)
	v_subrev_nc_u32_e32 v22, 28, v7
	v_lshlrev_b64_e32 v[22:23], v22, v[0:1]
	v_sub_nc_u32_e32 v23, 29, v7
	s_delay_alu instid0(VALU_DEP_2)
	v_and_b32_e32 v22, 7, v22
; %bb.2520:                             ;   in Loop: Header=BB294_1574 Depth=1
	s_wait_alu 0xfffe
	s_or_b32 exec_lo, exec_lo, s17
	v_lshlrev_b32_e32 v0, 8, v0
	v_lshl_add_u32 v7, v23, 10, 0x2000
	v_lshlrev_b32_e32 v22, 7, v22
	s_delay_alu instid0(VALU_DEP_3) | instskip(NEXT) | instid1(VALU_DEP_3)
	v_and_b32_e32 v0, 0x8000, v0
	v_and_b32_e32 v7, 0xfc00, v7
	s_delay_alu instid0(VALU_DEP_1)
	v_or3_b32 v22, v0, v7, v22
.LBB294_2521:                           ;   in Loop: Header=BB294_1574 Depth=1
	s_wait_alu 0xfffe
	s_or_b32 exec_lo, exec_lo, s16
.LBB294_2522:                           ;   in Loop: Header=BB294_1574 Depth=1
	s_wait_alu 0xfffe
	s_or_b32 exec_lo, exec_lo, s15
.LBB294_2523:                           ;   in Loop: Header=BB294_1574 Depth=1
	s_wait_alu 0xfffe
	s_or_b32 exec_lo, exec_lo, s14
	s_delay_alu instid0(SALU_CYCLE_1)
	s_mov_b32 s14, exec_lo
	v_cmpx_lt_u32_e32 0xffffff, v10
	s_cbranch_execz .LBB294_2531
; %bb.2524:                             ;   in Loop: Header=BB294_1574 Depth=1
	v_lshrrev_b32_e32 v0, 24, v10
	v_bfrev_b32_e32 v12, 1
	s_mov_b32 s15, exec_lo
	s_delay_alu instid0(VALU_DEP_2)
	v_cmpx_ne_u32_e32 0x80, v0
	s_cbranch_execz .LBB294_2530
; %bb.2525:                             ;   in Loop: Header=BB294_1574 Depth=1
	v_and_b32_e32 v33, 0x7f, v0
	v_mov_b32_e32 v12, 0x7c010000
	s_mov_b32 s16, exec_lo
	s_delay_alu instid0(VALU_DEP_2)
	v_cmpx_ne_u32_e32 0x7f, v33
	s_cbranch_execz .LBB294_2529
; %bb.2526:                             ;   in Loop: Header=BB294_1574 Depth=1
	v_and_b32_e32 v12, 7, v0
	v_lshrrev_b32_e32 v23, 3, v33
	s_mov_b32 s17, exec_lo
	v_cmpx_gt_u32_e32 8, v33
; %bb.2527:                             ;   in Loop: Header=BB294_1574 Depth=1
	s_delay_alu instid0(VALU_DEP_3) | instskip(NEXT) | instid1(VALU_DEP_1)
	v_clz_i32_u32_e32 v7, v12
	v_min_u32_e32 v7, 32, v7
	s_delay_alu instid0(VALU_DEP_1) | instskip(SKIP_1) | instid1(VALU_DEP_2)
	v_subrev_nc_u32_e32 v12, 28, v7
	v_sub_nc_u32_e32 v23, 29, v7
	v_lshlrev_b64_e32 v[35:36], v12, v[0:1]
	s_delay_alu instid0(VALU_DEP_1)
	v_and_b32_e32 v12, 7, v35
; %bb.2528:                             ;   in Loop: Header=BB294_1574 Depth=1
	s_wait_alu 0xfffe
	s_or_b32 exec_lo, exec_lo, s17
	v_lshlrev_b32_e32 v0, 8, v0
	v_lshl_add_u32 v7, v23, 10, 0x2000
	s_delay_alu instid0(VALU_DEP_1) | instskip(SKIP_1) | instid1(VALU_DEP_1)
	v_and_or_b32 v0, 0x8000, v0, v7
	v_lshlrev_b32_e32 v7, 23, v12
	v_lshl_or_b32 v12, v0, 16, v7
.LBB294_2529:                           ;   in Loop: Header=BB294_1574 Depth=1
	s_wait_alu 0xfffe
	s_or_b32 exec_lo, exec_lo, s16
.LBB294_2530:                           ;   in Loop: Header=BB294_1574 Depth=1
	s_wait_alu 0xfffe
	s_or_b32 exec_lo, exec_lo, s15
.LBB294_2531:                           ;   in Loop: Header=BB294_1574 Depth=1
	s_wait_alu 0xfffe
	s_or_b32 exec_lo, exec_lo, s14
	v_dual_mov_b32 v0, v11 :: v_dual_and_b32 v35, 0xff, v11
	v_mov_b32_e32 v23, 0
	v_mov_b32_e32 v33, 0
	s_mov_b32 s14, exec_lo
	s_delay_alu instid0(VALU_DEP_3)
	v_cmpx_ne_u16_e32 0, v35
	s_cbranch_execz .LBB294_2539
; %bb.2532:                             ;   in Loop: Header=BB294_1574 Depth=1
	v_mov_b32_e32 v33, 0x8000
	s_mov_b32 s15, exec_lo
	v_cmpx_ne_u16_e32 0x80, v35
	s_cbranch_execz .LBB294_2538
; %bb.2533:                             ;   in Loop: Header=BB294_1574 Depth=1
	v_and_b32_e32 v36, 0x7f, v11
	v_mov_b32_e32 v33, 0x7c01
	s_mov_b32 s16, exec_lo
	s_delay_alu instid0(VALU_DEP_2)
	v_cmpx_ne_u32_e32 0x7f, v36
	s_cbranch_execz .LBB294_2537
; %bb.2534:                             ;   in Loop: Header=BB294_1574 Depth=1
	v_and_b32_e32 v33, 7, v11
	v_lshrrev_b32_e32 v35, 3, v36
	s_mov_b32 s17, exec_lo
	v_cmpx_gt_u32_e32 8, v36
; %bb.2535:                             ;   in Loop: Header=BB294_1574 Depth=1
	s_delay_alu instid0(VALU_DEP_3) | instskip(NEXT) | instid1(VALU_DEP_1)
	v_clz_i32_u32_e32 v7, v33
	v_min_u32_e32 v7, 32, v7
	s_delay_alu instid0(VALU_DEP_1) | instskip(SKIP_1) | instid1(VALU_DEP_2)
	v_subrev_nc_u32_e32 v33, 28, v7
	v_sub_nc_u32_e32 v35, 29, v7
	v_lshlrev_b64_e32 v[36:37], v33, v[0:1]
	s_delay_alu instid0(VALU_DEP_1)
	v_and_b32_e32 v33, 7, v36
; %bb.2536:                             ;   in Loop: Header=BB294_1574 Depth=1
	s_wait_alu 0xfffe
	s_or_b32 exec_lo, exec_lo, s17
	v_lshlrev_b32_e32 v7, 8, v11
	v_lshl_add_u32 v35, v35, 10, 0x2000
	v_lshlrev_b32_e32 v33, 7, v33
	s_delay_alu instid0(VALU_DEP_3) | instskip(NEXT) | instid1(VALU_DEP_3)
	v_and_b32_e32 v7, 0x8000, v7
	v_and_b32_e32 v35, 0xfc00, v35
	s_delay_alu instid0(VALU_DEP_1)
	v_or3_b32 v33, v7, v35, v33
.LBB294_2537:                           ;   in Loop: Header=BB294_1574 Depth=1
	s_wait_alu 0xfffe
	s_or_b32 exec_lo, exec_lo, s16
.LBB294_2538:                           ;   in Loop: Header=BB294_1574 Depth=1
	s_wait_alu 0xfffe
	s_or_b32 exec_lo, exec_lo, s15
.LBB294_2539:                           ;   in Loop: Header=BB294_1574 Depth=1
	s_wait_alu 0xfffe
	s_or_b32 exec_lo, exec_lo, s14
	v_lshrrev_b16 v0, 8, v0
	v_mov_b32_e32 v35, 0
	s_mov_b32 s14, exec_lo
	s_delay_alu instid0(VALU_DEP_2)
	v_cmpx_ne_u16_e32 0, v0
	s_cbranch_execz .LBB294_2547
; %bb.2540:                             ;   in Loop: Header=BB294_1574 Depth=1
	v_bfrev_b32_e32 v35, 1
	s_mov_b32 s15, exec_lo
	v_cmpx_ne_u16_e32 0x80, v0
	s_cbranch_execz .LBB294_2546
; %bb.2541:                             ;   in Loop: Header=BB294_1574 Depth=1
	v_and_b32_e32 v36, 0xffff, v0
	v_mov_b32_e32 v35, 0x7c010000
	s_mov_b32 s16, exec_lo
	s_delay_alu instid0(VALU_DEP_2) | instskip(NEXT) | instid1(VALU_DEP_1)
	v_and_b32_e32 v38, 0x7f, v36
	v_cmpx_ne_u32_e32 0x7f, v38
	s_cbranch_execz .LBB294_2545
; %bb.2542:                             ;   in Loop: Header=BB294_1574 Depth=1
	v_and_b32_e32 v35, 7, v36
	v_lshrrev_b32_e32 v37, 3, v38
	s_mov_b32 s17, exec_lo
	v_cmpx_gt_u32_e32 8, v38
; %bb.2543:                             ;   in Loop: Header=BB294_1574 Depth=1
	s_delay_alu instid0(VALU_DEP_3) | instskip(NEXT) | instid1(VALU_DEP_1)
	v_clz_i32_u32_e32 v7, v35
	v_min_u32_e32 v7, 32, v7
	s_delay_alu instid0(VALU_DEP_1) | instskip(SKIP_1) | instid1(VALU_DEP_2)
	v_subrev_nc_u32_e32 v35, 28, v7
	v_sub_nc_u32_e32 v37, 29, v7
	v_lshlrev_b64_e32 v[38:39], v35, v[0:1]
	s_delay_alu instid0(VALU_DEP_1)
	v_and_b32_e32 v35, 7, v38
; %bb.2544:                             ;   in Loop: Header=BB294_1574 Depth=1
	s_wait_alu 0xfffe
	s_or_b32 exec_lo, exec_lo, s17
	v_lshlrev_b32_e32 v0, 8, v36
	v_lshl_add_u32 v7, v37, 10, 0x2000
	s_delay_alu instid0(VALU_DEP_1) | instskip(SKIP_1) | instid1(VALU_DEP_1)
	v_and_or_b32 v0, 0x8000, v0, v7
	v_lshlrev_b32_e32 v7, 23, v35
	v_lshl_or_b32 v35, v0, 16, v7
.LBB294_2545:                           ;   in Loop: Header=BB294_1574 Depth=1
	s_wait_alu 0xfffe
	s_or_b32 exec_lo, exec_lo, s16
.LBB294_2546:                           ;   in Loop: Header=BB294_1574 Depth=1
	s_wait_alu 0xfffe
	s_or_b32 exec_lo, exec_lo, s15
.LBB294_2547:                           ;   in Loop: Header=BB294_1574 Depth=1
	s_wait_alu 0xfffe
	s_or_b32 exec_lo, exec_lo, s14
	v_lshrrev_b32_e32 v0, 16, v11
	s_mov_b32 s14, exec_lo
	s_delay_alu instid0(VALU_DEP_1) | instskip(NEXT) | instid1(VALU_DEP_1)
	v_and_b32_e32 v36, 0xff, v0
	v_cmpx_ne_u16_e32 0, v36
	s_cbranch_execz .LBB294_2555
; %bb.2548:                             ;   in Loop: Header=BB294_1574 Depth=1
	v_mov_b32_e32 v23, 0x8000
	s_mov_b32 s15, exec_lo
	v_cmpx_ne_u16_e32 0x80, v36
	s_cbranch_execz .LBB294_2554
; %bb.2549:                             ;   in Loop: Header=BB294_1574 Depth=1
	v_bfe_u32 v37, v11, 16, 7
	v_mov_b32_e32 v23, 0x7c01
	s_mov_b32 s16, exec_lo
	s_delay_alu instid0(VALU_DEP_2)
	v_cmpx_ne_u32_e32 0x7f, v37
	s_cbranch_execz .LBB294_2553
; %bb.2550:                             ;   in Loop: Header=BB294_1574 Depth=1
	v_and_b32_e32 v23, 7, v0
	v_lshrrev_b32_e32 v36, 3, v37
	s_mov_b32 s17, exec_lo
	v_cmpx_gt_u32_e32 8, v37
; %bb.2551:                             ;   in Loop: Header=BB294_1574 Depth=1
	s_delay_alu instid0(VALU_DEP_3) | instskip(NEXT) | instid1(VALU_DEP_1)
	v_clz_i32_u32_e32 v7, v23
	v_min_u32_e32 v7, 32, v7
	s_delay_alu instid0(VALU_DEP_1) | instskip(SKIP_1) | instid1(VALU_DEP_2)
	v_subrev_nc_u32_e32 v23, 28, v7
	v_sub_nc_u32_e32 v36, 29, v7
	v_lshlrev_b64_e32 v[37:38], v23, v[0:1]
	s_delay_alu instid0(VALU_DEP_1)
	v_and_b32_e32 v23, 7, v37
; %bb.2552:                             ;   in Loop: Header=BB294_1574 Depth=1
	s_wait_alu 0xfffe
	s_or_b32 exec_lo, exec_lo, s17
	v_lshlrev_b32_e32 v0, 8, v0
	v_lshl_add_u32 v7, v36, 10, 0x2000
	v_lshlrev_b32_e32 v23, 7, v23
	s_delay_alu instid0(VALU_DEP_3) | instskip(NEXT) | instid1(VALU_DEP_3)
	v_and_b32_e32 v0, 0x8000, v0
	v_and_b32_e32 v7, 0xfc00, v7
	s_delay_alu instid0(VALU_DEP_1)
	v_or3_b32 v23, v0, v7, v23
.LBB294_2553:                           ;   in Loop: Header=BB294_1574 Depth=1
	s_wait_alu 0xfffe
	s_or_b32 exec_lo, exec_lo, s16
.LBB294_2554:                           ;   in Loop: Header=BB294_1574 Depth=1
	s_wait_alu 0xfffe
	s_or_b32 exec_lo, exec_lo, s15
.LBB294_2555:                           ;   in Loop: Header=BB294_1574 Depth=1
	s_wait_alu 0xfffe
	s_or_b32 exec_lo, exec_lo, s14
	v_cmp_lt_u64_e64 s0, s[8:9], v[10:11]
	v_mov_b32_e32 v10, 0
	s_and_saveexec_b32 s14, s0
	s_cbranch_execz .LBB294_2563
; %bb.2556:                             ;   in Loop: Header=BB294_1574 Depth=1
	v_lshrrev_b32_e32 v0, 24, v11
	v_bfrev_b32_e32 v10, 1
	s_mov_b32 s15, exec_lo
	s_delay_alu instid0(VALU_DEP_2)
	v_cmpx_ne_u32_e32 0x80, v0
	s_cbranch_execz .LBB294_2562
; %bb.2557:                             ;   in Loop: Header=BB294_1574 Depth=1
	v_and_b32_e32 v36, 0x7f, v0
	v_mov_b32_e32 v10, 0x7c010000
	s_mov_b32 s16, exec_lo
	s_delay_alu instid0(VALU_DEP_2)
	v_cmpx_ne_u32_e32 0x7f, v36
	s_cbranch_execz .LBB294_2561
; %bb.2558:                             ;   in Loop: Header=BB294_1574 Depth=1
	v_and_b32_e32 v10, 7, v0
	v_lshrrev_b32_e32 v11, 3, v36
	s_mov_b32 s17, exec_lo
	v_cmpx_gt_u32_e32 8, v36
; %bb.2559:                             ;   in Loop: Header=BB294_1574 Depth=1
	s_delay_alu instid0(VALU_DEP_3) | instskip(NEXT) | instid1(VALU_DEP_1)
	v_clz_i32_u32_e32 v7, v10
	v_min_u32_e32 v7, 32, v7
	s_delay_alu instid0(VALU_DEP_1) | instskip(NEXT) | instid1(VALU_DEP_1)
	v_subrev_nc_u32_e32 v10, 28, v7
	v_lshlrev_b64_e32 v[10:11], v10, v[0:1]
	v_sub_nc_u32_e32 v11, 29, v7
	s_delay_alu instid0(VALU_DEP_2)
	v_and_b32_e32 v10, 7, v10
; %bb.2560:                             ;   in Loop: Header=BB294_1574 Depth=1
	s_wait_alu 0xfffe
	s_or_b32 exec_lo, exec_lo, s17
	v_lshlrev_b32_e32 v0, 8, v0
	v_lshl_add_u32 v7, v11, 10, 0x2000
	s_delay_alu instid0(VALU_DEP_1) | instskip(SKIP_1) | instid1(VALU_DEP_1)
	v_and_or_b32 v0, 0x8000, v0, v7
	v_lshlrev_b32_e32 v7, 23, v10
	v_lshl_or_b32 v10, v0, 16, v7
.LBB294_2561:                           ;   in Loop: Header=BB294_1574 Depth=1
	s_wait_alu 0xfffe
	s_or_b32 exec_lo, exec_lo, s16
.LBB294_2562:                           ;   in Loop: Header=BB294_1574 Depth=1
	s_wait_alu 0xfffe
	s_or_b32 exec_lo, exec_lo, s15
.LBB294_2563:                           ;   in Loop: Header=BB294_1574 Depth=1
	s_wait_alu 0xfffe
	s_or_b32 exec_lo, exec_lo, s14
	v_or_b32_e32 v0, v12, v22
	s_wait_loadcnt_dscnt 0x0
	v_fma_mixlo_f16 v7, v4, v12, 0 op_sel:[0,1,0] op_sel_hi:[0,1,0]
	v_or_b32_e32 v6, v5, v6
	v_or_b32_e32 v12, v35, v33
	;; [unrolled: 1-line block ×3, first 2 shown]
	v_fma_mixlo_f16 v5, v4, v5, 0 op_sel:[0,1,0] op_sel_hi:[0,1,0]
	v_fma_mixlo_f16 v22, v4, v0, 0 op_sel_hi:[0,1,0]
	v_lshlrev_b32_e32 v0, 16, v7
	v_fma_mixlo_f16 v6, v4, v6, 0 op_sel_hi:[0,1,0]
	v_fma_mixlo_f16 v7, v4, v35, 0 op_sel:[0,1,0] op_sel_hi:[0,1,0]
	v_fma_mixlo_f16 v12, v4, v12, 0 op_sel_hi:[0,1,0]
	v_fma_mixlo_f16 v10, v4, v10, 0 op_sel:[0,1,0] op_sel_hi:[0,1,0]
	v_fma_mixlo_f16 v23, v4, v23, 0 op_sel_hi:[0,1,0]
	v_lshlrev_b32_e32 v11, 16, v5
	v_and_b32_e32 v5, 0xffff, v22
	v_and_b32_e32 v36, 0xffff, v6
	v_lshlrev_b32_e32 v6, 16, v7
	v_and_b32_e32 v22, 0xffff, v12
	v_lshlrev_b32_e32 v4, 16, v10
	v_and_b32_e32 v10, 0xffff, v23
	v_or_b32_e32 v12, v0, v5
	v_or_b32_e32 v35, v11, v36
	v_or_b32_e32 v33, v6, v22
	s_delay_alu instid0(VALU_DEP_4)
	v_or_b32_e32 v23, v4, v10
	s_and_saveexec_b32 s14, vcc_lo
	s_cbranch_execz .LBB294_2565
; %bb.2564:                             ;   in Loop: Header=BB294_1574 Depth=1
	v_cmp_lt_i32_e64 s0, v49, v34
	s_wait_alu 0xf1ff
	s_delay_alu instid0(VALU_DEP_1) | instskip(SKIP_2) | instid1(VALU_DEP_1)
	v_cndmask_b32_e64 v7, 0, v36, s0
	v_cmp_lt_i32_e64 s0, v101, v34
	s_wait_alu 0xf1ff
	v_cndmask_b32_e64 v11, 0, v11, s0
	v_cmp_lt_i32_e64 s0, v100, v34
	s_delay_alu instid0(VALU_DEP_2) | instskip(SKIP_1) | instid1(VALU_DEP_2)
	v_or_b32_e32 v35, v7, v11
	s_wait_alu 0xf1ff
	v_cndmask_b32_e64 v5, 0, v5, s0
	v_cmp_lt_i32_e64 s0, v99, v34
	s_wait_alu 0xf1ff
	s_delay_alu instid0(VALU_DEP_1) | instskip(SKIP_1) | instid1(VALU_DEP_2)
	v_cndmask_b32_e64 v0, 0, v0, s0
	v_cmp_lt_i32_e64 s0, v98, v34
	v_or_b32_e32 v12, v5, v0
	s_wait_alu 0xf1ff
	s_delay_alu instid0(VALU_DEP_2) | instskip(SKIP_2) | instid1(VALU_DEP_1)
	v_cndmask_b32_e64 v22, 0, v22, s0
	v_cmp_lt_i32_e64 s0, v97, v34
	s_wait_alu 0xf1ff
	v_cndmask_b32_e64 v6, 0, v6, s0
	v_cmp_lt_i32_e64 s0, v96, v34
	s_delay_alu instid0(VALU_DEP_2) | instskip(SKIP_1) | instid1(VALU_DEP_2)
	v_or_b32_e32 v33, v22, v6
	s_wait_alu 0xf1ff
	v_cndmask_b32_e64 v10, 0, v10, s0
	v_cmp_lt_i32_e64 s0, v87, v34
	s_wait_alu 0xf1ff
	s_delay_alu instid0(VALU_DEP_1) | instskip(NEXT) | instid1(VALU_DEP_1)
	v_cndmask_b32_e64 v4, 0, v4, s0
	v_or_b32_e32 v23, v10, v4
.LBB294_2565:                           ;   in Loop: Header=BB294_1574 Depth=1
	s_wait_alu 0xfffe
	s_or_b32 exec_lo, exec_lo, s14
	;;#ASMSTART
	v_pk_mul_f16 v0, v86, v35;

	;;#ASMEND
	;;#ASMSTART
	v_pk_mul_f16 v4, v85, v12;

	;;#ASMEND
	;; [unrolled: 4-line block ×4, first 2 shown]
	;;#ASMSTART
	v_pk_add_f16 v0, v0, v4;

	;;#ASMEND
	;;#ASMSTART
	v_pk_add_f16 v0, v0, v5;

	;;#ASMEND
	;; [unrolled: 4-line block ×3, first 2 shown]
	v_and_b32_e32 v4, 0xffff, v0
	v_lshrrev_b32_e32 v0, 16, v0
	;;#ASMSTART
	v_cvt_f32_f16 v4, v4;
	;;#ASMEND
	;;#ASMSTART
	v_cvt_f32_f16 v5, v0;
	;;#ASMEND
	flat_load_b64 v[10:11], v[8:9] offset:3840
	flat_load_b32 v6, v[26:27]
	v_mov_b32_e32 v12, 0
	v_mov_b32_e32 v22, 0
	s_mov_b32 s14, exec_lo
	s_wait_loadcnt_dscnt 0x101
	v_and_b32_e32 v0, 0xff, v10
	s_delay_alu instid0(VALU_DEP_1)
	v_cmpx_ne_u16_e32 0, v0
	s_cbranch_execz .LBB294_2573
; %bb.2566:                             ;   in Loop: Header=BB294_1574 Depth=1
	v_mov_b32_e32 v22, 0x8000
	s_mov_b32 s15, exec_lo
	v_cmpx_ne_u16_e32 0x80, v0
	s_cbranch_execz .LBB294_2572
; %bb.2567:                             ;   in Loop: Header=BB294_1574 Depth=1
	v_and_b32_e32 v23, 0x7f, v10
	v_mov_b32_e32 v22, 0x7c01
	s_mov_b32 s16, exec_lo
	s_delay_alu instid0(VALU_DEP_2)
	v_cmpx_ne_u32_e32 0x7f, v23
	s_cbranch_execz .LBB294_2571
; %bb.2568:                             ;   in Loop: Header=BB294_1574 Depth=1
	v_and_b32_e32 v0, 7, v10
	v_lshrrev_b32_e32 v22, 3, v23
	s_mov_b32 s17, exec_lo
	v_cmpx_gt_u32_e32 8, v23
; %bb.2569:                             ;   in Loop: Header=BB294_1574 Depth=1
	s_delay_alu instid0(VALU_DEP_3) | instskip(NEXT) | instid1(VALU_DEP_1)
	v_clz_i32_u32_e32 v0, v0
	v_min_u32_e32 v0, 32, v0
	s_delay_alu instid0(VALU_DEP_1) | instskip(SKIP_1) | instid1(VALU_DEP_2)
	v_subrev_nc_u32_e32 v7, 28, v0
	v_sub_nc_u32_e32 v22, 29, v0
	v_lshlrev_b64_e32 v[35:36], v7, v[10:11]
	s_delay_alu instid0(VALU_DEP_1)
	v_and_b32_e32 v0, 7, v35
; %bb.2570:                             ;   in Loop: Header=BB294_1574 Depth=1
	s_wait_alu 0xfffe
	s_or_b32 exec_lo, exec_lo, s17
	v_lshlrev_b32_e32 v7, 8, v10
	v_lshl_add_u32 v22, v22, 10, 0x2000
	v_lshlrev_b32_e32 v0, 7, v0
	s_delay_alu instid0(VALU_DEP_3) | instskip(NEXT) | instid1(VALU_DEP_3)
	v_and_b32_e32 v7, 0x8000, v7
	v_and_b32_e32 v22, 0xfc00, v22
	s_delay_alu instid0(VALU_DEP_1)
	v_or3_b32 v22, v7, v22, v0
.LBB294_2571:                           ;   in Loop: Header=BB294_1574 Depth=1
	s_wait_alu 0xfffe
	s_or_b32 exec_lo, exec_lo, s16
.LBB294_2572:                           ;   in Loop: Header=BB294_1574 Depth=1
	s_wait_alu 0xfffe
	s_or_b32 exec_lo, exec_lo, s15
.LBB294_2573:                           ;   in Loop: Header=BB294_1574 Depth=1
	s_wait_alu 0xfffe
	s_or_b32 exec_lo, exec_lo, s14
	v_lshrrev_b16 v0, 8, v10
	s_mov_b32 s14, exec_lo
	s_delay_alu instid0(VALU_DEP_1)
	v_cmpx_ne_u16_e32 0, v0
	s_cbranch_execz .LBB294_2581
; %bb.2574:                             ;   in Loop: Header=BB294_1574 Depth=1
	v_bfrev_b32_e32 v12, 1
	s_mov_b32 s15, exec_lo
	v_cmpx_ne_u16_e32 0x80, v0
	s_cbranch_execz .LBB294_2580
; %bb.2575:                             ;   in Loop: Header=BB294_1574 Depth=1
	v_and_b32_e32 v23, 0xffff, v0
	v_mov_b32_e32 v12, 0x7c010000
	s_mov_b32 s16, exec_lo
	s_delay_alu instid0(VALU_DEP_2) | instskip(NEXT) | instid1(VALU_DEP_1)
	v_and_b32_e32 v35, 0x7f, v23
	v_cmpx_ne_u32_e32 0x7f, v35
	s_cbranch_execz .LBB294_2579
; %bb.2576:                             ;   in Loop: Header=BB294_1574 Depth=1
	v_and_b32_e32 v12, 7, v23
	v_lshrrev_b32_e32 v33, 3, v35
	s_mov_b32 s17, exec_lo
	v_cmpx_gt_u32_e32 8, v35
; %bb.2577:                             ;   in Loop: Header=BB294_1574 Depth=1
	s_delay_alu instid0(VALU_DEP_3) | instskip(NEXT) | instid1(VALU_DEP_1)
	v_clz_i32_u32_e32 v7, v12
	v_min_u32_e32 v7, 32, v7
	s_delay_alu instid0(VALU_DEP_1) | instskip(SKIP_1) | instid1(VALU_DEP_2)
	v_subrev_nc_u32_e32 v12, 28, v7
	v_sub_nc_u32_e32 v33, 29, v7
	v_lshlrev_b64_e32 v[35:36], v12, v[0:1]
	s_delay_alu instid0(VALU_DEP_1)
	v_and_b32_e32 v12, 7, v35
; %bb.2578:                             ;   in Loop: Header=BB294_1574 Depth=1
	s_wait_alu 0xfffe
	s_or_b32 exec_lo, exec_lo, s17
	v_lshlrev_b32_e32 v0, 8, v23
	v_lshl_add_u32 v7, v33, 10, 0x2000
	s_delay_alu instid0(VALU_DEP_1) | instskip(SKIP_1) | instid1(VALU_DEP_1)
	v_and_or_b32 v0, 0x8000, v0, v7
	v_lshlrev_b32_e32 v7, 23, v12
	v_lshl_or_b32 v12, v0, 16, v7
.LBB294_2579:                           ;   in Loop: Header=BB294_1574 Depth=1
	s_wait_alu 0xfffe
	s_or_b32 exec_lo, exec_lo, s16
.LBB294_2580:                           ;   in Loop: Header=BB294_1574 Depth=1
	s_wait_alu 0xfffe
	s_or_b32 exec_lo, exec_lo, s15
.LBB294_2581:                           ;   in Loop: Header=BB294_1574 Depth=1
	s_wait_alu 0xfffe
	s_or_b32 exec_lo, exec_lo, s14
	v_lshrrev_b32_e32 v0, 16, v10
	v_mov_b32_e32 v23, 0
	v_mov_b32_e32 v33, 0
	s_mov_b32 s14, exec_lo
	s_delay_alu instid0(VALU_DEP_3) | instskip(NEXT) | instid1(VALU_DEP_1)
	v_and_b32_e32 v35, 0xff, v0
	v_cmpx_ne_u16_e32 0, v35
	s_cbranch_execz .LBB294_2589
; %bb.2582:                             ;   in Loop: Header=BB294_1574 Depth=1
	v_mov_b32_e32 v33, 0x8000
	s_mov_b32 s15, exec_lo
	v_cmpx_ne_u16_e32 0x80, v35
	s_cbranch_execz .LBB294_2588
; %bb.2583:                             ;   in Loop: Header=BB294_1574 Depth=1
	v_bfe_u32 v36, v10, 16, 7
	v_mov_b32_e32 v33, 0x7c01
	s_mov_b32 s16, exec_lo
	s_delay_alu instid0(VALU_DEP_2)
	v_cmpx_ne_u32_e32 0x7f, v36
	s_cbranch_execz .LBB294_2587
; %bb.2584:                             ;   in Loop: Header=BB294_1574 Depth=1
	v_and_b32_e32 v33, 7, v0
	v_lshrrev_b32_e32 v35, 3, v36
	s_mov_b32 s17, exec_lo
	v_cmpx_gt_u32_e32 8, v36
; %bb.2585:                             ;   in Loop: Header=BB294_1574 Depth=1
	s_delay_alu instid0(VALU_DEP_3) | instskip(NEXT) | instid1(VALU_DEP_1)
	v_clz_i32_u32_e32 v7, v33
	v_min_u32_e32 v7, 32, v7
	s_delay_alu instid0(VALU_DEP_1) | instskip(SKIP_1) | instid1(VALU_DEP_2)
	v_subrev_nc_u32_e32 v33, 28, v7
	v_sub_nc_u32_e32 v35, 29, v7
	v_lshlrev_b64_e32 v[36:37], v33, v[0:1]
	s_delay_alu instid0(VALU_DEP_1)
	v_and_b32_e32 v33, 7, v36
; %bb.2586:                             ;   in Loop: Header=BB294_1574 Depth=1
	s_wait_alu 0xfffe
	s_or_b32 exec_lo, exec_lo, s17
	v_lshlrev_b32_e32 v0, 8, v0
	v_lshl_add_u32 v7, v35, 10, 0x2000
	v_lshlrev_b32_e32 v33, 7, v33
	s_delay_alu instid0(VALU_DEP_3) | instskip(NEXT) | instid1(VALU_DEP_3)
	v_and_b32_e32 v0, 0x8000, v0
	v_and_b32_e32 v7, 0xfc00, v7
	s_delay_alu instid0(VALU_DEP_1)
	v_or3_b32 v33, v0, v7, v33
.LBB294_2587:                           ;   in Loop: Header=BB294_1574 Depth=1
	s_wait_alu 0xfffe
	s_or_b32 exec_lo, exec_lo, s16
.LBB294_2588:                           ;   in Loop: Header=BB294_1574 Depth=1
	s_wait_alu 0xfffe
	s_or_b32 exec_lo, exec_lo, s15
.LBB294_2589:                           ;   in Loop: Header=BB294_1574 Depth=1
	s_wait_alu 0xfffe
	s_or_b32 exec_lo, exec_lo, s14
	s_delay_alu instid0(SALU_CYCLE_1)
	s_mov_b32 s14, exec_lo
	v_cmpx_lt_u32_e32 0xffffff, v10
	s_cbranch_execz .LBB294_2597
; %bb.2590:                             ;   in Loop: Header=BB294_1574 Depth=1
	v_lshrrev_b32_e32 v0, 24, v10
	v_bfrev_b32_e32 v23, 1
	s_mov_b32 s15, exec_lo
	s_delay_alu instid0(VALU_DEP_2)
	v_cmpx_ne_u32_e32 0x80, v0
	s_cbranch_execz .LBB294_2596
; %bb.2591:                             ;   in Loop: Header=BB294_1574 Depth=1
	v_and_b32_e32 v36, 0x7f, v0
	v_mov_b32_e32 v23, 0x7c010000
	s_mov_b32 s16, exec_lo
	s_delay_alu instid0(VALU_DEP_2)
	v_cmpx_ne_u32_e32 0x7f, v36
	s_cbranch_execz .LBB294_2595
; %bb.2592:                             ;   in Loop: Header=BB294_1574 Depth=1
	v_and_b32_e32 v23, 7, v0
	v_lshrrev_b32_e32 v35, 3, v36
	s_mov_b32 s17, exec_lo
	v_cmpx_gt_u32_e32 8, v36
; %bb.2593:                             ;   in Loop: Header=BB294_1574 Depth=1
	s_delay_alu instid0(VALU_DEP_3) | instskip(NEXT) | instid1(VALU_DEP_1)
	v_clz_i32_u32_e32 v7, v23
	v_min_u32_e32 v7, 32, v7
	s_delay_alu instid0(VALU_DEP_1) | instskip(SKIP_1) | instid1(VALU_DEP_2)
	v_subrev_nc_u32_e32 v23, 28, v7
	v_sub_nc_u32_e32 v35, 29, v7
	v_lshlrev_b64_e32 v[36:37], v23, v[0:1]
	s_delay_alu instid0(VALU_DEP_1)
	v_and_b32_e32 v23, 7, v36
; %bb.2594:                             ;   in Loop: Header=BB294_1574 Depth=1
	s_wait_alu 0xfffe
	s_or_b32 exec_lo, exec_lo, s17
	v_lshlrev_b32_e32 v0, 8, v0
	v_lshl_add_u32 v7, v35, 10, 0x2000
	s_delay_alu instid0(VALU_DEP_1) | instskip(SKIP_1) | instid1(VALU_DEP_1)
	v_and_or_b32 v0, 0x8000, v0, v7
	v_lshlrev_b32_e32 v7, 23, v23
	v_lshl_or_b32 v23, v0, 16, v7
.LBB294_2595:                           ;   in Loop: Header=BB294_1574 Depth=1
	s_wait_alu 0xfffe
	s_or_b32 exec_lo, exec_lo, s16
.LBB294_2596:                           ;   in Loop: Header=BB294_1574 Depth=1
	s_wait_alu 0xfffe
	s_or_b32 exec_lo, exec_lo, s15
.LBB294_2597:                           ;   in Loop: Header=BB294_1574 Depth=1
	s_wait_alu 0xfffe
	s_or_b32 exec_lo, exec_lo, s14
	v_dual_mov_b32 v0, v11 :: v_dual_and_b32 v37, 0xff, v11
	v_dual_mov_b32 v35, 0 :: v_dual_mov_b32 v36, 0
	s_mov_b32 s14, exec_lo
	s_delay_alu instid0(VALU_DEP_2)
	v_cmpx_ne_u16_e32 0, v37
	s_cbranch_execz .LBB294_2605
; %bb.2598:                             ;   in Loop: Header=BB294_1574 Depth=1
	v_mov_b32_e32 v36, 0x8000
	s_mov_b32 s15, exec_lo
	v_cmpx_ne_u16_e32 0x80, v37
	s_cbranch_execz .LBB294_2604
; %bb.2599:                             ;   in Loop: Header=BB294_1574 Depth=1
	v_and_b32_e32 v38, 0x7f, v11
	v_mov_b32_e32 v36, 0x7c01
	s_mov_b32 s16, exec_lo
	s_delay_alu instid0(VALU_DEP_2)
	v_cmpx_ne_u32_e32 0x7f, v38
	s_cbranch_execz .LBB294_2603
; %bb.2600:                             ;   in Loop: Header=BB294_1574 Depth=1
	v_and_b32_e32 v36, 7, v11
	v_lshrrev_b32_e32 v37, 3, v38
	s_mov_b32 s17, exec_lo
	v_cmpx_gt_u32_e32 8, v38
; %bb.2601:                             ;   in Loop: Header=BB294_1574 Depth=1
	s_delay_alu instid0(VALU_DEP_3) | instskip(NEXT) | instid1(VALU_DEP_1)
	v_clz_i32_u32_e32 v7, v36
	v_min_u32_e32 v7, 32, v7
	s_delay_alu instid0(VALU_DEP_1) | instskip(NEXT) | instid1(VALU_DEP_1)
	v_subrev_nc_u32_e32 v36, 28, v7
	v_lshlrev_b64_e32 v[36:37], v36, v[0:1]
	v_sub_nc_u32_e32 v37, 29, v7
	s_delay_alu instid0(VALU_DEP_2)
	v_and_b32_e32 v36, 7, v36
; %bb.2602:                             ;   in Loop: Header=BB294_1574 Depth=1
	s_wait_alu 0xfffe
	s_or_b32 exec_lo, exec_lo, s17
	v_lshlrev_b32_e32 v7, 8, v11
	v_lshl_add_u32 v37, v37, 10, 0x2000
	v_lshlrev_b32_e32 v36, 7, v36
	s_delay_alu instid0(VALU_DEP_3) | instskip(NEXT) | instid1(VALU_DEP_3)
	v_and_b32_e32 v7, 0x8000, v7
	v_and_b32_e32 v37, 0xfc00, v37
	s_delay_alu instid0(VALU_DEP_1)
	v_or3_b32 v36, v7, v37, v36
.LBB294_2603:                           ;   in Loop: Header=BB294_1574 Depth=1
	s_wait_alu 0xfffe
	s_or_b32 exec_lo, exec_lo, s16
.LBB294_2604:                           ;   in Loop: Header=BB294_1574 Depth=1
	s_wait_alu 0xfffe
	s_or_b32 exec_lo, exec_lo, s15
.LBB294_2605:                           ;   in Loop: Header=BB294_1574 Depth=1
	s_wait_alu 0xfffe
	s_or_b32 exec_lo, exec_lo, s14
	v_lshrrev_b16 v0, 8, v0
	v_mov_b32_e32 v37, 0
	s_mov_b32 s14, exec_lo
	s_delay_alu instid0(VALU_DEP_2)
	v_cmpx_ne_u16_e32 0, v0
	s_cbranch_execz .LBB294_2613
; %bb.2606:                             ;   in Loop: Header=BB294_1574 Depth=1
	v_bfrev_b32_e32 v37, 1
	s_mov_b32 s15, exec_lo
	v_cmpx_ne_u16_e32 0x80, v0
	s_cbranch_execz .LBB294_2612
; %bb.2607:                             ;   in Loop: Header=BB294_1574 Depth=1
	v_and_b32_e32 v38, 0xffff, v0
	v_mov_b32_e32 v37, 0x7c010000
	s_mov_b32 s16, exec_lo
	s_delay_alu instid0(VALU_DEP_2) | instskip(NEXT) | instid1(VALU_DEP_1)
	v_and_b32_e32 v160, 0x7f, v38
	v_cmpx_ne_u32_e32 0x7f, v160
	s_cbranch_execz .LBB294_2611
; %bb.2608:                             ;   in Loop: Header=BB294_1574 Depth=1
	v_and_b32_e32 v37, 7, v38
	v_lshrrev_b32_e32 v39, 3, v160
	s_mov_b32 s17, exec_lo
	v_cmpx_gt_u32_e32 8, v160
; %bb.2609:                             ;   in Loop: Header=BB294_1574 Depth=1
	s_delay_alu instid0(VALU_DEP_3) | instskip(NEXT) | instid1(VALU_DEP_1)
	v_clz_i32_u32_e32 v7, v37
	v_min_u32_e32 v7, 32, v7
	s_delay_alu instid0(VALU_DEP_1) | instskip(SKIP_1) | instid1(VALU_DEP_2)
	v_subrev_nc_u32_e32 v37, 28, v7
	v_sub_nc_u32_e32 v39, 29, v7
	v_lshlrev_b64_e32 v[160:161], v37, v[0:1]
	s_delay_alu instid0(VALU_DEP_1)
	v_and_b32_e32 v37, 7, v160
; %bb.2610:                             ;   in Loop: Header=BB294_1574 Depth=1
	s_wait_alu 0xfffe
	s_or_b32 exec_lo, exec_lo, s17
	v_lshlrev_b32_e32 v0, 8, v38
	v_lshl_add_u32 v7, v39, 10, 0x2000
	s_delay_alu instid0(VALU_DEP_1) | instskip(SKIP_1) | instid1(VALU_DEP_1)
	v_and_or_b32 v0, 0x8000, v0, v7
	v_lshlrev_b32_e32 v7, 23, v37
	v_lshl_or_b32 v37, v0, 16, v7
.LBB294_2611:                           ;   in Loop: Header=BB294_1574 Depth=1
	s_wait_alu 0xfffe
	s_or_b32 exec_lo, exec_lo, s16
.LBB294_2612:                           ;   in Loop: Header=BB294_1574 Depth=1
	s_wait_alu 0xfffe
	s_or_b32 exec_lo, exec_lo, s15
.LBB294_2613:                           ;   in Loop: Header=BB294_1574 Depth=1
	s_wait_alu 0xfffe
	s_or_b32 exec_lo, exec_lo, s14
	v_lshrrev_b32_e32 v0, 16, v11
	s_mov_b32 s14, exec_lo
	s_delay_alu instid0(VALU_DEP_1) | instskip(NEXT) | instid1(VALU_DEP_1)
	v_and_b32_e32 v38, 0xff, v0
	v_cmpx_ne_u16_e32 0, v38
	s_cbranch_execz .LBB294_2621
; %bb.2614:                             ;   in Loop: Header=BB294_1574 Depth=1
	v_mov_b32_e32 v35, 0x8000
	s_mov_b32 s15, exec_lo
	v_cmpx_ne_u16_e32 0x80, v38
	s_cbranch_execz .LBB294_2620
; %bb.2615:                             ;   in Loop: Header=BB294_1574 Depth=1
	v_bfe_u32 v39, v11, 16, 7
	v_mov_b32_e32 v35, 0x7c01
	s_mov_b32 s16, exec_lo
	s_delay_alu instid0(VALU_DEP_2)
	v_cmpx_ne_u32_e32 0x7f, v39
	s_cbranch_execz .LBB294_2619
; %bb.2616:                             ;   in Loop: Header=BB294_1574 Depth=1
	v_and_b32_e32 v35, 7, v0
	v_lshrrev_b32_e32 v38, 3, v39
	s_mov_b32 s17, exec_lo
	v_cmpx_gt_u32_e32 8, v39
; %bb.2617:                             ;   in Loop: Header=BB294_1574 Depth=1
	s_delay_alu instid0(VALU_DEP_3) | instskip(NEXT) | instid1(VALU_DEP_1)
	v_clz_i32_u32_e32 v7, v35
	v_min_u32_e32 v7, 32, v7
	s_delay_alu instid0(VALU_DEP_1) | instskip(SKIP_1) | instid1(VALU_DEP_2)
	v_subrev_nc_u32_e32 v35, 28, v7
	v_sub_nc_u32_e32 v38, 29, v7
	v_lshlrev_b64_e32 v[160:161], v35, v[0:1]
	s_delay_alu instid0(VALU_DEP_1)
	v_and_b32_e32 v35, 7, v160
; %bb.2618:                             ;   in Loop: Header=BB294_1574 Depth=1
	s_wait_alu 0xfffe
	s_or_b32 exec_lo, exec_lo, s17
	v_lshlrev_b32_e32 v0, 8, v0
	v_lshl_add_u32 v7, v38, 10, 0x2000
	v_lshlrev_b32_e32 v35, 7, v35
	s_delay_alu instid0(VALU_DEP_3) | instskip(NEXT) | instid1(VALU_DEP_3)
	v_and_b32_e32 v0, 0x8000, v0
	v_and_b32_e32 v7, 0xfc00, v7
	s_delay_alu instid0(VALU_DEP_1)
	v_or3_b32 v35, v0, v7, v35
.LBB294_2619:                           ;   in Loop: Header=BB294_1574 Depth=1
	s_wait_alu 0xfffe
	s_or_b32 exec_lo, exec_lo, s16
.LBB294_2620:                           ;   in Loop: Header=BB294_1574 Depth=1
	s_wait_alu 0xfffe
	s_or_b32 exec_lo, exec_lo, s15
.LBB294_2621:                           ;   in Loop: Header=BB294_1574 Depth=1
	s_wait_alu 0xfffe
	s_or_b32 exec_lo, exec_lo, s14
	v_cmp_lt_u64_e64 s0, s[8:9], v[10:11]
	v_mov_b32_e32 v10, 0
	s_and_saveexec_b32 s14, s0
	s_cbranch_execz .LBB294_2629
; %bb.2622:                             ;   in Loop: Header=BB294_1574 Depth=1
	v_lshrrev_b32_e32 v0, 24, v11
	v_bfrev_b32_e32 v10, 1
	s_mov_b32 s15, exec_lo
	s_delay_alu instid0(VALU_DEP_2)
	v_cmpx_ne_u32_e32 0x80, v0
	s_cbranch_execz .LBB294_2628
; %bb.2623:                             ;   in Loop: Header=BB294_1574 Depth=1
	v_and_b32_e32 v38, 0x7f, v0
	v_mov_b32_e32 v10, 0x7c010000
	s_mov_b32 s16, exec_lo
	s_delay_alu instid0(VALU_DEP_2)
	v_cmpx_ne_u32_e32 0x7f, v38
	s_cbranch_execz .LBB294_2627
; %bb.2624:                             ;   in Loop: Header=BB294_1574 Depth=1
	v_and_b32_e32 v10, 7, v0
	v_lshrrev_b32_e32 v11, 3, v38
	s_mov_b32 s17, exec_lo
	v_cmpx_gt_u32_e32 8, v38
; %bb.2625:                             ;   in Loop: Header=BB294_1574 Depth=1
	s_delay_alu instid0(VALU_DEP_3) | instskip(NEXT) | instid1(VALU_DEP_1)
	v_clz_i32_u32_e32 v7, v10
	v_min_u32_e32 v7, 32, v7
	s_delay_alu instid0(VALU_DEP_1) | instskip(NEXT) | instid1(VALU_DEP_1)
	v_subrev_nc_u32_e32 v10, 28, v7
	v_lshlrev_b64_e32 v[10:11], v10, v[0:1]
	v_sub_nc_u32_e32 v11, 29, v7
	s_delay_alu instid0(VALU_DEP_2)
	v_and_b32_e32 v10, 7, v10
; %bb.2626:                             ;   in Loop: Header=BB294_1574 Depth=1
	s_wait_alu 0xfffe
	s_or_b32 exec_lo, exec_lo, s17
	v_lshlrev_b32_e32 v0, 8, v0
	v_lshl_add_u32 v7, v11, 10, 0x2000
	s_delay_alu instid0(VALU_DEP_1) | instskip(SKIP_1) | instid1(VALU_DEP_1)
	v_and_or_b32 v0, 0x8000, v0, v7
	v_lshlrev_b32_e32 v7, 23, v10
	v_lshl_or_b32 v10, v0, 16, v7
.LBB294_2627:                           ;   in Loop: Header=BB294_1574 Depth=1
	s_wait_alu 0xfffe
	s_or_b32 exec_lo, exec_lo, s16
.LBB294_2628:                           ;   in Loop: Header=BB294_1574 Depth=1
	s_wait_alu 0xfffe
	s_or_b32 exec_lo, exec_lo, s15
.LBB294_2629:                           ;   in Loop: Header=BB294_1574 Depth=1
	s_wait_alu 0xfffe
	s_or_b32 exec_lo, exec_lo, s14
	v_or_b32_e32 v0, v23, v33
	s_wait_loadcnt_dscnt 0x0
	v_fma_mixlo_f16 v7, v6, v23, 0 op_sel:[0,1,0] op_sel_hi:[0,1,0]
	v_or_b32_e32 v11, v12, v22
	v_fma_mixlo_f16 v12, v6, v12, 0 op_sel:[0,1,0] op_sel_hi:[0,1,0]
	v_or_b32_e32 v23, v37, v36
	v_or_b32_e32 v35, v10, v35
	v_fma_mixlo_f16 v33, v6, v0, 0 op_sel_hi:[0,1,0]
	v_lshlrev_b32_e32 v0, 16, v7
	v_lshlrev_b32_e32 v22, 16, v12
	v_fma_mixlo_f16 v7, v6, v11, 0 op_sel_hi:[0,1,0]
	v_fma_mixlo_f16 v12, v6, v37, 0 op_sel:[0,1,0] op_sel_hi:[0,1,0]
	v_fma_mixlo_f16 v23, v6, v23, 0 op_sel_hi:[0,1,0]
	v_fma_mixlo_f16 v36, v6, v10, 0 op_sel:[0,1,0] op_sel_hi:[0,1,0]
	v_fma_mixlo_f16 v35, v6, v35, 0 op_sel_hi:[0,1,0]
	v_and_b32_e32 v11, 0xffff, v33
	v_and_b32_e32 v38, 0xffff, v7
	v_lshlrev_b32_e32 v10, 16, v12
	v_and_b32_e32 v33, 0xffff, v23
	v_lshlrev_b32_e32 v6, 16, v36
	v_and_b32_e32 v12, 0xffff, v35
	v_or_b32_e32 v23, v0, v11
	v_or_b32_e32 v37, v22, v38
	v_or_b32_e32 v36, v10, v33
	s_delay_alu instid0(VALU_DEP_4)
	v_or_b32_e32 v35, v6, v12
	s_and_saveexec_b32 s14, vcc_lo
	s_cbranch_execz .LBB294_2631
; %bb.2630:                             ;   in Loop: Header=BB294_1574 Depth=1
	v_cmp_lt_i32_e64 s0, v49, v34
	s_wait_alu 0xf1ff
	s_delay_alu instid0(VALU_DEP_1) | instskip(SKIP_2) | instid1(VALU_DEP_1)
	v_cndmask_b32_e64 v7, 0, v38, s0
	v_cmp_lt_i32_e64 s0, v101, v34
	s_wait_alu 0xf1ff
	v_cndmask_b32_e64 v22, 0, v22, s0
	v_cmp_lt_i32_e64 s0, v100, v34
	s_delay_alu instid0(VALU_DEP_2) | instskip(SKIP_1) | instid1(VALU_DEP_2)
	v_or_b32_e32 v37, v7, v22
	s_wait_alu 0xf1ff
	v_cndmask_b32_e64 v11, 0, v11, s0
	v_cmp_lt_i32_e64 s0, v99, v34
	s_wait_alu 0xf1ff
	s_delay_alu instid0(VALU_DEP_1) | instskip(SKIP_1) | instid1(VALU_DEP_2)
	v_cndmask_b32_e64 v0, 0, v0, s0
	v_cmp_lt_i32_e64 s0, v98, v34
	v_or_b32_e32 v23, v11, v0
	s_wait_alu 0xf1ff
	s_delay_alu instid0(VALU_DEP_2) | instskip(SKIP_2) | instid1(VALU_DEP_1)
	v_cndmask_b32_e64 v33, 0, v33, s0
	v_cmp_lt_i32_e64 s0, v97, v34
	s_wait_alu 0xf1ff
	v_cndmask_b32_e64 v10, 0, v10, s0
	v_cmp_lt_i32_e64 s0, v96, v34
	s_delay_alu instid0(VALU_DEP_2) | instskip(SKIP_1) | instid1(VALU_DEP_2)
	v_or_b32_e32 v36, v33, v10
	s_wait_alu 0xf1ff
	v_cndmask_b32_e64 v12, 0, v12, s0
	v_cmp_lt_i32_e64 s0, v87, v34
	s_wait_alu 0xf1ff
	s_delay_alu instid0(VALU_DEP_1) | instskip(NEXT) | instid1(VALU_DEP_1)
	v_cndmask_b32_e64 v6, 0, v6, s0
	v_or_b32_e32 v35, v12, v6
.LBB294_2631:                           ;   in Loop: Header=BB294_1574 Depth=1
	s_wait_alu 0xfffe
	s_or_b32 exec_lo, exec_lo, s14
	;;#ASMSTART
	v_pk_mul_f16 v0, v86, v37;

	;;#ASMEND
	;;#ASMSTART
	v_pk_mul_f16 v6, v85, v23;

	;;#ASMEND
	;; [unrolled: 4-line block ×4, first 2 shown]
	;;#ASMSTART
	v_pk_add_f16 v0, v0, v6;

	;;#ASMEND
	;;#ASMSTART
	v_pk_add_f16 v0, v0, v7;

	;;#ASMEND
	;; [unrolled: 4-line block ×3, first 2 shown]
	v_dual_mov_b32 v23, 0 :: v_dual_and_b32 v6, 0xffff, v0
	v_lshrrev_b32_e32 v0, 16, v0
	;;#ASMSTART
	v_cvt_f32_f16 v6, v6;
	;;#ASMEND
	;;#ASMSTART
	v_cvt_f32_f16 v12, v0;
	;;#ASMEND
	flat_load_b64 v[10:11], v[8:9] offset:4096
	flat_load_b32 v22, v[26:27]
	s_mov_b32 s14, exec_lo
	s_wait_loadcnt_dscnt 0x101
	v_dual_mov_b32 v33, 0 :: v_dual_and_b32 v0, 0xff, v10
	s_delay_alu instid0(VALU_DEP_1)
	v_cmpx_ne_u16_e32 0, v0
	s_cbranch_execz .LBB294_2639
; %bb.2632:                             ;   in Loop: Header=BB294_1574 Depth=1
	v_mov_b32_e32 v33, 0x8000
	s_mov_b32 s15, exec_lo
	v_cmpx_ne_u16_e32 0x80, v0
	s_cbranch_execz .LBB294_2638
; %bb.2633:                             ;   in Loop: Header=BB294_1574 Depth=1
	v_and_b32_e32 v35, 0x7f, v10
	v_mov_b32_e32 v33, 0x7c01
	s_mov_b32 s16, exec_lo
	s_delay_alu instid0(VALU_DEP_2)
	v_cmpx_ne_u32_e32 0x7f, v35
	s_cbranch_execz .LBB294_2637
; %bb.2634:                             ;   in Loop: Header=BB294_1574 Depth=1
	v_and_b32_e32 v0, 7, v10
	v_lshrrev_b32_e32 v33, 3, v35
	s_mov_b32 s17, exec_lo
	v_cmpx_gt_u32_e32 8, v35
; %bb.2635:                             ;   in Loop: Header=BB294_1574 Depth=1
	s_delay_alu instid0(VALU_DEP_3) | instskip(NEXT) | instid1(VALU_DEP_1)
	v_clz_i32_u32_e32 v0, v0
	v_min_u32_e32 v0, 32, v0
	s_delay_alu instid0(VALU_DEP_1) | instskip(SKIP_1) | instid1(VALU_DEP_2)
	v_subrev_nc_u32_e32 v7, 28, v0
	v_sub_nc_u32_e32 v33, 29, v0
	v_lshlrev_b64_e32 v[35:36], v7, v[10:11]
	s_delay_alu instid0(VALU_DEP_1)
	v_and_b32_e32 v0, 7, v35
; %bb.2636:                             ;   in Loop: Header=BB294_1574 Depth=1
	s_wait_alu 0xfffe
	s_or_b32 exec_lo, exec_lo, s17
	v_lshlrev_b32_e32 v7, 8, v10
	v_lshl_add_u32 v33, v33, 10, 0x2000
	v_lshlrev_b32_e32 v0, 7, v0
	s_delay_alu instid0(VALU_DEP_3) | instskip(NEXT) | instid1(VALU_DEP_3)
	v_and_b32_e32 v7, 0x8000, v7
	v_and_b32_e32 v33, 0xfc00, v33
	s_delay_alu instid0(VALU_DEP_1)
	v_or3_b32 v33, v7, v33, v0
.LBB294_2637:                           ;   in Loop: Header=BB294_1574 Depth=1
	s_wait_alu 0xfffe
	s_or_b32 exec_lo, exec_lo, s16
.LBB294_2638:                           ;   in Loop: Header=BB294_1574 Depth=1
	s_wait_alu 0xfffe
	s_or_b32 exec_lo, exec_lo, s15
.LBB294_2639:                           ;   in Loop: Header=BB294_1574 Depth=1
	s_wait_alu 0xfffe
	s_or_b32 exec_lo, exec_lo, s14
	v_lshrrev_b16 v0, 8, v10
	s_mov_b32 s14, exec_lo
	s_delay_alu instid0(VALU_DEP_1)
	v_cmpx_ne_u16_e32 0, v0
	s_cbranch_execz .LBB294_2647
; %bb.2640:                             ;   in Loop: Header=BB294_1574 Depth=1
	v_bfrev_b32_e32 v23, 1
	s_mov_b32 s15, exec_lo
	v_cmpx_ne_u16_e32 0x80, v0
	s_cbranch_execz .LBB294_2646
; %bb.2641:                             ;   in Loop: Header=BB294_1574 Depth=1
	v_and_b32_e32 v35, 0xffff, v0
	v_mov_b32_e32 v23, 0x7c010000
	s_mov_b32 s16, exec_lo
	s_delay_alu instid0(VALU_DEP_2) | instskip(NEXT) | instid1(VALU_DEP_1)
	v_and_b32_e32 v37, 0x7f, v35
	v_cmpx_ne_u32_e32 0x7f, v37
	s_cbranch_execz .LBB294_2645
; %bb.2642:                             ;   in Loop: Header=BB294_1574 Depth=1
	v_and_b32_e32 v23, 7, v35
	v_lshrrev_b32_e32 v36, 3, v37
	s_mov_b32 s17, exec_lo
	v_cmpx_gt_u32_e32 8, v37
; %bb.2643:                             ;   in Loop: Header=BB294_1574 Depth=1
	s_delay_alu instid0(VALU_DEP_3) | instskip(NEXT) | instid1(VALU_DEP_1)
	v_clz_i32_u32_e32 v7, v23
	v_min_u32_e32 v7, 32, v7
	s_delay_alu instid0(VALU_DEP_1) | instskip(SKIP_1) | instid1(VALU_DEP_2)
	v_subrev_nc_u32_e32 v23, 28, v7
	v_sub_nc_u32_e32 v36, 29, v7
	v_lshlrev_b64_e32 v[37:38], v23, v[0:1]
	s_delay_alu instid0(VALU_DEP_1)
	v_and_b32_e32 v23, 7, v37
; %bb.2644:                             ;   in Loop: Header=BB294_1574 Depth=1
	s_wait_alu 0xfffe
	s_or_b32 exec_lo, exec_lo, s17
	v_lshlrev_b32_e32 v0, 8, v35
	v_lshl_add_u32 v7, v36, 10, 0x2000
	s_delay_alu instid0(VALU_DEP_1) | instskip(SKIP_1) | instid1(VALU_DEP_1)
	v_and_or_b32 v0, 0x8000, v0, v7
	v_lshlrev_b32_e32 v7, 23, v23
	v_lshl_or_b32 v23, v0, 16, v7
.LBB294_2645:                           ;   in Loop: Header=BB294_1574 Depth=1
	s_wait_alu 0xfffe
	s_or_b32 exec_lo, exec_lo, s16
.LBB294_2646:                           ;   in Loop: Header=BB294_1574 Depth=1
	s_wait_alu 0xfffe
	s_or_b32 exec_lo, exec_lo, s15
.LBB294_2647:                           ;   in Loop: Header=BB294_1574 Depth=1
	s_wait_alu 0xfffe
	s_or_b32 exec_lo, exec_lo, s14
	v_lshrrev_b32_e32 v0, 16, v10
	v_mov_b32_e32 v35, 0
	s_mov_b32 s14, exec_lo
	s_delay_alu instid0(VALU_DEP_2) | instskip(NEXT) | instid1(VALU_DEP_1)
	v_dual_mov_b32 v36, 0 :: v_dual_and_b32 v37, 0xff, v0
	v_cmpx_ne_u16_e32 0, v37
	s_cbranch_execz .LBB294_2655
; %bb.2648:                             ;   in Loop: Header=BB294_1574 Depth=1
	v_mov_b32_e32 v36, 0x8000
	s_mov_b32 s15, exec_lo
	v_cmpx_ne_u16_e32 0x80, v37
	s_cbranch_execz .LBB294_2654
; %bb.2649:                             ;   in Loop: Header=BB294_1574 Depth=1
	v_bfe_u32 v38, v10, 16, 7
	v_mov_b32_e32 v36, 0x7c01
	s_mov_b32 s16, exec_lo
	s_delay_alu instid0(VALU_DEP_2)
	v_cmpx_ne_u32_e32 0x7f, v38
	s_cbranch_execz .LBB294_2653
; %bb.2650:                             ;   in Loop: Header=BB294_1574 Depth=1
	v_and_b32_e32 v36, 7, v0
	v_lshrrev_b32_e32 v37, 3, v38
	s_mov_b32 s17, exec_lo
	v_cmpx_gt_u32_e32 8, v38
; %bb.2651:                             ;   in Loop: Header=BB294_1574 Depth=1
	s_delay_alu instid0(VALU_DEP_3) | instskip(NEXT) | instid1(VALU_DEP_1)
	v_clz_i32_u32_e32 v7, v36
	v_min_u32_e32 v7, 32, v7
	s_delay_alu instid0(VALU_DEP_1) | instskip(NEXT) | instid1(VALU_DEP_1)
	v_subrev_nc_u32_e32 v36, 28, v7
	v_lshlrev_b64_e32 v[36:37], v36, v[0:1]
	v_sub_nc_u32_e32 v37, 29, v7
	s_delay_alu instid0(VALU_DEP_2)
	v_and_b32_e32 v36, 7, v36
; %bb.2652:                             ;   in Loop: Header=BB294_1574 Depth=1
	s_wait_alu 0xfffe
	s_or_b32 exec_lo, exec_lo, s17
	v_lshlrev_b32_e32 v0, 8, v0
	v_lshl_add_u32 v7, v37, 10, 0x2000
	v_lshlrev_b32_e32 v36, 7, v36
	s_delay_alu instid0(VALU_DEP_3) | instskip(NEXT) | instid1(VALU_DEP_3)
	v_and_b32_e32 v0, 0x8000, v0
	v_and_b32_e32 v7, 0xfc00, v7
	s_delay_alu instid0(VALU_DEP_1)
	v_or3_b32 v36, v0, v7, v36
.LBB294_2653:                           ;   in Loop: Header=BB294_1574 Depth=1
	s_wait_alu 0xfffe
	s_or_b32 exec_lo, exec_lo, s16
.LBB294_2654:                           ;   in Loop: Header=BB294_1574 Depth=1
	s_wait_alu 0xfffe
	s_or_b32 exec_lo, exec_lo, s15
.LBB294_2655:                           ;   in Loop: Header=BB294_1574 Depth=1
	s_wait_alu 0xfffe
	s_or_b32 exec_lo, exec_lo, s14
	s_delay_alu instid0(SALU_CYCLE_1)
	s_mov_b32 s14, exec_lo
	v_cmpx_lt_u32_e32 0xffffff, v10
	s_cbranch_execz .LBB294_2663
; %bb.2656:                             ;   in Loop: Header=BB294_1574 Depth=1
	v_lshrrev_b32_e32 v0, 24, v10
	v_bfrev_b32_e32 v35, 1
	s_mov_b32 s15, exec_lo
	s_delay_alu instid0(VALU_DEP_2)
	v_cmpx_ne_u32_e32 0x80, v0
	s_cbranch_execz .LBB294_2662
; %bb.2657:                             ;   in Loop: Header=BB294_1574 Depth=1
	v_and_b32_e32 v38, 0x7f, v0
	v_mov_b32_e32 v35, 0x7c010000
	s_mov_b32 s16, exec_lo
	s_delay_alu instid0(VALU_DEP_2)
	v_cmpx_ne_u32_e32 0x7f, v38
	s_cbranch_execz .LBB294_2661
; %bb.2658:                             ;   in Loop: Header=BB294_1574 Depth=1
	v_and_b32_e32 v35, 7, v0
	v_lshrrev_b32_e32 v37, 3, v38
	s_mov_b32 s17, exec_lo
	v_cmpx_gt_u32_e32 8, v38
; %bb.2659:                             ;   in Loop: Header=BB294_1574 Depth=1
	s_delay_alu instid0(VALU_DEP_3) | instskip(NEXT) | instid1(VALU_DEP_1)
	v_clz_i32_u32_e32 v7, v35
	v_min_u32_e32 v7, 32, v7
	s_delay_alu instid0(VALU_DEP_1) | instskip(SKIP_1) | instid1(VALU_DEP_2)
	v_subrev_nc_u32_e32 v35, 28, v7
	v_sub_nc_u32_e32 v37, 29, v7
	v_lshlrev_b64_e32 v[38:39], v35, v[0:1]
	s_delay_alu instid0(VALU_DEP_1)
	v_and_b32_e32 v35, 7, v38
; %bb.2660:                             ;   in Loop: Header=BB294_1574 Depth=1
	s_wait_alu 0xfffe
	s_or_b32 exec_lo, exec_lo, s17
	v_lshlrev_b32_e32 v0, 8, v0
	v_lshl_add_u32 v7, v37, 10, 0x2000
	s_delay_alu instid0(VALU_DEP_1) | instskip(SKIP_1) | instid1(VALU_DEP_1)
	v_and_or_b32 v0, 0x8000, v0, v7
	v_lshlrev_b32_e32 v7, 23, v35
	v_lshl_or_b32 v35, v0, 16, v7
.LBB294_2661:                           ;   in Loop: Header=BB294_1574 Depth=1
	s_wait_alu 0xfffe
	s_or_b32 exec_lo, exec_lo, s16
.LBB294_2662:                           ;   in Loop: Header=BB294_1574 Depth=1
	s_wait_alu 0xfffe
	s_or_b32 exec_lo, exec_lo, s15
.LBB294_2663:                           ;   in Loop: Header=BB294_1574 Depth=1
	s_wait_alu 0xfffe
	s_or_b32 exec_lo, exec_lo, s14
	v_dual_mov_b32 v0, v11 :: v_dual_and_b32 v39, 0xff, v11
	v_dual_mov_b32 v37, 0 :: v_dual_mov_b32 v38, 0
	s_mov_b32 s14, exec_lo
	s_delay_alu instid0(VALU_DEP_2)
	v_cmpx_ne_u16_e32 0, v39
	s_cbranch_execz .LBB294_2671
; %bb.2664:                             ;   in Loop: Header=BB294_1574 Depth=1
	v_mov_b32_e32 v38, 0x8000
	s_mov_b32 s15, exec_lo
	v_cmpx_ne_u16_e32 0x80, v39
	s_cbranch_execz .LBB294_2670
; %bb.2665:                             ;   in Loop: Header=BB294_1574 Depth=1
	v_and_b32_e32 v160, 0x7f, v11
	v_mov_b32_e32 v38, 0x7c01
	s_mov_b32 s16, exec_lo
	s_delay_alu instid0(VALU_DEP_2)
	v_cmpx_ne_u32_e32 0x7f, v160
	s_cbranch_execz .LBB294_2669
; %bb.2666:                             ;   in Loop: Header=BB294_1574 Depth=1
	v_and_b32_e32 v38, 7, v11
	v_lshrrev_b32_e32 v39, 3, v160
	s_mov_b32 s17, exec_lo
	v_cmpx_gt_u32_e32 8, v160
; %bb.2667:                             ;   in Loop: Header=BB294_1574 Depth=1
	s_delay_alu instid0(VALU_DEP_3) | instskip(NEXT) | instid1(VALU_DEP_1)
	v_clz_i32_u32_e32 v7, v38
	v_min_u32_e32 v7, 32, v7
	s_delay_alu instid0(VALU_DEP_1) | instskip(NEXT) | instid1(VALU_DEP_1)
	v_subrev_nc_u32_e32 v38, 28, v7
	v_lshlrev_b64_e32 v[38:39], v38, v[0:1]
	v_sub_nc_u32_e32 v39, 29, v7
	s_delay_alu instid0(VALU_DEP_2)
	v_and_b32_e32 v38, 7, v38
; %bb.2668:                             ;   in Loop: Header=BB294_1574 Depth=1
	s_wait_alu 0xfffe
	s_or_b32 exec_lo, exec_lo, s17
	v_lshlrev_b32_e32 v7, 8, v11
	v_lshl_add_u32 v39, v39, 10, 0x2000
	v_lshlrev_b32_e32 v38, 7, v38
	s_delay_alu instid0(VALU_DEP_3) | instskip(NEXT) | instid1(VALU_DEP_3)
	v_and_b32_e32 v7, 0x8000, v7
	v_and_b32_e32 v39, 0xfc00, v39
	s_delay_alu instid0(VALU_DEP_1)
	v_or3_b32 v38, v7, v39, v38
.LBB294_2669:                           ;   in Loop: Header=BB294_1574 Depth=1
	s_wait_alu 0xfffe
	s_or_b32 exec_lo, exec_lo, s16
.LBB294_2670:                           ;   in Loop: Header=BB294_1574 Depth=1
	s_wait_alu 0xfffe
	s_or_b32 exec_lo, exec_lo, s15
.LBB294_2671:                           ;   in Loop: Header=BB294_1574 Depth=1
	s_wait_alu 0xfffe
	s_or_b32 exec_lo, exec_lo, s14
	v_lshrrev_b16 v0, 8, v0
	v_mov_b32_e32 v39, 0
	s_mov_b32 s14, exec_lo
	s_delay_alu instid0(VALU_DEP_2)
	v_cmpx_ne_u16_e32 0, v0
	s_cbranch_execz .LBB294_2679
; %bb.2672:                             ;   in Loop: Header=BB294_1574 Depth=1
	v_bfrev_b32_e32 v39, 1
	s_mov_b32 s15, exec_lo
	v_cmpx_ne_u16_e32 0x80, v0
	s_cbranch_execz .LBB294_2678
; %bb.2673:                             ;   in Loop: Header=BB294_1574 Depth=1
	v_and_b32_e32 v160, 0xffff, v0
	v_mov_b32_e32 v39, 0x7c010000
	s_mov_b32 s16, exec_lo
	s_delay_alu instid0(VALU_DEP_2) | instskip(NEXT) | instid1(VALU_DEP_1)
	v_and_b32_e32 v162, 0x7f, v160
	v_cmpx_ne_u32_e32 0x7f, v162
	s_cbranch_execz .LBB294_2677
; %bb.2674:                             ;   in Loop: Header=BB294_1574 Depth=1
	v_and_b32_e32 v39, 7, v160
	v_lshrrev_b32_e32 v161, 3, v162
	s_mov_b32 s17, exec_lo
	v_cmpx_gt_u32_e32 8, v162
; %bb.2675:                             ;   in Loop: Header=BB294_1574 Depth=1
	s_delay_alu instid0(VALU_DEP_3) | instskip(NEXT) | instid1(VALU_DEP_1)
	v_clz_i32_u32_e32 v7, v39
	v_min_u32_e32 v7, 32, v7
	s_delay_alu instid0(VALU_DEP_1) | instskip(SKIP_1) | instid1(VALU_DEP_2)
	v_subrev_nc_u32_e32 v39, 28, v7
	v_sub_nc_u32_e32 v161, 29, v7
	v_lshlrev_b64_e32 v[162:163], v39, v[0:1]
	s_delay_alu instid0(VALU_DEP_1)
	v_and_b32_e32 v39, 7, v162
; %bb.2676:                             ;   in Loop: Header=BB294_1574 Depth=1
	s_wait_alu 0xfffe
	s_or_b32 exec_lo, exec_lo, s17
	v_lshlrev_b32_e32 v0, 8, v160
	v_lshl_add_u32 v7, v161, 10, 0x2000
	s_delay_alu instid0(VALU_DEP_1) | instskip(SKIP_1) | instid1(VALU_DEP_1)
	v_and_or_b32 v0, 0x8000, v0, v7
	v_lshlrev_b32_e32 v7, 23, v39
	v_lshl_or_b32 v39, v0, 16, v7
.LBB294_2677:                           ;   in Loop: Header=BB294_1574 Depth=1
	s_wait_alu 0xfffe
	s_or_b32 exec_lo, exec_lo, s16
.LBB294_2678:                           ;   in Loop: Header=BB294_1574 Depth=1
	s_wait_alu 0xfffe
	s_or_b32 exec_lo, exec_lo, s15
.LBB294_2679:                           ;   in Loop: Header=BB294_1574 Depth=1
	s_wait_alu 0xfffe
	s_or_b32 exec_lo, exec_lo, s14
	v_lshrrev_b32_e32 v0, 16, v11
	s_mov_b32 s14, exec_lo
	s_delay_alu instid0(VALU_DEP_1) | instskip(NEXT) | instid1(VALU_DEP_1)
	v_and_b32_e32 v160, 0xff, v0
	v_cmpx_ne_u16_e64 0, v160
	s_cbranch_execz .LBB294_2687
; %bb.2680:                             ;   in Loop: Header=BB294_1574 Depth=1
	v_mov_b32_e32 v37, 0x8000
	s_mov_b32 s15, exec_lo
	v_cmpx_ne_u16_e64 0x80, v160
	s_cbranch_execz .LBB294_2686
; %bb.2681:                             ;   in Loop: Header=BB294_1574 Depth=1
	v_bfe_u32 v161, v11, 16, 7
	v_mov_b32_e32 v37, 0x7c01
	s_mov_b32 s16, exec_lo
	s_delay_alu instid0(VALU_DEP_2)
	v_cmpx_ne_u32_e32 0x7f, v161
	s_cbranch_execz .LBB294_2685
; %bb.2682:                             ;   in Loop: Header=BB294_1574 Depth=1
	v_and_b32_e32 v37, 7, v0
	v_lshrrev_b32_e32 v160, 3, v161
	s_mov_b32 s17, exec_lo
	v_cmpx_gt_u32_e32 8, v161
; %bb.2683:                             ;   in Loop: Header=BB294_1574 Depth=1
	s_delay_alu instid0(VALU_DEP_3) | instskip(NEXT) | instid1(VALU_DEP_1)
	v_clz_i32_u32_e32 v7, v37
	v_min_u32_e32 v7, 32, v7
	s_delay_alu instid0(VALU_DEP_1) | instskip(SKIP_1) | instid1(VALU_DEP_2)
	v_subrev_nc_u32_e32 v37, 28, v7
	v_sub_nc_u32_e32 v160, 29, v7
	v_lshlrev_b64_e32 v[161:162], v37, v[0:1]
	s_delay_alu instid0(VALU_DEP_1)
	v_and_b32_e32 v37, 7, v161
; %bb.2684:                             ;   in Loop: Header=BB294_1574 Depth=1
	s_wait_alu 0xfffe
	s_or_b32 exec_lo, exec_lo, s17
	v_lshlrev_b32_e32 v0, 8, v0
	v_lshl_add_u32 v7, v160, 10, 0x2000
	v_lshlrev_b32_e32 v37, 7, v37
	s_delay_alu instid0(VALU_DEP_3) | instskip(NEXT) | instid1(VALU_DEP_3)
	v_and_b32_e32 v0, 0x8000, v0
	v_and_b32_e32 v7, 0xfc00, v7
	s_delay_alu instid0(VALU_DEP_1)
	v_or3_b32 v37, v0, v7, v37
.LBB294_2685:                           ;   in Loop: Header=BB294_1574 Depth=1
	s_wait_alu 0xfffe
	s_or_b32 exec_lo, exec_lo, s16
.LBB294_2686:                           ;   in Loop: Header=BB294_1574 Depth=1
	s_wait_alu 0xfffe
	s_or_b32 exec_lo, exec_lo, s15
.LBB294_2687:                           ;   in Loop: Header=BB294_1574 Depth=1
	s_wait_alu 0xfffe
	s_or_b32 exec_lo, exec_lo, s14
	v_cmp_lt_u64_e64 s0, s[8:9], v[10:11]
	v_mov_b32_e32 v10, 0
	s_and_saveexec_b32 s14, s0
	s_cbranch_execz .LBB294_2695
; %bb.2688:                             ;   in Loop: Header=BB294_1574 Depth=1
	v_lshrrev_b32_e32 v0, 24, v11
	v_bfrev_b32_e32 v10, 1
	s_mov_b32 s15, exec_lo
	s_delay_alu instid0(VALU_DEP_2)
	v_cmpx_ne_u32_e32 0x80, v0
	s_cbranch_execz .LBB294_2694
; %bb.2689:                             ;   in Loop: Header=BB294_1574 Depth=1
	v_and_b32_e32 v160, 0x7f, v0
	v_mov_b32_e32 v10, 0x7c010000
	s_mov_b32 s16, exec_lo
	s_delay_alu instid0(VALU_DEP_2)
	v_cmpx_ne_u32_e32 0x7f, v160
	s_cbranch_execz .LBB294_2693
; %bb.2690:                             ;   in Loop: Header=BB294_1574 Depth=1
	v_and_b32_e32 v10, 7, v0
	v_lshrrev_b32_e32 v11, 3, v160
	s_mov_b32 s17, exec_lo
	v_cmpx_gt_u32_e32 8, v160
; %bb.2691:                             ;   in Loop: Header=BB294_1574 Depth=1
	s_delay_alu instid0(VALU_DEP_3) | instskip(NEXT) | instid1(VALU_DEP_1)
	v_clz_i32_u32_e32 v7, v10
	v_min_u32_e32 v7, 32, v7
	s_delay_alu instid0(VALU_DEP_1) | instskip(NEXT) | instid1(VALU_DEP_1)
	v_subrev_nc_u32_e32 v10, 28, v7
	v_lshlrev_b64_e32 v[10:11], v10, v[0:1]
	v_sub_nc_u32_e32 v11, 29, v7
	s_delay_alu instid0(VALU_DEP_2)
	v_and_b32_e32 v10, 7, v10
; %bb.2692:                             ;   in Loop: Header=BB294_1574 Depth=1
	s_wait_alu 0xfffe
	s_or_b32 exec_lo, exec_lo, s17
	v_lshlrev_b32_e32 v0, 8, v0
	v_lshl_add_u32 v7, v11, 10, 0x2000
	s_delay_alu instid0(VALU_DEP_1) | instskip(SKIP_1) | instid1(VALU_DEP_1)
	v_and_or_b32 v0, 0x8000, v0, v7
	v_lshlrev_b32_e32 v7, 23, v10
	v_lshl_or_b32 v10, v0, 16, v7
.LBB294_2693:                           ;   in Loop: Header=BB294_1574 Depth=1
	s_wait_alu 0xfffe
	s_or_b32 exec_lo, exec_lo, s16
.LBB294_2694:                           ;   in Loop: Header=BB294_1574 Depth=1
	s_wait_alu 0xfffe
	s_or_b32 exec_lo, exec_lo, s15
.LBB294_2695:                           ;   in Loop: Header=BB294_1574 Depth=1
	s_wait_alu 0xfffe
	s_or_b32 exec_lo, exec_lo, s14
	v_or_b32_e32 v0, v35, v36
	s_wait_loadcnt_dscnt 0x0
	v_fma_mixlo_f16 v7, v22, v35, 0 op_sel:[0,1,0] op_sel_hi:[0,1,0]
	v_or_b32_e32 v11, v23, v33
	v_fma_mixlo_f16 v23, v22, v23, 0 op_sel:[0,1,0] op_sel_hi:[0,1,0]
	v_or_b32_e32 v35, v39, v38
	v_or_b32_e32 v37, v10, v37
	v_fma_mixlo_f16 v36, v22, v0, 0 op_sel_hi:[0,1,0]
	v_lshlrev_b32_e32 v0, 16, v7
	v_lshlrev_b32_e32 v33, 16, v23
	v_fma_mixlo_f16 v7, v22, v11, 0 op_sel_hi:[0,1,0]
	v_fma_mixlo_f16 v23, v22, v39, 0 op_sel:[0,1,0] op_sel_hi:[0,1,0]
	v_fma_mixlo_f16 v35, v22, v35, 0 op_sel_hi:[0,1,0]
	v_fma_mixlo_f16 v10, v22, v10, 0 op_sel:[0,1,0] op_sel_hi:[0,1,0]
	v_fma_mixlo_f16 v37, v22, v37, 0 op_sel_hi:[0,1,0]
	v_and_b32_e32 v11, 0xffff, v36
	v_and_b32_e32 v160, 0xffff, v7
	v_lshlrev_b32_e32 v22, 16, v23
	v_and_b32_e32 v36, 0xffff, v35
	v_lshlrev_b32_e32 v10, 16, v10
	v_and_b32_e32 v23, 0xffff, v37
	v_or_b32_e32 v35, v0, v11
	v_or_b32_e32 v39, v33, v160
	;; [unrolled: 1-line block ×3, first 2 shown]
	s_delay_alu instid0(VALU_DEP_4)
	v_or_b32_e32 v37, v10, v23
	s_and_saveexec_b32 s14, vcc_lo
	s_cbranch_execz .LBB294_2697
; %bb.2696:                             ;   in Loop: Header=BB294_1574 Depth=1
	v_cmp_lt_i32_e64 s0, v49, v34
	s_wait_alu 0xf1ff
	s_delay_alu instid0(VALU_DEP_1) | instskip(SKIP_2) | instid1(VALU_DEP_1)
	v_cndmask_b32_e64 v7, 0, v160, s0
	v_cmp_lt_i32_e64 s0, v101, v34
	s_wait_alu 0xf1ff
	v_cndmask_b32_e64 v33, 0, v33, s0
	v_cmp_lt_i32_e64 s0, v100, v34
	s_delay_alu instid0(VALU_DEP_2) | instskip(SKIP_1) | instid1(VALU_DEP_2)
	v_or_b32_e32 v39, v7, v33
	s_wait_alu 0xf1ff
	v_cndmask_b32_e64 v11, 0, v11, s0
	v_cmp_lt_i32_e64 s0, v99, v34
	s_wait_alu 0xf1ff
	s_delay_alu instid0(VALU_DEP_1) | instskip(SKIP_1) | instid1(VALU_DEP_2)
	v_cndmask_b32_e64 v0, 0, v0, s0
	v_cmp_lt_i32_e64 s0, v98, v34
	v_or_b32_e32 v35, v11, v0
	s_wait_alu 0xf1ff
	s_delay_alu instid0(VALU_DEP_2) | instskip(SKIP_2) | instid1(VALU_DEP_1)
	v_cndmask_b32_e64 v36, 0, v36, s0
	v_cmp_lt_i32_e64 s0, v97, v34
	s_wait_alu 0xf1ff
	v_cndmask_b32_e64 v22, 0, v22, s0
	v_cmp_lt_i32_e64 s0, v96, v34
	s_delay_alu instid0(VALU_DEP_2) | instskip(SKIP_1) | instid1(VALU_DEP_2)
	v_or_b32_e32 v38, v36, v22
	s_wait_alu 0xf1ff
	v_cndmask_b32_e64 v23, 0, v23, s0
	v_cmp_lt_i32_e64 s0, v87, v34
	s_wait_alu 0xf1ff
	s_delay_alu instid0(VALU_DEP_1) | instskip(NEXT) | instid1(VALU_DEP_1)
	v_cndmask_b32_e64 v10, 0, v10, s0
	v_or_b32_e32 v37, v23, v10
.LBB294_2697:                           ;   in Loop: Header=BB294_1574 Depth=1
	s_wait_alu 0xfffe
	s_or_b32 exec_lo, exec_lo, s14
	;;#ASMSTART
	v_pk_mul_f16 v0, v86, v39;

	;;#ASMEND
	;;#ASMSTART
	v_pk_mul_f16 v7, v85, v35;

	;;#ASMEND
	;; [unrolled: 4-line block ×4, first 2 shown]
	;;#ASMSTART
	v_pk_add_f16 v0, v0, v7;

	;;#ASMEND
	;;#ASMSTART
	v_pk_add_f16 v0, v0, v10;

	;;#ASMEND
	;; [unrolled: 4-line block ×3, first 2 shown]
	v_dual_mov_b32 v36, 0 :: v_dual_and_b32 v7, 0xffff, v0
	v_lshrrev_b32_e32 v0, 16, v0
	;;#ASMSTART
	v_cvt_f32_f16 v22, v7;
	;;#ASMEND
	;;#ASMSTART
	v_cvt_f32_f16 v23, v0;
	;;#ASMEND
	flat_load_b64 v[10:11], v[8:9] offset:4352
	flat_load_b32 v33, v[26:27]
	s_mov_b32 s14, exec_lo
	s_wait_loadcnt_dscnt 0x101
	v_dual_mov_b32 v35, 0 :: v_dual_and_b32 v0, 0xff, v10
	s_delay_alu instid0(VALU_DEP_1)
	v_cmpx_ne_u16_e32 0, v0
	s_cbranch_execz .LBB294_2705
; %bb.2698:                             ;   in Loop: Header=BB294_1574 Depth=1
	v_mov_b32_e32 v36, 0x8000
	s_mov_b32 s15, exec_lo
	v_cmpx_ne_u16_e32 0x80, v0
	s_cbranch_execz .LBB294_2704
; %bb.2699:                             ;   in Loop: Header=BB294_1574 Depth=1
	v_and_b32_e32 v37, 0x7f, v10
	v_mov_b32_e32 v36, 0x7c01
	s_mov_b32 s16, exec_lo
	s_delay_alu instid0(VALU_DEP_2)
	v_cmpx_ne_u32_e32 0x7f, v37
	s_cbranch_execz .LBB294_2703
; %bb.2700:                             ;   in Loop: Header=BB294_1574 Depth=1
	v_and_b32_e32 v0, 7, v10
	v_lshrrev_b32_e32 v36, 3, v37
	s_mov_b32 s17, exec_lo
	v_cmpx_gt_u32_e32 8, v37
; %bb.2701:                             ;   in Loop: Header=BB294_1574 Depth=1
	s_delay_alu instid0(VALU_DEP_3) | instskip(NEXT) | instid1(VALU_DEP_1)
	v_clz_i32_u32_e32 v0, v0
	v_min_u32_e32 v0, 32, v0
	s_delay_alu instid0(VALU_DEP_1) | instskip(SKIP_1) | instid1(VALU_DEP_2)
	v_subrev_nc_u32_e32 v7, 28, v0
	v_sub_nc_u32_e32 v36, 29, v0
	v_lshlrev_b64_e32 v[37:38], v7, v[10:11]
	s_delay_alu instid0(VALU_DEP_1)
	v_and_b32_e32 v0, 7, v37
; %bb.2702:                             ;   in Loop: Header=BB294_1574 Depth=1
	s_wait_alu 0xfffe
	s_or_b32 exec_lo, exec_lo, s17
	v_lshlrev_b32_e32 v7, 8, v10
	v_lshl_add_u32 v36, v36, 10, 0x2000
	v_lshlrev_b32_e32 v0, 7, v0
	s_delay_alu instid0(VALU_DEP_3) | instskip(NEXT) | instid1(VALU_DEP_3)
	v_and_b32_e32 v7, 0x8000, v7
	v_and_b32_e32 v36, 0xfc00, v36
	s_delay_alu instid0(VALU_DEP_1)
	v_or3_b32 v36, v7, v36, v0
.LBB294_2703:                           ;   in Loop: Header=BB294_1574 Depth=1
	s_wait_alu 0xfffe
	s_or_b32 exec_lo, exec_lo, s16
.LBB294_2704:                           ;   in Loop: Header=BB294_1574 Depth=1
	s_wait_alu 0xfffe
	s_or_b32 exec_lo, exec_lo, s15
.LBB294_2705:                           ;   in Loop: Header=BB294_1574 Depth=1
	s_wait_alu 0xfffe
	s_or_b32 exec_lo, exec_lo, s14
	v_lshrrev_b16 v0, 8, v10
	s_mov_b32 s14, exec_lo
	s_delay_alu instid0(VALU_DEP_1)
	v_cmpx_ne_u16_e32 0, v0
	s_cbranch_execz .LBB294_2713
; %bb.2706:                             ;   in Loop: Header=BB294_1574 Depth=1
	v_bfrev_b32_e32 v35, 1
	s_mov_b32 s15, exec_lo
	v_cmpx_ne_u16_e32 0x80, v0
	s_cbranch_execz .LBB294_2712
; %bb.2707:                             ;   in Loop: Header=BB294_1574 Depth=1
	v_and_b32_e32 v37, 0xffff, v0
	v_mov_b32_e32 v35, 0x7c010000
	s_mov_b32 s16, exec_lo
	s_delay_alu instid0(VALU_DEP_2) | instskip(NEXT) | instid1(VALU_DEP_1)
	v_and_b32_e32 v39, 0x7f, v37
	v_cmpx_ne_u32_e32 0x7f, v39
	s_cbranch_execz .LBB294_2711
; %bb.2708:                             ;   in Loop: Header=BB294_1574 Depth=1
	v_and_b32_e32 v35, 7, v37
	v_lshrrev_b32_e32 v38, 3, v39
	s_mov_b32 s17, exec_lo
	v_cmpx_gt_u32_e32 8, v39
; %bb.2709:                             ;   in Loop: Header=BB294_1574 Depth=1
	s_delay_alu instid0(VALU_DEP_3) | instskip(NEXT) | instid1(VALU_DEP_1)
	v_clz_i32_u32_e32 v7, v35
	v_min_u32_e32 v7, 32, v7
	s_delay_alu instid0(VALU_DEP_1) | instskip(SKIP_1) | instid1(VALU_DEP_2)
	v_subrev_nc_u32_e32 v35, 28, v7
	v_sub_nc_u32_e32 v38, 29, v7
	v_lshlrev_b64_e32 v[160:161], v35, v[0:1]
	s_delay_alu instid0(VALU_DEP_1)
	v_and_b32_e32 v35, 7, v160
; %bb.2710:                             ;   in Loop: Header=BB294_1574 Depth=1
	s_wait_alu 0xfffe
	s_or_b32 exec_lo, exec_lo, s17
	v_lshlrev_b32_e32 v0, 8, v37
	v_lshl_add_u32 v7, v38, 10, 0x2000
	s_delay_alu instid0(VALU_DEP_1) | instskip(SKIP_1) | instid1(VALU_DEP_1)
	v_and_or_b32 v0, 0x8000, v0, v7
	v_lshlrev_b32_e32 v7, 23, v35
	v_lshl_or_b32 v35, v0, 16, v7
.LBB294_2711:                           ;   in Loop: Header=BB294_1574 Depth=1
	s_wait_alu 0xfffe
	s_or_b32 exec_lo, exec_lo, s16
.LBB294_2712:                           ;   in Loop: Header=BB294_1574 Depth=1
	s_wait_alu 0xfffe
	s_or_b32 exec_lo, exec_lo, s15
.LBB294_2713:                           ;   in Loop: Header=BB294_1574 Depth=1
	s_wait_alu 0xfffe
	s_or_b32 exec_lo, exec_lo, s14
	v_lshrrev_b32_e32 v0, 16, v10
	v_mov_b32_e32 v37, 0
	s_mov_b32 s14, exec_lo
	s_delay_alu instid0(VALU_DEP_2) | instskip(NEXT) | instid1(VALU_DEP_1)
	v_dual_mov_b32 v38, 0 :: v_dual_and_b32 v39, 0xff, v0
	v_cmpx_ne_u16_e32 0, v39
	s_cbranch_execz .LBB294_2721
; %bb.2714:                             ;   in Loop: Header=BB294_1574 Depth=1
	v_mov_b32_e32 v38, 0x8000
	s_mov_b32 s15, exec_lo
	v_cmpx_ne_u16_e32 0x80, v39
	s_cbranch_execz .LBB294_2720
; %bb.2715:                             ;   in Loop: Header=BB294_1574 Depth=1
	v_bfe_u32 v160, v10, 16, 7
	v_mov_b32_e32 v38, 0x7c01
	s_mov_b32 s16, exec_lo
	s_delay_alu instid0(VALU_DEP_2)
	v_cmpx_ne_u32_e32 0x7f, v160
	s_cbranch_execz .LBB294_2719
; %bb.2716:                             ;   in Loop: Header=BB294_1574 Depth=1
	v_and_b32_e32 v38, 7, v0
	v_lshrrev_b32_e32 v39, 3, v160
	s_mov_b32 s17, exec_lo
	v_cmpx_gt_u32_e32 8, v160
; %bb.2717:                             ;   in Loop: Header=BB294_1574 Depth=1
	s_delay_alu instid0(VALU_DEP_3) | instskip(NEXT) | instid1(VALU_DEP_1)
	v_clz_i32_u32_e32 v7, v38
	v_min_u32_e32 v7, 32, v7
	s_delay_alu instid0(VALU_DEP_1) | instskip(NEXT) | instid1(VALU_DEP_1)
	v_subrev_nc_u32_e32 v38, 28, v7
	v_lshlrev_b64_e32 v[38:39], v38, v[0:1]
	v_sub_nc_u32_e32 v39, 29, v7
	s_delay_alu instid0(VALU_DEP_2)
	v_and_b32_e32 v38, 7, v38
; %bb.2718:                             ;   in Loop: Header=BB294_1574 Depth=1
	s_wait_alu 0xfffe
	s_or_b32 exec_lo, exec_lo, s17
	v_lshlrev_b32_e32 v0, 8, v0
	v_lshl_add_u32 v7, v39, 10, 0x2000
	v_lshlrev_b32_e32 v38, 7, v38
	s_delay_alu instid0(VALU_DEP_3) | instskip(NEXT) | instid1(VALU_DEP_3)
	v_and_b32_e32 v0, 0x8000, v0
	v_and_b32_e32 v7, 0xfc00, v7
	s_delay_alu instid0(VALU_DEP_1)
	v_or3_b32 v38, v0, v7, v38
.LBB294_2719:                           ;   in Loop: Header=BB294_1574 Depth=1
	s_wait_alu 0xfffe
	s_or_b32 exec_lo, exec_lo, s16
.LBB294_2720:                           ;   in Loop: Header=BB294_1574 Depth=1
	s_wait_alu 0xfffe
	s_or_b32 exec_lo, exec_lo, s15
.LBB294_2721:                           ;   in Loop: Header=BB294_1574 Depth=1
	s_wait_alu 0xfffe
	s_or_b32 exec_lo, exec_lo, s14
	s_delay_alu instid0(SALU_CYCLE_1)
	s_mov_b32 s14, exec_lo
	v_cmpx_lt_u32_e32 0xffffff, v10
	s_cbranch_execz .LBB294_2729
; %bb.2722:                             ;   in Loop: Header=BB294_1574 Depth=1
	v_lshrrev_b32_e32 v0, 24, v10
	v_bfrev_b32_e32 v37, 1
	s_mov_b32 s15, exec_lo
	s_delay_alu instid0(VALU_DEP_2)
	v_cmpx_ne_u32_e32 0x80, v0
	s_cbranch_execz .LBB294_2728
; %bb.2723:                             ;   in Loop: Header=BB294_1574 Depth=1
	v_and_b32_e32 v160, 0x7f, v0
	v_mov_b32_e32 v37, 0x7c010000
	s_mov_b32 s16, exec_lo
	s_delay_alu instid0(VALU_DEP_2)
	v_cmpx_ne_u32_e32 0x7f, v160
	s_cbranch_execz .LBB294_2727
; %bb.2724:                             ;   in Loop: Header=BB294_1574 Depth=1
	v_and_b32_e32 v37, 7, v0
	v_lshrrev_b32_e32 v39, 3, v160
	s_mov_b32 s17, exec_lo
	v_cmpx_gt_u32_e32 8, v160
; %bb.2725:                             ;   in Loop: Header=BB294_1574 Depth=1
	s_delay_alu instid0(VALU_DEP_3) | instskip(NEXT) | instid1(VALU_DEP_1)
	v_clz_i32_u32_e32 v7, v37
	v_min_u32_e32 v7, 32, v7
	s_delay_alu instid0(VALU_DEP_1) | instskip(SKIP_1) | instid1(VALU_DEP_2)
	v_subrev_nc_u32_e32 v37, 28, v7
	v_sub_nc_u32_e32 v39, 29, v7
	v_lshlrev_b64_e32 v[160:161], v37, v[0:1]
	s_delay_alu instid0(VALU_DEP_1)
	v_and_b32_e32 v37, 7, v160
; %bb.2726:                             ;   in Loop: Header=BB294_1574 Depth=1
	s_wait_alu 0xfffe
	s_or_b32 exec_lo, exec_lo, s17
	v_lshlrev_b32_e32 v0, 8, v0
	v_lshl_add_u32 v7, v39, 10, 0x2000
	s_delay_alu instid0(VALU_DEP_1) | instskip(SKIP_1) | instid1(VALU_DEP_1)
	v_and_or_b32 v0, 0x8000, v0, v7
	v_lshlrev_b32_e32 v7, 23, v37
	v_lshl_or_b32 v37, v0, 16, v7
.LBB294_2727:                           ;   in Loop: Header=BB294_1574 Depth=1
	s_wait_alu 0xfffe
	s_or_b32 exec_lo, exec_lo, s16
.LBB294_2728:                           ;   in Loop: Header=BB294_1574 Depth=1
	s_wait_alu 0xfffe
	s_or_b32 exec_lo, exec_lo, s15
.LBB294_2729:                           ;   in Loop: Header=BB294_1574 Depth=1
	s_wait_alu 0xfffe
	s_or_b32 exec_lo, exec_lo, s14
	v_dual_mov_b32 v0, v11 :: v_dual_and_b32 v161, 0xff, v11
	v_dual_mov_b32 v39, 0 :: v_dual_mov_b32 v160, 0
	s_mov_b32 s14, exec_lo
	s_delay_alu instid0(VALU_DEP_2)
	v_cmpx_ne_u16_e64 0, v161
	s_cbranch_execz .LBB294_2737
; %bb.2730:                             ;   in Loop: Header=BB294_1574 Depth=1
	v_mov_b32_e32 v160, 0x8000
	s_mov_b32 s15, exec_lo
	v_cmpx_ne_u16_e64 0x80, v161
	s_cbranch_execz .LBB294_2736
; %bb.2731:                             ;   in Loop: Header=BB294_1574 Depth=1
	v_and_b32_e32 v162, 0x7f, v11
	v_mov_b32_e32 v160, 0x7c01
	s_mov_b32 s16, exec_lo
	s_delay_alu instid0(VALU_DEP_2)
	v_cmpx_ne_u32_e32 0x7f, v162
	s_cbranch_execz .LBB294_2735
; %bb.2732:                             ;   in Loop: Header=BB294_1574 Depth=1
	v_and_b32_e32 v160, 7, v11
	v_lshrrev_b32_e32 v161, 3, v162
	s_mov_b32 s17, exec_lo
	v_cmpx_gt_u32_e32 8, v162
; %bb.2733:                             ;   in Loop: Header=BB294_1574 Depth=1
	s_delay_alu instid0(VALU_DEP_3) | instskip(NEXT) | instid1(VALU_DEP_1)
	v_clz_i32_u32_e32 v7, v160
	v_min_u32_e32 v7, 32, v7
	s_delay_alu instid0(VALU_DEP_1) | instskip(NEXT) | instid1(VALU_DEP_1)
	v_subrev_nc_u32_e32 v117, 28, v7
	v_lshlrev_b64_e32 v[160:161], v117, v[0:1]
	v_sub_nc_u32_e32 v161, 29, v7
	s_delay_alu instid0(VALU_DEP_2)
	v_and_b32_e32 v160, 7, v160
; %bb.2734:                             ;   in Loop: Header=BB294_1574 Depth=1
	s_wait_alu 0xfffe
	s_or_b32 exec_lo, exec_lo, s17
	v_lshlrev_b32_e32 v7, 8, v11
	v_lshl_add_u32 v117, v161, 10, 0x2000
	v_lshlrev_b32_e32 v160, 7, v160
	s_delay_alu instid0(VALU_DEP_3) | instskip(NEXT) | instid1(VALU_DEP_3)
	v_and_b32_e32 v7, 0x8000, v7
	v_and_b32_e32 v117, 0xfc00, v117
	s_delay_alu instid0(VALU_DEP_1)
	v_or3_b32 v160, v7, v117, v160
.LBB294_2735:                           ;   in Loop: Header=BB294_1574 Depth=1
	s_wait_alu 0xfffe
	s_or_b32 exec_lo, exec_lo, s16
.LBB294_2736:                           ;   in Loop: Header=BB294_1574 Depth=1
	s_wait_alu 0xfffe
	s_or_b32 exec_lo, exec_lo, s15
.LBB294_2737:                           ;   in Loop: Header=BB294_1574 Depth=1
	s_wait_alu 0xfffe
	s_or_b32 exec_lo, exec_lo, s14
	v_lshrrev_b16 v0, 8, v0
	v_mov_b32_e32 v161, 0
	s_mov_b32 s14, exec_lo
	s_delay_alu instid0(VALU_DEP_2)
	v_cmpx_ne_u16_e32 0, v0
	s_cbranch_execz .LBB294_2745
; %bb.2738:                             ;   in Loop: Header=BB294_1574 Depth=1
	v_bfrev_b32_e32 v161, 1
	s_mov_b32 s15, exec_lo
	v_cmpx_ne_u16_e32 0x80, v0
	s_cbranch_execz .LBB294_2744
; %bb.2739:                             ;   in Loop: Header=BB294_1574 Depth=1
	v_and_b32_e32 v162, 0xffff, v0
	v_mov_b32_e32 v161, 0x7c010000
	s_mov_b32 s16, exec_lo
	s_delay_alu instid0(VALU_DEP_2) | instskip(NEXT) | instid1(VALU_DEP_1)
	v_and_b32_e32 v164, 0x7f, v162
	v_cmpx_ne_u32_e32 0x7f, v164
	s_cbranch_execz .LBB294_2743
; %bb.2740:                             ;   in Loop: Header=BB294_1574 Depth=1
	v_and_b32_e32 v161, 7, v162
	v_lshrrev_b32_e32 v163, 3, v164
	s_mov_b32 s17, exec_lo
	v_cmpx_gt_u32_e32 8, v164
; %bb.2741:                             ;   in Loop: Header=BB294_1574 Depth=1
	s_delay_alu instid0(VALU_DEP_3) | instskip(NEXT) | instid1(VALU_DEP_1)
	v_clz_i32_u32_e32 v7, v161
	v_min_u32_e32 v7, 32, v7
	s_delay_alu instid0(VALU_DEP_1) | instskip(SKIP_1) | instid1(VALU_DEP_2)
	v_subrev_nc_u32_e32 v117, 28, v7
	v_sub_nc_u32_e32 v163, 29, v7
	v_lshlrev_b64_e32 v[164:165], v117, v[0:1]
	s_delay_alu instid0(VALU_DEP_1)
	v_and_b32_e32 v161, 7, v164
; %bb.2742:                             ;   in Loop: Header=BB294_1574 Depth=1
	s_wait_alu 0xfffe
	s_or_b32 exec_lo, exec_lo, s17
	v_lshlrev_b32_e32 v0, 8, v162
	v_lshl_add_u32 v7, v163, 10, 0x2000
	s_delay_alu instid0(VALU_DEP_1) | instskip(SKIP_1) | instid1(VALU_DEP_1)
	v_and_or_b32 v0, 0x8000, v0, v7
	v_lshlrev_b32_e32 v7, 23, v161
	v_lshl_or_b32 v161, v0, 16, v7
.LBB294_2743:                           ;   in Loop: Header=BB294_1574 Depth=1
	s_wait_alu 0xfffe
	s_or_b32 exec_lo, exec_lo, s16
.LBB294_2744:                           ;   in Loop: Header=BB294_1574 Depth=1
	s_wait_alu 0xfffe
	s_or_b32 exec_lo, exec_lo, s15
.LBB294_2745:                           ;   in Loop: Header=BB294_1574 Depth=1
	s_wait_alu 0xfffe
	s_or_b32 exec_lo, exec_lo, s14
	v_lshrrev_b32_e32 v0, 16, v11
	s_mov_b32 s14, exec_lo
	s_delay_alu instid0(VALU_DEP_1) | instskip(NEXT) | instid1(VALU_DEP_1)
	v_and_b32_e32 v162, 0xff, v0
	v_cmpx_ne_u16_e64 0, v162
	s_cbranch_execz .LBB294_2753
; %bb.2746:                             ;   in Loop: Header=BB294_1574 Depth=1
	v_mov_b32_e32 v39, 0x8000
	s_mov_b32 s15, exec_lo
	v_cmpx_ne_u16_e64 0x80, v162
	s_cbranch_execz .LBB294_2752
; %bb.2747:                             ;   in Loop: Header=BB294_1574 Depth=1
	v_bfe_u32 v163, v11, 16, 7
	v_mov_b32_e32 v39, 0x7c01
	s_mov_b32 s16, exec_lo
	s_delay_alu instid0(VALU_DEP_2)
	v_cmpx_ne_u32_e32 0x7f, v163
	s_cbranch_execz .LBB294_2751
; %bb.2748:                             ;   in Loop: Header=BB294_1574 Depth=1
	v_and_b32_e32 v39, 7, v0
	v_lshrrev_b32_e32 v162, 3, v163
	s_mov_b32 s17, exec_lo
	v_cmpx_gt_u32_e32 8, v163
; %bb.2749:                             ;   in Loop: Header=BB294_1574 Depth=1
	s_delay_alu instid0(VALU_DEP_3) | instskip(NEXT) | instid1(VALU_DEP_1)
	v_clz_i32_u32_e32 v7, v39
	v_min_u32_e32 v7, 32, v7
	s_delay_alu instid0(VALU_DEP_1) | instskip(SKIP_1) | instid1(VALU_DEP_2)
	v_subrev_nc_u32_e32 v39, 28, v7
	v_sub_nc_u32_e32 v162, 29, v7
	v_lshlrev_b64_e32 v[163:164], v39, v[0:1]
	s_delay_alu instid0(VALU_DEP_1)
	v_and_b32_e32 v39, 7, v163
; %bb.2750:                             ;   in Loop: Header=BB294_1574 Depth=1
	s_wait_alu 0xfffe
	s_or_b32 exec_lo, exec_lo, s17
	v_lshlrev_b32_e32 v0, 8, v0
	v_lshl_add_u32 v7, v162, 10, 0x2000
	v_lshlrev_b32_e32 v39, 7, v39
	s_delay_alu instid0(VALU_DEP_3) | instskip(NEXT) | instid1(VALU_DEP_3)
	v_and_b32_e32 v0, 0x8000, v0
	v_and_b32_e32 v7, 0xfc00, v7
	s_delay_alu instid0(VALU_DEP_1)
	v_or3_b32 v39, v0, v7, v39
.LBB294_2751:                           ;   in Loop: Header=BB294_1574 Depth=1
	s_wait_alu 0xfffe
	s_or_b32 exec_lo, exec_lo, s16
.LBB294_2752:                           ;   in Loop: Header=BB294_1574 Depth=1
	s_wait_alu 0xfffe
	s_or_b32 exec_lo, exec_lo, s15
.LBB294_2753:                           ;   in Loop: Header=BB294_1574 Depth=1
	s_wait_alu 0xfffe
	s_or_b32 exec_lo, exec_lo, s14
	v_cmp_lt_u64_e64 s0, s[8:9], v[10:11]
	v_mov_b32_e32 v10, 0
	s_and_saveexec_b32 s14, s0
	s_cbranch_execz .LBB294_2761
; %bb.2754:                             ;   in Loop: Header=BB294_1574 Depth=1
	v_lshrrev_b32_e32 v0, 24, v11
	v_bfrev_b32_e32 v10, 1
	s_mov_b32 s15, exec_lo
	s_delay_alu instid0(VALU_DEP_2)
	v_cmpx_ne_u32_e32 0x80, v0
	s_cbranch_execz .LBB294_2760
; %bb.2755:                             ;   in Loop: Header=BB294_1574 Depth=1
	v_and_b32_e32 v162, 0x7f, v0
	v_mov_b32_e32 v10, 0x7c010000
	s_mov_b32 s16, exec_lo
	s_delay_alu instid0(VALU_DEP_2)
	v_cmpx_ne_u32_e32 0x7f, v162
	s_cbranch_execz .LBB294_2759
; %bb.2756:                             ;   in Loop: Header=BB294_1574 Depth=1
	v_and_b32_e32 v10, 7, v0
	v_lshrrev_b32_e32 v11, 3, v162
	s_mov_b32 s17, exec_lo
	v_cmpx_gt_u32_e32 8, v162
; %bb.2757:                             ;   in Loop: Header=BB294_1574 Depth=1
	s_delay_alu instid0(VALU_DEP_3) | instskip(NEXT) | instid1(VALU_DEP_1)
	v_clz_i32_u32_e32 v7, v10
	v_min_u32_e32 v7, 32, v7
	s_delay_alu instid0(VALU_DEP_1) | instskip(NEXT) | instid1(VALU_DEP_1)
	v_subrev_nc_u32_e32 v10, 28, v7
	v_lshlrev_b64_e32 v[10:11], v10, v[0:1]
	v_sub_nc_u32_e32 v11, 29, v7
	s_delay_alu instid0(VALU_DEP_2)
	v_and_b32_e32 v10, 7, v10
; %bb.2758:                             ;   in Loop: Header=BB294_1574 Depth=1
	s_wait_alu 0xfffe
	s_or_b32 exec_lo, exec_lo, s17
	v_lshlrev_b32_e32 v0, 8, v0
	v_lshl_add_u32 v7, v11, 10, 0x2000
	s_delay_alu instid0(VALU_DEP_1) | instskip(SKIP_1) | instid1(VALU_DEP_1)
	v_and_or_b32 v0, 0x8000, v0, v7
	v_lshlrev_b32_e32 v7, 23, v10
	v_lshl_or_b32 v10, v0, 16, v7
.LBB294_2759:                           ;   in Loop: Header=BB294_1574 Depth=1
	s_wait_alu 0xfffe
	s_or_b32 exec_lo, exec_lo, s16
.LBB294_2760:                           ;   in Loop: Header=BB294_1574 Depth=1
	s_wait_alu 0xfffe
	s_or_b32 exec_lo, exec_lo, s15
.LBB294_2761:                           ;   in Loop: Header=BB294_1574 Depth=1
	s_wait_alu 0xfffe
	s_or_b32 exec_lo, exec_lo, s14
	v_or_b32_e32 v0, v37, v38
	s_wait_loadcnt_dscnt 0x0
	v_fma_mixlo_f16 v7, v33, v37, 0 op_sel:[0,1,0] op_sel_hi:[0,1,0]
	v_or_b32_e32 v11, v35, v36
	v_fma_mixlo_f16 v35, v33, v35, 0 op_sel:[0,1,0] op_sel_hi:[0,1,0]
	v_or_b32_e32 v37, v161, v160
	v_or_b32_e32 v39, v10, v39
	v_fma_mixlo_f16 v38, v33, v0, 0 op_sel_hi:[0,1,0]
	v_lshlrev_b32_e32 v0, 16, v7
	v_lshlrev_b32_e32 v36, 16, v35
	v_fma_mixlo_f16 v7, v33, v11, 0 op_sel_hi:[0,1,0]
	v_fma_mixlo_f16 v35, v33, v161, 0 op_sel:[0,1,0] op_sel_hi:[0,1,0]
	v_fma_mixlo_f16 v37, v33, v37, 0 op_sel_hi:[0,1,0]
	v_fma_mixlo_f16 v10, v33, v10, 0 op_sel:[0,1,0] op_sel_hi:[0,1,0]
	v_fma_mixlo_f16 v39, v33, v39, 0 op_sel_hi:[0,1,0]
	v_and_b32_e32 v11, 0xffff, v38
	v_and_b32_e32 v162, 0xffff, v7
	v_lshlrev_b32_e32 v33, 16, v35
	v_and_b32_e32 v38, 0xffff, v37
	v_lshlrev_b32_e32 v10, 16, v10
	v_and_b32_e32 v35, 0xffff, v39
	v_or_b32_e32 v37, v0, v11
	v_or_b32_e32 v161, v36, v162
	;; [unrolled: 1-line block ×3, first 2 shown]
	s_delay_alu instid0(VALU_DEP_4)
	v_or_b32_e32 v39, v10, v35
	s_and_saveexec_b32 s14, vcc_lo
	s_cbranch_execz .LBB294_2763
; %bb.2762:                             ;   in Loop: Header=BB294_1574 Depth=1
	v_cmp_lt_i32_e64 s0, v49, v34
	s_wait_alu 0xf1ff
	s_delay_alu instid0(VALU_DEP_1) | instskip(SKIP_2) | instid1(VALU_DEP_1)
	v_cndmask_b32_e64 v7, 0, v162, s0
	v_cmp_lt_i32_e64 s0, v101, v34
	s_wait_alu 0xf1ff
	v_cndmask_b32_e64 v36, 0, v36, s0
	v_cmp_lt_i32_e64 s0, v100, v34
	s_delay_alu instid0(VALU_DEP_2) | instskip(SKIP_1) | instid1(VALU_DEP_2)
	v_or_b32_e32 v161, v7, v36
	s_wait_alu 0xf1ff
	v_cndmask_b32_e64 v11, 0, v11, s0
	v_cmp_lt_i32_e64 s0, v99, v34
	s_wait_alu 0xf1ff
	s_delay_alu instid0(VALU_DEP_1) | instskip(SKIP_1) | instid1(VALU_DEP_2)
	v_cndmask_b32_e64 v0, 0, v0, s0
	v_cmp_lt_i32_e64 s0, v98, v34
	v_or_b32_e32 v37, v11, v0
	s_wait_alu 0xf1ff
	s_delay_alu instid0(VALU_DEP_2) | instskip(SKIP_2) | instid1(VALU_DEP_1)
	v_cndmask_b32_e64 v38, 0, v38, s0
	v_cmp_lt_i32_e64 s0, v97, v34
	s_wait_alu 0xf1ff
	v_cndmask_b32_e64 v33, 0, v33, s0
	v_cmp_lt_i32_e64 s0, v96, v34
	s_delay_alu instid0(VALU_DEP_2) | instskip(SKIP_1) | instid1(VALU_DEP_2)
	v_or_b32_e32 v160, v38, v33
	s_wait_alu 0xf1ff
	v_cndmask_b32_e64 v35, 0, v35, s0
	v_cmp_lt_i32_e64 s0, v87, v34
	s_wait_alu 0xf1ff
	s_delay_alu instid0(VALU_DEP_1) | instskip(NEXT) | instid1(VALU_DEP_1)
	v_cndmask_b32_e64 v10, 0, v10, s0
	v_or_b32_e32 v39, v35, v10
.LBB294_2763:                           ;   in Loop: Header=BB294_1574 Depth=1
	s_wait_alu 0xfffe
	s_or_b32 exec_lo, exec_lo, s14
	;;#ASMSTART
	v_pk_mul_f16 v0, v86, v161;

	;;#ASMEND
	;;#ASMSTART
	v_pk_mul_f16 v7, v85, v37;

	;;#ASMEND
	;;#ASMSTART
	v_pk_mul_f16 v10, v84, v160;

	;;#ASMEND
	;;#ASMSTART
	v_pk_mul_f16 v11, v83, v39;

	;;#ASMEND
	;;#ASMSTART
	v_pk_add_f16 v0, v0, v7;

	;;#ASMEND
	;;#ASMSTART
	v_pk_add_f16 v0, v0, v10;

	;;#ASMEND
	;; [unrolled: 4-line block ×3, first 2 shown]
	v_dual_mov_b32 v38, 0 :: v_dual_and_b32 v7, 0xffff, v0
	v_lshrrev_b32_e32 v0, 16, v0
	;;#ASMSTART
	v_cvt_f32_f16 v33, v7;
	;;#ASMEND
	;;#ASMSTART
	v_cvt_f32_f16 v35, v0;
	;;#ASMEND
	flat_load_b64 v[10:11], v[8:9] offset:4608
	flat_load_b32 v36, v[26:27]
	s_mov_b32 s14, exec_lo
	s_wait_loadcnt_dscnt 0x101
	v_dual_mov_b32 v37, 0 :: v_dual_and_b32 v0, 0xff, v10
	s_delay_alu instid0(VALU_DEP_1)
	v_cmpx_ne_u16_e32 0, v0
	s_cbranch_execz .LBB294_2771
; %bb.2764:                             ;   in Loop: Header=BB294_1574 Depth=1
	v_mov_b32_e32 v38, 0x8000
	s_mov_b32 s15, exec_lo
	v_cmpx_ne_u16_e32 0x80, v0
	s_cbranch_execz .LBB294_2770
; %bb.2765:                             ;   in Loop: Header=BB294_1574 Depth=1
	v_and_b32_e32 v39, 0x7f, v10
	v_mov_b32_e32 v38, 0x7c01
	s_mov_b32 s16, exec_lo
	s_delay_alu instid0(VALU_DEP_2)
	v_cmpx_ne_u32_e32 0x7f, v39
	s_cbranch_execz .LBB294_2769
; %bb.2766:                             ;   in Loop: Header=BB294_1574 Depth=1
	v_and_b32_e32 v0, 7, v10
	v_lshrrev_b32_e32 v38, 3, v39
	s_mov_b32 s17, exec_lo
	v_cmpx_gt_u32_e32 8, v39
; %bb.2767:                             ;   in Loop: Header=BB294_1574 Depth=1
	s_delay_alu instid0(VALU_DEP_3) | instskip(NEXT) | instid1(VALU_DEP_1)
	v_clz_i32_u32_e32 v0, v0
	v_min_u32_e32 v0, 32, v0
	s_delay_alu instid0(VALU_DEP_1) | instskip(SKIP_1) | instid1(VALU_DEP_2)
	v_subrev_nc_u32_e32 v7, 28, v0
	v_sub_nc_u32_e32 v38, 29, v0
	v_lshlrev_b64_e32 v[160:161], v7, v[10:11]
	s_delay_alu instid0(VALU_DEP_1)
	v_and_b32_e32 v0, 7, v160
; %bb.2768:                             ;   in Loop: Header=BB294_1574 Depth=1
	s_wait_alu 0xfffe
	s_or_b32 exec_lo, exec_lo, s17
	v_lshlrev_b32_e32 v7, 8, v10
	v_lshl_add_u32 v38, v38, 10, 0x2000
	v_lshlrev_b32_e32 v0, 7, v0
	s_delay_alu instid0(VALU_DEP_3) | instskip(NEXT) | instid1(VALU_DEP_3)
	v_and_b32_e32 v7, 0x8000, v7
	v_and_b32_e32 v38, 0xfc00, v38
	s_delay_alu instid0(VALU_DEP_1)
	v_or3_b32 v38, v7, v38, v0
.LBB294_2769:                           ;   in Loop: Header=BB294_1574 Depth=1
	s_wait_alu 0xfffe
	s_or_b32 exec_lo, exec_lo, s16
.LBB294_2770:                           ;   in Loop: Header=BB294_1574 Depth=1
	s_wait_alu 0xfffe
	s_or_b32 exec_lo, exec_lo, s15
.LBB294_2771:                           ;   in Loop: Header=BB294_1574 Depth=1
	s_wait_alu 0xfffe
	s_or_b32 exec_lo, exec_lo, s14
	v_lshrrev_b16 v0, 8, v10
	s_mov_b32 s14, exec_lo
	s_delay_alu instid0(VALU_DEP_1)
	v_cmpx_ne_u16_e32 0, v0
	s_cbranch_execz .LBB294_2779
; %bb.2772:                             ;   in Loop: Header=BB294_1574 Depth=1
	v_bfrev_b32_e32 v37, 1
	s_mov_b32 s15, exec_lo
	v_cmpx_ne_u16_e32 0x80, v0
	s_cbranch_execz .LBB294_2778
; %bb.2773:                             ;   in Loop: Header=BB294_1574 Depth=1
	v_and_b32_e32 v39, 0xffff, v0
	v_mov_b32_e32 v37, 0x7c010000
	s_mov_b32 s16, exec_lo
	s_delay_alu instid0(VALU_DEP_2) | instskip(NEXT) | instid1(VALU_DEP_1)
	v_and_b32_e32 v161, 0x7f, v39
	v_cmpx_ne_u32_e32 0x7f, v161
	s_cbranch_execz .LBB294_2777
; %bb.2774:                             ;   in Loop: Header=BB294_1574 Depth=1
	v_and_b32_e32 v37, 7, v39
	v_lshrrev_b32_e32 v160, 3, v161
	s_mov_b32 s17, exec_lo
	v_cmpx_gt_u32_e32 8, v161
; %bb.2775:                             ;   in Loop: Header=BB294_1574 Depth=1
	s_delay_alu instid0(VALU_DEP_3) | instskip(NEXT) | instid1(VALU_DEP_1)
	v_clz_i32_u32_e32 v7, v37
	v_min_u32_e32 v7, 32, v7
	s_delay_alu instid0(VALU_DEP_1) | instskip(SKIP_1) | instid1(VALU_DEP_2)
	v_subrev_nc_u32_e32 v37, 28, v7
	v_sub_nc_u32_e32 v160, 29, v7
	v_lshlrev_b64_e32 v[161:162], v37, v[0:1]
	s_delay_alu instid0(VALU_DEP_1)
	v_and_b32_e32 v37, 7, v161
; %bb.2776:                             ;   in Loop: Header=BB294_1574 Depth=1
	s_wait_alu 0xfffe
	s_or_b32 exec_lo, exec_lo, s17
	v_lshlrev_b32_e32 v0, 8, v39
	v_lshl_add_u32 v7, v160, 10, 0x2000
	s_delay_alu instid0(VALU_DEP_1) | instskip(SKIP_1) | instid1(VALU_DEP_1)
	v_and_or_b32 v0, 0x8000, v0, v7
	v_lshlrev_b32_e32 v7, 23, v37
	v_lshl_or_b32 v37, v0, 16, v7
.LBB294_2777:                           ;   in Loop: Header=BB294_1574 Depth=1
	s_wait_alu 0xfffe
	s_or_b32 exec_lo, exec_lo, s16
.LBB294_2778:                           ;   in Loop: Header=BB294_1574 Depth=1
	s_wait_alu 0xfffe
	s_or_b32 exec_lo, exec_lo, s15
.LBB294_2779:                           ;   in Loop: Header=BB294_1574 Depth=1
	s_wait_alu 0xfffe
	s_or_b32 exec_lo, exec_lo, s14
	v_lshrrev_b32_e32 v0, 16, v10
	v_mov_b32_e32 v39, 0
	s_mov_b32 s14, exec_lo
	s_delay_alu instid0(VALU_DEP_2) | instskip(NEXT) | instid1(VALU_DEP_1)
	v_dual_mov_b32 v160, 0 :: v_dual_and_b32 v161, 0xff, v0
	v_cmpx_ne_u16_e64 0, v161
	s_cbranch_execz .LBB294_2787
; %bb.2780:                             ;   in Loop: Header=BB294_1574 Depth=1
	v_mov_b32_e32 v160, 0x8000
	s_mov_b32 s15, exec_lo
	v_cmpx_ne_u16_e64 0x80, v161
	s_cbranch_execz .LBB294_2786
; %bb.2781:                             ;   in Loop: Header=BB294_1574 Depth=1
	v_bfe_u32 v162, v10, 16, 7
	v_mov_b32_e32 v160, 0x7c01
	s_mov_b32 s16, exec_lo
	s_delay_alu instid0(VALU_DEP_2)
	v_cmpx_ne_u32_e32 0x7f, v162
	s_cbranch_execz .LBB294_2785
; %bb.2782:                             ;   in Loop: Header=BB294_1574 Depth=1
	v_and_b32_e32 v160, 7, v0
	v_lshrrev_b32_e32 v161, 3, v162
	s_mov_b32 s17, exec_lo
	v_cmpx_gt_u32_e32 8, v162
; %bb.2783:                             ;   in Loop: Header=BB294_1574 Depth=1
	s_delay_alu instid0(VALU_DEP_3) | instskip(NEXT) | instid1(VALU_DEP_1)
	v_clz_i32_u32_e32 v7, v160
	v_min_u32_e32 v7, 32, v7
	s_delay_alu instid0(VALU_DEP_1) | instskip(NEXT) | instid1(VALU_DEP_1)
	v_subrev_nc_u32_e32 v117, 28, v7
	v_lshlrev_b64_e32 v[160:161], v117, v[0:1]
	v_sub_nc_u32_e32 v161, 29, v7
	s_delay_alu instid0(VALU_DEP_2)
	v_and_b32_e32 v160, 7, v160
; %bb.2784:                             ;   in Loop: Header=BB294_1574 Depth=1
	s_wait_alu 0xfffe
	s_or_b32 exec_lo, exec_lo, s17
	v_lshlrev_b32_e32 v0, 8, v0
	v_lshl_add_u32 v7, v161, 10, 0x2000
	v_lshlrev_b32_e32 v117, 7, v160
	s_delay_alu instid0(VALU_DEP_3) | instskip(NEXT) | instid1(VALU_DEP_3)
	v_and_b32_e32 v0, 0x8000, v0
	v_and_b32_e32 v7, 0xfc00, v7
	s_delay_alu instid0(VALU_DEP_1)
	v_or3_b32 v160, v0, v7, v117
.LBB294_2785:                           ;   in Loop: Header=BB294_1574 Depth=1
	s_wait_alu 0xfffe
	s_or_b32 exec_lo, exec_lo, s16
.LBB294_2786:                           ;   in Loop: Header=BB294_1574 Depth=1
	s_wait_alu 0xfffe
	s_or_b32 exec_lo, exec_lo, s15
.LBB294_2787:                           ;   in Loop: Header=BB294_1574 Depth=1
	s_wait_alu 0xfffe
	s_or_b32 exec_lo, exec_lo, s14
	s_delay_alu instid0(SALU_CYCLE_1)
	s_mov_b32 s14, exec_lo
	v_cmpx_lt_u32_e32 0xffffff, v10
	s_cbranch_execz .LBB294_2795
; %bb.2788:                             ;   in Loop: Header=BB294_1574 Depth=1
	v_lshrrev_b32_e32 v0, 24, v10
	v_bfrev_b32_e32 v39, 1
	s_mov_b32 s15, exec_lo
	s_delay_alu instid0(VALU_DEP_2)
	v_cmpx_ne_u32_e32 0x80, v0
	s_cbranch_execz .LBB294_2794
; %bb.2789:                             ;   in Loop: Header=BB294_1574 Depth=1
	v_and_b32_e32 v162, 0x7f, v0
	v_mov_b32_e32 v39, 0x7c010000
	s_mov_b32 s16, exec_lo
	s_delay_alu instid0(VALU_DEP_2)
	v_cmpx_ne_u32_e32 0x7f, v162
	s_cbranch_execz .LBB294_2793
; %bb.2790:                             ;   in Loop: Header=BB294_1574 Depth=1
	v_and_b32_e32 v39, 7, v0
	v_lshrrev_b32_e32 v161, 3, v162
	s_mov_b32 s17, exec_lo
	v_cmpx_gt_u32_e32 8, v162
; %bb.2791:                             ;   in Loop: Header=BB294_1574 Depth=1
	s_delay_alu instid0(VALU_DEP_3) | instskip(NEXT) | instid1(VALU_DEP_1)
	v_clz_i32_u32_e32 v7, v39
	v_min_u32_e32 v7, 32, v7
	s_delay_alu instid0(VALU_DEP_1) | instskip(SKIP_1) | instid1(VALU_DEP_2)
	v_subrev_nc_u32_e32 v39, 28, v7
	v_sub_nc_u32_e32 v161, 29, v7
	v_lshlrev_b64_e32 v[162:163], v39, v[0:1]
	s_delay_alu instid0(VALU_DEP_1)
	v_and_b32_e32 v39, 7, v162
; %bb.2792:                             ;   in Loop: Header=BB294_1574 Depth=1
	s_wait_alu 0xfffe
	s_or_b32 exec_lo, exec_lo, s17
	v_lshlrev_b32_e32 v0, 8, v0
	v_lshl_add_u32 v7, v161, 10, 0x2000
	s_delay_alu instid0(VALU_DEP_1) | instskip(SKIP_1) | instid1(VALU_DEP_1)
	v_and_or_b32 v0, 0x8000, v0, v7
	v_lshlrev_b32_e32 v7, 23, v39
	v_lshl_or_b32 v39, v0, 16, v7
.LBB294_2793:                           ;   in Loop: Header=BB294_1574 Depth=1
	s_wait_alu 0xfffe
	s_or_b32 exec_lo, exec_lo, s16
.LBB294_2794:                           ;   in Loop: Header=BB294_1574 Depth=1
	s_wait_alu 0xfffe
	s_or_b32 exec_lo, exec_lo, s15
.LBB294_2795:                           ;   in Loop: Header=BB294_1574 Depth=1
	s_wait_alu 0xfffe
	s_or_b32 exec_lo, exec_lo, s14
	v_dual_mov_b32 v0, v11 :: v_dual_and_b32 v163, 0xff, v11
	v_dual_mov_b32 v161, 0 :: v_dual_mov_b32 v162, 0
	s_mov_b32 s14, exec_lo
	s_delay_alu instid0(VALU_DEP_2)
	v_cmpx_ne_u16_e64 0, v163
	s_cbranch_execz .LBB294_2803
; %bb.2796:                             ;   in Loop: Header=BB294_1574 Depth=1
	v_mov_b32_e32 v162, 0x8000
	s_mov_b32 s15, exec_lo
	v_cmpx_ne_u16_e64 0x80, v163
	s_cbranch_execz .LBB294_2802
; %bb.2797:                             ;   in Loop: Header=BB294_1574 Depth=1
	v_and_b32_e32 v164, 0x7f, v11
	v_mov_b32_e32 v162, 0x7c01
	s_mov_b32 s16, exec_lo
	s_delay_alu instid0(VALU_DEP_2)
	v_cmpx_ne_u32_e32 0x7f, v164
	s_cbranch_execz .LBB294_2801
; %bb.2798:                             ;   in Loop: Header=BB294_1574 Depth=1
	v_and_b32_e32 v162, 7, v11
	v_lshrrev_b32_e32 v163, 3, v164
	s_mov_b32 s17, exec_lo
	v_cmpx_gt_u32_e32 8, v164
; %bb.2799:                             ;   in Loop: Header=BB294_1574 Depth=1
	s_delay_alu instid0(VALU_DEP_3) | instskip(NEXT) | instid1(VALU_DEP_1)
	v_clz_i32_u32_e32 v7, v162
	v_min_u32_e32 v7, 32, v7
	s_delay_alu instid0(VALU_DEP_1) | instskip(NEXT) | instid1(VALU_DEP_1)
	v_subrev_nc_u32_e32 v117, 28, v7
	v_lshlrev_b64_e32 v[162:163], v117, v[0:1]
	v_sub_nc_u32_e32 v163, 29, v7
	s_delay_alu instid0(VALU_DEP_2)
	v_and_b32_e32 v162, 7, v162
; %bb.2800:                             ;   in Loop: Header=BB294_1574 Depth=1
	s_wait_alu 0xfffe
	s_or_b32 exec_lo, exec_lo, s17
	v_lshlrev_b32_e32 v7, 8, v11
	v_lshl_add_u32 v117, v163, 10, 0x2000
	v_lshlrev_b32_e32 v162, 7, v162
	s_delay_alu instid0(VALU_DEP_3) | instskip(NEXT) | instid1(VALU_DEP_3)
	v_and_b32_e32 v7, 0x8000, v7
	v_and_b32_e32 v117, 0xfc00, v117
	s_delay_alu instid0(VALU_DEP_1)
	v_or3_b32 v162, v7, v117, v162
.LBB294_2801:                           ;   in Loop: Header=BB294_1574 Depth=1
	s_wait_alu 0xfffe
	s_or_b32 exec_lo, exec_lo, s16
.LBB294_2802:                           ;   in Loop: Header=BB294_1574 Depth=1
	s_wait_alu 0xfffe
	s_or_b32 exec_lo, exec_lo, s15
.LBB294_2803:                           ;   in Loop: Header=BB294_1574 Depth=1
	s_wait_alu 0xfffe
	s_or_b32 exec_lo, exec_lo, s14
	v_lshrrev_b16 v0, 8, v0
	v_mov_b32_e32 v163, 0
	s_mov_b32 s14, exec_lo
	s_delay_alu instid0(VALU_DEP_2)
	v_cmpx_ne_u16_e32 0, v0
	s_cbranch_execz .LBB294_2811
; %bb.2804:                             ;   in Loop: Header=BB294_1574 Depth=1
	v_bfrev_b32_e32 v163, 1
	s_mov_b32 s15, exec_lo
	v_cmpx_ne_u16_e32 0x80, v0
	s_cbranch_execz .LBB294_2810
; %bb.2805:                             ;   in Loop: Header=BB294_1574 Depth=1
	v_and_b32_e32 v164, 0xffff, v0
	v_mov_b32_e32 v163, 0x7c010000
	s_mov_b32 s16, exec_lo
	s_delay_alu instid0(VALU_DEP_2) | instskip(NEXT) | instid1(VALU_DEP_1)
	v_and_b32_e32 v166, 0x7f, v164
	v_cmpx_ne_u32_e32 0x7f, v166
	s_cbranch_execz .LBB294_2809
; %bb.2806:                             ;   in Loop: Header=BB294_1574 Depth=1
	v_and_b32_e32 v163, 7, v164
	v_lshrrev_b32_e32 v165, 3, v166
	s_mov_b32 s17, exec_lo
	v_cmpx_gt_u32_e32 8, v166
; %bb.2807:                             ;   in Loop: Header=BB294_1574 Depth=1
	s_delay_alu instid0(VALU_DEP_3) | instskip(NEXT) | instid1(VALU_DEP_1)
	v_clz_i32_u32_e32 v7, v163
	v_min_u32_e32 v7, 32, v7
	s_delay_alu instid0(VALU_DEP_1) | instskip(SKIP_1) | instid1(VALU_DEP_2)
	v_subrev_nc_u32_e32 v117, 28, v7
	v_sub_nc_u32_e32 v165, 29, v7
	v_lshlrev_b64_e32 v[166:167], v117, v[0:1]
	s_delay_alu instid0(VALU_DEP_1)
	v_and_b32_e32 v163, 7, v166
; %bb.2808:                             ;   in Loop: Header=BB294_1574 Depth=1
	s_wait_alu 0xfffe
	s_or_b32 exec_lo, exec_lo, s17
	v_lshlrev_b32_e32 v0, 8, v164
	v_lshl_add_u32 v7, v165, 10, 0x2000
	s_delay_alu instid0(VALU_DEP_1) | instskip(SKIP_1) | instid1(VALU_DEP_1)
	v_and_or_b32 v0, 0x8000, v0, v7
	v_lshlrev_b32_e32 v7, 23, v163
	v_lshl_or_b32 v163, v0, 16, v7
.LBB294_2809:                           ;   in Loop: Header=BB294_1574 Depth=1
	s_wait_alu 0xfffe
	s_or_b32 exec_lo, exec_lo, s16
.LBB294_2810:                           ;   in Loop: Header=BB294_1574 Depth=1
	s_wait_alu 0xfffe
	s_or_b32 exec_lo, exec_lo, s15
.LBB294_2811:                           ;   in Loop: Header=BB294_1574 Depth=1
	s_wait_alu 0xfffe
	s_or_b32 exec_lo, exec_lo, s14
	v_lshrrev_b32_e32 v0, 16, v11
	s_mov_b32 s14, exec_lo
	s_delay_alu instid0(VALU_DEP_1) | instskip(NEXT) | instid1(VALU_DEP_1)
	v_and_b32_e32 v164, 0xff, v0
	v_cmpx_ne_u16_e64 0, v164
	s_cbranch_execz .LBB294_2819
; %bb.2812:                             ;   in Loop: Header=BB294_1574 Depth=1
	v_mov_b32_e32 v161, 0x8000
	s_mov_b32 s15, exec_lo
	v_cmpx_ne_u16_e64 0x80, v164
	s_cbranch_execz .LBB294_2818
; %bb.2813:                             ;   in Loop: Header=BB294_1574 Depth=1
	v_bfe_u32 v165, v11, 16, 7
	v_mov_b32_e32 v161, 0x7c01
	s_mov_b32 s16, exec_lo
	s_delay_alu instid0(VALU_DEP_2)
	v_cmpx_ne_u32_e32 0x7f, v165
	s_cbranch_execz .LBB294_2817
; %bb.2814:                             ;   in Loop: Header=BB294_1574 Depth=1
	v_and_b32_e32 v161, 7, v0
	v_lshrrev_b32_e32 v164, 3, v165
	s_mov_b32 s17, exec_lo
	v_cmpx_gt_u32_e32 8, v165
; %bb.2815:                             ;   in Loop: Header=BB294_1574 Depth=1
	s_delay_alu instid0(VALU_DEP_3) | instskip(NEXT) | instid1(VALU_DEP_1)
	v_clz_i32_u32_e32 v7, v161
	v_min_u32_e32 v7, 32, v7
	s_delay_alu instid0(VALU_DEP_1) | instskip(SKIP_1) | instid1(VALU_DEP_2)
	v_subrev_nc_u32_e32 v117, 28, v7
	v_sub_nc_u32_e32 v164, 29, v7
	v_lshlrev_b64_e32 v[165:166], v117, v[0:1]
	s_delay_alu instid0(VALU_DEP_1)
	v_and_b32_e32 v161, 7, v165
; %bb.2816:                             ;   in Loop: Header=BB294_1574 Depth=1
	s_wait_alu 0xfffe
	s_or_b32 exec_lo, exec_lo, s17
	v_lshlrev_b32_e32 v0, 8, v0
	v_lshl_add_u32 v7, v164, 10, 0x2000
	v_lshlrev_b32_e32 v117, 7, v161
	s_delay_alu instid0(VALU_DEP_3) | instskip(NEXT) | instid1(VALU_DEP_3)
	v_and_b32_e32 v0, 0x8000, v0
	v_and_b32_e32 v7, 0xfc00, v7
	s_delay_alu instid0(VALU_DEP_1)
	v_or3_b32 v161, v0, v7, v117
.LBB294_2817:                           ;   in Loop: Header=BB294_1574 Depth=1
	s_wait_alu 0xfffe
	s_or_b32 exec_lo, exec_lo, s16
.LBB294_2818:                           ;   in Loop: Header=BB294_1574 Depth=1
	s_wait_alu 0xfffe
	s_or_b32 exec_lo, exec_lo, s15
.LBB294_2819:                           ;   in Loop: Header=BB294_1574 Depth=1
	s_wait_alu 0xfffe
	s_or_b32 exec_lo, exec_lo, s14
	v_cmp_lt_u64_e64 s0, s[8:9], v[10:11]
	v_mov_b32_e32 v10, 0
	s_and_saveexec_b32 s14, s0
	s_cbranch_execz .LBB294_2827
; %bb.2820:                             ;   in Loop: Header=BB294_1574 Depth=1
	v_lshrrev_b32_e32 v0, 24, v11
	v_bfrev_b32_e32 v10, 1
	s_mov_b32 s15, exec_lo
	s_delay_alu instid0(VALU_DEP_2)
	v_cmpx_ne_u32_e32 0x80, v0
	s_cbranch_execz .LBB294_2826
; %bb.2821:                             ;   in Loop: Header=BB294_1574 Depth=1
	v_and_b32_e32 v164, 0x7f, v0
	v_mov_b32_e32 v10, 0x7c010000
	s_mov_b32 s16, exec_lo
	s_delay_alu instid0(VALU_DEP_2)
	v_cmpx_ne_u32_e32 0x7f, v164
	s_cbranch_execz .LBB294_2825
; %bb.2822:                             ;   in Loop: Header=BB294_1574 Depth=1
	v_and_b32_e32 v10, 7, v0
	v_lshrrev_b32_e32 v11, 3, v164
	s_mov_b32 s17, exec_lo
	v_cmpx_gt_u32_e32 8, v164
; %bb.2823:                             ;   in Loop: Header=BB294_1574 Depth=1
	s_delay_alu instid0(VALU_DEP_3) | instskip(NEXT) | instid1(VALU_DEP_1)
	v_clz_i32_u32_e32 v7, v10
	v_min_u32_e32 v7, 32, v7
	s_delay_alu instid0(VALU_DEP_1) | instskip(NEXT) | instid1(VALU_DEP_1)
	v_subrev_nc_u32_e32 v10, 28, v7
	v_lshlrev_b64_e32 v[10:11], v10, v[0:1]
	v_sub_nc_u32_e32 v11, 29, v7
	s_delay_alu instid0(VALU_DEP_2)
	v_and_b32_e32 v10, 7, v10
; %bb.2824:                             ;   in Loop: Header=BB294_1574 Depth=1
	s_wait_alu 0xfffe
	s_or_b32 exec_lo, exec_lo, s17
	v_lshlrev_b32_e32 v0, 8, v0
	v_lshl_add_u32 v7, v11, 10, 0x2000
	s_delay_alu instid0(VALU_DEP_1) | instskip(SKIP_1) | instid1(VALU_DEP_1)
	v_and_or_b32 v0, 0x8000, v0, v7
	v_lshlrev_b32_e32 v7, 23, v10
	v_lshl_or_b32 v10, v0, 16, v7
.LBB294_2825:                           ;   in Loop: Header=BB294_1574 Depth=1
	s_wait_alu 0xfffe
	s_or_b32 exec_lo, exec_lo, s16
.LBB294_2826:                           ;   in Loop: Header=BB294_1574 Depth=1
	s_wait_alu 0xfffe
	s_or_b32 exec_lo, exec_lo, s15
.LBB294_2827:                           ;   in Loop: Header=BB294_1574 Depth=1
	s_wait_alu 0xfffe
	s_or_b32 exec_lo, exec_lo, s14
	v_or_b32_e32 v0, v39, v160
	s_wait_loadcnt_dscnt 0x0
	v_fma_mixlo_f16 v7, v36, v39, 0 op_sel:[0,1,0] op_sel_hi:[0,1,0]
	v_or_b32_e32 v11, v37, v38
	v_fma_mixlo_f16 v37, v36, v37, 0 op_sel:[0,1,0] op_sel_hi:[0,1,0]
	v_or_b32_e32 v39, v163, v162
	v_fma_mixlo_f16 v117, v36, v0, 0 op_sel_hi:[0,1,0]
	v_or_b32_e32 v160, v10, v161
	v_lshlrev_b32_e32 v0, 16, v7
	v_lshlrev_b32_e32 v38, 16, v37
	v_fma_mixlo_f16 v7, v36, v11, 0 op_sel_hi:[0,1,0]
	v_and_b32_e32 v11, 0xffff, v117
	v_fma_mixlo_f16 v37, v36, v163, 0 op_sel:[0,1,0] op_sel_hi:[0,1,0]
	v_fma_mixlo_f16 v39, v36, v39, 0 op_sel_hi:[0,1,0]
	v_fma_mixlo_f16 v10, v36, v10, 0 op_sel:[0,1,0] op_sel_hi:[0,1,0]
	v_fma_mixlo_f16 v117, v36, v160, 0 op_sel_hi:[0,1,0]
	v_and_b32_e32 v164, 0xffff, v7
	v_lshlrev_b32_e32 v36, 16, v37
	v_and_b32_e32 v160, 0xffff, v39
	v_lshlrev_b32_e32 v10, 16, v10
	v_and_b32_e32 v37, 0xffff, v117
	v_or_b32_e32 v39, v0, v11
	v_or_b32_e32 v163, v38, v164
	;; [unrolled: 1-line block ×3, first 2 shown]
	s_delay_alu instid0(VALU_DEP_4)
	v_or_b32_e32 v161, v10, v37
	s_and_saveexec_b32 s14, vcc_lo
	s_cbranch_execz .LBB294_2829
; %bb.2828:                             ;   in Loop: Header=BB294_1574 Depth=1
	v_cmp_lt_i32_e64 s0, v49, v34
	s_wait_alu 0xf1ff
	s_delay_alu instid0(VALU_DEP_1) | instskip(SKIP_2) | instid1(VALU_DEP_1)
	v_cndmask_b32_e64 v7, 0, v164, s0
	v_cmp_lt_i32_e64 s0, v101, v34
	s_wait_alu 0xf1ff
	v_cndmask_b32_e64 v38, 0, v38, s0
	v_cmp_lt_i32_e64 s0, v100, v34
	s_delay_alu instid0(VALU_DEP_2) | instskip(SKIP_1) | instid1(VALU_DEP_2)
	v_or_b32_e32 v163, v7, v38
	s_wait_alu 0xf1ff
	v_cndmask_b32_e64 v11, 0, v11, s0
	v_cmp_lt_i32_e64 s0, v99, v34
	s_wait_alu 0xf1ff
	s_delay_alu instid0(VALU_DEP_1) | instskip(SKIP_1) | instid1(VALU_DEP_2)
	v_cndmask_b32_e64 v0, 0, v0, s0
	v_cmp_lt_i32_e64 s0, v98, v34
	v_or_b32_e32 v39, v11, v0
	s_wait_alu 0xf1ff
	s_delay_alu instid0(VALU_DEP_2) | instskip(SKIP_2) | instid1(VALU_DEP_1)
	v_cndmask_b32_e64 v117, 0, v160, s0
	v_cmp_lt_i32_e64 s0, v97, v34
	s_wait_alu 0xf1ff
	v_cndmask_b32_e64 v36, 0, v36, s0
	v_cmp_lt_i32_e64 s0, v96, v34
	s_delay_alu instid0(VALU_DEP_2) | instskip(SKIP_1) | instid1(VALU_DEP_2)
	v_or_b32_e32 v162, v117, v36
	s_wait_alu 0xf1ff
	v_cndmask_b32_e64 v37, 0, v37, s0
	v_cmp_lt_i32_e64 s0, v87, v34
	s_wait_alu 0xf1ff
	s_delay_alu instid0(VALU_DEP_1) | instskip(NEXT) | instid1(VALU_DEP_1)
	v_cndmask_b32_e64 v10, 0, v10, s0
	v_or_b32_e32 v161, v37, v10
.LBB294_2829:                           ;   in Loop: Header=BB294_1574 Depth=1
	s_wait_alu 0xfffe
	s_or_b32 exec_lo, exec_lo, s14
	;;#ASMSTART
	v_pk_mul_f16 v0, v86, v163;

	;;#ASMEND
	;;#ASMSTART
	v_pk_mul_f16 v7, v85, v39;

	;;#ASMEND
	;; [unrolled: 4-line block ×4, first 2 shown]
	;;#ASMSTART
	v_pk_add_f16 v0, v0, v7;

	;;#ASMEND
	;;#ASMSTART
	v_pk_add_f16 v0, v0, v10;

	;;#ASMEND
	;; [unrolled: 4-line block ×3, first 2 shown]
	v_dual_mov_b32 v160, 0 :: v_dual_and_b32 v7, 0xffff, v0
	v_lshrrev_b32_e32 v0, 16, v0
	;;#ASMSTART
	v_cvt_f32_f16 v37, v7;
	;;#ASMEND
	;;#ASMSTART
	v_cvt_f32_f16 v38, v0;
	;;#ASMEND
	flat_load_b64 v[10:11], v[8:9] offset:4864
	flat_load_b32 v36, v[26:27]
	s_mov_b32 s14, exec_lo
	s_wait_loadcnt_dscnt 0x101
	v_dual_mov_b32 v39, 0 :: v_dual_and_b32 v0, 0xff, v10
	s_delay_alu instid0(VALU_DEP_1)
	v_cmpx_ne_u16_e32 0, v0
	s_cbranch_execz .LBB294_2837
; %bb.2830:                             ;   in Loop: Header=BB294_1574 Depth=1
	v_mov_b32_e32 v160, 0x8000
	s_mov_b32 s15, exec_lo
	v_cmpx_ne_u16_e32 0x80, v0
	s_cbranch_execz .LBB294_2836
; %bb.2831:                             ;   in Loop: Header=BB294_1574 Depth=1
	v_and_b32_e32 v161, 0x7f, v10
	v_mov_b32_e32 v160, 0x7c01
	s_mov_b32 s16, exec_lo
	s_delay_alu instid0(VALU_DEP_2)
	v_cmpx_ne_u32_e32 0x7f, v161
	s_cbranch_execz .LBB294_2835
; %bb.2832:                             ;   in Loop: Header=BB294_1574 Depth=1
	v_and_b32_e32 v0, 7, v10
	v_lshrrev_b32_e32 v160, 3, v161
	s_mov_b32 s17, exec_lo
	v_cmpx_gt_u32_e32 8, v161
; %bb.2833:                             ;   in Loop: Header=BB294_1574 Depth=1
	s_delay_alu instid0(VALU_DEP_3) | instskip(NEXT) | instid1(VALU_DEP_1)
	v_clz_i32_u32_e32 v0, v0
	v_min_u32_e32 v0, 32, v0
	s_delay_alu instid0(VALU_DEP_1) | instskip(SKIP_1) | instid1(VALU_DEP_2)
	v_subrev_nc_u32_e32 v7, 28, v0
	v_sub_nc_u32_e32 v160, 29, v0
	v_lshlrev_b64_e32 v[161:162], v7, v[10:11]
	s_delay_alu instid0(VALU_DEP_1)
	v_and_b32_e32 v0, 7, v161
; %bb.2834:                             ;   in Loop: Header=BB294_1574 Depth=1
	s_wait_alu 0xfffe
	s_or_b32 exec_lo, exec_lo, s17
	v_lshlrev_b32_e32 v7, 8, v10
	v_lshl_add_u32 v117, v160, 10, 0x2000
	v_lshlrev_b32_e32 v0, 7, v0
	s_delay_alu instid0(VALU_DEP_3) | instskip(NEXT) | instid1(VALU_DEP_3)
	v_and_b32_e32 v7, 0x8000, v7
	v_and_b32_e32 v117, 0xfc00, v117
	s_delay_alu instid0(VALU_DEP_1)
	v_or3_b32 v160, v7, v117, v0
.LBB294_2835:                           ;   in Loop: Header=BB294_1574 Depth=1
	s_wait_alu 0xfffe
	s_or_b32 exec_lo, exec_lo, s16
.LBB294_2836:                           ;   in Loop: Header=BB294_1574 Depth=1
	s_wait_alu 0xfffe
	s_or_b32 exec_lo, exec_lo, s15
.LBB294_2837:                           ;   in Loop: Header=BB294_1574 Depth=1
	s_wait_alu 0xfffe
	s_or_b32 exec_lo, exec_lo, s14
	v_lshrrev_b16 v0, 8, v10
	s_mov_b32 s14, exec_lo
	s_delay_alu instid0(VALU_DEP_1)
	v_cmpx_ne_u16_e32 0, v0
	s_cbranch_execz .LBB294_2845
; %bb.2838:                             ;   in Loop: Header=BB294_1574 Depth=1
	v_bfrev_b32_e32 v39, 1
	s_mov_b32 s15, exec_lo
	v_cmpx_ne_u16_e32 0x80, v0
	s_cbranch_execz .LBB294_2844
; %bb.2839:                             ;   in Loop: Header=BB294_1574 Depth=1
	v_and_b32_e32 v161, 0xffff, v0
	v_mov_b32_e32 v39, 0x7c010000
	s_mov_b32 s16, exec_lo
	s_delay_alu instid0(VALU_DEP_2) | instskip(NEXT) | instid1(VALU_DEP_1)
	v_and_b32_e32 v163, 0x7f, v161
	v_cmpx_ne_u32_e32 0x7f, v163
	s_cbranch_execz .LBB294_2843
; %bb.2840:                             ;   in Loop: Header=BB294_1574 Depth=1
	v_and_b32_e32 v39, 7, v161
	v_lshrrev_b32_e32 v162, 3, v163
	s_mov_b32 s17, exec_lo
	v_cmpx_gt_u32_e32 8, v163
; %bb.2841:                             ;   in Loop: Header=BB294_1574 Depth=1
	s_delay_alu instid0(VALU_DEP_3) | instskip(NEXT) | instid1(VALU_DEP_1)
	v_clz_i32_u32_e32 v7, v39
	v_min_u32_e32 v7, 32, v7
	s_delay_alu instid0(VALU_DEP_1) | instskip(SKIP_1) | instid1(VALU_DEP_2)
	v_subrev_nc_u32_e32 v39, 28, v7
	v_sub_nc_u32_e32 v162, 29, v7
	v_lshlrev_b64_e32 v[163:164], v39, v[0:1]
	s_delay_alu instid0(VALU_DEP_1)
	v_and_b32_e32 v39, 7, v163
; %bb.2842:                             ;   in Loop: Header=BB294_1574 Depth=1
	s_wait_alu 0xfffe
	s_or_b32 exec_lo, exec_lo, s17
	v_lshlrev_b32_e32 v0, 8, v161
	v_lshl_add_u32 v7, v162, 10, 0x2000
	s_delay_alu instid0(VALU_DEP_1) | instskip(SKIP_1) | instid1(VALU_DEP_1)
	v_and_or_b32 v0, 0x8000, v0, v7
	v_lshlrev_b32_e32 v7, 23, v39
	v_lshl_or_b32 v39, v0, 16, v7
.LBB294_2843:                           ;   in Loop: Header=BB294_1574 Depth=1
	s_wait_alu 0xfffe
	s_or_b32 exec_lo, exec_lo, s16
.LBB294_2844:                           ;   in Loop: Header=BB294_1574 Depth=1
	s_wait_alu 0xfffe
	s_or_b32 exec_lo, exec_lo, s15
.LBB294_2845:                           ;   in Loop: Header=BB294_1574 Depth=1
	s_wait_alu 0xfffe
	s_or_b32 exec_lo, exec_lo, s14
	v_lshrrev_b32_e32 v0, 16, v10
	v_mov_b32_e32 v161, 0
	s_mov_b32 s14, exec_lo
	s_delay_alu instid0(VALU_DEP_2) | instskip(NEXT) | instid1(VALU_DEP_1)
	v_dual_mov_b32 v162, 0 :: v_dual_and_b32 v163, 0xff, v0
	v_cmpx_ne_u16_e64 0, v163
	s_cbranch_execz .LBB294_2853
; %bb.2846:                             ;   in Loop: Header=BB294_1574 Depth=1
	v_mov_b32_e32 v162, 0x8000
	s_mov_b32 s15, exec_lo
	v_cmpx_ne_u16_e64 0x80, v163
	s_cbranch_execz .LBB294_2852
; %bb.2847:                             ;   in Loop: Header=BB294_1574 Depth=1
	v_bfe_u32 v164, v10, 16, 7
	v_mov_b32_e32 v162, 0x7c01
	s_mov_b32 s16, exec_lo
	s_delay_alu instid0(VALU_DEP_2)
	v_cmpx_ne_u32_e32 0x7f, v164
	s_cbranch_execz .LBB294_2851
; %bb.2848:                             ;   in Loop: Header=BB294_1574 Depth=1
	v_and_b32_e32 v162, 7, v0
	v_lshrrev_b32_e32 v163, 3, v164
	s_mov_b32 s17, exec_lo
	v_cmpx_gt_u32_e32 8, v164
; %bb.2849:                             ;   in Loop: Header=BB294_1574 Depth=1
	s_delay_alu instid0(VALU_DEP_3) | instskip(NEXT) | instid1(VALU_DEP_1)
	v_clz_i32_u32_e32 v7, v162
	v_min_u32_e32 v7, 32, v7
	s_delay_alu instid0(VALU_DEP_1) | instskip(NEXT) | instid1(VALU_DEP_1)
	v_subrev_nc_u32_e32 v117, 28, v7
	v_lshlrev_b64_e32 v[162:163], v117, v[0:1]
	v_sub_nc_u32_e32 v163, 29, v7
	s_delay_alu instid0(VALU_DEP_2)
	v_and_b32_e32 v162, 7, v162
; %bb.2850:                             ;   in Loop: Header=BB294_1574 Depth=1
	s_wait_alu 0xfffe
	s_or_b32 exec_lo, exec_lo, s17
	v_lshlrev_b32_e32 v0, 8, v0
	v_lshl_add_u32 v7, v163, 10, 0x2000
	v_lshlrev_b32_e32 v117, 7, v162
	s_delay_alu instid0(VALU_DEP_3) | instskip(NEXT) | instid1(VALU_DEP_3)
	v_and_b32_e32 v0, 0x8000, v0
	v_and_b32_e32 v7, 0xfc00, v7
	s_delay_alu instid0(VALU_DEP_1)
	v_or3_b32 v162, v0, v7, v117
.LBB294_2851:                           ;   in Loop: Header=BB294_1574 Depth=1
	s_wait_alu 0xfffe
	s_or_b32 exec_lo, exec_lo, s16
.LBB294_2852:                           ;   in Loop: Header=BB294_1574 Depth=1
	s_wait_alu 0xfffe
	s_or_b32 exec_lo, exec_lo, s15
.LBB294_2853:                           ;   in Loop: Header=BB294_1574 Depth=1
	s_wait_alu 0xfffe
	s_or_b32 exec_lo, exec_lo, s14
	s_delay_alu instid0(SALU_CYCLE_1)
	s_mov_b32 s14, exec_lo
	v_cmpx_lt_u32_e32 0xffffff, v10
	s_cbranch_execz .LBB294_2861
; %bb.2854:                             ;   in Loop: Header=BB294_1574 Depth=1
	v_lshrrev_b32_e32 v0, 24, v10
	v_bfrev_b32_e32 v161, 1
	s_mov_b32 s15, exec_lo
	s_delay_alu instid0(VALU_DEP_2)
	v_cmpx_ne_u32_e32 0x80, v0
	s_cbranch_execz .LBB294_2860
; %bb.2855:                             ;   in Loop: Header=BB294_1574 Depth=1
	v_and_b32_e32 v164, 0x7f, v0
	v_mov_b32_e32 v161, 0x7c010000
	s_mov_b32 s16, exec_lo
	s_delay_alu instid0(VALU_DEP_2)
	v_cmpx_ne_u32_e32 0x7f, v164
	s_cbranch_execz .LBB294_2859
; %bb.2856:                             ;   in Loop: Header=BB294_1574 Depth=1
	v_and_b32_e32 v161, 7, v0
	v_lshrrev_b32_e32 v163, 3, v164
	s_mov_b32 s17, exec_lo
	v_cmpx_gt_u32_e32 8, v164
; %bb.2857:                             ;   in Loop: Header=BB294_1574 Depth=1
	s_delay_alu instid0(VALU_DEP_3) | instskip(NEXT) | instid1(VALU_DEP_1)
	v_clz_i32_u32_e32 v7, v161
	v_min_u32_e32 v7, 32, v7
	s_delay_alu instid0(VALU_DEP_1) | instskip(SKIP_1) | instid1(VALU_DEP_2)
	v_subrev_nc_u32_e32 v117, 28, v7
	v_sub_nc_u32_e32 v163, 29, v7
	v_lshlrev_b64_e32 v[164:165], v117, v[0:1]
	s_delay_alu instid0(VALU_DEP_1)
	v_and_b32_e32 v161, 7, v164
; %bb.2858:                             ;   in Loop: Header=BB294_1574 Depth=1
	s_wait_alu 0xfffe
	s_or_b32 exec_lo, exec_lo, s17
	v_lshlrev_b32_e32 v0, 8, v0
	v_lshl_add_u32 v7, v163, 10, 0x2000
	s_delay_alu instid0(VALU_DEP_1) | instskip(SKIP_1) | instid1(VALU_DEP_1)
	v_and_or_b32 v0, 0x8000, v0, v7
	v_lshlrev_b32_e32 v7, 23, v161
	v_lshl_or_b32 v161, v0, 16, v7
.LBB294_2859:                           ;   in Loop: Header=BB294_1574 Depth=1
	s_wait_alu 0xfffe
	s_or_b32 exec_lo, exec_lo, s16
.LBB294_2860:                           ;   in Loop: Header=BB294_1574 Depth=1
	s_wait_alu 0xfffe
	s_or_b32 exec_lo, exec_lo, s15
.LBB294_2861:                           ;   in Loop: Header=BB294_1574 Depth=1
	s_wait_alu 0xfffe
	s_or_b32 exec_lo, exec_lo, s14
	v_dual_mov_b32 v0, v11 :: v_dual_and_b32 v165, 0xff, v11
	v_dual_mov_b32 v163, 0 :: v_dual_mov_b32 v164, 0
	s_mov_b32 s14, exec_lo
	s_delay_alu instid0(VALU_DEP_2)
	v_cmpx_ne_u16_e64 0, v165
	s_cbranch_execz .LBB294_2869
; %bb.2862:                             ;   in Loop: Header=BB294_1574 Depth=1
	v_mov_b32_e32 v164, 0x8000
	s_mov_b32 s15, exec_lo
	v_cmpx_ne_u16_e64 0x80, v165
	s_cbranch_execz .LBB294_2868
; %bb.2863:                             ;   in Loop: Header=BB294_1574 Depth=1
	v_and_b32_e32 v166, 0x7f, v11
	v_mov_b32_e32 v164, 0x7c01
	s_mov_b32 s16, exec_lo
	s_delay_alu instid0(VALU_DEP_2)
	v_cmpx_ne_u32_e32 0x7f, v166
	s_cbranch_execz .LBB294_2867
; %bb.2864:                             ;   in Loop: Header=BB294_1574 Depth=1
	v_and_b32_e32 v164, 7, v11
	v_lshrrev_b32_e32 v165, 3, v166
	s_mov_b32 s17, exec_lo
	v_cmpx_gt_u32_e32 8, v166
; %bb.2865:                             ;   in Loop: Header=BB294_1574 Depth=1
	s_delay_alu instid0(VALU_DEP_3) | instskip(NEXT) | instid1(VALU_DEP_1)
	v_clz_i32_u32_e32 v7, v164
	v_min_u32_e32 v7, 32, v7
	s_delay_alu instid0(VALU_DEP_1) | instskip(NEXT) | instid1(VALU_DEP_1)
	v_subrev_nc_u32_e32 v117, 28, v7
	v_lshlrev_b64_e32 v[164:165], v117, v[0:1]
	v_sub_nc_u32_e32 v165, 29, v7
	s_delay_alu instid0(VALU_DEP_2)
	v_and_b32_e32 v164, 7, v164
; %bb.2866:                             ;   in Loop: Header=BB294_1574 Depth=1
	s_wait_alu 0xfffe
	s_or_b32 exec_lo, exec_lo, s17
	v_lshlrev_b32_e32 v7, 8, v11
	v_lshl_add_u32 v117, v165, 10, 0x2000
	v_lshlrev_b32_e32 v164, 7, v164
	s_delay_alu instid0(VALU_DEP_3) | instskip(NEXT) | instid1(VALU_DEP_3)
	v_and_b32_e32 v7, 0x8000, v7
	v_and_b32_e32 v117, 0xfc00, v117
	s_delay_alu instid0(VALU_DEP_1)
	v_or3_b32 v164, v7, v117, v164
.LBB294_2867:                           ;   in Loop: Header=BB294_1574 Depth=1
	s_wait_alu 0xfffe
	s_or_b32 exec_lo, exec_lo, s16
.LBB294_2868:                           ;   in Loop: Header=BB294_1574 Depth=1
	s_wait_alu 0xfffe
	s_or_b32 exec_lo, exec_lo, s15
.LBB294_2869:                           ;   in Loop: Header=BB294_1574 Depth=1
	s_wait_alu 0xfffe
	s_or_b32 exec_lo, exec_lo, s14
	v_lshrrev_b16 v0, 8, v0
	v_mov_b32_e32 v165, 0
	s_mov_b32 s14, exec_lo
	s_delay_alu instid0(VALU_DEP_2)
	v_cmpx_ne_u16_e32 0, v0
	s_cbranch_execz .LBB294_2877
; %bb.2870:                             ;   in Loop: Header=BB294_1574 Depth=1
	v_bfrev_b32_e32 v165, 1
	s_mov_b32 s15, exec_lo
	v_cmpx_ne_u16_e32 0x80, v0
	s_cbranch_execz .LBB294_2876
; %bb.2871:                             ;   in Loop: Header=BB294_1574 Depth=1
	v_and_b32_e32 v166, 0xffff, v0
	v_mov_b32_e32 v165, 0x7c010000
	s_mov_b32 s16, exec_lo
	s_delay_alu instid0(VALU_DEP_2) | instskip(NEXT) | instid1(VALU_DEP_1)
	v_and_b32_e32 v176, 0x7f, v166
	v_cmpx_ne_u32_e32 0x7f, v176
	s_cbranch_execz .LBB294_2875
; %bb.2872:                             ;   in Loop: Header=BB294_1574 Depth=1
	v_and_b32_e32 v165, 7, v166
	v_lshrrev_b32_e32 v167, 3, v176
	s_mov_b32 s17, exec_lo
	v_cmpx_gt_u32_e32 8, v176
; %bb.2873:                             ;   in Loop: Header=BB294_1574 Depth=1
	s_delay_alu instid0(VALU_DEP_3) | instskip(NEXT) | instid1(VALU_DEP_1)
	v_clz_i32_u32_e32 v7, v165
	v_min_u32_e32 v7, 32, v7
	s_delay_alu instid0(VALU_DEP_1) | instskip(SKIP_1) | instid1(VALU_DEP_2)
	v_subrev_nc_u32_e32 v117, 28, v7
	v_sub_nc_u32_e32 v167, 29, v7
	v_lshlrev_b64_e32 v[176:177], v117, v[0:1]
	s_delay_alu instid0(VALU_DEP_1)
	v_and_b32_e32 v165, 7, v176
; %bb.2874:                             ;   in Loop: Header=BB294_1574 Depth=1
	s_wait_alu 0xfffe
	s_or_b32 exec_lo, exec_lo, s17
	v_lshlrev_b32_e32 v0, 8, v166
	v_lshl_add_u32 v7, v167, 10, 0x2000
	s_delay_alu instid0(VALU_DEP_1) | instskip(SKIP_1) | instid1(VALU_DEP_1)
	v_and_or_b32 v0, 0x8000, v0, v7
	v_lshlrev_b32_e32 v7, 23, v165
	v_lshl_or_b32 v165, v0, 16, v7
.LBB294_2875:                           ;   in Loop: Header=BB294_1574 Depth=1
	s_wait_alu 0xfffe
	s_or_b32 exec_lo, exec_lo, s16
.LBB294_2876:                           ;   in Loop: Header=BB294_1574 Depth=1
	s_wait_alu 0xfffe
	s_or_b32 exec_lo, exec_lo, s15
.LBB294_2877:                           ;   in Loop: Header=BB294_1574 Depth=1
	s_wait_alu 0xfffe
	s_or_b32 exec_lo, exec_lo, s14
	v_lshrrev_b32_e32 v0, 16, v11
	s_mov_b32 s14, exec_lo
	s_delay_alu instid0(VALU_DEP_1) | instskip(NEXT) | instid1(VALU_DEP_1)
	v_and_b32_e32 v166, 0xff, v0
	v_cmpx_ne_u16_e64 0, v166
	s_cbranch_execz .LBB294_2885
; %bb.2878:                             ;   in Loop: Header=BB294_1574 Depth=1
	v_mov_b32_e32 v163, 0x8000
	s_mov_b32 s15, exec_lo
	v_cmpx_ne_u16_e64 0x80, v166
	s_cbranch_execz .LBB294_2884
; %bb.2879:                             ;   in Loop: Header=BB294_1574 Depth=1
	v_bfe_u32 v167, v11, 16, 7
	v_mov_b32_e32 v163, 0x7c01
	s_mov_b32 s16, exec_lo
	s_delay_alu instid0(VALU_DEP_2)
	v_cmpx_ne_u32_e32 0x7f, v167
	s_cbranch_execz .LBB294_2883
; %bb.2880:                             ;   in Loop: Header=BB294_1574 Depth=1
	v_and_b32_e32 v163, 7, v0
	v_lshrrev_b32_e32 v166, 3, v167
	s_mov_b32 s17, exec_lo
	v_cmpx_gt_u32_e32 8, v167
; %bb.2881:                             ;   in Loop: Header=BB294_1574 Depth=1
	s_delay_alu instid0(VALU_DEP_3) | instskip(NEXT) | instid1(VALU_DEP_1)
	v_clz_i32_u32_e32 v7, v163
	v_min_u32_e32 v7, 32, v7
	s_delay_alu instid0(VALU_DEP_1) | instskip(SKIP_1) | instid1(VALU_DEP_2)
	v_subrev_nc_u32_e32 v117, 28, v7
	v_sub_nc_u32_e32 v166, 29, v7
	v_lshlrev_b64_e32 v[176:177], v117, v[0:1]
	s_delay_alu instid0(VALU_DEP_1)
	v_and_b32_e32 v163, 7, v176
; %bb.2882:                             ;   in Loop: Header=BB294_1574 Depth=1
	s_wait_alu 0xfffe
	s_or_b32 exec_lo, exec_lo, s17
	v_lshlrev_b32_e32 v0, 8, v0
	v_lshl_add_u32 v7, v166, 10, 0x2000
	v_lshlrev_b32_e32 v117, 7, v163
	s_delay_alu instid0(VALU_DEP_3) | instskip(NEXT) | instid1(VALU_DEP_3)
	v_and_b32_e32 v0, 0x8000, v0
	v_and_b32_e32 v7, 0xfc00, v7
	s_delay_alu instid0(VALU_DEP_1)
	v_or3_b32 v163, v0, v7, v117
.LBB294_2883:                           ;   in Loop: Header=BB294_1574 Depth=1
	s_wait_alu 0xfffe
	s_or_b32 exec_lo, exec_lo, s16
.LBB294_2884:                           ;   in Loop: Header=BB294_1574 Depth=1
	s_wait_alu 0xfffe
	s_or_b32 exec_lo, exec_lo, s15
.LBB294_2885:                           ;   in Loop: Header=BB294_1574 Depth=1
	s_wait_alu 0xfffe
	s_or_b32 exec_lo, exec_lo, s14
	v_cmp_lt_u64_e64 s0, s[8:9], v[10:11]
	v_mov_b32_e32 v10, 0
	s_and_saveexec_b32 s14, s0
	s_cbranch_execz .LBB294_2893
; %bb.2886:                             ;   in Loop: Header=BB294_1574 Depth=1
	v_lshrrev_b32_e32 v0, 24, v11
	v_bfrev_b32_e32 v10, 1
	s_mov_b32 s15, exec_lo
	s_delay_alu instid0(VALU_DEP_2)
	v_cmpx_ne_u32_e32 0x80, v0
	s_cbranch_execz .LBB294_2892
; %bb.2887:                             ;   in Loop: Header=BB294_1574 Depth=1
	v_and_b32_e32 v166, 0x7f, v0
	v_mov_b32_e32 v10, 0x7c010000
	s_mov_b32 s16, exec_lo
	s_delay_alu instid0(VALU_DEP_2)
	v_cmpx_ne_u32_e32 0x7f, v166
	s_cbranch_execz .LBB294_2891
; %bb.2888:                             ;   in Loop: Header=BB294_1574 Depth=1
	v_and_b32_e32 v10, 7, v0
	v_lshrrev_b32_e32 v11, 3, v166
	s_mov_b32 s17, exec_lo
	v_cmpx_gt_u32_e32 8, v166
; %bb.2889:                             ;   in Loop: Header=BB294_1574 Depth=1
	s_delay_alu instid0(VALU_DEP_3) | instskip(NEXT) | instid1(VALU_DEP_1)
	v_clz_i32_u32_e32 v7, v10
	v_min_u32_e32 v7, 32, v7
	s_delay_alu instid0(VALU_DEP_1) | instskip(NEXT) | instid1(VALU_DEP_1)
	v_subrev_nc_u32_e32 v10, 28, v7
	v_lshlrev_b64_e32 v[10:11], v10, v[0:1]
	v_sub_nc_u32_e32 v11, 29, v7
	s_delay_alu instid0(VALU_DEP_2)
	v_and_b32_e32 v10, 7, v10
; %bb.2890:                             ;   in Loop: Header=BB294_1574 Depth=1
	s_wait_alu 0xfffe
	s_or_b32 exec_lo, exec_lo, s17
	v_lshlrev_b32_e32 v0, 8, v0
	v_lshl_add_u32 v7, v11, 10, 0x2000
	s_delay_alu instid0(VALU_DEP_1) | instskip(SKIP_1) | instid1(VALU_DEP_1)
	v_and_or_b32 v0, 0x8000, v0, v7
	v_lshlrev_b32_e32 v7, 23, v10
	v_lshl_or_b32 v10, v0, 16, v7
.LBB294_2891:                           ;   in Loop: Header=BB294_1574 Depth=1
	s_wait_alu 0xfffe
	s_or_b32 exec_lo, exec_lo, s16
.LBB294_2892:                           ;   in Loop: Header=BB294_1574 Depth=1
	s_wait_alu 0xfffe
	s_or_b32 exec_lo, exec_lo, s15
.LBB294_2893:                           ;   in Loop: Header=BB294_1574 Depth=1
	s_wait_alu 0xfffe
	s_or_b32 exec_lo, exec_lo, s14
	v_or_b32_e32 v0, v161, v162
	s_wait_loadcnt_dscnt 0x0
	v_fma_mixlo_f16 v7, v36, v161, 0 op_sel:[0,1,0] op_sel_hi:[0,1,0]
	v_or_b32_e32 v11, v39, v160
	v_fma_mixlo_f16 v39, v36, v39, 0 op_sel:[0,1,0] op_sel_hi:[0,1,0]
	v_or_b32_e32 v117, v165, v164
	v_fma_mixlo_f16 v161, v36, v0, 0 op_sel_hi:[0,1,0]
	v_or_b32_e32 v162, v10, v163
	v_lshlrev_b32_e32 v0, 16, v7
	v_lshlrev_b32_e32 v160, 16, v39
	v_fma_mixlo_f16 v7, v36, v11, 0 op_sel_hi:[0,1,0]
	v_and_b32_e32 v11, 0xffff, v161
	v_fma_mixlo_f16 v39, v36, v165, 0 op_sel:[0,1,0] op_sel_hi:[0,1,0]
	v_fma_mixlo_f16 v117, v36, v117, 0 op_sel_hi:[0,1,0]
	v_fma_mixlo_f16 v10, v36, v10, 0 op_sel:[0,1,0] op_sel_hi:[0,1,0]
	v_fma_mixlo_f16 v161, v36, v162, 0 op_sel_hi:[0,1,0]
	v_and_b32_e32 v166, 0xffff, v7
	v_lshlrev_b32_e32 v36, 16, v39
	v_and_b32_e32 v162, 0xffff, v117
	v_lshlrev_b32_e32 v10, 16, v10
	v_and_b32_e32 v39, 0xffff, v161
	v_or_b32_e32 v161, v0, v11
	v_or_b32_e32 v165, v160, v166
	;; [unrolled: 1-line block ×3, first 2 shown]
	s_delay_alu instid0(VALU_DEP_4)
	v_or_b32_e32 v163, v10, v39
	s_and_saveexec_b32 s14, vcc_lo
	s_cbranch_execz .LBB294_2895
; %bb.2894:                             ;   in Loop: Header=BB294_1574 Depth=1
	v_cmp_lt_i32_e64 s0, v49, v34
	s_wait_alu 0xf1ff
	s_delay_alu instid0(VALU_DEP_1) | instskip(SKIP_2) | instid1(VALU_DEP_1)
	v_cndmask_b32_e64 v7, 0, v166, s0
	v_cmp_lt_i32_e64 s0, v101, v34
	s_wait_alu 0xf1ff
	v_cndmask_b32_e64 v117, 0, v160, s0
	v_cmp_lt_i32_e64 s0, v100, v34
	s_delay_alu instid0(VALU_DEP_2) | instskip(SKIP_1) | instid1(VALU_DEP_2)
	v_or_b32_e32 v165, v7, v117
	s_wait_alu 0xf1ff
	v_cndmask_b32_e64 v11, 0, v11, s0
	v_cmp_lt_i32_e64 s0, v99, v34
	s_wait_alu 0xf1ff
	s_delay_alu instid0(VALU_DEP_1) | instskip(SKIP_1) | instid1(VALU_DEP_2)
	v_cndmask_b32_e64 v0, 0, v0, s0
	v_cmp_lt_i32_e64 s0, v98, v34
	v_or_b32_e32 v161, v11, v0
	s_wait_alu 0xf1ff
	s_delay_alu instid0(VALU_DEP_2) | instskip(SKIP_2) | instid1(VALU_DEP_1)
	v_cndmask_b32_e64 v160, 0, v162, s0
	v_cmp_lt_i32_e64 s0, v97, v34
	s_wait_alu 0xf1ff
	v_cndmask_b32_e64 v36, 0, v36, s0
	v_cmp_lt_i32_e64 s0, v96, v34
	s_delay_alu instid0(VALU_DEP_2) | instskip(SKIP_1) | instid1(VALU_DEP_2)
	v_or_b32_e32 v164, v160, v36
	s_wait_alu 0xf1ff
	v_cndmask_b32_e64 v39, 0, v39, s0
	v_cmp_lt_i32_e64 s0, v87, v34
	s_wait_alu 0xf1ff
	s_delay_alu instid0(VALU_DEP_1) | instskip(NEXT) | instid1(VALU_DEP_1)
	v_cndmask_b32_e64 v10, 0, v10, s0
	v_or_b32_e32 v163, v39, v10
.LBB294_2895:                           ;   in Loop: Header=BB294_1574 Depth=1
	s_wait_alu 0xfffe
	s_or_b32 exec_lo, exec_lo, s14
	;;#ASMSTART
	v_pk_mul_f16 v0, v86, v165;

	;;#ASMEND
	;;#ASMSTART
	v_pk_mul_f16 v7, v85, v161;

	;;#ASMEND
	;; [unrolled: 4-line block ×4, first 2 shown]
	;;#ASMSTART
	v_pk_add_f16 v0, v0, v7;

	;;#ASMEND
	;;#ASMSTART
	v_pk_add_f16 v0, v0, v10;

	;;#ASMEND
	;; [unrolled: 4-line block ×3, first 2 shown]
	v_dual_mov_b32 v162, 0 :: v_dual_and_b32 v7, 0xffff, v0
	v_lshrrev_b32_e32 v0, 16, v0
	;;#ASMSTART
	v_cvt_f32_f16 v39, v7;
	;;#ASMEND
	;;#ASMSTART
	v_cvt_f32_f16 v160, v0;
	;;#ASMEND
	flat_load_b64 v[10:11], v[8:9] offset:5120
	flat_load_b32 v36, v[26:27]
	s_mov_b32 s14, exec_lo
	s_wait_loadcnt_dscnt 0x101
	v_dual_mov_b32 v161, 0 :: v_dual_and_b32 v0, 0xff, v10
	s_delay_alu instid0(VALU_DEP_1)
	v_cmpx_ne_u16_e32 0, v0
	s_cbranch_execz .LBB294_2903
; %bb.2896:                             ;   in Loop: Header=BB294_1574 Depth=1
	v_mov_b32_e32 v162, 0x8000
	s_mov_b32 s15, exec_lo
	v_cmpx_ne_u16_e32 0x80, v0
	s_cbranch_execz .LBB294_2902
; %bb.2897:                             ;   in Loop: Header=BB294_1574 Depth=1
	v_and_b32_e32 v163, 0x7f, v10
	v_mov_b32_e32 v162, 0x7c01
	s_mov_b32 s16, exec_lo
	s_delay_alu instid0(VALU_DEP_2)
	v_cmpx_ne_u32_e32 0x7f, v163
	s_cbranch_execz .LBB294_2901
; %bb.2898:                             ;   in Loop: Header=BB294_1574 Depth=1
	v_and_b32_e32 v0, 7, v10
	v_lshrrev_b32_e32 v162, 3, v163
	s_mov_b32 s17, exec_lo
	v_cmpx_gt_u32_e32 8, v163
; %bb.2899:                             ;   in Loop: Header=BB294_1574 Depth=1
	s_delay_alu instid0(VALU_DEP_3) | instskip(NEXT) | instid1(VALU_DEP_1)
	v_clz_i32_u32_e32 v0, v0
	v_min_u32_e32 v0, 32, v0
	s_delay_alu instid0(VALU_DEP_1) | instskip(SKIP_1) | instid1(VALU_DEP_2)
	v_subrev_nc_u32_e32 v7, 28, v0
	v_sub_nc_u32_e32 v162, 29, v0
	v_lshlrev_b64_e32 v[163:164], v7, v[10:11]
	s_delay_alu instid0(VALU_DEP_1)
	v_and_b32_e32 v0, 7, v163
; %bb.2900:                             ;   in Loop: Header=BB294_1574 Depth=1
	s_wait_alu 0xfffe
	s_or_b32 exec_lo, exec_lo, s17
	v_lshlrev_b32_e32 v7, 8, v10
	v_lshl_add_u32 v117, v162, 10, 0x2000
	v_lshlrev_b32_e32 v0, 7, v0
	s_delay_alu instid0(VALU_DEP_3) | instskip(NEXT) | instid1(VALU_DEP_3)
	v_and_b32_e32 v7, 0x8000, v7
	v_and_b32_e32 v117, 0xfc00, v117
	s_delay_alu instid0(VALU_DEP_1)
	v_or3_b32 v162, v7, v117, v0
.LBB294_2901:                           ;   in Loop: Header=BB294_1574 Depth=1
	s_wait_alu 0xfffe
	s_or_b32 exec_lo, exec_lo, s16
.LBB294_2902:                           ;   in Loop: Header=BB294_1574 Depth=1
	s_wait_alu 0xfffe
	s_or_b32 exec_lo, exec_lo, s15
.LBB294_2903:                           ;   in Loop: Header=BB294_1574 Depth=1
	s_wait_alu 0xfffe
	s_or_b32 exec_lo, exec_lo, s14
	v_lshrrev_b16 v0, 8, v10
	s_mov_b32 s14, exec_lo
	s_delay_alu instid0(VALU_DEP_1)
	v_cmpx_ne_u16_e32 0, v0
	s_cbranch_execz .LBB294_2911
; %bb.2904:                             ;   in Loop: Header=BB294_1574 Depth=1
	v_bfrev_b32_e32 v161, 1
	s_mov_b32 s15, exec_lo
	v_cmpx_ne_u16_e32 0x80, v0
	s_cbranch_execz .LBB294_2910
; %bb.2905:                             ;   in Loop: Header=BB294_1574 Depth=1
	v_and_b32_e32 v163, 0xffff, v0
	v_mov_b32_e32 v161, 0x7c010000
	s_mov_b32 s16, exec_lo
	s_delay_alu instid0(VALU_DEP_2) | instskip(NEXT) | instid1(VALU_DEP_1)
	v_and_b32_e32 v165, 0x7f, v163
	v_cmpx_ne_u32_e32 0x7f, v165
	s_cbranch_execz .LBB294_2909
; %bb.2906:                             ;   in Loop: Header=BB294_1574 Depth=1
	v_and_b32_e32 v161, 7, v163
	v_lshrrev_b32_e32 v164, 3, v165
	s_mov_b32 s17, exec_lo
	v_cmpx_gt_u32_e32 8, v165
; %bb.2907:                             ;   in Loop: Header=BB294_1574 Depth=1
	s_delay_alu instid0(VALU_DEP_3) | instskip(NEXT) | instid1(VALU_DEP_1)
	v_clz_i32_u32_e32 v7, v161
	v_min_u32_e32 v7, 32, v7
	s_delay_alu instid0(VALU_DEP_1) | instskip(SKIP_1) | instid1(VALU_DEP_2)
	v_subrev_nc_u32_e32 v117, 28, v7
	v_sub_nc_u32_e32 v164, 29, v7
	v_lshlrev_b64_e32 v[165:166], v117, v[0:1]
	s_delay_alu instid0(VALU_DEP_1)
	v_and_b32_e32 v161, 7, v165
; %bb.2908:                             ;   in Loop: Header=BB294_1574 Depth=1
	s_wait_alu 0xfffe
	s_or_b32 exec_lo, exec_lo, s17
	v_lshlrev_b32_e32 v0, 8, v163
	v_lshl_add_u32 v7, v164, 10, 0x2000
	s_delay_alu instid0(VALU_DEP_1) | instskip(SKIP_1) | instid1(VALU_DEP_1)
	v_and_or_b32 v0, 0x8000, v0, v7
	v_lshlrev_b32_e32 v7, 23, v161
	v_lshl_or_b32 v161, v0, 16, v7
.LBB294_2909:                           ;   in Loop: Header=BB294_1574 Depth=1
	s_wait_alu 0xfffe
	s_or_b32 exec_lo, exec_lo, s16
.LBB294_2910:                           ;   in Loop: Header=BB294_1574 Depth=1
	s_wait_alu 0xfffe
	s_or_b32 exec_lo, exec_lo, s15
.LBB294_2911:                           ;   in Loop: Header=BB294_1574 Depth=1
	s_wait_alu 0xfffe
	s_or_b32 exec_lo, exec_lo, s14
	v_lshrrev_b32_e32 v0, 16, v10
	v_mov_b32_e32 v163, 0
	s_mov_b32 s14, exec_lo
	s_delay_alu instid0(VALU_DEP_2) | instskip(NEXT) | instid1(VALU_DEP_1)
	v_dual_mov_b32 v164, 0 :: v_dual_and_b32 v165, 0xff, v0
	v_cmpx_ne_u16_e64 0, v165
	s_cbranch_execz .LBB294_2919
; %bb.2912:                             ;   in Loop: Header=BB294_1574 Depth=1
	v_mov_b32_e32 v164, 0x8000
	s_mov_b32 s15, exec_lo
	v_cmpx_ne_u16_e64 0x80, v165
	s_cbranch_execz .LBB294_2918
; %bb.2913:                             ;   in Loop: Header=BB294_1574 Depth=1
	v_bfe_u32 v166, v10, 16, 7
	v_mov_b32_e32 v164, 0x7c01
	s_mov_b32 s16, exec_lo
	s_delay_alu instid0(VALU_DEP_2)
	v_cmpx_ne_u32_e32 0x7f, v166
	s_cbranch_execz .LBB294_2917
; %bb.2914:                             ;   in Loop: Header=BB294_1574 Depth=1
	v_and_b32_e32 v164, 7, v0
	v_lshrrev_b32_e32 v165, 3, v166
	s_mov_b32 s17, exec_lo
	v_cmpx_gt_u32_e32 8, v166
; %bb.2915:                             ;   in Loop: Header=BB294_1574 Depth=1
	s_delay_alu instid0(VALU_DEP_3) | instskip(NEXT) | instid1(VALU_DEP_1)
	v_clz_i32_u32_e32 v7, v164
	v_min_u32_e32 v7, 32, v7
	s_delay_alu instid0(VALU_DEP_1) | instskip(NEXT) | instid1(VALU_DEP_1)
	v_subrev_nc_u32_e32 v117, 28, v7
	v_lshlrev_b64_e32 v[164:165], v117, v[0:1]
	v_sub_nc_u32_e32 v165, 29, v7
	s_delay_alu instid0(VALU_DEP_2)
	v_and_b32_e32 v164, 7, v164
; %bb.2916:                             ;   in Loop: Header=BB294_1574 Depth=1
	s_wait_alu 0xfffe
	s_or_b32 exec_lo, exec_lo, s17
	v_lshlrev_b32_e32 v0, 8, v0
	v_lshl_add_u32 v7, v165, 10, 0x2000
	v_lshlrev_b32_e32 v117, 7, v164
	s_delay_alu instid0(VALU_DEP_3) | instskip(NEXT) | instid1(VALU_DEP_3)
	v_and_b32_e32 v0, 0x8000, v0
	v_and_b32_e32 v7, 0xfc00, v7
	s_delay_alu instid0(VALU_DEP_1)
	v_or3_b32 v164, v0, v7, v117
.LBB294_2917:                           ;   in Loop: Header=BB294_1574 Depth=1
	s_wait_alu 0xfffe
	s_or_b32 exec_lo, exec_lo, s16
.LBB294_2918:                           ;   in Loop: Header=BB294_1574 Depth=1
	s_wait_alu 0xfffe
	s_or_b32 exec_lo, exec_lo, s15
.LBB294_2919:                           ;   in Loop: Header=BB294_1574 Depth=1
	s_wait_alu 0xfffe
	s_or_b32 exec_lo, exec_lo, s14
	s_delay_alu instid0(SALU_CYCLE_1)
	s_mov_b32 s14, exec_lo
	v_cmpx_lt_u32_e32 0xffffff, v10
	s_cbranch_execz .LBB294_2927
; %bb.2920:                             ;   in Loop: Header=BB294_1574 Depth=1
	v_lshrrev_b32_e32 v0, 24, v10
	v_bfrev_b32_e32 v163, 1
	s_mov_b32 s15, exec_lo
	s_delay_alu instid0(VALU_DEP_2)
	v_cmpx_ne_u32_e32 0x80, v0
	s_cbranch_execz .LBB294_2926
; %bb.2921:                             ;   in Loop: Header=BB294_1574 Depth=1
	v_and_b32_e32 v166, 0x7f, v0
	v_mov_b32_e32 v163, 0x7c010000
	s_mov_b32 s16, exec_lo
	s_delay_alu instid0(VALU_DEP_2)
	v_cmpx_ne_u32_e32 0x7f, v166
	s_cbranch_execz .LBB294_2925
; %bb.2922:                             ;   in Loop: Header=BB294_1574 Depth=1
	v_and_b32_e32 v163, 7, v0
	v_lshrrev_b32_e32 v165, 3, v166
	s_mov_b32 s17, exec_lo
	v_cmpx_gt_u32_e32 8, v166
; %bb.2923:                             ;   in Loop: Header=BB294_1574 Depth=1
	s_delay_alu instid0(VALU_DEP_3) | instskip(NEXT) | instid1(VALU_DEP_1)
	v_clz_i32_u32_e32 v7, v163
	v_min_u32_e32 v7, 32, v7
	s_delay_alu instid0(VALU_DEP_1) | instskip(SKIP_1) | instid1(VALU_DEP_2)
	v_subrev_nc_u32_e32 v117, 28, v7
	v_sub_nc_u32_e32 v165, 29, v7
	v_lshlrev_b64_e32 v[166:167], v117, v[0:1]
	s_delay_alu instid0(VALU_DEP_1)
	v_and_b32_e32 v163, 7, v166
; %bb.2924:                             ;   in Loop: Header=BB294_1574 Depth=1
	s_wait_alu 0xfffe
	s_or_b32 exec_lo, exec_lo, s17
	v_lshlrev_b32_e32 v0, 8, v0
	v_lshl_add_u32 v7, v165, 10, 0x2000
	s_delay_alu instid0(VALU_DEP_1) | instskip(SKIP_1) | instid1(VALU_DEP_1)
	v_and_or_b32 v0, 0x8000, v0, v7
	v_lshlrev_b32_e32 v7, 23, v163
	v_lshl_or_b32 v163, v0, 16, v7
.LBB294_2925:                           ;   in Loop: Header=BB294_1574 Depth=1
	s_wait_alu 0xfffe
	s_or_b32 exec_lo, exec_lo, s16
.LBB294_2926:                           ;   in Loop: Header=BB294_1574 Depth=1
	s_wait_alu 0xfffe
	s_or_b32 exec_lo, exec_lo, s15
.LBB294_2927:                           ;   in Loop: Header=BB294_1574 Depth=1
	s_wait_alu 0xfffe
	s_or_b32 exec_lo, exec_lo, s14
	v_dual_mov_b32 v0, v11 :: v_dual_and_b32 v167, 0xff, v11
	v_dual_mov_b32 v165, 0 :: v_dual_mov_b32 v166, 0
	s_mov_b32 s14, exec_lo
	s_delay_alu instid0(VALU_DEP_2)
	v_cmpx_ne_u16_e64 0, v167
	s_cbranch_execz .LBB294_2935
; %bb.2928:                             ;   in Loop: Header=BB294_1574 Depth=1
	v_mov_b32_e32 v166, 0x8000
	s_mov_b32 s15, exec_lo
	v_cmpx_ne_u16_e64 0x80, v167
	s_cbranch_execz .LBB294_2934
; %bb.2929:                             ;   in Loop: Header=BB294_1574 Depth=1
	v_and_b32_e32 v176, 0x7f, v11
	v_mov_b32_e32 v166, 0x7c01
	s_mov_b32 s16, exec_lo
	s_delay_alu instid0(VALU_DEP_2)
	v_cmpx_ne_u32_e32 0x7f, v176
	s_cbranch_execz .LBB294_2933
; %bb.2930:                             ;   in Loop: Header=BB294_1574 Depth=1
	v_and_b32_e32 v166, 7, v11
	v_lshrrev_b32_e32 v167, 3, v176
	s_mov_b32 s17, exec_lo
	v_cmpx_gt_u32_e32 8, v176
; %bb.2931:                             ;   in Loop: Header=BB294_1574 Depth=1
	s_delay_alu instid0(VALU_DEP_3) | instskip(NEXT) | instid1(VALU_DEP_1)
	v_clz_i32_u32_e32 v7, v166
	v_min_u32_e32 v7, 32, v7
	s_delay_alu instid0(VALU_DEP_1) | instskip(NEXT) | instid1(VALU_DEP_1)
	v_subrev_nc_u32_e32 v117, 28, v7
	v_lshlrev_b64_e32 v[166:167], v117, v[0:1]
	v_sub_nc_u32_e32 v167, 29, v7
	s_delay_alu instid0(VALU_DEP_2)
	v_and_b32_e32 v166, 7, v166
; %bb.2932:                             ;   in Loop: Header=BB294_1574 Depth=1
	s_wait_alu 0xfffe
	s_or_b32 exec_lo, exec_lo, s17
	v_lshlrev_b32_e32 v7, 8, v11
	v_lshl_add_u32 v117, v167, 10, 0x2000
	v_lshlrev_b32_e32 v166, 7, v166
	s_delay_alu instid0(VALU_DEP_3) | instskip(NEXT) | instid1(VALU_DEP_3)
	v_and_b32_e32 v7, 0x8000, v7
	v_and_b32_e32 v117, 0xfc00, v117
	s_delay_alu instid0(VALU_DEP_1)
	v_or3_b32 v166, v7, v117, v166
.LBB294_2933:                           ;   in Loop: Header=BB294_1574 Depth=1
	s_wait_alu 0xfffe
	s_or_b32 exec_lo, exec_lo, s16
.LBB294_2934:                           ;   in Loop: Header=BB294_1574 Depth=1
	s_wait_alu 0xfffe
	s_or_b32 exec_lo, exec_lo, s15
.LBB294_2935:                           ;   in Loop: Header=BB294_1574 Depth=1
	s_wait_alu 0xfffe
	s_or_b32 exec_lo, exec_lo, s14
	v_lshrrev_b16 v0, 8, v0
	v_mov_b32_e32 v167, 0
	s_mov_b32 s14, exec_lo
	s_delay_alu instid0(VALU_DEP_2)
	v_cmpx_ne_u16_e32 0, v0
	s_cbranch_execz .LBB294_2943
; %bb.2936:                             ;   in Loop: Header=BB294_1574 Depth=1
	v_bfrev_b32_e32 v167, 1
	s_mov_b32 s15, exec_lo
	v_cmpx_ne_u16_e32 0x80, v0
	s_cbranch_execz .LBB294_2942
; %bb.2937:                             ;   in Loop: Header=BB294_1574 Depth=1
	v_and_b32_e32 v176, 0xffff, v0
	v_mov_b32_e32 v167, 0x7c010000
	s_mov_b32 s16, exec_lo
	s_delay_alu instid0(VALU_DEP_2) | instskip(NEXT) | instid1(VALU_DEP_1)
	v_and_b32_e32 v178, 0x7f, v176
	v_cmpx_ne_u32_e32 0x7f, v178
	s_cbranch_execz .LBB294_2941
; %bb.2938:                             ;   in Loop: Header=BB294_1574 Depth=1
	v_and_b32_e32 v167, 7, v176
	v_lshrrev_b32_e32 v177, 3, v178
	s_mov_b32 s17, exec_lo
	v_cmpx_gt_u32_e32 8, v178
; %bb.2939:                             ;   in Loop: Header=BB294_1574 Depth=1
	s_delay_alu instid0(VALU_DEP_3) | instskip(NEXT) | instid1(VALU_DEP_1)
	v_clz_i32_u32_e32 v7, v167
	v_min_u32_e32 v7, 32, v7
	s_delay_alu instid0(VALU_DEP_1) | instskip(SKIP_1) | instid1(VALU_DEP_2)
	v_subrev_nc_u32_e32 v117, 28, v7
	v_sub_nc_u32_e32 v177, 29, v7
	v_lshlrev_b64_e32 v[178:179], v117, v[0:1]
	s_delay_alu instid0(VALU_DEP_1)
	v_and_b32_e32 v167, 7, v178
; %bb.2940:                             ;   in Loop: Header=BB294_1574 Depth=1
	s_wait_alu 0xfffe
	s_or_b32 exec_lo, exec_lo, s17
	v_lshlrev_b32_e32 v0, 8, v176
	v_lshl_add_u32 v7, v177, 10, 0x2000
	s_delay_alu instid0(VALU_DEP_1) | instskip(SKIP_1) | instid1(VALU_DEP_1)
	v_and_or_b32 v0, 0x8000, v0, v7
	v_lshlrev_b32_e32 v7, 23, v167
	v_lshl_or_b32 v167, v0, 16, v7
.LBB294_2941:                           ;   in Loop: Header=BB294_1574 Depth=1
	s_wait_alu 0xfffe
	s_or_b32 exec_lo, exec_lo, s16
.LBB294_2942:                           ;   in Loop: Header=BB294_1574 Depth=1
	s_wait_alu 0xfffe
	s_or_b32 exec_lo, exec_lo, s15
.LBB294_2943:                           ;   in Loop: Header=BB294_1574 Depth=1
	s_wait_alu 0xfffe
	s_or_b32 exec_lo, exec_lo, s14
	v_lshrrev_b32_e32 v0, 16, v11
	s_mov_b32 s14, exec_lo
	s_delay_alu instid0(VALU_DEP_1) | instskip(NEXT) | instid1(VALU_DEP_1)
	v_and_b32_e32 v176, 0xff, v0
	v_cmpx_ne_u16_e64 0, v176
	s_cbranch_execz .LBB294_2951
; %bb.2944:                             ;   in Loop: Header=BB294_1574 Depth=1
	v_mov_b32_e32 v165, 0x8000
	s_mov_b32 s15, exec_lo
	v_cmpx_ne_u16_e64 0x80, v176
	s_cbranch_execz .LBB294_2950
; %bb.2945:                             ;   in Loop: Header=BB294_1574 Depth=1
	v_bfe_u32 v177, v11, 16, 7
	v_mov_b32_e32 v165, 0x7c01
	s_mov_b32 s16, exec_lo
	s_delay_alu instid0(VALU_DEP_2)
	v_cmpx_ne_u32_e32 0x7f, v177
	s_cbranch_execz .LBB294_2949
; %bb.2946:                             ;   in Loop: Header=BB294_1574 Depth=1
	v_and_b32_e32 v165, 7, v0
	v_lshrrev_b32_e32 v176, 3, v177
	s_mov_b32 s17, exec_lo
	v_cmpx_gt_u32_e32 8, v177
; %bb.2947:                             ;   in Loop: Header=BB294_1574 Depth=1
	s_delay_alu instid0(VALU_DEP_3) | instskip(NEXT) | instid1(VALU_DEP_1)
	v_clz_i32_u32_e32 v7, v165
	v_min_u32_e32 v7, 32, v7
	s_delay_alu instid0(VALU_DEP_1) | instskip(SKIP_1) | instid1(VALU_DEP_2)
	v_subrev_nc_u32_e32 v117, 28, v7
	v_sub_nc_u32_e32 v176, 29, v7
	v_lshlrev_b64_e32 v[177:178], v117, v[0:1]
	s_delay_alu instid0(VALU_DEP_1)
	v_and_b32_e32 v165, 7, v177
; %bb.2948:                             ;   in Loop: Header=BB294_1574 Depth=1
	s_wait_alu 0xfffe
	s_or_b32 exec_lo, exec_lo, s17
	v_lshlrev_b32_e32 v0, 8, v0
	v_lshl_add_u32 v7, v176, 10, 0x2000
	v_lshlrev_b32_e32 v117, 7, v165
	s_delay_alu instid0(VALU_DEP_3) | instskip(NEXT) | instid1(VALU_DEP_3)
	v_and_b32_e32 v0, 0x8000, v0
	v_and_b32_e32 v7, 0xfc00, v7
	s_delay_alu instid0(VALU_DEP_1)
	v_or3_b32 v165, v0, v7, v117
.LBB294_2949:                           ;   in Loop: Header=BB294_1574 Depth=1
	s_wait_alu 0xfffe
	s_or_b32 exec_lo, exec_lo, s16
.LBB294_2950:                           ;   in Loop: Header=BB294_1574 Depth=1
	s_wait_alu 0xfffe
	s_or_b32 exec_lo, exec_lo, s15
.LBB294_2951:                           ;   in Loop: Header=BB294_1574 Depth=1
	s_wait_alu 0xfffe
	s_or_b32 exec_lo, exec_lo, s14
	v_cmp_lt_u64_e64 s0, s[8:9], v[10:11]
	v_mov_b32_e32 v10, 0
	s_and_saveexec_b32 s14, s0
	s_cbranch_execz .LBB294_2959
; %bb.2952:                             ;   in Loop: Header=BB294_1574 Depth=1
	v_lshrrev_b32_e32 v0, 24, v11
	v_bfrev_b32_e32 v10, 1
	s_mov_b32 s15, exec_lo
	s_delay_alu instid0(VALU_DEP_2)
	v_cmpx_ne_u32_e32 0x80, v0
	s_cbranch_execz .LBB294_2958
; %bb.2953:                             ;   in Loop: Header=BB294_1574 Depth=1
	v_and_b32_e32 v176, 0x7f, v0
	v_mov_b32_e32 v10, 0x7c010000
	s_mov_b32 s16, exec_lo
	s_delay_alu instid0(VALU_DEP_2)
	v_cmpx_ne_u32_e32 0x7f, v176
	s_cbranch_execz .LBB294_2957
; %bb.2954:                             ;   in Loop: Header=BB294_1574 Depth=1
	v_and_b32_e32 v10, 7, v0
	v_lshrrev_b32_e32 v11, 3, v176
	s_mov_b32 s17, exec_lo
	v_cmpx_gt_u32_e32 8, v176
; %bb.2955:                             ;   in Loop: Header=BB294_1574 Depth=1
	s_delay_alu instid0(VALU_DEP_3) | instskip(NEXT) | instid1(VALU_DEP_1)
	v_clz_i32_u32_e32 v7, v10
	v_min_u32_e32 v7, 32, v7
	s_delay_alu instid0(VALU_DEP_1) | instskip(NEXT) | instid1(VALU_DEP_1)
	v_subrev_nc_u32_e32 v10, 28, v7
	v_lshlrev_b64_e32 v[10:11], v10, v[0:1]
	v_sub_nc_u32_e32 v11, 29, v7
	s_delay_alu instid0(VALU_DEP_2)
	v_and_b32_e32 v10, 7, v10
; %bb.2956:                             ;   in Loop: Header=BB294_1574 Depth=1
	s_wait_alu 0xfffe
	s_or_b32 exec_lo, exec_lo, s17
	v_lshlrev_b32_e32 v0, 8, v0
	v_lshl_add_u32 v7, v11, 10, 0x2000
	s_delay_alu instid0(VALU_DEP_1) | instskip(SKIP_1) | instid1(VALU_DEP_1)
	v_and_or_b32 v0, 0x8000, v0, v7
	v_lshlrev_b32_e32 v7, 23, v10
	v_lshl_or_b32 v10, v0, 16, v7
.LBB294_2957:                           ;   in Loop: Header=BB294_1574 Depth=1
	s_wait_alu 0xfffe
	s_or_b32 exec_lo, exec_lo, s16
.LBB294_2958:                           ;   in Loop: Header=BB294_1574 Depth=1
	s_wait_alu 0xfffe
	s_or_b32 exec_lo, exec_lo, s15
.LBB294_2959:                           ;   in Loop: Header=BB294_1574 Depth=1
	s_wait_alu 0xfffe
	s_or_b32 exec_lo, exec_lo, s14
	v_or_b32_e32 v0, v163, v164
	s_wait_loadcnt_dscnt 0x0
	v_fma_mixlo_f16 v7, v36, v163, 0 op_sel:[0,1,0] op_sel_hi:[0,1,0]
	v_or_b32_e32 v11, v161, v162
	v_fma_mixlo_f16 v117, v36, v161, 0 op_sel:[0,1,0] op_sel_hi:[0,1,0]
	v_or_b32_e32 v161, v167, v166
	v_fma_mixlo_f16 v163, v36, v0, 0 op_sel_hi:[0,1,0]
	v_or_b32_e32 v164, v10, v165
	v_lshlrev_b32_e32 v0, 16, v7
	v_lshlrev_b32_e32 v162, 16, v117
	v_fma_mixlo_f16 v7, v36, v11, 0 op_sel_hi:[0,1,0]
	v_and_b32_e32 v11, 0xffff, v163
	v_fma_mixlo_f16 v117, v36, v167, 0 op_sel:[0,1,0] op_sel_hi:[0,1,0]
	v_fma_mixlo_f16 v161, v36, v161, 0 op_sel_hi:[0,1,0]
	v_fma_mixlo_f16 v10, v36, v10, 0 op_sel:[0,1,0] op_sel_hi:[0,1,0]
	v_fma_mixlo_f16 v163, v36, v164, 0 op_sel_hi:[0,1,0]
	v_and_b32_e32 v176, 0xffff, v7
	v_lshlrev_b32_e32 v36, 16, v117
	v_and_b32_e32 v164, 0xffff, v161
	v_lshlrev_b32_e32 v10, 16, v10
	v_and_b32_e32 v161, 0xffff, v163
	v_or_b32_e32 v163, v0, v11
	v_or_b32_e32 v167, v162, v176
	v_or_b32_e32 v166, v36, v164
	s_delay_alu instid0(VALU_DEP_4)
	v_or_b32_e32 v165, v10, v161
	s_and_saveexec_b32 s14, vcc_lo
	s_cbranch_execz .LBB294_2961
; %bb.2960:                             ;   in Loop: Header=BB294_1574 Depth=1
	v_cmp_lt_i32_e64 s0, v49, v34
	s_wait_alu 0xf1ff
	s_delay_alu instid0(VALU_DEP_1) | instskip(SKIP_2) | instid1(VALU_DEP_1)
	v_cndmask_b32_e64 v7, 0, v176, s0
	v_cmp_lt_i32_e64 s0, v101, v34
	s_wait_alu 0xf1ff
	v_cndmask_b32_e64 v117, 0, v162, s0
	v_cmp_lt_i32_e64 s0, v100, v34
	s_delay_alu instid0(VALU_DEP_2) | instskip(SKIP_1) | instid1(VALU_DEP_2)
	v_or_b32_e32 v167, v7, v117
	s_wait_alu 0xf1ff
	v_cndmask_b32_e64 v11, 0, v11, s0
	v_cmp_lt_i32_e64 s0, v99, v34
	s_wait_alu 0xf1ff
	s_delay_alu instid0(VALU_DEP_1) | instskip(SKIP_1) | instid1(VALU_DEP_2)
	v_cndmask_b32_e64 v0, 0, v0, s0
	v_cmp_lt_i32_e64 s0, v98, v34
	v_or_b32_e32 v163, v11, v0
	s_wait_alu 0xf1ff
	s_delay_alu instid0(VALU_DEP_2) | instskip(SKIP_2) | instid1(VALU_DEP_1)
	v_cndmask_b32_e64 v162, 0, v164, s0
	v_cmp_lt_i32_e64 s0, v97, v34
	s_wait_alu 0xf1ff
	v_cndmask_b32_e64 v36, 0, v36, s0
	v_cmp_lt_i32_e64 s0, v96, v34
	s_delay_alu instid0(VALU_DEP_2) | instskip(SKIP_1) | instid1(VALU_DEP_2)
	v_or_b32_e32 v166, v162, v36
	s_wait_alu 0xf1ff
	v_cndmask_b32_e64 v161, 0, v161, s0
	v_cmp_lt_i32_e64 s0, v87, v34
	s_wait_alu 0xf1ff
	s_delay_alu instid0(VALU_DEP_1) | instskip(NEXT) | instid1(VALU_DEP_1)
	v_cndmask_b32_e64 v10, 0, v10, s0
	v_or_b32_e32 v165, v161, v10
.LBB294_2961:                           ;   in Loop: Header=BB294_1574 Depth=1
	s_wait_alu 0xfffe
	s_or_b32 exec_lo, exec_lo, s14
	;;#ASMSTART
	v_pk_mul_f16 v0, v86, v167;

	;;#ASMEND
	;;#ASMSTART
	v_pk_mul_f16 v7, v85, v163;

	;;#ASMEND
	;; [unrolled: 4-line block ×4, first 2 shown]
	;;#ASMSTART
	v_pk_add_f16 v0, v0, v7;

	;;#ASMEND
	;;#ASMSTART
	v_pk_add_f16 v0, v0, v10;

	;;#ASMEND
	;; [unrolled: 4-line block ×3, first 2 shown]
	v_dual_mov_b32 v164, 0 :: v_dual_and_b32 v7, 0xffff, v0
	v_lshrrev_b32_e32 v0, 16, v0
	;;#ASMSTART
	v_cvt_f32_f16 v161, v7;
	;;#ASMEND
	;;#ASMSTART
	v_cvt_f32_f16 v162, v0;
	;;#ASMEND
	flat_load_b64 v[10:11], v[8:9] offset:5376
	flat_load_b32 v36, v[26:27]
	s_mov_b32 s14, exec_lo
	s_wait_loadcnt_dscnt 0x101
	v_dual_mov_b32 v163, 0 :: v_dual_and_b32 v0, 0xff, v10
	s_delay_alu instid0(VALU_DEP_1)
	v_cmpx_ne_u16_e32 0, v0
	s_cbranch_execz .LBB294_2969
; %bb.2962:                             ;   in Loop: Header=BB294_1574 Depth=1
	v_mov_b32_e32 v164, 0x8000
	s_mov_b32 s15, exec_lo
	v_cmpx_ne_u16_e32 0x80, v0
	s_cbranch_execz .LBB294_2968
; %bb.2963:                             ;   in Loop: Header=BB294_1574 Depth=1
	v_and_b32_e32 v165, 0x7f, v10
	v_mov_b32_e32 v164, 0x7c01
	s_mov_b32 s16, exec_lo
	s_delay_alu instid0(VALU_DEP_2)
	v_cmpx_ne_u32_e32 0x7f, v165
	s_cbranch_execz .LBB294_2967
; %bb.2964:                             ;   in Loop: Header=BB294_1574 Depth=1
	v_and_b32_e32 v0, 7, v10
	v_lshrrev_b32_e32 v164, 3, v165
	s_mov_b32 s17, exec_lo
	v_cmpx_gt_u32_e32 8, v165
; %bb.2965:                             ;   in Loop: Header=BB294_1574 Depth=1
	s_delay_alu instid0(VALU_DEP_3) | instskip(NEXT) | instid1(VALU_DEP_1)
	v_clz_i32_u32_e32 v0, v0
	v_min_u32_e32 v0, 32, v0
	s_delay_alu instid0(VALU_DEP_1) | instskip(SKIP_1) | instid1(VALU_DEP_2)
	v_subrev_nc_u32_e32 v7, 28, v0
	v_sub_nc_u32_e32 v164, 29, v0
	v_lshlrev_b64_e32 v[165:166], v7, v[10:11]
	s_delay_alu instid0(VALU_DEP_1)
	v_and_b32_e32 v0, 7, v165
; %bb.2966:                             ;   in Loop: Header=BB294_1574 Depth=1
	s_wait_alu 0xfffe
	s_or_b32 exec_lo, exec_lo, s17
	v_lshlrev_b32_e32 v7, 8, v10
	v_lshl_add_u32 v117, v164, 10, 0x2000
	v_lshlrev_b32_e32 v0, 7, v0
	s_delay_alu instid0(VALU_DEP_3) | instskip(NEXT) | instid1(VALU_DEP_3)
	v_and_b32_e32 v7, 0x8000, v7
	v_and_b32_e32 v117, 0xfc00, v117
	s_delay_alu instid0(VALU_DEP_1)
	v_or3_b32 v164, v7, v117, v0
.LBB294_2967:                           ;   in Loop: Header=BB294_1574 Depth=1
	s_wait_alu 0xfffe
	s_or_b32 exec_lo, exec_lo, s16
.LBB294_2968:                           ;   in Loop: Header=BB294_1574 Depth=1
	s_wait_alu 0xfffe
	s_or_b32 exec_lo, exec_lo, s15
.LBB294_2969:                           ;   in Loop: Header=BB294_1574 Depth=1
	s_wait_alu 0xfffe
	s_or_b32 exec_lo, exec_lo, s14
	v_lshrrev_b16 v0, 8, v10
	s_mov_b32 s14, exec_lo
	s_delay_alu instid0(VALU_DEP_1)
	v_cmpx_ne_u16_e32 0, v0
	s_cbranch_execz .LBB294_2977
; %bb.2970:                             ;   in Loop: Header=BB294_1574 Depth=1
	v_bfrev_b32_e32 v163, 1
	s_mov_b32 s15, exec_lo
	v_cmpx_ne_u16_e32 0x80, v0
	s_cbranch_execz .LBB294_2976
; %bb.2971:                             ;   in Loop: Header=BB294_1574 Depth=1
	v_and_b32_e32 v165, 0xffff, v0
	v_mov_b32_e32 v163, 0x7c010000
	s_mov_b32 s16, exec_lo
	s_delay_alu instid0(VALU_DEP_2) | instskip(NEXT) | instid1(VALU_DEP_1)
	v_and_b32_e32 v167, 0x7f, v165
	v_cmpx_ne_u32_e32 0x7f, v167
	s_cbranch_execz .LBB294_2975
; %bb.2972:                             ;   in Loop: Header=BB294_1574 Depth=1
	v_and_b32_e32 v163, 7, v165
	v_lshrrev_b32_e32 v166, 3, v167
	s_mov_b32 s17, exec_lo
	v_cmpx_gt_u32_e32 8, v167
; %bb.2973:                             ;   in Loop: Header=BB294_1574 Depth=1
	s_delay_alu instid0(VALU_DEP_3) | instskip(NEXT) | instid1(VALU_DEP_1)
	v_clz_i32_u32_e32 v7, v163
	v_min_u32_e32 v7, 32, v7
	s_delay_alu instid0(VALU_DEP_1) | instskip(SKIP_1) | instid1(VALU_DEP_2)
	v_subrev_nc_u32_e32 v117, 28, v7
	v_sub_nc_u32_e32 v166, 29, v7
	v_lshlrev_b64_e32 v[176:177], v117, v[0:1]
	s_delay_alu instid0(VALU_DEP_1)
	v_and_b32_e32 v163, 7, v176
; %bb.2974:                             ;   in Loop: Header=BB294_1574 Depth=1
	s_wait_alu 0xfffe
	s_or_b32 exec_lo, exec_lo, s17
	v_lshlrev_b32_e32 v0, 8, v165
	v_lshl_add_u32 v7, v166, 10, 0x2000
	s_delay_alu instid0(VALU_DEP_1) | instskip(SKIP_1) | instid1(VALU_DEP_1)
	v_and_or_b32 v0, 0x8000, v0, v7
	v_lshlrev_b32_e32 v7, 23, v163
	v_lshl_or_b32 v163, v0, 16, v7
.LBB294_2975:                           ;   in Loop: Header=BB294_1574 Depth=1
	s_wait_alu 0xfffe
	s_or_b32 exec_lo, exec_lo, s16
.LBB294_2976:                           ;   in Loop: Header=BB294_1574 Depth=1
	s_wait_alu 0xfffe
	s_or_b32 exec_lo, exec_lo, s15
.LBB294_2977:                           ;   in Loop: Header=BB294_1574 Depth=1
	s_wait_alu 0xfffe
	s_or_b32 exec_lo, exec_lo, s14
	v_lshrrev_b32_e32 v0, 16, v10
	v_mov_b32_e32 v165, 0
	s_mov_b32 s14, exec_lo
	s_delay_alu instid0(VALU_DEP_2) | instskip(NEXT) | instid1(VALU_DEP_1)
	v_dual_mov_b32 v166, 0 :: v_dual_and_b32 v167, 0xff, v0
	v_cmpx_ne_u16_e64 0, v167
	s_cbranch_execz .LBB294_2985
; %bb.2978:                             ;   in Loop: Header=BB294_1574 Depth=1
	v_mov_b32_e32 v166, 0x8000
	s_mov_b32 s15, exec_lo
	v_cmpx_ne_u16_e64 0x80, v167
	s_cbranch_execz .LBB294_2984
; %bb.2979:                             ;   in Loop: Header=BB294_1574 Depth=1
	v_bfe_u32 v176, v10, 16, 7
	v_mov_b32_e32 v166, 0x7c01
	s_mov_b32 s16, exec_lo
	s_delay_alu instid0(VALU_DEP_2)
	v_cmpx_ne_u32_e32 0x7f, v176
	s_cbranch_execz .LBB294_2983
; %bb.2980:                             ;   in Loop: Header=BB294_1574 Depth=1
	v_and_b32_e32 v166, 7, v0
	v_lshrrev_b32_e32 v167, 3, v176
	s_mov_b32 s17, exec_lo
	v_cmpx_gt_u32_e32 8, v176
; %bb.2981:                             ;   in Loop: Header=BB294_1574 Depth=1
	s_delay_alu instid0(VALU_DEP_3) | instskip(NEXT) | instid1(VALU_DEP_1)
	v_clz_i32_u32_e32 v7, v166
	v_min_u32_e32 v7, 32, v7
	s_delay_alu instid0(VALU_DEP_1) | instskip(NEXT) | instid1(VALU_DEP_1)
	v_subrev_nc_u32_e32 v117, 28, v7
	v_lshlrev_b64_e32 v[166:167], v117, v[0:1]
	v_sub_nc_u32_e32 v167, 29, v7
	s_delay_alu instid0(VALU_DEP_2)
	v_and_b32_e32 v166, 7, v166
; %bb.2982:                             ;   in Loop: Header=BB294_1574 Depth=1
	s_wait_alu 0xfffe
	s_or_b32 exec_lo, exec_lo, s17
	v_lshlrev_b32_e32 v0, 8, v0
	v_lshl_add_u32 v7, v167, 10, 0x2000
	v_lshlrev_b32_e32 v117, 7, v166
	s_delay_alu instid0(VALU_DEP_3) | instskip(NEXT) | instid1(VALU_DEP_3)
	v_and_b32_e32 v0, 0x8000, v0
	v_and_b32_e32 v7, 0xfc00, v7
	s_delay_alu instid0(VALU_DEP_1)
	v_or3_b32 v166, v0, v7, v117
.LBB294_2983:                           ;   in Loop: Header=BB294_1574 Depth=1
	s_wait_alu 0xfffe
	s_or_b32 exec_lo, exec_lo, s16
.LBB294_2984:                           ;   in Loop: Header=BB294_1574 Depth=1
	s_wait_alu 0xfffe
	s_or_b32 exec_lo, exec_lo, s15
.LBB294_2985:                           ;   in Loop: Header=BB294_1574 Depth=1
	s_wait_alu 0xfffe
	s_or_b32 exec_lo, exec_lo, s14
	s_delay_alu instid0(SALU_CYCLE_1)
	s_mov_b32 s14, exec_lo
	v_cmpx_lt_u32_e32 0xffffff, v10
	s_cbranch_execz .LBB294_2993
; %bb.2986:                             ;   in Loop: Header=BB294_1574 Depth=1
	v_lshrrev_b32_e32 v0, 24, v10
	v_bfrev_b32_e32 v165, 1
	s_mov_b32 s15, exec_lo
	s_delay_alu instid0(VALU_DEP_2)
	v_cmpx_ne_u32_e32 0x80, v0
	s_cbranch_execz .LBB294_2992
; %bb.2987:                             ;   in Loop: Header=BB294_1574 Depth=1
	v_and_b32_e32 v176, 0x7f, v0
	v_mov_b32_e32 v165, 0x7c010000
	s_mov_b32 s16, exec_lo
	s_delay_alu instid0(VALU_DEP_2)
	v_cmpx_ne_u32_e32 0x7f, v176
	s_cbranch_execz .LBB294_2991
; %bb.2988:                             ;   in Loop: Header=BB294_1574 Depth=1
	v_and_b32_e32 v165, 7, v0
	v_lshrrev_b32_e32 v167, 3, v176
	s_mov_b32 s17, exec_lo
	v_cmpx_gt_u32_e32 8, v176
; %bb.2989:                             ;   in Loop: Header=BB294_1574 Depth=1
	s_delay_alu instid0(VALU_DEP_3) | instskip(NEXT) | instid1(VALU_DEP_1)
	v_clz_i32_u32_e32 v7, v165
	v_min_u32_e32 v7, 32, v7
	s_delay_alu instid0(VALU_DEP_1) | instskip(SKIP_1) | instid1(VALU_DEP_2)
	v_subrev_nc_u32_e32 v117, 28, v7
	v_sub_nc_u32_e32 v167, 29, v7
	v_lshlrev_b64_e32 v[176:177], v117, v[0:1]
	s_delay_alu instid0(VALU_DEP_1)
	v_and_b32_e32 v165, 7, v176
; %bb.2990:                             ;   in Loop: Header=BB294_1574 Depth=1
	s_wait_alu 0xfffe
	s_or_b32 exec_lo, exec_lo, s17
	v_lshlrev_b32_e32 v0, 8, v0
	v_lshl_add_u32 v7, v167, 10, 0x2000
	s_delay_alu instid0(VALU_DEP_1) | instskip(SKIP_1) | instid1(VALU_DEP_1)
	v_and_or_b32 v0, 0x8000, v0, v7
	v_lshlrev_b32_e32 v7, 23, v165
	v_lshl_or_b32 v165, v0, 16, v7
.LBB294_2991:                           ;   in Loop: Header=BB294_1574 Depth=1
	s_wait_alu 0xfffe
	s_or_b32 exec_lo, exec_lo, s16
.LBB294_2992:                           ;   in Loop: Header=BB294_1574 Depth=1
	s_wait_alu 0xfffe
	s_or_b32 exec_lo, exec_lo, s15
.LBB294_2993:                           ;   in Loop: Header=BB294_1574 Depth=1
	s_wait_alu 0xfffe
	s_or_b32 exec_lo, exec_lo, s14
	v_dual_mov_b32 v0, v11 :: v_dual_and_b32 v177, 0xff, v11
	v_dual_mov_b32 v167, 0 :: v_dual_mov_b32 v176, 0
	s_mov_b32 s14, exec_lo
	s_delay_alu instid0(VALU_DEP_2)
	v_cmpx_ne_u16_e64 0, v177
	s_cbranch_execz .LBB294_3001
; %bb.2994:                             ;   in Loop: Header=BB294_1574 Depth=1
	v_mov_b32_e32 v176, 0x8000
	s_mov_b32 s15, exec_lo
	v_cmpx_ne_u16_e64 0x80, v177
	s_cbranch_execz .LBB294_3000
; %bb.2995:                             ;   in Loop: Header=BB294_1574 Depth=1
	v_and_b32_e32 v178, 0x7f, v11
	v_mov_b32_e32 v176, 0x7c01
	s_mov_b32 s16, exec_lo
	s_delay_alu instid0(VALU_DEP_2)
	v_cmpx_ne_u32_e32 0x7f, v178
	s_cbranch_execz .LBB294_2999
; %bb.2996:                             ;   in Loop: Header=BB294_1574 Depth=1
	v_and_b32_e32 v176, 7, v11
	v_lshrrev_b32_e32 v177, 3, v178
	s_mov_b32 s17, exec_lo
	v_cmpx_gt_u32_e32 8, v178
; %bb.2997:                             ;   in Loop: Header=BB294_1574 Depth=1
	s_delay_alu instid0(VALU_DEP_3) | instskip(NEXT) | instid1(VALU_DEP_1)
	v_clz_i32_u32_e32 v7, v176
	v_min_u32_e32 v7, 32, v7
	s_delay_alu instid0(VALU_DEP_1) | instskip(NEXT) | instid1(VALU_DEP_1)
	v_subrev_nc_u32_e32 v117, 28, v7
	v_lshlrev_b64_e32 v[176:177], v117, v[0:1]
	v_sub_nc_u32_e32 v177, 29, v7
	s_delay_alu instid0(VALU_DEP_2)
	v_and_b32_e32 v176, 7, v176
; %bb.2998:                             ;   in Loop: Header=BB294_1574 Depth=1
	s_wait_alu 0xfffe
	s_or_b32 exec_lo, exec_lo, s17
	v_lshlrev_b32_e32 v7, 8, v11
	v_lshl_add_u32 v117, v177, 10, 0x2000
	v_lshlrev_b32_e32 v176, 7, v176
	s_delay_alu instid0(VALU_DEP_3) | instskip(NEXT) | instid1(VALU_DEP_3)
	v_and_b32_e32 v7, 0x8000, v7
	v_and_b32_e32 v117, 0xfc00, v117
	s_delay_alu instid0(VALU_DEP_1)
	v_or3_b32 v176, v7, v117, v176
.LBB294_2999:                           ;   in Loop: Header=BB294_1574 Depth=1
	s_wait_alu 0xfffe
	s_or_b32 exec_lo, exec_lo, s16
.LBB294_3000:                           ;   in Loop: Header=BB294_1574 Depth=1
	s_wait_alu 0xfffe
	s_or_b32 exec_lo, exec_lo, s15
.LBB294_3001:                           ;   in Loop: Header=BB294_1574 Depth=1
	s_wait_alu 0xfffe
	s_or_b32 exec_lo, exec_lo, s14
	v_lshrrev_b16 v0, 8, v0
	v_mov_b32_e32 v177, 0
	s_mov_b32 s14, exec_lo
	s_delay_alu instid0(VALU_DEP_2)
	v_cmpx_ne_u16_e32 0, v0
	s_cbranch_execz .LBB294_3009
; %bb.3002:                             ;   in Loop: Header=BB294_1574 Depth=1
	v_bfrev_b32_e32 v177, 1
	s_mov_b32 s15, exec_lo
	v_cmpx_ne_u16_e32 0x80, v0
	s_cbranch_execz .LBB294_3008
; %bb.3003:                             ;   in Loop: Header=BB294_1574 Depth=1
	v_and_b32_e32 v178, 0xffff, v0
	v_mov_b32_e32 v177, 0x7c010000
	s_mov_b32 s16, exec_lo
	s_delay_alu instid0(VALU_DEP_2) | instskip(NEXT) | instid1(VALU_DEP_1)
	v_and_b32_e32 v180, 0x7f, v178
	v_cmpx_ne_u32_e32 0x7f, v180
	s_cbranch_execz .LBB294_3007
; %bb.3004:                             ;   in Loop: Header=BB294_1574 Depth=1
	v_and_b32_e32 v177, 7, v178
	v_lshrrev_b32_e32 v179, 3, v180
	s_mov_b32 s17, exec_lo
	v_cmpx_gt_u32_e32 8, v180
; %bb.3005:                             ;   in Loop: Header=BB294_1574 Depth=1
	s_delay_alu instid0(VALU_DEP_3) | instskip(NEXT) | instid1(VALU_DEP_1)
	v_clz_i32_u32_e32 v7, v177
	v_min_u32_e32 v7, 32, v7
	s_delay_alu instid0(VALU_DEP_1) | instskip(SKIP_1) | instid1(VALU_DEP_2)
	v_subrev_nc_u32_e32 v117, 28, v7
	v_sub_nc_u32_e32 v179, 29, v7
	v_lshlrev_b64_e32 v[180:181], v117, v[0:1]
	s_delay_alu instid0(VALU_DEP_1)
	v_and_b32_e32 v177, 7, v180
; %bb.3006:                             ;   in Loop: Header=BB294_1574 Depth=1
	s_wait_alu 0xfffe
	s_or_b32 exec_lo, exec_lo, s17
	v_lshlrev_b32_e32 v0, 8, v178
	v_lshl_add_u32 v7, v179, 10, 0x2000
	s_delay_alu instid0(VALU_DEP_1) | instskip(SKIP_1) | instid1(VALU_DEP_1)
	v_and_or_b32 v0, 0x8000, v0, v7
	v_lshlrev_b32_e32 v7, 23, v177
	v_lshl_or_b32 v177, v0, 16, v7
.LBB294_3007:                           ;   in Loop: Header=BB294_1574 Depth=1
	s_wait_alu 0xfffe
	s_or_b32 exec_lo, exec_lo, s16
.LBB294_3008:                           ;   in Loop: Header=BB294_1574 Depth=1
	s_wait_alu 0xfffe
	s_or_b32 exec_lo, exec_lo, s15
.LBB294_3009:                           ;   in Loop: Header=BB294_1574 Depth=1
	s_wait_alu 0xfffe
	s_or_b32 exec_lo, exec_lo, s14
	v_lshrrev_b32_e32 v0, 16, v11
	s_mov_b32 s14, exec_lo
	s_delay_alu instid0(VALU_DEP_1) | instskip(NEXT) | instid1(VALU_DEP_1)
	v_and_b32_e32 v178, 0xff, v0
	v_cmpx_ne_u16_e64 0, v178
	s_cbranch_execz .LBB294_3017
; %bb.3010:                             ;   in Loop: Header=BB294_1574 Depth=1
	v_mov_b32_e32 v167, 0x8000
	s_mov_b32 s15, exec_lo
	v_cmpx_ne_u16_e64 0x80, v178
	s_cbranch_execz .LBB294_3016
; %bb.3011:                             ;   in Loop: Header=BB294_1574 Depth=1
	v_bfe_u32 v179, v11, 16, 7
	v_mov_b32_e32 v167, 0x7c01
	s_mov_b32 s16, exec_lo
	s_delay_alu instid0(VALU_DEP_2)
	v_cmpx_ne_u32_e32 0x7f, v179
	s_cbranch_execz .LBB294_3015
; %bb.3012:                             ;   in Loop: Header=BB294_1574 Depth=1
	v_and_b32_e32 v167, 7, v0
	v_lshrrev_b32_e32 v178, 3, v179
	s_mov_b32 s17, exec_lo
	v_cmpx_gt_u32_e32 8, v179
; %bb.3013:                             ;   in Loop: Header=BB294_1574 Depth=1
	s_delay_alu instid0(VALU_DEP_3) | instskip(NEXT) | instid1(VALU_DEP_1)
	v_clz_i32_u32_e32 v7, v167
	v_min_u32_e32 v7, 32, v7
	s_delay_alu instid0(VALU_DEP_1) | instskip(SKIP_1) | instid1(VALU_DEP_2)
	v_subrev_nc_u32_e32 v117, 28, v7
	v_sub_nc_u32_e32 v178, 29, v7
	v_lshlrev_b64_e32 v[179:180], v117, v[0:1]
	s_delay_alu instid0(VALU_DEP_1)
	v_and_b32_e32 v167, 7, v179
; %bb.3014:                             ;   in Loop: Header=BB294_1574 Depth=1
	s_wait_alu 0xfffe
	s_or_b32 exec_lo, exec_lo, s17
	v_lshlrev_b32_e32 v0, 8, v0
	v_lshl_add_u32 v7, v178, 10, 0x2000
	v_lshlrev_b32_e32 v117, 7, v167
	s_delay_alu instid0(VALU_DEP_3) | instskip(NEXT) | instid1(VALU_DEP_3)
	v_and_b32_e32 v0, 0x8000, v0
	v_and_b32_e32 v7, 0xfc00, v7
	s_delay_alu instid0(VALU_DEP_1)
	v_or3_b32 v167, v0, v7, v117
.LBB294_3015:                           ;   in Loop: Header=BB294_1574 Depth=1
	s_wait_alu 0xfffe
	s_or_b32 exec_lo, exec_lo, s16
.LBB294_3016:                           ;   in Loop: Header=BB294_1574 Depth=1
	s_wait_alu 0xfffe
	s_or_b32 exec_lo, exec_lo, s15
.LBB294_3017:                           ;   in Loop: Header=BB294_1574 Depth=1
	s_wait_alu 0xfffe
	s_or_b32 exec_lo, exec_lo, s14
	v_cmp_lt_u64_e64 s0, s[8:9], v[10:11]
	v_mov_b32_e32 v10, 0
	s_and_saveexec_b32 s14, s0
	s_cbranch_execz .LBB294_3025
; %bb.3018:                             ;   in Loop: Header=BB294_1574 Depth=1
	v_lshrrev_b32_e32 v0, 24, v11
	v_bfrev_b32_e32 v10, 1
	s_mov_b32 s15, exec_lo
	s_delay_alu instid0(VALU_DEP_2)
	v_cmpx_ne_u32_e32 0x80, v0
	s_cbranch_execz .LBB294_3024
; %bb.3019:                             ;   in Loop: Header=BB294_1574 Depth=1
	v_and_b32_e32 v178, 0x7f, v0
	v_mov_b32_e32 v10, 0x7c010000
	s_mov_b32 s16, exec_lo
	s_delay_alu instid0(VALU_DEP_2)
	v_cmpx_ne_u32_e32 0x7f, v178
	s_cbranch_execz .LBB294_3023
; %bb.3020:                             ;   in Loop: Header=BB294_1574 Depth=1
	v_and_b32_e32 v10, 7, v0
	v_lshrrev_b32_e32 v11, 3, v178
	s_mov_b32 s17, exec_lo
	v_cmpx_gt_u32_e32 8, v178
; %bb.3021:                             ;   in Loop: Header=BB294_1574 Depth=1
	s_delay_alu instid0(VALU_DEP_3) | instskip(NEXT) | instid1(VALU_DEP_1)
	v_clz_i32_u32_e32 v7, v10
	v_min_u32_e32 v7, 32, v7
	s_delay_alu instid0(VALU_DEP_1) | instskip(NEXT) | instid1(VALU_DEP_1)
	v_subrev_nc_u32_e32 v10, 28, v7
	v_lshlrev_b64_e32 v[10:11], v10, v[0:1]
	v_sub_nc_u32_e32 v11, 29, v7
	s_delay_alu instid0(VALU_DEP_2)
	v_and_b32_e32 v10, 7, v10
; %bb.3022:                             ;   in Loop: Header=BB294_1574 Depth=1
	s_wait_alu 0xfffe
	s_or_b32 exec_lo, exec_lo, s17
	v_lshlrev_b32_e32 v0, 8, v0
	v_lshl_add_u32 v7, v11, 10, 0x2000
	s_delay_alu instid0(VALU_DEP_1) | instskip(SKIP_1) | instid1(VALU_DEP_1)
	v_and_or_b32 v0, 0x8000, v0, v7
	v_lshlrev_b32_e32 v7, 23, v10
	v_lshl_or_b32 v10, v0, 16, v7
.LBB294_3023:                           ;   in Loop: Header=BB294_1574 Depth=1
	s_wait_alu 0xfffe
	s_or_b32 exec_lo, exec_lo, s16
.LBB294_3024:                           ;   in Loop: Header=BB294_1574 Depth=1
	s_wait_alu 0xfffe
	s_or_b32 exec_lo, exec_lo, s15
.LBB294_3025:                           ;   in Loop: Header=BB294_1574 Depth=1
	s_wait_alu 0xfffe
	s_or_b32 exec_lo, exec_lo, s14
	v_or_b32_e32 v0, v165, v166
	s_wait_loadcnt_dscnt 0x0
	v_fma_mixlo_f16 v7, v36, v165, 0 op_sel:[0,1,0] op_sel_hi:[0,1,0]
	v_or_b32_e32 v11, v163, v164
	v_fma_mixlo_f16 v117, v36, v163, 0 op_sel:[0,1,0] op_sel_hi:[0,1,0]
	v_or_b32_e32 v163, v177, v176
	v_fma_mixlo_f16 v165, v36, v0, 0 op_sel_hi:[0,1,0]
	v_or_b32_e32 v166, v10, v167
	v_lshlrev_b32_e32 v0, 16, v7
	v_lshlrev_b32_e32 v164, 16, v117
	v_fma_mixlo_f16 v7, v36, v11, 0 op_sel_hi:[0,1,0]
	v_and_b32_e32 v11, 0xffff, v165
	v_fma_mixlo_f16 v117, v36, v177, 0 op_sel:[0,1,0] op_sel_hi:[0,1,0]
	v_fma_mixlo_f16 v163, v36, v163, 0 op_sel_hi:[0,1,0]
	v_fma_mixlo_f16 v10, v36, v10, 0 op_sel:[0,1,0] op_sel_hi:[0,1,0]
	v_fma_mixlo_f16 v165, v36, v166, 0 op_sel_hi:[0,1,0]
	v_and_b32_e32 v178, 0xffff, v7
	v_lshlrev_b32_e32 v36, 16, v117
	v_and_b32_e32 v166, 0xffff, v163
	v_lshlrev_b32_e32 v10, 16, v10
	v_and_b32_e32 v163, 0xffff, v165
	v_or_b32_e32 v165, v0, v11
	v_or_b32_e32 v177, v164, v178
	v_or_b32_e32 v176, v36, v166
	s_delay_alu instid0(VALU_DEP_4)
	v_or_b32_e32 v167, v10, v163
	s_and_saveexec_b32 s14, vcc_lo
	s_cbranch_execz .LBB294_3027
; %bb.3026:                             ;   in Loop: Header=BB294_1574 Depth=1
	v_cmp_lt_i32_e64 s0, v49, v34
	s_wait_alu 0xf1ff
	s_delay_alu instid0(VALU_DEP_1) | instskip(SKIP_2) | instid1(VALU_DEP_1)
	v_cndmask_b32_e64 v7, 0, v178, s0
	v_cmp_lt_i32_e64 s0, v101, v34
	s_wait_alu 0xf1ff
	v_cndmask_b32_e64 v117, 0, v164, s0
	v_cmp_lt_i32_e64 s0, v100, v34
	s_delay_alu instid0(VALU_DEP_2) | instskip(SKIP_1) | instid1(VALU_DEP_2)
	v_or_b32_e32 v177, v7, v117
	s_wait_alu 0xf1ff
	v_cndmask_b32_e64 v11, 0, v11, s0
	v_cmp_lt_i32_e64 s0, v99, v34
	s_wait_alu 0xf1ff
	s_delay_alu instid0(VALU_DEP_1) | instskip(SKIP_1) | instid1(VALU_DEP_2)
	v_cndmask_b32_e64 v0, 0, v0, s0
	v_cmp_lt_i32_e64 s0, v98, v34
	v_or_b32_e32 v165, v11, v0
	s_wait_alu 0xf1ff
	s_delay_alu instid0(VALU_DEP_2) | instskip(SKIP_2) | instid1(VALU_DEP_1)
	v_cndmask_b32_e64 v164, 0, v166, s0
	v_cmp_lt_i32_e64 s0, v97, v34
	s_wait_alu 0xf1ff
	v_cndmask_b32_e64 v36, 0, v36, s0
	v_cmp_lt_i32_e64 s0, v96, v34
	s_delay_alu instid0(VALU_DEP_2) | instskip(SKIP_1) | instid1(VALU_DEP_2)
	v_or_b32_e32 v176, v164, v36
	s_wait_alu 0xf1ff
	v_cndmask_b32_e64 v163, 0, v163, s0
	v_cmp_lt_i32_e64 s0, v87, v34
	s_wait_alu 0xf1ff
	s_delay_alu instid0(VALU_DEP_1) | instskip(NEXT) | instid1(VALU_DEP_1)
	v_cndmask_b32_e64 v10, 0, v10, s0
	v_or_b32_e32 v167, v163, v10
.LBB294_3027:                           ;   in Loop: Header=BB294_1574 Depth=1
	s_wait_alu 0xfffe
	s_or_b32 exec_lo, exec_lo, s14
	;;#ASMSTART
	v_pk_mul_f16 v0, v86, v177;

	;;#ASMEND
	;;#ASMSTART
	v_pk_mul_f16 v7, v85, v165;

	;;#ASMEND
	;; [unrolled: 4-line block ×4, first 2 shown]
	;;#ASMSTART
	v_pk_add_f16 v0, v0, v7;

	;;#ASMEND
	;;#ASMSTART
	v_pk_add_f16 v0, v0, v10;

	;;#ASMEND
	;; [unrolled: 4-line block ×3, first 2 shown]
	v_dual_mov_b32 v166, 0 :: v_dual_and_b32 v7, 0xffff, v0
	v_lshrrev_b32_e32 v0, 16, v0
	;;#ASMSTART
	v_cvt_f32_f16 v36, v7;
	;;#ASMEND
	;;#ASMSTART
	v_cvt_f32_f16 v163, v0;
	;;#ASMEND
	flat_load_b64 v[10:11], v[8:9] offset:5632
	flat_load_b32 v164, v[26:27]
	s_mov_b32 s14, exec_lo
	s_wait_loadcnt_dscnt 0x101
	v_dual_mov_b32 v165, 0 :: v_dual_and_b32 v0, 0xff, v10
	s_delay_alu instid0(VALU_DEP_1)
	v_cmpx_ne_u16_e32 0, v0
	s_cbranch_execz .LBB294_3035
; %bb.3028:                             ;   in Loop: Header=BB294_1574 Depth=1
	v_mov_b32_e32 v166, 0x8000
	s_mov_b32 s15, exec_lo
	v_cmpx_ne_u16_e32 0x80, v0
	s_cbranch_execz .LBB294_3034
; %bb.3029:                             ;   in Loop: Header=BB294_1574 Depth=1
	v_and_b32_e32 v167, 0x7f, v10
	v_mov_b32_e32 v166, 0x7c01
	s_mov_b32 s16, exec_lo
	s_delay_alu instid0(VALU_DEP_2)
	v_cmpx_ne_u32_e32 0x7f, v167
	s_cbranch_execz .LBB294_3033
; %bb.3030:                             ;   in Loop: Header=BB294_1574 Depth=1
	v_and_b32_e32 v0, 7, v10
	v_lshrrev_b32_e32 v166, 3, v167
	s_mov_b32 s17, exec_lo
	v_cmpx_gt_u32_e32 8, v167
; %bb.3031:                             ;   in Loop: Header=BB294_1574 Depth=1
	s_delay_alu instid0(VALU_DEP_3) | instskip(NEXT) | instid1(VALU_DEP_1)
	v_clz_i32_u32_e32 v0, v0
	v_min_u32_e32 v0, 32, v0
	s_delay_alu instid0(VALU_DEP_1) | instskip(SKIP_1) | instid1(VALU_DEP_2)
	v_subrev_nc_u32_e32 v7, 28, v0
	v_sub_nc_u32_e32 v166, 29, v0
	v_lshlrev_b64_e32 v[176:177], v7, v[10:11]
	s_delay_alu instid0(VALU_DEP_1)
	v_and_b32_e32 v0, 7, v176
; %bb.3032:                             ;   in Loop: Header=BB294_1574 Depth=1
	s_wait_alu 0xfffe
	s_or_b32 exec_lo, exec_lo, s17
	v_lshlrev_b32_e32 v7, 8, v10
	v_lshl_add_u32 v117, v166, 10, 0x2000
	v_lshlrev_b32_e32 v0, 7, v0
	s_delay_alu instid0(VALU_DEP_3) | instskip(NEXT) | instid1(VALU_DEP_3)
	v_and_b32_e32 v7, 0x8000, v7
	v_and_b32_e32 v117, 0xfc00, v117
	s_delay_alu instid0(VALU_DEP_1)
	v_or3_b32 v166, v7, v117, v0
.LBB294_3033:                           ;   in Loop: Header=BB294_1574 Depth=1
	s_wait_alu 0xfffe
	s_or_b32 exec_lo, exec_lo, s16
.LBB294_3034:                           ;   in Loop: Header=BB294_1574 Depth=1
	s_wait_alu 0xfffe
	s_or_b32 exec_lo, exec_lo, s15
.LBB294_3035:                           ;   in Loop: Header=BB294_1574 Depth=1
	s_wait_alu 0xfffe
	s_or_b32 exec_lo, exec_lo, s14
	v_lshrrev_b16 v0, 8, v10
	s_mov_b32 s14, exec_lo
	s_delay_alu instid0(VALU_DEP_1)
	v_cmpx_ne_u16_e32 0, v0
	s_cbranch_execz .LBB294_3043
; %bb.3036:                             ;   in Loop: Header=BB294_1574 Depth=1
	v_bfrev_b32_e32 v165, 1
	s_mov_b32 s15, exec_lo
	v_cmpx_ne_u16_e32 0x80, v0
	s_cbranch_execz .LBB294_3042
; %bb.3037:                             ;   in Loop: Header=BB294_1574 Depth=1
	v_and_b32_e32 v167, 0xffff, v0
	v_mov_b32_e32 v165, 0x7c010000
	s_mov_b32 s16, exec_lo
	s_delay_alu instid0(VALU_DEP_2) | instskip(NEXT) | instid1(VALU_DEP_1)
	v_and_b32_e32 v177, 0x7f, v167
	v_cmpx_ne_u32_e32 0x7f, v177
	s_cbranch_execz .LBB294_3041
; %bb.3038:                             ;   in Loop: Header=BB294_1574 Depth=1
	v_and_b32_e32 v165, 7, v167
	v_lshrrev_b32_e32 v176, 3, v177
	s_mov_b32 s17, exec_lo
	v_cmpx_gt_u32_e32 8, v177
; %bb.3039:                             ;   in Loop: Header=BB294_1574 Depth=1
	s_delay_alu instid0(VALU_DEP_3) | instskip(NEXT) | instid1(VALU_DEP_1)
	v_clz_i32_u32_e32 v7, v165
	v_min_u32_e32 v7, 32, v7
	s_delay_alu instid0(VALU_DEP_1) | instskip(SKIP_1) | instid1(VALU_DEP_2)
	v_subrev_nc_u32_e32 v117, 28, v7
	v_sub_nc_u32_e32 v176, 29, v7
	v_lshlrev_b64_e32 v[177:178], v117, v[0:1]
	s_delay_alu instid0(VALU_DEP_1)
	v_and_b32_e32 v165, 7, v177
; %bb.3040:                             ;   in Loop: Header=BB294_1574 Depth=1
	s_wait_alu 0xfffe
	s_or_b32 exec_lo, exec_lo, s17
	v_lshlrev_b32_e32 v0, 8, v167
	v_lshl_add_u32 v7, v176, 10, 0x2000
	s_delay_alu instid0(VALU_DEP_1) | instskip(SKIP_1) | instid1(VALU_DEP_1)
	v_and_or_b32 v0, 0x8000, v0, v7
	v_lshlrev_b32_e32 v7, 23, v165
	v_lshl_or_b32 v165, v0, 16, v7
.LBB294_3041:                           ;   in Loop: Header=BB294_1574 Depth=1
	s_wait_alu 0xfffe
	s_or_b32 exec_lo, exec_lo, s16
.LBB294_3042:                           ;   in Loop: Header=BB294_1574 Depth=1
	s_wait_alu 0xfffe
	s_or_b32 exec_lo, exec_lo, s15
.LBB294_3043:                           ;   in Loop: Header=BB294_1574 Depth=1
	s_wait_alu 0xfffe
	s_or_b32 exec_lo, exec_lo, s14
	v_lshrrev_b32_e32 v0, 16, v10
	v_mov_b32_e32 v167, 0
	s_mov_b32 s14, exec_lo
	s_delay_alu instid0(VALU_DEP_2) | instskip(NEXT) | instid1(VALU_DEP_1)
	v_dual_mov_b32 v176, 0 :: v_dual_and_b32 v177, 0xff, v0
	v_cmpx_ne_u16_e64 0, v177
	s_cbranch_execz .LBB294_3051
; %bb.3044:                             ;   in Loop: Header=BB294_1574 Depth=1
	v_mov_b32_e32 v176, 0x8000
	s_mov_b32 s15, exec_lo
	v_cmpx_ne_u16_e64 0x80, v177
	s_cbranch_execz .LBB294_3050
; %bb.3045:                             ;   in Loop: Header=BB294_1574 Depth=1
	v_bfe_u32 v178, v10, 16, 7
	v_mov_b32_e32 v176, 0x7c01
	s_mov_b32 s16, exec_lo
	s_delay_alu instid0(VALU_DEP_2)
	v_cmpx_ne_u32_e32 0x7f, v178
	s_cbranch_execz .LBB294_3049
; %bb.3046:                             ;   in Loop: Header=BB294_1574 Depth=1
	v_and_b32_e32 v176, 7, v0
	v_lshrrev_b32_e32 v177, 3, v178
	s_mov_b32 s17, exec_lo
	v_cmpx_gt_u32_e32 8, v178
; %bb.3047:                             ;   in Loop: Header=BB294_1574 Depth=1
	s_delay_alu instid0(VALU_DEP_3) | instskip(NEXT) | instid1(VALU_DEP_1)
	v_clz_i32_u32_e32 v7, v176
	v_min_u32_e32 v7, 32, v7
	s_delay_alu instid0(VALU_DEP_1) | instskip(NEXT) | instid1(VALU_DEP_1)
	v_subrev_nc_u32_e32 v117, 28, v7
	v_lshlrev_b64_e32 v[176:177], v117, v[0:1]
	v_sub_nc_u32_e32 v177, 29, v7
	s_delay_alu instid0(VALU_DEP_2)
	v_and_b32_e32 v176, 7, v176
; %bb.3048:                             ;   in Loop: Header=BB294_1574 Depth=1
	s_wait_alu 0xfffe
	s_or_b32 exec_lo, exec_lo, s17
	v_lshlrev_b32_e32 v0, 8, v0
	v_lshl_add_u32 v7, v177, 10, 0x2000
	v_lshlrev_b32_e32 v117, 7, v176
	s_delay_alu instid0(VALU_DEP_3) | instskip(NEXT) | instid1(VALU_DEP_3)
	v_and_b32_e32 v0, 0x8000, v0
	v_and_b32_e32 v7, 0xfc00, v7
	s_delay_alu instid0(VALU_DEP_1)
	v_or3_b32 v176, v0, v7, v117
.LBB294_3049:                           ;   in Loop: Header=BB294_1574 Depth=1
	s_wait_alu 0xfffe
	s_or_b32 exec_lo, exec_lo, s16
.LBB294_3050:                           ;   in Loop: Header=BB294_1574 Depth=1
	s_wait_alu 0xfffe
	s_or_b32 exec_lo, exec_lo, s15
.LBB294_3051:                           ;   in Loop: Header=BB294_1574 Depth=1
	s_wait_alu 0xfffe
	s_or_b32 exec_lo, exec_lo, s14
	s_delay_alu instid0(SALU_CYCLE_1)
	s_mov_b32 s14, exec_lo
	v_cmpx_lt_u32_e32 0xffffff, v10
	s_cbranch_execz .LBB294_3059
; %bb.3052:                             ;   in Loop: Header=BB294_1574 Depth=1
	v_lshrrev_b32_e32 v0, 24, v10
	v_bfrev_b32_e32 v167, 1
	s_mov_b32 s15, exec_lo
	s_delay_alu instid0(VALU_DEP_2)
	v_cmpx_ne_u32_e32 0x80, v0
	s_cbranch_execz .LBB294_3058
; %bb.3053:                             ;   in Loop: Header=BB294_1574 Depth=1
	v_and_b32_e32 v178, 0x7f, v0
	v_mov_b32_e32 v167, 0x7c010000
	s_mov_b32 s16, exec_lo
	s_delay_alu instid0(VALU_DEP_2)
	v_cmpx_ne_u32_e32 0x7f, v178
	s_cbranch_execz .LBB294_3057
; %bb.3054:                             ;   in Loop: Header=BB294_1574 Depth=1
	v_and_b32_e32 v167, 7, v0
	v_lshrrev_b32_e32 v177, 3, v178
	s_mov_b32 s17, exec_lo
	v_cmpx_gt_u32_e32 8, v178
; %bb.3055:                             ;   in Loop: Header=BB294_1574 Depth=1
	s_delay_alu instid0(VALU_DEP_3) | instskip(NEXT) | instid1(VALU_DEP_1)
	v_clz_i32_u32_e32 v7, v167
	v_min_u32_e32 v7, 32, v7
	s_delay_alu instid0(VALU_DEP_1) | instskip(SKIP_1) | instid1(VALU_DEP_2)
	v_subrev_nc_u32_e32 v117, 28, v7
	v_sub_nc_u32_e32 v177, 29, v7
	v_lshlrev_b64_e32 v[178:179], v117, v[0:1]
	s_delay_alu instid0(VALU_DEP_1)
	v_and_b32_e32 v167, 7, v178
; %bb.3056:                             ;   in Loop: Header=BB294_1574 Depth=1
	s_wait_alu 0xfffe
	s_or_b32 exec_lo, exec_lo, s17
	v_lshlrev_b32_e32 v0, 8, v0
	v_lshl_add_u32 v7, v177, 10, 0x2000
	s_delay_alu instid0(VALU_DEP_1) | instskip(SKIP_1) | instid1(VALU_DEP_1)
	v_and_or_b32 v0, 0x8000, v0, v7
	v_lshlrev_b32_e32 v7, 23, v167
	v_lshl_or_b32 v167, v0, 16, v7
.LBB294_3057:                           ;   in Loop: Header=BB294_1574 Depth=1
	s_wait_alu 0xfffe
	s_or_b32 exec_lo, exec_lo, s16
.LBB294_3058:                           ;   in Loop: Header=BB294_1574 Depth=1
	s_wait_alu 0xfffe
	s_or_b32 exec_lo, exec_lo, s15
.LBB294_3059:                           ;   in Loop: Header=BB294_1574 Depth=1
	s_wait_alu 0xfffe
	s_or_b32 exec_lo, exec_lo, s14
	v_dual_mov_b32 v0, v11 :: v_dual_and_b32 v179, 0xff, v11
	v_dual_mov_b32 v177, 0 :: v_dual_mov_b32 v178, 0
	s_mov_b32 s14, exec_lo
	s_delay_alu instid0(VALU_DEP_2)
	v_cmpx_ne_u16_e64 0, v179
	s_cbranch_execz .LBB294_3067
; %bb.3060:                             ;   in Loop: Header=BB294_1574 Depth=1
	v_mov_b32_e32 v178, 0x8000
	s_mov_b32 s15, exec_lo
	v_cmpx_ne_u16_e64 0x80, v179
	s_cbranch_execz .LBB294_3066
; %bb.3061:                             ;   in Loop: Header=BB294_1574 Depth=1
	v_and_b32_e32 v180, 0x7f, v11
	v_mov_b32_e32 v178, 0x7c01
	s_mov_b32 s16, exec_lo
	s_delay_alu instid0(VALU_DEP_2)
	v_cmpx_ne_u32_e32 0x7f, v180
	s_cbranch_execz .LBB294_3065
; %bb.3062:                             ;   in Loop: Header=BB294_1574 Depth=1
	v_and_b32_e32 v178, 7, v11
	v_lshrrev_b32_e32 v179, 3, v180
	s_mov_b32 s17, exec_lo
	v_cmpx_gt_u32_e32 8, v180
; %bb.3063:                             ;   in Loop: Header=BB294_1574 Depth=1
	s_delay_alu instid0(VALU_DEP_3) | instskip(NEXT) | instid1(VALU_DEP_1)
	v_clz_i32_u32_e32 v7, v178
	v_min_u32_e32 v7, 32, v7
	s_delay_alu instid0(VALU_DEP_1) | instskip(NEXT) | instid1(VALU_DEP_1)
	v_subrev_nc_u32_e32 v117, 28, v7
	v_lshlrev_b64_e32 v[178:179], v117, v[0:1]
	v_sub_nc_u32_e32 v179, 29, v7
	s_delay_alu instid0(VALU_DEP_2)
	v_and_b32_e32 v178, 7, v178
; %bb.3064:                             ;   in Loop: Header=BB294_1574 Depth=1
	s_wait_alu 0xfffe
	s_or_b32 exec_lo, exec_lo, s17
	v_lshlrev_b32_e32 v7, 8, v11
	v_lshl_add_u32 v117, v179, 10, 0x2000
	v_lshlrev_b32_e32 v178, 7, v178
	s_delay_alu instid0(VALU_DEP_3) | instskip(NEXT) | instid1(VALU_DEP_3)
	v_and_b32_e32 v7, 0x8000, v7
	v_and_b32_e32 v117, 0xfc00, v117
	s_delay_alu instid0(VALU_DEP_1)
	v_or3_b32 v178, v7, v117, v178
.LBB294_3065:                           ;   in Loop: Header=BB294_1574 Depth=1
	s_wait_alu 0xfffe
	s_or_b32 exec_lo, exec_lo, s16
.LBB294_3066:                           ;   in Loop: Header=BB294_1574 Depth=1
	s_wait_alu 0xfffe
	s_or_b32 exec_lo, exec_lo, s15
.LBB294_3067:                           ;   in Loop: Header=BB294_1574 Depth=1
	s_wait_alu 0xfffe
	s_or_b32 exec_lo, exec_lo, s14
	v_lshrrev_b16 v0, 8, v0
	v_mov_b32_e32 v179, 0
	s_mov_b32 s14, exec_lo
	s_delay_alu instid0(VALU_DEP_2)
	v_cmpx_ne_u16_e32 0, v0
	s_cbranch_execz .LBB294_3075
; %bb.3068:                             ;   in Loop: Header=BB294_1574 Depth=1
	v_bfrev_b32_e32 v179, 1
	s_mov_b32 s15, exec_lo
	v_cmpx_ne_u16_e32 0x80, v0
	s_cbranch_execz .LBB294_3074
; %bb.3069:                             ;   in Loop: Header=BB294_1574 Depth=1
	v_and_b32_e32 v180, 0xffff, v0
	v_mov_b32_e32 v179, 0x7c010000
	s_mov_b32 s16, exec_lo
	s_delay_alu instid0(VALU_DEP_2) | instskip(NEXT) | instid1(VALU_DEP_1)
	v_and_b32_e32 v182, 0x7f, v180
	v_cmpx_ne_u32_e32 0x7f, v182
	s_cbranch_execz .LBB294_3073
; %bb.3070:                             ;   in Loop: Header=BB294_1574 Depth=1
	v_and_b32_e32 v179, 7, v180
	v_lshrrev_b32_e32 v181, 3, v182
	s_mov_b32 s17, exec_lo
	v_cmpx_gt_u32_e32 8, v182
; %bb.3071:                             ;   in Loop: Header=BB294_1574 Depth=1
	s_delay_alu instid0(VALU_DEP_3) | instskip(NEXT) | instid1(VALU_DEP_1)
	v_clz_i32_u32_e32 v7, v179
	v_min_u32_e32 v7, 32, v7
	s_delay_alu instid0(VALU_DEP_1) | instskip(SKIP_1) | instid1(VALU_DEP_2)
	v_subrev_nc_u32_e32 v117, 28, v7
	v_sub_nc_u32_e32 v181, 29, v7
	v_lshlrev_b64_e32 v[40:41], v117, v[0:1]
	s_delay_alu instid0(VALU_DEP_1)
	v_and_b32_e32 v179, 7, v40
; %bb.3072:                             ;   in Loop: Header=BB294_1574 Depth=1
	s_wait_alu 0xfffe
	s_or_b32 exec_lo, exec_lo, s17
	v_lshlrev_b32_e32 v0, 8, v180
	v_lshl_add_u32 v7, v181, 10, 0x2000
	s_delay_alu instid0(VALU_DEP_1) | instskip(SKIP_1) | instid1(VALU_DEP_1)
	v_and_or_b32 v0, 0x8000, v0, v7
	v_lshlrev_b32_e32 v7, 23, v179
	v_lshl_or_b32 v179, v0, 16, v7
.LBB294_3073:                           ;   in Loop: Header=BB294_1574 Depth=1
	s_wait_alu 0xfffe
	s_or_b32 exec_lo, exec_lo, s16
.LBB294_3074:                           ;   in Loop: Header=BB294_1574 Depth=1
	s_wait_alu 0xfffe
	s_or_b32 exec_lo, exec_lo, s15
.LBB294_3075:                           ;   in Loop: Header=BB294_1574 Depth=1
	s_wait_alu 0xfffe
	s_or_b32 exec_lo, exec_lo, s14
	v_lshrrev_b32_e32 v0, 16, v11
	s_mov_b32 s14, exec_lo
	s_delay_alu instid0(VALU_DEP_1) | instskip(NEXT) | instid1(VALU_DEP_1)
	v_and_b32_e32 v180, 0xff, v0
	v_cmpx_ne_u16_e64 0, v180
	s_cbranch_execz .LBB294_3083
; %bb.3076:                             ;   in Loop: Header=BB294_1574 Depth=1
	v_mov_b32_e32 v177, 0x8000
	s_mov_b32 s15, exec_lo
	v_cmpx_ne_u16_e64 0x80, v180
	s_cbranch_execz .LBB294_3082
; %bb.3077:                             ;   in Loop: Header=BB294_1574 Depth=1
	v_bfe_u32 v181, v11, 16, 7
	v_mov_b32_e32 v177, 0x7c01
	s_mov_b32 s16, exec_lo
	s_delay_alu instid0(VALU_DEP_2)
	v_cmpx_ne_u32_e32 0x7f, v181
	s_cbranch_execz .LBB294_3081
; %bb.3078:                             ;   in Loop: Header=BB294_1574 Depth=1
	v_and_b32_e32 v177, 7, v0
	v_lshrrev_b32_e32 v180, 3, v181
	s_mov_b32 s17, exec_lo
	v_cmpx_gt_u32_e32 8, v181
; %bb.3079:                             ;   in Loop: Header=BB294_1574 Depth=1
	s_delay_alu instid0(VALU_DEP_3) | instskip(NEXT) | instid1(VALU_DEP_1)
	v_clz_i32_u32_e32 v7, v177
	v_min_u32_e32 v7, 32, v7
	s_delay_alu instid0(VALU_DEP_1) | instskip(SKIP_1) | instid1(VALU_DEP_2)
	v_subrev_nc_u32_e32 v117, 28, v7
	v_sub_nc_u32_e32 v180, 29, v7
	v_lshlrev_b64_e32 v[181:182], v117, v[0:1]
	s_delay_alu instid0(VALU_DEP_1)
	v_and_b32_e32 v177, 7, v181
; %bb.3080:                             ;   in Loop: Header=BB294_1574 Depth=1
	s_wait_alu 0xfffe
	s_or_b32 exec_lo, exec_lo, s17
	v_lshlrev_b32_e32 v0, 8, v0
	v_lshl_add_u32 v7, v180, 10, 0x2000
	v_lshlrev_b32_e32 v117, 7, v177
	s_delay_alu instid0(VALU_DEP_3) | instskip(NEXT) | instid1(VALU_DEP_3)
	v_and_b32_e32 v0, 0x8000, v0
	v_and_b32_e32 v7, 0xfc00, v7
	s_delay_alu instid0(VALU_DEP_1)
	v_or3_b32 v177, v0, v7, v117
.LBB294_3081:                           ;   in Loop: Header=BB294_1574 Depth=1
	s_wait_alu 0xfffe
	s_or_b32 exec_lo, exec_lo, s16
.LBB294_3082:                           ;   in Loop: Header=BB294_1574 Depth=1
	s_wait_alu 0xfffe
	s_or_b32 exec_lo, exec_lo, s15
.LBB294_3083:                           ;   in Loop: Header=BB294_1574 Depth=1
	s_wait_alu 0xfffe
	s_or_b32 exec_lo, exec_lo, s14
	v_cmp_lt_u64_e64 s0, s[8:9], v[10:11]
	v_mov_b32_e32 v10, 0
	s_and_saveexec_b32 s14, s0
	s_cbranch_execz .LBB294_3091
; %bb.3084:                             ;   in Loop: Header=BB294_1574 Depth=1
	v_lshrrev_b32_e32 v0, 24, v11
	v_bfrev_b32_e32 v10, 1
	s_mov_b32 s15, exec_lo
	s_delay_alu instid0(VALU_DEP_2)
	v_cmpx_ne_u32_e32 0x80, v0
	s_cbranch_execz .LBB294_3090
; %bb.3085:                             ;   in Loop: Header=BB294_1574 Depth=1
	v_and_b32_e32 v180, 0x7f, v0
	v_mov_b32_e32 v10, 0x7c010000
	s_mov_b32 s16, exec_lo
	s_delay_alu instid0(VALU_DEP_2)
	v_cmpx_ne_u32_e32 0x7f, v180
	s_cbranch_execz .LBB294_3089
; %bb.3086:                             ;   in Loop: Header=BB294_1574 Depth=1
	v_and_b32_e32 v10, 7, v0
	v_lshrrev_b32_e32 v11, 3, v180
	s_mov_b32 s17, exec_lo
	v_cmpx_gt_u32_e32 8, v180
; %bb.3087:                             ;   in Loop: Header=BB294_1574 Depth=1
	s_delay_alu instid0(VALU_DEP_3) | instskip(NEXT) | instid1(VALU_DEP_1)
	v_clz_i32_u32_e32 v7, v10
	v_min_u32_e32 v7, 32, v7
	s_delay_alu instid0(VALU_DEP_1) | instskip(NEXT) | instid1(VALU_DEP_1)
	v_subrev_nc_u32_e32 v10, 28, v7
	v_lshlrev_b64_e32 v[10:11], v10, v[0:1]
	v_sub_nc_u32_e32 v11, 29, v7
	s_delay_alu instid0(VALU_DEP_2)
	v_and_b32_e32 v10, 7, v10
; %bb.3088:                             ;   in Loop: Header=BB294_1574 Depth=1
	s_wait_alu 0xfffe
	s_or_b32 exec_lo, exec_lo, s17
	v_lshlrev_b32_e32 v0, 8, v0
	v_lshl_add_u32 v7, v11, 10, 0x2000
	s_delay_alu instid0(VALU_DEP_1) | instskip(SKIP_1) | instid1(VALU_DEP_1)
	v_and_or_b32 v0, 0x8000, v0, v7
	v_lshlrev_b32_e32 v7, 23, v10
	v_lshl_or_b32 v10, v0, 16, v7
.LBB294_3089:                           ;   in Loop: Header=BB294_1574 Depth=1
	s_wait_alu 0xfffe
	s_or_b32 exec_lo, exec_lo, s16
.LBB294_3090:                           ;   in Loop: Header=BB294_1574 Depth=1
	s_wait_alu 0xfffe
	s_or_b32 exec_lo, exec_lo, s15
.LBB294_3091:                           ;   in Loop: Header=BB294_1574 Depth=1
	s_wait_alu 0xfffe
	s_or_b32 exec_lo, exec_lo, s14
	v_or_b32_e32 v0, v167, v176
	s_wait_loadcnt_dscnt 0x0
	v_fma_mixlo_f16 v7, v164, v167, 0 op_sel:[0,1,0] op_sel_hi:[0,1,0]
	v_or_b32_e32 v11, v165, v166
	v_fma_mixlo_f16 v117, v164, v165, 0 op_sel:[0,1,0] op_sel_hi:[0,1,0]
	v_or_b32_e32 v165, v179, v178
	v_fma_mixlo_f16 v167, v164, v0, 0 op_sel_hi:[0,1,0]
	v_or_b32_e32 v176, v10, v177
	v_lshlrev_b32_e32 v0, 16, v7
	v_lshlrev_b32_e32 v166, 16, v117
	v_fma_mixlo_f16 v7, v164, v11, 0 op_sel_hi:[0,1,0]
	v_and_b32_e32 v11, 0xffff, v167
	v_fma_mixlo_f16 v117, v164, v179, 0 op_sel:[0,1,0] op_sel_hi:[0,1,0]
	v_fma_mixlo_f16 v165, v164, v165, 0 op_sel_hi:[0,1,0]
	v_fma_mixlo_f16 v10, v164, v10, 0 op_sel:[0,1,0] op_sel_hi:[0,1,0]
	v_fma_mixlo_f16 v167, v164, v176, 0 op_sel_hi:[0,1,0]
	v_and_b32_e32 v180, 0xffff, v7
	v_lshlrev_b32_e32 v164, 16, v117
	v_and_b32_e32 v176, 0xffff, v165
	v_lshlrev_b32_e32 v10, 16, v10
	v_and_b32_e32 v165, 0xffff, v167
	v_or_b32_e32 v167, v0, v11
	v_or_b32_e32 v179, v166, v180
	;; [unrolled: 1-line block ×3, first 2 shown]
	s_delay_alu instid0(VALU_DEP_4)
	v_or_b32_e32 v177, v10, v165
	s_and_saveexec_b32 s14, vcc_lo
	s_cbranch_execz .LBB294_3093
; %bb.3092:                             ;   in Loop: Header=BB294_1574 Depth=1
	v_cmp_lt_i32_e64 s0, v49, v34
	s_wait_alu 0xf1ff
	s_delay_alu instid0(VALU_DEP_1) | instskip(SKIP_2) | instid1(VALU_DEP_1)
	v_cndmask_b32_e64 v7, 0, v180, s0
	v_cmp_lt_i32_e64 s0, v101, v34
	s_wait_alu 0xf1ff
	v_cndmask_b32_e64 v117, 0, v166, s0
	v_cmp_lt_i32_e64 s0, v100, v34
	s_delay_alu instid0(VALU_DEP_2) | instskip(SKIP_1) | instid1(VALU_DEP_2)
	v_or_b32_e32 v179, v7, v117
	s_wait_alu 0xf1ff
	v_cndmask_b32_e64 v11, 0, v11, s0
	v_cmp_lt_i32_e64 s0, v99, v34
	s_wait_alu 0xf1ff
	s_delay_alu instid0(VALU_DEP_1) | instskip(SKIP_1) | instid1(VALU_DEP_2)
	v_cndmask_b32_e64 v0, 0, v0, s0
	v_cmp_lt_i32_e64 s0, v98, v34
	v_or_b32_e32 v167, v11, v0
	s_wait_alu 0xf1ff
	s_delay_alu instid0(VALU_DEP_2) | instskip(SKIP_2) | instid1(VALU_DEP_1)
	v_cndmask_b32_e64 v166, 0, v176, s0
	v_cmp_lt_i32_e64 s0, v97, v34
	s_wait_alu 0xf1ff
	v_cndmask_b32_e64 v164, 0, v164, s0
	v_cmp_lt_i32_e64 s0, v96, v34
	s_delay_alu instid0(VALU_DEP_2) | instskip(SKIP_1) | instid1(VALU_DEP_2)
	v_or_b32_e32 v178, v166, v164
	s_wait_alu 0xf1ff
	v_cndmask_b32_e64 v165, 0, v165, s0
	v_cmp_lt_i32_e64 s0, v87, v34
	s_wait_alu 0xf1ff
	s_delay_alu instid0(VALU_DEP_1) | instskip(NEXT) | instid1(VALU_DEP_1)
	v_cndmask_b32_e64 v10, 0, v10, s0
	v_or_b32_e32 v177, v165, v10
.LBB294_3093:                           ;   in Loop: Header=BB294_1574 Depth=1
	s_wait_alu 0xfffe
	s_or_b32 exec_lo, exec_lo, s14
	;;#ASMSTART
	v_pk_mul_f16 v0, v86, v179;

	;;#ASMEND
	;;#ASMSTART
	v_pk_mul_f16 v7, v85, v167;

	;;#ASMEND
	;; [unrolled: 4-line block ×4, first 2 shown]
	;;#ASMSTART
	v_pk_add_f16 v0, v0, v7;

	;;#ASMEND
	;;#ASMSTART
	v_pk_add_f16 v0, v0, v10;

	;;#ASMEND
	;; [unrolled: 4-line block ×3, first 2 shown]
	v_dual_mov_b32 v166, 0 :: v_dual_and_b32 v7, 0xffff, v0
	v_lshrrev_b32_e32 v0, 16, v0
	;;#ASMSTART
	v_cvt_f32_f16 v10, v7;
	;;#ASMEND
	;;#ASMSTART
	v_cvt_f32_f16 v11, v0;
	;;#ASMEND
	flat_load_b64 v[8:9], v[8:9] offset:5888
	flat_load_b32 v164, v[26:27]
	s_mov_b32 s14, exec_lo
	s_wait_loadcnt_dscnt 0x101
	v_dual_mov_b32 v165, 0 :: v_dual_and_b32 v0, 0xff, v8
	s_delay_alu instid0(VALU_DEP_1)
	v_cmpx_ne_u16_e32 0, v0
	s_cbranch_execz .LBB294_3101
; %bb.3094:                             ;   in Loop: Header=BB294_1574 Depth=1
	v_mov_b32_e32 v166, 0x8000
	s_mov_b32 s15, exec_lo
	v_cmpx_ne_u16_e32 0x80, v0
	s_cbranch_execz .LBB294_3100
; %bb.3095:                             ;   in Loop: Header=BB294_1574 Depth=1
	v_and_b32_e32 v167, 0x7f, v8
	v_mov_b32_e32 v166, 0x7c01
	s_mov_b32 s16, exec_lo
	s_delay_alu instid0(VALU_DEP_2)
	v_cmpx_ne_u32_e32 0x7f, v167
	s_cbranch_execz .LBB294_3099
; %bb.3096:                             ;   in Loop: Header=BB294_1574 Depth=1
	v_and_b32_e32 v0, 7, v8
	v_lshrrev_b32_e32 v166, 3, v167
	s_mov_b32 s17, exec_lo
	v_cmpx_gt_u32_e32 8, v167
; %bb.3097:                             ;   in Loop: Header=BB294_1574 Depth=1
	s_delay_alu instid0(VALU_DEP_3) | instskip(NEXT) | instid1(VALU_DEP_1)
	v_clz_i32_u32_e32 v0, v0
	v_min_u32_e32 v0, 32, v0
	s_delay_alu instid0(VALU_DEP_1) | instskip(SKIP_1) | instid1(VALU_DEP_2)
	v_subrev_nc_u32_e32 v7, 28, v0
	v_sub_nc_u32_e32 v166, 29, v0
	v_lshlrev_b64_e32 v[176:177], v7, v[8:9]
	s_delay_alu instid0(VALU_DEP_1)
	v_and_b32_e32 v0, 7, v176
; %bb.3098:                             ;   in Loop: Header=BB294_1574 Depth=1
	s_wait_alu 0xfffe
	s_or_b32 exec_lo, exec_lo, s17
	v_lshlrev_b32_e32 v7, 8, v8
	v_lshl_add_u32 v117, v166, 10, 0x2000
	v_lshlrev_b32_e32 v0, 7, v0
	s_delay_alu instid0(VALU_DEP_3) | instskip(NEXT) | instid1(VALU_DEP_3)
	v_and_b32_e32 v7, 0x8000, v7
	v_and_b32_e32 v117, 0xfc00, v117
	s_delay_alu instid0(VALU_DEP_1)
	v_or3_b32 v166, v7, v117, v0
.LBB294_3099:                           ;   in Loop: Header=BB294_1574 Depth=1
	s_wait_alu 0xfffe
	s_or_b32 exec_lo, exec_lo, s16
.LBB294_3100:                           ;   in Loop: Header=BB294_1574 Depth=1
	s_wait_alu 0xfffe
	s_or_b32 exec_lo, exec_lo, s15
.LBB294_3101:                           ;   in Loop: Header=BB294_1574 Depth=1
	s_wait_alu 0xfffe
	s_or_b32 exec_lo, exec_lo, s14
	v_lshrrev_b16 v0, 8, v8
	s_mov_b32 s14, exec_lo
	s_delay_alu instid0(VALU_DEP_1)
	v_cmpx_ne_u16_e32 0, v0
	s_cbranch_execz .LBB294_3109
; %bb.3102:                             ;   in Loop: Header=BB294_1574 Depth=1
	v_bfrev_b32_e32 v165, 1
	s_mov_b32 s15, exec_lo
	v_cmpx_ne_u16_e32 0x80, v0
	s_cbranch_execz .LBB294_3108
; %bb.3103:                             ;   in Loop: Header=BB294_1574 Depth=1
	v_and_b32_e32 v167, 0xffff, v0
	v_mov_b32_e32 v165, 0x7c010000
	s_mov_b32 s16, exec_lo
	s_delay_alu instid0(VALU_DEP_2) | instskip(NEXT) | instid1(VALU_DEP_1)
	v_and_b32_e32 v177, 0x7f, v167
	v_cmpx_ne_u32_e32 0x7f, v177
	s_cbranch_execz .LBB294_3107
; %bb.3104:                             ;   in Loop: Header=BB294_1574 Depth=1
	v_and_b32_e32 v165, 7, v167
	v_lshrrev_b32_e32 v176, 3, v177
	s_mov_b32 s17, exec_lo
	v_cmpx_gt_u32_e32 8, v177
; %bb.3105:                             ;   in Loop: Header=BB294_1574 Depth=1
	s_delay_alu instid0(VALU_DEP_3) | instskip(NEXT) | instid1(VALU_DEP_1)
	v_clz_i32_u32_e32 v7, v165
	v_min_u32_e32 v7, 32, v7
	s_delay_alu instid0(VALU_DEP_1) | instskip(SKIP_1) | instid1(VALU_DEP_2)
	v_subrev_nc_u32_e32 v117, 28, v7
	v_sub_nc_u32_e32 v176, 29, v7
	v_lshlrev_b64_e32 v[177:178], v117, v[0:1]
	s_delay_alu instid0(VALU_DEP_1)
	v_and_b32_e32 v165, 7, v177
; %bb.3106:                             ;   in Loop: Header=BB294_1574 Depth=1
	s_wait_alu 0xfffe
	s_or_b32 exec_lo, exec_lo, s17
	v_lshlrev_b32_e32 v0, 8, v167
	v_lshl_add_u32 v7, v176, 10, 0x2000
	s_delay_alu instid0(VALU_DEP_1) | instskip(SKIP_1) | instid1(VALU_DEP_1)
	v_and_or_b32 v0, 0x8000, v0, v7
	v_lshlrev_b32_e32 v7, 23, v165
	v_lshl_or_b32 v165, v0, 16, v7
.LBB294_3107:                           ;   in Loop: Header=BB294_1574 Depth=1
	s_wait_alu 0xfffe
	s_or_b32 exec_lo, exec_lo, s16
.LBB294_3108:                           ;   in Loop: Header=BB294_1574 Depth=1
	s_wait_alu 0xfffe
	s_or_b32 exec_lo, exec_lo, s15
.LBB294_3109:                           ;   in Loop: Header=BB294_1574 Depth=1
	s_wait_alu 0xfffe
	s_or_b32 exec_lo, exec_lo, s14
	v_lshrrev_b32_e32 v0, 16, v8
	v_mov_b32_e32 v167, 0
	s_mov_b32 s14, exec_lo
	s_delay_alu instid0(VALU_DEP_2) | instskip(NEXT) | instid1(VALU_DEP_1)
	v_dual_mov_b32 v176, 0 :: v_dual_and_b32 v177, 0xff, v0
	v_cmpx_ne_u16_e64 0, v177
	s_cbranch_execz .LBB294_3117
; %bb.3110:                             ;   in Loop: Header=BB294_1574 Depth=1
	v_mov_b32_e32 v176, 0x8000
	s_mov_b32 s15, exec_lo
	v_cmpx_ne_u16_e64 0x80, v177
	s_cbranch_execz .LBB294_3116
; %bb.3111:                             ;   in Loop: Header=BB294_1574 Depth=1
	v_bfe_u32 v178, v8, 16, 7
	v_mov_b32_e32 v176, 0x7c01
	s_mov_b32 s16, exec_lo
	s_delay_alu instid0(VALU_DEP_2)
	v_cmpx_ne_u32_e32 0x7f, v178
	s_cbranch_execz .LBB294_3115
; %bb.3112:                             ;   in Loop: Header=BB294_1574 Depth=1
	v_and_b32_e32 v176, 7, v0
	v_lshrrev_b32_e32 v177, 3, v178
	s_mov_b32 s17, exec_lo
	v_cmpx_gt_u32_e32 8, v178
; %bb.3113:                             ;   in Loop: Header=BB294_1574 Depth=1
	s_delay_alu instid0(VALU_DEP_3) | instskip(NEXT) | instid1(VALU_DEP_1)
	v_clz_i32_u32_e32 v7, v176
	v_min_u32_e32 v7, 32, v7
	s_delay_alu instid0(VALU_DEP_1) | instskip(NEXT) | instid1(VALU_DEP_1)
	v_subrev_nc_u32_e32 v117, 28, v7
	v_lshlrev_b64_e32 v[176:177], v117, v[0:1]
	v_sub_nc_u32_e32 v177, 29, v7
	s_delay_alu instid0(VALU_DEP_2)
	v_and_b32_e32 v176, 7, v176
; %bb.3114:                             ;   in Loop: Header=BB294_1574 Depth=1
	s_wait_alu 0xfffe
	s_or_b32 exec_lo, exec_lo, s17
	v_lshlrev_b32_e32 v0, 8, v0
	v_lshl_add_u32 v7, v177, 10, 0x2000
	v_lshlrev_b32_e32 v117, 7, v176
	s_delay_alu instid0(VALU_DEP_3) | instskip(NEXT) | instid1(VALU_DEP_3)
	v_and_b32_e32 v0, 0x8000, v0
	v_and_b32_e32 v7, 0xfc00, v7
	s_delay_alu instid0(VALU_DEP_1)
	v_or3_b32 v176, v0, v7, v117
.LBB294_3115:                           ;   in Loop: Header=BB294_1574 Depth=1
	s_wait_alu 0xfffe
	s_or_b32 exec_lo, exec_lo, s16
.LBB294_3116:                           ;   in Loop: Header=BB294_1574 Depth=1
	s_wait_alu 0xfffe
	s_or_b32 exec_lo, exec_lo, s15
.LBB294_3117:                           ;   in Loop: Header=BB294_1574 Depth=1
	s_wait_alu 0xfffe
	s_or_b32 exec_lo, exec_lo, s14
	s_delay_alu instid0(SALU_CYCLE_1)
	s_mov_b32 s14, exec_lo
	v_cmpx_lt_u32_e32 0xffffff, v8
	s_cbranch_execz .LBB294_3125
; %bb.3118:                             ;   in Loop: Header=BB294_1574 Depth=1
	v_lshrrev_b32_e32 v0, 24, v8
	v_bfrev_b32_e32 v167, 1
	s_mov_b32 s15, exec_lo
	s_delay_alu instid0(VALU_DEP_2)
	v_cmpx_ne_u32_e32 0x80, v0
	s_cbranch_execz .LBB294_3124
; %bb.3119:                             ;   in Loop: Header=BB294_1574 Depth=1
	v_and_b32_e32 v178, 0x7f, v0
	v_mov_b32_e32 v167, 0x7c010000
	s_mov_b32 s16, exec_lo
	s_delay_alu instid0(VALU_DEP_2)
	v_cmpx_ne_u32_e32 0x7f, v178
	s_cbranch_execz .LBB294_3123
; %bb.3120:                             ;   in Loop: Header=BB294_1574 Depth=1
	v_and_b32_e32 v167, 7, v0
	v_lshrrev_b32_e32 v177, 3, v178
	s_mov_b32 s17, exec_lo
	v_cmpx_gt_u32_e32 8, v178
; %bb.3121:                             ;   in Loop: Header=BB294_1574 Depth=1
	s_delay_alu instid0(VALU_DEP_3) | instskip(NEXT) | instid1(VALU_DEP_1)
	v_clz_i32_u32_e32 v7, v167
	v_min_u32_e32 v7, 32, v7
	s_delay_alu instid0(VALU_DEP_1) | instskip(SKIP_1) | instid1(VALU_DEP_2)
	v_subrev_nc_u32_e32 v117, 28, v7
	v_sub_nc_u32_e32 v177, 29, v7
	v_lshlrev_b64_e32 v[178:179], v117, v[0:1]
	s_delay_alu instid0(VALU_DEP_1)
	v_and_b32_e32 v167, 7, v178
; %bb.3122:                             ;   in Loop: Header=BB294_1574 Depth=1
	s_wait_alu 0xfffe
	s_or_b32 exec_lo, exec_lo, s17
	v_lshlrev_b32_e32 v0, 8, v0
	v_lshl_add_u32 v7, v177, 10, 0x2000
	s_delay_alu instid0(VALU_DEP_1) | instskip(SKIP_1) | instid1(VALU_DEP_1)
	v_and_or_b32 v0, 0x8000, v0, v7
	v_lshlrev_b32_e32 v7, 23, v167
	v_lshl_or_b32 v167, v0, 16, v7
.LBB294_3123:                           ;   in Loop: Header=BB294_1574 Depth=1
	s_wait_alu 0xfffe
	s_or_b32 exec_lo, exec_lo, s16
.LBB294_3124:                           ;   in Loop: Header=BB294_1574 Depth=1
	s_wait_alu 0xfffe
	s_or_b32 exec_lo, exec_lo, s15
.LBB294_3125:                           ;   in Loop: Header=BB294_1574 Depth=1
	s_wait_alu 0xfffe
	s_or_b32 exec_lo, exec_lo, s14
	v_dual_mov_b32 v0, v9 :: v_dual_and_b32 v179, 0xff, v9
	v_dual_mov_b32 v177, 0 :: v_dual_mov_b32 v178, 0
	s_mov_b32 s14, exec_lo
	s_delay_alu instid0(VALU_DEP_2)
	v_cmpx_ne_u16_e64 0, v179
	s_cbranch_execz .LBB294_3133
; %bb.3126:                             ;   in Loop: Header=BB294_1574 Depth=1
	v_mov_b32_e32 v178, 0x8000
	s_mov_b32 s15, exec_lo
	v_cmpx_ne_u16_e64 0x80, v179
	s_cbranch_execz .LBB294_3132
; %bb.3127:                             ;   in Loop: Header=BB294_1574 Depth=1
	v_and_b32_e32 v180, 0x7f, v9
	v_mov_b32_e32 v178, 0x7c01
	s_mov_b32 s16, exec_lo
	s_delay_alu instid0(VALU_DEP_2)
	v_cmpx_ne_u32_e32 0x7f, v180
	s_cbranch_execz .LBB294_3131
; %bb.3128:                             ;   in Loop: Header=BB294_1574 Depth=1
	v_and_b32_e32 v178, 7, v9
	v_lshrrev_b32_e32 v179, 3, v180
	s_mov_b32 s17, exec_lo
	v_cmpx_gt_u32_e32 8, v180
; %bb.3129:                             ;   in Loop: Header=BB294_1574 Depth=1
	s_delay_alu instid0(VALU_DEP_3) | instskip(NEXT) | instid1(VALU_DEP_1)
	v_clz_i32_u32_e32 v7, v178
	v_min_u32_e32 v7, 32, v7
	s_delay_alu instid0(VALU_DEP_1) | instskip(NEXT) | instid1(VALU_DEP_1)
	v_subrev_nc_u32_e32 v117, 28, v7
	v_lshlrev_b64_e32 v[178:179], v117, v[0:1]
	v_sub_nc_u32_e32 v179, 29, v7
	s_delay_alu instid0(VALU_DEP_2)
	v_and_b32_e32 v178, 7, v178
; %bb.3130:                             ;   in Loop: Header=BB294_1574 Depth=1
	s_wait_alu 0xfffe
	s_or_b32 exec_lo, exec_lo, s17
	v_lshlrev_b32_e32 v7, 8, v9
	v_lshl_add_u32 v117, v179, 10, 0x2000
	v_lshlrev_b32_e32 v178, 7, v178
	s_delay_alu instid0(VALU_DEP_3) | instskip(NEXT) | instid1(VALU_DEP_3)
	v_and_b32_e32 v7, 0x8000, v7
	v_and_b32_e32 v117, 0xfc00, v117
	s_delay_alu instid0(VALU_DEP_1)
	v_or3_b32 v178, v7, v117, v178
.LBB294_3131:                           ;   in Loop: Header=BB294_1574 Depth=1
	s_wait_alu 0xfffe
	s_or_b32 exec_lo, exec_lo, s16
.LBB294_3132:                           ;   in Loop: Header=BB294_1574 Depth=1
	s_wait_alu 0xfffe
	s_or_b32 exec_lo, exec_lo, s15
.LBB294_3133:                           ;   in Loop: Header=BB294_1574 Depth=1
	s_wait_alu 0xfffe
	s_or_b32 exec_lo, exec_lo, s14
	v_lshrrev_b16 v0, 8, v0
	v_mov_b32_e32 v179, 0
	s_mov_b32 s14, exec_lo
	s_delay_alu instid0(VALU_DEP_2)
	v_cmpx_ne_u16_e32 0, v0
	s_cbranch_execz .LBB294_3141
; %bb.3134:                             ;   in Loop: Header=BB294_1574 Depth=1
	v_bfrev_b32_e32 v179, 1
	s_mov_b32 s15, exec_lo
	v_cmpx_ne_u16_e32 0x80, v0
	s_cbranch_execz .LBB294_3140
; %bb.3135:                             ;   in Loop: Header=BB294_1574 Depth=1
	v_and_b32_e32 v180, 0xffff, v0
	v_mov_b32_e32 v179, 0x7c010000
	s_mov_b32 s16, exec_lo
	s_delay_alu instid0(VALU_DEP_2) | instskip(NEXT) | instid1(VALU_DEP_1)
	v_and_b32_e32 v182, 0x7f, v180
	v_cmpx_ne_u32_e32 0x7f, v182
	s_cbranch_execz .LBB294_3139
; %bb.3136:                             ;   in Loop: Header=BB294_1574 Depth=1
	v_and_b32_e32 v179, 7, v180
	v_lshrrev_b32_e32 v181, 3, v182
	s_mov_b32 s17, exec_lo
	v_cmpx_gt_u32_e32 8, v182
; %bb.3137:                             ;   in Loop: Header=BB294_1574 Depth=1
	s_delay_alu instid0(VALU_DEP_3) | instskip(NEXT) | instid1(VALU_DEP_1)
	v_clz_i32_u32_e32 v7, v179
	v_min_u32_e32 v7, 32, v7
	s_delay_alu instid0(VALU_DEP_1) | instskip(SKIP_1) | instid1(VALU_DEP_2)
	v_subrev_nc_u32_e32 v117, 28, v7
	v_sub_nc_u32_e32 v181, 29, v7
	v_lshlrev_b64_e32 v[40:41], v117, v[0:1]
	s_delay_alu instid0(VALU_DEP_1)
	v_and_b32_e32 v179, 7, v40
; %bb.3138:                             ;   in Loop: Header=BB294_1574 Depth=1
	s_wait_alu 0xfffe
	s_or_b32 exec_lo, exec_lo, s17
	v_lshlrev_b32_e32 v0, 8, v180
	v_lshl_add_u32 v7, v181, 10, 0x2000
	s_delay_alu instid0(VALU_DEP_1) | instskip(SKIP_1) | instid1(VALU_DEP_1)
	v_and_or_b32 v0, 0x8000, v0, v7
	v_lshlrev_b32_e32 v7, 23, v179
	v_lshl_or_b32 v179, v0, 16, v7
.LBB294_3139:                           ;   in Loop: Header=BB294_1574 Depth=1
	s_wait_alu 0xfffe
	s_or_b32 exec_lo, exec_lo, s16
.LBB294_3140:                           ;   in Loop: Header=BB294_1574 Depth=1
	s_wait_alu 0xfffe
	s_or_b32 exec_lo, exec_lo, s15
.LBB294_3141:                           ;   in Loop: Header=BB294_1574 Depth=1
	s_wait_alu 0xfffe
	s_or_b32 exec_lo, exec_lo, s14
	v_lshrrev_b32_e32 v0, 16, v9
	s_mov_b32 s14, exec_lo
	s_delay_alu instid0(VALU_DEP_1) | instskip(NEXT) | instid1(VALU_DEP_1)
	v_and_b32_e32 v180, 0xff, v0
	v_cmpx_ne_u16_e64 0, v180
	s_cbranch_execz .LBB294_3149
; %bb.3142:                             ;   in Loop: Header=BB294_1574 Depth=1
	v_mov_b32_e32 v177, 0x8000
	s_mov_b32 s15, exec_lo
	v_cmpx_ne_u16_e64 0x80, v180
	s_cbranch_execz .LBB294_3148
; %bb.3143:                             ;   in Loop: Header=BB294_1574 Depth=1
	v_bfe_u32 v181, v9, 16, 7
	v_mov_b32_e32 v177, 0x7c01
	s_mov_b32 s16, exec_lo
	s_delay_alu instid0(VALU_DEP_2)
	v_cmpx_ne_u32_e32 0x7f, v181
	s_cbranch_execz .LBB294_3147
; %bb.3144:                             ;   in Loop: Header=BB294_1574 Depth=1
	v_and_b32_e32 v177, 7, v0
	v_lshrrev_b32_e32 v180, 3, v181
	s_mov_b32 s17, exec_lo
	v_cmpx_gt_u32_e32 8, v181
; %bb.3145:                             ;   in Loop: Header=BB294_1574 Depth=1
	s_delay_alu instid0(VALU_DEP_3) | instskip(NEXT) | instid1(VALU_DEP_1)
	v_clz_i32_u32_e32 v7, v177
	v_min_u32_e32 v7, 32, v7
	s_delay_alu instid0(VALU_DEP_1) | instskip(SKIP_1) | instid1(VALU_DEP_2)
	v_subrev_nc_u32_e32 v117, 28, v7
	v_sub_nc_u32_e32 v180, 29, v7
	v_lshlrev_b64_e32 v[181:182], v117, v[0:1]
	s_delay_alu instid0(VALU_DEP_1)
	v_and_b32_e32 v177, 7, v181
; %bb.3146:                             ;   in Loop: Header=BB294_1574 Depth=1
	s_wait_alu 0xfffe
	s_or_b32 exec_lo, exec_lo, s17
	v_lshlrev_b32_e32 v0, 8, v0
	v_lshl_add_u32 v7, v180, 10, 0x2000
	v_lshlrev_b32_e32 v117, 7, v177
	s_delay_alu instid0(VALU_DEP_3) | instskip(NEXT) | instid1(VALU_DEP_3)
	v_and_b32_e32 v0, 0x8000, v0
	v_and_b32_e32 v7, 0xfc00, v7
	s_delay_alu instid0(VALU_DEP_1)
	v_or3_b32 v177, v0, v7, v117
.LBB294_3147:                           ;   in Loop: Header=BB294_1574 Depth=1
	s_wait_alu 0xfffe
	s_or_b32 exec_lo, exec_lo, s16
.LBB294_3148:                           ;   in Loop: Header=BB294_1574 Depth=1
	s_wait_alu 0xfffe
	s_or_b32 exec_lo, exec_lo, s15
.LBB294_3149:                           ;   in Loop: Header=BB294_1574 Depth=1
	s_wait_alu 0xfffe
	s_or_b32 exec_lo, exec_lo, s14
	v_cmp_lt_u64_e64 s0, s[8:9], v[8:9]
	v_mov_b32_e32 v8, 0
	s_and_saveexec_b32 s14, s0
	s_cbranch_execz .LBB294_3157
; %bb.3150:                             ;   in Loop: Header=BB294_1574 Depth=1
	v_lshrrev_b32_e32 v0, 24, v9
	v_bfrev_b32_e32 v8, 1
	s_mov_b32 s15, exec_lo
	s_delay_alu instid0(VALU_DEP_2)
	v_cmpx_ne_u32_e32 0x80, v0
	s_cbranch_execz .LBB294_3156
; %bb.3151:                             ;   in Loop: Header=BB294_1574 Depth=1
	v_and_b32_e32 v180, 0x7f, v0
	v_mov_b32_e32 v8, 0x7c010000
	s_mov_b32 s16, exec_lo
	s_delay_alu instid0(VALU_DEP_2)
	v_cmpx_ne_u32_e32 0x7f, v180
	s_cbranch_execz .LBB294_3155
; %bb.3152:                             ;   in Loop: Header=BB294_1574 Depth=1
	v_and_b32_e32 v8, 7, v0
	v_lshrrev_b32_e32 v9, 3, v180
	s_mov_b32 s17, exec_lo
	v_cmpx_gt_u32_e32 8, v180
; %bb.3153:                             ;   in Loop: Header=BB294_1574 Depth=1
	s_delay_alu instid0(VALU_DEP_3) | instskip(NEXT) | instid1(VALU_DEP_1)
	v_clz_i32_u32_e32 v7, v8
	v_min_u32_e32 v7, 32, v7
	s_delay_alu instid0(VALU_DEP_1) | instskip(NEXT) | instid1(VALU_DEP_1)
	v_subrev_nc_u32_e32 v8, 28, v7
	v_lshlrev_b64_e32 v[8:9], v8, v[0:1]
	v_sub_nc_u32_e32 v9, 29, v7
	s_delay_alu instid0(VALU_DEP_2)
	v_and_b32_e32 v8, 7, v8
; %bb.3154:                             ;   in Loop: Header=BB294_1574 Depth=1
	s_wait_alu 0xfffe
	s_or_b32 exec_lo, exec_lo, s17
	v_lshlrev_b32_e32 v0, 8, v0
	v_lshl_add_u32 v7, v9, 10, 0x2000
	s_delay_alu instid0(VALU_DEP_1) | instskip(SKIP_1) | instid1(VALU_DEP_1)
	v_and_or_b32 v0, 0x8000, v0, v7
	v_lshlrev_b32_e32 v7, 23, v8
	v_lshl_or_b32 v8, v0, 16, v7
.LBB294_3155:                           ;   in Loop: Header=BB294_1574 Depth=1
	s_wait_alu 0xfffe
	s_or_b32 exec_lo, exec_lo, s16
.LBB294_3156:                           ;   in Loop: Header=BB294_1574 Depth=1
	s_wait_alu 0xfffe
	s_or_b32 exec_lo, exec_lo, s15
.LBB294_3157:                           ;   in Loop: Header=BB294_1574 Depth=1
	s_wait_alu 0xfffe
	s_or_b32 exec_lo, exec_lo, s14
	v_or_b32_e32 v0, v167, v176
	s_wait_loadcnt_dscnt 0x0
	v_fma_mixlo_f16 v7, v164, v167, 0 op_sel:[0,1,0] op_sel_hi:[0,1,0]
	v_or_b32_e32 v9, v165, v166
	v_fma_mixlo_f16 v117, v164, v165, 0 op_sel:[0,1,0] op_sel_hi:[0,1,0]
	v_or_b32_e32 v166, v179, v178
	v_fma_mixlo_f16 v0, v164, v0, 0 op_sel_hi:[0,1,0]
	v_or_b32_e32 v176, v8, v177
	v_lshlrev_b32_e32 v165, 16, v7
	v_lshlrev_b32_e32 v178, 16, v117
	v_fma_mixlo_f16 v7, v164, v9, 0 op_sel_hi:[0,1,0]
	v_and_b32_e32 v167, 0xffff, v0
	v_fma_mixlo_f16 v0, v164, v179, 0 op_sel:[0,1,0] op_sel_hi:[0,1,0]
	v_fma_mixlo_f16 v9, v164, v166, 0 op_sel_hi:[0,1,0]
	v_fma_mixlo_f16 v8, v164, v8, 0 op_sel:[0,1,0] op_sel_hi:[0,1,0]
	v_fma_mixlo_f16 v117, v164, v176, 0 op_sel_hi:[0,1,0]
	v_and_b32_e32 v180, 0xffff, v7
	v_lshlrev_b32_e32 v176, 16, v0
	v_and_b32_e32 v179, 0xffff, v9
	v_lshlrev_b32_e32 v166, 16, v8
	v_and_b32_e32 v177, 0xffff, v117
	v_or_b32_e32 v9, v165, v167
	v_or_b32_e32 v164, v178, v180
	;; [unrolled: 1-line block ×3, first 2 shown]
	s_delay_alu instid0(VALU_DEP_4)
	v_or_b32_e32 v0, v166, v177
	s_and_saveexec_b32 s0, vcc_lo
	s_cbranch_execz .LBB294_1572
; %bb.3158:                             ;   in Loop: Header=BB294_1574 Depth=1
	v_cmp_lt_i32_e32 vcc_lo, v49, v34
	s_wait_alu 0xfffd
	v_cndmask_b32_e32 v0, 0, v180, vcc_lo
	v_cmp_lt_i32_e32 vcc_lo, v101, v34
	s_wait_alu 0xfffd
	v_cndmask_b32_e32 v7, 0, v178, vcc_lo
	v_cmp_lt_i32_e32 vcc_lo, v100, v34
	s_delay_alu instid0(VALU_DEP_2)
	v_or_b32_e32 v164, v0, v7
	s_wait_alu 0xfffd
	v_cndmask_b32_e32 v8, 0, v167, vcc_lo
	v_cmp_lt_i32_e32 vcc_lo, v99, v34
	s_wait_alu 0xfffd
	v_cndmask_b32_e32 v9, 0, v165, vcc_lo
	v_cmp_lt_i32_e32 vcc_lo, v98, v34
	s_delay_alu instid0(VALU_DEP_2)
	v_or_b32_e32 v9, v8, v9
	s_wait_alu 0xfffd
	v_cndmask_b32_e32 v49, 0, v179, vcc_lo
	v_cmp_lt_i32_e32 vcc_lo, v97, v34
	s_wait_alu 0xfffd
	v_cndmask_b32_e32 v97, 0, v176, vcc_lo
	v_cmp_lt_i32_e32 vcc_lo, v96, v34
	;; [unrolled: 3-line block ×3, first 2 shown]
	v_or_b32_e32 v8, v49, v97
	s_wait_alu 0xfffd
	v_cndmask_b32_e32 v87, 0, v166, vcc_lo
	s_delay_alu instid0(VALU_DEP_1)
	v_or_b32_e32 v0, v96, v87
	s_branch .LBB294_1572
.LBB294_3159:
	s_or_b32 exec_lo, exec_lo, s10
.LBB294_3160:
	s_wait_alu 0xfffe
	s_or_b32 exec_lo, exec_lo, s3
	ds_bpermute_b32 v0, v18, v82
	ds_bpermute_b32 v1, v18, v81
	;; [unrolled: 1-line block ×19, first 2 shown]
	s_wait_storecnt 0x0
	s_wait_loadcnt_dscnt 0x0
	v_dual_add_f32 v0, v82, v0 :: v_dual_add_f32 v1, v81, v1
	v_dual_add_f32 v2, v80, v2 :: v_dual_add_f32 v3, v71, v3
	;; [unrolled: 1-line block ×3, first 2 shown]
	ds_bpermute_b32 v4, v13, v0
	ds_bpermute_b32 v5, v13, v1
	;; [unrolled: 1-line block ×6, first 2 shown]
	v_dual_add_f32 v12, v68, v6 :: v_dual_add_f32 v9, v65, v9
	v_add_f32_e32 v14, v67, v7
	s_barrier_signal -1
	s_barrier_wait -1
	ds_bpermute_b32 v23, v13, v12
	v_add_f32_e32 v8, v66, v8
	s_wait_dscnt 0x0
	global_inv scope:SCOPE_SE
	s_load_b32 s0, s[6:7], 0x0
	s_mov_b32 s3, exec_lo
	v_add_f32_e32 v35, v52, v35
	v_add_f32_e32 v29, v29, v38
	;; [unrolled: 1-line block ×3, first 2 shown]
	v_dual_add_f32 v7, v0, v4 :: v_dual_add_f32 v6, v1, v5
	v_dual_add_f32 v5, v2, v15 :: v_dual_add_f32 v4, v3, v16
	;; [unrolled: 1-line block ×3, first 2 shown]
	ds_bpermute_b32 v15, v18, v25
	ds_bpermute_b32 v16, v18, v24
	;; [unrolled: 1-line block ×3, first 2 shown]
	v_add_f32_e32 v2, v11, v22
	v_add_f32_e32 v11, v55, v30
	ds_bpermute_b32 v17, v18, v21
	ds_bpermute_b32 v27, v13, v10
	v_dual_add_f32 v1, v12, v23 :: v_dual_add_f32 v12, v54, v33
	v_add_f32_e32 v32, v32, v36
	ds_bpermute_b32 v48, v13, v8
	ds_bpermute_b32 v22, v18, v20
	;; [unrolled: 1-line block ×6, first 2 shown]
	v_add_f32_e32 v28, v28, v39
	ds_bpermute_b32 v39, v13, v29
	ds_bpermute_b32 v38, v13, v31
	s_wait_dscnt 0xb
	v_dual_add_f32 v25, v25, v15 :: v_dual_add_f32 v24, v24, v16
	s_wait_dscnt 0xa
	v_add_f32_e32 v0, v14, v26
	v_add_f32_e32 v14, v53, v34
	ds_bpermute_b32 v26, v13, v9
	s_wait_dscnt 0xa
	v_add_f32_e32 v50, v21, v17
	ds_bpermute_b32 v53, v13, v25
	s_wait_dscnt 0xa
	v_add_f32_e32 v21, v10, v27
	ds_bpermute_b32 v54, v13, v24
	ds_bpermute_b32 v37, v13, v32
	s_wait_dscnt 0xb
	v_add_f32_e32 v23, v8, v48
	s_wait_dscnt 0xa
	v_add_f32_e32 v51, v20, v22
	;; [unrolled: 2-line block ×3, first 2 shown]
	ds_bpermute_b32 v55, v13, v50
	s_wait_dscnt 0x8
	v_dual_add_f32 v20, v11, v30 :: v_dual_add_f32 v19, v12, v33
	s_wait_dscnt 0x7
	v_add_f32_e32 v17, v35, v36
	ds_bpermute_b32 v49, v13, v28
	scratch_load_b32 v36, off, s32 offset:576 ; 4-byte Folded Reload
	ds_bpermute_b32 v34, v13, v14
	ds_bpermute_b32 v64, v13, v51
	;; [unrolled: 1-line block ×3, first 2 shown]
	s_wait_dscnt 0x9
	v_add_f32_e32 v15, v31, v38
	s_wait_dscnt 0x8
	v_add_f32_e32 v22, v9, v26
	scratch_load_b32 v26, off, s32 offset:584 th:TH_LOAD_LU ; 4-byte Folded Reload
	s_wait_dscnt 0x6
	v_dual_add_f32 v12, v25, v53 :: v_dual_add_f32 v11, v24, v54
	scratch_load_b32 v24, off, s32 offset:544 th:TH_LOAD_LU ; 4-byte Folded Reload
	s_wait_dscnt 0x4
	v_dual_add_f32 v16, v32, v37 :: v_dual_add_f32 v9, v50, v55
	s_wait_dscnt 0x2
	v_dual_add_f32 v13, v28, v49 :: v_dual_add_f32 v18, v14, v34
	v_add_f32_e32 v14, v29, v39
	s_wait_loadcnt_dscnt 0x200
	v_dual_add_f32 v10, v52, v65 :: v_dual_and_b32 v27, 0x3c3, v36
	s_wait_loadcnt 0x1
	v_mul_u32_u24_e32 v26, 0x300, v26
	s_wait_loadcnt 0x0
	v_and_b32_e32 v25, 28, v24
	v_add_f32_e32 v8, v51, v64
	v_lshrrev_b32_e32 v24, 2, v24
	s_wait_kmcnt 0x0
	s_delay_alu instid0(VALU_DEP_3)
	v_add_nc_u32_e32 v25, s0, v25
	v_cmpx_eq_u32_e32 64, v27
	s_cbranch_execz .LBB294_3162
; %bb.3161:
	s_delay_alu instid0(VALU_DEP_2) | instskip(NEXT) | instid1(VALU_DEP_1)
	v_add_nc_u32_e32 v27, v25, v26
	v_add_nc_u32_e32 v28, 0xfffffa00, v27
	;; [unrolled: 1-line block ×9, first 2 shown]
	ds_store_b32 v28, v7
	ds_store_b32 v29, v6
	;; [unrolled: 1-line block ×8, first 2 shown]
	v_add_nc_u32_e32 v28, 0xfffffb00, v27
	v_add_nc_u32_e32 v29, 0xfffffb20, v27
	;; [unrolled: 1-line block ×8, first 2 shown]
	ds_store_b32 v28, v23
	ds_store_b32 v29, v22
	;; [unrolled: 1-line block ×8, first 2 shown]
	v_add_nc_u32_e32 v28, 0xfffffc00, v27
	v_add_nc_u32_e32 v29, 0xfffffc20, v27
	;; [unrolled: 1-line block ×8, first 2 shown]
	ds_store_b32 v28, v15
	ds_store_b32 v29, v14
	;; [unrolled: 1-line block ×8, first 2 shown]
.LBB294_3162:
	s_wait_alu 0xfffe
	s_or_b32 exec_lo, exec_lo, s3
	v_lshlrev_b32_e32 v24, 2, v24
	v_and_b32_e32 v27, 3, v36
	s_mov_b32 s3, exec_lo
	s_wait_dscnt 0x0
	s_barrier_signal -1
	v_add3_u32 v24, s0, v26, v24
	v_cmp_eq_u32_e32 vcc_lo, 0, v27
	s_barrier_wait -1
	global_inv scope:SCOPE_SE
	v_cmpx_gt_u32_e32 64, v36
	s_cbranch_execz .LBB294_3189
; %bb.3163:
	s_and_saveexec_b32 s0, vcc_lo
	s_cbranch_execnz .LBB294_3221
; %bb.3164:
	s_wait_alu 0xfffe
	s_or_b32 exec_lo, exec_lo, s0
	s_and_saveexec_b32 s0, vcc_lo
	s_cbranch_execnz .LBB294_3222
.LBB294_3165:
	s_wait_alu 0xfffe
	s_or_b32 exec_lo, exec_lo, s0
	s_and_saveexec_b32 s0, vcc_lo
	s_cbranch_execnz .LBB294_3223
.LBB294_3166:
	s_wait_alu 0xfffe
	s_or_b32 exec_lo, exec_lo, s0
	s_and_saveexec_b32 s0, vcc_lo
	s_cbranch_execnz .LBB294_3224
.LBB294_3167:
	s_wait_alu 0xfffe
	s_or_b32 exec_lo, exec_lo, s0
	s_and_saveexec_b32 s0, vcc_lo
	s_cbranch_execnz .LBB294_3225
.LBB294_3168:
	s_wait_alu 0xfffe
	s_or_b32 exec_lo, exec_lo, s0
	s_and_saveexec_b32 s0, vcc_lo
	s_cbranch_execnz .LBB294_3226
.LBB294_3169:
	s_wait_alu 0xfffe
	s_or_b32 exec_lo, exec_lo, s0
	s_and_saveexec_b32 s0, vcc_lo
	s_cbranch_execnz .LBB294_3227
.LBB294_3170:
	s_wait_alu 0xfffe
	s_or_b32 exec_lo, exec_lo, s0
	s_and_saveexec_b32 s0, vcc_lo
	s_cbranch_execnz .LBB294_3228
.LBB294_3171:
	s_wait_alu 0xfffe
	s_or_b32 exec_lo, exec_lo, s0
	s_and_saveexec_b32 s0, vcc_lo
	s_cbranch_execnz .LBB294_3229
.LBB294_3172:
	s_wait_alu 0xfffe
	s_or_b32 exec_lo, exec_lo, s0
	s_and_saveexec_b32 s0, vcc_lo
	s_cbranch_execnz .LBB294_3230
.LBB294_3173:
	s_wait_alu 0xfffe
	s_or_b32 exec_lo, exec_lo, s0
	s_and_saveexec_b32 s0, vcc_lo
	s_cbranch_execnz .LBB294_3231
.LBB294_3174:
	s_wait_alu 0xfffe
	s_or_b32 exec_lo, exec_lo, s0
	s_and_saveexec_b32 s0, vcc_lo
	s_cbranch_execnz .LBB294_3232
.LBB294_3175:
	s_wait_alu 0xfffe
	s_or_b32 exec_lo, exec_lo, s0
	s_and_saveexec_b32 s0, vcc_lo
	s_cbranch_execnz .LBB294_3233
.LBB294_3176:
	s_wait_alu 0xfffe
	s_or_b32 exec_lo, exec_lo, s0
	s_and_saveexec_b32 s0, vcc_lo
	s_cbranch_execnz .LBB294_3234
.LBB294_3177:
	s_wait_alu 0xfffe
	s_or_b32 exec_lo, exec_lo, s0
	s_and_saveexec_b32 s0, vcc_lo
	s_cbranch_execnz .LBB294_3235
.LBB294_3178:
	s_wait_alu 0xfffe
	s_or_b32 exec_lo, exec_lo, s0
	s_and_saveexec_b32 s0, vcc_lo
	s_cbranch_execnz .LBB294_3236
.LBB294_3179:
	s_wait_alu 0xfffe
	s_or_b32 exec_lo, exec_lo, s0
	s_and_saveexec_b32 s0, vcc_lo
	s_cbranch_execnz .LBB294_3237
.LBB294_3180:
	s_wait_alu 0xfffe
	s_or_b32 exec_lo, exec_lo, s0
	s_and_saveexec_b32 s0, vcc_lo
	s_cbranch_execnz .LBB294_3238
.LBB294_3181:
	s_wait_alu 0xfffe
	s_or_b32 exec_lo, exec_lo, s0
	s_and_saveexec_b32 s0, vcc_lo
	s_cbranch_execnz .LBB294_3239
.LBB294_3182:
	s_wait_alu 0xfffe
	s_or_b32 exec_lo, exec_lo, s0
	s_and_saveexec_b32 s0, vcc_lo
	s_cbranch_execnz .LBB294_3240
.LBB294_3183:
	s_wait_alu 0xfffe
	s_or_b32 exec_lo, exec_lo, s0
	s_and_saveexec_b32 s0, vcc_lo
	s_cbranch_execnz .LBB294_3241
.LBB294_3184:
	s_wait_alu 0xfffe
	s_or_b32 exec_lo, exec_lo, s0
	s_and_saveexec_b32 s0, vcc_lo
	s_cbranch_execnz .LBB294_3242
.LBB294_3185:
	s_wait_alu 0xfffe
	s_or_b32 exec_lo, exec_lo, s0
	s_and_saveexec_b32 s0, vcc_lo
	s_cbranch_execnz .LBB294_3243
.LBB294_3186:
	s_wait_alu 0xfffe
	s_or_b32 exec_lo, exec_lo, s0
	s_and_saveexec_b32 s0, vcc_lo
	s_cbranch_execz .LBB294_3188
.LBB294_3187:
	ds_load_b32 v26, v24 offset:736
	s_wait_dscnt 0x0
	v_add_f32_e32 v10, v26, v10
.LBB294_3188:
	s_wait_alu 0xfffe
	s_or_b32 exec_lo, exec_lo, s0
.LBB294_3189:
	s_wait_alu 0xfffe
	s_or_b32 exec_lo, exec_lo, s3
	v_and_b32_e32 v26, 0x3e3, v36
	s_mov_b32 s3, exec_lo
	s_wait_loadcnt 0x0
	s_barrier_signal -1
	s_barrier_wait -1
	global_inv scope:SCOPE_SE
	v_cmpx_eq_u32_e32 32, v26
	s_cbranch_execz .LBB294_3191
; %bb.3190:
	ds_store_2addr_b32 v25, v7, v6 offset1:8
	ds_store_2addr_b32 v25, v5, v4 offset0:16 offset1:24
	ds_store_2addr_b32 v25, v3, v2 offset0:32 offset1:40
	;; [unrolled: 1-line block ×11, first 2 shown]
.LBB294_3191:
	s_wait_alu 0xfffe
	s_or_b32 exec_lo, exec_lo, s3
	s_delay_alu instid0(SALU_CYCLE_1)
	s_mov_b32 s3, exec_lo
	s_wait_loadcnt_dscnt 0x0
	s_barrier_signal -1
	s_barrier_wait -1
	global_inv scope:SCOPE_SE
	v_cmpx_gt_u32_e32 32, v36
	s_cbranch_execz .LBB294_3218
; %bb.3192:
	s_and_saveexec_b32 s0, vcc_lo
	s_cbranch_execnz .LBB294_3244
; %bb.3193:
	s_wait_alu 0xfffe
	s_or_b32 exec_lo, exec_lo, s0
	s_and_saveexec_b32 s0, vcc_lo
	s_cbranch_execnz .LBB294_3245
.LBB294_3194:
	s_wait_alu 0xfffe
	s_or_b32 exec_lo, exec_lo, s0
	s_and_saveexec_b32 s0, vcc_lo
	s_cbranch_execnz .LBB294_3246
.LBB294_3195:
	s_wait_alu 0xfffe
	s_or_b32 exec_lo, exec_lo, s0
	s_and_saveexec_b32 s0, vcc_lo
	s_cbranch_execnz .LBB294_3247
.LBB294_3196:
	s_wait_alu 0xfffe
	s_or_b32 exec_lo, exec_lo, s0
	s_and_saveexec_b32 s0, vcc_lo
	s_cbranch_execnz .LBB294_3248
.LBB294_3197:
	s_wait_alu 0xfffe
	s_or_b32 exec_lo, exec_lo, s0
	s_and_saveexec_b32 s0, vcc_lo
	s_cbranch_execnz .LBB294_3249
.LBB294_3198:
	s_wait_alu 0xfffe
	s_or_b32 exec_lo, exec_lo, s0
	s_and_saveexec_b32 s0, vcc_lo
	s_cbranch_execnz .LBB294_3250
.LBB294_3199:
	s_wait_alu 0xfffe
	s_or_b32 exec_lo, exec_lo, s0
	s_and_saveexec_b32 s0, vcc_lo
	s_cbranch_execnz .LBB294_3251
.LBB294_3200:
	s_wait_alu 0xfffe
	s_or_b32 exec_lo, exec_lo, s0
	s_and_saveexec_b32 s0, vcc_lo
	s_cbranch_execnz .LBB294_3252
.LBB294_3201:
	s_wait_alu 0xfffe
	s_or_b32 exec_lo, exec_lo, s0
	s_and_saveexec_b32 s0, vcc_lo
	s_cbranch_execnz .LBB294_3253
.LBB294_3202:
	s_wait_alu 0xfffe
	s_or_b32 exec_lo, exec_lo, s0
	s_and_saveexec_b32 s0, vcc_lo
	s_cbranch_execnz .LBB294_3254
.LBB294_3203:
	s_wait_alu 0xfffe
	s_or_b32 exec_lo, exec_lo, s0
	s_and_saveexec_b32 s0, vcc_lo
	s_cbranch_execnz .LBB294_3255
.LBB294_3204:
	s_wait_alu 0xfffe
	s_or_b32 exec_lo, exec_lo, s0
	s_and_saveexec_b32 s0, vcc_lo
	s_cbranch_execnz .LBB294_3256
.LBB294_3205:
	s_wait_alu 0xfffe
	s_or_b32 exec_lo, exec_lo, s0
	s_and_saveexec_b32 s0, vcc_lo
	s_cbranch_execnz .LBB294_3257
.LBB294_3206:
	s_wait_alu 0xfffe
	s_or_b32 exec_lo, exec_lo, s0
	s_and_saveexec_b32 s0, vcc_lo
	s_cbranch_execnz .LBB294_3258
.LBB294_3207:
	s_wait_alu 0xfffe
	s_or_b32 exec_lo, exec_lo, s0
	s_and_saveexec_b32 s0, vcc_lo
	s_cbranch_execnz .LBB294_3259
.LBB294_3208:
	s_wait_alu 0xfffe
	s_or_b32 exec_lo, exec_lo, s0
	s_and_saveexec_b32 s0, vcc_lo
	s_cbranch_execnz .LBB294_3260
.LBB294_3209:
	s_wait_alu 0xfffe
	s_or_b32 exec_lo, exec_lo, s0
	s_and_saveexec_b32 s0, vcc_lo
	s_cbranch_execnz .LBB294_3261
.LBB294_3210:
	s_wait_alu 0xfffe
	s_or_b32 exec_lo, exec_lo, s0
	s_and_saveexec_b32 s0, vcc_lo
	s_cbranch_execnz .LBB294_3262
.LBB294_3211:
	s_wait_alu 0xfffe
	s_or_b32 exec_lo, exec_lo, s0
	s_and_saveexec_b32 s0, vcc_lo
	s_cbranch_execnz .LBB294_3263
.LBB294_3212:
	s_wait_alu 0xfffe
	s_or_b32 exec_lo, exec_lo, s0
	s_and_saveexec_b32 s0, vcc_lo
	s_cbranch_execnz .LBB294_3264
.LBB294_3213:
	s_wait_alu 0xfffe
	s_or_b32 exec_lo, exec_lo, s0
	s_and_saveexec_b32 s0, vcc_lo
	s_cbranch_execnz .LBB294_3265
.LBB294_3214:
	s_wait_alu 0xfffe
	s_or_b32 exec_lo, exec_lo, s0
	s_and_saveexec_b32 s0, vcc_lo
	s_cbranch_execnz .LBB294_3266
.LBB294_3215:
	s_wait_alu 0xfffe
	s_or_b32 exec_lo, exec_lo, s0
	s_and_saveexec_b32 s0, vcc_lo
	s_cbranch_execz .LBB294_3217
.LBB294_3216:
	ds_load_b32 v24, v24 offset:736
	s_wait_dscnt 0x0
	v_add_f32_e32 v10, v24, v10
.LBB294_3217:
	s_wait_alu 0xfffe
	s_or_b32 exec_lo, exec_lo, s0
.LBB294_3218:
	s_wait_alu 0xfffe
	s_or_b32 exec_lo, exec_lo, s3
	v_cmp_eq_u32_e32 vcc_lo, 0, v26
	s_wait_loadcnt 0x0
	s_barrier_signal -1
	s_barrier_wait -1
	global_inv scope:SCOPE_SE
	s_and_b32 exec_lo, exec_lo, vcc_lo
	s_cbranch_execz .LBB294_3220
; %bb.3219:
	s_clause 0x1
	scratch_load_b32 v24, off, s32 offset:600 th:TH_LOAD_LU
	scratch_load_b32 v25, off, s32 offset:596 th:TH_LOAD_LU
	s_mul_i32 s0, s2, 0xc0
	s_mul_i32 s2, s4, s1
	s_wait_alu 0xfffe
	s_ashr_i32 s1, s0, 31
	s_ashr_i32 s3, s2, 31
	s_wait_alu 0xfffe
	s_lshl_b64 s[0:1], s[0:1], 1
	s_mulk_i32 s13, 0x180
	v_lshrrev_b32_e32 v26, 1, v36
	;;#ASMSTART
	v_cvt_f16_f32 v7, v7;

	;;#ASMEND
	s_wait_loadcnt 0x1
	s_wait_alu 0xfffe
	v_add_co_u32 v24, vcc_lo, v24, s0
	s_wait_loadcnt 0x0
	s_wait_alu 0xfffd
	v_add_co_ci_u32_e64 v25, null, s1, v25, vcc_lo
	s_lshl_b64 s[0:1], s[2:3], 1
	s_wait_alu 0xfffe
	v_add_co_u32 v24, vcc_lo, v24, s0
	s_wait_alu 0xfffd
	v_add_co_ci_u32_e64 v25, null, s1, v25, vcc_lo
	s_delay_alu instid0(VALU_DEP_2) | instskip(SKIP_1) | instid1(VALU_DEP_2)
	v_add_co_u32 v24, vcc_lo, v24, s13
	s_wait_alu 0xfffd
	v_add_co_ci_u32_e64 v25, null, 0, v25, vcc_lo
	s_delay_alu instid0(VALU_DEP_2) | instskip(SKIP_1) | instid1(VALU_DEP_2)
	v_add_co_u32 v24, vcc_lo, v24, v26
	s_wait_alu 0xfffd
	v_add_co_ci_u32_e64 v25, null, 0, v25, vcc_lo
	flat_store_b16 v[24:25], v7
	;;#ASMSTART
	v_cvt_f16_f32 v6, v6;

	;;#ASMEND
	flat_store_b16 v[24:25], v6 offset:16
	;;#ASMSTART
	v_cvt_f16_f32 v5, v5;

	;;#ASMEND
	flat_store_b16 v[24:25], v5 offset:32
	;; [unrolled: 5-line block ×23, first 2 shown]
.LBB294_3220:
	s_or_b32 exec_lo, exec_lo, s12
	s_clause 0x1f
	scratch_load_b32 v191, off, s32 offset:8
	scratch_load_b32 v190, off, s32 offset:12
	scratch_load_b32 v189, off, s32 offset:16
	scratch_load_b32 v188, off, s32 offset:20
	scratch_load_b32 v187, off, s32 offset:24
	scratch_load_b32 v186, off, s32 offset:28
	scratch_load_b32 v185, off, s32 offset:32
	scratch_load_b32 v184, off, s32 offset:36
	scratch_load_b32 v175, off, s32 offset:40
	scratch_load_b32 v174, off, s32 offset:44
	scratch_load_b32 v173, off, s32 offset:48
	scratch_load_b32 v172, off, s32 offset:52
	scratch_load_b32 v171, off, s32 offset:56
	scratch_load_b32 v170, off, s32 offset:60
	scratch_load_b32 v169, off, s32 offset:64
	scratch_load_b32 v168, off, s32 offset:68
	scratch_load_b32 v159, off, s32 offset:72
	scratch_load_b32 v158, off, s32 offset:76
	scratch_load_b32 v157, off, s32 offset:80
	scratch_load_b32 v156, off, s32 offset:84
	scratch_load_b32 v155, off, s32 offset:88
	scratch_load_b32 v154, off, s32 offset:92
	scratch_load_b32 v153, off, s32 offset:96
	scratch_load_b32 v152, off, s32 offset:100
	scratch_load_b32 v143, off, s32 offset:104
	scratch_load_b32 v142, off, s32 offset:108
	scratch_load_b32 v141, off, s32 offset:112
	scratch_load_b32 v140, off, s32 offset:116
	scratch_load_b32 v139, off, s32 offset:120
	scratch_load_b32 v138, off, s32 offset:124
	scratch_load_b32 v137, off, s32 offset:128
	scratch_load_b32 v136, off, s32 offset:132
	s_clause 0x1f
	scratch_load_b32 v127, off, s32 offset:136
	scratch_load_b32 v126, off, s32 offset:140
	;; [unrolled: 1-line block ×32, first 2 shown]
	s_clause 0xf
	scratch_load_b32 v63, off, s32 offset:264
	scratch_load_b32 v62, off, s32 offset:268
	;; [unrolled: 1-line block ×16, first 2 shown]
	s_wait_loadcnt_dscnt 0x0
	s_setpc_b64 s[30:31]
.LBB294_3221:
	ds_load_b32 v26, v24
	s_wait_dscnt 0x0
	v_add_f32_e32 v7, v26, v7
	s_wait_alu 0xfffe
	s_or_b32 exec_lo, exec_lo, s0
	s_and_saveexec_b32 s0, vcc_lo
	s_cbranch_execz .LBB294_3165
.LBB294_3222:
	ds_load_b32 v26, v24 offset:32
	s_wait_dscnt 0x0
	v_add_f32_e32 v6, v26, v6
	s_wait_alu 0xfffe
	s_or_b32 exec_lo, exec_lo, s0
	s_and_saveexec_b32 s0, vcc_lo
	s_cbranch_execz .LBB294_3166
.LBB294_3223:
	ds_load_b32 v26, v24 offset:64
	s_wait_dscnt 0x0
	v_add_f32_e32 v5, v26, v5
	s_wait_alu 0xfffe
	s_or_b32 exec_lo, exec_lo, s0
	s_and_saveexec_b32 s0, vcc_lo
	s_cbranch_execz .LBB294_3167
.LBB294_3224:
	ds_load_b32 v26, v24 offset:96
	s_wait_dscnt 0x0
	v_add_f32_e32 v4, v26, v4
	s_wait_alu 0xfffe
	s_or_b32 exec_lo, exec_lo, s0
	s_and_saveexec_b32 s0, vcc_lo
	s_cbranch_execz .LBB294_3168
.LBB294_3225:
	ds_load_b32 v26, v24 offset:128
	s_wait_dscnt 0x0
	v_add_f32_e32 v3, v26, v3
	s_wait_alu 0xfffe
	s_or_b32 exec_lo, exec_lo, s0
	s_and_saveexec_b32 s0, vcc_lo
	s_cbranch_execz .LBB294_3169
.LBB294_3226:
	ds_load_b32 v26, v24 offset:160
	s_wait_dscnt 0x0
	v_add_f32_e32 v2, v26, v2
	s_wait_alu 0xfffe
	s_or_b32 exec_lo, exec_lo, s0
	s_and_saveexec_b32 s0, vcc_lo
	s_cbranch_execz .LBB294_3170
.LBB294_3227:
	ds_load_b32 v26, v24 offset:192
	s_wait_dscnt 0x0
	v_add_f32_e32 v1, v26, v1
	s_wait_alu 0xfffe
	s_or_b32 exec_lo, exec_lo, s0
	s_and_saveexec_b32 s0, vcc_lo
	s_cbranch_execz .LBB294_3171
.LBB294_3228:
	ds_load_b32 v26, v24 offset:224
	s_wait_dscnt 0x0
	v_add_f32_e32 v0, v26, v0
	s_wait_alu 0xfffe
	s_or_b32 exec_lo, exec_lo, s0
	s_and_saveexec_b32 s0, vcc_lo
	s_cbranch_execz .LBB294_3172
.LBB294_3229:
	ds_load_b32 v26, v24 offset:256
	s_wait_dscnt 0x0
	v_add_f32_e32 v23, v26, v23
	s_wait_alu 0xfffe
	s_or_b32 exec_lo, exec_lo, s0
	s_and_saveexec_b32 s0, vcc_lo
	s_cbranch_execz .LBB294_3173
.LBB294_3230:
	ds_load_b32 v26, v24 offset:288
	s_wait_dscnt 0x0
	v_add_f32_e32 v22, v26, v22
	s_wait_alu 0xfffe
	s_or_b32 exec_lo, exec_lo, s0
	s_and_saveexec_b32 s0, vcc_lo
	s_cbranch_execz .LBB294_3174
.LBB294_3231:
	ds_load_b32 v26, v24 offset:320
	s_wait_dscnt 0x0
	v_add_f32_e32 v21, v26, v21
	s_wait_alu 0xfffe
	s_or_b32 exec_lo, exec_lo, s0
	s_and_saveexec_b32 s0, vcc_lo
	s_cbranch_execz .LBB294_3175
.LBB294_3232:
	ds_load_b32 v26, v24 offset:352
	s_wait_dscnt 0x0
	v_add_f32_e32 v20, v26, v20
	s_wait_alu 0xfffe
	s_or_b32 exec_lo, exec_lo, s0
	s_and_saveexec_b32 s0, vcc_lo
	s_cbranch_execz .LBB294_3176
.LBB294_3233:
	ds_load_b32 v26, v24 offset:384
	s_wait_dscnt 0x0
	v_add_f32_e32 v19, v26, v19
	s_wait_alu 0xfffe
	s_or_b32 exec_lo, exec_lo, s0
	s_and_saveexec_b32 s0, vcc_lo
	s_cbranch_execz .LBB294_3177
.LBB294_3234:
	ds_load_b32 v26, v24 offset:416
	s_wait_dscnt 0x0
	v_add_f32_e32 v18, v26, v18
	s_wait_alu 0xfffe
	s_or_b32 exec_lo, exec_lo, s0
	s_and_saveexec_b32 s0, vcc_lo
	s_cbranch_execz .LBB294_3178
.LBB294_3235:
	ds_load_b32 v26, v24 offset:448
	s_wait_dscnt 0x0
	v_add_f32_e32 v17, v26, v17
	s_wait_alu 0xfffe
	s_or_b32 exec_lo, exec_lo, s0
	s_and_saveexec_b32 s0, vcc_lo
	s_cbranch_execz .LBB294_3179
.LBB294_3236:
	ds_load_b32 v26, v24 offset:480
	s_wait_dscnt 0x0
	v_add_f32_e32 v16, v26, v16
	s_wait_alu 0xfffe
	s_or_b32 exec_lo, exec_lo, s0
	s_and_saveexec_b32 s0, vcc_lo
	s_cbranch_execz .LBB294_3180
.LBB294_3237:
	ds_load_b32 v26, v24 offset:512
	s_wait_dscnt 0x0
	v_add_f32_e32 v15, v26, v15
	s_wait_alu 0xfffe
	s_or_b32 exec_lo, exec_lo, s0
	s_and_saveexec_b32 s0, vcc_lo
	s_cbranch_execz .LBB294_3181
.LBB294_3238:
	ds_load_b32 v26, v24 offset:544
	s_wait_dscnt 0x0
	v_add_f32_e32 v14, v26, v14
	s_wait_alu 0xfffe
	s_or_b32 exec_lo, exec_lo, s0
	s_and_saveexec_b32 s0, vcc_lo
	s_cbranch_execz .LBB294_3182
.LBB294_3239:
	ds_load_b32 v26, v24 offset:576
	s_wait_dscnt 0x0
	v_add_f32_e32 v13, v26, v13
	s_wait_alu 0xfffe
	s_or_b32 exec_lo, exec_lo, s0
	s_and_saveexec_b32 s0, vcc_lo
	s_cbranch_execz .LBB294_3183
.LBB294_3240:
	ds_load_b32 v26, v24 offset:608
	s_wait_dscnt 0x0
	v_add_f32_e32 v12, v26, v12
	s_wait_alu 0xfffe
	s_or_b32 exec_lo, exec_lo, s0
	s_and_saveexec_b32 s0, vcc_lo
	s_cbranch_execz .LBB294_3184
.LBB294_3241:
	ds_load_b32 v26, v24 offset:640
	s_wait_dscnt 0x0
	v_add_f32_e32 v11, v26, v11
	s_wait_alu 0xfffe
	s_or_b32 exec_lo, exec_lo, s0
	s_and_saveexec_b32 s0, vcc_lo
	s_cbranch_execz .LBB294_3185
.LBB294_3242:
	ds_load_b32 v26, v24 offset:672
	s_wait_dscnt 0x0
	v_add_f32_e32 v9, v26, v9
	s_wait_alu 0xfffe
	s_or_b32 exec_lo, exec_lo, s0
	s_and_saveexec_b32 s0, vcc_lo
	s_cbranch_execz .LBB294_3186
.LBB294_3243:
	ds_load_b32 v26, v24 offset:704
	s_wait_dscnt 0x0
	v_add_f32_e32 v8, v26, v8
	s_wait_alu 0xfffe
	s_or_b32 exec_lo, exec_lo, s0
	s_and_saveexec_b32 s0, vcc_lo
	s_cbranch_execnz .LBB294_3187
	s_branch .LBB294_3188
.LBB294_3244:
	ds_load_b32 v25, v24
	s_wait_dscnt 0x0
	v_add_f32_e32 v7, v25, v7
	s_wait_alu 0xfffe
	s_or_b32 exec_lo, exec_lo, s0
	s_and_saveexec_b32 s0, vcc_lo
	s_cbranch_execz .LBB294_3194
.LBB294_3245:
	ds_load_b32 v25, v24 offset:32
	s_wait_dscnt 0x0
	v_add_f32_e32 v6, v25, v6
	s_wait_alu 0xfffe
	s_or_b32 exec_lo, exec_lo, s0
	s_and_saveexec_b32 s0, vcc_lo
	s_cbranch_execz .LBB294_3195
.LBB294_3246:
	ds_load_b32 v25, v24 offset:64
	s_wait_dscnt 0x0
	v_add_f32_e32 v5, v25, v5
	s_wait_alu 0xfffe
	s_or_b32 exec_lo, exec_lo, s0
	s_and_saveexec_b32 s0, vcc_lo
	s_cbranch_execz .LBB294_3196
.LBB294_3247:
	ds_load_b32 v25, v24 offset:96
	s_wait_dscnt 0x0
	v_add_f32_e32 v4, v25, v4
	s_wait_alu 0xfffe
	s_or_b32 exec_lo, exec_lo, s0
	s_and_saveexec_b32 s0, vcc_lo
	s_cbranch_execz .LBB294_3197
.LBB294_3248:
	ds_load_b32 v25, v24 offset:128
	s_wait_dscnt 0x0
	v_add_f32_e32 v3, v25, v3
	s_wait_alu 0xfffe
	s_or_b32 exec_lo, exec_lo, s0
	s_and_saveexec_b32 s0, vcc_lo
	s_cbranch_execz .LBB294_3198
.LBB294_3249:
	ds_load_b32 v25, v24 offset:160
	s_wait_dscnt 0x0
	v_add_f32_e32 v2, v25, v2
	s_wait_alu 0xfffe
	s_or_b32 exec_lo, exec_lo, s0
	s_and_saveexec_b32 s0, vcc_lo
	s_cbranch_execz .LBB294_3199
.LBB294_3250:
	ds_load_b32 v25, v24 offset:192
	s_wait_dscnt 0x0
	v_add_f32_e32 v1, v25, v1
	s_wait_alu 0xfffe
	s_or_b32 exec_lo, exec_lo, s0
	s_and_saveexec_b32 s0, vcc_lo
	s_cbranch_execz .LBB294_3200
.LBB294_3251:
	ds_load_b32 v25, v24 offset:224
	s_wait_dscnt 0x0
	v_add_f32_e32 v0, v25, v0
	s_wait_alu 0xfffe
	s_or_b32 exec_lo, exec_lo, s0
	s_and_saveexec_b32 s0, vcc_lo
	s_cbranch_execz .LBB294_3201
.LBB294_3252:
	ds_load_b32 v25, v24 offset:256
	s_wait_dscnt 0x0
	v_add_f32_e32 v23, v25, v23
	s_wait_alu 0xfffe
	s_or_b32 exec_lo, exec_lo, s0
	s_and_saveexec_b32 s0, vcc_lo
	s_cbranch_execz .LBB294_3202
.LBB294_3253:
	ds_load_b32 v25, v24 offset:288
	s_wait_dscnt 0x0
	v_add_f32_e32 v22, v25, v22
	s_wait_alu 0xfffe
	s_or_b32 exec_lo, exec_lo, s0
	s_and_saveexec_b32 s0, vcc_lo
	s_cbranch_execz .LBB294_3203
.LBB294_3254:
	ds_load_b32 v25, v24 offset:320
	s_wait_dscnt 0x0
	v_add_f32_e32 v21, v25, v21
	s_wait_alu 0xfffe
	s_or_b32 exec_lo, exec_lo, s0
	s_and_saveexec_b32 s0, vcc_lo
	s_cbranch_execz .LBB294_3204
.LBB294_3255:
	ds_load_b32 v25, v24 offset:352
	s_wait_dscnt 0x0
	v_add_f32_e32 v20, v25, v20
	s_wait_alu 0xfffe
	s_or_b32 exec_lo, exec_lo, s0
	s_and_saveexec_b32 s0, vcc_lo
	s_cbranch_execz .LBB294_3205
.LBB294_3256:
	ds_load_b32 v25, v24 offset:384
	s_wait_dscnt 0x0
	v_add_f32_e32 v19, v25, v19
	s_wait_alu 0xfffe
	s_or_b32 exec_lo, exec_lo, s0
	s_and_saveexec_b32 s0, vcc_lo
	s_cbranch_execz .LBB294_3206
.LBB294_3257:
	ds_load_b32 v25, v24 offset:416
	s_wait_dscnt 0x0
	v_add_f32_e32 v18, v25, v18
	s_wait_alu 0xfffe
	s_or_b32 exec_lo, exec_lo, s0
	s_and_saveexec_b32 s0, vcc_lo
	s_cbranch_execz .LBB294_3207
.LBB294_3258:
	ds_load_b32 v25, v24 offset:448
	s_wait_dscnt 0x0
	v_add_f32_e32 v17, v25, v17
	s_wait_alu 0xfffe
	s_or_b32 exec_lo, exec_lo, s0
	s_and_saveexec_b32 s0, vcc_lo
	s_cbranch_execz .LBB294_3208
.LBB294_3259:
	ds_load_b32 v25, v24 offset:480
	s_wait_dscnt 0x0
	v_add_f32_e32 v16, v25, v16
	s_wait_alu 0xfffe
	s_or_b32 exec_lo, exec_lo, s0
	s_and_saveexec_b32 s0, vcc_lo
	s_cbranch_execz .LBB294_3209
.LBB294_3260:
	ds_load_b32 v25, v24 offset:512
	s_wait_dscnt 0x0
	v_add_f32_e32 v15, v25, v15
	s_wait_alu 0xfffe
	s_or_b32 exec_lo, exec_lo, s0
	s_and_saveexec_b32 s0, vcc_lo
	s_cbranch_execz .LBB294_3210
.LBB294_3261:
	ds_load_b32 v25, v24 offset:544
	s_wait_dscnt 0x0
	v_add_f32_e32 v14, v25, v14
	s_wait_alu 0xfffe
	s_or_b32 exec_lo, exec_lo, s0
	s_and_saveexec_b32 s0, vcc_lo
	s_cbranch_execz .LBB294_3211
.LBB294_3262:
	ds_load_b32 v25, v24 offset:576
	s_wait_dscnt 0x0
	v_add_f32_e32 v13, v25, v13
	s_wait_alu 0xfffe
	s_or_b32 exec_lo, exec_lo, s0
	s_and_saveexec_b32 s0, vcc_lo
	s_cbranch_execz .LBB294_3212
.LBB294_3263:
	ds_load_b32 v25, v24 offset:608
	s_wait_dscnt 0x0
	v_add_f32_e32 v12, v25, v12
	s_wait_alu 0xfffe
	s_or_b32 exec_lo, exec_lo, s0
	s_and_saveexec_b32 s0, vcc_lo
	s_cbranch_execz .LBB294_3213
.LBB294_3264:
	ds_load_b32 v25, v24 offset:640
	s_wait_dscnt 0x0
	v_add_f32_e32 v11, v25, v11
	s_wait_alu 0xfffe
	s_or_b32 exec_lo, exec_lo, s0
	s_and_saveexec_b32 s0, vcc_lo
	s_cbranch_execz .LBB294_3214
.LBB294_3265:
	ds_load_b32 v25, v24 offset:672
	s_wait_dscnt 0x0
	v_add_f32_e32 v9, v25, v9
	s_wait_alu 0xfffe
	s_or_b32 exec_lo, exec_lo, s0
	s_and_saveexec_b32 s0, vcc_lo
	s_cbranch_execz .LBB294_3215
.LBB294_3266:
	ds_load_b32 v25, v24 offset:704
	s_wait_dscnt 0x0
	v_add_f32_e32 v8, v25, v8
	s_wait_alu 0xfffe
	s_or_b32 exec_lo, exec_lo, s0
	s_and_saveexec_b32 s0, vcc_lo
	s_cbranch_execnz .LBB294_3216
	s_branch .LBB294_3217
.Lfunc_end294:
	.size	_ZN4vllm22paged_attention_kernelIthLi192ELi32ELi128ELNS_18Fp8KVCacheDataTypeE1ELb1ELi512EEEvPfS2_PT_PKS3_PKT0_S9_ifPKiSB_iPKfiiiSD_SD_iiiii, .Lfunc_end294-_ZN4vllm22paged_attention_kernelIthLi192ELi32ELi128ELNS_18Fp8KVCacheDataTypeE1ELb1ELi512EEEvPfS2_PT_PKS3_PKT0_S9_ifPKiSB_iPKfiiiSD_SD_iiiii
                                        ; -- End function
	.set .L_ZN4vllm22paged_attention_kernelIthLi192ELi32ELi128ELNS_18Fp8KVCacheDataTypeE1ELb1ELi512EEEvPfS2_PT_PKS3_PKT0_S9_ifPKiSB_iPKfiiiSD_SD_iiiii.num_vgpr, 192
	.set .L_ZN4vllm22paged_attention_kernelIthLi192ELi32ELi128ELNS_18Fp8KVCacheDataTypeE1ELb1ELi512EEEvPfS2_PT_PKS3_PKT0_S9_ifPKiSB_iPKfiiiSD_SD_iiiii.num_agpr, 0
	.set .L_ZN4vllm22paged_attention_kernelIthLi192ELi32ELi128ELNS_18Fp8KVCacheDataTypeE1ELb1ELi512EEEvPfS2_PT_PKS3_PKT0_S9_ifPKiSB_iPKfiiiSD_SD_iiiii.numbered_sgpr, 33
	.set .L_ZN4vllm22paged_attention_kernelIthLi192ELi32ELi128ELNS_18Fp8KVCacheDataTypeE1ELb1ELi512EEEvPfS2_PT_PKS3_PKT0_S9_ifPKiSB_iPKfiiiSD_SD_iiiii.num_named_barrier, 0
	.set .L_ZN4vllm22paged_attention_kernelIthLi192ELi32ELi128ELNS_18Fp8KVCacheDataTypeE1ELb1ELi512EEEvPfS2_PT_PKS3_PKT0_S9_ifPKiSB_iPKfiiiSD_SD_iiiii.private_seg_size, 660
	.set .L_ZN4vllm22paged_attention_kernelIthLi192ELi32ELi128ELNS_18Fp8KVCacheDataTypeE1ELb1ELi512EEEvPfS2_PT_PKS3_PKT0_S9_ifPKiSB_iPKfiiiSD_SD_iiiii.uses_vcc, 1
	.set .L_ZN4vllm22paged_attention_kernelIthLi192ELi32ELi128ELNS_18Fp8KVCacheDataTypeE1ELb1ELi512EEEvPfS2_PT_PKS3_PKT0_S9_ifPKiSB_iPKfiiiSD_SD_iiiii.uses_flat_scratch, 1
	.set .L_ZN4vllm22paged_attention_kernelIthLi192ELi32ELi128ELNS_18Fp8KVCacheDataTypeE1ELb1ELi512EEEvPfS2_PT_PKS3_PKT0_S9_ifPKiSB_iPKfiiiSD_SD_iiiii.has_dyn_sized_stack, 0
	.set .L_ZN4vllm22paged_attention_kernelIthLi192ELi32ELi128ELNS_18Fp8KVCacheDataTypeE1ELb1ELi512EEEvPfS2_PT_PKS3_PKT0_S9_ifPKiSB_iPKfiiiSD_SD_iiiii.has_recursion, 0
	.set .L_ZN4vllm22paged_attention_kernelIthLi192ELi32ELi128ELNS_18Fp8KVCacheDataTypeE1ELb1ELi512EEEvPfS2_PT_PKS3_PKT0_S9_ifPKiSB_iPKfiiiSD_SD_iiiii.has_indirect_call, 0
	.section	.AMDGPU.csdata,"",@progbits
; Function info:
; codeLenInByte = 128044
; TotalNumSgprs: 35
; NumVgprs: 192
; ScratchSize: 660
; MemoryBound: 0
	.section	.text._ZN4vllm25paged_attention_v2_kernelIthLi192ELi32ELi128ELNS_18Fp8KVCacheDataTypeE1ELb1ELi512EEEvPfS2_PT_PKS3_PKT0_S9_ifPKiSB_iPKfiiiSD_SD_iiiii,"axG",@progbits,_ZN4vllm25paged_attention_v2_kernelIthLi192ELi32ELi128ELNS_18Fp8KVCacheDataTypeE1ELb1ELi512EEEvPfS2_PT_PKS3_PKT0_S9_ifPKiSB_iPKfiiiSD_SD_iiiii,comdat
	.protected	_ZN4vllm25paged_attention_v2_kernelIthLi192ELi32ELi128ELNS_18Fp8KVCacheDataTypeE1ELb1ELi512EEEvPfS2_PT_PKS3_PKT0_S9_ifPKiSB_iPKfiiiSD_SD_iiiii ; -- Begin function _ZN4vllm25paged_attention_v2_kernelIthLi192ELi32ELi128ELNS_18Fp8KVCacheDataTypeE1ELb1ELi512EEEvPfS2_PT_PKS3_PKT0_S9_ifPKiSB_iPKfiiiSD_SD_iiiii
	.globl	_ZN4vllm25paged_attention_v2_kernelIthLi192ELi32ELi128ELNS_18Fp8KVCacheDataTypeE1ELb1ELi512EEEvPfS2_PT_PKS3_PKT0_S9_ifPKiSB_iPKfiiiSD_SD_iiiii
	.p2align	8
	.type	_ZN4vllm25paged_attention_v2_kernelIthLi192ELi32ELi128ELNS_18Fp8KVCacheDataTypeE1ELb1ELi512EEEvPfS2_PT_PKS3_PKT0_S9_ifPKiSB_iPKfiiiSD_SD_iiiii,@function
_ZN4vllm25paged_attention_v2_kernelIthLi192ELi32ELi128ELNS_18Fp8KVCacheDataTypeE1ELb1ELi512EEEvPfS2_PT_PKS3_PKT0_S9_ifPKiSB_iPKfiiiSD_SD_iiiii: ; @_ZN4vllm25paged_attention_v2_kernelIthLi192ELi32ELi128ELNS_18Fp8KVCacheDataTypeE1ELb1ELi512EEEvPfS2_PT_PKS3_PKT0_S9_ifPKiSB_iPKfiiiSD_SD_iiiii
; %bb.0:
	s_clause 0x3
	s_load_b256 s[12:19], s[0:1], 0x68
	s_load_b32 s4, s[0:1], 0x88
	s_load_b256 s[20:27], s[0:1], 0x0
	s_load_b256 s[36:43], s[0:1], 0x20
	s_mov_b32 s32, 0
	v_mov_b32_e32 v31, v0
	s_getpc_b64 s[2:3]
	s_sext_i32_i16 s3, s3
	s_add_co_u32 s2, s2, _ZN4vllm22paged_attention_kernelIthLi192ELi32ELi128ELNS_18Fp8KVCacheDataTypeE1ELb1ELi512EEEvPfS2_PT_PKS3_PKT0_S9_ifPKiSB_iPKfiiiSD_SD_iiiii@rel32@lo+8
	s_add_co_ci_u32 s3, s3, _ZN4vllm22paged_attention_kernelIthLi192ELi32ELi128ELNS_18Fp8KVCacheDataTypeE1ELb1ELi512EEEvPfS2_PT_PKS3_PKT0_S9_ifPKiSB_iPKfiiiSD_SD_iiiii@rel32@hi+16
	s_add_nc_u64 s[8:9], s[0:1], 0x90
	s_wait_kmcnt 0x0
	v_dual_mov_b32 v1, s19 :: v_dual_mov_b32 v2, s4
	s_clause 0x2
	s_load_b96 s[4:6], s[0:1], 0x40
	s_load_b64 s[10:11], s[0:1], 0x50
	s_load_b96 s[28:30], s[0:1], 0x58
	v_dual_mov_b32 v0, s20 :: v_dual_mov_b32 v3, s23
	v_mov_b32_e32 v4, s24
	scratch_store_b64 off, v[1:2], s32
	v_dual_mov_b32 v1, s21 :: v_dual_mov_b32 v2, s22
	v_dual_mov_b32 v5, s25 :: v_dual_mov_b32 v6, s26
	;; [unrolled: 1-line block ×6, first 2 shown]
	s_wait_kmcnt 0x0
	v_dual_mov_b32 v15, s43 :: v_dual_mov_b32 v16, s4
	v_dual_mov_b32 v17, s5 :: v_dual_mov_b32 v18, s6
	;; [unrolled: 1-line block ×8, first 2 shown]
	s_mov_b32 s15, 9
	s_wait_alu 0xfffe
	s_swappc_b64 s[30:31], s[2:3]
	s_endpgm
	.section	.rodata,"a",@progbits
	.p2align	6, 0x0
	.amdhsa_kernel _ZN4vllm25paged_attention_v2_kernelIthLi192ELi32ELi128ELNS_18Fp8KVCacheDataTypeE1ELb1ELi512EEEvPfS2_PT_PKS3_PKT0_S9_ifPKiSB_iPKfiiiSD_SD_iiiii
		.amdhsa_group_segment_fixed_size 416
		.amdhsa_private_segment_fixed_size 660
		.amdhsa_kernarg_size 400
		.amdhsa_user_sgpr_count 2
		.amdhsa_user_sgpr_dispatch_ptr 0
		.amdhsa_user_sgpr_queue_ptr 0
		.amdhsa_user_sgpr_kernarg_segment_ptr 1
		.amdhsa_user_sgpr_dispatch_id 0
		.amdhsa_user_sgpr_private_segment_size 0
		.amdhsa_wavefront_size32 1
		.amdhsa_uses_dynamic_stack 0
		.amdhsa_enable_private_segment 1
		.amdhsa_system_sgpr_workgroup_id_x 1
		.amdhsa_system_sgpr_workgroup_id_y 1
		.amdhsa_system_sgpr_workgroup_id_z 1
		.amdhsa_system_sgpr_workgroup_info 0
		.amdhsa_system_vgpr_workitem_id 0
		.amdhsa_next_free_vgpr 192
		.amdhsa_next_free_sgpr 44
		.amdhsa_reserve_vcc 1
		.amdhsa_float_round_mode_32 0
		.amdhsa_float_round_mode_16_64 0
		.amdhsa_float_denorm_mode_32 3
		.amdhsa_float_denorm_mode_16_64 3
		.amdhsa_fp16_overflow 0
		.amdhsa_workgroup_processor_mode 1
		.amdhsa_memory_ordered 1
		.amdhsa_forward_progress 1
		.amdhsa_inst_pref_size 3
		.amdhsa_round_robin_scheduling 0
		.amdhsa_exception_fp_ieee_invalid_op 0
		.amdhsa_exception_fp_denorm_src 0
		.amdhsa_exception_fp_ieee_div_zero 0
		.amdhsa_exception_fp_ieee_overflow 0
		.amdhsa_exception_fp_ieee_underflow 0
		.amdhsa_exception_fp_ieee_inexact 0
		.amdhsa_exception_int_div_zero 0
	.end_amdhsa_kernel
	.section	.text._ZN4vllm25paged_attention_v2_kernelIthLi192ELi32ELi128ELNS_18Fp8KVCacheDataTypeE1ELb1ELi512EEEvPfS2_PT_PKS3_PKT0_S9_ifPKiSB_iPKfiiiSD_SD_iiiii,"axG",@progbits,_ZN4vllm25paged_attention_v2_kernelIthLi192ELi32ELi128ELNS_18Fp8KVCacheDataTypeE1ELb1ELi512EEEvPfS2_PT_PKS3_PKT0_S9_ifPKiSB_iPKfiiiSD_SD_iiiii,comdat
.Lfunc_end295:
	.size	_ZN4vllm25paged_attention_v2_kernelIthLi192ELi32ELi128ELNS_18Fp8KVCacheDataTypeE1ELb1ELi512EEEvPfS2_PT_PKS3_PKT0_S9_ifPKiSB_iPKfiiiSD_SD_iiiii, .Lfunc_end295-_ZN4vllm25paged_attention_v2_kernelIthLi192ELi32ELi128ELNS_18Fp8KVCacheDataTypeE1ELb1ELi512EEEvPfS2_PT_PKS3_PKT0_S9_ifPKiSB_iPKfiiiSD_SD_iiiii
                                        ; -- End function
	.set _ZN4vllm25paged_attention_v2_kernelIthLi192ELi32ELi128ELNS_18Fp8KVCacheDataTypeE1ELb1ELi512EEEvPfS2_PT_PKS3_PKT0_S9_ifPKiSB_iPKfiiiSD_SD_iiiii.num_vgpr, max(32, .L_ZN4vllm22paged_attention_kernelIthLi192ELi32ELi128ELNS_18Fp8KVCacheDataTypeE1ELb1ELi512EEEvPfS2_PT_PKS3_PKT0_S9_ifPKiSB_iPKfiiiSD_SD_iiiii.num_vgpr)
	.set _ZN4vllm25paged_attention_v2_kernelIthLi192ELi32ELi128ELNS_18Fp8KVCacheDataTypeE1ELb1ELi512EEEvPfS2_PT_PKS3_PKT0_S9_ifPKiSB_iPKfiiiSD_SD_iiiii.num_agpr, max(0, .L_ZN4vllm22paged_attention_kernelIthLi192ELi32ELi128ELNS_18Fp8KVCacheDataTypeE1ELb1ELi512EEEvPfS2_PT_PKS3_PKT0_S9_ifPKiSB_iPKfiiiSD_SD_iiiii.num_agpr)
	.set _ZN4vllm25paged_attention_v2_kernelIthLi192ELi32ELi128ELNS_18Fp8KVCacheDataTypeE1ELb1ELi512EEEvPfS2_PT_PKS3_PKT0_S9_ifPKiSB_iPKfiiiSD_SD_iiiii.numbered_sgpr, max(44, .L_ZN4vllm22paged_attention_kernelIthLi192ELi32ELi128ELNS_18Fp8KVCacheDataTypeE1ELb1ELi512EEEvPfS2_PT_PKS3_PKT0_S9_ifPKiSB_iPKfiiiSD_SD_iiiii.numbered_sgpr)
	.set _ZN4vllm25paged_attention_v2_kernelIthLi192ELi32ELi128ELNS_18Fp8KVCacheDataTypeE1ELb1ELi512EEEvPfS2_PT_PKS3_PKT0_S9_ifPKiSB_iPKfiiiSD_SD_iiiii.num_named_barrier, max(0, .L_ZN4vllm22paged_attention_kernelIthLi192ELi32ELi128ELNS_18Fp8KVCacheDataTypeE1ELb1ELi512EEEvPfS2_PT_PKS3_PKT0_S9_ifPKiSB_iPKfiiiSD_SD_iiiii.num_named_barrier)
	.set _ZN4vllm25paged_attention_v2_kernelIthLi192ELi32ELi128ELNS_18Fp8KVCacheDataTypeE1ELb1ELi512EEEvPfS2_PT_PKS3_PKT0_S9_ifPKiSB_iPKfiiiSD_SD_iiiii.private_seg_size, 0+max(.L_ZN4vllm22paged_attention_kernelIthLi192ELi32ELi128ELNS_18Fp8KVCacheDataTypeE1ELb1ELi512EEEvPfS2_PT_PKS3_PKT0_S9_ifPKiSB_iPKfiiiSD_SD_iiiii.private_seg_size)
	.set _ZN4vllm25paged_attention_v2_kernelIthLi192ELi32ELi128ELNS_18Fp8KVCacheDataTypeE1ELb1ELi512EEEvPfS2_PT_PKS3_PKT0_S9_ifPKiSB_iPKfiiiSD_SD_iiiii.uses_vcc, or(1, .L_ZN4vllm22paged_attention_kernelIthLi192ELi32ELi128ELNS_18Fp8KVCacheDataTypeE1ELb1ELi512EEEvPfS2_PT_PKS3_PKT0_S9_ifPKiSB_iPKfiiiSD_SD_iiiii.uses_vcc)
	.set _ZN4vllm25paged_attention_v2_kernelIthLi192ELi32ELi128ELNS_18Fp8KVCacheDataTypeE1ELb1ELi512EEEvPfS2_PT_PKS3_PKT0_S9_ifPKiSB_iPKfiiiSD_SD_iiiii.uses_flat_scratch, or(0, .L_ZN4vllm22paged_attention_kernelIthLi192ELi32ELi128ELNS_18Fp8KVCacheDataTypeE1ELb1ELi512EEEvPfS2_PT_PKS3_PKT0_S9_ifPKiSB_iPKfiiiSD_SD_iiiii.uses_flat_scratch)
	.set _ZN4vllm25paged_attention_v2_kernelIthLi192ELi32ELi128ELNS_18Fp8KVCacheDataTypeE1ELb1ELi512EEEvPfS2_PT_PKS3_PKT0_S9_ifPKiSB_iPKfiiiSD_SD_iiiii.has_dyn_sized_stack, or(0, .L_ZN4vllm22paged_attention_kernelIthLi192ELi32ELi128ELNS_18Fp8KVCacheDataTypeE1ELb1ELi512EEEvPfS2_PT_PKS3_PKT0_S9_ifPKiSB_iPKfiiiSD_SD_iiiii.has_dyn_sized_stack)
	.set _ZN4vllm25paged_attention_v2_kernelIthLi192ELi32ELi128ELNS_18Fp8KVCacheDataTypeE1ELb1ELi512EEEvPfS2_PT_PKS3_PKT0_S9_ifPKiSB_iPKfiiiSD_SD_iiiii.has_recursion, or(0, .L_ZN4vllm22paged_attention_kernelIthLi192ELi32ELi128ELNS_18Fp8KVCacheDataTypeE1ELb1ELi512EEEvPfS2_PT_PKS3_PKT0_S9_ifPKiSB_iPKfiiiSD_SD_iiiii.has_recursion)
	.set _ZN4vllm25paged_attention_v2_kernelIthLi192ELi32ELi128ELNS_18Fp8KVCacheDataTypeE1ELb1ELi512EEEvPfS2_PT_PKS3_PKT0_S9_ifPKiSB_iPKfiiiSD_SD_iiiii.has_indirect_call, or(0, .L_ZN4vllm22paged_attention_kernelIthLi192ELi32ELi128ELNS_18Fp8KVCacheDataTypeE1ELb1ELi512EEEvPfS2_PT_PKS3_PKT0_S9_ifPKiSB_iPKfiiiSD_SD_iiiii.has_indirect_call)
	.section	.AMDGPU.csdata,"",@progbits
; Kernel info:
; codeLenInByte = 272
; TotalNumSgprs: 46
; NumVgprs: 192
; ScratchSize: 660
; MemoryBound: 0
; FloatMode: 240
; IeeeMode: 1
; LDSByteSize: 416 bytes/workgroup (compile time only)
; SGPRBlocks: 0
; VGPRBlocks: 23
; NumSGPRsForWavesPerEU: 46
; NumVGPRsForWavesPerEU: 192
; Occupancy: 8
; WaveLimiterHint : 1
; COMPUTE_PGM_RSRC2:SCRATCH_EN: 1
; COMPUTE_PGM_RSRC2:USER_SGPR: 2
; COMPUTE_PGM_RSRC2:TRAP_HANDLER: 0
; COMPUTE_PGM_RSRC2:TGID_X_EN: 1
; COMPUTE_PGM_RSRC2:TGID_Y_EN: 1
; COMPUTE_PGM_RSRC2:TGID_Z_EN: 1
; COMPUTE_PGM_RSRC2:TIDIG_COMP_CNT: 0
	.text
	.p2align	2                               ; -- Begin function _ZN4vllm22paged_attention_kernelIthLi256ELi32ELi128ELNS_18Fp8KVCacheDataTypeE1ELb1ELi512EEEvPfS2_PT_PKS3_PKT0_S9_ifPKiSB_iPKfiiiSD_SD_iiiii
	.type	_ZN4vllm22paged_attention_kernelIthLi256ELi32ELi128ELNS_18Fp8KVCacheDataTypeE1ELb1ELi512EEEvPfS2_PT_PKS3_PKT0_S9_ifPKiSB_iPKfiiiSD_SD_iiiii,@function
_ZN4vllm22paged_attention_kernelIthLi256ELi32ELi128ELNS_18Fp8KVCacheDataTypeE1ELb1ELi512EEEvPfS2_PT_PKS3_PKT0_S9_ifPKiSB_iPKfiiiSD_SD_iiiii: ; @_ZN4vllm22paged_attention_kernelIthLi256ELi32ELi128ELNS_18Fp8KVCacheDataTypeE1ELb1ELi512EEEvPfS2_PT_PKS3_PKT0_S9_ifPKiSB_iPKfiiiSD_SD_iiiii
; %bb.0:
	s_wait_loadcnt_dscnt 0x0
	s_wait_expcnt 0x0
	s_wait_samplecnt 0x0
	s_wait_bvhcnt 0x0
	s_wait_kmcnt 0x0
	s_and_b32 s12, ttmp7, 0xffff
	s_clause 0x1f
	scratch_store_b32 off, v40, s32 offset:324
	; meta instruction
	scratch_store_b32 off, v41, s32 offset:320
	; meta instruction
	;; [unrolled: 2-line block ×31, first 2 shown]
	scratch_store_b32 off, v95, s32 offset:200
	s_clause 0x1f
	scratch_store_b32 off, v104, s32 offset:196
	; meta instruction
	scratch_store_b32 off, v105, s32 offset:192
	; meta instruction
	;; [unrolled: 2-line block ×31, first 2 shown]
	scratch_store_b32 off, v159, s32 offset:72
	s_clause 0x10
	scratch_store_b32 off, v168, s32 offset:68
	; meta instruction
	scratch_store_b32 off, v169, s32 offset:64
	; meta instruction
	;; [unrolled: 2-line block ×16, first 2 shown]
	scratch_store_b64 off, v[24:25], s32 offset:1064
	s_wait_alu 0xfffe
	s_lshl_b32 s0, s12, 2
	v_mov_b32_e32 v24, v0
	s_wait_alu 0xfffe
	v_add_co_u32 v0, vcc_lo, v16, s0
	v_dual_mov_b32 v79, v22 :: v_dual_mov_b32 v76, v4
	v_dual_mov_b32 v25, v3 :: v_dual_mov_b32 v22, v1
	s_wait_alu 0xfffd
	v_add_co_ci_u32_e64 v1, null, 0, v17, vcc_lo
	scratch_store_b32 off, v13, s32 offset:1072 ; 4-byte Folded Spill
	flat_load_b32 v88, v[0:1]
	s_clause 0x1
	scratch_load_b32 v0, off, s32 offset:4
	scratch_load_b32 v1, off, s32
	v_dual_mov_b32 v75, v5 :: v_dual_mov_b32 v32, v2
	s_lshr_b32 s14, ttmp7, 16
	s_mov_b32 s18, exec_lo
	s_wait_alu 0xfffe
	s_lshl_b32 s19, s14, 9
	s_wait_loadcnt_dscnt 0x200
	s_wait_alu 0xfffe
	v_cmpx_lt_i32_e64 s19, v88
	s_cbranch_execnz .LBB296_1
; %bb.4211:
	s_getpc_b64 s[26:27]
.Lpost_getpc0:
	s_wait_alu 0xfffe
	s_add_co_u32 s26, s26, (.LBB296_4210-.Lpost_getpc0)&4294967295
	s_add_co_ci_u32 s27, s27, (.LBB296_4210-.Lpost_getpc0)>>32
	s_wait_alu 0xfffe
	s_setpc_b64 s[26:27]
.LBB296_1:
	v_dual_mov_b32 v3, 0 :: v_dual_mov_b32 v2, 0
	s_clause 0x1
	s_load_u16 s0, s[8:9], 0x12
	s_load_b32 s1, s[8:9], 0x0
	s_mov_b32 s4, s15
	global_load_u16 v4, v3, s[8:9] offset:22
	scratch_store_b32 off, v2, s32 offset:1076 ; 4-byte Folded Spill
	v_sub_nc_u32_e32 v2, 0, v12
	s_delay_alu instid0(VALU_DEP_1) | instskip(NEXT) | instid1(VALU_DEP_1)
	v_max_i32_e32 v2, v12, v2
	v_cvt_f32_u32_e32 v3, v2
	v_sub_nc_u32_e32 v5, 0, v2
	s_delay_alu instid0(VALU_DEP_2)
	v_rcp_iflag_f32_e32 v3, v3
	s_wait_kmcnt 0x0
	s_cmp_lg_u32 s0, 0
	s_cselect_b32 s0, -1, 0
	s_wait_alu 0xfffe
	s_cmp_lg_u32 s0, 0
	s_add_co_ci_u32 s13, s1, 0
	s_mov_b32 s1, exec_lo
	s_wait_alu 0xfffe
	s_abs_i32 s0, s13
	v_mul_f32_e32 v3, 0x4f7ffffe, v3
	s_delay_alu instid0(VALU_DEP_1) | instskip(NEXT) | instid1(VALU_DEP_1)
	v_cvt_u32_f32_e32 v3, v3
	v_mul_lo_u32 v5, v5, v3
	s_delay_alu instid0(VALU_DEP_1) | instskip(NEXT) | instid1(VALU_DEP_1)
	v_mul_hi_u32 v5, v3, v5
	v_add_nc_u32_e32 v3, v3, v5
	s_wait_alu 0xfffe
	s_delay_alu instid0(VALU_DEP_1) | instskip(NEXT) | instid1(VALU_DEP_1)
	v_mul_hi_u32 v3, s0, v3
	v_mul_lo_u32 v5, v3, v2
	s_delay_alu instid0(VALU_DEP_1) | instskip(SKIP_1) | instid1(VALU_DEP_1)
	v_sub_nc_u32_e32 v5, s0, v5
	s_abs_i32 s0, ttmp9
	v_sub_nc_u32_e32 v13, v5, v2
	v_cmp_ge_u32_e32 vcc_lo, v5, v2
	s_wait_alu 0xfffd
	s_delay_alu instid0(VALU_DEP_2) | instskip(NEXT) | instid1(VALU_DEP_1)
	v_dual_cndmask_b32 v5, v5, v13 :: v_dual_add_nc_u32 v16, 1, v3
	v_cndmask_b32_e32 v3, v3, v16, vcc_lo
	v_xor_b32_e32 v16, s13, v12
	s_delay_alu instid0(VALU_DEP_3) | instskip(NEXT) | instid1(VALU_DEP_3)
	v_cmp_ge_u32_e32 vcc_lo, v5, v2
	v_add_nc_u32_e32 v13, 1, v3
	s_delay_alu instid0(VALU_DEP_3) | instskip(SKIP_1) | instid1(VALU_DEP_2)
	v_ashrrev_i32_e32 v16, 31, v16
	s_wait_alu 0xfffd
	v_cndmask_b32_e32 v2, v3, v13, vcc_lo
	s_delay_alu instid0(VALU_DEP_1) | instskip(NEXT) | instid1(VALU_DEP_1)
	v_xor_b32_e32 v2, v2, v16
	v_sub_nc_u32_e32 v3, v2, v16
	s_delay_alu instid0(VALU_DEP_1) | instskip(NEXT) | instid1(VALU_DEP_1)
	v_sub_nc_u32_e32 v2, 0, v3
	v_max_i32_e32 v2, v3, v2
	s_delay_alu instid0(VALU_DEP_1) | instskip(SKIP_1) | instid1(VALU_DEP_2)
	v_cvt_f32_u32_e32 v5, v2
	v_sub_nc_u32_e32 v13, 0, v2
	v_rcp_iflag_f32_e32 v5, v5
	s_delay_alu instid0(TRANS32_DEP_1) | instskip(NEXT) | instid1(VALU_DEP_1)
	v_mul_f32_e32 v5, 0x4f7ffffe, v5
	v_cvt_u32_f32_e32 v5, v5
	s_delay_alu instid0(VALU_DEP_1) | instskip(NEXT) | instid1(VALU_DEP_1)
	v_mul_lo_u32 v13, v13, v5
	v_mul_hi_u32 v13, v5, v13
	s_delay_alu instid0(VALU_DEP_1) | instskip(SKIP_1) | instid1(VALU_DEP_1)
	v_add_nc_u32_e32 v5, v5, v13
	s_wait_alu 0xfffe
	v_mad_co_u64_u32 v[16:17], null, s0, v5, 0
	s_wait_loadcnt 0x0
	v_readfirstlane_b32 s15, v4
	v_cmpx_ne_u64_e32 0, v[19:20]
	s_cbranch_execz .LBB296_3
; %bb.2:
	s_mov_b32 s2, ttmp9
	s_ashr_i32 s3, ttmp9, 31
	s_wait_alu 0xfffe
	s_lshl_b64 s[2:3], s[2:3], 2
	s_wait_alu 0xfffe
	v_add_co_u32 v4, vcc_lo, v19, s2
	s_wait_alu 0xfffd
	v_add_co_ci_u32_e64 v5, null, s3, v20, vcc_lo
	flat_load_b32 v4, v[4:5]
	s_wait_loadcnt_dscnt 0x0
	scratch_store_b32 off, v4, s32 offset:1076 ; 4-byte Folded Spill
.LBB296_3:
	s_or_b32 exec_lo, exec_lo, s1
	v_and_b32_e32 v77, 0x3ff, v31
	v_ashrrev_i32_e32 v3, 31, v3
	s_ashr_i32 s1, ttmp9, 31
	s_lshl_b32 s10, ttmp9, 8
	s_mov_b32 s2, exec_lo
	v_cmpx_gt_u32_e32 32, v77
	s_cbranch_execz .LBB296_5
; %bb.4:
	v_mul_lo_u32 v4, v21, s12
	s_wait_alu 0xfffe
	s_ashr_i32 s11, s10, 31
	v_lshlrev_b32_e32 v13, 4, v77
	s_wait_alu 0xfffe
	s_lshl_b64 s[6:7], s[10:11], 1
	s_delay_alu instid0(VALU_DEP_2) | instskip(NEXT) | instid1(VALU_DEP_1)
	v_ashrrev_i32_e32 v5, 31, v4
	v_lshlrev_b64_e32 v[4:5], 1, v[4:5]
	s_delay_alu instid0(VALU_DEP_1) | instskip(SKIP_1) | instid1(VALU_DEP_2)
	v_add_co_u32 v4, vcc_lo, v6, v4
	s_wait_alu 0xfffd
	v_add_co_ci_u32_e64 v5, null, v7, v5, vcc_lo
	s_wait_alu 0xfffe
	s_delay_alu instid0(VALU_DEP_2) | instskip(SKIP_1) | instid1(VALU_DEP_2)
	v_add_co_u32 v4, vcc_lo, v4, s6
	s_wait_alu 0xfffd
	v_add_co_ci_u32_e64 v5, null, s7, v5, vcc_lo
	s_delay_alu instid0(VALU_DEP_2) | instskip(SKIP_1) | instid1(VALU_DEP_2)
	v_add_co_u32 v4, vcc_lo, v4, v13
	s_wait_alu 0xfffd
	v_add_co_ci_u32_e64 v5, null, 0, v5, vcc_lo
	flat_load_b128 v[4:7], v[4:5]
	s_wait_loadcnt_dscnt 0x0
	ds_store_b128 v13, v[4:7]
.LBB296_5:
	s_wait_alu 0xfffe
	s_or_b32 exec_lo, exec_lo, s2
	v_sub_nc_u32_e32 v4, 0, v1
	v_mul_lo_u32 v5, v17, v2
	v_xor_b32_e32 v3, s1, v3
	v_add_nc_u32_e32 v7, 1, v17
	s_delay_alu instid0(VALU_DEP_4) | instskip(NEXT) | instid1(VALU_DEP_4)
	v_max_i32_e32 v89, v1, v4
	v_sub_nc_u32_e32 v5, s0, v5
	s_delay_alu instid0(VALU_DEP_2) | instskip(SKIP_1) | instid1(VALU_DEP_2)
	v_cvt_f32_u32_e32 v4, v89
	s_mov_b32 s0, exec_lo
	v_sub_nc_u32_e32 v16, v5, v2
	s_delay_alu instid0(VALU_DEP_2) | instskip(SKIP_2) | instid1(VALU_DEP_2)
	v_rcp_iflag_f32_e32 v4, v4
	v_cmp_ge_u32_e32 vcc_lo, v5, v2
	s_wait_alu 0xfffd
	v_cndmask_b32_e32 v5, v5, v16, vcc_lo
	s_delay_alu instid0(TRANS32_DEP_1) | instskip(NEXT) | instid1(VALU_DEP_2)
	v_dual_cndmask_b32 v7, v17, v7 :: v_dual_mul_f32 v4, 0x4f7ffffe, v4
	v_cmp_ge_u32_e32 vcc_lo, v5, v2
	s_delay_alu instid0(VALU_DEP_2) | instskip(SKIP_1) | instid1(VALU_DEP_1)
	v_cvt_u32_f32_e32 v6, v4
	v_sub_nc_u32_e32 v4, 0, v89
	v_mul_lo_u32 v13, v4, v6
	v_add_nc_u32_e32 v4, -1, v88
	v_add_nc_u32_e32 v17, 1, v7
	s_delay_alu instid0(VALU_DEP_3) | instskip(NEXT) | instid1(VALU_DEP_3)
	v_mul_hi_u32 v16, v6, v13
	v_sub_nc_u32_e32 v13, 0, v4
	s_wait_alu 0xfffd
	s_delay_alu instid0(VALU_DEP_3) | instskip(NEXT) | instid1(VALU_DEP_2)
	v_cndmask_b32_e32 v5, v7, v17, vcc_lo
	v_max_i32_e32 v2, v4, v13
	s_delay_alu instid0(VALU_DEP_4) | instskip(NEXT) | instid1(VALU_DEP_3)
	v_add_nc_u32_e32 v6, v6, v16
	v_xor_b32_e32 v5, v5, v3
	s_delay_alu instid0(VALU_DEP_2) | instskip(NEXT) | instid1(VALU_DEP_2)
	v_mad_co_u64_u32 v[16:17], null, v2, v6, 0
	v_sub_nc_u32_e32 v16, v5, v3
	scratch_store_b32 off, v6, s32 offset:336 ; 4-byte Folded Spill
	s_wait_storecnt_dscnt 0x0
	s_barrier_signal -1
	s_barrier_wait -1
	global_inv scope:SCOPE_SE
                                        ; implicit-def: $vgpr3
	scratch_store_b64 off, v[3:4], s32 offset:328 ; 8-byte Folded Spill
	v_cmpx_gt_i32_e32 0, v0
	s_wait_alu 0xfffe
	s_xor_b32 s0, exec_lo, s0
	s_cbranch_execz .LBB296_7
; %bb.6:
	v_mad_co_u64_u32 v[5:6], null, v28, v12, v[16:17]
                                        ; implicit-def: $vgpr28
	s_delay_alu instid0(VALU_DEP_1) | instskip(NEXT) | instid1(VALU_DEP_1)
	v_mul_lo_u32 v0, v5, v0
	v_sub_nc_u32_e32 v0, 1, v0
	scratch_store_b64 off, v[0:1], s32 offset:328 ; 8-byte Folded Spill
                                        ; implicit-def: $vgpr0
.LBB296_7:
	s_wait_alu 0xfffe
	s_or_saveexec_b32 s0, s0
	v_ashrrev_i32_e32 v3, 31, v4
	v_ashrrev_i32_e32 v90, 31, v1
	s_wait_alu 0xfffe
	s_xor_b32 exec_lo, exec_lo, s0
	s_cbranch_execz .LBB296_9
; %bb.8:
	s_mov_b32 s2, ttmp9
	s_wait_alu 0xfffe
	v_mad_co_u64_u32 v[4:5], null, s13, v28, s[2:3]
	s_delay_alu instid0(VALU_DEP_1)
	v_mad_co_u64_u32 v[0:1], null, v4, v0, 1
	scratch_store_b64 off, v[0:1], s32 offset:328 ; 8-byte Folded Spill
.LBB296_9:
	s_or_b32 exec_lo, exec_lo, s0
	v_mul_lo_u32 v0, v17, v89
	v_add_nc_u32_e32 v4, 1, v17
	s_load_b32 s11, s[8:9], 0x8
	v_xor_b32_e32 v3, v3, v90
	v_lshrrev_b32_e32 v78, 5, v77
	s_lshl_b32 s3, s14, 4
	v_mul_lo_u32 v12, v16, v23
	s_wait_alu 0xfffe
	s_add_co_i32 s0, s3, 16
	v_sub_nc_u32_e32 v2, v2, v0
	v_mul_lo_u32 v0, v18, s12
	v_add_nc_u32_e32 v91, s3, v78
	v_sub_nc_u32_e32 v19, 0, v30
	v_lshl_add_u32 v93, v78, 5, s19
	v_sub_nc_u32_e32 v6, v2, v89
	v_cmp_ge_u32_e32 vcc_lo, v2, v89
	v_add_nc_u32_e32 v1, 31, v88
	v_ashrrev_i32_e32 v23, 31, v12
	v_lshlrev_b32_e32 v16, 2, v91
	s_wait_alu 0xfffd
	v_dual_cndmask_b32 v4, v17, v4 :: v_dual_and_b32 v7, 31, v77
	v_cndmask_b32_e32 v2, v2, v6, vcc_lo
	v_ashrrev_i32_e32 v5, 31, v1
	s_delay_alu instid0(VALU_DEP_3) | instskip(NEXT) | instid1(VALU_DEP_4)
	v_lshlrev_b32_e32 v17, 2, v7
	v_add_nc_u32_e32 v6, 1, v4
	s_delay_alu instid0(VALU_DEP_4) | instskip(NEXT) | instid1(VALU_DEP_4)
	v_cmp_ge_u32_e32 vcc_lo, v2, v89
	v_lshrrev_b32_e32 v5, 27, v5
	v_mov_b32_e32 v18, 0xff7fffff
	s_wait_alu 0xfffd
	s_delay_alu instid0(VALU_DEP_2) | instskip(NEXT) | instid1(VALU_DEP_1)
	v_dual_cndmask_b32 v2, v4, v6 :: v_dual_add_nc_u32 v1, v1, v5
	v_xor_b32_e32 v2, v2, v3
	s_delay_alu instid0(VALU_DEP_2) | instskip(SKIP_1) | instid1(VALU_DEP_3)
	v_ashrrev_i32_e32 v13, 5, v1
	v_ashrrev_i32_e32 v1, 31, v0
	v_sub_nc_u32_e32 v2, v2, v3
	s_wait_alu 0xfffe
	s_delay_alu instid0(VALU_DEP_3) | instskip(NEXT) | instid1(VALU_DEP_3)
	v_min_i32_e32 v92, s0, v13
	v_lshlrev_b64_e32 v[33:34], 2, v[0:1]
	s_delay_alu instid0(VALU_DEP_3) | instskip(NEXT) | instid1(VALU_DEP_3)
	v_sub_nc_u32_e32 v0, v2, v29
	v_cmp_lt_i32_e64 s0, v91, v92
	s_clause 0x1
	scratch_store_b32 off, v0, s32 offset:340
	scratch_store_b32 off, v7, s32 offset:1060
	s_and_saveexec_b32 s16, s0
	s_cbranch_execz .LBB296_2065
; %bb.10:
	s_clause 0x10
	scratch_store_b32 off, v93, s32 offset:1188
	scratch_store_b32 off, v13, s32 offset:1160
	;; [unrolled: 1-line block ×17, first 2 shown]
	s_clause 0x1
	scratch_load_b32 v7, off, s32 offset:1060
	scratch_load_b32 v5, off, s32 offset:1076
	v_max_i32_e32 v4, v30, v19
	s_ashr_i32 s5, s4, 31
	s_getpc_b64 s[6:7]
	s_wait_alu 0xfffe
	s_sext_i32_i16 s7, s7
	s_add_co_u32 s6, s6, llvm.amdgcn.dynlds.offset.table@rel32@lo+12
	s_wait_alu 0xfffe
	s_add_co_ci_u32 s7, s7, llvm.amdgcn.dynlds.offset.table@rel32@hi+24
	s_lshl_b64 s[8:9], s[4:5], 2
	v_add_co_u32 v1, vcc_lo, v8, v12
	v_cvt_f32_u32_e32 v0, v4
	s_clause 0x7
	scratch_store_b32 off, v4, s32 offset:672
	scratch_store_b32 off, v12, s32 offset:1156
	;; [unrolled: 1-line block ×4, first 2 shown]
	scratch_store_b64 off, v[33:34], s32 offset:1164
	scratch_store_b32 off, v78, s32 offset:1112
	scratch_store_b32 off, v17, s32 offset:1184
	;; [unrolled: 1-line block ×3, first 2 shown]
	v_rcp_iflag_f32_e32 v0, v0
	v_sub_nc_u32_e32 v4, 0, v4
	s_wait_alu 0xfffe
	s_add_nc_u64 s[6:7], s[6:7], s[8:9]
	s_wait_alu 0xfffd
	v_add_co_ci_u32_e64 v2, null, v9, v23, vcc_lo
	s_load_b32 s5, s[6:7], 0x0
	v_lshl_add_u32 v9, v78, 5, s19
	v_mov_b32_e32 v70, v91
	v_lshl_or_b32 v171, v78, 7, v17
	v_mov_b32_e32 v18, 0xff7fffff
	v_mul_f32_e32 v0, 0x4f7ffffe, v0
	s_mov_b32 s8, -1
	s_mov_b32 s17, 0
	s_mov_b32 s9, 0xffffff
	s_wait_loadcnt 0x1
	v_lshlrev_b32_e32 v3, 4, v7
	v_cvt_u32_f32_e32 v0, v0
	s_wait_loadcnt 0x0
	v_cmp_neq_f32_e32 vcc_lo, 0, v5
	v_add_co_u32 v5, s1, v33, v16
	s_wait_alu 0xf1ff
	v_add_co_ci_u32_e64 v6, null, 0, v34, s1
	v_mul_lo_u32 v4, v4, v0
	v_add_co_u32 v1, s1, v1, v3
	v_sub_nc_u32_e32 v7, v7, v88
	s_wait_alu 0xf1ff
	v_add_co_ci_u32_e64 v2, null, 0, v2, s1
	v_add_co_u32 v20, s1, v14, v5
	v_mul_hi_u32 v4, v0, v4
	v_mov_b32_e32 v8, 0
	s_clause 0x1
	scratch_store_b64 off, v[1:2], s32 offset:1088
	scratch_store_b32 off, v14, s32 offset:1124
	s_wait_alu 0xf1ff
	v_add_co_ci_u32_e64 v21, null, v15, v6, s1
	v_add_nc_u32_e32 v1, 1, v7
	scratch_store_b32 off, v15, s32 offset:1120 ; 4-byte Folded Spill
	v_add_nc_u32_e32 v0, v0, v4
	s_clause 0x2
	scratch_store_b32 off, v1, s32 offset:1096
	scratch_store_b32 off, v0, s32 offset:676
	;; [unrolled: 1-line block ×3, first 2 shown]
	s_branch .LBB296_16
.LBB296_11:                             ;   in Loop: Header=BB296_16 Depth=1
	s_wait_alu 0xfffe
	s_or_b32 exec_lo, exec_lo, s23
	v_lshlrev_b32_e32 v7, 8, v7
	v_lshl_add_u32 v29, v29, 10, 0x2000
	v_lshlrev_b32_e32 v28, 23, v28
	s_delay_alu instid0(VALU_DEP_2) | instskip(NEXT) | instid1(VALU_DEP_1)
	v_and_or_b32 v7, 0x8000, v7, v29
	v_lshl_or_b32 v28, v7, 16, v28
.LBB296_12:                             ;   in Loop: Header=BB296_16 Depth=1
	s_wait_alu 0xfffe
	s_or_b32 exec_lo, exec_lo, s22
.LBB296_13:                             ;   in Loop: Header=BB296_16 Depth=1
	s_wait_alu 0xfffe
	s_or_b32 exec_lo, exec_lo, s21
.LBB296_14:                             ;   in Loop: Header=BB296_16 Depth=1
	s_wait_alu 0xfffe
	s_or_b32 exec_lo, exec_lo, s20
	v_or_b32_e32 v0, v14, v0
	v_or_b32_e32 v7, v123, v122
	v_fma_mixlo_f16 v29, v71, v123, 0 op_sel:[0,1,0] op_sel_hi:[0,1,0]
	v_fma_mixlo_f16 v1, v71, v145, 0 op_sel:[0,1,0] op_sel_hi:[0,1,0]
	;; [unrolled: 1-line block ×3, first 2 shown]
	v_fma_mixlo_f16 v0, v71, v0, 0 op_sel_hi:[0,1,0]
	v_fma_mixlo_f16 v7, v71, v7, 0 op_sel_hi:[0,1,0]
	v_fma_mixlo_f16 v122, v71, v12, 0 op_sel:[0,1,0] op_sel_hi:[0,1,0]
	v_fma_mixlo_f16 v41, v71, v62, 0 op_sel:[0,1,0] op_sel_hi:[0,1,0]
	s_clause 0x1
	scratch_store_b32 off, v1, s32 offset:732
	scratch_store_b32 off, v0, s32 offset:1032
	v_or_b32_e32 v0, v42, v30
	s_delay_alu instid0(VALU_DEP_1) | instskip(SKIP_2) | instid1(VALU_DEP_1)
	v_fma_mixlo_f16 v0, v71, v0, 0 op_sel_hi:[0,1,0]
	scratch_store_b32 off, v0, s32 offset:1016 ; 4-byte Folded Spill
	v_or_b32_e32 v0, v18, v68
	v_fma_mixlo_f16 v0, v71, v0, 0 op_sel_hi:[0,1,0]
	scratch_store_b32 off, v7, s32 offset:704 ; 4-byte Folded Spill
	v_or_b32_e32 v7, v161, v120
	scratch_store_b32 off, v0, s32 offset:1008 ; 4-byte Folded Spill
	v_fma_mixlo_f16 v0, v71, v18, 0 op_sel:[0,1,0] op_sel_hi:[0,1,0]
	v_fma_mixlo_f16 v7, v71, v7, 0 op_sel_hi:[0,1,0]
	v_fma_mixlo_f16 v18, v71, v140, 0 op_sel:[0,1,0] op_sel_hi:[0,1,0]
	s_clause 0x1
	scratch_store_b32 off, v0, s32 offset:1004
	scratch_store_b32 off, v7, s32 offset:712
	v_or_b32_e32 v7, v184, v164
	v_or_b32_e32 v0, v3, v67
	s_delay_alu instid0(VALU_DEP_2) | instskip(NEXT) | instid1(VALU_DEP_2)
	v_fma_mixlo_f16 v7, v71, v7, 0 op_sel_hi:[0,1,0]
	v_fma_mixlo_f16 v0, v71, v0, 0 op_sel_hi:[0,1,0]
	scratch_store_b32 off, v7, s32 offset:696 ; 4-byte Folded Spill
	v_or_b32_e32 v7, v126, v166
	scratch_store_b32 off, v0, s32 offset:1052 ; 4-byte Folded Spill
	scratch_load_b32 v0, off, s32 offset:612 th:TH_LOAD_LU ; 4-byte Folded Reload
	v_fma_mixlo_f16 v7, v71, v7, 0 op_sel_hi:[0,1,0]
	scratch_store_b32 off, v7, s32 offset:688 ; 4-byte Folded Spill
	v_fma_mixlo_f16 v7, v71, v126, 0 op_sel:[0,1,0] op_sel_hi:[0,1,0]
	scratch_store_b32 off, v29, s32 offset:700 ; 4-byte Folded Spill
	v_fma_mixlo_f16 v29, v71, v161, 0 op_sel:[0,1,0] op_sel_hi:[0,1,0]
	scratch_store_b32 off, v7, s32 offset:684 ; 4-byte Folded Spill
	v_or_b32_e32 v7, v145, v134
	s_delay_alu instid0(VALU_DEP_1)
	v_fma_mixlo_f16 v1, v71, v7, 0 op_sel_hi:[0,1,0]
	v_or_b32_e32 v7, v106, v104
	v_fma_mixlo_f16 v104, v71, v64, 0 op_sel:[0,1,0] op_sel_hi:[0,1,0]
	scratch_store_b32 off, v1, s32 offset:736 ; 4-byte Folded Spill
	v_fma_mixlo_f16 v1, v71, v106, 0 op_sel:[0,1,0] op_sel_hi:[0,1,0]
	v_fma_mixlo_f16 v106, v71, v155, 0 op_sel:[0,1,0] op_sel_hi:[0,1,0]
	scratch_store_b32 off, v1, s32 offset:740 ; 4-byte Folded Spill
	v_fma_mixlo_f16 v1, v71, v7, 0 op_sel_hi:[0,1,0]
	v_or_b32_e32 v7, v148, v107
	scratch_store_b32 off, v1, s32 offset:744 ; 4-byte Folded Spill
	v_fma_mixlo_f16 v1, v71, v148, 0 op_sel:[0,1,0] op_sel_hi:[0,1,0]
	scratch_store_b32 off, v1, s32 offset:724 ; 4-byte Folded Spill
	v_fma_mixlo_f16 v1, v71, v7, 0 op_sel_hi:[0,1,0]
	v_or_b32_e32 v7, v150, v109
	s_delay_alu instid0(VALU_DEP_1)
	v_fma_mixlo_f16 v7, v71, v7, 0 op_sel_hi:[0,1,0]
	scratch_store_b32 off, v7, s32 offset:720 ; 4-byte Folded Spill
	v_fma_mixlo_f16 v7, v71, v150, 0 op_sel:[0,1,0] op_sel_hi:[0,1,0]
	s_clause 0x1
	scratch_store_b32 off, v29, s32 offset:708
	scratch_store_b32 off, v1, s32 offset:728
	v_fma_mixlo_f16 v1, v71, v6, 0 op_sel:[0,1,0] op_sel_hi:[0,1,0]
	v_fma_mixlo_f16 v29, v71, v184, 0 op_sel:[0,1,0] op_sel_hi:[0,1,0]
	scratch_store_b32 off, v7, s32 offset:716 ; 4-byte Folded Spill
	v_or_b32_e32 v7, v6, v189
	v_or_b32_e32 v6, v85, v185
	scratch_store_b32 off, v1, s32 offset:764 ; 4-byte Folded Spill
	v_fma_mixlo_f16 v1, v71, v7, 0 op_sel_hi:[0,1,0]
	scratch_store_b32 off, v1, s32 offset:768 ; 4-byte Folded Spill
	v_fma_mixlo_f16 v1, v71, v85, 0 op_sel:[0,1,0] op_sel_hi:[0,1,0]
	scratch_store_b32 off, v1, s32 offset:772 ; 4-byte Folded Spill
	v_fma_mixlo_f16 v1, v71, v6, 0 op_sel_hi:[0,1,0]
	v_or_b32_e32 v6, v88, v190
	scratch_store_b32 off, v1, s32 offset:776 ; 4-byte Folded Spill
	v_fma_mixlo_f16 v1, v71, v88, 0 op_sel:[0,1,0] op_sel_hi:[0,1,0]
	v_fma_mixlo_f16 v88, v71, v169, 0 op_sel:[0,1,0] op_sel_hi:[0,1,0]
	scratch_store_b32 off, v1, s32 offset:756 ; 4-byte Folded Spill
	v_fma_mixlo_f16 v1, v71, v6, 0 op_sel_hi:[0,1,0]
	v_or_b32_e32 v6, v93, v77
	scratch_store_b32 off, v1, s32 offset:760 ; 4-byte Folded Spill
	v_fma_mixlo_f16 v1, v71, v6, 0 op_sel_hi:[0,1,0]
	v_or_b32_e32 v6, v156, v142
	scratch_store_b32 off, v1, s32 offset:752 ; 4-byte Folded Spill
	v_fma_mixlo_f16 v1, v71, v93, 0 op_sel:[0,1,0] op_sel_hi:[0,1,0]
	v_fma_mixlo_f16 v93, v71, v94, 0 op_sel:[0,1,0] op_sel_hi:[0,1,0]
	scratch_store_b32 off, v1, s32 offset:748 ; 4-byte Folded Spill
	v_fma_mixlo_f16 v1, v71, v156, 0 op_sel:[0,1,0] op_sel_hi:[0,1,0]
	scratch_store_b32 off, v1, s32 offset:796 ; 4-byte Folded Spill
	v_fma_mixlo_f16 v1, v71, v6, 0 op_sel_hi:[0,1,0]
	v_or_b32_e32 v6, v135, v132
	scratch_store_b32 off, v1, s32 offset:800 ; 4-byte Folded Spill
	v_fma_mixlo_f16 v1, v71, v135, 0 op_sel:[0,1,0] op_sel_hi:[0,1,0]
	scratch_store_b32 off, v1, s32 offset:804 ; 4-byte Folded Spill
	v_fma_mixlo_f16 v1, v71, v6, 0 op_sel_hi:[0,1,0]
	v_or_b32_e32 v6, v159, v153
	;; [unrolled: 5-line block ×3, first 2 shown]
	scratch_store_b32 off, v1, s32 offset:792 ; 4-byte Folded Spill
	v_fma_mixlo_f16 v1, v71, v6, 0 op_sel_hi:[0,1,0]
	v_or_b32_e32 v6, v128, v118
	scratch_store_b32 off, v1, s32 offset:784 ; 4-byte Folded Spill
	v_fma_mixlo_f16 v1, v71, v167, 0 op_sel:[0,1,0] op_sel_hi:[0,1,0]
	scratch_store_b32 off, v1, s32 offset:780 ; 4-byte Folded Spill
	v_fma_mixlo_f16 v1, v71, v128, 0 op_sel:[0,1,0] op_sel_hi:[0,1,0]
	scratch_store_b32 off, v1, s32 offset:828 ; 4-byte Folded Spill
	v_fma_mixlo_f16 v1, v71, v6, 0 op_sel_hi:[0,1,0]
	v_or_b32_e32 v6, v116, v113
	scratch_store_b32 off, v1, s32 offset:832 ; 4-byte Folded Spill
	v_fma_mixlo_f16 v1, v71, v116, 0 op_sel:[0,1,0] op_sel_hi:[0,1,0]
	v_fma_mixlo_f16 v116, v71, v143, 0 op_sel:[0,1,0] op_sel_hi:[0,1,0]
	scratch_store_b32 off, v1, s32 offset:836 ; 4-byte Folded Spill
	v_fma_mixlo_f16 v1, v71, v6, 0 op_sel_hi:[0,1,0]
	v_or_b32_e32 v6, v129, v117
	v_fma_mixlo_f16 v117, v71, v157, 0 op_sel:[0,1,0] op_sel_hi:[0,1,0]
	scratch_store_b32 off, v1, s32 offset:840 ; 4-byte Folded Spill
	v_fma_mixlo_f16 v1, v71, v129, 0 op_sel:[0,1,0] op_sel_hi:[0,1,0]
	scratch_store_b32 off, v1, s32 offset:820 ; 4-byte Folded Spill
	v_fma_mixlo_f16 v1, v71, v6, 0 op_sel_hi:[0,1,0]
	v_or_b32_e32 v6, v23, v119
	scratch_store_b32 off, v1, s32 offset:824 ; 4-byte Folded Spill
	v_fma_mixlo_f16 v1, v71, v6, 0 op_sel_hi:[0,1,0]
	v_or_b32_e32 v6, v115, v50
	scratch_store_b32 off, v1, s32 offset:816 ; 4-byte Folded Spill
	v_fma_mixlo_f16 v1, v71, v23, 0 op_sel:[0,1,0] op_sel_hi:[0,1,0]
	scratch_store_b32 off, v1, s32 offset:812 ; 4-byte Folded Spill
	v_fma_mixlo_f16 v1, v71, v115, 0 op_sel:[0,1,0] op_sel_hi:[0,1,0]
	scratch_store_b32 off, v1, s32 offset:860 ; 4-byte Folded Spill
	v_fma_mixlo_f16 v1, v71, v6, 0 op_sel_hi:[0,1,0]
	v_or_b32_e32 v6, v49, v39
	scratch_store_b32 off, v1, s32 offset:864 ; 4-byte Folded Spill
	v_fma_mixlo_f16 v1, v71, v49, 0 op_sel:[0,1,0] op_sel_hi:[0,1,0]
	scratch_store_b32 off, v1, s32 offset:868 ; 4-byte Folded Spill
	v_fma_mixlo_f16 v1, v71, v6, 0 op_sel_hi:[0,1,0]
	v_or_b32_e32 v6, v102, v100
	v_fma_mixlo_f16 v100, v71, v74, 0 op_sel:[0,1,0] op_sel_hi:[0,1,0]
	scratch_store_b32 off, v1, s32 offset:872 ; 4-byte Folded Spill
	v_fma_mixlo_f16 v1, v71, v102, 0 op_sel:[0,1,0] op_sel_hi:[0,1,0]
	scratch_store_b32 off, v1, s32 offset:852 ; 4-byte Folded Spill
	v_fma_mixlo_f16 v1, v71, v6, 0 op_sel_hi:[0,1,0]
	v_or_b32_e32 v6, v103, v38
	v_fma_mixlo_f16 v38, v71, v90, 0 op_sel:[0,1,0] op_sel_hi:[0,1,0]
	scratch_store_b32 off, v1, s32 offset:856 ; 4-byte Folded Spill
	v_fma_mixlo_f16 v1, v71, v6, 0 op_sel_hi:[0,1,0]
	v_or_b32_e32 v6, v114, v66
	scratch_store_b32 off, v1, s32 offset:848 ; 4-byte Folded Spill
	v_fma_mixlo_f16 v1, v71, v103, 0 op_sel:[0,1,0] op_sel_hi:[0,1,0]
	v_fma_mixlo_f16 v103, v71, v47, 0 op_sel:[0,1,0] op_sel_hi:[0,1,0]
	scratch_store_b32 off, v1, s32 offset:844 ; 4-byte Folded Spill
	v_fma_mixlo_f16 v1, v71, v114, 0 op_sel:[0,1,0] op_sel_hi:[0,1,0]
	v_fma_mixlo_f16 v114, v71, v55, 0 op_sel:[0,1,0] op_sel_hi:[0,1,0]
	scratch_store_b32 off, v1, s32 offset:892 ; 4-byte Folded Spill
	v_fma_mixlo_f16 v1, v71, v6, 0 op_sel_hi:[0,1,0]
	v_or_b32_e32 v6, v101, v99
	v_fma_mixlo_f16 v99, v71, v2, 0 op_sel:[0,1,0] op_sel_hi:[0,1,0]
	scratch_store_b32 off, v1, s32 offset:896 ; 4-byte Folded Spill
	v_fma_mixlo_f16 v1, v71, v101, 0 op_sel:[0,1,0] op_sel_hi:[0,1,0]
	scratch_store_b32 off, v1, s32 offset:900 ; 4-byte Folded Spill
	v_fma_mixlo_f16 v1, v71, v6, 0 op_sel_hi:[0,1,0]
	v_or_b32_e32 v6, v136, v112
	v_fma_mixlo_f16 v112, v71, v35, 0 op_sel:[0,1,0] op_sel_hi:[0,1,0]
	scratch_store_b32 off, v1, s32 offset:904 ; 4-byte Folded Spill
	v_fma_mixlo_f16 v1, v71, v136, 0 op_sel:[0,1,0] op_sel_hi:[0,1,0]
	v_fma_mixlo_f16 v136, v71, v10, 0 op_sel:[0,1,0] op_sel_hi:[0,1,0]
	scratch_store_b32 off, v1, s32 offset:884 ; 4-byte Folded Spill
	v_fma_mixlo_f16 v1, v71, v6, 0 op_sel_hi:[0,1,0]
	v_or_b32_e32 v6, v137, v125
	scratch_store_b32 off, v1, s32 offset:888 ; 4-byte Folded Spill
	v_fma_mixlo_f16 v1, v71, v6, 0 op_sel_hi:[0,1,0]
	v_or_b32_e32 v6, v147, v144
	scratch_store_b32 off, v1, s32 offset:880 ; 4-byte Folded Spill
	v_fma_mixlo_f16 v1, v71, v137, 0 op_sel:[0,1,0] op_sel_hi:[0,1,0]
	scratch_store_b32 off, v1, s32 offset:876 ; 4-byte Folded Spill
	v_fma_mixlo_f16 v1, v71, v147, 0 op_sel:[0,1,0] op_sel_hi:[0,1,0]
	scratch_store_b32 off, v1, s32 offset:924 ; 4-byte Folded Spill
	v_fma_mixlo_f16 v1, v71, v6, 0 op_sel_hi:[0,1,0]
	v_or_b32_e32 v6, v131, v130
	v_fma_mixlo_f16 v130, v71, v65, 0 op_sel:[0,1,0] op_sel_hi:[0,1,0]
	scratch_store_b32 off, v1, s32 offset:928 ; 4-byte Folded Spill
	v_fma_mixlo_f16 v1, v71, v131, 0 op_sel:[0,1,0] op_sel_hi:[0,1,0]
	scratch_store_b32 off, v1, s32 offset:932 ; 4-byte Folded Spill
	v_fma_mixlo_f16 v1, v71, v6, 0 op_sel_hi:[0,1,0]
	s_wait_loadcnt 0x0
	v_or_b32_e32 v0, v11, v0
	v_or_b32_e32 v6, v61, v146
	v_fma_mixlo_f16 v146, v71, v98, 0 op_sel:[0,1,0] op_sel_hi:[0,1,0]
	scratch_store_b32 off, v1, s32 offset:936 ; 4-byte Folded Spill
	v_fma_mixlo_f16 v137, v71, v0, 0 op_sel_hi:[0,1,0]
	v_or_b32_e32 v0, v58, v56
	v_fma_mixlo_f16 v1, v71, v61, 0 op_sel:[0,1,0] op_sel_hi:[0,1,0]
	v_fma_mixlo_f16 v56, v71, v86, 0 op_sel:[0,1,0] op_sel_hi:[0,1,0]
	s_delay_alu instid0(VALU_DEP_3)
	v_fma_mixlo_f16 v0, v71, v0, 0 op_sel_hi:[0,1,0]
	scratch_store_b32 off, v1, s32 offset:916 ; 4-byte Folded Spill
	v_fma_mixlo_f16 v1, v71, v6, 0 op_sel_hi:[0,1,0]
	v_or_b32_e32 v6, v72, v59
	v_fma_mixlo_f16 v59, v71, v4, 0 op_sel:[0,1,0] op_sel_hi:[0,1,0]
	scratch_store_b32 off, v0, s32 offset:1044 ; 4-byte Folded Spill
	v_or_b32_e32 v0, v16, v87
	scratch_store_b32 off, v1, s32 offset:920 ; 4-byte Folded Spill
	v_fma_mixlo_f16 v1, v71, v6, 0 op_sel_hi:[0,1,0]
	v_or_b32_e32 v6, v163, v162
	v_fma_mixlo_f16 v162, v71, v138, 0 op_sel:[0,1,0] op_sel_hi:[0,1,0]
	v_fma_mixlo_f16 v0, v71, v0, 0 op_sel_hi:[0,1,0]
	scratch_store_b32 off, v1, s32 offset:912 ; 4-byte Folded Spill
	v_fma_mixlo_f16 v1, v71, v72, 0 op_sel:[0,1,0] op_sel_hi:[0,1,0]
	scratch_store_b32 off, v0, s32 offset:1036 ; 4-byte Folded Spill
	v_fma_mixlo_f16 v0, v71, v16, 0 op_sel:[0,1,0] op_sel_hi:[0,1,0]
	;; [unrolled: 2-line block ×4, first 2 shown]
	scratch_store_b32 off, v0, s32 offset:612 ; 4-byte Folded Spill
	scratch_load_b32 v0, off, s32 offset:600 th:TH_LOAD_LU ; 4-byte Folded Reload
	scratch_store_b32 off, v1, s32 offset:956 ; 4-byte Folded Spill
	v_fma_mixlo_f16 v1, v71, v6, 0 op_sel_hi:[0,1,0]
	v_or_b32_e32 v6, v160, v149
	v_fma_mixlo_f16 v149, v71, v83, 0 op_sel:[0,1,0] op_sel_hi:[0,1,0]
	scratch_store_b32 off, v1, s32 offset:960 ; 4-byte Folded Spill
	v_fma_mixlo_f16 v1, v71, v160, 0 op_sel:[0,1,0] op_sel_hi:[0,1,0]
	scratch_store_b32 off, v1, s32 offset:964 ; 4-byte Folded Spill
	v_fma_mixlo_f16 v1, v71, v6, 0 op_sel_hi:[0,1,0]
	v_or_b32_e32 v6, v40, v25
	v_fma_mixlo_f16 v25, v71, v174, 0 op_sel:[0,1,0] op_sel_hi:[0,1,0]
	scratch_store_b32 off, v1, s32 offset:968 ; 4-byte Folded Spill
	v_fma_mixlo_f16 v1, v71, v40, 0 op_sel:[0,1,0] op_sel_hi:[0,1,0]
	scratch_store_b32 off, v1, s32 offset:948 ; 4-byte Folded Spill
	v_fma_mixlo_f16 v1, v71, v6, 0 op_sel_hi:[0,1,0]
	v_or_b32_e32 v6, v45, v181
	v_fma_mixlo_f16 v181, v71, v176, 0 op_sel:[0,1,0] op_sel_hi:[0,1,0]
	scratch_store_b32 off, v1, s32 offset:952 ; 4-byte Folded Spill
	v_fma_mixlo_f16 v1, v71, v6, 0 op_sel_hi:[0,1,0]
	v_or_b32_e32 v6, v22, v82
	v_fma_mixlo_f16 v82, v71, v54, 0 op_sel:[0,1,0] op_sel_hi:[0,1,0]
	scratch_store_b32 off, v1, s32 offset:944 ; 4-byte Folded Spill
	v_fma_mixlo_f16 v1, v71, v45, 0 op_sel:[0,1,0] op_sel_hi:[0,1,0]
	scratch_store_b32 off, v1, s32 offset:940 ; 4-byte Folded Spill
	;; [unrolled: 2-line block ×3, first 2 shown]
	v_fma_mixlo_f16 v1, v71, v6, 0 op_sel_hi:[0,1,0]
	v_or_b32_e32 v6, v53, v36
	scratch_store_b32 off, v1, s32 offset:992 ; 4-byte Folded Spill
	v_fma_mixlo_f16 v1, v71, v53, 0 op_sel:[0,1,0] op_sel_hi:[0,1,0]
	scratch_store_b32 off, v1, s32 offset:996 ; 4-byte Folded Spill
	v_fma_mixlo_f16 v1, v71, v6, 0 op_sel_hi:[0,1,0]
	v_or_b32_e32 v6, v179, v13
	v_fma_mixlo_f16 v13, v71, v173, 0 op_sel:[0,1,0] op_sel_hi:[0,1,0]
	scratch_store_b32 off, v1, s32 offset:1000 ; 4-byte Folded Spill
	v_fma_mixlo_f16 v1, v71, v179, 0 op_sel:[0,1,0] op_sel_hi:[0,1,0]
	v_fma_mixlo_f16 v179, v71, v158, 0 op_sel:[0,1,0] op_sel_hi:[0,1,0]
	scratch_store_b32 off, v1, s32 offset:980 ; 4-byte Folded Spill
	v_fma_mixlo_f16 v1, v71, v6, 0 op_sel_hi:[0,1,0]
	v_or_b32_e32 v6, v43, v165
	scratch_store_b32 off, v1, s32 offset:984 ; 4-byte Folded Spill
	v_fma_mixlo_f16 v1, v71, v6, 0 op_sel_hi:[0,1,0]
	v_or_b32_e32 v6, v52, v33
	scratch_store_b32 off, v1, s32 offset:976 ; 4-byte Folded Spill
	v_fma_mixlo_f16 v1, v71, v43, 0 op_sel:[0,1,0] op_sel_hi:[0,1,0]
	v_fma_mixlo_f16 v43, v71, v80, 0 op_sel:[0,1,0] op_sel_hi:[0,1,0]
	scratch_store_b32 off, v1, s32 offset:972 ; 4-byte Folded Spill
	v_fma_mixlo_f16 v1, v71, v52, 0 op_sel:[0,1,0] op_sel_hi:[0,1,0]
	scratch_store_b32 off, v1, s32 offset:1020 ; 4-byte Folded Spill
	v_fma_mixlo_f16 v1, v71, v6, 0 op_sel_hi:[0,1,0]
	scratch_store_b32 off, v1, s32 offset:1024 ; 4-byte Folded Spill
	v_fma_mixlo_f16 v1, v71, v14, 0 op_sel:[0,1,0] op_sel_hi:[0,1,0]
	v_fma_mixlo_f16 v14, v71, v91, 0 op_sel:[0,1,0] op_sel_hi:[0,1,0]
	scratch_store_b32 off, v1, s32 offset:1028 ; 4-byte Folded Spill
	v_fma_mixlo_f16 v1, v71, v42, 0 op_sel:[0,1,0] op_sel_hi:[0,1,0]
	scratch_store_b32 off, v1, s32 offset:1012 ; 4-byte Folded Spill
	;; [unrolled: 2-line block ×5, first 2 shown]
	s_wait_loadcnt 0x0
	v_or_b32_e32 v0, v86, v0
	s_delay_alu instid0(VALU_DEP_1) | instskip(SKIP_3) | instid1(VALU_DEP_1)
	v_fma_mixlo_f16 v45, v71, v0, 0 op_sel_hi:[0,1,0]
	scratch_load_b32 v0, off, s32 offset:596 th:TH_LOAD_LU ; 4-byte Folded Reload
	s_wait_loadcnt 0x0
	v_or_b32_e32 v0, v80, v0
	v_fma_mixlo_f16 v42, v71, v0, 0 op_sel_hi:[0,1,0]
	scratch_load_b32 v0, off, s32 offset:604 th:TH_LOAD_LU ; 4-byte Folded Reload
	s_wait_loadcnt 0x0
	v_or_b32_e32 v0, v4, v0
	s_delay_alu instid0(VALU_DEP_1) | instskip(SKIP_4) | instid1(VALU_DEP_2)
	v_fma_mixlo_f16 v58, v71, v0, 0 op_sel_hi:[0,1,0]
	scratch_load_b32 v0, off, s32 offset:608 th:TH_LOAD_LU ; 4-byte Folded Reload
	s_wait_loadcnt 0x0
	v_or_b32_e32 v0, v10, v0
	v_fma_mixlo_f16 v10, v71, v95, 0 op_sel:[0,1,0] op_sel_hi:[0,1,0]
	v_fma_mixlo_f16 v125, v71, v0, 0 op_sel_hi:[0,1,0]
	scratch_load_b32 v0, off, s32 offset:584 th:TH_LOAD_LU ; 4-byte Folded Reload
	s_wait_loadcnt 0x0
	v_or_b32_e32 v0, v152, v0
	v_fma_mixlo_f16 v152, v71, v152, 0 op_sel:[0,1,0] op_sel_hi:[0,1,0]
	s_delay_alu instid0(VALU_DEP_2) | instskip(SKIP_3) | instid1(VALU_DEP_1)
	v_fma_mixlo_f16 v163, v71, v0, 0 op_sel_hi:[0,1,0]
	scratch_load_b32 v0, off, s32 offset:580 th:TH_LOAD_LU ; 4-byte Folded Reload
	s_wait_loadcnt 0x0
	v_or_b32_e32 v0, v138, v0
	v_fma_mixlo_f16 v160, v71, v0, 0 op_sel_hi:[0,1,0]
	scratch_load_b32 v0, off, s32 offset:588 th:TH_LOAD_LU ; 4-byte Folded Reload
	s_wait_loadcnt 0x0
	v_or_b32_e32 v0, v158, v0
	v_fma_mixlo_f16 v158, v71, v96, 0 op_sel:[0,1,0] op_sel_hi:[0,1,0]
	s_delay_alu instid0(VALU_DEP_2) | instskip(SKIP_4) | instid1(VALU_DEP_2)
	v_fma_mixlo_f16 v165, v71, v0, 0 op_sel_hi:[0,1,0]
	scratch_load_b32 v0, off, s32 offset:592 th:TH_LOAD_LU ; 4-byte Folded Reload
	s_wait_loadcnt 0x0
	v_or_b32_e32 v0, v176, v0
	v_fma_mixlo_f16 v176, v71, v69, 0 op_sel:[0,1,0] op_sel_hi:[0,1,0]
	v_fma_mixlo_f16 v138, v71, v0, 0 op_sel_hi:[0,1,0]
	scratch_load_b32 v0, off, s32 offset:568 th:TH_LOAD_LU ; 4-byte Folded Reload
	s_wait_loadcnt 0x0
	v_or_b32_e32 v0, v96, v0
	s_delay_alu instid0(VALU_DEP_1) | instskip(SKIP_3) | instid1(VALU_DEP_1)
	v_fma_mixlo_f16 v131, v71, v0, 0 op_sel_hi:[0,1,0]
	scratch_load_b32 v0, off, s32 offset:564 th:TH_LOAD_LU ; 4-byte Folded Reload
	s_wait_loadcnt 0x0
	v_or_b32_e32 v0, v65, v0
	v_fma_mixlo_f16 v61, v71, v0, 0 op_sel_hi:[0,1,0]
	scratch_load_b32 v0, off, s32 offset:572 th:TH_LOAD_LU ; 4-byte Folded Reload
	s_wait_loadcnt 0x0
	v_or_b32_e32 v0, v98, v0
	s_delay_alu instid0(VALU_DEP_1) | instskip(SKIP_3) | instid1(VALU_DEP_1)
	v_fma_mixlo_f16 v144, v71, v0, 0 op_sel_hi:[0,1,0]
	scratch_load_b32 v0, off, s32 offset:576 th:TH_LOAD_LU ; 4-byte Folded Reload
	s_wait_loadcnt 0x0
	v_or_b32_e32 v0, v83, v0
	;; [unrolled: 9-line block ×4, first 2 shown]
	v_fma_mixlo_f16 v115, v71, v0, 0 op_sel_hi:[0,1,0]
	s_clause 0x1
	scratch_load_b32 v0, off, s32 offset:528 th:TH_LOAD_LU
	scratch_load_b32 v1, off, s32 offset:536 th:TH_LOAD_LU
	s_wait_loadcnt 0x0
	v_or_b32_e32 v0, v1, v0
	v_fma_mixlo_f16 v55, v71, v1, 0 op_sel:[0,1,0] op_sel_hi:[0,1,0]
	s_delay_alu instid0(VALU_DEP_2)
	v_fma_mixlo_f16 v83, v71, v0, 0 op_sel_hi:[0,1,0]
	s_clause 0x1
	scratch_load_b32 v0, off, s32 offset:520 th:TH_LOAD_LU
	scratch_load_b32 v1, off, s32 offset:524 th:TH_LOAD_LU
	s_wait_loadcnt 0x0
	v_or_b32_e32 v0, v1, v0
	v_fma_mixlo_f16 v53, v71, v1, 0 op_sel:[0,1,0] op_sel_hi:[0,1,0]
	s_delay_alu instid0(VALU_DEP_2)
	v_fma_mixlo_f16 v72, v71, v0, 0 op_sel_hi:[0,1,0]
	s_clause 0x1
	scratch_load_b32 v0, off, s32 offset:532 th:TH_LOAD_LU
	scratch_load_b32 v1, off, s32 offset:544 th:TH_LOAD_LU
	s_wait_loadcnt 0x0
	v_or_b32_e32 v0, v1, v0
	v_fma_mixlo_f16 v66, v71, v1, 0 op_sel:[0,1,0] op_sel_hi:[0,1,0]
	s_delay_alu instid0(VALU_DEP_2) | instskip(SKIP_3) | instid1(VALU_DEP_1)
	v_fma_mixlo_f16 v65, v71, v0, 0 op_sel_hi:[0,1,0]
	scratch_load_b32 v0, off, s32 offset:540 th:TH_LOAD_LU ; 4-byte Folded Reload
	s_wait_loadcnt 0x0
	v_or_b32_e32 v0, v54, v0
	v_fma_mixlo_f16 v68, v71, v0, 0 op_sel_hi:[0,1,0]
	s_clause 0x1
	scratch_load_b32 v0, off, s32 offset:500 th:TH_LOAD_LU
	scratch_load_b32 v1, off, s32 offset:508 th:TH_LOAD_LU
	s_wait_loadcnt 0x0
	v_or_b32_e32 v0, v1, v0
	v_fma_mixlo_f16 v36, v71, v1, 0 op_sel:[0,1,0] op_sel_hi:[0,1,0]
	scratch_load_b32 v1, off, s32 offset:496 th:TH_LOAD_LU ; 4-byte Folded Reload
	v_fma_mixlo_f16 v35, v71, v0, 0 op_sel_hi:[0,1,0]
	s_wait_loadcnt 0x0
	v_or_b32_e32 v0, v1, v34
	v_fma_mixlo_f16 v34, v71, v1, 0 op_sel:[0,1,0] op_sel_hi:[0,1,0]
	s_delay_alu instid0(VALU_DEP_2)
	v_fma_mixlo_f16 v33, v71, v0, 0 op_sel_hi:[0,1,0]
	s_clause 0x1
	scratch_load_b32 v0, off, s32 offset:504 th:TH_LOAD_LU
	scratch_load_b32 v1, off, s32 offset:516 th:TH_LOAD_LU
	s_wait_loadcnt 0x0
	v_or_b32_e32 v0, v1, v0
	v_fma_mixlo_f16 v39, v71, v1, 0 op_sel:[0,1,0] op_sel_hi:[0,1,0]
	s_delay_alu instid0(VALU_DEP_2)
	v_fma_mixlo_f16 v69, v71, v0, 0 op_sel_hi:[0,1,0]
	s_clause 0x1
	scratch_load_b32 v0, off, s32 offset:512 th:TH_LOAD_LU
	scratch_load_b32 v1, off, s32 offset:656 th:TH_LOAD_LU
	s_wait_loadcnt 0x0
	v_or_b32_e32 v0, v1, v0
	v_fma_mixlo_f16 v52, v71, v1, 0 op_sel:[0,1,0] op_sel_hi:[0,1,0]
	s_delay_alu instid0(VALU_DEP_2) | instskip(SKIP_1) | instid1(VALU_DEP_1)
	v_fma_mixlo_f16 v49, v71, v0, 0 op_sel_hi:[0,1,0]
	v_or_b32_e32 v0, v5, v121
	v_fma_mixlo_f16 v170, v71, v0, 0 op_sel_hi:[0,1,0]
	v_or_b32_e32 v0, v174, v187
	v_fma_mixlo_f16 v174, v71, v78, 0 op_sel:[0,1,0] op_sel_hi:[0,1,0]
	s_delay_alu instid0(VALU_DEP_2) | instskip(SKIP_3) | instid1(VALU_DEP_3)
	v_fma_mixlo_f16 v120, v71, v0, 0 op_sel_hi:[0,1,0]
	v_or_b32_e32 v0, v12, v172
	v_fma_mixlo_f16 v12, v71, v81, 0 op_sel:[0,1,0] op_sel_hi:[0,1,0]
	v_fma_mixlo_f16 v172, v71, v188, 0 op_sel:[0,1,0] op_sel_hi:[0,1,0]
	v_fma_mixlo_f16 v123, v71, v0, 0 op_sel_hi:[0,1,0]
	v_or_b32_e32 v0, v188, v124
	s_delay_alu instid0(VALU_DEP_1) | instskip(SKIP_2) | instid1(VALU_DEP_2)
	v_fma_mixlo_f16 v30, v71, v0, 0 op_sel_hi:[0,1,0]
	v_or_b32_e32 v0, v140, v127
	v_fma_mixlo_f16 v127, v71, v178, 0 op_sel:[0,1,0] op_sel_hi:[0,1,0]
	v_fma_mixlo_f16 v126, v71, v0, 0 op_sel_hi:[0,1,0]
	v_or_b32_e32 v0, v178, v19
	v_fma_mixlo_f16 v178, v71, v79, 0 op_sel:[0,1,0] op_sel_hi:[0,1,0]
	s_delay_alu instid0(VALU_DEP_2) | instskip(SKIP_1) | instid1(VALU_DEP_1)
	v_fma_mixlo_f16 v140, v71, v0, 0 op_sel_hi:[0,1,0]
	v_or_b32_e32 v0, v155, v141
	v_fma_mixlo_f16 v107, v71, v0, 0 op_sel_hi:[0,1,0]
	v_or_b32_e32 v0, v64, v168
	s_delay_alu instid0(VALU_DEP_1) | instskip(SKIP_1) | instid1(VALU_DEP_1)
	v_fma_mixlo_f16 v22, v71, v0, 0 op_sel_hi:[0,1,0]
	v_or_b32_e32 v0, v173, v108
	v_fma_mixlo_f16 v109, v71, v0, 0 op_sel_hi:[0,1,0]
	v_or_b32_e32 v0, v17, v105
	v_fma_mixlo_f16 v105, v71, v17, 0 op_sel:[0,1,0] op_sel_hi:[0,1,0]
	s_delay_alu instid0(VALU_DEP_2) | instskip(SKIP_1) | instid1(VALU_DEP_1)
	v_fma_mixlo_f16 v108, v71, v0, 0 op_sel_hi:[0,1,0]
	v_or_b32_e32 v0, v91, v110
	v_fma_mixlo_f16 v91, v71, v0, 0 op_sel_hi:[0,1,0]
	v_or_b32_e32 v0, v169, v111
	s_delay_alu instid0(VALU_DEP_1) | instskip(SKIP_1) | instid1(VALU_DEP_1)
	v_fma_mixlo_f16 v16, v71, v0, 0 op_sel_hi:[0,1,0]
	v_or_b32_e32 v0, v94, v37
	v_fma_mixlo_f16 v94, v71, v0, 0 op_sel_hi:[0,1,0]
	v_or_b32_e32 v0, v89, v133
	v_fma_mixlo_f16 v89, v71, v89, 0 op_sel:[0,1,0] op_sel_hi:[0,1,0]
	s_delay_alu instid0(VALU_DEP_2) | instskip(SKIP_1) | instid1(VALU_DEP_1)
	v_fma_mixlo_f16 v6, v71, v0, 0 op_sel_hi:[0,1,0]
	v_or_b32_e32 v0, v95, v92
	v_fma_mixlo_f16 v7, v71, v0, 0 op_sel_hi:[0,1,0]
	v_or_b32_e32 v0, v81, v24
	s_delay_alu instid0(VALU_DEP_1) | instskip(SKIP_2) | instid1(VALU_DEP_2)
	v_fma_mixlo_f16 v11, v71, v0, 0 op_sel_hi:[0,1,0]
	v_or_b32_e32 v0, v76, v73
	v_fma_mixlo_f16 v73, v71, v76, 0 op_sel:[0,1,0] op_sel_hi:[0,1,0]
	v_fma_mixlo_f16 v76, v71, v0, 0 op_sel_hi:[0,1,0]
	v_or_b32_e32 v0, v74, v63
	v_fma_mixlo_f16 v74, v71, v175, 0 op_sel:[0,1,0] op_sel_hi:[0,1,0]
	s_delay_alu instid0(VALU_DEP_2) | instskip(SKIP_2) | instid1(VALU_DEP_2)
	v_fma_mixlo_f16 v50, v71, v0, 0 op_sel_hi:[0,1,0]
	v_or_b32_e32 v0, v78, v15
	v_fma_mixlo_f16 v78, v71, v32, 0 op_sel:[0,1,0] op_sel_hi:[0,1,0]
	v_fma_mixlo_f16 v77, v71, v0, 0 op_sel_hi:[0,1,0]
	v_or_b32_e32 v0, v79, v48
	s_delay_alu instid0(VALU_DEP_1) | instskip(SKIP_1) | instid1(VALU_DEP_1)
	v_fma_mixlo_f16 v124, v71, v0, 0 op_sel_hi:[0,1,0]
	v_or_b32_e32 v0, v90, v75
	v_fma_mixlo_f16 v102, v71, v0, 0 op_sel_hi:[0,1,0]
	v_or_b32_e32 v0, v47, v46
	v_fma_mixlo_f16 v46, v71, v154, 0 op_sel:[0,1,0] op_sel_hi:[0,1,0]
	s_delay_alu instid0(VALU_DEP_2) | instskip(SKIP_1) | instid1(VALU_DEP_1)
	v_fma_mixlo_f16 v113, v71, v0, 0 op_sel_hi:[0,1,0]
	v_or_b32_e32 v0, v154, v57
	v_fma_mixlo_f16 v63, v71, v0, 0 op_sel_hi:[0,1,0]
	v_or_b32_e32 v0, v62, v60
	v_fma_mixlo_f16 v60, v71, v139, 0 op_sel:[0,1,0] op_sel_hi:[0,1,0]
	s_delay_alu instid0(VALU_DEP_2) | instskip(SKIP_3) | instid1(VALU_DEP_1)
	v_fma_mixlo_f16 v168, v71, v0, 0 op_sel_hi:[0,1,0]
	scratch_load_b32 v0, off, s32 offset:616 th:TH_LOAD_LU ; 4-byte Folded Reload
	s_wait_loadcnt 0x0
	v_or_b32_e32 v0, v143, v0
	v_fma_mixlo_f16 v118, v71, v0, 0 op_sel_hi:[0,1,0]
	v_or_b32_e32 v0, v157, v182
	v_fma_mixlo_f16 v182, v71, v191, 0 op_sel:[0,1,0] op_sel_hi:[0,1,0]
	s_delay_alu instid0(VALU_DEP_2) | instskip(SKIP_1) | instid1(VALU_DEP_1)
	v_fma_mixlo_f16 v128, v71, v0, 0 op_sel_hi:[0,1,0]
	v_or_b32_e32 v0, v191, v180
	v_fma_mixlo_f16 v47, v71, v0, 0 op_sel_hi:[0,1,0]
	v_or_b32_e32 v0, v84, v44
	s_delay_alu instid0(VALU_DEP_1)
	v_fma_mixlo_f16 v180, v71, v0, 0 op_sel_hi:[0,1,0]
	s_clause 0x1
	scratch_load_b32 v0, off, s32 offset:476 th:TH_LOAD_LU
	scratch_load_b32 v1, off, s32 offset:484 th:TH_LOAD_LU
	s_wait_loadcnt 0x0
	v_or_b32_e32 v0, v1, v0
	v_fma_mixlo_f16 v119, v71, v1, 0 op_sel:[0,1,0] op_sel_hi:[0,1,0]
	scratch_load_b32 v1, off, s32 offset:472 th:TH_LOAD_LU ; 4-byte Folded Reload
	v_fma_mixlo_f16 v129, v71, v0, 0 op_sel_hi:[0,1,0]
	s_wait_loadcnt 0x0
	v_or_b32_e32 v0, v1, v183
	v_fma_mixlo_f16 v157, v71, v1, 0 op_sel:[0,1,0] op_sel_hi:[0,1,0]
	s_delay_alu instid0(VALU_DEP_2)
	v_fma_mixlo_f16 v23, v71, v0, 0 op_sel_hi:[0,1,0]
	s_clause 0x1
	scratch_load_b32 v0, off, s32 offset:480 th:TH_LOAD_LU
	scratch_load_b32 v1, off, s32 offset:492 th:TH_LOAD_LU
	s_wait_loadcnt 0x0
	v_or_b32_e32 v0, v1, v0
	v_fma_mixlo_f16 v166, v71, v1, 0 op_sel:[0,1,0] op_sel_hi:[0,1,0]
	s_delay_alu instid0(VALU_DEP_2)
	v_fma_mixlo_f16 v183, v71, v0, 0 op_sel_hi:[0,1,0]
	s_clause 0x1
	scratch_load_b32 v0, off, s32 offset:488 th:TH_LOAD_LU
	scratch_load_b32 v1, off, s32 offset:652 th:TH_LOAD_LU
	;; [unrolled: 8-line block ×17, first 2 shown]
	v_and_b32_e32 v19, 0xffff, v19
	s_wait_loadcnt 0x0
	v_or_b32_e32 v0, v1, v0
	v_fma_mixlo_f16 v98, v71, v1, 0 op_sel:[0,1,0] op_sel_hi:[0,1,0]
	s_delay_alu instid0(VALU_DEP_2)
	v_fma_mixlo_f16 v133, v71, v0, 0 op_sel_hi:[0,1,0]
	s_clause 0x1
	scratch_load_b32 v0, off, s32 offset:380 th:TH_LOAD_LU
	scratch_load_b32 v1, off, s32 offset:636 th:TH_LOAD_LU
	s_wait_loadcnt 0x0
	v_or_b32_e32 v0, v1, v0
	v_fma_mixlo_f16 v67, v71, v1, 0 op_sel:[0,1,0] op_sel_hi:[0,1,0]
	s_delay_alu instid0(VALU_DEP_2)
	v_fma_mixlo_f16 v15, v71, v0, 0 op_sel_hi:[0,1,0]
	s_clause 0x1
	scratch_load_b32 v1, off, s32 offset:348 th:TH_LOAD_LU
	scratch_load_b32 v0, off, s32 offset:624 th:TH_LOAD_LU
	s_wait_loadcnt 0x1
	v_fma_mixlo_f16 v4, v71, v1, 0 op_sel:[0,1,0] op_sel_hi:[0,1,0]
	s_wait_loadcnt 0x0
	v_or_b32_e32 v0, v1, v0
	s_delay_alu instid0(VALU_DEP_1)
	v_fma_mixlo_f16 v155, v71, v0, 0 op_sel_hi:[0,1,0]
	s_clause 0x1
	scratch_load_b32 v1, off, s32 offset:344 th:TH_LOAD_LU
	scratch_load_b32 v0, off, s32 offset:620 th:TH_LOAD_LU
	s_wait_loadcnt 0x1
	v_fma_mixlo_f16 v154, v71, v1, 0 op_sel:[0,1,0] op_sel_hi:[0,1,0]
	s_wait_loadcnt 0x0
	v_or_b32_e32 v0, v1, v0
	s_delay_alu instid0(VALU_DEP_1)
	v_fma_mixlo_f16 v64, v71, v0, 0 op_sel_hi:[0,1,0]
	s_clause 0x1
	scratch_load_b32 v0, off, s32 offset:628 th:TH_LOAD_LU
	scratch_load_b32 v1, off, s32 offset:356 th:TH_LOAD_LU
	s_wait_loadcnt 0x0
	v_or_b32_e32 v0, v1, v0
	v_fma_mixlo_f16 v5, v71, v1, 0 op_sel:[0,1,0] op_sel_hi:[0,1,0]
	s_delay_alu instid0(VALU_DEP_2)
	v_fma_mixlo_f16 v187, v71, v0, 0 op_sel_hi:[0,1,0]
	s_clause 0x1
	scratch_load_b32 v0, off, s32 offset:352 th:TH_LOAD_LU
	scratch_load_b32 v1, off, s32 offset:632 th:TH_LOAD_LU
	s_load_b32 s20, s[6:7], 0x0
	scratch_load_b32 v2, off, s32 offset:1076 ; 4-byte Folded Reload
	s_wait_kmcnt 0x0
	v_add_nc_u32_e32 v44, s20, v171
	s_wait_loadcnt 0x1
	v_or_b32_e32 v0, v1, v0
	v_fma_mixlo_f16 v143, v71, v1, 0 op_sel:[0,1,0] op_sel_hi:[0,1,0]
	scratch_load_b32 v1, off, s32 offset:1096 ; 4-byte Folded Reload
	v_fma_mixlo_f16 v141, v71, v0, 0 op_sel_hi:[0,1,0]
	scratch_load_b32 v0, off, s32 offset:1060 ; 4-byte Folded Reload
	s_wait_loadcnt 0x1
	v_add_nc_u32_e32 v1, v1, v9
	s_wait_loadcnt 0x0
	v_add_nc_u32_e32 v0, v0, v9
	s_delay_alu instid0(VALU_DEP_2) | instskip(NEXT) | instid1(VALU_DEP_1)
	v_cvt_f32_i32_e32 v1, v1
	v_mul_f32_e32 v1, v2, v1
	s_delay_alu instid0(VALU_DEP_1) | instskip(SKIP_1) | instid1(VALU_DEP_1)
	v_cndmask_b32_e32 v80, 0, v1, vcc_lo
	v_or_b32_e32 v1, v175, v31
	v_fma_mixlo_f16 v75, v71, v1, 0 op_sel_hi:[0,1,0]
	v_or_b32_e32 v1, v32, v97
	s_delay_alu instid0(VALU_DEP_1) | instskip(SKIP_1) | instid1(VALU_DEP_1)
	v_fma_mixlo_f16 v79, v71, v1, 0 op_sel_hi:[0,1,0]
	v_or_b32_e32 v1, v139, v51
	v_fma_mixlo_f16 v62, v71, v1, 0 op_sel_hi:[0,1,0]
	v_or_b32_e32 v1, v28, v186
	s_delay_alu instid0(VALU_DEP_1)
	v_fma_mixlo_f16 v57, v71, v1, 0 op_sel_hi:[0,1,0]
	scratch_load_b32 v1, off, s32 offset:1084 ; 4-byte Folded Reload
	v_fma_mixlo_f16 v71, v71, v28, 0 op_sel:[0,1,0] op_sel_hi:[0,1,0]
	s_wait_loadcnt 0x0
	v_cmp_lt_i32_e64 s1, v0, v1
	ds_load_b128 v[0:3], v8
	s_wait_dscnt 0x0
	v_lshrrev_b32_e32 v28, 16, v0
	v_and_b32_e32 v0, 0xffff, v0
	;;#ASMSTART
	v_cvt_f32_f16 v32, v0;
	;;#ASMEND
	v_and_b32_e32 v0, 0xffff, v64
	;;#ASMSTART
	v_cvt_f32_f16 v97, v28;
	;;#ASMEND
	;;#ASMSTART
	v_cvt_f32_f16 v64, v0;
	;;#ASMEND
	v_and_b32_e32 v0, 0xffff, v154
	;;#ASMSTART
	v_cvt_f32_f16 v139, v0;
	;;#ASMEND
	v_lshrrev_b32_e32 v0, 16, v1
	v_and_b32_e32 v1, 0xffff, v1
	;;#ASMSTART
	v_cvt_f32_f16 v154, v1;
	;;#ASMEND
	;;#ASMSTART
	v_cvt_f32_f16 v175, v0;
	;;#ASMEND
	v_and_b32_e32 v0, 0xffff, v155
	;;#ASMSTART
	v_cvt_f32_f16 v155, v0;
	;;#ASMEND
	v_and_b32_e32 v0, 0xffff, v4
	;;#ASMSTART
	v_cvt_f32_f16 v4, v0;
	;;#ASMEND
	v_lshrrev_b32_e32 v0, 16, v2
	v_and_b32_e32 v1, 0xffff, v2
	;;#ASMSTART
	v_cvt_f32_f16 v186, v1;
	;;#ASMEND
	;;#ASMSTART
	v_cvt_f32_f16 v169, v0;
	;;#ASMEND
	v_and_b32_e32 v0, 0xffff, v187
	;; [unrolled: 16-line block ×3, first 2 shown]
	;;#ASMSTART
	v_cvt_f32_f16 v141, v0;
	;;#ASMEND
	v_and_b32_e32 v0, 0xffff, v143
	;;#ASMSTART
	v_cvt_f32_f16 v143, v0;
	;;#ASMEND
	ds_load_b128 v[0:3], v8 offset:16
	s_wait_dscnt 0x0
	v_lshrrev_b32_e32 v51, 16, v0
	v_and_b32_e32 v0, 0xffff, v0
	;;#ASMSTART
	v_cvt_f32_f16 v0, v0;
	;;#ASMEND
	;;#ASMSTART
	v_cvt_f32_f16 v121, v51;
	;;#ASMEND
	v_and_b32_e32 v51, 0xffff, v54
	;;#ASMSTART
	v_cvt_f32_f16 v19, v19;
	;;#ASMEND
	;;#ASMSTART
	v_cvt_f32_f16 v54, v51;
	;;#ASMEND
	v_dual_mul_f32 v51, v0, v19 :: v_dual_and_b32 v0, 0xffff, v1
	v_lshrrev_b32_e32 v19, 16, v1
	;;#ASMSTART
	v_cvt_f32_f16 v0, v0;
	;;#ASMEND
	;;#ASMSTART
	v_cvt_f32_f16 v1, v19;
	;;#ASMEND
	s_delay_alu instid0(VALU_DEP_2) | instskip(SKIP_4) | instid1(VALU_DEP_1)
	v_fmac_f32_e32 v51, v32, v64
	v_and_b32_e32 v19, 0xffff, v96
	v_and_b32_e32 v32, 0xffff, v87
	;;#ASMSTART
	v_cvt_f32_f16 v19, v19;
	;;#ASMEND
	;;#ASMSTART
	v_cvt_f32_f16 v32, v32;
	;;#ASMEND
	v_mul_f32_e32 v87, v1, v32
	v_mul_f32_e32 v54, v121, v54
	;; [unrolled: 1-line block ×3, first 2 shown]
	v_lshrrev_b32_e32 v1, 16, v2
	v_and_b32_e32 v0, 0xffff, v2
	v_dual_fmac_f32 v87, v175, v4 :: v_dual_and_b32 v2, 0xffff, v133
	;;#ASMSTART
	v_cvt_f32_f16 v0, v0;
	;;#ASMEND
	;;#ASMSTART
	v_cvt_f32_f16 v1, v1;
	;;#ASMEND
	;; [unrolled: 3-line block ×3, first 2 shown]
	v_and_b32_e32 v4, 0xffff, v98
	v_fmac_f32_e32 v54, v97, v139
	v_fmac_f32_e32 v96, v154, v155
	;;#ASMSTART
	v_cvt_f32_f16 v4, v4;
	;;#ASMEND
	s_delay_alu instid0(VALU_DEP_3)
	v_dual_mul_f32 v98, v0, v2 :: v_dual_mul_f32 v97, v1, v4
	v_lshrrev_b32_e32 v1, 16, v3
	v_and_b32_e32 v0, 0xffff, v3
	v_and_b32_e32 v2, 0xffff, v15
	;; [unrolled: 1-line block ×3, first 2 shown]
	;;#ASMSTART
	v_cvt_f32_f16 v0, v0;
	;;#ASMEND
	;;#ASMSTART
	v_cvt_f32_f16 v1, v1;
	;;#ASMEND
	;;#ASMSTART
	v_cvt_f32_f16 v2, v2;
	;;#ASMEND
	;;#ASMSTART
	v_cvt_f32_f16 v3, v3;
	;;#ASMEND
	v_mul_f32_e32 v15, v0, v2
	v_mul_f32_e32 v19, v1, v3
	ds_load_b128 v[0:3], v8 offset:32
	v_dual_fmac_f32 v98, v186, v187 :: v_dual_fmac_f32 v97, v169, v5
	v_fmac_f32_e32 v15, v31, v141
	v_fmac_f32_e32 v19, v28, v143
	v_and_b32_e32 v5, 0xffff, v173
	v_and_b32_e32 v28, 0xffff, v84
	s_wait_dscnt 0x0
	v_lshrrev_b32_e32 v4, 16, v0
	v_and_b32_e32 v0, 0xffff, v0
	;;#ASMSTART
	v_cvt_f32_f16 v0, v0;
	;;#ASMEND
	;;#ASMSTART
	v_cvt_f32_f16 v4, v4;
	;;#ASMEND
	;; [unrolled: 3-line block ×4, first 2 shown]
	v_fmac_f32_e32 v51, v0, v5
	v_fmac_f32_e32 v54, v4, v28
	v_lshrrev_b32_e32 v4, 16, v1
	v_and_b32_e32 v0, 0xffff, v1
	;;#ASMSTART
	v_cvt_f32_f16 v0, v0;
	;;#ASMEND
	;;#ASMSTART
	v_cvt_f32_f16 v1, v4;
	;;#ASMEND
	v_and_b32_e32 v4, 0xffff, v17
	v_and_b32_e32 v5, 0xffff, v48
	;;#ASMSTART
	v_cvt_f32_f16 v4, v4;
	;;#ASMEND
	;;#ASMSTART
	v_cvt_f32_f16 v5, v5;
	;;#ASMEND
	s_delay_alu instid0(VALU_DEP_1)
	v_dual_fmac_f32 v96, v0, v4 :: v_dual_fmac_f32 v87, v1, v5
	v_lshrrev_b32_e32 v1, 16, v2
	v_and_b32_e32 v0, 0xffff, v2
	v_and_b32_e32 v2, 0xffff, v85
	;;#ASMSTART
	v_cvt_f32_f16 v0, v0;
	;;#ASMEND
	;;#ASMSTART
	v_cvt_f32_f16 v1, v1;
	;;#ASMEND
	;; [unrolled: 3-line block ×3, first 2 shown]
	v_and_b32_e32 v4, 0xffff, v81
	;;#ASMSTART
	v_cvt_f32_f16 v4, v4;
	;;#ASMEND
	s_delay_alu instid0(VALU_DEP_1)
	v_dual_fmac_f32 v98, v0, v2 :: v_dual_fmac_f32 v97, v1, v4
	v_lshrrev_b32_e32 v1, 16, v3
	v_and_b32_e32 v0, 0xffff, v3
	v_and_b32_e32 v2, 0xffff, v24
	;; [unrolled: 1-line block ×3, first 2 shown]
	;;#ASMSTART
	v_cvt_f32_f16 v0, v0;
	;;#ASMEND
	;;#ASMSTART
	v_cvt_f32_f16 v1, v1;
	;;#ASMEND
	;;#ASMSTART
	v_cvt_f32_f16 v2, v2;
	;;#ASMEND
	;;#ASMSTART
	v_cvt_f32_f16 v3, v3;
	;;#ASMEND
	v_fmac_f32_e32 v15, v0, v2
	v_fmac_f32_e32 v19, v1, v3
	ds_load_b128 v[0:3], v8 offset:48
	v_and_b32_e32 v17, 0xffff, v190
	s_wait_dscnt 0x0
	v_lshrrev_b32_e32 v4, 16, v0
	v_and_b32_e32 v0, 0xffff, v0
	;;#ASMSTART
	v_cvt_f32_f16 v0, v0;
	;;#ASMEND
	;;#ASMSTART
	v_cvt_f32_f16 v4, v4;
	;;#ASMEND
	v_and_b32_e32 v5, 0xffff, v167
	;;#ASMSTART
	v_cvt_f32_f16 v5, v5;
	;;#ASMEND
	;;#ASMSTART
	v_cvt_f32_f16 v17, v17;
	;;#ASMEND
	s_delay_alu instid0(VALU_DEP_1)
	v_fmac_f32_e32 v51, v0, v5
	v_fmac_f32_e32 v54, v4, v17
	v_lshrrev_b32_e32 v4, 16, v1
	v_and_b32_e32 v0, 0xffff, v1
	;;#ASMSTART
	v_cvt_f32_f16 v0, v0;
	;;#ASMEND
	;;#ASMSTART
	v_cvt_f32_f16 v1, v4;
	;;#ASMEND
	v_and_b32_e32 v4, 0xffff, v189
	v_and_b32_e32 v5, 0xffff, v185
	;;#ASMSTART
	v_cvt_f32_f16 v4, v4;
	;;#ASMEND
	;;#ASMSTART
	v_cvt_f32_f16 v5, v5;
	;;#ASMEND
	s_delay_alu instid0(VALU_DEP_1)
	v_dual_fmac_f32 v96, v0, v4 :: v_dual_fmac_f32 v87, v1, v5
	v_lshrrev_b32_e32 v1, 16, v2
	v_and_b32_e32 v0, 0xffff, v2
	v_and_b32_e32 v2, 0xffff, v184
	;;#ASMSTART
	v_cvt_f32_f16 v0, v0;
	;;#ASMEND
	;;#ASMSTART
	v_cvt_f32_f16 v1, v1;
	;;#ASMEND
	;; [unrolled: 3-line block ×3, first 2 shown]
	v_and_b32_e32 v4, 0xffff, v151
	;;#ASMSTART
	v_cvt_f32_f16 v4, v4;
	;;#ASMEND
	s_delay_alu instid0(VALU_DEP_1)
	v_dual_fmac_f32 v98, v0, v2 :: v_dual_fmac_f32 v97, v1, v4
	v_lshrrev_b32_e32 v1, 16, v3
	v_and_b32_e32 v0, 0xffff, v3
	v_and_b32_e32 v2, 0xffff, v150
	;; [unrolled: 1-line block ×3, first 2 shown]
	;;#ASMSTART
	v_cvt_f32_f16 v0, v0;
	;;#ASMEND
	;;#ASMSTART
	v_cvt_f32_f16 v1, v1;
	;;#ASMEND
	;; [unrolled: 3-line block ×4, first 2 shown]
	v_fmac_f32_e32 v15, v0, v2
	v_fmac_f32_e32 v19, v1, v3
	ds_load_b128 v[0:3], v8 offset:64
	v_and_b32_e32 v5, 0xffff, v159
	v_and_b32_e32 v17, 0xffff, v145
	s_wait_dscnt 0x0
	v_lshrrev_b32_e32 v4, 16, v0
	v_and_b32_e32 v0, 0xffff, v0
	;;#ASMSTART
	v_cvt_f32_f16 v0, v0;
	;;#ASMEND
	;;#ASMSTART
	v_cvt_f32_f16 v4, v4;
	;;#ASMEND
	;; [unrolled: 3-line block ×4, first 2 shown]
	v_fmac_f32_e32 v51, v0, v5
	v_fmac_f32_e32 v54, v4, v17
	v_lshrrev_b32_e32 v4, 16, v1
	v_and_b32_e32 v0, 0xffff, v1
	;;#ASMSTART
	v_cvt_f32_f16 v0, v0;
	;;#ASMEND
	;;#ASMSTART
	v_cvt_f32_f16 v1, v4;
	;;#ASMEND
	v_and_b32_e32 v4, 0xffff, v156
	v_and_b32_e32 v5, 0xffff, v153
	;;#ASMSTART
	v_cvt_f32_f16 v4, v4;
	;;#ASMEND
	;;#ASMSTART
	v_cvt_f32_f16 v5, v5;
	;;#ASMEND
	s_delay_alu instid0(VALU_DEP_1)
	v_dual_fmac_f32 v96, v0, v4 :: v_dual_fmac_f32 v87, v1, v5
	v_lshrrev_b32_e32 v1, 16, v2
	v_and_b32_e32 v0, 0xffff, v2
	v_and_b32_e32 v2, 0xffff, v142
	;;#ASMSTART
	v_cvt_f32_f16 v0, v0;
	;;#ASMEND
	;;#ASMSTART
	v_cvt_f32_f16 v1, v1;
	;;#ASMEND
	;; [unrolled: 3-line block ×3, first 2 shown]
	v_and_b32_e32 v4, 0xffff, v135
	;;#ASMSTART
	v_cvt_f32_f16 v4, v4;
	;;#ASMEND
	s_delay_alu instid0(VALU_DEP_1)
	v_dual_fmac_f32 v98, v0, v2 :: v_dual_fmac_f32 v97, v1, v4
	v_lshrrev_b32_e32 v1, 16, v3
	v_and_b32_e32 v0, 0xffff, v3
	v_and_b32_e32 v2, 0xffff, v134
	;; [unrolled: 1-line block ×3, first 2 shown]
	;;#ASMSTART
	v_cvt_f32_f16 v0, v0;
	;;#ASMEND
	;;#ASMSTART
	v_cvt_f32_f16 v1, v1;
	;;#ASMEND
	;; [unrolled: 3-line block ×4, first 2 shown]
	v_fmac_f32_e32 v15, v0, v2
	v_fmac_f32_e32 v19, v1, v3
	ds_load_b128 v[0:3], v8 offset:80
	v_and_b32_e32 v5, 0xffff, v23
	v_and_b32_e32 v17, 0xffff, v157
	s_wait_dscnt 0x0
	v_lshrrev_b32_e32 v4, 16, v0
	v_and_b32_e32 v0, 0xffff, v0
	;;#ASMSTART
	v_cvt_f32_f16 v0, v0;
	;;#ASMEND
	;;#ASMSTART
	v_cvt_f32_f16 v4, v4;
	;;#ASMEND
	;; [unrolled: 3-line block ×4, first 2 shown]
	v_fmac_f32_e32 v51, v0, v5
	v_fmac_f32_e32 v54, v4, v17
	v_lshrrev_b32_e32 v4, 16, v1
	v_and_b32_e32 v0, 0xffff, v1
	;;#ASMSTART
	v_cvt_f32_f16 v0, v0;
	;;#ASMEND
	;;#ASMSTART
	v_cvt_f32_f16 v1, v4;
	;;#ASMEND
	v_and_b32_e32 v4, 0xffff, v129
	v_and_b32_e32 v5, 0xffff, v119
	;;#ASMSTART
	v_cvt_f32_f16 v4, v4;
	;;#ASMEND
	;;#ASMSTART
	v_cvt_f32_f16 v5, v5;
	;;#ASMEND
	s_delay_alu instid0(VALU_DEP_1)
	v_dual_fmac_f32 v96, v0, v4 :: v_dual_fmac_f32 v87, v1, v5
	v_lshrrev_b32_e32 v1, 16, v2
	v_and_b32_e32 v0, 0xffff, v2
	v_and_b32_e32 v2, 0xffff, v183
	;;#ASMSTART
	v_cvt_f32_f16 v0, v0;
	;;#ASMEND
	;;#ASMSTART
	v_cvt_f32_f16 v1, v1;
	;;#ASMEND
	;; [unrolled: 3-line block ×3, first 2 shown]
	v_and_b32_e32 v4, 0xffff, v166
	;;#ASMSTART
	v_cvt_f32_f16 v4, v4;
	;;#ASMEND
	s_delay_alu instid0(VALU_DEP_1)
	v_dual_fmac_f32 v98, v0, v2 :: v_dual_fmac_f32 v97, v1, v4
	v_lshrrev_b32_e32 v1, 16, v3
	v_and_b32_e32 v0, 0xffff, v3
	v_and_b32_e32 v2, 0xffff, v164
	;; [unrolled: 1-line block ×3, first 2 shown]
	;;#ASMSTART
	v_cvt_f32_f16 v0, v0;
	;;#ASMEND
	;;#ASMSTART
	v_cvt_f32_f16 v1, v1;
	;;#ASMEND
	;; [unrolled: 3-line block ×4, first 2 shown]
	v_fmac_f32_e32 v15, v0, v2
	v_fmac_f32_e32 v19, v1, v3
	ds_load_b128 v[0:3], v8 offset:96
	v_and_b32_e32 v5, 0xffff, v128
	v_and_b32_e32 v17, 0xffff, v117
	s_wait_dscnt 0x0
	v_lshrrev_b32_e32 v4, 16, v0
	v_and_b32_e32 v0, 0xffff, v0
	;;#ASMSTART
	v_cvt_f32_f16 v0, v0;
	;;#ASMEND
	;;#ASMSTART
	v_cvt_f32_f16 v4, v4;
	;;#ASMEND
	;; [unrolled: 3-line block ×4, first 2 shown]
	v_fmac_f32_e32 v51, v0, v5
	v_fmac_f32_e32 v54, v4, v17
	v_lshrrev_b32_e32 v4, 16, v1
	v_and_b32_e32 v0, 0xffff, v1
	;;#ASMSTART
	v_cvt_f32_f16 v0, v0;
	;;#ASMEND
	;;#ASMSTART
	v_cvt_f32_f16 v1, v4;
	;;#ASMEND
	v_and_b32_e32 v4, 0xffff, v118
	v_and_b32_e32 v5, 0xffff, v116
	;;#ASMSTART
	v_cvt_f32_f16 v4, v4;
	;;#ASMEND
	;;#ASMSTART
	v_cvt_f32_f16 v5, v5;
	;;#ASMEND
	s_delay_alu instid0(VALU_DEP_1)
	v_dual_fmac_f32 v96, v0, v4 :: v_dual_fmac_f32 v87, v1, v5
	v_lshrrev_b32_e32 v1, 16, v2
	v_and_b32_e32 v0, 0xffff, v2
	v_and_b32_e32 v2, 0xffff, v47
	;;#ASMSTART
	v_cvt_f32_f16 v0, v0;
	;;#ASMEND
	;;#ASMSTART
	v_cvt_f32_f16 v1, v1;
	;;#ASMEND
	;;#ASMSTART
	v_cvt_f32_f16 v2, v2;
	;;#ASMEND
	v_and_b32_e32 v4, 0xffff, v182
	;;#ASMSTART
	v_cvt_f32_f16 v4, v4;
	;;#ASMEND
	s_delay_alu instid0(VALU_DEP_1)
	v_dual_fmac_f32 v98, v0, v2 :: v_dual_fmac_f32 v97, v1, v4
	v_lshrrev_b32_e32 v1, 16, v3
	v_and_b32_e32 v0, 0xffff, v3
	v_and_b32_e32 v2, 0xffff, v180
	;; [unrolled: 1-line block ×3, first 2 shown]
	;;#ASMSTART
	v_cvt_f32_f16 v0, v0;
	;;#ASMEND
	;;#ASMSTART
	v_cvt_f32_f16 v1, v1;
	;;#ASMEND
	;; [unrolled: 3-line block ×4, first 2 shown]
	v_fmac_f32_e32 v15, v0, v2
	v_fmac_f32_e32 v19, v1, v3
	ds_load_b128 v[0:3], v8 offset:112
	v_and_b32_e32 v5, 0xffff, v113
	v_and_b32_e32 v17, 0xffff, v103
	s_wait_dscnt 0x0
	v_lshrrev_b32_e32 v4, 16, v0
	v_and_b32_e32 v0, 0xffff, v0
	;;#ASMSTART
	v_cvt_f32_f16 v0, v0;
	;;#ASMEND
	;;#ASMSTART
	v_cvt_f32_f16 v4, v4;
	;;#ASMEND
	;; [unrolled: 3-line block ×4, first 2 shown]
	v_fmac_f32_e32 v51, v0, v5
	v_fmac_f32_e32 v54, v4, v17
	v_lshrrev_b32_e32 v4, 16, v1
	v_and_b32_e32 v0, 0xffff, v1
	;;#ASMSTART
	v_cvt_f32_f16 v0, v0;
	;;#ASMEND
	;;#ASMSTART
	v_cvt_f32_f16 v1, v4;
	;;#ASMEND
	v_and_b32_e32 v4, 0xffff, v102
	v_and_b32_e32 v5, 0xffff, v38
	;;#ASMSTART
	v_cvt_f32_f16 v4, v4;
	;;#ASMEND
	;;#ASMSTART
	v_cvt_f32_f16 v5, v5;
	;;#ASMEND
	s_delay_alu instid0(VALU_DEP_1)
	v_dual_fmac_f32 v96, v0, v4 :: v_dual_fmac_f32 v87, v1, v5
	v_lshrrev_b32_e32 v1, 16, v2
	v_and_b32_e32 v0, 0xffff, v2
	v_and_b32_e32 v2, 0xffff, v63
	;;#ASMSTART
	v_cvt_f32_f16 v0, v0;
	;;#ASMEND
	;;#ASMSTART
	v_cvt_f32_f16 v1, v1;
	;;#ASMEND
	;; [unrolled: 3-line block ×3, first 2 shown]
	v_and_b32_e32 v4, 0xffff, v46
	;;#ASMSTART
	v_cvt_f32_f16 v4, v4;
	;;#ASMEND
	s_delay_alu instid0(VALU_DEP_1)
	v_dual_fmac_f32 v98, v0, v2 :: v_dual_fmac_f32 v97, v1, v4
	v_lshrrev_b32_e32 v1, 16, v3
	v_and_b32_e32 v0, 0xffff, v3
	v_and_b32_e32 v2, 0xffff, v168
	;; [unrolled: 1-line block ×3, first 2 shown]
	;;#ASMSTART
	v_cvt_f32_f16 v0, v0;
	;;#ASMEND
	;;#ASMSTART
	v_cvt_f32_f16 v1, v1;
	;;#ASMEND
	;; [unrolled: 3-line block ×4, first 2 shown]
	v_fmac_f32_e32 v15, v0, v2
	v_fmac_f32_e32 v19, v1, v3
	ds_load_b128 v[0:3], v8 offset:128
	v_and_b32_e32 v5, 0xffff, v50
	v_and_b32_e32 v17, 0xffff, v100
	s_wait_dscnt 0x0
	v_lshrrev_b32_e32 v4, 16, v0
	v_and_b32_e32 v0, 0xffff, v0
	;;#ASMSTART
	v_cvt_f32_f16 v0, v0;
	;;#ASMEND
	;;#ASMSTART
	v_cvt_f32_f16 v4, v4;
	;;#ASMEND
	;; [unrolled: 3-line block ×4, first 2 shown]
	v_fmac_f32_e32 v51, v0, v5
	v_fmac_f32_e32 v54, v4, v17
	v_lshrrev_b32_e32 v4, 16, v1
	v_and_b32_e32 v0, 0xffff, v1
	;;#ASMSTART
	v_cvt_f32_f16 v0, v0;
	;;#ASMEND
	;;#ASMSTART
	v_cvt_f32_f16 v1, v4;
	;;#ASMEND
	v_and_b32_e32 v4, 0xffff, v76
	v_and_b32_e32 v5, 0xffff, v73
	;;#ASMSTART
	v_cvt_f32_f16 v4, v4;
	;;#ASMEND
	;;#ASMSTART
	v_cvt_f32_f16 v5, v5;
	;;#ASMEND
	s_delay_alu instid0(VALU_DEP_1)
	v_dual_fmac_f32 v96, v0, v4 :: v_dual_fmac_f32 v87, v1, v5
	v_lshrrev_b32_e32 v1, 16, v2
	v_and_b32_e32 v0, 0xffff, v2
	v_and_b32_e32 v2, 0xffff, v77
	;;#ASMSTART
	v_cvt_f32_f16 v0, v0;
	;;#ASMEND
	;;#ASMSTART
	v_cvt_f32_f16 v1, v1;
	;;#ASMEND
	;; [unrolled: 3-line block ×3, first 2 shown]
	v_and_b32_e32 v4, 0xffff, v174
	;;#ASMSTART
	v_cvt_f32_f16 v4, v4;
	;;#ASMEND
	s_delay_alu instid0(VALU_DEP_1)
	v_dual_fmac_f32 v98, v0, v2 :: v_dual_fmac_f32 v97, v1, v4
	v_lshrrev_b32_e32 v1, 16, v3
	v_and_b32_e32 v0, 0xffff, v3
	v_and_b32_e32 v2, 0xffff, v124
	;; [unrolled: 1-line block ×3, first 2 shown]
	;;#ASMSTART
	v_cvt_f32_f16 v0, v0;
	;;#ASMEND
	;;#ASMSTART
	v_cvt_f32_f16 v1, v1;
	;;#ASMEND
	;; [unrolled: 3-line block ×4, first 2 shown]
	v_fmac_f32_e32 v15, v0, v2
	v_fmac_f32_e32 v19, v1, v3
	ds_load_b128 v[0:3], v8 offset:144
	v_and_b32_e32 v5, 0xffff, v6
	v_and_b32_e32 v6, 0xffff, v89
	s_wait_dscnt 0x0
	v_lshrrev_b32_e32 v4, 16, v0
	v_and_b32_e32 v0, 0xffff, v0
	;;#ASMSTART
	v_cvt_f32_f16 v0, v0;
	;;#ASMEND
	;;#ASMSTART
	v_cvt_f32_f16 v4, v4;
	;;#ASMEND
	;; [unrolled: 3-line block ×4, first 2 shown]
	v_fmac_f32_e32 v51, v0, v5
	v_fmac_f32_e32 v54, v4, v6
	v_lshrrev_b32_e32 v4, 16, v1
	v_and_b32_e32 v0, 0xffff, v1
	;;#ASMSTART
	v_cvt_f32_f16 v0, v0;
	;;#ASMEND
	;;#ASMSTART
	v_cvt_f32_f16 v1, v4;
	;;#ASMEND
	v_and_b32_e32 v4, 0xffff, v94
	v_and_b32_e32 v5, 0xffff, v93
	;;#ASMSTART
	v_cvt_f32_f16 v4, v4;
	;;#ASMEND
	;;#ASMSTART
	v_cvt_f32_f16 v5, v5;
	;;#ASMEND
	s_delay_alu instid0(VALU_DEP_1)
	v_dual_fmac_f32 v96, v0, v4 :: v_dual_fmac_f32 v87, v1, v5
	v_lshrrev_b32_e32 v1, 16, v2
	v_and_b32_e32 v0, 0xffff, v2
	v_and_b32_e32 v2, 0xffff, v7
	;;#ASMSTART
	v_cvt_f32_f16 v0, v0;
	;;#ASMEND
	;;#ASMSTART
	v_cvt_f32_f16 v1, v1;
	;;#ASMEND
	;; [unrolled: 3-line block ×3, first 2 shown]
	v_and_b32_e32 v4, 0xffff, v10
	;;#ASMSTART
	v_cvt_f32_f16 v4, v4;
	;;#ASMEND
	s_delay_alu instid0(VALU_DEP_1)
	v_dual_fmac_f32 v98, v0, v2 :: v_dual_fmac_f32 v97, v1, v4
	v_lshrrev_b32_e32 v1, 16, v3
	v_and_b32_e32 v0, 0xffff, v3
	v_and_b32_e32 v2, 0xffff, v11
	;; [unrolled: 1-line block ×3, first 2 shown]
	;;#ASMSTART
	v_cvt_f32_f16 v0, v0;
	;;#ASMEND
	;;#ASMSTART
	v_cvt_f32_f16 v1, v1;
	;;#ASMEND
	;; [unrolled: 3-line block ×4, first 2 shown]
	v_fmac_f32_e32 v15, v0, v2
	v_fmac_f32_e32 v19, v1, v3
	ds_load_b128 v[0:3], v8 offset:160
	v_and_b32_e32 v5, 0xffff, v108
	v_and_b32_e32 v6, 0xffff, v105
	s_wait_dscnt 0x0
	v_lshrrev_b32_e32 v4, 16, v0
	v_and_b32_e32 v0, 0xffff, v0
	;;#ASMSTART
	v_cvt_f32_f16 v0, v0;
	;;#ASMEND
	;;#ASMSTART
	v_cvt_f32_f16 v4, v4;
	;;#ASMEND
	;; [unrolled: 3-line block ×4, first 2 shown]
	v_fmac_f32_e32 v51, v0, v5
	v_fmac_f32_e32 v54, v4, v6
	v_lshrrev_b32_e32 v4, 16, v1
	v_and_b32_e32 v0, 0xffff, v1
	;;#ASMSTART
	v_cvt_f32_f16 v0, v0;
	;;#ASMEND
	;;#ASMSTART
	v_cvt_f32_f16 v1, v4;
	;;#ASMEND
	v_and_b32_e32 v4, 0xffff, v109
	v_and_b32_e32 v5, 0xffff, v13
	;;#ASMSTART
	v_cvt_f32_f16 v4, v4;
	;;#ASMEND
	;;#ASMSTART
	v_cvt_f32_f16 v5, v5;
	;;#ASMEND
	s_delay_alu instid0(VALU_DEP_1)
	v_dual_fmac_f32 v96, v0, v4 :: v_dual_fmac_f32 v87, v1, v5
	v_lshrrev_b32_e32 v1, 16, v2
	v_and_b32_e32 v0, 0xffff, v2
	v_and_b32_e32 v2, 0xffff, v91
	;;#ASMSTART
	v_cvt_f32_f16 v0, v0;
	;;#ASMEND
	;;#ASMSTART
	v_cvt_f32_f16 v1, v1;
	;;#ASMEND
	;; [unrolled: 3-line block ×3, first 2 shown]
	v_and_b32_e32 v4, 0xffff, v14
	;;#ASMSTART
	v_cvt_f32_f16 v4, v4;
	;;#ASMEND
	s_delay_alu instid0(VALU_DEP_1)
	v_dual_fmac_f32 v98, v0, v2 :: v_dual_fmac_f32 v97, v1, v4
	v_lshrrev_b32_e32 v1, 16, v3
	v_and_b32_e32 v0, 0xffff, v3
	v_and_b32_e32 v2, 0xffff, v16
	v_and_b32_e32 v3, 0xffff, v88
	;;#ASMSTART
	v_cvt_f32_f16 v0, v0;
	;;#ASMEND
	;;#ASMSTART
	v_cvt_f32_f16 v1, v1;
	;;#ASMEND
	;;#ASMSTART
	v_cvt_f32_f16 v2, v2;
	;;#ASMEND
	;;#ASMSTART
	v_cvt_f32_f16 v3, v3;
	;;#ASMEND
	v_fmac_f32_e32 v15, v0, v2
	v_fmac_f32_e32 v19, v1, v3
	ds_load_b128 v[0:3], v8 offset:176
	v_and_b32_e32 v5, 0xffff, v140
	v_and_b32_e32 v6, 0xffff, v127
	s_wait_dscnt 0x0
	v_lshrrev_b32_e32 v4, 16, v0
	v_and_b32_e32 v0, 0xffff, v0
	;;#ASMSTART
	v_cvt_f32_f16 v0, v0;
	;;#ASMEND
	;;#ASMSTART
	v_cvt_f32_f16 v4, v4;
	;;#ASMEND
	;; [unrolled: 3-line block ×4, first 2 shown]
	v_fmac_f32_e32 v51, v0, v5
	v_fmac_f32_e32 v54, v4, v6
	v_lshrrev_b32_e32 v4, 16, v1
	v_and_b32_e32 v0, 0xffff, v1
	;;#ASMSTART
	v_cvt_f32_f16 v0, v0;
	;;#ASMEND
	;;#ASMSTART
	v_cvt_f32_f16 v1, v4;
	;;#ASMEND
	v_and_b32_e32 v4, 0xffff, v126
	v_and_b32_e32 v5, 0xffff, v18
	;;#ASMSTART
	v_cvt_f32_f16 v4, v4;
	;;#ASMEND
	;;#ASMSTART
	v_cvt_f32_f16 v5, v5;
	;;#ASMEND
	s_delay_alu instid0(VALU_DEP_1)
	v_dual_fmac_f32 v96, v0, v4 :: v_dual_fmac_f32 v87, v1, v5
	v_lshrrev_b32_e32 v1, 16, v2
	v_and_b32_e32 v0, 0xffff, v2
	v_and_b32_e32 v2, 0xffff, v107
	;;#ASMSTART
	v_cvt_f32_f16 v0, v0;
	;;#ASMEND
	;;#ASMSTART
	v_cvt_f32_f16 v1, v1;
	;;#ASMEND
	;; [unrolled: 3-line block ×3, first 2 shown]
	v_and_b32_e32 v4, 0xffff, v106
	;;#ASMSTART
	v_cvt_f32_f16 v4, v4;
	;;#ASMEND
	s_delay_alu instid0(VALU_DEP_1)
	v_dual_fmac_f32 v98, v0, v2 :: v_dual_fmac_f32 v97, v1, v4
	v_lshrrev_b32_e32 v1, 16, v3
	v_and_b32_e32 v0, 0xffff, v3
	v_and_b32_e32 v2, 0xffff, v22
	;; [unrolled: 1-line block ×3, first 2 shown]
	;;#ASMSTART
	v_cvt_f32_f16 v0, v0;
	;;#ASMEND
	;;#ASMSTART
	v_cvt_f32_f16 v1, v1;
	;;#ASMEND
	;; [unrolled: 3-line block ×4, first 2 shown]
	v_fmac_f32_e32 v15, v0, v2
	v_fmac_f32_e32 v19, v1, v3
	ds_load_b128 v[0:3], v8 offset:192
	v_and_b32_e32 v5, 0xffff, v120
	v_and_b32_e32 v6, 0xffff, v25
	s_wait_dscnt 0x0
	v_lshrrev_b32_e32 v4, 16, v0
	v_and_b32_e32 v0, 0xffff, v0
	;;#ASMSTART
	v_cvt_f32_f16 v0, v0;
	;;#ASMEND
	;;#ASMSTART
	v_cvt_f32_f16 v4, v4;
	;;#ASMEND
	;; [unrolled: 3-line block ×4, first 2 shown]
	v_fmac_f32_e32 v51, v0, v5
	v_fmac_f32_e32 v54, v4, v6
	v_lshrrev_b32_e32 v4, 16, v1
	v_and_b32_e32 v0, 0xffff, v1
	;;#ASMSTART
	v_cvt_f32_f16 v0, v0;
	;;#ASMEND
	;;#ASMSTART
	v_cvt_f32_f16 v1, v4;
	;;#ASMEND
	v_and_b32_e32 v4, 0xffff, v170
	v_and_b32_e32 v5, 0xffff, v29
	;;#ASMSTART
	v_cvt_f32_f16 v4, v4;
	;;#ASMEND
	;;#ASMSTART
	v_cvt_f32_f16 v5, v5;
	;;#ASMEND
	s_delay_alu instid0(VALU_DEP_1)
	v_dual_fmac_f32 v96, v0, v4 :: v_dual_fmac_f32 v87, v1, v5
	v_lshrrev_b32_e32 v1, 16, v2
	v_and_b32_e32 v0, 0xffff, v2
	v_and_b32_e32 v2, 0xffff, v123
	;;#ASMSTART
	v_cvt_f32_f16 v0, v0;
	;;#ASMEND
	;;#ASMSTART
	v_cvt_f32_f16 v1, v1;
	;;#ASMEND
	;; [unrolled: 3-line block ×3, first 2 shown]
	v_and_b32_e32 v4, 0xffff, v122
	;;#ASMSTART
	v_cvt_f32_f16 v4, v4;
	;;#ASMEND
	s_delay_alu instid0(VALU_DEP_1)
	v_dual_fmac_f32 v98, v0, v2 :: v_dual_fmac_f32 v97, v1, v4
	v_lshrrev_b32_e32 v1, 16, v3
	v_and_b32_e32 v0, 0xffff, v3
	v_and_b32_e32 v2, 0xffff, v30
	;; [unrolled: 1-line block ×3, first 2 shown]
	;;#ASMSTART
	v_cvt_f32_f16 v0, v0;
	;;#ASMEND
	;;#ASMSTART
	v_cvt_f32_f16 v1, v1;
	;;#ASMEND
	;; [unrolled: 3-line block ×4, first 2 shown]
	v_fmac_f32_e32 v15, v0, v2
	v_fmac_f32_e32 v19, v1, v3
	ds_load_b128 v[0:3], v8 offset:208
	v_and_b32_e32 v5, 0xffff, v33
	v_and_b32_e32 v6, 0xffff, v34
	s_wait_dscnt 0x0
	v_lshrrev_b32_e32 v4, 16, v0
	v_and_b32_e32 v0, 0xffff, v0
	;;#ASMSTART
	v_cvt_f32_f16 v0, v0;
	;;#ASMEND
	;;#ASMSTART
	v_cvt_f32_f16 v4, v4;
	;;#ASMEND
	;; [unrolled: 3-line block ×4, first 2 shown]
	v_fmac_f32_e32 v51, v0, v5
	v_fmac_f32_e32 v54, v4, v6
	v_lshrrev_b32_e32 v4, 16, v1
	v_and_b32_e32 v0, 0xffff, v1
	;;#ASMSTART
	v_cvt_f32_f16 v0, v0;
	;;#ASMEND
	;;#ASMSTART
	v_cvt_f32_f16 v1, v4;
	;;#ASMEND
	v_and_b32_e32 v4, 0xffff, v35
	v_and_b32_e32 v5, 0xffff, v36
	;;#ASMSTART
	v_cvt_f32_f16 v4, v4;
	;;#ASMEND
	;;#ASMSTART
	v_cvt_f32_f16 v5, v5;
	;;#ASMEND
	s_delay_alu instid0(VALU_DEP_1)
	v_dual_fmac_f32 v96, v0, v4 :: v_dual_fmac_f32 v87, v1, v5
	v_lshrrev_b32_e32 v1, 16, v2
	v_and_b32_e32 v0, 0xffff, v2
	v_and_b32_e32 v2, 0xffff, v69
	;;#ASMSTART
	v_cvt_f32_f16 v0, v0;
	;;#ASMEND
	;;#ASMSTART
	v_cvt_f32_f16 v1, v1;
	;;#ASMEND
	;; [unrolled: 3-line block ×3, first 2 shown]
	v_and_b32_e32 v4, 0xffff, v39
	;;#ASMSTART
	v_cvt_f32_f16 v4, v4;
	;;#ASMEND
	s_delay_alu instid0(VALU_DEP_1)
	v_dual_fmac_f32 v98, v0, v2 :: v_dual_fmac_f32 v97, v1, v4
	v_lshrrev_b32_e32 v1, 16, v3
	v_and_b32_e32 v0, 0xffff, v3
	v_and_b32_e32 v2, 0xffff, v49
	v_and_b32_e32 v3, 0xffff, v52
	;;#ASMSTART
	v_cvt_f32_f16 v0, v0;
	;;#ASMEND
	;;#ASMSTART
	v_cvt_f32_f16 v1, v1;
	;;#ASMEND
	;; [unrolled: 3-line block ×4, first 2 shown]
	v_fmac_f32_e32 v15, v0, v2
	v_fmac_f32_e32 v19, v1, v3
	ds_load_b128 v[0:3], v8 offset:224
	v_and_b32_e32 v5, 0xffff, v72
	v_and_b32_e32 v6, 0xffff, v53
	s_wait_dscnt 0x0
	v_lshrrev_b32_e32 v4, 16, v0
	v_and_b32_e32 v0, 0xffff, v0
	;;#ASMSTART
	v_cvt_f32_f16 v0, v0;
	;;#ASMEND
	;;#ASMSTART
	v_cvt_f32_f16 v4, v4;
	;;#ASMEND
	;; [unrolled: 3-line block ×4, first 2 shown]
	v_fmac_f32_e32 v51, v0, v5
	v_fmac_f32_e32 v54, v4, v6
	v_lshrrev_b32_e32 v4, 16, v1
	v_and_b32_e32 v0, 0xffff, v1
	;;#ASMSTART
	v_cvt_f32_f16 v0, v0;
	;;#ASMEND
	;;#ASMSTART
	v_cvt_f32_f16 v1, v4;
	;;#ASMEND
	v_and_b32_e32 v4, 0xffff, v83
	v_and_b32_e32 v5, 0xffff, v55
	;;#ASMSTART
	v_cvt_f32_f16 v4, v4;
	;;#ASMEND
	;;#ASMSTART
	v_cvt_f32_f16 v5, v5;
	;;#ASMEND
	s_delay_alu instid0(VALU_DEP_1)
	v_dual_fmac_f32 v96, v0, v4 :: v_dual_fmac_f32 v87, v1, v5
	v_lshrrev_b32_e32 v1, 16, v2
	v_and_b32_e32 v0, 0xffff, v2
	v_and_b32_e32 v2, 0xffff, v65
	;;#ASMSTART
	v_cvt_f32_f16 v0, v0;
	;;#ASMEND
	;;#ASMSTART
	v_cvt_f32_f16 v1, v1;
	;;#ASMEND
	;; [unrolled: 3-line block ×3, first 2 shown]
	v_and_b32_e32 v4, 0xffff, v66
	;;#ASMSTART
	v_cvt_f32_f16 v4, v4;
	;;#ASMEND
	s_delay_alu instid0(VALU_DEP_1)
	v_dual_fmac_f32 v98, v0, v2 :: v_dual_fmac_f32 v97, v1, v4
	v_lshrrev_b32_e32 v1, 16, v3
	v_and_b32_e32 v0, 0xffff, v3
	v_and_b32_e32 v2, 0xffff, v68
	;; [unrolled: 1-line block ×3, first 2 shown]
	;;#ASMSTART
	v_cvt_f32_f16 v0, v0;
	;;#ASMEND
	;;#ASMSTART
	v_cvt_f32_f16 v1, v1;
	;;#ASMEND
	;; [unrolled: 3-line block ×4, first 2 shown]
	v_fmac_f32_e32 v15, v0, v2
	v_fmac_f32_e32 v19, v1, v3
	ds_load_b128 v[0:3], v8 offset:240
	v_and_b32_e32 v5, 0xffff, v86
	v_and_b32_e32 v6, 0xffff, v99
	s_wait_dscnt 0x0
	v_lshrrev_b32_e32 v4, 16, v0
	v_and_b32_e32 v0, 0xffff, v0
	;;#ASMSTART
	v_cvt_f32_f16 v0, v0;
	;;#ASMEND
	;;#ASMSTART
	v_cvt_f32_f16 v4, v4;
	;;#ASMEND
	;; [unrolled: 3-line block ×4, first 2 shown]
	v_fmac_f32_e32 v51, v0, v5
	v_fmac_f32_e32 v54, v4, v6
	v_lshrrev_b32_e32 v4, 16, v1
	v_and_b32_e32 v0, 0xffff, v1
	;;#ASMSTART
	v_cvt_f32_f16 v0, v0;
	;;#ASMEND
	;;#ASMSTART
	v_cvt_f32_f16 v1, v4;
	;;#ASMEND
	v_and_b32_e32 v4, 0xffff, v101
	v_and_b32_e32 v5, 0xffff, v112
	;;#ASMSTART
	v_cvt_f32_f16 v4, v4;
	;;#ASMEND
	;;#ASMSTART
	v_cvt_f32_f16 v5, v5;
	;;#ASMEND
	s_delay_alu instid0(VALU_DEP_1)
	v_dual_fmac_f32 v96, v0, v4 :: v_dual_fmac_f32 v87, v1, v5
	v_lshrrev_b32_e32 v1, 16, v2
	v_and_b32_e32 v0, 0xffff, v2
	v_and_b32_e32 v2, 0xffff, v40
	;;#ASMSTART
	v_cvt_f32_f16 v0, v0;
	;;#ASMEND
	;;#ASMSTART
	v_cvt_f32_f16 v1, v1;
	;;#ASMEND
	;; [unrolled: 3-line block ×3, first 2 shown]
	v_and_b32_e32 v4, 0xffff, v114
	;;#ASMSTART
	v_cvt_f32_f16 v4, v4;
	;;#ASMEND
	s_delay_alu instid0(VALU_DEP_1)
	v_dual_fmac_f32 v98, v0, v2 :: v_dual_fmac_f32 v97, v1, v4
	v_lshrrev_b32_e32 v1, 16, v3
	v_and_b32_e32 v0, 0xffff, v3
	v_and_b32_e32 v2, 0xffff, v115
	;; [unrolled: 1-line block ×3, first 2 shown]
	;;#ASMSTART
	v_cvt_f32_f16 v0, v0;
	;;#ASMEND
	;;#ASMSTART
	v_cvt_f32_f16 v1, v1;
	;;#ASMEND
	;; [unrolled: 3-line block ×4, first 2 shown]
	v_fmac_f32_e32 v15, v0, v2
	v_fmac_f32_e32 v19, v1, v3
	ds_load_b128 v[0:3], v8 offset:256
	v_and_b32_e32 v5, 0xffff, v61
	v_and_b32_e32 v6, 0xffff, v130
	s_wait_dscnt 0x0
	v_lshrrev_b32_e32 v4, 16, v0
	v_and_b32_e32 v0, 0xffff, v0
	;;#ASMSTART
	v_cvt_f32_f16 v0, v0;
	;;#ASMEND
	;;#ASMSTART
	v_cvt_f32_f16 v4, v4;
	;;#ASMEND
	;; [unrolled: 3-line block ×4, first 2 shown]
	v_fmac_f32_e32 v51, v0, v5
	v_fmac_f32_e32 v54, v4, v6
	v_lshrrev_b32_e32 v4, 16, v1
	v_and_b32_e32 v0, 0xffff, v1
	;;#ASMSTART
	v_cvt_f32_f16 v0, v0;
	;;#ASMEND
	;;#ASMSTART
	v_cvt_f32_f16 v1, v4;
	;;#ASMEND
	v_and_b32_e32 v4, 0xffff, v131
	v_and_b32_e32 v5, 0xffff, v158
	;;#ASMSTART
	v_cvt_f32_f16 v4, v4;
	;;#ASMEND
	;;#ASMSTART
	v_cvt_f32_f16 v5, v5;
	;;#ASMEND
	s_delay_alu instid0(VALU_DEP_1)
	v_dual_fmac_f32 v96, v0, v4 :: v_dual_fmac_f32 v87, v1, v5
	v_lshrrev_b32_e32 v1, 16, v2
	v_and_b32_e32 v0, 0xffff, v2
	v_and_b32_e32 v2, 0xffff, v144
	;;#ASMSTART
	v_cvt_f32_f16 v0, v0;
	;;#ASMEND
	;;#ASMSTART
	v_cvt_f32_f16 v1, v1;
	;;#ASMEND
	;; [unrolled: 3-line block ×3, first 2 shown]
	v_and_b32_e32 v4, 0xffff, v146
	;;#ASMSTART
	v_cvt_f32_f16 v4, v4;
	;;#ASMEND
	s_delay_alu instid0(VALU_DEP_1)
	v_dual_fmac_f32 v98, v0, v2 :: v_dual_fmac_f32 v97, v1, v4
	v_lshrrev_b32_e32 v1, 16, v3
	v_and_b32_e32 v0, 0xffff, v3
	v_and_b32_e32 v2, 0xffff, v147
	;; [unrolled: 1-line block ×3, first 2 shown]
	;;#ASMSTART
	v_cvt_f32_f16 v0, v0;
	;;#ASMEND
	;;#ASMSTART
	v_cvt_f32_f16 v1, v1;
	;;#ASMEND
	;; [unrolled: 3-line block ×4, first 2 shown]
	v_fmac_f32_e32 v15, v0, v2
	v_fmac_f32_e32 v19, v1, v3
	ds_load_b128 v[0:3], v8 offset:272
	v_and_b32_e32 v5, 0xffff, v160
	v_and_b32_e32 v6, 0xffff, v162
	s_wait_dscnt 0x0
	v_lshrrev_b32_e32 v4, 16, v0
	v_and_b32_e32 v0, 0xffff, v0
	;;#ASMSTART
	v_cvt_f32_f16 v0, v0;
	;;#ASMEND
	;;#ASMSTART
	v_cvt_f32_f16 v4, v4;
	;;#ASMEND
	;; [unrolled: 3-line block ×4, first 2 shown]
	v_fmac_f32_e32 v51, v0, v5
	v_fmac_f32_e32 v54, v4, v6
	v_lshrrev_b32_e32 v4, 16, v1
	v_and_b32_e32 v0, 0xffff, v1
	;;#ASMSTART
	v_cvt_f32_f16 v0, v0;
	;;#ASMEND
	;;#ASMSTART
	v_cvt_f32_f16 v1, v4;
	;;#ASMEND
	v_and_b32_e32 v4, 0xffff, v163
	v_and_b32_e32 v5, 0xffff, v152
	;;#ASMSTART
	v_cvt_f32_f16 v4, v4;
	;;#ASMEND
	;;#ASMSTART
	v_cvt_f32_f16 v5, v5;
	;;#ASMEND
	s_delay_alu instid0(VALU_DEP_1)
	v_dual_fmac_f32 v96, v0, v4 :: v_dual_fmac_f32 v87, v1, v5
	v_lshrrev_b32_e32 v1, 16, v2
	v_and_b32_e32 v0, 0xffff, v2
	v_and_b32_e32 v2, 0xffff, v165
	;;#ASMSTART
	v_cvt_f32_f16 v0, v0;
	;;#ASMEND
	;;#ASMSTART
	v_cvt_f32_f16 v1, v1;
	;;#ASMEND
	;; [unrolled: 3-line block ×3, first 2 shown]
	v_and_b32_e32 v4, 0xffff, v179
	;;#ASMSTART
	v_cvt_f32_f16 v4, v4;
	;;#ASMEND
	s_delay_alu instid0(VALU_DEP_1)
	v_dual_fmac_f32 v98, v0, v2 :: v_dual_fmac_f32 v97, v1, v4
	v_lshrrev_b32_e32 v1, 16, v3
	v_and_b32_e32 v0, 0xffff, v3
	v_and_b32_e32 v2, 0xffff, v138
	;; [unrolled: 1-line block ×3, first 2 shown]
	;;#ASMSTART
	v_cvt_f32_f16 v0, v0;
	;;#ASMEND
	;;#ASMSTART
	v_cvt_f32_f16 v1, v1;
	;;#ASMEND
	;; [unrolled: 3-line block ×4, first 2 shown]
	v_fmac_f32_e32 v15, v0, v2
	v_fmac_f32_e32 v19, v1, v3
	ds_load_b128 v[0:3], v8 offset:288
	v_and_b32_e32 v5, 0xffff, v42
	v_and_b32_e32 v6, 0xffff, v43
	s_wait_dscnt 0x0
	v_lshrrev_b32_e32 v4, 16, v0
	v_and_b32_e32 v0, 0xffff, v0
	;;#ASMSTART
	v_cvt_f32_f16 v0, v0;
	;;#ASMEND
	;;#ASMSTART
	v_cvt_f32_f16 v4, v4;
	;;#ASMEND
	;; [unrolled: 3-line block ×4, first 2 shown]
	v_fmac_f32_e32 v51, v0, v5
	v_fmac_f32_e32 v54, v4, v6
	v_lshrrev_b32_e32 v4, 16, v1
	v_and_b32_e32 v0, 0xffff, v1
	;;#ASMSTART
	v_cvt_f32_f16 v0, v0;
	;;#ASMEND
	;;#ASMSTART
	v_cvt_f32_f16 v1, v4;
	;;#ASMEND
	v_and_b32_e32 v4, 0xffff, v45
	v_and_b32_e32 v5, 0xffff, v56
	;;#ASMSTART
	v_cvt_f32_f16 v4, v4;
	;;#ASMEND
	;;#ASMSTART
	v_cvt_f32_f16 v5, v5;
	;;#ASMEND
	s_delay_alu instid0(VALU_DEP_1)
	v_dual_fmac_f32 v96, v0, v4 :: v_dual_fmac_f32 v87, v1, v5
	v_lshrrev_b32_e32 v1, 16, v2
	v_and_b32_e32 v0, 0xffff, v2
	v_and_b32_e32 v2, 0xffff, v58
	;;#ASMSTART
	v_cvt_f32_f16 v0, v0;
	;;#ASMEND
	;;#ASMSTART
	v_cvt_f32_f16 v1, v1;
	;;#ASMEND
	;; [unrolled: 3-line block ×3, first 2 shown]
	v_and_b32_e32 v4, 0xffff, v59
	;;#ASMSTART
	v_cvt_f32_f16 v4, v4;
	;;#ASMEND
	s_delay_alu instid0(VALU_DEP_1)
	v_dual_fmac_f32 v98, v0, v2 :: v_dual_fmac_f32 v97, v1, v4
	v_lshrrev_b32_e32 v1, 16, v3
	v_and_b32_e32 v0, 0xffff, v3
	v_and_b32_e32 v2, 0xffff, v125
	;; [unrolled: 1-line block ×3, first 2 shown]
	;;#ASMSTART
	v_cvt_f32_f16 v0, v0;
	;;#ASMEND
	;;#ASMSTART
	v_cvt_f32_f16 v1, v1;
	;;#ASMEND
	;;#ASMSTART
	v_cvt_f32_f16 v2, v2;
	;;#ASMEND
	;;#ASMSTART
	v_cvt_f32_f16 v3, v3;
	;;#ASMEND
	v_fmac_f32_e32 v15, v0, v2
	v_fmac_f32_e32 v19, v1, v3
	ds_load_b128 v[0:3], v8 offset:304
	v_and_b32_e32 v5, 0xffff, v137
	s_wait_dscnt 0x0
	v_lshrrev_b32_e32 v4, 16, v0
	v_and_b32_e32 v0, 0xffff, v0
	;;#ASMSTART
	v_cvt_f32_f16 v0, v0;
	;;#ASMEND
	;;#ASMSTART
	v_cvt_f32_f16 v4, v4;
	;;#ASMEND
	;;#ASMSTART
	v_cvt_f32_f16 v5, v5;
	;;#ASMEND
	scratch_load_b32 v6, off, s32 offset:1056 th:TH_LOAD_LU ; 4-byte Folded Reload
	v_fmac_f32_e32 v51, v0, v5
	v_and_b32_e32 v0, 0xffff, v1
	s_wait_loadcnt 0x0
	v_and_b32_e32 v6, 0xffff, v6
	;;#ASMSTART
	v_cvt_f32_f16 v6, v6;
	;;#ASMEND
	s_delay_alu instid0(VALU_DEP_1)
	v_fmac_f32_e32 v54, v4, v6
	v_lshrrev_b32_e32 v4, 16, v1
	;;#ASMSTART
	v_cvt_f32_f16 v0, v0;
	;;#ASMEND
	;;#ASMSTART
	v_cvt_f32_f16 v1, v4;
	;;#ASMEND
	scratch_load_b32 v4, off, s32 offset:1052 th:TH_LOAD_LU ; 4-byte Folded Reload
	s_wait_loadcnt 0x0
	v_and_b32_e32 v4, 0xffff, v4
	;;#ASMSTART
	v_cvt_f32_f16 v4, v4;
	;;#ASMEND
	scratch_load_b32 v5, off, s32 offset:1048 th:TH_LOAD_LU ; 4-byte Folded Reload
	v_fmac_f32_e32 v96, v0, v4
	v_and_b32_e32 v0, 0xffff, v2
	s_wait_loadcnt 0x0
	v_and_b32_e32 v5, 0xffff, v5
	;;#ASMSTART
	v_cvt_f32_f16 v5, v5;
	;;#ASMEND
	s_delay_alu instid0(VALU_DEP_1)
	v_fmac_f32_e32 v87, v1, v5
	v_lshrrev_b32_e32 v1, 16, v2
	;;#ASMSTART
	v_cvt_f32_f16 v0, v0;
	;;#ASMEND
	;;#ASMSTART
	v_cvt_f32_f16 v1, v1;
	;;#ASMEND
	scratch_load_b32 v2, off, s32 offset:1044 th:TH_LOAD_LU ; 4-byte Folded Reload
	s_wait_loadcnt 0x0
	v_and_b32_e32 v2, 0xffff, v2
	;;#ASMSTART
	v_cvt_f32_f16 v2, v2;
	;;#ASMEND
	;; [unrolled: 23-line block ×3, first 2 shown]
	scratch_load_b32 v3, off, s32 offset:612 th:TH_LOAD_LU ; 4-byte Folded Reload
	v_fmac_f32_e32 v15, v0, v2
	s_wait_loadcnt 0x0
	v_and_b32_e32 v3, 0xffff, v3
	;;#ASMSTART
	v_cvt_f32_f16 v3, v3;
	;;#ASMEND
	s_delay_alu instid0(VALU_DEP_1)
	v_fmac_f32_e32 v19, v1, v3
	ds_load_b128 v[0:3], v8 offset:320
	s_wait_dscnt 0x0
	v_lshrrev_b32_e32 v4, 16, v0
	v_and_b32_e32 v0, 0xffff, v0
	;;#ASMSTART
	v_cvt_f32_f16 v0, v0;
	;;#ASMEND
	;;#ASMSTART
	v_cvt_f32_f16 v4, v4;
	;;#ASMEND
	scratch_load_b32 v5, off, s32 offset:1032 th:TH_LOAD_LU ; 4-byte Folded Reload
	s_wait_loadcnt 0x0
	v_and_b32_e32 v5, 0xffff, v5
	;;#ASMSTART
	v_cvt_f32_f16 v5, v5;
	;;#ASMEND
	scratch_load_b32 v6, off, s32 offset:1028 th:TH_LOAD_LU ; 4-byte Folded Reload
	v_fmac_f32_e32 v51, v0, v5
	v_and_b32_e32 v0, 0xffff, v1
	s_wait_loadcnt 0x0
	v_and_b32_e32 v6, 0xffff, v6
	;;#ASMSTART
	v_cvt_f32_f16 v6, v6;
	;;#ASMEND
	s_delay_alu instid0(VALU_DEP_1)
	v_fmac_f32_e32 v54, v4, v6
	v_lshrrev_b32_e32 v4, 16, v1
	;;#ASMSTART
	v_cvt_f32_f16 v0, v0;
	;;#ASMEND
	;;#ASMSTART
	v_cvt_f32_f16 v1, v4;
	;;#ASMEND
	scratch_load_b32 v4, off, s32 offset:1024 th:TH_LOAD_LU ; 4-byte Folded Reload
	s_wait_loadcnt 0x0
	v_and_b32_e32 v4, 0xffff, v4
	;;#ASMSTART
	v_cvt_f32_f16 v4, v4;
	;;#ASMEND
	scratch_load_b32 v5, off, s32 offset:1020 th:TH_LOAD_LU ; 4-byte Folded Reload
	v_fmac_f32_e32 v96, v0, v4
	v_and_b32_e32 v0, 0xffff, v2
	s_wait_loadcnt 0x0
	v_and_b32_e32 v5, 0xffff, v5
	;;#ASMSTART
	v_cvt_f32_f16 v5, v5;
	;;#ASMEND
	s_delay_alu instid0(VALU_DEP_1)
	v_fmac_f32_e32 v87, v1, v5
	v_lshrrev_b32_e32 v1, 16, v2
	;; [unrolled: 23-line block ×3, first 2 shown]
	;;#ASMSTART
	v_cvt_f32_f16 v0, v0;
	;;#ASMEND
	;;#ASMSTART
	v_cvt_f32_f16 v1, v1;
	;;#ASMEND
	scratch_load_b32 v2, off, s32 offset:1008 th:TH_LOAD_LU ; 4-byte Folded Reload
	s_wait_loadcnt 0x0
	v_and_b32_e32 v2, 0xffff, v2
	;;#ASMSTART
	v_cvt_f32_f16 v2, v2;
	;;#ASMEND
	scratch_load_b32 v3, off, s32 offset:1004 th:TH_LOAD_LU ; 4-byte Folded Reload
	v_fmac_f32_e32 v15, v0, v2
	s_wait_loadcnt 0x0
	v_and_b32_e32 v3, 0xffff, v3
	;;#ASMSTART
	v_cvt_f32_f16 v3, v3;
	;;#ASMEND
	s_delay_alu instid0(VALU_DEP_1)
	v_fmac_f32_e32 v19, v1, v3
	ds_load_b128 v[0:3], v8 offset:336
	s_wait_dscnt 0x0
	v_lshrrev_b32_e32 v4, 16, v0
	v_and_b32_e32 v0, 0xffff, v0
	;;#ASMSTART
	v_cvt_f32_f16 v0, v0;
	;;#ASMEND
	;;#ASMSTART
	v_cvt_f32_f16 v4, v4;
	;;#ASMEND
	scratch_load_b32 v5, off, s32 offset:1000 th:TH_LOAD_LU ; 4-byte Folded Reload
	s_wait_loadcnt 0x0
	v_and_b32_e32 v5, 0xffff, v5
	;;#ASMSTART
	v_cvt_f32_f16 v5, v5;
	;;#ASMEND
	scratch_load_b32 v6, off, s32 offset:996 th:TH_LOAD_LU ; 4-byte Folded Reload
	v_fmac_f32_e32 v51, v0, v5
	v_and_b32_e32 v0, 0xffff, v1
	s_wait_loadcnt 0x0
	v_and_b32_e32 v6, 0xffff, v6
	;;#ASMSTART
	v_cvt_f32_f16 v6, v6;
	;;#ASMEND
	s_delay_alu instid0(VALU_DEP_1)
	v_fmac_f32_e32 v54, v4, v6
	v_lshrrev_b32_e32 v4, 16, v1
	;;#ASMSTART
	v_cvt_f32_f16 v0, v0;
	;;#ASMEND
	;;#ASMSTART
	v_cvt_f32_f16 v1, v4;
	;;#ASMEND
	scratch_load_b32 v4, off, s32 offset:992 th:TH_LOAD_LU ; 4-byte Folded Reload
	s_wait_loadcnt 0x0
	v_and_b32_e32 v4, 0xffff, v4
	;;#ASMSTART
	v_cvt_f32_f16 v4, v4;
	;;#ASMEND
	scratch_load_b32 v5, off, s32 offset:988 th:TH_LOAD_LU ; 4-byte Folded Reload
	v_fmac_f32_e32 v96, v0, v4
	v_and_b32_e32 v0, 0xffff, v2
	s_wait_loadcnt 0x0
	v_and_b32_e32 v5, 0xffff, v5
	;;#ASMSTART
	v_cvt_f32_f16 v5, v5;
	;;#ASMEND
	s_delay_alu instid0(VALU_DEP_1)
	v_fmac_f32_e32 v87, v1, v5
	v_lshrrev_b32_e32 v1, 16, v2
	;; [unrolled: 23-line block ×3, first 2 shown]
	;;#ASMSTART
	v_cvt_f32_f16 v0, v0;
	;;#ASMEND
	;;#ASMSTART
	v_cvt_f32_f16 v1, v1;
	;;#ASMEND
	scratch_load_b32 v2, off, s32 offset:976 th:TH_LOAD_LU ; 4-byte Folded Reload
	s_wait_loadcnt 0x0
	v_and_b32_e32 v2, 0xffff, v2
	;;#ASMSTART
	v_cvt_f32_f16 v2, v2;
	;;#ASMEND
	scratch_load_b32 v3, off, s32 offset:972 th:TH_LOAD_LU ; 4-byte Folded Reload
	v_fmac_f32_e32 v15, v0, v2
	s_wait_loadcnt 0x0
	v_and_b32_e32 v3, 0xffff, v3
	;;#ASMSTART
	v_cvt_f32_f16 v3, v3;
	;;#ASMEND
	s_delay_alu instid0(VALU_DEP_1)
	v_fmac_f32_e32 v19, v1, v3
	ds_load_b128 v[0:3], v8 offset:352
	s_wait_dscnt 0x0
	v_lshrrev_b32_e32 v4, 16, v0
	v_and_b32_e32 v0, 0xffff, v0
	;;#ASMSTART
	v_cvt_f32_f16 v0, v0;
	;;#ASMEND
	;;#ASMSTART
	v_cvt_f32_f16 v4, v4;
	;;#ASMEND
	scratch_load_b32 v5, off, s32 offset:968 th:TH_LOAD_LU ; 4-byte Folded Reload
	s_wait_loadcnt 0x0
	v_and_b32_e32 v5, 0xffff, v5
	;;#ASMSTART
	v_cvt_f32_f16 v5, v5;
	;;#ASMEND
	scratch_load_b32 v6, off, s32 offset:964 th:TH_LOAD_LU ; 4-byte Folded Reload
	v_fmac_f32_e32 v51, v0, v5
	v_and_b32_e32 v0, 0xffff, v1
	s_wait_loadcnt 0x0
	v_and_b32_e32 v6, 0xffff, v6
	;;#ASMSTART
	v_cvt_f32_f16 v6, v6;
	;;#ASMEND
	s_delay_alu instid0(VALU_DEP_1)
	v_fmac_f32_e32 v54, v4, v6
	v_lshrrev_b32_e32 v4, 16, v1
	;;#ASMSTART
	v_cvt_f32_f16 v0, v0;
	;;#ASMEND
	;;#ASMSTART
	v_cvt_f32_f16 v1, v4;
	;;#ASMEND
	scratch_load_b32 v4, off, s32 offset:960 th:TH_LOAD_LU ; 4-byte Folded Reload
	s_wait_loadcnt 0x0
	v_and_b32_e32 v4, 0xffff, v4
	;;#ASMSTART
	v_cvt_f32_f16 v4, v4;
	;;#ASMEND
	scratch_load_b32 v5, off, s32 offset:956 th:TH_LOAD_LU ; 4-byte Folded Reload
	v_fmac_f32_e32 v96, v0, v4
	v_and_b32_e32 v0, 0xffff, v2
	s_wait_loadcnt 0x0
	v_and_b32_e32 v5, 0xffff, v5
	;;#ASMSTART
	v_cvt_f32_f16 v5, v5;
	;;#ASMEND
	s_delay_alu instid0(VALU_DEP_1)
	v_fmac_f32_e32 v87, v1, v5
	v_lshrrev_b32_e32 v1, 16, v2
	;; [unrolled: 23-line block ×3, first 2 shown]
	;;#ASMSTART
	v_cvt_f32_f16 v0, v0;
	;;#ASMEND
	;;#ASMSTART
	v_cvt_f32_f16 v1, v1;
	;;#ASMEND
	scratch_load_b32 v2, off, s32 offset:944 th:TH_LOAD_LU ; 4-byte Folded Reload
	s_wait_loadcnt 0x0
	v_and_b32_e32 v2, 0xffff, v2
	;;#ASMSTART
	v_cvt_f32_f16 v2, v2;
	;;#ASMEND
	scratch_load_b32 v3, off, s32 offset:940 th:TH_LOAD_LU ; 4-byte Folded Reload
	v_fmac_f32_e32 v15, v0, v2
	s_wait_loadcnt 0x0
	v_and_b32_e32 v3, 0xffff, v3
	;;#ASMSTART
	v_cvt_f32_f16 v3, v3;
	;;#ASMEND
	s_delay_alu instid0(VALU_DEP_1)
	v_fmac_f32_e32 v19, v1, v3
	ds_load_b128 v[0:3], v8 offset:368
	s_wait_dscnt 0x0
	v_lshrrev_b32_e32 v4, 16, v0
	v_and_b32_e32 v0, 0xffff, v0
	;;#ASMSTART
	v_cvt_f32_f16 v0, v0;
	;;#ASMEND
	;;#ASMSTART
	v_cvt_f32_f16 v4, v4;
	;;#ASMEND
	scratch_load_b32 v5, off, s32 offset:936 th:TH_LOAD_LU ; 4-byte Folded Reload
	s_wait_loadcnt 0x0
	v_and_b32_e32 v5, 0xffff, v5
	;;#ASMSTART
	v_cvt_f32_f16 v5, v5;
	;;#ASMEND
	scratch_load_b32 v6, off, s32 offset:932 th:TH_LOAD_LU ; 4-byte Folded Reload
	v_fmac_f32_e32 v51, v0, v5
	v_and_b32_e32 v0, 0xffff, v1
	s_wait_loadcnt 0x0
	v_and_b32_e32 v6, 0xffff, v6
	;;#ASMSTART
	v_cvt_f32_f16 v6, v6;
	;;#ASMEND
	s_delay_alu instid0(VALU_DEP_1)
	v_fmac_f32_e32 v54, v4, v6
	v_lshrrev_b32_e32 v4, 16, v1
	;;#ASMSTART
	v_cvt_f32_f16 v0, v0;
	;;#ASMEND
	;;#ASMSTART
	v_cvt_f32_f16 v1, v4;
	;;#ASMEND
	scratch_load_b32 v4, off, s32 offset:928 th:TH_LOAD_LU ; 4-byte Folded Reload
	s_wait_loadcnt 0x0
	v_and_b32_e32 v4, 0xffff, v4
	;;#ASMSTART
	v_cvt_f32_f16 v4, v4;
	;;#ASMEND
	scratch_load_b32 v5, off, s32 offset:924 th:TH_LOAD_LU ; 4-byte Folded Reload
	v_fmac_f32_e32 v96, v0, v4
	v_and_b32_e32 v0, 0xffff, v2
	s_wait_loadcnt 0x0
	v_and_b32_e32 v5, 0xffff, v5
	;;#ASMSTART
	v_cvt_f32_f16 v5, v5;
	;;#ASMEND
	s_delay_alu instid0(VALU_DEP_1)
	v_fmac_f32_e32 v87, v1, v5
	v_lshrrev_b32_e32 v1, 16, v2
	;; [unrolled: 23-line block ×3, first 2 shown]
	;;#ASMSTART
	v_cvt_f32_f16 v0, v0;
	;;#ASMEND
	;;#ASMSTART
	v_cvt_f32_f16 v1, v1;
	;;#ASMEND
	scratch_load_b32 v2, off, s32 offset:912 th:TH_LOAD_LU ; 4-byte Folded Reload
	s_wait_loadcnt 0x0
	v_and_b32_e32 v2, 0xffff, v2
	;;#ASMSTART
	v_cvt_f32_f16 v2, v2;
	;;#ASMEND
	scratch_load_b32 v3, off, s32 offset:908 th:TH_LOAD_LU ; 4-byte Folded Reload
	v_fmac_f32_e32 v15, v0, v2
	s_wait_loadcnt 0x0
	v_and_b32_e32 v3, 0xffff, v3
	;;#ASMSTART
	v_cvt_f32_f16 v3, v3;
	;;#ASMEND
	s_delay_alu instid0(VALU_DEP_1)
	v_fmac_f32_e32 v19, v1, v3
	ds_load_b128 v[0:3], v8 offset:384
	s_wait_dscnt 0x0
	v_lshrrev_b32_e32 v4, 16, v0
	v_and_b32_e32 v0, 0xffff, v0
	;;#ASMSTART
	v_cvt_f32_f16 v0, v0;
	;;#ASMEND
	;;#ASMSTART
	v_cvt_f32_f16 v4, v4;
	;;#ASMEND
	scratch_load_b32 v5, off, s32 offset:904 th:TH_LOAD_LU ; 4-byte Folded Reload
	s_wait_loadcnt 0x0
	v_and_b32_e32 v5, 0xffff, v5
	;;#ASMSTART
	v_cvt_f32_f16 v5, v5;
	;;#ASMEND
	scratch_load_b32 v6, off, s32 offset:900 th:TH_LOAD_LU ; 4-byte Folded Reload
	v_fmac_f32_e32 v51, v0, v5
	v_and_b32_e32 v0, 0xffff, v1
	s_wait_loadcnt 0x0
	v_and_b32_e32 v6, 0xffff, v6
	;;#ASMSTART
	v_cvt_f32_f16 v6, v6;
	;;#ASMEND
	s_delay_alu instid0(VALU_DEP_1)
	v_fmac_f32_e32 v54, v4, v6
	v_lshrrev_b32_e32 v4, 16, v1
	;;#ASMSTART
	v_cvt_f32_f16 v0, v0;
	;;#ASMEND
	;;#ASMSTART
	v_cvt_f32_f16 v1, v4;
	;;#ASMEND
	scratch_load_b32 v4, off, s32 offset:896 th:TH_LOAD_LU ; 4-byte Folded Reload
	s_wait_loadcnt 0x0
	v_and_b32_e32 v4, 0xffff, v4
	;;#ASMSTART
	v_cvt_f32_f16 v4, v4;
	;;#ASMEND
	scratch_load_b32 v5, off, s32 offset:892 th:TH_LOAD_LU ; 4-byte Folded Reload
	v_fmac_f32_e32 v96, v0, v4
	v_and_b32_e32 v0, 0xffff, v2
	s_wait_loadcnt 0x0
	v_and_b32_e32 v5, 0xffff, v5
	;;#ASMSTART
	v_cvt_f32_f16 v5, v5;
	;;#ASMEND
	s_delay_alu instid0(VALU_DEP_1)
	v_fmac_f32_e32 v87, v1, v5
	v_lshrrev_b32_e32 v1, 16, v2
	;; [unrolled: 23-line block ×3, first 2 shown]
	;;#ASMSTART
	v_cvt_f32_f16 v0, v0;
	;;#ASMEND
	;;#ASMSTART
	v_cvt_f32_f16 v1, v1;
	;;#ASMEND
	scratch_load_b32 v2, off, s32 offset:880 th:TH_LOAD_LU ; 4-byte Folded Reload
	s_wait_loadcnt 0x0
	v_and_b32_e32 v2, 0xffff, v2
	;;#ASMSTART
	v_cvt_f32_f16 v2, v2;
	;;#ASMEND
	scratch_load_b32 v3, off, s32 offset:876 th:TH_LOAD_LU ; 4-byte Folded Reload
	v_fmac_f32_e32 v15, v0, v2
	s_wait_loadcnt 0x0
	v_and_b32_e32 v3, 0xffff, v3
	;;#ASMSTART
	v_cvt_f32_f16 v3, v3;
	;;#ASMEND
	s_delay_alu instid0(VALU_DEP_1)
	v_fmac_f32_e32 v19, v1, v3
	ds_load_b128 v[0:3], v8 offset:400
	s_wait_dscnt 0x0
	v_lshrrev_b32_e32 v4, 16, v0
	v_and_b32_e32 v0, 0xffff, v0
	;;#ASMSTART
	v_cvt_f32_f16 v0, v0;
	;;#ASMEND
	;;#ASMSTART
	v_cvt_f32_f16 v4, v4;
	;;#ASMEND
	scratch_load_b32 v5, off, s32 offset:872 th:TH_LOAD_LU ; 4-byte Folded Reload
	s_wait_loadcnt 0x0
	v_and_b32_e32 v5, 0xffff, v5
	;;#ASMSTART
	v_cvt_f32_f16 v5, v5;
	;;#ASMEND
	scratch_load_b32 v6, off, s32 offset:868 th:TH_LOAD_LU ; 4-byte Folded Reload
	v_fmac_f32_e32 v51, v0, v5
	v_and_b32_e32 v0, 0xffff, v1
	s_wait_loadcnt 0x0
	v_and_b32_e32 v6, 0xffff, v6
	;;#ASMSTART
	v_cvt_f32_f16 v6, v6;
	;;#ASMEND
	s_delay_alu instid0(VALU_DEP_1)
	v_fmac_f32_e32 v54, v4, v6
	v_lshrrev_b32_e32 v4, 16, v1
	;;#ASMSTART
	v_cvt_f32_f16 v0, v0;
	;;#ASMEND
	;;#ASMSTART
	v_cvt_f32_f16 v1, v4;
	;;#ASMEND
	scratch_load_b32 v4, off, s32 offset:864 th:TH_LOAD_LU ; 4-byte Folded Reload
	s_wait_loadcnt 0x0
	v_and_b32_e32 v4, 0xffff, v4
	;;#ASMSTART
	v_cvt_f32_f16 v4, v4;
	;;#ASMEND
	scratch_load_b32 v5, off, s32 offset:860 th:TH_LOAD_LU ; 4-byte Folded Reload
	v_fmac_f32_e32 v96, v0, v4
	v_and_b32_e32 v0, 0xffff, v2
	s_wait_loadcnt 0x0
	v_and_b32_e32 v5, 0xffff, v5
	;;#ASMSTART
	v_cvt_f32_f16 v5, v5;
	;;#ASMEND
	s_delay_alu instid0(VALU_DEP_1)
	v_fmac_f32_e32 v87, v1, v5
	v_lshrrev_b32_e32 v1, 16, v2
	;; [unrolled: 23-line block ×3, first 2 shown]
	;;#ASMSTART
	v_cvt_f32_f16 v0, v0;
	;;#ASMEND
	;;#ASMSTART
	v_cvt_f32_f16 v1, v1;
	;;#ASMEND
	scratch_load_b32 v2, off, s32 offset:848 th:TH_LOAD_LU ; 4-byte Folded Reload
	s_wait_loadcnt 0x0
	v_and_b32_e32 v2, 0xffff, v2
	;;#ASMSTART
	v_cvt_f32_f16 v2, v2;
	;;#ASMEND
	scratch_load_b32 v3, off, s32 offset:844 th:TH_LOAD_LU ; 4-byte Folded Reload
	v_fmac_f32_e32 v15, v0, v2
	s_wait_loadcnt 0x0
	v_and_b32_e32 v3, 0xffff, v3
	;;#ASMSTART
	v_cvt_f32_f16 v3, v3;
	;;#ASMEND
	s_delay_alu instid0(VALU_DEP_1)
	v_fmac_f32_e32 v19, v1, v3
	ds_load_b128 v[0:3], v8 offset:416
	s_wait_dscnt 0x0
	v_lshrrev_b32_e32 v4, 16, v0
	v_and_b32_e32 v0, 0xffff, v0
	;;#ASMSTART
	v_cvt_f32_f16 v0, v0;
	;;#ASMEND
	;;#ASMSTART
	v_cvt_f32_f16 v4, v4;
	;;#ASMEND
	scratch_load_b32 v5, off, s32 offset:840 th:TH_LOAD_LU ; 4-byte Folded Reload
	s_wait_loadcnt 0x0
	v_and_b32_e32 v5, 0xffff, v5
	;;#ASMSTART
	v_cvt_f32_f16 v5, v5;
	;;#ASMEND
	scratch_load_b32 v6, off, s32 offset:836 th:TH_LOAD_LU ; 4-byte Folded Reload
	v_fmac_f32_e32 v51, v0, v5
	v_and_b32_e32 v0, 0xffff, v1
	s_wait_loadcnt 0x0
	v_and_b32_e32 v6, 0xffff, v6
	;;#ASMSTART
	v_cvt_f32_f16 v6, v6;
	;;#ASMEND
	s_delay_alu instid0(VALU_DEP_1)
	v_fmac_f32_e32 v54, v4, v6
	v_lshrrev_b32_e32 v4, 16, v1
	;;#ASMSTART
	v_cvt_f32_f16 v0, v0;
	;;#ASMEND
	;;#ASMSTART
	v_cvt_f32_f16 v1, v4;
	;;#ASMEND
	scratch_load_b32 v4, off, s32 offset:832 th:TH_LOAD_LU ; 4-byte Folded Reload
	s_wait_loadcnt 0x0
	v_and_b32_e32 v4, 0xffff, v4
	;;#ASMSTART
	v_cvt_f32_f16 v4, v4;
	;;#ASMEND
	scratch_load_b32 v5, off, s32 offset:828 th:TH_LOAD_LU ; 4-byte Folded Reload
	v_fmac_f32_e32 v96, v0, v4
	v_and_b32_e32 v0, 0xffff, v2
	s_wait_loadcnt 0x0
	v_and_b32_e32 v5, 0xffff, v5
	;;#ASMSTART
	v_cvt_f32_f16 v5, v5;
	;;#ASMEND
	s_delay_alu instid0(VALU_DEP_1)
	v_fmac_f32_e32 v87, v1, v5
	v_lshrrev_b32_e32 v1, 16, v2
	;;#ASMSTART
	v_cvt_f32_f16 v0, v0;
	;;#ASMEND
	;;#ASMSTART
	v_cvt_f32_f16 v1, v1;
	;;#ASMEND
	scratch_load_b32 v2, off, s32 offset:824 th:TH_LOAD_LU ; 4-byte Folded Reload
	s_wait_loadcnt 0x0
	v_and_b32_e32 v2, 0xffff, v2
	;;#ASMSTART
	v_cvt_f32_f16 v2, v2;
	;;#ASMEND
	scratch_load_b32 v4, off, s32 offset:820 th:TH_LOAD_LU ; 4-byte Folded Reload
	v_fmac_f32_e32 v98, v0, v2
	v_and_b32_e32 v0, 0xffff, v3
	s_wait_loadcnt 0x0
	v_and_b32_e32 v4, 0xffff, v4
	;;#ASMSTART
	v_cvt_f32_f16 v4, v4;
	;;#ASMEND
	s_delay_alu instid0(VALU_DEP_1)
	v_fmac_f32_e32 v97, v1, v4
	v_lshrrev_b32_e32 v1, 16, v3
	;;#ASMSTART
	v_cvt_f32_f16 v0, v0;
	;;#ASMEND
	;;#ASMSTART
	v_cvt_f32_f16 v1, v1;
	;;#ASMEND
	scratch_load_b32 v2, off, s32 offset:816 th:TH_LOAD_LU ; 4-byte Folded Reload
	s_wait_loadcnt 0x0
	v_and_b32_e32 v2, 0xffff, v2
	;;#ASMSTART
	v_cvt_f32_f16 v2, v2;
	;;#ASMEND
	scratch_load_b32 v3, off, s32 offset:812 th:TH_LOAD_LU ; 4-byte Folded Reload
	v_fmac_f32_e32 v15, v0, v2
	s_wait_loadcnt 0x0
	v_and_b32_e32 v3, 0xffff, v3
	;;#ASMSTART
	v_cvt_f32_f16 v3, v3;
	;;#ASMEND
	s_delay_alu instid0(VALU_DEP_1)
	v_fmac_f32_e32 v19, v1, v3
	ds_load_b128 v[0:3], v8 offset:432
	s_wait_dscnt 0x0
	v_lshrrev_b32_e32 v4, 16, v0
	v_and_b32_e32 v0, 0xffff, v0
	;;#ASMSTART
	v_cvt_f32_f16 v0, v0;
	;;#ASMEND
	;;#ASMSTART
	v_cvt_f32_f16 v4, v4;
	;;#ASMEND
	scratch_load_b32 v5, off, s32 offset:808 th:TH_LOAD_LU ; 4-byte Folded Reload
	s_wait_loadcnt 0x0
	v_and_b32_e32 v5, 0xffff, v5
	;;#ASMSTART
	v_cvt_f32_f16 v5, v5;
	;;#ASMEND
	scratch_load_b32 v6, off, s32 offset:804 th:TH_LOAD_LU ; 4-byte Folded Reload
	v_fmac_f32_e32 v51, v0, v5
	v_and_b32_e32 v0, 0xffff, v1
	s_wait_loadcnt 0x0
	v_and_b32_e32 v6, 0xffff, v6
	;;#ASMSTART
	v_cvt_f32_f16 v6, v6;
	;;#ASMEND
	s_delay_alu instid0(VALU_DEP_1)
	v_fmac_f32_e32 v54, v4, v6
	v_lshrrev_b32_e32 v4, 16, v1
	;;#ASMSTART
	v_cvt_f32_f16 v0, v0;
	;;#ASMEND
	;;#ASMSTART
	v_cvt_f32_f16 v1, v4;
	;;#ASMEND
	scratch_load_b32 v4, off, s32 offset:800 th:TH_LOAD_LU ; 4-byte Folded Reload
	s_wait_loadcnt 0x0
	v_and_b32_e32 v4, 0xffff, v4
	;;#ASMSTART
	v_cvt_f32_f16 v4, v4;
	;;#ASMEND
	scratch_load_b32 v5, off, s32 offset:796 th:TH_LOAD_LU ; 4-byte Folded Reload
	v_fmac_f32_e32 v96, v0, v4
	v_and_b32_e32 v0, 0xffff, v2
	s_wait_loadcnt 0x0
	v_and_b32_e32 v5, 0xffff, v5
	;;#ASMSTART
	v_cvt_f32_f16 v5, v5;
	;;#ASMEND
	s_delay_alu instid0(VALU_DEP_1)
	v_fmac_f32_e32 v87, v1, v5
	v_lshrrev_b32_e32 v1, 16, v2
	;;#ASMSTART
	v_cvt_f32_f16 v0, v0;
	;;#ASMEND
	;;#ASMSTART
	v_cvt_f32_f16 v1, v1;
	;;#ASMEND
	scratch_load_b32 v2, off, s32 offset:792 th:TH_LOAD_LU ; 4-byte Folded Reload
	s_wait_loadcnt 0x0
	v_and_b32_e32 v2, 0xffff, v2
	;;#ASMSTART
	v_cvt_f32_f16 v2, v2;
	;;#ASMEND
	scratch_load_b32 v4, off, s32 offset:788 th:TH_LOAD_LU ; 4-byte Folded Reload
	v_fmac_f32_e32 v98, v0, v2
	v_and_b32_e32 v0, 0xffff, v3
	s_wait_loadcnt 0x0
	v_and_b32_e32 v4, 0xffff, v4
	;;#ASMSTART
	v_cvt_f32_f16 v4, v4;
	;;#ASMEND
	s_delay_alu instid0(VALU_DEP_1)
	v_fmac_f32_e32 v97, v1, v4
	v_lshrrev_b32_e32 v1, 16, v3
	;;#ASMSTART
	v_cvt_f32_f16 v0, v0;
	;;#ASMEND
	;;#ASMSTART
	v_cvt_f32_f16 v1, v1;
	;;#ASMEND
	scratch_load_b32 v2, off, s32 offset:784 th:TH_LOAD_LU ; 4-byte Folded Reload
	s_wait_loadcnt 0x0
	v_and_b32_e32 v2, 0xffff, v2
	;;#ASMSTART
	v_cvt_f32_f16 v2, v2;
	;;#ASMEND
	scratch_load_b32 v3, off, s32 offset:780 th:TH_LOAD_LU ; 4-byte Folded Reload
	v_fmac_f32_e32 v15, v0, v2
	s_wait_loadcnt 0x0
	v_and_b32_e32 v3, 0xffff, v3
	;;#ASMSTART
	v_cvt_f32_f16 v3, v3;
	;;#ASMEND
	s_delay_alu instid0(VALU_DEP_1)
	v_fmac_f32_e32 v19, v1, v3
	ds_load_b128 v[0:3], v8 offset:448
	s_wait_dscnt 0x0
	v_lshrrev_b32_e32 v4, 16, v0
	v_and_b32_e32 v0, 0xffff, v0
	;;#ASMSTART
	v_cvt_f32_f16 v0, v0;
	;;#ASMEND
	;;#ASMSTART
	v_cvt_f32_f16 v4, v4;
	;;#ASMEND
	scratch_load_b32 v5, off, s32 offset:776 th:TH_LOAD_LU ; 4-byte Folded Reload
	s_wait_loadcnt 0x0
	v_and_b32_e32 v5, 0xffff, v5
	;;#ASMSTART
	v_cvt_f32_f16 v5, v5;
	;;#ASMEND
	scratch_load_b32 v6, off, s32 offset:772 th:TH_LOAD_LU ; 4-byte Folded Reload
	v_fmac_f32_e32 v51, v0, v5
	v_and_b32_e32 v0, 0xffff, v1
	s_wait_loadcnt 0x0
	v_and_b32_e32 v6, 0xffff, v6
	;;#ASMSTART
	v_cvt_f32_f16 v6, v6;
	;;#ASMEND
	s_delay_alu instid0(VALU_DEP_1)
	v_fmac_f32_e32 v54, v4, v6
	v_lshrrev_b32_e32 v4, 16, v1
	;;#ASMSTART
	v_cvt_f32_f16 v0, v0;
	;;#ASMEND
	;;#ASMSTART
	v_cvt_f32_f16 v1, v4;
	;;#ASMEND
	scratch_load_b32 v4, off, s32 offset:768 th:TH_LOAD_LU ; 4-byte Folded Reload
	s_wait_loadcnt 0x0
	v_and_b32_e32 v4, 0xffff, v4
	;;#ASMSTART
	v_cvt_f32_f16 v4, v4;
	;;#ASMEND
	scratch_load_b32 v5, off, s32 offset:764 th:TH_LOAD_LU ; 4-byte Folded Reload
	v_fmac_f32_e32 v96, v0, v4
	v_and_b32_e32 v0, 0xffff, v2
	s_wait_loadcnt 0x0
	v_and_b32_e32 v5, 0xffff, v5
	;;#ASMSTART
	v_cvt_f32_f16 v5, v5;
	;;#ASMEND
	s_delay_alu instid0(VALU_DEP_1)
	v_fmac_f32_e32 v87, v1, v5
	v_lshrrev_b32_e32 v1, 16, v2
	;;#ASMSTART
	v_cvt_f32_f16 v0, v0;
	;;#ASMEND
	;;#ASMSTART
	v_cvt_f32_f16 v1, v1;
	;;#ASMEND
	scratch_load_b32 v2, off, s32 offset:760 th:TH_LOAD_LU ; 4-byte Folded Reload
	s_wait_loadcnt 0x0
	v_and_b32_e32 v2, 0xffff, v2
	;;#ASMSTART
	v_cvt_f32_f16 v2, v2;
	;;#ASMEND
	scratch_load_b32 v4, off, s32 offset:756 th:TH_LOAD_LU ; 4-byte Folded Reload
	v_fmac_f32_e32 v98, v0, v2
	v_lshrrev_b32_e32 v0, 16, v3
	s_wait_loadcnt 0x0
	v_and_b32_e32 v4, 0xffff, v4
	;;#ASMSTART
	v_cvt_f32_f16 v4, v4;
	;;#ASMEND
	s_delay_alu instid0(VALU_DEP_1)
	v_fmac_f32_e32 v97, v1, v4
	v_and_b32_e32 v1, 0xffff, v3
	;;#ASMSTART
	v_cvt_f32_f16 v1, v1;
	;;#ASMEND
	;;#ASMSTART
	v_cvt_f32_f16 v0, v0;
	;;#ASMEND
	scratch_load_b32 v2, off, s32 offset:752 th:TH_LOAD_LU ; 4-byte Folded Reload
	s_wait_loadcnt 0x0
	v_and_b32_e32 v2, 0xffff, v2
	;;#ASMSTART
	v_cvt_f32_f16 v2, v2;
	;;#ASMEND
	scratch_load_b32 v3, off, s32 offset:748 th:TH_LOAD_LU ; 4-byte Folded Reload
	v_fmac_f32_e32 v15, v1, v2
	s_wait_loadcnt 0x0
	v_and_b32_e32 v3, 0xffff, v3
	;;#ASMSTART
	v_cvt_f32_f16 v3, v3;
	;;#ASMEND
	s_delay_alu instid0(VALU_DEP_1)
	v_fmac_f32_e32 v19, v0, v3
	ds_load_b128 v[0:3], v8 offset:464
	s_wait_dscnt 0x0
	v_lshrrev_b32_e32 v4, 16, v0
	v_and_b32_e32 v0, 0xffff, v0
	;;#ASMSTART
	v_cvt_f32_f16 v0, v0;
	;;#ASMEND
	;;#ASMSTART
	v_cvt_f32_f16 v4, v4;
	;;#ASMEND
	scratch_load_b32 v5, off, s32 offset:744 th:TH_LOAD_LU ; 4-byte Folded Reload
	s_wait_loadcnt 0x0
	v_and_b32_e32 v5, 0xffff, v5
	;;#ASMSTART
	v_cvt_f32_f16 v5, v5;
	;;#ASMEND
	scratch_load_b32 v6, off, s32 offset:740 th:TH_LOAD_LU ; 4-byte Folded Reload
	v_fmac_f32_e32 v51, v0, v5
	v_and_b32_e32 v0, 0xffff, v1
	s_wait_loadcnt 0x0
	v_and_b32_e32 v6, 0xffff, v6
	;;#ASMSTART
	v_cvt_f32_f16 v6, v6;
	;;#ASMEND
	s_delay_alu instid0(VALU_DEP_1)
	v_fmac_f32_e32 v54, v4, v6
	v_lshrrev_b32_e32 v4, 16, v1
	;;#ASMSTART
	v_cvt_f32_f16 v0, v0;
	;;#ASMEND
	;;#ASMSTART
	v_cvt_f32_f16 v1, v4;
	;;#ASMEND
	scratch_load_b32 v4, off, s32 offset:736 th:TH_LOAD_LU ; 4-byte Folded Reload
	s_wait_loadcnt 0x0
	v_and_b32_e32 v4, 0xffff, v4
	;;#ASMSTART
	v_cvt_f32_f16 v4, v4;
	;;#ASMEND
	scratch_load_b32 v5, off, s32 offset:732 th:TH_LOAD_LU ; 4-byte Folded Reload
	v_fmac_f32_e32 v96, v0, v4
	v_and_b32_e32 v0, 0xffff, v2
	s_wait_loadcnt 0x0
	v_and_b32_e32 v5, 0xffff, v5
	;;#ASMSTART
	v_cvt_f32_f16 v5, v5;
	;;#ASMEND
	s_delay_alu instid0(VALU_DEP_1)
	v_fmac_f32_e32 v87, v1, v5
	v_lshrrev_b32_e32 v1, 16, v2
	;; [unrolled: 23-line block ×3, first 2 shown]
	;;#ASMSTART
	v_cvt_f32_f16 v0, v0;
	;;#ASMEND
	;;#ASMSTART
	v_cvt_f32_f16 v1, v1;
	;;#ASMEND
	scratch_load_b32 v2, off, s32 offset:720 th:TH_LOAD_LU ; 4-byte Folded Reload
	s_wait_loadcnt 0x0
	v_and_b32_e32 v2, 0xffff, v2
	;;#ASMSTART
	v_cvt_f32_f16 v2, v2;
	;;#ASMEND
	scratch_load_b32 v3, off, s32 offset:716 th:TH_LOAD_LU ; 4-byte Folded Reload
	v_fmac_f32_e32 v15, v0, v2
	s_wait_loadcnt 0x0
	v_and_b32_e32 v3, 0xffff, v3
	;;#ASMSTART
	v_cvt_f32_f16 v3, v3;
	;;#ASMEND
	s_delay_alu instid0(VALU_DEP_1)
	v_fmac_f32_e32 v19, v1, v3
	ds_load_b128 v[0:3], v8 offset:480
	s_wait_dscnt 0x0
	v_lshrrev_b32_e32 v4, 16, v0
	v_and_b32_e32 v0, 0xffff, v0
	;;#ASMSTART
	v_cvt_f32_f16 v0, v0;
	;;#ASMEND
	;;#ASMSTART
	v_cvt_f32_f16 v4, v4;
	;;#ASMEND
	scratch_load_b32 v5, off, s32 offset:712 th:TH_LOAD_LU ; 4-byte Folded Reload
	s_wait_loadcnt 0x0
	v_and_b32_e32 v5, 0xffff, v5
	;;#ASMSTART
	v_cvt_f32_f16 v5, v5;
	;;#ASMEND
	scratch_load_b32 v6, off, s32 offset:708 th:TH_LOAD_LU ; 4-byte Folded Reload
	v_fmac_f32_e32 v51, v0, v5
	v_and_b32_e32 v0, 0xffff, v1
	s_wait_loadcnt 0x0
	v_and_b32_e32 v6, 0xffff, v6
	;;#ASMSTART
	v_cvt_f32_f16 v6, v6;
	;;#ASMEND
	s_delay_alu instid0(VALU_DEP_1)
	v_fmac_f32_e32 v54, v4, v6
	v_lshrrev_b32_e32 v4, 16, v1
	;;#ASMSTART
	v_cvt_f32_f16 v0, v0;
	;;#ASMEND
	;;#ASMSTART
	v_cvt_f32_f16 v1, v4;
	;;#ASMEND
	scratch_load_b32 v4, off, s32 offset:704 th:TH_LOAD_LU ; 4-byte Folded Reload
	v_and_b32_e32 v6, 0xffff, v78
	s_wait_loadcnt 0x0
	v_and_b32_e32 v4, 0xffff, v4
	;;#ASMSTART
	v_cvt_f32_f16 v4, v4;
	;;#ASMEND
	scratch_load_b32 v5, off, s32 offset:700 th:TH_LOAD_LU ; 4-byte Folded Reload
	v_fmac_f32_e32 v96, v0, v4
	v_and_b32_e32 v0, 0xffff, v2
	s_wait_loadcnt 0x0
	v_and_b32_e32 v5, 0xffff, v5
	;;#ASMSTART
	v_cvt_f32_f16 v5, v5;
	;;#ASMEND
	s_delay_alu instid0(VALU_DEP_1)
	v_fmac_f32_e32 v87, v1, v5
	v_lshrrev_b32_e32 v1, 16, v2
	;;#ASMSTART
	v_cvt_f32_f16 v0, v0;
	;;#ASMEND
	;;#ASMSTART
	v_cvt_f32_f16 v1, v1;
	;;#ASMEND
	scratch_load_b32 v2, off, s32 offset:696 th:TH_LOAD_LU ; 4-byte Folded Reload
	v_and_b32_e32 v5, 0xffff, v79
	s_wait_loadcnt 0x0
	v_and_b32_e32 v2, 0xffff, v2
	;;#ASMSTART
	v_cvt_f32_f16 v2, v2;
	;;#ASMEND
	scratch_load_b32 v4, off, s32 offset:692 th:TH_LOAD_LU ; 4-byte Folded Reload
	v_fmac_f32_e32 v98, v0, v2
	v_and_b32_e32 v0, 0xffff, v3
	s_wait_loadcnt 0x0
	v_and_b32_e32 v4, 0xffff, v4
	;;#ASMSTART
	v_cvt_f32_f16 v4, v4;
	;;#ASMEND
	s_delay_alu instid0(VALU_DEP_1)
	v_fmac_f32_e32 v97, v1, v4
	v_lshrrev_b32_e32 v1, 16, v3
	;;#ASMSTART
	v_cvt_f32_f16 v0, v0;
	;;#ASMEND
	;;#ASMSTART
	v_cvt_f32_f16 v1, v1;
	;;#ASMEND
	scratch_load_b32 v2, off, s32 offset:688 th:TH_LOAD_LU ; 4-byte Folded Reload
	s_wait_loadcnt 0x0
	v_and_b32_e32 v2, 0xffff, v2
	;;#ASMSTART
	v_cvt_f32_f16 v2, v2;
	;;#ASMEND
	scratch_load_b32 v3, off, s32 offset:684 th:TH_LOAD_LU ; 4-byte Folded Reload
	v_fmac_f32_e32 v15, v0, v2
	s_wait_loadcnt 0x0
	v_and_b32_e32 v3, 0xffff, v3
	;;#ASMSTART
	v_cvt_f32_f16 v3, v3;
	;;#ASMEND
	s_delay_alu instid0(VALU_DEP_1)
	v_fmac_f32_e32 v19, v1, v3
	ds_load_b128 v[0:3], v8 offset:496
	s_wait_dscnt 0x0
	v_lshrrev_b32_e32 v4, 16, v0
	v_and_b32_e32 v0, 0xffff, v0
	;;#ASMSTART
	v_cvt_f32_f16 v0, v0;
	;;#ASMEND
	;;#ASMSTART
	v_cvt_f32_f16 v4, v4;
	;;#ASMEND
	;; [unrolled: 3-line block ×4, first 2 shown]
	v_fmac_f32_e32 v51, v0, v5
	v_fmac_f32_e32 v54, v4, v6
	v_lshrrev_b32_e32 v4, 16, v1
	v_and_b32_e32 v0, 0xffff, v1
	;;#ASMSTART
	v_cvt_f32_f16 v0, v0;
	;;#ASMEND
	;;#ASMSTART
	v_cvt_f32_f16 v1, v4;
	;;#ASMEND
	v_and_b32_e32 v4, 0xffff, v75
	v_and_b32_e32 v5, 0xffff, v74
	;;#ASMSTART
	v_cvt_f32_f16 v4, v4;
	;;#ASMEND
	;;#ASMSTART
	v_cvt_f32_f16 v5, v5;
	;;#ASMEND
	s_delay_alu instid0(VALU_DEP_1)
	v_dual_fmac_f32 v96, v0, v4 :: v_dual_fmac_f32 v87, v1, v5
	v_lshrrev_b32_e32 v1, 16, v2
	v_and_b32_e32 v0, 0xffff, v2
	;;#ASMSTART
	v_cvt_f32_f16 v0, v0;
	;;#ASMEND
	;;#ASMSTART
	v_cvt_f32_f16 v1, v1;
	;;#ASMEND
	v_and_b32_e32 v2, 0xffff, v62
	v_and_b32_e32 v4, 0xffff, v60
	;;#ASMSTART
	v_cvt_f32_f16 v2, v2;
	;;#ASMEND
	;;#ASMSTART
	v_cvt_f32_f16 v4, v4;
	;;#ASMEND
	s_delay_alu instid0(VALU_DEP_1)
	v_dual_fmac_f32 v98, v0, v2 :: v_dual_fmac_f32 v97, v1, v4
	v_lshrrev_b32_e32 v1, 16, v3
	v_and_b32_e32 v0, 0xffff, v3
	;;#ASMSTART
	v_cvt_f32_f16 v0, v0;
	;;#ASMEND
	;;#ASMSTART
	v_cvt_f32_f16 v1, v1;
	;;#ASMEND
	v_and_b32_e32 v2, 0xffff, v57
	v_and_b32_e32 v3, 0xffff, v71
	;;#ASMSTART
	v_cvt_f32_f16 v2, v2;
	;;#ASMEND
	;;#ASMSTART
	v_cvt_f32_f16 v3, v3;
	;;#ASMEND
	s_delay_alu instid0(VALU_DEP_1)
	v_fmac_f32_e32 v19, v1, v3
	s_clause 0x1
	scratch_load_b32 v1, off, s32 offset:1072
	scratch_load_b32 v18, off, s32 offset:680 th:TH_LOAD_LU
	v_fmac_f32_e32 v15, v0, v2
	v_add_f32_e32 v0, v51, v54
	s_delay_alu instid0(VALU_DEP_1) | instskip(NEXT) | instid1(VALU_DEP_1)
	v_add_f32_e32 v0, v0, v96
	v_add_f32_e32 v0, v87, v0
	s_delay_alu instid0(VALU_DEP_1) | instskip(NEXT) | instid1(VALU_DEP_1)
	v_add_f32_e32 v0, v0, v98
	;; [unrolled: 3-line block ×3, first 2 shown]
	v_add_f32_e32 v0, v19, v0
	s_wait_loadcnt 0x1
	s_delay_alu instid0(VALU_DEP_1) | instskip(SKIP_1) | instid1(VALU_DEP_1)
	v_fmac_f32_e32 v80, v1, v0
	s_wait_alu 0xf1ff
	v_cndmask_b32_e64 v0, 0, v80, s1
	ds_store_b32 v44, v0
	s_wait_loadcnt 0x0
	v_max_num_f32_e32 v0, v18, v18
	s_delay_alu instid0(VALU_DEP_1) | instskip(NEXT) | instid1(VALU_DEP_1)
	v_max_num_f32_e32 v0, v0, v80
	v_cndmask_b32_e64 v18, v18, v0, s1
.LBB296_15:                             ;   in Loop: Header=BB296_16 Depth=1
	s_wait_alu 0xfffe
	s_or_b32 exec_lo, exec_lo, s2
	scratch_load_b32 v0, off, s32 offset:668 ; 4-byte Folded Reload
	v_add_nc_u32_e32 v70, 4, v70
	v_add_co_u32 v20, s2, v20, 16
	s_wait_alu 0xf1ff
	v_add_co_ci_u32_e64 v21, null, 0, v21, s2
	v_add_nc_u32_e32 v9, 0x80, v9
	v_add_nc_u32_e32 v171, 0x200, v171
	s_wait_loadcnt 0x0
	v_cmp_ge_i32_e64 s1, v70, v0
	s_or_b32 s17, s1, s17
	s_wait_alu 0xfffe
	s_and_not1_b32 exec_lo, exec_lo, s17
	s_cbranch_execz .LBB296_2064
.LBB296_16:                             ; =>This Inner Loop Header: Depth=1
	s_clause 0x2
	scratch_load_b32 v1, off, s32 offset:336
	scratch_load_b32 v4, off, s32 offset:660
	;; [unrolled: 1-line block ×3, first 2 shown]
	v_sub_nc_u32_e32 v0, 0, v9
	s_delay_alu instid0(VALU_DEP_1) | instskip(SKIP_1) | instid1(VALU_DEP_1)
	v_max_i32_e32 v0, v9, v0
	s_wait_loadcnt 0x2
	v_mul_hi_u32 v1, v0, v1
	s_wait_loadcnt 0x1
	s_delay_alu instid0(VALU_DEP_1) | instskip(NEXT) | instid1(VALU_DEP_1)
	v_mul_lo_u32 v2, v1, v4
	v_sub_nc_u32_e32 v0, v0, v2
	v_add_nc_u32_e32 v2, 1, v1
	s_delay_alu instid0(VALU_DEP_2) | instskip(SKIP_2) | instid1(VALU_DEP_1)
	v_sub_nc_u32_e32 v3, v0, v4
	v_cmp_ge_u32_e64 s1, v0, v4
	s_wait_alu 0xf1ff
	v_cndmask_b32_e64 v1, v1, v2, s1
	s_delay_alu instid0(VALU_DEP_3) | instskip(SKIP_1) | instid1(VALU_DEP_3)
	v_cndmask_b32_e64 v0, v0, v3, s1
	v_ashrrev_i32_e32 v2, 31, v9
	v_add_nc_u32_e32 v3, 1, v1
	s_delay_alu instid0(VALU_DEP_3) | instskip(SKIP_1) | instid1(VALU_DEP_3)
	v_cmp_ge_u32_e64 s1, v0, v4
	s_wait_loadcnt 0x0
	v_xor_b32_e32 v2, v2, v5
	scratch_load_b32 v4, off, s32 offset:672 ; 4-byte Folded Reload
	s_wait_alu 0xf1ff
	v_cndmask_b32_e64 v0, v1, v3, s1
	scratch_load_b32 v3, off, s32 offset:676 ; 4-byte Folded Reload
	v_xor_b32_e32 v0, v0, v2
	s_delay_alu instid0(VALU_DEP_1) | instskip(SKIP_3) | instid1(VALU_DEP_1)
	v_sub_nc_u32_e32 v0, v0, v2
	scratch_load_b64 v[1:2], off, s32 offset:328 ; 8-byte Folded Reload
	s_wait_loadcnt 0x0
	v_add_nc_u32_e32 v1, v0, v1
	v_sub_nc_u32_e32 v2, 0, v1
	s_delay_alu instid0(VALU_DEP_1) | instskip(SKIP_1) | instid1(VALU_DEP_2)
	v_max_i32_e32 v2, v1, v2
	v_ashrrev_i32_e32 v1, 31, v1
	v_mul_hi_u32 v3, v2, v3
	s_delay_alu instid0(VALU_DEP_1) | instskip(NEXT) | instid1(VALU_DEP_1)
	v_mul_lo_u32 v3, v3, v4
	v_sub_nc_u32_e32 v2, v2, v3
	s_delay_alu instid0(VALU_DEP_1) | instskip(SKIP_2) | instid1(VALU_DEP_1)
	v_sub_nc_u32_e32 v3, v2, v4
	v_cmp_ge_u32_e64 s1, v2, v4
	s_wait_alu 0xf1ff
	v_cndmask_b32_e64 v2, v2, v3, s1
	s_delay_alu instid0(VALU_DEP_1) | instskip(SKIP_2) | instid1(VALU_DEP_1)
	v_sub_nc_u32_e32 v3, v2, v4
	v_cmp_ge_u32_e64 s1, v2, v4
	s_wait_alu 0xf1ff
	v_cndmask_b32_e64 v2, v2, v3, s1
	s_delay_alu instid0(VALU_DEP_1) | instskip(NEXT) | instid1(VALU_DEP_1)
	v_xor_b32_e32 v2, v2, v1
	v_sub_nc_u32_e32 v1, v2, v1
	s_delay_alu instid0(VALU_DEP_1)
	v_cmp_ne_u32_e64 s1, 0, v1
	scratch_load_b32 v1, off, s32 offset:340 ; 4-byte Folded Reload
	s_wait_loadcnt 0x0
	v_cmp_le_i32_e64 s2, v0, v1
	s_and_b32 s1, s1, s2
	s_wait_alu 0xfffe
	s_and_saveexec_b32 s2, s1
	s_wait_alu 0xfffe
	s_xor_b32 s1, exec_lo, s2
	s_cbranch_execz .LBB296_18
; %bb.17:                               ;   in Loop: Header=BB296_16 Depth=1
	s_wait_kmcnt 0x0
	v_dual_mov_b32 v1, 0xff7fffff :: v_dual_add_nc_u32 v0, s5, v171
	ds_store_b32 v0, v1
.LBB296_18:                             ;   in Loop: Header=BB296_16 Depth=1
	s_wait_alu 0xfffe
	s_and_not1_saveexec_b32 s2, s1
	s_cbranch_execz .LBB296_15
; %bb.19:                               ;   in Loop: Header=BB296_16 Depth=1
	scratch_store_b32 off, v18, s32 offset:680 ; 4-byte Folded Spill
	flat_load_b32 v0, v[20:21]
	s_clause 0x1
	scratch_load_b32 v1, off, s32 offset:1080
	scratch_load_b64 v[2:3], off, s32 offset:1088
	s_mov_b32 s20, exec_lo
	s_wait_loadcnt_dscnt 0x0
	v_mad_co_i64_i32 v[28:29], null, v0, v1, v[2:3]
	flat_load_b64 v[31:32], v[28:29]
	scratch_load_b64 v[0:1], off, s32 offset:1064 ; 8-byte Folded Reload
	s_wait_loadcnt 0x0
	flat_load_b32 v71, v[0:1]
	s_wait_dscnt 0x1
	v_dual_mov_b32 v1, 0 :: v_dual_and_b32 v0, 0xff, v31
	scratch_store_b32 off, v1, s32 offset:344 ; 4-byte Folded Spill
	v_mov_b32_e32 v1, 0
	scratch_store_b32 off, v1, s32 offset:620 ; 4-byte Folded Spill
	v_cmpx_ne_u16_e32 0, v0
	s_cbranch_execz .LBB296_27
; %bb.20:                               ;   in Loop: Header=BB296_16 Depth=1
	v_cmp_ne_u16_e64 s1, 0x80, v0
	v_mov_b32_e32 v0, 0x8000
	s_and_saveexec_b32 s21, s1
	s_cbranch_execz .LBB296_26
; %bb.21:                               ;   in Loop: Header=BB296_16 Depth=1
	v_and_b32_e32 v2, 0x7f, v31
	v_mov_b32_e32 v0, 0x7c01
	s_mov_b32 s22, exec_lo
	s_delay_alu instid0(VALU_DEP_2)
	v_cmpx_ne_u32_e32 0x7f, v2
	s_cbranch_execz .LBB296_25
; %bb.22:                               ;   in Loop: Header=BB296_16 Depth=1
	v_and_b32_e32 v0, 7, v31
	v_lshrrev_b32_e32 v1, 3, v2
	s_mov_b32 s23, exec_lo
	v_cmpx_gt_u32_e32 8, v2
; %bb.23:                               ;   in Loop: Header=BB296_16 Depth=1
	s_delay_alu instid0(VALU_DEP_3) | instskip(NEXT) | instid1(VALU_DEP_1)
	v_clz_i32_u32_e32 v0, v0
	v_min_u32_e32 v2, 32, v0
	s_delay_alu instid0(VALU_DEP_1) | instskip(NEXT) | instid1(VALU_DEP_1)
	v_subrev_nc_u32_e32 v0, 28, v2
	v_lshlrev_b64_e32 v[0:1], v0, v[31:32]
	v_sub_nc_u32_e32 v1, 29, v2
	s_delay_alu instid0(VALU_DEP_2)
	v_and_b32_e32 v0, 7, v0
; %bb.24:                               ;   in Loop: Header=BB296_16 Depth=1
	s_wait_alu 0xfffe
	s_or_b32 exec_lo, exec_lo, s23
	v_lshlrev_b32_e32 v2, 8, v31
	v_lshl_add_u32 v1, v1, 10, 0x2000
	v_lshlrev_b32_e32 v0, 7, v0
	s_delay_alu instid0(VALU_DEP_3) | instskip(NEXT) | instid1(VALU_DEP_3)
	v_and_b32_e32 v2, 0x8000, v2
	v_and_b32_e32 v1, 0xfc00, v1
	s_delay_alu instid0(VALU_DEP_1)
	v_or3_b32 v0, v2, v1, v0
.LBB296_25:                             ;   in Loop: Header=BB296_16 Depth=1
	s_wait_alu 0xfffe
	s_or_b32 exec_lo, exec_lo, s22
.LBB296_26:                             ;   in Loop: Header=BB296_16 Depth=1
	s_wait_alu 0xfffe
	s_or_b32 exec_lo, exec_lo, s21
	scratch_store_b32 off, v0, s32 offset:620 ; 4-byte Folded Spill
.LBB296_27:                             ;   in Loop: Header=BB296_16 Depth=1
	s_wait_alu 0xfffe
	s_or_b32 exec_lo, exec_lo, s20
	v_lshrrev_b16 v7, 8, v31
	s_mov_b32 s20, exec_lo
	s_delay_alu instid0(VALU_DEP_1)
	v_cmpx_ne_u16_e32 0, v7
	s_cbranch_execz .LBB296_35
; %bb.28:                               ;   in Loop: Header=BB296_16 Depth=1
	v_bfrev_b32_e32 v0, 1
	s_mov_b32 s21, exec_lo
	scratch_store_b32 off, v0, s32 offset:344 ; 4-byte Folded Spill
	v_cmpx_ne_u16_e32 0x80, v7
	s_cbranch_execz .LBB296_34
; %bb.29:                               ;   in Loop: Header=BB296_16 Depth=1
	v_and_b32_e32 v0, 0xffff, v7
	v_mov_b32_e32 v1, 0x7c010000
	s_mov_b32 s22, exec_lo
	s_delay_alu instid0(VALU_DEP_2)
	v_and_b32_e32 v3, 0x7f, v0
	scratch_store_b32 off, v1, s32 offset:344 ; 4-byte Folded Spill
	v_cmpx_ne_u32_e32 0x7f, v3
	s_cbranch_execz .LBB296_33
; %bb.30:                               ;   in Loop: Header=BB296_16 Depth=1
	v_and_b32_e32 v1, 7, v0
	v_lshrrev_b32_e32 v2, 3, v3
	s_mov_b32 s23, exec_lo
	v_cmpx_gt_u32_e32 8, v3
; %bb.31:                               ;   in Loop: Header=BB296_16 Depth=1
	s_delay_alu instid0(VALU_DEP_3) | instskip(NEXT) | instid1(VALU_DEP_1)
	v_clz_i32_u32_e32 v1, v1
	v_min_u32_e32 v3, 32, v1
	s_delay_alu instid0(VALU_DEP_1) | instskip(NEXT) | instid1(VALU_DEP_1)
	v_subrev_nc_u32_e32 v1, 28, v3
	v_lshlrev_b64_e32 v[1:2], v1, v[7:8]
	v_sub_nc_u32_e32 v2, 29, v3
	s_delay_alu instid0(VALU_DEP_2)
	v_and_b32_e32 v1, 7, v1
; %bb.32:                               ;   in Loop: Header=BB296_16 Depth=1
	s_wait_alu 0xfffe
	s_or_b32 exec_lo, exec_lo, s23
	v_lshlrev_b32_e32 v0, 8, v0
	v_lshl_add_u32 v2, v2, 10, 0x2000
	v_lshlrev_b32_e32 v1, 23, v1
	s_delay_alu instid0(VALU_DEP_2) | instskip(NEXT) | instid1(VALU_DEP_1)
	v_and_or_b32 v0, 0x8000, v0, v2
	v_lshl_or_b32 v0, v0, 16, v1
	scratch_store_b32 off, v0, s32 offset:344 ; 4-byte Folded Spill
.LBB296_33:                             ;   in Loop: Header=BB296_16 Depth=1
	s_wait_alu 0xfffe
	s_or_b32 exec_lo, exec_lo, s22
.LBB296_34:                             ;   in Loop: Header=BB296_16 Depth=1
	s_wait_alu 0xfffe
	s_or_b32 exec_lo, exec_lo, s21
.LBB296_35:                             ;   in Loop: Header=BB296_16 Depth=1
	s_wait_alu 0xfffe
	s_or_b32 exec_lo, exec_lo, s20
	v_lshrrev_b32_e32 v7, 16, v31
	s_mov_b32 s20, exec_lo
	s_delay_alu instid0(VALU_DEP_1)
	v_dual_mov_b32 v1, 0 :: v_dual_and_b32 v0, 0xff, v7
	scratch_store_b32 off, v1, s32 offset:348 ; 4-byte Folded Spill
	v_mov_b32_e32 v1, 0
	scratch_store_b32 off, v1, s32 offset:624 ; 4-byte Folded Spill
	v_cmpx_ne_u16_e32 0, v0
	s_cbranch_execz .LBB296_43
; %bb.36:                               ;   in Loop: Header=BB296_16 Depth=1
	v_cmp_ne_u16_e64 s1, 0x80, v0
	v_mov_b32_e32 v0, 0x8000
	s_and_saveexec_b32 s21, s1
	s_cbranch_execz .LBB296_42
; %bb.37:                               ;   in Loop: Header=BB296_16 Depth=1
	v_bfe_u32 v2, v31, 16, 7
	v_mov_b32_e32 v0, 0x7c01
	s_mov_b32 s22, exec_lo
	s_delay_alu instid0(VALU_DEP_2)
	v_cmpx_ne_u32_e32 0x7f, v2
	s_cbranch_execz .LBB296_41
; %bb.38:                               ;   in Loop: Header=BB296_16 Depth=1
	v_and_b32_e32 v0, 7, v7
	v_lshrrev_b32_e32 v1, 3, v2
	s_mov_b32 s23, exec_lo
	v_cmpx_gt_u32_e32 8, v2
; %bb.39:                               ;   in Loop: Header=BB296_16 Depth=1
	s_delay_alu instid0(VALU_DEP_3) | instskip(NEXT) | instid1(VALU_DEP_1)
	v_clz_i32_u32_e32 v0, v0
	v_min_u32_e32 v2, 32, v0
	s_delay_alu instid0(VALU_DEP_1) | instskip(NEXT) | instid1(VALU_DEP_1)
	v_subrev_nc_u32_e32 v0, 28, v2
	v_lshlrev_b64_e32 v[0:1], v0, v[7:8]
	v_sub_nc_u32_e32 v1, 29, v2
	s_delay_alu instid0(VALU_DEP_2)
	v_and_b32_e32 v0, 7, v0
; %bb.40:                               ;   in Loop: Header=BB296_16 Depth=1
	s_wait_alu 0xfffe
	s_or_b32 exec_lo, exec_lo, s23
	v_lshlrev_b32_e32 v2, 8, v7
	v_lshl_add_u32 v1, v1, 10, 0x2000
	v_lshlrev_b32_e32 v0, 7, v0
	s_delay_alu instid0(VALU_DEP_3) | instskip(NEXT) | instid1(VALU_DEP_3)
	v_and_b32_e32 v2, 0x8000, v2
	v_and_b32_e32 v1, 0xfc00, v1
	s_delay_alu instid0(VALU_DEP_1)
	v_or3_b32 v0, v2, v1, v0
.LBB296_41:                             ;   in Loop: Header=BB296_16 Depth=1
	s_wait_alu 0xfffe
	s_or_b32 exec_lo, exec_lo, s22
.LBB296_42:                             ;   in Loop: Header=BB296_16 Depth=1
	s_wait_alu 0xfffe
	s_or_b32 exec_lo, exec_lo, s21
	scratch_store_b32 off, v0, s32 offset:624 ; 4-byte Folded Spill
.LBB296_43:                             ;   in Loop: Header=BB296_16 Depth=1
	s_wait_alu 0xfffe
	s_or_b32 exec_lo, exec_lo, s20
	s_delay_alu instid0(SALU_CYCLE_1)
	s_mov_b32 s20, exec_lo
	v_cmpx_lt_u32_e32 0xffffff, v31
	s_cbranch_execz .LBB296_51
; %bb.44:                               ;   in Loop: Header=BB296_16 Depth=1
	v_lshrrev_b32_e32 v7, 24, v31
	v_bfrev_b32_e32 v0, 1
	s_mov_b32 s21, exec_lo
	scratch_store_b32 off, v0, s32 offset:348 ; 4-byte Folded Spill
	v_cmpx_ne_u32_e32 0x80, v7
	s_cbranch_execz .LBB296_50
; %bb.45:                               ;   in Loop: Header=BB296_16 Depth=1
	v_and_b32_e32 v2, 0x7f, v7
	v_mov_b32_e32 v0, 0x7c010000
	s_mov_b32 s22, exec_lo
	scratch_store_b32 off, v0, s32 offset:348 ; 4-byte Folded Spill
	v_cmpx_ne_u32_e32 0x7f, v2
	s_cbranch_execz .LBB296_49
; %bb.46:                               ;   in Loop: Header=BB296_16 Depth=1
	v_and_b32_e32 v0, 7, v7
	v_lshrrev_b32_e32 v1, 3, v2
	s_mov_b32 s23, exec_lo
	v_cmpx_gt_u32_e32 8, v2
; %bb.47:                               ;   in Loop: Header=BB296_16 Depth=1
	s_delay_alu instid0(VALU_DEP_3) | instskip(NEXT) | instid1(VALU_DEP_1)
	v_clz_i32_u32_e32 v0, v0
	v_min_u32_e32 v2, 32, v0
	s_delay_alu instid0(VALU_DEP_1) | instskip(NEXT) | instid1(VALU_DEP_1)
	v_subrev_nc_u32_e32 v0, 28, v2
	v_lshlrev_b64_e32 v[0:1], v0, v[7:8]
	v_sub_nc_u32_e32 v1, 29, v2
	s_delay_alu instid0(VALU_DEP_2)
	v_and_b32_e32 v0, 7, v0
; %bb.48:                               ;   in Loop: Header=BB296_16 Depth=1
	s_wait_alu 0xfffe
	s_or_b32 exec_lo, exec_lo, s23
	v_lshlrev_b32_e32 v2, 8, v7
	v_lshl_add_u32 v1, v1, 10, 0x2000
	v_lshlrev_b32_e32 v0, 23, v0
	s_delay_alu instid0(VALU_DEP_2) | instskip(NEXT) | instid1(VALU_DEP_1)
	v_and_or_b32 v1, 0x8000, v2, v1
	v_lshl_or_b32 v0, v1, 16, v0
	scratch_store_b32 off, v0, s32 offset:348 ; 4-byte Folded Spill
.LBB296_49:                             ;   in Loop: Header=BB296_16 Depth=1
	s_wait_alu 0xfffe
	s_or_b32 exec_lo, exec_lo, s22
.LBB296_50:                             ;   in Loop: Header=BB296_16 Depth=1
	s_wait_alu 0xfffe
	s_or_b32 exec_lo, exec_lo, s21
.LBB296_51:                             ;   in Loop: Header=BB296_16 Depth=1
	s_wait_alu 0xfffe
	s_or_b32 exec_lo, exec_lo, s20
	v_dual_mov_b32 v1, 0 :: v_dual_and_b32 v0, 0xff, v32
	v_mov_b32_e32 v7, v32
	s_mov_b32 s20, exec_lo
	scratch_store_b32 off, v1, s32 offset:352 ; 4-byte Folded Spill
	v_mov_b32_e32 v1, 0
	scratch_store_b32 off, v1, s32 offset:628 ; 4-byte Folded Spill
	v_cmpx_ne_u16_e32 0, v0
	s_cbranch_execz .LBB296_59
; %bb.52:                               ;   in Loop: Header=BB296_16 Depth=1
	v_cmp_ne_u16_e64 s1, 0x80, v0
	v_mov_b32_e32 v0, 0x8000
	s_and_saveexec_b32 s21, s1
	s_cbranch_execz .LBB296_58
; %bb.53:                               ;   in Loop: Header=BB296_16 Depth=1
	v_and_b32_e32 v2, 0x7f, v32
	v_mov_b32_e32 v0, 0x7c01
	s_mov_b32 s22, exec_lo
	s_delay_alu instid0(VALU_DEP_2)
	v_cmpx_ne_u32_e32 0x7f, v2
	s_cbranch_execz .LBB296_57
; %bb.54:                               ;   in Loop: Header=BB296_16 Depth=1
	v_and_b32_e32 v0, 7, v32
	v_lshrrev_b32_e32 v1, 3, v2
	s_mov_b32 s23, exec_lo
	v_cmpx_gt_u32_e32 8, v2
; %bb.55:                               ;   in Loop: Header=BB296_16 Depth=1
	s_delay_alu instid0(VALU_DEP_3) | instskip(NEXT) | instid1(VALU_DEP_1)
	v_clz_i32_u32_e32 v0, v0
	v_min_u32_e32 v2, 32, v0
	s_delay_alu instid0(VALU_DEP_1) | instskip(NEXT) | instid1(VALU_DEP_1)
	v_subrev_nc_u32_e32 v0, 28, v2
	v_lshlrev_b64_e32 v[0:1], v0, v[7:8]
	v_sub_nc_u32_e32 v1, 29, v2
	s_delay_alu instid0(VALU_DEP_2)
	v_and_b32_e32 v0, 7, v0
; %bb.56:                               ;   in Loop: Header=BB296_16 Depth=1
	s_wait_alu 0xfffe
	s_or_b32 exec_lo, exec_lo, s23
	v_lshlrev_b32_e32 v2, 8, v32
	v_lshl_add_u32 v1, v1, 10, 0x2000
	v_lshlrev_b32_e32 v0, 7, v0
	s_delay_alu instid0(VALU_DEP_3) | instskip(NEXT) | instid1(VALU_DEP_3)
	v_and_b32_e32 v2, 0x8000, v2
	v_and_b32_e32 v1, 0xfc00, v1
	s_delay_alu instid0(VALU_DEP_1)
	v_or3_b32 v0, v2, v1, v0
.LBB296_57:                             ;   in Loop: Header=BB296_16 Depth=1
	s_wait_alu 0xfffe
	s_or_b32 exec_lo, exec_lo, s22
.LBB296_58:                             ;   in Loop: Header=BB296_16 Depth=1
	s_wait_alu 0xfffe
	s_or_b32 exec_lo, exec_lo, s21
	scratch_store_b32 off, v0, s32 offset:628 ; 4-byte Folded Spill
.LBB296_59:                             ;   in Loop: Header=BB296_16 Depth=1
	s_wait_alu 0xfffe
	s_or_b32 exec_lo, exec_lo, s20
	v_lshrrev_b16 v7, 8, v7
	v_mov_b32_e32 v0, 0
	s_mov_b32 s20, exec_lo
	scratch_store_b32 off, v0, s32 offset:356 ; 4-byte Folded Spill
	v_cmpx_ne_u16_e32 0, v7
	s_cbranch_execz .LBB296_67
; %bb.60:                               ;   in Loop: Header=BB296_16 Depth=1
	v_bfrev_b32_e32 v0, 1
	s_mov_b32 s21, exec_lo
	scratch_store_b32 off, v0, s32 offset:356 ; 4-byte Folded Spill
	v_cmpx_ne_u16_e32 0x80, v7
	s_cbranch_execz .LBB296_66
; %bb.61:                               ;   in Loop: Header=BB296_16 Depth=1
	v_and_b32_e32 v0, 0xffff, v7
	v_mov_b32_e32 v1, 0x7c010000
	s_mov_b32 s22, exec_lo
	s_delay_alu instid0(VALU_DEP_2)
	v_and_b32_e32 v3, 0x7f, v0
	scratch_store_b32 off, v1, s32 offset:356 ; 4-byte Folded Spill
	v_cmpx_ne_u32_e32 0x7f, v3
	s_cbranch_execz .LBB296_65
; %bb.62:                               ;   in Loop: Header=BB296_16 Depth=1
	v_and_b32_e32 v1, 7, v0
	v_lshrrev_b32_e32 v2, 3, v3
	s_mov_b32 s23, exec_lo
	v_cmpx_gt_u32_e32 8, v3
; %bb.63:                               ;   in Loop: Header=BB296_16 Depth=1
	s_delay_alu instid0(VALU_DEP_3) | instskip(NEXT) | instid1(VALU_DEP_1)
	v_clz_i32_u32_e32 v1, v1
	v_min_u32_e32 v3, 32, v1
	s_delay_alu instid0(VALU_DEP_1) | instskip(NEXT) | instid1(VALU_DEP_1)
	v_subrev_nc_u32_e32 v1, 28, v3
	v_lshlrev_b64_e32 v[1:2], v1, v[7:8]
	v_sub_nc_u32_e32 v2, 29, v3
	s_delay_alu instid0(VALU_DEP_2)
	v_and_b32_e32 v1, 7, v1
; %bb.64:                               ;   in Loop: Header=BB296_16 Depth=1
	s_wait_alu 0xfffe
	s_or_b32 exec_lo, exec_lo, s23
	v_lshlrev_b32_e32 v0, 8, v0
	v_lshl_add_u32 v2, v2, 10, 0x2000
	v_lshlrev_b32_e32 v1, 23, v1
	s_delay_alu instid0(VALU_DEP_2) | instskip(NEXT) | instid1(VALU_DEP_1)
	v_and_or_b32 v0, 0x8000, v0, v2
	v_lshl_or_b32 v0, v0, 16, v1
	scratch_store_b32 off, v0, s32 offset:356 ; 4-byte Folded Spill
.LBB296_65:                             ;   in Loop: Header=BB296_16 Depth=1
	s_wait_alu 0xfffe
	s_or_b32 exec_lo, exec_lo, s22
.LBB296_66:                             ;   in Loop: Header=BB296_16 Depth=1
	s_wait_alu 0xfffe
	s_or_b32 exec_lo, exec_lo, s21
.LBB296_67:                             ;   in Loop: Header=BB296_16 Depth=1
	s_wait_alu 0xfffe
	s_or_b32 exec_lo, exec_lo, s20
	v_lshrrev_b32_e32 v7, 16, v32
	s_mov_b32 s20, exec_lo
	s_delay_alu instid0(VALU_DEP_1) | instskip(NEXT) | instid1(VALU_DEP_1)
	v_and_b32_e32 v0, 0xff, v7
	v_cmpx_ne_u16_e32 0, v0
	s_cbranch_execz .LBB296_75
; %bb.68:                               ;   in Loop: Header=BB296_16 Depth=1
	v_cmp_ne_u16_e64 s1, 0x80, v0
	v_mov_b32_e32 v0, 0x8000
	scratch_store_b32 off, v0, s32 offset:352 ; 4-byte Folded Spill
	s_and_saveexec_b32 s21, s1
	s_cbranch_execz .LBB296_74
; %bb.69:                               ;   in Loop: Header=BB296_16 Depth=1
	v_bfe_u32 v2, v32, 16, 7
	v_mov_b32_e32 v0, 0x7c01
	s_mov_b32 s22, exec_lo
	scratch_store_b32 off, v0, s32 offset:352 ; 4-byte Folded Spill
	v_cmpx_ne_u32_e32 0x7f, v2
	s_cbranch_execz .LBB296_73
; %bb.70:                               ;   in Loop: Header=BB296_16 Depth=1
	v_and_b32_e32 v0, 7, v7
	v_lshrrev_b32_e32 v1, 3, v2
	s_mov_b32 s23, exec_lo
	v_cmpx_gt_u32_e32 8, v2
; %bb.71:                               ;   in Loop: Header=BB296_16 Depth=1
	s_delay_alu instid0(VALU_DEP_3) | instskip(NEXT) | instid1(VALU_DEP_1)
	v_clz_i32_u32_e32 v0, v0
	v_min_u32_e32 v2, 32, v0
	s_delay_alu instid0(VALU_DEP_1) | instskip(NEXT) | instid1(VALU_DEP_1)
	v_subrev_nc_u32_e32 v0, 28, v2
	v_lshlrev_b64_e32 v[0:1], v0, v[7:8]
	v_sub_nc_u32_e32 v1, 29, v2
	s_delay_alu instid0(VALU_DEP_2)
	v_and_b32_e32 v0, 7, v0
; %bb.72:                               ;   in Loop: Header=BB296_16 Depth=1
	s_wait_alu 0xfffe
	s_or_b32 exec_lo, exec_lo, s23
	v_lshlrev_b32_e32 v2, 8, v7
	v_lshl_add_u32 v1, v1, 10, 0x2000
	v_lshlrev_b32_e32 v0, 7, v0
	s_delay_alu instid0(VALU_DEP_3) | instskip(NEXT) | instid1(VALU_DEP_3)
	v_and_b32_e32 v2, 0x8000, v2
	v_and_b32_e32 v1, 0xfc00, v1
	s_delay_alu instid0(VALU_DEP_1)
	v_or3_b32 v0, v2, v1, v0
	scratch_store_b32 off, v0, s32 offset:352 ; 4-byte Folded Spill
.LBB296_73:                             ;   in Loop: Header=BB296_16 Depth=1
	s_wait_alu 0xfffe
	s_or_b32 exec_lo, exec_lo, s22
.LBB296_74:                             ;   in Loop: Header=BB296_16 Depth=1
	s_wait_alu 0xfffe
	s_or_b32 exec_lo, exec_lo, s21
.LBB296_75:                             ;   in Loop: Header=BB296_16 Depth=1
	s_wait_alu 0xfffe
	s_or_b32 exec_lo, exec_lo, s20
	v_mov_b32_e32 v0, 0
	s_mov_b32 s20, exec_lo
	scratch_store_b32 off, v0, s32 offset:360 ; 4-byte Folded Spill
	v_mov_b32_e32 v0, 0
	scratch_store_b32 off, v0, s32 offset:632 ; 4-byte Folded Spill
	v_cmpx_lt_u64_e64 s[8:9], v[31:32]
	s_cbranch_execz .LBB296_83
; %bb.76:                               ;   in Loop: Header=BB296_16 Depth=1
	v_lshrrev_b32_e32 v7, 24, v32
	v_bfrev_b32_e32 v0, 1
	s_mov_b32 s21, exec_lo
	s_delay_alu instid0(VALU_DEP_2)
	v_cmpx_ne_u32_e32 0x80, v7
	s_cbranch_execz .LBB296_82
; %bb.77:                               ;   in Loop: Header=BB296_16 Depth=1
	v_and_b32_e32 v2, 0x7f, v7
	v_mov_b32_e32 v0, 0x7c010000
	s_mov_b32 s22, exec_lo
	s_delay_alu instid0(VALU_DEP_2)
	v_cmpx_ne_u32_e32 0x7f, v2
	s_cbranch_execz .LBB296_81
; %bb.78:                               ;   in Loop: Header=BB296_16 Depth=1
	v_and_b32_e32 v0, 7, v7
	v_lshrrev_b32_e32 v1, 3, v2
	s_mov_b32 s23, exec_lo
	v_cmpx_gt_u32_e32 8, v2
; %bb.79:                               ;   in Loop: Header=BB296_16 Depth=1
	s_delay_alu instid0(VALU_DEP_3) | instskip(NEXT) | instid1(VALU_DEP_1)
	v_clz_i32_u32_e32 v0, v0
	v_min_u32_e32 v2, 32, v0
	s_delay_alu instid0(VALU_DEP_1) | instskip(NEXT) | instid1(VALU_DEP_1)
	v_subrev_nc_u32_e32 v0, 28, v2
	v_lshlrev_b64_e32 v[0:1], v0, v[7:8]
	v_sub_nc_u32_e32 v1, 29, v2
	s_delay_alu instid0(VALU_DEP_2)
	v_and_b32_e32 v0, 7, v0
; %bb.80:                               ;   in Loop: Header=BB296_16 Depth=1
	s_wait_alu 0xfffe
	s_or_b32 exec_lo, exec_lo, s23
	v_lshlrev_b32_e32 v2, 8, v7
	v_lshl_add_u32 v1, v1, 10, 0x2000
	v_lshlrev_b32_e32 v0, 23, v0
	s_delay_alu instid0(VALU_DEP_2) | instskip(NEXT) | instid1(VALU_DEP_1)
	v_and_or_b32 v1, 0x8000, v2, v1
	v_lshl_or_b32 v0, v1, 16, v0
.LBB296_81:                             ;   in Loop: Header=BB296_16 Depth=1
	s_wait_alu 0xfffe
	s_or_b32 exec_lo, exec_lo, s22
.LBB296_82:                             ;   in Loop: Header=BB296_16 Depth=1
	s_wait_alu 0xfffe
	s_or_b32 exec_lo, exec_lo, s21
	scratch_store_b32 off, v0, s32 offset:632 ; 4-byte Folded Spill
.LBB296_83:                             ;   in Loop: Header=BB296_16 Depth=1
	s_wait_alu 0xfffe
	s_or_b32 exec_lo, exec_lo, s20
	flat_load_b64 v[31:32], v[28:29] offset:8
	s_mov_b32 s20, exec_lo
	s_wait_loadcnt_dscnt 0x0
	v_and_b32_e32 v0, 0xff, v31
	s_delay_alu instid0(VALU_DEP_1)
	v_cmpx_ne_u16_e32 0, v0
	s_cbranch_execz .LBB296_91
; %bb.84:                               ;   in Loop: Header=BB296_16 Depth=1
	v_cmp_ne_u16_e64 s1, 0x80, v0
	v_mov_b32_e32 v0, 0x8000
	scratch_store_b32 off, v0, s32 offset:360 ; 4-byte Folded Spill
	s_and_saveexec_b32 s21, s1
	s_cbranch_execz .LBB296_90
; %bb.85:                               ;   in Loop: Header=BB296_16 Depth=1
	v_and_b32_e32 v2, 0x7f, v31
	v_mov_b32_e32 v0, 0x7c01
	s_mov_b32 s22, exec_lo
	scratch_store_b32 off, v0, s32 offset:360 ; 4-byte Folded Spill
	v_cmpx_ne_u32_e32 0x7f, v2
	s_cbranch_execz .LBB296_89
; %bb.86:                               ;   in Loop: Header=BB296_16 Depth=1
	v_and_b32_e32 v0, 7, v31
	v_lshrrev_b32_e32 v1, 3, v2
	s_mov_b32 s23, exec_lo
	v_cmpx_gt_u32_e32 8, v2
; %bb.87:                               ;   in Loop: Header=BB296_16 Depth=1
	s_delay_alu instid0(VALU_DEP_3) | instskip(NEXT) | instid1(VALU_DEP_1)
	v_clz_i32_u32_e32 v0, v0
	v_min_u32_e32 v2, 32, v0
	s_delay_alu instid0(VALU_DEP_1) | instskip(NEXT) | instid1(VALU_DEP_1)
	v_subrev_nc_u32_e32 v0, 28, v2
	v_lshlrev_b64_e32 v[0:1], v0, v[31:32]
	v_sub_nc_u32_e32 v1, 29, v2
	s_delay_alu instid0(VALU_DEP_2)
	v_and_b32_e32 v0, 7, v0
; %bb.88:                               ;   in Loop: Header=BB296_16 Depth=1
	s_wait_alu 0xfffe
	s_or_b32 exec_lo, exec_lo, s23
	v_lshlrev_b32_e32 v2, 8, v31
	v_lshl_add_u32 v1, v1, 10, 0x2000
	v_lshlrev_b32_e32 v0, 7, v0
	s_delay_alu instid0(VALU_DEP_3) | instskip(NEXT) | instid1(VALU_DEP_3)
	v_and_b32_e32 v2, 0x8000, v2
	v_and_b32_e32 v1, 0xfc00, v1
	s_delay_alu instid0(VALU_DEP_1)
	v_or3_b32 v0, v2, v1, v0
	scratch_store_b32 off, v0, s32 offset:360 ; 4-byte Folded Spill
.LBB296_89:                             ;   in Loop: Header=BB296_16 Depth=1
	s_wait_alu 0xfffe
	s_or_b32 exec_lo, exec_lo, s22
.LBB296_90:                             ;   in Loop: Header=BB296_16 Depth=1
	s_wait_alu 0xfffe
	s_or_b32 exec_lo, exec_lo, s21
.LBB296_91:                             ;   in Loop: Header=BB296_16 Depth=1
	s_wait_alu 0xfffe
	s_or_b32 exec_lo, exec_lo, s20
	v_mov_b32_e32 v0, 0
	v_lshrrev_b16 v7, 8, v31
	s_mov_b32 s20, exec_lo
	scratch_store_b32 off, v0, s32 offset:368 ; 4-byte Folded Spill
	v_mov_b32_e32 v0, 0
	scratch_store_b32 off, v0, s32 offset:364 ; 4-byte Folded Spill
	v_cmpx_ne_u16_e32 0, v7
	s_cbranch_execz .LBB296_99
; %bb.92:                               ;   in Loop: Header=BB296_16 Depth=1
	v_bfrev_b32_e32 v0, 1
	s_mov_b32 s21, exec_lo
	scratch_store_b32 off, v0, s32 offset:364 ; 4-byte Folded Spill
	v_cmpx_ne_u16_e32 0x80, v7
	s_cbranch_execz .LBB296_98
; %bb.93:                               ;   in Loop: Header=BB296_16 Depth=1
	v_and_b32_e32 v0, 0xffff, v7
	v_mov_b32_e32 v1, 0x7c010000
	s_mov_b32 s22, exec_lo
	s_delay_alu instid0(VALU_DEP_2)
	v_and_b32_e32 v3, 0x7f, v0
	scratch_store_b32 off, v1, s32 offset:364 ; 4-byte Folded Spill
	v_cmpx_ne_u32_e32 0x7f, v3
	s_cbranch_execz .LBB296_97
; %bb.94:                               ;   in Loop: Header=BB296_16 Depth=1
	v_and_b32_e32 v1, 7, v0
	v_lshrrev_b32_e32 v2, 3, v3
	s_mov_b32 s23, exec_lo
	v_cmpx_gt_u32_e32 8, v3
; %bb.95:                               ;   in Loop: Header=BB296_16 Depth=1
	s_delay_alu instid0(VALU_DEP_3) | instskip(NEXT) | instid1(VALU_DEP_1)
	v_clz_i32_u32_e32 v1, v1
	v_min_u32_e32 v3, 32, v1
	s_delay_alu instid0(VALU_DEP_1) | instskip(NEXT) | instid1(VALU_DEP_1)
	v_subrev_nc_u32_e32 v1, 28, v3
	v_lshlrev_b64_e32 v[1:2], v1, v[7:8]
	v_sub_nc_u32_e32 v2, 29, v3
	s_delay_alu instid0(VALU_DEP_2)
	v_and_b32_e32 v1, 7, v1
; %bb.96:                               ;   in Loop: Header=BB296_16 Depth=1
	s_wait_alu 0xfffe
	s_or_b32 exec_lo, exec_lo, s23
	v_lshlrev_b32_e32 v0, 8, v0
	v_lshl_add_u32 v2, v2, 10, 0x2000
	v_lshlrev_b32_e32 v1, 23, v1
	s_delay_alu instid0(VALU_DEP_2) | instskip(NEXT) | instid1(VALU_DEP_1)
	v_and_or_b32 v0, 0x8000, v0, v2
	v_lshl_or_b32 v0, v0, 16, v1
	scratch_store_b32 off, v0, s32 offset:364 ; 4-byte Folded Spill
.LBB296_97:                             ;   in Loop: Header=BB296_16 Depth=1
	s_wait_alu 0xfffe
	s_or_b32 exec_lo, exec_lo, s22
.LBB296_98:                             ;   in Loop: Header=BB296_16 Depth=1
	s_wait_alu 0xfffe
	s_or_b32 exec_lo, exec_lo, s21
.LBB296_99:                             ;   in Loop: Header=BB296_16 Depth=1
	s_wait_alu 0xfffe
	s_or_b32 exec_lo, exec_lo, s20
	v_lshrrev_b32_e32 v7, 16, v31
	s_mov_b32 s20, exec_lo
	s_delay_alu instid0(VALU_DEP_1) | instskip(NEXT) | instid1(VALU_DEP_1)
	v_and_b32_e32 v0, 0xff, v7
	v_cmpx_ne_u16_e32 0, v0
	s_cbranch_execz .LBB296_107
; %bb.100:                              ;   in Loop: Header=BB296_16 Depth=1
	v_cmp_ne_u16_e64 s1, 0x80, v0
	v_mov_b32_e32 v0, 0x8000
	scratch_store_b32 off, v0, s32 offset:368 ; 4-byte Folded Spill
	s_and_saveexec_b32 s21, s1
	s_cbranch_execz .LBB296_106
; %bb.101:                              ;   in Loop: Header=BB296_16 Depth=1
	v_bfe_u32 v2, v31, 16, 7
	v_mov_b32_e32 v0, 0x7c01
	s_mov_b32 s22, exec_lo
	scratch_store_b32 off, v0, s32 offset:368 ; 4-byte Folded Spill
	v_cmpx_ne_u32_e32 0x7f, v2
	s_cbranch_execz .LBB296_105
; %bb.102:                              ;   in Loop: Header=BB296_16 Depth=1
	v_and_b32_e32 v0, 7, v7
	v_lshrrev_b32_e32 v1, 3, v2
	s_mov_b32 s23, exec_lo
	v_cmpx_gt_u32_e32 8, v2
; %bb.103:                              ;   in Loop: Header=BB296_16 Depth=1
	s_delay_alu instid0(VALU_DEP_3) | instskip(NEXT) | instid1(VALU_DEP_1)
	v_clz_i32_u32_e32 v0, v0
	v_min_u32_e32 v2, 32, v0
	s_delay_alu instid0(VALU_DEP_1) | instskip(NEXT) | instid1(VALU_DEP_1)
	v_subrev_nc_u32_e32 v0, 28, v2
	v_lshlrev_b64_e32 v[0:1], v0, v[7:8]
	v_sub_nc_u32_e32 v1, 29, v2
	s_delay_alu instid0(VALU_DEP_2)
	v_and_b32_e32 v0, 7, v0
; %bb.104:                              ;   in Loop: Header=BB296_16 Depth=1
	s_wait_alu 0xfffe
	s_or_b32 exec_lo, exec_lo, s23
	v_lshlrev_b32_e32 v2, 8, v7
	v_lshl_add_u32 v1, v1, 10, 0x2000
	v_lshlrev_b32_e32 v0, 7, v0
	s_delay_alu instid0(VALU_DEP_3) | instskip(NEXT) | instid1(VALU_DEP_3)
	v_and_b32_e32 v2, 0x8000, v2
	v_and_b32_e32 v1, 0xfc00, v1
	s_delay_alu instid0(VALU_DEP_1)
	v_or3_b32 v0, v2, v1, v0
	scratch_store_b32 off, v0, s32 offset:368 ; 4-byte Folded Spill
.LBB296_105:                            ;   in Loop: Header=BB296_16 Depth=1
	s_wait_alu 0xfffe
	s_or_b32 exec_lo, exec_lo, s22
.LBB296_106:                            ;   in Loop: Header=BB296_16 Depth=1
	s_wait_alu 0xfffe
	s_or_b32 exec_lo, exec_lo, s21
.LBB296_107:                            ;   in Loop: Header=BB296_16 Depth=1
	s_wait_alu 0xfffe
	s_or_b32 exec_lo, exec_lo, s20
	v_mov_b32_e32 v0, 0
	s_mov_b32 s20, exec_lo
	scratch_store_b32 off, v0, s32 offset:372 ; 4-byte Folded Spill
	v_mov_b32_e32 v0, 0
	scratch_store_b32 off, v0, s32 offset:376 ; 4-byte Folded Spill
	v_cmpx_lt_u32_e32 0xffffff, v31
	s_cbranch_execz .LBB296_115
; %bb.108:                              ;   in Loop: Header=BB296_16 Depth=1
	v_lshrrev_b32_e32 v7, 24, v31
	v_bfrev_b32_e32 v0, 1
	s_mov_b32 s21, exec_lo
	scratch_store_b32 off, v0, s32 offset:376 ; 4-byte Folded Spill
	v_cmpx_ne_u32_e32 0x80, v7
	s_cbranch_execz .LBB296_114
; %bb.109:                              ;   in Loop: Header=BB296_16 Depth=1
	v_and_b32_e32 v2, 0x7f, v7
	v_mov_b32_e32 v0, 0x7c010000
	s_mov_b32 s22, exec_lo
	scratch_store_b32 off, v0, s32 offset:376 ; 4-byte Folded Spill
	v_cmpx_ne_u32_e32 0x7f, v2
	s_cbranch_execz .LBB296_113
; %bb.110:                              ;   in Loop: Header=BB296_16 Depth=1
	v_and_b32_e32 v0, 7, v7
	v_lshrrev_b32_e32 v1, 3, v2
	s_mov_b32 s23, exec_lo
	v_cmpx_gt_u32_e32 8, v2
; %bb.111:                              ;   in Loop: Header=BB296_16 Depth=1
	s_delay_alu instid0(VALU_DEP_3) | instskip(NEXT) | instid1(VALU_DEP_1)
	v_clz_i32_u32_e32 v0, v0
	v_min_u32_e32 v2, 32, v0
	s_delay_alu instid0(VALU_DEP_1) | instskip(NEXT) | instid1(VALU_DEP_1)
	v_subrev_nc_u32_e32 v0, 28, v2
	v_lshlrev_b64_e32 v[0:1], v0, v[7:8]
	v_sub_nc_u32_e32 v1, 29, v2
	s_delay_alu instid0(VALU_DEP_2)
	v_and_b32_e32 v0, 7, v0
; %bb.112:                              ;   in Loop: Header=BB296_16 Depth=1
	s_wait_alu 0xfffe
	s_or_b32 exec_lo, exec_lo, s23
	v_lshlrev_b32_e32 v2, 8, v7
	v_lshl_add_u32 v1, v1, 10, 0x2000
	v_lshlrev_b32_e32 v0, 23, v0
	s_delay_alu instid0(VALU_DEP_2) | instskip(NEXT) | instid1(VALU_DEP_1)
	v_and_or_b32 v1, 0x8000, v2, v1
	v_lshl_or_b32 v0, v1, 16, v0
	scratch_store_b32 off, v0, s32 offset:376 ; 4-byte Folded Spill
.LBB296_113:                            ;   in Loop: Header=BB296_16 Depth=1
	s_wait_alu 0xfffe
	s_or_b32 exec_lo, exec_lo, s22
.LBB296_114:                            ;   in Loop: Header=BB296_16 Depth=1
	s_wait_alu 0xfffe
	s_or_b32 exec_lo, exec_lo, s21
.LBB296_115:                            ;   in Loop: Header=BB296_16 Depth=1
	s_wait_alu 0xfffe
	s_or_b32 exec_lo, exec_lo, s20
	v_dual_mov_b32 v7, v32 :: v_dual_and_b32 v0, 0xff, v32
	s_mov_b32 s20, exec_lo
	s_delay_alu instid0(VALU_DEP_1)
	v_cmpx_ne_u16_e32 0, v0
	s_cbranch_execz .LBB296_123
; %bb.116:                              ;   in Loop: Header=BB296_16 Depth=1
	v_cmp_ne_u16_e64 s1, 0x80, v0
	v_mov_b32_e32 v0, 0x8000
	scratch_store_b32 off, v0, s32 offset:372 ; 4-byte Folded Spill
	s_and_saveexec_b32 s21, s1
	s_cbranch_execz .LBB296_122
; %bb.117:                              ;   in Loop: Header=BB296_16 Depth=1
	v_and_b32_e32 v2, 0x7f, v32
	v_mov_b32_e32 v0, 0x7c01
	s_mov_b32 s22, exec_lo
	scratch_store_b32 off, v0, s32 offset:372 ; 4-byte Folded Spill
	v_cmpx_ne_u32_e32 0x7f, v2
	s_cbranch_execz .LBB296_121
; %bb.118:                              ;   in Loop: Header=BB296_16 Depth=1
	v_and_b32_e32 v0, 7, v32
	v_lshrrev_b32_e32 v1, 3, v2
	s_mov_b32 s23, exec_lo
	v_cmpx_gt_u32_e32 8, v2
; %bb.119:                              ;   in Loop: Header=BB296_16 Depth=1
	s_delay_alu instid0(VALU_DEP_3) | instskip(NEXT) | instid1(VALU_DEP_1)
	v_clz_i32_u32_e32 v0, v0
	v_min_u32_e32 v2, 32, v0
	s_delay_alu instid0(VALU_DEP_1) | instskip(NEXT) | instid1(VALU_DEP_1)
	v_subrev_nc_u32_e32 v0, 28, v2
	v_lshlrev_b64_e32 v[0:1], v0, v[7:8]
	v_sub_nc_u32_e32 v1, 29, v2
	s_delay_alu instid0(VALU_DEP_2)
	v_and_b32_e32 v0, 7, v0
; %bb.120:                              ;   in Loop: Header=BB296_16 Depth=1
	s_wait_alu 0xfffe
	s_or_b32 exec_lo, exec_lo, s23
	v_lshlrev_b32_e32 v2, 8, v32
	v_lshl_add_u32 v1, v1, 10, 0x2000
	v_lshlrev_b32_e32 v0, 7, v0
	s_delay_alu instid0(VALU_DEP_3) | instskip(NEXT) | instid1(VALU_DEP_3)
	v_and_b32_e32 v2, 0x8000, v2
	v_and_b32_e32 v1, 0xfc00, v1
	s_delay_alu instid0(VALU_DEP_1)
	v_or3_b32 v0, v2, v1, v0
	scratch_store_b32 off, v0, s32 offset:372 ; 4-byte Folded Spill
.LBB296_121:                            ;   in Loop: Header=BB296_16 Depth=1
	s_wait_alu 0xfffe
	s_or_b32 exec_lo, exec_lo, s22
.LBB296_122:                            ;   in Loop: Header=BB296_16 Depth=1
	s_wait_alu 0xfffe
	s_or_b32 exec_lo, exec_lo, s21
.LBB296_123:                            ;   in Loop: Header=BB296_16 Depth=1
	s_wait_alu 0xfffe
	s_or_b32 exec_lo, exec_lo, s20
	v_mov_b32_e32 v0, 0
	v_lshrrev_b16 v7, 8, v7
	s_mov_b32 s20, exec_lo
	scratch_store_b32 off, v0, s32 offset:380 ; 4-byte Folded Spill
	v_mov_b32_e32 v0, 0
	scratch_store_b32 off, v0, s32 offset:384 ; 4-byte Folded Spill
	v_cmpx_ne_u16_e32 0, v7
	s_cbranch_execz .LBB296_131
; %bb.124:                              ;   in Loop: Header=BB296_16 Depth=1
	v_bfrev_b32_e32 v0, 1
	s_mov_b32 s21, exec_lo
	scratch_store_b32 off, v0, s32 offset:384 ; 4-byte Folded Spill
	v_cmpx_ne_u16_e32 0x80, v7
	s_cbranch_execz .LBB296_130
; %bb.125:                              ;   in Loop: Header=BB296_16 Depth=1
	v_and_b32_e32 v0, 0xffff, v7
	v_mov_b32_e32 v1, 0x7c010000
	s_mov_b32 s22, exec_lo
	s_delay_alu instid0(VALU_DEP_2)
	v_and_b32_e32 v3, 0x7f, v0
	scratch_store_b32 off, v1, s32 offset:384 ; 4-byte Folded Spill
	v_cmpx_ne_u32_e32 0x7f, v3
	s_cbranch_execz .LBB296_129
; %bb.126:                              ;   in Loop: Header=BB296_16 Depth=1
	v_and_b32_e32 v1, 7, v0
	v_lshrrev_b32_e32 v2, 3, v3
	s_mov_b32 s23, exec_lo
	v_cmpx_gt_u32_e32 8, v3
; %bb.127:                              ;   in Loop: Header=BB296_16 Depth=1
	s_delay_alu instid0(VALU_DEP_3) | instskip(NEXT) | instid1(VALU_DEP_1)
	v_clz_i32_u32_e32 v1, v1
	v_min_u32_e32 v3, 32, v1
	s_delay_alu instid0(VALU_DEP_1) | instskip(NEXT) | instid1(VALU_DEP_1)
	v_subrev_nc_u32_e32 v1, 28, v3
	v_lshlrev_b64_e32 v[1:2], v1, v[7:8]
	v_sub_nc_u32_e32 v2, 29, v3
	s_delay_alu instid0(VALU_DEP_2)
	v_and_b32_e32 v1, 7, v1
; %bb.128:                              ;   in Loop: Header=BB296_16 Depth=1
	s_wait_alu 0xfffe
	s_or_b32 exec_lo, exec_lo, s23
	v_lshlrev_b32_e32 v0, 8, v0
	v_lshl_add_u32 v2, v2, 10, 0x2000
	v_lshlrev_b32_e32 v1, 23, v1
	s_delay_alu instid0(VALU_DEP_2) | instskip(NEXT) | instid1(VALU_DEP_1)
	v_and_or_b32 v0, 0x8000, v0, v2
	v_lshl_or_b32 v0, v0, 16, v1
	scratch_store_b32 off, v0, s32 offset:384 ; 4-byte Folded Spill
.LBB296_129:                            ;   in Loop: Header=BB296_16 Depth=1
	s_wait_alu 0xfffe
	s_or_b32 exec_lo, exec_lo, s22
.LBB296_130:                            ;   in Loop: Header=BB296_16 Depth=1
	s_wait_alu 0xfffe
	s_or_b32 exec_lo, exec_lo, s21
.LBB296_131:                            ;   in Loop: Header=BB296_16 Depth=1
	s_wait_alu 0xfffe
	s_or_b32 exec_lo, exec_lo, s20
	v_lshrrev_b32_e32 v7, 16, v32
	s_mov_b32 s20, exec_lo
	s_delay_alu instid0(VALU_DEP_1) | instskip(NEXT) | instid1(VALU_DEP_1)
	v_and_b32_e32 v0, 0xff, v7
	v_cmpx_ne_u16_e32 0, v0
	s_cbranch_execz .LBB296_139
; %bb.132:                              ;   in Loop: Header=BB296_16 Depth=1
	v_cmp_ne_u16_e64 s1, 0x80, v0
	v_mov_b32_e32 v0, 0x8000
	scratch_store_b32 off, v0, s32 offset:380 ; 4-byte Folded Spill
	s_and_saveexec_b32 s21, s1
	s_cbranch_execz .LBB296_138
; %bb.133:                              ;   in Loop: Header=BB296_16 Depth=1
	v_bfe_u32 v2, v32, 16, 7
	v_mov_b32_e32 v0, 0x7c01
	s_mov_b32 s22, exec_lo
	scratch_store_b32 off, v0, s32 offset:380 ; 4-byte Folded Spill
	v_cmpx_ne_u32_e32 0x7f, v2
	s_cbranch_execz .LBB296_137
; %bb.134:                              ;   in Loop: Header=BB296_16 Depth=1
	v_and_b32_e32 v0, 7, v7
	v_lshrrev_b32_e32 v1, 3, v2
	s_mov_b32 s23, exec_lo
	v_cmpx_gt_u32_e32 8, v2
; %bb.135:                              ;   in Loop: Header=BB296_16 Depth=1
	s_delay_alu instid0(VALU_DEP_3) | instskip(NEXT) | instid1(VALU_DEP_1)
	v_clz_i32_u32_e32 v0, v0
	v_min_u32_e32 v2, 32, v0
	s_delay_alu instid0(VALU_DEP_1) | instskip(NEXT) | instid1(VALU_DEP_1)
	v_subrev_nc_u32_e32 v0, 28, v2
	v_lshlrev_b64_e32 v[0:1], v0, v[7:8]
	v_sub_nc_u32_e32 v1, 29, v2
	s_delay_alu instid0(VALU_DEP_2)
	v_and_b32_e32 v0, 7, v0
; %bb.136:                              ;   in Loop: Header=BB296_16 Depth=1
	s_wait_alu 0xfffe
	s_or_b32 exec_lo, exec_lo, s23
	v_lshlrev_b32_e32 v2, 8, v7
	v_lshl_add_u32 v1, v1, 10, 0x2000
	v_lshlrev_b32_e32 v0, 7, v0
	s_delay_alu instid0(VALU_DEP_3) | instskip(NEXT) | instid1(VALU_DEP_3)
	v_and_b32_e32 v2, 0x8000, v2
	v_and_b32_e32 v1, 0xfc00, v1
	s_delay_alu instid0(VALU_DEP_1)
	v_or3_b32 v0, v2, v1, v0
	scratch_store_b32 off, v0, s32 offset:380 ; 4-byte Folded Spill
.LBB296_137:                            ;   in Loop: Header=BB296_16 Depth=1
	s_wait_alu 0xfffe
	s_or_b32 exec_lo, exec_lo, s22
.LBB296_138:                            ;   in Loop: Header=BB296_16 Depth=1
	s_wait_alu 0xfffe
	s_or_b32 exec_lo, exec_lo, s21
.LBB296_139:                            ;   in Loop: Header=BB296_16 Depth=1
	s_wait_alu 0xfffe
	s_or_b32 exec_lo, exec_lo, s20
	v_mov_b32_e32 v0, 0
	s_mov_b32 s20, exec_lo
	scratch_store_b32 off, v0, s32 offset:388 ; 4-byte Folded Spill
	v_mov_b32_e32 v0, 0
	scratch_store_b32 off, v0, s32 offset:636 ; 4-byte Folded Spill
	v_cmpx_lt_u64_e64 s[8:9], v[31:32]
	s_cbranch_execz .LBB296_147
; %bb.140:                              ;   in Loop: Header=BB296_16 Depth=1
	v_lshrrev_b32_e32 v7, 24, v32
	v_bfrev_b32_e32 v0, 1
	s_mov_b32 s21, exec_lo
	s_delay_alu instid0(VALU_DEP_2)
	v_cmpx_ne_u32_e32 0x80, v7
	s_cbranch_execz .LBB296_146
; %bb.141:                              ;   in Loop: Header=BB296_16 Depth=1
	v_and_b32_e32 v2, 0x7f, v7
	v_mov_b32_e32 v0, 0x7c010000
	s_mov_b32 s22, exec_lo
	s_delay_alu instid0(VALU_DEP_2)
	v_cmpx_ne_u32_e32 0x7f, v2
	s_cbranch_execz .LBB296_145
; %bb.142:                              ;   in Loop: Header=BB296_16 Depth=1
	v_and_b32_e32 v0, 7, v7
	v_lshrrev_b32_e32 v1, 3, v2
	s_mov_b32 s23, exec_lo
	v_cmpx_gt_u32_e32 8, v2
; %bb.143:                              ;   in Loop: Header=BB296_16 Depth=1
	s_delay_alu instid0(VALU_DEP_3) | instskip(NEXT) | instid1(VALU_DEP_1)
	v_clz_i32_u32_e32 v0, v0
	v_min_u32_e32 v2, 32, v0
	s_delay_alu instid0(VALU_DEP_1) | instskip(NEXT) | instid1(VALU_DEP_1)
	v_subrev_nc_u32_e32 v0, 28, v2
	v_lshlrev_b64_e32 v[0:1], v0, v[7:8]
	v_sub_nc_u32_e32 v1, 29, v2
	s_delay_alu instid0(VALU_DEP_2)
	v_and_b32_e32 v0, 7, v0
; %bb.144:                              ;   in Loop: Header=BB296_16 Depth=1
	s_wait_alu 0xfffe
	s_or_b32 exec_lo, exec_lo, s23
	v_lshlrev_b32_e32 v2, 8, v7
	v_lshl_add_u32 v1, v1, 10, 0x2000
	v_lshlrev_b32_e32 v0, 23, v0
	s_delay_alu instid0(VALU_DEP_2) | instskip(NEXT) | instid1(VALU_DEP_1)
	v_and_or_b32 v1, 0x8000, v2, v1
	v_lshl_or_b32 v0, v1, 16, v0
.LBB296_145:                            ;   in Loop: Header=BB296_16 Depth=1
	s_wait_alu 0xfffe
	s_or_b32 exec_lo, exec_lo, s22
.LBB296_146:                            ;   in Loop: Header=BB296_16 Depth=1
	s_wait_alu 0xfffe
	s_or_b32 exec_lo, exec_lo, s21
	scratch_store_b32 off, v0, s32 offset:636 ; 4-byte Folded Spill
.LBB296_147:                            ;   in Loop: Header=BB296_16 Depth=1
	s_wait_alu 0xfffe
	s_or_b32 exec_lo, exec_lo, s20
	flat_load_b64 v[31:32], v[28:29] offset:512
	s_mov_b32 s20, exec_lo
	s_wait_loadcnt_dscnt 0x0
	v_and_b32_e32 v0, 0xff, v31
	s_delay_alu instid0(VALU_DEP_1)
	v_cmpx_ne_u16_e32 0, v0
	s_cbranch_execz .LBB296_155
; %bb.148:                              ;   in Loop: Header=BB296_16 Depth=1
	v_cmp_ne_u16_e64 s1, 0x80, v0
	v_mov_b32_e32 v0, 0x8000
	scratch_store_b32 off, v0, s32 offset:388 ; 4-byte Folded Spill
	s_and_saveexec_b32 s21, s1
	s_cbranch_execz .LBB296_154
; %bb.149:                              ;   in Loop: Header=BB296_16 Depth=1
	v_and_b32_e32 v2, 0x7f, v31
	v_mov_b32_e32 v0, 0x7c01
	s_mov_b32 s22, exec_lo
	scratch_store_b32 off, v0, s32 offset:388 ; 4-byte Folded Spill
	v_cmpx_ne_u32_e32 0x7f, v2
	s_cbranch_execz .LBB296_153
; %bb.150:                              ;   in Loop: Header=BB296_16 Depth=1
	v_and_b32_e32 v0, 7, v31
	v_lshrrev_b32_e32 v1, 3, v2
	s_mov_b32 s23, exec_lo
	v_cmpx_gt_u32_e32 8, v2
; %bb.151:                              ;   in Loop: Header=BB296_16 Depth=1
	s_delay_alu instid0(VALU_DEP_3) | instskip(NEXT) | instid1(VALU_DEP_1)
	v_clz_i32_u32_e32 v0, v0
	v_min_u32_e32 v2, 32, v0
	s_delay_alu instid0(VALU_DEP_1) | instskip(NEXT) | instid1(VALU_DEP_1)
	v_subrev_nc_u32_e32 v0, 28, v2
	v_lshlrev_b64_e32 v[0:1], v0, v[31:32]
	v_sub_nc_u32_e32 v1, 29, v2
	s_delay_alu instid0(VALU_DEP_2)
	v_and_b32_e32 v0, 7, v0
; %bb.152:                              ;   in Loop: Header=BB296_16 Depth=1
	s_wait_alu 0xfffe
	s_or_b32 exec_lo, exec_lo, s23
	v_lshlrev_b32_e32 v2, 8, v31
	v_lshl_add_u32 v1, v1, 10, 0x2000
	v_lshlrev_b32_e32 v0, 7, v0
	s_delay_alu instid0(VALU_DEP_3) | instskip(NEXT) | instid1(VALU_DEP_3)
	v_and_b32_e32 v2, 0x8000, v2
	v_and_b32_e32 v1, 0xfc00, v1
	s_delay_alu instid0(VALU_DEP_1)
	v_or3_b32 v0, v2, v1, v0
	scratch_store_b32 off, v0, s32 offset:388 ; 4-byte Folded Spill
.LBB296_153:                            ;   in Loop: Header=BB296_16 Depth=1
	s_wait_alu 0xfffe
	s_or_b32 exec_lo, exec_lo, s22
.LBB296_154:                            ;   in Loop: Header=BB296_16 Depth=1
	s_wait_alu 0xfffe
	s_or_b32 exec_lo, exec_lo, s21
.LBB296_155:                            ;   in Loop: Header=BB296_16 Depth=1
	s_wait_alu 0xfffe
	s_or_b32 exec_lo, exec_lo, s20
	v_mov_b32_e32 v0, 0
	v_lshrrev_b16 v7, 8, v31
	s_mov_b32 s20, exec_lo
	scratch_store_b32 off, v0, s32 offset:396 ; 4-byte Folded Spill
	v_mov_b32_e32 v0, 0
	scratch_store_b32 off, v0, s32 offset:392 ; 4-byte Folded Spill
	v_cmpx_ne_u16_e32 0, v7
	s_cbranch_execz .LBB296_163
; %bb.156:                              ;   in Loop: Header=BB296_16 Depth=1
	v_bfrev_b32_e32 v0, 1
	s_mov_b32 s21, exec_lo
	scratch_store_b32 off, v0, s32 offset:392 ; 4-byte Folded Spill
	v_cmpx_ne_u16_e32 0x80, v7
	s_cbranch_execz .LBB296_162
; %bb.157:                              ;   in Loop: Header=BB296_16 Depth=1
	v_and_b32_e32 v0, 0xffff, v7
	v_mov_b32_e32 v1, 0x7c010000
	s_mov_b32 s22, exec_lo
	s_delay_alu instid0(VALU_DEP_2)
	v_and_b32_e32 v3, 0x7f, v0
	scratch_store_b32 off, v1, s32 offset:392 ; 4-byte Folded Spill
	v_cmpx_ne_u32_e32 0x7f, v3
	s_cbranch_execz .LBB296_161
; %bb.158:                              ;   in Loop: Header=BB296_16 Depth=1
	v_and_b32_e32 v1, 7, v0
	v_lshrrev_b32_e32 v2, 3, v3
	s_mov_b32 s23, exec_lo
	v_cmpx_gt_u32_e32 8, v3
; %bb.159:                              ;   in Loop: Header=BB296_16 Depth=1
	s_delay_alu instid0(VALU_DEP_3) | instskip(NEXT) | instid1(VALU_DEP_1)
	v_clz_i32_u32_e32 v1, v1
	v_min_u32_e32 v3, 32, v1
	s_delay_alu instid0(VALU_DEP_1) | instskip(NEXT) | instid1(VALU_DEP_1)
	v_subrev_nc_u32_e32 v1, 28, v3
	v_lshlrev_b64_e32 v[1:2], v1, v[7:8]
	v_sub_nc_u32_e32 v2, 29, v3
	s_delay_alu instid0(VALU_DEP_2)
	v_and_b32_e32 v1, 7, v1
; %bb.160:                              ;   in Loop: Header=BB296_16 Depth=1
	s_wait_alu 0xfffe
	s_or_b32 exec_lo, exec_lo, s23
	v_lshlrev_b32_e32 v0, 8, v0
	v_lshl_add_u32 v2, v2, 10, 0x2000
	v_lshlrev_b32_e32 v1, 23, v1
	s_delay_alu instid0(VALU_DEP_2) | instskip(NEXT) | instid1(VALU_DEP_1)
	v_and_or_b32 v0, 0x8000, v0, v2
	v_lshl_or_b32 v0, v0, 16, v1
	scratch_store_b32 off, v0, s32 offset:392 ; 4-byte Folded Spill
.LBB296_161:                            ;   in Loop: Header=BB296_16 Depth=1
	s_wait_alu 0xfffe
	s_or_b32 exec_lo, exec_lo, s22
.LBB296_162:                            ;   in Loop: Header=BB296_16 Depth=1
	s_wait_alu 0xfffe
	s_or_b32 exec_lo, exec_lo, s21
.LBB296_163:                            ;   in Loop: Header=BB296_16 Depth=1
	s_wait_alu 0xfffe
	s_or_b32 exec_lo, exec_lo, s20
	v_lshrrev_b32_e32 v7, 16, v31
	s_mov_b32 s20, exec_lo
	s_delay_alu instid0(VALU_DEP_1) | instskip(NEXT) | instid1(VALU_DEP_1)
	v_and_b32_e32 v0, 0xff, v7
	v_cmpx_ne_u16_e32 0, v0
	s_cbranch_execz .LBB296_171
; %bb.164:                              ;   in Loop: Header=BB296_16 Depth=1
	v_cmp_ne_u16_e64 s1, 0x80, v0
	v_mov_b32_e32 v0, 0x8000
	scratch_store_b32 off, v0, s32 offset:396 ; 4-byte Folded Spill
	s_and_saveexec_b32 s21, s1
	s_cbranch_execz .LBB296_170
; %bb.165:                              ;   in Loop: Header=BB296_16 Depth=1
	v_bfe_u32 v2, v31, 16, 7
	v_mov_b32_e32 v0, 0x7c01
	s_mov_b32 s22, exec_lo
	scratch_store_b32 off, v0, s32 offset:396 ; 4-byte Folded Spill
	v_cmpx_ne_u32_e32 0x7f, v2
	s_cbranch_execz .LBB296_169
; %bb.166:                              ;   in Loop: Header=BB296_16 Depth=1
	v_and_b32_e32 v0, 7, v7
	v_lshrrev_b32_e32 v1, 3, v2
	s_mov_b32 s23, exec_lo
	v_cmpx_gt_u32_e32 8, v2
; %bb.167:                              ;   in Loop: Header=BB296_16 Depth=1
	s_delay_alu instid0(VALU_DEP_3) | instskip(NEXT) | instid1(VALU_DEP_1)
	v_clz_i32_u32_e32 v0, v0
	v_min_u32_e32 v2, 32, v0
	s_delay_alu instid0(VALU_DEP_1) | instskip(NEXT) | instid1(VALU_DEP_1)
	v_subrev_nc_u32_e32 v0, 28, v2
	v_lshlrev_b64_e32 v[0:1], v0, v[7:8]
	v_sub_nc_u32_e32 v1, 29, v2
	s_delay_alu instid0(VALU_DEP_2)
	v_and_b32_e32 v0, 7, v0
; %bb.168:                              ;   in Loop: Header=BB296_16 Depth=1
	s_wait_alu 0xfffe
	s_or_b32 exec_lo, exec_lo, s23
	v_lshlrev_b32_e32 v2, 8, v7
	v_lshl_add_u32 v1, v1, 10, 0x2000
	v_lshlrev_b32_e32 v0, 7, v0
	s_delay_alu instid0(VALU_DEP_3) | instskip(NEXT) | instid1(VALU_DEP_3)
	v_and_b32_e32 v2, 0x8000, v2
	v_and_b32_e32 v1, 0xfc00, v1
	s_delay_alu instid0(VALU_DEP_1)
	v_or3_b32 v0, v2, v1, v0
	scratch_store_b32 off, v0, s32 offset:396 ; 4-byte Folded Spill
.LBB296_169:                            ;   in Loop: Header=BB296_16 Depth=1
	s_wait_alu 0xfffe
	s_or_b32 exec_lo, exec_lo, s22
.LBB296_170:                            ;   in Loop: Header=BB296_16 Depth=1
	s_wait_alu 0xfffe
	s_or_b32 exec_lo, exec_lo, s21
.LBB296_171:                            ;   in Loop: Header=BB296_16 Depth=1
	s_wait_alu 0xfffe
	s_or_b32 exec_lo, exec_lo, s20
	v_mov_b32_e32 v0, 0
	s_mov_b32 s20, exec_lo
	scratch_store_b32 off, v0, s32 offset:400 ; 4-byte Folded Spill
	v_mov_b32_e32 v0, 0
	scratch_store_b32 off, v0, s32 offset:404 ; 4-byte Folded Spill
	v_cmpx_lt_u32_e32 0xffffff, v31
	s_cbranch_execz .LBB296_179
; %bb.172:                              ;   in Loop: Header=BB296_16 Depth=1
	v_lshrrev_b32_e32 v7, 24, v31
	v_bfrev_b32_e32 v0, 1
	s_mov_b32 s21, exec_lo
	scratch_store_b32 off, v0, s32 offset:404 ; 4-byte Folded Spill
	v_cmpx_ne_u32_e32 0x80, v7
	s_cbranch_execz .LBB296_178
; %bb.173:                              ;   in Loop: Header=BB296_16 Depth=1
	v_and_b32_e32 v2, 0x7f, v7
	v_mov_b32_e32 v0, 0x7c010000
	s_mov_b32 s22, exec_lo
	scratch_store_b32 off, v0, s32 offset:404 ; 4-byte Folded Spill
	v_cmpx_ne_u32_e32 0x7f, v2
	s_cbranch_execz .LBB296_177
; %bb.174:                              ;   in Loop: Header=BB296_16 Depth=1
	v_and_b32_e32 v0, 7, v7
	v_lshrrev_b32_e32 v1, 3, v2
	s_mov_b32 s23, exec_lo
	v_cmpx_gt_u32_e32 8, v2
; %bb.175:                              ;   in Loop: Header=BB296_16 Depth=1
	s_delay_alu instid0(VALU_DEP_3) | instskip(NEXT) | instid1(VALU_DEP_1)
	v_clz_i32_u32_e32 v0, v0
	v_min_u32_e32 v2, 32, v0
	s_delay_alu instid0(VALU_DEP_1) | instskip(NEXT) | instid1(VALU_DEP_1)
	v_subrev_nc_u32_e32 v0, 28, v2
	v_lshlrev_b64_e32 v[0:1], v0, v[7:8]
	v_sub_nc_u32_e32 v1, 29, v2
	s_delay_alu instid0(VALU_DEP_2)
	v_and_b32_e32 v0, 7, v0
; %bb.176:                              ;   in Loop: Header=BB296_16 Depth=1
	s_wait_alu 0xfffe
	s_or_b32 exec_lo, exec_lo, s23
	v_lshlrev_b32_e32 v2, 8, v7
	v_lshl_add_u32 v1, v1, 10, 0x2000
	v_lshlrev_b32_e32 v0, 23, v0
	s_delay_alu instid0(VALU_DEP_2) | instskip(NEXT) | instid1(VALU_DEP_1)
	v_and_or_b32 v1, 0x8000, v2, v1
	v_lshl_or_b32 v0, v1, 16, v0
	scratch_store_b32 off, v0, s32 offset:404 ; 4-byte Folded Spill
.LBB296_177:                            ;   in Loop: Header=BB296_16 Depth=1
	s_wait_alu 0xfffe
	s_or_b32 exec_lo, exec_lo, s22
.LBB296_178:                            ;   in Loop: Header=BB296_16 Depth=1
	s_wait_alu 0xfffe
	s_or_b32 exec_lo, exec_lo, s21
.LBB296_179:                            ;   in Loop: Header=BB296_16 Depth=1
	s_wait_alu 0xfffe
	s_or_b32 exec_lo, exec_lo, s20
	v_dual_mov_b32 v7, v32 :: v_dual_and_b32 v0, 0xff, v32
	s_mov_b32 s20, exec_lo
	s_delay_alu instid0(VALU_DEP_1)
	v_cmpx_ne_u16_e32 0, v0
	s_cbranch_execz .LBB296_187
; %bb.180:                              ;   in Loop: Header=BB296_16 Depth=1
	v_cmp_ne_u16_e64 s1, 0x80, v0
	v_mov_b32_e32 v0, 0x8000
	scratch_store_b32 off, v0, s32 offset:400 ; 4-byte Folded Spill
	s_and_saveexec_b32 s21, s1
	s_cbranch_execz .LBB296_186
; %bb.181:                              ;   in Loop: Header=BB296_16 Depth=1
	v_and_b32_e32 v2, 0x7f, v32
	v_mov_b32_e32 v0, 0x7c01
	s_mov_b32 s22, exec_lo
	scratch_store_b32 off, v0, s32 offset:400 ; 4-byte Folded Spill
	v_cmpx_ne_u32_e32 0x7f, v2
	s_cbranch_execz .LBB296_185
; %bb.182:                              ;   in Loop: Header=BB296_16 Depth=1
	v_and_b32_e32 v0, 7, v32
	v_lshrrev_b32_e32 v1, 3, v2
	s_mov_b32 s23, exec_lo
	v_cmpx_gt_u32_e32 8, v2
; %bb.183:                              ;   in Loop: Header=BB296_16 Depth=1
	s_delay_alu instid0(VALU_DEP_3) | instskip(NEXT) | instid1(VALU_DEP_1)
	v_clz_i32_u32_e32 v0, v0
	v_min_u32_e32 v2, 32, v0
	s_delay_alu instid0(VALU_DEP_1) | instskip(NEXT) | instid1(VALU_DEP_1)
	v_subrev_nc_u32_e32 v0, 28, v2
	v_lshlrev_b64_e32 v[0:1], v0, v[7:8]
	v_sub_nc_u32_e32 v1, 29, v2
	s_delay_alu instid0(VALU_DEP_2)
	v_and_b32_e32 v0, 7, v0
; %bb.184:                              ;   in Loop: Header=BB296_16 Depth=1
	s_wait_alu 0xfffe
	s_or_b32 exec_lo, exec_lo, s23
	v_lshlrev_b32_e32 v2, 8, v32
	v_lshl_add_u32 v1, v1, 10, 0x2000
	v_lshlrev_b32_e32 v0, 7, v0
	s_delay_alu instid0(VALU_DEP_3) | instskip(NEXT) | instid1(VALU_DEP_3)
	v_and_b32_e32 v2, 0x8000, v2
	v_and_b32_e32 v1, 0xfc00, v1
	s_delay_alu instid0(VALU_DEP_1)
	v_or3_b32 v0, v2, v1, v0
	scratch_store_b32 off, v0, s32 offset:400 ; 4-byte Folded Spill
.LBB296_185:                            ;   in Loop: Header=BB296_16 Depth=1
	s_wait_alu 0xfffe
	s_or_b32 exec_lo, exec_lo, s22
.LBB296_186:                            ;   in Loop: Header=BB296_16 Depth=1
	s_wait_alu 0xfffe
	s_or_b32 exec_lo, exec_lo, s21
.LBB296_187:                            ;   in Loop: Header=BB296_16 Depth=1
	s_wait_alu 0xfffe
	s_or_b32 exec_lo, exec_lo, s20
	v_mov_b32_e32 v0, 0
	v_lshrrev_b16 v7, 8, v7
	s_mov_b32 s20, exec_lo
	scratch_store_b32 off, v0, s32 offset:408 ; 4-byte Folded Spill
	v_mov_b32_e32 v0, 0
	scratch_store_b32 off, v0, s32 offset:412 ; 4-byte Folded Spill
	v_cmpx_ne_u16_e32 0, v7
	s_cbranch_execz .LBB296_195
; %bb.188:                              ;   in Loop: Header=BB296_16 Depth=1
	v_bfrev_b32_e32 v0, 1
	s_mov_b32 s21, exec_lo
	scratch_store_b32 off, v0, s32 offset:412 ; 4-byte Folded Spill
	v_cmpx_ne_u16_e32 0x80, v7
	s_cbranch_execz .LBB296_194
; %bb.189:                              ;   in Loop: Header=BB296_16 Depth=1
	v_and_b32_e32 v0, 0xffff, v7
	v_mov_b32_e32 v1, 0x7c010000
	s_mov_b32 s22, exec_lo
	s_delay_alu instid0(VALU_DEP_2)
	v_and_b32_e32 v3, 0x7f, v0
	scratch_store_b32 off, v1, s32 offset:412 ; 4-byte Folded Spill
	v_cmpx_ne_u32_e32 0x7f, v3
	s_cbranch_execz .LBB296_193
; %bb.190:                              ;   in Loop: Header=BB296_16 Depth=1
	v_and_b32_e32 v1, 7, v0
	v_lshrrev_b32_e32 v2, 3, v3
	s_mov_b32 s23, exec_lo
	v_cmpx_gt_u32_e32 8, v3
; %bb.191:                              ;   in Loop: Header=BB296_16 Depth=1
	s_delay_alu instid0(VALU_DEP_3) | instskip(NEXT) | instid1(VALU_DEP_1)
	v_clz_i32_u32_e32 v1, v1
	v_min_u32_e32 v3, 32, v1
	s_delay_alu instid0(VALU_DEP_1) | instskip(NEXT) | instid1(VALU_DEP_1)
	v_subrev_nc_u32_e32 v1, 28, v3
	v_lshlrev_b64_e32 v[1:2], v1, v[7:8]
	v_sub_nc_u32_e32 v2, 29, v3
	s_delay_alu instid0(VALU_DEP_2)
	v_and_b32_e32 v1, 7, v1
; %bb.192:                              ;   in Loop: Header=BB296_16 Depth=1
	s_wait_alu 0xfffe
	s_or_b32 exec_lo, exec_lo, s23
	v_lshlrev_b32_e32 v0, 8, v0
	v_lshl_add_u32 v2, v2, 10, 0x2000
	v_lshlrev_b32_e32 v1, 23, v1
	s_delay_alu instid0(VALU_DEP_2) | instskip(NEXT) | instid1(VALU_DEP_1)
	v_and_or_b32 v0, 0x8000, v0, v2
	v_lshl_or_b32 v0, v0, 16, v1
	scratch_store_b32 off, v0, s32 offset:412 ; 4-byte Folded Spill
.LBB296_193:                            ;   in Loop: Header=BB296_16 Depth=1
	s_wait_alu 0xfffe
	s_or_b32 exec_lo, exec_lo, s22
.LBB296_194:                            ;   in Loop: Header=BB296_16 Depth=1
	s_wait_alu 0xfffe
	s_or_b32 exec_lo, exec_lo, s21
.LBB296_195:                            ;   in Loop: Header=BB296_16 Depth=1
	s_wait_alu 0xfffe
	s_or_b32 exec_lo, exec_lo, s20
	v_lshrrev_b32_e32 v7, 16, v32
	s_mov_b32 s20, exec_lo
	s_delay_alu instid0(VALU_DEP_1) | instskip(NEXT) | instid1(VALU_DEP_1)
	v_and_b32_e32 v0, 0xff, v7
	v_cmpx_ne_u16_e32 0, v0
	s_cbranch_execz .LBB296_203
; %bb.196:                              ;   in Loop: Header=BB296_16 Depth=1
	v_cmp_ne_u16_e64 s1, 0x80, v0
	v_mov_b32_e32 v0, 0x8000
	scratch_store_b32 off, v0, s32 offset:408 ; 4-byte Folded Spill
	s_and_saveexec_b32 s21, s1
	s_cbranch_execz .LBB296_202
; %bb.197:                              ;   in Loop: Header=BB296_16 Depth=1
	v_bfe_u32 v2, v32, 16, 7
	v_mov_b32_e32 v0, 0x7c01
	s_mov_b32 s22, exec_lo
	scratch_store_b32 off, v0, s32 offset:408 ; 4-byte Folded Spill
	v_cmpx_ne_u32_e32 0x7f, v2
	s_cbranch_execz .LBB296_201
; %bb.198:                              ;   in Loop: Header=BB296_16 Depth=1
	v_and_b32_e32 v0, 7, v7
	v_lshrrev_b32_e32 v1, 3, v2
	s_mov_b32 s23, exec_lo
	v_cmpx_gt_u32_e32 8, v2
; %bb.199:                              ;   in Loop: Header=BB296_16 Depth=1
	s_delay_alu instid0(VALU_DEP_3) | instskip(NEXT) | instid1(VALU_DEP_1)
	v_clz_i32_u32_e32 v0, v0
	v_min_u32_e32 v2, 32, v0
	s_delay_alu instid0(VALU_DEP_1) | instskip(NEXT) | instid1(VALU_DEP_1)
	v_subrev_nc_u32_e32 v0, 28, v2
	v_lshlrev_b64_e32 v[0:1], v0, v[7:8]
	v_sub_nc_u32_e32 v1, 29, v2
	s_delay_alu instid0(VALU_DEP_2)
	v_and_b32_e32 v0, 7, v0
; %bb.200:                              ;   in Loop: Header=BB296_16 Depth=1
	s_wait_alu 0xfffe
	s_or_b32 exec_lo, exec_lo, s23
	v_lshlrev_b32_e32 v2, 8, v7
	v_lshl_add_u32 v1, v1, 10, 0x2000
	v_lshlrev_b32_e32 v0, 7, v0
	s_delay_alu instid0(VALU_DEP_3) | instskip(NEXT) | instid1(VALU_DEP_3)
	v_and_b32_e32 v2, 0x8000, v2
	v_and_b32_e32 v1, 0xfc00, v1
	s_delay_alu instid0(VALU_DEP_1)
	v_or3_b32 v0, v2, v1, v0
	scratch_store_b32 off, v0, s32 offset:408 ; 4-byte Folded Spill
.LBB296_201:                            ;   in Loop: Header=BB296_16 Depth=1
	s_wait_alu 0xfffe
	s_or_b32 exec_lo, exec_lo, s22
.LBB296_202:                            ;   in Loop: Header=BB296_16 Depth=1
	s_wait_alu 0xfffe
	s_or_b32 exec_lo, exec_lo, s21
.LBB296_203:                            ;   in Loop: Header=BB296_16 Depth=1
	s_wait_alu 0xfffe
	s_or_b32 exec_lo, exec_lo, s20
	v_mov_b32_e32 v0, 0
	s_mov_b32 s20, exec_lo
	scratch_store_b32 off, v0, s32 offset:416 ; 4-byte Folded Spill
	v_mov_b32_e32 v0, 0
	scratch_store_b32 off, v0, s32 offset:640 ; 4-byte Folded Spill
	v_cmpx_lt_u64_e64 s[8:9], v[31:32]
	s_cbranch_execz .LBB296_211
; %bb.204:                              ;   in Loop: Header=BB296_16 Depth=1
	v_lshrrev_b32_e32 v7, 24, v32
	v_bfrev_b32_e32 v0, 1
	s_mov_b32 s21, exec_lo
	s_delay_alu instid0(VALU_DEP_2)
	v_cmpx_ne_u32_e32 0x80, v7
	s_cbranch_execz .LBB296_210
; %bb.205:                              ;   in Loop: Header=BB296_16 Depth=1
	v_and_b32_e32 v2, 0x7f, v7
	v_mov_b32_e32 v0, 0x7c010000
	s_mov_b32 s22, exec_lo
	s_delay_alu instid0(VALU_DEP_2)
	v_cmpx_ne_u32_e32 0x7f, v2
	s_cbranch_execz .LBB296_209
; %bb.206:                              ;   in Loop: Header=BB296_16 Depth=1
	v_and_b32_e32 v0, 7, v7
	v_lshrrev_b32_e32 v1, 3, v2
	s_mov_b32 s23, exec_lo
	v_cmpx_gt_u32_e32 8, v2
; %bb.207:                              ;   in Loop: Header=BB296_16 Depth=1
	s_delay_alu instid0(VALU_DEP_3) | instskip(NEXT) | instid1(VALU_DEP_1)
	v_clz_i32_u32_e32 v0, v0
	v_min_u32_e32 v2, 32, v0
	s_delay_alu instid0(VALU_DEP_1) | instskip(NEXT) | instid1(VALU_DEP_1)
	v_subrev_nc_u32_e32 v0, 28, v2
	v_lshlrev_b64_e32 v[0:1], v0, v[7:8]
	v_sub_nc_u32_e32 v1, 29, v2
	s_delay_alu instid0(VALU_DEP_2)
	v_and_b32_e32 v0, 7, v0
; %bb.208:                              ;   in Loop: Header=BB296_16 Depth=1
	s_wait_alu 0xfffe
	s_or_b32 exec_lo, exec_lo, s23
	v_lshlrev_b32_e32 v2, 8, v7
	v_lshl_add_u32 v1, v1, 10, 0x2000
	v_lshlrev_b32_e32 v0, 23, v0
	s_delay_alu instid0(VALU_DEP_2) | instskip(NEXT) | instid1(VALU_DEP_1)
	v_and_or_b32 v1, 0x8000, v2, v1
	v_lshl_or_b32 v0, v1, 16, v0
.LBB296_209:                            ;   in Loop: Header=BB296_16 Depth=1
	s_wait_alu 0xfffe
	s_or_b32 exec_lo, exec_lo, s22
.LBB296_210:                            ;   in Loop: Header=BB296_16 Depth=1
	s_wait_alu 0xfffe
	s_or_b32 exec_lo, exec_lo, s21
	scratch_store_b32 off, v0, s32 offset:640 ; 4-byte Folded Spill
.LBB296_211:                            ;   in Loop: Header=BB296_16 Depth=1
	s_wait_alu 0xfffe
	s_or_b32 exec_lo, exec_lo, s20
	flat_load_b64 v[31:32], v[28:29] offset:520
	s_mov_b32 s20, exec_lo
	s_wait_loadcnt_dscnt 0x0
	v_and_b32_e32 v0, 0xff, v31
	s_delay_alu instid0(VALU_DEP_1)
	v_cmpx_ne_u16_e32 0, v0
	s_cbranch_execz .LBB296_219
; %bb.212:                              ;   in Loop: Header=BB296_16 Depth=1
	v_cmp_ne_u16_e64 s1, 0x80, v0
	v_mov_b32_e32 v0, 0x8000
	scratch_store_b32 off, v0, s32 offset:416 ; 4-byte Folded Spill
	s_and_saveexec_b32 s21, s1
	s_cbranch_execz .LBB296_218
; %bb.213:                              ;   in Loop: Header=BB296_16 Depth=1
	v_and_b32_e32 v2, 0x7f, v31
	v_mov_b32_e32 v0, 0x7c01
	s_mov_b32 s22, exec_lo
	scratch_store_b32 off, v0, s32 offset:416 ; 4-byte Folded Spill
	v_cmpx_ne_u32_e32 0x7f, v2
	s_cbranch_execz .LBB296_217
; %bb.214:                              ;   in Loop: Header=BB296_16 Depth=1
	v_and_b32_e32 v0, 7, v31
	v_lshrrev_b32_e32 v1, 3, v2
	s_mov_b32 s23, exec_lo
	v_cmpx_gt_u32_e32 8, v2
; %bb.215:                              ;   in Loop: Header=BB296_16 Depth=1
	s_delay_alu instid0(VALU_DEP_3) | instskip(NEXT) | instid1(VALU_DEP_1)
	v_clz_i32_u32_e32 v0, v0
	v_min_u32_e32 v2, 32, v0
	s_delay_alu instid0(VALU_DEP_1) | instskip(NEXT) | instid1(VALU_DEP_1)
	v_subrev_nc_u32_e32 v0, 28, v2
	v_lshlrev_b64_e32 v[0:1], v0, v[31:32]
	v_sub_nc_u32_e32 v1, 29, v2
	s_delay_alu instid0(VALU_DEP_2)
	v_and_b32_e32 v0, 7, v0
; %bb.216:                              ;   in Loop: Header=BB296_16 Depth=1
	s_wait_alu 0xfffe
	s_or_b32 exec_lo, exec_lo, s23
	v_lshlrev_b32_e32 v2, 8, v31
	v_lshl_add_u32 v1, v1, 10, 0x2000
	v_lshlrev_b32_e32 v0, 7, v0
	s_delay_alu instid0(VALU_DEP_3) | instskip(NEXT) | instid1(VALU_DEP_3)
	v_and_b32_e32 v2, 0x8000, v2
	v_and_b32_e32 v1, 0xfc00, v1
	s_delay_alu instid0(VALU_DEP_1)
	v_or3_b32 v0, v2, v1, v0
	scratch_store_b32 off, v0, s32 offset:416 ; 4-byte Folded Spill
.LBB296_217:                            ;   in Loop: Header=BB296_16 Depth=1
	s_wait_alu 0xfffe
	s_or_b32 exec_lo, exec_lo, s22
.LBB296_218:                            ;   in Loop: Header=BB296_16 Depth=1
	s_wait_alu 0xfffe
	s_or_b32 exec_lo, exec_lo, s21
.LBB296_219:                            ;   in Loop: Header=BB296_16 Depth=1
	s_wait_alu 0xfffe
	s_or_b32 exec_lo, exec_lo, s20
	v_mov_b32_e32 v0, 0
	v_lshrrev_b16 v7, 8, v31
	s_mov_b32 s20, exec_lo
	scratch_store_b32 off, v0, s32 offset:424 ; 4-byte Folded Spill
	v_mov_b32_e32 v0, 0
	scratch_store_b32 off, v0, s32 offset:420 ; 4-byte Folded Spill
	v_cmpx_ne_u16_e32 0, v7
	s_cbranch_execz .LBB296_227
; %bb.220:                              ;   in Loop: Header=BB296_16 Depth=1
	v_bfrev_b32_e32 v0, 1
	s_mov_b32 s21, exec_lo
	scratch_store_b32 off, v0, s32 offset:420 ; 4-byte Folded Spill
	v_cmpx_ne_u16_e32 0x80, v7
	s_cbranch_execz .LBB296_226
; %bb.221:                              ;   in Loop: Header=BB296_16 Depth=1
	v_and_b32_e32 v0, 0xffff, v7
	v_mov_b32_e32 v1, 0x7c010000
	s_mov_b32 s22, exec_lo
	s_delay_alu instid0(VALU_DEP_2)
	v_and_b32_e32 v3, 0x7f, v0
	scratch_store_b32 off, v1, s32 offset:420 ; 4-byte Folded Spill
	v_cmpx_ne_u32_e32 0x7f, v3
	s_cbranch_execz .LBB296_225
; %bb.222:                              ;   in Loop: Header=BB296_16 Depth=1
	v_and_b32_e32 v1, 7, v0
	v_lshrrev_b32_e32 v2, 3, v3
	s_mov_b32 s23, exec_lo
	v_cmpx_gt_u32_e32 8, v3
; %bb.223:                              ;   in Loop: Header=BB296_16 Depth=1
	s_delay_alu instid0(VALU_DEP_3) | instskip(NEXT) | instid1(VALU_DEP_1)
	v_clz_i32_u32_e32 v1, v1
	v_min_u32_e32 v3, 32, v1
	s_delay_alu instid0(VALU_DEP_1) | instskip(NEXT) | instid1(VALU_DEP_1)
	v_subrev_nc_u32_e32 v1, 28, v3
	v_lshlrev_b64_e32 v[1:2], v1, v[7:8]
	v_sub_nc_u32_e32 v2, 29, v3
	s_delay_alu instid0(VALU_DEP_2)
	v_and_b32_e32 v1, 7, v1
; %bb.224:                              ;   in Loop: Header=BB296_16 Depth=1
	s_wait_alu 0xfffe
	s_or_b32 exec_lo, exec_lo, s23
	v_lshlrev_b32_e32 v0, 8, v0
	v_lshl_add_u32 v2, v2, 10, 0x2000
	v_lshlrev_b32_e32 v1, 23, v1
	s_delay_alu instid0(VALU_DEP_2) | instskip(NEXT) | instid1(VALU_DEP_1)
	v_and_or_b32 v0, 0x8000, v0, v2
	v_lshl_or_b32 v0, v0, 16, v1
	scratch_store_b32 off, v0, s32 offset:420 ; 4-byte Folded Spill
.LBB296_225:                            ;   in Loop: Header=BB296_16 Depth=1
	s_wait_alu 0xfffe
	s_or_b32 exec_lo, exec_lo, s22
.LBB296_226:                            ;   in Loop: Header=BB296_16 Depth=1
	s_wait_alu 0xfffe
	s_or_b32 exec_lo, exec_lo, s21
.LBB296_227:                            ;   in Loop: Header=BB296_16 Depth=1
	s_wait_alu 0xfffe
	s_or_b32 exec_lo, exec_lo, s20
	v_lshrrev_b32_e32 v7, 16, v31
	s_mov_b32 s20, exec_lo
	s_delay_alu instid0(VALU_DEP_1) | instskip(NEXT) | instid1(VALU_DEP_1)
	v_and_b32_e32 v0, 0xff, v7
	v_cmpx_ne_u16_e32 0, v0
	s_cbranch_execz .LBB296_235
; %bb.228:                              ;   in Loop: Header=BB296_16 Depth=1
	v_cmp_ne_u16_e64 s1, 0x80, v0
	v_mov_b32_e32 v0, 0x8000
	scratch_store_b32 off, v0, s32 offset:424 ; 4-byte Folded Spill
	s_and_saveexec_b32 s21, s1
	s_cbranch_execz .LBB296_234
; %bb.229:                              ;   in Loop: Header=BB296_16 Depth=1
	v_bfe_u32 v2, v31, 16, 7
	v_mov_b32_e32 v0, 0x7c01
	s_mov_b32 s22, exec_lo
	scratch_store_b32 off, v0, s32 offset:424 ; 4-byte Folded Spill
	v_cmpx_ne_u32_e32 0x7f, v2
	s_cbranch_execz .LBB296_233
; %bb.230:                              ;   in Loop: Header=BB296_16 Depth=1
	v_and_b32_e32 v0, 7, v7
	v_lshrrev_b32_e32 v1, 3, v2
	s_mov_b32 s23, exec_lo
	v_cmpx_gt_u32_e32 8, v2
; %bb.231:                              ;   in Loop: Header=BB296_16 Depth=1
	s_delay_alu instid0(VALU_DEP_3) | instskip(NEXT) | instid1(VALU_DEP_1)
	v_clz_i32_u32_e32 v0, v0
	v_min_u32_e32 v2, 32, v0
	s_delay_alu instid0(VALU_DEP_1) | instskip(NEXT) | instid1(VALU_DEP_1)
	v_subrev_nc_u32_e32 v0, 28, v2
	v_lshlrev_b64_e32 v[0:1], v0, v[7:8]
	v_sub_nc_u32_e32 v1, 29, v2
	s_delay_alu instid0(VALU_DEP_2)
	v_and_b32_e32 v0, 7, v0
; %bb.232:                              ;   in Loop: Header=BB296_16 Depth=1
	s_wait_alu 0xfffe
	s_or_b32 exec_lo, exec_lo, s23
	v_lshlrev_b32_e32 v2, 8, v7
	v_lshl_add_u32 v1, v1, 10, 0x2000
	v_lshlrev_b32_e32 v0, 7, v0
	s_delay_alu instid0(VALU_DEP_3) | instskip(NEXT) | instid1(VALU_DEP_3)
	v_and_b32_e32 v2, 0x8000, v2
	v_and_b32_e32 v1, 0xfc00, v1
	s_delay_alu instid0(VALU_DEP_1)
	v_or3_b32 v0, v2, v1, v0
	scratch_store_b32 off, v0, s32 offset:424 ; 4-byte Folded Spill
.LBB296_233:                            ;   in Loop: Header=BB296_16 Depth=1
	s_wait_alu 0xfffe
	s_or_b32 exec_lo, exec_lo, s22
.LBB296_234:                            ;   in Loop: Header=BB296_16 Depth=1
	s_wait_alu 0xfffe
	s_or_b32 exec_lo, exec_lo, s21
.LBB296_235:                            ;   in Loop: Header=BB296_16 Depth=1
	s_wait_alu 0xfffe
	s_or_b32 exec_lo, exec_lo, s20
	v_mov_b32_e32 v0, 0
	s_mov_b32 s20, exec_lo
	scratch_store_b32 off, v0, s32 offset:428 ; 4-byte Folded Spill
	v_mov_b32_e32 v0, 0
	scratch_store_b32 off, v0, s32 offset:432 ; 4-byte Folded Spill
	v_cmpx_lt_u32_e32 0xffffff, v31
	s_cbranch_execz .LBB296_243
; %bb.236:                              ;   in Loop: Header=BB296_16 Depth=1
	v_lshrrev_b32_e32 v7, 24, v31
	v_bfrev_b32_e32 v0, 1
	s_mov_b32 s21, exec_lo
	scratch_store_b32 off, v0, s32 offset:432 ; 4-byte Folded Spill
	v_cmpx_ne_u32_e32 0x80, v7
	s_cbranch_execz .LBB296_242
; %bb.237:                              ;   in Loop: Header=BB296_16 Depth=1
	v_and_b32_e32 v2, 0x7f, v7
	v_mov_b32_e32 v0, 0x7c010000
	s_mov_b32 s22, exec_lo
	scratch_store_b32 off, v0, s32 offset:432 ; 4-byte Folded Spill
	v_cmpx_ne_u32_e32 0x7f, v2
	s_cbranch_execz .LBB296_241
; %bb.238:                              ;   in Loop: Header=BB296_16 Depth=1
	v_and_b32_e32 v0, 7, v7
	v_lshrrev_b32_e32 v1, 3, v2
	s_mov_b32 s23, exec_lo
	v_cmpx_gt_u32_e32 8, v2
; %bb.239:                              ;   in Loop: Header=BB296_16 Depth=1
	s_delay_alu instid0(VALU_DEP_3) | instskip(NEXT) | instid1(VALU_DEP_1)
	v_clz_i32_u32_e32 v0, v0
	v_min_u32_e32 v2, 32, v0
	s_delay_alu instid0(VALU_DEP_1) | instskip(NEXT) | instid1(VALU_DEP_1)
	v_subrev_nc_u32_e32 v0, 28, v2
	v_lshlrev_b64_e32 v[0:1], v0, v[7:8]
	v_sub_nc_u32_e32 v1, 29, v2
	s_delay_alu instid0(VALU_DEP_2)
	v_and_b32_e32 v0, 7, v0
; %bb.240:                              ;   in Loop: Header=BB296_16 Depth=1
	s_wait_alu 0xfffe
	s_or_b32 exec_lo, exec_lo, s23
	v_lshlrev_b32_e32 v2, 8, v7
	v_lshl_add_u32 v1, v1, 10, 0x2000
	v_lshlrev_b32_e32 v0, 23, v0
	s_delay_alu instid0(VALU_DEP_2) | instskip(NEXT) | instid1(VALU_DEP_1)
	v_and_or_b32 v1, 0x8000, v2, v1
	v_lshl_or_b32 v0, v1, 16, v0
	scratch_store_b32 off, v0, s32 offset:432 ; 4-byte Folded Spill
.LBB296_241:                            ;   in Loop: Header=BB296_16 Depth=1
	s_wait_alu 0xfffe
	s_or_b32 exec_lo, exec_lo, s22
.LBB296_242:                            ;   in Loop: Header=BB296_16 Depth=1
	s_wait_alu 0xfffe
	s_or_b32 exec_lo, exec_lo, s21
.LBB296_243:                            ;   in Loop: Header=BB296_16 Depth=1
	s_wait_alu 0xfffe
	s_or_b32 exec_lo, exec_lo, s20
	v_dual_mov_b32 v7, v32 :: v_dual_and_b32 v0, 0xff, v32
	s_mov_b32 s20, exec_lo
	s_delay_alu instid0(VALU_DEP_1)
	v_cmpx_ne_u16_e32 0, v0
	s_cbranch_execz .LBB296_251
; %bb.244:                              ;   in Loop: Header=BB296_16 Depth=1
	v_cmp_ne_u16_e64 s1, 0x80, v0
	v_mov_b32_e32 v0, 0x8000
	scratch_store_b32 off, v0, s32 offset:428 ; 4-byte Folded Spill
	s_and_saveexec_b32 s21, s1
	s_cbranch_execz .LBB296_250
; %bb.245:                              ;   in Loop: Header=BB296_16 Depth=1
	v_and_b32_e32 v2, 0x7f, v32
	v_mov_b32_e32 v0, 0x7c01
	s_mov_b32 s22, exec_lo
	scratch_store_b32 off, v0, s32 offset:428 ; 4-byte Folded Spill
	v_cmpx_ne_u32_e32 0x7f, v2
	s_cbranch_execz .LBB296_249
; %bb.246:                              ;   in Loop: Header=BB296_16 Depth=1
	v_and_b32_e32 v0, 7, v32
	v_lshrrev_b32_e32 v1, 3, v2
	s_mov_b32 s23, exec_lo
	v_cmpx_gt_u32_e32 8, v2
; %bb.247:                              ;   in Loop: Header=BB296_16 Depth=1
	s_delay_alu instid0(VALU_DEP_3) | instskip(NEXT) | instid1(VALU_DEP_1)
	v_clz_i32_u32_e32 v0, v0
	v_min_u32_e32 v2, 32, v0
	s_delay_alu instid0(VALU_DEP_1) | instskip(NEXT) | instid1(VALU_DEP_1)
	v_subrev_nc_u32_e32 v0, 28, v2
	v_lshlrev_b64_e32 v[0:1], v0, v[7:8]
	v_sub_nc_u32_e32 v1, 29, v2
	s_delay_alu instid0(VALU_DEP_2)
	v_and_b32_e32 v0, 7, v0
; %bb.248:                              ;   in Loop: Header=BB296_16 Depth=1
	s_wait_alu 0xfffe
	s_or_b32 exec_lo, exec_lo, s23
	v_lshlrev_b32_e32 v2, 8, v32
	v_lshl_add_u32 v1, v1, 10, 0x2000
	v_lshlrev_b32_e32 v0, 7, v0
	s_delay_alu instid0(VALU_DEP_3) | instskip(NEXT) | instid1(VALU_DEP_3)
	v_and_b32_e32 v2, 0x8000, v2
	v_and_b32_e32 v1, 0xfc00, v1
	s_delay_alu instid0(VALU_DEP_1)
	v_or3_b32 v0, v2, v1, v0
	scratch_store_b32 off, v0, s32 offset:428 ; 4-byte Folded Spill
.LBB296_249:                            ;   in Loop: Header=BB296_16 Depth=1
	s_wait_alu 0xfffe
	s_or_b32 exec_lo, exec_lo, s22
.LBB296_250:                            ;   in Loop: Header=BB296_16 Depth=1
	s_wait_alu 0xfffe
	s_or_b32 exec_lo, exec_lo, s21
.LBB296_251:                            ;   in Loop: Header=BB296_16 Depth=1
	s_wait_alu 0xfffe
	s_or_b32 exec_lo, exec_lo, s20
	v_mov_b32_e32 v0, 0
	v_lshrrev_b16 v7, 8, v7
	s_mov_b32 s20, exec_lo
	scratch_store_b32 off, v0, s32 offset:436 ; 4-byte Folded Spill
	v_mov_b32_e32 v0, 0
	scratch_store_b32 off, v0, s32 offset:440 ; 4-byte Folded Spill
	v_cmpx_ne_u16_e32 0, v7
	s_cbranch_execz .LBB296_259
; %bb.252:                              ;   in Loop: Header=BB296_16 Depth=1
	v_bfrev_b32_e32 v0, 1
	s_mov_b32 s21, exec_lo
	scratch_store_b32 off, v0, s32 offset:440 ; 4-byte Folded Spill
	v_cmpx_ne_u16_e32 0x80, v7
	s_cbranch_execz .LBB296_258
; %bb.253:                              ;   in Loop: Header=BB296_16 Depth=1
	v_and_b32_e32 v0, 0xffff, v7
	v_mov_b32_e32 v1, 0x7c010000
	s_mov_b32 s22, exec_lo
	s_delay_alu instid0(VALU_DEP_2)
	v_and_b32_e32 v3, 0x7f, v0
	scratch_store_b32 off, v1, s32 offset:440 ; 4-byte Folded Spill
	v_cmpx_ne_u32_e32 0x7f, v3
	s_cbranch_execz .LBB296_257
; %bb.254:                              ;   in Loop: Header=BB296_16 Depth=1
	v_and_b32_e32 v1, 7, v0
	v_lshrrev_b32_e32 v2, 3, v3
	s_mov_b32 s23, exec_lo
	v_cmpx_gt_u32_e32 8, v3
; %bb.255:                              ;   in Loop: Header=BB296_16 Depth=1
	s_delay_alu instid0(VALU_DEP_3) | instskip(NEXT) | instid1(VALU_DEP_1)
	v_clz_i32_u32_e32 v1, v1
	v_min_u32_e32 v3, 32, v1
	s_delay_alu instid0(VALU_DEP_1) | instskip(NEXT) | instid1(VALU_DEP_1)
	v_subrev_nc_u32_e32 v1, 28, v3
	v_lshlrev_b64_e32 v[1:2], v1, v[7:8]
	v_sub_nc_u32_e32 v2, 29, v3
	s_delay_alu instid0(VALU_DEP_2)
	v_and_b32_e32 v1, 7, v1
; %bb.256:                              ;   in Loop: Header=BB296_16 Depth=1
	s_wait_alu 0xfffe
	s_or_b32 exec_lo, exec_lo, s23
	v_lshlrev_b32_e32 v0, 8, v0
	v_lshl_add_u32 v2, v2, 10, 0x2000
	v_lshlrev_b32_e32 v1, 23, v1
	s_delay_alu instid0(VALU_DEP_2) | instskip(NEXT) | instid1(VALU_DEP_1)
	v_and_or_b32 v0, 0x8000, v0, v2
	v_lshl_or_b32 v0, v0, 16, v1
	scratch_store_b32 off, v0, s32 offset:440 ; 4-byte Folded Spill
.LBB296_257:                            ;   in Loop: Header=BB296_16 Depth=1
	s_wait_alu 0xfffe
	s_or_b32 exec_lo, exec_lo, s22
.LBB296_258:                            ;   in Loop: Header=BB296_16 Depth=1
	s_wait_alu 0xfffe
	s_or_b32 exec_lo, exec_lo, s21
.LBB296_259:                            ;   in Loop: Header=BB296_16 Depth=1
	s_wait_alu 0xfffe
	s_or_b32 exec_lo, exec_lo, s20
	v_lshrrev_b32_e32 v7, 16, v32
	s_mov_b32 s20, exec_lo
	s_delay_alu instid0(VALU_DEP_1) | instskip(NEXT) | instid1(VALU_DEP_1)
	v_and_b32_e32 v0, 0xff, v7
	v_cmpx_ne_u16_e32 0, v0
	s_cbranch_execz .LBB296_267
; %bb.260:                              ;   in Loop: Header=BB296_16 Depth=1
	v_cmp_ne_u16_e64 s1, 0x80, v0
	v_mov_b32_e32 v0, 0x8000
	scratch_store_b32 off, v0, s32 offset:436 ; 4-byte Folded Spill
	s_and_saveexec_b32 s21, s1
	s_cbranch_execz .LBB296_266
; %bb.261:                              ;   in Loop: Header=BB296_16 Depth=1
	v_bfe_u32 v2, v32, 16, 7
	v_mov_b32_e32 v0, 0x7c01
	s_mov_b32 s22, exec_lo
	scratch_store_b32 off, v0, s32 offset:436 ; 4-byte Folded Spill
	v_cmpx_ne_u32_e32 0x7f, v2
	s_cbranch_execz .LBB296_265
; %bb.262:                              ;   in Loop: Header=BB296_16 Depth=1
	v_and_b32_e32 v0, 7, v7
	v_lshrrev_b32_e32 v1, 3, v2
	s_mov_b32 s23, exec_lo
	v_cmpx_gt_u32_e32 8, v2
; %bb.263:                              ;   in Loop: Header=BB296_16 Depth=1
	s_delay_alu instid0(VALU_DEP_3) | instskip(NEXT) | instid1(VALU_DEP_1)
	v_clz_i32_u32_e32 v0, v0
	v_min_u32_e32 v2, 32, v0
	s_delay_alu instid0(VALU_DEP_1) | instskip(NEXT) | instid1(VALU_DEP_1)
	v_subrev_nc_u32_e32 v0, 28, v2
	v_lshlrev_b64_e32 v[0:1], v0, v[7:8]
	v_sub_nc_u32_e32 v1, 29, v2
	s_delay_alu instid0(VALU_DEP_2)
	v_and_b32_e32 v0, 7, v0
; %bb.264:                              ;   in Loop: Header=BB296_16 Depth=1
	s_wait_alu 0xfffe
	s_or_b32 exec_lo, exec_lo, s23
	v_lshlrev_b32_e32 v2, 8, v7
	v_lshl_add_u32 v1, v1, 10, 0x2000
	v_lshlrev_b32_e32 v0, 7, v0
	s_delay_alu instid0(VALU_DEP_3) | instskip(NEXT) | instid1(VALU_DEP_3)
	v_and_b32_e32 v2, 0x8000, v2
	v_and_b32_e32 v1, 0xfc00, v1
	s_delay_alu instid0(VALU_DEP_1)
	v_or3_b32 v0, v2, v1, v0
	scratch_store_b32 off, v0, s32 offset:436 ; 4-byte Folded Spill
.LBB296_265:                            ;   in Loop: Header=BB296_16 Depth=1
	s_wait_alu 0xfffe
	s_or_b32 exec_lo, exec_lo, s22
.LBB296_266:                            ;   in Loop: Header=BB296_16 Depth=1
	s_wait_alu 0xfffe
	s_or_b32 exec_lo, exec_lo, s21
.LBB296_267:                            ;   in Loop: Header=BB296_16 Depth=1
	s_wait_alu 0xfffe
	s_or_b32 exec_lo, exec_lo, s20
	v_mov_b32_e32 v0, 0
	s_mov_b32 s20, exec_lo
	scratch_store_b32 off, v0, s32 offset:444 ; 4-byte Folded Spill
	v_mov_b32_e32 v0, 0
	scratch_store_b32 off, v0, s32 offset:644 ; 4-byte Folded Spill
	v_cmpx_lt_u64_e64 s[8:9], v[31:32]
	s_cbranch_execz .LBB296_275
; %bb.268:                              ;   in Loop: Header=BB296_16 Depth=1
	v_lshrrev_b32_e32 v7, 24, v32
	v_bfrev_b32_e32 v0, 1
	s_mov_b32 s21, exec_lo
	s_delay_alu instid0(VALU_DEP_2)
	v_cmpx_ne_u32_e32 0x80, v7
	s_cbranch_execz .LBB296_274
; %bb.269:                              ;   in Loop: Header=BB296_16 Depth=1
	v_and_b32_e32 v2, 0x7f, v7
	v_mov_b32_e32 v0, 0x7c010000
	s_mov_b32 s22, exec_lo
	s_delay_alu instid0(VALU_DEP_2)
	v_cmpx_ne_u32_e32 0x7f, v2
	s_cbranch_execz .LBB296_273
; %bb.270:                              ;   in Loop: Header=BB296_16 Depth=1
	v_and_b32_e32 v0, 7, v7
	v_lshrrev_b32_e32 v1, 3, v2
	s_mov_b32 s23, exec_lo
	v_cmpx_gt_u32_e32 8, v2
; %bb.271:                              ;   in Loop: Header=BB296_16 Depth=1
	s_delay_alu instid0(VALU_DEP_3) | instskip(NEXT) | instid1(VALU_DEP_1)
	v_clz_i32_u32_e32 v0, v0
	v_min_u32_e32 v2, 32, v0
	s_delay_alu instid0(VALU_DEP_1) | instskip(NEXT) | instid1(VALU_DEP_1)
	v_subrev_nc_u32_e32 v0, 28, v2
	v_lshlrev_b64_e32 v[0:1], v0, v[7:8]
	v_sub_nc_u32_e32 v1, 29, v2
	s_delay_alu instid0(VALU_DEP_2)
	v_and_b32_e32 v0, 7, v0
; %bb.272:                              ;   in Loop: Header=BB296_16 Depth=1
	s_wait_alu 0xfffe
	s_or_b32 exec_lo, exec_lo, s23
	v_lshlrev_b32_e32 v2, 8, v7
	v_lshl_add_u32 v1, v1, 10, 0x2000
	v_lshlrev_b32_e32 v0, 23, v0
	s_delay_alu instid0(VALU_DEP_2) | instskip(NEXT) | instid1(VALU_DEP_1)
	v_and_or_b32 v1, 0x8000, v2, v1
	v_lshl_or_b32 v0, v1, 16, v0
.LBB296_273:                            ;   in Loop: Header=BB296_16 Depth=1
	s_wait_alu 0xfffe
	s_or_b32 exec_lo, exec_lo, s22
.LBB296_274:                            ;   in Loop: Header=BB296_16 Depth=1
	s_wait_alu 0xfffe
	s_or_b32 exec_lo, exec_lo, s21
	scratch_store_b32 off, v0, s32 offset:644 ; 4-byte Folded Spill
.LBB296_275:                            ;   in Loop: Header=BB296_16 Depth=1
	s_wait_alu 0xfffe
	s_or_b32 exec_lo, exec_lo, s20
	flat_load_b64 v[31:32], v[28:29] offset:1024
	s_mov_b32 s20, exec_lo
	s_wait_loadcnt_dscnt 0x0
	v_and_b32_e32 v0, 0xff, v31
	s_delay_alu instid0(VALU_DEP_1)
	v_cmpx_ne_u16_e32 0, v0
	s_cbranch_execz .LBB296_283
; %bb.276:                              ;   in Loop: Header=BB296_16 Depth=1
	v_cmp_ne_u16_e64 s1, 0x80, v0
	v_mov_b32_e32 v0, 0x8000
	scratch_store_b32 off, v0, s32 offset:444 ; 4-byte Folded Spill
	s_and_saveexec_b32 s21, s1
	s_cbranch_execz .LBB296_282
; %bb.277:                              ;   in Loop: Header=BB296_16 Depth=1
	v_and_b32_e32 v2, 0x7f, v31
	v_mov_b32_e32 v0, 0x7c01
	s_mov_b32 s22, exec_lo
	scratch_store_b32 off, v0, s32 offset:444 ; 4-byte Folded Spill
	v_cmpx_ne_u32_e32 0x7f, v2
	s_cbranch_execz .LBB296_281
; %bb.278:                              ;   in Loop: Header=BB296_16 Depth=1
	v_and_b32_e32 v0, 7, v31
	v_lshrrev_b32_e32 v1, 3, v2
	s_mov_b32 s23, exec_lo
	v_cmpx_gt_u32_e32 8, v2
; %bb.279:                              ;   in Loop: Header=BB296_16 Depth=1
	s_delay_alu instid0(VALU_DEP_3) | instskip(NEXT) | instid1(VALU_DEP_1)
	v_clz_i32_u32_e32 v0, v0
	v_min_u32_e32 v2, 32, v0
	s_delay_alu instid0(VALU_DEP_1) | instskip(NEXT) | instid1(VALU_DEP_1)
	v_subrev_nc_u32_e32 v0, 28, v2
	v_lshlrev_b64_e32 v[0:1], v0, v[31:32]
	v_sub_nc_u32_e32 v1, 29, v2
	s_delay_alu instid0(VALU_DEP_2)
	v_and_b32_e32 v0, 7, v0
; %bb.280:                              ;   in Loop: Header=BB296_16 Depth=1
	s_wait_alu 0xfffe
	s_or_b32 exec_lo, exec_lo, s23
	v_lshlrev_b32_e32 v2, 8, v31
	v_lshl_add_u32 v1, v1, 10, 0x2000
	v_lshlrev_b32_e32 v0, 7, v0
	s_delay_alu instid0(VALU_DEP_3) | instskip(NEXT) | instid1(VALU_DEP_3)
	v_and_b32_e32 v2, 0x8000, v2
	v_and_b32_e32 v1, 0xfc00, v1
	s_delay_alu instid0(VALU_DEP_1)
	v_or3_b32 v0, v2, v1, v0
	scratch_store_b32 off, v0, s32 offset:444 ; 4-byte Folded Spill
.LBB296_281:                            ;   in Loop: Header=BB296_16 Depth=1
	s_wait_alu 0xfffe
	s_or_b32 exec_lo, exec_lo, s22
.LBB296_282:                            ;   in Loop: Header=BB296_16 Depth=1
	s_wait_alu 0xfffe
	s_or_b32 exec_lo, exec_lo, s21
.LBB296_283:                            ;   in Loop: Header=BB296_16 Depth=1
	s_wait_alu 0xfffe
	s_or_b32 exec_lo, exec_lo, s20
	v_mov_b32_e32 v0, 0
	v_lshrrev_b16 v7, 8, v31
	s_mov_b32 s20, exec_lo
	scratch_store_b32 off, v0, s32 offset:452 ; 4-byte Folded Spill
	v_mov_b32_e32 v0, 0
	scratch_store_b32 off, v0, s32 offset:448 ; 4-byte Folded Spill
	v_cmpx_ne_u16_e32 0, v7
	s_cbranch_execz .LBB296_291
; %bb.284:                              ;   in Loop: Header=BB296_16 Depth=1
	v_bfrev_b32_e32 v0, 1
	s_mov_b32 s21, exec_lo
	scratch_store_b32 off, v0, s32 offset:448 ; 4-byte Folded Spill
	v_cmpx_ne_u16_e32 0x80, v7
	s_cbranch_execz .LBB296_290
; %bb.285:                              ;   in Loop: Header=BB296_16 Depth=1
	v_and_b32_e32 v0, 0xffff, v7
	v_mov_b32_e32 v1, 0x7c010000
	s_mov_b32 s22, exec_lo
	s_delay_alu instid0(VALU_DEP_2)
	v_and_b32_e32 v3, 0x7f, v0
	scratch_store_b32 off, v1, s32 offset:448 ; 4-byte Folded Spill
	v_cmpx_ne_u32_e32 0x7f, v3
	s_cbranch_execz .LBB296_289
; %bb.286:                              ;   in Loop: Header=BB296_16 Depth=1
	v_and_b32_e32 v1, 7, v0
	v_lshrrev_b32_e32 v2, 3, v3
	s_mov_b32 s23, exec_lo
	v_cmpx_gt_u32_e32 8, v3
; %bb.287:                              ;   in Loop: Header=BB296_16 Depth=1
	s_delay_alu instid0(VALU_DEP_3) | instskip(NEXT) | instid1(VALU_DEP_1)
	v_clz_i32_u32_e32 v1, v1
	v_min_u32_e32 v3, 32, v1
	s_delay_alu instid0(VALU_DEP_1) | instskip(NEXT) | instid1(VALU_DEP_1)
	v_subrev_nc_u32_e32 v1, 28, v3
	v_lshlrev_b64_e32 v[1:2], v1, v[7:8]
	v_sub_nc_u32_e32 v2, 29, v3
	s_delay_alu instid0(VALU_DEP_2)
	v_and_b32_e32 v1, 7, v1
; %bb.288:                              ;   in Loop: Header=BB296_16 Depth=1
	s_wait_alu 0xfffe
	s_or_b32 exec_lo, exec_lo, s23
	v_lshlrev_b32_e32 v0, 8, v0
	v_lshl_add_u32 v2, v2, 10, 0x2000
	v_lshlrev_b32_e32 v1, 23, v1
	s_delay_alu instid0(VALU_DEP_2) | instskip(NEXT) | instid1(VALU_DEP_1)
	v_and_or_b32 v0, 0x8000, v0, v2
	v_lshl_or_b32 v0, v0, 16, v1
	scratch_store_b32 off, v0, s32 offset:448 ; 4-byte Folded Spill
.LBB296_289:                            ;   in Loop: Header=BB296_16 Depth=1
	s_wait_alu 0xfffe
	s_or_b32 exec_lo, exec_lo, s22
.LBB296_290:                            ;   in Loop: Header=BB296_16 Depth=1
	s_wait_alu 0xfffe
	s_or_b32 exec_lo, exec_lo, s21
.LBB296_291:                            ;   in Loop: Header=BB296_16 Depth=1
	s_wait_alu 0xfffe
	s_or_b32 exec_lo, exec_lo, s20
	v_lshrrev_b32_e32 v7, 16, v31
	s_mov_b32 s20, exec_lo
	s_delay_alu instid0(VALU_DEP_1) | instskip(NEXT) | instid1(VALU_DEP_1)
	v_and_b32_e32 v0, 0xff, v7
	v_cmpx_ne_u16_e32 0, v0
	s_cbranch_execz .LBB296_299
; %bb.292:                              ;   in Loop: Header=BB296_16 Depth=1
	v_cmp_ne_u16_e64 s1, 0x80, v0
	v_mov_b32_e32 v0, 0x8000
	scratch_store_b32 off, v0, s32 offset:452 ; 4-byte Folded Spill
	s_and_saveexec_b32 s21, s1
	s_cbranch_execz .LBB296_298
; %bb.293:                              ;   in Loop: Header=BB296_16 Depth=1
	v_bfe_u32 v2, v31, 16, 7
	v_mov_b32_e32 v0, 0x7c01
	s_mov_b32 s22, exec_lo
	scratch_store_b32 off, v0, s32 offset:452 ; 4-byte Folded Spill
	v_cmpx_ne_u32_e32 0x7f, v2
	s_cbranch_execz .LBB296_297
; %bb.294:                              ;   in Loop: Header=BB296_16 Depth=1
	v_and_b32_e32 v0, 7, v7
	v_lshrrev_b32_e32 v1, 3, v2
	s_mov_b32 s23, exec_lo
	v_cmpx_gt_u32_e32 8, v2
; %bb.295:                              ;   in Loop: Header=BB296_16 Depth=1
	s_delay_alu instid0(VALU_DEP_3) | instskip(NEXT) | instid1(VALU_DEP_1)
	v_clz_i32_u32_e32 v0, v0
	v_min_u32_e32 v2, 32, v0
	s_delay_alu instid0(VALU_DEP_1) | instskip(NEXT) | instid1(VALU_DEP_1)
	v_subrev_nc_u32_e32 v0, 28, v2
	v_lshlrev_b64_e32 v[0:1], v0, v[7:8]
	v_sub_nc_u32_e32 v1, 29, v2
	s_delay_alu instid0(VALU_DEP_2)
	v_and_b32_e32 v0, 7, v0
; %bb.296:                              ;   in Loop: Header=BB296_16 Depth=1
	s_wait_alu 0xfffe
	s_or_b32 exec_lo, exec_lo, s23
	v_lshlrev_b32_e32 v2, 8, v7
	v_lshl_add_u32 v1, v1, 10, 0x2000
	v_lshlrev_b32_e32 v0, 7, v0
	s_delay_alu instid0(VALU_DEP_3) | instskip(NEXT) | instid1(VALU_DEP_3)
	v_and_b32_e32 v2, 0x8000, v2
	v_and_b32_e32 v1, 0xfc00, v1
	s_delay_alu instid0(VALU_DEP_1)
	v_or3_b32 v0, v2, v1, v0
	scratch_store_b32 off, v0, s32 offset:452 ; 4-byte Folded Spill
.LBB296_297:                            ;   in Loop: Header=BB296_16 Depth=1
	s_wait_alu 0xfffe
	s_or_b32 exec_lo, exec_lo, s22
.LBB296_298:                            ;   in Loop: Header=BB296_16 Depth=1
	s_wait_alu 0xfffe
	s_or_b32 exec_lo, exec_lo, s21
.LBB296_299:                            ;   in Loop: Header=BB296_16 Depth=1
	s_wait_alu 0xfffe
	s_or_b32 exec_lo, exec_lo, s20
	v_mov_b32_e32 v0, 0
	s_mov_b32 s20, exec_lo
	scratch_store_b32 off, v0, s32 offset:456 ; 4-byte Folded Spill
	v_mov_b32_e32 v0, 0
	scratch_store_b32 off, v0, s32 offset:460 ; 4-byte Folded Spill
	v_cmpx_lt_u32_e32 0xffffff, v31
	s_cbranch_execz .LBB296_307
; %bb.300:                              ;   in Loop: Header=BB296_16 Depth=1
	v_lshrrev_b32_e32 v7, 24, v31
	v_bfrev_b32_e32 v0, 1
	s_mov_b32 s21, exec_lo
	scratch_store_b32 off, v0, s32 offset:460 ; 4-byte Folded Spill
	v_cmpx_ne_u32_e32 0x80, v7
	s_cbranch_execz .LBB296_306
; %bb.301:                              ;   in Loop: Header=BB296_16 Depth=1
	v_and_b32_e32 v2, 0x7f, v7
	v_mov_b32_e32 v0, 0x7c010000
	s_mov_b32 s22, exec_lo
	scratch_store_b32 off, v0, s32 offset:460 ; 4-byte Folded Spill
	v_cmpx_ne_u32_e32 0x7f, v2
	s_cbranch_execz .LBB296_305
; %bb.302:                              ;   in Loop: Header=BB296_16 Depth=1
	v_and_b32_e32 v0, 7, v7
	v_lshrrev_b32_e32 v1, 3, v2
	s_mov_b32 s23, exec_lo
	v_cmpx_gt_u32_e32 8, v2
; %bb.303:                              ;   in Loop: Header=BB296_16 Depth=1
	s_delay_alu instid0(VALU_DEP_3) | instskip(NEXT) | instid1(VALU_DEP_1)
	v_clz_i32_u32_e32 v0, v0
	v_min_u32_e32 v2, 32, v0
	s_delay_alu instid0(VALU_DEP_1) | instskip(NEXT) | instid1(VALU_DEP_1)
	v_subrev_nc_u32_e32 v0, 28, v2
	v_lshlrev_b64_e32 v[0:1], v0, v[7:8]
	v_sub_nc_u32_e32 v1, 29, v2
	s_delay_alu instid0(VALU_DEP_2)
	v_and_b32_e32 v0, 7, v0
; %bb.304:                              ;   in Loop: Header=BB296_16 Depth=1
	s_wait_alu 0xfffe
	s_or_b32 exec_lo, exec_lo, s23
	v_lshlrev_b32_e32 v2, 8, v7
	v_lshl_add_u32 v1, v1, 10, 0x2000
	v_lshlrev_b32_e32 v0, 23, v0
	s_delay_alu instid0(VALU_DEP_2) | instskip(NEXT) | instid1(VALU_DEP_1)
	v_and_or_b32 v1, 0x8000, v2, v1
	v_lshl_or_b32 v0, v1, 16, v0
	scratch_store_b32 off, v0, s32 offset:460 ; 4-byte Folded Spill
.LBB296_305:                            ;   in Loop: Header=BB296_16 Depth=1
	s_wait_alu 0xfffe
	s_or_b32 exec_lo, exec_lo, s22
.LBB296_306:                            ;   in Loop: Header=BB296_16 Depth=1
	s_wait_alu 0xfffe
	s_or_b32 exec_lo, exec_lo, s21
.LBB296_307:                            ;   in Loop: Header=BB296_16 Depth=1
	s_wait_alu 0xfffe
	s_or_b32 exec_lo, exec_lo, s20
	v_dual_mov_b32 v7, v32 :: v_dual_and_b32 v0, 0xff, v32
	s_mov_b32 s20, exec_lo
	s_delay_alu instid0(VALU_DEP_1)
	v_cmpx_ne_u16_e32 0, v0
	s_cbranch_execz .LBB296_315
; %bb.308:                              ;   in Loop: Header=BB296_16 Depth=1
	v_cmp_ne_u16_e64 s1, 0x80, v0
	v_mov_b32_e32 v0, 0x8000
	scratch_store_b32 off, v0, s32 offset:456 ; 4-byte Folded Spill
	s_and_saveexec_b32 s21, s1
	s_cbranch_execz .LBB296_314
; %bb.309:                              ;   in Loop: Header=BB296_16 Depth=1
	v_and_b32_e32 v2, 0x7f, v32
	v_mov_b32_e32 v0, 0x7c01
	s_mov_b32 s22, exec_lo
	scratch_store_b32 off, v0, s32 offset:456 ; 4-byte Folded Spill
	v_cmpx_ne_u32_e32 0x7f, v2
	s_cbranch_execz .LBB296_313
; %bb.310:                              ;   in Loop: Header=BB296_16 Depth=1
	v_and_b32_e32 v0, 7, v32
	v_lshrrev_b32_e32 v1, 3, v2
	s_mov_b32 s23, exec_lo
	v_cmpx_gt_u32_e32 8, v2
; %bb.311:                              ;   in Loop: Header=BB296_16 Depth=1
	s_delay_alu instid0(VALU_DEP_3) | instskip(NEXT) | instid1(VALU_DEP_1)
	v_clz_i32_u32_e32 v0, v0
	v_min_u32_e32 v2, 32, v0
	s_delay_alu instid0(VALU_DEP_1) | instskip(NEXT) | instid1(VALU_DEP_1)
	v_subrev_nc_u32_e32 v0, 28, v2
	v_lshlrev_b64_e32 v[0:1], v0, v[7:8]
	v_sub_nc_u32_e32 v1, 29, v2
	s_delay_alu instid0(VALU_DEP_2)
	v_and_b32_e32 v0, 7, v0
; %bb.312:                              ;   in Loop: Header=BB296_16 Depth=1
	s_wait_alu 0xfffe
	s_or_b32 exec_lo, exec_lo, s23
	v_lshlrev_b32_e32 v2, 8, v32
	v_lshl_add_u32 v1, v1, 10, 0x2000
	v_lshlrev_b32_e32 v0, 7, v0
	s_delay_alu instid0(VALU_DEP_3) | instskip(NEXT) | instid1(VALU_DEP_3)
	v_and_b32_e32 v2, 0x8000, v2
	v_and_b32_e32 v1, 0xfc00, v1
	s_delay_alu instid0(VALU_DEP_1)
	v_or3_b32 v0, v2, v1, v0
	scratch_store_b32 off, v0, s32 offset:456 ; 4-byte Folded Spill
.LBB296_313:                            ;   in Loop: Header=BB296_16 Depth=1
	s_wait_alu 0xfffe
	s_or_b32 exec_lo, exec_lo, s22
.LBB296_314:                            ;   in Loop: Header=BB296_16 Depth=1
	s_wait_alu 0xfffe
	s_or_b32 exec_lo, exec_lo, s21
.LBB296_315:                            ;   in Loop: Header=BB296_16 Depth=1
	s_wait_alu 0xfffe
	s_or_b32 exec_lo, exec_lo, s20
	v_mov_b32_e32 v0, 0
	v_lshrrev_b16 v7, 8, v7
	s_mov_b32 s20, exec_lo
	scratch_store_b32 off, v0, s32 offset:464 ; 4-byte Folded Spill
	v_mov_b32_e32 v0, 0
	scratch_store_b32 off, v0, s32 offset:468 ; 4-byte Folded Spill
	v_cmpx_ne_u16_e32 0, v7
	s_cbranch_execz .LBB296_323
; %bb.316:                              ;   in Loop: Header=BB296_16 Depth=1
	v_bfrev_b32_e32 v0, 1
	s_mov_b32 s21, exec_lo
	scratch_store_b32 off, v0, s32 offset:468 ; 4-byte Folded Spill
	v_cmpx_ne_u16_e32 0x80, v7
	s_cbranch_execz .LBB296_322
; %bb.317:                              ;   in Loop: Header=BB296_16 Depth=1
	v_and_b32_e32 v0, 0xffff, v7
	v_mov_b32_e32 v1, 0x7c010000
	s_mov_b32 s22, exec_lo
	s_delay_alu instid0(VALU_DEP_2)
	v_and_b32_e32 v3, 0x7f, v0
	scratch_store_b32 off, v1, s32 offset:468 ; 4-byte Folded Spill
	v_cmpx_ne_u32_e32 0x7f, v3
	s_cbranch_execz .LBB296_321
; %bb.318:                              ;   in Loop: Header=BB296_16 Depth=1
	v_and_b32_e32 v1, 7, v0
	v_lshrrev_b32_e32 v2, 3, v3
	s_mov_b32 s23, exec_lo
	v_cmpx_gt_u32_e32 8, v3
; %bb.319:                              ;   in Loop: Header=BB296_16 Depth=1
	s_delay_alu instid0(VALU_DEP_3) | instskip(NEXT) | instid1(VALU_DEP_1)
	v_clz_i32_u32_e32 v1, v1
	v_min_u32_e32 v3, 32, v1
	s_delay_alu instid0(VALU_DEP_1) | instskip(NEXT) | instid1(VALU_DEP_1)
	v_subrev_nc_u32_e32 v1, 28, v3
	v_lshlrev_b64_e32 v[1:2], v1, v[7:8]
	v_sub_nc_u32_e32 v2, 29, v3
	s_delay_alu instid0(VALU_DEP_2)
	v_and_b32_e32 v1, 7, v1
; %bb.320:                              ;   in Loop: Header=BB296_16 Depth=1
	s_wait_alu 0xfffe
	s_or_b32 exec_lo, exec_lo, s23
	v_lshlrev_b32_e32 v0, 8, v0
	v_lshl_add_u32 v2, v2, 10, 0x2000
	v_lshlrev_b32_e32 v1, 23, v1
	s_delay_alu instid0(VALU_DEP_2) | instskip(NEXT) | instid1(VALU_DEP_1)
	v_and_or_b32 v0, 0x8000, v0, v2
	v_lshl_or_b32 v0, v0, 16, v1
	scratch_store_b32 off, v0, s32 offset:468 ; 4-byte Folded Spill
.LBB296_321:                            ;   in Loop: Header=BB296_16 Depth=1
	s_wait_alu 0xfffe
	s_or_b32 exec_lo, exec_lo, s22
.LBB296_322:                            ;   in Loop: Header=BB296_16 Depth=1
	s_wait_alu 0xfffe
	s_or_b32 exec_lo, exec_lo, s21
.LBB296_323:                            ;   in Loop: Header=BB296_16 Depth=1
	s_wait_alu 0xfffe
	s_or_b32 exec_lo, exec_lo, s20
	v_lshrrev_b32_e32 v7, 16, v32
	s_mov_b32 s20, exec_lo
	s_delay_alu instid0(VALU_DEP_1) | instskip(NEXT) | instid1(VALU_DEP_1)
	v_and_b32_e32 v0, 0xff, v7
	v_cmpx_ne_u16_e32 0, v0
	s_cbranch_execz .LBB296_331
; %bb.324:                              ;   in Loop: Header=BB296_16 Depth=1
	v_cmp_ne_u16_e64 s1, 0x80, v0
	v_mov_b32_e32 v0, 0x8000
	scratch_store_b32 off, v0, s32 offset:464 ; 4-byte Folded Spill
	s_and_saveexec_b32 s21, s1
	s_cbranch_execz .LBB296_330
; %bb.325:                              ;   in Loop: Header=BB296_16 Depth=1
	v_bfe_u32 v2, v32, 16, 7
	v_mov_b32_e32 v0, 0x7c01
	s_mov_b32 s22, exec_lo
	scratch_store_b32 off, v0, s32 offset:464 ; 4-byte Folded Spill
	v_cmpx_ne_u32_e32 0x7f, v2
	s_cbranch_execz .LBB296_329
; %bb.326:                              ;   in Loop: Header=BB296_16 Depth=1
	v_and_b32_e32 v0, 7, v7
	v_lshrrev_b32_e32 v1, 3, v2
	s_mov_b32 s23, exec_lo
	v_cmpx_gt_u32_e32 8, v2
; %bb.327:                              ;   in Loop: Header=BB296_16 Depth=1
	s_delay_alu instid0(VALU_DEP_3) | instskip(NEXT) | instid1(VALU_DEP_1)
	v_clz_i32_u32_e32 v0, v0
	v_min_u32_e32 v2, 32, v0
	s_delay_alu instid0(VALU_DEP_1) | instskip(NEXT) | instid1(VALU_DEP_1)
	v_subrev_nc_u32_e32 v0, 28, v2
	v_lshlrev_b64_e32 v[0:1], v0, v[7:8]
	v_sub_nc_u32_e32 v1, 29, v2
	s_delay_alu instid0(VALU_DEP_2)
	v_and_b32_e32 v0, 7, v0
; %bb.328:                              ;   in Loop: Header=BB296_16 Depth=1
	s_wait_alu 0xfffe
	s_or_b32 exec_lo, exec_lo, s23
	v_lshlrev_b32_e32 v2, 8, v7
	v_lshl_add_u32 v1, v1, 10, 0x2000
	v_lshlrev_b32_e32 v0, 7, v0
	s_delay_alu instid0(VALU_DEP_3) | instskip(NEXT) | instid1(VALU_DEP_3)
	v_and_b32_e32 v2, 0x8000, v2
	v_and_b32_e32 v1, 0xfc00, v1
	s_delay_alu instid0(VALU_DEP_1)
	v_or3_b32 v0, v2, v1, v0
	scratch_store_b32 off, v0, s32 offset:464 ; 4-byte Folded Spill
.LBB296_329:                            ;   in Loop: Header=BB296_16 Depth=1
	s_wait_alu 0xfffe
	s_or_b32 exec_lo, exec_lo, s22
.LBB296_330:                            ;   in Loop: Header=BB296_16 Depth=1
	s_wait_alu 0xfffe
	s_or_b32 exec_lo, exec_lo, s21
.LBB296_331:                            ;   in Loop: Header=BB296_16 Depth=1
	s_wait_alu 0xfffe
	s_or_b32 exec_lo, exec_lo, s20
	v_dual_mov_b32 v183, 0 :: v_dual_mov_b32 v0, 0
	s_mov_b32 s20, exec_lo
	scratch_store_b32 off, v0, s32 offset:648 ; 4-byte Folded Spill
	v_cmpx_lt_u64_e64 s[8:9], v[31:32]
	s_cbranch_execz .LBB296_339
; %bb.332:                              ;   in Loop: Header=BB296_16 Depth=1
	v_lshrrev_b32_e32 v7, 24, v32
	v_bfrev_b32_e32 v0, 1
	s_mov_b32 s21, exec_lo
	s_delay_alu instid0(VALU_DEP_2)
	v_cmpx_ne_u32_e32 0x80, v7
	s_cbranch_execz .LBB296_338
; %bb.333:                              ;   in Loop: Header=BB296_16 Depth=1
	v_and_b32_e32 v2, 0x7f, v7
	v_mov_b32_e32 v0, 0x7c010000
	s_mov_b32 s22, exec_lo
	s_delay_alu instid0(VALU_DEP_2)
	v_cmpx_ne_u32_e32 0x7f, v2
	s_cbranch_execz .LBB296_337
; %bb.334:                              ;   in Loop: Header=BB296_16 Depth=1
	v_and_b32_e32 v0, 7, v7
	v_lshrrev_b32_e32 v1, 3, v2
	s_mov_b32 s23, exec_lo
	v_cmpx_gt_u32_e32 8, v2
; %bb.335:                              ;   in Loop: Header=BB296_16 Depth=1
	s_delay_alu instid0(VALU_DEP_3) | instskip(NEXT) | instid1(VALU_DEP_1)
	v_clz_i32_u32_e32 v0, v0
	v_min_u32_e32 v2, 32, v0
	s_delay_alu instid0(VALU_DEP_1) | instskip(NEXT) | instid1(VALU_DEP_1)
	v_subrev_nc_u32_e32 v0, 28, v2
	v_lshlrev_b64_e32 v[0:1], v0, v[7:8]
	v_sub_nc_u32_e32 v1, 29, v2
	s_delay_alu instid0(VALU_DEP_2)
	v_and_b32_e32 v0, 7, v0
; %bb.336:                              ;   in Loop: Header=BB296_16 Depth=1
	s_wait_alu 0xfffe
	s_or_b32 exec_lo, exec_lo, s23
	v_lshlrev_b32_e32 v2, 8, v7
	v_lshl_add_u32 v1, v1, 10, 0x2000
	v_lshlrev_b32_e32 v0, 23, v0
	s_delay_alu instid0(VALU_DEP_2) | instskip(NEXT) | instid1(VALU_DEP_1)
	v_and_or_b32 v1, 0x8000, v2, v1
	v_lshl_or_b32 v0, v1, 16, v0
.LBB296_337:                            ;   in Loop: Header=BB296_16 Depth=1
	s_wait_alu 0xfffe
	s_or_b32 exec_lo, exec_lo, s22
.LBB296_338:                            ;   in Loop: Header=BB296_16 Depth=1
	s_wait_alu 0xfffe
	s_or_b32 exec_lo, exec_lo, s21
	scratch_store_b32 off, v0, s32 offset:648 ; 4-byte Folded Spill
.LBB296_339:                            ;   in Loop: Header=BB296_16 Depth=1
	s_wait_alu 0xfffe
	s_or_b32 exec_lo, exec_lo, s20
	flat_load_b64 v[31:32], v[28:29] offset:1032
	s_mov_b32 s20, exec_lo
	s_wait_loadcnt_dscnt 0x0
	v_and_b32_e32 v0, 0xff, v31
	s_delay_alu instid0(VALU_DEP_1)
	v_cmpx_ne_u16_e32 0, v0
	s_cbranch_execz .LBB296_347
; %bb.340:                              ;   in Loop: Header=BB296_16 Depth=1
	v_mov_b32_e32 v183, 0x8000
	s_mov_b32 s21, exec_lo
	v_cmpx_ne_u16_e32 0x80, v0
	s_cbranch_execz .LBB296_346
; %bb.341:                              ;   in Loop: Header=BB296_16 Depth=1
	v_and_b32_e32 v2, 0x7f, v31
	v_mov_b32_e32 v183, 0x7c01
	s_mov_b32 s22, exec_lo
	s_delay_alu instid0(VALU_DEP_2)
	v_cmpx_ne_u32_e32 0x7f, v2
	s_cbranch_execz .LBB296_345
; %bb.342:                              ;   in Loop: Header=BB296_16 Depth=1
	v_and_b32_e32 v0, 7, v31
	v_lshrrev_b32_e32 v1, 3, v2
	s_mov_b32 s23, exec_lo
	v_cmpx_gt_u32_e32 8, v2
; %bb.343:                              ;   in Loop: Header=BB296_16 Depth=1
	s_delay_alu instid0(VALU_DEP_3) | instskip(NEXT) | instid1(VALU_DEP_1)
	v_clz_i32_u32_e32 v0, v0
	v_min_u32_e32 v2, 32, v0
	s_delay_alu instid0(VALU_DEP_1) | instskip(NEXT) | instid1(VALU_DEP_1)
	v_subrev_nc_u32_e32 v0, 28, v2
	v_lshlrev_b64_e32 v[0:1], v0, v[31:32]
	v_sub_nc_u32_e32 v1, 29, v2
	s_delay_alu instid0(VALU_DEP_2)
	v_and_b32_e32 v0, 7, v0
; %bb.344:                              ;   in Loop: Header=BB296_16 Depth=1
	s_wait_alu 0xfffe
	s_or_b32 exec_lo, exec_lo, s23
	v_lshlrev_b32_e32 v2, 8, v31
	v_lshl_add_u32 v1, v1, 10, 0x2000
	v_lshlrev_b32_e32 v0, 7, v0
	s_delay_alu instid0(VALU_DEP_3) | instskip(NEXT) | instid1(VALU_DEP_3)
	v_and_b32_e32 v2, 0x8000, v2
	v_and_b32_e32 v1, 0xfc00, v1
	s_delay_alu instid0(VALU_DEP_1)
	v_or3_b32 v183, v2, v1, v0
.LBB296_345:                            ;   in Loop: Header=BB296_16 Depth=1
	s_wait_alu 0xfffe
	s_or_b32 exec_lo, exec_lo, s22
.LBB296_346:                            ;   in Loop: Header=BB296_16 Depth=1
	s_wait_alu 0xfffe
	s_or_b32 exec_lo, exec_lo, s21
.LBB296_347:                            ;   in Loop: Header=BB296_16 Depth=1
	s_wait_alu 0xfffe
	s_or_b32 exec_lo, exec_lo, s20
	v_mov_b32_e32 v0, 0
	v_lshrrev_b16 v7, 8, v31
	s_mov_b32 s20, exec_lo
	scratch_store_b32 off, v0, s32 offset:476 ; 4-byte Folded Spill
	v_mov_b32_e32 v0, 0
	scratch_store_b32 off, v0, s32 offset:472 ; 4-byte Folded Spill
	v_cmpx_ne_u16_e32 0, v7
	s_cbranch_execz .LBB296_355
; %bb.348:                              ;   in Loop: Header=BB296_16 Depth=1
	v_bfrev_b32_e32 v0, 1
	s_mov_b32 s21, exec_lo
	scratch_store_b32 off, v0, s32 offset:472 ; 4-byte Folded Spill
	v_cmpx_ne_u16_e32 0x80, v7
	s_cbranch_execz .LBB296_354
; %bb.349:                              ;   in Loop: Header=BB296_16 Depth=1
	v_and_b32_e32 v0, 0xffff, v7
	v_mov_b32_e32 v1, 0x7c010000
	s_mov_b32 s22, exec_lo
	s_delay_alu instid0(VALU_DEP_2)
	v_and_b32_e32 v3, 0x7f, v0
	scratch_store_b32 off, v1, s32 offset:472 ; 4-byte Folded Spill
	v_cmpx_ne_u32_e32 0x7f, v3
	s_cbranch_execz .LBB296_353
; %bb.350:                              ;   in Loop: Header=BB296_16 Depth=1
	v_and_b32_e32 v1, 7, v0
	v_lshrrev_b32_e32 v2, 3, v3
	s_mov_b32 s23, exec_lo
	v_cmpx_gt_u32_e32 8, v3
; %bb.351:                              ;   in Loop: Header=BB296_16 Depth=1
	s_delay_alu instid0(VALU_DEP_3) | instskip(NEXT) | instid1(VALU_DEP_1)
	v_clz_i32_u32_e32 v1, v1
	v_min_u32_e32 v3, 32, v1
	s_delay_alu instid0(VALU_DEP_1) | instskip(NEXT) | instid1(VALU_DEP_1)
	v_subrev_nc_u32_e32 v1, 28, v3
	v_lshlrev_b64_e32 v[1:2], v1, v[7:8]
	v_sub_nc_u32_e32 v2, 29, v3
	s_delay_alu instid0(VALU_DEP_2)
	v_and_b32_e32 v1, 7, v1
; %bb.352:                              ;   in Loop: Header=BB296_16 Depth=1
	s_wait_alu 0xfffe
	s_or_b32 exec_lo, exec_lo, s23
	v_lshlrev_b32_e32 v0, 8, v0
	v_lshl_add_u32 v2, v2, 10, 0x2000
	v_lshlrev_b32_e32 v1, 23, v1
	s_delay_alu instid0(VALU_DEP_2) | instskip(NEXT) | instid1(VALU_DEP_1)
	v_and_or_b32 v0, 0x8000, v0, v2
	v_lshl_or_b32 v0, v0, 16, v1
	scratch_store_b32 off, v0, s32 offset:472 ; 4-byte Folded Spill
.LBB296_353:                            ;   in Loop: Header=BB296_16 Depth=1
	s_wait_alu 0xfffe
	s_or_b32 exec_lo, exec_lo, s22
.LBB296_354:                            ;   in Loop: Header=BB296_16 Depth=1
	s_wait_alu 0xfffe
	s_or_b32 exec_lo, exec_lo, s21
.LBB296_355:                            ;   in Loop: Header=BB296_16 Depth=1
	s_wait_alu 0xfffe
	s_or_b32 exec_lo, exec_lo, s20
	v_lshrrev_b32_e32 v7, 16, v31
	s_mov_b32 s20, exec_lo
	s_delay_alu instid0(VALU_DEP_1) | instskip(NEXT) | instid1(VALU_DEP_1)
	v_and_b32_e32 v0, 0xff, v7
	v_cmpx_ne_u16_e32 0, v0
	s_cbranch_execz .LBB296_363
; %bb.356:                              ;   in Loop: Header=BB296_16 Depth=1
	v_cmp_ne_u16_e64 s1, 0x80, v0
	v_mov_b32_e32 v0, 0x8000
	scratch_store_b32 off, v0, s32 offset:476 ; 4-byte Folded Spill
	s_and_saveexec_b32 s21, s1
	s_cbranch_execz .LBB296_362
; %bb.357:                              ;   in Loop: Header=BB296_16 Depth=1
	v_bfe_u32 v2, v31, 16, 7
	v_mov_b32_e32 v0, 0x7c01
	s_mov_b32 s22, exec_lo
	scratch_store_b32 off, v0, s32 offset:476 ; 4-byte Folded Spill
	v_cmpx_ne_u32_e32 0x7f, v2
	s_cbranch_execz .LBB296_361
; %bb.358:                              ;   in Loop: Header=BB296_16 Depth=1
	v_and_b32_e32 v0, 7, v7
	v_lshrrev_b32_e32 v1, 3, v2
	s_mov_b32 s23, exec_lo
	v_cmpx_gt_u32_e32 8, v2
; %bb.359:                              ;   in Loop: Header=BB296_16 Depth=1
	s_delay_alu instid0(VALU_DEP_3) | instskip(NEXT) | instid1(VALU_DEP_1)
	v_clz_i32_u32_e32 v0, v0
	v_min_u32_e32 v2, 32, v0
	s_delay_alu instid0(VALU_DEP_1) | instskip(NEXT) | instid1(VALU_DEP_1)
	v_subrev_nc_u32_e32 v0, 28, v2
	v_lshlrev_b64_e32 v[0:1], v0, v[7:8]
	v_sub_nc_u32_e32 v1, 29, v2
	s_delay_alu instid0(VALU_DEP_2)
	v_and_b32_e32 v0, 7, v0
; %bb.360:                              ;   in Loop: Header=BB296_16 Depth=1
	s_wait_alu 0xfffe
	s_or_b32 exec_lo, exec_lo, s23
	v_lshlrev_b32_e32 v2, 8, v7
	v_lshl_add_u32 v1, v1, 10, 0x2000
	v_lshlrev_b32_e32 v0, 7, v0
	s_delay_alu instid0(VALU_DEP_3) | instskip(NEXT) | instid1(VALU_DEP_3)
	v_and_b32_e32 v2, 0x8000, v2
	v_and_b32_e32 v1, 0xfc00, v1
	s_delay_alu instid0(VALU_DEP_1)
	v_or3_b32 v0, v2, v1, v0
	scratch_store_b32 off, v0, s32 offset:476 ; 4-byte Folded Spill
.LBB296_361:                            ;   in Loop: Header=BB296_16 Depth=1
	s_wait_alu 0xfffe
	s_or_b32 exec_lo, exec_lo, s22
.LBB296_362:                            ;   in Loop: Header=BB296_16 Depth=1
	s_wait_alu 0xfffe
	s_or_b32 exec_lo, exec_lo, s21
.LBB296_363:                            ;   in Loop: Header=BB296_16 Depth=1
	s_wait_alu 0xfffe
	s_or_b32 exec_lo, exec_lo, s20
	v_mov_b32_e32 v0, 0
	s_mov_b32 s20, exec_lo
	scratch_store_b32 off, v0, s32 offset:480 ; 4-byte Folded Spill
	v_mov_b32_e32 v0, 0
	scratch_store_b32 off, v0, s32 offset:484 ; 4-byte Folded Spill
	v_cmpx_lt_u32_e32 0xffffff, v31
	s_cbranch_execz .LBB296_371
; %bb.364:                              ;   in Loop: Header=BB296_16 Depth=1
	v_lshrrev_b32_e32 v7, 24, v31
	v_bfrev_b32_e32 v0, 1
	s_mov_b32 s21, exec_lo
	scratch_store_b32 off, v0, s32 offset:484 ; 4-byte Folded Spill
	v_cmpx_ne_u32_e32 0x80, v7
	s_cbranch_execz .LBB296_370
; %bb.365:                              ;   in Loop: Header=BB296_16 Depth=1
	v_and_b32_e32 v2, 0x7f, v7
	v_mov_b32_e32 v0, 0x7c010000
	s_mov_b32 s22, exec_lo
	scratch_store_b32 off, v0, s32 offset:484 ; 4-byte Folded Spill
	v_cmpx_ne_u32_e32 0x7f, v2
	s_cbranch_execz .LBB296_369
; %bb.366:                              ;   in Loop: Header=BB296_16 Depth=1
	v_and_b32_e32 v0, 7, v7
	v_lshrrev_b32_e32 v1, 3, v2
	s_mov_b32 s23, exec_lo
	v_cmpx_gt_u32_e32 8, v2
; %bb.367:                              ;   in Loop: Header=BB296_16 Depth=1
	s_delay_alu instid0(VALU_DEP_3) | instskip(NEXT) | instid1(VALU_DEP_1)
	v_clz_i32_u32_e32 v0, v0
	v_min_u32_e32 v2, 32, v0
	s_delay_alu instid0(VALU_DEP_1) | instskip(NEXT) | instid1(VALU_DEP_1)
	v_subrev_nc_u32_e32 v0, 28, v2
	v_lshlrev_b64_e32 v[0:1], v0, v[7:8]
	v_sub_nc_u32_e32 v1, 29, v2
	s_delay_alu instid0(VALU_DEP_2)
	v_and_b32_e32 v0, 7, v0
; %bb.368:                              ;   in Loop: Header=BB296_16 Depth=1
	s_wait_alu 0xfffe
	s_or_b32 exec_lo, exec_lo, s23
	v_lshlrev_b32_e32 v2, 8, v7
	v_lshl_add_u32 v1, v1, 10, 0x2000
	v_lshlrev_b32_e32 v0, 23, v0
	s_delay_alu instid0(VALU_DEP_2) | instskip(NEXT) | instid1(VALU_DEP_1)
	v_and_or_b32 v1, 0x8000, v2, v1
	v_lshl_or_b32 v0, v1, 16, v0
	scratch_store_b32 off, v0, s32 offset:484 ; 4-byte Folded Spill
.LBB296_369:                            ;   in Loop: Header=BB296_16 Depth=1
	s_wait_alu 0xfffe
	s_or_b32 exec_lo, exec_lo, s22
.LBB296_370:                            ;   in Loop: Header=BB296_16 Depth=1
	s_wait_alu 0xfffe
	s_or_b32 exec_lo, exec_lo, s21
.LBB296_371:                            ;   in Loop: Header=BB296_16 Depth=1
	s_wait_alu 0xfffe
	s_or_b32 exec_lo, exec_lo, s20
	v_dual_mov_b32 v7, v32 :: v_dual_and_b32 v0, 0xff, v32
	s_mov_b32 s20, exec_lo
	s_delay_alu instid0(VALU_DEP_1)
	v_cmpx_ne_u16_e32 0, v0
	s_cbranch_execz .LBB296_379
; %bb.372:                              ;   in Loop: Header=BB296_16 Depth=1
	v_cmp_ne_u16_e64 s1, 0x80, v0
	v_mov_b32_e32 v0, 0x8000
	scratch_store_b32 off, v0, s32 offset:480 ; 4-byte Folded Spill
	s_and_saveexec_b32 s21, s1
	s_cbranch_execz .LBB296_378
; %bb.373:                              ;   in Loop: Header=BB296_16 Depth=1
	v_and_b32_e32 v2, 0x7f, v32
	v_mov_b32_e32 v0, 0x7c01
	s_mov_b32 s22, exec_lo
	scratch_store_b32 off, v0, s32 offset:480 ; 4-byte Folded Spill
	v_cmpx_ne_u32_e32 0x7f, v2
	s_cbranch_execz .LBB296_377
; %bb.374:                              ;   in Loop: Header=BB296_16 Depth=1
	v_and_b32_e32 v0, 7, v32
	v_lshrrev_b32_e32 v1, 3, v2
	s_mov_b32 s23, exec_lo
	v_cmpx_gt_u32_e32 8, v2
; %bb.375:                              ;   in Loop: Header=BB296_16 Depth=1
	s_delay_alu instid0(VALU_DEP_3) | instskip(NEXT) | instid1(VALU_DEP_1)
	v_clz_i32_u32_e32 v0, v0
	v_min_u32_e32 v2, 32, v0
	s_delay_alu instid0(VALU_DEP_1) | instskip(NEXT) | instid1(VALU_DEP_1)
	v_subrev_nc_u32_e32 v0, 28, v2
	v_lshlrev_b64_e32 v[0:1], v0, v[7:8]
	v_sub_nc_u32_e32 v1, 29, v2
	s_delay_alu instid0(VALU_DEP_2)
	v_and_b32_e32 v0, 7, v0
; %bb.376:                              ;   in Loop: Header=BB296_16 Depth=1
	s_wait_alu 0xfffe
	s_or_b32 exec_lo, exec_lo, s23
	v_lshlrev_b32_e32 v2, 8, v32
	v_lshl_add_u32 v1, v1, 10, 0x2000
	v_lshlrev_b32_e32 v0, 7, v0
	s_delay_alu instid0(VALU_DEP_3) | instskip(NEXT) | instid1(VALU_DEP_3)
	v_and_b32_e32 v2, 0x8000, v2
	v_and_b32_e32 v1, 0xfc00, v1
	s_delay_alu instid0(VALU_DEP_1)
	v_or3_b32 v0, v2, v1, v0
	scratch_store_b32 off, v0, s32 offset:480 ; 4-byte Folded Spill
.LBB296_377:                            ;   in Loop: Header=BB296_16 Depth=1
	s_wait_alu 0xfffe
	s_or_b32 exec_lo, exec_lo, s22
.LBB296_378:                            ;   in Loop: Header=BB296_16 Depth=1
	s_wait_alu 0xfffe
	s_or_b32 exec_lo, exec_lo, s21
.LBB296_379:                            ;   in Loop: Header=BB296_16 Depth=1
	s_wait_alu 0xfffe
	s_or_b32 exec_lo, exec_lo, s20
	v_mov_b32_e32 v0, 0
	v_lshrrev_b16 v7, 8, v7
	s_mov_b32 s20, exec_lo
	scratch_store_b32 off, v0, s32 offset:488 ; 4-byte Folded Spill
	v_mov_b32_e32 v0, 0
	scratch_store_b32 off, v0, s32 offset:492 ; 4-byte Folded Spill
	v_cmpx_ne_u16_e32 0, v7
	s_cbranch_execz .LBB296_387
; %bb.380:                              ;   in Loop: Header=BB296_16 Depth=1
	v_bfrev_b32_e32 v0, 1
	s_mov_b32 s21, exec_lo
	scratch_store_b32 off, v0, s32 offset:492 ; 4-byte Folded Spill
	v_cmpx_ne_u16_e32 0x80, v7
	s_cbranch_execz .LBB296_386
; %bb.381:                              ;   in Loop: Header=BB296_16 Depth=1
	v_and_b32_e32 v0, 0xffff, v7
	v_mov_b32_e32 v1, 0x7c010000
	s_mov_b32 s22, exec_lo
	s_delay_alu instid0(VALU_DEP_2)
	v_and_b32_e32 v3, 0x7f, v0
	scratch_store_b32 off, v1, s32 offset:492 ; 4-byte Folded Spill
	v_cmpx_ne_u32_e32 0x7f, v3
	s_cbranch_execz .LBB296_385
; %bb.382:                              ;   in Loop: Header=BB296_16 Depth=1
	v_and_b32_e32 v1, 7, v0
	v_lshrrev_b32_e32 v2, 3, v3
	s_mov_b32 s23, exec_lo
	v_cmpx_gt_u32_e32 8, v3
; %bb.383:                              ;   in Loop: Header=BB296_16 Depth=1
	s_delay_alu instid0(VALU_DEP_3) | instskip(NEXT) | instid1(VALU_DEP_1)
	v_clz_i32_u32_e32 v1, v1
	v_min_u32_e32 v3, 32, v1
	s_delay_alu instid0(VALU_DEP_1) | instskip(NEXT) | instid1(VALU_DEP_1)
	v_subrev_nc_u32_e32 v1, 28, v3
	v_lshlrev_b64_e32 v[1:2], v1, v[7:8]
	v_sub_nc_u32_e32 v2, 29, v3
	s_delay_alu instid0(VALU_DEP_2)
	v_and_b32_e32 v1, 7, v1
; %bb.384:                              ;   in Loop: Header=BB296_16 Depth=1
	s_wait_alu 0xfffe
	s_or_b32 exec_lo, exec_lo, s23
	v_lshlrev_b32_e32 v0, 8, v0
	v_lshl_add_u32 v2, v2, 10, 0x2000
	v_lshlrev_b32_e32 v1, 23, v1
	s_delay_alu instid0(VALU_DEP_2) | instskip(NEXT) | instid1(VALU_DEP_1)
	v_and_or_b32 v0, 0x8000, v0, v2
	v_lshl_or_b32 v0, v0, 16, v1
	scratch_store_b32 off, v0, s32 offset:492 ; 4-byte Folded Spill
.LBB296_385:                            ;   in Loop: Header=BB296_16 Depth=1
	s_wait_alu 0xfffe
	s_or_b32 exec_lo, exec_lo, s22
.LBB296_386:                            ;   in Loop: Header=BB296_16 Depth=1
	s_wait_alu 0xfffe
	s_or_b32 exec_lo, exec_lo, s21
.LBB296_387:                            ;   in Loop: Header=BB296_16 Depth=1
	s_wait_alu 0xfffe
	s_or_b32 exec_lo, exec_lo, s20
	v_lshrrev_b32_e32 v7, 16, v32
	s_mov_b32 s20, exec_lo
	s_delay_alu instid0(VALU_DEP_1) | instskip(NEXT) | instid1(VALU_DEP_1)
	v_and_b32_e32 v0, 0xff, v7
	v_cmpx_ne_u16_e32 0, v0
	s_cbranch_execz .LBB296_395
; %bb.388:                              ;   in Loop: Header=BB296_16 Depth=1
	v_cmp_ne_u16_e64 s1, 0x80, v0
	v_mov_b32_e32 v0, 0x8000
	scratch_store_b32 off, v0, s32 offset:488 ; 4-byte Folded Spill
	s_and_saveexec_b32 s21, s1
	s_cbranch_execz .LBB296_394
; %bb.389:                              ;   in Loop: Header=BB296_16 Depth=1
	v_bfe_u32 v2, v32, 16, 7
	v_mov_b32_e32 v0, 0x7c01
	s_mov_b32 s22, exec_lo
	scratch_store_b32 off, v0, s32 offset:488 ; 4-byte Folded Spill
	v_cmpx_ne_u32_e32 0x7f, v2
	s_cbranch_execz .LBB296_393
; %bb.390:                              ;   in Loop: Header=BB296_16 Depth=1
	v_and_b32_e32 v0, 7, v7
	v_lshrrev_b32_e32 v1, 3, v2
	s_mov_b32 s23, exec_lo
	v_cmpx_gt_u32_e32 8, v2
; %bb.391:                              ;   in Loop: Header=BB296_16 Depth=1
	s_delay_alu instid0(VALU_DEP_3) | instskip(NEXT) | instid1(VALU_DEP_1)
	v_clz_i32_u32_e32 v0, v0
	v_min_u32_e32 v2, 32, v0
	s_delay_alu instid0(VALU_DEP_1) | instskip(NEXT) | instid1(VALU_DEP_1)
	v_subrev_nc_u32_e32 v0, 28, v2
	v_lshlrev_b64_e32 v[0:1], v0, v[7:8]
	v_sub_nc_u32_e32 v1, 29, v2
	s_delay_alu instid0(VALU_DEP_2)
	v_and_b32_e32 v0, 7, v0
; %bb.392:                              ;   in Loop: Header=BB296_16 Depth=1
	s_wait_alu 0xfffe
	s_or_b32 exec_lo, exec_lo, s23
	v_lshlrev_b32_e32 v2, 8, v7
	v_lshl_add_u32 v1, v1, 10, 0x2000
	v_lshlrev_b32_e32 v0, 7, v0
	s_delay_alu instid0(VALU_DEP_3) | instskip(NEXT) | instid1(VALU_DEP_3)
	v_and_b32_e32 v2, 0x8000, v2
	v_and_b32_e32 v1, 0xfc00, v1
	s_delay_alu instid0(VALU_DEP_1)
	v_or3_b32 v0, v2, v1, v0
	scratch_store_b32 off, v0, s32 offset:488 ; 4-byte Folded Spill
.LBB296_393:                            ;   in Loop: Header=BB296_16 Depth=1
	s_wait_alu 0xfffe
	s_or_b32 exec_lo, exec_lo, s22
.LBB296_394:                            ;   in Loop: Header=BB296_16 Depth=1
	s_wait_alu 0xfffe
	s_or_b32 exec_lo, exec_lo, s21
.LBB296_395:                            ;   in Loop: Header=BB296_16 Depth=1
	s_wait_alu 0xfffe
	s_or_b32 exec_lo, exec_lo, s20
	v_mov_b32_e32 v182, 0
	v_mov_b32_e32 v0, 0
	s_mov_b32 s20, exec_lo
	scratch_store_b32 off, v0, s32 offset:652 ; 4-byte Folded Spill
	v_cmpx_lt_u64_e64 s[8:9], v[31:32]
	s_cbranch_execz .LBB296_403
; %bb.396:                              ;   in Loop: Header=BB296_16 Depth=1
	v_lshrrev_b32_e32 v7, 24, v32
	v_bfrev_b32_e32 v0, 1
	s_mov_b32 s21, exec_lo
	s_delay_alu instid0(VALU_DEP_2)
	v_cmpx_ne_u32_e32 0x80, v7
	s_cbranch_execz .LBB296_402
; %bb.397:                              ;   in Loop: Header=BB296_16 Depth=1
	v_and_b32_e32 v2, 0x7f, v7
	v_mov_b32_e32 v0, 0x7c010000
	s_mov_b32 s22, exec_lo
	s_delay_alu instid0(VALU_DEP_2)
	v_cmpx_ne_u32_e32 0x7f, v2
	s_cbranch_execz .LBB296_401
; %bb.398:                              ;   in Loop: Header=BB296_16 Depth=1
	v_and_b32_e32 v0, 7, v7
	v_lshrrev_b32_e32 v1, 3, v2
	s_mov_b32 s23, exec_lo
	v_cmpx_gt_u32_e32 8, v2
; %bb.399:                              ;   in Loop: Header=BB296_16 Depth=1
	s_delay_alu instid0(VALU_DEP_3) | instskip(NEXT) | instid1(VALU_DEP_1)
	v_clz_i32_u32_e32 v0, v0
	v_min_u32_e32 v2, 32, v0
	s_delay_alu instid0(VALU_DEP_1) | instskip(NEXT) | instid1(VALU_DEP_1)
	v_subrev_nc_u32_e32 v0, 28, v2
	v_lshlrev_b64_e32 v[0:1], v0, v[7:8]
	v_sub_nc_u32_e32 v1, 29, v2
	s_delay_alu instid0(VALU_DEP_2)
	v_and_b32_e32 v0, 7, v0
; %bb.400:                              ;   in Loop: Header=BB296_16 Depth=1
	s_wait_alu 0xfffe
	s_or_b32 exec_lo, exec_lo, s23
	v_lshlrev_b32_e32 v2, 8, v7
	v_lshl_add_u32 v1, v1, 10, 0x2000
	v_lshlrev_b32_e32 v0, 23, v0
	s_delay_alu instid0(VALU_DEP_2) | instskip(NEXT) | instid1(VALU_DEP_1)
	v_and_or_b32 v1, 0x8000, v2, v1
	v_lshl_or_b32 v0, v1, 16, v0
.LBB296_401:                            ;   in Loop: Header=BB296_16 Depth=1
	s_wait_alu 0xfffe
	s_or_b32 exec_lo, exec_lo, s22
.LBB296_402:                            ;   in Loop: Header=BB296_16 Depth=1
	s_wait_alu 0xfffe
	s_or_b32 exec_lo, exec_lo, s21
	scratch_store_b32 off, v0, s32 offset:652 ; 4-byte Folded Spill
.LBB296_403:                            ;   in Loop: Header=BB296_16 Depth=1
	s_wait_alu 0xfffe
	s_or_b32 exec_lo, exec_lo, s20
	flat_load_b64 v[31:32], v[28:29] offset:1536
	s_mov_b32 s20, exec_lo
	s_wait_loadcnt_dscnt 0x0
	v_and_b32_e32 v0, 0xff, v31
	s_delay_alu instid0(VALU_DEP_1)
	v_cmpx_ne_u16_e32 0, v0
	s_cbranch_execz .LBB296_411
; %bb.404:                              ;   in Loop: Header=BB296_16 Depth=1
	v_mov_b32_e32 v182, 0x8000
	s_mov_b32 s21, exec_lo
	v_cmpx_ne_u16_e32 0x80, v0
	s_cbranch_execz .LBB296_410
; %bb.405:                              ;   in Loop: Header=BB296_16 Depth=1
	v_and_b32_e32 v2, 0x7f, v31
	v_mov_b32_e32 v182, 0x7c01
	s_mov_b32 s22, exec_lo
	s_delay_alu instid0(VALU_DEP_2)
	v_cmpx_ne_u32_e32 0x7f, v2
	s_cbranch_execz .LBB296_409
; %bb.406:                              ;   in Loop: Header=BB296_16 Depth=1
	v_and_b32_e32 v0, 7, v31
	v_lshrrev_b32_e32 v1, 3, v2
	s_mov_b32 s23, exec_lo
	v_cmpx_gt_u32_e32 8, v2
; %bb.407:                              ;   in Loop: Header=BB296_16 Depth=1
	s_delay_alu instid0(VALU_DEP_3) | instskip(NEXT) | instid1(VALU_DEP_1)
	v_clz_i32_u32_e32 v0, v0
	v_min_u32_e32 v2, 32, v0
	s_delay_alu instid0(VALU_DEP_1) | instskip(NEXT) | instid1(VALU_DEP_1)
	v_subrev_nc_u32_e32 v0, 28, v2
	v_lshlrev_b64_e32 v[0:1], v0, v[31:32]
	v_sub_nc_u32_e32 v1, 29, v2
	s_delay_alu instid0(VALU_DEP_2)
	v_and_b32_e32 v0, 7, v0
; %bb.408:                              ;   in Loop: Header=BB296_16 Depth=1
	s_wait_alu 0xfffe
	s_or_b32 exec_lo, exec_lo, s23
	v_lshlrev_b32_e32 v2, 8, v31
	v_lshl_add_u32 v1, v1, 10, 0x2000
	v_lshlrev_b32_e32 v0, 7, v0
	s_delay_alu instid0(VALU_DEP_3) | instskip(NEXT) | instid1(VALU_DEP_3)
	v_and_b32_e32 v2, 0x8000, v2
	v_and_b32_e32 v1, 0xfc00, v1
	s_delay_alu instid0(VALU_DEP_1)
	v_or3_b32 v182, v2, v1, v0
.LBB296_409:                            ;   in Loop: Header=BB296_16 Depth=1
	s_wait_alu 0xfffe
	s_or_b32 exec_lo, exec_lo, s22
.LBB296_410:                            ;   in Loop: Header=BB296_16 Depth=1
	s_wait_alu 0xfffe
	s_or_b32 exec_lo, exec_lo, s21
.LBB296_411:                            ;   in Loop: Header=BB296_16 Depth=1
	s_wait_alu 0xfffe
	s_or_b32 exec_lo, exec_lo, s20
	v_lshrrev_b16 v7, 8, v31
	v_dual_mov_b32 v0, 0 :: v_dual_mov_b32 v157, 0
	s_mov_b32 s20, exec_lo
	scratch_store_b32 off, v0, s32 offset:616 ; 4-byte Folded Spill
	v_cmpx_ne_u16_e32 0, v7
	s_cbranch_execz .LBB296_419
; %bb.412:                              ;   in Loop: Header=BB296_16 Depth=1
	v_bfrev_b32_e32 v157, 1
	s_mov_b32 s21, exec_lo
	v_cmpx_ne_u16_e32 0x80, v7
	s_cbranch_execz .LBB296_418
; %bb.413:                              ;   in Loop: Header=BB296_16 Depth=1
	v_and_b32_e32 v0, 0xffff, v7
	v_mov_b32_e32 v157, 0x7c010000
	s_mov_b32 s22, exec_lo
	s_delay_alu instid0(VALU_DEP_2) | instskip(NEXT) | instid1(VALU_DEP_1)
	v_and_b32_e32 v3, 0x7f, v0
	v_cmpx_ne_u32_e32 0x7f, v3
	s_cbranch_execz .LBB296_417
; %bb.414:                              ;   in Loop: Header=BB296_16 Depth=1
	v_and_b32_e32 v1, 7, v0
	v_lshrrev_b32_e32 v2, 3, v3
	s_mov_b32 s23, exec_lo
	v_cmpx_gt_u32_e32 8, v3
; %bb.415:                              ;   in Loop: Header=BB296_16 Depth=1
	s_delay_alu instid0(VALU_DEP_3) | instskip(NEXT) | instid1(VALU_DEP_1)
	v_clz_i32_u32_e32 v1, v1
	v_min_u32_e32 v3, 32, v1
	s_delay_alu instid0(VALU_DEP_1) | instskip(NEXT) | instid1(VALU_DEP_1)
	v_subrev_nc_u32_e32 v1, 28, v3
	v_lshlrev_b64_e32 v[1:2], v1, v[7:8]
	v_sub_nc_u32_e32 v2, 29, v3
	s_delay_alu instid0(VALU_DEP_2)
	v_and_b32_e32 v1, 7, v1
; %bb.416:                              ;   in Loop: Header=BB296_16 Depth=1
	s_wait_alu 0xfffe
	s_or_b32 exec_lo, exec_lo, s23
	v_lshlrev_b32_e32 v0, 8, v0
	v_lshl_add_u32 v2, v2, 10, 0x2000
	v_lshlrev_b32_e32 v1, 23, v1
	s_delay_alu instid0(VALU_DEP_2) | instskip(NEXT) | instid1(VALU_DEP_1)
	v_and_or_b32 v0, 0x8000, v0, v2
	v_lshl_or_b32 v157, v0, 16, v1
.LBB296_417:                            ;   in Loop: Header=BB296_16 Depth=1
	s_wait_alu 0xfffe
	s_or_b32 exec_lo, exec_lo, s22
.LBB296_418:                            ;   in Loop: Header=BB296_16 Depth=1
	s_wait_alu 0xfffe
	s_or_b32 exec_lo, exec_lo, s21
.LBB296_419:                            ;   in Loop: Header=BB296_16 Depth=1
	s_wait_alu 0xfffe
	s_or_b32 exec_lo, exec_lo, s20
	v_lshrrev_b32_e32 v7, 16, v31
	s_mov_b32 s20, exec_lo
	s_delay_alu instid0(VALU_DEP_1) | instskip(NEXT) | instid1(VALU_DEP_1)
	v_and_b32_e32 v0, 0xff, v7
	v_cmpx_ne_u16_e32 0, v0
	s_cbranch_execz .LBB296_427
; %bb.420:                              ;   in Loop: Header=BB296_16 Depth=1
	v_cmp_ne_u16_e64 s1, 0x80, v0
	v_mov_b32_e32 v0, 0x8000
	scratch_store_b32 off, v0, s32 offset:616 ; 4-byte Folded Spill
	s_and_saveexec_b32 s21, s1
	s_cbranch_execz .LBB296_426
; %bb.421:                              ;   in Loop: Header=BB296_16 Depth=1
	v_bfe_u32 v2, v31, 16, 7
	v_mov_b32_e32 v0, 0x7c01
	s_mov_b32 s22, exec_lo
	scratch_store_b32 off, v0, s32 offset:616 ; 4-byte Folded Spill
	v_cmpx_ne_u32_e32 0x7f, v2
	s_cbranch_execz .LBB296_425
; %bb.422:                              ;   in Loop: Header=BB296_16 Depth=1
	v_and_b32_e32 v0, 7, v7
	v_lshrrev_b32_e32 v1, 3, v2
	s_mov_b32 s23, exec_lo
	v_cmpx_gt_u32_e32 8, v2
; %bb.423:                              ;   in Loop: Header=BB296_16 Depth=1
	s_delay_alu instid0(VALU_DEP_3) | instskip(NEXT) | instid1(VALU_DEP_1)
	v_clz_i32_u32_e32 v0, v0
	v_min_u32_e32 v2, 32, v0
	s_delay_alu instid0(VALU_DEP_1) | instskip(NEXT) | instid1(VALU_DEP_1)
	v_subrev_nc_u32_e32 v0, 28, v2
	v_lshlrev_b64_e32 v[0:1], v0, v[7:8]
	v_sub_nc_u32_e32 v1, 29, v2
	s_delay_alu instid0(VALU_DEP_2)
	v_and_b32_e32 v0, 7, v0
; %bb.424:                              ;   in Loop: Header=BB296_16 Depth=1
	s_wait_alu 0xfffe
	s_or_b32 exec_lo, exec_lo, s23
	v_lshlrev_b32_e32 v2, 8, v7
	v_lshl_add_u32 v1, v1, 10, 0x2000
	v_lshlrev_b32_e32 v0, 7, v0
	s_delay_alu instid0(VALU_DEP_3) | instskip(NEXT) | instid1(VALU_DEP_3)
	v_and_b32_e32 v2, 0x8000, v2
	v_and_b32_e32 v1, 0xfc00, v1
	s_delay_alu instid0(VALU_DEP_1)
	v_or3_b32 v0, v2, v1, v0
	scratch_store_b32 off, v0, s32 offset:616 ; 4-byte Folded Spill
.LBB296_425:                            ;   in Loop: Header=BB296_16 Depth=1
	s_wait_alu 0xfffe
	s_or_b32 exec_lo, exec_lo, s22
.LBB296_426:                            ;   in Loop: Header=BB296_16 Depth=1
	s_wait_alu 0xfffe
	s_or_b32 exec_lo, exec_lo, s21
.LBB296_427:                            ;   in Loop: Header=BB296_16 Depth=1
	s_wait_alu 0xfffe
	s_or_b32 exec_lo, exec_lo, s20
	v_dual_mov_b32 v41, 0 :: v_dual_mov_b32 v170, 0
	s_mov_b32 s20, exec_lo
	v_cmpx_lt_u32_e32 0xffffff, v31
	s_cbranch_execz .LBB296_435
; %bb.428:                              ;   in Loop: Header=BB296_16 Depth=1
	v_lshrrev_b32_e32 v7, 24, v31
	v_bfrev_b32_e32 v170, 1
	s_mov_b32 s21, exec_lo
	s_delay_alu instid0(VALU_DEP_2)
	v_cmpx_ne_u32_e32 0x80, v7
	s_cbranch_execz .LBB296_434
; %bb.429:                              ;   in Loop: Header=BB296_16 Depth=1
	v_and_b32_e32 v2, 0x7f, v7
	v_mov_b32_e32 v170, 0x7c010000
	s_mov_b32 s22, exec_lo
	s_delay_alu instid0(VALU_DEP_2)
	v_cmpx_ne_u32_e32 0x7f, v2
	s_cbranch_execz .LBB296_433
; %bb.430:                              ;   in Loop: Header=BB296_16 Depth=1
	v_and_b32_e32 v0, 7, v7
	v_lshrrev_b32_e32 v1, 3, v2
	s_mov_b32 s23, exec_lo
	v_cmpx_gt_u32_e32 8, v2
; %bb.431:                              ;   in Loop: Header=BB296_16 Depth=1
	s_delay_alu instid0(VALU_DEP_3) | instskip(NEXT) | instid1(VALU_DEP_1)
	v_clz_i32_u32_e32 v0, v0
	v_min_u32_e32 v2, 32, v0
	s_delay_alu instid0(VALU_DEP_1) | instskip(NEXT) | instid1(VALU_DEP_1)
	v_subrev_nc_u32_e32 v0, 28, v2
	v_lshlrev_b64_e32 v[0:1], v0, v[7:8]
	v_sub_nc_u32_e32 v1, 29, v2
	s_delay_alu instid0(VALU_DEP_2)
	v_and_b32_e32 v0, 7, v0
; %bb.432:                              ;   in Loop: Header=BB296_16 Depth=1
	s_wait_alu 0xfffe
	s_or_b32 exec_lo, exec_lo, s23
	v_lshlrev_b32_e32 v2, 8, v7
	v_lshl_add_u32 v1, v1, 10, 0x2000
	v_lshlrev_b32_e32 v0, 23, v0
	s_delay_alu instid0(VALU_DEP_2) | instskip(NEXT) | instid1(VALU_DEP_1)
	v_and_or_b32 v1, 0x8000, v2, v1
	v_lshl_or_b32 v170, v1, 16, v0
.LBB296_433:                            ;   in Loop: Header=BB296_16 Depth=1
	s_wait_alu 0xfffe
	s_or_b32 exec_lo, exec_lo, s22
.LBB296_434:                            ;   in Loop: Header=BB296_16 Depth=1
	s_wait_alu 0xfffe
	s_or_b32 exec_lo, exec_lo, s21
.LBB296_435:                            ;   in Loop: Header=BB296_16 Depth=1
	s_wait_alu 0xfffe
	s_or_b32 exec_lo, exec_lo, s20
	v_dual_mov_b32 v7, v32 :: v_dual_and_b32 v0, 0xff, v32
	s_mov_b32 s20, exec_lo
	s_delay_alu instid0(VALU_DEP_1)
	v_cmpx_ne_u16_e32 0, v0
	s_cbranch_execz .LBB296_443
; %bb.436:                              ;   in Loop: Header=BB296_16 Depth=1
	v_mov_b32_e32 v41, 0x8000
	s_mov_b32 s21, exec_lo
	v_cmpx_ne_u16_e32 0x80, v0
	s_cbranch_execz .LBB296_442
; %bb.437:                              ;   in Loop: Header=BB296_16 Depth=1
	v_and_b32_e32 v2, 0x7f, v32
	v_mov_b32_e32 v41, 0x7c01
	s_mov_b32 s22, exec_lo
	s_delay_alu instid0(VALU_DEP_2)
	v_cmpx_ne_u32_e32 0x7f, v2
	s_cbranch_execz .LBB296_441
; %bb.438:                              ;   in Loop: Header=BB296_16 Depth=1
	v_and_b32_e32 v0, 7, v32
	v_lshrrev_b32_e32 v1, 3, v2
	s_mov_b32 s23, exec_lo
	v_cmpx_gt_u32_e32 8, v2
; %bb.439:                              ;   in Loop: Header=BB296_16 Depth=1
	s_delay_alu instid0(VALU_DEP_3) | instskip(NEXT) | instid1(VALU_DEP_1)
	v_clz_i32_u32_e32 v0, v0
	v_min_u32_e32 v2, 32, v0
	s_delay_alu instid0(VALU_DEP_1) | instskip(NEXT) | instid1(VALU_DEP_1)
	v_subrev_nc_u32_e32 v0, 28, v2
	v_lshlrev_b64_e32 v[0:1], v0, v[7:8]
	v_sub_nc_u32_e32 v1, 29, v2
	s_delay_alu instid0(VALU_DEP_2)
	v_and_b32_e32 v0, 7, v0
; %bb.440:                              ;   in Loop: Header=BB296_16 Depth=1
	s_wait_alu 0xfffe
	s_or_b32 exec_lo, exec_lo, s23
	v_lshlrev_b32_e32 v2, 8, v32
	v_lshl_add_u32 v1, v1, 10, 0x2000
	v_lshlrev_b32_e32 v0, 7, v0
	s_delay_alu instid0(VALU_DEP_3) | instskip(NEXT) | instid1(VALU_DEP_3)
	v_and_b32_e32 v2, 0x8000, v2
	v_and_b32_e32 v1, 0xfc00, v1
	s_delay_alu instid0(VALU_DEP_1)
	v_or3_b32 v41, v2, v1, v0
.LBB296_441:                            ;   in Loop: Header=BB296_16 Depth=1
	s_wait_alu 0xfffe
	s_or_b32 exec_lo, exec_lo, s22
.LBB296_442:                            ;   in Loop: Header=BB296_16 Depth=1
	s_wait_alu 0xfffe
	s_or_b32 exec_lo, exec_lo, s21
.LBB296_443:                            ;   in Loop: Header=BB296_16 Depth=1
	s_wait_alu 0xfffe
	s_or_b32 exec_lo, exec_lo, s20
	v_lshrrev_b16 v7, 8, v7
	v_dual_mov_b32 v44, 0 :: v_dual_mov_b32 v191, 0
	s_mov_b32 s20, exec_lo
	s_delay_alu instid0(VALU_DEP_2)
	v_cmpx_ne_u16_e32 0, v7
	s_cbranch_execz .LBB296_451
; %bb.444:                              ;   in Loop: Header=BB296_16 Depth=1
	v_bfrev_b32_e32 v191, 1
	s_mov_b32 s21, exec_lo
	v_cmpx_ne_u16_e32 0x80, v7
	s_cbranch_execz .LBB296_450
; %bb.445:                              ;   in Loop: Header=BB296_16 Depth=1
	v_and_b32_e32 v0, 0xffff, v7
	v_mov_b32_e32 v191, 0x7c010000
	s_mov_b32 s22, exec_lo
	s_delay_alu instid0(VALU_DEP_2) | instskip(NEXT) | instid1(VALU_DEP_1)
	v_and_b32_e32 v3, 0x7f, v0
	v_cmpx_ne_u32_e32 0x7f, v3
	s_cbranch_execz .LBB296_449
; %bb.446:                              ;   in Loop: Header=BB296_16 Depth=1
	v_and_b32_e32 v1, 7, v0
	v_lshrrev_b32_e32 v2, 3, v3
	s_mov_b32 s23, exec_lo
	v_cmpx_gt_u32_e32 8, v3
; %bb.447:                              ;   in Loop: Header=BB296_16 Depth=1
	s_delay_alu instid0(VALU_DEP_3) | instskip(NEXT) | instid1(VALU_DEP_1)
	v_clz_i32_u32_e32 v1, v1
	v_min_u32_e32 v3, 32, v1
	s_delay_alu instid0(VALU_DEP_1) | instskip(NEXT) | instid1(VALU_DEP_1)
	v_subrev_nc_u32_e32 v1, 28, v3
	v_lshlrev_b64_e32 v[1:2], v1, v[7:8]
	v_sub_nc_u32_e32 v2, 29, v3
	s_delay_alu instid0(VALU_DEP_2)
	v_and_b32_e32 v1, 7, v1
; %bb.448:                              ;   in Loop: Header=BB296_16 Depth=1
	s_wait_alu 0xfffe
	s_or_b32 exec_lo, exec_lo, s23
	v_lshlrev_b32_e32 v0, 8, v0
	v_lshl_add_u32 v2, v2, 10, 0x2000
	v_lshlrev_b32_e32 v1, 23, v1
	s_delay_alu instid0(VALU_DEP_2) | instskip(NEXT) | instid1(VALU_DEP_1)
	v_and_or_b32 v0, 0x8000, v0, v2
	v_lshl_or_b32 v191, v0, 16, v1
.LBB296_449:                            ;   in Loop: Header=BB296_16 Depth=1
	s_wait_alu 0xfffe
	s_or_b32 exec_lo, exec_lo, s22
.LBB296_450:                            ;   in Loop: Header=BB296_16 Depth=1
	s_wait_alu 0xfffe
	s_or_b32 exec_lo, exec_lo, s21
.LBB296_451:                            ;   in Loop: Header=BB296_16 Depth=1
	s_wait_alu 0xfffe
	s_or_b32 exec_lo, exec_lo, s20
	v_lshrrev_b32_e32 v7, 16, v32
	s_mov_b32 s20, exec_lo
	s_delay_alu instid0(VALU_DEP_1) | instskip(NEXT) | instid1(VALU_DEP_1)
	v_and_b32_e32 v0, 0xff, v7
	v_cmpx_ne_u16_e32 0, v0
	s_cbranch_execz .LBB296_459
; %bb.452:                              ;   in Loop: Header=BB296_16 Depth=1
	v_mov_b32_e32 v44, 0x8000
	s_mov_b32 s21, exec_lo
	v_cmpx_ne_u16_e32 0x80, v0
	s_cbranch_execz .LBB296_458
; %bb.453:                              ;   in Loop: Header=BB296_16 Depth=1
	v_bfe_u32 v2, v32, 16, 7
	v_mov_b32_e32 v44, 0x7c01
	s_mov_b32 s22, exec_lo
	s_delay_alu instid0(VALU_DEP_2)
	v_cmpx_ne_u32_e32 0x7f, v2
	s_cbranch_execz .LBB296_457
; %bb.454:                              ;   in Loop: Header=BB296_16 Depth=1
	v_and_b32_e32 v0, 7, v7
	v_lshrrev_b32_e32 v1, 3, v2
	s_mov_b32 s23, exec_lo
	v_cmpx_gt_u32_e32 8, v2
; %bb.455:                              ;   in Loop: Header=BB296_16 Depth=1
	s_delay_alu instid0(VALU_DEP_3) | instskip(NEXT) | instid1(VALU_DEP_1)
	v_clz_i32_u32_e32 v0, v0
	v_min_u32_e32 v2, 32, v0
	s_delay_alu instid0(VALU_DEP_1) | instskip(NEXT) | instid1(VALU_DEP_1)
	v_subrev_nc_u32_e32 v0, 28, v2
	v_lshlrev_b64_e32 v[0:1], v0, v[7:8]
	v_sub_nc_u32_e32 v1, 29, v2
	s_delay_alu instid0(VALU_DEP_2)
	v_and_b32_e32 v0, 7, v0
; %bb.456:                              ;   in Loop: Header=BB296_16 Depth=1
	s_wait_alu 0xfffe
	s_or_b32 exec_lo, exec_lo, s23
	v_lshlrev_b32_e32 v2, 8, v7
	v_lshl_add_u32 v1, v1, 10, 0x2000
	v_lshlrev_b32_e32 v0, 7, v0
	s_delay_alu instid0(VALU_DEP_3) | instskip(NEXT) | instid1(VALU_DEP_3)
	v_and_b32_e32 v2, 0x8000, v2
	v_and_b32_e32 v1, 0xfc00, v1
	s_delay_alu instid0(VALU_DEP_1)
	v_or3_b32 v44, v2, v1, v0
.LBB296_457:                            ;   in Loop: Header=BB296_16 Depth=1
	s_wait_alu 0xfffe
	s_or_b32 exec_lo, exec_lo, s22
.LBB296_458:                            ;   in Loop: Header=BB296_16 Depth=1
	s_wait_alu 0xfffe
	s_or_b32 exec_lo, exec_lo, s21
.LBB296_459:                            ;   in Loop: Header=BB296_16 Depth=1
	s_wait_alu 0xfffe
	s_or_b32 exec_lo, exec_lo, s20
	v_mov_b32_e32 v46, 0
	v_mov_b32_e32 v84, 0
	s_mov_b32 s20, exec_lo
	v_cmpx_lt_u64_e64 s[8:9], v[31:32]
	s_cbranch_execz .LBB296_467
; %bb.460:                              ;   in Loop: Header=BB296_16 Depth=1
	v_lshrrev_b32_e32 v7, 24, v32
	v_bfrev_b32_e32 v84, 1
	s_mov_b32 s21, exec_lo
	s_delay_alu instid0(VALU_DEP_2)
	v_cmpx_ne_u32_e32 0x80, v7
	s_cbranch_execz .LBB296_466
; %bb.461:                              ;   in Loop: Header=BB296_16 Depth=1
	v_and_b32_e32 v2, 0x7f, v7
	v_mov_b32_e32 v84, 0x7c010000
	s_mov_b32 s22, exec_lo
	s_delay_alu instid0(VALU_DEP_2)
	v_cmpx_ne_u32_e32 0x7f, v2
	s_cbranch_execz .LBB296_465
; %bb.462:                              ;   in Loop: Header=BB296_16 Depth=1
	v_and_b32_e32 v0, 7, v7
	v_lshrrev_b32_e32 v1, 3, v2
	s_mov_b32 s23, exec_lo
	v_cmpx_gt_u32_e32 8, v2
; %bb.463:                              ;   in Loop: Header=BB296_16 Depth=1
	s_delay_alu instid0(VALU_DEP_3) | instskip(NEXT) | instid1(VALU_DEP_1)
	v_clz_i32_u32_e32 v0, v0
	v_min_u32_e32 v2, 32, v0
	s_delay_alu instid0(VALU_DEP_1) | instskip(NEXT) | instid1(VALU_DEP_1)
	v_subrev_nc_u32_e32 v0, 28, v2
	v_lshlrev_b64_e32 v[0:1], v0, v[7:8]
	v_sub_nc_u32_e32 v1, 29, v2
	s_delay_alu instid0(VALU_DEP_2)
	v_and_b32_e32 v0, 7, v0
; %bb.464:                              ;   in Loop: Header=BB296_16 Depth=1
	s_wait_alu 0xfffe
	s_or_b32 exec_lo, exec_lo, s23
	v_lshlrev_b32_e32 v2, 8, v7
	v_lshl_add_u32 v1, v1, 10, 0x2000
	v_lshlrev_b32_e32 v0, 23, v0
	s_delay_alu instid0(VALU_DEP_2) | instskip(NEXT) | instid1(VALU_DEP_1)
	v_and_or_b32 v1, 0x8000, v2, v1
	v_lshl_or_b32 v84, v1, 16, v0
.LBB296_465:                            ;   in Loop: Header=BB296_16 Depth=1
	s_wait_alu 0xfffe
	s_or_b32 exec_lo, exec_lo, s22
.LBB296_466:                            ;   in Loop: Header=BB296_16 Depth=1
	s_wait_alu 0xfffe
	s_or_b32 exec_lo, exec_lo, s21
.LBB296_467:                            ;   in Loop: Header=BB296_16 Depth=1
	s_wait_alu 0xfffe
	s_or_b32 exec_lo, exec_lo, s20
	flat_load_b64 v[31:32], v[28:29] offset:1544
	s_mov_b32 s20, exec_lo
	s_wait_loadcnt_dscnt 0x0
	v_and_b32_e32 v0, 0xff, v31
	s_delay_alu instid0(VALU_DEP_1)
	v_cmpx_ne_u16_e32 0, v0
	s_cbranch_execz .LBB296_475
; %bb.468:                              ;   in Loop: Header=BB296_16 Depth=1
	v_mov_b32_e32 v46, 0x8000
	s_mov_b32 s21, exec_lo
	v_cmpx_ne_u16_e32 0x80, v0
	s_cbranch_execz .LBB296_474
; %bb.469:                              ;   in Loop: Header=BB296_16 Depth=1
	v_and_b32_e32 v2, 0x7f, v31
	v_mov_b32_e32 v46, 0x7c01
	s_mov_b32 s22, exec_lo
	s_delay_alu instid0(VALU_DEP_2)
	v_cmpx_ne_u32_e32 0x7f, v2
	s_cbranch_execz .LBB296_473
; %bb.470:                              ;   in Loop: Header=BB296_16 Depth=1
	v_and_b32_e32 v0, 7, v31
	v_lshrrev_b32_e32 v1, 3, v2
	s_mov_b32 s23, exec_lo
	v_cmpx_gt_u32_e32 8, v2
; %bb.471:                              ;   in Loop: Header=BB296_16 Depth=1
	s_delay_alu instid0(VALU_DEP_3) | instskip(NEXT) | instid1(VALU_DEP_1)
	v_clz_i32_u32_e32 v0, v0
	v_min_u32_e32 v2, 32, v0
	s_delay_alu instid0(VALU_DEP_1) | instskip(NEXT) | instid1(VALU_DEP_1)
	v_subrev_nc_u32_e32 v0, 28, v2
	v_lshlrev_b64_e32 v[0:1], v0, v[31:32]
	v_sub_nc_u32_e32 v1, 29, v2
	s_delay_alu instid0(VALU_DEP_2)
	v_and_b32_e32 v0, 7, v0
; %bb.472:                              ;   in Loop: Header=BB296_16 Depth=1
	s_wait_alu 0xfffe
	s_or_b32 exec_lo, exec_lo, s23
	v_lshlrev_b32_e32 v2, 8, v31
	v_lshl_add_u32 v1, v1, 10, 0x2000
	v_lshlrev_b32_e32 v0, 7, v0
	s_delay_alu instid0(VALU_DEP_3) | instskip(NEXT) | instid1(VALU_DEP_3)
	v_and_b32_e32 v2, 0x8000, v2
	v_and_b32_e32 v1, 0xfc00, v1
	s_delay_alu instid0(VALU_DEP_1)
	v_or3_b32 v46, v2, v1, v0
.LBB296_473:                            ;   in Loop: Header=BB296_16 Depth=1
	s_wait_alu 0xfffe
	s_or_b32 exec_lo, exec_lo, s22
.LBB296_474:                            ;   in Loop: Header=BB296_16 Depth=1
	s_wait_alu 0xfffe
	s_or_b32 exec_lo, exec_lo, s21
.LBB296_475:                            ;   in Loop: Header=BB296_16 Depth=1
	s_wait_alu 0xfffe
	s_or_b32 exec_lo, exec_lo, s20
	v_lshrrev_b16 v7, 8, v31
	v_mov_b32_e32 v75, 0
	v_mov_b32_e32 v47, 0
	s_mov_b32 s20, exec_lo
	s_delay_alu instid0(VALU_DEP_3)
	v_cmpx_ne_u16_e32 0, v7
	s_cbranch_execz .LBB296_483
; %bb.476:                              ;   in Loop: Header=BB296_16 Depth=1
	v_bfrev_b32_e32 v47, 1
	s_mov_b32 s21, exec_lo
	v_cmpx_ne_u16_e32 0x80, v7
	s_cbranch_execz .LBB296_482
; %bb.477:                              ;   in Loop: Header=BB296_16 Depth=1
	v_and_b32_e32 v0, 0xffff, v7
	v_mov_b32_e32 v47, 0x7c010000
	s_mov_b32 s22, exec_lo
	s_delay_alu instid0(VALU_DEP_2) | instskip(NEXT) | instid1(VALU_DEP_1)
	v_and_b32_e32 v3, 0x7f, v0
	v_cmpx_ne_u32_e32 0x7f, v3
	s_cbranch_execz .LBB296_481
; %bb.478:                              ;   in Loop: Header=BB296_16 Depth=1
	v_and_b32_e32 v1, 7, v0
	v_lshrrev_b32_e32 v2, 3, v3
	s_mov_b32 s23, exec_lo
	v_cmpx_gt_u32_e32 8, v3
; %bb.479:                              ;   in Loop: Header=BB296_16 Depth=1
	s_delay_alu instid0(VALU_DEP_3) | instskip(NEXT) | instid1(VALU_DEP_1)
	v_clz_i32_u32_e32 v1, v1
	v_min_u32_e32 v3, 32, v1
	s_delay_alu instid0(VALU_DEP_1) | instskip(NEXT) | instid1(VALU_DEP_1)
	v_subrev_nc_u32_e32 v1, 28, v3
	v_lshlrev_b64_e32 v[1:2], v1, v[7:8]
	v_sub_nc_u32_e32 v2, 29, v3
	s_delay_alu instid0(VALU_DEP_2)
	v_and_b32_e32 v1, 7, v1
; %bb.480:                              ;   in Loop: Header=BB296_16 Depth=1
	s_wait_alu 0xfffe
	s_or_b32 exec_lo, exec_lo, s23
	v_lshlrev_b32_e32 v0, 8, v0
	v_lshl_add_u32 v2, v2, 10, 0x2000
	v_lshlrev_b32_e32 v1, 23, v1
	s_delay_alu instid0(VALU_DEP_2) | instskip(NEXT) | instid1(VALU_DEP_1)
	v_and_or_b32 v0, 0x8000, v0, v2
	v_lshl_or_b32 v47, v0, 16, v1
.LBB296_481:                            ;   in Loop: Header=BB296_16 Depth=1
	s_wait_alu 0xfffe
	s_or_b32 exec_lo, exec_lo, s22
.LBB296_482:                            ;   in Loop: Header=BB296_16 Depth=1
	s_wait_alu 0xfffe
	s_or_b32 exec_lo, exec_lo, s21
.LBB296_483:                            ;   in Loop: Header=BB296_16 Depth=1
	s_wait_alu 0xfffe
	s_or_b32 exec_lo, exec_lo, s20
	v_lshrrev_b32_e32 v7, 16, v31
	s_mov_b32 s20, exec_lo
	s_delay_alu instid0(VALU_DEP_1) | instskip(NEXT) | instid1(VALU_DEP_1)
	v_and_b32_e32 v0, 0xff, v7
	v_cmpx_ne_u16_e32 0, v0
	s_cbranch_execz .LBB296_491
; %bb.484:                              ;   in Loop: Header=BB296_16 Depth=1
	v_mov_b32_e32 v75, 0x8000
	s_mov_b32 s21, exec_lo
	v_cmpx_ne_u16_e32 0x80, v0
	s_cbranch_execz .LBB296_490
; %bb.485:                              ;   in Loop: Header=BB296_16 Depth=1
	v_bfe_u32 v2, v31, 16, 7
	v_mov_b32_e32 v75, 0x7c01
	s_mov_b32 s22, exec_lo
	s_delay_alu instid0(VALU_DEP_2)
	v_cmpx_ne_u32_e32 0x7f, v2
	s_cbranch_execz .LBB296_489
; %bb.486:                              ;   in Loop: Header=BB296_16 Depth=1
	v_and_b32_e32 v0, 7, v7
	v_lshrrev_b32_e32 v1, 3, v2
	s_mov_b32 s23, exec_lo
	v_cmpx_gt_u32_e32 8, v2
; %bb.487:                              ;   in Loop: Header=BB296_16 Depth=1
	s_delay_alu instid0(VALU_DEP_3) | instskip(NEXT) | instid1(VALU_DEP_1)
	v_clz_i32_u32_e32 v0, v0
	v_min_u32_e32 v2, 32, v0
	s_delay_alu instid0(VALU_DEP_1) | instskip(NEXT) | instid1(VALU_DEP_1)
	v_subrev_nc_u32_e32 v0, 28, v2
	v_lshlrev_b64_e32 v[0:1], v0, v[7:8]
	v_sub_nc_u32_e32 v1, 29, v2
	s_delay_alu instid0(VALU_DEP_2)
	v_and_b32_e32 v0, 7, v0
; %bb.488:                              ;   in Loop: Header=BB296_16 Depth=1
	s_wait_alu 0xfffe
	s_or_b32 exec_lo, exec_lo, s23
	v_lshlrev_b32_e32 v2, 8, v7
	v_lshl_add_u32 v1, v1, 10, 0x2000
	v_lshlrev_b32_e32 v0, 7, v0
	s_delay_alu instid0(VALU_DEP_3) | instskip(NEXT) | instid1(VALU_DEP_3)
	v_and_b32_e32 v2, 0x8000, v2
	v_and_b32_e32 v1, 0xfc00, v1
	s_delay_alu instid0(VALU_DEP_1)
	v_or3_b32 v75, v2, v1, v0
.LBB296_489:                            ;   in Loop: Header=BB296_16 Depth=1
	s_wait_alu 0xfffe
	s_or_b32 exec_lo, exec_lo, s22
.LBB296_490:                            ;   in Loop: Header=BB296_16 Depth=1
	s_wait_alu 0xfffe
	s_or_b32 exec_lo, exec_lo, s21
.LBB296_491:                            ;   in Loop: Header=BB296_16 Depth=1
	s_wait_alu 0xfffe
	s_or_b32 exec_lo, exec_lo, s20
	v_dual_mov_b32 v57, 0 :: v_dual_mov_b32 v90, 0
	s_mov_b32 s20, exec_lo
	v_cmpx_lt_u32_e32 0xffffff, v31
	s_cbranch_execz .LBB296_499
; %bb.492:                              ;   in Loop: Header=BB296_16 Depth=1
	v_lshrrev_b32_e32 v7, 24, v31
	v_bfrev_b32_e32 v90, 1
	s_mov_b32 s21, exec_lo
	s_delay_alu instid0(VALU_DEP_2)
	v_cmpx_ne_u32_e32 0x80, v7
	s_cbranch_execz .LBB296_498
; %bb.493:                              ;   in Loop: Header=BB296_16 Depth=1
	v_and_b32_e32 v2, 0x7f, v7
	v_mov_b32_e32 v90, 0x7c010000
	s_mov_b32 s22, exec_lo
	s_delay_alu instid0(VALU_DEP_2)
	v_cmpx_ne_u32_e32 0x7f, v2
	s_cbranch_execz .LBB296_497
; %bb.494:                              ;   in Loop: Header=BB296_16 Depth=1
	v_and_b32_e32 v0, 7, v7
	v_lshrrev_b32_e32 v1, 3, v2
	s_mov_b32 s23, exec_lo
	v_cmpx_gt_u32_e32 8, v2
; %bb.495:                              ;   in Loop: Header=BB296_16 Depth=1
	s_delay_alu instid0(VALU_DEP_3) | instskip(NEXT) | instid1(VALU_DEP_1)
	v_clz_i32_u32_e32 v0, v0
	v_min_u32_e32 v2, 32, v0
	s_delay_alu instid0(VALU_DEP_1) | instskip(NEXT) | instid1(VALU_DEP_1)
	v_subrev_nc_u32_e32 v0, 28, v2
	v_lshlrev_b64_e32 v[0:1], v0, v[7:8]
	v_sub_nc_u32_e32 v1, 29, v2
	s_delay_alu instid0(VALU_DEP_2)
	v_and_b32_e32 v0, 7, v0
; %bb.496:                              ;   in Loop: Header=BB296_16 Depth=1
	s_wait_alu 0xfffe
	s_or_b32 exec_lo, exec_lo, s23
	v_lshlrev_b32_e32 v2, 8, v7
	v_lshl_add_u32 v1, v1, 10, 0x2000
	v_lshlrev_b32_e32 v0, 23, v0
	s_delay_alu instid0(VALU_DEP_2) | instskip(NEXT) | instid1(VALU_DEP_1)
	v_and_or_b32 v1, 0x8000, v2, v1
	v_lshl_or_b32 v90, v1, 16, v0
.LBB296_497:                            ;   in Loop: Header=BB296_16 Depth=1
	s_wait_alu 0xfffe
	s_or_b32 exec_lo, exec_lo, s22
.LBB296_498:                            ;   in Loop: Header=BB296_16 Depth=1
	s_wait_alu 0xfffe
	s_or_b32 exec_lo, exec_lo, s21
.LBB296_499:                            ;   in Loop: Header=BB296_16 Depth=1
	s_wait_alu 0xfffe
	s_or_b32 exec_lo, exec_lo, s20
	v_dual_mov_b32 v7, v32 :: v_dual_and_b32 v0, 0xff, v32
	s_mov_b32 s20, exec_lo
	s_delay_alu instid0(VALU_DEP_1)
	v_cmpx_ne_u16_e32 0, v0
	s_cbranch_execz .LBB296_507
; %bb.500:                              ;   in Loop: Header=BB296_16 Depth=1
	v_mov_b32_e32 v57, 0x8000
	s_mov_b32 s21, exec_lo
	v_cmpx_ne_u16_e32 0x80, v0
	s_cbranch_execz .LBB296_506
; %bb.501:                              ;   in Loop: Header=BB296_16 Depth=1
	v_and_b32_e32 v2, 0x7f, v32
	v_mov_b32_e32 v57, 0x7c01
	s_mov_b32 s22, exec_lo
	s_delay_alu instid0(VALU_DEP_2)
	v_cmpx_ne_u32_e32 0x7f, v2
	s_cbranch_execz .LBB296_505
; %bb.502:                              ;   in Loop: Header=BB296_16 Depth=1
	v_and_b32_e32 v0, 7, v32
	v_lshrrev_b32_e32 v1, 3, v2
	s_mov_b32 s23, exec_lo
	v_cmpx_gt_u32_e32 8, v2
; %bb.503:                              ;   in Loop: Header=BB296_16 Depth=1
	s_delay_alu instid0(VALU_DEP_3) | instskip(NEXT) | instid1(VALU_DEP_1)
	v_clz_i32_u32_e32 v0, v0
	v_min_u32_e32 v2, 32, v0
	s_delay_alu instid0(VALU_DEP_1) | instskip(NEXT) | instid1(VALU_DEP_1)
	v_subrev_nc_u32_e32 v0, 28, v2
	v_lshlrev_b64_e32 v[0:1], v0, v[7:8]
	v_sub_nc_u32_e32 v1, 29, v2
	s_delay_alu instid0(VALU_DEP_2)
	v_and_b32_e32 v0, 7, v0
; %bb.504:                              ;   in Loop: Header=BB296_16 Depth=1
	s_wait_alu 0xfffe
	s_or_b32 exec_lo, exec_lo, s23
	v_lshlrev_b32_e32 v2, 8, v32
	v_lshl_add_u32 v1, v1, 10, 0x2000
	v_lshlrev_b32_e32 v0, 7, v0
	s_delay_alu instid0(VALU_DEP_3) | instskip(NEXT) | instid1(VALU_DEP_3)
	v_and_b32_e32 v2, 0x8000, v2
	v_and_b32_e32 v1, 0xfc00, v1
	s_delay_alu instid0(VALU_DEP_1)
	v_or3_b32 v57, v2, v1, v0
.LBB296_505:                            ;   in Loop: Header=BB296_16 Depth=1
	s_wait_alu 0xfffe
	s_or_b32 exec_lo, exec_lo, s22
.LBB296_506:                            ;   in Loop: Header=BB296_16 Depth=1
	s_wait_alu 0xfffe
	s_or_b32 exec_lo, exec_lo, s21
.LBB296_507:                            ;   in Loop: Header=BB296_16 Depth=1
	s_wait_alu 0xfffe
	s_or_b32 exec_lo, exec_lo, s20
	v_lshrrev_b16 v7, 8, v7
	v_mov_b32_e32 v60, 0
	v_mov_b32_e32 v154, 0
	s_mov_b32 s20, exec_lo
	s_delay_alu instid0(VALU_DEP_3)
	v_cmpx_ne_u16_e32 0, v7
	s_cbranch_execz .LBB296_515
; %bb.508:                              ;   in Loop: Header=BB296_16 Depth=1
	v_bfrev_b32_e32 v154, 1
	s_mov_b32 s21, exec_lo
	v_cmpx_ne_u16_e32 0x80, v7
	s_cbranch_execz .LBB296_514
; %bb.509:                              ;   in Loop: Header=BB296_16 Depth=1
	v_and_b32_e32 v0, 0xffff, v7
	v_mov_b32_e32 v154, 0x7c010000
	s_mov_b32 s22, exec_lo
	s_delay_alu instid0(VALU_DEP_2) | instskip(NEXT) | instid1(VALU_DEP_1)
	v_and_b32_e32 v3, 0x7f, v0
	v_cmpx_ne_u32_e32 0x7f, v3
	s_cbranch_execz .LBB296_513
; %bb.510:                              ;   in Loop: Header=BB296_16 Depth=1
	v_and_b32_e32 v1, 7, v0
	v_lshrrev_b32_e32 v2, 3, v3
	s_mov_b32 s23, exec_lo
	v_cmpx_gt_u32_e32 8, v3
; %bb.511:                              ;   in Loop: Header=BB296_16 Depth=1
	s_delay_alu instid0(VALU_DEP_3) | instskip(NEXT) | instid1(VALU_DEP_1)
	v_clz_i32_u32_e32 v1, v1
	v_min_u32_e32 v3, 32, v1
	s_delay_alu instid0(VALU_DEP_1) | instskip(NEXT) | instid1(VALU_DEP_1)
	v_subrev_nc_u32_e32 v1, 28, v3
	v_lshlrev_b64_e32 v[1:2], v1, v[7:8]
	v_sub_nc_u32_e32 v2, 29, v3
	s_delay_alu instid0(VALU_DEP_2)
	v_and_b32_e32 v1, 7, v1
; %bb.512:                              ;   in Loop: Header=BB296_16 Depth=1
	s_wait_alu 0xfffe
	s_or_b32 exec_lo, exec_lo, s23
	v_lshlrev_b32_e32 v0, 8, v0
	v_lshl_add_u32 v2, v2, 10, 0x2000
	v_lshlrev_b32_e32 v1, 23, v1
	s_delay_alu instid0(VALU_DEP_2) | instskip(NEXT) | instid1(VALU_DEP_1)
	v_and_or_b32 v0, 0x8000, v0, v2
	v_lshl_or_b32 v154, v0, 16, v1
.LBB296_513:                            ;   in Loop: Header=BB296_16 Depth=1
	s_wait_alu 0xfffe
	s_or_b32 exec_lo, exec_lo, s22
.LBB296_514:                            ;   in Loop: Header=BB296_16 Depth=1
	s_wait_alu 0xfffe
	s_or_b32 exec_lo, exec_lo, s21
.LBB296_515:                            ;   in Loop: Header=BB296_16 Depth=1
	s_wait_alu 0xfffe
	s_or_b32 exec_lo, exec_lo, s20
	v_lshrrev_b32_e32 v7, 16, v32
	s_mov_b32 s20, exec_lo
	s_delay_alu instid0(VALU_DEP_1) | instskip(NEXT) | instid1(VALU_DEP_1)
	v_and_b32_e32 v0, 0xff, v7
	v_cmpx_ne_u16_e32 0, v0
	s_cbranch_execz .LBB296_523
; %bb.516:                              ;   in Loop: Header=BB296_16 Depth=1
	v_mov_b32_e32 v60, 0x8000
	s_mov_b32 s21, exec_lo
	v_cmpx_ne_u16_e32 0x80, v0
	s_cbranch_execz .LBB296_522
; %bb.517:                              ;   in Loop: Header=BB296_16 Depth=1
	v_bfe_u32 v2, v32, 16, 7
	v_mov_b32_e32 v60, 0x7c01
	s_mov_b32 s22, exec_lo
	s_delay_alu instid0(VALU_DEP_2)
	v_cmpx_ne_u32_e32 0x7f, v2
	s_cbranch_execz .LBB296_521
; %bb.518:                              ;   in Loop: Header=BB296_16 Depth=1
	v_and_b32_e32 v0, 7, v7
	v_lshrrev_b32_e32 v1, 3, v2
	s_mov_b32 s23, exec_lo
	v_cmpx_gt_u32_e32 8, v2
; %bb.519:                              ;   in Loop: Header=BB296_16 Depth=1
	s_delay_alu instid0(VALU_DEP_3) | instskip(NEXT) | instid1(VALU_DEP_1)
	v_clz_i32_u32_e32 v0, v0
	v_min_u32_e32 v2, 32, v0
	s_delay_alu instid0(VALU_DEP_1) | instskip(NEXT) | instid1(VALU_DEP_1)
	v_subrev_nc_u32_e32 v0, 28, v2
	v_lshlrev_b64_e32 v[0:1], v0, v[7:8]
	v_sub_nc_u32_e32 v1, 29, v2
	s_delay_alu instid0(VALU_DEP_2)
	v_and_b32_e32 v0, 7, v0
; %bb.520:                              ;   in Loop: Header=BB296_16 Depth=1
	s_wait_alu 0xfffe
	s_or_b32 exec_lo, exec_lo, s23
	v_lshlrev_b32_e32 v2, 8, v7
	v_lshl_add_u32 v1, v1, 10, 0x2000
	v_lshlrev_b32_e32 v0, 7, v0
	s_delay_alu instid0(VALU_DEP_3) | instskip(NEXT) | instid1(VALU_DEP_3)
	v_and_b32_e32 v2, 0x8000, v2
	v_and_b32_e32 v1, 0xfc00, v1
	s_delay_alu instid0(VALU_DEP_1)
	v_or3_b32 v60, v2, v1, v0
.LBB296_521:                            ;   in Loop: Header=BB296_16 Depth=1
	s_wait_alu 0xfffe
	s_or_b32 exec_lo, exec_lo, s22
.LBB296_522:                            ;   in Loop: Header=BB296_16 Depth=1
	s_wait_alu 0xfffe
	s_or_b32 exec_lo, exec_lo, s21
.LBB296_523:                            ;   in Loop: Header=BB296_16 Depth=1
	s_wait_alu 0xfffe
	s_or_b32 exec_lo, exec_lo, s20
	v_dual_mov_b32 v63, 0 :: v_dual_mov_b32 v62, 0
	s_mov_b32 s20, exec_lo
	v_cmpx_lt_u64_e64 s[8:9], v[31:32]
	s_cbranch_execz .LBB296_531
; %bb.524:                              ;   in Loop: Header=BB296_16 Depth=1
	v_lshrrev_b32_e32 v7, 24, v32
	v_bfrev_b32_e32 v62, 1
	s_mov_b32 s21, exec_lo
	s_delay_alu instid0(VALU_DEP_2)
	v_cmpx_ne_u32_e32 0x80, v7
	s_cbranch_execz .LBB296_530
; %bb.525:                              ;   in Loop: Header=BB296_16 Depth=1
	v_and_b32_e32 v2, 0x7f, v7
	v_mov_b32_e32 v62, 0x7c010000
	s_mov_b32 s22, exec_lo
	s_delay_alu instid0(VALU_DEP_2)
	v_cmpx_ne_u32_e32 0x7f, v2
	s_cbranch_execz .LBB296_529
; %bb.526:                              ;   in Loop: Header=BB296_16 Depth=1
	v_and_b32_e32 v0, 7, v7
	v_lshrrev_b32_e32 v1, 3, v2
	s_mov_b32 s23, exec_lo
	v_cmpx_gt_u32_e32 8, v2
; %bb.527:                              ;   in Loop: Header=BB296_16 Depth=1
	s_delay_alu instid0(VALU_DEP_3) | instskip(NEXT) | instid1(VALU_DEP_1)
	v_clz_i32_u32_e32 v0, v0
	v_min_u32_e32 v2, 32, v0
	s_delay_alu instid0(VALU_DEP_1) | instskip(NEXT) | instid1(VALU_DEP_1)
	v_subrev_nc_u32_e32 v0, 28, v2
	v_lshlrev_b64_e32 v[0:1], v0, v[7:8]
	v_sub_nc_u32_e32 v1, 29, v2
	s_delay_alu instid0(VALU_DEP_2)
	v_and_b32_e32 v0, 7, v0
; %bb.528:                              ;   in Loop: Header=BB296_16 Depth=1
	s_wait_alu 0xfffe
	s_or_b32 exec_lo, exec_lo, s23
	v_lshlrev_b32_e32 v2, 8, v7
	v_lshl_add_u32 v1, v1, 10, 0x2000
	v_lshlrev_b32_e32 v0, 23, v0
	s_delay_alu instid0(VALU_DEP_2) | instskip(NEXT) | instid1(VALU_DEP_1)
	v_and_or_b32 v1, 0x8000, v2, v1
	v_lshl_or_b32 v62, v1, 16, v0
.LBB296_529:                            ;   in Loop: Header=BB296_16 Depth=1
	s_wait_alu 0xfffe
	s_or_b32 exec_lo, exec_lo, s22
.LBB296_530:                            ;   in Loop: Header=BB296_16 Depth=1
	s_wait_alu 0xfffe
	s_or_b32 exec_lo, exec_lo, s21
.LBB296_531:                            ;   in Loop: Header=BB296_16 Depth=1
	s_wait_alu 0xfffe
	s_or_b32 exec_lo, exec_lo, s20
	flat_load_b64 v[31:32], v[28:29] offset:2048
	s_mov_b32 s20, exec_lo
	s_wait_loadcnt_dscnt 0x0
	v_and_b32_e32 v0, 0xff, v31
	s_delay_alu instid0(VALU_DEP_1)
	v_cmpx_ne_u16_e32 0, v0
	s_cbranch_execz .LBB296_539
; %bb.532:                              ;   in Loop: Header=BB296_16 Depth=1
	v_mov_b32_e32 v63, 0x8000
	s_mov_b32 s21, exec_lo
	v_cmpx_ne_u16_e32 0x80, v0
	s_cbranch_execz .LBB296_538
; %bb.533:                              ;   in Loop: Header=BB296_16 Depth=1
	v_and_b32_e32 v2, 0x7f, v31
	v_mov_b32_e32 v63, 0x7c01
	s_mov_b32 s22, exec_lo
	s_delay_alu instid0(VALU_DEP_2)
	v_cmpx_ne_u32_e32 0x7f, v2
	s_cbranch_execz .LBB296_537
; %bb.534:                              ;   in Loop: Header=BB296_16 Depth=1
	v_and_b32_e32 v0, 7, v31
	v_lshrrev_b32_e32 v1, 3, v2
	s_mov_b32 s23, exec_lo
	v_cmpx_gt_u32_e32 8, v2
; %bb.535:                              ;   in Loop: Header=BB296_16 Depth=1
	s_delay_alu instid0(VALU_DEP_3) | instskip(NEXT) | instid1(VALU_DEP_1)
	v_clz_i32_u32_e32 v0, v0
	v_min_u32_e32 v2, 32, v0
	s_delay_alu instid0(VALU_DEP_1) | instskip(NEXT) | instid1(VALU_DEP_1)
	v_subrev_nc_u32_e32 v0, 28, v2
	v_lshlrev_b64_e32 v[0:1], v0, v[31:32]
	v_sub_nc_u32_e32 v1, 29, v2
	s_delay_alu instid0(VALU_DEP_2)
	v_and_b32_e32 v0, 7, v0
; %bb.536:                              ;   in Loop: Header=BB296_16 Depth=1
	s_wait_alu 0xfffe
	s_or_b32 exec_lo, exec_lo, s23
	v_lshlrev_b32_e32 v2, 8, v31
	v_lshl_add_u32 v1, v1, 10, 0x2000
	v_lshlrev_b32_e32 v0, 7, v0
	s_delay_alu instid0(VALU_DEP_3) | instskip(NEXT) | instid1(VALU_DEP_3)
	v_and_b32_e32 v2, 0x8000, v2
	v_and_b32_e32 v1, 0xfc00, v1
	s_delay_alu instid0(VALU_DEP_1)
	v_or3_b32 v63, v2, v1, v0
.LBB296_537:                            ;   in Loop: Header=BB296_16 Depth=1
	s_wait_alu 0xfffe
	s_or_b32 exec_lo, exec_lo, s22
.LBB296_538:                            ;   in Loop: Header=BB296_16 Depth=1
	s_wait_alu 0xfffe
	s_or_b32 exec_lo, exec_lo, s21
.LBB296_539:                            ;   in Loop: Header=BB296_16 Depth=1
	s_wait_alu 0xfffe
	s_or_b32 exec_lo, exec_lo, s20
	v_lshrrev_b16 v7, 8, v31
	v_dual_mov_b32 v73, 0 :: v_dual_mov_b32 v74, 0
	s_mov_b32 s20, exec_lo
	s_delay_alu instid0(VALU_DEP_2)
	v_cmpx_ne_u16_e32 0, v7
	s_cbranch_execz .LBB296_547
; %bb.540:                              ;   in Loop: Header=BB296_16 Depth=1
	v_bfrev_b32_e32 v74, 1
	s_mov_b32 s21, exec_lo
	v_cmpx_ne_u16_e32 0x80, v7
	s_cbranch_execz .LBB296_546
; %bb.541:                              ;   in Loop: Header=BB296_16 Depth=1
	v_and_b32_e32 v0, 0xffff, v7
	v_mov_b32_e32 v74, 0x7c010000
	s_mov_b32 s22, exec_lo
	s_delay_alu instid0(VALU_DEP_2) | instskip(NEXT) | instid1(VALU_DEP_1)
	v_and_b32_e32 v3, 0x7f, v0
	v_cmpx_ne_u32_e32 0x7f, v3
	s_cbranch_execz .LBB296_545
; %bb.542:                              ;   in Loop: Header=BB296_16 Depth=1
	v_and_b32_e32 v1, 7, v0
	v_lshrrev_b32_e32 v2, 3, v3
	s_mov_b32 s23, exec_lo
	v_cmpx_gt_u32_e32 8, v3
; %bb.543:                              ;   in Loop: Header=BB296_16 Depth=1
	s_delay_alu instid0(VALU_DEP_3) | instskip(NEXT) | instid1(VALU_DEP_1)
	v_clz_i32_u32_e32 v1, v1
	v_min_u32_e32 v3, 32, v1
	s_delay_alu instid0(VALU_DEP_1) | instskip(NEXT) | instid1(VALU_DEP_1)
	v_subrev_nc_u32_e32 v1, 28, v3
	v_lshlrev_b64_e32 v[1:2], v1, v[7:8]
	v_sub_nc_u32_e32 v2, 29, v3
	s_delay_alu instid0(VALU_DEP_2)
	v_and_b32_e32 v1, 7, v1
; %bb.544:                              ;   in Loop: Header=BB296_16 Depth=1
	s_wait_alu 0xfffe
	s_or_b32 exec_lo, exec_lo, s23
	v_lshlrev_b32_e32 v0, 8, v0
	v_lshl_add_u32 v2, v2, 10, 0x2000
	v_lshlrev_b32_e32 v1, 23, v1
	s_delay_alu instid0(VALU_DEP_2) | instskip(NEXT) | instid1(VALU_DEP_1)
	v_and_or_b32 v0, 0x8000, v0, v2
	v_lshl_or_b32 v74, v0, 16, v1
.LBB296_545:                            ;   in Loop: Header=BB296_16 Depth=1
	s_wait_alu 0xfffe
	s_or_b32 exec_lo, exec_lo, s22
.LBB296_546:                            ;   in Loop: Header=BB296_16 Depth=1
	s_wait_alu 0xfffe
	s_or_b32 exec_lo, exec_lo, s21
.LBB296_547:                            ;   in Loop: Header=BB296_16 Depth=1
	s_wait_alu 0xfffe
	s_or_b32 exec_lo, exec_lo, s20
	v_lshrrev_b32_e32 v7, 16, v31
	s_mov_b32 s20, exec_lo
	s_delay_alu instid0(VALU_DEP_1) | instskip(NEXT) | instid1(VALU_DEP_1)
	v_and_b32_e32 v0, 0xff, v7
	v_cmpx_ne_u16_e32 0, v0
	s_cbranch_execz .LBB296_555
; %bb.548:                              ;   in Loop: Header=BB296_16 Depth=1
	v_mov_b32_e32 v73, 0x8000
	s_mov_b32 s21, exec_lo
	v_cmpx_ne_u16_e32 0x80, v0
	s_cbranch_execz .LBB296_554
; %bb.549:                              ;   in Loop: Header=BB296_16 Depth=1
	v_bfe_u32 v2, v31, 16, 7
	v_mov_b32_e32 v73, 0x7c01
	s_mov_b32 s22, exec_lo
	s_delay_alu instid0(VALU_DEP_2)
	v_cmpx_ne_u32_e32 0x7f, v2
	s_cbranch_execz .LBB296_553
; %bb.550:                              ;   in Loop: Header=BB296_16 Depth=1
	v_and_b32_e32 v0, 7, v7
	v_lshrrev_b32_e32 v1, 3, v2
	s_mov_b32 s23, exec_lo
	v_cmpx_gt_u32_e32 8, v2
; %bb.551:                              ;   in Loop: Header=BB296_16 Depth=1
	s_delay_alu instid0(VALU_DEP_3) | instskip(NEXT) | instid1(VALU_DEP_1)
	v_clz_i32_u32_e32 v0, v0
	v_min_u32_e32 v2, 32, v0
	s_delay_alu instid0(VALU_DEP_1) | instskip(NEXT) | instid1(VALU_DEP_1)
	v_subrev_nc_u32_e32 v0, 28, v2
	v_lshlrev_b64_e32 v[0:1], v0, v[7:8]
	v_sub_nc_u32_e32 v1, 29, v2
	s_delay_alu instid0(VALU_DEP_2)
	v_and_b32_e32 v0, 7, v0
; %bb.552:                              ;   in Loop: Header=BB296_16 Depth=1
	s_wait_alu 0xfffe
	s_or_b32 exec_lo, exec_lo, s23
	v_lshlrev_b32_e32 v2, 8, v7
	v_lshl_add_u32 v1, v1, 10, 0x2000
	v_lshlrev_b32_e32 v0, 7, v0
	s_delay_alu instid0(VALU_DEP_3) | instskip(NEXT) | instid1(VALU_DEP_3)
	v_and_b32_e32 v2, 0x8000, v2
	v_and_b32_e32 v1, 0xfc00, v1
	s_delay_alu instid0(VALU_DEP_1)
	v_or3_b32 v73, v2, v1, v0
.LBB296_553:                            ;   in Loop: Header=BB296_16 Depth=1
	s_wait_alu 0xfffe
	s_or_b32 exec_lo, exec_lo, s22
.LBB296_554:                            ;   in Loop: Header=BB296_16 Depth=1
	s_wait_alu 0xfffe
	s_or_b32 exec_lo, exec_lo, s21
.LBB296_555:                            ;   in Loop: Header=BB296_16 Depth=1
	s_wait_alu 0xfffe
	s_or_b32 exec_lo, exec_lo, s20
	v_dual_mov_b32 v15, 0 :: v_dual_mov_b32 v76, 0
	s_mov_b32 s20, exec_lo
	v_cmpx_lt_u32_e32 0xffffff, v31
	s_cbranch_execz .LBB296_563
; %bb.556:                              ;   in Loop: Header=BB296_16 Depth=1
	v_lshrrev_b32_e32 v7, 24, v31
	v_bfrev_b32_e32 v76, 1
	s_mov_b32 s21, exec_lo
	s_delay_alu instid0(VALU_DEP_2)
	v_cmpx_ne_u32_e32 0x80, v7
	s_cbranch_execz .LBB296_562
; %bb.557:                              ;   in Loop: Header=BB296_16 Depth=1
	v_and_b32_e32 v2, 0x7f, v7
	v_mov_b32_e32 v76, 0x7c010000
	s_mov_b32 s22, exec_lo
	s_delay_alu instid0(VALU_DEP_2)
	v_cmpx_ne_u32_e32 0x7f, v2
	s_cbranch_execz .LBB296_561
; %bb.558:                              ;   in Loop: Header=BB296_16 Depth=1
	v_and_b32_e32 v0, 7, v7
	v_lshrrev_b32_e32 v1, 3, v2
	s_mov_b32 s23, exec_lo
	v_cmpx_gt_u32_e32 8, v2
; %bb.559:                              ;   in Loop: Header=BB296_16 Depth=1
	s_delay_alu instid0(VALU_DEP_3) | instskip(NEXT) | instid1(VALU_DEP_1)
	v_clz_i32_u32_e32 v0, v0
	v_min_u32_e32 v2, 32, v0
	s_delay_alu instid0(VALU_DEP_1) | instskip(NEXT) | instid1(VALU_DEP_1)
	v_subrev_nc_u32_e32 v0, 28, v2
	v_lshlrev_b64_e32 v[0:1], v0, v[7:8]
	v_sub_nc_u32_e32 v1, 29, v2
	s_delay_alu instid0(VALU_DEP_2)
	v_and_b32_e32 v0, 7, v0
; %bb.560:                              ;   in Loop: Header=BB296_16 Depth=1
	s_wait_alu 0xfffe
	s_or_b32 exec_lo, exec_lo, s23
	v_lshlrev_b32_e32 v2, 8, v7
	v_lshl_add_u32 v1, v1, 10, 0x2000
	v_lshlrev_b32_e32 v0, 23, v0
	s_delay_alu instid0(VALU_DEP_2) | instskip(NEXT) | instid1(VALU_DEP_1)
	v_and_or_b32 v1, 0x8000, v2, v1
	v_lshl_or_b32 v76, v1, 16, v0
.LBB296_561:                            ;   in Loop: Header=BB296_16 Depth=1
	s_wait_alu 0xfffe
	s_or_b32 exec_lo, exec_lo, s22
.LBB296_562:                            ;   in Loop: Header=BB296_16 Depth=1
	s_wait_alu 0xfffe
	s_or_b32 exec_lo, exec_lo, s21
.LBB296_563:                            ;   in Loop: Header=BB296_16 Depth=1
	s_wait_alu 0xfffe
	s_or_b32 exec_lo, exec_lo, s20
	v_dual_mov_b32 v7, v32 :: v_dual_and_b32 v0, 0xff, v32
	s_mov_b32 s20, exec_lo
	s_delay_alu instid0(VALU_DEP_1)
	v_cmpx_ne_u16_e32 0, v0
	s_cbranch_execz .LBB296_571
; %bb.564:                              ;   in Loop: Header=BB296_16 Depth=1
	v_mov_b32_e32 v15, 0x8000
	s_mov_b32 s21, exec_lo
	v_cmpx_ne_u16_e32 0x80, v0
	s_cbranch_execz .LBB296_570
; %bb.565:                              ;   in Loop: Header=BB296_16 Depth=1
	v_and_b32_e32 v2, 0x7f, v32
	v_mov_b32_e32 v15, 0x7c01
	s_mov_b32 s22, exec_lo
	s_delay_alu instid0(VALU_DEP_2)
	v_cmpx_ne_u32_e32 0x7f, v2
	s_cbranch_execz .LBB296_569
; %bb.566:                              ;   in Loop: Header=BB296_16 Depth=1
	v_and_b32_e32 v0, 7, v32
	v_lshrrev_b32_e32 v1, 3, v2
	s_mov_b32 s23, exec_lo
	v_cmpx_gt_u32_e32 8, v2
; %bb.567:                              ;   in Loop: Header=BB296_16 Depth=1
	s_delay_alu instid0(VALU_DEP_3) | instskip(NEXT) | instid1(VALU_DEP_1)
	v_clz_i32_u32_e32 v0, v0
	v_min_u32_e32 v2, 32, v0
	s_delay_alu instid0(VALU_DEP_1) | instskip(NEXT) | instid1(VALU_DEP_1)
	v_subrev_nc_u32_e32 v0, 28, v2
	v_lshlrev_b64_e32 v[0:1], v0, v[7:8]
	v_sub_nc_u32_e32 v1, 29, v2
	s_delay_alu instid0(VALU_DEP_2)
	v_and_b32_e32 v0, 7, v0
; %bb.568:                              ;   in Loop: Header=BB296_16 Depth=1
	s_wait_alu 0xfffe
	s_or_b32 exec_lo, exec_lo, s23
	v_lshlrev_b32_e32 v2, 8, v32
	v_lshl_add_u32 v1, v1, 10, 0x2000
	v_lshlrev_b32_e32 v0, 7, v0
	s_delay_alu instid0(VALU_DEP_3) | instskip(NEXT) | instid1(VALU_DEP_3)
	v_and_b32_e32 v2, 0x8000, v2
	v_and_b32_e32 v1, 0xfc00, v1
	s_delay_alu instid0(VALU_DEP_1)
	v_or3_b32 v15, v2, v1, v0
.LBB296_569:                            ;   in Loop: Header=BB296_16 Depth=1
	s_wait_alu 0xfffe
	s_or_b32 exec_lo, exec_lo, s22
.LBB296_570:                            ;   in Loop: Header=BB296_16 Depth=1
	s_wait_alu 0xfffe
	s_or_b32 exec_lo, exec_lo, s21
.LBB296_571:                            ;   in Loop: Header=BB296_16 Depth=1
	s_wait_alu 0xfffe
	s_or_b32 exec_lo, exec_lo, s20
	v_lshrrev_b16 v7, 8, v7
	v_mov_b32_e32 v48, 0
	v_mov_b32_e32 v78, 0
	s_mov_b32 s20, exec_lo
	s_delay_alu instid0(VALU_DEP_3)
	v_cmpx_ne_u16_e32 0, v7
	s_cbranch_execz .LBB296_579
; %bb.572:                              ;   in Loop: Header=BB296_16 Depth=1
	v_bfrev_b32_e32 v78, 1
	s_mov_b32 s21, exec_lo
	v_cmpx_ne_u16_e32 0x80, v7
	s_cbranch_execz .LBB296_578
; %bb.573:                              ;   in Loop: Header=BB296_16 Depth=1
	v_and_b32_e32 v0, 0xffff, v7
	v_mov_b32_e32 v78, 0x7c010000
	s_mov_b32 s22, exec_lo
	s_delay_alu instid0(VALU_DEP_2) | instskip(NEXT) | instid1(VALU_DEP_1)
	v_and_b32_e32 v3, 0x7f, v0
	v_cmpx_ne_u32_e32 0x7f, v3
	s_cbranch_execz .LBB296_577
; %bb.574:                              ;   in Loop: Header=BB296_16 Depth=1
	v_and_b32_e32 v1, 7, v0
	v_lshrrev_b32_e32 v2, 3, v3
	s_mov_b32 s23, exec_lo
	v_cmpx_gt_u32_e32 8, v3
; %bb.575:                              ;   in Loop: Header=BB296_16 Depth=1
	s_delay_alu instid0(VALU_DEP_3) | instskip(NEXT) | instid1(VALU_DEP_1)
	v_clz_i32_u32_e32 v1, v1
	v_min_u32_e32 v3, 32, v1
	s_delay_alu instid0(VALU_DEP_1) | instskip(NEXT) | instid1(VALU_DEP_1)
	v_subrev_nc_u32_e32 v1, 28, v3
	v_lshlrev_b64_e32 v[1:2], v1, v[7:8]
	v_sub_nc_u32_e32 v2, 29, v3
	s_delay_alu instid0(VALU_DEP_2)
	v_and_b32_e32 v1, 7, v1
; %bb.576:                              ;   in Loop: Header=BB296_16 Depth=1
	s_wait_alu 0xfffe
	s_or_b32 exec_lo, exec_lo, s23
	v_lshlrev_b32_e32 v0, 8, v0
	v_lshl_add_u32 v2, v2, 10, 0x2000
	v_lshlrev_b32_e32 v1, 23, v1
	s_delay_alu instid0(VALU_DEP_2) | instskip(NEXT) | instid1(VALU_DEP_1)
	v_and_or_b32 v0, 0x8000, v0, v2
	v_lshl_or_b32 v78, v0, 16, v1
.LBB296_577:                            ;   in Loop: Header=BB296_16 Depth=1
	s_wait_alu 0xfffe
	s_or_b32 exec_lo, exec_lo, s22
.LBB296_578:                            ;   in Loop: Header=BB296_16 Depth=1
	s_wait_alu 0xfffe
	s_or_b32 exec_lo, exec_lo, s21
.LBB296_579:                            ;   in Loop: Header=BB296_16 Depth=1
	s_wait_alu 0xfffe
	s_or_b32 exec_lo, exec_lo, s20
	v_lshrrev_b32_e32 v7, 16, v32
	s_mov_b32 s20, exec_lo
	s_delay_alu instid0(VALU_DEP_1) | instskip(NEXT) | instid1(VALU_DEP_1)
	v_and_b32_e32 v0, 0xff, v7
	v_cmpx_ne_u16_e32 0, v0
	s_cbranch_execz .LBB296_587
; %bb.580:                              ;   in Loop: Header=BB296_16 Depth=1
	v_mov_b32_e32 v48, 0x8000
	s_mov_b32 s21, exec_lo
	v_cmpx_ne_u16_e32 0x80, v0
	s_cbranch_execz .LBB296_586
; %bb.581:                              ;   in Loop: Header=BB296_16 Depth=1
	v_bfe_u32 v2, v32, 16, 7
	v_mov_b32_e32 v48, 0x7c01
	s_mov_b32 s22, exec_lo
	s_delay_alu instid0(VALU_DEP_2)
	v_cmpx_ne_u32_e32 0x7f, v2
	s_cbranch_execz .LBB296_585
; %bb.582:                              ;   in Loop: Header=BB296_16 Depth=1
	v_and_b32_e32 v0, 7, v7
	v_lshrrev_b32_e32 v1, 3, v2
	s_mov_b32 s23, exec_lo
	v_cmpx_gt_u32_e32 8, v2
; %bb.583:                              ;   in Loop: Header=BB296_16 Depth=1
	s_delay_alu instid0(VALU_DEP_3) | instskip(NEXT) | instid1(VALU_DEP_1)
	v_clz_i32_u32_e32 v0, v0
	v_min_u32_e32 v2, 32, v0
	s_delay_alu instid0(VALU_DEP_1) | instskip(NEXT) | instid1(VALU_DEP_1)
	v_subrev_nc_u32_e32 v0, 28, v2
	v_lshlrev_b64_e32 v[0:1], v0, v[7:8]
	v_sub_nc_u32_e32 v1, 29, v2
	s_delay_alu instid0(VALU_DEP_2)
	v_and_b32_e32 v0, 7, v0
; %bb.584:                              ;   in Loop: Header=BB296_16 Depth=1
	s_wait_alu 0xfffe
	s_or_b32 exec_lo, exec_lo, s23
	v_lshlrev_b32_e32 v2, 8, v7
	v_lshl_add_u32 v1, v1, 10, 0x2000
	v_lshlrev_b32_e32 v0, 7, v0
	s_delay_alu instid0(VALU_DEP_3) | instskip(NEXT) | instid1(VALU_DEP_3)
	v_and_b32_e32 v2, 0x8000, v2
	v_and_b32_e32 v1, 0xfc00, v1
	s_delay_alu instid0(VALU_DEP_1)
	v_or3_b32 v48, v2, v1, v0
.LBB296_585:                            ;   in Loop: Header=BB296_16 Depth=1
	s_wait_alu 0xfffe
	s_or_b32 exec_lo, exec_lo, s22
.LBB296_586:                            ;   in Loop: Header=BB296_16 Depth=1
	s_wait_alu 0xfffe
	s_or_b32 exec_lo, exec_lo, s21
.LBB296_587:                            ;   in Loop: Header=BB296_16 Depth=1
	s_wait_alu 0xfffe
	s_or_b32 exec_lo, exec_lo, s20
	v_mov_b32_e32 v133, 0
	v_mov_b32_e32 v79, 0
	s_mov_b32 s20, exec_lo
	v_cmpx_lt_u64_e64 s[8:9], v[31:32]
	s_cbranch_execz .LBB296_595
; %bb.588:                              ;   in Loop: Header=BB296_16 Depth=1
	v_lshrrev_b32_e32 v7, 24, v32
	v_bfrev_b32_e32 v79, 1
	s_mov_b32 s21, exec_lo
	s_delay_alu instid0(VALU_DEP_2)
	v_cmpx_ne_u32_e32 0x80, v7
	s_cbranch_execz .LBB296_594
; %bb.589:                              ;   in Loop: Header=BB296_16 Depth=1
	v_and_b32_e32 v2, 0x7f, v7
	v_mov_b32_e32 v79, 0x7c010000
	s_mov_b32 s22, exec_lo
	s_delay_alu instid0(VALU_DEP_2)
	v_cmpx_ne_u32_e32 0x7f, v2
	s_cbranch_execz .LBB296_593
; %bb.590:                              ;   in Loop: Header=BB296_16 Depth=1
	v_and_b32_e32 v0, 7, v7
	v_lshrrev_b32_e32 v1, 3, v2
	s_mov_b32 s23, exec_lo
	v_cmpx_gt_u32_e32 8, v2
; %bb.591:                              ;   in Loop: Header=BB296_16 Depth=1
	s_delay_alu instid0(VALU_DEP_3) | instskip(NEXT) | instid1(VALU_DEP_1)
	v_clz_i32_u32_e32 v0, v0
	v_min_u32_e32 v2, 32, v0
	s_delay_alu instid0(VALU_DEP_1) | instskip(NEXT) | instid1(VALU_DEP_1)
	v_subrev_nc_u32_e32 v0, 28, v2
	v_lshlrev_b64_e32 v[0:1], v0, v[7:8]
	v_sub_nc_u32_e32 v1, 29, v2
	s_delay_alu instid0(VALU_DEP_2)
	v_and_b32_e32 v0, 7, v0
; %bb.592:                              ;   in Loop: Header=BB296_16 Depth=1
	s_wait_alu 0xfffe
	s_or_b32 exec_lo, exec_lo, s23
	v_lshlrev_b32_e32 v2, 8, v7
	v_lshl_add_u32 v1, v1, 10, 0x2000
	v_lshlrev_b32_e32 v0, 23, v0
	s_delay_alu instid0(VALU_DEP_2) | instskip(NEXT) | instid1(VALU_DEP_1)
	v_and_or_b32 v1, 0x8000, v2, v1
	v_lshl_or_b32 v79, v1, 16, v0
.LBB296_593:                            ;   in Loop: Header=BB296_16 Depth=1
	s_wait_alu 0xfffe
	s_or_b32 exec_lo, exec_lo, s22
.LBB296_594:                            ;   in Loop: Header=BB296_16 Depth=1
	s_wait_alu 0xfffe
	s_or_b32 exec_lo, exec_lo, s21
.LBB296_595:                            ;   in Loop: Header=BB296_16 Depth=1
	s_wait_alu 0xfffe
	s_or_b32 exec_lo, exec_lo, s20
	flat_load_b64 v[31:32], v[28:29] offset:2056
	s_mov_b32 s20, exec_lo
	s_wait_loadcnt_dscnt 0x0
	v_and_b32_e32 v0, 0xff, v31
	s_delay_alu instid0(VALU_DEP_1)
	v_cmpx_ne_u16_e32 0, v0
	s_cbranch_execz .LBB296_603
; %bb.596:                              ;   in Loop: Header=BB296_16 Depth=1
	v_mov_b32_e32 v133, 0x8000
	s_mov_b32 s21, exec_lo
	v_cmpx_ne_u16_e32 0x80, v0
	s_cbranch_execz .LBB296_602
; %bb.597:                              ;   in Loop: Header=BB296_16 Depth=1
	v_and_b32_e32 v2, 0x7f, v31
	v_mov_b32_e32 v133, 0x7c01
	s_mov_b32 s22, exec_lo
	s_delay_alu instid0(VALU_DEP_2)
	v_cmpx_ne_u32_e32 0x7f, v2
	s_cbranch_execz .LBB296_601
; %bb.598:                              ;   in Loop: Header=BB296_16 Depth=1
	v_and_b32_e32 v0, 7, v31
	v_lshrrev_b32_e32 v1, 3, v2
	s_mov_b32 s23, exec_lo
	v_cmpx_gt_u32_e32 8, v2
; %bb.599:                              ;   in Loop: Header=BB296_16 Depth=1
	s_delay_alu instid0(VALU_DEP_3) | instskip(NEXT) | instid1(VALU_DEP_1)
	v_clz_i32_u32_e32 v0, v0
	v_min_u32_e32 v2, 32, v0
	s_delay_alu instid0(VALU_DEP_1) | instskip(NEXT) | instid1(VALU_DEP_1)
	v_subrev_nc_u32_e32 v0, 28, v2
	v_lshlrev_b64_e32 v[0:1], v0, v[31:32]
	v_sub_nc_u32_e32 v1, 29, v2
	s_delay_alu instid0(VALU_DEP_2)
	v_and_b32_e32 v0, 7, v0
; %bb.600:                              ;   in Loop: Header=BB296_16 Depth=1
	s_wait_alu 0xfffe
	s_or_b32 exec_lo, exec_lo, s23
	v_lshlrev_b32_e32 v2, 8, v31
	v_lshl_add_u32 v1, v1, 10, 0x2000
	v_lshlrev_b32_e32 v0, 7, v0
	s_delay_alu instid0(VALU_DEP_3) | instskip(NEXT) | instid1(VALU_DEP_3)
	v_and_b32_e32 v2, 0x8000, v2
	v_and_b32_e32 v1, 0xfc00, v1
	s_delay_alu instid0(VALU_DEP_1)
	v_or3_b32 v133, v2, v1, v0
.LBB296_601:                            ;   in Loop: Header=BB296_16 Depth=1
	s_wait_alu 0xfffe
	s_or_b32 exec_lo, exec_lo, s22
.LBB296_602:                            ;   in Loop: Header=BB296_16 Depth=1
	s_wait_alu 0xfffe
	s_or_b32 exec_lo, exec_lo, s21
.LBB296_603:                            ;   in Loop: Header=BB296_16 Depth=1
	s_wait_alu 0xfffe
	s_or_b32 exec_lo, exec_lo, s20
	v_lshrrev_b16 v7, 8, v31
	v_mov_b32_e32 v37, 0
	v_mov_b32_e32 v89, 0
	s_mov_b32 s20, exec_lo
	s_delay_alu instid0(VALU_DEP_3)
	v_cmpx_ne_u16_e32 0, v7
	s_cbranch_execz .LBB296_611
; %bb.604:                              ;   in Loop: Header=BB296_16 Depth=1
	v_bfrev_b32_e32 v89, 1
	s_mov_b32 s21, exec_lo
	v_cmpx_ne_u16_e32 0x80, v7
	s_cbranch_execz .LBB296_610
; %bb.605:                              ;   in Loop: Header=BB296_16 Depth=1
	v_and_b32_e32 v0, 0xffff, v7
	v_mov_b32_e32 v89, 0x7c010000
	s_mov_b32 s22, exec_lo
	s_delay_alu instid0(VALU_DEP_2) | instskip(NEXT) | instid1(VALU_DEP_1)
	v_and_b32_e32 v3, 0x7f, v0
	v_cmpx_ne_u32_e32 0x7f, v3
	s_cbranch_execz .LBB296_609
; %bb.606:                              ;   in Loop: Header=BB296_16 Depth=1
	v_and_b32_e32 v1, 7, v0
	v_lshrrev_b32_e32 v2, 3, v3
	s_mov_b32 s23, exec_lo
	v_cmpx_gt_u32_e32 8, v3
; %bb.607:                              ;   in Loop: Header=BB296_16 Depth=1
	s_delay_alu instid0(VALU_DEP_3) | instskip(NEXT) | instid1(VALU_DEP_1)
	v_clz_i32_u32_e32 v1, v1
	v_min_u32_e32 v3, 32, v1
	s_delay_alu instid0(VALU_DEP_1) | instskip(NEXT) | instid1(VALU_DEP_1)
	v_subrev_nc_u32_e32 v1, 28, v3
	v_lshlrev_b64_e32 v[1:2], v1, v[7:8]
	v_sub_nc_u32_e32 v2, 29, v3
	s_delay_alu instid0(VALU_DEP_2)
	v_and_b32_e32 v1, 7, v1
; %bb.608:                              ;   in Loop: Header=BB296_16 Depth=1
	s_wait_alu 0xfffe
	s_or_b32 exec_lo, exec_lo, s23
	v_lshlrev_b32_e32 v0, 8, v0
	v_lshl_add_u32 v2, v2, 10, 0x2000
	v_lshlrev_b32_e32 v1, 23, v1
	s_delay_alu instid0(VALU_DEP_2) | instskip(NEXT) | instid1(VALU_DEP_1)
	v_and_or_b32 v0, 0x8000, v0, v2
	v_lshl_or_b32 v89, v0, 16, v1
.LBB296_609:                            ;   in Loop: Header=BB296_16 Depth=1
	s_wait_alu 0xfffe
	s_or_b32 exec_lo, exec_lo, s22
.LBB296_610:                            ;   in Loop: Header=BB296_16 Depth=1
	s_wait_alu 0xfffe
	s_or_b32 exec_lo, exec_lo, s21
.LBB296_611:                            ;   in Loop: Header=BB296_16 Depth=1
	s_wait_alu 0xfffe
	s_or_b32 exec_lo, exec_lo, s20
	v_lshrrev_b32_e32 v7, 16, v31
	s_mov_b32 s20, exec_lo
	s_delay_alu instid0(VALU_DEP_1) | instskip(NEXT) | instid1(VALU_DEP_1)
	v_and_b32_e32 v0, 0xff, v7
	v_cmpx_ne_u16_e32 0, v0
	s_cbranch_execz .LBB296_619
; %bb.612:                              ;   in Loop: Header=BB296_16 Depth=1
	v_mov_b32_e32 v37, 0x8000
	s_mov_b32 s21, exec_lo
	v_cmpx_ne_u16_e32 0x80, v0
	s_cbranch_execz .LBB296_618
; %bb.613:                              ;   in Loop: Header=BB296_16 Depth=1
	v_bfe_u32 v2, v31, 16, 7
	v_mov_b32_e32 v37, 0x7c01
	s_mov_b32 s22, exec_lo
	s_delay_alu instid0(VALU_DEP_2)
	v_cmpx_ne_u32_e32 0x7f, v2
	s_cbranch_execz .LBB296_617
; %bb.614:                              ;   in Loop: Header=BB296_16 Depth=1
	v_and_b32_e32 v0, 7, v7
	v_lshrrev_b32_e32 v1, 3, v2
	s_mov_b32 s23, exec_lo
	v_cmpx_gt_u32_e32 8, v2
; %bb.615:                              ;   in Loop: Header=BB296_16 Depth=1
	s_delay_alu instid0(VALU_DEP_3) | instskip(NEXT) | instid1(VALU_DEP_1)
	v_clz_i32_u32_e32 v0, v0
	v_min_u32_e32 v2, 32, v0
	s_delay_alu instid0(VALU_DEP_1) | instskip(NEXT) | instid1(VALU_DEP_1)
	v_subrev_nc_u32_e32 v0, 28, v2
	v_lshlrev_b64_e32 v[0:1], v0, v[7:8]
	v_sub_nc_u32_e32 v1, 29, v2
	s_delay_alu instid0(VALU_DEP_2)
	v_and_b32_e32 v0, 7, v0
; %bb.616:                              ;   in Loop: Header=BB296_16 Depth=1
	s_wait_alu 0xfffe
	s_or_b32 exec_lo, exec_lo, s23
	v_lshlrev_b32_e32 v2, 8, v7
	v_lshl_add_u32 v1, v1, 10, 0x2000
	v_lshlrev_b32_e32 v0, 7, v0
	s_delay_alu instid0(VALU_DEP_3) | instskip(NEXT) | instid1(VALU_DEP_3)
	v_and_b32_e32 v2, 0x8000, v2
	v_and_b32_e32 v1, 0xfc00, v1
	s_delay_alu instid0(VALU_DEP_1)
	v_or3_b32 v37, v2, v1, v0
.LBB296_617:                            ;   in Loop: Header=BB296_16 Depth=1
	s_wait_alu 0xfffe
	s_or_b32 exec_lo, exec_lo, s22
.LBB296_618:                            ;   in Loop: Header=BB296_16 Depth=1
	s_wait_alu 0xfffe
	s_or_b32 exec_lo, exec_lo, s21
.LBB296_619:                            ;   in Loop: Header=BB296_16 Depth=1
	s_wait_alu 0xfffe
	s_or_b32 exec_lo, exec_lo, s20
	v_mov_b32_e32 v92, 0
	v_mov_b32_e32 v94, 0
	s_mov_b32 s20, exec_lo
	v_cmpx_lt_u32_e32 0xffffff, v31
	s_cbranch_execz .LBB296_627
; %bb.620:                              ;   in Loop: Header=BB296_16 Depth=1
	v_lshrrev_b32_e32 v7, 24, v31
	v_bfrev_b32_e32 v94, 1
	s_mov_b32 s21, exec_lo
	s_delay_alu instid0(VALU_DEP_2)
	v_cmpx_ne_u32_e32 0x80, v7
	s_cbranch_execz .LBB296_626
; %bb.621:                              ;   in Loop: Header=BB296_16 Depth=1
	v_and_b32_e32 v2, 0x7f, v7
	v_mov_b32_e32 v94, 0x7c010000
	s_mov_b32 s22, exec_lo
	s_delay_alu instid0(VALU_DEP_2)
	v_cmpx_ne_u32_e32 0x7f, v2
	s_cbranch_execz .LBB296_625
; %bb.622:                              ;   in Loop: Header=BB296_16 Depth=1
	v_and_b32_e32 v0, 7, v7
	v_lshrrev_b32_e32 v1, 3, v2
	s_mov_b32 s23, exec_lo
	v_cmpx_gt_u32_e32 8, v2
; %bb.623:                              ;   in Loop: Header=BB296_16 Depth=1
	s_delay_alu instid0(VALU_DEP_3) | instskip(NEXT) | instid1(VALU_DEP_1)
	v_clz_i32_u32_e32 v0, v0
	v_min_u32_e32 v2, 32, v0
	s_delay_alu instid0(VALU_DEP_1) | instskip(NEXT) | instid1(VALU_DEP_1)
	v_subrev_nc_u32_e32 v0, 28, v2
	v_lshlrev_b64_e32 v[0:1], v0, v[7:8]
	v_sub_nc_u32_e32 v1, 29, v2
	s_delay_alu instid0(VALU_DEP_2)
	v_and_b32_e32 v0, 7, v0
; %bb.624:                              ;   in Loop: Header=BB296_16 Depth=1
	s_wait_alu 0xfffe
	s_or_b32 exec_lo, exec_lo, s23
	v_lshlrev_b32_e32 v2, 8, v7
	v_lshl_add_u32 v1, v1, 10, 0x2000
	v_lshlrev_b32_e32 v0, 23, v0
	s_delay_alu instid0(VALU_DEP_2) | instskip(NEXT) | instid1(VALU_DEP_1)
	v_and_or_b32 v1, 0x8000, v2, v1
	v_lshl_or_b32 v94, v1, 16, v0
.LBB296_625:                            ;   in Loop: Header=BB296_16 Depth=1
	s_wait_alu 0xfffe
	s_or_b32 exec_lo, exec_lo, s22
.LBB296_626:                            ;   in Loop: Header=BB296_16 Depth=1
	s_wait_alu 0xfffe
	s_or_b32 exec_lo, exec_lo, s21
.LBB296_627:                            ;   in Loop: Header=BB296_16 Depth=1
	s_wait_alu 0xfffe
	s_or_b32 exec_lo, exec_lo, s20
	v_dual_mov_b32 v7, v32 :: v_dual_and_b32 v0, 0xff, v32
	s_mov_b32 s20, exec_lo
	s_delay_alu instid0(VALU_DEP_1)
	v_cmpx_ne_u16_e32 0, v0
	s_cbranch_execz .LBB296_635
; %bb.628:                              ;   in Loop: Header=BB296_16 Depth=1
	v_mov_b32_e32 v92, 0x8000
	s_mov_b32 s21, exec_lo
	v_cmpx_ne_u16_e32 0x80, v0
	s_cbranch_execz .LBB296_634
; %bb.629:                              ;   in Loop: Header=BB296_16 Depth=1
	v_and_b32_e32 v2, 0x7f, v32
	v_mov_b32_e32 v92, 0x7c01
	s_mov_b32 s22, exec_lo
	s_delay_alu instid0(VALU_DEP_2)
	v_cmpx_ne_u32_e32 0x7f, v2
	s_cbranch_execz .LBB296_633
; %bb.630:                              ;   in Loop: Header=BB296_16 Depth=1
	v_and_b32_e32 v0, 7, v32
	v_lshrrev_b32_e32 v1, 3, v2
	s_mov_b32 s23, exec_lo
	v_cmpx_gt_u32_e32 8, v2
; %bb.631:                              ;   in Loop: Header=BB296_16 Depth=1
	s_delay_alu instid0(VALU_DEP_3) | instskip(NEXT) | instid1(VALU_DEP_1)
	v_clz_i32_u32_e32 v0, v0
	v_min_u32_e32 v2, 32, v0
	s_delay_alu instid0(VALU_DEP_1) | instskip(NEXT) | instid1(VALU_DEP_1)
	v_subrev_nc_u32_e32 v0, 28, v2
	v_lshlrev_b64_e32 v[0:1], v0, v[7:8]
	v_sub_nc_u32_e32 v1, 29, v2
	s_delay_alu instid0(VALU_DEP_2)
	v_and_b32_e32 v0, 7, v0
; %bb.632:                              ;   in Loop: Header=BB296_16 Depth=1
	s_wait_alu 0xfffe
	s_or_b32 exec_lo, exec_lo, s23
	v_lshlrev_b32_e32 v2, 8, v32
	v_lshl_add_u32 v1, v1, 10, 0x2000
	v_lshlrev_b32_e32 v0, 7, v0
	s_delay_alu instid0(VALU_DEP_3) | instskip(NEXT) | instid1(VALU_DEP_3)
	v_and_b32_e32 v2, 0x8000, v2
	v_and_b32_e32 v1, 0xfc00, v1
	s_delay_alu instid0(VALU_DEP_1)
	v_or3_b32 v92, v2, v1, v0
.LBB296_633:                            ;   in Loop: Header=BB296_16 Depth=1
	s_wait_alu 0xfffe
	s_or_b32 exec_lo, exec_lo, s22
.LBB296_634:                            ;   in Loop: Header=BB296_16 Depth=1
	s_wait_alu 0xfffe
	s_or_b32 exec_lo, exec_lo, s21
.LBB296_635:                            ;   in Loop: Header=BB296_16 Depth=1
	s_wait_alu 0xfffe
	s_or_b32 exec_lo, exec_lo, s20
	v_lshrrev_b16 v7, 8, v7
	v_dual_mov_b32 v24, 0 :: v_dual_mov_b32 v95, 0
	s_mov_b32 s20, exec_lo
	s_delay_alu instid0(VALU_DEP_2)
	v_cmpx_ne_u16_e32 0, v7
	s_cbranch_execz .LBB296_643
; %bb.636:                              ;   in Loop: Header=BB296_16 Depth=1
	v_bfrev_b32_e32 v95, 1
	s_mov_b32 s21, exec_lo
	v_cmpx_ne_u16_e32 0x80, v7
	s_cbranch_execz .LBB296_642
; %bb.637:                              ;   in Loop: Header=BB296_16 Depth=1
	v_and_b32_e32 v0, 0xffff, v7
	v_mov_b32_e32 v95, 0x7c010000
	s_mov_b32 s22, exec_lo
	s_delay_alu instid0(VALU_DEP_2) | instskip(NEXT) | instid1(VALU_DEP_1)
	v_and_b32_e32 v3, 0x7f, v0
	v_cmpx_ne_u32_e32 0x7f, v3
	s_cbranch_execz .LBB296_641
; %bb.638:                              ;   in Loop: Header=BB296_16 Depth=1
	v_and_b32_e32 v1, 7, v0
	v_lshrrev_b32_e32 v2, 3, v3
	s_mov_b32 s23, exec_lo
	v_cmpx_gt_u32_e32 8, v3
; %bb.639:                              ;   in Loop: Header=BB296_16 Depth=1
	s_delay_alu instid0(VALU_DEP_3) | instskip(NEXT) | instid1(VALU_DEP_1)
	v_clz_i32_u32_e32 v1, v1
	v_min_u32_e32 v3, 32, v1
	s_delay_alu instid0(VALU_DEP_1) | instskip(NEXT) | instid1(VALU_DEP_1)
	v_subrev_nc_u32_e32 v1, 28, v3
	v_lshlrev_b64_e32 v[1:2], v1, v[7:8]
	v_sub_nc_u32_e32 v2, 29, v3
	s_delay_alu instid0(VALU_DEP_2)
	v_and_b32_e32 v1, 7, v1
; %bb.640:                              ;   in Loop: Header=BB296_16 Depth=1
	s_wait_alu 0xfffe
	s_or_b32 exec_lo, exec_lo, s23
	v_lshlrev_b32_e32 v0, 8, v0
	v_lshl_add_u32 v2, v2, 10, 0x2000
	v_lshlrev_b32_e32 v1, 23, v1
	s_delay_alu instid0(VALU_DEP_2) | instskip(NEXT) | instid1(VALU_DEP_1)
	v_and_or_b32 v0, 0x8000, v0, v2
	v_lshl_or_b32 v95, v0, 16, v1
.LBB296_641:                            ;   in Loop: Header=BB296_16 Depth=1
	s_wait_alu 0xfffe
	s_or_b32 exec_lo, exec_lo, s22
.LBB296_642:                            ;   in Loop: Header=BB296_16 Depth=1
	s_wait_alu 0xfffe
	s_or_b32 exec_lo, exec_lo, s21
.LBB296_643:                            ;   in Loop: Header=BB296_16 Depth=1
	s_wait_alu 0xfffe
	s_or_b32 exec_lo, exec_lo, s20
	v_lshrrev_b32_e32 v7, 16, v32
	s_mov_b32 s20, exec_lo
	s_delay_alu instid0(VALU_DEP_1) | instskip(NEXT) | instid1(VALU_DEP_1)
	v_and_b32_e32 v0, 0xff, v7
	v_cmpx_ne_u16_e32 0, v0
	s_cbranch_execz .LBB296_651
; %bb.644:                              ;   in Loop: Header=BB296_16 Depth=1
	v_mov_b32_e32 v24, 0x8000
	s_mov_b32 s21, exec_lo
	v_cmpx_ne_u16_e32 0x80, v0
	s_cbranch_execz .LBB296_650
; %bb.645:                              ;   in Loop: Header=BB296_16 Depth=1
	v_bfe_u32 v2, v32, 16, 7
	v_mov_b32_e32 v24, 0x7c01
	s_mov_b32 s22, exec_lo
	s_delay_alu instid0(VALU_DEP_2)
	v_cmpx_ne_u32_e32 0x7f, v2
	s_cbranch_execz .LBB296_649
; %bb.646:                              ;   in Loop: Header=BB296_16 Depth=1
	v_and_b32_e32 v0, 7, v7
	v_lshrrev_b32_e32 v1, 3, v2
	s_mov_b32 s23, exec_lo
	v_cmpx_gt_u32_e32 8, v2
; %bb.647:                              ;   in Loop: Header=BB296_16 Depth=1
	s_delay_alu instid0(VALU_DEP_3) | instskip(NEXT) | instid1(VALU_DEP_1)
	v_clz_i32_u32_e32 v0, v0
	v_min_u32_e32 v2, 32, v0
	s_delay_alu instid0(VALU_DEP_1) | instskip(NEXT) | instid1(VALU_DEP_1)
	v_subrev_nc_u32_e32 v0, 28, v2
	v_lshlrev_b64_e32 v[0:1], v0, v[7:8]
	v_sub_nc_u32_e32 v1, 29, v2
	s_delay_alu instid0(VALU_DEP_2)
	v_and_b32_e32 v0, 7, v0
; %bb.648:                              ;   in Loop: Header=BB296_16 Depth=1
	s_wait_alu 0xfffe
	s_or_b32 exec_lo, exec_lo, s23
	v_lshlrev_b32_e32 v2, 8, v7
	v_lshl_add_u32 v1, v1, 10, 0x2000
	v_lshlrev_b32_e32 v0, 7, v0
	s_delay_alu instid0(VALU_DEP_3) | instskip(NEXT) | instid1(VALU_DEP_3)
	v_and_b32_e32 v2, 0x8000, v2
	v_and_b32_e32 v1, 0xfc00, v1
	s_delay_alu instid0(VALU_DEP_1)
	v_or3_b32 v24, v2, v1, v0
.LBB296_649:                            ;   in Loop: Header=BB296_16 Depth=1
	s_wait_alu 0xfffe
	s_or_b32 exec_lo, exec_lo, s22
.LBB296_650:                            ;   in Loop: Header=BB296_16 Depth=1
	s_wait_alu 0xfffe
	s_or_b32 exec_lo, exec_lo, s21
.LBB296_651:                            ;   in Loop: Header=BB296_16 Depth=1
	s_wait_alu 0xfffe
	s_or_b32 exec_lo, exec_lo, s20
	v_mov_b32_e32 v105, 0
	v_mov_b32_e32 v81, 0
	s_mov_b32 s20, exec_lo
	v_cmpx_lt_u64_e64 s[8:9], v[31:32]
	s_cbranch_execz .LBB296_659
; %bb.652:                              ;   in Loop: Header=BB296_16 Depth=1
	v_lshrrev_b32_e32 v7, 24, v32
	v_bfrev_b32_e32 v81, 1
	s_mov_b32 s21, exec_lo
	s_delay_alu instid0(VALU_DEP_2)
	v_cmpx_ne_u32_e32 0x80, v7
	s_cbranch_execz .LBB296_658
; %bb.653:                              ;   in Loop: Header=BB296_16 Depth=1
	v_and_b32_e32 v2, 0x7f, v7
	v_mov_b32_e32 v81, 0x7c010000
	s_mov_b32 s22, exec_lo
	s_delay_alu instid0(VALU_DEP_2)
	v_cmpx_ne_u32_e32 0x7f, v2
	s_cbranch_execz .LBB296_657
; %bb.654:                              ;   in Loop: Header=BB296_16 Depth=1
	v_and_b32_e32 v0, 7, v7
	v_lshrrev_b32_e32 v1, 3, v2
	s_mov_b32 s23, exec_lo
	v_cmpx_gt_u32_e32 8, v2
; %bb.655:                              ;   in Loop: Header=BB296_16 Depth=1
	s_delay_alu instid0(VALU_DEP_3) | instskip(NEXT) | instid1(VALU_DEP_1)
	v_clz_i32_u32_e32 v0, v0
	v_min_u32_e32 v2, 32, v0
	s_delay_alu instid0(VALU_DEP_1) | instskip(NEXT) | instid1(VALU_DEP_1)
	v_subrev_nc_u32_e32 v0, 28, v2
	v_lshlrev_b64_e32 v[0:1], v0, v[7:8]
	v_sub_nc_u32_e32 v1, 29, v2
	s_delay_alu instid0(VALU_DEP_2)
	v_and_b32_e32 v0, 7, v0
; %bb.656:                              ;   in Loop: Header=BB296_16 Depth=1
	s_wait_alu 0xfffe
	s_or_b32 exec_lo, exec_lo, s23
	v_lshlrev_b32_e32 v2, 8, v7
	v_lshl_add_u32 v1, v1, 10, 0x2000
	v_lshlrev_b32_e32 v0, 23, v0
	s_delay_alu instid0(VALU_DEP_2) | instskip(NEXT) | instid1(VALU_DEP_1)
	v_and_or_b32 v1, 0x8000, v2, v1
	v_lshl_or_b32 v81, v1, 16, v0
.LBB296_657:                            ;   in Loop: Header=BB296_16 Depth=1
	s_wait_alu 0xfffe
	s_or_b32 exec_lo, exec_lo, s22
.LBB296_658:                            ;   in Loop: Header=BB296_16 Depth=1
	s_wait_alu 0xfffe
	s_or_b32 exec_lo, exec_lo, s21
.LBB296_659:                            ;   in Loop: Header=BB296_16 Depth=1
	s_wait_alu 0xfffe
	s_or_b32 exec_lo, exec_lo, s20
	flat_load_b64 v[31:32], v[28:29] offset:2560
	s_mov_b32 s20, exec_lo
	s_wait_loadcnt_dscnt 0x0
	v_and_b32_e32 v0, 0xff, v31
	s_delay_alu instid0(VALU_DEP_1)
	v_cmpx_ne_u16_e32 0, v0
	s_cbranch_execz .LBB296_667
; %bb.660:                              ;   in Loop: Header=BB296_16 Depth=1
	v_mov_b32_e32 v105, 0x8000
	s_mov_b32 s21, exec_lo
	v_cmpx_ne_u16_e32 0x80, v0
	s_cbranch_execz .LBB296_666
; %bb.661:                              ;   in Loop: Header=BB296_16 Depth=1
	v_and_b32_e32 v2, 0x7f, v31
	v_mov_b32_e32 v105, 0x7c01
	s_mov_b32 s22, exec_lo
	s_delay_alu instid0(VALU_DEP_2)
	v_cmpx_ne_u32_e32 0x7f, v2
	s_cbranch_execz .LBB296_665
; %bb.662:                              ;   in Loop: Header=BB296_16 Depth=1
	v_and_b32_e32 v0, 7, v31
	v_lshrrev_b32_e32 v1, 3, v2
	s_mov_b32 s23, exec_lo
	v_cmpx_gt_u32_e32 8, v2
; %bb.663:                              ;   in Loop: Header=BB296_16 Depth=1
	s_delay_alu instid0(VALU_DEP_3) | instskip(NEXT) | instid1(VALU_DEP_1)
	v_clz_i32_u32_e32 v0, v0
	v_min_u32_e32 v2, 32, v0
	s_delay_alu instid0(VALU_DEP_1) | instskip(NEXT) | instid1(VALU_DEP_1)
	v_subrev_nc_u32_e32 v0, 28, v2
	v_lshlrev_b64_e32 v[0:1], v0, v[31:32]
	v_sub_nc_u32_e32 v1, 29, v2
	s_delay_alu instid0(VALU_DEP_2)
	v_and_b32_e32 v0, 7, v0
; %bb.664:                              ;   in Loop: Header=BB296_16 Depth=1
	s_wait_alu 0xfffe
	s_or_b32 exec_lo, exec_lo, s23
	v_lshlrev_b32_e32 v2, 8, v31
	v_lshl_add_u32 v1, v1, 10, 0x2000
	v_lshlrev_b32_e32 v0, 7, v0
	s_delay_alu instid0(VALU_DEP_3) | instskip(NEXT) | instid1(VALU_DEP_3)
	v_and_b32_e32 v2, 0x8000, v2
	v_and_b32_e32 v1, 0xfc00, v1
	s_delay_alu instid0(VALU_DEP_1)
	v_or3_b32 v105, v2, v1, v0
.LBB296_665:                            ;   in Loop: Header=BB296_16 Depth=1
	s_wait_alu 0xfffe
	s_or_b32 exec_lo, exec_lo, s22
.LBB296_666:                            ;   in Loop: Header=BB296_16 Depth=1
	s_wait_alu 0xfffe
	s_or_b32 exec_lo, exec_lo, s21
.LBB296_667:                            ;   in Loop: Header=BB296_16 Depth=1
	s_wait_alu 0xfffe
	s_or_b32 exec_lo, exec_lo, s20
	v_lshrrev_b16 v7, 8, v31
	v_dual_mov_b32 v108, 0 :: v_dual_mov_b32 v17, 0
	s_mov_b32 s20, exec_lo
	s_delay_alu instid0(VALU_DEP_2)
	v_cmpx_ne_u16_e32 0, v7
	s_cbranch_execz .LBB296_675
; %bb.668:                              ;   in Loop: Header=BB296_16 Depth=1
	v_bfrev_b32_e32 v17, 1
	s_mov_b32 s21, exec_lo
	v_cmpx_ne_u16_e32 0x80, v7
	s_cbranch_execz .LBB296_674
; %bb.669:                              ;   in Loop: Header=BB296_16 Depth=1
	v_and_b32_e32 v0, 0xffff, v7
	v_mov_b32_e32 v17, 0x7c010000
	s_mov_b32 s22, exec_lo
	s_delay_alu instid0(VALU_DEP_2) | instskip(NEXT) | instid1(VALU_DEP_1)
	v_and_b32_e32 v3, 0x7f, v0
	v_cmpx_ne_u32_e32 0x7f, v3
	s_cbranch_execz .LBB296_673
; %bb.670:                              ;   in Loop: Header=BB296_16 Depth=1
	v_and_b32_e32 v1, 7, v0
	v_lshrrev_b32_e32 v2, 3, v3
	s_mov_b32 s23, exec_lo
	v_cmpx_gt_u32_e32 8, v3
; %bb.671:                              ;   in Loop: Header=BB296_16 Depth=1
	s_delay_alu instid0(VALU_DEP_3) | instskip(NEXT) | instid1(VALU_DEP_1)
	v_clz_i32_u32_e32 v1, v1
	v_min_u32_e32 v3, 32, v1
	s_delay_alu instid0(VALU_DEP_1) | instskip(NEXT) | instid1(VALU_DEP_1)
	v_subrev_nc_u32_e32 v1, 28, v3
	v_lshlrev_b64_e32 v[1:2], v1, v[7:8]
	v_sub_nc_u32_e32 v2, 29, v3
	s_delay_alu instid0(VALU_DEP_2)
	v_and_b32_e32 v1, 7, v1
; %bb.672:                              ;   in Loop: Header=BB296_16 Depth=1
	s_wait_alu 0xfffe
	s_or_b32 exec_lo, exec_lo, s23
	v_lshlrev_b32_e32 v0, 8, v0
	v_lshl_add_u32 v2, v2, 10, 0x2000
	v_lshlrev_b32_e32 v1, 23, v1
	s_delay_alu instid0(VALU_DEP_2) | instskip(NEXT) | instid1(VALU_DEP_1)
	v_and_or_b32 v0, 0x8000, v0, v2
	v_lshl_or_b32 v17, v0, 16, v1
.LBB296_673:                            ;   in Loop: Header=BB296_16 Depth=1
	s_wait_alu 0xfffe
	s_or_b32 exec_lo, exec_lo, s22
.LBB296_674:                            ;   in Loop: Header=BB296_16 Depth=1
	s_wait_alu 0xfffe
	s_or_b32 exec_lo, exec_lo, s21
.LBB296_675:                            ;   in Loop: Header=BB296_16 Depth=1
	s_wait_alu 0xfffe
	s_or_b32 exec_lo, exec_lo, s20
	v_lshrrev_b32_e32 v7, 16, v31
	s_mov_b32 s20, exec_lo
	s_delay_alu instid0(VALU_DEP_1) | instskip(NEXT) | instid1(VALU_DEP_1)
	v_and_b32_e32 v0, 0xff, v7
	v_cmpx_ne_u16_e32 0, v0
	s_cbranch_execz .LBB296_683
; %bb.676:                              ;   in Loop: Header=BB296_16 Depth=1
	v_mov_b32_e32 v108, 0x8000
	s_mov_b32 s21, exec_lo
	v_cmpx_ne_u16_e32 0x80, v0
	s_cbranch_execz .LBB296_682
; %bb.677:                              ;   in Loop: Header=BB296_16 Depth=1
	v_bfe_u32 v2, v31, 16, 7
	v_mov_b32_e32 v108, 0x7c01
	s_mov_b32 s22, exec_lo
	s_delay_alu instid0(VALU_DEP_2)
	v_cmpx_ne_u32_e32 0x7f, v2
	s_cbranch_execz .LBB296_681
; %bb.678:                              ;   in Loop: Header=BB296_16 Depth=1
	v_and_b32_e32 v0, 7, v7
	v_lshrrev_b32_e32 v1, 3, v2
	s_mov_b32 s23, exec_lo
	v_cmpx_gt_u32_e32 8, v2
; %bb.679:                              ;   in Loop: Header=BB296_16 Depth=1
	s_delay_alu instid0(VALU_DEP_3) | instskip(NEXT) | instid1(VALU_DEP_1)
	v_clz_i32_u32_e32 v0, v0
	v_min_u32_e32 v2, 32, v0
	s_delay_alu instid0(VALU_DEP_1) | instskip(NEXT) | instid1(VALU_DEP_1)
	v_subrev_nc_u32_e32 v0, 28, v2
	v_lshlrev_b64_e32 v[0:1], v0, v[7:8]
	v_sub_nc_u32_e32 v1, 29, v2
	s_delay_alu instid0(VALU_DEP_2)
	v_and_b32_e32 v0, 7, v0
; %bb.680:                              ;   in Loop: Header=BB296_16 Depth=1
	s_wait_alu 0xfffe
	s_or_b32 exec_lo, exec_lo, s23
	v_lshlrev_b32_e32 v2, 8, v7
	v_lshl_add_u32 v1, v1, 10, 0x2000
	v_lshlrev_b32_e32 v0, 7, v0
	s_delay_alu instid0(VALU_DEP_3) | instskip(NEXT) | instid1(VALU_DEP_3)
	v_and_b32_e32 v2, 0x8000, v2
	v_and_b32_e32 v1, 0xfc00, v1
	s_delay_alu instid0(VALU_DEP_1)
	v_or3_b32 v108, v2, v1, v0
.LBB296_681:                            ;   in Loop: Header=BB296_16 Depth=1
	s_wait_alu 0xfffe
	s_or_b32 exec_lo, exec_lo, s22
.LBB296_682:                            ;   in Loop: Header=BB296_16 Depth=1
	s_wait_alu 0xfffe
	s_or_b32 exec_lo, exec_lo, s21
.LBB296_683:                            ;   in Loop: Header=BB296_16 Depth=1
	s_wait_alu 0xfffe
	s_or_b32 exec_lo, exec_lo, s20
	v_dual_mov_b32 v110, 0 :: v_dual_mov_b32 v173, 0
	s_mov_b32 s20, exec_lo
	v_cmpx_lt_u32_e32 0xffffff, v31
	s_cbranch_execz .LBB296_691
; %bb.684:                              ;   in Loop: Header=BB296_16 Depth=1
	v_lshrrev_b32_e32 v7, 24, v31
	v_bfrev_b32_e32 v173, 1
	s_mov_b32 s21, exec_lo
	s_delay_alu instid0(VALU_DEP_2)
	v_cmpx_ne_u32_e32 0x80, v7
	s_cbranch_execz .LBB296_690
; %bb.685:                              ;   in Loop: Header=BB296_16 Depth=1
	v_and_b32_e32 v2, 0x7f, v7
	v_mov_b32_e32 v173, 0x7c010000
	s_mov_b32 s22, exec_lo
	s_delay_alu instid0(VALU_DEP_2)
	v_cmpx_ne_u32_e32 0x7f, v2
	s_cbranch_execz .LBB296_689
; %bb.686:                              ;   in Loop: Header=BB296_16 Depth=1
	v_and_b32_e32 v0, 7, v7
	v_lshrrev_b32_e32 v1, 3, v2
	s_mov_b32 s23, exec_lo
	v_cmpx_gt_u32_e32 8, v2
; %bb.687:                              ;   in Loop: Header=BB296_16 Depth=1
	s_delay_alu instid0(VALU_DEP_3) | instskip(NEXT) | instid1(VALU_DEP_1)
	v_clz_i32_u32_e32 v0, v0
	v_min_u32_e32 v2, 32, v0
	s_delay_alu instid0(VALU_DEP_1) | instskip(NEXT) | instid1(VALU_DEP_1)
	v_subrev_nc_u32_e32 v0, 28, v2
	v_lshlrev_b64_e32 v[0:1], v0, v[7:8]
	v_sub_nc_u32_e32 v1, 29, v2
	s_delay_alu instid0(VALU_DEP_2)
	v_and_b32_e32 v0, 7, v0
; %bb.688:                              ;   in Loop: Header=BB296_16 Depth=1
	s_wait_alu 0xfffe
	s_or_b32 exec_lo, exec_lo, s23
	v_lshlrev_b32_e32 v2, 8, v7
	v_lshl_add_u32 v1, v1, 10, 0x2000
	v_lshlrev_b32_e32 v0, 23, v0
	s_delay_alu instid0(VALU_DEP_2) | instskip(NEXT) | instid1(VALU_DEP_1)
	v_and_or_b32 v1, 0x8000, v2, v1
	v_lshl_or_b32 v173, v1, 16, v0
.LBB296_689:                            ;   in Loop: Header=BB296_16 Depth=1
	s_wait_alu 0xfffe
	s_or_b32 exec_lo, exec_lo, s22
.LBB296_690:                            ;   in Loop: Header=BB296_16 Depth=1
	s_wait_alu 0xfffe
	s_or_b32 exec_lo, exec_lo, s21
.LBB296_691:                            ;   in Loop: Header=BB296_16 Depth=1
	s_wait_alu 0xfffe
	s_or_b32 exec_lo, exec_lo, s20
	v_dual_mov_b32 v7, v32 :: v_dual_and_b32 v0, 0xff, v32
	s_mov_b32 s20, exec_lo
	s_delay_alu instid0(VALU_DEP_1)
	v_cmpx_ne_u16_e32 0, v0
	s_cbranch_execz .LBB296_699
; %bb.692:                              ;   in Loop: Header=BB296_16 Depth=1
	v_mov_b32_e32 v110, 0x8000
	s_mov_b32 s21, exec_lo
	v_cmpx_ne_u16_e32 0x80, v0
	s_cbranch_execz .LBB296_698
; %bb.693:                              ;   in Loop: Header=BB296_16 Depth=1
	v_and_b32_e32 v2, 0x7f, v32
	v_mov_b32_e32 v110, 0x7c01
	s_mov_b32 s22, exec_lo
	s_delay_alu instid0(VALU_DEP_2)
	v_cmpx_ne_u32_e32 0x7f, v2
	s_cbranch_execz .LBB296_697
; %bb.694:                              ;   in Loop: Header=BB296_16 Depth=1
	v_and_b32_e32 v0, 7, v32
	v_lshrrev_b32_e32 v1, 3, v2
	s_mov_b32 s23, exec_lo
	v_cmpx_gt_u32_e32 8, v2
; %bb.695:                              ;   in Loop: Header=BB296_16 Depth=1
	s_delay_alu instid0(VALU_DEP_3) | instskip(NEXT) | instid1(VALU_DEP_1)
	v_clz_i32_u32_e32 v0, v0
	v_min_u32_e32 v2, 32, v0
	s_delay_alu instid0(VALU_DEP_1) | instskip(NEXT) | instid1(VALU_DEP_1)
	v_subrev_nc_u32_e32 v0, 28, v2
	v_lshlrev_b64_e32 v[0:1], v0, v[7:8]
	v_sub_nc_u32_e32 v1, 29, v2
	s_delay_alu instid0(VALU_DEP_2)
	v_and_b32_e32 v0, 7, v0
; %bb.696:                              ;   in Loop: Header=BB296_16 Depth=1
	s_wait_alu 0xfffe
	s_or_b32 exec_lo, exec_lo, s23
	v_lshlrev_b32_e32 v2, 8, v32
	v_lshl_add_u32 v1, v1, 10, 0x2000
	v_lshlrev_b32_e32 v0, 7, v0
	s_delay_alu instid0(VALU_DEP_3) | instskip(NEXT) | instid1(VALU_DEP_3)
	v_and_b32_e32 v2, 0x8000, v2
	v_and_b32_e32 v1, 0xfc00, v1
	s_delay_alu instid0(VALU_DEP_1)
	v_or3_b32 v110, v2, v1, v0
.LBB296_697:                            ;   in Loop: Header=BB296_16 Depth=1
	s_wait_alu 0xfffe
	s_or_b32 exec_lo, exec_lo, s22
.LBB296_698:                            ;   in Loop: Header=BB296_16 Depth=1
	s_wait_alu 0xfffe
	s_or_b32 exec_lo, exec_lo, s21
.LBB296_699:                            ;   in Loop: Header=BB296_16 Depth=1
	s_wait_alu 0xfffe
	s_or_b32 exec_lo, exec_lo, s20
	v_lshrrev_b16 v7, 8, v7
	v_mov_b32_e32 v111, 0
	v_mov_b32_e32 v91, 0
	s_mov_b32 s20, exec_lo
	s_delay_alu instid0(VALU_DEP_3)
	v_cmpx_ne_u16_e32 0, v7
	s_cbranch_execz .LBB296_707
; %bb.700:                              ;   in Loop: Header=BB296_16 Depth=1
	v_bfrev_b32_e32 v91, 1
	s_mov_b32 s21, exec_lo
	v_cmpx_ne_u16_e32 0x80, v7
	s_cbranch_execz .LBB296_706
; %bb.701:                              ;   in Loop: Header=BB296_16 Depth=1
	v_and_b32_e32 v0, 0xffff, v7
	v_mov_b32_e32 v91, 0x7c010000
	s_mov_b32 s22, exec_lo
	s_delay_alu instid0(VALU_DEP_2) | instskip(NEXT) | instid1(VALU_DEP_1)
	v_and_b32_e32 v3, 0x7f, v0
	v_cmpx_ne_u32_e32 0x7f, v3
	s_cbranch_execz .LBB296_705
; %bb.702:                              ;   in Loop: Header=BB296_16 Depth=1
	v_and_b32_e32 v1, 7, v0
	v_lshrrev_b32_e32 v2, 3, v3
	s_mov_b32 s23, exec_lo
	v_cmpx_gt_u32_e32 8, v3
; %bb.703:                              ;   in Loop: Header=BB296_16 Depth=1
	s_delay_alu instid0(VALU_DEP_3) | instskip(NEXT) | instid1(VALU_DEP_1)
	v_clz_i32_u32_e32 v1, v1
	v_min_u32_e32 v3, 32, v1
	s_delay_alu instid0(VALU_DEP_1) | instskip(NEXT) | instid1(VALU_DEP_1)
	v_subrev_nc_u32_e32 v1, 28, v3
	v_lshlrev_b64_e32 v[1:2], v1, v[7:8]
	v_sub_nc_u32_e32 v2, 29, v3
	s_delay_alu instid0(VALU_DEP_2)
	v_and_b32_e32 v1, 7, v1
; %bb.704:                              ;   in Loop: Header=BB296_16 Depth=1
	s_wait_alu 0xfffe
	s_or_b32 exec_lo, exec_lo, s23
	v_lshlrev_b32_e32 v0, 8, v0
	v_lshl_add_u32 v2, v2, 10, 0x2000
	v_lshlrev_b32_e32 v1, 23, v1
	s_delay_alu instid0(VALU_DEP_2) | instskip(NEXT) | instid1(VALU_DEP_1)
	v_and_or_b32 v0, 0x8000, v0, v2
	v_lshl_or_b32 v91, v0, 16, v1
.LBB296_705:                            ;   in Loop: Header=BB296_16 Depth=1
	s_wait_alu 0xfffe
	s_or_b32 exec_lo, exec_lo, s22
.LBB296_706:                            ;   in Loop: Header=BB296_16 Depth=1
	s_wait_alu 0xfffe
	s_or_b32 exec_lo, exec_lo, s21
.LBB296_707:                            ;   in Loop: Header=BB296_16 Depth=1
	s_wait_alu 0xfffe
	s_or_b32 exec_lo, exec_lo, s20
	v_lshrrev_b32_e32 v7, 16, v32
	s_mov_b32 s20, exec_lo
	s_delay_alu instid0(VALU_DEP_1) | instskip(NEXT) | instid1(VALU_DEP_1)
	v_and_b32_e32 v0, 0xff, v7
	v_cmpx_ne_u16_e32 0, v0
	s_cbranch_execz .LBB296_715
; %bb.708:                              ;   in Loop: Header=BB296_16 Depth=1
	v_mov_b32_e32 v111, 0x8000
	s_mov_b32 s21, exec_lo
	v_cmpx_ne_u16_e32 0x80, v0
	s_cbranch_execz .LBB296_714
; %bb.709:                              ;   in Loop: Header=BB296_16 Depth=1
	v_bfe_u32 v2, v32, 16, 7
	v_mov_b32_e32 v111, 0x7c01
	s_mov_b32 s22, exec_lo
	s_delay_alu instid0(VALU_DEP_2)
	v_cmpx_ne_u32_e32 0x7f, v2
	s_cbranch_execz .LBB296_713
; %bb.710:                              ;   in Loop: Header=BB296_16 Depth=1
	v_and_b32_e32 v0, 7, v7
	v_lshrrev_b32_e32 v1, 3, v2
	s_mov_b32 s23, exec_lo
	v_cmpx_gt_u32_e32 8, v2
; %bb.711:                              ;   in Loop: Header=BB296_16 Depth=1
	s_delay_alu instid0(VALU_DEP_3) | instskip(NEXT) | instid1(VALU_DEP_1)
	v_clz_i32_u32_e32 v0, v0
	v_min_u32_e32 v2, 32, v0
	s_delay_alu instid0(VALU_DEP_1) | instskip(NEXT) | instid1(VALU_DEP_1)
	v_subrev_nc_u32_e32 v0, 28, v2
	v_lshlrev_b64_e32 v[0:1], v0, v[7:8]
	v_sub_nc_u32_e32 v1, 29, v2
	s_delay_alu instid0(VALU_DEP_2)
	v_and_b32_e32 v0, 7, v0
; %bb.712:                              ;   in Loop: Header=BB296_16 Depth=1
	s_wait_alu 0xfffe
	s_or_b32 exec_lo, exec_lo, s23
	v_lshlrev_b32_e32 v2, 8, v7
	v_lshl_add_u32 v1, v1, 10, 0x2000
	v_lshlrev_b32_e32 v0, 7, v0
	s_delay_alu instid0(VALU_DEP_3) | instskip(NEXT) | instid1(VALU_DEP_3)
	v_and_b32_e32 v2, 0x8000, v2
	v_and_b32_e32 v1, 0xfc00, v1
	s_delay_alu instid0(VALU_DEP_1)
	v_or3_b32 v111, v2, v1, v0
.LBB296_713:                            ;   in Loop: Header=BB296_16 Depth=1
	s_wait_alu 0xfffe
	s_or_b32 exec_lo, exec_lo, s22
.LBB296_714:                            ;   in Loop: Header=BB296_16 Depth=1
	s_wait_alu 0xfffe
	s_or_b32 exec_lo, exec_lo, s21
.LBB296_715:                            ;   in Loop: Header=BB296_16 Depth=1
	s_wait_alu 0xfffe
	s_or_b32 exec_lo, exec_lo, s20
	v_mov_b32_e32 v19, 0
	v_mov_b32_e32 v169, 0
	s_mov_b32 s20, exec_lo
	v_cmpx_lt_u64_e64 s[8:9], v[31:32]
	s_cbranch_execz .LBB296_723
; %bb.716:                              ;   in Loop: Header=BB296_16 Depth=1
	v_lshrrev_b32_e32 v7, 24, v32
	v_bfrev_b32_e32 v169, 1
	s_mov_b32 s21, exec_lo
	s_delay_alu instid0(VALU_DEP_2)
	v_cmpx_ne_u32_e32 0x80, v7
	s_cbranch_execz .LBB296_722
; %bb.717:                              ;   in Loop: Header=BB296_16 Depth=1
	v_and_b32_e32 v2, 0x7f, v7
	v_mov_b32_e32 v169, 0x7c010000
	s_mov_b32 s22, exec_lo
	s_delay_alu instid0(VALU_DEP_2)
	v_cmpx_ne_u32_e32 0x7f, v2
	s_cbranch_execz .LBB296_721
; %bb.718:                              ;   in Loop: Header=BB296_16 Depth=1
	v_and_b32_e32 v0, 7, v7
	v_lshrrev_b32_e32 v1, 3, v2
	s_mov_b32 s23, exec_lo
	v_cmpx_gt_u32_e32 8, v2
; %bb.719:                              ;   in Loop: Header=BB296_16 Depth=1
	s_delay_alu instid0(VALU_DEP_3) | instskip(NEXT) | instid1(VALU_DEP_1)
	v_clz_i32_u32_e32 v0, v0
	v_min_u32_e32 v2, 32, v0
	s_delay_alu instid0(VALU_DEP_1) | instskip(NEXT) | instid1(VALU_DEP_1)
	v_subrev_nc_u32_e32 v0, 28, v2
	v_lshlrev_b64_e32 v[0:1], v0, v[7:8]
	v_sub_nc_u32_e32 v1, 29, v2
	s_delay_alu instid0(VALU_DEP_2)
	v_and_b32_e32 v0, 7, v0
; %bb.720:                              ;   in Loop: Header=BB296_16 Depth=1
	s_wait_alu 0xfffe
	s_or_b32 exec_lo, exec_lo, s23
	v_lshlrev_b32_e32 v2, 8, v7
	v_lshl_add_u32 v1, v1, 10, 0x2000
	v_lshlrev_b32_e32 v0, 23, v0
	s_delay_alu instid0(VALU_DEP_2) | instskip(NEXT) | instid1(VALU_DEP_1)
	v_and_or_b32 v1, 0x8000, v2, v1
	v_lshl_or_b32 v169, v1, 16, v0
.LBB296_721:                            ;   in Loop: Header=BB296_16 Depth=1
	s_wait_alu 0xfffe
	s_or_b32 exec_lo, exec_lo, s22
.LBB296_722:                            ;   in Loop: Header=BB296_16 Depth=1
	s_wait_alu 0xfffe
	s_or_b32 exec_lo, exec_lo, s21
.LBB296_723:                            ;   in Loop: Header=BB296_16 Depth=1
	s_wait_alu 0xfffe
	s_or_b32 exec_lo, exec_lo, s20
	flat_load_b64 v[31:32], v[28:29] offset:2568
	s_mov_b32 s20, exec_lo
	s_wait_loadcnt_dscnt 0x0
	v_and_b32_e32 v0, 0xff, v31
	s_delay_alu instid0(VALU_DEP_1)
	v_cmpx_ne_u16_e32 0, v0
	s_cbranch_execz .LBB296_731
; %bb.724:                              ;   in Loop: Header=BB296_16 Depth=1
	v_mov_b32_e32 v19, 0x8000
	s_mov_b32 s21, exec_lo
	v_cmpx_ne_u16_e32 0x80, v0
	s_cbranch_execz .LBB296_730
; %bb.725:                              ;   in Loop: Header=BB296_16 Depth=1
	v_and_b32_e32 v2, 0x7f, v31
	v_mov_b32_e32 v19, 0x7c01
	s_mov_b32 s22, exec_lo
	s_delay_alu instid0(VALU_DEP_2)
	v_cmpx_ne_u32_e32 0x7f, v2
	s_cbranch_execz .LBB296_729
; %bb.726:                              ;   in Loop: Header=BB296_16 Depth=1
	v_and_b32_e32 v0, 7, v31
	v_lshrrev_b32_e32 v1, 3, v2
	s_mov_b32 s23, exec_lo
	v_cmpx_gt_u32_e32 8, v2
; %bb.727:                              ;   in Loop: Header=BB296_16 Depth=1
	s_delay_alu instid0(VALU_DEP_3) | instskip(NEXT) | instid1(VALU_DEP_1)
	v_clz_i32_u32_e32 v0, v0
	v_min_u32_e32 v2, 32, v0
	s_delay_alu instid0(VALU_DEP_1) | instskip(NEXT) | instid1(VALU_DEP_1)
	v_subrev_nc_u32_e32 v0, 28, v2
	v_lshlrev_b64_e32 v[0:1], v0, v[31:32]
	v_sub_nc_u32_e32 v1, 29, v2
	s_delay_alu instid0(VALU_DEP_2)
	v_and_b32_e32 v0, 7, v0
; %bb.728:                              ;   in Loop: Header=BB296_16 Depth=1
	s_wait_alu 0xfffe
	s_or_b32 exec_lo, exec_lo, s23
	v_lshlrev_b32_e32 v2, 8, v31
	v_lshl_add_u32 v1, v1, 10, 0x2000
	v_lshlrev_b32_e32 v0, 7, v0
	s_delay_alu instid0(VALU_DEP_3) | instskip(NEXT) | instid1(VALU_DEP_3)
	v_and_b32_e32 v2, 0x8000, v2
	v_and_b32_e32 v1, 0xfc00, v1
	s_delay_alu instid0(VALU_DEP_1)
	v_or3_b32 v19, v2, v1, v0
.LBB296_729:                            ;   in Loop: Header=BB296_16 Depth=1
	s_wait_alu 0xfffe
	s_or_b32 exec_lo, exec_lo, s22
.LBB296_730:                            ;   in Loop: Header=BB296_16 Depth=1
	s_wait_alu 0xfffe
	s_or_b32 exec_lo, exec_lo, s21
.LBB296_731:                            ;   in Loop: Header=BB296_16 Depth=1
	s_wait_alu 0xfffe
	s_or_b32 exec_lo, exec_lo, s20
	v_lshrrev_b16 v7, 8, v31
	v_dual_mov_b32 v127, 0 :: v_dual_mov_b32 v178, 0
	s_mov_b32 s20, exec_lo
	s_delay_alu instid0(VALU_DEP_2)
	v_cmpx_ne_u16_e32 0, v7
	s_cbranch_execz .LBB296_739
; %bb.732:                              ;   in Loop: Header=BB296_16 Depth=1
	v_bfrev_b32_e32 v178, 1
	s_mov_b32 s21, exec_lo
	v_cmpx_ne_u16_e32 0x80, v7
	s_cbranch_execz .LBB296_738
; %bb.733:                              ;   in Loop: Header=BB296_16 Depth=1
	v_and_b32_e32 v0, 0xffff, v7
	v_mov_b32_e32 v178, 0x7c010000
	s_mov_b32 s22, exec_lo
	s_delay_alu instid0(VALU_DEP_2) | instskip(NEXT) | instid1(VALU_DEP_1)
	v_and_b32_e32 v3, 0x7f, v0
	v_cmpx_ne_u32_e32 0x7f, v3
	s_cbranch_execz .LBB296_737
; %bb.734:                              ;   in Loop: Header=BB296_16 Depth=1
	v_and_b32_e32 v1, 7, v0
	v_lshrrev_b32_e32 v2, 3, v3
	s_mov_b32 s23, exec_lo
	v_cmpx_gt_u32_e32 8, v3
; %bb.735:                              ;   in Loop: Header=BB296_16 Depth=1
	s_delay_alu instid0(VALU_DEP_3) | instskip(NEXT) | instid1(VALU_DEP_1)
	v_clz_i32_u32_e32 v1, v1
	v_min_u32_e32 v3, 32, v1
	s_delay_alu instid0(VALU_DEP_1) | instskip(NEXT) | instid1(VALU_DEP_1)
	v_subrev_nc_u32_e32 v1, 28, v3
	v_lshlrev_b64_e32 v[1:2], v1, v[7:8]
	v_sub_nc_u32_e32 v2, 29, v3
	s_delay_alu instid0(VALU_DEP_2)
	v_and_b32_e32 v1, 7, v1
; %bb.736:                              ;   in Loop: Header=BB296_16 Depth=1
	s_wait_alu 0xfffe
	s_or_b32 exec_lo, exec_lo, s23
	v_lshlrev_b32_e32 v0, 8, v0
	v_lshl_add_u32 v2, v2, 10, 0x2000
	v_lshlrev_b32_e32 v1, 23, v1
	s_delay_alu instid0(VALU_DEP_2) | instskip(NEXT) | instid1(VALU_DEP_1)
	v_and_or_b32 v0, 0x8000, v0, v2
	v_lshl_or_b32 v178, v0, 16, v1
.LBB296_737:                            ;   in Loop: Header=BB296_16 Depth=1
	s_wait_alu 0xfffe
	s_or_b32 exec_lo, exec_lo, s22
.LBB296_738:                            ;   in Loop: Header=BB296_16 Depth=1
	s_wait_alu 0xfffe
	s_or_b32 exec_lo, exec_lo, s21
.LBB296_739:                            ;   in Loop: Header=BB296_16 Depth=1
	s_wait_alu 0xfffe
	s_or_b32 exec_lo, exec_lo, s20
	v_lshrrev_b32_e32 v7, 16, v31
	s_mov_b32 s20, exec_lo
	s_delay_alu instid0(VALU_DEP_1) | instskip(NEXT) | instid1(VALU_DEP_1)
	v_and_b32_e32 v0, 0xff, v7
	v_cmpx_ne_u16_e32 0, v0
	s_cbranch_execz .LBB296_747
; %bb.740:                              ;   in Loop: Header=BB296_16 Depth=1
	v_mov_b32_e32 v127, 0x8000
	s_mov_b32 s21, exec_lo
	v_cmpx_ne_u16_e32 0x80, v0
	s_cbranch_execz .LBB296_746
; %bb.741:                              ;   in Loop: Header=BB296_16 Depth=1
	v_bfe_u32 v2, v31, 16, 7
	v_mov_b32_e32 v127, 0x7c01
	s_mov_b32 s22, exec_lo
	s_delay_alu instid0(VALU_DEP_2)
	v_cmpx_ne_u32_e32 0x7f, v2
	s_cbranch_execz .LBB296_745
; %bb.742:                              ;   in Loop: Header=BB296_16 Depth=1
	v_and_b32_e32 v0, 7, v7
	v_lshrrev_b32_e32 v1, 3, v2
	s_mov_b32 s23, exec_lo
	v_cmpx_gt_u32_e32 8, v2
; %bb.743:                              ;   in Loop: Header=BB296_16 Depth=1
	s_delay_alu instid0(VALU_DEP_3) | instskip(NEXT) | instid1(VALU_DEP_1)
	v_clz_i32_u32_e32 v0, v0
	v_min_u32_e32 v2, 32, v0
	s_delay_alu instid0(VALU_DEP_1) | instskip(NEXT) | instid1(VALU_DEP_1)
	v_subrev_nc_u32_e32 v0, 28, v2
	v_lshlrev_b64_e32 v[0:1], v0, v[7:8]
	v_sub_nc_u32_e32 v1, 29, v2
	s_delay_alu instid0(VALU_DEP_2)
	v_and_b32_e32 v0, 7, v0
; %bb.744:                              ;   in Loop: Header=BB296_16 Depth=1
	s_wait_alu 0xfffe
	s_or_b32 exec_lo, exec_lo, s23
	v_lshlrev_b32_e32 v2, 8, v7
	v_lshl_add_u32 v1, v1, 10, 0x2000
	v_lshlrev_b32_e32 v0, 7, v0
	s_delay_alu instid0(VALU_DEP_3) | instskip(NEXT) | instid1(VALU_DEP_3)
	v_and_b32_e32 v2, 0x8000, v2
	v_and_b32_e32 v1, 0xfc00, v1
	s_delay_alu instid0(VALU_DEP_1)
	v_or3_b32 v127, v2, v1, v0
.LBB296_745:                            ;   in Loop: Header=BB296_16 Depth=1
	s_wait_alu 0xfffe
	s_or_b32 exec_lo, exec_lo, s22
.LBB296_746:                            ;   in Loop: Header=BB296_16 Depth=1
	s_wait_alu 0xfffe
	s_or_b32 exec_lo, exec_lo, s21
.LBB296_747:                            ;   in Loop: Header=BB296_16 Depth=1
	s_wait_alu 0xfffe
	s_or_b32 exec_lo, exec_lo, s20
	v_dual_mov_b32 v141, 0 :: v_dual_mov_b32 v140, 0
	s_mov_b32 s20, exec_lo
	v_cmpx_lt_u32_e32 0xffffff, v31
	s_cbranch_execz .LBB296_755
; %bb.748:                              ;   in Loop: Header=BB296_16 Depth=1
	v_lshrrev_b32_e32 v7, 24, v31
	v_bfrev_b32_e32 v140, 1
	s_mov_b32 s21, exec_lo
	s_delay_alu instid0(VALU_DEP_2)
	v_cmpx_ne_u32_e32 0x80, v7
	s_cbranch_execz .LBB296_754
; %bb.749:                              ;   in Loop: Header=BB296_16 Depth=1
	v_and_b32_e32 v2, 0x7f, v7
	v_mov_b32_e32 v140, 0x7c010000
	s_mov_b32 s22, exec_lo
	s_delay_alu instid0(VALU_DEP_2)
	v_cmpx_ne_u32_e32 0x7f, v2
	s_cbranch_execz .LBB296_753
; %bb.750:                              ;   in Loop: Header=BB296_16 Depth=1
	v_and_b32_e32 v0, 7, v7
	v_lshrrev_b32_e32 v1, 3, v2
	s_mov_b32 s23, exec_lo
	v_cmpx_gt_u32_e32 8, v2
; %bb.751:                              ;   in Loop: Header=BB296_16 Depth=1
	s_delay_alu instid0(VALU_DEP_3) | instskip(NEXT) | instid1(VALU_DEP_1)
	v_clz_i32_u32_e32 v0, v0
	v_min_u32_e32 v2, 32, v0
	s_delay_alu instid0(VALU_DEP_1) | instskip(NEXT) | instid1(VALU_DEP_1)
	v_subrev_nc_u32_e32 v0, 28, v2
	v_lshlrev_b64_e32 v[0:1], v0, v[7:8]
	v_sub_nc_u32_e32 v1, 29, v2
	s_delay_alu instid0(VALU_DEP_2)
	v_and_b32_e32 v0, 7, v0
; %bb.752:                              ;   in Loop: Header=BB296_16 Depth=1
	s_wait_alu 0xfffe
	s_or_b32 exec_lo, exec_lo, s23
	v_lshlrev_b32_e32 v2, 8, v7
	v_lshl_add_u32 v1, v1, 10, 0x2000
	v_lshlrev_b32_e32 v0, 23, v0
	s_delay_alu instid0(VALU_DEP_2) | instskip(NEXT) | instid1(VALU_DEP_1)
	v_and_or_b32 v1, 0x8000, v2, v1
	v_lshl_or_b32 v140, v1, 16, v0
.LBB296_753:                            ;   in Loop: Header=BB296_16 Depth=1
	s_wait_alu 0xfffe
	s_or_b32 exec_lo, exec_lo, s22
.LBB296_754:                            ;   in Loop: Header=BB296_16 Depth=1
	s_wait_alu 0xfffe
	s_or_b32 exec_lo, exec_lo, s21
.LBB296_755:                            ;   in Loop: Header=BB296_16 Depth=1
	s_wait_alu 0xfffe
	s_or_b32 exec_lo, exec_lo, s20
	v_dual_mov_b32 v7, v32 :: v_dual_and_b32 v0, 0xff, v32
	s_mov_b32 s20, exec_lo
	s_delay_alu instid0(VALU_DEP_1)
	v_cmpx_ne_u16_e32 0, v0
	s_cbranch_execz .LBB296_763
; %bb.756:                              ;   in Loop: Header=BB296_16 Depth=1
	v_mov_b32_e32 v141, 0x8000
	s_mov_b32 s21, exec_lo
	v_cmpx_ne_u16_e32 0x80, v0
	s_cbranch_execz .LBB296_762
; %bb.757:                              ;   in Loop: Header=BB296_16 Depth=1
	v_and_b32_e32 v2, 0x7f, v32
	v_mov_b32_e32 v141, 0x7c01
	s_mov_b32 s22, exec_lo
	s_delay_alu instid0(VALU_DEP_2)
	v_cmpx_ne_u32_e32 0x7f, v2
	s_cbranch_execz .LBB296_761
; %bb.758:                              ;   in Loop: Header=BB296_16 Depth=1
	v_and_b32_e32 v0, 7, v32
	v_lshrrev_b32_e32 v1, 3, v2
	s_mov_b32 s23, exec_lo
	v_cmpx_gt_u32_e32 8, v2
; %bb.759:                              ;   in Loop: Header=BB296_16 Depth=1
	s_delay_alu instid0(VALU_DEP_3) | instskip(NEXT) | instid1(VALU_DEP_1)
	v_clz_i32_u32_e32 v0, v0
	v_min_u32_e32 v2, 32, v0
	s_delay_alu instid0(VALU_DEP_1) | instskip(NEXT) | instid1(VALU_DEP_1)
	v_subrev_nc_u32_e32 v0, 28, v2
	v_lshlrev_b64_e32 v[0:1], v0, v[7:8]
	v_sub_nc_u32_e32 v1, 29, v2
	s_delay_alu instid0(VALU_DEP_2)
	v_and_b32_e32 v0, 7, v0
; %bb.760:                              ;   in Loop: Header=BB296_16 Depth=1
	s_wait_alu 0xfffe
	s_or_b32 exec_lo, exec_lo, s23
	v_lshlrev_b32_e32 v2, 8, v32
	v_lshl_add_u32 v1, v1, 10, 0x2000
	v_lshlrev_b32_e32 v0, 7, v0
	s_delay_alu instid0(VALU_DEP_3) | instskip(NEXT) | instid1(VALU_DEP_3)
	v_and_b32_e32 v2, 0x8000, v2
	v_and_b32_e32 v1, 0xfc00, v1
	s_delay_alu instid0(VALU_DEP_1)
	v_or3_b32 v141, v2, v1, v0
.LBB296_761:                            ;   in Loop: Header=BB296_16 Depth=1
	s_wait_alu 0xfffe
	s_or_b32 exec_lo, exec_lo, s22
.LBB296_762:                            ;   in Loop: Header=BB296_16 Depth=1
	s_wait_alu 0xfffe
	s_or_b32 exec_lo, exec_lo, s21
.LBB296_763:                            ;   in Loop: Header=BB296_16 Depth=1
	s_wait_alu 0xfffe
	s_or_b32 exec_lo, exec_lo, s20
	v_lshrrev_b16 v7, 8, v7
	v_dual_mov_b32 v168, 0 :: v_dual_mov_b32 v155, 0
	s_mov_b32 s20, exec_lo
	s_delay_alu instid0(VALU_DEP_2)
	v_cmpx_ne_u16_e32 0, v7
	s_cbranch_execz .LBB296_771
; %bb.764:                              ;   in Loop: Header=BB296_16 Depth=1
	v_bfrev_b32_e32 v155, 1
	s_mov_b32 s21, exec_lo
	v_cmpx_ne_u16_e32 0x80, v7
	s_cbranch_execz .LBB296_770
; %bb.765:                              ;   in Loop: Header=BB296_16 Depth=1
	v_and_b32_e32 v0, 0xffff, v7
	v_mov_b32_e32 v155, 0x7c010000
	s_mov_b32 s22, exec_lo
	s_delay_alu instid0(VALU_DEP_2) | instskip(NEXT) | instid1(VALU_DEP_1)
	v_and_b32_e32 v3, 0x7f, v0
	v_cmpx_ne_u32_e32 0x7f, v3
	s_cbranch_execz .LBB296_769
; %bb.766:                              ;   in Loop: Header=BB296_16 Depth=1
	v_and_b32_e32 v1, 7, v0
	v_lshrrev_b32_e32 v2, 3, v3
	s_mov_b32 s23, exec_lo
	v_cmpx_gt_u32_e32 8, v3
; %bb.767:                              ;   in Loop: Header=BB296_16 Depth=1
	s_delay_alu instid0(VALU_DEP_3) | instskip(NEXT) | instid1(VALU_DEP_1)
	v_clz_i32_u32_e32 v1, v1
	v_min_u32_e32 v3, 32, v1
	s_delay_alu instid0(VALU_DEP_1) | instskip(NEXT) | instid1(VALU_DEP_1)
	v_subrev_nc_u32_e32 v1, 28, v3
	v_lshlrev_b64_e32 v[1:2], v1, v[7:8]
	v_sub_nc_u32_e32 v2, 29, v3
	s_delay_alu instid0(VALU_DEP_2)
	v_and_b32_e32 v1, 7, v1
; %bb.768:                              ;   in Loop: Header=BB296_16 Depth=1
	s_wait_alu 0xfffe
	s_or_b32 exec_lo, exec_lo, s23
	v_lshlrev_b32_e32 v0, 8, v0
	v_lshl_add_u32 v2, v2, 10, 0x2000
	v_lshlrev_b32_e32 v1, 23, v1
	s_delay_alu instid0(VALU_DEP_2) | instskip(NEXT) | instid1(VALU_DEP_1)
	v_and_or_b32 v0, 0x8000, v0, v2
	v_lshl_or_b32 v155, v0, 16, v1
.LBB296_769:                            ;   in Loop: Header=BB296_16 Depth=1
	s_wait_alu 0xfffe
	s_or_b32 exec_lo, exec_lo, s22
.LBB296_770:                            ;   in Loop: Header=BB296_16 Depth=1
	s_wait_alu 0xfffe
	s_or_b32 exec_lo, exec_lo, s21
.LBB296_771:                            ;   in Loop: Header=BB296_16 Depth=1
	s_wait_alu 0xfffe
	s_or_b32 exec_lo, exec_lo, s20
	v_lshrrev_b32_e32 v7, 16, v32
	s_mov_b32 s20, exec_lo
	s_delay_alu instid0(VALU_DEP_1) | instskip(NEXT) | instid1(VALU_DEP_1)
	v_and_b32_e32 v0, 0xff, v7
	v_cmpx_ne_u16_e32 0, v0
	s_cbranch_execz .LBB296_779
; %bb.772:                              ;   in Loop: Header=BB296_16 Depth=1
	v_mov_b32_e32 v168, 0x8000
	s_mov_b32 s21, exec_lo
	v_cmpx_ne_u16_e32 0x80, v0
	s_cbranch_execz .LBB296_778
; %bb.773:                              ;   in Loop: Header=BB296_16 Depth=1
	v_bfe_u32 v2, v32, 16, 7
	v_mov_b32_e32 v168, 0x7c01
	s_mov_b32 s22, exec_lo
	s_delay_alu instid0(VALU_DEP_2)
	v_cmpx_ne_u32_e32 0x7f, v2
	s_cbranch_execz .LBB296_777
; %bb.774:                              ;   in Loop: Header=BB296_16 Depth=1
	v_and_b32_e32 v0, 7, v7
	v_lshrrev_b32_e32 v1, 3, v2
	s_mov_b32 s23, exec_lo
	v_cmpx_gt_u32_e32 8, v2
; %bb.775:                              ;   in Loop: Header=BB296_16 Depth=1
	s_delay_alu instid0(VALU_DEP_3) | instskip(NEXT) | instid1(VALU_DEP_1)
	v_clz_i32_u32_e32 v0, v0
	v_min_u32_e32 v2, 32, v0
	s_delay_alu instid0(VALU_DEP_1) | instskip(NEXT) | instid1(VALU_DEP_1)
	v_subrev_nc_u32_e32 v0, 28, v2
	v_lshlrev_b64_e32 v[0:1], v0, v[7:8]
	v_sub_nc_u32_e32 v1, 29, v2
	s_delay_alu instid0(VALU_DEP_2)
	v_and_b32_e32 v0, 7, v0
; %bb.776:                              ;   in Loop: Header=BB296_16 Depth=1
	s_wait_alu 0xfffe
	s_or_b32 exec_lo, exec_lo, s23
	v_lshlrev_b32_e32 v2, 8, v7
	v_lshl_add_u32 v1, v1, 10, 0x2000
	v_lshlrev_b32_e32 v0, 7, v0
	s_delay_alu instid0(VALU_DEP_3) | instskip(NEXT) | instid1(VALU_DEP_3)
	v_and_b32_e32 v2, 0x8000, v2
	v_and_b32_e32 v1, 0xfc00, v1
	s_delay_alu instid0(VALU_DEP_1)
	v_or3_b32 v168, v2, v1, v0
.LBB296_777:                            ;   in Loop: Header=BB296_16 Depth=1
	s_wait_alu 0xfffe
	s_or_b32 exec_lo, exec_lo, s22
.LBB296_778:                            ;   in Loop: Header=BB296_16 Depth=1
	s_wait_alu 0xfffe
	s_or_b32 exec_lo, exec_lo, s21
.LBB296_779:                            ;   in Loop: Header=BB296_16 Depth=1
	s_wait_alu 0xfffe
	s_or_b32 exec_lo, exec_lo, s20
	v_dual_mov_b32 v187, 0 :: v_dual_mov_b32 v64, 0
	s_mov_b32 s20, exec_lo
	v_cmpx_lt_u64_e64 s[8:9], v[31:32]
	s_cbranch_execz .LBB296_787
; %bb.780:                              ;   in Loop: Header=BB296_16 Depth=1
	v_lshrrev_b32_e32 v7, 24, v32
	v_bfrev_b32_e32 v64, 1
	s_mov_b32 s21, exec_lo
	s_delay_alu instid0(VALU_DEP_2)
	v_cmpx_ne_u32_e32 0x80, v7
	s_cbranch_execz .LBB296_786
; %bb.781:                              ;   in Loop: Header=BB296_16 Depth=1
	v_and_b32_e32 v2, 0x7f, v7
	v_mov_b32_e32 v64, 0x7c010000
	s_mov_b32 s22, exec_lo
	s_delay_alu instid0(VALU_DEP_2)
	v_cmpx_ne_u32_e32 0x7f, v2
	s_cbranch_execz .LBB296_785
; %bb.782:                              ;   in Loop: Header=BB296_16 Depth=1
	v_and_b32_e32 v0, 7, v7
	v_lshrrev_b32_e32 v1, 3, v2
	s_mov_b32 s23, exec_lo
	v_cmpx_gt_u32_e32 8, v2
; %bb.783:                              ;   in Loop: Header=BB296_16 Depth=1
	s_delay_alu instid0(VALU_DEP_3) | instskip(NEXT) | instid1(VALU_DEP_1)
	v_clz_i32_u32_e32 v0, v0
	v_min_u32_e32 v2, 32, v0
	s_delay_alu instid0(VALU_DEP_1) | instskip(NEXT) | instid1(VALU_DEP_1)
	v_subrev_nc_u32_e32 v0, 28, v2
	v_lshlrev_b64_e32 v[0:1], v0, v[7:8]
	v_sub_nc_u32_e32 v1, 29, v2
	s_delay_alu instid0(VALU_DEP_2)
	v_and_b32_e32 v0, 7, v0
; %bb.784:                              ;   in Loop: Header=BB296_16 Depth=1
	s_wait_alu 0xfffe
	s_or_b32 exec_lo, exec_lo, s23
	v_lshlrev_b32_e32 v2, 8, v7
	v_lshl_add_u32 v1, v1, 10, 0x2000
	v_lshlrev_b32_e32 v0, 23, v0
	s_delay_alu instid0(VALU_DEP_2) | instskip(NEXT) | instid1(VALU_DEP_1)
	v_and_or_b32 v1, 0x8000, v2, v1
	v_lshl_or_b32 v64, v1, 16, v0
.LBB296_785:                            ;   in Loop: Header=BB296_16 Depth=1
	s_wait_alu 0xfffe
	s_or_b32 exec_lo, exec_lo, s22
.LBB296_786:                            ;   in Loop: Header=BB296_16 Depth=1
	s_wait_alu 0xfffe
	s_or_b32 exec_lo, exec_lo, s21
.LBB296_787:                            ;   in Loop: Header=BB296_16 Depth=1
	s_wait_alu 0xfffe
	s_or_b32 exec_lo, exec_lo, s20
	flat_load_b64 v[31:32], v[28:29] offset:3072
	s_mov_b32 s20, exec_lo
	s_wait_loadcnt_dscnt 0x0
	v_and_b32_e32 v0, 0xff, v31
	s_delay_alu instid0(VALU_DEP_1)
	v_cmpx_ne_u16_e32 0, v0
	s_cbranch_execz .LBB296_795
; %bb.788:                              ;   in Loop: Header=BB296_16 Depth=1
	v_mov_b32_e32 v187, 0x8000
	s_mov_b32 s21, exec_lo
	v_cmpx_ne_u16_e32 0x80, v0
	s_cbranch_execz .LBB296_794
; %bb.789:                              ;   in Loop: Header=BB296_16 Depth=1
	v_and_b32_e32 v2, 0x7f, v31
	v_mov_b32_e32 v187, 0x7c01
	s_mov_b32 s22, exec_lo
	s_delay_alu instid0(VALU_DEP_2)
	v_cmpx_ne_u32_e32 0x7f, v2
	s_cbranch_execz .LBB296_793
; %bb.790:                              ;   in Loop: Header=BB296_16 Depth=1
	v_and_b32_e32 v0, 7, v31
	v_lshrrev_b32_e32 v1, 3, v2
	s_mov_b32 s23, exec_lo
	v_cmpx_gt_u32_e32 8, v2
; %bb.791:                              ;   in Loop: Header=BB296_16 Depth=1
	s_delay_alu instid0(VALU_DEP_3) | instskip(NEXT) | instid1(VALU_DEP_1)
	v_clz_i32_u32_e32 v0, v0
	v_min_u32_e32 v2, 32, v0
	s_delay_alu instid0(VALU_DEP_1) | instskip(NEXT) | instid1(VALU_DEP_1)
	v_subrev_nc_u32_e32 v0, 28, v2
	v_lshlrev_b64_e32 v[0:1], v0, v[31:32]
	v_sub_nc_u32_e32 v1, 29, v2
	s_delay_alu instid0(VALU_DEP_2)
	v_and_b32_e32 v0, 7, v0
; %bb.792:                              ;   in Loop: Header=BB296_16 Depth=1
	s_wait_alu 0xfffe
	s_or_b32 exec_lo, exec_lo, s23
	v_lshlrev_b32_e32 v2, 8, v31
	v_lshl_add_u32 v1, v1, 10, 0x2000
	v_lshlrev_b32_e32 v0, 7, v0
	s_delay_alu instid0(VALU_DEP_3) | instskip(NEXT) | instid1(VALU_DEP_3)
	v_and_b32_e32 v2, 0x8000, v2
	v_and_b32_e32 v1, 0xfc00, v1
	s_delay_alu instid0(VALU_DEP_1)
	v_or3_b32 v187, v2, v1, v0
.LBB296_793:                            ;   in Loop: Header=BB296_16 Depth=1
	s_wait_alu 0xfffe
	s_or_b32 exec_lo, exec_lo, s22
.LBB296_794:                            ;   in Loop: Header=BB296_16 Depth=1
	s_wait_alu 0xfffe
	s_or_b32 exec_lo, exec_lo, s21
.LBB296_795:                            ;   in Loop: Header=BB296_16 Depth=1
	s_wait_alu 0xfffe
	s_or_b32 exec_lo, exec_lo, s20
	v_lshrrev_b16 v7, 8, v31
	v_dual_mov_b32 v121, 0 :: v_dual_mov_b32 v174, 0
	s_mov_b32 s20, exec_lo
	s_delay_alu instid0(VALU_DEP_2)
	v_cmpx_ne_u16_e32 0, v7
	s_cbranch_execz .LBB296_803
; %bb.796:                              ;   in Loop: Header=BB296_16 Depth=1
	v_bfrev_b32_e32 v174, 1
	s_mov_b32 s21, exec_lo
	v_cmpx_ne_u16_e32 0x80, v7
	s_cbranch_execz .LBB296_802
; %bb.797:                              ;   in Loop: Header=BB296_16 Depth=1
	v_and_b32_e32 v0, 0xffff, v7
	v_mov_b32_e32 v174, 0x7c010000
	s_mov_b32 s22, exec_lo
	s_delay_alu instid0(VALU_DEP_2) | instskip(NEXT) | instid1(VALU_DEP_1)
	v_and_b32_e32 v3, 0x7f, v0
	v_cmpx_ne_u32_e32 0x7f, v3
	s_cbranch_execz .LBB296_801
; %bb.798:                              ;   in Loop: Header=BB296_16 Depth=1
	v_and_b32_e32 v1, 7, v0
	v_lshrrev_b32_e32 v2, 3, v3
	s_mov_b32 s23, exec_lo
	v_cmpx_gt_u32_e32 8, v3
; %bb.799:                              ;   in Loop: Header=BB296_16 Depth=1
	s_delay_alu instid0(VALU_DEP_3) | instskip(NEXT) | instid1(VALU_DEP_1)
	v_clz_i32_u32_e32 v1, v1
	v_min_u32_e32 v3, 32, v1
	s_delay_alu instid0(VALU_DEP_1) | instskip(NEXT) | instid1(VALU_DEP_1)
	v_subrev_nc_u32_e32 v1, 28, v3
	v_lshlrev_b64_e32 v[1:2], v1, v[7:8]
	v_sub_nc_u32_e32 v2, 29, v3
	s_delay_alu instid0(VALU_DEP_2)
	v_and_b32_e32 v1, 7, v1
; %bb.800:                              ;   in Loop: Header=BB296_16 Depth=1
	s_wait_alu 0xfffe
	s_or_b32 exec_lo, exec_lo, s23
	v_lshlrev_b32_e32 v0, 8, v0
	v_lshl_add_u32 v2, v2, 10, 0x2000
	v_lshlrev_b32_e32 v1, 23, v1
	s_delay_alu instid0(VALU_DEP_2) | instskip(NEXT) | instid1(VALU_DEP_1)
	v_and_or_b32 v0, 0x8000, v0, v2
	v_lshl_or_b32 v174, v0, 16, v1
.LBB296_801:                            ;   in Loop: Header=BB296_16 Depth=1
	s_wait_alu 0xfffe
	s_or_b32 exec_lo, exec_lo, s22
.LBB296_802:                            ;   in Loop: Header=BB296_16 Depth=1
	s_wait_alu 0xfffe
	s_or_b32 exec_lo, exec_lo, s21
.LBB296_803:                            ;   in Loop: Header=BB296_16 Depth=1
	s_wait_alu 0xfffe
	s_or_b32 exec_lo, exec_lo, s20
	v_lshrrev_b32_e32 v7, 16, v31
	s_mov_b32 s20, exec_lo
	s_delay_alu instid0(VALU_DEP_1) | instskip(NEXT) | instid1(VALU_DEP_1)
	v_and_b32_e32 v0, 0xff, v7
	v_cmpx_ne_u16_e32 0, v0
	s_cbranch_execz .LBB296_811
; %bb.804:                              ;   in Loop: Header=BB296_16 Depth=1
	v_mov_b32_e32 v121, 0x8000
	s_mov_b32 s21, exec_lo
	v_cmpx_ne_u16_e32 0x80, v0
	s_cbranch_execz .LBB296_810
; %bb.805:                              ;   in Loop: Header=BB296_16 Depth=1
	v_bfe_u32 v2, v31, 16, 7
	v_mov_b32_e32 v121, 0x7c01
	s_mov_b32 s22, exec_lo
	s_delay_alu instid0(VALU_DEP_2)
	v_cmpx_ne_u32_e32 0x7f, v2
	s_cbranch_execz .LBB296_809
; %bb.806:                              ;   in Loop: Header=BB296_16 Depth=1
	v_and_b32_e32 v0, 7, v7
	v_lshrrev_b32_e32 v1, 3, v2
	s_mov_b32 s23, exec_lo
	v_cmpx_gt_u32_e32 8, v2
; %bb.807:                              ;   in Loop: Header=BB296_16 Depth=1
	s_delay_alu instid0(VALU_DEP_3) | instskip(NEXT) | instid1(VALU_DEP_1)
	v_clz_i32_u32_e32 v0, v0
	v_min_u32_e32 v2, 32, v0
	s_delay_alu instid0(VALU_DEP_1) | instskip(NEXT) | instid1(VALU_DEP_1)
	v_subrev_nc_u32_e32 v0, 28, v2
	v_lshlrev_b64_e32 v[0:1], v0, v[7:8]
	v_sub_nc_u32_e32 v1, 29, v2
	s_delay_alu instid0(VALU_DEP_2)
	v_and_b32_e32 v0, 7, v0
; %bb.808:                              ;   in Loop: Header=BB296_16 Depth=1
	s_wait_alu 0xfffe
	s_or_b32 exec_lo, exec_lo, s23
	v_lshlrev_b32_e32 v2, 8, v7
	v_lshl_add_u32 v1, v1, 10, 0x2000
	v_lshlrev_b32_e32 v0, 7, v0
	s_delay_alu instid0(VALU_DEP_3) | instskip(NEXT) | instid1(VALU_DEP_3)
	v_and_b32_e32 v2, 0x8000, v2
	v_and_b32_e32 v1, 0xfc00, v1
	s_delay_alu instid0(VALU_DEP_1)
	v_or3_b32 v121, v2, v1, v0
.LBB296_809:                            ;   in Loop: Header=BB296_16 Depth=1
	s_wait_alu 0xfffe
	s_or_b32 exec_lo, exec_lo, s22
.LBB296_810:                            ;   in Loop: Header=BB296_16 Depth=1
	s_wait_alu 0xfffe
	s_or_b32 exec_lo, exec_lo, s21
.LBB296_811:                            ;   in Loop: Header=BB296_16 Depth=1
	s_wait_alu 0xfffe
	s_or_b32 exec_lo, exec_lo, s20
	v_dual_mov_b32 v172, 0 :: v_dual_mov_b32 v5, 0
	s_mov_b32 s20, exec_lo
	v_cmpx_lt_u32_e32 0xffffff, v31
	s_cbranch_execz .LBB296_819
; %bb.812:                              ;   in Loop: Header=BB296_16 Depth=1
	v_lshrrev_b32_e32 v7, 24, v31
	v_bfrev_b32_e32 v5, 1
	s_mov_b32 s21, exec_lo
	s_delay_alu instid0(VALU_DEP_2)
	v_cmpx_ne_u32_e32 0x80, v7
	s_cbranch_execz .LBB296_818
; %bb.813:                              ;   in Loop: Header=BB296_16 Depth=1
	v_and_b32_e32 v2, 0x7f, v7
	v_mov_b32_e32 v5, 0x7c010000
	s_mov_b32 s22, exec_lo
	s_delay_alu instid0(VALU_DEP_2)
	v_cmpx_ne_u32_e32 0x7f, v2
	s_cbranch_execz .LBB296_817
; %bb.814:                              ;   in Loop: Header=BB296_16 Depth=1
	v_and_b32_e32 v0, 7, v7
	v_lshrrev_b32_e32 v1, 3, v2
	s_mov_b32 s23, exec_lo
	v_cmpx_gt_u32_e32 8, v2
; %bb.815:                              ;   in Loop: Header=BB296_16 Depth=1
	s_delay_alu instid0(VALU_DEP_3) | instskip(NEXT) | instid1(VALU_DEP_1)
	v_clz_i32_u32_e32 v0, v0
	v_min_u32_e32 v2, 32, v0
	s_delay_alu instid0(VALU_DEP_1) | instskip(NEXT) | instid1(VALU_DEP_1)
	v_subrev_nc_u32_e32 v0, 28, v2
	v_lshlrev_b64_e32 v[0:1], v0, v[7:8]
	v_sub_nc_u32_e32 v1, 29, v2
	s_delay_alu instid0(VALU_DEP_2)
	v_and_b32_e32 v0, 7, v0
; %bb.816:                              ;   in Loop: Header=BB296_16 Depth=1
	s_wait_alu 0xfffe
	s_or_b32 exec_lo, exec_lo, s23
	v_lshlrev_b32_e32 v2, 8, v7
	v_lshl_add_u32 v1, v1, 10, 0x2000
	v_lshlrev_b32_e32 v0, 23, v0
	s_delay_alu instid0(VALU_DEP_2) | instskip(NEXT) | instid1(VALU_DEP_1)
	v_and_or_b32 v1, 0x8000, v2, v1
	v_lshl_or_b32 v5, v1, 16, v0
.LBB296_817:                            ;   in Loop: Header=BB296_16 Depth=1
	s_wait_alu 0xfffe
	s_or_b32 exec_lo, exec_lo, s22
.LBB296_818:                            ;   in Loop: Header=BB296_16 Depth=1
	s_wait_alu 0xfffe
	s_or_b32 exec_lo, exec_lo, s21
.LBB296_819:                            ;   in Loop: Header=BB296_16 Depth=1
	s_wait_alu 0xfffe
	s_or_b32 exec_lo, exec_lo, s20
	v_dual_mov_b32 v7, v32 :: v_dual_and_b32 v0, 0xff, v32
	s_mov_b32 s20, exec_lo
	s_delay_alu instid0(VALU_DEP_1)
	v_cmpx_ne_u16_e32 0, v0
	s_cbranch_execz .LBB296_827
; %bb.820:                              ;   in Loop: Header=BB296_16 Depth=1
	v_mov_b32_e32 v172, 0x8000
	s_mov_b32 s21, exec_lo
	v_cmpx_ne_u16_e32 0x80, v0
	s_cbranch_execz .LBB296_826
; %bb.821:                              ;   in Loop: Header=BB296_16 Depth=1
	v_and_b32_e32 v2, 0x7f, v32
	v_mov_b32_e32 v172, 0x7c01
	s_mov_b32 s22, exec_lo
	s_delay_alu instid0(VALU_DEP_2)
	v_cmpx_ne_u32_e32 0x7f, v2
	s_cbranch_execz .LBB296_825
; %bb.822:                              ;   in Loop: Header=BB296_16 Depth=1
	v_and_b32_e32 v0, 7, v32
	v_lshrrev_b32_e32 v1, 3, v2
	s_mov_b32 s23, exec_lo
	v_cmpx_gt_u32_e32 8, v2
; %bb.823:                              ;   in Loop: Header=BB296_16 Depth=1
	s_delay_alu instid0(VALU_DEP_3) | instskip(NEXT) | instid1(VALU_DEP_1)
	v_clz_i32_u32_e32 v0, v0
	v_min_u32_e32 v2, 32, v0
	s_delay_alu instid0(VALU_DEP_1) | instskip(NEXT) | instid1(VALU_DEP_1)
	v_subrev_nc_u32_e32 v0, 28, v2
	v_lshlrev_b64_e32 v[0:1], v0, v[7:8]
	v_sub_nc_u32_e32 v1, 29, v2
	s_delay_alu instid0(VALU_DEP_2)
	v_and_b32_e32 v0, 7, v0
; %bb.824:                              ;   in Loop: Header=BB296_16 Depth=1
	s_wait_alu 0xfffe
	s_or_b32 exec_lo, exec_lo, s23
	v_lshlrev_b32_e32 v2, 8, v32
	v_lshl_add_u32 v1, v1, 10, 0x2000
	v_lshlrev_b32_e32 v0, 7, v0
	s_delay_alu instid0(VALU_DEP_3) | instskip(NEXT) | instid1(VALU_DEP_3)
	v_and_b32_e32 v2, 0x8000, v2
	v_and_b32_e32 v1, 0xfc00, v1
	s_delay_alu instid0(VALU_DEP_1)
	v_or3_b32 v172, v2, v1, v0
.LBB296_825:                            ;   in Loop: Header=BB296_16 Depth=1
	s_wait_alu 0xfffe
	s_or_b32 exec_lo, exec_lo, s22
.LBB296_826:                            ;   in Loop: Header=BB296_16 Depth=1
	s_wait_alu 0xfffe
	s_or_b32 exec_lo, exec_lo, s21
.LBB296_827:                            ;   in Loop: Header=BB296_16 Depth=1
	s_wait_alu 0xfffe
	s_or_b32 exec_lo, exec_lo, s20
	v_lshrrev_b16 v7, 8, v7
	v_mov_b32_e32 v124, 0
	v_mov_b32_e32 v12, 0
	s_mov_b32 s20, exec_lo
	s_delay_alu instid0(VALU_DEP_3)
	v_cmpx_ne_u16_e32 0, v7
	s_cbranch_execz .LBB296_835
; %bb.828:                              ;   in Loop: Header=BB296_16 Depth=1
	v_bfrev_b32_e32 v12, 1
	s_mov_b32 s21, exec_lo
	v_cmpx_ne_u16_e32 0x80, v7
	s_cbranch_execz .LBB296_834
; %bb.829:                              ;   in Loop: Header=BB296_16 Depth=1
	v_and_b32_e32 v0, 0xffff, v7
	v_mov_b32_e32 v12, 0x7c010000
	s_mov_b32 s22, exec_lo
	s_delay_alu instid0(VALU_DEP_2) | instskip(NEXT) | instid1(VALU_DEP_1)
	v_and_b32_e32 v3, 0x7f, v0
	v_cmpx_ne_u32_e32 0x7f, v3
	s_cbranch_execz .LBB296_833
; %bb.830:                              ;   in Loop: Header=BB296_16 Depth=1
	v_and_b32_e32 v1, 7, v0
	v_lshrrev_b32_e32 v2, 3, v3
	s_mov_b32 s23, exec_lo
	v_cmpx_gt_u32_e32 8, v3
; %bb.831:                              ;   in Loop: Header=BB296_16 Depth=1
	s_delay_alu instid0(VALU_DEP_3) | instskip(NEXT) | instid1(VALU_DEP_1)
	v_clz_i32_u32_e32 v1, v1
	v_min_u32_e32 v3, 32, v1
	s_delay_alu instid0(VALU_DEP_1) | instskip(NEXT) | instid1(VALU_DEP_1)
	v_subrev_nc_u32_e32 v1, 28, v3
	v_lshlrev_b64_e32 v[1:2], v1, v[7:8]
	v_sub_nc_u32_e32 v2, 29, v3
	s_delay_alu instid0(VALU_DEP_2)
	v_and_b32_e32 v1, 7, v1
; %bb.832:                              ;   in Loop: Header=BB296_16 Depth=1
	s_wait_alu 0xfffe
	s_or_b32 exec_lo, exec_lo, s23
	v_lshlrev_b32_e32 v0, 8, v0
	v_lshl_add_u32 v2, v2, 10, 0x2000
	v_lshlrev_b32_e32 v1, 23, v1
	s_delay_alu instid0(VALU_DEP_2) | instskip(NEXT) | instid1(VALU_DEP_1)
	v_and_or_b32 v0, 0x8000, v0, v2
	v_lshl_or_b32 v12, v0, 16, v1
.LBB296_833:                            ;   in Loop: Header=BB296_16 Depth=1
	s_wait_alu 0xfffe
	s_or_b32 exec_lo, exec_lo, s22
.LBB296_834:                            ;   in Loop: Header=BB296_16 Depth=1
	s_wait_alu 0xfffe
	s_or_b32 exec_lo, exec_lo, s21
.LBB296_835:                            ;   in Loop: Header=BB296_16 Depth=1
	s_wait_alu 0xfffe
	s_or_b32 exec_lo, exec_lo, s20
	v_lshrrev_b32_e32 v7, 16, v32
	s_mov_b32 s20, exec_lo
	s_delay_alu instid0(VALU_DEP_1) | instskip(NEXT) | instid1(VALU_DEP_1)
	v_and_b32_e32 v0, 0xff, v7
	v_cmpx_ne_u16_e32 0, v0
	s_cbranch_execz .LBB296_843
; %bb.836:                              ;   in Loop: Header=BB296_16 Depth=1
	v_mov_b32_e32 v124, 0x8000
	s_mov_b32 s21, exec_lo
	v_cmpx_ne_u16_e32 0x80, v0
	s_cbranch_execz .LBB296_842
; %bb.837:                              ;   in Loop: Header=BB296_16 Depth=1
	v_bfe_u32 v2, v32, 16, 7
	v_mov_b32_e32 v124, 0x7c01
	s_mov_b32 s22, exec_lo
	s_delay_alu instid0(VALU_DEP_2)
	v_cmpx_ne_u32_e32 0x7f, v2
	s_cbranch_execz .LBB296_841
; %bb.838:                              ;   in Loop: Header=BB296_16 Depth=1
	v_and_b32_e32 v0, 7, v7
	v_lshrrev_b32_e32 v1, 3, v2
	s_mov_b32 s23, exec_lo
	v_cmpx_gt_u32_e32 8, v2
; %bb.839:                              ;   in Loop: Header=BB296_16 Depth=1
	s_delay_alu instid0(VALU_DEP_3) | instskip(NEXT) | instid1(VALU_DEP_1)
	v_clz_i32_u32_e32 v0, v0
	v_min_u32_e32 v2, 32, v0
	s_delay_alu instid0(VALU_DEP_1) | instskip(NEXT) | instid1(VALU_DEP_1)
	v_subrev_nc_u32_e32 v0, 28, v2
	v_lshlrev_b64_e32 v[0:1], v0, v[7:8]
	v_sub_nc_u32_e32 v1, 29, v2
	s_delay_alu instid0(VALU_DEP_2)
	v_and_b32_e32 v0, 7, v0
; %bb.840:                              ;   in Loop: Header=BB296_16 Depth=1
	s_wait_alu 0xfffe
	s_or_b32 exec_lo, exec_lo, s23
	v_lshlrev_b32_e32 v2, 8, v7
	v_lshl_add_u32 v1, v1, 10, 0x2000
	v_lshlrev_b32_e32 v0, 7, v0
	s_delay_alu instid0(VALU_DEP_3) | instskip(NEXT) | instid1(VALU_DEP_3)
	v_and_b32_e32 v2, 0x8000, v2
	v_and_b32_e32 v1, 0xfc00, v1
	s_delay_alu instid0(VALU_DEP_1)
	v_or3_b32 v124, v2, v1, v0
.LBB296_841:                            ;   in Loop: Header=BB296_16 Depth=1
	s_wait_alu 0xfffe
	s_or_b32 exec_lo, exec_lo, s22
.LBB296_842:                            ;   in Loop: Header=BB296_16 Depth=1
	s_wait_alu 0xfffe
	s_or_b32 exec_lo, exec_lo, s21
.LBB296_843:                            ;   in Loop: Header=BB296_16 Depth=1
	s_wait_alu 0xfffe
	s_or_b32 exec_lo, exec_lo, s20
	v_mov_b32_e32 v34, 0
	v_mov_b32_e32 v188, 0
	s_mov_b32 s20, exec_lo
	v_cmpx_lt_u64_e64 s[8:9], v[31:32]
	s_cbranch_execz .LBB296_851
; %bb.844:                              ;   in Loop: Header=BB296_16 Depth=1
	v_lshrrev_b32_e32 v7, 24, v32
	v_bfrev_b32_e32 v188, 1
	s_mov_b32 s21, exec_lo
	s_delay_alu instid0(VALU_DEP_2)
	v_cmpx_ne_u32_e32 0x80, v7
	s_cbranch_execz .LBB296_850
; %bb.845:                              ;   in Loop: Header=BB296_16 Depth=1
	v_and_b32_e32 v2, 0x7f, v7
	v_mov_b32_e32 v188, 0x7c010000
	s_mov_b32 s22, exec_lo
	s_delay_alu instid0(VALU_DEP_2)
	v_cmpx_ne_u32_e32 0x7f, v2
	s_cbranch_execz .LBB296_849
; %bb.846:                              ;   in Loop: Header=BB296_16 Depth=1
	v_and_b32_e32 v0, 7, v7
	v_lshrrev_b32_e32 v1, 3, v2
	s_mov_b32 s23, exec_lo
	v_cmpx_gt_u32_e32 8, v2
; %bb.847:                              ;   in Loop: Header=BB296_16 Depth=1
	s_delay_alu instid0(VALU_DEP_3) | instskip(NEXT) | instid1(VALU_DEP_1)
	v_clz_i32_u32_e32 v0, v0
	v_min_u32_e32 v2, 32, v0
	s_delay_alu instid0(VALU_DEP_1) | instskip(NEXT) | instid1(VALU_DEP_1)
	v_subrev_nc_u32_e32 v0, 28, v2
	v_lshlrev_b64_e32 v[0:1], v0, v[7:8]
	v_sub_nc_u32_e32 v1, 29, v2
	s_delay_alu instid0(VALU_DEP_2)
	v_and_b32_e32 v0, 7, v0
; %bb.848:                              ;   in Loop: Header=BB296_16 Depth=1
	s_wait_alu 0xfffe
	s_or_b32 exec_lo, exec_lo, s23
	v_lshlrev_b32_e32 v2, 8, v7
	v_lshl_add_u32 v1, v1, 10, 0x2000
	v_lshlrev_b32_e32 v0, 23, v0
	s_delay_alu instid0(VALU_DEP_2) | instskip(NEXT) | instid1(VALU_DEP_1)
	v_and_or_b32 v1, 0x8000, v2, v1
	v_lshl_or_b32 v188, v1, 16, v0
.LBB296_849:                            ;   in Loop: Header=BB296_16 Depth=1
	s_wait_alu 0xfffe
	s_or_b32 exec_lo, exec_lo, s22
.LBB296_850:                            ;   in Loop: Header=BB296_16 Depth=1
	s_wait_alu 0xfffe
	s_or_b32 exec_lo, exec_lo, s21
.LBB296_851:                            ;   in Loop: Header=BB296_16 Depth=1
	s_wait_alu 0xfffe
	s_or_b32 exec_lo, exec_lo, s20
	flat_load_b64 v[31:32], v[28:29] offset:3080
	s_mov_b32 s20, exec_lo
	s_wait_loadcnt_dscnt 0x0
	v_and_b32_e32 v0, 0xff, v31
	s_delay_alu instid0(VALU_DEP_1)
	v_cmpx_ne_u16_e32 0, v0
	s_cbranch_execz .LBB296_859
; %bb.852:                              ;   in Loop: Header=BB296_16 Depth=1
	v_mov_b32_e32 v34, 0x8000
	s_mov_b32 s21, exec_lo
	v_cmpx_ne_u16_e32 0x80, v0
	s_cbranch_execz .LBB296_858
; %bb.853:                              ;   in Loop: Header=BB296_16 Depth=1
	v_and_b32_e32 v2, 0x7f, v31
	v_mov_b32_e32 v34, 0x7c01
	s_mov_b32 s22, exec_lo
	s_delay_alu instid0(VALU_DEP_2)
	v_cmpx_ne_u32_e32 0x7f, v2
	s_cbranch_execz .LBB296_857
; %bb.854:                              ;   in Loop: Header=BB296_16 Depth=1
	v_and_b32_e32 v0, 7, v31
	v_lshrrev_b32_e32 v1, 3, v2
	s_mov_b32 s23, exec_lo
	v_cmpx_gt_u32_e32 8, v2
; %bb.855:                              ;   in Loop: Header=BB296_16 Depth=1
	s_delay_alu instid0(VALU_DEP_3) | instskip(NEXT) | instid1(VALU_DEP_1)
	v_clz_i32_u32_e32 v0, v0
	v_min_u32_e32 v2, 32, v0
	s_delay_alu instid0(VALU_DEP_1) | instskip(NEXT) | instid1(VALU_DEP_1)
	v_subrev_nc_u32_e32 v0, 28, v2
	v_lshlrev_b64_e32 v[0:1], v0, v[31:32]
	v_sub_nc_u32_e32 v1, 29, v2
	s_delay_alu instid0(VALU_DEP_2)
	v_and_b32_e32 v0, 7, v0
; %bb.856:                              ;   in Loop: Header=BB296_16 Depth=1
	s_wait_alu 0xfffe
	s_or_b32 exec_lo, exec_lo, s23
	v_lshlrev_b32_e32 v2, 8, v31
	v_lshl_add_u32 v1, v1, 10, 0x2000
	v_lshlrev_b32_e32 v0, 7, v0
	s_delay_alu instid0(VALU_DEP_3) | instskip(NEXT) | instid1(VALU_DEP_3)
	v_and_b32_e32 v2, 0x8000, v2
	v_and_b32_e32 v1, 0xfc00, v1
	s_delay_alu instid0(VALU_DEP_1)
	v_or3_b32 v34, v2, v1, v0
.LBB296_857:                            ;   in Loop: Header=BB296_16 Depth=1
	s_wait_alu 0xfffe
	s_or_b32 exec_lo, exec_lo, s22
.LBB296_858:                            ;   in Loop: Header=BB296_16 Depth=1
	s_wait_alu 0xfffe
	s_or_b32 exec_lo, exec_lo, s21
.LBB296_859:                            ;   in Loop: Header=BB296_16 Depth=1
	s_wait_alu 0xfffe
	s_or_b32 exec_lo, exec_lo, s20
	v_mov_b32_e32 v0, 0
	v_lshrrev_b16 v7, 8, v31
	s_mov_b32 s20, exec_lo
	scratch_store_b32 off, v0, s32 offset:500 ; 4-byte Folded Spill
	v_mov_b32_e32 v0, 0
	scratch_store_b32 off, v0, s32 offset:496 ; 4-byte Folded Spill
	v_cmpx_ne_u16_e32 0, v7
	s_cbranch_execz .LBB296_867
; %bb.860:                              ;   in Loop: Header=BB296_16 Depth=1
	v_bfrev_b32_e32 v0, 1
	s_mov_b32 s21, exec_lo
	scratch_store_b32 off, v0, s32 offset:496 ; 4-byte Folded Spill
	v_cmpx_ne_u16_e32 0x80, v7
	s_cbranch_execz .LBB296_866
; %bb.861:                              ;   in Loop: Header=BB296_16 Depth=1
	v_and_b32_e32 v0, 0xffff, v7
	v_mov_b32_e32 v1, 0x7c010000
	s_mov_b32 s22, exec_lo
	s_delay_alu instid0(VALU_DEP_2)
	v_and_b32_e32 v3, 0x7f, v0
	scratch_store_b32 off, v1, s32 offset:496 ; 4-byte Folded Spill
	v_cmpx_ne_u32_e32 0x7f, v3
	s_cbranch_execz .LBB296_865
; %bb.862:                              ;   in Loop: Header=BB296_16 Depth=1
	v_and_b32_e32 v1, 7, v0
	v_lshrrev_b32_e32 v2, 3, v3
	s_mov_b32 s23, exec_lo
	v_cmpx_gt_u32_e32 8, v3
; %bb.863:                              ;   in Loop: Header=BB296_16 Depth=1
	s_delay_alu instid0(VALU_DEP_3) | instskip(NEXT) | instid1(VALU_DEP_1)
	v_clz_i32_u32_e32 v1, v1
	v_min_u32_e32 v3, 32, v1
	s_delay_alu instid0(VALU_DEP_1) | instskip(NEXT) | instid1(VALU_DEP_1)
	v_subrev_nc_u32_e32 v1, 28, v3
	v_lshlrev_b64_e32 v[1:2], v1, v[7:8]
	v_sub_nc_u32_e32 v2, 29, v3
	s_delay_alu instid0(VALU_DEP_2)
	v_and_b32_e32 v1, 7, v1
; %bb.864:                              ;   in Loop: Header=BB296_16 Depth=1
	s_wait_alu 0xfffe
	s_or_b32 exec_lo, exec_lo, s23
	v_lshlrev_b32_e32 v0, 8, v0
	v_lshl_add_u32 v2, v2, 10, 0x2000
	v_lshlrev_b32_e32 v1, 23, v1
	s_delay_alu instid0(VALU_DEP_2) | instskip(NEXT) | instid1(VALU_DEP_1)
	v_and_or_b32 v0, 0x8000, v0, v2
	v_lshl_or_b32 v0, v0, 16, v1
	scratch_store_b32 off, v0, s32 offset:496 ; 4-byte Folded Spill
.LBB296_865:                            ;   in Loop: Header=BB296_16 Depth=1
	s_wait_alu 0xfffe
	s_or_b32 exec_lo, exec_lo, s22
.LBB296_866:                            ;   in Loop: Header=BB296_16 Depth=1
	s_wait_alu 0xfffe
	s_or_b32 exec_lo, exec_lo, s21
.LBB296_867:                            ;   in Loop: Header=BB296_16 Depth=1
	s_wait_alu 0xfffe
	s_or_b32 exec_lo, exec_lo, s20
	v_lshrrev_b32_e32 v7, 16, v31
	s_mov_b32 s20, exec_lo
	s_delay_alu instid0(VALU_DEP_1) | instskip(NEXT) | instid1(VALU_DEP_1)
	v_and_b32_e32 v0, 0xff, v7
	v_cmpx_ne_u16_e32 0, v0
	s_cbranch_execz .LBB296_875
; %bb.868:                              ;   in Loop: Header=BB296_16 Depth=1
	v_cmp_ne_u16_e64 s1, 0x80, v0
	v_mov_b32_e32 v0, 0x8000
	scratch_store_b32 off, v0, s32 offset:500 ; 4-byte Folded Spill
	s_and_saveexec_b32 s21, s1
	s_cbranch_execz .LBB296_874
; %bb.869:                              ;   in Loop: Header=BB296_16 Depth=1
	v_bfe_u32 v2, v31, 16, 7
	v_mov_b32_e32 v0, 0x7c01
	s_mov_b32 s22, exec_lo
	scratch_store_b32 off, v0, s32 offset:500 ; 4-byte Folded Spill
	v_cmpx_ne_u32_e32 0x7f, v2
	s_cbranch_execz .LBB296_873
; %bb.870:                              ;   in Loop: Header=BB296_16 Depth=1
	v_and_b32_e32 v0, 7, v7
	v_lshrrev_b32_e32 v1, 3, v2
	s_mov_b32 s23, exec_lo
	v_cmpx_gt_u32_e32 8, v2
; %bb.871:                              ;   in Loop: Header=BB296_16 Depth=1
	s_delay_alu instid0(VALU_DEP_3) | instskip(NEXT) | instid1(VALU_DEP_1)
	v_clz_i32_u32_e32 v0, v0
	v_min_u32_e32 v2, 32, v0
	s_delay_alu instid0(VALU_DEP_1) | instskip(NEXT) | instid1(VALU_DEP_1)
	v_subrev_nc_u32_e32 v0, 28, v2
	v_lshlrev_b64_e32 v[0:1], v0, v[7:8]
	v_sub_nc_u32_e32 v1, 29, v2
	s_delay_alu instid0(VALU_DEP_2)
	v_and_b32_e32 v0, 7, v0
; %bb.872:                              ;   in Loop: Header=BB296_16 Depth=1
	s_wait_alu 0xfffe
	s_or_b32 exec_lo, exec_lo, s23
	v_lshlrev_b32_e32 v2, 8, v7
	v_lshl_add_u32 v1, v1, 10, 0x2000
	v_lshlrev_b32_e32 v0, 7, v0
	s_delay_alu instid0(VALU_DEP_3) | instskip(NEXT) | instid1(VALU_DEP_3)
	v_and_b32_e32 v2, 0x8000, v2
	v_and_b32_e32 v1, 0xfc00, v1
	s_delay_alu instid0(VALU_DEP_1)
	v_or3_b32 v0, v2, v1, v0
	scratch_store_b32 off, v0, s32 offset:500 ; 4-byte Folded Spill
.LBB296_873:                            ;   in Loop: Header=BB296_16 Depth=1
	s_wait_alu 0xfffe
	s_or_b32 exec_lo, exec_lo, s22
.LBB296_874:                            ;   in Loop: Header=BB296_16 Depth=1
	s_wait_alu 0xfffe
	s_or_b32 exec_lo, exec_lo, s21
.LBB296_875:                            ;   in Loop: Header=BB296_16 Depth=1
	s_wait_alu 0xfffe
	s_or_b32 exec_lo, exec_lo, s20
	v_mov_b32_e32 v0, 0
	s_mov_b32 s20, exec_lo
	scratch_store_b32 off, v0, s32 offset:504 ; 4-byte Folded Spill
	v_mov_b32_e32 v0, 0
	scratch_store_b32 off, v0, s32 offset:508 ; 4-byte Folded Spill
	v_cmpx_lt_u32_e32 0xffffff, v31
	s_cbranch_execz .LBB296_883
; %bb.876:                              ;   in Loop: Header=BB296_16 Depth=1
	v_lshrrev_b32_e32 v7, 24, v31
	v_bfrev_b32_e32 v0, 1
	s_mov_b32 s21, exec_lo
	scratch_store_b32 off, v0, s32 offset:508 ; 4-byte Folded Spill
	v_cmpx_ne_u32_e32 0x80, v7
	s_cbranch_execz .LBB296_882
; %bb.877:                              ;   in Loop: Header=BB296_16 Depth=1
	v_and_b32_e32 v2, 0x7f, v7
	v_mov_b32_e32 v0, 0x7c010000
	s_mov_b32 s22, exec_lo
	scratch_store_b32 off, v0, s32 offset:508 ; 4-byte Folded Spill
	v_cmpx_ne_u32_e32 0x7f, v2
	s_cbranch_execz .LBB296_881
; %bb.878:                              ;   in Loop: Header=BB296_16 Depth=1
	v_and_b32_e32 v0, 7, v7
	v_lshrrev_b32_e32 v1, 3, v2
	s_mov_b32 s23, exec_lo
	v_cmpx_gt_u32_e32 8, v2
; %bb.879:                              ;   in Loop: Header=BB296_16 Depth=1
	s_delay_alu instid0(VALU_DEP_3) | instskip(NEXT) | instid1(VALU_DEP_1)
	v_clz_i32_u32_e32 v0, v0
	v_min_u32_e32 v2, 32, v0
	s_delay_alu instid0(VALU_DEP_1) | instskip(NEXT) | instid1(VALU_DEP_1)
	v_subrev_nc_u32_e32 v0, 28, v2
	v_lshlrev_b64_e32 v[0:1], v0, v[7:8]
	v_sub_nc_u32_e32 v1, 29, v2
	s_delay_alu instid0(VALU_DEP_2)
	v_and_b32_e32 v0, 7, v0
; %bb.880:                              ;   in Loop: Header=BB296_16 Depth=1
	s_wait_alu 0xfffe
	s_or_b32 exec_lo, exec_lo, s23
	v_lshlrev_b32_e32 v2, 8, v7
	v_lshl_add_u32 v1, v1, 10, 0x2000
	v_lshlrev_b32_e32 v0, 23, v0
	s_delay_alu instid0(VALU_DEP_2) | instskip(NEXT) | instid1(VALU_DEP_1)
	v_and_or_b32 v1, 0x8000, v2, v1
	v_lshl_or_b32 v0, v1, 16, v0
	scratch_store_b32 off, v0, s32 offset:508 ; 4-byte Folded Spill
.LBB296_881:                            ;   in Loop: Header=BB296_16 Depth=1
	s_wait_alu 0xfffe
	s_or_b32 exec_lo, exec_lo, s22
.LBB296_882:                            ;   in Loop: Header=BB296_16 Depth=1
	s_wait_alu 0xfffe
	s_or_b32 exec_lo, exec_lo, s21
.LBB296_883:                            ;   in Loop: Header=BB296_16 Depth=1
	s_wait_alu 0xfffe
	s_or_b32 exec_lo, exec_lo, s20
	v_dual_mov_b32 v7, v32 :: v_dual_and_b32 v0, 0xff, v32
	s_mov_b32 s20, exec_lo
	s_delay_alu instid0(VALU_DEP_1)
	v_cmpx_ne_u16_e32 0, v0
	s_cbranch_execz .LBB296_891
; %bb.884:                              ;   in Loop: Header=BB296_16 Depth=1
	v_cmp_ne_u16_e64 s1, 0x80, v0
	v_mov_b32_e32 v0, 0x8000
	scratch_store_b32 off, v0, s32 offset:504 ; 4-byte Folded Spill
	s_and_saveexec_b32 s21, s1
	s_cbranch_execz .LBB296_890
; %bb.885:                              ;   in Loop: Header=BB296_16 Depth=1
	v_and_b32_e32 v2, 0x7f, v32
	v_mov_b32_e32 v0, 0x7c01
	s_mov_b32 s22, exec_lo
	scratch_store_b32 off, v0, s32 offset:504 ; 4-byte Folded Spill
	v_cmpx_ne_u32_e32 0x7f, v2
	s_cbranch_execz .LBB296_889
; %bb.886:                              ;   in Loop: Header=BB296_16 Depth=1
	v_and_b32_e32 v0, 7, v32
	v_lshrrev_b32_e32 v1, 3, v2
	s_mov_b32 s23, exec_lo
	v_cmpx_gt_u32_e32 8, v2
; %bb.887:                              ;   in Loop: Header=BB296_16 Depth=1
	s_delay_alu instid0(VALU_DEP_3) | instskip(NEXT) | instid1(VALU_DEP_1)
	v_clz_i32_u32_e32 v0, v0
	v_min_u32_e32 v2, 32, v0
	s_delay_alu instid0(VALU_DEP_1) | instskip(NEXT) | instid1(VALU_DEP_1)
	v_subrev_nc_u32_e32 v0, 28, v2
	v_lshlrev_b64_e32 v[0:1], v0, v[7:8]
	v_sub_nc_u32_e32 v1, 29, v2
	s_delay_alu instid0(VALU_DEP_2)
	v_and_b32_e32 v0, 7, v0
; %bb.888:                              ;   in Loop: Header=BB296_16 Depth=1
	s_wait_alu 0xfffe
	s_or_b32 exec_lo, exec_lo, s23
	v_lshlrev_b32_e32 v2, 8, v32
	v_lshl_add_u32 v1, v1, 10, 0x2000
	v_lshlrev_b32_e32 v0, 7, v0
	s_delay_alu instid0(VALU_DEP_3) | instskip(NEXT) | instid1(VALU_DEP_3)
	v_and_b32_e32 v2, 0x8000, v2
	v_and_b32_e32 v1, 0xfc00, v1
	s_delay_alu instid0(VALU_DEP_1)
	v_or3_b32 v0, v2, v1, v0
	scratch_store_b32 off, v0, s32 offset:504 ; 4-byte Folded Spill
.LBB296_889:                            ;   in Loop: Header=BB296_16 Depth=1
	s_wait_alu 0xfffe
	s_or_b32 exec_lo, exec_lo, s22
.LBB296_890:                            ;   in Loop: Header=BB296_16 Depth=1
	s_wait_alu 0xfffe
	s_or_b32 exec_lo, exec_lo, s21
.LBB296_891:                            ;   in Loop: Header=BB296_16 Depth=1
	s_wait_alu 0xfffe
	s_or_b32 exec_lo, exec_lo, s20
	v_mov_b32_e32 v0, 0
	v_lshrrev_b16 v7, 8, v7
	s_mov_b32 s20, exec_lo
	scratch_store_b32 off, v0, s32 offset:512 ; 4-byte Folded Spill
	v_mov_b32_e32 v0, 0
	scratch_store_b32 off, v0, s32 offset:516 ; 4-byte Folded Spill
	v_cmpx_ne_u16_e32 0, v7
	s_cbranch_execz .LBB296_899
; %bb.892:                              ;   in Loop: Header=BB296_16 Depth=1
	v_bfrev_b32_e32 v0, 1
	s_mov_b32 s21, exec_lo
	scratch_store_b32 off, v0, s32 offset:516 ; 4-byte Folded Spill
	v_cmpx_ne_u16_e32 0x80, v7
	s_cbranch_execz .LBB296_898
; %bb.893:                              ;   in Loop: Header=BB296_16 Depth=1
	v_and_b32_e32 v0, 0xffff, v7
	v_mov_b32_e32 v1, 0x7c010000
	s_mov_b32 s22, exec_lo
	s_delay_alu instid0(VALU_DEP_2)
	v_and_b32_e32 v3, 0x7f, v0
	scratch_store_b32 off, v1, s32 offset:516 ; 4-byte Folded Spill
	v_cmpx_ne_u32_e32 0x7f, v3
	s_cbranch_execz .LBB296_897
; %bb.894:                              ;   in Loop: Header=BB296_16 Depth=1
	v_and_b32_e32 v1, 7, v0
	v_lshrrev_b32_e32 v2, 3, v3
	s_mov_b32 s23, exec_lo
	v_cmpx_gt_u32_e32 8, v3
; %bb.895:                              ;   in Loop: Header=BB296_16 Depth=1
	s_delay_alu instid0(VALU_DEP_3) | instskip(NEXT) | instid1(VALU_DEP_1)
	v_clz_i32_u32_e32 v1, v1
	v_min_u32_e32 v3, 32, v1
	s_delay_alu instid0(VALU_DEP_1) | instskip(NEXT) | instid1(VALU_DEP_1)
	v_subrev_nc_u32_e32 v1, 28, v3
	v_lshlrev_b64_e32 v[1:2], v1, v[7:8]
	v_sub_nc_u32_e32 v2, 29, v3
	s_delay_alu instid0(VALU_DEP_2)
	v_and_b32_e32 v1, 7, v1
; %bb.896:                              ;   in Loop: Header=BB296_16 Depth=1
	s_wait_alu 0xfffe
	s_or_b32 exec_lo, exec_lo, s23
	v_lshlrev_b32_e32 v0, 8, v0
	v_lshl_add_u32 v2, v2, 10, 0x2000
	v_lshlrev_b32_e32 v1, 23, v1
	s_delay_alu instid0(VALU_DEP_2) | instskip(NEXT) | instid1(VALU_DEP_1)
	v_and_or_b32 v0, 0x8000, v0, v2
	v_lshl_or_b32 v0, v0, 16, v1
	scratch_store_b32 off, v0, s32 offset:516 ; 4-byte Folded Spill
.LBB296_897:                            ;   in Loop: Header=BB296_16 Depth=1
	s_wait_alu 0xfffe
	s_or_b32 exec_lo, exec_lo, s22
.LBB296_898:                            ;   in Loop: Header=BB296_16 Depth=1
	s_wait_alu 0xfffe
	s_or_b32 exec_lo, exec_lo, s21
.LBB296_899:                            ;   in Loop: Header=BB296_16 Depth=1
	s_wait_alu 0xfffe
	s_or_b32 exec_lo, exec_lo, s20
	v_lshrrev_b32_e32 v7, 16, v32
	s_mov_b32 s20, exec_lo
	s_delay_alu instid0(VALU_DEP_1) | instskip(NEXT) | instid1(VALU_DEP_1)
	v_and_b32_e32 v0, 0xff, v7
	v_cmpx_ne_u16_e32 0, v0
	s_cbranch_execz .LBB296_907
; %bb.900:                              ;   in Loop: Header=BB296_16 Depth=1
	v_cmp_ne_u16_e64 s1, 0x80, v0
	v_mov_b32_e32 v0, 0x8000
	scratch_store_b32 off, v0, s32 offset:512 ; 4-byte Folded Spill
	s_and_saveexec_b32 s21, s1
	s_cbranch_execz .LBB296_906
; %bb.901:                              ;   in Loop: Header=BB296_16 Depth=1
	v_bfe_u32 v2, v32, 16, 7
	v_mov_b32_e32 v0, 0x7c01
	s_mov_b32 s22, exec_lo
	scratch_store_b32 off, v0, s32 offset:512 ; 4-byte Folded Spill
	v_cmpx_ne_u32_e32 0x7f, v2
	s_cbranch_execz .LBB296_905
; %bb.902:                              ;   in Loop: Header=BB296_16 Depth=1
	v_and_b32_e32 v0, 7, v7
	v_lshrrev_b32_e32 v1, 3, v2
	s_mov_b32 s23, exec_lo
	v_cmpx_gt_u32_e32 8, v2
; %bb.903:                              ;   in Loop: Header=BB296_16 Depth=1
	s_delay_alu instid0(VALU_DEP_3) | instskip(NEXT) | instid1(VALU_DEP_1)
	v_clz_i32_u32_e32 v0, v0
	v_min_u32_e32 v2, 32, v0
	s_delay_alu instid0(VALU_DEP_1) | instskip(NEXT) | instid1(VALU_DEP_1)
	v_subrev_nc_u32_e32 v0, 28, v2
	v_lshlrev_b64_e32 v[0:1], v0, v[7:8]
	v_sub_nc_u32_e32 v1, 29, v2
	s_delay_alu instid0(VALU_DEP_2)
	v_and_b32_e32 v0, 7, v0
; %bb.904:                              ;   in Loop: Header=BB296_16 Depth=1
	s_wait_alu 0xfffe
	s_or_b32 exec_lo, exec_lo, s23
	v_lshlrev_b32_e32 v2, 8, v7
	v_lshl_add_u32 v1, v1, 10, 0x2000
	v_lshlrev_b32_e32 v0, 7, v0
	s_delay_alu instid0(VALU_DEP_3) | instskip(NEXT) | instid1(VALU_DEP_3)
	v_and_b32_e32 v2, 0x8000, v2
	v_and_b32_e32 v1, 0xfc00, v1
	s_delay_alu instid0(VALU_DEP_1)
	v_or3_b32 v0, v2, v1, v0
	scratch_store_b32 off, v0, s32 offset:512 ; 4-byte Folded Spill
.LBB296_905:                            ;   in Loop: Header=BB296_16 Depth=1
	s_wait_alu 0xfffe
	s_or_b32 exec_lo, exec_lo, s22
.LBB296_906:                            ;   in Loop: Header=BB296_16 Depth=1
	s_wait_alu 0xfffe
	s_or_b32 exec_lo, exec_lo, s21
.LBB296_907:                            ;   in Loop: Header=BB296_16 Depth=1
	s_wait_alu 0xfffe
	s_or_b32 exec_lo, exec_lo, s20
	v_mov_b32_e32 v0, 0
	s_mov_b32 s20, exec_lo
	scratch_store_b32 off, v0, s32 offset:520 ; 4-byte Folded Spill
	v_mov_b32_e32 v0, 0
	scratch_store_b32 off, v0, s32 offset:656 ; 4-byte Folded Spill
	v_cmpx_lt_u64_e64 s[8:9], v[31:32]
	s_cbranch_execz .LBB296_915
; %bb.908:                              ;   in Loop: Header=BB296_16 Depth=1
	v_lshrrev_b32_e32 v7, 24, v32
	v_bfrev_b32_e32 v0, 1
	s_mov_b32 s21, exec_lo
	s_delay_alu instid0(VALU_DEP_2)
	v_cmpx_ne_u32_e32 0x80, v7
	s_cbranch_execz .LBB296_914
; %bb.909:                              ;   in Loop: Header=BB296_16 Depth=1
	v_and_b32_e32 v2, 0x7f, v7
	v_mov_b32_e32 v0, 0x7c010000
	s_mov_b32 s22, exec_lo
	s_delay_alu instid0(VALU_DEP_2)
	v_cmpx_ne_u32_e32 0x7f, v2
	s_cbranch_execz .LBB296_913
; %bb.910:                              ;   in Loop: Header=BB296_16 Depth=1
	v_and_b32_e32 v0, 7, v7
	v_lshrrev_b32_e32 v1, 3, v2
	s_mov_b32 s23, exec_lo
	v_cmpx_gt_u32_e32 8, v2
; %bb.911:                              ;   in Loop: Header=BB296_16 Depth=1
	s_delay_alu instid0(VALU_DEP_3) | instskip(NEXT) | instid1(VALU_DEP_1)
	v_clz_i32_u32_e32 v0, v0
	v_min_u32_e32 v2, 32, v0
	s_delay_alu instid0(VALU_DEP_1) | instskip(NEXT) | instid1(VALU_DEP_1)
	v_subrev_nc_u32_e32 v0, 28, v2
	v_lshlrev_b64_e32 v[0:1], v0, v[7:8]
	v_sub_nc_u32_e32 v1, 29, v2
	s_delay_alu instid0(VALU_DEP_2)
	v_and_b32_e32 v0, 7, v0
; %bb.912:                              ;   in Loop: Header=BB296_16 Depth=1
	s_wait_alu 0xfffe
	s_or_b32 exec_lo, exec_lo, s23
	v_lshlrev_b32_e32 v2, 8, v7
	v_lshl_add_u32 v1, v1, 10, 0x2000
	v_lshlrev_b32_e32 v0, 23, v0
	s_delay_alu instid0(VALU_DEP_2) | instskip(NEXT) | instid1(VALU_DEP_1)
	v_and_or_b32 v1, 0x8000, v2, v1
	v_lshl_or_b32 v0, v1, 16, v0
.LBB296_913:                            ;   in Loop: Header=BB296_16 Depth=1
	s_wait_alu 0xfffe
	s_or_b32 exec_lo, exec_lo, s22
.LBB296_914:                            ;   in Loop: Header=BB296_16 Depth=1
	s_wait_alu 0xfffe
	s_or_b32 exec_lo, exec_lo, s21
	scratch_store_b32 off, v0, s32 offset:656 ; 4-byte Folded Spill
.LBB296_915:                            ;   in Loop: Header=BB296_16 Depth=1
	s_wait_alu 0xfffe
	s_or_b32 exec_lo, exec_lo, s20
	flat_load_b64 v[31:32], v[28:29] offset:3584
	s_mov_b32 s20, exec_lo
	s_wait_loadcnt_dscnt 0x0
	v_and_b32_e32 v0, 0xff, v31
	s_delay_alu instid0(VALU_DEP_1)
	v_cmpx_ne_u16_e32 0, v0
	s_cbranch_execz .LBB296_923
; %bb.916:                              ;   in Loop: Header=BB296_16 Depth=1
	v_cmp_ne_u16_e64 s1, 0x80, v0
	v_mov_b32_e32 v0, 0x8000
	scratch_store_b32 off, v0, s32 offset:520 ; 4-byte Folded Spill
	s_and_saveexec_b32 s21, s1
	s_cbranch_execz .LBB296_922
; %bb.917:                              ;   in Loop: Header=BB296_16 Depth=1
	v_and_b32_e32 v2, 0x7f, v31
	v_mov_b32_e32 v0, 0x7c01
	s_mov_b32 s22, exec_lo
	scratch_store_b32 off, v0, s32 offset:520 ; 4-byte Folded Spill
	v_cmpx_ne_u32_e32 0x7f, v2
	s_cbranch_execz .LBB296_921
; %bb.918:                              ;   in Loop: Header=BB296_16 Depth=1
	v_and_b32_e32 v0, 7, v31
	v_lshrrev_b32_e32 v1, 3, v2
	s_mov_b32 s23, exec_lo
	v_cmpx_gt_u32_e32 8, v2
; %bb.919:                              ;   in Loop: Header=BB296_16 Depth=1
	s_delay_alu instid0(VALU_DEP_3) | instskip(NEXT) | instid1(VALU_DEP_1)
	v_clz_i32_u32_e32 v0, v0
	v_min_u32_e32 v2, 32, v0
	s_delay_alu instid0(VALU_DEP_1) | instskip(NEXT) | instid1(VALU_DEP_1)
	v_subrev_nc_u32_e32 v0, 28, v2
	v_lshlrev_b64_e32 v[0:1], v0, v[31:32]
	v_sub_nc_u32_e32 v1, 29, v2
	s_delay_alu instid0(VALU_DEP_2)
	v_and_b32_e32 v0, 7, v0
; %bb.920:                              ;   in Loop: Header=BB296_16 Depth=1
	s_wait_alu 0xfffe
	s_or_b32 exec_lo, exec_lo, s23
	v_lshlrev_b32_e32 v2, 8, v31
	v_lshl_add_u32 v1, v1, 10, 0x2000
	v_lshlrev_b32_e32 v0, 7, v0
	s_delay_alu instid0(VALU_DEP_3) | instskip(NEXT) | instid1(VALU_DEP_3)
	v_and_b32_e32 v2, 0x8000, v2
	v_and_b32_e32 v1, 0xfc00, v1
	s_delay_alu instid0(VALU_DEP_1)
	v_or3_b32 v0, v2, v1, v0
	scratch_store_b32 off, v0, s32 offset:520 ; 4-byte Folded Spill
.LBB296_921:                            ;   in Loop: Header=BB296_16 Depth=1
	s_wait_alu 0xfffe
	s_or_b32 exec_lo, exec_lo, s22
.LBB296_922:                            ;   in Loop: Header=BB296_16 Depth=1
	s_wait_alu 0xfffe
	s_or_b32 exec_lo, exec_lo, s21
.LBB296_923:                            ;   in Loop: Header=BB296_16 Depth=1
	s_wait_alu 0xfffe
	s_or_b32 exec_lo, exec_lo, s20
	v_mov_b32_e32 v0, 0
	v_lshrrev_b16 v7, 8, v31
	s_mov_b32 s20, exec_lo
	scratch_store_b32 off, v0, s32 offset:528 ; 4-byte Folded Spill
	v_mov_b32_e32 v0, 0
	scratch_store_b32 off, v0, s32 offset:524 ; 4-byte Folded Spill
	v_cmpx_ne_u16_e32 0, v7
	s_cbranch_execz .LBB296_931
; %bb.924:                              ;   in Loop: Header=BB296_16 Depth=1
	v_bfrev_b32_e32 v0, 1
	s_mov_b32 s21, exec_lo
	scratch_store_b32 off, v0, s32 offset:524 ; 4-byte Folded Spill
	v_cmpx_ne_u16_e32 0x80, v7
	s_cbranch_execz .LBB296_930
; %bb.925:                              ;   in Loop: Header=BB296_16 Depth=1
	v_and_b32_e32 v0, 0xffff, v7
	v_mov_b32_e32 v1, 0x7c010000
	s_mov_b32 s22, exec_lo
	s_delay_alu instid0(VALU_DEP_2)
	v_and_b32_e32 v3, 0x7f, v0
	scratch_store_b32 off, v1, s32 offset:524 ; 4-byte Folded Spill
	v_cmpx_ne_u32_e32 0x7f, v3
	s_cbranch_execz .LBB296_929
; %bb.926:                              ;   in Loop: Header=BB296_16 Depth=1
	v_and_b32_e32 v1, 7, v0
	v_lshrrev_b32_e32 v2, 3, v3
	s_mov_b32 s23, exec_lo
	v_cmpx_gt_u32_e32 8, v3
; %bb.927:                              ;   in Loop: Header=BB296_16 Depth=1
	s_delay_alu instid0(VALU_DEP_3) | instskip(NEXT) | instid1(VALU_DEP_1)
	v_clz_i32_u32_e32 v1, v1
	v_min_u32_e32 v3, 32, v1
	s_delay_alu instid0(VALU_DEP_1) | instskip(NEXT) | instid1(VALU_DEP_1)
	v_subrev_nc_u32_e32 v1, 28, v3
	v_lshlrev_b64_e32 v[1:2], v1, v[7:8]
	v_sub_nc_u32_e32 v2, 29, v3
	s_delay_alu instid0(VALU_DEP_2)
	v_and_b32_e32 v1, 7, v1
; %bb.928:                              ;   in Loop: Header=BB296_16 Depth=1
	s_wait_alu 0xfffe
	s_or_b32 exec_lo, exec_lo, s23
	v_lshlrev_b32_e32 v0, 8, v0
	v_lshl_add_u32 v2, v2, 10, 0x2000
	v_lshlrev_b32_e32 v1, 23, v1
	s_delay_alu instid0(VALU_DEP_2) | instskip(NEXT) | instid1(VALU_DEP_1)
	v_and_or_b32 v0, 0x8000, v0, v2
	v_lshl_or_b32 v0, v0, 16, v1
	scratch_store_b32 off, v0, s32 offset:524 ; 4-byte Folded Spill
.LBB296_929:                            ;   in Loop: Header=BB296_16 Depth=1
	s_wait_alu 0xfffe
	s_or_b32 exec_lo, exec_lo, s22
.LBB296_930:                            ;   in Loop: Header=BB296_16 Depth=1
	s_wait_alu 0xfffe
	s_or_b32 exec_lo, exec_lo, s21
.LBB296_931:                            ;   in Loop: Header=BB296_16 Depth=1
	s_wait_alu 0xfffe
	s_or_b32 exec_lo, exec_lo, s20
	v_lshrrev_b32_e32 v7, 16, v31
	s_mov_b32 s20, exec_lo
	s_delay_alu instid0(VALU_DEP_1) | instskip(NEXT) | instid1(VALU_DEP_1)
	v_and_b32_e32 v0, 0xff, v7
	v_cmpx_ne_u16_e32 0, v0
	s_cbranch_execz .LBB296_939
; %bb.932:                              ;   in Loop: Header=BB296_16 Depth=1
	v_cmp_ne_u16_e64 s1, 0x80, v0
	v_mov_b32_e32 v0, 0x8000
	scratch_store_b32 off, v0, s32 offset:528 ; 4-byte Folded Spill
	s_and_saveexec_b32 s21, s1
	s_cbranch_execz .LBB296_938
; %bb.933:                              ;   in Loop: Header=BB296_16 Depth=1
	v_bfe_u32 v2, v31, 16, 7
	v_mov_b32_e32 v0, 0x7c01
	s_mov_b32 s22, exec_lo
	scratch_store_b32 off, v0, s32 offset:528 ; 4-byte Folded Spill
	v_cmpx_ne_u32_e32 0x7f, v2
	s_cbranch_execz .LBB296_937
; %bb.934:                              ;   in Loop: Header=BB296_16 Depth=1
	v_and_b32_e32 v0, 7, v7
	v_lshrrev_b32_e32 v1, 3, v2
	s_mov_b32 s23, exec_lo
	v_cmpx_gt_u32_e32 8, v2
; %bb.935:                              ;   in Loop: Header=BB296_16 Depth=1
	s_delay_alu instid0(VALU_DEP_3) | instskip(NEXT) | instid1(VALU_DEP_1)
	v_clz_i32_u32_e32 v0, v0
	v_min_u32_e32 v2, 32, v0
	s_delay_alu instid0(VALU_DEP_1) | instskip(NEXT) | instid1(VALU_DEP_1)
	v_subrev_nc_u32_e32 v0, 28, v2
	v_lshlrev_b64_e32 v[0:1], v0, v[7:8]
	v_sub_nc_u32_e32 v1, 29, v2
	s_delay_alu instid0(VALU_DEP_2)
	v_and_b32_e32 v0, 7, v0
; %bb.936:                              ;   in Loop: Header=BB296_16 Depth=1
	s_wait_alu 0xfffe
	s_or_b32 exec_lo, exec_lo, s23
	v_lshlrev_b32_e32 v2, 8, v7
	v_lshl_add_u32 v1, v1, 10, 0x2000
	v_lshlrev_b32_e32 v0, 7, v0
	s_delay_alu instid0(VALU_DEP_3) | instskip(NEXT) | instid1(VALU_DEP_3)
	v_and_b32_e32 v2, 0x8000, v2
	v_and_b32_e32 v1, 0xfc00, v1
	s_delay_alu instid0(VALU_DEP_1)
	v_or3_b32 v0, v2, v1, v0
	scratch_store_b32 off, v0, s32 offset:528 ; 4-byte Folded Spill
.LBB296_937:                            ;   in Loop: Header=BB296_16 Depth=1
	s_wait_alu 0xfffe
	s_or_b32 exec_lo, exec_lo, s22
.LBB296_938:                            ;   in Loop: Header=BB296_16 Depth=1
	s_wait_alu 0xfffe
	s_or_b32 exec_lo, exec_lo, s21
.LBB296_939:                            ;   in Loop: Header=BB296_16 Depth=1
	s_wait_alu 0xfffe
	s_or_b32 exec_lo, exec_lo, s20
	v_mov_b32_e32 v0, 0
	s_mov_b32 s20, exec_lo
	scratch_store_b32 off, v0, s32 offset:532 ; 4-byte Folded Spill
	v_mov_b32_e32 v0, 0
	scratch_store_b32 off, v0, s32 offset:536 ; 4-byte Folded Spill
	v_cmpx_lt_u32_e32 0xffffff, v31
	s_cbranch_execz .LBB296_947
; %bb.940:                              ;   in Loop: Header=BB296_16 Depth=1
	v_lshrrev_b32_e32 v7, 24, v31
	v_bfrev_b32_e32 v0, 1
	s_mov_b32 s21, exec_lo
	scratch_store_b32 off, v0, s32 offset:536 ; 4-byte Folded Spill
	v_cmpx_ne_u32_e32 0x80, v7
	s_cbranch_execz .LBB296_946
; %bb.941:                              ;   in Loop: Header=BB296_16 Depth=1
	v_and_b32_e32 v2, 0x7f, v7
	v_mov_b32_e32 v0, 0x7c010000
	s_mov_b32 s22, exec_lo
	scratch_store_b32 off, v0, s32 offset:536 ; 4-byte Folded Spill
	v_cmpx_ne_u32_e32 0x7f, v2
	s_cbranch_execz .LBB296_945
; %bb.942:                              ;   in Loop: Header=BB296_16 Depth=1
	v_and_b32_e32 v0, 7, v7
	v_lshrrev_b32_e32 v1, 3, v2
	s_mov_b32 s23, exec_lo
	v_cmpx_gt_u32_e32 8, v2
; %bb.943:                              ;   in Loop: Header=BB296_16 Depth=1
	s_delay_alu instid0(VALU_DEP_3) | instskip(NEXT) | instid1(VALU_DEP_1)
	v_clz_i32_u32_e32 v0, v0
	v_min_u32_e32 v2, 32, v0
	s_delay_alu instid0(VALU_DEP_1) | instskip(NEXT) | instid1(VALU_DEP_1)
	v_subrev_nc_u32_e32 v0, 28, v2
	v_lshlrev_b64_e32 v[0:1], v0, v[7:8]
	v_sub_nc_u32_e32 v1, 29, v2
	s_delay_alu instid0(VALU_DEP_2)
	v_and_b32_e32 v0, 7, v0
; %bb.944:                              ;   in Loop: Header=BB296_16 Depth=1
	s_wait_alu 0xfffe
	s_or_b32 exec_lo, exec_lo, s23
	v_lshlrev_b32_e32 v2, 8, v7
	v_lshl_add_u32 v1, v1, 10, 0x2000
	v_lshlrev_b32_e32 v0, 23, v0
	s_delay_alu instid0(VALU_DEP_2) | instskip(NEXT) | instid1(VALU_DEP_1)
	v_and_or_b32 v1, 0x8000, v2, v1
	v_lshl_or_b32 v0, v1, 16, v0
	scratch_store_b32 off, v0, s32 offset:536 ; 4-byte Folded Spill
.LBB296_945:                            ;   in Loop: Header=BB296_16 Depth=1
	s_wait_alu 0xfffe
	s_or_b32 exec_lo, exec_lo, s22
.LBB296_946:                            ;   in Loop: Header=BB296_16 Depth=1
	s_wait_alu 0xfffe
	s_or_b32 exec_lo, exec_lo, s21
.LBB296_947:                            ;   in Loop: Header=BB296_16 Depth=1
	s_wait_alu 0xfffe
	s_or_b32 exec_lo, exec_lo, s20
	v_dual_mov_b32 v7, v32 :: v_dual_and_b32 v0, 0xff, v32
	s_mov_b32 s20, exec_lo
	s_delay_alu instid0(VALU_DEP_1)
	v_cmpx_ne_u16_e32 0, v0
	s_cbranch_execz .LBB296_955
; %bb.948:                              ;   in Loop: Header=BB296_16 Depth=1
	v_cmp_ne_u16_e64 s1, 0x80, v0
	v_mov_b32_e32 v0, 0x8000
	scratch_store_b32 off, v0, s32 offset:532 ; 4-byte Folded Spill
	s_and_saveexec_b32 s21, s1
	s_cbranch_execz .LBB296_954
; %bb.949:                              ;   in Loop: Header=BB296_16 Depth=1
	v_and_b32_e32 v2, 0x7f, v32
	v_mov_b32_e32 v0, 0x7c01
	s_mov_b32 s22, exec_lo
	scratch_store_b32 off, v0, s32 offset:532 ; 4-byte Folded Spill
	v_cmpx_ne_u32_e32 0x7f, v2
	s_cbranch_execz .LBB296_953
; %bb.950:                              ;   in Loop: Header=BB296_16 Depth=1
	v_and_b32_e32 v0, 7, v32
	v_lshrrev_b32_e32 v1, 3, v2
	s_mov_b32 s23, exec_lo
	v_cmpx_gt_u32_e32 8, v2
; %bb.951:                              ;   in Loop: Header=BB296_16 Depth=1
	s_delay_alu instid0(VALU_DEP_3) | instskip(NEXT) | instid1(VALU_DEP_1)
	v_clz_i32_u32_e32 v0, v0
	v_min_u32_e32 v2, 32, v0
	s_delay_alu instid0(VALU_DEP_1) | instskip(NEXT) | instid1(VALU_DEP_1)
	v_subrev_nc_u32_e32 v0, 28, v2
	v_lshlrev_b64_e32 v[0:1], v0, v[7:8]
	v_sub_nc_u32_e32 v1, 29, v2
	s_delay_alu instid0(VALU_DEP_2)
	v_and_b32_e32 v0, 7, v0
; %bb.952:                              ;   in Loop: Header=BB296_16 Depth=1
	s_wait_alu 0xfffe
	s_or_b32 exec_lo, exec_lo, s23
	v_lshlrev_b32_e32 v2, 8, v32
	v_lshl_add_u32 v1, v1, 10, 0x2000
	v_lshlrev_b32_e32 v0, 7, v0
	s_delay_alu instid0(VALU_DEP_3) | instskip(NEXT) | instid1(VALU_DEP_3)
	v_and_b32_e32 v2, 0x8000, v2
	v_and_b32_e32 v1, 0xfc00, v1
	s_delay_alu instid0(VALU_DEP_1)
	v_or3_b32 v0, v2, v1, v0
	scratch_store_b32 off, v0, s32 offset:532 ; 4-byte Folded Spill
.LBB296_953:                            ;   in Loop: Header=BB296_16 Depth=1
	s_wait_alu 0xfffe
	s_or_b32 exec_lo, exec_lo, s22
.LBB296_954:                            ;   in Loop: Header=BB296_16 Depth=1
	s_wait_alu 0xfffe
	s_or_b32 exec_lo, exec_lo, s21
.LBB296_955:                            ;   in Loop: Header=BB296_16 Depth=1
	s_wait_alu 0xfffe
	s_or_b32 exec_lo, exec_lo, s20
	v_mov_b32_e32 v0, 0
	v_lshrrev_b16 v7, 8, v7
	s_mov_b32 s20, exec_lo
	scratch_store_b32 off, v0, s32 offset:540 ; 4-byte Folded Spill
	v_mov_b32_e32 v0, 0
	scratch_store_b32 off, v0, s32 offset:544 ; 4-byte Folded Spill
	v_cmpx_ne_u16_e32 0, v7
	s_cbranch_execz .LBB296_963
; %bb.956:                              ;   in Loop: Header=BB296_16 Depth=1
	v_bfrev_b32_e32 v0, 1
	s_mov_b32 s21, exec_lo
	scratch_store_b32 off, v0, s32 offset:544 ; 4-byte Folded Spill
	v_cmpx_ne_u16_e32 0x80, v7
	s_cbranch_execz .LBB296_962
; %bb.957:                              ;   in Loop: Header=BB296_16 Depth=1
	v_and_b32_e32 v0, 0xffff, v7
	v_mov_b32_e32 v1, 0x7c010000
	s_mov_b32 s22, exec_lo
	s_delay_alu instid0(VALU_DEP_2)
	v_and_b32_e32 v3, 0x7f, v0
	scratch_store_b32 off, v1, s32 offset:544 ; 4-byte Folded Spill
	v_cmpx_ne_u32_e32 0x7f, v3
	s_cbranch_execz .LBB296_961
; %bb.958:                              ;   in Loop: Header=BB296_16 Depth=1
	v_and_b32_e32 v1, 7, v0
	v_lshrrev_b32_e32 v2, 3, v3
	s_mov_b32 s23, exec_lo
	v_cmpx_gt_u32_e32 8, v3
; %bb.959:                              ;   in Loop: Header=BB296_16 Depth=1
	s_delay_alu instid0(VALU_DEP_3) | instskip(NEXT) | instid1(VALU_DEP_1)
	v_clz_i32_u32_e32 v1, v1
	v_min_u32_e32 v3, 32, v1
	s_delay_alu instid0(VALU_DEP_1) | instskip(NEXT) | instid1(VALU_DEP_1)
	v_subrev_nc_u32_e32 v1, 28, v3
	v_lshlrev_b64_e32 v[1:2], v1, v[7:8]
	v_sub_nc_u32_e32 v2, 29, v3
	s_delay_alu instid0(VALU_DEP_2)
	v_and_b32_e32 v1, 7, v1
; %bb.960:                              ;   in Loop: Header=BB296_16 Depth=1
	s_wait_alu 0xfffe
	s_or_b32 exec_lo, exec_lo, s23
	v_lshlrev_b32_e32 v0, 8, v0
	v_lshl_add_u32 v2, v2, 10, 0x2000
	v_lshlrev_b32_e32 v1, 23, v1
	s_delay_alu instid0(VALU_DEP_2) | instskip(NEXT) | instid1(VALU_DEP_1)
	v_and_or_b32 v0, 0x8000, v0, v2
	v_lshl_or_b32 v0, v0, 16, v1
	scratch_store_b32 off, v0, s32 offset:544 ; 4-byte Folded Spill
.LBB296_961:                            ;   in Loop: Header=BB296_16 Depth=1
	s_wait_alu 0xfffe
	s_or_b32 exec_lo, exec_lo, s22
.LBB296_962:                            ;   in Loop: Header=BB296_16 Depth=1
	s_wait_alu 0xfffe
	s_or_b32 exec_lo, exec_lo, s21
.LBB296_963:                            ;   in Loop: Header=BB296_16 Depth=1
	s_wait_alu 0xfffe
	s_or_b32 exec_lo, exec_lo, s20
	v_lshrrev_b32_e32 v7, 16, v32
	s_mov_b32 s20, exec_lo
	s_delay_alu instid0(VALU_DEP_1) | instskip(NEXT) | instid1(VALU_DEP_1)
	v_and_b32_e32 v0, 0xff, v7
	v_cmpx_ne_u16_e32 0, v0
	s_cbranch_execz .LBB296_971
; %bb.964:                              ;   in Loop: Header=BB296_16 Depth=1
	v_cmp_ne_u16_e64 s1, 0x80, v0
	v_mov_b32_e32 v0, 0x8000
	scratch_store_b32 off, v0, s32 offset:540 ; 4-byte Folded Spill
	s_and_saveexec_b32 s21, s1
	s_cbranch_execz .LBB296_970
; %bb.965:                              ;   in Loop: Header=BB296_16 Depth=1
	v_bfe_u32 v2, v32, 16, 7
	v_mov_b32_e32 v0, 0x7c01
	s_mov_b32 s22, exec_lo
	scratch_store_b32 off, v0, s32 offset:540 ; 4-byte Folded Spill
	v_cmpx_ne_u32_e32 0x7f, v2
	s_cbranch_execz .LBB296_969
; %bb.966:                              ;   in Loop: Header=BB296_16 Depth=1
	v_and_b32_e32 v0, 7, v7
	v_lshrrev_b32_e32 v1, 3, v2
	s_mov_b32 s23, exec_lo
	v_cmpx_gt_u32_e32 8, v2
; %bb.967:                              ;   in Loop: Header=BB296_16 Depth=1
	s_delay_alu instid0(VALU_DEP_3) | instskip(NEXT) | instid1(VALU_DEP_1)
	v_clz_i32_u32_e32 v0, v0
	v_min_u32_e32 v2, 32, v0
	s_delay_alu instid0(VALU_DEP_1) | instskip(NEXT) | instid1(VALU_DEP_1)
	v_subrev_nc_u32_e32 v0, 28, v2
	v_lshlrev_b64_e32 v[0:1], v0, v[7:8]
	v_sub_nc_u32_e32 v1, 29, v2
	s_delay_alu instid0(VALU_DEP_2)
	v_and_b32_e32 v0, 7, v0
; %bb.968:                              ;   in Loop: Header=BB296_16 Depth=1
	s_wait_alu 0xfffe
	s_or_b32 exec_lo, exec_lo, s23
	v_lshlrev_b32_e32 v2, 8, v7
	v_lshl_add_u32 v1, v1, 10, 0x2000
	v_lshlrev_b32_e32 v0, 7, v0
	s_delay_alu instid0(VALU_DEP_3) | instskip(NEXT) | instid1(VALU_DEP_3)
	v_and_b32_e32 v2, 0x8000, v2
	v_and_b32_e32 v1, 0xfc00, v1
	s_delay_alu instid0(VALU_DEP_1)
	v_or3_b32 v0, v2, v1, v0
	scratch_store_b32 off, v0, s32 offset:540 ; 4-byte Folded Spill
.LBB296_969:                            ;   in Loop: Header=BB296_16 Depth=1
	s_wait_alu 0xfffe
	s_or_b32 exec_lo, exec_lo, s22
.LBB296_970:                            ;   in Loop: Header=BB296_16 Depth=1
	s_wait_alu 0xfffe
	s_or_b32 exec_lo, exec_lo, s21
.LBB296_971:                            ;   in Loop: Header=BB296_16 Depth=1
	s_wait_alu 0xfffe
	s_or_b32 exec_lo, exec_lo, s20
	v_mov_b32_e32 v0, 0
	v_mov_b32_e32 v54, 0
	s_mov_b32 s20, exec_lo
	scratch_store_b32 off, v0, s32 offset:548 ; 4-byte Folded Spill
	v_cmpx_lt_u64_e64 s[8:9], v[31:32]
	s_cbranch_execz .LBB296_979
; %bb.972:                              ;   in Loop: Header=BB296_16 Depth=1
	v_lshrrev_b32_e32 v7, 24, v32
	v_bfrev_b32_e32 v54, 1
	s_mov_b32 s21, exec_lo
	s_delay_alu instid0(VALU_DEP_2)
	v_cmpx_ne_u32_e32 0x80, v7
	s_cbranch_execz .LBB296_978
; %bb.973:                              ;   in Loop: Header=BB296_16 Depth=1
	v_and_b32_e32 v2, 0x7f, v7
	v_mov_b32_e32 v54, 0x7c010000
	s_mov_b32 s22, exec_lo
	s_delay_alu instid0(VALU_DEP_2)
	v_cmpx_ne_u32_e32 0x7f, v2
	s_cbranch_execz .LBB296_977
; %bb.974:                              ;   in Loop: Header=BB296_16 Depth=1
	v_and_b32_e32 v0, 7, v7
	v_lshrrev_b32_e32 v1, 3, v2
	s_mov_b32 s23, exec_lo
	v_cmpx_gt_u32_e32 8, v2
; %bb.975:                              ;   in Loop: Header=BB296_16 Depth=1
	s_delay_alu instid0(VALU_DEP_3) | instskip(NEXT) | instid1(VALU_DEP_1)
	v_clz_i32_u32_e32 v0, v0
	v_min_u32_e32 v2, 32, v0
	s_delay_alu instid0(VALU_DEP_1) | instskip(NEXT) | instid1(VALU_DEP_1)
	v_subrev_nc_u32_e32 v0, 28, v2
	v_lshlrev_b64_e32 v[0:1], v0, v[7:8]
	v_sub_nc_u32_e32 v1, 29, v2
	s_delay_alu instid0(VALU_DEP_2)
	v_and_b32_e32 v0, 7, v0
; %bb.976:                              ;   in Loop: Header=BB296_16 Depth=1
	s_wait_alu 0xfffe
	s_or_b32 exec_lo, exec_lo, s23
	v_lshlrev_b32_e32 v2, 8, v7
	v_lshl_add_u32 v1, v1, 10, 0x2000
	v_lshlrev_b32_e32 v0, 23, v0
	s_delay_alu instid0(VALU_DEP_2) | instskip(NEXT) | instid1(VALU_DEP_1)
	v_and_or_b32 v1, 0x8000, v2, v1
	v_lshl_or_b32 v54, v1, 16, v0
.LBB296_977:                            ;   in Loop: Header=BB296_16 Depth=1
	s_wait_alu 0xfffe
	s_or_b32 exec_lo, exec_lo, s22
.LBB296_978:                            ;   in Loop: Header=BB296_16 Depth=1
	s_wait_alu 0xfffe
	s_or_b32 exec_lo, exec_lo, s21
.LBB296_979:                            ;   in Loop: Header=BB296_16 Depth=1
	s_wait_alu 0xfffe
	s_or_b32 exec_lo, exec_lo, s20
	flat_load_b64 v[31:32], v[28:29] offset:3592
	s_mov_b32 s20, exec_lo
	s_wait_loadcnt_dscnt 0x0
	v_and_b32_e32 v0, 0xff, v31
	s_delay_alu instid0(VALU_DEP_1)
	v_cmpx_ne_u16_e32 0, v0
	s_cbranch_execz .LBB296_987
; %bb.980:                              ;   in Loop: Header=BB296_16 Depth=1
	v_cmp_ne_u16_e64 s1, 0x80, v0
	v_mov_b32_e32 v0, 0x8000
	scratch_store_b32 off, v0, s32 offset:548 ; 4-byte Folded Spill
	s_and_saveexec_b32 s21, s1
	s_cbranch_execz .LBB296_986
; %bb.981:                              ;   in Loop: Header=BB296_16 Depth=1
	v_and_b32_e32 v2, 0x7f, v31
	v_mov_b32_e32 v0, 0x7c01
	s_mov_b32 s22, exec_lo
	scratch_store_b32 off, v0, s32 offset:548 ; 4-byte Folded Spill
	v_cmpx_ne_u32_e32 0x7f, v2
	s_cbranch_execz .LBB296_985
; %bb.982:                              ;   in Loop: Header=BB296_16 Depth=1
	v_and_b32_e32 v0, 7, v31
	v_lshrrev_b32_e32 v1, 3, v2
	s_mov_b32 s23, exec_lo
	v_cmpx_gt_u32_e32 8, v2
; %bb.983:                              ;   in Loop: Header=BB296_16 Depth=1
	s_delay_alu instid0(VALU_DEP_3) | instskip(NEXT) | instid1(VALU_DEP_1)
	v_clz_i32_u32_e32 v0, v0
	v_min_u32_e32 v2, 32, v0
	s_delay_alu instid0(VALU_DEP_1) | instskip(NEXT) | instid1(VALU_DEP_1)
	v_subrev_nc_u32_e32 v0, 28, v2
	v_lshlrev_b64_e32 v[0:1], v0, v[31:32]
	v_sub_nc_u32_e32 v1, 29, v2
	s_delay_alu instid0(VALU_DEP_2)
	v_and_b32_e32 v0, 7, v0
; %bb.984:                              ;   in Loop: Header=BB296_16 Depth=1
	s_wait_alu 0xfffe
	s_or_b32 exec_lo, exec_lo, s23
	v_lshlrev_b32_e32 v2, 8, v31
	v_lshl_add_u32 v1, v1, 10, 0x2000
	v_lshlrev_b32_e32 v0, 7, v0
	s_delay_alu instid0(VALU_DEP_3) | instskip(NEXT) | instid1(VALU_DEP_3)
	v_and_b32_e32 v2, 0x8000, v2
	v_and_b32_e32 v1, 0xfc00, v1
	s_delay_alu instid0(VALU_DEP_1)
	v_or3_b32 v0, v2, v1, v0
	scratch_store_b32 off, v0, s32 offset:548 ; 4-byte Folded Spill
.LBB296_985:                            ;   in Loop: Header=BB296_16 Depth=1
	s_wait_alu 0xfffe
	s_or_b32 exec_lo, exec_lo, s22
.LBB296_986:                            ;   in Loop: Header=BB296_16 Depth=1
	s_wait_alu 0xfffe
	s_or_b32 exec_lo, exec_lo, s21
.LBB296_987:                            ;   in Loop: Header=BB296_16 Depth=1
	s_wait_alu 0xfffe
	s_or_b32 exec_lo, exec_lo, s20
	v_lshrrev_b16 v7, 8, v31
	v_mov_b32_e32 v0, 0
	v_mov_b32_e32 v2, 0
	s_mov_b32 s20, exec_lo
	scratch_store_b32 off, v0, s32 offset:552 ; 4-byte Folded Spill
	v_cmpx_ne_u16_e32 0, v7
	s_cbranch_execz .LBB296_995
; %bb.988:                              ;   in Loop: Header=BB296_16 Depth=1
	v_bfrev_b32_e32 v2, 1
	s_mov_b32 s21, exec_lo
	v_cmpx_ne_u16_e32 0x80, v7
	s_cbranch_execz .LBB296_994
; %bb.989:                              ;   in Loop: Header=BB296_16 Depth=1
	v_and_b32_e32 v0, 0xffff, v7
	v_mov_b32_e32 v2, 0x7c010000
	s_mov_b32 s22, exec_lo
	s_delay_alu instid0(VALU_DEP_2) | instskip(NEXT) | instid1(VALU_DEP_1)
	v_and_b32_e32 v3, 0x7f, v0
	v_cmpx_ne_u32_e32 0x7f, v3
	s_cbranch_execz .LBB296_993
; %bb.990:                              ;   in Loop: Header=BB296_16 Depth=1
	v_and_b32_e32 v1, 7, v0
	v_lshrrev_b32_e32 v2, 3, v3
	s_mov_b32 s23, exec_lo
	v_cmpx_gt_u32_e32 8, v3
; %bb.991:                              ;   in Loop: Header=BB296_16 Depth=1
	s_delay_alu instid0(VALU_DEP_3) | instskip(NEXT) | instid1(VALU_DEP_1)
	v_clz_i32_u32_e32 v1, v1
	v_min_u32_e32 v3, 32, v1
	s_delay_alu instid0(VALU_DEP_1) | instskip(NEXT) | instid1(VALU_DEP_1)
	v_subrev_nc_u32_e32 v1, 28, v3
	v_lshlrev_b64_e32 v[1:2], v1, v[7:8]
	v_sub_nc_u32_e32 v2, 29, v3
	s_delay_alu instid0(VALU_DEP_2)
	v_and_b32_e32 v1, 7, v1
; %bb.992:                              ;   in Loop: Header=BB296_16 Depth=1
	s_wait_alu 0xfffe
	s_or_b32 exec_lo, exec_lo, s23
	v_lshlrev_b32_e32 v0, 8, v0
	v_lshl_add_u32 v2, v2, 10, 0x2000
	v_lshlrev_b32_e32 v1, 23, v1
	s_delay_alu instid0(VALU_DEP_2) | instskip(NEXT) | instid1(VALU_DEP_1)
	v_and_or_b32 v0, 0x8000, v0, v2
	v_lshl_or_b32 v2, v0, 16, v1
.LBB296_993:                            ;   in Loop: Header=BB296_16 Depth=1
	s_wait_alu 0xfffe
	s_or_b32 exec_lo, exec_lo, s22
.LBB296_994:                            ;   in Loop: Header=BB296_16 Depth=1
	s_wait_alu 0xfffe
	s_or_b32 exec_lo, exec_lo, s21
.LBB296_995:                            ;   in Loop: Header=BB296_16 Depth=1
	s_wait_alu 0xfffe
	s_or_b32 exec_lo, exec_lo, s20
	v_lshrrev_b32_e32 v7, 16, v31
	s_mov_b32 s20, exec_lo
	s_delay_alu instid0(VALU_DEP_1) | instskip(NEXT) | instid1(VALU_DEP_1)
	v_and_b32_e32 v0, 0xff, v7
	v_cmpx_ne_u16_e32 0, v0
	s_cbranch_execz .LBB296_1003
; %bb.996:                              ;   in Loop: Header=BB296_16 Depth=1
	v_cmp_ne_u16_e64 s1, 0x80, v0
	v_mov_b32_e32 v0, 0x8000
	scratch_store_b32 off, v0, s32 offset:552 ; 4-byte Folded Spill
	s_and_saveexec_b32 s21, s1
	s_cbranch_execz .LBB296_1002
; %bb.997:                              ;   in Loop: Header=BB296_16 Depth=1
	v_bfe_u32 v3, v31, 16, 7
	v_mov_b32_e32 v0, 0x7c01
	s_mov_b32 s22, exec_lo
	scratch_store_b32 off, v0, s32 offset:552 ; 4-byte Folded Spill
	v_cmpx_ne_u32_e32 0x7f, v3
	s_cbranch_execz .LBB296_1001
; %bb.998:                              ;   in Loop: Header=BB296_16 Depth=1
	v_and_b32_e32 v0, 7, v7
	v_lshrrev_b32_e32 v1, 3, v3
	s_mov_b32 s23, exec_lo
	v_cmpx_gt_u32_e32 8, v3
; %bb.999:                              ;   in Loop: Header=BB296_16 Depth=1
	s_delay_alu instid0(VALU_DEP_3) | instskip(NEXT) | instid1(VALU_DEP_1)
	v_clz_i32_u32_e32 v0, v0
	v_min_u32_e32 v3, 32, v0
	s_delay_alu instid0(VALU_DEP_1) | instskip(NEXT) | instid1(VALU_DEP_1)
	v_subrev_nc_u32_e32 v0, 28, v3
	v_lshlrev_b64_e32 v[0:1], v0, v[7:8]
	v_sub_nc_u32_e32 v1, 29, v3
	s_delay_alu instid0(VALU_DEP_2)
	v_and_b32_e32 v0, 7, v0
; %bb.1000:                             ;   in Loop: Header=BB296_16 Depth=1
	s_wait_alu 0xfffe
	s_or_b32 exec_lo, exec_lo, s23
	v_lshlrev_b32_e32 v3, 8, v7
	v_lshl_add_u32 v1, v1, 10, 0x2000
	v_lshlrev_b32_e32 v0, 7, v0
	s_delay_alu instid0(VALU_DEP_3) | instskip(NEXT) | instid1(VALU_DEP_3)
	v_and_b32_e32 v3, 0x8000, v3
	v_and_b32_e32 v1, 0xfc00, v1
	s_delay_alu instid0(VALU_DEP_1)
	v_or3_b32 v0, v3, v1, v0
	scratch_store_b32 off, v0, s32 offset:552 ; 4-byte Folded Spill
.LBB296_1001:                           ;   in Loop: Header=BB296_16 Depth=1
	s_wait_alu 0xfffe
	s_or_b32 exec_lo, exec_lo, s22
.LBB296_1002:                           ;   in Loop: Header=BB296_16 Depth=1
	s_wait_alu 0xfffe
	s_or_b32 exec_lo, exec_lo, s21
.LBB296_1003:                           ;   in Loop: Header=BB296_16 Depth=1
	s_wait_alu 0xfffe
	s_or_b32 exec_lo, exec_lo, s20
	v_dual_mov_b32 v0, 0 :: v_dual_mov_b32 v35, 0
	s_mov_b32 s20, exec_lo
	scratch_store_b32 off, v0, s32 offset:556 ; 4-byte Folded Spill
	v_cmpx_lt_u32_e32 0xffffff, v31
	s_cbranch_execz .LBB296_1011
; %bb.1004:                             ;   in Loop: Header=BB296_16 Depth=1
	v_lshrrev_b32_e32 v7, 24, v31
	v_bfrev_b32_e32 v35, 1
	s_mov_b32 s21, exec_lo
	s_delay_alu instid0(VALU_DEP_2)
	v_cmpx_ne_u32_e32 0x80, v7
	s_cbranch_execz .LBB296_1010
; %bb.1005:                             ;   in Loop: Header=BB296_16 Depth=1
	v_and_b32_e32 v3, 0x7f, v7
	v_mov_b32_e32 v35, 0x7c010000
	s_mov_b32 s22, exec_lo
	s_delay_alu instid0(VALU_DEP_2)
	v_cmpx_ne_u32_e32 0x7f, v3
	s_cbranch_execz .LBB296_1009
; %bb.1006:                             ;   in Loop: Header=BB296_16 Depth=1
	v_and_b32_e32 v0, 7, v7
	v_lshrrev_b32_e32 v1, 3, v3
	s_mov_b32 s23, exec_lo
	v_cmpx_gt_u32_e32 8, v3
; %bb.1007:                             ;   in Loop: Header=BB296_16 Depth=1
	s_delay_alu instid0(VALU_DEP_3) | instskip(NEXT) | instid1(VALU_DEP_1)
	v_clz_i32_u32_e32 v0, v0
	v_min_u32_e32 v3, 32, v0
	s_delay_alu instid0(VALU_DEP_1) | instskip(NEXT) | instid1(VALU_DEP_1)
	v_subrev_nc_u32_e32 v0, 28, v3
	v_lshlrev_b64_e32 v[0:1], v0, v[7:8]
	v_sub_nc_u32_e32 v1, 29, v3
	s_delay_alu instid0(VALU_DEP_2)
	v_and_b32_e32 v0, 7, v0
; %bb.1008:                             ;   in Loop: Header=BB296_16 Depth=1
	s_wait_alu 0xfffe
	s_or_b32 exec_lo, exec_lo, s23
	v_lshlrev_b32_e32 v3, 8, v7
	v_lshl_add_u32 v1, v1, 10, 0x2000
	v_lshlrev_b32_e32 v0, 23, v0
	s_delay_alu instid0(VALU_DEP_2) | instskip(NEXT) | instid1(VALU_DEP_1)
	v_and_or_b32 v1, 0x8000, v3, v1
	v_lshl_or_b32 v35, v1, 16, v0
.LBB296_1009:                           ;   in Loop: Header=BB296_16 Depth=1
	s_wait_alu 0xfffe
	s_or_b32 exec_lo, exec_lo, s22
.LBB296_1010:                           ;   in Loop: Header=BB296_16 Depth=1
	s_wait_alu 0xfffe
	s_or_b32 exec_lo, exec_lo, s21
.LBB296_1011:                           ;   in Loop: Header=BB296_16 Depth=1
	s_wait_alu 0xfffe
	s_or_b32 exec_lo, exec_lo, s20
	v_dual_mov_b32 v7, v32 :: v_dual_and_b32 v0, 0xff, v32
	s_mov_b32 s20, exec_lo
	s_delay_alu instid0(VALU_DEP_1)
	v_cmpx_ne_u16_e32 0, v0
	s_cbranch_execz .LBB296_1019
; %bb.1012:                             ;   in Loop: Header=BB296_16 Depth=1
	v_cmp_ne_u16_e64 s1, 0x80, v0
	v_mov_b32_e32 v0, 0x8000
	scratch_store_b32 off, v0, s32 offset:556 ; 4-byte Folded Spill
	s_and_saveexec_b32 s21, s1
	s_cbranch_execz .LBB296_1018
; %bb.1013:                             ;   in Loop: Header=BB296_16 Depth=1
	v_and_b32_e32 v3, 0x7f, v32
	v_mov_b32_e32 v0, 0x7c01
	s_mov_b32 s22, exec_lo
	scratch_store_b32 off, v0, s32 offset:556 ; 4-byte Folded Spill
	v_cmpx_ne_u32_e32 0x7f, v3
	s_cbranch_execz .LBB296_1017
; %bb.1014:                             ;   in Loop: Header=BB296_16 Depth=1
	v_and_b32_e32 v0, 7, v32
	v_lshrrev_b32_e32 v1, 3, v3
	s_mov_b32 s23, exec_lo
	v_cmpx_gt_u32_e32 8, v3
; %bb.1015:                             ;   in Loop: Header=BB296_16 Depth=1
	s_delay_alu instid0(VALU_DEP_3) | instskip(NEXT) | instid1(VALU_DEP_1)
	v_clz_i32_u32_e32 v0, v0
	v_min_u32_e32 v3, 32, v0
	s_delay_alu instid0(VALU_DEP_1) | instskip(NEXT) | instid1(VALU_DEP_1)
	v_subrev_nc_u32_e32 v0, 28, v3
	v_lshlrev_b64_e32 v[0:1], v0, v[7:8]
	v_sub_nc_u32_e32 v1, 29, v3
	s_delay_alu instid0(VALU_DEP_2)
	v_and_b32_e32 v0, 7, v0
; %bb.1016:                             ;   in Loop: Header=BB296_16 Depth=1
	s_wait_alu 0xfffe
	s_or_b32 exec_lo, exec_lo, s23
	v_lshlrev_b32_e32 v3, 8, v32
	v_lshl_add_u32 v1, v1, 10, 0x2000
	v_lshlrev_b32_e32 v0, 7, v0
	s_delay_alu instid0(VALU_DEP_3) | instskip(NEXT) | instid1(VALU_DEP_3)
	v_and_b32_e32 v3, 0x8000, v3
	v_and_b32_e32 v1, 0xfc00, v1
	s_delay_alu instid0(VALU_DEP_1)
	v_or3_b32 v0, v3, v1, v0
	scratch_store_b32 off, v0, s32 offset:556 ; 4-byte Folded Spill
.LBB296_1017:                           ;   in Loop: Header=BB296_16 Depth=1
	s_wait_alu 0xfffe
	s_or_b32 exec_lo, exec_lo, s22
.LBB296_1018:                           ;   in Loop: Header=BB296_16 Depth=1
	s_wait_alu 0xfffe
	s_or_b32 exec_lo, exec_lo, s21
.LBB296_1019:                           ;   in Loop: Header=BB296_16 Depth=1
	s_wait_alu 0xfffe
	s_or_b32 exec_lo, exec_lo, s20
	v_lshrrev_b16 v7, 8, v7
	v_dual_mov_b32 v0, 0 :: v_dual_mov_b32 v55, 0
	s_mov_b32 s20, exec_lo
	scratch_store_b32 off, v0, s32 offset:560 ; 4-byte Folded Spill
	v_cmpx_ne_u16_e32 0, v7
	s_cbranch_execz .LBB296_1027
; %bb.1020:                             ;   in Loop: Header=BB296_16 Depth=1
	v_bfrev_b32_e32 v55, 1
	s_mov_b32 s21, exec_lo
	v_cmpx_ne_u16_e32 0x80, v7
	s_cbranch_execz .LBB296_1026
; %bb.1021:                             ;   in Loop: Header=BB296_16 Depth=1
	v_and_b32_e32 v0, 0xffff, v7
	v_mov_b32_e32 v55, 0x7c010000
	s_mov_b32 s22, exec_lo
	s_delay_alu instid0(VALU_DEP_2) | instskip(NEXT) | instid1(VALU_DEP_1)
	v_and_b32_e32 v4, 0x7f, v0
	v_cmpx_ne_u32_e32 0x7f, v4
	s_cbranch_execz .LBB296_1025
; %bb.1022:                             ;   in Loop: Header=BB296_16 Depth=1
	v_and_b32_e32 v1, 7, v0
	v_lshrrev_b32_e32 v3, 3, v4
	s_mov_b32 s23, exec_lo
	v_cmpx_gt_u32_e32 8, v4
	s_cbranch_execz .LBB296_1024
; %bb.1023:                             ;   in Loop: Header=BB296_16 Depth=1
	v_clz_i32_u32_e32 v1, v1
	v_mov_b32_e32 v6, v5
	s_delay_alu instid0(VALU_DEP_2) | instskip(NEXT) | instid1(VALU_DEP_1)
	v_min_u32_e32 v1, 32, v1
	v_subrev_nc_u32_e32 v3, 28, v1
	s_delay_alu instid0(VALU_DEP_1) | instskip(SKIP_1) | instid1(VALU_DEP_2)
	v_lshlrev_b64_e32 v[4:5], v3, v[7:8]
	v_sub_nc_u32_e32 v3, 29, v1
	v_and_b32_e32 v1, 7, v4
	v_mov_b32_e32 v5, v6
.LBB296_1024:                           ;   in Loop: Header=BB296_16 Depth=1
	s_wait_alu 0xfffe
	s_or_b32 exec_lo, exec_lo, s23
	v_lshlrev_b32_e32 v0, 8, v0
	v_lshl_add_u32 v3, v3, 10, 0x2000
	v_lshlrev_b32_e32 v1, 23, v1
	s_delay_alu instid0(VALU_DEP_2) | instskip(NEXT) | instid1(VALU_DEP_1)
	v_and_or_b32 v0, 0x8000, v0, v3
	v_lshl_or_b32 v55, v0, 16, v1
.LBB296_1025:                           ;   in Loop: Header=BB296_16 Depth=1
	s_wait_alu 0xfffe
	s_or_b32 exec_lo, exec_lo, s22
.LBB296_1026:                           ;   in Loop: Header=BB296_16 Depth=1
	s_wait_alu 0xfffe
	s_or_b32 exec_lo, exec_lo, s21
.LBB296_1027:                           ;   in Loop: Header=BB296_16 Depth=1
	s_wait_alu 0xfffe
	s_or_b32 exec_lo, exec_lo, s20
	v_lshrrev_b32_e32 v7, 16, v32
	s_mov_b32 s20, exec_lo
	s_delay_alu instid0(VALU_DEP_1) | instskip(NEXT) | instid1(VALU_DEP_1)
	v_and_b32_e32 v0, 0xff, v7
	v_cmpx_ne_u16_e32 0, v0
	s_cbranch_execz .LBB296_1035
; %bb.1028:                             ;   in Loop: Header=BB296_16 Depth=1
	v_cmp_ne_u16_e64 s1, 0x80, v0
	v_mov_b32_e32 v0, 0x8000
	scratch_store_b32 off, v0, s32 offset:560 ; 4-byte Folded Spill
	s_and_saveexec_b32 s21, s1
	s_cbranch_execz .LBB296_1034
; %bb.1029:                             ;   in Loop: Header=BB296_16 Depth=1
	v_bfe_u32 v3, v32, 16, 7
	v_mov_b32_e32 v0, 0x7c01
	s_mov_b32 s22, exec_lo
	scratch_store_b32 off, v0, s32 offset:560 ; 4-byte Folded Spill
	v_cmpx_ne_u32_e32 0x7f, v3
	s_cbranch_execz .LBB296_1033
; %bb.1030:                             ;   in Loop: Header=BB296_16 Depth=1
	v_and_b32_e32 v0, 7, v7
	v_lshrrev_b32_e32 v1, 3, v3
	s_mov_b32 s23, exec_lo
	v_cmpx_gt_u32_e32 8, v3
; %bb.1031:                             ;   in Loop: Header=BB296_16 Depth=1
	s_delay_alu instid0(VALU_DEP_3) | instskip(NEXT) | instid1(VALU_DEP_1)
	v_clz_i32_u32_e32 v0, v0
	v_min_u32_e32 v3, 32, v0
	s_delay_alu instid0(VALU_DEP_1) | instskip(NEXT) | instid1(VALU_DEP_1)
	v_subrev_nc_u32_e32 v0, 28, v3
	v_lshlrev_b64_e32 v[0:1], v0, v[7:8]
	v_sub_nc_u32_e32 v1, 29, v3
	s_delay_alu instid0(VALU_DEP_2)
	v_and_b32_e32 v0, 7, v0
; %bb.1032:                             ;   in Loop: Header=BB296_16 Depth=1
	s_wait_alu 0xfffe
	s_or_b32 exec_lo, exec_lo, s23
	v_lshlrev_b32_e32 v3, 8, v7
	v_lshl_add_u32 v1, v1, 10, 0x2000
	v_lshlrev_b32_e32 v0, 7, v0
	s_delay_alu instid0(VALU_DEP_3) | instskip(NEXT) | instid1(VALU_DEP_3)
	v_and_b32_e32 v3, 0x8000, v3
	v_and_b32_e32 v1, 0xfc00, v1
	s_delay_alu instid0(VALU_DEP_1)
	v_or3_b32 v0, v3, v1, v0
	scratch_store_b32 off, v0, s32 offset:560 ; 4-byte Folded Spill
.LBB296_1033:                           ;   in Loop: Header=BB296_16 Depth=1
	s_wait_alu 0xfffe
	s_or_b32 exec_lo, exec_lo, s22
.LBB296_1034:                           ;   in Loop: Header=BB296_16 Depth=1
	s_wait_alu 0xfffe
	s_or_b32 exec_lo, exec_lo, s21
.LBB296_1035:                           ;   in Loop: Header=BB296_16 Depth=1
	s_wait_alu 0xfffe
	s_or_b32 exec_lo, exec_lo, s20
	v_dual_mov_b32 v0, 0 :: v_dual_mov_b32 v69, 0
	s_mov_b32 s20, exec_lo
	scratch_store_b32 off, v0, s32 offset:564 ; 4-byte Folded Spill
	v_cmpx_lt_u64_e64 s[8:9], v[31:32]
	s_cbranch_execz .LBB296_1043
; %bb.1036:                             ;   in Loop: Header=BB296_16 Depth=1
	v_lshrrev_b32_e32 v7, 24, v32
	v_bfrev_b32_e32 v69, 1
	s_mov_b32 s21, exec_lo
	s_delay_alu instid0(VALU_DEP_2)
	v_cmpx_ne_u32_e32 0x80, v7
	s_cbranch_execz .LBB296_1042
; %bb.1037:                             ;   in Loop: Header=BB296_16 Depth=1
	v_and_b32_e32 v3, 0x7f, v7
	v_mov_b32_e32 v69, 0x7c010000
	s_mov_b32 s22, exec_lo
	s_delay_alu instid0(VALU_DEP_2)
	v_cmpx_ne_u32_e32 0x7f, v3
	s_cbranch_execz .LBB296_1041
; %bb.1038:                             ;   in Loop: Header=BB296_16 Depth=1
	v_and_b32_e32 v0, 7, v7
	v_lshrrev_b32_e32 v1, 3, v3
	s_mov_b32 s23, exec_lo
	v_cmpx_gt_u32_e32 8, v3
; %bb.1039:                             ;   in Loop: Header=BB296_16 Depth=1
	s_delay_alu instid0(VALU_DEP_3) | instskip(NEXT) | instid1(VALU_DEP_1)
	v_clz_i32_u32_e32 v0, v0
	v_min_u32_e32 v3, 32, v0
	s_delay_alu instid0(VALU_DEP_1) | instskip(NEXT) | instid1(VALU_DEP_1)
	v_subrev_nc_u32_e32 v0, 28, v3
	v_lshlrev_b64_e32 v[0:1], v0, v[7:8]
	v_sub_nc_u32_e32 v1, 29, v3
	s_delay_alu instid0(VALU_DEP_2)
	v_and_b32_e32 v0, 7, v0
; %bb.1040:                             ;   in Loop: Header=BB296_16 Depth=1
	s_wait_alu 0xfffe
	s_or_b32 exec_lo, exec_lo, s23
	v_lshlrev_b32_e32 v3, 8, v7
	v_lshl_add_u32 v1, v1, 10, 0x2000
	v_lshlrev_b32_e32 v0, 23, v0
	s_delay_alu instid0(VALU_DEP_2) | instskip(NEXT) | instid1(VALU_DEP_1)
	v_and_or_b32 v1, 0x8000, v3, v1
	v_lshl_or_b32 v69, v1, 16, v0
.LBB296_1041:                           ;   in Loop: Header=BB296_16 Depth=1
	s_wait_alu 0xfffe
	s_or_b32 exec_lo, exec_lo, s22
.LBB296_1042:                           ;   in Loop: Header=BB296_16 Depth=1
	s_wait_alu 0xfffe
	s_or_b32 exec_lo, exec_lo, s21
.LBB296_1043:                           ;   in Loop: Header=BB296_16 Depth=1
	s_wait_alu 0xfffe
	s_or_b32 exec_lo, exec_lo, s20
	flat_load_b64 v[31:32], v[28:29] offset:4096
	s_mov_b32 s20, exec_lo
	s_wait_loadcnt_dscnt 0x0
	v_and_b32_e32 v0, 0xff, v31
	s_delay_alu instid0(VALU_DEP_1)
	v_cmpx_ne_u16_e32 0, v0
	s_cbranch_execz .LBB296_1051
; %bb.1044:                             ;   in Loop: Header=BB296_16 Depth=1
	v_cmp_ne_u16_e64 s1, 0x80, v0
	v_mov_b32_e32 v0, 0x8000
	scratch_store_b32 off, v0, s32 offset:564 ; 4-byte Folded Spill
	s_and_saveexec_b32 s21, s1
	s_cbranch_execz .LBB296_1050
; %bb.1045:                             ;   in Loop: Header=BB296_16 Depth=1
	v_and_b32_e32 v3, 0x7f, v31
	v_mov_b32_e32 v0, 0x7c01
	s_mov_b32 s22, exec_lo
	scratch_store_b32 off, v0, s32 offset:564 ; 4-byte Folded Spill
	v_cmpx_ne_u32_e32 0x7f, v3
	s_cbranch_execz .LBB296_1049
; %bb.1046:                             ;   in Loop: Header=BB296_16 Depth=1
	v_and_b32_e32 v0, 7, v31
	v_lshrrev_b32_e32 v1, 3, v3
	s_mov_b32 s23, exec_lo
	v_cmpx_gt_u32_e32 8, v3
; %bb.1047:                             ;   in Loop: Header=BB296_16 Depth=1
	s_delay_alu instid0(VALU_DEP_3) | instskip(NEXT) | instid1(VALU_DEP_1)
	v_clz_i32_u32_e32 v0, v0
	v_min_u32_e32 v3, 32, v0
	s_delay_alu instid0(VALU_DEP_1) | instskip(NEXT) | instid1(VALU_DEP_1)
	v_subrev_nc_u32_e32 v0, 28, v3
	v_lshlrev_b64_e32 v[0:1], v0, v[31:32]
	v_sub_nc_u32_e32 v1, 29, v3
	s_delay_alu instid0(VALU_DEP_2)
	v_and_b32_e32 v0, 7, v0
; %bb.1048:                             ;   in Loop: Header=BB296_16 Depth=1
	s_wait_alu 0xfffe
	s_or_b32 exec_lo, exec_lo, s23
	v_lshlrev_b32_e32 v3, 8, v31
	v_lshl_add_u32 v1, v1, 10, 0x2000
	v_lshlrev_b32_e32 v0, 7, v0
	s_delay_alu instid0(VALU_DEP_3) | instskip(NEXT) | instid1(VALU_DEP_3)
	v_and_b32_e32 v3, 0x8000, v3
	v_and_b32_e32 v1, 0xfc00, v1
	s_delay_alu instid0(VALU_DEP_1)
	v_or3_b32 v0, v3, v1, v0
	scratch_store_b32 off, v0, s32 offset:564 ; 4-byte Folded Spill
.LBB296_1049:                           ;   in Loop: Header=BB296_16 Depth=1
	s_wait_alu 0xfffe
	s_or_b32 exec_lo, exec_lo, s22
.LBB296_1050:                           ;   in Loop: Header=BB296_16 Depth=1
	s_wait_alu 0xfffe
	s_or_b32 exec_lo, exec_lo, s21
.LBB296_1051:                           ;   in Loop: Header=BB296_16 Depth=1
	s_wait_alu 0xfffe
	s_or_b32 exec_lo, exec_lo, s20
	v_lshrrev_b16 v7, 8, v31
	v_dual_mov_b32 v0, 0 :: v_dual_mov_b32 v65, 0
	s_mov_b32 s20, exec_lo
	scratch_store_b32 off, v0, s32 offset:568 ; 4-byte Folded Spill
	v_cmpx_ne_u16_e32 0, v7
	s_cbranch_execz .LBB296_1059
; %bb.1052:                             ;   in Loop: Header=BB296_16 Depth=1
	v_bfrev_b32_e32 v65, 1
	s_mov_b32 s21, exec_lo
	v_cmpx_ne_u16_e32 0x80, v7
	s_cbranch_execz .LBB296_1058
; %bb.1053:                             ;   in Loop: Header=BB296_16 Depth=1
	v_and_b32_e32 v0, 0xffff, v7
	v_mov_b32_e32 v65, 0x7c010000
	s_mov_b32 s22, exec_lo
	s_delay_alu instid0(VALU_DEP_2) | instskip(NEXT) | instid1(VALU_DEP_1)
	v_and_b32_e32 v4, 0x7f, v0
	v_cmpx_ne_u32_e32 0x7f, v4
	s_cbranch_execz .LBB296_1057
; %bb.1054:                             ;   in Loop: Header=BB296_16 Depth=1
	v_and_b32_e32 v1, 7, v0
	v_lshrrev_b32_e32 v3, 3, v4
	s_mov_b32 s23, exec_lo
	v_cmpx_gt_u32_e32 8, v4
	s_cbranch_execz .LBB296_1056
; %bb.1055:                             ;   in Loop: Header=BB296_16 Depth=1
	v_clz_i32_u32_e32 v1, v1
	v_mov_b32_e32 v6, v5
	s_delay_alu instid0(VALU_DEP_2) | instskip(NEXT) | instid1(VALU_DEP_1)
	v_min_u32_e32 v1, 32, v1
	v_subrev_nc_u32_e32 v3, 28, v1
	s_delay_alu instid0(VALU_DEP_1) | instskip(SKIP_1) | instid1(VALU_DEP_2)
	v_lshlrev_b64_e32 v[4:5], v3, v[7:8]
	v_sub_nc_u32_e32 v3, 29, v1
	v_and_b32_e32 v1, 7, v4
	v_mov_b32_e32 v5, v6
.LBB296_1056:                           ;   in Loop: Header=BB296_16 Depth=1
	s_wait_alu 0xfffe
	s_or_b32 exec_lo, exec_lo, s23
	v_lshlrev_b32_e32 v0, 8, v0
	v_lshl_add_u32 v3, v3, 10, 0x2000
	v_lshlrev_b32_e32 v1, 23, v1
	s_delay_alu instid0(VALU_DEP_2) | instskip(NEXT) | instid1(VALU_DEP_1)
	v_and_or_b32 v0, 0x8000, v0, v3
	v_lshl_or_b32 v65, v0, 16, v1
.LBB296_1057:                           ;   in Loop: Header=BB296_16 Depth=1
	s_wait_alu 0xfffe
	s_or_b32 exec_lo, exec_lo, s22
.LBB296_1058:                           ;   in Loop: Header=BB296_16 Depth=1
	s_wait_alu 0xfffe
	s_or_b32 exec_lo, exec_lo, s21
.LBB296_1059:                           ;   in Loop: Header=BB296_16 Depth=1
	s_wait_alu 0xfffe
	s_or_b32 exec_lo, exec_lo, s20
	v_lshrrev_b32_e32 v7, 16, v31
	s_mov_b32 s20, exec_lo
	s_delay_alu instid0(VALU_DEP_1) | instskip(NEXT) | instid1(VALU_DEP_1)
	v_and_b32_e32 v0, 0xff, v7
	v_cmpx_ne_u16_e32 0, v0
	s_cbranch_execz .LBB296_1067
; %bb.1060:                             ;   in Loop: Header=BB296_16 Depth=1
	v_cmp_ne_u16_e64 s1, 0x80, v0
	v_mov_b32_e32 v0, 0x8000
	scratch_store_b32 off, v0, s32 offset:568 ; 4-byte Folded Spill
	s_and_saveexec_b32 s21, s1
	s_cbranch_execz .LBB296_1066
; %bb.1061:                             ;   in Loop: Header=BB296_16 Depth=1
	v_bfe_u32 v3, v31, 16, 7
	v_mov_b32_e32 v0, 0x7c01
	s_mov_b32 s22, exec_lo
	scratch_store_b32 off, v0, s32 offset:568 ; 4-byte Folded Spill
	v_cmpx_ne_u32_e32 0x7f, v3
	s_cbranch_execz .LBB296_1065
; %bb.1062:                             ;   in Loop: Header=BB296_16 Depth=1
	v_and_b32_e32 v0, 7, v7
	v_lshrrev_b32_e32 v1, 3, v3
	s_mov_b32 s23, exec_lo
	v_cmpx_gt_u32_e32 8, v3
; %bb.1063:                             ;   in Loop: Header=BB296_16 Depth=1
	s_delay_alu instid0(VALU_DEP_3) | instskip(NEXT) | instid1(VALU_DEP_1)
	v_clz_i32_u32_e32 v0, v0
	v_min_u32_e32 v3, 32, v0
	s_delay_alu instid0(VALU_DEP_1) | instskip(NEXT) | instid1(VALU_DEP_1)
	v_subrev_nc_u32_e32 v0, 28, v3
	v_lshlrev_b64_e32 v[0:1], v0, v[7:8]
	v_sub_nc_u32_e32 v1, 29, v3
	s_delay_alu instid0(VALU_DEP_2)
	v_and_b32_e32 v0, 7, v0
; %bb.1064:                             ;   in Loop: Header=BB296_16 Depth=1
	s_wait_alu 0xfffe
	s_or_b32 exec_lo, exec_lo, s23
	v_lshlrev_b32_e32 v3, 8, v7
	v_lshl_add_u32 v1, v1, 10, 0x2000
	v_lshlrev_b32_e32 v0, 7, v0
	s_delay_alu instid0(VALU_DEP_3) | instskip(NEXT) | instid1(VALU_DEP_3)
	v_and_b32_e32 v3, 0x8000, v3
	v_and_b32_e32 v1, 0xfc00, v1
	s_delay_alu instid0(VALU_DEP_1)
	v_or3_b32 v0, v3, v1, v0
	scratch_store_b32 off, v0, s32 offset:568 ; 4-byte Folded Spill
.LBB296_1065:                           ;   in Loop: Header=BB296_16 Depth=1
	s_wait_alu 0xfffe
	s_or_b32 exec_lo, exec_lo, s22
.LBB296_1066:                           ;   in Loop: Header=BB296_16 Depth=1
	s_wait_alu 0xfffe
	s_or_b32 exec_lo, exec_lo, s21
.LBB296_1067:                           ;   in Loop: Header=BB296_16 Depth=1
	s_wait_alu 0xfffe
	s_or_b32 exec_lo, exec_lo, s20
	v_mov_b32_e32 v0, 0
	v_mov_b32_e32 v96, 0
	s_mov_b32 s20, exec_lo
	scratch_store_b32 off, v0, s32 offset:572 ; 4-byte Folded Spill
	v_cmpx_lt_u32_e32 0xffffff, v31
	s_cbranch_execz .LBB296_1075
; %bb.1068:                             ;   in Loop: Header=BB296_16 Depth=1
	v_lshrrev_b32_e32 v7, 24, v31
	v_bfrev_b32_e32 v96, 1
	s_mov_b32 s21, exec_lo
	s_delay_alu instid0(VALU_DEP_2)
	v_cmpx_ne_u32_e32 0x80, v7
	s_cbranch_execz .LBB296_1074
; %bb.1069:                             ;   in Loop: Header=BB296_16 Depth=1
	v_and_b32_e32 v3, 0x7f, v7
	v_mov_b32_e32 v96, 0x7c010000
	s_mov_b32 s22, exec_lo
	s_delay_alu instid0(VALU_DEP_2)
	v_cmpx_ne_u32_e32 0x7f, v3
	s_cbranch_execz .LBB296_1073
; %bb.1070:                             ;   in Loop: Header=BB296_16 Depth=1
	v_and_b32_e32 v0, 7, v7
	v_lshrrev_b32_e32 v1, 3, v3
	s_mov_b32 s23, exec_lo
	v_cmpx_gt_u32_e32 8, v3
; %bb.1071:                             ;   in Loop: Header=BB296_16 Depth=1
	s_delay_alu instid0(VALU_DEP_3) | instskip(NEXT) | instid1(VALU_DEP_1)
	v_clz_i32_u32_e32 v0, v0
	v_min_u32_e32 v3, 32, v0
	s_delay_alu instid0(VALU_DEP_1) | instskip(NEXT) | instid1(VALU_DEP_1)
	v_subrev_nc_u32_e32 v0, 28, v3
	v_lshlrev_b64_e32 v[0:1], v0, v[7:8]
	v_sub_nc_u32_e32 v1, 29, v3
	s_delay_alu instid0(VALU_DEP_2)
	v_and_b32_e32 v0, 7, v0
; %bb.1072:                             ;   in Loop: Header=BB296_16 Depth=1
	s_wait_alu 0xfffe
	s_or_b32 exec_lo, exec_lo, s23
	v_lshlrev_b32_e32 v3, 8, v7
	v_lshl_add_u32 v1, v1, 10, 0x2000
	v_lshlrev_b32_e32 v0, 23, v0
	s_delay_alu instid0(VALU_DEP_2) | instskip(NEXT) | instid1(VALU_DEP_1)
	v_and_or_b32 v1, 0x8000, v3, v1
	v_lshl_or_b32 v96, v1, 16, v0
.LBB296_1073:                           ;   in Loop: Header=BB296_16 Depth=1
	s_wait_alu 0xfffe
	s_or_b32 exec_lo, exec_lo, s22
.LBB296_1074:                           ;   in Loop: Header=BB296_16 Depth=1
	s_wait_alu 0xfffe
	s_or_b32 exec_lo, exec_lo, s21
.LBB296_1075:                           ;   in Loop: Header=BB296_16 Depth=1
	s_wait_alu 0xfffe
	s_or_b32 exec_lo, exec_lo, s20
	v_dual_mov_b32 v7, v32 :: v_dual_and_b32 v0, 0xff, v32
	s_mov_b32 s20, exec_lo
	s_delay_alu instid0(VALU_DEP_1)
	v_cmpx_ne_u16_e32 0, v0
	s_cbranch_execz .LBB296_1083
; %bb.1076:                             ;   in Loop: Header=BB296_16 Depth=1
	v_cmp_ne_u16_e64 s1, 0x80, v0
	v_mov_b32_e32 v0, 0x8000
	scratch_store_b32 off, v0, s32 offset:572 ; 4-byte Folded Spill
	s_and_saveexec_b32 s21, s1
	s_cbranch_execz .LBB296_1082
; %bb.1077:                             ;   in Loop: Header=BB296_16 Depth=1
	v_and_b32_e32 v3, 0x7f, v32
	v_mov_b32_e32 v0, 0x7c01
	s_mov_b32 s22, exec_lo
	scratch_store_b32 off, v0, s32 offset:572 ; 4-byte Folded Spill
	v_cmpx_ne_u32_e32 0x7f, v3
	s_cbranch_execz .LBB296_1081
; %bb.1078:                             ;   in Loop: Header=BB296_16 Depth=1
	v_and_b32_e32 v0, 7, v32
	v_lshrrev_b32_e32 v1, 3, v3
	s_mov_b32 s23, exec_lo
	v_cmpx_gt_u32_e32 8, v3
; %bb.1079:                             ;   in Loop: Header=BB296_16 Depth=1
	s_delay_alu instid0(VALU_DEP_3) | instskip(NEXT) | instid1(VALU_DEP_1)
	v_clz_i32_u32_e32 v0, v0
	v_min_u32_e32 v3, 32, v0
	s_delay_alu instid0(VALU_DEP_1) | instskip(NEXT) | instid1(VALU_DEP_1)
	v_subrev_nc_u32_e32 v0, 28, v3
	v_lshlrev_b64_e32 v[0:1], v0, v[7:8]
	v_sub_nc_u32_e32 v1, 29, v3
	s_delay_alu instid0(VALU_DEP_2)
	v_and_b32_e32 v0, 7, v0
; %bb.1080:                             ;   in Loop: Header=BB296_16 Depth=1
	s_wait_alu 0xfffe
	s_or_b32 exec_lo, exec_lo, s23
	v_lshlrev_b32_e32 v3, 8, v32
	v_lshl_add_u32 v1, v1, 10, 0x2000
	v_lshlrev_b32_e32 v0, 7, v0
	s_delay_alu instid0(VALU_DEP_3) | instskip(NEXT) | instid1(VALU_DEP_3)
	v_and_b32_e32 v3, 0x8000, v3
	v_and_b32_e32 v1, 0xfc00, v1
	s_delay_alu instid0(VALU_DEP_1)
	v_or3_b32 v0, v3, v1, v0
	scratch_store_b32 off, v0, s32 offset:572 ; 4-byte Folded Spill
.LBB296_1081:                           ;   in Loop: Header=BB296_16 Depth=1
	s_wait_alu 0xfffe
	s_or_b32 exec_lo, exec_lo, s22
.LBB296_1082:                           ;   in Loop: Header=BB296_16 Depth=1
	s_wait_alu 0xfffe
	s_or_b32 exec_lo, exec_lo, s21
.LBB296_1083:                           ;   in Loop: Header=BB296_16 Depth=1
	s_wait_alu 0xfffe
	s_or_b32 exec_lo, exec_lo, s20
	v_lshrrev_b16 v7, 8, v7
	v_mov_b32_e32 v0, 0
	v_mov_b32_e32 v98, 0
	s_mov_b32 s20, exec_lo
	scratch_store_b32 off, v0, s32 offset:576 ; 4-byte Folded Spill
	v_cmpx_ne_u16_e32 0, v7
	s_cbranch_execz .LBB296_1091
; %bb.1084:                             ;   in Loop: Header=BB296_16 Depth=1
	v_bfrev_b32_e32 v98, 1
	s_mov_b32 s21, exec_lo
	v_cmpx_ne_u16_e32 0x80, v7
	s_cbranch_execz .LBB296_1090
; %bb.1085:                             ;   in Loop: Header=BB296_16 Depth=1
	v_and_b32_e32 v0, 0xffff, v7
	v_mov_b32_e32 v98, 0x7c010000
	s_mov_b32 s22, exec_lo
	s_delay_alu instid0(VALU_DEP_2) | instskip(NEXT) | instid1(VALU_DEP_1)
	v_and_b32_e32 v4, 0x7f, v0
	v_cmpx_ne_u32_e32 0x7f, v4
	s_cbranch_execz .LBB296_1089
; %bb.1086:                             ;   in Loop: Header=BB296_16 Depth=1
	v_and_b32_e32 v1, 7, v0
	v_lshrrev_b32_e32 v3, 3, v4
	s_mov_b32 s23, exec_lo
	v_cmpx_gt_u32_e32 8, v4
	s_cbranch_execz .LBB296_1088
; %bb.1087:                             ;   in Loop: Header=BB296_16 Depth=1
	v_clz_i32_u32_e32 v1, v1
	v_mov_b32_e32 v6, v5
	s_delay_alu instid0(VALU_DEP_2) | instskip(NEXT) | instid1(VALU_DEP_1)
	v_min_u32_e32 v1, 32, v1
	v_subrev_nc_u32_e32 v3, 28, v1
	s_delay_alu instid0(VALU_DEP_1) | instskip(SKIP_1) | instid1(VALU_DEP_2)
	v_lshlrev_b64_e32 v[4:5], v3, v[7:8]
	v_sub_nc_u32_e32 v3, 29, v1
	v_and_b32_e32 v1, 7, v4
	v_mov_b32_e32 v5, v6
.LBB296_1088:                           ;   in Loop: Header=BB296_16 Depth=1
	s_wait_alu 0xfffe
	s_or_b32 exec_lo, exec_lo, s23
	v_lshlrev_b32_e32 v0, 8, v0
	v_lshl_add_u32 v3, v3, 10, 0x2000
	v_lshlrev_b32_e32 v1, 23, v1
	s_delay_alu instid0(VALU_DEP_2) | instskip(NEXT) | instid1(VALU_DEP_1)
	v_and_or_b32 v0, 0x8000, v0, v3
	v_lshl_or_b32 v98, v0, 16, v1
.LBB296_1089:                           ;   in Loop: Header=BB296_16 Depth=1
	s_wait_alu 0xfffe
	s_or_b32 exec_lo, exec_lo, s22
.LBB296_1090:                           ;   in Loop: Header=BB296_16 Depth=1
	s_wait_alu 0xfffe
	s_or_b32 exec_lo, exec_lo, s21
.LBB296_1091:                           ;   in Loop: Header=BB296_16 Depth=1
	s_wait_alu 0xfffe
	s_or_b32 exec_lo, exec_lo, s20
	v_lshrrev_b32_e32 v7, 16, v32
	s_mov_b32 s20, exec_lo
	s_delay_alu instid0(VALU_DEP_1) | instskip(NEXT) | instid1(VALU_DEP_1)
	v_and_b32_e32 v0, 0xff, v7
	v_cmpx_ne_u16_e32 0, v0
	s_cbranch_execz .LBB296_1099
; %bb.1092:                             ;   in Loop: Header=BB296_16 Depth=1
	v_cmp_ne_u16_e64 s1, 0x80, v0
	v_mov_b32_e32 v0, 0x8000
	scratch_store_b32 off, v0, s32 offset:576 ; 4-byte Folded Spill
	s_and_saveexec_b32 s21, s1
	s_cbranch_execz .LBB296_1098
; %bb.1093:                             ;   in Loop: Header=BB296_16 Depth=1
	v_bfe_u32 v3, v32, 16, 7
	v_mov_b32_e32 v0, 0x7c01
	s_mov_b32 s22, exec_lo
	scratch_store_b32 off, v0, s32 offset:576 ; 4-byte Folded Spill
	v_cmpx_ne_u32_e32 0x7f, v3
	s_cbranch_execz .LBB296_1097
; %bb.1094:                             ;   in Loop: Header=BB296_16 Depth=1
	v_and_b32_e32 v0, 7, v7
	v_lshrrev_b32_e32 v1, 3, v3
	s_mov_b32 s23, exec_lo
	v_cmpx_gt_u32_e32 8, v3
; %bb.1095:                             ;   in Loop: Header=BB296_16 Depth=1
	s_delay_alu instid0(VALU_DEP_3) | instskip(NEXT) | instid1(VALU_DEP_1)
	v_clz_i32_u32_e32 v0, v0
	v_min_u32_e32 v3, 32, v0
	s_delay_alu instid0(VALU_DEP_1) | instskip(NEXT) | instid1(VALU_DEP_1)
	v_subrev_nc_u32_e32 v0, 28, v3
	v_lshlrev_b64_e32 v[0:1], v0, v[7:8]
	v_sub_nc_u32_e32 v1, 29, v3
	s_delay_alu instid0(VALU_DEP_2)
	v_and_b32_e32 v0, 7, v0
; %bb.1096:                             ;   in Loop: Header=BB296_16 Depth=1
	s_wait_alu 0xfffe
	s_or_b32 exec_lo, exec_lo, s23
	v_lshlrev_b32_e32 v3, 8, v7
	v_lshl_add_u32 v1, v1, 10, 0x2000
	v_lshlrev_b32_e32 v0, 7, v0
	s_delay_alu instid0(VALU_DEP_3) | instskip(NEXT) | instid1(VALU_DEP_3)
	v_and_b32_e32 v3, 0x8000, v3
	v_and_b32_e32 v1, 0xfc00, v1
	s_delay_alu instid0(VALU_DEP_1)
	v_or3_b32 v0, v3, v1, v0
	scratch_store_b32 off, v0, s32 offset:576 ; 4-byte Folded Spill
.LBB296_1097:                           ;   in Loop: Header=BB296_16 Depth=1
	s_wait_alu 0xfffe
	s_or_b32 exec_lo, exec_lo, s22
.LBB296_1098:                           ;   in Loop: Header=BB296_16 Depth=1
	s_wait_alu 0xfffe
	s_or_b32 exec_lo, exec_lo, s21
.LBB296_1099:                           ;   in Loop: Header=BB296_16 Depth=1
	s_wait_alu 0xfffe
	s_or_b32 exec_lo, exec_lo, s20
	v_dual_mov_b32 v0, 0 :: v_dual_mov_b32 v83, 0
	s_mov_b32 s20, exec_lo
	scratch_store_b32 off, v0, s32 offset:580 ; 4-byte Folded Spill
	v_cmpx_lt_u64_e64 s[8:9], v[31:32]
	s_cbranch_execz .LBB296_1107
; %bb.1100:                             ;   in Loop: Header=BB296_16 Depth=1
	v_lshrrev_b32_e32 v7, 24, v32
	v_bfrev_b32_e32 v83, 1
	s_mov_b32 s21, exec_lo
	s_delay_alu instid0(VALU_DEP_2)
	v_cmpx_ne_u32_e32 0x80, v7
	s_cbranch_execz .LBB296_1106
; %bb.1101:                             ;   in Loop: Header=BB296_16 Depth=1
	v_and_b32_e32 v3, 0x7f, v7
	v_mov_b32_e32 v83, 0x7c010000
	s_mov_b32 s22, exec_lo
	s_delay_alu instid0(VALU_DEP_2)
	v_cmpx_ne_u32_e32 0x7f, v3
	s_cbranch_execz .LBB296_1105
; %bb.1102:                             ;   in Loop: Header=BB296_16 Depth=1
	v_and_b32_e32 v0, 7, v7
	v_lshrrev_b32_e32 v1, 3, v3
	s_mov_b32 s23, exec_lo
	v_cmpx_gt_u32_e32 8, v3
; %bb.1103:                             ;   in Loop: Header=BB296_16 Depth=1
	s_delay_alu instid0(VALU_DEP_3) | instskip(NEXT) | instid1(VALU_DEP_1)
	v_clz_i32_u32_e32 v0, v0
	v_min_u32_e32 v3, 32, v0
	s_delay_alu instid0(VALU_DEP_1) | instskip(NEXT) | instid1(VALU_DEP_1)
	v_subrev_nc_u32_e32 v0, 28, v3
	v_lshlrev_b64_e32 v[0:1], v0, v[7:8]
	v_sub_nc_u32_e32 v1, 29, v3
	s_delay_alu instid0(VALU_DEP_2)
	v_and_b32_e32 v0, 7, v0
; %bb.1104:                             ;   in Loop: Header=BB296_16 Depth=1
	s_wait_alu 0xfffe
	s_or_b32 exec_lo, exec_lo, s23
	v_lshlrev_b32_e32 v3, 8, v7
	v_lshl_add_u32 v1, v1, 10, 0x2000
	v_lshlrev_b32_e32 v0, 23, v0
	s_delay_alu instid0(VALU_DEP_2) | instskip(NEXT) | instid1(VALU_DEP_1)
	v_and_or_b32 v1, 0x8000, v3, v1
	v_lshl_or_b32 v83, v1, 16, v0
.LBB296_1105:                           ;   in Loop: Header=BB296_16 Depth=1
	s_wait_alu 0xfffe
	s_or_b32 exec_lo, exec_lo, s22
.LBB296_1106:                           ;   in Loop: Header=BB296_16 Depth=1
	s_wait_alu 0xfffe
	s_or_b32 exec_lo, exec_lo, s21
.LBB296_1107:                           ;   in Loop: Header=BB296_16 Depth=1
	s_wait_alu 0xfffe
	s_or_b32 exec_lo, exec_lo, s20
	flat_load_b64 v[31:32], v[28:29] offset:4104
	s_mov_b32 s20, exec_lo
	s_wait_loadcnt_dscnt 0x0
	v_and_b32_e32 v0, 0xff, v31
	s_delay_alu instid0(VALU_DEP_1)
	v_cmpx_ne_u16_e32 0, v0
	s_cbranch_execz .LBB296_1115
; %bb.1108:                             ;   in Loop: Header=BB296_16 Depth=1
	v_cmp_ne_u16_e64 s1, 0x80, v0
	v_mov_b32_e32 v0, 0x8000
	scratch_store_b32 off, v0, s32 offset:580 ; 4-byte Folded Spill
	s_and_saveexec_b32 s21, s1
	s_cbranch_execz .LBB296_1114
; %bb.1109:                             ;   in Loop: Header=BB296_16 Depth=1
	v_and_b32_e32 v3, 0x7f, v31
	v_mov_b32_e32 v0, 0x7c01
	s_mov_b32 s22, exec_lo
	scratch_store_b32 off, v0, s32 offset:580 ; 4-byte Folded Spill
	v_cmpx_ne_u32_e32 0x7f, v3
	s_cbranch_execz .LBB296_1113
; %bb.1110:                             ;   in Loop: Header=BB296_16 Depth=1
	v_and_b32_e32 v0, 7, v31
	v_lshrrev_b32_e32 v1, 3, v3
	s_mov_b32 s23, exec_lo
	v_cmpx_gt_u32_e32 8, v3
; %bb.1111:                             ;   in Loop: Header=BB296_16 Depth=1
	s_delay_alu instid0(VALU_DEP_3) | instskip(NEXT) | instid1(VALU_DEP_1)
	v_clz_i32_u32_e32 v0, v0
	v_min_u32_e32 v3, 32, v0
	s_delay_alu instid0(VALU_DEP_1) | instskip(NEXT) | instid1(VALU_DEP_1)
	v_subrev_nc_u32_e32 v0, 28, v3
	v_lshlrev_b64_e32 v[0:1], v0, v[31:32]
	v_sub_nc_u32_e32 v1, 29, v3
	s_delay_alu instid0(VALU_DEP_2)
	v_and_b32_e32 v0, 7, v0
; %bb.1112:                             ;   in Loop: Header=BB296_16 Depth=1
	s_wait_alu 0xfffe
	s_or_b32 exec_lo, exec_lo, s23
	v_lshlrev_b32_e32 v3, 8, v31
	v_lshl_add_u32 v1, v1, 10, 0x2000
	v_lshlrev_b32_e32 v0, 7, v0
	s_delay_alu instid0(VALU_DEP_3) | instskip(NEXT) | instid1(VALU_DEP_3)
	v_and_b32_e32 v3, 0x8000, v3
	v_and_b32_e32 v1, 0xfc00, v1
	s_delay_alu instid0(VALU_DEP_1)
	v_or3_b32 v0, v3, v1, v0
	scratch_store_b32 off, v0, s32 offset:580 ; 4-byte Folded Spill
.LBB296_1113:                           ;   in Loop: Header=BB296_16 Depth=1
	s_wait_alu 0xfffe
	s_or_b32 exec_lo, exec_lo, s22
.LBB296_1114:                           ;   in Loop: Header=BB296_16 Depth=1
	s_wait_alu 0xfffe
	s_or_b32 exec_lo, exec_lo, s21
.LBB296_1115:                           ;   in Loop: Header=BB296_16 Depth=1
	s_wait_alu 0xfffe
	s_or_b32 exec_lo, exec_lo, s20
	v_lshrrev_b16 v7, 8, v31
	v_mov_b32_e32 v0, 0
	v_mov_b32_e32 v138, 0
	s_mov_b32 s20, exec_lo
	scratch_store_b32 off, v0, s32 offset:584 ; 4-byte Folded Spill
	v_cmpx_ne_u16_e32 0, v7
	s_cbranch_execz .LBB296_1123
; %bb.1116:                             ;   in Loop: Header=BB296_16 Depth=1
	v_bfrev_b32_e32 v138, 1
	s_mov_b32 s21, exec_lo
	v_cmpx_ne_u16_e32 0x80, v7
	s_cbranch_execz .LBB296_1122
; %bb.1117:                             ;   in Loop: Header=BB296_16 Depth=1
	v_and_b32_e32 v0, 0xffff, v7
	v_mov_b32_e32 v138, 0x7c010000
	s_mov_b32 s22, exec_lo
	s_delay_alu instid0(VALU_DEP_2) | instskip(NEXT) | instid1(VALU_DEP_1)
	v_and_b32_e32 v4, 0x7f, v0
	v_cmpx_ne_u32_e32 0x7f, v4
	s_cbranch_execz .LBB296_1121
; %bb.1118:                             ;   in Loop: Header=BB296_16 Depth=1
	v_and_b32_e32 v1, 7, v0
	v_lshrrev_b32_e32 v3, 3, v4
	s_mov_b32 s23, exec_lo
	v_cmpx_gt_u32_e32 8, v4
	s_cbranch_execz .LBB296_1120
; %bb.1119:                             ;   in Loop: Header=BB296_16 Depth=1
	v_clz_i32_u32_e32 v1, v1
	v_mov_b32_e32 v6, v5
	s_delay_alu instid0(VALU_DEP_2) | instskip(NEXT) | instid1(VALU_DEP_1)
	v_min_u32_e32 v1, 32, v1
	v_subrev_nc_u32_e32 v3, 28, v1
	s_delay_alu instid0(VALU_DEP_1) | instskip(SKIP_1) | instid1(VALU_DEP_2)
	v_lshlrev_b64_e32 v[4:5], v3, v[7:8]
	v_sub_nc_u32_e32 v3, 29, v1
	v_and_b32_e32 v1, 7, v4
	v_mov_b32_e32 v5, v6
.LBB296_1120:                           ;   in Loop: Header=BB296_16 Depth=1
	s_wait_alu 0xfffe
	s_or_b32 exec_lo, exec_lo, s23
	v_lshlrev_b32_e32 v0, 8, v0
	v_lshl_add_u32 v3, v3, 10, 0x2000
	v_lshlrev_b32_e32 v1, 23, v1
	s_delay_alu instid0(VALU_DEP_2) | instskip(NEXT) | instid1(VALU_DEP_1)
	v_and_or_b32 v0, 0x8000, v0, v3
	v_lshl_or_b32 v138, v0, 16, v1
.LBB296_1121:                           ;   in Loop: Header=BB296_16 Depth=1
	s_wait_alu 0xfffe
	s_or_b32 exec_lo, exec_lo, s22
.LBB296_1122:                           ;   in Loop: Header=BB296_16 Depth=1
	s_wait_alu 0xfffe
	s_or_b32 exec_lo, exec_lo, s21
.LBB296_1123:                           ;   in Loop: Header=BB296_16 Depth=1
	s_wait_alu 0xfffe
	s_or_b32 exec_lo, exec_lo, s20
	v_lshrrev_b32_e32 v7, 16, v31
	s_mov_b32 s20, exec_lo
	s_delay_alu instid0(VALU_DEP_1) | instskip(NEXT) | instid1(VALU_DEP_1)
	v_and_b32_e32 v0, 0xff, v7
	v_cmpx_ne_u16_e32 0, v0
	s_cbranch_execz .LBB296_1131
; %bb.1124:                             ;   in Loop: Header=BB296_16 Depth=1
	v_cmp_ne_u16_e64 s1, 0x80, v0
	v_mov_b32_e32 v0, 0x8000
	scratch_store_b32 off, v0, s32 offset:584 ; 4-byte Folded Spill
	s_and_saveexec_b32 s21, s1
	s_cbranch_execz .LBB296_1130
; %bb.1125:                             ;   in Loop: Header=BB296_16 Depth=1
	v_bfe_u32 v3, v31, 16, 7
	v_mov_b32_e32 v0, 0x7c01
	s_mov_b32 s22, exec_lo
	scratch_store_b32 off, v0, s32 offset:584 ; 4-byte Folded Spill
	v_cmpx_ne_u32_e32 0x7f, v3
	s_cbranch_execz .LBB296_1129
; %bb.1126:                             ;   in Loop: Header=BB296_16 Depth=1
	v_and_b32_e32 v0, 7, v7
	v_lshrrev_b32_e32 v1, 3, v3
	s_mov_b32 s23, exec_lo
	v_cmpx_gt_u32_e32 8, v3
; %bb.1127:                             ;   in Loop: Header=BB296_16 Depth=1
	s_delay_alu instid0(VALU_DEP_3) | instskip(NEXT) | instid1(VALU_DEP_1)
	v_clz_i32_u32_e32 v0, v0
	v_min_u32_e32 v3, 32, v0
	s_delay_alu instid0(VALU_DEP_1) | instskip(NEXT) | instid1(VALU_DEP_1)
	v_subrev_nc_u32_e32 v0, 28, v3
	v_lshlrev_b64_e32 v[0:1], v0, v[7:8]
	v_sub_nc_u32_e32 v1, 29, v3
	s_delay_alu instid0(VALU_DEP_2)
	v_and_b32_e32 v0, 7, v0
; %bb.1128:                             ;   in Loop: Header=BB296_16 Depth=1
	s_wait_alu 0xfffe
	s_or_b32 exec_lo, exec_lo, s23
	v_lshlrev_b32_e32 v3, 8, v7
	v_lshl_add_u32 v1, v1, 10, 0x2000
	v_lshlrev_b32_e32 v0, 7, v0
	s_delay_alu instid0(VALU_DEP_3) | instskip(NEXT) | instid1(VALU_DEP_3)
	v_and_b32_e32 v3, 0x8000, v3
	v_and_b32_e32 v1, 0xfc00, v1
	s_delay_alu instid0(VALU_DEP_1)
	v_or3_b32 v0, v3, v1, v0
	scratch_store_b32 off, v0, s32 offset:584 ; 4-byte Folded Spill
.LBB296_1129:                           ;   in Loop: Header=BB296_16 Depth=1
	s_wait_alu 0xfffe
	s_or_b32 exec_lo, exec_lo, s22
.LBB296_1130:                           ;   in Loop: Header=BB296_16 Depth=1
	s_wait_alu 0xfffe
	s_or_b32 exec_lo, exec_lo, s21
.LBB296_1131:                           ;   in Loop: Header=BB296_16 Depth=1
	s_wait_alu 0xfffe
	s_or_b32 exec_lo, exec_lo, s20
	v_mov_b32_e32 v0, 0
	v_mov_b32_e32 v152, 0
	s_mov_b32 s20, exec_lo
	scratch_store_b32 off, v0, s32 offset:588 ; 4-byte Folded Spill
	v_cmpx_lt_u32_e32 0xffffff, v31
	s_cbranch_execz .LBB296_1139
; %bb.1132:                             ;   in Loop: Header=BB296_16 Depth=1
	v_lshrrev_b32_e32 v7, 24, v31
	v_bfrev_b32_e32 v152, 1
	s_mov_b32 s21, exec_lo
	s_delay_alu instid0(VALU_DEP_2)
	v_cmpx_ne_u32_e32 0x80, v7
	s_cbranch_execz .LBB296_1138
; %bb.1133:                             ;   in Loop: Header=BB296_16 Depth=1
	v_and_b32_e32 v3, 0x7f, v7
	v_mov_b32_e32 v152, 0x7c010000
	s_mov_b32 s22, exec_lo
	s_delay_alu instid0(VALU_DEP_2)
	v_cmpx_ne_u32_e32 0x7f, v3
	s_cbranch_execz .LBB296_1137
; %bb.1134:                             ;   in Loop: Header=BB296_16 Depth=1
	v_and_b32_e32 v0, 7, v7
	v_lshrrev_b32_e32 v1, 3, v3
	s_mov_b32 s23, exec_lo
	v_cmpx_gt_u32_e32 8, v3
; %bb.1135:                             ;   in Loop: Header=BB296_16 Depth=1
	s_delay_alu instid0(VALU_DEP_3) | instskip(NEXT) | instid1(VALU_DEP_1)
	v_clz_i32_u32_e32 v0, v0
	v_min_u32_e32 v3, 32, v0
	s_delay_alu instid0(VALU_DEP_1) | instskip(NEXT) | instid1(VALU_DEP_1)
	v_subrev_nc_u32_e32 v0, 28, v3
	v_lshlrev_b64_e32 v[0:1], v0, v[7:8]
	v_sub_nc_u32_e32 v1, 29, v3
	s_delay_alu instid0(VALU_DEP_2)
	v_and_b32_e32 v0, 7, v0
; %bb.1136:                             ;   in Loop: Header=BB296_16 Depth=1
	s_wait_alu 0xfffe
	s_or_b32 exec_lo, exec_lo, s23
	v_lshlrev_b32_e32 v3, 8, v7
	v_lshl_add_u32 v1, v1, 10, 0x2000
	v_lshlrev_b32_e32 v0, 23, v0
	s_delay_alu instid0(VALU_DEP_2) | instskip(NEXT) | instid1(VALU_DEP_1)
	v_and_or_b32 v1, 0x8000, v3, v1
	v_lshl_or_b32 v152, v1, 16, v0
.LBB296_1137:                           ;   in Loop: Header=BB296_16 Depth=1
	s_wait_alu 0xfffe
	s_or_b32 exec_lo, exec_lo, s22
.LBB296_1138:                           ;   in Loop: Header=BB296_16 Depth=1
	s_wait_alu 0xfffe
	s_or_b32 exec_lo, exec_lo, s21
.LBB296_1139:                           ;   in Loop: Header=BB296_16 Depth=1
	s_wait_alu 0xfffe
	s_or_b32 exec_lo, exec_lo, s20
	v_dual_mov_b32 v7, v32 :: v_dual_and_b32 v0, 0xff, v32
	s_mov_b32 s20, exec_lo
	s_delay_alu instid0(VALU_DEP_1)
	v_cmpx_ne_u16_e32 0, v0
	s_cbranch_execz .LBB296_1147
; %bb.1140:                             ;   in Loop: Header=BB296_16 Depth=1
	v_cmp_ne_u16_e64 s1, 0x80, v0
	v_mov_b32_e32 v0, 0x8000
	scratch_store_b32 off, v0, s32 offset:588 ; 4-byte Folded Spill
	s_and_saveexec_b32 s21, s1
	s_cbranch_execz .LBB296_1146
; %bb.1141:                             ;   in Loop: Header=BB296_16 Depth=1
	v_and_b32_e32 v3, 0x7f, v32
	v_mov_b32_e32 v0, 0x7c01
	s_mov_b32 s22, exec_lo
	scratch_store_b32 off, v0, s32 offset:588 ; 4-byte Folded Spill
	v_cmpx_ne_u32_e32 0x7f, v3
	s_cbranch_execz .LBB296_1145
; %bb.1142:                             ;   in Loop: Header=BB296_16 Depth=1
	v_and_b32_e32 v0, 7, v32
	v_lshrrev_b32_e32 v1, 3, v3
	s_mov_b32 s23, exec_lo
	v_cmpx_gt_u32_e32 8, v3
; %bb.1143:                             ;   in Loop: Header=BB296_16 Depth=1
	s_delay_alu instid0(VALU_DEP_3) | instskip(NEXT) | instid1(VALU_DEP_1)
	v_clz_i32_u32_e32 v0, v0
	v_min_u32_e32 v3, 32, v0
	s_delay_alu instid0(VALU_DEP_1) | instskip(NEXT) | instid1(VALU_DEP_1)
	v_subrev_nc_u32_e32 v0, 28, v3
	v_lshlrev_b64_e32 v[0:1], v0, v[7:8]
	v_sub_nc_u32_e32 v1, 29, v3
	s_delay_alu instid0(VALU_DEP_2)
	v_and_b32_e32 v0, 7, v0
; %bb.1144:                             ;   in Loop: Header=BB296_16 Depth=1
	s_wait_alu 0xfffe
	s_or_b32 exec_lo, exec_lo, s23
	v_lshlrev_b32_e32 v3, 8, v32
	v_lshl_add_u32 v1, v1, 10, 0x2000
	v_lshlrev_b32_e32 v0, 7, v0
	s_delay_alu instid0(VALU_DEP_3) | instskip(NEXT) | instid1(VALU_DEP_3)
	v_and_b32_e32 v3, 0x8000, v3
	v_and_b32_e32 v1, 0xfc00, v1
	s_delay_alu instid0(VALU_DEP_1)
	v_or3_b32 v0, v3, v1, v0
	scratch_store_b32 off, v0, s32 offset:588 ; 4-byte Folded Spill
.LBB296_1145:                           ;   in Loop: Header=BB296_16 Depth=1
	s_wait_alu 0xfffe
	s_or_b32 exec_lo, exec_lo, s22
.LBB296_1146:                           ;   in Loop: Header=BB296_16 Depth=1
	s_wait_alu 0xfffe
	s_or_b32 exec_lo, exec_lo, s21
.LBB296_1147:                           ;   in Loop: Header=BB296_16 Depth=1
	s_wait_alu 0xfffe
	s_or_b32 exec_lo, exec_lo, s20
	v_lshrrev_b16 v7, 8, v7
	v_mov_b32_e32 v0, 0
	v_mov_b32_e32 v158, 0
	s_mov_b32 s20, exec_lo
	scratch_store_b32 off, v0, s32 offset:592 ; 4-byte Folded Spill
	v_cmpx_ne_u16_e32 0, v7
	s_cbranch_execz .LBB296_1155
; %bb.1148:                             ;   in Loop: Header=BB296_16 Depth=1
	v_bfrev_b32_e32 v158, 1
	s_mov_b32 s21, exec_lo
	v_cmpx_ne_u16_e32 0x80, v7
	s_cbranch_execz .LBB296_1154
; %bb.1149:                             ;   in Loop: Header=BB296_16 Depth=1
	v_and_b32_e32 v0, 0xffff, v7
	v_mov_b32_e32 v158, 0x7c010000
	s_mov_b32 s22, exec_lo
	s_delay_alu instid0(VALU_DEP_2) | instskip(NEXT) | instid1(VALU_DEP_1)
	v_and_b32_e32 v4, 0x7f, v0
	v_cmpx_ne_u32_e32 0x7f, v4
	s_cbranch_execz .LBB296_1153
; %bb.1150:                             ;   in Loop: Header=BB296_16 Depth=1
	v_and_b32_e32 v1, 7, v0
	v_lshrrev_b32_e32 v3, 3, v4
	s_mov_b32 s23, exec_lo
	v_cmpx_gt_u32_e32 8, v4
	s_cbranch_execz .LBB296_1152
; %bb.1151:                             ;   in Loop: Header=BB296_16 Depth=1
	v_clz_i32_u32_e32 v1, v1
	v_mov_b32_e32 v6, v5
	s_delay_alu instid0(VALU_DEP_2) | instskip(NEXT) | instid1(VALU_DEP_1)
	v_min_u32_e32 v1, 32, v1
	v_subrev_nc_u32_e32 v3, 28, v1
	s_delay_alu instid0(VALU_DEP_1) | instskip(SKIP_1) | instid1(VALU_DEP_2)
	v_lshlrev_b64_e32 v[4:5], v3, v[7:8]
	v_sub_nc_u32_e32 v3, 29, v1
	v_and_b32_e32 v1, 7, v4
	v_mov_b32_e32 v5, v6
.LBB296_1152:                           ;   in Loop: Header=BB296_16 Depth=1
	s_wait_alu 0xfffe
	s_or_b32 exec_lo, exec_lo, s23
	v_lshlrev_b32_e32 v0, 8, v0
	v_lshl_add_u32 v3, v3, 10, 0x2000
	v_lshlrev_b32_e32 v1, 23, v1
	s_delay_alu instid0(VALU_DEP_2) | instskip(NEXT) | instid1(VALU_DEP_1)
	v_and_or_b32 v0, 0x8000, v0, v3
	v_lshl_or_b32 v158, v0, 16, v1
.LBB296_1153:                           ;   in Loop: Header=BB296_16 Depth=1
	s_wait_alu 0xfffe
	s_or_b32 exec_lo, exec_lo, s22
.LBB296_1154:                           ;   in Loop: Header=BB296_16 Depth=1
	s_wait_alu 0xfffe
	s_or_b32 exec_lo, exec_lo, s21
.LBB296_1155:                           ;   in Loop: Header=BB296_16 Depth=1
	s_wait_alu 0xfffe
	s_or_b32 exec_lo, exec_lo, s20
	v_lshrrev_b32_e32 v7, 16, v32
	s_mov_b32 s20, exec_lo
	s_delay_alu instid0(VALU_DEP_1) | instskip(NEXT) | instid1(VALU_DEP_1)
	v_and_b32_e32 v0, 0xff, v7
	v_cmpx_ne_u16_e32 0, v0
	s_cbranch_execz .LBB296_1163
; %bb.1156:                             ;   in Loop: Header=BB296_16 Depth=1
	v_cmp_ne_u16_e64 s1, 0x80, v0
	v_mov_b32_e32 v0, 0x8000
	scratch_store_b32 off, v0, s32 offset:592 ; 4-byte Folded Spill
	s_and_saveexec_b32 s21, s1
	s_cbranch_execz .LBB296_1162
; %bb.1157:                             ;   in Loop: Header=BB296_16 Depth=1
	v_bfe_u32 v3, v32, 16, 7
	v_mov_b32_e32 v0, 0x7c01
	s_mov_b32 s22, exec_lo
	scratch_store_b32 off, v0, s32 offset:592 ; 4-byte Folded Spill
	v_cmpx_ne_u32_e32 0x7f, v3
	s_cbranch_execz .LBB296_1161
; %bb.1158:                             ;   in Loop: Header=BB296_16 Depth=1
	v_and_b32_e32 v0, 7, v7
	v_lshrrev_b32_e32 v1, 3, v3
	s_mov_b32 s23, exec_lo
	v_cmpx_gt_u32_e32 8, v3
; %bb.1159:                             ;   in Loop: Header=BB296_16 Depth=1
	s_delay_alu instid0(VALU_DEP_3) | instskip(NEXT) | instid1(VALU_DEP_1)
	v_clz_i32_u32_e32 v0, v0
	v_min_u32_e32 v3, 32, v0
	s_delay_alu instid0(VALU_DEP_1) | instskip(NEXT) | instid1(VALU_DEP_1)
	v_subrev_nc_u32_e32 v0, 28, v3
	v_lshlrev_b64_e32 v[0:1], v0, v[7:8]
	v_sub_nc_u32_e32 v1, 29, v3
	s_delay_alu instid0(VALU_DEP_2)
	v_and_b32_e32 v0, 7, v0
; %bb.1160:                             ;   in Loop: Header=BB296_16 Depth=1
	s_wait_alu 0xfffe
	s_or_b32 exec_lo, exec_lo, s23
	v_lshlrev_b32_e32 v3, 8, v7
	v_lshl_add_u32 v1, v1, 10, 0x2000
	v_lshlrev_b32_e32 v0, 7, v0
	s_delay_alu instid0(VALU_DEP_3) | instskip(NEXT) | instid1(VALU_DEP_3)
	v_and_b32_e32 v3, 0x8000, v3
	v_and_b32_e32 v1, 0xfc00, v1
	s_delay_alu instid0(VALU_DEP_1)
	v_or3_b32 v0, v3, v1, v0
	scratch_store_b32 off, v0, s32 offset:592 ; 4-byte Folded Spill
.LBB296_1161:                           ;   in Loop: Header=BB296_16 Depth=1
	s_wait_alu 0xfffe
	s_or_b32 exec_lo, exec_lo, s22
.LBB296_1162:                           ;   in Loop: Header=BB296_16 Depth=1
	s_wait_alu 0xfffe
	s_or_b32 exec_lo, exec_lo, s21
.LBB296_1163:                           ;   in Loop: Header=BB296_16 Depth=1
	s_wait_alu 0xfffe
	s_or_b32 exec_lo, exec_lo, s20
	v_mov_b32_e32 v0, 0
	v_mov_b32_e32 v176, 0
	s_mov_b32 s20, exec_lo
	scratch_store_b32 off, v0, s32 offset:596 ; 4-byte Folded Spill
	v_cmpx_lt_u64_e64 s[8:9], v[31:32]
	s_cbranch_execz .LBB296_1171
; %bb.1164:                             ;   in Loop: Header=BB296_16 Depth=1
	v_lshrrev_b32_e32 v7, 24, v32
	v_bfrev_b32_e32 v176, 1
	s_mov_b32 s21, exec_lo
	s_delay_alu instid0(VALU_DEP_2)
	v_cmpx_ne_u32_e32 0x80, v7
	s_cbranch_execz .LBB296_1170
; %bb.1165:                             ;   in Loop: Header=BB296_16 Depth=1
	v_and_b32_e32 v3, 0x7f, v7
	v_mov_b32_e32 v176, 0x7c010000
	s_mov_b32 s22, exec_lo
	s_delay_alu instid0(VALU_DEP_2)
	v_cmpx_ne_u32_e32 0x7f, v3
	s_cbranch_execz .LBB296_1169
; %bb.1166:                             ;   in Loop: Header=BB296_16 Depth=1
	v_and_b32_e32 v0, 7, v7
	v_lshrrev_b32_e32 v1, 3, v3
	s_mov_b32 s23, exec_lo
	v_cmpx_gt_u32_e32 8, v3
; %bb.1167:                             ;   in Loop: Header=BB296_16 Depth=1
	s_delay_alu instid0(VALU_DEP_3) | instskip(NEXT) | instid1(VALU_DEP_1)
	v_clz_i32_u32_e32 v0, v0
	v_min_u32_e32 v3, 32, v0
	s_delay_alu instid0(VALU_DEP_1) | instskip(NEXT) | instid1(VALU_DEP_1)
	v_subrev_nc_u32_e32 v0, 28, v3
	v_lshlrev_b64_e32 v[0:1], v0, v[7:8]
	v_sub_nc_u32_e32 v1, 29, v3
	s_delay_alu instid0(VALU_DEP_2)
	v_and_b32_e32 v0, 7, v0
; %bb.1168:                             ;   in Loop: Header=BB296_16 Depth=1
	s_wait_alu 0xfffe
	s_or_b32 exec_lo, exec_lo, s23
	v_lshlrev_b32_e32 v3, 8, v7
	v_lshl_add_u32 v1, v1, 10, 0x2000
	v_lshlrev_b32_e32 v0, 23, v0
	s_delay_alu instid0(VALU_DEP_2) | instskip(NEXT) | instid1(VALU_DEP_1)
	v_and_or_b32 v1, 0x8000, v3, v1
	v_lshl_or_b32 v176, v1, 16, v0
.LBB296_1169:                           ;   in Loop: Header=BB296_16 Depth=1
	s_wait_alu 0xfffe
	s_or_b32 exec_lo, exec_lo, s22
.LBB296_1170:                           ;   in Loop: Header=BB296_16 Depth=1
	s_wait_alu 0xfffe
	s_or_b32 exec_lo, exec_lo, s21
.LBB296_1171:                           ;   in Loop: Header=BB296_16 Depth=1
	s_wait_alu 0xfffe
	s_or_b32 exec_lo, exec_lo, s20
	flat_load_b64 v[31:32], v[28:29] offset:4608
	s_mov_b32 s20, exec_lo
	s_wait_loadcnt_dscnt 0x0
	v_and_b32_e32 v0, 0xff, v31
	s_delay_alu instid0(VALU_DEP_1)
	v_cmpx_ne_u16_e32 0, v0
	s_cbranch_execz .LBB296_1179
; %bb.1172:                             ;   in Loop: Header=BB296_16 Depth=1
	v_cmp_ne_u16_e64 s1, 0x80, v0
	v_mov_b32_e32 v0, 0x8000
	scratch_store_b32 off, v0, s32 offset:596 ; 4-byte Folded Spill
	s_and_saveexec_b32 s21, s1
	s_cbranch_execz .LBB296_1178
; %bb.1173:                             ;   in Loop: Header=BB296_16 Depth=1
	v_and_b32_e32 v3, 0x7f, v31
	v_mov_b32_e32 v0, 0x7c01
	s_mov_b32 s22, exec_lo
	scratch_store_b32 off, v0, s32 offset:596 ; 4-byte Folded Spill
	v_cmpx_ne_u32_e32 0x7f, v3
	s_cbranch_execz .LBB296_1177
; %bb.1174:                             ;   in Loop: Header=BB296_16 Depth=1
	v_and_b32_e32 v0, 7, v31
	v_lshrrev_b32_e32 v1, 3, v3
	s_mov_b32 s23, exec_lo
	v_cmpx_gt_u32_e32 8, v3
; %bb.1175:                             ;   in Loop: Header=BB296_16 Depth=1
	s_delay_alu instid0(VALU_DEP_3) | instskip(NEXT) | instid1(VALU_DEP_1)
	v_clz_i32_u32_e32 v0, v0
	v_min_u32_e32 v3, 32, v0
	s_delay_alu instid0(VALU_DEP_1) | instskip(NEXT) | instid1(VALU_DEP_1)
	v_subrev_nc_u32_e32 v0, 28, v3
	v_lshlrev_b64_e32 v[0:1], v0, v[31:32]
	v_sub_nc_u32_e32 v1, 29, v3
	s_delay_alu instid0(VALU_DEP_2)
	v_and_b32_e32 v0, 7, v0
; %bb.1176:                             ;   in Loop: Header=BB296_16 Depth=1
	s_wait_alu 0xfffe
	s_or_b32 exec_lo, exec_lo, s23
	v_lshlrev_b32_e32 v3, 8, v31
	v_lshl_add_u32 v1, v1, 10, 0x2000
	v_lshlrev_b32_e32 v0, 7, v0
	s_delay_alu instid0(VALU_DEP_3) | instskip(NEXT) | instid1(VALU_DEP_3)
	v_and_b32_e32 v3, 0x8000, v3
	v_and_b32_e32 v1, 0xfc00, v1
	s_delay_alu instid0(VALU_DEP_1)
	v_or3_b32 v0, v3, v1, v0
	scratch_store_b32 off, v0, s32 offset:596 ; 4-byte Folded Spill
.LBB296_1177:                           ;   in Loop: Header=BB296_16 Depth=1
	s_wait_alu 0xfffe
	s_or_b32 exec_lo, exec_lo, s22
.LBB296_1178:                           ;   in Loop: Header=BB296_16 Depth=1
	s_wait_alu 0xfffe
	s_or_b32 exec_lo, exec_lo, s21
.LBB296_1179:                           ;   in Loop: Header=BB296_16 Depth=1
	s_wait_alu 0xfffe
	s_or_b32 exec_lo, exec_lo, s20
	v_lshrrev_b16 v7, 8, v31
	v_mov_b32_e32 v0, 0
	v_mov_b32_e32 v80, 0
	s_mov_b32 s20, exec_lo
	scratch_store_b32 off, v0, s32 offset:600 ; 4-byte Folded Spill
	v_cmpx_ne_u16_e32 0, v7
	s_cbranch_execz .LBB296_1187
; %bb.1180:                             ;   in Loop: Header=BB296_16 Depth=1
	v_bfrev_b32_e32 v80, 1
	s_mov_b32 s21, exec_lo
	v_cmpx_ne_u16_e32 0x80, v7
	s_cbranch_execz .LBB296_1186
; %bb.1181:                             ;   in Loop: Header=BB296_16 Depth=1
	v_and_b32_e32 v0, 0xffff, v7
	v_mov_b32_e32 v80, 0x7c010000
	s_mov_b32 s22, exec_lo
	s_delay_alu instid0(VALU_DEP_2) | instskip(NEXT) | instid1(VALU_DEP_1)
	v_and_b32_e32 v4, 0x7f, v0
	v_cmpx_ne_u32_e32 0x7f, v4
	s_cbranch_execz .LBB296_1185
; %bb.1182:                             ;   in Loop: Header=BB296_16 Depth=1
	v_and_b32_e32 v1, 7, v0
	v_lshrrev_b32_e32 v3, 3, v4
	s_mov_b32 s23, exec_lo
	v_cmpx_gt_u32_e32 8, v4
	s_cbranch_execz .LBB296_1184
; %bb.1183:                             ;   in Loop: Header=BB296_16 Depth=1
	v_clz_i32_u32_e32 v1, v1
	v_mov_b32_e32 v6, v5
	s_delay_alu instid0(VALU_DEP_2) | instskip(NEXT) | instid1(VALU_DEP_1)
	v_min_u32_e32 v1, 32, v1
	v_subrev_nc_u32_e32 v3, 28, v1
	s_delay_alu instid0(VALU_DEP_1) | instskip(SKIP_1) | instid1(VALU_DEP_2)
	v_lshlrev_b64_e32 v[4:5], v3, v[7:8]
	v_sub_nc_u32_e32 v3, 29, v1
	v_and_b32_e32 v1, 7, v4
	v_mov_b32_e32 v5, v6
.LBB296_1184:                           ;   in Loop: Header=BB296_16 Depth=1
	s_wait_alu 0xfffe
	s_or_b32 exec_lo, exec_lo, s23
	v_lshlrev_b32_e32 v0, 8, v0
	v_lshl_add_u32 v3, v3, 10, 0x2000
	v_lshlrev_b32_e32 v1, 23, v1
	s_delay_alu instid0(VALU_DEP_2) | instskip(NEXT) | instid1(VALU_DEP_1)
	v_and_or_b32 v0, 0x8000, v0, v3
	v_lshl_or_b32 v80, v0, 16, v1
.LBB296_1185:                           ;   in Loop: Header=BB296_16 Depth=1
	s_wait_alu 0xfffe
	s_or_b32 exec_lo, exec_lo, s22
.LBB296_1186:                           ;   in Loop: Header=BB296_16 Depth=1
	s_wait_alu 0xfffe
	s_or_b32 exec_lo, exec_lo, s21
.LBB296_1187:                           ;   in Loop: Header=BB296_16 Depth=1
	s_wait_alu 0xfffe
	s_or_b32 exec_lo, exec_lo, s20
	v_lshrrev_b32_e32 v7, 16, v31
	s_mov_b32 s20, exec_lo
	s_delay_alu instid0(VALU_DEP_1) | instskip(NEXT) | instid1(VALU_DEP_1)
	v_and_b32_e32 v0, 0xff, v7
	v_cmpx_ne_u16_e32 0, v0
	s_cbranch_execz .LBB296_1195
; %bb.1188:                             ;   in Loop: Header=BB296_16 Depth=1
	v_cmp_ne_u16_e64 s1, 0x80, v0
	v_mov_b32_e32 v0, 0x8000
	scratch_store_b32 off, v0, s32 offset:600 ; 4-byte Folded Spill
	s_and_saveexec_b32 s21, s1
	s_cbranch_execz .LBB296_1194
; %bb.1189:                             ;   in Loop: Header=BB296_16 Depth=1
	v_bfe_u32 v3, v31, 16, 7
	v_mov_b32_e32 v0, 0x7c01
	s_mov_b32 s22, exec_lo
	scratch_store_b32 off, v0, s32 offset:600 ; 4-byte Folded Spill
	v_cmpx_ne_u32_e32 0x7f, v3
	s_cbranch_execz .LBB296_1193
; %bb.1190:                             ;   in Loop: Header=BB296_16 Depth=1
	v_and_b32_e32 v0, 7, v7
	v_lshrrev_b32_e32 v1, 3, v3
	s_mov_b32 s23, exec_lo
	v_cmpx_gt_u32_e32 8, v3
; %bb.1191:                             ;   in Loop: Header=BB296_16 Depth=1
	s_delay_alu instid0(VALU_DEP_3) | instskip(NEXT) | instid1(VALU_DEP_1)
	v_clz_i32_u32_e32 v0, v0
	v_min_u32_e32 v3, 32, v0
	s_delay_alu instid0(VALU_DEP_1) | instskip(NEXT) | instid1(VALU_DEP_1)
	v_subrev_nc_u32_e32 v0, 28, v3
	v_lshlrev_b64_e32 v[0:1], v0, v[7:8]
	v_sub_nc_u32_e32 v1, 29, v3
	s_delay_alu instid0(VALU_DEP_2)
	v_and_b32_e32 v0, 7, v0
; %bb.1192:                             ;   in Loop: Header=BB296_16 Depth=1
	s_wait_alu 0xfffe
	s_or_b32 exec_lo, exec_lo, s23
	v_lshlrev_b32_e32 v3, 8, v7
	v_lshl_add_u32 v1, v1, 10, 0x2000
	v_lshlrev_b32_e32 v0, 7, v0
	s_delay_alu instid0(VALU_DEP_3) | instskip(NEXT) | instid1(VALU_DEP_3)
	v_and_b32_e32 v3, 0x8000, v3
	v_and_b32_e32 v1, 0xfc00, v1
	s_delay_alu instid0(VALU_DEP_1)
	v_or3_b32 v0, v3, v1, v0
	scratch_store_b32 off, v0, s32 offset:600 ; 4-byte Folded Spill
.LBB296_1193:                           ;   in Loop: Header=BB296_16 Depth=1
	s_wait_alu 0xfffe
	s_or_b32 exec_lo, exec_lo, s22
.LBB296_1194:                           ;   in Loop: Header=BB296_16 Depth=1
	s_wait_alu 0xfffe
	s_or_b32 exec_lo, exec_lo, s21
.LBB296_1195:                           ;   in Loop: Header=BB296_16 Depth=1
	s_wait_alu 0xfffe
	s_or_b32 exec_lo, exec_lo, s20
	v_mov_b32_e32 v0, 0
	v_mov_b32_e32 v86, 0
	s_mov_b32 s20, exec_lo
	scratch_store_b32 off, v0, s32 offset:604 ; 4-byte Folded Spill
	v_cmpx_lt_u32_e32 0xffffff, v31
	s_cbranch_execz .LBB296_1203
; %bb.1196:                             ;   in Loop: Header=BB296_16 Depth=1
	v_lshrrev_b32_e32 v7, 24, v31
	v_bfrev_b32_e32 v86, 1
	s_mov_b32 s21, exec_lo
	s_delay_alu instid0(VALU_DEP_2)
	v_cmpx_ne_u32_e32 0x80, v7
	s_cbranch_execz .LBB296_1202
; %bb.1197:                             ;   in Loop: Header=BB296_16 Depth=1
	v_and_b32_e32 v3, 0x7f, v7
	v_mov_b32_e32 v86, 0x7c010000
	s_mov_b32 s22, exec_lo
	s_delay_alu instid0(VALU_DEP_2)
	v_cmpx_ne_u32_e32 0x7f, v3
	s_cbranch_execz .LBB296_1201
; %bb.1198:                             ;   in Loop: Header=BB296_16 Depth=1
	v_and_b32_e32 v0, 7, v7
	v_lshrrev_b32_e32 v1, 3, v3
	s_mov_b32 s23, exec_lo
	v_cmpx_gt_u32_e32 8, v3
; %bb.1199:                             ;   in Loop: Header=BB296_16 Depth=1
	s_delay_alu instid0(VALU_DEP_3) | instskip(NEXT) | instid1(VALU_DEP_1)
	v_clz_i32_u32_e32 v0, v0
	v_min_u32_e32 v3, 32, v0
	s_delay_alu instid0(VALU_DEP_1) | instskip(NEXT) | instid1(VALU_DEP_1)
	v_subrev_nc_u32_e32 v0, 28, v3
	v_lshlrev_b64_e32 v[0:1], v0, v[7:8]
	v_sub_nc_u32_e32 v1, 29, v3
	s_delay_alu instid0(VALU_DEP_2)
	v_and_b32_e32 v0, 7, v0
; %bb.1200:                             ;   in Loop: Header=BB296_16 Depth=1
	s_wait_alu 0xfffe
	s_or_b32 exec_lo, exec_lo, s23
	v_lshlrev_b32_e32 v3, 8, v7
	v_lshl_add_u32 v1, v1, 10, 0x2000
	v_lshlrev_b32_e32 v0, 23, v0
	s_delay_alu instid0(VALU_DEP_2) | instskip(NEXT) | instid1(VALU_DEP_1)
	v_and_or_b32 v1, 0x8000, v3, v1
	v_lshl_or_b32 v86, v1, 16, v0
.LBB296_1201:                           ;   in Loop: Header=BB296_16 Depth=1
	s_wait_alu 0xfffe
	s_or_b32 exec_lo, exec_lo, s22
.LBB296_1202:                           ;   in Loop: Header=BB296_16 Depth=1
	s_wait_alu 0xfffe
	s_or_b32 exec_lo, exec_lo, s21
.LBB296_1203:                           ;   in Loop: Header=BB296_16 Depth=1
	s_wait_alu 0xfffe
	s_or_b32 exec_lo, exec_lo, s20
	v_dual_mov_b32 v7, v32 :: v_dual_and_b32 v0, 0xff, v32
	s_mov_b32 s20, exec_lo
	s_delay_alu instid0(VALU_DEP_1)
	v_cmpx_ne_u16_e32 0, v0
	s_cbranch_execz .LBB296_1211
; %bb.1204:                             ;   in Loop: Header=BB296_16 Depth=1
	v_cmp_ne_u16_e64 s1, 0x80, v0
	v_mov_b32_e32 v0, 0x8000
	scratch_store_b32 off, v0, s32 offset:604 ; 4-byte Folded Spill
	s_and_saveexec_b32 s21, s1
	s_cbranch_execz .LBB296_1210
; %bb.1205:                             ;   in Loop: Header=BB296_16 Depth=1
	v_and_b32_e32 v3, 0x7f, v32
	v_mov_b32_e32 v0, 0x7c01
	s_mov_b32 s22, exec_lo
	scratch_store_b32 off, v0, s32 offset:604 ; 4-byte Folded Spill
	v_cmpx_ne_u32_e32 0x7f, v3
	s_cbranch_execz .LBB296_1209
; %bb.1206:                             ;   in Loop: Header=BB296_16 Depth=1
	v_and_b32_e32 v0, 7, v32
	v_lshrrev_b32_e32 v1, 3, v3
	s_mov_b32 s23, exec_lo
	v_cmpx_gt_u32_e32 8, v3
; %bb.1207:                             ;   in Loop: Header=BB296_16 Depth=1
	s_delay_alu instid0(VALU_DEP_3) | instskip(NEXT) | instid1(VALU_DEP_1)
	v_clz_i32_u32_e32 v0, v0
	v_min_u32_e32 v3, 32, v0
	s_delay_alu instid0(VALU_DEP_1) | instskip(NEXT) | instid1(VALU_DEP_1)
	v_subrev_nc_u32_e32 v0, 28, v3
	v_lshlrev_b64_e32 v[0:1], v0, v[7:8]
	v_sub_nc_u32_e32 v1, 29, v3
	s_delay_alu instid0(VALU_DEP_2)
	v_and_b32_e32 v0, 7, v0
; %bb.1208:                             ;   in Loop: Header=BB296_16 Depth=1
	s_wait_alu 0xfffe
	s_or_b32 exec_lo, exec_lo, s23
	v_lshlrev_b32_e32 v3, 8, v32
	v_lshl_add_u32 v1, v1, 10, 0x2000
	v_lshlrev_b32_e32 v0, 7, v0
	s_delay_alu instid0(VALU_DEP_3) | instskip(NEXT) | instid1(VALU_DEP_3)
	v_and_b32_e32 v3, 0x8000, v3
	v_and_b32_e32 v1, 0xfc00, v1
	s_delay_alu instid0(VALU_DEP_1)
	v_or3_b32 v0, v3, v1, v0
	scratch_store_b32 off, v0, s32 offset:604 ; 4-byte Folded Spill
.LBB296_1209:                           ;   in Loop: Header=BB296_16 Depth=1
	s_wait_alu 0xfffe
	s_or_b32 exec_lo, exec_lo, s22
.LBB296_1210:                           ;   in Loop: Header=BB296_16 Depth=1
	s_wait_alu 0xfffe
	s_or_b32 exec_lo, exec_lo, s21
.LBB296_1211:                           ;   in Loop: Header=BB296_16 Depth=1
	s_wait_alu 0xfffe
	s_or_b32 exec_lo, exec_lo, s20
	v_lshrrev_b16 v7, 8, v7
	v_mov_b32_e32 v0, 0
	v_mov_b32_e32 v4, 0
	s_mov_b32 s20, exec_lo
	scratch_store_b32 off, v0, s32 offset:608 ; 4-byte Folded Spill
	v_cmpx_ne_u16_e32 0, v7
	s_cbranch_execz .LBB296_1219
; %bb.1212:                             ;   in Loop: Header=BB296_16 Depth=1
	v_bfrev_b32_e32 v4, 1
	s_mov_b32 s21, exec_lo
	v_cmpx_ne_u16_e32 0x80, v7
	s_cbranch_execz .LBB296_1218
; %bb.1213:                             ;   in Loop: Header=BB296_16 Depth=1
	v_and_b32_e32 v0, 0xffff, v7
	v_mov_b32_e32 v4, 0x7c010000
	s_mov_b32 s22, exec_lo
	s_delay_alu instid0(VALU_DEP_2) | instskip(NEXT) | instid1(VALU_DEP_1)
	v_and_b32_e32 v6, 0x7f, v0
	v_cmpx_ne_u32_e32 0x7f, v6
	s_cbranch_execz .LBB296_1217
; %bb.1214:                             ;   in Loop: Header=BB296_16 Depth=1
	v_and_b32_e32 v1, 7, v0
	v_lshrrev_b32_e32 v3, 3, v6
	s_mov_b32 s23, exec_lo
	v_cmpx_gt_u32_e32 8, v6
; %bb.1215:                             ;   in Loop: Header=BB296_16 Depth=1
	s_delay_alu instid0(VALU_DEP_3) | instskip(NEXT) | instid1(VALU_DEP_1)
	v_clz_i32_u32_e32 v1, v1
	v_min_u32_e32 v1, 32, v1
	s_delay_alu instid0(VALU_DEP_1) | instskip(NEXT) | instid1(VALU_DEP_1)
	v_subrev_nc_u32_e32 v3, 28, v1
	v_lshlrev_b64_e32 v[6:7], v3, v[7:8]
	v_sub_nc_u32_e32 v3, 29, v1
	s_delay_alu instid0(VALU_DEP_2)
	v_and_b32_e32 v1, 7, v6
; %bb.1216:                             ;   in Loop: Header=BB296_16 Depth=1
	s_wait_alu 0xfffe
	s_or_b32 exec_lo, exec_lo, s23
	v_lshlrev_b32_e32 v0, 8, v0
	v_lshl_add_u32 v3, v3, 10, 0x2000
	v_lshlrev_b32_e32 v1, 23, v1
	s_delay_alu instid0(VALU_DEP_2) | instskip(NEXT) | instid1(VALU_DEP_1)
	v_and_or_b32 v0, 0x8000, v0, v3
	v_lshl_or_b32 v4, v0, 16, v1
.LBB296_1217:                           ;   in Loop: Header=BB296_16 Depth=1
	s_wait_alu 0xfffe
	s_or_b32 exec_lo, exec_lo, s22
.LBB296_1218:                           ;   in Loop: Header=BB296_16 Depth=1
	s_wait_alu 0xfffe
	s_or_b32 exec_lo, exec_lo, s21
.LBB296_1219:                           ;   in Loop: Header=BB296_16 Depth=1
	s_wait_alu 0xfffe
	s_or_b32 exec_lo, exec_lo, s20
	v_lshrrev_b32_e32 v7, 16, v32
	s_mov_b32 s20, exec_lo
	s_delay_alu instid0(VALU_DEP_1) | instskip(NEXT) | instid1(VALU_DEP_1)
	v_and_b32_e32 v0, 0xff, v7
	v_cmpx_ne_u16_e32 0, v0
	s_cbranch_execz .LBB296_1227
; %bb.1220:                             ;   in Loop: Header=BB296_16 Depth=1
	v_cmp_ne_u16_e64 s1, 0x80, v0
	v_mov_b32_e32 v0, 0x8000
	scratch_store_b32 off, v0, s32 offset:608 ; 4-byte Folded Spill
	s_and_saveexec_b32 s21, s1
	s_cbranch_execz .LBB296_1226
; %bb.1221:                             ;   in Loop: Header=BB296_16 Depth=1
	v_bfe_u32 v3, v32, 16, 7
	v_mov_b32_e32 v0, 0x7c01
	s_mov_b32 s22, exec_lo
	scratch_store_b32 off, v0, s32 offset:608 ; 4-byte Folded Spill
	v_cmpx_ne_u32_e32 0x7f, v3
	s_cbranch_execz .LBB296_1225
; %bb.1222:                             ;   in Loop: Header=BB296_16 Depth=1
	v_and_b32_e32 v0, 7, v7
	v_lshrrev_b32_e32 v1, 3, v3
	s_mov_b32 s23, exec_lo
	v_cmpx_gt_u32_e32 8, v3
; %bb.1223:                             ;   in Loop: Header=BB296_16 Depth=1
	s_delay_alu instid0(VALU_DEP_3) | instskip(NEXT) | instid1(VALU_DEP_1)
	v_clz_i32_u32_e32 v0, v0
	v_min_u32_e32 v3, 32, v0
	s_delay_alu instid0(VALU_DEP_1) | instskip(NEXT) | instid1(VALU_DEP_1)
	v_subrev_nc_u32_e32 v0, 28, v3
	v_lshlrev_b64_e32 v[0:1], v0, v[7:8]
	v_sub_nc_u32_e32 v1, 29, v3
	s_delay_alu instid0(VALU_DEP_2)
	v_and_b32_e32 v0, 7, v0
; %bb.1224:                             ;   in Loop: Header=BB296_16 Depth=1
	s_wait_alu 0xfffe
	s_or_b32 exec_lo, exec_lo, s23
	v_lshlrev_b32_e32 v3, 8, v7
	v_lshl_add_u32 v1, v1, 10, 0x2000
	v_lshlrev_b32_e32 v0, 7, v0
	s_delay_alu instid0(VALU_DEP_3) | instskip(NEXT) | instid1(VALU_DEP_3)
	v_and_b32_e32 v3, 0x8000, v3
	v_and_b32_e32 v1, 0xfc00, v1
	s_delay_alu instid0(VALU_DEP_1)
	v_or3_b32 v0, v3, v1, v0
	scratch_store_b32 off, v0, s32 offset:608 ; 4-byte Folded Spill
.LBB296_1225:                           ;   in Loop: Header=BB296_16 Depth=1
	s_wait_alu 0xfffe
	s_or_b32 exec_lo, exec_lo, s22
.LBB296_1226:                           ;   in Loop: Header=BB296_16 Depth=1
	s_wait_alu 0xfffe
	s_or_b32 exec_lo, exec_lo, s21
.LBB296_1227:                           ;   in Loop: Header=BB296_16 Depth=1
	s_wait_alu 0xfffe
	s_or_b32 exec_lo, exec_lo, s20
	v_mov_b32_e32 v0, 0
	v_mov_b32_e32 v10, 0
	s_mov_b32 s20, exec_lo
	scratch_store_b32 off, v0, s32 offset:612 ; 4-byte Folded Spill
	v_cmpx_lt_u64_e64 s[8:9], v[31:32]
	s_cbranch_execz .LBB296_1235
; %bb.1228:                             ;   in Loop: Header=BB296_16 Depth=1
	v_lshrrev_b32_e32 v7, 24, v32
	v_bfrev_b32_e32 v10, 1
	s_mov_b32 s21, exec_lo
	s_delay_alu instid0(VALU_DEP_2)
	v_cmpx_ne_u32_e32 0x80, v7
	s_cbranch_execz .LBB296_1234
; %bb.1229:                             ;   in Loop: Header=BB296_16 Depth=1
	v_and_b32_e32 v3, 0x7f, v7
	v_mov_b32_e32 v10, 0x7c010000
	s_mov_b32 s22, exec_lo
	s_delay_alu instid0(VALU_DEP_2)
	v_cmpx_ne_u32_e32 0x7f, v3
	s_cbranch_execz .LBB296_1233
; %bb.1230:                             ;   in Loop: Header=BB296_16 Depth=1
	v_and_b32_e32 v0, 7, v7
	v_lshrrev_b32_e32 v1, 3, v3
	s_mov_b32 s23, exec_lo
	v_cmpx_gt_u32_e32 8, v3
; %bb.1231:                             ;   in Loop: Header=BB296_16 Depth=1
	s_delay_alu instid0(VALU_DEP_3) | instskip(NEXT) | instid1(VALU_DEP_1)
	v_clz_i32_u32_e32 v0, v0
	v_min_u32_e32 v3, 32, v0
	s_delay_alu instid0(VALU_DEP_1) | instskip(NEXT) | instid1(VALU_DEP_1)
	v_subrev_nc_u32_e32 v0, 28, v3
	v_lshlrev_b64_e32 v[0:1], v0, v[7:8]
	v_sub_nc_u32_e32 v1, 29, v3
	s_delay_alu instid0(VALU_DEP_2)
	v_and_b32_e32 v0, 7, v0
; %bb.1232:                             ;   in Loop: Header=BB296_16 Depth=1
	s_wait_alu 0xfffe
	s_or_b32 exec_lo, exec_lo, s23
	v_lshlrev_b32_e32 v3, 8, v7
	v_lshl_add_u32 v1, v1, 10, 0x2000
	v_lshlrev_b32_e32 v0, 23, v0
	s_delay_alu instid0(VALU_DEP_2) | instskip(NEXT) | instid1(VALU_DEP_1)
	v_and_or_b32 v1, 0x8000, v3, v1
	v_lshl_or_b32 v10, v1, 16, v0
.LBB296_1233:                           ;   in Loop: Header=BB296_16 Depth=1
	s_wait_alu 0xfffe
	s_or_b32 exec_lo, exec_lo, s22
.LBB296_1234:                           ;   in Loop: Header=BB296_16 Depth=1
	s_wait_alu 0xfffe
	s_or_b32 exec_lo, exec_lo, s21
.LBB296_1235:                           ;   in Loop: Header=BB296_16 Depth=1
	s_wait_alu 0xfffe
	s_or_b32 exec_lo, exec_lo, s20
	flat_load_b64 v[31:32], v[28:29] offset:4616
	s_mov_b32 s20, exec_lo
	s_wait_loadcnt_dscnt 0x0
	v_and_b32_e32 v0, 0xff, v31
	s_delay_alu instid0(VALU_DEP_1)
	v_cmpx_ne_u16_e32 0, v0
	s_cbranch_execz .LBB296_1243
; %bb.1236:                             ;   in Loop: Header=BB296_16 Depth=1
	v_cmp_ne_u16_e64 s1, 0x80, v0
	v_mov_b32_e32 v0, 0x8000
	scratch_store_b32 off, v0, s32 offset:612 ; 4-byte Folded Spill
	s_and_saveexec_b32 s21, s1
	s_cbranch_execz .LBB296_1242
; %bb.1237:                             ;   in Loop: Header=BB296_16 Depth=1
	v_and_b32_e32 v3, 0x7f, v31
	v_mov_b32_e32 v0, 0x7c01
	s_mov_b32 s22, exec_lo
	scratch_store_b32 off, v0, s32 offset:612 ; 4-byte Folded Spill
	v_cmpx_ne_u32_e32 0x7f, v3
	s_cbranch_execz .LBB296_1241
; %bb.1238:                             ;   in Loop: Header=BB296_16 Depth=1
	v_and_b32_e32 v0, 7, v31
	v_lshrrev_b32_e32 v1, 3, v3
	s_mov_b32 s23, exec_lo
	v_cmpx_gt_u32_e32 8, v3
; %bb.1239:                             ;   in Loop: Header=BB296_16 Depth=1
	s_delay_alu instid0(VALU_DEP_3) | instskip(NEXT) | instid1(VALU_DEP_1)
	v_clz_i32_u32_e32 v0, v0
	v_min_u32_e32 v3, 32, v0
	s_delay_alu instid0(VALU_DEP_1) | instskip(NEXT) | instid1(VALU_DEP_1)
	v_subrev_nc_u32_e32 v0, 28, v3
	v_lshlrev_b64_e32 v[0:1], v0, v[31:32]
	v_sub_nc_u32_e32 v1, 29, v3
	s_delay_alu instid0(VALU_DEP_2)
	v_and_b32_e32 v0, 7, v0
; %bb.1240:                             ;   in Loop: Header=BB296_16 Depth=1
	s_wait_alu 0xfffe
	s_or_b32 exec_lo, exec_lo, s23
	v_lshlrev_b32_e32 v3, 8, v31
	v_lshl_add_u32 v1, v1, 10, 0x2000
	v_lshlrev_b32_e32 v0, 7, v0
	s_delay_alu instid0(VALU_DEP_3) | instskip(NEXT) | instid1(VALU_DEP_3)
	v_and_b32_e32 v3, 0x8000, v3
	v_and_b32_e32 v1, 0xfc00, v1
	s_delay_alu instid0(VALU_DEP_1)
	v_or3_b32 v0, v3, v1, v0
	scratch_store_b32 off, v0, s32 offset:612 ; 4-byte Folded Spill
.LBB296_1241:                           ;   in Loop: Header=BB296_16 Depth=1
	s_wait_alu 0xfffe
	s_or_b32 exec_lo, exec_lo, s22
.LBB296_1242:                           ;   in Loop: Header=BB296_16 Depth=1
	s_wait_alu 0xfffe
	s_or_b32 exec_lo, exec_lo, s21
.LBB296_1243:                           ;   in Loop: Header=BB296_16 Depth=1
	s_wait_alu 0xfffe
	s_or_b32 exec_lo, exec_lo, s20
	v_lshrrev_b16 v7, 8, v31
	v_mov_b32_e32 v1, 0
	v_mov_b32_e32 v11, 0
	s_mov_b32 s20, exec_lo
	s_delay_alu instid0(VALU_DEP_3)
	v_cmpx_ne_u16_e32 0, v7
	s_cbranch_execz .LBB296_1251
; %bb.1244:                             ;   in Loop: Header=BB296_16 Depth=1
	v_bfrev_b32_e32 v11, 1
	s_mov_b32 s21, exec_lo
	v_cmpx_ne_u16_e32 0x80, v7
	s_cbranch_execz .LBB296_1250
; %bb.1245:                             ;   in Loop: Header=BB296_16 Depth=1
	v_and_b32_e32 v0, 0xffff, v7
	v_mov_b32_e32 v11, 0x7c010000
	s_mov_b32 s22, exec_lo
	s_delay_alu instid0(VALU_DEP_2) | instskip(NEXT) | instid1(VALU_DEP_1)
	v_and_b32_e32 v13, 0x7f, v0
	v_cmpx_ne_u32_e32 0x7f, v13
	s_cbranch_execz .LBB296_1249
; %bb.1246:                             ;   in Loop: Header=BB296_16 Depth=1
	v_and_b32_e32 v3, 7, v0
	v_lshrrev_b32_e32 v6, 3, v13
	s_mov_b32 s23, exec_lo
	v_cmpx_gt_u32_e32 8, v13
; %bb.1247:                             ;   in Loop: Header=BB296_16 Depth=1
	s_delay_alu instid0(VALU_DEP_3) | instskip(NEXT) | instid1(VALU_DEP_1)
	v_clz_i32_u32_e32 v3, v3
	v_min_u32_e32 v3, 32, v3
	s_delay_alu instid0(VALU_DEP_1) | instskip(NEXT) | instid1(VALU_DEP_1)
	v_subrev_nc_u32_e32 v6, 28, v3
	v_lshlrev_b64_e32 v[13:14], v6, v[7:8]
	v_sub_nc_u32_e32 v6, 29, v3
	s_delay_alu instid0(VALU_DEP_2)
	v_and_b32_e32 v3, 7, v13
; %bb.1248:                             ;   in Loop: Header=BB296_16 Depth=1
	s_wait_alu 0xfffe
	s_or_b32 exec_lo, exec_lo, s23
	v_lshlrev_b32_e32 v0, 8, v0
	v_lshl_add_u32 v6, v6, 10, 0x2000
	v_lshlrev_b32_e32 v3, 23, v3
	s_delay_alu instid0(VALU_DEP_2) | instskip(NEXT) | instid1(VALU_DEP_1)
	v_and_or_b32 v0, 0x8000, v0, v6
	v_lshl_or_b32 v11, v0, 16, v3
.LBB296_1249:                           ;   in Loop: Header=BB296_16 Depth=1
	s_wait_alu 0xfffe
	s_or_b32 exec_lo, exec_lo, s22
.LBB296_1250:                           ;   in Loop: Header=BB296_16 Depth=1
	s_wait_alu 0xfffe
	s_or_b32 exec_lo, exec_lo, s21
.LBB296_1251:                           ;   in Loop: Header=BB296_16 Depth=1
	s_wait_alu 0xfffe
	s_or_b32 exec_lo, exec_lo, s20
	v_lshrrev_b32_e32 v7, 16, v31
	s_mov_b32 s20, exec_lo
	s_delay_alu instid0(VALU_DEP_1) | instskip(NEXT) | instid1(VALU_DEP_1)
	v_and_b32_e32 v0, 0xff, v7
	v_cmpx_ne_u16_e32 0, v0
	s_cbranch_execz .LBB296_1259
; %bb.1252:                             ;   in Loop: Header=BB296_16 Depth=1
	v_mov_b32_e32 v1, 0x8000
	s_mov_b32 s21, exec_lo
	v_cmpx_ne_u16_e32 0x80, v0
	s_cbranch_execz .LBB296_1258
; %bb.1253:                             ;   in Loop: Header=BB296_16 Depth=1
	v_bfe_u32 v3, v31, 16, 7
	v_mov_b32_e32 v1, 0x7c01
	s_mov_b32 s22, exec_lo
	s_delay_alu instid0(VALU_DEP_2)
	v_cmpx_ne_u32_e32 0x7f, v3
	s_cbranch_execz .LBB296_1257
; %bb.1254:                             ;   in Loop: Header=BB296_16 Depth=1
	v_and_b32_e32 v0, 7, v7
	v_lshrrev_b32_e32 v1, 3, v3
	s_mov_b32 s23, exec_lo
	v_cmpx_gt_u32_e32 8, v3
; %bb.1255:                             ;   in Loop: Header=BB296_16 Depth=1
	s_delay_alu instid0(VALU_DEP_3) | instskip(NEXT) | instid1(VALU_DEP_1)
	v_clz_i32_u32_e32 v0, v0
	v_min_u32_e32 v3, 32, v0
	s_delay_alu instid0(VALU_DEP_1) | instskip(NEXT) | instid1(VALU_DEP_1)
	v_subrev_nc_u32_e32 v0, 28, v3
	v_lshlrev_b64_e32 v[0:1], v0, v[7:8]
	v_sub_nc_u32_e32 v1, 29, v3
	s_delay_alu instid0(VALU_DEP_2)
	v_and_b32_e32 v0, 7, v0
; %bb.1256:                             ;   in Loop: Header=BB296_16 Depth=1
	s_wait_alu 0xfffe
	s_or_b32 exec_lo, exec_lo, s23
	v_lshlrev_b32_e32 v3, 8, v7
	v_lshl_add_u32 v1, v1, 10, 0x2000
	v_lshlrev_b32_e32 v0, 7, v0
	s_delay_alu instid0(VALU_DEP_3) | instskip(NEXT) | instid1(VALU_DEP_3)
	v_and_b32_e32 v3, 0x8000, v3
	v_and_b32_e32 v1, 0xfc00, v1
	s_delay_alu instid0(VALU_DEP_1)
	v_or3_b32 v1, v3, v1, v0
.LBB296_1257:                           ;   in Loop: Header=BB296_16 Depth=1
	s_wait_alu 0xfffe
	s_or_b32 exec_lo, exec_lo, s22
.LBB296_1258:                           ;   in Loop: Header=BB296_16 Depth=1
	s_wait_alu 0xfffe
	s_or_b32 exec_lo, exec_lo, s21
.LBB296_1259:                           ;   in Loop: Header=BB296_16 Depth=1
	s_wait_alu 0xfffe
	s_or_b32 exec_lo, exec_lo, s20
	v_dual_mov_b32 v56, 0 :: v_dual_mov_b32 v3, 0
	s_mov_b32 s20, exec_lo
	v_cmpx_lt_u32_e32 0xffffff, v31
	s_cbranch_execz .LBB296_1267
; %bb.1260:                             ;   in Loop: Header=BB296_16 Depth=1
	v_lshrrev_b32_e32 v7, 24, v31
	v_bfrev_b32_e32 v3, 1
	s_mov_b32 s21, exec_lo
	s_delay_alu instid0(VALU_DEP_2)
	v_cmpx_ne_u32_e32 0x80, v7
	s_cbranch_execz .LBB296_1266
; %bb.1261:                             ;   in Loop: Header=BB296_16 Depth=1
	v_and_b32_e32 v6, 0x7f, v7
	v_mov_b32_e32 v3, 0x7c010000
	s_mov_b32 s22, exec_lo
	s_delay_alu instid0(VALU_DEP_2)
	v_cmpx_ne_u32_e32 0x7f, v6
	s_cbranch_execz .LBB296_1265
; %bb.1262:                             ;   in Loop: Header=BB296_16 Depth=1
	v_and_b32_e32 v0, 7, v7
	v_lshrrev_b32_e32 v3, 3, v6
	s_mov_b32 s23, exec_lo
	v_cmpx_gt_u32_e32 8, v6
; %bb.1263:                             ;   in Loop: Header=BB296_16 Depth=1
	s_delay_alu instid0(VALU_DEP_3) | instskip(NEXT) | instid1(VALU_DEP_1)
	v_clz_i32_u32_e32 v0, v0
	v_min_u32_e32 v0, 32, v0
	s_delay_alu instid0(VALU_DEP_1) | instskip(NEXT) | instid1(VALU_DEP_1)
	v_subrev_nc_u32_e32 v3, 28, v0
	v_lshlrev_b64_e32 v[13:14], v3, v[7:8]
	v_sub_nc_u32_e32 v3, 29, v0
	s_delay_alu instid0(VALU_DEP_2)
	v_and_b32_e32 v0, 7, v13
; %bb.1264:                             ;   in Loop: Header=BB296_16 Depth=1
	s_wait_alu 0xfffe
	s_or_b32 exec_lo, exec_lo, s23
	v_lshlrev_b32_e32 v6, 8, v7
	v_lshl_add_u32 v3, v3, 10, 0x2000
	v_lshlrev_b32_e32 v0, 23, v0
	s_delay_alu instid0(VALU_DEP_2) | instskip(NEXT) | instid1(VALU_DEP_1)
	v_and_or_b32 v3, 0x8000, v6, v3
	v_lshl_or_b32 v3, v3, 16, v0
.LBB296_1265:                           ;   in Loop: Header=BB296_16 Depth=1
	s_wait_alu 0xfffe
	s_or_b32 exec_lo, exec_lo, s22
.LBB296_1266:                           ;   in Loop: Header=BB296_16 Depth=1
	s_wait_alu 0xfffe
	s_or_b32 exec_lo, exec_lo, s21
.LBB296_1267:                           ;   in Loop: Header=BB296_16 Depth=1
	s_wait_alu 0xfffe
	s_or_b32 exec_lo, exec_lo, s20
	v_dual_mov_b32 v7, v32 :: v_dual_and_b32 v0, 0xff, v32
	s_mov_b32 s20, exec_lo
	s_delay_alu instid0(VALU_DEP_1)
	v_cmpx_ne_u16_e32 0, v0
	s_cbranch_execz .LBB296_1275
; %bb.1268:                             ;   in Loop: Header=BB296_16 Depth=1
	v_mov_b32_e32 v56, 0x8000
	s_mov_b32 s21, exec_lo
	v_cmpx_ne_u16_e32 0x80, v0
	s_cbranch_execz .LBB296_1274
; %bb.1269:                             ;   in Loop: Header=BB296_16 Depth=1
	v_and_b32_e32 v13, 0x7f, v32
	v_mov_b32_e32 v56, 0x7c01
	s_mov_b32 s22, exec_lo
	s_delay_alu instid0(VALU_DEP_2)
	v_cmpx_ne_u32_e32 0x7f, v13
	s_cbranch_execz .LBB296_1273
; %bb.1270:                             ;   in Loop: Header=BB296_16 Depth=1
	v_and_b32_e32 v0, 7, v32
	v_lshrrev_b32_e32 v6, 3, v13
	s_mov_b32 s23, exec_lo
	v_cmpx_gt_u32_e32 8, v13
; %bb.1271:                             ;   in Loop: Header=BB296_16 Depth=1
	s_delay_alu instid0(VALU_DEP_3) | instskip(NEXT) | instid1(VALU_DEP_1)
	v_clz_i32_u32_e32 v0, v0
	v_min_u32_e32 v0, 32, v0
	s_delay_alu instid0(VALU_DEP_1) | instskip(NEXT) | instid1(VALU_DEP_1)
	v_subrev_nc_u32_e32 v6, 28, v0
	v_lshlrev_b64_e32 v[13:14], v6, v[7:8]
	v_sub_nc_u32_e32 v6, 29, v0
	s_delay_alu instid0(VALU_DEP_2)
	v_and_b32_e32 v0, 7, v13
; %bb.1272:                             ;   in Loop: Header=BB296_16 Depth=1
	s_wait_alu 0xfffe
	s_or_b32 exec_lo, exec_lo, s23
	v_lshlrev_b32_e32 v13, 8, v32
	v_lshl_add_u32 v6, v6, 10, 0x2000
	v_lshlrev_b32_e32 v0, 7, v0
	s_delay_alu instid0(VALU_DEP_3) | instskip(NEXT) | instid1(VALU_DEP_3)
	v_and_b32_e32 v13, 0x8000, v13
	v_and_b32_e32 v6, 0xfc00, v6
	s_delay_alu instid0(VALU_DEP_1)
	v_or3_b32 v56, v13, v6, v0
.LBB296_1273:                           ;   in Loop: Header=BB296_16 Depth=1
	s_wait_alu 0xfffe
	s_or_b32 exec_lo, exec_lo, s22
.LBB296_1274:                           ;   in Loop: Header=BB296_16 Depth=1
	s_wait_alu 0xfffe
	s_or_b32 exec_lo, exec_lo, s21
.LBB296_1275:                           ;   in Loop: Header=BB296_16 Depth=1
	s_wait_alu 0xfffe
	s_or_b32 exec_lo, exec_lo, s20
	v_lshrrev_b16 v7, 8, v7
	v_dual_mov_b32 v87, 0 :: v_dual_mov_b32 v58, 0
	s_mov_b32 s20, exec_lo
	s_delay_alu instid0(VALU_DEP_2)
	v_cmpx_ne_u16_e32 0, v7
	s_cbranch_execz .LBB296_1283
; %bb.1276:                             ;   in Loop: Header=BB296_16 Depth=1
	v_bfrev_b32_e32 v58, 1
	s_mov_b32 s21, exec_lo
	v_cmpx_ne_u16_e32 0x80, v7
	s_cbranch_execz .LBB296_1282
; %bb.1277:                             ;   in Loop: Header=BB296_16 Depth=1
	v_and_b32_e32 v0, 0xffff, v7
	v_mov_b32_e32 v58, 0x7c010000
	s_mov_b32 s22, exec_lo
	s_delay_alu instid0(VALU_DEP_2) | instskip(NEXT) | instid1(VALU_DEP_1)
	v_and_b32_e32 v14, 0x7f, v0
	v_cmpx_ne_u32_e32 0x7f, v14
	s_cbranch_execz .LBB296_1281
; %bb.1278:                             ;   in Loop: Header=BB296_16 Depth=1
	v_and_b32_e32 v6, 7, v0
	v_lshrrev_b32_e32 v13, 3, v14
	s_mov_b32 s23, exec_lo
	v_cmpx_gt_u32_e32 8, v14
; %bb.1279:                             ;   in Loop: Header=BB296_16 Depth=1
	s_delay_alu instid0(VALU_DEP_3) | instskip(NEXT) | instid1(VALU_DEP_1)
	v_clz_i32_u32_e32 v6, v6
	v_min_u32_e32 v13, 32, v6
	s_delay_alu instid0(VALU_DEP_1) | instskip(SKIP_1) | instid1(VALU_DEP_2)
	v_subrev_nc_u32_e32 v6, 28, v13
	v_sub_nc_u32_e32 v13, 29, v13
	v_lshlrev_b64_e32 v[6:7], v6, v[7:8]
	s_delay_alu instid0(VALU_DEP_1)
	v_and_b32_e32 v6, 7, v6
; %bb.1280:                             ;   in Loop: Header=BB296_16 Depth=1
	s_wait_alu 0xfffe
	s_or_b32 exec_lo, exec_lo, s23
	v_lshlrev_b32_e32 v0, 8, v0
	v_lshl_add_u32 v7, v13, 10, 0x2000
	v_lshlrev_b32_e32 v6, 23, v6
	s_delay_alu instid0(VALU_DEP_2) | instskip(NEXT) | instid1(VALU_DEP_1)
	v_and_or_b32 v0, 0x8000, v0, v7
	v_lshl_or_b32 v58, v0, 16, v6
.LBB296_1281:                           ;   in Loop: Header=BB296_16 Depth=1
	s_wait_alu 0xfffe
	s_or_b32 exec_lo, exec_lo, s22
.LBB296_1282:                           ;   in Loop: Header=BB296_16 Depth=1
	s_wait_alu 0xfffe
	s_or_b32 exec_lo, exec_lo, s21
.LBB296_1283:                           ;   in Loop: Header=BB296_16 Depth=1
	s_wait_alu 0xfffe
	s_or_b32 exec_lo, exec_lo, s20
	v_lshrrev_b32_e32 v7, 16, v32
	s_mov_b32 s20, exec_lo
	s_delay_alu instid0(VALU_DEP_1) | instskip(NEXT) | instid1(VALU_DEP_1)
	v_and_b32_e32 v0, 0xff, v7
	v_cmpx_ne_u16_e32 0, v0
	s_cbranch_execz .LBB296_1291
; %bb.1284:                             ;   in Loop: Header=BB296_16 Depth=1
	v_mov_b32_e32 v87, 0x8000
	s_mov_b32 s21, exec_lo
	v_cmpx_ne_u16_e32 0x80, v0
	s_cbranch_execz .LBB296_1290
; %bb.1285:                             ;   in Loop: Header=BB296_16 Depth=1
	v_bfe_u32 v13, v32, 16, 7
	v_mov_b32_e32 v87, 0x7c01
	s_mov_b32 s22, exec_lo
	s_delay_alu instid0(VALU_DEP_2)
	v_cmpx_ne_u32_e32 0x7f, v13
	s_cbranch_execz .LBB296_1289
; %bb.1286:                             ;   in Loop: Header=BB296_16 Depth=1
	v_and_b32_e32 v0, 7, v7
	v_lshrrev_b32_e32 v6, 3, v13
	s_mov_b32 s23, exec_lo
	v_cmpx_gt_u32_e32 8, v13
; %bb.1287:                             ;   in Loop: Header=BB296_16 Depth=1
	s_delay_alu instid0(VALU_DEP_3) | instskip(NEXT) | instid1(VALU_DEP_1)
	v_clz_i32_u32_e32 v0, v0
	v_min_u32_e32 v0, 32, v0
	s_delay_alu instid0(VALU_DEP_1) | instskip(NEXT) | instid1(VALU_DEP_1)
	v_subrev_nc_u32_e32 v6, 28, v0
	v_lshlrev_b64_e32 v[13:14], v6, v[7:8]
	v_sub_nc_u32_e32 v6, 29, v0
	s_delay_alu instid0(VALU_DEP_2)
	v_and_b32_e32 v0, 7, v13
; %bb.1288:                             ;   in Loop: Header=BB296_16 Depth=1
	s_wait_alu 0xfffe
	s_or_b32 exec_lo, exec_lo, s23
	v_lshlrev_b32_e32 v7, 8, v7
	v_lshl_add_u32 v6, v6, 10, 0x2000
	v_lshlrev_b32_e32 v0, 7, v0
	s_delay_alu instid0(VALU_DEP_3) | instskip(NEXT) | instid1(VALU_DEP_3)
	v_and_b32_e32 v7, 0x8000, v7
	v_and_b32_e32 v6, 0xfc00, v6
	s_delay_alu instid0(VALU_DEP_1)
	v_or3_b32 v87, v7, v6, v0
.LBB296_1289:                           ;   in Loop: Header=BB296_16 Depth=1
	s_wait_alu 0xfffe
	s_or_b32 exec_lo, exec_lo, s22
.LBB296_1290:                           ;   in Loop: Header=BB296_16 Depth=1
	s_wait_alu 0xfffe
	s_or_b32 exec_lo, exec_lo, s21
.LBB296_1291:                           ;   in Loop: Header=BB296_16 Depth=1
	s_wait_alu 0xfffe
	s_or_b32 exec_lo, exec_lo, s20
	v_mov_b32_e32 v0, 0
	v_mov_b32_e32 v16, 0
	s_mov_b32 s20, exec_lo
	v_cmpx_lt_u64_e64 s[8:9], v[31:32]
	s_cbranch_execz .LBB296_1299
; %bb.1292:                             ;   in Loop: Header=BB296_16 Depth=1
	v_lshrrev_b32_e32 v7, 24, v32
	v_bfrev_b32_e32 v16, 1
	s_mov_b32 s21, exec_lo
	s_delay_alu instid0(VALU_DEP_2)
	v_cmpx_ne_u32_e32 0x80, v7
	s_cbranch_execz .LBB296_1298
; %bb.1293:                             ;   in Loop: Header=BB296_16 Depth=1
	v_and_b32_e32 v14, 0x7f, v7
	v_mov_b32_e32 v16, 0x7c010000
	s_mov_b32 s22, exec_lo
	s_delay_alu instid0(VALU_DEP_2)
	v_cmpx_ne_u32_e32 0x7f, v14
	s_cbranch_execz .LBB296_1297
; %bb.1294:                             ;   in Loop: Header=BB296_16 Depth=1
	v_and_b32_e32 v6, 7, v7
	v_lshrrev_b32_e32 v13, 3, v14
	s_mov_b32 s23, exec_lo
	v_cmpx_gt_u32_e32 8, v14
; %bb.1295:                             ;   in Loop: Header=BB296_16 Depth=1
	s_delay_alu instid0(VALU_DEP_3) | instskip(NEXT) | instid1(VALU_DEP_1)
	v_clz_i32_u32_e32 v6, v6
	v_min_u32_e32 v6, 32, v6
	s_delay_alu instid0(VALU_DEP_1) | instskip(NEXT) | instid1(VALU_DEP_1)
	v_subrev_nc_u32_e32 v13, 28, v6
	v_lshlrev_b64_e32 v[22:23], v13, v[7:8]
	v_sub_nc_u32_e32 v13, 29, v6
	s_delay_alu instid0(VALU_DEP_2)
	v_and_b32_e32 v6, 7, v22
; %bb.1296:                             ;   in Loop: Header=BB296_16 Depth=1
	s_wait_alu 0xfffe
	s_or_b32 exec_lo, exec_lo, s23
	v_lshlrev_b32_e32 v7, 8, v7
	v_lshl_add_u32 v13, v13, 10, 0x2000
	v_lshlrev_b32_e32 v6, 23, v6
	s_delay_alu instid0(VALU_DEP_2) | instskip(NEXT) | instid1(VALU_DEP_1)
	v_and_or_b32 v7, 0x8000, v7, v13
	v_lshl_or_b32 v16, v7, 16, v6
.LBB296_1297:                           ;   in Loop: Header=BB296_16 Depth=1
	s_wait_alu 0xfffe
	s_or_b32 exec_lo, exec_lo, s22
.LBB296_1298:                           ;   in Loop: Header=BB296_16 Depth=1
	s_wait_alu 0xfffe
	s_or_b32 exec_lo, exec_lo, s21
.LBB296_1299:                           ;   in Loop: Header=BB296_16 Depth=1
	s_wait_alu 0xfffe
	s_or_b32 exec_lo, exec_lo, s20
	flat_load_b64 v[31:32], v[28:29] offset:5120
	s_mov_b32 s20, exec_lo
	s_wait_loadcnt_dscnt 0x0
	v_and_b32_e32 v6, 0xff, v31
	s_delay_alu instid0(VALU_DEP_1)
	v_cmpx_ne_u16_e32 0, v6
	s_cbranch_execz .LBB296_1307
; %bb.1300:                             ;   in Loop: Header=BB296_16 Depth=1
	v_mov_b32_e32 v0, 0x8000
	s_mov_b32 s21, exec_lo
	v_cmpx_ne_u16_e32 0x80, v6
	s_cbranch_execz .LBB296_1306
; %bb.1301:                             ;   in Loop: Header=BB296_16 Depth=1
	v_and_b32_e32 v7, 0x7f, v31
	v_mov_b32_e32 v0, 0x7c01
	s_mov_b32 s22, exec_lo
	s_delay_alu instid0(VALU_DEP_2)
	v_cmpx_ne_u32_e32 0x7f, v7
	s_cbranch_execz .LBB296_1305
; %bb.1302:                             ;   in Loop: Header=BB296_16 Depth=1
	v_and_b32_e32 v0, 7, v31
	v_lshrrev_b32_e32 v6, 3, v7
	s_mov_b32 s23, exec_lo
	v_cmpx_gt_u32_e32 8, v7
; %bb.1303:                             ;   in Loop: Header=BB296_16 Depth=1
	s_delay_alu instid0(VALU_DEP_3) | instskip(NEXT) | instid1(VALU_DEP_1)
	v_clz_i32_u32_e32 v0, v0
	v_min_u32_e32 v0, 32, v0
	s_delay_alu instid0(VALU_DEP_1) | instskip(NEXT) | instid1(VALU_DEP_1)
	v_subrev_nc_u32_e32 v6, 28, v0
	v_lshlrev_b64_e32 v[13:14], v6, v[31:32]
	v_sub_nc_u32_e32 v6, 29, v0
	s_delay_alu instid0(VALU_DEP_2)
	v_and_b32_e32 v0, 7, v13
; %bb.1304:                             ;   in Loop: Header=BB296_16 Depth=1
	s_wait_alu 0xfffe
	s_or_b32 exec_lo, exec_lo, s23
	v_lshlrev_b32_e32 v7, 8, v31
	v_lshl_add_u32 v6, v6, 10, 0x2000
	v_lshlrev_b32_e32 v0, 7, v0
	s_delay_alu instid0(VALU_DEP_3) | instskip(NEXT) | instid1(VALU_DEP_3)
	v_and_b32_e32 v7, 0x8000, v7
	v_and_b32_e32 v6, 0xfc00, v6
	s_delay_alu instid0(VALU_DEP_1)
	v_or3_b32 v0, v7, v6, v0
.LBB296_1305:                           ;   in Loop: Header=BB296_16 Depth=1
	s_wait_alu 0xfffe
	s_or_b32 exec_lo, exec_lo, s22
.LBB296_1306:                           ;   in Loop: Header=BB296_16 Depth=1
	s_wait_alu 0xfffe
	s_or_b32 exec_lo, exec_lo, s21
.LBB296_1307:                           ;   in Loop: Header=BB296_16 Depth=1
	s_wait_alu 0xfffe
	s_or_b32 exec_lo, exec_lo, s20
	v_lshrrev_b16 v7, 8, v31
	v_dual_mov_b32 v33, 0 :: v_dual_mov_b32 v14, 0
	s_mov_b32 s20, exec_lo
	s_delay_alu instid0(VALU_DEP_2)
	v_cmpx_ne_u16_e32 0, v7
	s_cbranch_execz .LBB296_1315
; %bb.1308:                             ;   in Loop: Header=BB296_16 Depth=1
	v_bfrev_b32_e32 v14, 1
	s_mov_b32 s21, exec_lo
	v_cmpx_ne_u16_e32 0x80, v7
	s_cbranch_execz .LBB296_1314
; %bb.1309:                             ;   in Loop: Header=BB296_16 Depth=1
	v_and_b32_e32 v6, 0xffff, v7
	v_mov_b32_e32 v14, 0x7c010000
	s_mov_b32 s22, exec_lo
	s_delay_alu instid0(VALU_DEP_2) | instskip(NEXT) | instid1(VALU_DEP_1)
	v_and_b32_e32 v18, 0x7f, v6
	v_cmpx_ne_u32_e32 0x7f, v18
	s_cbranch_execz .LBB296_1313
; %bb.1310:                             ;   in Loop: Header=BB296_16 Depth=1
	v_and_b32_e32 v13, 7, v6
	v_lshrrev_b32_e32 v14, 3, v18
	s_mov_b32 s23, exec_lo
	v_cmpx_gt_u32_e32 8, v18
; %bb.1311:                             ;   in Loop: Header=BB296_16 Depth=1
	s_delay_alu instid0(VALU_DEP_3) | instskip(NEXT) | instid1(VALU_DEP_1)
	v_clz_i32_u32_e32 v13, v13
	v_min_u32_e32 v18, 32, v13
	s_delay_alu instid0(VALU_DEP_1) | instskip(NEXT) | instid1(VALU_DEP_1)
	v_subrev_nc_u32_e32 v13, 28, v18
	v_lshlrev_b64_e32 v[13:14], v13, v[7:8]
	v_sub_nc_u32_e32 v14, 29, v18
	s_delay_alu instid0(VALU_DEP_2)
	v_and_b32_e32 v13, 7, v13
; %bb.1312:                             ;   in Loop: Header=BB296_16 Depth=1
	s_wait_alu 0xfffe
	s_or_b32 exec_lo, exec_lo, s23
	v_lshlrev_b32_e32 v6, 8, v6
	v_lshl_add_u32 v7, v14, 10, 0x2000
	s_delay_alu instid0(VALU_DEP_1) | instskip(SKIP_1) | instid1(VALU_DEP_1)
	v_and_or_b32 v6, 0x8000, v6, v7
	v_lshlrev_b32_e32 v7, 23, v13
	v_lshl_or_b32 v14, v6, 16, v7
.LBB296_1313:                           ;   in Loop: Header=BB296_16 Depth=1
	s_wait_alu 0xfffe
	s_or_b32 exec_lo, exec_lo, s22
.LBB296_1314:                           ;   in Loop: Header=BB296_16 Depth=1
	s_wait_alu 0xfffe
	s_or_b32 exec_lo, exec_lo, s21
.LBB296_1315:                           ;   in Loop: Header=BB296_16 Depth=1
	s_wait_alu 0xfffe
	s_or_b32 exec_lo, exec_lo, s20
	v_lshrrev_b32_e32 v7, 16, v31
	s_mov_b32 s20, exec_lo
	s_delay_alu instid0(VALU_DEP_1) | instskip(NEXT) | instid1(VALU_DEP_1)
	v_and_b32_e32 v6, 0xff, v7
	v_cmpx_ne_u16_e32 0, v6
	s_cbranch_execz .LBB296_1323
; %bb.1316:                             ;   in Loop: Header=BB296_16 Depth=1
	v_mov_b32_e32 v33, 0x8000
	s_mov_b32 s21, exec_lo
	v_cmpx_ne_u16_e32 0x80, v6
	s_cbranch_execz .LBB296_1322
; %bb.1317:                             ;   in Loop: Header=BB296_16 Depth=1
	v_bfe_u32 v18, v31, 16, 7
	v_mov_b32_e32 v33, 0x7c01
	s_mov_b32 s22, exec_lo
	s_delay_alu instid0(VALU_DEP_2)
	v_cmpx_ne_u32_e32 0x7f, v18
	s_cbranch_execz .LBB296_1321
; %bb.1318:                             ;   in Loop: Header=BB296_16 Depth=1
	v_and_b32_e32 v6, 7, v7
	v_lshrrev_b32_e32 v13, 3, v18
	s_mov_b32 s23, exec_lo
	v_cmpx_gt_u32_e32 8, v18
; %bb.1319:                             ;   in Loop: Header=BB296_16 Depth=1
	s_delay_alu instid0(VALU_DEP_3) | instskip(NEXT) | instid1(VALU_DEP_1)
	v_clz_i32_u32_e32 v6, v6
	v_min_u32_e32 v6, 32, v6
	s_delay_alu instid0(VALU_DEP_1) | instskip(NEXT) | instid1(VALU_DEP_1)
	v_subrev_nc_u32_e32 v13, 28, v6
	v_lshlrev_b64_e32 v[22:23], v13, v[7:8]
	v_sub_nc_u32_e32 v13, 29, v6
	s_delay_alu instid0(VALU_DEP_2)
	v_and_b32_e32 v6, 7, v22
; %bb.1320:                             ;   in Loop: Header=BB296_16 Depth=1
	s_wait_alu 0xfffe
	s_or_b32 exec_lo, exec_lo, s23
	v_lshlrev_b32_e32 v7, 8, v7
	v_lshl_add_u32 v13, v13, 10, 0x2000
	v_lshlrev_b32_e32 v6, 7, v6
	s_delay_alu instid0(VALU_DEP_3) | instskip(NEXT) | instid1(VALU_DEP_3)
	v_and_b32_e32 v7, 0x8000, v7
	v_and_b32_e32 v13, 0xfc00, v13
	s_delay_alu instid0(VALU_DEP_1)
	v_or3_b32 v33, v7, v13, v6
.LBB296_1321:                           ;   in Loop: Header=BB296_16 Depth=1
	s_wait_alu 0xfffe
	s_or_b32 exec_lo, exec_lo, s22
.LBB296_1322:                           ;   in Loop: Header=BB296_16 Depth=1
	s_wait_alu 0xfffe
	s_or_b32 exec_lo, exec_lo, s21
.LBB296_1323:                           ;   in Loop: Header=BB296_16 Depth=1
	s_wait_alu 0xfffe
	s_or_b32 exec_lo, exec_lo, s20
	v_mov_b32_e32 v30, 0
	v_mov_b32_e32 v52, 0
	s_mov_b32 s20, exec_lo
	v_cmpx_lt_u32_e32 0xffffff, v31
	s_cbranch_execz .LBB296_1331
; %bb.1324:                             ;   in Loop: Header=BB296_16 Depth=1
	v_lshrrev_b32_e32 v7, 24, v31
	v_bfrev_b32_e32 v52, 1
	s_mov_b32 s21, exec_lo
	s_delay_alu instid0(VALU_DEP_2)
	v_cmpx_ne_u32_e32 0x80, v7
	s_cbranch_execz .LBB296_1330
; %bb.1325:                             ;   in Loop: Header=BB296_16 Depth=1
	v_and_b32_e32 v18, 0x7f, v7
	v_mov_b32_e32 v52, 0x7c010000
	s_mov_b32 s22, exec_lo
	s_delay_alu instid0(VALU_DEP_2)
	v_cmpx_ne_u32_e32 0x7f, v18
	s_cbranch_execz .LBB296_1329
; %bb.1326:                             ;   in Loop: Header=BB296_16 Depth=1
	v_and_b32_e32 v6, 7, v7
	v_lshrrev_b32_e32 v13, 3, v18
	s_mov_b32 s23, exec_lo
	v_cmpx_gt_u32_e32 8, v18
; %bb.1327:                             ;   in Loop: Header=BB296_16 Depth=1
	s_delay_alu instid0(VALU_DEP_3) | instskip(NEXT) | instid1(VALU_DEP_1)
	v_clz_i32_u32_e32 v6, v6
	v_min_u32_e32 v6, 32, v6
	s_delay_alu instid0(VALU_DEP_1) | instskip(NEXT) | instid1(VALU_DEP_1)
	v_subrev_nc_u32_e32 v13, 28, v6
	v_lshlrev_b64_e32 v[22:23], v13, v[7:8]
	v_sub_nc_u32_e32 v13, 29, v6
	s_delay_alu instid0(VALU_DEP_2)
	v_and_b32_e32 v6, 7, v22
; %bb.1328:                             ;   in Loop: Header=BB296_16 Depth=1
	s_wait_alu 0xfffe
	s_or_b32 exec_lo, exec_lo, s23
	v_lshlrev_b32_e32 v7, 8, v7
	v_lshl_add_u32 v13, v13, 10, 0x2000
	v_lshlrev_b32_e32 v6, 23, v6
	s_delay_alu instid0(VALU_DEP_2) | instskip(NEXT) | instid1(VALU_DEP_1)
	v_and_or_b32 v7, 0x8000, v7, v13
	v_lshl_or_b32 v52, v7, 16, v6
.LBB296_1329:                           ;   in Loop: Header=BB296_16 Depth=1
	s_wait_alu 0xfffe
	s_or_b32 exec_lo, exec_lo, s22
.LBB296_1330:                           ;   in Loop: Header=BB296_16 Depth=1
	s_wait_alu 0xfffe
	s_or_b32 exec_lo, exec_lo, s21
.LBB296_1331:                           ;   in Loop: Header=BB296_16 Depth=1
	s_wait_alu 0xfffe
	s_or_b32 exec_lo, exec_lo, s20
	v_dual_mov_b32 v7, v32 :: v_dual_and_b32 v6, 0xff, v32
	s_mov_b32 s20, exec_lo
	s_delay_alu instid0(VALU_DEP_1)
	v_cmpx_ne_u16_e32 0, v6
	s_cbranch_execz .LBB296_1339
; %bb.1332:                             ;   in Loop: Header=BB296_16 Depth=1
	v_mov_b32_e32 v30, 0x8000
	s_mov_b32 s21, exec_lo
	v_cmpx_ne_u16_e32 0x80, v6
	s_cbranch_execz .LBB296_1338
; %bb.1333:                             ;   in Loop: Header=BB296_16 Depth=1
	v_and_b32_e32 v18, 0x7f, v32
	v_mov_b32_e32 v30, 0x7c01
	s_mov_b32 s22, exec_lo
	s_delay_alu instid0(VALU_DEP_2)
	v_cmpx_ne_u32_e32 0x7f, v18
	s_cbranch_execz .LBB296_1337
; %bb.1334:                             ;   in Loop: Header=BB296_16 Depth=1
	v_and_b32_e32 v6, 7, v32
	v_lshrrev_b32_e32 v13, 3, v18
	s_mov_b32 s23, exec_lo
	v_cmpx_gt_u32_e32 8, v18
; %bb.1335:                             ;   in Loop: Header=BB296_16 Depth=1
	s_delay_alu instid0(VALU_DEP_3) | instskip(NEXT) | instid1(VALU_DEP_1)
	v_clz_i32_u32_e32 v6, v6
	v_min_u32_e32 v6, 32, v6
	s_delay_alu instid0(VALU_DEP_1) | instskip(NEXT) | instid1(VALU_DEP_1)
	v_subrev_nc_u32_e32 v13, 28, v6
	v_lshlrev_b64_e32 v[22:23], v13, v[7:8]
	v_sub_nc_u32_e32 v13, 29, v6
	s_delay_alu instid0(VALU_DEP_2)
	v_and_b32_e32 v6, 7, v22
; %bb.1336:                             ;   in Loop: Header=BB296_16 Depth=1
	s_wait_alu 0xfffe
	s_or_b32 exec_lo, exec_lo, s23
	v_lshlrev_b32_e32 v18, 8, v32
	v_lshl_add_u32 v13, v13, 10, 0x2000
	v_lshlrev_b32_e32 v6, 7, v6
	s_delay_alu instid0(VALU_DEP_3) | instskip(NEXT) | instid1(VALU_DEP_3)
	v_and_b32_e32 v18, 0x8000, v18
	v_and_b32_e32 v13, 0xfc00, v13
	s_delay_alu instid0(VALU_DEP_1)
	v_or3_b32 v30, v18, v13, v6
.LBB296_1337:                           ;   in Loop: Header=BB296_16 Depth=1
	s_wait_alu 0xfffe
	s_or_b32 exec_lo, exec_lo, s22
.LBB296_1338:                           ;   in Loop: Header=BB296_16 Depth=1
	s_wait_alu 0xfffe
	s_or_b32 exec_lo, exec_lo, s21
.LBB296_1339:                           ;   in Loop: Header=BB296_16 Depth=1
	s_wait_alu 0xfffe
	s_or_b32 exec_lo, exec_lo, s20
	v_lshrrev_b16 v7, 8, v7
	v_mov_b32_e32 v68, 0
	v_mov_b32_e32 v42, 0
	s_mov_b32 s20, exec_lo
	s_delay_alu instid0(VALU_DEP_3)
	v_cmpx_ne_u16_e32 0, v7
	s_cbranch_execz .LBB296_1347
; %bb.1340:                             ;   in Loop: Header=BB296_16 Depth=1
	v_bfrev_b32_e32 v42, 1
	s_mov_b32 s21, exec_lo
	v_cmpx_ne_u16_e32 0x80, v7
	s_cbranch_execz .LBB296_1346
; %bb.1341:                             ;   in Loop: Header=BB296_16 Depth=1
	v_and_b32_e32 v6, 0xffff, v7
	v_mov_b32_e32 v42, 0x7c010000
	s_mov_b32 s22, exec_lo
	s_delay_alu instid0(VALU_DEP_2) | instskip(NEXT) | instid1(VALU_DEP_1)
	v_and_b32_e32 v22, 0x7f, v6
	v_cmpx_ne_u32_e32 0x7f, v22
	s_cbranch_execz .LBB296_1345
; %bb.1342:                             ;   in Loop: Header=BB296_16 Depth=1
	v_and_b32_e32 v13, 7, v6
	v_lshrrev_b32_e32 v18, 3, v22
	s_mov_b32 s23, exec_lo
	v_cmpx_gt_u32_e32 8, v22
; %bb.1343:                             ;   in Loop: Header=BB296_16 Depth=1
	s_delay_alu instid0(VALU_DEP_3) | instskip(NEXT) | instid1(VALU_DEP_1)
	v_clz_i32_u32_e32 v13, v13
	v_min_u32_e32 v13, 32, v13
	s_delay_alu instid0(VALU_DEP_1) | instskip(NEXT) | instid1(VALU_DEP_1)
	v_subrev_nc_u32_e32 v18, 28, v13
	v_lshlrev_b64_e32 v[22:23], v18, v[7:8]
	v_sub_nc_u32_e32 v18, 29, v13
	s_delay_alu instid0(VALU_DEP_2)
	v_and_b32_e32 v13, 7, v22
; %bb.1344:                             ;   in Loop: Header=BB296_16 Depth=1
	s_wait_alu 0xfffe
	s_or_b32 exec_lo, exec_lo, s23
	v_lshlrev_b32_e32 v6, 8, v6
	v_lshl_add_u32 v7, v18, 10, 0x2000
	s_delay_alu instid0(VALU_DEP_1) | instskip(SKIP_1) | instid1(VALU_DEP_1)
	v_and_or_b32 v6, 0x8000, v6, v7
	v_lshlrev_b32_e32 v7, 23, v13
	v_lshl_or_b32 v42, v6, 16, v7
.LBB296_1345:                           ;   in Loop: Header=BB296_16 Depth=1
	s_wait_alu 0xfffe
	s_or_b32 exec_lo, exec_lo, s22
.LBB296_1346:                           ;   in Loop: Header=BB296_16 Depth=1
	s_wait_alu 0xfffe
	s_or_b32 exec_lo, exec_lo, s21
.LBB296_1347:                           ;   in Loop: Header=BB296_16 Depth=1
	s_wait_alu 0xfffe
	s_or_b32 exec_lo, exec_lo, s20
	v_lshrrev_b32_e32 v7, 16, v32
	s_mov_b32 s20, exec_lo
	s_delay_alu instid0(VALU_DEP_1) | instskip(NEXT) | instid1(VALU_DEP_1)
	v_and_b32_e32 v6, 0xff, v7
	v_cmpx_ne_u16_e32 0, v6
	s_cbranch_execz .LBB296_1355
; %bb.1348:                             ;   in Loop: Header=BB296_16 Depth=1
	v_mov_b32_e32 v68, 0x8000
	s_mov_b32 s21, exec_lo
	v_cmpx_ne_u16_e32 0x80, v6
	s_cbranch_execz .LBB296_1354
; %bb.1349:                             ;   in Loop: Header=BB296_16 Depth=1
	v_bfe_u32 v18, v32, 16, 7
	v_mov_b32_e32 v68, 0x7c01
	s_mov_b32 s22, exec_lo
	s_delay_alu instid0(VALU_DEP_2)
	v_cmpx_ne_u32_e32 0x7f, v18
	s_cbranch_execz .LBB296_1353
; %bb.1350:                             ;   in Loop: Header=BB296_16 Depth=1
	v_and_b32_e32 v6, 7, v7
	v_lshrrev_b32_e32 v13, 3, v18
	s_mov_b32 s23, exec_lo
	v_cmpx_gt_u32_e32 8, v18
; %bb.1351:                             ;   in Loop: Header=BB296_16 Depth=1
	s_delay_alu instid0(VALU_DEP_3) | instskip(NEXT) | instid1(VALU_DEP_1)
	v_clz_i32_u32_e32 v6, v6
	v_min_u32_e32 v6, 32, v6
	s_delay_alu instid0(VALU_DEP_1) | instskip(NEXT) | instid1(VALU_DEP_1)
	v_subrev_nc_u32_e32 v13, 28, v6
	v_lshlrev_b64_e32 v[22:23], v13, v[7:8]
	v_sub_nc_u32_e32 v13, 29, v6
	s_delay_alu instid0(VALU_DEP_2)
	v_and_b32_e32 v6, 7, v22
; %bb.1352:                             ;   in Loop: Header=BB296_16 Depth=1
	s_wait_alu 0xfffe
	s_or_b32 exec_lo, exec_lo, s23
	v_lshlrev_b32_e32 v7, 8, v7
	v_lshl_add_u32 v13, v13, 10, 0x2000
	v_lshlrev_b32_e32 v6, 7, v6
	s_delay_alu instid0(VALU_DEP_3) | instskip(NEXT) | instid1(VALU_DEP_3)
	v_and_b32_e32 v7, 0x8000, v7
	v_and_b32_e32 v13, 0xfc00, v13
	s_delay_alu instid0(VALU_DEP_1)
	v_or3_b32 v68, v7, v13, v6
.LBB296_1353:                           ;   in Loop: Header=BB296_16 Depth=1
	s_wait_alu 0xfffe
	s_or_b32 exec_lo, exec_lo, s22
.LBB296_1354:                           ;   in Loop: Header=BB296_16 Depth=1
	s_wait_alu 0xfffe
	s_or_b32 exec_lo, exec_lo, s21
.LBB296_1355:                           ;   in Loop: Header=BB296_16 Depth=1
	s_wait_alu 0xfffe
	s_or_b32 exec_lo, exec_lo, s20
	v_mov_b32_e32 v36, 0
	v_mov_b32_e32 v18, 0
	s_mov_b32 s20, exec_lo
	v_cmpx_lt_u64_e64 s[8:9], v[31:32]
	s_cbranch_execz .LBB296_1363
; %bb.1356:                             ;   in Loop: Header=BB296_16 Depth=1
	v_lshrrev_b32_e32 v7, 24, v32
	v_bfrev_b32_e32 v18, 1
	s_mov_b32 s21, exec_lo
	s_delay_alu instid0(VALU_DEP_2)
	v_cmpx_ne_u32_e32 0x80, v7
	s_cbranch_execz .LBB296_1362
; %bb.1357:                             ;   in Loop: Header=BB296_16 Depth=1
	v_and_b32_e32 v22, 0x7f, v7
	v_mov_b32_e32 v18, 0x7c010000
	s_mov_b32 s22, exec_lo
	s_delay_alu instid0(VALU_DEP_2)
	v_cmpx_ne_u32_e32 0x7f, v22
	s_cbranch_execz .LBB296_1361
; %bb.1358:                             ;   in Loop: Header=BB296_16 Depth=1
	v_and_b32_e32 v6, 7, v7
	v_lshrrev_b32_e32 v13, 3, v22
	s_mov_b32 s23, exec_lo
	v_cmpx_gt_u32_e32 8, v22
; %bb.1359:                             ;   in Loop: Header=BB296_16 Depth=1
	s_delay_alu instid0(VALU_DEP_3) | instskip(NEXT) | instid1(VALU_DEP_1)
	v_clz_i32_u32_e32 v6, v6
	v_min_u32_e32 v6, 32, v6
	s_delay_alu instid0(VALU_DEP_1) | instskip(NEXT) | instid1(VALU_DEP_1)
	v_subrev_nc_u32_e32 v13, 28, v6
	v_lshlrev_b64_e32 v[22:23], v13, v[7:8]
	v_sub_nc_u32_e32 v13, 29, v6
	s_delay_alu instid0(VALU_DEP_2)
	v_and_b32_e32 v6, 7, v22
; %bb.1360:                             ;   in Loop: Header=BB296_16 Depth=1
	s_wait_alu 0xfffe
	s_or_b32 exec_lo, exec_lo, s23
	v_lshlrev_b32_e32 v7, 8, v7
	v_lshl_add_u32 v13, v13, 10, 0x2000
	v_lshlrev_b32_e32 v6, 23, v6
	s_delay_alu instid0(VALU_DEP_2) | instskip(NEXT) | instid1(VALU_DEP_1)
	v_and_or_b32 v7, 0x8000, v7, v13
	v_lshl_or_b32 v18, v7, 16, v6
.LBB296_1361:                           ;   in Loop: Header=BB296_16 Depth=1
	s_wait_alu 0xfffe
	s_or_b32 exec_lo, exec_lo, s22
.LBB296_1362:                           ;   in Loop: Header=BB296_16 Depth=1
	s_wait_alu 0xfffe
	s_or_b32 exec_lo, exec_lo, s21
.LBB296_1363:                           ;   in Loop: Header=BB296_16 Depth=1
	s_wait_alu 0xfffe
	s_or_b32 exec_lo, exec_lo, s20
	flat_load_b64 v[31:32], v[28:29] offset:5128
	s_mov_b32 s20, exec_lo
	s_wait_loadcnt_dscnt 0x0
	v_and_b32_e32 v6, 0xff, v31
	s_delay_alu instid0(VALU_DEP_1)
	v_cmpx_ne_u16_e32 0, v6
	s_cbranch_execz .LBB296_1371
; %bb.1364:                             ;   in Loop: Header=BB296_16 Depth=1
	v_mov_b32_e32 v36, 0x8000
	s_mov_b32 s21, exec_lo
	v_cmpx_ne_u16_e32 0x80, v6
	s_cbranch_execz .LBB296_1370
; %bb.1365:                             ;   in Loop: Header=BB296_16 Depth=1
	v_and_b32_e32 v13, 0x7f, v31
	v_mov_b32_e32 v36, 0x7c01
	s_mov_b32 s22, exec_lo
	s_delay_alu instid0(VALU_DEP_2)
	v_cmpx_ne_u32_e32 0x7f, v13
	s_cbranch_execz .LBB296_1369
; %bb.1366:                             ;   in Loop: Header=BB296_16 Depth=1
	v_and_b32_e32 v6, 7, v31
	v_lshrrev_b32_e32 v7, 3, v13
	s_mov_b32 s23, exec_lo
	v_cmpx_gt_u32_e32 8, v13
; %bb.1367:                             ;   in Loop: Header=BB296_16 Depth=1
	s_delay_alu instid0(VALU_DEP_3) | instskip(NEXT) | instid1(VALU_DEP_1)
	v_clz_i32_u32_e32 v6, v6
	v_min_u32_e32 v13, 32, v6
	s_delay_alu instid0(VALU_DEP_1) | instskip(NEXT) | instid1(VALU_DEP_1)
	v_subrev_nc_u32_e32 v6, 28, v13
	v_lshlrev_b64_e32 v[6:7], v6, v[31:32]
	v_sub_nc_u32_e32 v7, 29, v13
	s_delay_alu instid0(VALU_DEP_2)
	v_and_b32_e32 v6, 7, v6
; %bb.1368:                             ;   in Loop: Header=BB296_16 Depth=1
	s_wait_alu 0xfffe
	s_or_b32 exec_lo, exec_lo, s23
	v_lshlrev_b32_e32 v13, 8, v31
	v_lshl_add_u32 v7, v7, 10, 0x2000
	v_lshlrev_b32_e32 v6, 7, v6
	s_delay_alu instid0(VALU_DEP_3) | instskip(NEXT) | instid1(VALU_DEP_3)
	v_and_b32_e32 v13, 0x8000, v13
	v_and_b32_e32 v7, 0xfc00, v7
	s_delay_alu instid0(VALU_DEP_1)
	v_or3_b32 v36, v13, v7, v6
.LBB296_1369:                           ;   in Loop: Header=BB296_16 Depth=1
	s_wait_alu 0xfffe
	s_or_b32 exec_lo, exec_lo, s22
.LBB296_1370:                           ;   in Loop: Header=BB296_16 Depth=1
	s_wait_alu 0xfffe
	s_or_b32 exec_lo, exec_lo, s21
.LBB296_1371:                           ;   in Loop: Header=BB296_16 Depth=1
	s_wait_alu 0xfffe
	s_or_b32 exec_lo, exec_lo, s20
	v_lshrrev_b16 v7, 8, v31
	v_dual_mov_b32 v82, 0 :: v_dual_mov_b32 v53, 0
	s_mov_b32 s20, exec_lo
	s_delay_alu instid0(VALU_DEP_2)
	v_cmpx_ne_u16_e32 0, v7
	s_cbranch_execz .LBB296_1379
; %bb.1372:                             ;   in Loop: Header=BB296_16 Depth=1
	v_bfrev_b32_e32 v53, 1
	s_mov_b32 s21, exec_lo
	v_cmpx_ne_u16_e32 0x80, v7
	s_cbranch_execz .LBB296_1378
; %bb.1373:                             ;   in Loop: Header=BB296_16 Depth=1
	v_and_b32_e32 v6, 0xffff, v7
	v_mov_b32_e32 v53, 0x7c010000
	s_mov_b32 s22, exec_lo
	s_delay_alu instid0(VALU_DEP_2) | instskip(NEXT) | instid1(VALU_DEP_1)
	v_and_b32_e32 v23, 0x7f, v6
	v_cmpx_ne_u32_e32 0x7f, v23
	s_cbranch_execz .LBB296_1377
; %bb.1374:                             ;   in Loop: Header=BB296_16 Depth=1
	v_and_b32_e32 v13, 7, v6
	v_lshrrev_b32_e32 v22, 3, v23
	s_mov_b32 s23, exec_lo
	v_cmpx_gt_u32_e32 8, v23
; %bb.1375:                             ;   in Loop: Header=BB296_16 Depth=1
	s_delay_alu instid0(VALU_DEP_3) | instskip(NEXT) | instid1(VALU_DEP_1)
	v_clz_i32_u32_e32 v13, v13
	v_min_u32_e32 v13, 32, v13
	s_delay_alu instid0(VALU_DEP_1) | instskip(NEXT) | instid1(VALU_DEP_1)
	v_subrev_nc_u32_e32 v22, 28, v13
	v_lshlrev_b64_e32 v[38:39], v22, v[7:8]
	v_sub_nc_u32_e32 v22, 29, v13
	s_delay_alu instid0(VALU_DEP_2)
	v_and_b32_e32 v13, 7, v38
; %bb.1376:                             ;   in Loop: Header=BB296_16 Depth=1
	s_wait_alu 0xfffe
	s_or_b32 exec_lo, exec_lo, s23
	v_lshlrev_b32_e32 v6, 8, v6
	v_lshl_add_u32 v7, v22, 10, 0x2000
	s_delay_alu instid0(VALU_DEP_1) | instskip(SKIP_1) | instid1(VALU_DEP_1)
	v_and_or_b32 v6, 0x8000, v6, v7
	v_lshlrev_b32_e32 v7, 23, v13
	v_lshl_or_b32 v53, v6, 16, v7
.LBB296_1377:                           ;   in Loop: Header=BB296_16 Depth=1
	s_wait_alu 0xfffe
	s_or_b32 exec_lo, exec_lo, s22
.LBB296_1378:                           ;   in Loop: Header=BB296_16 Depth=1
	s_wait_alu 0xfffe
	s_or_b32 exec_lo, exec_lo, s21
.LBB296_1379:                           ;   in Loop: Header=BB296_16 Depth=1
	s_wait_alu 0xfffe
	s_or_b32 exec_lo, exec_lo, s20
	v_lshrrev_b32_e32 v7, 16, v31
	s_mov_b32 s20, exec_lo
	s_delay_alu instid0(VALU_DEP_1) | instskip(NEXT) | instid1(VALU_DEP_1)
	v_and_b32_e32 v6, 0xff, v7
	v_cmpx_ne_u16_e32 0, v6
	s_cbranch_execz .LBB296_1387
; %bb.1380:                             ;   in Loop: Header=BB296_16 Depth=1
	v_mov_b32_e32 v82, 0x8000
	s_mov_b32 s21, exec_lo
	v_cmpx_ne_u16_e32 0x80, v6
	s_cbranch_execz .LBB296_1386
; %bb.1381:                             ;   in Loop: Header=BB296_16 Depth=1
	v_bfe_u32 v22, v31, 16, 7
	v_mov_b32_e32 v82, 0x7c01
	s_mov_b32 s22, exec_lo
	s_delay_alu instid0(VALU_DEP_2)
	v_cmpx_ne_u32_e32 0x7f, v22
	s_cbranch_execz .LBB296_1385
; %bb.1382:                             ;   in Loop: Header=BB296_16 Depth=1
	v_and_b32_e32 v6, 7, v7
	v_lshrrev_b32_e32 v13, 3, v22
	s_mov_b32 s23, exec_lo
	v_cmpx_gt_u32_e32 8, v22
; %bb.1383:                             ;   in Loop: Header=BB296_16 Depth=1
	s_delay_alu instid0(VALU_DEP_3) | instskip(NEXT) | instid1(VALU_DEP_1)
	v_clz_i32_u32_e32 v6, v6
	v_min_u32_e32 v6, 32, v6
	s_delay_alu instid0(VALU_DEP_1) | instskip(NEXT) | instid1(VALU_DEP_1)
	v_subrev_nc_u32_e32 v13, 28, v6
	v_lshlrev_b64_e32 v[22:23], v13, v[7:8]
	v_sub_nc_u32_e32 v13, 29, v6
	s_delay_alu instid0(VALU_DEP_2)
	v_and_b32_e32 v6, 7, v22
; %bb.1384:                             ;   in Loop: Header=BB296_16 Depth=1
	s_wait_alu 0xfffe
	s_or_b32 exec_lo, exec_lo, s23
	v_lshlrev_b32_e32 v7, 8, v7
	v_lshl_add_u32 v13, v13, 10, 0x2000
	v_lshlrev_b32_e32 v6, 7, v6
	s_delay_alu instid0(VALU_DEP_3) | instskip(NEXT) | instid1(VALU_DEP_3)
	v_and_b32_e32 v7, 0x8000, v7
	v_and_b32_e32 v13, 0xfc00, v13
	s_delay_alu instid0(VALU_DEP_1)
	v_or3_b32 v82, v7, v13, v6
.LBB296_1385:                           ;   in Loop: Header=BB296_16 Depth=1
	s_wait_alu 0xfffe
	s_or_b32 exec_lo, exec_lo, s22
.LBB296_1386:                           ;   in Loop: Header=BB296_16 Depth=1
	s_wait_alu 0xfffe
	s_or_b32 exec_lo, exec_lo, s21
.LBB296_1387:                           ;   in Loop: Header=BB296_16 Depth=1
	s_wait_alu 0xfffe
	s_or_b32 exec_lo, exec_lo, s20
	v_dual_mov_b32 v13, 0 :: v_dual_mov_b32 v22, 0
	s_mov_b32 s20, exec_lo
	v_cmpx_lt_u32_e32 0xffffff, v31
	s_cbranch_execz .LBB296_1395
; %bb.1388:                             ;   in Loop: Header=BB296_16 Depth=1
	v_lshrrev_b32_e32 v7, 24, v31
	v_bfrev_b32_e32 v22, 1
	s_mov_b32 s21, exec_lo
	s_delay_alu instid0(VALU_DEP_2)
	v_cmpx_ne_u32_e32 0x80, v7
	s_cbranch_execz .LBB296_1394
; %bb.1389:                             ;   in Loop: Header=BB296_16 Depth=1
	v_and_b32_e32 v23, 0x7f, v7
	v_mov_b32_e32 v22, 0x7c010000
	s_mov_b32 s22, exec_lo
	s_delay_alu instid0(VALU_DEP_2)
	v_cmpx_ne_u32_e32 0x7f, v23
	s_cbranch_execz .LBB296_1393
; %bb.1390:                             ;   in Loop: Header=BB296_16 Depth=1
	v_and_b32_e32 v6, 7, v7
	v_lshrrev_b32_e32 v22, 3, v23
	s_mov_b32 s23, exec_lo
	v_cmpx_gt_u32_e32 8, v23
; %bb.1391:                             ;   in Loop: Header=BB296_16 Depth=1
	s_delay_alu instid0(VALU_DEP_3) | instskip(NEXT) | instid1(VALU_DEP_1)
	v_clz_i32_u32_e32 v6, v6
	v_min_u32_e32 v6, 32, v6
	s_delay_alu instid0(VALU_DEP_1) | instskip(NEXT) | instid1(VALU_DEP_1)
	v_subrev_nc_u32_e32 v22, 28, v6
	v_lshlrev_b64_e32 v[38:39], v22, v[7:8]
	v_sub_nc_u32_e32 v22, 29, v6
	s_delay_alu instid0(VALU_DEP_2)
	v_and_b32_e32 v6, 7, v38
; %bb.1392:                             ;   in Loop: Header=BB296_16 Depth=1
	s_wait_alu 0xfffe
	s_or_b32 exec_lo, exec_lo, s23
	v_lshlrev_b32_e32 v7, 8, v7
	v_lshl_add_u32 v22, v22, 10, 0x2000
	v_lshlrev_b32_e32 v6, 23, v6
	s_delay_alu instid0(VALU_DEP_2) | instskip(NEXT) | instid1(VALU_DEP_1)
	v_and_or_b32 v7, 0x8000, v7, v22
	v_lshl_or_b32 v22, v7, 16, v6
.LBB296_1393:                           ;   in Loop: Header=BB296_16 Depth=1
	s_wait_alu 0xfffe
	s_or_b32 exec_lo, exec_lo, s22
.LBB296_1394:                           ;   in Loop: Header=BB296_16 Depth=1
	s_wait_alu 0xfffe
	s_or_b32 exec_lo, exec_lo, s21
.LBB296_1395:                           ;   in Loop: Header=BB296_16 Depth=1
	s_wait_alu 0xfffe
	s_or_b32 exec_lo, exec_lo, s20
	v_dual_mov_b32 v7, v32 :: v_dual_and_b32 v6, 0xff, v32
	s_mov_b32 s20, exec_lo
	s_delay_alu instid0(VALU_DEP_1)
	v_cmpx_ne_u16_e32 0, v6
	s_cbranch_execz .LBB296_1403
; %bb.1396:                             ;   in Loop: Header=BB296_16 Depth=1
	v_mov_b32_e32 v13, 0x8000
	s_mov_b32 s21, exec_lo
	v_cmpx_ne_u16_e32 0x80, v6
	s_cbranch_execz .LBB296_1402
; %bb.1397:                             ;   in Loop: Header=BB296_16 Depth=1
	v_and_b32_e32 v23, 0x7f, v32
	v_mov_b32_e32 v13, 0x7c01
	s_mov_b32 s22, exec_lo
	s_delay_alu instid0(VALU_DEP_2)
	v_cmpx_ne_u32_e32 0x7f, v23
	s_cbranch_execz .LBB296_1401
; %bb.1398:                             ;   in Loop: Header=BB296_16 Depth=1
	v_and_b32_e32 v6, 7, v32
	v_lshrrev_b32_e32 v13, 3, v23
	s_mov_b32 s23, exec_lo
	v_cmpx_gt_u32_e32 8, v23
; %bb.1399:                             ;   in Loop: Header=BB296_16 Depth=1
	s_delay_alu instid0(VALU_DEP_3) | instskip(NEXT) | instid1(VALU_DEP_1)
	v_clz_i32_u32_e32 v6, v6
	v_min_u32_e32 v6, 32, v6
	s_delay_alu instid0(VALU_DEP_1) | instskip(NEXT) | instid1(VALU_DEP_1)
	v_subrev_nc_u32_e32 v13, 28, v6
	v_lshlrev_b64_e32 v[38:39], v13, v[7:8]
	v_sub_nc_u32_e32 v13, 29, v6
	s_delay_alu instid0(VALU_DEP_2)
	v_and_b32_e32 v6, 7, v38
; %bb.1400:                             ;   in Loop: Header=BB296_16 Depth=1
	s_wait_alu 0xfffe
	s_or_b32 exec_lo, exec_lo, s23
	v_lshlrev_b32_e32 v23, 8, v32
	v_lshl_add_u32 v13, v13, 10, 0x2000
	v_lshlrev_b32_e32 v6, 7, v6
	s_delay_alu instid0(VALU_DEP_3) | instskip(NEXT) | instid1(VALU_DEP_3)
	v_and_b32_e32 v23, 0x8000, v23
	v_and_b32_e32 v13, 0xfc00, v13
	s_delay_alu instid0(VALU_DEP_1)
	v_or3_b32 v13, v23, v13, v6
.LBB296_1401:                           ;   in Loop: Header=BB296_16 Depth=1
	s_wait_alu 0xfffe
	s_or_b32 exec_lo, exec_lo, s22
.LBB296_1402:                           ;   in Loop: Header=BB296_16 Depth=1
	s_wait_alu 0xfffe
	s_or_b32 exec_lo, exec_lo, s21
.LBB296_1403:                           ;   in Loop: Header=BB296_16 Depth=1
	s_wait_alu 0xfffe
	s_or_b32 exec_lo, exec_lo, s20
	v_lshrrev_b16 v7, 8, v7
	v_mov_b32_e32 v165, 0
	v_mov_b32_e32 v179, 0
	s_mov_b32 s20, exec_lo
	s_delay_alu instid0(VALU_DEP_3)
	v_cmpx_ne_u16_e32 0, v7
	s_cbranch_execz .LBB296_1411
; %bb.1404:                             ;   in Loop: Header=BB296_16 Depth=1
	v_bfrev_b32_e32 v179, 1
	s_mov_b32 s21, exec_lo
	v_cmpx_ne_u16_e32 0x80, v7
	s_cbranch_execz .LBB296_1410
; %bb.1405:                             ;   in Loop: Header=BB296_16 Depth=1
	v_and_b32_e32 v6, 0xffff, v7
	v_mov_b32_e32 v179, 0x7c010000
	s_mov_b32 s22, exec_lo
	s_delay_alu instid0(VALU_DEP_2) | instskip(NEXT) | instid1(VALU_DEP_1)
	v_and_b32_e32 v38, 0x7f, v6
	v_cmpx_ne_u32_e32 0x7f, v38
	s_cbranch_execz .LBB296_1409
; %bb.1406:                             ;   in Loop: Header=BB296_16 Depth=1
	v_and_b32_e32 v23, 7, v6
	v_lshrrev_b32_e32 v25, 3, v38
	s_mov_b32 s23, exec_lo
	v_cmpx_gt_u32_e32 8, v38
; %bb.1407:                             ;   in Loop: Header=BB296_16 Depth=1
	s_delay_alu instid0(VALU_DEP_3) | instskip(NEXT) | instid1(VALU_DEP_1)
	v_clz_i32_u32_e32 v23, v23
	v_min_u32_e32 v23, 32, v23
	s_delay_alu instid0(VALU_DEP_1) | instskip(NEXT) | instid1(VALU_DEP_1)
	v_subrev_nc_u32_e32 v25, 28, v23
	v_lshlrev_b64_e32 v[38:39], v25, v[7:8]
	v_sub_nc_u32_e32 v25, 29, v23
	s_delay_alu instid0(VALU_DEP_2)
	v_and_b32_e32 v23, 7, v38
; %bb.1408:                             ;   in Loop: Header=BB296_16 Depth=1
	s_wait_alu 0xfffe
	s_or_b32 exec_lo, exec_lo, s23
	v_lshlrev_b32_e32 v6, 8, v6
	v_lshl_add_u32 v7, v25, 10, 0x2000
	s_delay_alu instid0(VALU_DEP_1) | instskip(SKIP_1) | instid1(VALU_DEP_1)
	v_and_or_b32 v6, 0x8000, v6, v7
	v_lshlrev_b32_e32 v7, 23, v23
	v_lshl_or_b32 v179, v6, 16, v7
.LBB296_1409:                           ;   in Loop: Header=BB296_16 Depth=1
	s_wait_alu 0xfffe
	s_or_b32 exec_lo, exec_lo, s22
.LBB296_1410:                           ;   in Loop: Header=BB296_16 Depth=1
	s_wait_alu 0xfffe
	s_or_b32 exec_lo, exec_lo, s21
.LBB296_1411:                           ;   in Loop: Header=BB296_16 Depth=1
	s_wait_alu 0xfffe
	s_or_b32 exec_lo, exec_lo, s20
	v_lshrrev_b32_e32 v7, 16, v32
	s_mov_b32 s20, exec_lo
	s_delay_alu instid0(VALU_DEP_1) | instskip(NEXT) | instid1(VALU_DEP_1)
	v_and_b32_e32 v6, 0xff, v7
	v_cmpx_ne_u16_e32 0, v6
	s_cbranch_execz .LBB296_1419
; %bb.1412:                             ;   in Loop: Header=BB296_16 Depth=1
	v_mov_b32_e32 v165, 0x8000
	s_mov_b32 s21, exec_lo
	v_cmpx_ne_u16_e32 0x80, v6
	s_cbranch_execz .LBB296_1418
; %bb.1413:                             ;   in Loop: Header=BB296_16 Depth=1
	v_bfe_u32 v25, v32, 16, 7
	v_mov_b32_e32 v165, 0x7c01
	s_mov_b32 s22, exec_lo
	s_delay_alu instid0(VALU_DEP_2)
	v_cmpx_ne_u32_e32 0x7f, v25
	s_cbranch_execz .LBB296_1417
; %bb.1414:                             ;   in Loop: Header=BB296_16 Depth=1
	v_and_b32_e32 v6, 7, v7
	v_lshrrev_b32_e32 v23, 3, v25
	s_mov_b32 s23, exec_lo
	v_cmpx_gt_u32_e32 8, v25
; %bb.1415:                             ;   in Loop: Header=BB296_16 Depth=1
	s_delay_alu instid0(VALU_DEP_3) | instskip(NEXT) | instid1(VALU_DEP_1)
	v_clz_i32_u32_e32 v6, v6
	v_min_u32_e32 v6, 32, v6
	s_delay_alu instid0(VALU_DEP_1) | instskip(NEXT) | instid1(VALU_DEP_1)
	v_subrev_nc_u32_e32 v23, 28, v6
	v_lshlrev_b64_e32 v[38:39], v23, v[7:8]
	v_sub_nc_u32_e32 v23, 29, v6
	s_delay_alu instid0(VALU_DEP_2)
	v_and_b32_e32 v6, 7, v38
; %bb.1416:                             ;   in Loop: Header=BB296_16 Depth=1
	s_wait_alu 0xfffe
	s_or_b32 exec_lo, exec_lo, s23
	v_lshlrev_b32_e32 v7, 8, v7
	v_lshl_add_u32 v23, v23, 10, 0x2000
	v_lshlrev_b32_e32 v6, 7, v6
	s_delay_alu instid0(VALU_DEP_3) | instskip(NEXT) | instid1(VALU_DEP_3)
	v_and_b32_e32 v7, 0x8000, v7
	v_and_b32_e32 v23, 0xfc00, v23
	s_delay_alu instid0(VALU_DEP_1)
	v_or3_b32 v165, v7, v23, v6
.LBB296_1417:                           ;   in Loop: Header=BB296_16 Depth=1
	s_wait_alu 0xfffe
	s_or_b32 exec_lo, exec_lo, s22
.LBB296_1418:                           ;   in Loop: Header=BB296_16 Depth=1
	s_wait_alu 0xfffe
	s_or_b32 exec_lo, exec_lo, s21
.LBB296_1419:                           ;   in Loop: Header=BB296_16 Depth=1
	s_wait_alu 0xfffe
	s_or_b32 exec_lo, exec_lo, s20
	v_mov_b32_e32 v149, 0
	v_mov_b32_e32 v43, 0
	s_mov_b32 s20, exec_lo
	v_cmpx_lt_u64_e64 s[8:9], v[31:32]
	s_cbranch_execz .LBB296_1427
; %bb.1420:                             ;   in Loop: Header=BB296_16 Depth=1
	v_lshrrev_b32_e32 v7, 24, v32
	v_bfrev_b32_e32 v43, 1
	s_mov_b32 s21, exec_lo
	s_delay_alu instid0(VALU_DEP_2)
	v_cmpx_ne_u32_e32 0x80, v7
	s_cbranch_execz .LBB296_1426
; %bb.1421:                             ;   in Loop: Header=BB296_16 Depth=1
	v_and_b32_e32 v25, 0x7f, v7
	v_mov_b32_e32 v43, 0x7c010000
	s_mov_b32 s22, exec_lo
	s_delay_alu instid0(VALU_DEP_2)
	v_cmpx_ne_u32_e32 0x7f, v25
	s_cbranch_execz .LBB296_1425
; %bb.1422:                             ;   in Loop: Header=BB296_16 Depth=1
	v_and_b32_e32 v6, 7, v7
	v_lshrrev_b32_e32 v23, 3, v25
	s_mov_b32 s23, exec_lo
	v_cmpx_gt_u32_e32 8, v25
; %bb.1423:                             ;   in Loop: Header=BB296_16 Depth=1
	s_delay_alu instid0(VALU_DEP_3) | instskip(NEXT) | instid1(VALU_DEP_1)
	v_clz_i32_u32_e32 v6, v6
	v_min_u32_e32 v6, 32, v6
	s_delay_alu instid0(VALU_DEP_1) | instskip(NEXT) | instid1(VALU_DEP_1)
	v_subrev_nc_u32_e32 v23, 28, v6
	v_lshlrev_b64_e32 v[31:32], v23, v[7:8]
	v_sub_nc_u32_e32 v23, 29, v6
	s_delay_alu instid0(VALU_DEP_2)
	v_and_b32_e32 v6, 7, v31
; %bb.1424:                             ;   in Loop: Header=BB296_16 Depth=1
	s_wait_alu 0xfffe
	s_or_b32 exec_lo, exec_lo, s23
	v_lshlrev_b32_e32 v7, 8, v7
	v_lshl_add_u32 v23, v23, 10, 0x2000
	v_lshlrev_b32_e32 v6, 23, v6
	s_delay_alu instid0(VALU_DEP_2) | instskip(NEXT) | instid1(VALU_DEP_1)
	v_and_or_b32 v7, 0x8000, v7, v23
	v_lshl_or_b32 v43, v7, 16, v6
.LBB296_1425:                           ;   in Loop: Header=BB296_16 Depth=1
	s_wait_alu 0xfffe
	s_or_b32 exec_lo, exec_lo, s22
.LBB296_1426:                           ;   in Loop: Header=BB296_16 Depth=1
	s_wait_alu 0xfffe
	s_or_b32 exec_lo, exec_lo, s21
.LBB296_1427:                           ;   in Loop: Header=BB296_16 Depth=1
	s_wait_alu 0xfffe
	s_or_b32 exec_lo, exec_lo, s20
	flat_load_b64 v[31:32], v[28:29] offset:5632
	s_mov_b32 s20, exec_lo
	s_wait_loadcnt_dscnt 0x0
	v_and_b32_e32 v6, 0xff, v31
	s_delay_alu instid0(VALU_DEP_1)
	v_cmpx_ne_u16_e32 0, v6
	s_cbranch_execz .LBB296_1435
; %bb.1428:                             ;   in Loop: Header=BB296_16 Depth=1
	v_mov_b32_e32 v149, 0x8000
	s_mov_b32 s21, exec_lo
	v_cmpx_ne_u16_e32 0x80, v6
	s_cbranch_execz .LBB296_1434
; %bb.1429:                             ;   in Loop: Header=BB296_16 Depth=1
	v_and_b32_e32 v23, 0x7f, v31
	v_mov_b32_e32 v149, 0x7c01
	s_mov_b32 s22, exec_lo
	s_delay_alu instid0(VALU_DEP_2)
	v_cmpx_ne_u32_e32 0x7f, v23
	s_cbranch_execz .LBB296_1433
; %bb.1430:                             ;   in Loop: Header=BB296_16 Depth=1
	v_and_b32_e32 v6, 7, v31
	v_lshrrev_b32_e32 v7, 3, v23
	s_mov_b32 s23, exec_lo
	v_cmpx_gt_u32_e32 8, v23
; %bb.1431:                             ;   in Loop: Header=BB296_16 Depth=1
	s_delay_alu instid0(VALU_DEP_3) | instskip(NEXT) | instid1(VALU_DEP_1)
	v_clz_i32_u32_e32 v6, v6
	v_min_u32_e32 v23, 32, v6
	s_delay_alu instid0(VALU_DEP_1) | instskip(NEXT) | instid1(VALU_DEP_1)
	v_subrev_nc_u32_e32 v6, 28, v23
	v_lshlrev_b64_e32 v[6:7], v6, v[31:32]
	v_sub_nc_u32_e32 v7, 29, v23
	s_delay_alu instid0(VALU_DEP_2)
	v_and_b32_e32 v6, 7, v6
; %bb.1432:                             ;   in Loop: Header=BB296_16 Depth=1
	s_wait_alu 0xfffe
	s_or_b32 exec_lo, exec_lo, s23
	v_lshlrev_b32_e32 v23, 8, v31
	v_lshl_add_u32 v7, v7, 10, 0x2000
	v_lshlrev_b32_e32 v6, 7, v6
	s_delay_alu instid0(VALU_DEP_3) | instskip(NEXT) | instid1(VALU_DEP_3)
	v_and_b32_e32 v23, 0x8000, v23
	v_and_b32_e32 v7, 0xfc00, v7
	s_delay_alu instid0(VALU_DEP_1)
	v_or3_b32 v149, v23, v7, v6
.LBB296_1433:                           ;   in Loop: Header=BB296_16 Depth=1
	s_wait_alu 0xfffe
	s_or_b32 exec_lo, exec_lo, s22
.LBB296_1434:                           ;   in Loop: Header=BB296_16 Depth=1
	s_wait_alu 0xfffe
	s_or_b32 exec_lo, exec_lo, s21
.LBB296_1435:                           ;   in Loop: Header=BB296_16 Depth=1
	s_wait_alu 0xfffe
	s_or_b32 exec_lo, exec_lo, s20
	v_lshrrev_b16 v7, 8, v31
	v_mov_b32_e32 v162, 0
	v_mov_b32_e32 v160, 0
	s_mov_b32 s20, exec_lo
	s_delay_alu instid0(VALU_DEP_3)
	v_cmpx_ne_u16_e32 0, v7
	s_cbranch_execz .LBB296_1443
; %bb.1436:                             ;   in Loop: Header=BB296_16 Depth=1
	v_bfrev_b32_e32 v160, 1
	s_mov_b32 s21, exec_lo
	v_cmpx_ne_u16_e32 0x80, v7
	s_cbranch_execz .LBB296_1442
; %bb.1437:                             ;   in Loop: Header=BB296_16 Depth=1
	v_and_b32_e32 v6, 0xffff, v7
	v_mov_b32_e32 v160, 0x7c010000
	s_mov_b32 s22, exec_lo
	s_delay_alu instid0(VALU_DEP_2) | instskip(NEXT) | instid1(VALU_DEP_1)
	v_and_b32_e32 v38, 0x7f, v6
	v_cmpx_ne_u32_e32 0x7f, v38
	s_cbranch_execz .LBB296_1441
; %bb.1438:                             ;   in Loop: Header=BB296_16 Depth=1
	v_and_b32_e32 v23, 7, v6
	v_lshrrev_b32_e32 v25, 3, v38
	s_mov_b32 s23, exec_lo
	v_cmpx_gt_u32_e32 8, v38
; %bb.1439:                             ;   in Loop: Header=BB296_16 Depth=1
	s_delay_alu instid0(VALU_DEP_3) | instskip(NEXT) | instid1(VALU_DEP_1)
	v_clz_i32_u32_e32 v23, v23
	v_min_u32_e32 v23, 32, v23
	s_delay_alu instid0(VALU_DEP_1) | instskip(NEXT) | instid1(VALU_DEP_1)
	v_subrev_nc_u32_e32 v25, 28, v23
	v_lshlrev_b64_e32 v[38:39], v25, v[7:8]
	v_sub_nc_u32_e32 v25, 29, v23
	s_delay_alu instid0(VALU_DEP_2)
	v_and_b32_e32 v23, 7, v38
; %bb.1440:                             ;   in Loop: Header=BB296_16 Depth=1
	s_wait_alu 0xfffe
	s_or_b32 exec_lo, exec_lo, s23
	v_lshlrev_b32_e32 v6, 8, v6
	v_lshl_add_u32 v7, v25, 10, 0x2000
	s_delay_alu instid0(VALU_DEP_1) | instskip(SKIP_1) | instid1(VALU_DEP_1)
	v_and_or_b32 v6, 0x8000, v6, v7
	v_lshlrev_b32_e32 v7, 23, v23
	v_lshl_or_b32 v160, v6, 16, v7
.LBB296_1441:                           ;   in Loop: Header=BB296_16 Depth=1
	s_wait_alu 0xfffe
	s_or_b32 exec_lo, exec_lo, s22
.LBB296_1442:                           ;   in Loop: Header=BB296_16 Depth=1
	s_wait_alu 0xfffe
	s_or_b32 exec_lo, exec_lo, s21
.LBB296_1443:                           ;   in Loop: Header=BB296_16 Depth=1
	s_wait_alu 0xfffe
	s_or_b32 exec_lo, exec_lo, s20
	v_lshrrev_b32_e32 v7, 16, v31
	s_mov_b32 s20, exec_lo
	s_delay_alu instid0(VALU_DEP_1) | instskip(NEXT) | instid1(VALU_DEP_1)
	v_and_b32_e32 v6, 0xff, v7
	v_cmpx_ne_u16_e32 0, v6
	s_cbranch_execz .LBB296_1451
; %bb.1444:                             ;   in Loop: Header=BB296_16 Depth=1
	v_mov_b32_e32 v162, 0x8000
	s_mov_b32 s21, exec_lo
	v_cmpx_ne_u16_e32 0x80, v6
	s_cbranch_execz .LBB296_1450
; %bb.1445:                             ;   in Loop: Header=BB296_16 Depth=1
	v_bfe_u32 v25, v31, 16, 7
	v_mov_b32_e32 v162, 0x7c01
	s_mov_b32 s22, exec_lo
	s_delay_alu instid0(VALU_DEP_2)
	v_cmpx_ne_u32_e32 0x7f, v25
	s_cbranch_execz .LBB296_1449
; %bb.1446:                             ;   in Loop: Header=BB296_16 Depth=1
	v_and_b32_e32 v6, 7, v7
	v_lshrrev_b32_e32 v23, 3, v25
	s_mov_b32 s23, exec_lo
	v_cmpx_gt_u32_e32 8, v25
; %bb.1447:                             ;   in Loop: Header=BB296_16 Depth=1
	s_delay_alu instid0(VALU_DEP_3) | instskip(NEXT) | instid1(VALU_DEP_1)
	v_clz_i32_u32_e32 v6, v6
	v_min_u32_e32 v6, 32, v6
	s_delay_alu instid0(VALU_DEP_1) | instskip(NEXT) | instid1(VALU_DEP_1)
	v_subrev_nc_u32_e32 v23, 28, v6
	v_lshlrev_b64_e32 v[38:39], v23, v[7:8]
	v_sub_nc_u32_e32 v23, 29, v6
	s_delay_alu instid0(VALU_DEP_2)
	v_and_b32_e32 v6, 7, v38
; %bb.1448:                             ;   in Loop: Header=BB296_16 Depth=1
	s_wait_alu 0xfffe
	s_or_b32 exec_lo, exec_lo, s23
	v_lshlrev_b32_e32 v7, 8, v7
	v_lshl_add_u32 v23, v23, 10, 0x2000
	v_lshlrev_b32_e32 v6, 7, v6
	s_delay_alu instid0(VALU_DEP_3) | instskip(NEXT) | instid1(VALU_DEP_3)
	v_and_b32_e32 v7, 0x8000, v7
	v_and_b32_e32 v23, 0xfc00, v23
	s_delay_alu instid0(VALU_DEP_1)
	v_or3_b32 v162, v7, v23, v6
.LBB296_1449:                           ;   in Loop: Header=BB296_16 Depth=1
	s_wait_alu 0xfffe
	s_or_b32 exec_lo, exec_lo, s22
.LBB296_1450:                           ;   in Loop: Header=BB296_16 Depth=1
	s_wait_alu 0xfffe
	s_or_b32 exec_lo, exec_lo, s21
.LBB296_1451:                           ;   in Loop: Header=BB296_16 Depth=1
	s_wait_alu 0xfffe
	s_or_b32 exec_lo, exec_lo, s20
	v_mov_b32_e32 v25, 0
	v_mov_b32_e32 v163, 0
	s_mov_b32 s20, exec_lo
	v_cmpx_lt_u32_e32 0xffffff, v31
	s_cbranch_execz .LBB296_1459
; %bb.1452:                             ;   in Loop: Header=BB296_16 Depth=1
	v_lshrrev_b32_e32 v7, 24, v31
	v_bfrev_b32_e32 v163, 1
	s_mov_b32 s21, exec_lo
	s_delay_alu instid0(VALU_DEP_2)
	v_cmpx_ne_u32_e32 0x80, v7
	s_cbranch_execz .LBB296_1458
; %bb.1453:                             ;   in Loop: Header=BB296_16 Depth=1
	v_and_b32_e32 v38, 0x7f, v7
	v_mov_b32_e32 v163, 0x7c010000
	s_mov_b32 s22, exec_lo
	s_delay_alu instid0(VALU_DEP_2)
	v_cmpx_ne_u32_e32 0x7f, v38
	s_cbranch_execz .LBB296_1457
; %bb.1454:                             ;   in Loop: Header=BB296_16 Depth=1
	v_and_b32_e32 v6, 7, v7
	v_lshrrev_b32_e32 v23, 3, v38
	s_mov_b32 s23, exec_lo
	v_cmpx_gt_u32_e32 8, v38
; %bb.1455:                             ;   in Loop: Header=BB296_16 Depth=1
	s_delay_alu instid0(VALU_DEP_3) | instskip(NEXT) | instid1(VALU_DEP_1)
	v_clz_i32_u32_e32 v6, v6
	v_min_u32_e32 v6, 32, v6
	s_delay_alu instid0(VALU_DEP_1) | instskip(NEXT) | instid1(VALU_DEP_1)
	v_subrev_nc_u32_e32 v23, 28, v6
	v_lshlrev_b64_e32 v[38:39], v23, v[7:8]
	v_sub_nc_u32_e32 v23, 29, v6
	s_delay_alu instid0(VALU_DEP_2)
	v_and_b32_e32 v6, 7, v38
; %bb.1456:                             ;   in Loop: Header=BB296_16 Depth=1
	s_wait_alu 0xfffe
	s_or_b32 exec_lo, exec_lo, s23
	v_lshlrev_b32_e32 v7, 8, v7
	v_lshl_add_u32 v23, v23, 10, 0x2000
	v_lshlrev_b32_e32 v6, 23, v6
	s_delay_alu instid0(VALU_DEP_2) | instskip(NEXT) | instid1(VALU_DEP_1)
	v_and_or_b32 v7, 0x8000, v7, v23
	v_lshl_or_b32 v163, v7, 16, v6
.LBB296_1457:                           ;   in Loop: Header=BB296_16 Depth=1
	s_wait_alu 0xfffe
	s_or_b32 exec_lo, exec_lo, s22
.LBB296_1458:                           ;   in Loop: Header=BB296_16 Depth=1
	s_wait_alu 0xfffe
	s_or_b32 exec_lo, exec_lo, s21
.LBB296_1459:                           ;   in Loop: Header=BB296_16 Depth=1
	s_wait_alu 0xfffe
	s_or_b32 exec_lo, exec_lo, s20
	v_dual_mov_b32 v7, v32 :: v_dual_and_b32 v6, 0xff, v32
	s_mov_b32 s20, exec_lo
	s_delay_alu instid0(VALU_DEP_1)
	v_cmpx_ne_u16_e32 0, v6
	s_cbranch_execz .LBB296_1467
; %bb.1460:                             ;   in Loop: Header=BB296_16 Depth=1
	v_mov_b32_e32 v25, 0x8000
	s_mov_b32 s21, exec_lo
	v_cmpx_ne_u16_e32 0x80, v6
	s_cbranch_execz .LBB296_1466
; %bb.1461:                             ;   in Loop: Header=BB296_16 Depth=1
	v_and_b32_e32 v38, 0x7f, v32
	v_mov_b32_e32 v25, 0x7c01
	s_mov_b32 s22, exec_lo
	s_delay_alu instid0(VALU_DEP_2)
	v_cmpx_ne_u32_e32 0x7f, v38
	s_cbranch_execz .LBB296_1465
; %bb.1462:                             ;   in Loop: Header=BB296_16 Depth=1
	v_and_b32_e32 v6, 7, v32
	v_lshrrev_b32_e32 v23, 3, v38
	s_mov_b32 s23, exec_lo
	v_cmpx_gt_u32_e32 8, v38
; %bb.1463:                             ;   in Loop: Header=BB296_16 Depth=1
	s_delay_alu instid0(VALU_DEP_3) | instskip(NEXT) | instid1(VALU_DEP_1)
	v_clz_i32_u32_e32 v6, v6
	v_min_u32_e32 v6, 32, v6
	s_delay_alu instid0(VALU_DEP_1) | instskip(NEXT) | instid1(VALU_DEP_1)
	v_subrev_nc_u32_e32 v23, 28, v6
	v_lshlrev_b64_e32 v[38:39], v23, v[7:8]
	v_sub_nc_u32_e32 v23, 29, v6
	s_delay_alu instid0(VALU_DEP_2)
	v_and_b32_e32 v6, 7, v38
; %bb.1464:                             ;   in Loop: Header=BB296_16 Depth=1
	s_wait_alu 0xfffe
	s_or_b32 exec_lo, exec_lo, s23
	v_lshlrev_b32_e32 v25, 8, v32
	v_lshl_add_u32 v23, v23, 10, 0x2000
	v_lshlrev_b32_e32 v6, 7, v6
	s_delay_alu instid0(VALU_DEP_3) | instskip(NEXT) | instid1(VALU_DEP_3)
	v_and_b32_e32 v25, 0x8000, v25
	v_and_b32_e32 v23, 0xfc00, v23
	s_delay_alu instid0(VALU_DEP_1)
	v_or3_b32 v25, v25, v23, v6
.LBB296_1465:                           ;   in Loop: Header=BB296_16 Depth=1
	s_wait_alu 0xfffe
	s_or_b32 exec_lo, exec_lo, s22
.LBB296_1466:                           ;   in Loop: Header=BB296_16 Depth=1
	s_wait_alu 0xfffe
	s_or_b32 exec_lo, exec_lo, s21
.LBB296_1467:                           ;   in Loop: Header=BB296_16 Depth=1
	s_wait_alu 0xfffe
	s_or_b32 exec_lo, exec_lo, s20
	v_lshrrev_b16 v7, 8, v7
	v_dual_mov_b32 v181, 0 :: v_dual_mov_b32 v40, 0
	s_mov_b32 s20, exec_lo
	s_delay_alu instid0(VALU_DEP_2)
	v_cmpx_ne_u16_e32 0, v7
	s_cbranch_execz .LBB296_1475
; %bb.1468:                             ;   in Loop: Header=BB296_16 Depth=1
	v_bfrev_b32_e32 v40, 1
	s_mov_b32 s21, exec_lo
	v_cmpx_ne_u16_e32 0x80, v7
	s_cbranch_execz .LBB296_1474
; %bb.1469:                             ;   in Loop: Header=BB296_16 Depth=1
	v_and_b32_e32 v6, 0xffff, v7
	v_mov_b32_e32 v40, 0x7c010000
	s_mov_b32 s22, exec_lo
	s_delay_alu instid0(VALU_DEP_2) | instskip(NEXT) | instid1(VALU_DEP_1)
	v_and_b32_e32 v39, 0x7f, v6
	v_cmpx_ne_u32_e32 0x7f, v39
	s_cbranch_execz .LBB296_1473
; %bb.1470:                             ;   in Loop: Header=BB296_16 Depth=1
	v_and_b32_e32 v23, 7, v6
	v_lshrrev_b32_e32 v38, 3, v39
	s_mov_b32 s23, exec_lo
	v_cmpx_gt_u32_e32 8, v39
; %bb.1471:                             ;   in Loop: Header=BB296_16 Depth=1
	s_delay_alu instid0(VALU_DEP_3) | instskip(NEXT) | instid1(VALU_DEP_1)
	v_clz_i32_u32_e32 v23, v23
	v_min_u32_e32 v23, 32, v23
	s_delay_alu instid0(VALU_DEP_1) | instskip(NEXT) | instid1(VALU_DEP_1)
	v_subrev_nc_u32_e32 v38, 28, v23
	v_lshlrev_b64_e32 v[49:50], v38, v[7:8]
	v_sub_nc_u32_e32 v38, 29, v23
	s_delay_alu instid0(VALU_DEP_2)
	v_and_b32_e32 v23, 7, v49
; %bb.1472:                             ;   in Loop: Header=BB296_16 Depth=1
	s_wait_alu 0xfffe
	s_or_b32 exec_lo, exec_lo, s23
	v_lshlrev_b32_e32 v6, 8, v6
	v_lshl_add_u32 v7, v38, 10, 0x2000
	s_delay_alu instid0(VALU_DEP_1) | instskip(SKIP_1) | instid1(VALU_DEP_1)
	v_and_or_b32 v6, 0x8000, v6, v7
	v_lshlrev_b32_e32 v7, 23, v23
	v_lshl_or_b32 v40, v6, 16, v7
.LBB296_1473:                           ;   in Loop: Header=BB296_16 Depth=1
	s_wait_alu 0xfffe
	s_or_b32 exec_lo, exec_lo, s22
.LBB296_1474:                           ;   in Loop: Header=BB296_16 Depth=1
	s_wait_alu 0xfffe
	s_or_b32 exec_lo, exec_lo, s21
.LBB296_1475:                           ;   in Loop: Header=BB296_16 Depth=1
	s_wait_alu 0xfffe
	s_or_b32 exec_lo, exec_lo, s20
	v_lshrrev_b32_e32 v7, 16, v32
	s_mov_b32 s20, exec_lo
	s_delay_alu instid0(VALU_DEP_1) | instskip(NEXT) | instid1(VALU_DEP_1)
	v_and_b32_e32 v6, 0xff, v7
	v_cmpx_ne_u16_e32 0, v6
	s_cbranch_execz .LBB296_1483
; %bb.1476:                             ;   in Loop: Header=BB296_16 Depth=1
	v_mov_b32_e32 v181, 0x8000
	s_mov_b32 s21, exec_lo
	v_cmpx_ne_u16_e32 0x80, v6
	s_cbranch_execz .LBB296_1482
; %bb.1477:                             ;   in Loop: Header=BB296_16 Depth=1
	v_bfe_u32 v38, v32, 16, 7
	v_mov_b32_e32 v181, 0x7c01
	s_mov_b32 s22, exec_lo
	s_delay_alu instid0(VALU_DEP_2)
	v_cmpx_ne_u32_e32 0x7f, v38
	s_cbranch_execz .LBB296_1481
; %bb.1478:                             ;   in Loop: Header=BB296_16 Depth=1
	v_and_b32_e32 v6, 7, v7
	v_lshrrev_b32_e32 v23, 3, v38
	s_mov_b32 s23, exec_lo
	v_cmpx_gt_u32_e32 8, v38
; %bb.1479:                             ;   in Loop: Header=BB296_16 Depth=1
	s_delay_alu instid0(VALU_DEP_3) | instskip(NEXT) | instid1(VALU_DEP_1)
	v_clz_i32_u32_e32 v6, v6
	v_min_u32_e32 v6, 32, v6
	s_delay_alu instid0(VALU_DEP_1) | instskip(NEXT) | instid1(VALU_DEP_1)
	v_subrev_nc_u32_e32 v23, 28, v6
	v_lshlrev_b64_e32 v[38:39], v23, v[7:8]
	v_sub_nc_u32_e32 v23, 29, v6
	s_delay_alu instid0(VALU_DEP_2)
	v_and_b32_e32 v6, 7, v38
; %bb.1480:                             ;   in Loop: Header=BB296_16 Depth=1
	s_wait_alu 0xfffe
	s_or_b32 exec_lo, exec_lo, s23
	v_lshlrev_b32_e32 v7, 8, v7
	v_lshl_add_u32 v23, v23, 10, 0x2000
	v_lshlrev_b32_e32 v6, 7, v6
	s_delay_alu instid0(VALU_DEP_3) | instskip(NEXT) | instid1(VALU_DEP_3)
	v_and_b32_e32 v7, 0x8000, v7
	v_and_b32_e32 v23, 0xfc00, v23
	s_delay_alu instid0(VALU_DEP_1)
	v_or3_b32 v181, v7, v23, v6
.LBB296_1481:                           ;   in Loop: Header=BB296_16 Depth=1
	s_wait_alu 0xfffe
	s_or_b32 exec_lo, exec_lo, s22
.LBB296_1482:                           ;   in Loop: Header=BB296_16 Depth=1
	s_wait_alu 0xfffe
	s_or_b32 exec_lo, exec_lo, s21
.LBB296_1483:                           ;   in Loop: Header=BB296_16 Depth=1
	s_wait_alu 0xfffe
	s_or_b32 exec_lo, exec_lo, s20
	v_dual_mov_b32 v130, 0 :: v_dual_mov_b32 v45, 0
	s_mov_b32 s20, exec_lo
	v_cmpx_lt_u64_e64 s[8:9], v[31:32]
	s_cbranch_execz .LBB296_1491
; %bb.1484:                             ;   in Loop: Header=BB296_16 Depth=1
	v_lshrrev_b32_e32 v7, 24, v32
	v_bfrev_b32_e32 v45, 1
	s_mov_b32 s21, exec_lo
	s_delay_alu instid0(VALU_DEP_2)
	v_cmpx_ne_u32_e32 0x80, v7
	s_cbranch_execz .LBB296_1490
; %bb.1485:                             ;   in Loop: Header=BB296_16 Depth=1
	v_and_b32_e32 v31, 0x7f, v7
	v_mov_b32_e32 v45, 0x7c010000
	s_mov_b32 s22, exec_lo
	s_delay_alu instid0(VALU_DEP_2)
	v_cmpx_ne_u32_e32 0x7f, v31
	s_cbranch_execz .LBB296_1489
; %bb.1486:                             ;   in Loop: Header=BB296_16 Depth=1
	v_and_b32_e32 v6, 7, v7
	v_lshrrev_b32_e32 v23, 3, v31
	s_mov_b32 s23, exec_lo
	v_cmpx_gt_u32_e32 8, v31
; %bb.1487:                             ;   in Loop: Header=BB296_16 Depth=1
	s_delay_alu instid0(VALU_DEP_3) | instskip(NEXT) | instid1(VALU_DEP_1)
	v_clz_i32_u32_e32 v6, v6
	v_min_u32_e32 v6, 32, v6
	s_delay_alu instid0(VALU_DEP_1) | instskip(NEXT) | instid1(VALU_DEP_1)
	v_subrev_nc_u32_e32 v23, 28, v6
	v_lshlrev_b64_e32 v[31:32], v23, v[7:8]
	v_sub_nc_u32_e32 v23, 29, v6
	s_delay_alu instid0(VALU_DEP_2)
	v_and_b32_e32 v6, 7, v31
; %bb.1488:                             ;   in Loop: Header=BB296_16 Depth=1
	s_wait_alu 0xfffe
	s_or_b32 exec_lo, exec_lo, s23
	v_lshlrev_b32_e32 v7, 8, v7
	v_lshl_add_u32 v23, v23, 10, 0x2000
	v_lshlrev_b32_e32 v6, 23, v6
	s_delay_alu instid0(VALU_DEP_2) | instskip(NEXT) | instid1(VALU_DEP_1)
	v_and_or_b32 v7, 0x8000, v7, v23
	v_lshl_or_b32 v45, v7, 16, v6
.LBB296_1489:                           ;   in Loop: Header=BB296_16 Depth=1
	s_wait_alu 0xfffe
	s_or_b32 exec_lo, exec_lo, s22
.LBB296_1490:                           ;   in Loop: Header=BB296_16 Depth=1
	s_wait_alu 0xfffe
	s_or_b32 exec_lo, exec_lo, s21
.LBB296_1491:                           ;   in Loop: Header=BB296_16 Depth=1
	s_wait_alu 0xfffe
	s_or_b32 exec_lo, exec_lo, s20
	flat_load_b64 v[31:32], v[28:29] offset:5640
	s_mov_b32 s20, exec_lo
	s_wait_loadcnt_dscnt 0x0
	v_and_b32_e32 v6, 0xff, v31
	s_delay_alu instid0(VALU_DEP_1)
	v_cmpx_ne_u16_e32 0, v6
	s_cbranch_execz .LBB296_1499
; %bb.1492:                             ;   in Loop: Header=BB296_16 Depth=1
	v_mov_b32_e32 v130, 0x8000
	s_mov_b32 s21, exec_lo
	v_cmpx_ne_u16_e32 0x80, v6
	s_cbranch_execz .LBB296_1498
; %bb.1493:                             ;   in Loop: Header=BB296_16 Depth=1
	v_and_b32_e32 v23, 0x7f, v31
	v_mov_b32_e32 v130, 0x7c01
	s_mov_b32 s22, exec_lo
	s_delay_alu instid0(VALU_DEP_2)
	v_cmpx_ne_u32_e32 0x7f, v23
	s_cbranch_execz .LBB296_1497
; %bb.1494:                             ;   in Loop: Header=BB296_16 Depth=1
	v_and_b32_e32 v6, 7, v31
	v_lshrrev_b32_e32 v7, 3, v23
	s_mov_b32 s23, exec_lo
	v_cmpx_gt_u32_e32 8, v23
; %bb.1495:                             ;   in Loop: Header=BB296_16 Depth=1
	s_delay_alu instid0(VALU_DEP_3) | instskip(NEXT) | instid1(VALU_DEP_1)
	v_clz_i32_u32_e32 v6, v6
	v_min_u32_e32 v23, 32, v6
	s_delay_alu instid0(VALU_DEP_1) | instskip(NEXT) | instid1(VALU_DEP_1)
	v_subrev_nc_u32_e32 v6, 28, v23
	v_lshlrev_b64_e32 v[6:7], v6, v[31:32]
	v_sub_nc_u32_e32 v7, 29, v23
	s_delay_alu instid0(VALU_DEP_2)
	v_and_b32_e32 v6, 7, v6
; %bb.1496:                             ;   in Loop: Header=BB296_16 Depth=1
	s_wait_alu 0xfffe
	s_or_b32 exec_lo, exec_lo, s23
	v_lshlrev_b32_e32 v23, 8, v31
	v_lshl_add_u32 v7, v7, 10, 0x2000
	v_lshlrev_b32_e32 v6, 7, v6
	s_delay_alu instid0(VALU_DEP_3) | instskip(NEXT) | instid1(VALU_DEP_3)
	v_and_b32_e32 v23, 0x8000, v23
	v_and_b32_e32 v7, 0xfc00, v7
	s_delay_alu instid0(VALU_DEP_1)
	v_or3_b32 v130, v23, v7, v6
.LBB296_1497:                           ;   in Loop: Header=BB296_16 Depth=1
	s_wait_alu 0xfffe
	s_or_b32 exec_lo, exec_lo, s22
.LBB296_1498:                           ;   in Loop: Header=BB296_16 Depth=1
	s_wait_alu 0xfffe
	s_or_b32 exec_lo, exec_lo, s21
.LBB296_1499:                           ;   in Loop: Header=BB296_16 Depth=1
	s_wait_alu 0xfffe
	s_or_b32 exec_lo, exec_lo, s20
	v_lshrrev_b16 v7, 8, v31
	v_dual_mov_b32 v144, 0 :: v_dual_mov_b32 v131, 0
	s_mov_b32 s20, exec_lo
	s_delay_alu instid0(VALU_DEP_2)
	v_cmpx_ne_u16_e32 0, v7
	s_cbranch_execz .LBB296_1507
; %bb.1500:                             ;   in Loop: Header=BB296_16 Depth=1
	v_bfrev_b32_e32 v131, 1
	s_mov_b32 s21, exec_lo
	v_cmpx_ne_u16_e32 0x80, v7
	s_cbranch_execz .LBB296_1506
; %bb.1501:                             ;   in Loop: Header=BB296_16 Depth=1
	v_and_b32_e32 v6, 0xffff, v7
	v_mov_b32_e32 v131, 0x7c010000
	s_mov_b32 s22, exec_lo
	s_delay_alu instid0(VALU_DEP_2) | instskip(NEXT) | instid1(VALU_DEP_1)
	v_and_b32_e32 v39, 0x7f, v6
	v_cmpx_ne_u32_e32 0x7f, v39
	s_cbranch_execz .LBB296_1505
; %bb.1502:                             ;   in Loop: Header=BB296_16 Depth=1
	v_and_b32_e32 v23, 7, v6
	v_lshrrev_b32_e32 v38, 3, v39
	s_mov_b32 s23, exec_lo
	v_cmpx_gt_u32_e32 8, v39
; %bb.1503:                             ;   in Loop: Header=BB296_16 Depth=1
	s_delay_alu instid0(VALU_DEP_3) | instskip(NEXT) | instid1(VALU_DEP_1)
	v_clz_i32_u32_e32 v23, v23
	v_min_u32_e32 v23, 32, v23
	s_delay_alu instid0(VALU_DEP_1) | instskip(NEXT) | instid1(VALU_DEP_1)
	v_subrev_nc_u32_e32 v38, 28, v23
	v_lshlrev_b64_e32 v[49:50], v38, v[7:8]
	v_sub_nc_u32_e32 v38, 29, v23
	s_delay_alu instid0(VALU_DEP_2)
	v_and_b32_e32 v23, 7, v49
; %bb.1504:                             ;   in Loop: Header=BB296_16 Depth=1
	s_wait_alu 0xfffe
	s_or_b32 exec_lo, exec_lo, s23
	v_lshlrev_b32_e32 v6, 8, v6
	v_lshl_add_u32 v7, v38, 10, 0x2000
	s_delay_alu instid0(VALU_DEP_1) | instskip(SKIP_1) | instid1(VALU_DEP_1)
	v_and_or_b32 v6, 0x8000, v6, v7
	v_lshlrev_b32_e32 v7, 23, v23
	v_lshl_or_b32 v131, v6, 16, v7
.LBB296_1505:                           ;   in Loop: Header=BB296_16 Depth=1
	s_wait_alu 0xfffe
	s_or_b32 exec_lo, exec_lo, s22
.LBB296_1506:                           ;   in Loop: Header=BB296_16 Depth=1
	s_wait_alu 0xfffe
	s_or_b32 exec_lo, exec_lo, s21
.LBB296_1507:                           ;   in Loop: Header=BB296_16 Depth=1
	s_wait_alu 0xfffe
	s_or_b32 exec_lo, exec_lo, s20
	v_lshrrev_b32_e32 v7, 16, v31
	s_mov_b32 s20, exec_lo
	s_delay_alu instid0(VALU_DEP_1) | instskip(NEXT) | instid1(VALU_DEP_1)
	v_and_b32_e32 v6, 0xff, v7
	v_cmpx_ne_u16_e32 0, v6
	s_cbranch_execz .LBB296_1515
; %bb.1508:                             ;   in Loop: Header=BB296_16 Depth=1
	v_mov_b32_e32 v144, 0x8000
	s_mov_b32 s21, exec_lo
	v_cmpx_ne_u16_e32 0x80, v6
	s_cbranch_execz .LBB296_1514
; %bb.1509:                             ;   in Loop: Header=BB296_16 Depth=1
	v_bfe_u32 v38, v31, 16, 7
	v_mov_b32_e32 v144, 0x7c01
	s_mov_b32 s22, exec_lo
	s_delay_alu instid0(VALU_DEP_2)
	v_cmpx_ne_u32_e32 0x7f, v38
	s_cbranch_execz .LBB296_1513
; %bb.1510:                             ;   in Loop: Header=BB296_16 Depth=1
	v_and_b32_e32 v6, 7, v7
	v_lshrrev_b32_e32 v23, 3, v38
	s_mov_b32 s23, exec_lo
	v_cmpx_gt_u32_e32 8, v38
; %bb.1511:                             ;   in Loop: Header=BB296_16 Depth=1
	s_delay_alu instid0(VALU_DEP_3) | instskip(NEXT) | instid1(VALU_DEP_1)
	v_clz_i32_u32_e32 v6, v6
	v_min_u32_e32 v6, 32, v6
	s_delay_alu instid0(VALU_DEP_1) | instskip(NEXT) | instid1(VALU_DEP_1)
	v_subrev_nc_u32_e32 v23, 28, v6
	v_lshlrev_b64_e32 v[38:39], v23, v[7:8]
	v_sub_nc_u32_e32 v23, 29, v6
	s_delay_alu instid0(VALU_DEP_2)
	v_and_b32_e32 v6, 7, v38
; %bb.1512:                             ;   in Loop: Header=BB296_16 Depth=1
	s_wait_alu 0xfffe
	s_or_b32 exec_lo, exec_lo, s23
	v_lshlrev_b32_e32 v7, 8, v7
	v_lshl_add_u32 v23, v23, 10, 0x2000
	v_lshlrev_b32_e32 v6, 7, v6
	s_delay_alu instid0(VALU_DEP_3) | instskip(NEXT) | instid1(VALU_DEP_3)
	v_and_b32_e32 v7, 0x8000, v7
	v_and_b32_e32 v23, 0xfc00, v23
	s_delay_alu instid0(VALU_DEP_1)
	v_or3_b32 v144, v7, v23, v6
.LBB296_1513:                           ;   in Loop: Header=BB296_16 Depth=1
	s_wait_alu 0xfffe
	s_or_b32 exec_lo, exec_lo, s22
.LBB296_1514:                           ;   in Loop: Header=BB296_16 Depth=1
	s_wait_alu 0xfffe
	s_or_b32 exec_lo, exec_lo, s21
.LBB296_1515:                           ;   in Loop: Header=BB296_16 Depth=1
	s_wait_alu 0xfffe
	s_or_b32 exec_lo, exec_lo, s20
	v_dual_mov_b32 v146, 0 :: v_dual_mov_b32 v147, 0
	s_mov_b32 s20, exec_lo
	v_cmpx_lt_u32_e32 0xffffff, v31
	s_cbranch_execz .LBB296_1523
; %bb.1516:                             ;   in Loop: Header=BB296_16 Depth=1
	v_lshrrev_b32_e32 v7, 24, v31
	v_bfrev_b32_e32 v147, 1
	s_mov_b32 s21, exec_lo
	s_delay_alu instid0(VALU_DEP_2)
	v_cmpx_ne_u32_e32 0x80, v7
	s_cbranch_execz .LBB296_1522
; %bb.1517:                             ;   in Loop: Header=BB296_16 Depth=1
	v_and_b32_e32 v38, 0x7f, v7
	v_mov_b32_e32 v147, 0x7c010000
	s_mov_b32 s22, exec_lo
	s_delay_alu instid0(VALU_DEP_2)
	v_cmpx_ne_u32_e32 0x7f, v38
	s_cbranch_execz .LBB296_1521
; %bb.1518:                             ;   in Loop: Header=BB296_16 Depth=1
	v_and_b32_e32 v6, 7, v7
	v_lshrrev_b32_e32 v23, 3, v38
	s_mov_b32 s23, exec_lo
	v_cmpx_gt_u32_e32 8, v38
; %bb.1519:                             ;   in Loop: Header=BB296_16 Depth=1
	s_delay_alu instid0(VALU_DEP_3) | instskip(NEXT) | instid1(VALU_DEP_1)
	v_clz_i32_u32_e32 v6, v6
	v_min_u32_e32 v6, 32, v6
	s_delay_alu instid0(VALU_DEP_1) | instskip(NEXT) | instid1(VALU_DEP_1)
	v_subrev_nc_u32_e32 v23, 28, v6
	v_lshlrev_b64_e32 v[38:39], v23, v[7:8]
	v_sub_nc_u32_e32 v23, 29, v6
	s_delay_alu instid0(VALU_DEP_2)
	v_and_b32_e32 v6, 7, v38
; %bb.1520:                             ;   in Loop: Header=BB296_16 Depth=1
	s_wait_alu 0xfffe
	s_or_b32 exec_lo, exec_lo, s23
	v_lshlrev_b32_e32 v7, 8, v7
	v_lshl_add_u32 v23, v23, 10, 0x2000
	v_lshlrev_b32_e32 v6, 23, v6
	s_delay_alu instid0(VALU_DEP_2) | instskip(NEXT) | instid1(VALU_DEP_1)
	v_and_or_b32 v7, 0x8000, v7, v23
	v_lshl_or_b32 v147, v7, 16, v6
.LBB296_1521:                           ;   in Loop: Header=BB296_16 Depth=1
	s_wait_alu 0xfffe
	s_or_b32 exec_lo, exec_lo, s22
.LBB296_1522:                           ;   in Loop: Header=BB296_16 Depth=1
	s_wait_alu 0xfffe
	s_or_b32 exec_lo, exec_lo, s21
.LBB296_1523:                           ;   in Loop: Header=BB296_16 Depth=1
	s_wait_alu 0xfffe
	s_or_b32 exec_lo, exec_lo, s20
	v_dual_mov_b32 v7, v32 :: v_dual_and_b32 v6, 0xff, v32
	s_mov_b32 s20, exec_lo
	s_delay_alu instid0(VALU_DEP_1)
	v_cmpx_ne_u16_e32 0, v6
	s_cbranch_execz .LBB296_1531
; %bb.1524:                             ;   in Loop: Header=BB296_16 Depth=1
	v_mov_b32_e32 v146, 0x8000
	s_mov_b32 s21, exec_lo
	v_cmpx_ne_u16_e32 0x80, v6
	s_cbranch_execz .LBB296_1530
; %bb.1525:                             ;   in Loop: Header=BB296_16 Depth=1
	v_and_b32_e32 v38, 0x7f, v32
	v_mov_b32_e32 v146, 0x7c01
	s_mov_b32 s22, exec_lo
	s_delay_alu instid0(VALU_DEP_2)
	v_cmpx_ne_u32_e32 0x7f, v38
	s_cbranch_execz .LBB296_1529
; %bb.1526:                             ;   in Loop: Header=BB296_16 Depth=1
	v_and_b32_e32 v6, 7, v32
	v_lshrrev_b32_e32 v23, 3, v38
	s_mov_b32 s23, exec_lo
	v_cmpx_gt_u32_e32 8, v38
; %bb.1527:                             ;   in Loop: Header=BB296_16 Depth=1
	s_delay_alu instid0(VALU_DEP_3) | instskip(NEXT) | instid1(VALU_DEP_1)
	v_clz_i32_u32_e32 v6, v6
	v_min_u32_e32 v6, 32, v6
	s_delay_alu instid0(VALU_DEP_1) | instskip(NEXT) | instid1(VALU_DEP_1)
	v_subrev_nc_u32_e32 v23, 28, v6
	v_lshlrev_b64_e32 v[38:39], v23, v[7:8]
	v_sub_nc_u32_e32 v23, 29, v6
	s_delay_alu instid0(VALU_DEP_2)
	v_and_b32_e32 v6, 7, v38
; %bb.1528:                             ;   in Loop: Header=BB296_16 Depth=1
	s_wait_alu 0xfffe
	s_or_b32 exec_lo, exec_lo, s23
	v_lshlrev_b32_e32 v38, 8, v32
	v_lshl_add_u32 v23, v23, 10, 0x2000
	v_lshlrev_b32_e32 v6, 7, v6
	s_delay_alu instid0(VALU_DEP_3) | instskip(NEXT) | instid1(VALU_DEP_3)
	v_and_b32_e32 v38, 0x8000, v38
	v_and_b32_e32 v23, 0xfc00, v23
	s_delay_alu instid0(VALU_DEP_1)
	v_or3_b32 v146, v38, v23, v6
.LBB296_1529:                           ;   in Loop: Header=BB296_16 Depth=1
	s_wait_alu 0xfffe
	s_or_b32 exec_lo, exec_lo, s22
.LBB296_1530:                           ;   in Loop: Header=BB296_16 Depth=1
	s_wait_alu 0xfffe
	s_or_b32 exec_lo, exec_lo, s21
.LBB296_1531:                           ;   in Loop: Header=BB296_16 Depth=1
	s_wait_alu 0xfffe
	s_or_b32 exec_lo, exec_lo, s20
	v_lshrrev_b16 v7, 8, v7
	v_mov_b32_e32 v59, 0
	v_mov_b32_e32 v61, 0
	s_mov_b32 s20, exec_lo
	s_delay_alu instid0(VALU_DEP_3)
	v_cmpx_ne_u16_e32 0, v7
	s_cbranch_execz .LBB296_1539
; %bb.1532:                             ;   in Loop: Header=BB296_16 Depth=1
	v_bfrev_b32_e32 v61, 1
	s_mov_b32 s21, exec_lo
	v_cmpx_ne_u16_e32 0x80, v7
	s_cbranch_execz .LBB296_1538
; %bb.1533:                             ;   in Loop: Header=BB296_16 Depth=1
	v_and_b32_e32 v6, 0xffff, v7
	v_mov_b32_e32 v61, 0x7c010000
	s_mov_b32 s22, exec_lo
	s_delay_alu instid0(VALU_DEP_2) | instskip(NEXT) | instid1(VALU_DEP_1)
	v_and_b32_e32 v39, 0x7f, v6
	v_cmpx_ne_u32_e32 0x7f, v39
	s_cbranch_execz .LBB296_1537
; %bb.1534:                             ;   in Loop: Header=BB296_16 Depth=1
	v_and_b32_e32 v23, 7, v6
	v_lshrrev_b32_e32 v38, 3, v39
	s_mov_b32 s23, exec_lo
	v_cmpx_gt_u32_e32 8, v39
; %bb.1535:                             ;   in Loop: Header=BB296_16 Depth=1
	s_delay_alu instid0(VALU_DEP_3) | instskip(NEXT) | instid1(VALU_DEP_1)
	v_clz_i32_u32_e32 v23, v23
	v_min_u32_e32 v23, 32, v23
	s_delay_alu instid0(VALU_DEP_1) | instskip(NEXT) | instid1(VALU_DEP_1)
	v_subrev_nc_u32_e32 v38, 28, v23
	v_lshlrev_b64_e32 v[49:50], v38, v[7:8]
	v_sub_nc_u32_e32 v38, 29, v23
	s_delay_alu instid0(VALU_DEP_2)
	v_and_b32_e32 v23, 7, v49
; %bb.1536:                             ;   in Loop: Header=BB296_16 Depth=1
	s_wait_alu 0xfffe
	s_or_b32 exec_lo, exec_lo, s23
	v_lshlrev_b32_e32 v6, 8, v6
	v_lshl_add_u32 v7, v38, 10, 0x2000
	s_delay_alu instid0(VALU_DEP_1) | instskip(SKIP_1) | instid1(VALU_DEP_1)
	v_and_or_b32 v6, 0x8000, v6, v7
	v_lshlrev_b32_e32 v7, 23, v23
	v_lshl_or_b32 v61, v6, 16, v7
.LBB296_1537:                           ;   in Loop: Header=BB296_16 Depth=1
	s_wait_alu 0xfffe
	s_or_b32 exec_lo, exec_lo, s22
.LBB296_1538:                           ;   in Loop: Header=BB296_16 Depth=1
	s_wait_alu 0xfffe
	s_or_b32 exec_lo, exec_lo, s21
.LBB296_1539:                           ;   in Loop: Header=BB296_16 Depth=1
	s_wait_alu 0xfffe
	s_or_b32 exec_lo, exec_lo, s20
	v_lshrrev_b32_e32 v7, 16, v32
	s_mov_b32 s20, exec_lo
	s_delay_alu instid0(VALU_DEP_1) | instskip(NEXT) | instid1(VALU_DEP_1)
	v_and_b32_e32 v6, 0xff, v7
	v_cmpx_ne_u16_e32 0, v6
	s_cbranch_execz .LBB296_1547
; %bb.1540:                             ;   in Loop: Header=BB296_16 Depth=1
	v_mov_b32_e32 v59, 0x8000
	s_mov_b32 s21, exec_lo
	v_cmpx_ne_u16_e32 0x80, v6
	s_cbranch_execz .LBB296_1546
; %bb.1541:                             ;   in Loop: Header=BB296_16 Depth=1
	v_bfe_u32 v38, v32, 16, 7
	v_mov_b32_e32 v59, 0x7c01
	s_mov_b32 s22, exec_lo
	s_delay_alu instid0(VALU_DEP_2)
	v_cmpx_ne_u32_e32 0x7f, v38
	s_cbranch_execz .LBB296_1545
; %bb.1542:                             ;   in Loop: Header=BB296_16 Depth=1
	v_and_b32_e32 v6, 7, v7
	v_lshrrev_b32_e32 v23, 3, v38
	s_mov_b32 s23, exec_lo
	v_cmpx_gt_u32_e32 8, v38
; %bb.1543:                             ;   in Loop: Header=BB296_16 Depth=1
	s_delay_alu instid0(VALU_DEP_3) | instskip(NEXT) | instid1(VALU_DEP_1)
	v_clz_i32_u32_e32 v6, v6
	v_min_u32_e32 v6, 32, v6
	s_delay_alu instid0(VALU_DEP_1) | instskip(NEXT) | instid1(VALU_DEP_1)
	v_subrev_nc_u32_e32 v23, 28, v6
	v_lshlrev_b64_e32 v[38:39], v23, v[7:8]
	v_sub_nc_u32_e32 v23, 29, v6
	s_delay_alu instid0(VALU_DEP_2)
	v_and_b32_e32 v6, 7, v38
; %bb.1544:                             ;   in Loop: Header=BB296_16 Depth=1
	s_wait_alu 0xfffe
	s_or_b32 exec_lo, exec_lo, s23
	v_lshlrev_b32_e32 v7, 8, v7
	v_lshl_add_u32 v23, v23, 10, 0x2000
	v_lshlrev_b32_e32 v6, 7, v6
	s_delay_alu instid0(VALU_DEP_3) | instskip(NEXT) | instid1(VALU_DEP_3)
	v_and_b32_e32 v7, 0x8000, v7
	v_and_b32_e32 v23, 0xfc00, v23
	s_delay_alu instid0(VALU_DEP_1)
	v_or3_b32 v59, v7, v23, v6
.LBB296_1545:                           ;   in Loop: Header=BB296_16 Depth=1
	s_wait_alu 0xfffe
	s_or_b32 exec_lo, exec_lo, s22
.LBB296_1546:                           ;   in Loop: Header=BB296_16 Depth=1
	s_wait_alu 0xfffe
	s_or_b32 exec_lo, exec_lo, s21
.LBB296_1547:                           ;   in Loop: Header=BB296_16 Depth=1
	s_wait_alu 0xfffe
	s_or_b32 exec_lo, exec_lo, s20
	v_dual_mov_b32 v99, 0 :: v_dual_mov_b32 v72, 0
	s_mov_b32 s20, exec_lo
	v_cmpx_lt_u64_e64 s[8:9], v[31:32]
	s_cbranch_execz .LBB296_1555
; %bb.1548:                             ;   in Loop: Header=BB296_16 Depth=1
	v_lshrrev_b32_e32 v7, 24, v32
	v_bfrev_b32_e32 v72, 1
	s_mov_b32 s21, exec_lo
	s_delay_alu instid0(VALU_DEP_2)
	v_cmpx_ne_u32_e32 0x80, v7
	s_cbranch_execz .LBB296_1554
; %bb.1549:                             ;   in Loop: Header=BB296_16 Depth=1
	v_and_b32_e32 v31, 0x7f, v7
	v_mov_b32_e32 v72, 0x7c010000
	s_mov_b32 s22, exec_lo
	s_delay_alu instid0(VALU_DEP_2)
	v_cmpx_ne_u32_e32 0x7f, v31
	s_cbranch_execz .LBB296_1553
; %bb.1550:                             ;   in Loop: Header=BB296_16 Depth=1
	v_and_b32_e32 v6, 7, v7
	v_lshrrev_b32_e32 v23, 3, v31
	s_mov_b32 s23, exec_lo
	v_cmpx_gt_u32_e32 8, v31
; %bb.1551:                             ;   in Loop: Header=BB296_16 Depth=1
	s_delay_alu instid0(VALU_DEP_3) | instskip(NEXT) | instid1(VALU_DEP_1)
	v_clz_i32_u32_e32 v6, v6
	v_min_u32_e32 v6, 32, v6
	s_delay_alu instid0(VALU_DEP_1) | instskip(NEXT) | instid1(VALU_DEP_1)
	v_subrev_nc_u32_e32 v23, 28, v6
	v_lshlrev_b64_e32 v[31:32], v23, v[7:8]
	v_sub_nc_u32_e32 v23, 29, v6
	s_delay_alu instid0(VALU_DEP_2)
	v_and_b32_e32 v6, 7, v31
; %bb.1552:                             ;   in Loop: Header=BB296_16 Depth=1
	s_wait_alu 0xfffe
	s_or_b32 exec_lo, exec_lo, s23
	v_lshlrev_b32_e32 v7, 8, v7
	v_lshl_add_u32 v23, v23, 10, 0x2000
	v_lshlrev_b32_e32 v6, 23, v6
	s_delay_alu instid0(VALU_DEP_2) | instskip(NEXT) | instid1(VALU_DEP_1)
	v_and_or_b32 v7, 0x8000, v7, v23
	v_lshl_or_b32 v72, v7, 16, v6
.LBB296_1553:                           ;   in Loop: Header=BB296_16 Depth=1
	s_wait_alu 0xfffe
	s_or_b32 exec_lo, exec_lo, s22
.LBB296_1554:                           ;   in Loop: Header=BB296_16 Depth=1
	s_wait_alu 0xfffe
	s_or_b32 exec_lo, exec_lo, s21
.LBB296_1555:                           ;   in Loop: Header=BB296_16 Depth=1
	s_wait_alu 0xfffe
	s_or_b32 exec_lo, exec_lo, s20
	flat_load_b64 v[31:32], v[28:29] offset:6144
	s_mov_b32 s20, exec_lo
	s_wait_loadcnt_dscnt 0x0
	v_and_b32_e32 v6, 0xff, v31
	s_delay_alu instid0(VALU_DEP_1)
	v_cmpx_ne_u16_e32 0, v6
	s_cbranch_execz .LBB296_1563
; %bb.1556:                             ;   in Loop: Header=BB296_16 Depth=1
	v_mov_b32_e32 v99, 0x8000
	s_mov_b32 s21, exec_lo
	v_cmpx_ne_u16_e32 0x80, v6
	s_cbranch_execz .LBB296_1562
; %bb.1557:                             ;   in Loop: Header=BB296_16 Depth=1
	v_and_b32_e32 v23, 0x7f, v31
	v_mov_b32_e32 v99, 0x7c01
	s_mov_b32 s22, exec_lo
	s_delay_alu instid0(VALU_DEP_2)
	v_cmpx_ne_u32_e32 0x7f, v23
	s_cbranch_execz .LBB296_1561
; %bb.1558:                             ;   in Loop: Header=BB296_16 Depth=1
	v_and_b32_e32 v6, 7, v31
	v_lshrrev_b32_e32 v7, 3, v23
	s_mov_b32 s23, exec_lo
	v_cmpx_gt_u32_e32 8, v23
; %bb.1559:                             ;   in Loop: Header=BB296_16 Depth=1
	s_delay_alu instid0(VALU_DEP_3) | instskip(NEXT) | instid1(VALU_DEP_1)
	v_clz_i32_u32_e32 v6, v6
	v_min_u32_e32 v23, 32, v6
	s_delay_alu instid0(VALU_DEP_1) | instskip(NEXT) | instid1(VALU_DEP_1)
	v_subrev_nc_u32_e32 v6, 28, v23
	v_lshlrev_b64_e32 v[6:7], v6, v[31:32]
	v_sub_nc_u32_e32 v7, 29, v23
	s_delay_alu instid0(VALU_DEP_2)
	v_and_b32_e32 v6, 7, v6
; %bb.1560:                             ;   in Loop: Header=BB296_16 Depth=1
	s_wait_alu 0xfffe
	s_or_b32 exec_lo, exec_lo, s23
	v_lshlrev_b32_e32 v23, 8, v31
	v_lshl_add_u32 v7, v7, 10, 0x2000
	v_lshlrev_b32_e32 v6, 7, v6
	s_delay_alu instid0(VALU_DEP_3) | instskip(NEXT) | instid1(VALU_DEP_3)
	v_and_b32_e32 v23, 0x8000, v23
	v_and_b32_e32 v7, 0xfc00, v7
	s_delay_alu instid0(VALU_DEP_1)
	v_or3_b32 v99, v23, v7, v6
.LBB296_1561:                           ;   in Loop: Header=BB296_16 Depth=1
	s_wait_alu 0xfffe
	s_or_b32 exec_lo, exec_lo, s22
.LBB296_1562:                           ;   in Loop: Header=BB296_16 Depth=1
	s_wait_alu 0xfffe
	s_or_b32 exec_lo, exec_lo, s21
.LBB296_1563:                           ;   in Loop: Header=BB296_16 Depth=1
	s_wait_alu 0xfffe
	s_or_b32 exec_lo, exec_lo, s20
	v_lshrrev_b16 v7, 8, v31
	v_dual_mov_b32 v66, 0 :: v_dual_mov_b32 v101, 0
	s_mov_b32 s20, exec_lo
	s_delay_alu instid0(VALU_DEP_2)
	v_cmpx_ne_u16_e32 0, v7
	s_cbranch_execz .LBB296_1571
; %bb.1564:                             ;   in Loop: Header=BB296_16 Depth=1
	v_bfrev_b32_e32 v101, 1
	s_mov_b32 s21, exec_lo
	v_cmpx_ne_u16_e32 0x80, v7
	s_cbranch_execz .LBB296_1570
; %bb.1565:                             ;   in Loop: Header=BB296_16 Depth=1
	v_and_b32_e32 v6, 0xffff, v7
	v_mov_b32_e32 v101, 0x7c010000
	s_mov_b32 s22, exec_lo
	s_delay_alu instid0(VALU_DEP_2) | instskip(NEXT) | instid1(VALU_DEP_1)
	v_and_b32_e32 v39, 0x7f, v6
	v_cmpx_ne_u32_e32 0x7f, v39
	s_cbranch_execz .LBB296_1569
; %bb.1566:                             ;   in Loop: Header=BB296_16 Depth=1
	v_and_b32_e32 v23, 7, v6
	v_lshrrev_b32_e32 v38, 3, v39
	s_mov_b32 s23, exec_lo
	v_cmpx_gt_u32_e32 8, v39
; %bb.1567:                             ;   in Loop: Header=BB296_16 Depth=1
	s_delay_alu instid0(VALU_DEP_3) | instskip(NEXT) | instid1(VALU_DEP_1)
	v_clz_i32_u32_e32 v23, v23
	v_min_u32_e32 v23, 32, v23
	s_delay_alu instid0(VALU_DEP_1) | instskip(NEXT) | instid1(VALU_DEP_1)
	v_subrev_nc_u32_e32 v38, 28, v23
	v_lshlrev_b64_e32 v[49:50], v38, v[7:8]
	v_sub_nc_u32_e32 v38, 29, v23
	s_delay_alu instid0(VALU_DEP_2)
	v_and_b32_e32 v23, 7, v49
; %bb.1568:                             ;   in Loop: Header=BB296_16 Depth=1
	s_wait_alu 0xfffe
	s_or_b32 exec_lo, exec_lo, s23
	v_lshlrev_b32_e32 v6, 8, v6
	v_lshl_add_u32 v7, v38, 10, 0x2000
	s_delay_alu instid0(VALU_DEP_1) | instskip(SKIP_1) | instid1(VALU_DEP_1)
	v_and_or_b32 v6, 0x8000, v6, v7
	v_lshlrev_b32_e32 v7, 23, v23
	v_lshl_or_b32 v101, v6, 16, v7
.LBB296_1569:                           ;   in Loop: Header=BB296_16 Depth=1
	s_wait_alu 0xfffe
	s_or_b32 exec_lo, exec_lo, s22
.LBB296_1570:                           ;   in Loop: Header=BB296_16 Depth=1
	s_wait_alu 0xfffe
	s_or_b32 exec_lo, exec_lo, s21
.LBB296_1571:                           ;   in Loop: Header=BB296_16 Depth=1
	s_wait_alu 0xfffe
	s_or_b32 exec_lo, exec_lo, s20
	v_lshrrev_b32_e32 v7, 16, v31
	s_mov_b32 s20, exec_lo
	s_delay_alu instid0(VALU_DEP_1) | instskip(NEXT) | instid1(VALU_DEP_1)
	v_and_b32_e32 v6, 0xff, v7
	v_cmpx_ne_u16_e32 0, v6
	s_cbranch_execz .LBB296_1579
; %bb.1572:                             ;   in Loop: Header=BB296_16 Depth=1
	v_mov_b32_e32 v66, 0x8000
	s_mov_b32 s21, exec_lo
	v_cmpx_ne_u16_e32 0x80, v6
	s_cbranch_execz .LBB296_1578
; %bb.1573:                             ;   in Loop: Header=BB296_16 Depth=1
	v_bfe_u32 v38, v31, 16, 7
	v_mov_b32_e32 v66, 0x7c01
	s_mov_b32 s22, exec_lo
	s_delay_alu instid0(VALU_DEP_2)
	v_cmpx_ne_u32_e32 0x7f, v38
	s_cbranch_execz .LBB296_1577
; %bb.1574:                             ;   in Loop: Header=BB296_16 Depth=1
	v_and_b32_e32 v6, 7, v7
	v_lshrrev_b32_e32 v23, 3, v38
	s_mov_b32 s23, exec_lo
	v_cmpx_gt_u32_e32 8, v38
; %bb.1575:                             ;   in Loop: Header=BB296_16 Depth=1
	s_delay_alu instid0(VALU_DEP_3) | instskip(NEXT) | instid1(VALU_DEP_1)
	v_clz_i32_u32_e32 v6, v6
	v_min_u32_e32 v6, 32, v6
	s_delay_alu instid0(VALU_DEP_1) | instskip(NEXT) | instid1(VALU_DEP_1)
	v_subrev_nc_u32_e32 v23, 28, v6
	v_lshlrev_b64_e32 v[38:39], v23, v[7:8]
	v_sub_nc_u32_e32 v23, 29, v6
	s_delay_alu instid0(VALU_DEP_2)
	v_and_b32_e32 v6, 7, v38
; %bb.1576:                             ;   in Loop: Header=BB296_16 Depth=1
	s_wait_alu 0xfffe
	s_or_b32 exec_lo, exec_lo, s23
	v_lshlrev_b32_e32 v7, 8, v7
	v_lshl_add_u32 v23, v23, 10, 0x2000
	v_lshlrev_b32_e32 v6, 7, v6
	s_delay_alu instid0(VALU_DEP_3) | instskip(NEXT) | instid1(VALU_DEP_3)
	v_and_b32_e32 v7, 0x8000, v7
	v_and_b32_e32 v23, 0xfc00, v23
	s_delay_alu instid0(VALU_DEP_1)
	v_or3_b32 v66, v7, v23, v6
.LBB296_1577:                           ;   in Loop: Header=BB296_16 Depth=1
	s_wait_alu 0xfffe
	s_or_b32 exec_lo, exec_lo, s22
.LBB296_1578:                           ;   in Loop: Header=BB296_16 Depth=1
	s_wait_alu 0xfffe
	s_or_b32 exec_lo, exec_lo, s21
.LBB296_1579:                           ;   in Loop: Header=BB296_16 Depth=1
	s_wait_alu 0xfffe
	s_or_b32 exec_lo, exec_lo, s20
	v_mov_b32_e32 v112, 0
	v_mov_b32_e32 v114, 0
	s_mov_b32 s20, exec_lo
	v_cmpx_lt_u32_e32 0xffffff, v31
	s_cbranch_execz .LBB296_1587
; %bb.1580:                             ;   in Loop: Header=BB296_16 Depth=1
	v_lshrrev_b32_e32 v7, 24, v31
	v_bfrev_b32_e32 v114, 1
	s_mov_b32 s21, exec_lo
	s_delay_alu instid0(VALU_DEP_2)
	v_cmpx_ne_u32_e32 0x80, v7
	s_cbranch_execz .LBB296_1586
; %bb.1581:                             ;   in Loop: Header=BB296_16 Depth=1
	v_and_b32_e32 v38, 0x7f, v7
	v_mov_b32_e32 v114, 0x7c010000
	s_mov_b32 s22, exec_lo
	s_delay_alu instid0(VALU_DEP_2)
	v_cmpx_ne_u32_e32 0x7f, v38
	s_cbranch_execz .LBB296_1585
; %bb.1582:                             ;   in Loop: Header=BB296_16 Depth=1
	v_and_b32_e32 v6, 7, v7
	v_lshrrev_b32_e32 v23, 3, v38
	s_mov_b32 s23, exec_lo
	v_cmpx_gt_u32_e32 8, v38
; %bb.1583:                             ;   in Loop: Header=BB296_16 Depth=1
	s_delay_alu instid0(VALU_DEP_3) | instskip(NEXT) | instid1(VALU_DEP_1)
	v_clz_i32_u32_e32 v6, v6
	v_min_u32_e32 v6, 32, v6
	s_delay_alu instid0(VALU_DEP_1) | instskip(NEXT) | instid1(VALU_DEP_1)
	v_subrev_nc_u32_e32 v23, 28, v6
	v_lshlrev_b64_e32 v[38:39], v23, v[7:8]
	v_sub_nc_u32_e32 v23, 29, v6
	s_delay_alu instid0(VALU_DEP_2)
	v_and_b32_e32 v6, 7, v38
; %bb.1584:                             ;   in Loop: Header=BB296_16 Depth=1
	s_wait_alu 0xfffe
	s_or_b32 exec_lo, exec_lo, s23
	v_lshlrev_b32_e32 v7, 8, v7
	v_lshl_add_u32 v23, v23, 10, 0x2000
	v_lshlrev_b32_e32 v6, 23, v6
	s_delay_alu instid0(VALU_DEP_2) | instskip(NEXT) | instid1(VALU_DEP_1)
	v_and_or_b32 v7, 0x8000, v7, v23
	v_lshl_or_b32 v114, v7, 16, v6
.LBB296_1585:                           ;   in Loop: Header=BB296_16 Depth=1
	s_wait_alu 0xfffe
	s_or_b32 exec_lo, exec_lo, s22
.LBB296_1586:                           ;   in Loop: Header=BB296_16 Depth=1
	s_wait_alu 0xfffe
	s_or_b32 exec_lo, exec_lo, s21
.LBB296_1587:                           ;   in Loop: Header=BB296_16 Depth=1
	s_wait_alu 0xfffe
	s_or_b32 exec_lo, exec_lo, s20
	v_dual_mov_b32 v7, v32 :: v_dual_and_b32 v6, 0xff, v32
	s_mov_b32 s20, exec_lo
	s_delay_alu instid0(VALU_DEP_1)
	v_cmpx_ne_u16_e32 0, v6
	s_cbranch_execz .LBB296_1595
; %bb.1588:                             ;   in Loop: Header=BB296_16 Depth=1
	v_mov_b32_e32 v112, 0x8000
	s_mov_b32 s21, exec_lo
	v_cmpx_ne_u16_e32 0x80, v6
	s_cbranch_execz .LBB296_1594
; %bb.1589:                             ;   in Loop: Header=BB296_16 Depth=1
	v_and_b32_e32 v38, 0x7f, v32
	v_mov_b32_e32 v112, 0x7c01
	s_mov_b32 s22, exec_lo
	s_delay_alu instid0(VALU_DEP_2)
	v_cmpx_ne_u32_e32 0x7f, v38
	s_cbranch_execz .LBB296_1593
; %bb.1590:                             ;   in Loop: Header=BB296_16 Depth=1
	v_and_b32_e32 v6, 7, v32
	v_lshrrev_b32_e32 v23, 3, v38
	s_mov_b32 s23, exec_lo
	v_cmpx_gt_u32_e32 8, v38
; %bb.1591:                             ;   in Loop: Header=BB296_16 Depth=1
	s_delay_alu instid0(VALU_DEP_3) | instskip(NEXT) | instid1(VALU_DEP_1)
	v_clz_i32_u32_e32 v6, v6
	v_min_u32_e32 v6, 32, v6
	s_delay_alu instid0(VALU_DEP_1) | instskip(NEXT) | instid1(VALU_DEP_1)
	v_subrev_nc_u32_e32 v23, 28, v6
	v_lshlrev_b64_e32 v[38:39], v23, v[7:8]
	v_sub_nc_u32_e32 v23, 29, v6
	s_delay_alu instid0(VALU_DEP_2)
	v_and_b32_e32 v6, 7, v38
; %bb.1592:                             ;   in Loop: Header=BB296_16 Depth=1
	s_wait_alu 0xfffe
	s_or_b32 exec_lo, exec_lo, s23
	v_lshlrev_b32_e32 v38, 8, v32
	v_lshl_add_u32 v23, v23, 10, 0x2000
	v_lshlrev_b32_e32 v6, 7, v6
	s_delay_alu instid0(VALU_DEP_3) | instskip(NEXT) | instid1(VALU_DEP_3)
	v_and_b32_e32 v38, 0x8000, v38
	v_and_b32_e32 v23, 0xfc00, v23
	s_delay_alu instid0(VALU_DEP_1)
	v_or3_b32 v112, v38, v23, v6
.LBB296_1593:                           ;   in Loop: Header=BB296_16 Depth=1
	s_wait_alu 0xfffe
	s_or_b32 exec_lo, exec_lo, s22
.LBB296_1594:                           ;   in Loop: Header=BB296_16 Depth=1
	s_wait_alu 0xfffe
	s_or_b32 exec_lo, exec_lo, s21
.LBB296_1595:                           ;   in Loop: Header=BB296_16 Depth=1
	s_wait_alu 0xfffe
	s_or_b32 exec_lo, exec_lo, s20
	v_lshrrev_b16 v7, 8, v7
	v_dual_mov_b32 v125, 0 :: v_dual_mov_b32 v136, 0
	s_mov_b32 s20, exec_lo
	s_delay_alu instid0(VALU_DEP_2)
	v_cmpx_ne_u16_e32 0, v7
	s_cbranch_execz .LBB296_1603
; %bb.1596:                             ;   in Loop: Header=BB296_16 Depth=1
	v_bfrev_b32_e32 v136, 1
	s_mov_b32 s21, exec_lo
	v_cmpx_ne_u16_e32 0x80, v7
	s_cbranch_execz .LBB296_1602
; %bb.1597:                             ;   in Loop: Header=BB296_16 Depth=1
	v_and_b32_e32 v6, 0xffff, v7
	v_mov_b32_e32 v136, 0x7c010000
	s_mov_b32 s22, exec_lo
	s_delay_alu instid0(VALU_DEP_2) | instskip(NEXT) | instid1(VALU_DEP_1)
	v_and_b32_e32 v39, 0x7f, v6
	v_cmpx_ne_u32_e32 0x7f, v39
	s_cbranch_execz .LBB296_1601
; %bb.1598:                             ;   in Loop: Header=BB296_16 Depth=1
	v_and_b32_e32 v23, 7, v6
	v_lshrrev_b32_e32 v38, 3, v39
	s_mov_b32 s23, exec_lo
	v_cmpx_gt_u32_e32 8, v39
; %bb.1599:                             ;   in Loop: Header=BB296_16 Depth=1
	s_delay_alu instid0(VALU_DEP_3) | instskip(NEXT) | instid1(VALU_DEP_1)
	v_clz_i32_u32_e32 v23, v23
	v_min_u32_e32 v23, 32, v23
	s_delay_alu instid0(VALU_DEP_1) | instskip(NEXT) | instid1(VALU_DEP_1)
	v_subrev_nc_u32_e32 v38, 28, v23
	v_lshlrev_b64_e32 v[49:50], v38, v[7:8]
	v_sub_nc_u32_e32 v38, 29, v23
	s_delay_alu instid0(VALU_DEP_2)
	v_and_b32_e32 v23, 7, v49
; %bb.1600:                             ;   in Loop: Header=BB296_16 Depth=1
	s_wait_alu 0xfffe
	s_or_b32 exec_lo, exec_lo, s23
	v_lshlrev_b32_e32 v6, 8, v6
	v_lshl_add_u32 v7, v38, 10, 0x2000
	s_delay_alu instid0(VALU_DEP_1) | instskip(SKIP_1) | instid1(VALU_DEP_1)
	v_and_or_b32 v6, 0x8000, v6, v7
	v_lshlrev_b32_e32 v7, 23, v23
	v_lshl_or_b32 v136, v6, 16, v7
.LBB296_1601:                           ;   in Loop: Header=BB296_16 Depth=1
	s_wait_alu 0xfffe
	s_or_b32 exec_lo, exec_lo, s22
.LBB296_1602:                           ;   in Loop: Header=BB296_16 Depth=1
	s_wait_alu 0xfffe
	s_or_b32 exec_lo, exec_lo, s21
.LBB296_1603:                           ;   in Loop: Header=BB296_16 Depth=1
	s_wait_alu 0xfffe
	s_or_b32 exec_lo, exec_lo, s20
	v_lshrrev_b32_e32 v7, 16, v32
	s_mov_b32 s20, exec_lo
	s_delay_alu instid0(VALU_DEP_1) | instskip(NEXT) | instid1(VALU_DEP_1)
	v_and_b32_e32 v6, 0xff, v7
	v_cmpx_ne_u16_e32 0, v6
	s_cbranch_execz .LBB296_1611
; %bb.1604:                             ;   in Loop: Header=BB296_16 Depth=1
	v_mov_b32_e32 v125, 0x8000
	s_mov_b32 s21, exec_lo
	v_cmpx_ne_u16_e32 0x80, v6
	s_cbranch_execz .LBB296_1610
; %bb.1605:                             ;   in Loop: Header=BB296_16 Depth=1
	v_bfe_u32 v38, v32, 16, 7
	v_mov_b32_e32 v125, 0x7c01
	s_mov_b32 s22, exec_lo
	s_delay_alu instid0(VALU_DEP_2)
	v_cmpx_ne_u32_e32 0x7f, v38
	s_cbranch_execz .LBB296_1609
; %bb.1606:                             ;   in Loop: Header=BB296_16 Depth=1
	v_and_b32_e32 v6, 7, v7
	v_lshrrev_b32_e32 v23, 3, v38
	s_mov_b32 s23, exec_lo
	v_cmpx_gt_u32_e32 8, v38
; %bb.1607:                             ;   in Loop: Header=BB296_16 Depth=1
	s_delay_alu instid0(VALU_DEP_3) | instskip(NEXT) | instid1(VALU_DEP_1)
	v_clz_i32_u32_e32 v6, v6
	v_min_u32_e32 v6, 32, v6
	s_delay_alu instid0(VALU_DEP_1) | instskip(NEXT) | instid1(VALU_DEP_1)
	v_subrev_nc_u32_e32 v23, 28, v6
	v_lshlrev_b64_e32 v[38:39], v23, v[7:8]
	v_sub_nc_u32_e32 v23, 29, v6
	s_delay_alu instid0(VALU_DEP_2)
	v_and_b32_e32 v6, 7, v38
; %bb.1608:                             ;   in Loop: Header=BB296_16 Depth=1
	s_wait_alu 0xfffe
	s_or_b32 exec_lo, exec_lo, s23
	v_lshlrev_b32_e32 v7, 8, v7
	v_lshl_add_u32 v23, v23, 10, 0x2000
	v_lshlrev_b32_e32 v6, 7, v6
	s_delay_alu instid0(VALU_DEP_3) | instskip(NEXT) | instid1(VALU_DEP_3)
	v_and_b32_e32 v7, 0x8000, v7
	v_and_b32_e32 v23, 0xfc00, v23
	s_delay_alu instid0(VALU_DEP_1)
	v_or3_b32 v125, v7, v23, v6
.LBB296_1609:                           ;   in Loop: Header=BB296_16 Depth=1
	s_wait_alu 0xfffe
	s_or_b32 exec_lo, exec_lo, s22
.LBB296_1610:                           ;   in Loop: Header=BB296_16 Depth=1
	s_wait_alu 0xfffe
	s_or_b32 exec_lo, exec_lo, s21
.LBB296_1611:                           ;   in Loop: Header=BB296_16 Depth=1
	s_wait_alu 0xfffe
	s_or_b32 exec_lo, exec_lo, s20
	v_mov_b32_e32 v39, 0
	v_mov_b32_e32 v137, 0
	s_mov_b32 s20, exec_lo
	v_cmpx_lt_u64_e64 s[8:9], v[31:32]
	s_cbranch_execz .LBB296_1619
; %bb.1612:                             ;   in Loop: Header=BB296_16 Depth=1
	v_lshrrev_b32_e32 v7, 24, v32
	v_bfrev_b32_e32 v137, 1
	s_mov_b32 s21, exec_lo
	s_delay_alu instid0(VALU_DEP_2)
	v_cmpx_ne_u32_e32 0x80, v7
	s_cbranch_execz .LBB296_1618
; %bb.1613:                             ;   in Loop: Header=BB296_16 Depth=1
	v_and_b32_e32 v31, 0x7f, v7
	v_mov_b32_e32 v137, 0x7c010000
	s_mov_b32 s22, exec_lo
	s_delay_alu instid0(VALU_DEP_2)
	v_cmpx_ne_u32_e32 0x7f, v31
	s_cbranch_execz .LBB296_1617
; %bb.1614:                             ;   in Loop: Header=BB296_16 Depth=1
	v_and_b32_e32 v6, 7, v7
	v_lshrrev_b32_e32 v23, 3, v31
	s_mov_b32 s23, exec_lo
	v_cmpx_gt_u32_e32 8, v31
; %bb.1615:                             ;   in Loop: Header=BB296_16 Depth=1
	s_delay_alu instid0(VALU_DEP_3) | instskip(NEXT) | instid1(VALU_DEP_1)
	v_clz_i32_u32_e32 v6, v6
	v_min_u32_e32 v6, 32, v6
	s_delay_alu instid0(VALU_DEP_1) | instskip(NEXT) | instid1(VALU_DEP_1)
	v_subrev_nc_u32_e32 v23, 28, v6
	v_lshlrev_b64_e32 v[31:32], v23, v[7:8]
	v_sub_nc_u32_e32 v23, 29, v6
	s_delay_alu instid0(VALU_DEP_2)
	v_and_b32_e32 v6, 7, v31
; %bb.1616:                             ;   in Loop: Header=BB296_16 Depth=1
	s_wait_alu 0xfffe
	s_or_b32 exec_lo, exec_lo, s23
	v_lshlrev_b32_e32 v7, 8, v7
	v_lshl_add_u32 v23, v23, 10, 0x2000
	v_lshlrev_b32_e32 v6, 23, v6
	s_delay_alu instid0(VALU_DEP_2) | instskip(NEXT) | instid1(VALU_DEP_1)
	v_and_or_b32 v7, 0x8000, v7, v23
	v_lshl_or_b32 v137, v7, 16, v6
.LBB296_1617:                           ;   in Loop: Header=BB296_16 Depth=1
	s_wait_alu 0xfffe
	s_or_b32 exec_lo, exec_lo, s22
.LBB296_1618:                           ;   in Loop: Header=BB296_16 Depth=1
	s_wait_alu 0xfffe
	s_or_b32 exec_lo, exec_lo, s21
.LBB296_1619:                           ;   in Loop: Header=BB296_16 Depth=1
	s_wait_alu 0xfffe
	s_or_b32 exec_lo, exec_lo, s20
	flat_load_b64 v[31:32], v[28:29] offset:6152
	s_mov_b32 s20, exec_lo
	s_wait_loadcnt_dscnt 0x0
	v_and_b32_e32 v6, 0xff, v31
	s_delay_alu instid0(VALU_DEP_1)
	v_cmpx_ne_u16_e32 0, v6
	s_cbranch_execz .LBB296_1627
; %bb.1620:                             ;   in Loop: Header=BB296_16 Depth=1
	v_mov_b32_e32 v39, 0x8000
	s_mov_b32 s21, exec_lo
	v_cmpx_ne_u16_e32 0x80, v6
	s_cbranch_execz .LBB296_1626
; %bb.1621:                             ;   in Loop: Header=BB296_16 Depth=1
	v_and_b32_e32 v23, 0x7f, v31
	v_mov_b32_e32 v39, 0x7c01
	s_mov_b32 s22, exec_lo
	s_delay_alu instid0(VALU_DEP_2)
	v_cmpx_ne_u32_e32 0x7f, v23
	s_cbranch_execz .LBB296_1625
; %bb.1622:                             ;   in Loop: Header=BB296_16 Depth=1
	v_and_b32_e32 v6, 7, v31
	v_lshrrev_b32_e32 v7, 3, v23
	s_mov_b32 s23, exec_lo
	v_cmpx_gt_u32_e32 8, v23
; %bb.1623:                             ;   in Loop: Header=BB296_16 Depth=1
	s_delay_alu instid0(VALU_DEP_3) | instskip(NEXT) | instid1(VALU_DEP_1)
	v_clz_i32_u32_e32 v6, v6
	v_min_u32_e32 v23, 32, v6
	s_delay_alu instid0(VALU_DEP_1) | instskip(NEXT) | instid1(VALU_DEP_1)
	v_subrev_nc_u32_e32 v6, 28, v23
	v_lshlrev_b64_e32 v[6:7], v6, v[31:32]
	v_sub_nc_u32_e32 v7, 29, v23
	s_delay_alu instid0(VALU_DEP_2)
	v_and_b32_e32 v6, 7, v6
; %bb.1624:                             ;   in Loop: Header=BB296_16 Depth=1
	s_wait_alu 0xfffe
	s_or_b32 exec_lo, exec_lo, s23
	v_lshlrev_b32_e32 v23, 8, v31
	v_lshl_add_u32 v7, v7, 10, 0x2000
	v_lshlrev_b32_e32 v6, 7, v6
	s_delay_alu instid0(VALU_DEP_3) | instskip(NEXT) | instid1(VALU_DEP_3)
	v_and_b32_e32 v23, 0x8000, v23
	v_and_b32_e32 v7, 0xfc00, v7
	s_delay_alu instid0(VALU_DEP_1)
	v_or3_b32 v39, v23, v7, v6
.LBB296_1625:                           ;   in Loop: Header=BB296_16 Depth=1
	s_wait_alu 0xfffe
	s_or_b32 exec_lo, exec_lo, s22
.LBB296_1626:                           ;   in Loop: Header=BB296_16 Depth=1
	s_wait_alu 0xfffe
	s_or_b32 exec_lo, exec_lo, s21
.LBB296_1627:                           ;   in Loop: Header=BB296_16 Depth=1
	s_wait_alu 0xfffe
	s_or_b32 exec_lo, exec_lo, s20
	v_lshrrev_b16 v7, 8, v31
	v_dual_mov_b32 v50, 0 :: v_dual_mov_b32 v49, 0
	s_mov_b32 s20, exec_lo
	s_delay_alu instid0(VALU_DEP_2)
	v_cmpx_ne_u16_e32 0, v7
	s_cbranch_execz .LBB296_1635
; %bb.1628:                             ;   in Loop: Header=BB296_16 Depth=1
	v_bfrev_b32_e32 v49, 1
	s_mov_b32 s21, exec_lo
	v_cmpx_ne_u16_e32 0x80, v7
	s_cbranch_execz .LBB296_1634
; %bb.1629:                             ;   in Loop: Header=BB296_16 Depth=1
	v_and_b32_e32 v6, 0xffff, v7
	v_mov_b32_e32 v49, 0x7c010000
	s_mov_b32 s22, exec_lo
	s_delay_alu instid0(VALU_DEP_2) | instskip(NEXT) | instid1(VALU_DEP_1)
	v_and_b32_e32 v51, 0x7f, v6
	v_cmpx_ne_u32_e32 0x7f, v51
	s_cbranch_execz .LBB296_1633
; %bb.1630:                             ;   in Loop: Header=BB296_16 Depth=1
	v_and_b32_e32 v23, 7, v6
	v_lshrrev_b32_e32 v38, 3, v51
	s_mov_b32 s23, exec_lo
	v_cmpx_gt_u32_e32 8, v51
; %bb.1631:                             ;   in Loop: Header=BB296_16 Depth=1
	s_delay_alu instid0(VALU_DEP_3) | instskip(NEXT) | instid1(VALU_DEP_1)
	v_clz_i32_u32_e32 v23, v23
	v_min_u32_e32 v23, 32, v23
	s_delay_alu instid0(VALU_DEP_1) | instskip(NEXT) | instid1(VALU_DEP_1)
	v_subrev_nc_u32_e32 v38, 28, v23
	v_lshlrev_b64_e32 v[102:103], v38, v[7:8]
	v_sub_nc_u32_e32 v38, 29, v23
	s_delay_alu instid0(VALU_DEP_2)
	v_and_b32_e32 v23, 7, v102
; %bb.1632:                             ;   in Loop: Header=BB296_16 Depth=1
	s_wait_alu 0xfffe
	s_or_b32 exec_lo, exec_lo, s23
	v_lshlrev_b32_e32 v6, 8, v6
	v_lshl_add_u32 v7, v38, 10, 0x2000
	s_delay_alu instid0(VALU_DEP_1) | instskip(SKIP_1) | instid1(VALU_DEP_1)
	v_and_or_b32 v6, 0x8000, v6, v7
	v_lshlrev_b32_e32 v7, 23, v23
	v_lshl_or_b32 v49, v6, 16, v7
.LBB296_1633:                           ;   in Loop: Header=BB296_16 Depth=1
	s_wait_alu 0xfffe
	s_or_b32 exec_lo, exec_lo, s22
.LBB296_1634:                           ;   in Loop: Header=BB296_16 Depth=1
	s_wait_alu 0xfffe
	s_or_b32 exec_lo, exec_lo, s21
.LBB296_1635:                           ;   in Loop: Header=BB296_16 Depth=1
	s_wait_alu 0xfffe
	s_or_b32 exec_lo, exec_lo, s20
	v_lshrrev_b32_e32 v7, 16, v31
	s_mov_b32 s20, exec_lo
	s_delay_alu instid0(VALU_DEP_1) | instskip(NEXT) | instid1(VALU_DEP_1)
	v_and_b32_e32 v6, 0xff, v7
	v_cmpx_ne_u16_e32 0, v6
	s_cbranch_execz .LBB296_1643
; %bb.1636:                             ;   in Loop: Header=BB296_16 Depth=1
	v_mov_b32_e32 v50, 0x8000
	s_mov_b32 s21, exec_lo
	v_cmpx_ne_u16_e32 0x80, v6
	s_cbranch_execz .LBB296_1642
; %bb.1637:                             ;   in Loop: Header=BB296_16 Depth=1
	v_bfe_u32 v38, v31, 16, 7
	v_mov_b32_e32 v50, 0x7c01
	s_mov_b32 s22, exec_lo
	s_delay_alu instid0(VALU_DEP_2)
	v_cmpx_ne_u32_e32 0x7f, v38
	s_cbranch_execz .LBB296_1641
; %bb.1638:                             ;   in Loop: Header=BB296_16 Depth=1
	v_and_b32_e32 v6, 7, v7
	v_lshrrev_b32_e32 v23, 3, v38
	s_mov_b32 s23, exec_lo
	v_cmpx_gt_u32_e32 8, v38
; %bb.1639:                             ;   in Loop: Header=BB296_16 Depth=1
	s_delay_alu instid0(VALU_DEP_3) | instskip(NEXT) | instid1(VALU_DEP_1)
	v_clz_i32_u32_e32 v6, v6
	v_min_u32_e32 v6, 32, v6
	s_delay_alu instid0(VALU_DEP_1) | instskip(NEXT) | instid1(VALU_DEP_1)
	v_subrev_nc_u32_e32 v23, 28, v6
	v_lshlrev_b64_e32 v[50:51], v23, v[7:8]
	v_sub_nc_u32_e32 v23, 29, v6
	s_delay_alu instid0(VALU_DEP_2)
	v_and_b32_e32 v6, 7, v50
; %bb.1640:                             ;   in Loop: Header=BB296_16 Depth=1
	s_wait_alu 0xfffe
	s_or_b32 exec_lo, exec_lo, s23
	v_lshlrev_b32_e32 v7, 8, v7
	v_lshl_add_u32 v23, v23, 10, 0x2000
	v_lshlrev_b32_e32 v6, 7, v6
	s_delay_alu instid0(VALU_DEP_3) | instskip(NEXT) | instid1(VALU_DEP_3)
	v_and_b32_e32 v7, 0x8000, v7
	v_and_b32_e32 v23, 0xfc00, v23
	s_delay_alu instid0(VALU_DEP_1)
	v_or3_b32 v50, v7, v23, v6
.LBB296_1641:                           ;   in Loop: Header=BB296_16 Depth=1
	s_wait_alu 0xfffe
	s_or_b32 exec_lo, exec_lo, s22
.LBB296_1642:                           ;   in Loop: Header=BB296_16 Depth=1
	s_wait_alu 0xfffe
	s_or_b32 exec_lo, exec_lo, s21
.LBB296_1643:                           ;   in Loop: Header=BB296_16 Depth=1
	s_wait_alu 0xfffe
	s_or_b32 exec_lo, exec_lo, s20
	v_dual_mov_b32 v100, 0 :: v_dual_mov_b32 v115, 0
	s_mov_b32 s20, exec_lo
	v_cmpx_lt_u32_e32 0xffffff, v31
	s_cbranch_execz .LBB296_1651
; %bb.1644:                             ;   in Loop: Header=BB296_16 Depth=1
	v_lshrrev_b32_e32 v7, 24, v31
	v_bfrev_b32_e32 v115, 1
	s_mov_b32 s21, exec_lo
	s_delay_alu instid0(VALU_DEP_2)
	v_cmpx_ne_u32_e32 0x80, v7
	s_cbranch_execz .LBB296_1650
; %bb.1645:                             ;   in Loop: Header=BB296_16 Depth=1
	v_and_b32_e32 v38, 0x7f, v7
	v_mov_b32_e32 v115, 0x7c010000
	s_mov_b32 s22, exec_lo
	s_delay_alu instid0(VALU_DEP_2)
	v_cmpx_ne_u32_e32 0x7f, v38
	s_cbranch_execz .LBB296_1649
; %bb.1646:                             ;   in Loop: Header=BB296_16 Depth=1
	v_and_b32_e32 v6, 7, v7
	v_lshrrev_b32_e32 v23, 3, v38
	s_mov_b32 s23, exec_lo
	v_cmpx_gt_u32_e32 8, v38
; %bb.1647:                             ;   in Loop: Header=BB296_16 Depth=1
	s_delay_alu instid0(VALU_DEP_3) | instskip(NEXT) | instid1(VALU_DEP_1)
	v_clz_i32_u32_e32 v6, v6
	v_min_u32_e32 v6, 32, v6
	s_delay_alu instid0(VALU_DEP_1) | instskip(NEXT) | instid1(VALU_DEP_1)
	v_subrev_nc_u32_e32 v23, 28, v6
	v_lshlrev_b64_e32 v[102:103], v23, v[7:8]
	v_sub_nc_u32_e32 v23, 29, v6
	s_delay_alu instid0(VALU_DEP_2)
	v_and_b32_e32 v6, 7, v102
; %bb.1648:                             ;   in Loop: Header=BB296_16 Depth=1
	s_wait_alu 0xfffe
	s_or_b32 exec_lo, exec_lo, s23
	v_lshlrev_b32_e32 v7, 8, v7
	v_lshl_add_u32 v23, v23, 10, 0x2000
	v_lshlrev_b32_e32 v6, 23, v6
	s_delay_alu instid0(VALU_DEP_2) | instskip(NEXT) | instid1(VALU_DEP_1)
	v_and_or_b32 v7, 0x8000, v7, v23
	v_lshl_or_b32 v115, v7, 16, v6
.LBB296_1649:                           ;   in Loop: Header=BB296_16 Depth=1
	s_wait_alu 0xfffe
	s_or_b32 exec_lo, exec_lo, s22
.LBB296_1650:                           ;   in Loop: Header=BB296_16 Depth=1
	s_wait_alu 0xfffe
	s_or_b32 exec_lo, exec_lo, s21
.LBB296_1651:                           ;   in Loop: Header=BB296_16 Depth=1
	s_wait_alu 0xfffe
	s_or_b32 exec_lo, exec_lo, s20
	v_dual_mov_b32 v7, v32 :: v_dual_and_b32 v6, 0xff, v32
	s_mov_b32 s20, exec_lo
	s_delay_alu instid0(VALU_DEP_1)
	v_cmpx_ne_u16_e32 0, v6
	s_cbranch_execz .LBB296_1659
; %bb.1652:                             ;   in Loop: Header=BB296_16 Depth=1
	v_mov_b32_e32 v100, 0x8000
	s_mov_b32 s21, exec_lo
	v_cmpx_ne_u16_e32 0x80, v6
	s_cbranch_execz .LBB296_1658
; %bb.1653:                             ;   in Loop: Header=BB296_16 Depth=1
	v_and_b32_e32 v38, 0x7f, v32
	v_mov_b32_e32 v100, 0x7c01
	s_mov_b32 s22, exec_lo
	s_delay_alu instid0(VALU_DEP_2)
	v_cmpx_ne_u32_e32 0x7f, v38
	s_cbranch_execz .LBB296_1657
; %bb.1654:                             ;   in Loop: Header=BB296_16 Depth=1
	v_and_b32_e32 v6, 7, v32
	v_lshrrev_b32_e32 v23, 3, v38
	s_mov_b32 s23, exec_lo
	v_cmpx_gt_u32_e32 8, v38
; %bb.1655:                             ;   in Loop: Header=BB296_16 Depth=1
	s_delay_alu instid0(VALU_DEP_3) | instskip(NEXT) | instid1(VALU_DEP_1)
	v_clz_i32_u32_e32 v6, v6
	v_min_u32_e32 v6, 32, v6
	s_delay_alu instid0(VALU_DEP_1) | instskip(NEXT) | instid1(VALU_DEP_1)
	v_subrev_nc_u32_e32 v23, 28, v6
	v_lshlrev_b64_e32 v[102:103], v23, v[7:8]
	v_sub_nc_u32_e32 v23, 29, v6
	s_delay_alu instid0(VALU_DEP_2)
	v_and_b32_e32 v6, 7, v102
; %bb.1656:                             ;   in Loop: Header=BB296_16 Depth=1
	s_wait_alu 0xfffe
	s_or_b32 exec_lo, exec_lo, s23
	v_lshlrev_b32_e32 v38, 8, v32
	v_lshl_add_u32 v23, v23, 10, 0x2000
	v_lshlrev_b32_e32 v6, 7, v6
	s_delay_alu instid0(VALU_DEP_3) | instskip(NEXT) | instid1(VALU_DEP_3)
	v_and_b32_e32 v38, 0x8000, v38
	v_and_b32_e32 v23, 0xfc00, v23
	s_delay_alu instid0(VALU_DEP_1)
	v_or3_b32 v100, v38, v23, v6
.LBB296_1657:                           ;   in Loop: Header=BB296_16 Depth=1
	s_wait_alu 0xfffe
	s_or_b32 exec_lo, exec_lo, s22
.LBB296_1658:                           ;   in Loop: Header=BB296_16 Depth=1
	s_wait_alu 0xfffe
	s_or_b32 exec_lo, exec_lo, s21
.LBB296_1659:                           ;   in Loop: Header=BB296_16 Depth=1
	s_wait_alu 0xfffe
	s_or_b32 exec_lo, exec_lo, s20
	v_lshrrev_b16 v7, 8, v7
	v_mov_b32_e32 v38, 0
	v_mov_b32_e32 v102, 0
	s_mov_b32 s20, exec_lo
	s_delay_alu instid0(VALU_DEP_3)
	v_cmpx_ne_u16_e32 0, v7
	s_cbranch_execz .LBB296_1667
; %bb.1660:                             ;   in Loop: Header=BB296_16 Depth=1
	v_bfrev_b32_e32 v102, 1
	s_mov_b32 s21, exec_lo
	v_cmpx_ne_u16_e32 0x80, v7
	s_cbranch_execz .LBB296_1666
; %bb.1661:                             ;   in Loop: Header=BB296_16 Depth=1
	v_and_b32_e32 v6, 0xffff, v7
	v_mov_b32_e32 v102, 0x7c010000
	s_mov_b32 s22, exec_lo
	s_delay_alu instid0(VALU_DEP_2) | instskip(NEXT) | instid1(VALU_DEP_1)
	v_and_b32_e32 v85, 0x7f, v6
	v_cmpx_ne_u32_e32 0x7f, v85
	s_cbranch_execz .LBB296_1665
; %bb.1662:                             ;   in Loop: Header=BB296_16 Depth=1
	v_and_b32_e32 v23, 7, v6
	v_lshrrev_b32_e32 v51, 3, v85
	s_mov_b32 s23, exec_lo
	v_cmpx_gt_u32_e32 8, v85
; %bb.1663:                             ;   in Loop: Header=BB296_16 Depth=1
	s_delay_alu instid0(VALU_DEP_3) | instskip(NEXT) | instid1(VALU_DEP_1)
	v_clz_i32_u32_e32 v23, v23
	v_min_u32_e32 v23, 32, v23
	s_delay_alu instid0(VALU_DEP_1) | instskip(NEXT) | instid1(VALU_DEP_1)
	v_subrev_nc_u32_e32 v51, 28, v23
	v_lshlrev_b64_e32 v[102:103], v51, v[7:8]
	v_sub_nc_u32_e32 v51, 29, v23
	s_delay_alu instid0(VALU_DEP_2)
	v_and_b32_e32 v23, 7, v102
; %bb.1664:                             ;   in Loop: Header=BB296_16 Depth=1
	s_wait_alu 0xfffe
	s_or_b32 exec_lo, exec_lo, s23
	v_lshlrev_b32_e32 v6, 8, v6
	v_lshl_add_u32 v7, v51, 10, 0x2000
	s_delay_alu instid0(VALU_DEP_1) | instskip(SKIP_1) | instid1(VALU_DEP_1)
	v_and_or_b32 v6, 0x8000, v6, v7
	v_lshlrev_b32_e32 v7, 23, v23
	v_lshl_or_b32 v102, v6, 16, v7
.LBB296_1665:                           ;   in Loop: Header=BB296_16 Depth=1
	s_wait_alu 0xfffe
	s_or_b32 exec_lo, exec_lo, s22
.LBB296_1666:                           ;   in Loop: Header=BB296_16 Depth=1
	s_wait_alu 0xfffe
	s_or_b32 exec_lo, exec_lo, s21
.LBB296_1667:                           ;   in Loop: Header=BB296_16 Depth=1
	s_wait_alu 0xfffe
	s_or_b32 exec_lo, exec_lo, s20
	v_lshrrev_b32_e32 v7, 16, v32
	s_mov_b32 s20, exec_lo
	s_delay_alu instid0(VALU_DEP_1) | instskip(NEXT) | instid1(VALU_DEP_1)
	v_and_b32_e32 v6, 0xff, v7
	v_cmpx_ne_u16_e32 0, v6
	s_cbranch_execz .LBB296_1675
; %bb.1668:                             ;   in Loop: Header=BB296_16 Depth=1
	v_mov_b32_e32 v38, 0x8000
	s_mov_b32 s21, exec_lo
	v_cmpx_ne_u16_e32 0x80, v6
	s_cbranch_execz .LBB296_1674
; %bb.1669:                             ;   in Loop: Header=BB296_16 Depth=1
	v_bfe_u32 v51, v32, 16, 7
	v_mov_b32_e32 v38, 0x7c01
	s_mov_b32 s22, exec_lo
	s_delay_alu instid0(VALU_DEP_2)
	v_cmpx_ne_u32_e32 0x7f, v51
	s_cbranch_execz .LBB296_1673
; %bb.1670:                             ;   in Loop: Header=BB296_16 Depth=1
	v_and_b32_e32 v6, 7, v7
	v_lshrrev_b32_e32 v23, 3, v51
	s_mov_b32 s23, exec_lo
	v_cmpx_gt_u32_e32 8, v51
; %bb.1671:                             ;   in Loop: Header=BB296_16 Depth=1
	s_delay_alu instid0(VALU_DEP_3) | instskip(NEXT) | instid1(VALU_DEP_1)
	v_clz_i32_u32_e32 v6, v6
	v_min_u32_e32 v6, 32, v6
	s_delay_alu instid0(VALU_DEP_1) | instskip(NEXT) | instid1(VALU_DEP_1)
	v_subrev_nc_u32_e32 v23, 28, v6
	v_lshlrev_b64_e32 v[116:117], v23, v[7:8]
	v_sub_nc_u32_e32 v23, 29, v6
	s_delay_alu instid0(VALU_DEP_2)
	v_and_b32_e32 v6, 7, v116
; %bb.1672:                             ;   in Loop: Header=BB296_16 Depth=1
	s_wait_alu 0xfffe
	s_or_b32 exec_lo, exec_lo, s23
	v_lshlrev_b32_e32 v7, 8, v7
	v_lshl_add_u32 v23, v23, 10, 0x2000
	v_lshlrev_b32_e32 v6, 7, v6
	s_delay_alu instid0(VALU_DEP_3) | instskip(NEXT) | instid1(VALU_DEP_3)
	v_and_b32_e32 v7, 0x8000, v7
	v_and_b32_e32 v23, 0xfc00, v23
	s_delay_alu instid0(VALU_DEP_1)
	v_or3_b32 v38, v7, v23, v6
.LBB296_1673:                           ;   in Loop: Header=BB296_16 Depth=1
	s_wait_alu 0xfffe
	s_or_b32 exec_lo, exec_lo, s22
.LBB296_1674:                           ;   in Loop: Header=BB296_16 Depth=1
	s_wait_alu 0xfffe
	s_or_b32 exec_lo, exec_lo, s21
.LBB296_1675:                           ;   in Loop: Header=BB296_16 Depth=1
	s_wait_alu 0xfffe
	s_or_b32 exec_lo, exec_lo, s20
	v_mov_b32_e32 v113, 0
	v_mov_b32_e32 v103, 0
	s_mov_b32 s20, exec_lo
	v_cmpx_lt_u64_e64 s[8:9], v[31:32]
	s_cbranch_execz .LBB296_1683
; %bb.1676:                             ;   in Loop: Header=BB296_16 Depth=1
	v_lshrrev_b32_e32 v7, 24, v32
	v_bfrev_b32_e32 v103, 1
	s_mov_b32 s21, exec_lo
	s_delay_alu instid0(VALU_DEP_2)
	v_cmpx_ne_u32_e32 0x80, v7
	s_cbranch_execz .LBB296_1682
; %bb.1677:                             ;   in Loop: Header=BB296_16 Depth=1
	v_and_b32_e32 v31, 0x7f, v7
	v_mov_b32_e32 v103, 0x7c010000
	s_mov_b32 s22, exec_lo
	s_delay_alu instid0(VALU_DEP_2)
	v_cmpx_ne_u32_e32 0x7f, v31
	s_cbranch_execz .LBB296_1681
; %bb.1678:                             ;   in Loop: Header=BB296_16 Depth=1
	v_and_b32_e32 v6, 7, v7
	v_lshrrev_b32_e32 v23, 3, v31
	s_mov_b32 s23, exec_lo
	v_cmpx_gt_u32_e32 8, v31
; %bb.1679:                             ;   in Loop: Header=BB296_16 Depth=1
	s_delay_alu instid0(VALU_DEP_3) | instskip(NEXT) | instid1(VALU_DEP_1)
	v_clz_i32_u32_e32 v6, v6
	v_min_u32_e32 v6, 32, v6
	s_delay_alu instid0(VALU_DEP_1) | instskip(NEXT) | instid1(VALU_DEP_1)
	v_subrev_nc_u32_e32 v23, 28, v6
	v_lshlrev_b64_e32 v[31:32], v23, v[7:8]
	v_sub_nc_u32_e32 v23, 29, v6
	s_delay_alu instid0(VALU_DEP_2)
	v_and_b32_e32 v6, 7, v31
; %bb.1680:                             ;   in Loop: Header=BB296_16 Depth=1
	s_wait_alu 0xfffe
	s_or_b32 exec_lo, exec_lo, s23
	v_lshlrev_b32_e32 v7, 8, v7
	v_lshl_add_u32 v23, v23, 10, 0x2000
	v_lshlrev_b32_e32 v6, 23, v6
	s_delay_alu instid0(VALU_DEP_2) | instskip(NEXT) | instid1(VALU_DEP_1)
	v_and_or_b32 v7, 0x8000, v7, v23
	v_lshl_or_b32 v103, v7, 16, v6
.LBB296_1681:                           ;   in Loop: Header=BB296_16 Depth=1
	s_wait_alu 0xfffe
	s_or_b32 exec_lo, exec_lo, s22
.LBB296_1682:                           ;   in Loop: Header=BB296_16 Depth=1
	s_wait_alu 0xfffe
	s_or_b32 exec_lo, exec_lo, s21
.LBB296_1683:                           ;   in Loop: Header=BB296_16 Depth=1
	s_wait_alu 0xfffe
	s_or_b32 exec_lo, exec_lo, s20
	flat_load_b64 v[31:32], v[28:29] offset:6656
	s_mov_b32 s20, exec_lo
	s_wait_loadcnt_dscnt 0x0
	v_and_b32_e32 v6, 0xff, v31
	s_delay_alu instid0(VALU_DEP_1)
	v_cmpx_ne_u16_e32 0, v6
	s_cbranch_execz .LBB296_1691
; %bb.1684:                             ;   in Loop: Header=BB296_16 Depth=1
	v_mov_b32_e32 v113, 0x8000
	s_mov_b32 s21, exec_lo
	v_cmpx_ne_u16_e32 0x80, v6
	s_cbranch_execz .LBB296_1690
; %bb.1685:                             ;   in Loop: Header=BB296_16 Depth=1
	v_and_b32_e32 v23, 0x7f, v31
	v_mov_b32_e32 v113, 0x7c01
	s_mov_b32 s22, exec_lo
	s_delay_alu instid0(VALU_DEP_2)
	v_cmpx_ne_u32_e32 0x7f, v23
	s_cbranch_execz .LBB296_1689
; %bb.1686:                             ;   in Loop: Header=BB296_16 Depth=1
	v_and_b32_e32 v6, 7, v31
	v_lshrrev_b32_e32 v7, 3, v23
	s_mov_b32 s23, exec_lo
	v_cmpx_gt_u32_e32 8, v23
; %bb.1687:                             ;   in Loop: Header=BB296_16 Depth=1
	s_delay_alu instid0(VALU_DEP_3) | instskip(NEXT) | instid1(VALU_DEP_1)
	v_clz_i32_u32_e32 v6, v6
	v_min_u32_e32 v23, 32, v6
	s_delay_alu instid0(VALU_DEP_1) | instskip(NEXT) | instid1(VALU_DEP_1)
	v_subrev_nc_u32_e32 v6, 28, v23
	v_lshlrev_b64_e32 v[6:7], v6, v[31:32]
	v_sub_nc_u32_e32 v7, 29, v23
	s_delay_alu instid0(VALU_DEP_2)
	v_and_b32_e32 v6, 7, v6
; %bb.1688:                             ;   in Loop: Header=BB296_16 Depth=1
	s_wait_alu 0xfffe
	s_or_b32 exec_lo, exec_lo, s23
	v_lshlrev_b32_e32 v23, 8, v31
	v_lshl_add_u32 v7, v7, 10, 0x2000
	v_lshlrev_b32_e32 v6, 7, v6
	s_delay_alu instid0(VALU_DEP_3) | instskip(NEXT) | instid1(VALU_DEP_3)
	v_and_b32_e32 v23, 0x8000, v23
	v_and_b32_e32 v7, 0xfc00, v7
	s_delay_alu instid0(VALU_DEP_1)
	v_or3_b32 v113, v23, v7, v6
.LBB296_1689:                           ;   in Loop: Header=BB296_16 Depth=1
	s_wait_alu 0xfffe
	s_or_b32 exec_lo, exec_lo, s22
.LBB296_1690:                           ;   in Loop: Header=BB296_16 Depth=1
	s_wait_alu 0xfffe
	s_or_b32 exec_lo, exec_lo, s21
.LBB296_1691:                           ;   in Loop: Header=BB296_16 Depth=1
	s_wait_alu 0xfffe
	s_or_b32 exec_lo, exec_lo, s20
	v_lshrrev_b16 v7, 8, v31
	v_mov_b32_e32 v118, 0
	v_mov_b32_e32 v116, 0
	s_mov_b32 s20, exec_lo
	s_delay_alu instid0(VALU_DEP_3)
	v_cmpx_ne_u16_e32 0, v7
	s_cbranch_execz .LBB296_1699
; %bb.1692:                             ;   in Loop: Header=BB296_16 Depth=1
	v_bfrev_b32_e32 v116, 1
	s_mov_b32 s21, exec_lo
	v_cmpx_ne_u16_e32 0x80, v7
	s_cbranch_execz .LBB296_1698
; %bb.1693:                             ;   in Loop: Header=BB296_16 Depth=1
	v_and_b32_e32 v6, 0xffff, v7
	v_mov_b32_e32 v116, 0x7c010000
	s_mov_b32 s22, exec_lo
	s_delay_alu instid0(VALU_DEP_2) | instskip(NEXT) | instid1(VALU_DEP_1)
	v_and_b32_e32 v85, 0x7f, v6
	v_cmpx_ne_u32_e32 0x7f, v85
	s_cbranch_execz .LBB296_1697
; %bb.1694:                             ;   in Loop: Header=BB296_16 Depth=1
	v_and_b32_e32 v23, 7, v6
	v_lshrrev_b32_e32 v51, 3, v85
	s_mov_b32 s23, exec_lo
	v_cmpx_gt_u32_e32 8, v85
; %bb.1695:                             ;   in Loop: Header=BB296_16 Depth=1
	s_delay_alu instid0(VALU_DEP_3) | instskip(NEXT) | instid1(VALU_DEP_1)
	v_clz_i32_u32_e32 v23, v23
	v_min_u32_e32 v23, 32, v23
	s_delay_alu instid0(VALU_DEP_1) | instskip(NEXT) | instid1(VALU_DEP_1)
	v_subrev_nc_u32_e32 v51, 28, v23
	v_lshlrev_b64_e32 v[116:117], v51, v[7:8]
	v_sub_nc_u32_e32 v51, 29, v23
	s_delay_alu instid0(VALU_DEP_2)
	v_and_b32_e32 v23, 7, v116
; %bb.1696:                             ;   in Loop: Header=BB296_16 Depth=1
	s_wait_alu 0xfffe
	s_or_b32 exec_lo, exec_lo, s23
	v_lshlrev_b32_e32 v6, 8, v6
	v_lshl_add_u32 v7, v51, 10, 0x2000
	s_delay_alu instid0(VALU_DEP_1) | instskip(SKIP_1) | instid1(VALU_DEP_1)
	v_and_or_b32 v6, 0x8000, v6, v7
	v_lshlrev_b32_e32 v7, 23, v23
	v_lshl_or_b32 v116, v6, 16, v7
.LBB296_1697:                           ;   in Loop: Header=BB296_16 Depth=1
	s_wait_alu 0xfffe
	s_or_b32 exec_lo, exec_lo, s22
.LBB296_1698:                           ;   in Loop: Header=BB296_16 Depth=1
	s_wait_alu 0xfffe
	s_or_b32 exec_lo, exec_lo, s21
.LBB296_1699:                           ;   in Loop: Header=BB296_16 Depth=1
	s_wait_alu 0xfffe
	s_or_b32 exec_lo, exec_lo, s20
	v_lshrrev_b32_e32 v7, 16, v31
	s_mov_b32 s20, exec_lo
	s_delay_alu instid0(VALU_DEP_1) | instskip(NEXT) | instid1(VALU_DEP_1)
	v_and_b32_e32 v6, 0xff, v7
	v_cmpx_ne_u16_e32 0, v6
	s_cbranch_execz .LBB296_1707
; %bb.1700:                             ;   in Loop: Header=BB296_16 Depth=1
	v_mov_b32_e32 v118, 0x8000
	s_mov_b32 s21, exec_lo
	v_cmpx_ne_u16_e32 0x80, v6
	s_cbranch_execz .LBB296_1706
; %bb.1701:                             ;   in Loop: Header=BB296_16 Depth=1
	v_bfe_u32 v51, v31, 16, 7
	v_mov_b32_e32 v118, 0x7c01
	s_mov_b32 s22, exec_lo
	s_delay_alu instid0(VALU_DEP_2)
	v_cmpx_ne_u32_e32 0x7f, v51
	s_cbranch_execz .LBB296_1705
; %bb.1702:                             ;   in Loop: Header=BB296_16 Depth=1
	v_and_b32_e32 v6, 7, v7
	v_lshrrev_b32_e32 v23, 3, v51
	s_mov_b32 s23, exec_lo
	v_cmpx_gt_u32_e32 8, v51
; %bb.1703:                             ;   in Loop: Header=BB296_16 Depth=1
	s_delay_alu instid0(VALU_DEP_3) | instskip(NEXT) | instid1(VALU_DEP_1)
	v_clz_i32_u32_e32 v6, v6
	v_min_u32_e32 v6, 32, v6
	s_delay_alu instid0(VALU_DEP_1) | instskip(NEXT) | instid1(VALU_DEP_1)
	v_subrev_nc_u32_e32 v23, 28, v6
	v_lshlrev_b64_e32 v[117:118], v23, v[7:8]
	v_sub_nc_u32_e32 v23, 29, v6
	s_delay_alu instid0(VALU_DEP_2)
	v_and_b32_e32 v6, 7, v117
; %bb.1704:                             ;   in Loop: Header=BB296_16 Depth=1
	s_wait_alu 0xfffe
	s_or_b32 exec_lo, exec_lo, s23
	v_lshlrev_b32_e32 v7, 8, v7
	v_lshl_add_u32 v23, v23, 10, 0x2000
	v_lshlrev_b32_e32 v6, 7, v6
	s_delay_alu instid0(VALU_DEP_3) | instskip(NEXT) | instid1(VALU_DEP_3)
	v_and_b32_e32 v7, 0x8000, v7
	v_and_b32_e32 v23, 0xfc00, v23
	s_delay_alu instid0(VALU_DEP_1)
	v_or3_b32 v118, v7, v23, v6
.LBB296_1705:                           ;   in Loop: Header=BB296_16 Depth=1
	s_wait_alu 0xfffe
	s_or_b32 exec_lo, exec_lo, s22
.LBB296_1706:                           ;   in Loop: Header=BB296_16 Depth=1
	s_wait_alu 0xfffe
	s_or_b32 exec_lo, exec_lo, s21
.LBB296_1707:                           ;   in Loop: Header=BB296_16 Depth=1
	s_wait_alu 0xfffe
	s_or_b32 exec_lo, exec_lo, s20
	v_dual_mov_b32 v117, 0 :: v_dual_mov_b32 v128, 0
	s_mov_b32 s20, exec_lo
	v_cmpx_lt_u32_e32 0xffffff, v31
	s_cbranch_execz .LBB296_1715
; %bb.1708:                             ;   in Loop: Header=BB296_16 Depth=1
	v_lshrrev_b32_e32 v7, 24, v31
	v_bfrev_b32_e32 v128, 1
	s_mov_b32 s21, exec_lo
	s_delay_alu instid0(VALU_DEP_2)
	v_cmpx_ne_u32_e32 0x80, v7
	s_cbranch_execz .LBB296_1714
; %bb.1709:                             ;   in Loop: Header=BB296_16 Depth=1
	v_and_b32_e32 v51, 0x7f, v7
	v_mov_b32_e32 v128, 0x7c010000
	s_mov_b32 s22, exec_lo
	s_delay_alu instid0(VALU_DEP_2)
	v_cmpx_ne_u32_e32 0x7f, v51
	s_cbranch_execz .LBB296_1713
; %bb.1710:                             ;   in Loop: Header=BB296_16 Depth=1
	v_and_b32_e32 v6, 7, v7
	v_lshrrev_b32_e32 v23, 3, v51
	s_mov_b32 s23, exec_lo
	v_cmpx_gt_u32_e32 8, v51
; %bb.1711:                             ;   in Loop: Header=BB296_16 Depth=1
	s_delay_alu instid0(VALU_DEP_3) | instskip(NEXT) | instid1(VALU_DEP_1)
	v_clz_i32_u32_e32 v6, v6
	v_min_u32_e32 v6, 32, v6
	s_delay_alu instid0(VALU_DEP_1) | instskip(NEXT) | instid1(VALU_DEP_1)
	v_subrev_nc_u32_e32 v23, 28, v6
	v_lshlrev_b64_e32 v[128:129], v23, v[7:8]
	v_sub_nc_u32_e32 v23, 29, v6
	s_delay_alu instid0(VALU_DEP_2)
	v_and_b32_e32 v6, 7, v128
; %bb.1712:                             ;   in Loop: Header=BB296_16 Depth=1
	s_wait_alu 0xfffe
	s_or_b32 exec_lo, exec_lo, s23
	v_lshlrev_b32_e32 v7, 8, v7
	v_lshl_add_u32 v23, v23, 10, 0x2000
	v_lshlrev_b32_e32 v6, 23, v6
	s_delay_alu instid0(VALU_DEP_2) | instskip(NEXT) | instid1(VALU_DEP_1)
	v_and_or_b32 v7, 0x8000, v7, v23
	v_lshl_or_b32 v128, v7, 16, v6
.LBB296_1713:                           ;   in Loop: Header=BB296_16 Depth=1
	s_wait_alu 0xfffe
	s_or_b32 exec_lo, exec_lo, s22
.LBB296_1714:                           ;   in Loop: Header=BB296_16 Depth=1
	s_wait_alu 0xfffe
	s_or_b32 exec_lo, exec_lo, s21
.LBB296_1715:                           ;   in Loop: Header=BB296_16 Depth=1
	s_wait_alu 0xfffe
	s_or_b32 exec_lo, exec_lo, s20
	v_dual_mov_b32 v7, v32 :: v_dual_and_b32 v6, 0xff, v32
	s_mov_b32 s20, exec_lo
	s_delay_alu instid0(VALU_DEP_1)
	v_cmpx_ne_u16_e32 0, v6
	s_cbranch_execz .LBB296_1723
; %bb.1716:                             ;   in Loop: Header=BB296_16 Depth=1
	v_mov_b32_e32 v117, 0x8000
	s_mov_b32 s21, exec_lo
	v_cmpx_ne_u16_e32 0x80, v6
	s_cbranch_execz .LBB296_1722
; %bb.1717:                             ;   in Loop: Header=BB296_16 Depth=1
	v_and_b32_e32 v51, 0x7f, v32
	v_mov_b32_e32 v117, 0x7c01
	s_mov_b32 s22, exec_lo
	s_delay_alu instid0(VALU_DEP_2)
	v_cmpx_ne_u32_e32 0x7f, v51
	s_cbranch_execz .LBB296_1721
; %bb.1718:                             ;   in Loop: Header=BB296_16 Depth=1
	v_and_b32_e32 v6, 7, v32
	v_lshrrev_b32_e32 v23, 3, v51
	s_mov_b32 s23, exec_lo
	v_cmpx_gt_u32_e32 8, v51
; %bb.1719:                             ;   in Loop: Header=BB296_16 Depth=1
	s_delay_alu instid0(VALU_DEP_3) | instskip(NEXT) | instid1(VALU_DEP_1)
	v_clz_i32_u32_e32 v6, v6
	v_min_u32_e32 v6, 32, v6
	s_delay_alu instid0(VALU_DEP_1) | instskip(NEXT) | instid1(VALU_DEP_1)
	v_subrev_nc_u32_e32 v23, 28, v6
	v_lshlrev_b64_e32 v[134:135], v23, v[7:8]
	v_sub_nc_u32_e32 v23, 29, v6
	s_delay_alu instid0(VALU_DEP_2)
	v_and_b32_e32 v6, 7, v134
; %bb.1720:                             ;   in Loop: Header=BB296_16 Depth=1
	s_wait_alu 0xfffe
	s_or_b32 exec_lo, exec_lo, s23
	v_lshlrev_b32_e32 v51, 8, v32
	v_lshl_add_u32 v23, v23, 10, 0x2000
	v_lshlrev_b32_e32 v6, 7, v6
	s_delay_alu instid0(VALU_DEP_3) | instskip(NEXT) | instid1(VALU_DEP_3)
	v_and_b32_e32 v51, 0x8000, v51
	v_and_b32_e32 v23, 0xfc00, v23
	s_delay_alu instid0(VALU_DEP_1)
	v_or3_b32 v117, v51, v23, v6
.LBB296_1721:                           ;   in Loop: Header=BB296_16 Depth=1
	s_wait_alu 0xfffe
	s_or_b32 exec_lo, exec_lo, s22
.LBB296_1722:                           ;   in Loop: Header=BB296_16 Depth=1
	s_wait_alu 0xfffe
	s_or_b32 exec_lo, exec_lo, s21
.LBB296_1723:                           ;   in Loop: Header=BB296_16 Depth=1
	s_wait_alu 0xfffe
	s_or_b32 exec_lo, exec_lo, s20
	v_lshrrev_b16 v7, 8, v7
	v_mov_b32_e32 v119, 0
	v_mov_b32_e32 v129, 0
	s_mov_b32 s20, exec_lo
	s_delay_alu instid0(VALU_DEP_3)
	v_cmpx_ne_u16_e32 0, v7
	s_cbranch_execz .LBB296_1731
; %bb.1724:                             ;   in Loop: Header=BB296_16 Depth=1
	v_bfrev_b32_e32 v129, 1
	s_mov_b32 s21, exec_lo
	v_cmpx_ne_u16_e32 0x80, v7
	s_cbranch_execz .LBB296_1730
; %bb.1725:                             ;   in Loop: Header=BB296_16 Depth=1
	v_and_b32_e32 v6, 0xffff, v7
	v_mov_b32_e32 v129, 0x7c010000
	s_mov_b32 s22, exec_lo
	s_delay_alu instid0(VALU_DEP_2) | instskip(NEXT) | instid1(VALU_DEP_1)
	v_and_b32_e32 v85, 0x7f, v6
	v_cmpx_ne_u32_e32 0x7f, v85
	s_cbranch_execz .LBB296_1729
; %bb.1726:                             ;   in Loop: Header=BB296_16 Depth=1
	v_and_b32_e32 v23, 7, v6
	v_lshrrev_b32_e32 v51, 3, v85
	s_mov_b32 s23, exec_lo
	v_cmpx_gt_u32_e32 8, v85
; %bb.1727:                             ;   in Loop: Header=BB296_16 Depth=1
	s_delay_alu instid0(VALU_DEP_3) | instskip(NEXT) | instid1(VALU_DEP_1)
	v_clz_i32_u32_e32 v23, v23
	v_min_u32_e32 v23, 32, v23
	s_delay_alu instid0(VALU_DEP_1) | instskip(NEXT) | instid1(VALU_DEP_1)
	v_subrev_nc_u32_e32 v51, 28, v23
	v_lshlrev_b64_e32 v[134:135], v51, v[7:8]
	v_sub_nc_u32_e32 v51, 29, v23
	s_delay_alu instid0(VALU_DEP_2)
	v_and_b32_e32 v23, 7, v134
; %bb.1728:                             ;   in Loop: Header=BB296_16 Depth=1
	s_wait_alu 0xfffe
	s_or_b32 exec_lo, exec_lo, s23
	v_lshlrev_b32_e32 v6, 8, v6
	v_lshl_add_u32 v7, v51, 10, 0x2000
	s_delay_alu instid0(VALU_DEP_1) | instskip(SKIP_1) | instid1(VALU_DEP_1)
	v_and_or_b32 v6, 0x8000, v6, v7
	v_lshlrev_b32_e32 v7, 23, v23
	v_lshl_or_b32 v129, v6, 16, v7
.LBB296_1729:                           ;   in Loop: Header=BB296_16 Depth=1
	s_wait_alu 0xfffe
	s_or_b32 exec_lo, exec_lo, s22
.LBB296_1730:                           ;   in Loop: Header=BB296_16 Depth=1
	s_wait_alu 0xfffe
	s_or_b32 exec_lo, exec_lo, s21
.LBB296_1731:                           ;   in Loop: Header=BB296_16 Depth=1
	s_wait_alu 0xfffe
	s_or_b32 exec_lo, exec_lo, s20
	v_lshrrev_b32_e32 v7, 16, v32
	s_mov_b32 s20, exec_lo
	s_delay_alu instid0(VALU_DEP_1) | instskip(NEXT) | instid1(VALU_DEP_1)
	v_and_b32_e32 v6, 0xff, v7
	v_cmpx_ne_u16_e32 0, v6
	s_cbranch_execz .LBB296_1739
; %bb.1732:                             ;   in Loop: Header=BB296_16 Depth=1
	v_mov_b32_e32 v119, 0x8000
	s_mov_b32 s21, exec_lo
	v_cmpx_ne_u16_e32 0x80, v6
	s_cbranch_execz .LBB296_1738
; %bb.1733:                             ;   in Loop: Header=BB296_16 Depth=1
	v_bfe_u32 v51, v32, 16, 7
	v_mov_b32_e32 v119, 0x7c01
	s_mov_b32 s22, exec_lo
	s_delay_alu instid0(VALU_DEP_2)
	v_cmpx_ne_u32_e32 0x7f, v51
	s_cbranch_execz .LBB296_1737
; %bb.1734:                             ;   in Loop: Header=BB296_16 Depth=1
	v_and_b32_e32 v6, 7, v7
	v_lshrrev_b32_e32 v23, 3, v51
	s_mov_b32 s23, exec_lo
	v_cmpx_gt_u32_e32 8, v51
; %bb.1735:                             ;   in Loop: Header=BB296_16 Depth=1
	s_delay_alu instid0(VALU_DEP_3) | instskip(NEXT) | instid1(VALU_DEP_1)
	v_clz_i32_u32_e32 v6, v6
	v_min_u32_e32 v6, 32, v6
	s_delay_alu instid0(VALU_DEP_1) | instskip(NEXT) | instid1(VALU_DEP_1)
	v_subrev_nc_u32_e32 v23, 28, v6
	v_lshlrev_b64_e32 v[134:135], v23, v[7:8]
	v_sub_nc_u32_e32 v23, 29, v6
	s_delay_alu instid0(VALU_DEP_2)
	v_and_b32_e32 v6, 7, v134
; %bb.1736:                             ;   in Loop: Header=BB296_16 Depth=1
	s_wait_alu 0xfffe
	s_or_b32 exec_lo, exec_lo, s23
	v_lshlrev_b32_e32 v7, 8, v7
	v_lshl_add_u32 v23, v23, 10, 0x2000
	v_lshlrev_b32_e32 v6, 7, v6
	s_delay_alu instid0(VALU_DEP_3) | instskip(NEXT) | instid1(VALU_DEP_3)
	v_and_b32_e32 v7, 0x8000, v7
	v_and_b32_e32 v23, 0xfc00, v23
	s_delay_alu instid0(VALU_DEP_1)
	v_or3_b32 v119, v7, v23, v6
.LBB296_1737:                           ;   in Loop: Header=BB296_16 Depth=1
	s_wait_alu 0xfffe
	s_or_b32 exec_lo, exec_lo, s22
.LBB296_1738:                           ;   in Loop: Header=BB296_16 Depth=1
	s_wait_alu 0xfffe
	s_or_b32 exec_lo, exec_lo, s21
.LBB296_1739:                           ;   in Loop: Header=BB296_16 Depth=1
	s_wait_alu 0xfffe
	s_or_b32 exec_lo, exec_lo, s20
	v_dual_mov_b32 v132, 0 :: v_dual_mov_b32 v23, 0
	s_mov_b32 s20, exec_lo
	v_cmpx_lt_u64_e64 s[8:9], v[31:32]
	s_cbranch_execz .LBB296_1747
; %bb.1740:                             ;   in Loop: Header=BB296_16 Depth=1
	v_lshrrev_b32_e32 v7, 24, v32
	v_bfrev_b32_e32 v23, 1
	s_mov_b32 s21, exec_lo
	s_delay_alu instid0(VALU_DEP_2)
	v_cmpx_ne_u32_e32 0x80, v7
	s_cbranch_execz .LBB296_1746
; %bb.1741:                             ;   in Loop: Header=BB296_16 Depth=1
	v_and_b32_e32 v31, 0x7f, v7
	v_mov_b32_e32 v23, 0x7c010000
	s_mov_b32 s22, exec_lo
	s_delay_alu instid0(VALU_DEP_2)
	v_cmpx_ne_u32_e32 0x7f, v31
	s_cbranch_execz .LBB296_1745
; %bb.1742:                             ;   in Loop: Header=BB296_16 Depth=1
	v_and_b32_e32 v6, 7, v7
	v_lshrrev_b32_e32 v23, 3, v31
	s_mov_b32 s23, exec_lo
	v_cmpx_gt_u32_e32 8, v31
; %bb.1743:                             ;   in Loop: Header=BB296_16 Depth=1
	s_delay_alu instid0(VALU_DEP_3) | instskip(NEXT) | instid1(VALU_DEP_1)
	v_clz_i32_u32_e32 v6, v6
	v_min_u32_e32 v6, 32, v6
	s_delay_alu instid0(VALU_DEP_1) | instskip(NEXT) | instid1(VALU_DEP_1)
	v_subrev_nc_u32_e32 v23, 28, v6
	v_lshlrev_b64_e32 v[31:32], v23, v[7:8]
	v_sub_nc_u32_e32 v23, 29, v6
	s_delay_alu instid0(VALU_DEP_2)
	v_and_b32_e32 v6, 7, v31
; %bb.1744:                             ;   in Loop: Header=BB296_16 Depth=1
	s_wait_alu 0xfffe
	s_or_b32 exec_lo, exec_lo, s23
	v_lshlrev_b32_e32 v7, 8, v7
	v_lshl_add_u32 v23, v23, 10, 0x2000
	v_lshlrev_b32_e32 v6, 23, v6
	s_delay_alu instid0(VALU_DEP_2) | instskip(NEXT) | instid1(VALU_DEP_1)
	v_and_or_b32 v7, 0x8000, v7, v23
	v_lshl_or_b32 v23, v7, 16, v6
.LBB296_1745:                           ;   in Loop: Header=BB296_16 Depth=1
	s_wait_alu 0xfffe
	s_or_b32 exec_lo, exec_lo, s22
.LBB296_1746:                           ;   in Loop: Header=BB296_16 Depth=1
	s_wait_alu 0xfffe
	s_or_b32 exec_lo, exec_lo, s21
.LBB296_1747:                           ;   in Loop: Header=BB296_16 Depth=1
	s_wait_alu 0xfffe
	s_or_b32 exec_lo, exec_lo, s20
	flat_load_b64 v[31:32], v[28:29] offset:6664
	s_mov_b32 s20, exec_lo
	s_wait_loadcnt_dscnt 0x0
	v_and_b32_e32 v6, 0xff, v31
	s_delay_alu instid0(VALU_DEP_1)
	v_cmpx_ne_u16_e32 0, v6
	s_cbranch_execz .LBB296_1755
; %bb.1748:                             ;   in Loop: Header=BB296_16 Depth=1
	v_mov_b32_e32 v132, 0x8000
	s_mov_b32 s21, exec_lo
	v_cmpx_ne_u16_e32 0x80, v6
	s_cbranch_execz .LBB296_1754
; %bb.1749:                             ;   in Loop: Header=BB296_16 Depth=1
	v_and_b32_e32 v51, 0x7f, v31
	v_mov_b32_e32 v132, 0x7c01
	s_mov_b32 s22, exec_lo
	s_delay_alu instid0(VALU_DEP_2)
	v_cmpx_ne_u32_e32 0x7f, v51
	s_cbranch_execz .LBB296_1753
; %bb.1750:                             ;   in Loop: Header=BB296_16 Depth=1
	v_and_b32_e32 v6, 7, v31
	v_lshrrev_b32_e32 v7, 3, v51
	s_mov_b32 s23, exec_lo
	v_cmpx_gt_u32_e32 8, v51
; %bb.1751:                             ;   in Loop: Header=BB296_16 Depth=1
	s_delay_alu instid0(VALU_DEP_3) | instskip(NEXT) | instid1(VALU_DEP_1)
	v_clz_i32_u32_e32 v6, v6
	v_min_u32_e32 v51, 32, v6
	s_delay_alu instid0(VALU_DEP_1) | instskip(NEXT) | instid1(VALU_DEP_1)
	v_subrev_nc_u32_e32 v6, 28, v51
	v_lshlrev_b64_e32 v[6:7], v6, v[31:32]
	v_sub_nc_u32_e32 v7, 29, v51
	s_delay_alu instid0(VALU_DEP_2)
	v_and_b32_e32 v6, 7, v6
; %bb.1752:                             ;   in Loop: Header=BB296_16 Depth=1
	s_wait_alu 0xfffe
	s_or_b32 exec_lo, exec_lo, s23
	v_lshlrev_b32_e32 v51, 8, v31
	v_lshl_add_u32 v7, v7, 10, 0x2000
	v_lshlrev_b32_e32 v6, 7, v6
	s_delay_alu instid0(VALU_DEP_3) | instskip(NEXT) | instid1(VALU_DEP_3)
	v_and_b32_e32 v51, 0x8000, v51
	v_and_b32_e32 v7, 0xfc00, v7
	s_delay_alu instid0(VALU_DEP_1)
	v_or3_b32 v132, v51, v7, v6
.LBB296_1753:                           ;   in Loop: Header=BB296_16 Depth=1
	s_wait_alu 0xfffe
	s_or_b32 exec_lo, exec_lo, s22
.LBB296_1754:                           ;   in Loop: Header=BB296_16 Depth=1
	s_wait_alu 0xfffe
	s_or_b32 exec_lo, exec_lo, s21
.LBB296_1755:                           ;   in Loop: Header=BB296_16 Depth=1
	s_wait_alu 0xfffe
	s_or_b32 exec_lo, exec_lo, s20
	v_lshrrev_b16 v7, 8, v31
	v_dual_mov_b32 v142, 0 :: v_dual_mov_b32 v135, 0
	s_mov_b32 s20, exec_lo
	s_delay_alu instid0(VALU_DEP_2)
	v_cmpx_ne_u16_e32 0, v7
	s_cbranch_execz .LBB296_1763
; %bb.1756:                             ;   in Loop: Header=BB296_16 Depth=1
	v_bfrev_b32_e32 v135, 1
	s_mov_b32 s21, exec_lo
	v_cmpx_ne_u16_e32 0x80, v7
	s_cbranch_execz .LBB296_1762
; %bb.1757:                             ;   in Loop: Header=BB296_16 Depth=1
	v_and_b32_e32 v6, 0xffff, v7
	v_mov_b32_e32 v135, 0x7c010000
	s_mov_b32 s22, exec_lo
	s_delay_alu instid0(VALU_DEP_2) | instskip(NEXT) | instid1(VALU_DEP_1)
	v_and_b32_e32 v97, 0x7f, v6
	v_cmpx_ne_u32_e32 0x7f, v97
	s_cbranch_execz .LBB296_1761
; %bb.1758:                             ;   in Loop: Header=BB296_16 Depth=1
	v_and_b32_e32 v51, 7, v6
	v_lshrrev_b32_e32 v85, 3, v97
	s_mov_b32 s23, exec_lo
	v_cmpx_gt_u32_e32 8, v97
; %bb.1759:                             ;   in Loop: Header=BB296_16 Depth=1
	s_delay_alu instid0(VALU_DEP_3) | instskip(NEXT) | instid1(VALU_DEP_1)
	v_clz_i32_u32_e32 v51, v51
	v_min_u32_e32 v51, 32, v51
	s_delay_alu instid0(VALU_DEP_1) | instskip(NEXT) | instid1(VALU_DEP_1)
	v_subrev_nc_u32_e32 v85, 28, v51
	v_lshlrev_b64_e32 v[134:135], v85, v[7:8]
	v_sub_nc_u32_e32 v85, 29, v51
	s_delay_alu instid0(VALU_DEP_2)
	v_and_b32_e32 v51, 7, v134
; %bb.1760:                             ;   in Loop: Header=BB296_16 Depth=1
	s_wait_alu 0xfffe
	s_or_b32 exec_lo, exec_lo, s23
	v_lshlrev_b32_e32 v6, 8, v6
	v_lshl_add_u32 v7, v85, 10, 0x2000
	s_delay_alu instid0(VALU_DEP_1) | instskip(SKIP_1) | instid1(VALU_DEP_1)
	v_and_or_b32 v6, 0x8000, v6, v7
	v_lshlrev_b32_e32 v7, 23, v51
	v_lshl_or_b32 v135, v6, 16, v7
.LBB296_1761:                           ;   in Loop: Header=BB296_16 Depth=1
	s_wait_alu 0xfffe
	s_or_b32 exec_lo, exec_lo, s22
.LBB296_1762:                           ;   in Loop: Header=BB296_16 Depth=1
	s_wait_alu 0xfffe
	s_or_b32 exec_lo, exec_lo, s21
.LBB296_1763:                           ;   in Loop: Header=BB296_16 Depth=1
	s_wait_alu 0xfffe
	s_or_b32 exec_lo, exec_lo, s20
	v_lshrrev_b32_e32 v7, 16, v31
	s_mov_b32 s20, exec_lo
	s_delay_alu instid0(VALU_DEP_1) | instskip(NEXT) | instid1(VALU_DEP_1)
	v_and_b32_e32 v6, 0xff, v7
	v_cmpx_ne_u16_e32 0, v6
	s_cbranch_execz .LBB296_1771
; %bb.1764:                             ;   in Loop: Header=BB296_16 Depth=1
	v_mov_b32_e32 v142, 0x8000
	s_mov_b32 s21, exec_lo
	v_cmpx_ne_u16_e32 0x80, v6
	s_cbranch_execz .LBB296_1770
; %bb.1765:                             ;   in Loop: Header=BB296_16 Depth=1
	v_bfe_u32 v85, v31, 16, 7
	v_mov_b32_e32 v142, 0x7c01
	s_mov_b32 s22, exec_lo
	s_delay_alu instid0(VALU_DEP_2)
	v_cmpx_ne_u32_e32 0x7f, v85
	s_cbranch_execz .LBB296_1769
; %bb.1766:                             ;   in Loop: Header=BB296_16 Depth=1
	v_and_b32_e32 v6, 7, v7
	v_lshrrev_b32_e32 v51, 3, v85
	s_mov_b32 s23, exec_lo
	v_cmpx_gt_u32_e32 8, v85
; %bb.1767:                             ;   in Loop: Header=BB296_16 Depth=1
	s_delay_alu instid0(VALU_DEP_3) | instskip(NEXT) | instid1(VALU_DEP_1)
	v_clz_i32_u32_e32 v6, v6
	v_min_u32_e32 v6, 32, v6
	s_delay_alu instid0(VALU_DEP_1) | instskip(NEXT) | instid1(VALU_DEP_1)
	v_subrev_nc_u32_e32 v51, 28, v6
	v_lshlrev_b64_e32 v[150:151], v51, v[7:8]
	v_sub_nc_u32_e32 v51, 29, v6
	s_delay_alu instid0(VALU_DEP_2)
	v_and_b32_e32 v6, 7, v150
; %bb.1768:                             ;   in Loop: Header=BB296_16 Depth=1
	s_wait_alu 0xfffe
	s_or_b32 exec_lo, exec_lo, s23
	v_lshlrev_b32_e32 v7, 8, v7
	v_lshl_add_u32 v51, v51, 10, 0x2000
	v_lshlrev_b32_e32 v6, 7, v6
	s_delay_alu instid0(VALU_DEP_3) | instskip(NEXT) | instid1(VALU_DEP_3)
	v_and_b32_e32 v7, 0x8000, v7
	v_and_b32_e32 v51, 0xfc00, v51
	s_delay_alu instid0(VALU_DEP_1)
	v_or3_b32 v142, v7, v51, v6
.LBB296_1769:                           ;   in Loop: Header=BB296_16 Depth=1
	s_wait_alu 0xfffe
	s_or_b32 exec_lo, exec_lo, s22
.LBB296_1770:                           ;   in Loop: Header=BB296_16 Depth=1
	s_wait_alu 0xfffe
	s_or_b32 exec_lo, exec_lo, s21
.LBB296_1771:                           ;   in Loop: Header=BB296_16 Depth=1
	s_wait_alu 0xfffe
	s_or_b32 exec_lo, exec_lo, s20
	v_dual_mov_b32 v153, 0 :: v_dual_mov_b32 v156, 0
	s_mov_b32 s20, exec_lo
	v_cmpx_lt_u32_e32 0xffffff, v31
	s_cbranch_execz .LBB296_1779
; %bb.1772:                             ;   in Loop: Header=BB296_16 Depth=1
	v_lshrrev_b32_e32 v7, 24, v31
	v_bfrev_b32_e32 v156, 1
	s_mov_b32 s21, exec_lo
	s_delay_alu instid0(VALU_DEP_2)
	v_cmpx_ne_u32_e32 0x80, v7
	s_cbranch_execz .LBB296_1778
; %bb.1773:                             ;   in Loop: Header=BB296_16 Depth=1
	v_and_b32_e32 v85, 0x7f, v7
	v_mov_b32_e32 v156, 0x7c010000
	s_mov_b32 s22, exec_lo
	s_delay_alu instid0(VALU_DEP_2)
	v_cmpx_ne_u32_e32 0x7f, v85
	s_cbranch_execz .LBB296_1777
; %bb.1774:                             ;   in Loop: Header=BB296_16 Depth=1
	v_and_b32_e32 v6, 7, v7
	v_lshrrev_b32_e32 v51, 3, v85
	s_mov_b32 s23, exec_lo
	v_cmpx_gt_u32_e32 8, v85
; %bb.1775:                             ;   in Loop: Header=BB296_16 Depth=1
	s_delay_alu instid0(VALU_DEP_3) | instskip(NEXT) | instid1(VALU_DEP_1)
	v_clz_i32_u32_e32 v6, v6
	v_min_u32_e32 v6, 32, v6
	s_delay_alu instid0(VALU_DEP_1) | instskip(NEXT) | instid1(VALU_DEP_1)
	v_subrev_nc_u32_e32 v51, 28, v6
	v_lshlrev_b64_e32 v[150:151], v51, v[7:8]
	v_sub_nc_u32_e32 v51, 29, v6
	s_delay_alu instid0(VALU_DEP_2)
	v_and_b32_e32 v6, 7, v150
; %bb.1776:                             ;   in Loop: Header=BB296_16 Depth=1
	s_wait_alu 0xfffe
	s_or_b32 exec_lo, exec_lo, s23
	v_lshlrev_b32_e32 v7, 8, v7
	v_lshl_add_u32 v51, v51, 10, 0x2000
	v_lshlrev_b32_e32 v6, 23, v6
	s_delay_alu instid0(VALU_DEP_2) | instskip(NEXT) | instid1(VALU_DEP_1)
	v_and_or_b32 v7, 0x8000, v7, v51
	v_lshl_or_b32 v156, v7, 16, v6
.LBB296_1777:                           ;   in Loop: Header=BB296_16 Depth=1
	s_wait_alu 0xfffe
	s_or_b32 exec_lo, exec_lo, s22
.LBB296_1778:                           ;   in Loop: Header=BB296_16 Depth=1
	s_wait_alu 0xfffe
	s_or_b32 exec_lo, exec_lo, s21
.LBB296_1779:                           ;   in Loop: Header=BB296_16 Depth=1
	s_wait_alu 0xfffe
	s_or_b32 exec_lo, exec_lo, s20
	v_dual_mov_b32 v7, v32 :: v_dual_and_b32 v6, 0xff, v32
	s_mov_b32 s20, exec_lo
	s_delay_alu instid0(VALU_DEP_1)
	v_cmpx_ne_u16_e32 0, v6
	s_cbranch_execz .LBB296_1787
; %bb.1780:                             ;   in Loop: Header=BB296_16 Depth=1
	v_mov_b32_e32 v153, 0x8000
	s_mov_b32 s21, exec_lo
	v_cmpx_ne_u16_e32 0x80, v6
	s_cbranch_execz .LBB296_1786
; %bb.1781:                             ;   in Loop: Header=BB296_16 Depth=1
	v_and_b32_e32 v85, 0x7f, v32
	v_mov_b32_e32 v153, 0x7c01
	s_mov_b32 s22, exec_lo
	s_delay_alu instid0(VALU_DEP_2)
	v_cmpx_ne_u32_e32 0x7f, v85
	s_cbranch_execz .LBB296_1785
; %bb.1782:                             ;   in Loop: Header=BB296_16 Depth=1
	v_and_b32_e32 v6, 7, v32
	v_lshrrev_b32_e32 v51, 3, v85
	s_mov_b32 s23, exec_lo
	v_cmpx_gt_u32_e32 8, v85
; %bb.1783:                             ;   in Loop: Header=BB296_16 Depth=1
	s_delay_alu instid0(VALU_DEP_3) | instskip(NEXT) | instid1(VALU_DEP_1)
	v_clz_i32_u32_e32 v6, v6
	v_min_u32_e32 v6, 32, v6
	s_delay_alu instid0(VALU_DEP_1) | instskip(NEXT) | instid1(VALU_DEP_1)
	v_subrev_nc_u32_e32 v51, 28, v6
	v_lshlrev_b64_e32 v[150:151], v51, v[7:8]
	v_sub_nc_u32_e32 v51, 29, v6
	s_delay_alu instid0(VALU_DEP_2)
	v_and_b32_e32 v6, 7, v150
; %bb.1784:                             ;   in Loop: Header=BB296_16 Depth=1
	s_wait_alu 0xfffe
	s_or_b32 exec_lo, exec_lo, s23
	v_lshlrev_b32_e32 v85, 8, v32
	v_lshl_add_u32 v51, v51, 10, 0x2000
	v_lshlrev_b32_e32 v6, 7, v6
	s_delay_alu instid0(VALU_DEP_3) | instskip(NEXT) | instid1(VALU_DEP_3)
	v_and_b32_e32 v85, 0x8000, v85
	v_and_b32_e32 v51, 0xfc00, v51
	s_delay_alu instid0(VALU_DEP_1)
	v_or3_b32 v153, v85, v51, v6
.LBB296_1785:                           ;   in Loop: Header=BB296_16 Depth=1
	s_wait_alu 0xfffe
	s_or_b32 exec_lo, exec_lo, s22
.LBB296_1786:                           ;   in Loop: Header=BB296_16 Depth=1
	s_wait_alu 0xfffe
	s_or_b32 exec_lo, exec_lo, s21
.LBB296_1787:                           ;   in Loop: Header=BB296_16 Depth=1
	s_wait_alu 0xfffe
	s_or_b32 exec_lo, exec_lo, s20
	v_lshrrev_b16 v7, 8, v7
	v_mov_b32_e32 v151, 0
	v_mov_b32_e32 v159, 0
	s_mov_b32 s20, exec_lo
	s_delay_alu instid0(VALU_DEP_3)
	v_cmpx_ne_u16_e32 0, v7
	s_cbranch_execz .LBB296_1795
; %bb.1788:                             ;   in Loop: Header=BB296_16 Depth=1
	v_bfrev_b32_e32 v159, 1
	s_mov_b32 s21, exec_lo
	v_cmpx_ne_u16_e32 0x80, v7
	s_cbranch_execz .LBB296_1794
; %bb.1789:                             ;   in Loop: Header=BB296_16 Depth=1
	v_and_b32_e32 v6, 0xffff, v7
	v_mov_b32_e32 v159, 0x7c010000
	s_mov_b32 s22, exec_lo
	s_delay_alu instid0(VALU_DEP_2) | instskip(NEXT) | instid1(VALU_DEP_1)
	v_and_b32_e32 v97, 0x7f, v6
	v_cmpx_ne_u32_e32 0x7f, v97
	s_cbranch_execz .LBB296_1793
; %bb.1790:                             ;   in Loop: Header=BB296_16 Depth=1
	v_and_b32_e32 v51, 7, v6
	v_lshrrev_b32_e32 v85, 3, v97
	s_mov_b32 s23, exec_lo
	v_cmpx_gt_u32_e32 8, v97
; %bb.1791:                             ;   in Loop: Header=BB296_16 Depth=1
	s_delay_alu instid0(VALU_DEP_3) | instskip(NEXT) | instid1(VALU_DEP_1)
	v_clz_i32_u32_e32 v51, v51
	v_min_u32_e32 v51, 32, v51
	s_delay_alu instid0(VALU_DEP_1) | instskip(NEXT) | instid1(VALU_DEP_1)
	v_subrev_nc_u32_e32 v85, 28, v51
	v_lshlrev_b64_e32 v[166:167], v85, v[7:8]
	v_sub_nc_u32_e32 v85, 29, v51
	s_delay_alu instid0(VALU_DEP_2)
	v_and_b32_e32 v51, 7, v166
; %bb.1792:                             ;   in Loop: Header=BB296_16 Depth=1
	s_wait_alu 0xfffe
	s_or_b32 exec_lo, exec_lo, s23
	v_lshlrev_b32_e32 v6, 8, v6
	v_lshl_add_u32 v7, v85, 10, 0x2000
	s_delay_alu instid0(VALU_DEP_1) | instskip(SKIP_1) | instid1(VALU_DEP_1)
	v_and_or_b32 v6, 0x8000, v6, v7
	v_lshlrev_b32_e32 v7, 23, v51
	v_lshl_or_b32 v159, v6, 16, v7
.LBB296_1793:                           ;   in Loop: Header=BB296_16 Depth=1
	s_wait_alu 0xfffe
	s_or_b32 exec_lo, exec_lo, s22
.LBB296_1794:                           ;   in Loop: Header=BB296_16 Depth=1
	s_wait_alu 0xfffe
	s_or_b32 exec_lo, exec_lo, s21
.LBB296_1795:                           ;   in Loop: Header=BB296_16 Depth=1
	s_wait_alu 0xfffe
	s_or_b32 exec_lo, exec_lo, s20
	v_lshrrev_b32_e32 v7, 16, v32
	s_mov_b32 s20, exec_lo
	s_delay_alu instid0(VALU_DEP_1) | instskip(NEXT) | instid1(VALU_DEP_1)
	v_and_b32_e32 v6, 0xff, v7
	v_cmpx_ne_u16_e32 0, v6
	s_cbranch_execz .LBB296_1803
; %bb.1796:                             ;   in Loop: Header=BB296_16 Depth=1
	v_mov_b32_e32 v151, 0x8000
	s_mov_b32 s21, exec_lo
	v_cmpx_ne_u16_e32 0x80, v6
	s_cbranch_execz .LBB296_1802
; %bb.1797:                             ;   in Loop: Header=BB296_16 Depth=1
	v_bfe_u32 v85, v32, 16, 7
	v_mov_b32_e32 v151, 0x7c01
	s_mov_b32 s22, exec_lo
	s_delay_alu instid0(VALU_DEP_2)
	v_cmpx_ne_u32_e32 0x7f, v85
	s_cbranch_execz .LBB296_1801
; %bb.1798:                             ;   in Loop: Header=BB296_16 Depth=1
	v_and_b32_e32 v6, 7, v7
	v_lshrrev_b32_e32 v51, 3, v85
	s_mov_b32 s23, exec_lo
	v_cmpx_gt_u32_e32 8, v85
; %bb.1799:                             ;   in Loop: Header=BB296_16 Depth=1
	s_delay_alu instid0(VALU_DEP_3) | instskip(NEXT) | instid1(VALU_DEP_1)
	v_clz_i32_u32_e32 v6, v6
	v_min_u32_e32 v6, 32, v6
	s_delay_alu instid0(VALU_DEP_1) | instskip(NEXT) | instid1(VALU_DEP_1)
	v_subrev_nc_u32_e32 v51, 28, v6
	v_lshlrev_b64_e32 v[150:151], v51, v[7:8]
	v_sub_nc_u32_e32 v51, 29, v6
	s_delay_alu instid0(VALU_DEP_2)
	v_and_b32_e32 v6, 7, v150
; %bb.1800:                             ;   in Loop: Header=BB296_16 Depth=1
	s_wait_alu 0xfffe
	s_or_b32 exec_lo, exec_lo, s23
	v_lshlrev_b32_e32 v7, 8, v7
	v_lshl_add_u32 v51, v51, 10, 0x2000
	v_lshlrev_b32_e32 v6, 7, v6
	s_delay_alu instid0(VALU_DEP_3) | instskip(NEXT) | instid1(VALU_DEP_3)
	v_and_b32_e32 v7, 0x8000, v7
	v_and_b32_e32 v51, 0xfc00, v51
	s_delay_alu instid0(VALU_DEP_1)
	v_or3_b32 v151, v7, v51, v6
.LBB296_1801:                           ;   in Loop: Header=BB296_16 Depth=1
	s_wait_alu 0xfffe
	s_or_b32 exec_lo, exec_lo, s22
.LBB296_1802:                           ;   in Loop: Header=BB296_16 Depth=1
	s_wait_alu 0xfffe
	s_or_b32 exec_lo, exec_lo, s21
.LBB296_1803:                           ;   in Loop: Header=BB296_16 Depth=1
	s_wait_alu 0xfffe
	s_or_b32 exec_lo, exec_lo, s20
	v_mov_b32_e32 v185, 0
	v_mov_b32_e32 v167, 0
	s_mov_b32 s20, exec_lo
	v_cmpx_lt_u64_e64 s[8:9], v[31:32]
	s_cbranch_execz .LBB296_1811
; %bb.1804:                             ;   in Loop: Header=BB296_16 Depth=1
	v_lshrrev_b32_e32 v7, 24, v32
	v_bfrev_b32_e32 v167, 1
	s_mov_b32 s21, exec_lo
	s_delay_alu instid0(VALU_DEP_2)
	v_cmpx_ne_u32_e32 0x80, v7
	s_cbranch_execz .LBB296_1810
; %bb.1805:                             ;   in Loop: Header=BB296_16 Depth=1
	v_and_b32_e32 v32, 0x7f, v7
	v_mov_b32_e32 v167, 0x7c010000
	s_mov_b32 s22, exec_lo
	s_delay_alu instid0(VALU_DEP_2)
	v_cmpx_ne_u32_e32 0x7f, v32
	s_cbranch_execz .LBB296_1809
; %bb.1806:                             ;   in Loop: Header=BB296_16 Depth=1
	v_and_b32_e32 v6, 7, v7
	v_lshrrev_b32_e32 v31, 3, v32
	s_mov_b32 s23, exec_lo
	v_cmpx_gt_u32_e32 8, v32
; %bb.1807:                             ;   in Loop: Header=BB296_16 Depth=1
	s_delay_alu instid0(VALU_DEP_3) | instskip(NEXT) | instid1(VALU_DEP_1)
	v_clz_i32_u32_e32 v6, v6
	v_min_u32_e32 v6, 32, v6
	s_delay_alu instid0(VALU_DEP_1) | instskip(NEXT) | instid1(VALU_DEP_1)
	v_subrev_nc_u32_e32 v31, 28, v6
	v_lshlrev_b64_e32 v[166:167], v31, v[7:8]
	v_sub_nc_u32_e32 v31, 29, v6
	s_delay_alu instid0(VALU_DEP_2)
	v_and_b32_e32 v6, 7, v166
; %bb.1808:                             ;   in Loop: Header=BB296_16 Depth=1
	s_wait_alu 0xfffe
	s_or_b32 exec_lo, exec_lo, s23
	v_lshlrev_b32_e32 v7, 8, v7
	v_lshl_add_u32 v31, v31, 10, 0x2000
	v_lshlrev_b32_e32 v6, 23, v6
	s_delay_alu instid0(VALU_DEP_2) | instskip(NEXT) | instid1(VALU_DEP_1)
	v_and_or_b32 v7, 0x8000, v7, v31
	v_lshl_or_b32 v167, v7, 16, v6
.LBB296_1809:                           ;   in Loop: Header=BB296_16 Depth=1
	s_wait_alu 0xfffe
	s_or_b32 exec_lo, exec_lo, s22
.LBB296_1810:                           ;   in Loop: Header=BB296_16 Depth=1
	s_wait_alu 0xfffe
	s_or_b32 exec_lo, exec_lo, s21
.LBB296_1811:                           ;   in Loop: Header=BB296_16 Depth=1
	s_wait_alu 0xfffe
	s_or_b32 exec_lo, exec_lo, s20
	flat_load_b64 v[31:32], v[28:29] offset:7168
	s_mov_b32 s20, exec_lo
	s_wait_loadcnt_dscnt 0x0
	v_and_b32_e32 v6, 0xff, v31
	s_delay_alu instid0(VALU_DEP_1)
	v_cmpx_ne_u16_e32 0, v6
	s_cbranch_execz .LBB296_1819
; %bb.1812:                             ;   in Loop: Header=BB296_16 Depth=1
	v_mov_b32_e32 v185, 0x8000
	s_mov_b32 s21, exec_lo
	v_cmpx_ne_u16_e32 0x80, v6
	s_cbranch_execz .LBB296_1818
; %bb.1813:                             ;   in Loop: Header=BB296_16 Depth=1
	v_and_b32_e32 v51, 0x7f, v31
	v_mov_b32_e32 v185, 0x7c01
	s_mov_b32 s22, exec_lo
	s_delay_alu instid0(VALU_DEP_2)
	v_cmpx_ne_u32_e32 0x7f, v51
	s_cbranch_execz .LBB296_1817
; %bb.1814:                             ;   in Loop: Header=BB296_16 Depth=1
	v_and_b32_e32 v6, 7, v31
	v_lshrrev_b32_e32 v7, 3, v51
	s_mov_b32 s23, exec_lo
	v_cmpx_gt_u32_e32 8, v51
; %bb.1815:                             ;   in Loop: Header=BB296_16 Depth=1
	s_delay_alu instid0(VALU_DEP_3) | instskip(NEXT) | instid1(VALU_DEP_1)
	v_clz_i32_u32_e32 v6, v6
	v_min_u32_e32 v51, 32, v6
	s_delay_alu instid0(VALU_DEP_1) | instskip(NEXT) | instid1(VALU_DEP_1)
	v_subrev_nc_u32_e32 v6, 28, v51
	v_lshlrev_b64_e32 v[6:7], v6, v[31:32]
	v_sub_nc_u32_e32 v7, 29, v51
	s_delay_alu instid0(VALU_DEP_2)
	v_and_b32_e32 v6, 7, v6
; %bb.1816:                             ;   in Loop: Header=BB296_16 Depth=1
	s_wait_alu 0xfffe
	s_or_b32 exec_lo, exec_lo, s23
	v_lshlrev_b32_e32 v51, 8, v31
	v_lshl_add_u32 v7, v7, 10, 0x2000
	v_lshlrev_b32_e32 v6, 7, v6
	s_delay_alu instid0(VALU_DEP_3) | instskip(NEXT) | instid1(VALU_DEP_3)
	v_and_b32_e32 v51, 0x8000, v51
	v_and_b32_e32 v7, 0xfc00, v7
	s_delay_alu instid0(VALU_DEP_1)
	v_or3_b32 v185, v51, v7, v6
.LBB296_1817:                           ;   in Loop: Header=BB296_16 Depth=1
	s_wait_alu 0xfffe
	s_or_b32 exec_lo, exec_lo, s22
.LBB296_1818:                           ;   in Loop: Header=BB296_16 Depth=1
	s_wait_alu 0xfffe
	s_or_b32 exec_lo, exec_lo, s21
.LBB296_1819:                           ;   in Loop: Header=BB296_16 Depth=1
	s_wait_alu 0xfffe
	s_or_b32 exec_lo, exec_lo, s20
	v_lshrrev_b16 v7, 8, v31
	v_mov_b32_e32 v189, 0
	v_mov_b32_e32 v85, 0
	s_mov_b32 s20, exec_lo
	s_delay_alu instid0(VALU_DEP_3)
	v_cmpx_ne_u16_e32 0, v7
	s_cbranch_execz .LBB296_1827
; %bb.1820:                             ;   in Loop: Header=BB296_16 Depth=1
	v_bfrev_b32_e32 v85, 1
	s_mov_b32 s21, exec_lo
	v_cmpx_ne_u16_e32 0x80, v7
	s_cbranch_execz .LBB296_1826
; %bb.1821:                             ;   in Loop: Header=BB296_16 Depth=1
	v_and_b32_e32 v6, 0xffff, v7
	v_mov_b32_e32 v85, 0x7c010000
	s_mov_b32 s22, exec_lo
	s_delay_alu instid0(VALU_DEP_2) | instskip(NEXT) | instid1(VALU_DEP_1)
	v_and_b32_e32 v97, 0x7f, v6
	v_cmpx_ne_u32_e32 0x7f, v97
	s_cbranch_execz .LBB296_1825
; %bb.1822:                             ;   in Loop: Header=BB296_16 Depth=1
	v_and_b32_e32 v51, 7, v6
	v_lshrrev_b32_e32 v85, 3, v97
	s_mov_b32 s23, exec_lo
	v_cmpx_gt_u32_e32 8, v97
; %bb.1823:                             ;   in Loop: Header=BB296_16 Depth=1
	s_delay_alu instid0(VALU_DEP_3) | instskip(NEXT) | instid1(VALU_DEP_1)
	v_clz_i32_u32_e32 v51, v51
	v_min_u32_e32 v51, 32, v51
	s_delay_alu instid0(VALU_DEP_1) | instskip(NEXT) | instid1(VALU_DEP_1)
	v_subrev_nc_u32_e32 v85, 28, v51
	v_lshlrev_b64_e32 v[106:107], v85, v[7:8]
	v_sub_nc_u32_e32 v85, 29, v51
	s_delay_alu instid0(VALU_DEP_2)
	v_and_b32_e32 v51, 7, v106
; %bb.1824:                             ;   in Loop: Header=BB296_16 Depth=1
	s_wait_alu 0xfffe
	s_or_b32 exec_lo, exec_lo, s23
	v_lshlrev_b32_e32 v6, 8, v6
	v_lshl_add_u32 v7, v85, 10, 0x2000
	s_delay_alu instid0(VALU_DEP_1) | instskip(SKIP_1) | instid1(VALU_DEP_1)
	v_and_or_b32 v6, 0x8000, v6, v7
	v_lshlrev_b32_e32 v7, 23, v51
	v_lshl_or_b32 v85, v6, 16, v7
.LBB296_1825:                           ;   in Loop: Header=BB296_16 Depth=1
	s_wait_alu 0xfffe
	s_or_b32 exec_lo, exec_lo, s22
.LBB296_1826:                           ;   in Loop: Header=BB296_16 Depth=1
	s_wait_alu 0xfffe
	s_or_b32 exec_lo, exec_lo, s21
.LBB296_1827:                           ;   in Loop: Header=BB296_16 Depth=1
	s_wait_alu 0xfffe
	s_or_b32 exec_lo, exec_lo, s20
	v_lshrrev_b32_e32 v7, 16, v31
	s_mov_b32 s20, exec_lo
	s_delay_alu instid0(VALU_DEP_1) | instskip(NEXT) | instid1(VALU_DEP_1)
	v_and_b32_e32 v6, 0xff, v7
	v_cmpx_ne_u16_e32 0, v6
	s_cbranch_execz .LBB296_1835
; %bb.1828:                             ;   in Loop: Header=BB296_16 Depth=1
	v_mov_b32_e32 v189, 0x8000
	s_mov_b32 s21, exec_lo
	v_cmpx_ne_u16_e32 0x80, v6
	s_cbranch_execz .LBB296_1834
; %bb.1829:                             ;   in Loop: Header=BB296_16 Depth=1
	v_bfe_u32 v97, v31, 16, 7
	v_mov_b32_e32 v189, 0x7c01
	s_mov_b32 s22, exec_lo
	s_delay_alu instid0(VALU_DEP_2)
	v_cmpx_ne_u32_e32 0x7f, v97
	s_cbranch_execz .LBB296_1833
; %bb.1830:                             ;   in Loop: Header=BB296_16 Depth=1
	v_and_b32_e32 v6, 7, v7
	v_lshrrev_b32_e32 v51, 3, v97
	s_mov_b32 s23, exec_lo
	v_cmpx_gt_u32_e32 8, v97
; %bb.1831:                             ;   in Loop: Header=BB296_16 Depth=1
	s_delay_alu instid0(VALU_DEP_3) | instskip(NEXT) | instid1(VALU_DEP_1)
	v_clz_i32_u32_e32 v6, v6
	v_min_u32_e32 v6, 32, v6
	s_delay_alu instid0(VALU_DEP_1) | instskip(NEXT) | instid1(VALU_DEP_1)
	v_subrev_nc_u32_e32 v51, 28, v6
	v_lshlrev_b64_e32 v[106:107], v51, v[7:8]
	v_sub_nc_u32_e32 v51, 29, v6
	s_delay_alu instid0(VALU_DEP_2)
	v_and_b32_e32 v6, 7, v106
; %bb.1832:                             ;   in Loop: Header=BB296_16 Depth=1
	s_wait_alu 0xfffe
	s_or_b32 exec_lo, exec_lo, s23
	v_lshlrev_b32_e32 v7, 8, v7
	v_lshl_add_u32 v51, v51, 10, 0x2000
	v_lshlrev_b32_e32 v6, 7, v6
	s_delay_alu instid0(VALU_DEP_3) | instskip(NEXT) | instid1(VALU_DEP_3)
	v_and_b32_e32 v7, 0x8000, v7
	v_and_b32_e32 v51, 0xfc00, v51
	s_delay_alu instid0(VALU_DEP_1)
	v_or3_b32 v189, v7, v51, v6
.LBB296_1833:                           ;   in Loop: Header=BB296_16 Depth=1
	s_wait_alu 0xfffe
	s_or_b32 exec_lo, exec_lo, s22
.LBB296_1834:                           ;   in Loop: Header=BB296_16 Depth=1
	s_wait_alu 0xfffe
	s_or_b32 exec_lo, exec_lo, s21
.LBB296_1835:                           ;   in Loop: Header=BB296_16 Depth=1
	s_wait_alu 0xfffe
	s_or_b32 exec_lo, exec_lo, s20
	v_mov_b32_e32 v190, 0
	v_mov_b32_e32 v6, 0
	s_mov_b32 s20, exec_lo
	v_cmpx_lt_u32_e32 0xffffff, v31
	s_cbranch_execz .LBB296_1843
; %bb.1836:                             ;   in Loop: Header=BB296_16 Depth=1
	v_lshrrev_b32_e32 v7, 24, v31
	v_bfrev_b32_e32 v6, 1
	s_mov_b32 s21, exec_lo
	s_delay_alu instid0(VALU_DEP_2)
	v_cmpx_ne_u32_e32 0x80, v7
	s_cbranch_execz .LBB296_1842
; %bb.1837:                             ;   in Loop: Header=BB296_16 Depth=1
	v_and_b32_e32 v97, 0x7f, v7
	v_mov_b32_e32 v6, 0x7c010000
	s_mov_b32 s22, exec_lo
	s_delay_alu instid0(VALU_DEP_2)
	v_cmpx_ne_u32_e32 0x7f, v97
	s_cbranch_execz .LBB296_1841
; %bb.1838:                             ;   in Loop: Header=BB296_16 Depth=1
	v_and_b32_e32 v6, 7, v7
	v_lshrrev_b32_e32 v51, 3, v97
	s_mov_b32 s23, exec_lo
	v_cmpx_gt_u32_e32 8, v97
; %bb.1839:                             ;   in Loop: Header=BB296_16 Depth=1
	s_delay_alu instid0(VALU_DEP_3) | instskip(NEXT) | instid1(VALU_DEP_1)
	v_clz_i32_u32_e32 v6, v6
	v_min_u32_e32 v6, 32, v6
	s_delay_alu instid0(VALU_DEP_1) | instskip(NEXT) | instid1(VALU_DEP_1)
	v_subrev_nc_u32_e32 v51, 28, v6
	v_lshlrev_b64_e32 v[106:107], v51, v[7:8]
	v_sub_nc_u32_e32 v51, 29, v6
	s_delay_alu instid0(VALU_DEP_2)
	v_and_b32_e32 v6, 7, v106
; %bb.1840:                             ;   in Loop: Header=BB296_16 Depth=1
	s_wait_alu 0xfffe
	s_or_b32 exec_lo, exec_lo, s23
	v_lshlrev_b32_e32 v7, 8, v7
	v_lshl_add_u32 v51, v51, 10, 0x2000
	v_lshlrev_b32_e32 v6, 23, v6
	s_delay_alu instid0(VALU_DEP_2) | instskip(NEXT) | instid1(VALU_DEP_1)
	v_and_or_b32 v7, 0x8000, v7, v51
	v_lshl_or_b32 v6, v7, 16, v6
.LBB296_1841:                           ;   in Loop: Header=BB296_16 Depth=1
	s_wait_alu 0xfffe
	s_or_b32 exec_lo, exec_lo, s22
.LBB296_1842:                           ;   in Loop: Header=BB296_16 Depth=1
	s_wait_alu 0xfffe
	s_or_b32 exec_lo, exec_lo, s21
.LBB296_1843:                           ;   in Loop: Header=BB296_16 Depth=1
	s_wait_alu 0xfffe
	s_or_b32 exec_lo, exec_lo, s20
	v_and_b32_e32 v51, 0xff, v32
	v_mov_b32_e32 v7, v32
	s_mov_b32 s20, exec_lo
	s_delay_alu instid0(VALU_DEP_2)
	v_cmpx_ne_u16_e32 0, v51
	s_cbranch_execz .LBB296_1851
; %bb.1844:                             ;   in Loop: Header=BB296_16 Depth=1
	v_mov_b32_e32 v190, 0x8000
	s_mov_b32 s21, exec_lo
	v_cmpx_ne_u16_e32 0x80, v51
	s_cbranch_execz .LBB296_1850
; %bb.1845:                             ;   in Loop: Header=BB296_16 Depth=1
	v_and_b32_e32 v134, 0x7f, v32
	v_mov_b32_e32 v190, 0x7c01
	s_mov_b32 s22, exec_lo
	s_delay_alu instid0(VALU_DEP_2)
	v_cmpx_ne_u32_e32 0x7f, v134
	s_cbranch_execz .LBB296_1849
; %bb.1846:                             ;   in Loop: Header=BB296_16 Depth=1
	v_and_b32_e32 v51, 7, v32
	v_lshrrev_b32_e32 v97, 3, v134
	s_mov_b32 s23, exec_lo
	v_cmpx_gt_u32_e32 8, v134
; %bb.1847:                             ;   in Loop: Header=BB296_16 Depth=1
	s_delay_alu instid0(VALU_DEP_3) | instskip(NEXT) | instid1(VALU_DEP_1)
	v_clz_i32_u32_e32 v51, v51
	v_min_u32_e32 v51, 32, v51
	s_delay_alu instid0(VALU_DEP_1) | instskip(NEXT) | instid1(VALU_DEP_1)
	v_subrev_nc_u32_e32 v97, 28, v51
	v_lshlrev_b64_e32 v[106:107], v97, v[7:8]
	v_sub_nc_u32_e32 v97, 29, v51
	s_delay_alu instid0(VALU_DEP_2)
	v_and_b32_e32 v51, 7, v106
; %bb.1848:                             ;   in Loop: Header=BB296_16 Depth=1
	s_wait_alu 0xfffe
	s_or_b32 exec_lo, exec_lo, s23
	v_lshlrev_b32_e32 v134, 8, v32
	v_lshl_add_u32 v97, v97, 10, 0x2000
	v_lshlrev_b32_e32 v51, 7, v51
	s_delay_alu instid0(VALU_DEP_3) | instskip(NEXT) | instid1(VALU_DEP_3)
	v_and_b32_e32 v134, 0x8000, v134
	v_and_b32_e32 v97, 0xfc00, v97
	s_delay_alu instid0(VALU_DEP_1)
	v_or3_b32 v190, v134, v97, v51
.LBB296_1849:                           ;   in Loop: Header=BB296_16 Depth=1
	s_wait_alu 0xfffe
	s_or_b32 exec_lo, exec_lo, s22
.LBB296_1850:                           ;   in Loop: Header=BB296_16 Depth=1
	s_wait_alu 0xfffe
	s_or_b32 exec_lo, exec_lo, s21
.LBB296_1851:                           ;   in Loop: Header=BB296_16 Depth=1
	s_wait_alu 0xfffe
	s_or_b32 exec_lo, exec_lo, s20
	v_lshrrev_b16 v7, 8, v7
	v_dual_mov_b32 v77, 0 :: v_dual_mov_b32 v88, 0
	s_mov_b32 s20, exec_lo
	s_delay_alu instid0(VALU_DEP_2)
	v_cmpx_ne_u16_e32 0, v7
	s_cbranch_execz .LBB296_1859
; %bb.1852:                             ;   in Loop: Header=BB296_16 Depth=1
	v_bfrev_b32_e32 v88, 1
	s_mov_b32 s21, exec_lo
	v_cmpx_ne_u16_e32 0x80, v7
	s_cbranch_execz .LBB296_1858
; %bb.1853:                             ;   in Loop: Header=BB296_16 Depth=1
	v_and_b32_e32 v51, 0xffff, v7
	v_mov_b32_e32 v88, 0x7c010000
	s_mov_b32 s22, exec_lo
	s_delay_alu instid0(VALU_DEP_2) | instskip(NEXT) | instid1(VALU_DEP_1)
	v_and_b32_e32 v145, 0x7f, v51
	v_cmpx_ne_u32_e32 0x7f, v145
	s_cbranch_execz .LBB296_1857
; %bb.1854:                             ;   in Loop: Header=BB296_16 Depth=1
	v_and_b32_e32 v97, 7, v51
	v_lshrrev_b32_e32 v134, 3, v145
	s_mov_b32 s23, exec_lo
	v_cmpx_gt_u32_e32 8, v145
; %bb.1855:                             ;   in Loop: Header=BB296_16 Depth=1
	s_delay_alu instid0(VALU_DEP_3) | instskip(NEXT) | instid1(VALU_DEP_1)
	v_clz_i32_u32_e32 v97, v97
	v_min_u32_e32 v97, 32, v97
	s_delay_alu instid0(VALU_DEP_1) | instskip(NEXT) | instid1(VALU_DEP_1)
	v_subrev_nc_u32_e32 v134, 28, v97
	v_lshlrev_b64_e32 v[106:107], v134, v[7:8]
	v_sub_nc_u32_e32 v134, 29, v97
	s_delay_alu instid0(VALU_DEP_2)
	v_and_b32_e32 v97, 7, v106
; %bb.1856:                             ;   in Loop: Header=BB296_16 Depth=1
	s_wait_alu 0xfffe
	s_or_b32 exec_lo, exec_lo, s23
	v_lshlrev_b32_e32 v7, 8, v51
	v_lshl_add_u32 v51, v134, 10, 0x2000
	s_delay_alu instid0(VALU_DEP_1) | instskip(SKIP_1) | instid1(VALU_DEP_1)
	v_and_or_b32 v7, 0x8000, v7, v51
	v_lshlrev_b32_e32 v51, 23, v97
	v_lshl_or_b32 v88, v7, 16, v51
.LBB296_1857:                           ;   in Loop: Header=BB296_16 Depth=1
	s_wait_alu 0xfffe
	s_or_b32 exec_lo, exec_lo, s22
.LBB296_1858:                           ;   in Loop: Header=BB296_16 Depth=1
	s_wait_alu 0xfffe
	s_or_b32 exec_lo, exec_lo, s21
.LBB296_1859:                           ;   in Loop: Header=BB296_16 Depth=1
	s_wait_alu 0xfffe
	s_or_b32 exec_lo, exec_lo, s20
	v_lshrrev_b32_e32 v7, 16, v32
	s_mov_b32 s20, exec_lo
	s_delay_alu instid0(VALU_DEP_1) | instskip(NEXT) | instid1(VALU_DEP_1)
	v_and_b32_e32 v51, 0xff, v7
	v_cmpx_ne_u16_e32 0, v51
	s_cbranch_execz .LBB296_1867
; %bb.1860:                             ;   in Loop: Header=BB296_16 Depth=1
	v_mov_b32_e32 v77, 0x8000
	s_mov_b32 s21, exec_lo
	v_cmpx_ne_u16_e32 0x80, v51
	s_cbranch_execz .LBB296_1866
; %bb.1861:                             ;   in Loop: Header=BB296_16 Depth=1
	v_bfe_u32 v134, v32, 16, 7
	v_mov_b32_e32 v77, 0x7c01
	s_mov_b32 s22, exec_lo
	s_delay_alu instid0(VALU_DEP_2)
	v_cmpx_ne_u32_e32 0x7f, v134
	s_cbranch_execz .LBB296_1865
; %bb.1862:                             ;   in Loop: Header=BB296_16 Depth=1
	v_and_b32_e32 v51, 7, v7
	v_lshrrev_b32_e32 v97, 3, v134
	s_mov_b32 s23, exec_lo
	v_cmpx_gt_u32_e32 8, v134
; %bb.1863:                             ;   in Loop: Header=BB296_16 Depth=1
	s_delay_alu instid0(VALU_DEP_3) | instskip(NEXT) | instid1(VALU_DEP_1)
	v_clz_i32_u32_e32 v51, v51
	v_min_u32_e32 v51, 32, v51
	s_delay_alu instid0(VALU_DEP_1) | instskip(NEXT) | instid1(VALU_DEP_1)
	v_subrev_nc_u32_e32 v97, 28, v51
	v_lshlrev_b64_e32 v[106:107], v97, v[7:8]
	v_sub_nc_u32_e32 v97, 29, v51
	s_delay_alu instid0(VALU_DEP_2)
	v_and_b32_e32 v51, 7, v106
; %bb.1864:                             ;   in Loop: Header=BB296_16 Depth=1
	s_wait_alu 0xfffe
	s_or_b32 exec_lo, exec_lo, s23
	v_lshlrev_b32_e32 v7, 8, v7
	v_lshl_add_u32 v97, v97, 10, 0x2000
	v_lshlrev_b32_e32 v51, 7, v51
	s_delay_alu instid0(VALU_DEP_3) | instskip(NEXT) | instid1(VALU_DEP_3)
	v_and_b32_e32 v7, 0x8000, v7
	v_and_b32_e32 v97, 0xfc00, v97
	s_delay_alu instid0(VALU_DEP_1)
	v_or3_b32 v77, v7, v97, v51
.LBB296_1865:                           ;   in Loop: Header=BB296_16 Depth=1
	s_wait_alu 0xfffe
	s_or_b32 exec_lo, exec_lo, s22
.LBB296_1866:                           ;   in Loop: Header=BB296_16 Depth=1
	s_wait_alu 0xfffe
	s_or_b32 exec_lo, exec_lo, s21
.LBB296_1867:                           ;   in Loop: Header=BB296_16 Depth=1
	s_wait_alu 0xfffe
	s_or_b32 exec_lo, exec_lo, s20
	v_dual_mov_b32 v104, 0 :: v_dual_mov_b32 v93, 0
	s_mov_b32 s20, exec_lo
	v_cmpx_lt_u64_e64 s[8:9], v[31:32]
	s_cbranch_execz .LBB296_1875
; %bb.1868:                             ;   in Loop: Header=BB296_16 Depth=1
	v_lshrrev_b32_e32 v7, 24, v32
	v_bfrev_b32_e32 v93, 1
	s_mov_b32 s21, exec_lo
	s_delay_alu instid0(VALU_DEP_2)
	v_cmpx_ne_u32_e32 0x80, v7
	s_cbranch_execz .LBB296_1874
; %bb.1869:                             ;   in Loop: Header=BB296_16 Depth=1
	v_and_b32_e32 v51, 0x7f, v7
	v_mov_b32_e32 v93, 0x7c010000
	s_mov_b32 s22, exec_lo
	s_delay_alu instid0(VALU_DEP_2)
	v_cmpx_ne_u32_e32 0x7f, v51
	s_cbranch_execz .LBB296_1873
; %bb.1870:                             ;   in Loop: Header=BB296_16 Depth=1
	v_and_b32_e32 v31, 7, v7
	v_lshrrev_b32_e32 v32, 3, v51
	s_mov_b32 s23, exec_lo
	v_cmpx_gt_u32_e32 8, v51
; %bb.1871:                             ;   in Loop: Header=BB296_16 Depth=1
	s_delay_alu instid0(VALU_DEP_3) | instskip(NEXT) | instid1(VALU_DEP_1)
	v_clz_i32_u32_e32 v31, v31
	v_min_u32_e32 v51, 32, v31
	s_delay_alu instid0(VALU_DEP_1) | instskip(NEXT) | instid1(VALU_DEP_1)
	v_subrev_nc_u32_e32 v31, 28, v51
	v_lshlrev_b64_e32 v[31:32], v31, v[7:8]
	v_sub_nc_u32_e32 v32, 29, v51
	s_delay_alu instid0(VALU_DEP_2)
	v_and_b32_e32 v31, 7, v31
; %bb.1872:                             ;   in Loop: Header=BB296_16 Depth=1
	s_wait_alu 0xfffe
	s_or_b32 exec_lo, exec_lo, s23
	v_lshlrev_b32_e32 v7, 8, v7
	v_lshl_add_u32 v32, v32, 10, 0x2000
	v_lshlrev_b32_e32 v31, 23, v31
	s_delay_alu instid0(VALU_DEP_2) | instskip(NEXT) | instid1(VALU_DEP_1)
	v_and_or_b32 v7, 0x8000, v7, v32
	v_lshl_or_b32 v93, v7, 16, v31
.LBB296_1873:                           ;   in Loop: Header=BB296_16 Depth=1
	s_wait_alu 0xfffe
	s_or_b32 exec_lo, exec_lo, s22
.LBB296_1874:                           ;   in Loop: Header=BB296_16 Depth=1
	s_wait_alu 0xfffe
	s_or_b32 exec_lo, exec_lo, s21
.LBB296_1875:                           ;   in Loop: Header=BB296_16 Depth=1
	s_wait_alu 0xfffe
	s_or_b32 exec_lo, exec_lo, s20
	flat_load_b64 v[31:32], v[28:29] offset:7176
	s_mov_b32 s20, exec_lo
	s_wait_loadcnt_dscnt 0x0
	v_and_b32_e32 v7, 0xff, v31
	s_delay_alu instid0(VALU_DEP_1)
	v_cmpx_ne_u16_e32 0, v7
	s_cbranch_execz .LBB296_1883
; %bb.1876:                             ;   in Loop: Header=BB296_16 Depth=1
	v_mov_b32_e32 v104, 0x8000
	s_mov_b32 s21, exec_lo
	v_cmpx_ne_u16_e32 0x80, v7
	s_cbranch_execz .LBB296_1882
; %bb.1877:                             ;   in Loop: Header=BB296_16 Depth=1
	v_and_b32_e32 v97, 0x7f, v31
	v_mov_b32_e32 v104, 0x7c01
	s_mov_b32 s22, exec_lo
	s_delay_alu instid0(VALU_DEP_2)
	v_cmpx_ne_u32_e32 0x7f, v97
	s_cbranch_execz .LBB296_1881
; %bb.1878:                             ;   in Loop: Header=BB296_16 Depth=1
	v_and_b32_e32 v7, 7, v31
	v_lshrrev_b32_e32 v51, 3, v97
	s_mov_b32 s23, exec_lo
	v_cmpx_gt_u32_e32 8, v97
; %bb.1879:                             ;   in Loop: Header=BB296_16 Depth=1
	s_delay_alu instid0(VALU_DEP_3) | instskip(NEXT) | instid1(VALU_DEP_1)
	v_clz_i32_u32_e32 v7, v7
	v_min_u32_e32 v7, 32, v7
	s_delay_alu instid0(VALU_DEP_1) | instskip(NEXT) | instid1(VALU_DEP_1)
	v_subrev_nc_u32_e32 v51, 28, v7
	v_lshlrev_b64_e32 v[106:107], v51, v[31:32]
	v_sub_nc_u32_e32 v51, 29, v7
	s_delay_alu instid0(VALU_DEP_2)
	v_and_b32_e32 v7, 7, v106
; %bb.1880:                             ;   in Loop: Header=BB296_16 Depth=1
	s_wait_alu 0xfffe
	s_or_b32 exec_lo, exec_lo, s23
	v_lshlrev_b32_e32 v97, 8, v31
	v_lshl_add_u32 v51, v51, 10, 0x2000
	v_lshlrev_b32_e32 v7, 7, v7
	s_delay_alu instid0(VALU_DEP_3) | instskip(NEXT) | instid1(VALU_DEP_3)
	v_and_b32_e32 v97, 0x8000, v97
	v_and_b32_e32 v51, 0xfc00, v51
	s_delay_alu instid0(VALU_DEP_1)
	v_or3_b32 v104, v97, v51, v7
.LBB296_1881:                           ;   in Loop: Header=BB296_16 Depth=1
	s_wait_alu 0xfffe
	s_or_b32 exec_lo, exec_lo, s22
.LBB296_1882:                           ;   in Loop: Header=BB296_16 Depth=1
	s_wait_alu 0xfffe
	s_or_b32 exec_lo, exec_lo, s21
.LBB296_1883:                           ;   in Loop: Header=BB296_16 Depth=1
	s_wait_alu 0xfffe
	s_or_b32 exec_lo, exec_lo, s20
	v_lshrrev_b16 v7, 8, v31
	v_mov_b32_e32 v134, 0
	v_mov_b32_e32 v106, 0
	s_mov_b32 s20, exec_lo
	s_delay_alu instid0(VALU_DEP_3)
	v_cmpx_ne_u16_e32 0, v7
	s_cbranch_execz .LBB296_1891
; %bb.1884:                             ;   in Loop: Header=BB296_16 Depth=1
	v_bfrev_b32_e32 v106, 1
	s_mov_b32 s21, exec_lo
	v_cmpx_ne_u16_e32 0x80, v7
	s_cbranch_execz .LBB296_1890
; %bb.1885:                             ;   in Loop: Header=BB296_16 Depth=1
	v_and_b32_e32 v51, 0xffff, v7
	v_mov_b32_e32 v106, 0x7c010000
	s_mov_b32 s22, exec_lo
	s_delay_alu instid0(VALU_DEP_2) | instskip(NEXT) | instid1(VALU_DEP_1)
	v_and_b32_e32 v148, 0x7f, v51
	v_cmpx_ne_u32_e32 0x7f, v148
	s_cbranch_execz .LBB296_1889
; %bb.1886:                             ;   in Loop: Header=BB296_16 Depth=1
	v_and_b32_e32 v97, 7, v51
	v_lshrrev_b32_e32 v145, 3, v148
	s_mov_b32 s23, exec_lo
	v_cmpx_gt_u32_e32 8, v148
; %bb.1887:                             ;   in Loop: Header=BB296_16 Depth=1
	s_delay_alu instid0(VALU_DEP_3) | instskip(NEXT) | instid1(VALU_DEP_1)
	v_clz_i32_u32_e32 v97, v97
	v_min_u32_e32 v97, 32, v97
	s_delay_alu instid0(VALU_DEP_1) | instskip(NEXT) | instid1(VALU_DEP_1)
	v_subrev_nc_u32_e32 v145, 28, v97
	v_lshlrev_b64_e32 v[106:107], v145, v[7:8]
	v_sub_nc_u32_e32 v145, 29, v97
	s_delay_alu instid0(VALU_DEP_2)
	v_and_b32_e32 v97, 7, v106
; %bb.1888:                             ;   in Loop: Header=BB296_16 Depth=1
	s_wait_alu 0xfffe
	s_or_b32 exec_lo, exec_lo, s23
	v_lshlrev_b32_e32 v7, 8, v51
	v_lshl_add_u32 v51, v145, 10, 0x2000
	s_delay_alu instid0(VALU_DEP_1) | instskip(SKIP_1) | instid1(VALU_DEP_1)
	v_and_or_b32 v7, 0x8000, v7, v51
	v_lshlrev_b32_e32 v51, 23, v97
	v_lshl_or_b32 v106, v7, 16, v51
.LBB296_1889:                           ;   in Loop: Header=BB296_16 Depth=1
	s_wait_alu 0xfffe
	s_or_b32 exec_lo, exec_lo, s22
.LBB296_1890:                           ;   in Loop: Header=BB296_16 Depth=1
	s_wait_alu 0xfffe
	s_or_b32 exec_lo, exec_lo, s21
.LBB296_1891:                           ;   in Loop: Header=BB296_16 Depth=1
	s_wait_alu 0xfffe
	s_or_b32 exec_lo, exec_lo, s20
	v_lshrrev_b32_e32 v7, 16, v31
	s_mov_b32 s20, exec_lo
	s_delay_alu instid0(VALU_DEP_1) | instskip(NEXT) | instid1(VALU_DEP_1)
	v_and_b32_e32 v51, 0xff, v7
	v_cmpx_ne_u16_e32 0, v51
	s_cbranch_execz .LBB296_1899
; %bb.1892:                             ;   in Loop: Header=BB296_16 Depth=1
	v_mov_b32_e32 v134, 0x8000
	s_mov_b32 s21, exec_lo
	v_cmpx_ne_u16_e32 0x80, v51
	s_cbranch_execz .LBB296_1898
; %bb.1893:                             ;   in Loop: Header=BB296_16 Depth=1
	v_bfe_u32 v145, v31, 16, 7
	v_mov_b32_e32 v134, 0x7c01
	s_mov_b32 s22, exec_lo
	s_delay_alu instid0(VALU_DEP_2)
	v_cmpx_ne_u32_e32 0x7f, v145
	s_cbranch_execz .LBB296_1897
; %bb.1894:                             ;   in Loop: Header=BB296_16 Depth=1
	v_and_b32_e32 v51, 7, v7
	v_lshrrev_b32_e32 v97, 3, v145
	s_mov_b32 s23, exec_lo
	v_cmpx_gt_u32_e32 8, v145
; %bb.1895:                             ;   in Loop: Header=BB296_16 Depth=1
	s_delay_alu instid0(VALU_DEP_3) | instskip(NEXT) | instid1(VALU_DEP_1)
	v_clz_i32_u32_e32 v51, v51
	v_min_u32_e32 v51, 32, v51
	s_delay_alu instid0(VALU_DEP_1) | instskip(NEXT) | instid1(VALU_DEP_1)
	v_subrev_nc_u32_e32 v97, 28, v51
	v_lshlrev_b64_e32 v[122:123], v97, v[7:8]
	v_sub_nc_u32_e32 v97, 29, v51
	s_delay_alu instid0(VALU_DEP_2)
	v_and_b32_e32 v51, 7, v122
; %bb.1896:                             ;   in Loop: Header=BB296_16 Depth=1
	s_wait_alu 0xfffe
	s_or_b32 exec_lo, exec_lo, s23
	v_lshlrev_b32_e32 v7, 8, v7
	v_lshl_add_u32 v97, v97, 10, 0x2000
	v_lshlrev_b32_e32 v51, 7, v51
	s_delay_alu instid0(VALU_DEP_3) | instskip(NEXT) | instid1(VALU_DEP_3)
	v_and_b32_e32 v7, 0x8000, v7
	v_and_b32_e32 v97, 0xfc00, v97
	s_delay_alu instid0(VALU_DEP_1)
	v_or3_b32 v134, v7, v97, v51
.LBB296_1897:                           ;   in Loop: Header=BB296_16 Depth=1
	s_wait_alu 0xfffe
	s_or_b32 exec_lo, exec_lo, s22
.LBB296_1898:                           ;   in Loop: Header=BB296_16 Depth=1
	s_wait_alu 0xfffe
	s_or_b32 exec_lo, exec_lo, s21
.LBB296_1899:                           ;   in Loop: Header=BB296_16 Depth=1
	s_wait_alu 0xfffe
	s_or_b32 exec_lo, exec_lo, s20
	v_mov_b32_e32 v107, 0
	v_mov_b32_e32 v145, 0
	s_mov_b32 s20, exec_lo
	v_cmpx_lt_u32_e32 0xffffff, v31
	s_cbranch_execz .LBB296_1907
; %bb.1900:                             ;   in Loop: Header=BB296_16 Depth=1
	v_lshrrev_b32_e32 v7, 24, v31
	v_bfrev_b32_e32 v145, 1
	s_mov_b32 s21, exec_lo
	s_delay_alu instid0(VALU_DEP_2)
	v_cmpx_ne_u32_e32 0x80, v7
	s_cbranch_execz .LBB296_1906
; %bb.1901:                             ;   in Loop: Header=BB296_16 Depth=1
	v_and_b32_e32 v148, 0x7f, v7
	v_mov_b32_e32 v145, 0x7c010000
	s_mov_b32 s22, exec_lo
	s_delay_alu instid0(VALU_DEP_2)
	v_cmpx_ne_u32_e32 0x7f, v148
	s_cbranch_execz .LBB296_1905
; %bb.1902:                             ;   in Loop: Header=BB296_16 Depth=1
	v_and_b32_e32 v51, 7, v7
	v_lshrrev_b32_e32 v97, 3, v148
	s_mov_b32 s23, exec_lo
	v_cmpx_gt_u32_e32 8, v148
; %bb.1903:                             ;   in Loop: Header=BB296_16 Depth=1
	s_delay_alu instid0(VALU_DEP_3) | instskip(NEXT) | instid1(VALU_DEP_1)
	v_clz_i32_u32_e32 v51, v51
	v_min_u32_e32 v51, 32, v51
	s_delay_alu instid0(VALU_DEP_1) | instskip(NEXT) | instid1(VALU_DEP_1)
	v_subrev_nc_u32_e32 v97, 28, v51
	v_lshlrev_b64_e32 v[122:123], v97, v[7:8]
	v_sub_nc_u32_e32 v97, 29, v51
	s_delay_alu instid0(VALU_DEP_2)
	v_and_b32_e32 v51, 7, v122
; %bb.1904:                             ;   in Loop: Header=BB296_16 Depth=1
	s_wait_alu 0xfffe
	s_or_b32 exec_lo, exec_lo, s23
	v_lshlrev_b32_e32 v7, 8, v7
	v_lshl_add_u32 v97, v97, 10, 0x2000
	v_lshlrev_b32_e32 v51, 23, v51
	s_delay_alu instid0(VALU_DEP_2) | instskip(NEXT) | instid1(VALU_DEP_1)
	v_and_or_b32 v7, 0x8000, v7, v97
	v_lshl_or_b32 v145, v7, 16, v51
.LBB296_1905:                           ;   in Loop: Header=BB296_16 Depth=1
	s_wait_alu 0xfffe
	s_or_b32 exec_lo, exec_lo, s22
.LBB296_1906:                           ;   in Loop: Header=BB296_16 Depth=1
	s_wait_alu 0xfffe
	s_or_b32 exec_lo, exec_lo, s21
.LBB296_1907:                           ;   in Loop: Header=BB296_16 Depth=1
	s_wait_alu 0xfffe
	s_or_b32 exec_lo, exec_lo, s20
	v_and_b32_e32 v51, 0xff, v32
	v_mov_b32_e32 v7, v32
	s_mov_b32 s20, exec_lo
	s_delay_alu instid0(VALU_DEP_2)
	v_cmpx_ne_u16_e32 0, v51
	s_cbranch_execz .LBB296_1915
; %bb.1908:                             ;   in Loop: Header=BB296_16 Depth=1
	v_mov_b32_e32 v107, 0x8000
	s_mov_b32 s21, exec_lo
	v_cmpx_ne_u16_e32 0x80, v51
	s_cbranch_execz .LBB296_1914
; %bb.1909:                             ;   in Loop: Header=BB296_16 Depth=1
	v_and_b32_e32 v148, 0x7f, v32
	v_mov_b32_e32 v107, 0x7c01
	s_mov_b32 s22, exec_lo
	s_delay_alu instid0(VALU_DEP_2)
	v_cmpx_ne_u32_e32 0x7f, v148
	s_cbranch_execz .LBB296_1913
; %bb.1910:                             ;   in Loop: Header=BB296_16 Depth=1
	v_and_b32_e32 v51, 7, v32
	v_lshrrev_b32_e32 v97, 3, v148
	s_mov_b32 s23, exec_lo
	v_cmpx_gt_u32_e32 8, v148
; %bb.1911:                             ;   in Loop: Header=BB296_16 Depth=1
	s_delay_alu instid0(VALU_DEP_3) | instskip(NEXT) | instid1(VALU_DEP_1)
	v_clz_i32_u32_e32 v51, v51
	v_min_u32_e32 v51, 32, v51
	s_delay_alu instid0(VALU_DEP_1) | instskip(NEXT) | instid1(VALU_DEP_1)
	v_subrev_nc_u32_e32 v97, 28, v51
	v_lshlrev_b64_e32 v[122:123], v97, v[7:8]
	v_sub_nc_u32_e32 v97, 29, v51
	s_delay_alu instid0(VALU_DEP_2)
	v_and_b32_e32 v51, 7, v122
; %bb.1912:                             ;   in Loop: Header=BB296_16 Depth=1
	s_wait_alu 0xfffe
	s_or_b32 exec_lo, exec_lo, s23
	v_lshlrev_b32_e32 v148, 8, v32
	v_lshl_add_u32 v97, v97, 10, 0x2000
	v_lshlrev_b32_e32 v51, 7, v51
	s_delay_alu instid0(VALU_DEP_3) | instskip(NEXT) | instid1(VALU_DEP_3)
	v_and_b32_e32 v148, 0x8000, v148
	v_and_b32_e32 v97, 0xfc00, v97
	s_delay_alu instid0(VALU_DEP_1)
	v_or3_b32 v107, v148, v97, v51
.LBB296_1913:                           ;   in Loop: Header=BB296_16 Depth=1
	s_wait_alu 0xfffe
	s_or_b32 exec_lo, exec_lo, s22
.LBB296_1914:                           ;   in Loop: Header=BB296_16 Depth=1
	s_wait_alu 0xfffe
	s_or_b32 exec_lo, exec_lo, s21
.LBB296_1915:                           ;   in Loop: Header=BB296_16 Depth=1
	s_wait_alu 0xfffe
	s_or_b32 exec_lo, exec_lo, s20
	v_lshrrev_b16 v7, 8, v7
	v_dual_mov_b32 v109, 0 :: v_dual_mov_b32 v148, 0
	s_mov_b32 s20, exec_lo
	s_delay_alu instid0(VALU_DEP_2)
	v_cmpx_ne_u16_e32 0, v7
	s_cbranch_execz .LBB296_1923
; %bb.1916:                             ;   in Loop: Header=BB296_16 Depth=1
	v_bfrev_b32_e32 v148, 1
	s_mov_b32 s21, exec_lo
	v_cmpx_ne_u16_e32 0x80, v7
	s_cbranch_execz .LBB296_1922
; %bb.1917:                             ;   in Loop: Header=BB296_16 Depth=1
	v_and_b32_e32 v51, 0xffff, v7
	v_mov_b32_e32 v148, 0x7c010000
	s_mov_b32 s22, exec_lo
	s_delay_alu instid0(VALU_DEP_2) | instskip(NEXT) | instid1(VALU_DEP_1)
	v_and_b32_e32 v150, 0x7f, v51
	v_cmpx_ne_u32_e32 0x7f, v150
	s_cbranch_execz .LBB296_1921
; %bb.1918:                             ;   in Loop: Header=BB296_16 Depth=1
	v_and_b32_e32 v97, 7, v51
	v_lshrrev_b32_e32 v148, 3, v150
	s_mov_b32 s23, exec_lo
	v_cmpx_gt_u32_e32 8, v150
; %bb.1919:                             ;   in Loop: Header=BB296_16 Depth=1
	s_delay_alu instid0(VALU_DEP_3) | instskip(NEXT) | instid1(VALU_DEP_1)
	v_clz_i32_u32_e32 v97, v97
	v_min_u32_e32 v97, 32, v97
	s_delay_alu instid0(VALU_DEP_1) | instskip(NEXT) | instid1(VALU_DEP_1)
	v_subrev_nc_u32_e32 v148, 28, v97
	v_lshlrev_b64_e32 v[122:123], v148, v[7:8]
	v_sub_nc_u32_e32 v148, 29, v97
	s_delay_alu instid0(VALU_DEP_2)
	v_and_b32_e32 v97, 7, v122
; %bb.1920:                             ;   in Loop: Header=BB296_16 Depth=1
	s_wait_alu 0xfffe
	s_or_b32 exec_lo, exec_lo, s23
	v_lshlrev_b32_e32 v7, 8, v51
	v_lshl_add_u32 v51, v148, 10, 0x2000
	s_delay_alu instid0(VALU_DEP_1) | instskip(SKIP_1) | instid1(VALU_DEP_1)
	v_and_or_b32 v7, 0x8000, v7, v51
	v_lshlrev_b32_e32 v51, 23, v97
	v_lshl_or_b32 v148, v7, 16, v51
.LBB296_1921:                           ;   in Loop: Header=BB296_16 Depth=1
	s_wait_alu 0xfffe
	s_or_b32 exec_lo, exec_lo, s22
.LBB296_1922:                           ;   in Loop: Header=BB296_16 Depth=1
	s_wait_alu 0xfffe
	s_or_b32 exec_lo, exec_lo, s21
.LBB296_1923:                           ;   in Loop: Header=BB296_16 Depth=1
	s_wait_alu 0xfffe
	s_or_b32 exec_lo, exec_lo, s20
	v_lshrrev_b32_e32 v7, 16, v32
	s_mov_b32 s20, exec_lo
	s_delay_alu instid0(VALU_DEP_1) | instskip(NEXT) | instid1(VALU_DEP_1)
	v_and_b32_e32 v51, 0xff, v7
	v_cmpx_ne_u16_e32 0, v51
	s_cbranch_execz .LBB296_1931
; %bb.1924:                             ;   in Loop: Header=BB296_16 Depth=1
	v_mov_b32_e32 v109, 0x8000
	s_mov_b32 s21, exec_lo
	v_cmpx_ne_u16_e32 0x80, v51
	s_cbranch_execz .LBB296_1930
; %bb.1925:                             ;   in Loop: Header=BB296_16 Depth=1
	v_bfe_u32 v150, v32, 16, 7
	v_mov_b32_e32 v109, 0x7c01
	s_mov_b32 s22, exec_lo
	s_delay_alu instid0(VALU_DEP_2)
	v_cmpx_ne_u32_e32 0x7f, v150
	s_cbranch_execz .LBB296_1929
; %bb.1926:                             ;   in Loop: Header=BB296_16 Depth=1
	v_and_b32_e32 v51, 7, v7
	v_lshrrev_b32_e32 v97, 3, v150
	s_mov_b32 s23, exec_lo
	v_cmpx_gt_u32_e32 8, v150
; %bb.1927:                             ;   in Loop: Header=BB296_16 Depth=1
	s_delay_alu instid0(VALU_DEP_3) | instskip(NEXT) | instid1(VALU_DEP_1)
	v_clz_i32_u32_e32 v51, v51
	v_min_u32_e32 v51, 32, v51
	s_delay_alu instid0(VALU_DEP_1) | instskip(NEXT) | instid1(VALU_DEP_1)
	v_subrev_nc_u32_e32 v97, 28, v51
	v_lshlrev_b64_e32 v[122:123], v97, v[7:8]
	v_sub_nc_u32_e32 v97, 29, v51
	s_delay_alu instid0(VALU_DEP_2)
	v_and_b32_e32 v51, 7, v122
; %bb.1928:                             ;   in Loop: Header=BB296_16 Depth=1
	s_wait_alu 0xfffe
	s_or_b32 exec_lo, exec_lo, s23
	v_lshlrev_b32_e32 v7, 8, v7
	v_lshl_add_u32 v97, v97, 10, 0x2000
	v_lshlrev_b32_e32 v51, 7, v51
	s_delay_alu instid0(VALU_DEP_3) | instskip(NEXT) | instid1(VALU_DEP_3)
	v_and_b32_e32 v7, 0x8000, v7
	v_and_b32_e32 v97, 0xfc00, v97
	s_delay_alu instid0(VALU_DEP_1)
	v_or3_b32 v109, v7, v97, v51
.LBB296_1929:                           ;   in Loop: Header=BB296_16 Depth=1
	s_wait_alu 0xfffe
	s_or_b32 exec_lo, exec_lo, s22
.LBB296_1930:                           ;   in Loop: Header=BB296_16 Depth=1
	s_wait_alu 0xfffe
	s_or_b32 exec_lo, exec_lo, s21
.LBB296_1931:                           ;   in Loop: Header=BB296_16 Depth=1
	s_wait_alu 0xfffe
	s_or_b32 exec_lo, exec_lo, s20
	v_mov_b32_e32 v120, 0
	v_mov_b32_e32 v150, 0
	s_mov_b32 s20, exec_lo
	v_cmpx_lt_u64_e64 s[8:9], v[31:32]
	s_cbranch_execz .LBB296_1939
; %bb.1932:                             ;   in Loop: Header=BB296_16 Depth=1
	v_lshrrev_b32_e32 v7, 24, v32
	v_bfrev_b32_e32 v150, 1
	s_mov_b32 s21, exec_lo
	s_delay_alu instid0(VALU_DEP_2)
	v_cmpx_ne_u32_e32 0x80, v7
	s_cbranch_execz .LBB296_1938
; %bb.1933:                             ;   in Loop: Header=BB296_16 Depth=1
	v_and_b32_e32 v51, 0x7f, v7
	v_mov_b32_e32 v150, 0x7c010000
	s_mov_b32 s22, exec_lo
	s_delay_alu instid0(VALU_DEP_2)
	v_cmpx_ne_u32_e32 0x7f, v51
	s_cbranch_execz .LBB296_1937
; %bb.1934:                             ;   in Loop: Header=BB296_16 Depth=1
	v_and_b32_e32 v31, 7, v7
	v_lshrrev_b32_e32 v32, 3, v51
	s_mov_b32 s23, exec_lo
	v_cmpx_gt_u32_e32 8, v51
; %bb.1935:                             ;   in Loop: Header=BB296_16 Depth=1
	s_delay_alu instid0(VALU_DEP_3) | instskip(NEXT) | instid1(VALU_DEP_1)
	v_clz_i32_u32_e32 v31, v31
	v_min_u32_e32 v51, 32, v31
	s_delay_alu instid0(VALU_DEP_1) | instskip(NEXT) | instid1(VALU_DEP_1)
	v_subrev_nc_u32_e32 v31, 28, v51
	v_lshlrev_b64_e32 v[31:32], v31, v[7:8]
	v_sub_nc_u32_e32 v32, 29, v51
	s_delay_alu instid0(VALU_DEP_2)
	v_and_b32_e32 v31, 7, v31
; %bb.1936:                             ;   in Loop: Header=BB296_16 Depth=1
	s_wait_alu 0xfffe
	s_or_b32 exec_lo, exec_lo, s23
	v_lshlrev_b32_e32 v7, 8, v7
	v_lshl_add_u32 v32, v32, 10, 0x2000
	v_lshlrev_b32_e32 v31, 23, v31
	s_delay_alu instid0(VALU_DEP_2) | instskip(NEXT) | instid1(VALU_DEP_1)
	v_and_or_b32 v7, 0x8000, v7, v32
	v_lshl_or_b32 v150, v7, 16, v31
.LBB296_1937:                           ;   in Loop: Header=BB296_16 Depth=1
	s_wait_alu 0xfffe
	s_or_b32 exec_lo, exec_lo, s22
.LBB296_1938:                           ;   in Loop: Header=BB296_16 Depth=1
	s_wait_alu 0xfffe
	s_or_b32 exec_lo, exec_lo, s21
.LBB296_1939:                           ;   in Loop: Header=BB296_16 Depth=1
	s_wait_alu 0xfffe
	s_or_b32 exec_lo, exec_lo, s20
	flat_load_b64 v[31:32], v[28:29] offset:7680
	s_mov_b32 s20, exec_lo
	s_wait_loadcnt_dscnt 0x0
	v_and_b32_e32 v7, 0xff, v31
	s_delay_alu instid0(VALU_DEP_1)
	v_cmpx_ne_u16_e32 0, v7
	s_cbranch_execz .LBB296_1947
; %bb.1940:                             ;   in Loop: Header=BB296_16 Depth=1
	v_mov_b32_e32 v120, 0x8000
	s_mov_b32 s21, exec_lo
	v_cmpx_ne_u16_e32 0x80, v7
	s_cbranch_execz .LBB296_1946
; %bb.1941:                             ;   in Loop: Header=BB296_16 Depth=1
	v_and_b32_e32 v97, 0x7f, v31
	v_mov_b32_e32 v120, 0x7c01
	s_mov_b32 s22, exec_lo
	s_delay_alu instid0(VALU_DEP_2)
	v_cmpx_ne_u32_e32 0x7f, v97
	s_cbranch_execz .LBB296_1945
; %bb.1942:                             ;   in Loop: Header=BB296_16 Depth=1
	v_and_b32_e32 v7, 7, v31
	v_lshrrev_b32_e32 v51, 3, v97
	s_mov_b32 s23, exec_lo
	v_cmpx_gt_u32_e32 8, v97
; %bb.1943:                             ;   in Loop: Header=BB296_16 Depth=1
	s_delay_alu instid0(VALU_DEP_3) | instskip(NEXT) | instid1(VALU_DEP_1)
	v_clz_i32_u32_e32 v7, v7
	v_min_u32_e32 v7, 32, v7
	s_delay_alu instid0(VALU_DEP_1) | instskip(NEXT) | instid1(VALU_DEP_1)
	v_subrev_nc_u32_e32 v51, 28, v7
	v_lshlrev_b64_e32 v[122:123], v51, v[31:32]
	v_sub_nc_u32_e32 v51, 29, v7
	s_delay_alu instid0(VALU_DEP_2)
	v_and_b32_e32 v7, 7, v122
; %bb.1944:                             ;   in Loop: Header=BB296_16 Depth=1
	s_wait_alu 0xfffe
	s_or_b32 exec_lo, exec_lo, s23
	v_lshlrev_b32_e32 v97, 8, v31
	v_lshl_add_u32 v51, v51, 10, 0x2000
	v_lshlrev_b32_e32 v7, 7, v7
	s_delay_alu instid0(VALU_DEP_3) | instskip(NEXT) | instid1(VALU_DEP_3)
	v_and_b32_e32 v97, 0x8000, v97
	v_and_b32_e32 v51, 0xfc00, v51
	s_delay_alu instid0(VALU_DEP_1)
	v_or3_b32 v120, v97, v51, v7
.LBB296_1945:                           ;   in Loop: Header=BB296_16 Depth=1
	s_wait_alu 0xfffe
	s_or_b32 exec_lo, exec_lo, s22
.LBB296_1946:                           ;   in Loop: Header=BB296_16 Depth=1
	s_wait_alu 0xfffe
	s_or_b32 exec_lo, exec_lo, s21
.LBB296_1947:                           ;   in Loop: Header=BB296_16 Depth=1
	s_wait_alu 0xfffe
	s_or_b32 exec_lo, exec_lo, s20
	v_lshrrev_b16 v7, 8, v31
	v_dual_mov_b32 v122, 0 :: v_dual_mov_b32 v161, 0
	s_mov_b32 s20, exec_lo
	s_delay_alu instid0(VALU_DEP_2)
	v_cmpx_ne_u16_e32 0, v7
	s_cbranch_execz .LBB296_1955
; %bb.1948:                             ;   in Loop: Header=BB296_16 Depth=1
	v_bfrev_b32_e32 v161, 1
	s_mov_b32 s21, exec_lo
	v_cmpx_ne_u16_e32 0x80, v7
	s_cbranch_execz .LBB296_1954
; %bb.1949:                             ;   in Loop: Header=BB296_16 Depth=1
	v_and_b32_e32 v51, 0xffff, v7
	v_mov_b32_e32 v161, 0x7c010000
	s_mov_b32 s22, exec_lo
	s_delay_alu instid0(VALU_DEP_2) | instskip(NEXT) | instid1(VALU_DEP_1)
	v_and_b32_e32 v164, 0x7f, v51
	v_cmpx_ne_u32_e32 0x7f, v164
	s_cbranch_execz .LBB296_1953
; %bb.1950:                             ;   in Loop: Header=BB296_16 Depth=1
	v_and_b32_e32 v97, 7, v51
	v_lshrrev_b32_e32 v161, 3, v164
	s_mov_b32 s23, exec_lo
	v_cmpx_gt_u32_e32 8, v164
	s_cbranch_execz .LBB296_1952
; %bb.1951:                             ;   in Loop: Header=BB296_16 Depth=1
	v_clz_i32_u32_e32 v97, v97
	v_mov_b32_e32 v164, v183
	v_mov_b32_e32 v166, v182
	s_delay_alu instid0(VALU_DEP_3) | instskip(NEXT) | instid1(VALU_DEP_1)
	v_min_u32_e32 v97, 32, v97
	v_subrev_nc_u32_e32 v161, 28, v97
	s_delay_alu instid0(VALU_DEP_1) | instskip(SKIP_1) | instid1(VALU_DEP_2)
	v_lshlrev_b64_e32 v[182:183], v161, v[7:8]
	v_sub_nc_u32_e32 v161, 29, v97
	v_and_b32_e32 v97, 7, v182
	v_dual_mov_b32 v183, v164 :: v_dual_mov_b32 v182, v166
.LBB296_1952:                           ;   in Loop: Header=BB296_16 Depth=1
	s_wait_alu 0xfffe
	s_or_b32 exec_lo, exec_lo, s23
	v_lshlrev_b32_e32 v7, 8, v51
	v_lshl_add_u32 v51, v161, 10, 0x2000
	s_delay_alu instid0(VALU_DEP_1) | instskip(SKIP_1) | instid1(VALU_DEP_1)
	v_and_or_b32 v7, 0x8000, v7, v51
	v_lshlrev_b32_e32 v51, 23, v97
	v_lshl_or_b32 v161, v7, 16, v51
.LBB296_1953:                           ;   in Loop: Header=BB296_16 Depth=1
	s_wait_alu 0xfffe
	s_or_b32 exec_lo, exec_lo, s22
.LBB296_1954:                           ;   in Loop: Header=BB296_16 Depth=1
	s_wait_alu 0xfffe
	s_or_b32 exec_lo, exec_lo, s21
.LBB296_1955:                           ;   in Loop: Header=BB296_16 Depth=1
	s_wait_alu 0xfffe
	s_or_b32 exec_lo, exec_lo, s20
	v_lshrrev_b32_e32 v7, 16, v31
	s_mov_b32 s20, exec_lo
	s_delay_alu instid0(VALU_DEP_1) | instskip(NEXT) | instid1(VALU_DEP_1)
	v_and_b32_e32 v51, 0xff, v7
	v_cmpx_ne_u16_e32 0, v51
	s_cbranch_execz .LBB296_1963
; %bb.1956:                             ;   in Loop: Header=BB296_16 Depth=1
	v_mov_b32_e32 v122, 0x8000
	s_mov_b32 s21, exec_lo
	v_cmpx_ne_u16_e32 0x80, v51
	s_cbranch_execz .LBB296_1962
; %bb.1957:                             ;   in Loop: Header=BB296_16 Depth=1
	v_bfe_u32 v164, v31, 16, 7
	v_mov_b32_e32 v122, 0x7c01
	s_mov_b32 s22, exec_lo
	s_delay_alu instid0(VALU_DEP_2)
	v_cmpx_ne_u32_e32 0x7f, v164
	s_cbranch_execz .LBB296_1961
; %bb.1958:                             ;   in Loop: Header=BB296_16 Depth=1
	v_and_b32_e32 v51, 7, v7
	v_lshrrev_b32_e32 v97, 3, v164
	s_mov_b32 s23, exec_lo
	v_cmpx_gt_u32_e32 8, v164
	s_cbranch_execz .LBB296_1960
; %bb.1959:                             ;   in Loop: Header=BB296_16 Depth=1
	v_clz_i32_u32_e32 v51, v51
	v_mov_b32_e32 v164, v183
	v_mov_b32_e32 v166, v182
	s_delay_alu instid0(VALU_DEP_3) | instskip(NEXT) | instid1(VALU_DEP_1)
	v_min_u32_e32 v51, 32, v51
	v_subrev_nc_u32_e32 v97, 28, v51
	s_delay_alu instid0(VALU_DEP_1) | instskip(SKIP_1) | instid1(VALU_DEP_2)
	v_lshlrev_b64_e32 v[182:183], v97, v[7:8]
	v_sub_nc_u32_e32 v97, 29, v51
	v_and_b32_e32 v51, 7, v182
	v_dual_mov_b32 v183, v164 :: v_dual_mov_b32 v182, v166
.LBB296_1960:                           ;   in Loop: Header=BB296_16 Depth=1
	s_wait_alu 0xfffe
	s_or_b32 exec_lo, exec_lo, s23
	v_lshlrev_b32_e32 v7, 8, v7
	v_lshl_add_u32 v97, v97, 10, 0x2000
	v_lshlrev_b32_e32 v51, 7, v51
	s_delay_alu instid0(VALU_DEP_3) | instskip(NEXT) | instid1(VALU_DEP_3)
	v_and_b32_e32 v7, 0x8000, v7
	v_and_b32_e32 v97, 0xfc00, v97
	s_delay_alu instid0(VALU_DEP_1)
	v_or3_b32 v122, v7, v97, v51
.LBB296_1961:                           ;   in Loop: Header=BB296_16 Depth=1
	s_wait_alu 0xfffe
	s_or_b32 exec_lo, exec_lo, s22
.LBB296_1962:                           ;   in Loop: Header=BB296_16 Depth=1
	s_wait_alu 0xfffe
	s_or_b32 exec_lo, exec_lo, s21
.LBB296_1963:                           ;   in Loop: Header=BB296_16 Depth=1
	s_wait_alu 0xfffe
	s_or_b32 exec_lo, exec_lo, s20
	v_dual_mov_b32 v164, 0 :: v_dual_mov_b32 v123, 0
	s_mov_b32 s20, exec_lo
	v_cmpx_lt_u32_e32 0xffffff, v31
	s_cbranch_execz .LBB296_1971
; %bb.1964:                             ;   in Loop: Header=BB296_16 Depth=1
	v_lshrrev_b32_e32 v7, 24, v31
	v_bfrev_b32_e32 v123, 1
	s_mov_b32 s21, exec_lo
	s_delay_alu instid0(VALU_DEP_2)
	v_cmpx_ne_u32_e32 0x80, v7
	s_cbranch_execz .LBB296_1970
; %bb.1965:                             ;   in Loop: Header=BB296_16 Depth=1
	v_and_b32_e32 v166, 0x7f, v7
	v_mov_b32_e32 v123, 0x7c010000
	s_mov_b32 s22, exec_lo
	s_delay_alu instid0(VALU_DEP_2)
	v_cmpx_ne_u32_e32 0x7f, v166
	s_cbranch_execz .LBB296_1969
; %bb.1966:                             ;   in Loop: Header=BB296_16 Depth=1
	v_and_b32_e32 v51, 7, v7
	v_lshrrev_b32_e32 v97, 3, v166
	s_mov_b32 s23, exec_lo
	v_cmpx_gt_u32_e32 8, v166
	s_cbranch_execz .LBB296_1968
; %bb.1967:                             ;   in Loop: Header=BB296_16 Depth=1
	v_clz_i32_u32_e32 v51, v51
	v_dual_mov_b32 v166, v183 :: v_dual_mov_b32 v177, v182
	s_delay_alu instid0(VALU_DEP_2) | instskip(NEXT) | instid1(VALU_DEP_1)
	v_min_u32_e32 v51, 32, v51
	v_subrev_nc_u32_e32 v97, 28, v51
	s_delay_alu instid0(VALU_DEP_1) | instskip(NEXT) | instid1(VALU_DEP_4)
	v_lshlrev_b64_e32 v[182:183], v97, v[7:8]
	v_mov_b32_e32 v183, v166
	v_sub_nc_u32_e32 v97, 29, v51
	s_delay_alu instid0(VALU_DEP_3)
	v_dual_mov_b32 v182, v177 :: v_dual_and_b32 v51, 7, v182
.LBB296_1968:                           ;   in Loop: Header=BB296_16 Depth=1
	s_wait_alu 0xfffe
	s_or_b32 exec_lo, exec_lo, s23
	v_lshlrev_b32_e32 v7, 8, v7
	v_lshl_add_u32 v97, v97, 10, 0x2000
	v_lshlrev_b32_e32 v51, 23, v51
	s_delay_alu instid0(VALU_DEP_2) | instskip(NEXT) | instid1(VALU_DEP_1)
	v_and_or_b32 v7, 0x8000, v7, v97
	v_lshl_or_b32 v123, v7, 16, v51
.LBB296_1969:                           ;   in Loop: Header=BB296_16 Depth=1
	s_wait_alu 0xfffe
	s_or_b32 exec_lo, exec_lo, s22
.LBB296_1970:                           ;   in Loop: Header=BB296_16 Depth=1
	s_wait_alu 0xfffe
	s_or_b32 exec_lo, exec_lo, s21
.LBB296_1971:                           ;   in Loop: Header=BB296_16 Depth=1
	s_wait_alu 0xfffe
	s_or_b32 exec_lo, exec_lo, s20
	v_and_b32_e32 v51, 0xff, v32
	v_mov_b32_e32 v7, v32
	s_mov_b32 s20, exec_lo
	s_delay_alu instid0(VALU_DEP_2)
	v_cmpx_ne_u16_e32 0, v51
	s_cbranch_execz .LBB296_1979
; %bb.1972:                             ;   in Loop: Header=BB296_16 Depth=1
	v_mov_b32_e32 v164, 0x8000
	s_mov_b32 s21, exec_lo
	v_cmpx_ne_u16_e32 0x80, v51
	s_cbranch_execz .LBB296_1978
; %bb.1973:                             ;   in Loop: Header=BB296_16 Depth=1
	v_and_b32_e32 v166, 0x7f, v32
	v_mov_b32_e32 v164, 0x7c01
	s_mov_b32 s22, exec_lo
	s_delay_alu instid0(VALU_DEP_2)
	v_cmpx_ne_u32_e32 0x7f, v166
	s_cbranch_execz .LBB296_1977
; %bb.1974:                             ;   in Loop: Header=BB296_16 Depth=1
	v_and_b32_e32 v51, 7, v32
	v_lshrrev_b32_e32 v97, 3, v166
	s_mov_b32 s23, exec_lo
	v_cmpx_gt_u32_e32 8, v166
	s_cbranch_execz .LBB296_1976
; %bb.1975:                             ;   in Loop: Header=BB296_16 Depth=1
	v_clz_i32_u32_e32 v51, v51
	v_mov_b32_e32 v164, v183
	v_mov_b32_e32 v166, v182
	s_delay_alu instid0(VALU_DEP_3) | instskip(NEXT) | instid1(VALU_DEP_1)
	v_min_u32_e32 v51, 32, v51
	v_subrev_nc_u32_e32 v97, 28, v51
	s_delay_alu instid0(VALU_DEP_1) | instskip(SKIP_1) | instid1(VALU_DEP_2)
	v_lshlrev_b64_e32 v[182:183], v97, v[7:8]
	v_sub_nc_u32_e32 v97, 29, v51
	v_and_b32_e32 v51, 7, v182
	v_dual_mov_b32 v183, v164 :: v_dual_mov_b32 v182, v166
.LBB296_1976:                           ;   in Loop: Header=BB296_16 Depth=1
	s_wait_alu 0xfffe
	s_or_b32 exec_lo, exec_lo, s23
	v_lshlrev_b32_e32 v164, 8, v32
	v_lshl_add_u32 v97, v97, 10, 0x2000
	v_lshlrev_b32_e32 v51, 7, v51
	s_delay_alu instid0(VALU_DEP_3) | instskip(NEXT) | instid1(VALU_DEP_3)
	v_and_b32_e32 v164, 0x8000, v164
	v_and_b32_e32 v97, 0xfc00, v97
	s_delay_alu instid0(VALU_DEP_1)
	v_or3_b32 v164, v164, v97, v51
.LBB296_1977:                           ;   in Loop: Header=BB296_16 Depth=1
	s_wait_alu 0xfffe
	s_or_b32 exec_lo, exec_lo, s22
.LBB296_1978:                           ;   in Loop: Header=BB296_16 Depth=1
	s_wait_alu 0xfffe
	s_or_b32 exec_lo, exec_lo, s21
.LBB296_1979:                           ;   in Loop: Header=BB296_16 Depth=1
	s_wait_alu 0xfffe
	s_or_b32 exec_lo, exec_lo, s20
	v_lshrrev_b16 v7, 8, v7
	v_mov_b32_e32 v166, 0
	v_mov_b32_e32 v184, 0
	s_mov_b32 s20, exec_lo
	s_delay_alu instid0(VALU_DEP_3)
	v_cmpx_ne_u16_e32 0, v7
	s_cbranch_execz .LBB296_1987
; %bb.1980:                             ;   in Loop: Header=BB296_16 Depth=1
	v_bfrev_b32_e32 v184, 1
	s_mov_b32 s21, exec_lo
	v_cmpx_ne_u16_e32 0x80, v7
	s_cbranch_execz .LBB296_1986
; %bb.1981:                             ;   in Loop: Header=BB296_16 Depth=1
	v_and_b32_e32 v51, 0xffff, v7
	v_mov_b32_e32 v184, 0x7c010000
	s_mov_b32 s22, exec_lo
	s_delay_alu instid0(VALU_DEP_2) | instskip(NEXT) | instid1(VALU_DEP_1)
	v_and_b32_e32 v126, 0x7f, v51
	v_cmpx_ne_u32_e32 0x7f, v126
	s_cbranch_execz .LBB296_1985
; %bb.1982:                             ;   in Loop: Header=BB296_16 Depth=1
	v_and_b32_e32 v97, 7, v51
	v_lshrrev_b32_e32 v177, 3, v126
	s_mov_b32 s23, exec_lo
	v_cmpx_gt_u32_e32 8, v126
	s_cbranch_execz .LBB296_1984
; %bb.1983:                             ;   in Loop: Header=BB296_16 Depth=1
	v_clz_i32_u32_e32 v97, v97
	v_mov_b32_e32 v180, v183
	v_mov_b32_e32 v126, v182
	s_delay_alu instid0(VALU_DEP_3) | instskip(NEXT) | instid1(VALU_DEP_1)
	v_min_u32_e32 v97, 32, v97
	v_subrev_nc_u32_e32 v177, 28, v97
	s_delay_alu instid0(VALU_DEP_1) | instskip(SKIP_1) | instid1(VALU_DEP_2)
	v_lshlrev_b64_e32 v[182:183], v177, v[7:8]
	v_sub_nc_u32_e32 v177, 29, v97
	v_and_b32_e32 v97, 7, v182
	v_dual_mov_b32 v183, v180 :: v_dual_mov_b32 v182, v126
.LBB296_1984:                           ;   in Loop: Header=BB296_16 Depth=1
	s_wait_alu 0xfffe
	s_or_b32 exec_lo, exec_lo, s23
	v_lshlrev_b32_e32 v7, 8, v51
	v_lshl_add_u32 v51, v177, 10, 0x2000
	s_delay_alu instid0(VALU_DEP_1) | instskip(SKIP_1) | instid1(VALU_DEP_1)
	v_and_or_b32 v7, 0x8000, v7, v51
	v_lshlrev_b32_e32 v51, 23, v97
	v_lshl_or_b32 v184, v7, 16, v51
.LBB296_1985:                           ;   in Loop: Header=BB296_16 Depth=1
	s_wait_alu 0xfffe
	s_or_b32 exec_lo, exec_lo, s22
.LBB296_1986:                           ;   in Loop: Header=BB296_16 Depth=1
	s_wait_alu 0xfffe
	s_or_b32 exec_lo, exec_lo, s21
.LBB296_1987:                           ;   in Loop: Header=BB296_16 Depth=1
	s_wait_alu 0xfffe
	s_or_b32 exec_lo, exec_lo, s20
	v_lshrrev_b32_e32 v7, 16, v32
	s_mov_b32 s20, exec_lo
	s_delay_alu instid0(VALU_DEP_1) | instskip(NEXT) | instid1(VALU_DEP_1)
	v_and_b32_e32 v51, 0xff, v7
	v_cmpx_ne_u16_e32 0, v51
	s_cbranch_execz .LBB296_1995
; %bb.1988:                             ;   in Loop: Header=BB296_16 Depth=1
	v_mov_b32_e32 v166, 0x8000
	s_mov_b32 s21, exec_lo
	v_cmpx_ne_u16_e32 0x80, v51
	s_cbranch_execz .LBB296_1994
; %bb.1989:                             ;   in Loop: Header=BB296_16 Depth=1
	v_bfe_u32 v177, v32, 16, 7
	v_mov_b32_e32 v166, 0x7c01
	s_mov_b32 s22, exec_lo
	s_delay_alu instid0(VALU_DEP_2)
	v_cmpx_ne_u32_e32 0x7f, v177
	s_cbranch_execz .LBB296_1993
; %bb.1990:                             ;   in Loop: Header=BB296_16 Depth=1
	v_and_b32_e32 v51, 7, v7
	v_lshrrev_b32_e32 v97, 3, v177
	s_mov_b32 s23, exec_lo
	v_cmpx_gt_u32_e32 8, v177
	s_cbranch_execz .LBB296_1992
; %bb.1991:                             ;   in Loop: Header=BB296_16 Depth=1
	v_clz_i32_u32_e32 v51, v51
	v_dual_mov_b32 v166, v183 :: v_dual_mov_b32 v177, v182
	s_delay_alu instid0(VALU_DEP_2) | instskip(NEXT) | instid1(VALU_DEP_1)
	v_min_u32_e32 v51, 32, v51
	v_subrev_nc_u32_e32 v97, 28, v51
	s_delay_alu instid0(VALU_DEP_1) | instskip(NEXT) | instid1(VALU_DEP_4)
	v_lshlrev_b64_e32 v[182:183], v97, v[7:8]
	v_mov_b32_e32 v183, v166
	v_sub_nc_u32_e32 v97, 29, v51
	s_delay_alu instid0(VALU_DEP_3)
	v_dual_mov_b32 v182, v177 :: v_dual_and_b32 v51, 7, v182
.LBB296_1992:                           ;   in Loop: Header=BB296_16 Depth=1
	s_wait_alu 0xfffe
	s_or_b32 exec_lo, exec_lo, s23
	v_lshlrev_b32_e32 v7, 8, v7
	v_lshl_add_u32 v97, v97, 10, 0x2000
	v_lshlrev_b32_e32 v51, 7, v51
	s_delay_alu instid0(VALU_DEP_3) | instskip(NEXT) | instid1(VALU_DEP_3)
	v_and_b32_e32 v7, 0x8000, v7
	v_and_b32_e32 v97, 0xfc00, v97
	s_delay_alu instid0(VALU_DEP_1)
	v_or3_b32 v166, v7, v97, v51
.LBB296_1993:                           ;   in Loop: Header=BB296_16 Depth=1
	s_wait_alu 0xfffe
	s_or_b32 exec_lo, exec_lo, s22
.LBB296_1994:                           ;   in Loop: Header=BB296_16 Depth=1
	s_wait_alu 0xfffe
	s_or_b32 exec_lo, exec_lo, s21
.LBB296_1995:                           ;   in Loop: Header=BB296_16 Depth=1
	s_wait_alu 0xfffe
	s_or_b32 exec_lo, exec_lo, s20
	v_dual_mov_b32 v97, 0 :: v_dual_mov_b32 v126, 0
	s_mov_b32 s20, exec_lo
	v_cmpx_lt_u64_e64 s[8:9], v[31:32]
	s_cbranch_execz .LBB296_2003
; %bb.1996:                             ;   in Loop: Header=BB296_16 Depth=1
	v_lshrrev_b32_e32 v7, 24, v32
	v_bfrev_b32_e32 v126, 1
	s_mov_b32 s21, exec_lo
	s_delay_alu instid0(VALU_DEP_2)
	v_cmpx_ne_u32_e32 0x80, v7
	s_cbranch_execz .LBB296_2002
; %bb.1997:                             ;   in Loop: Header=BB296_16 Depth=1
	v_and_b32_e32 v51, 0x7f, v7
	v_mov_b32_e32 v126, 0x7c010000
	s_mov_b32 s22, exec_lo
	s_delay_alu instid0(VALU_DEP_2)
	v_cmpx_ne_u32_e32 0x7f, v51
	s_cbranch_execz .LBB296_2001
; %bb.1998:                             ;   in Loop: Header=BB296_16 Depth=1
	v_and_b32_e32 v31, 7, v7
	v_lshrrev_b32_e32 v32, 3, v51
	s_mov_b32 s23, exec_lo
	v_cmpx_gt_u32_e32 8, v51
; %bb.1999:                             ;   in Loop: Header=BB296_16 Depth=1
	s_delay_alu instid0(VALU_DEP_3) | instskip(NEXT) | instid1(VALU_DEP_1)
	v_clz_i32_u32_e32 v31, v31
	v_min_u32_e32 v51, 32, v31
	s_delay_alu instid0(VALU_DEP_1) | instskip(NEXT) | instid1(VALU_DEP_1)
	v_subrev_nc_u32_e32 v31, 28, v51
	v_lshlrev_b64_e32 v[31:32], v31, v[7:8]
	v_sub_nc_u32_e32 v32, 29, v51
	s_delay_alu instid0(VALU_DEP_2)
	v_and_b32_e32 v31, 7, v31
; %bb.2000:                             ;   in Loop: Header=BB296_16 Depth=1
	s_wait_alu 0xfffe
	s_or_b32 exec_lo, exec_lo, s23
	v_lshlrev_b32_e32 v7, 8, v7
	v_lshl_add_u32 v32, v32, 10, 0x2000
	v_lshlrev_b32_e32 v31, 23, v31
	s_delay_alu instid0(VALU_DEP_2) | instskip(NEXT) | instid1(VALU_DEP_1)
	v_and_or_b32 v7, 0x8000, v7, v32
	v_lshl_or_b32 v126, v7, 16, v31
.LBB296_2001:                           ;   in Loop: Header=BB296_16 Depth=1
	s_wait_alu 0xfffe
	s_or_b32 exec_lo, exec_lo, s22
.LBB296_2002:                           ;   in Loop: Header=BB296_16 Depth=1
	s_wait_alu 0xfffe
	s_or_b32 exec_lo, exec_lo, s21
.LBB296_2003:                           ;   in Loop: Header=BB296_16 Depth=1
	s_wait_alu 0xfffe
	s_or_b32 exec_lo, exec_lo, s20
	flat_load_b64 v[28:29], v[28:29] offset:7688
	s_mov_b32 s20, exec_lo
	s_wait_loadcnt_dscnt 0x0
	v_and_b32_e32 v7, 0xff, v28
	s_delay_alu instid0(VALU_DEP_1)
	v_cmpx_ne_u16_e32 0, v7
	s_cbranch_execz .LBB296_2011
; %bb.2004:                             ;   in Loop: Header=BB296_16 Depth=1
	v_mov_b32_e32 v97, 0x8000
	s_mov_b32 s21, exec_lo
	v_cmpx_ne_u16_e32 0x80, v7
	s_cbranch_execz .LBB296_2010
; %bb.2005:                             ;   in Loop: Header=BB296_16 Depth=1
	v_and_b32_e32 v32, 0x7f, v28
	v_mov_b32_e32 v97, 0x7c01
	s_mov_b32 s22, exec_lo
	s_delay_alu instid0(VALU_DEP_2)
	v_cmpx_ne_u32_e32 0x7f, v32
	s_cbranch_execz .LBB296_2009
; %bb.2006:                             ;   in Loop: Header=BB296_16 Depth=1
	v_and_b32_e32 v7, 7, v28
	v_lshrrev_b32_e32 v31, 3, v32
	s_mov_b32 s23, exec_lo
	v_cmpx_gt_u32_e32 8, v32
	s_cbranch_execz .LBB296_2008
; %bb.2007:                             ;   in Loop: Header=BB296_16 Depth=1
	v_clz_i32_u32_e32 v7, v7
	v_dual_mov_b32 v32, v183 :: v_dual_mov_b32 v51, v182
	s_delay_alu instid0(VALU_DEP_2) | instskip(NEXT) | instid1(VALU_DEP_1)
	v_min_u32_e32 v7, 32, v7
	v_subrev_nc_u32_e32 v31, 28, v7
	s_delay_alu instid0(VALU_DEP_1) | instskip(NEXT) | instid1(VALU_DEP_4)
	v_lshlrev_b64_e32 v[182:183], v31, v[28:29]
	v_mov_b32_e32 v183, v32
	v_sub_nc_u32_e32 v31, 29, v7
	s_delay_alu instid0(VALU_DEP_3)
	v_dual_mov_b32 v182, v51 :: v_dual_and_b32 v7, 7, v182
.LBB296_2008:                           ;   in Loop: Header=BB296_16 Depth=1
	s_wait_alu 0xfffe
	s_or_b32 exec_lo, exec_lo, s23
	v_lshlrev_b32_e32 v32, 8, v28
	v_lshl_add_u32 v31, v31, 10, 0x2000
	v_lshlrev_b32_e32 v7, 7, v7
	s_delay_alu instid0(VALU_DEP_3) | instskip(NEXT) | instid1(VALU_DEP_3)
	v_and_b32_e32 v32, 0x8000, v32
	v_and_b32_e32 v31, 0xfc00, v31
	s_delay_alu instid0(VALU_DEP_1)
	v_or3_b32 v97, v32, v31, v7
.LBB296_2009:                           ;   in Loop: Header=BB296_16 Depth=1
	s_wait_alu 0xfffe
	s_or_b32 exec_lo, exec_lo, s22
.LBB296_2010:                           ;   in Loop: Header=BB296_16 Depth=1
	s_wait_alu 0xfffe
	s_or_b32 exec_lo, exec_lo, s21
.LBB296_2011:                           ;   in Loop: Header=BB296_16 Depth=1
	s_wait_alu 0xfffe
	s_or_b32 exec_lo, exec_lo, s20
	v_lshrrev_b16 v7, 8, v28
	v_dual_mov_b32 v31, 0 :: v_dual_mov_b32 v32, 0
	s_mov_b32 s20, exec_lo
	s_delay_alu instid0(VALU_DEP_2)
	v_cmpx_ne_u16_e32 0, v7
	s_cbranch_execz .LBB296_2019
; %bb.2012:                             ;   in Loop: Header=BB296_16 Depth=1
	v_bfrev_b32_e32 v32, 1
	s_mov_b32 s21, exec_lo
	v_cmpx_ne_u16_e32 0x80, v7
	s_cbranch_execz .LBB296_2018
; %bb.2013:                             ;   in Loop: Header=BB296_16 Depth=1
	v_and_b32_e32 v51, 0xffff, v7
	v_mov_b32_e32 v32, 0x7c010000
	s_mov_b32 s22, exec_lo
	s_delay_alu instid0(VALU_DEP_2) | instskip(NEXT) | instid1(VALU_DEP_1)
	v_and_b32_e32 v139, 0x7f, v51
	v_cmpx_ne_u32_e32 0x7f, v139
	s_cbranch_execz .LBB296_2017
; %bb.2014:                             ;   in Loop: Header=BB296_16 Depth=1
	v_and_b32_e32 v32, 7, v51
	v_lshrrev_b32_e32 v177, 3, v139
	s_mov_b32 s23, exec_lo
	v_cmpx_gt_u32_e32 8, v139
	s_cbranch_execz .LBB296_2016
; %bb.2015:                             ;   in Loop: Header=BB296_16 Depth=1
	v_clz_i32_u32_e32 v32, v32
	v_dual_mov_b32 v180, v183 :: v_dual_mov_b32 v139, v182
	s_delay_alu instid0(VALU_DEP_2) | instskip(NEXT) | instid1(VALU_DEP_1)
	v_min_u32_e32 v32, 32, v32
	v_subrev_nc_u32_e32 v177, 28, v32
	s_delay_alu instid0(VALU_DEP_1) | instskip(NEXT) | instid1(VALU_DEP_4)
	v_lshlrev_b64_e32 v[182:183], v177, v[7:8]
	v_mov_b32_e32 v183, v180
	v_sub_nc_u32_e32 v177, 29, v32
	s_delay_alu instid0(VALU_DEP_3)
	v_and_b32_e32 v32, 7, v182
	v_mov_b32_e32 v182, v139
.LBB296_2016:                           ;   in Loop: Header=BB296_16 Depth=1
	s_wait_alu 0xfffe
	s_or_b32 exec_lo, exec_lo, s23
	v_lshlrev_b32_e32 v7, 8, v51
	v_lshl_add_u32 v51, v177, 10, 0x2000
	v_lshlrev_b32_e32 v32, 23, v32
	s_delay_alu instid0(VALU_DEP_2) | instskip(NEXT) | instid1(VALU_DEP_1)
	v_and_or_b32 v7, 0x8000, v7, v51
	v_lshl_or_b32 v32, v7, 16, v32
.LBB296_2017:                           ;   in Loop: Header=BB296_16 Depth=1
	s_wait_alu 0xfffe
	s_or_b32 exec_lo, exec_lo, s22
.LBB296_2018:                           ;   in Loop: Header=BB296_16 Depth=1
	s_wait_alu 0xfffe
	s_or_b32 exec_lo, exec_lo, s21
.LBB296_2019:                           ;   in Loop: Header=BB296_16 Depth=1
	s_wait_alu 0xfffe
	s_or_b32 exec_lo, exec_lo, s20
	v_lshrrev_b32_e32 v7, 16, v28
	s_mov_b32 s20, exec_lo
	s_delay_alu instid0(VALU_DEP_1) | instskip(NEXT) | instid1(VALU_DEP_1)
	v_and_b32_e32 v51, 0xff, v7
	v_cmpx_ne_u16_e32 0, v51
	s_cbranch_execz .LBB296_2027
; %bb.2020:                             ;   in Loop: Header=BB296_16 Depth=1
	v_mov_b32_e32 v31, 0x8000
	s_mov_b32 s21, exec_lo
	v_cmpx_ne_u16_e32 0x80, v51
	s_cbranch_execz .LBB296_2026
; %bb.2021:                             ;   in Loop: Header=BB296_16 Depth=1
	v_bfe_u32 v177, v28, 16, 7
	v_mov_b32_e32 v31, 0x7c01
	s_mov_b32 s22, exec_lo
	s_delay_alu instid0(VALU_DEP_2)
	v_cmpx_ne_u32_e32 0x7f, v177
	s_cbranch_execz .LBB296_2025
; %bb.2022:                             ;   in Loop: Header=BB296_16 Depth=1
	v_and_b32_e32 v31, 7, v7
	v_lshrrev_b32_e32 v51, 3, v177
	s_mov_b32 s23, exec_lo
	v_cmpx_gt_u32_e32 8, v177
	s_cbranch_execz .LBB296_2024
; %bb.2023:                             ;   in Loop: Header=BB296_16 Depth=1
	v_clz_i32_u32_e32 v31, v31
	v_dual_mov_b32 v177, v183 :: v_dual_mov_b32 v180, v182
	s_delay_alu instid0(VALU_DEP_2) | instskip(NEXT) | instid1(VALU_DEP_1)
	v_min_u32_e32 v31, 32, v31
	v_subrev_nc_u32_e32 v51, 28, v31
	s_delay_alu instid0(VALU_DEP_1) | instskip(NEXT) | instid1(VALU_DEP_4)
	v_lshlrev_b64_e32 v[182:183], v51, v[7:8]
	v_mov_b32_e32 v183, v177
	v_sub_nc_u32_e32 v51, 29, v31
	s_delay_alu instid0(VALU_DEP_3)
	v_dual_mov_b32 v182, v180 :: v_dual_and_b32 v31, 7, v182
.LBB296_2024:                           ;   in Loop: Header=BB296_16 Depth=1
	s_wait_alu 0xfffe
	s_or_b32 exec_lo, exec_lo, s23
	v_lshlrev_b32_e32 v7, 8, v7
	v_lshl_add_u32 v51, v51, 10, 0x2000
	v_lshlrev_b32_e32 v31, 7, v31
	s_delay_alu instid0(VALU_DEP_3) | instskip(NEXT) | instid1(VALU_DEP_3)
	v_and_b32_e32 v7, 0x8000, v7
	v_and_b32_e32 v51, 0xfc00, v51
	s_delay_alu instid0(VALU_DEP_1)
	v_or3_b32 v31, v7, v51, v31
.LBB296_2025:                           ;   in Loop: Header=BB296_16 Depth=1
	s_wait_alu 0xfffe
	s_or_b32 exec_lo, exec_lo, s22
.LBB296_2026:                           ;   in Loop: Header=BB296_16 Depth=1
	s_wait_alu 0xfffe
	s_or_b32 exec_lo, exec_lo, s21
.LBB296_2027:                           ;   in Loop: Header=BB296_16 Depth=1
	s_wait_alu 0xfffe
	s_or_b32 exec_lo, exec_lo, s20
	v_mov_b32_e32 v51, 0
	v_mov_b32_e32 v175, 0
	s_mov_b32 s20, exec_lo
	v_cmpx_lt_u32_e32 0xffffff, v28
	s_cbranch_execz .LBB296_2035
; %bb.2028:                             ;   in Loop: Header=BB296_16 Depth=1
	v_lshrrev_b32_e32 v7, 24, v28
	v_bfrev_b32_e32 v175, 1
	s_mov_b32 s21, exec_lo
	s_delay_alu instid0(VALU_DEP_2)
	v_cmpx_ne_u32_e32 0x80, v7
	s_cbranch_execz .LBB296_2034
; %bb.2029:                             ;   in Loop: Header=BB296_16 Depth=1
	v_and_b32_e32 v143, 0x7f, v7
	v_mov_b32_e32 v175, 0x7c010000
	s_mov_b32 s22, exec_lo
	s_delay_alu instid0(VALU_DEP_2)
	v_cmpx_ne_u32_e32 0x7f, v143
	s_cbranch_execz .LBB296_2033
; %bb.2030:                             ;   in Loop: Header=BB296_16 Depth=1
	v_and_b32_e32 v177, 7, v7
	v_lshrrev_b32_e32 v139, 3, v143
	s_mov_b32 s23, exec_lo
	v_cmpx_gt_u32_e32 8, v143
	s_cbranch_execz .LBB296_2032
; %bb.2031:                             ;   in Loop: Header=BB296_16 Depth=1
	v_clz_i32_u32_e32 v177, v177
	v_mov_b32_e32 v143, v182
	v_mov_b32_e32 v139, v183
	s_delay_alu instid0(VALU_DEP_3) | instskip(NEXT) | instid1(VALU_DEP_1)
	v_min_u32_e32 v177, 32, v177
	v_subrev_nc_u32_e32 v180, 28, v177
	s_delay_alu instid0(VALU_DEP_1) | instskip(NEXT) | instid1(VALU_DEP_4)
	v_lshlrev_b64_e32 v[182:183], v180, v[7:8]
	v_mov_b32_e32 v183, v139
	v_sub_nc_u32_e32 v139, 29, v177
	s_delay_alu instid0(VALU_DEP_3)
	v_dual_mov_b32 v182, v143 :: v_dual_and_b32 v177, 7, v182
.LBB296_2032:                           ;   in Loop: Header=BB296_16 Depth=1
	s_wait_alu 0xfffe
	s_or_b32 exec_lo, exec_lo, s23
	v_lshlrev_b32_e32 v7, 8, v7
	v_lshl_add_u32 v180, v139, 10, 0x2000
	v_lshlrev_b32_e32 v177, 23, v177
	s_delay_alu instid0(VALU_DEP_2) | instskip(NEXT) | instid1(VALU_DEP_1)
	v_and_or_b32 v7, 0x8000, v7, v180
	v_lshl_or_b32 v175, v7, 16, v177
.LBB296_2033:                           ;   in Loop: Header=BB296_16 Depth=1
	s_wait_alu 0xfffe
	s_or_b32 exec_lo, exec_lo, s22
.LBB296_2034:                           ;   in Loop: Header=BB296_16 Depth=1
	s_wait_alu 0xfffe
	s_or_b32 exec_lo, exec_lo, s21
.LBB296_2035:                           ;   in Loop: Header=BB296_16 Depth=1
	s_wait_alu 0xfffe
	s_or_b32 exec_lo, exec_lo, s20
	v_and_b32_e32 v177, 0xff, v29
	v_mov_b32_e32 v7, v29
	s_mov_b32 s20, exec_lo
	s_delay_alu instid0(VALU_DEP_2)
	v_cmpx_ne_u16_e64 0, v177
	s_cbranch_execz .LBB296_2043
; %bb.2036:                             ;   in Loop: Header=BB296_16 Depth=1
	v_mov_b32_e32 v51, 0x8000
	s_mov_b32 s21, exec_lo
	v_cmpx_ne_u16_e64 0x80, v177
	s_cbranch_execz .LBB296_2042
; %bb.2037:                             ;   in Loop: Header=BB296_16 Depth=1
	v_and_b32_e32 v139, 0x7f, v29
	v_mov_b32_e32 v51, 0x7c01
	s_mov_b32 s22, exec_lo
	s_delay_alu instid0(VALU_DEP_2)
	v_cmpx_ne_u32_e32 0x7f, v139
	s_cbranch_execz .LBB296_2041
; %bb.2038:                             ;   in Loop: Header=BB296_16 Depth=1
	v_and_b32_e32 v51, 7, v29
	v_lshrrev_b32_e32 v177, 3, v139
	s_mov_b32 s23, exec_lo
	v_cmpx_gt_u32_e32 8, v139
	s_cbranch_execz .LBB296_2040
; %bb.2039:                             ;   in Loop: Header=BB296_16 Depth=1
	v_clz_i32_u32_e32 v51, v51
	v_dual_mov_b32 v180, v183 :: v_dual_mov_b32 v139, v182
	s_delay_alu instid0(VALU_DEP_2) | instskip(NEXT) | instid1(VALU_DEP_1)
	v_min_u32_e32 v51, 32, v51
	v_subrev_nc_u32_e32 v177, 28, v51
	s_delay_alu instid0(VALU_DEP_1) | instskip(NEXT) | instid1(VALU_DEP_4)
	v_lshlrev_b64_e32 v[182:183], v177, v[7:8]
	v_mov_b32_e32 v183, v180
	v_sub_nc_u32_e32 v177, 29, v51
	s_delay_alu instid0(VALU_DEP_3)
	v_dual_mov_b32 v182, v139 :: v_dual_and_b32 v51, 7, v182
.LBB296_2040:                           ;   in Loop: Header=BB296_16 Depth=1
	s_wait_alu 0xfffe
	s_or_b32 exec_lo, exec_lo, s23
	v_lshlrev_b32_e32 v180, 8, v29
	v_lshl_add_u32 v177, v177, 10, 0x2000
	v_lshlrev_b32_e32 v51, 7, v51
	s_delay_alu instid0(VALU_DEP_3) | instskip(NEXT) | instid1(VALU_DEP_3)
	v_and_b32_e32 v180, 0x8000, v180
	v_and_b32_e32 v177, 0xfc00, v177
	s_delay_alu instid0(VALU_DEP_1)
	v_or3_b32 v51, v180, v177, v51
.LBB296_2041:                           ;   in Loop: Header=BB296_16 Depth=1
	s_wait_alu 0xfffe
	s_or_b32 exec_lo, exec_lo, s22
.LBB296_2042:                           ;   in Loop: Header=BB296_16 Depth=1
	s_wait_alu 0xfffe
	s_or_b32 exec_lo, exec_lo, s21
.LBB296_2043:                           ;   in Loop: Header=BB296_16 Depth=1
	s_wait_alu 0xfffe
	s_or_b32 exec_lo, exec_lo, s20
	v_lshrrev_b16 v7, 8, v7
	v_dual_mov_b32 v186, 0 :: v_dual_mov_b32 v139, 0
	s_mov_b32 s20, exec_lo
	s_delay_alu instid0(VALU_DEP_2)
	v_cmpx_ne_u16_e32 0, v7
	s_cbranch_execz .LBB296_2051
; %bb.2044:                             ;   in Loop: Header=BB296_16 Depth=1
	v_bfrev_b32_e32 v139, 1
	s_mov_b32 s21, exec_lo
	v_cmpx_ne_u16_e32 0x80, v7
	s_cbranch_execz .LBB296_2050
; %bb.2045:                             ;   in Loop: Header=BB296_16 Depth=1
	v_and_b32_e32 v177, 0xffff, v7
	v_mov_b32_e32 v139, 0x7c010000
	s_mov_b32 s22, exec_lo
	s_delay_alu instid0(VALU_DEP_2) | instskip(NEXT) | instid1(VALU_DEP_1)
	v_and_b32_e32 v180, 0x7f, v177
	v_cmpx_ne_u32_e32 0x7f, v180
	s_cbranch_execz .LBB296_2049
; %bb.2046:                             ;   in Loop: Header=BB296_16 Depth=1
	v_and_b32_e32 v139, 7, v177
	v_lshrrev_b32_e32 v143, 3, v180
	s_mov_b32 s23, exec_lo
	v_cmpx_gt_u32_e32 8, v180
	s_cbranch_execz .LBB296_2048
; %bb.2047:                             ;   in Loop: Header=BB296_16 Depth=1
	v_clz_i32_u32_e32 v180, v139
	v_mov_b32_e32 v67, v41
	v_mov_b32_e32 v41, v1
	v_dual_mov_b32 v1, v34 :: v_dual_mov_b32 v34, v188
	s_delay_alu instid0(VALU_DEP_4)
	v_min_u32_e32 v180, 32, v180
	v_mov_b32_e32 v188, v12
	v_mov_b32_e32 v12, v124
	v_dual_mov_b32 v124, v5 :: v_dual_mov_b32 v5, v172
	v_dual_mov_b32 v172, v121 :: v_dual_mov_b32 v121, v174
	;; [unrolled: 1-line block ×4, first 2 shown]
	v_mov_b32_e32 v168, v140
	v_dual_mov_b32 v140, v141 :: v_dual_mov_b32 v141, v127
	v_dual_mov_b32 v127, v178 :: v_dual_mov_b32 v178, v19
	v_mov_b32_e32 v19, v169
	v_mov_b32_e32 v169, v91
	;; [unrolled: 1-line block ×4, first 2 shown]
	v_dual_mov_b32 v173, v110 :: v_dual_mov_b32 v110, v108
	v_dual_mov_b32 v108, v17 :: v_dual_mov_b32 v17, v105
	v_mov_b32_e32 v105, v81
	v_mov_b32_e32 v81, v95
	v_dual_mov_b32 v95, v24 :: v_dual_mov_b32 v24, v94
	v_mov_b32_e32 v94, v92
	v_dual_mov_b32 v92, v37 :: v_dual_mov_b32 v37, v89
	v_mov_b32_e32 v89, v133
	v_mov_b32_e32 v133, v79
	v_dual_mov_b32 v79, v78 :: v_dual_mov_b32 v78, v48
	v_mov_b32_e32 v48, v76
	v_dual_mov_b32 v76, v15 :: v_dual_mov_b32 v15, v73
	v_dual_mov_b32 v73, v74 :: v_dual_mov_b32 v74, v63
	;; [unrolled: 1-line block ×3, first 2 shown]
	v_mov_b32_e32 v154, v60
	v_mov_b32_e32 v60, v90
	v_dual_mov_b32 v90, v57 :: v_dual_mov_b32 v57, v75
	v_mov_b32_e32 v75, v47
	v_dual_mov_b32 v47, v46 :: v_dual_mov_b32 v46, v84
	v_dual_mov_b32 v84, v191 :: v_dual_mov_b32 v191, v44
	v_mov_b32_e32 v44, v170
	v_dual_mov_b32 v170, v67 :: v_dual_mov_b32 v67, v157
	v_mov_b32_e32 v157, v182
	v_subrev_nc_u32_e32 v182, 28, v180
	v_mov_b32_e32 v139, v183
	v_sub_nc_u32_e32 v143, 29, v180
	s_delay_alu instid0(VALU_DEP_3) | instskip(SKIP_1) | instid1(VALU_DEP_4)
	v_lshlrev_b64_e32 v[182:183], v182, v[7:8]
	v_mov_b32_e32 v7, v170
	v_dual_mov_b32 v183, v139 :: v_dual_mov_b32 v170, v44
	v_dual_mov_b32 v44, v191 :: v_dual_mov_b32 v191, v84
	s_delay_alu instid0(VALU_DEP_4)
	v_dual_mov_b32 v84, v46 :: v_dual_and_b32 v139, 7, v182
	v_dual_mov_b32 v182, v157 :: v_dual_mov_b32 v157, v67
	v_dual_mov_b32 v46, v47 :: v_dual_mov_b32 v47, v75
	v_mov_b32_e32 v75, v57
	v_dual_mov_b32 v57, v90 :: v_dual_mov_b32 v90, v60
	v_mov_b32_e32 v60, v154
	v_mov_b32_e32 v154, v62
	v_dual_mov_b32 v62, v63 :: v_dual_mov_b32 v63, v74
	v_dual_mov_b32 v74, v73 :: v_dual_mov_b32 v73, v15
	;; [unrolled: 1-line block ×3, first 2 shown]
	v_mov_b32_e32 v48, v78
	v_dual_mov_b32 v78, v79 :: v_dual_mov_b32 v79, v133
	v_mov_b32_e32 v133, v89
	v_mov_b32_e32 v89, v37
	v_dual_mov_b32 v37, v92 :: v_dual_mov_b32 v92, v94
	v_mov_b32_e32 v94, v24
	v_dual_mov_b32 v24, v95 :: v_dual_mov_b32 v95, v81
	v_mov_b32_e32 v81, v105
	v_mov_b32_e32 v105, v17
	v_dual_mov_b32 v17, v108 :: v_dual_mov_b32 v108, v110
	v_dual_mov_b32 v110, v173 :: v_dual_mov_b32 v173, v111
	v_mov_b32_e32 v111, v91
	v_mov_b32_e32 v91, v169
	;; [unrolled: 1-line block ×3, first 2 shown]
	v_dual_mov_b32 v19, v178 :: v_dual_mov_b32 v178, v127
	v_mov_b32_e32 v127, v141
	v_dual_mov_b32 v141, v140 :: v_dual_mov_b32 v140, v168
	v_dual_mov_b32 v168, v155 :: v_dual_mov_b32 v155, v64
	;; [unrolled: 1-line block ×5, first 2 shown]
	v_mov_b32_e32 v124, v12
	v_mov_b32_e32 v12, v188
	;; [unrolled: 1-line block ×3, first 2 shown]
	v_dual_mov_b32 v34, v1 :: v_dual_mov_b32 v1, v41
	v_mov_b32_e32 v41, v7
.LBB296_2048:                           ;   in Loop: Header=BB296_16 Depth=1
	s_wait_alu 0xfffe
	s_or_b32 exec_lo, exec_lo, s23
	v_lshlrev_b32_e32 v7, 8, v177
	v_lshl_add_u32 v177, v143, 10, 0x2000
	s_delay_alu instid0(VALU_DEP_1) | instskip(SKIP_1) | instid1(VALU_DEP_1)
	v_and_or_b32 v7, 0x8000, v7, v177
	v_lshlrev_b32_e32 v177, 23, v139
	v_lshl_or_b32 v139, v7, 16, v177
.LBB296_2049:                           ;   in Loop: Header=BB296_16 Depth=1
	s_wait_alu 0xfffe
	s_or_b32 exec_lo, exec_lo, s22
.LBB296_2050:                           ;   in Loop: Header=BB296_16 Depth=1
	s_wait_alu 0xfffe
	s_or_b32 exec_lo, exec_lo, s21
.LBB296_2051:                           ;   in Loop: Header=BB296_16 Depth=1
	s_wait_alu 0xfffe
	s_or_b32 exec_lo, exec_lo, s20
	v_lshrrev_b32_e32 v7, 16, v29
	s_mov_b32 s20, exec_lo
	s_delay_alu instid0(VALU_DEP_1) | instskip(NEXT) | instid1(VALU_DEP_1)
	v_and_b32_e32 v177, 0xff, v7
	v_cmpx_ne_u16_e64 0, v177
	s_cbranch_execz .LBB296_2059
; %bb.2052:                             ;   in Loop: Header=BB296_16 Depth=1
	v_mov_b32_e32 v186, 0x8000
	s_mov_b32 s21, exec_lo
	v_cmpx_ne_u16_e64 0x80, v177
	s_cbranch_execz .LBB296_2058
; %bb.2053:                             ;   in Loop: Header=BB296_16 Depth=1
	v_bfe_u32 v180, v29, 16, 7
	v_mov_b32_e32 v186, 0x7c01
	s_mov_b32 s22, exec_lo
	s_delay_alu instid0(VALU_DEP_2)
	v_cmpx_ne_u32_e32 0x7f, v180
	s_cbranch_execz .LBB296_2057
; %bb.2054:                             ;   in Loop: Header=BB296_16 Depth=1
	v_and_b32_e32 v177, 7, v7
	v_lshrrev_b32_e32 v186, 3, v180
	s_mov_b32 s23, exec_lo
	v_cmpx_gt_u32_e32 8, v180
	s_cbranch_execz .LBB296_2056
; %bb.2055:                             ;   in Loop: Header=BB296_16 Depth=1
	v_clz_i32_u32_e32 v177, v177
	v_mov_b32_e32 v67, v41
	v_mov_b32_e32 v143, v183
	;; [unrolled: 1-line block ×4, first 2 shown]
	v_min_u32_e32 v177, 32, v177
	v_mov_b32_e32 v34, v188
	v_mov_b32_e32 v188, v12
	;; [unrolled: 1-line block ×4, first 2 shown]
	v_subrev_nc_u32_e32 v180, 28, v177
	v_dual_mov_b32 v5, v172 :: v_dual_mov_b32 v172, v121
	v_dual_mov_b32 v121, v174 :: v_dual_mov_b32 v174, v187
	;; [unrolled: 1-line block ×6, first 2 shown]
	v_mov_b32_e32 v19, v169
	v_mov_b32_e32 v169, v91
	;; [unrolled: 1-line block ×4, first 2 shown]
	v_dual_mov_b32 v173, v110 :: v_dual_mov_b32 v110, v108
	v_dual_mov_b32 v108, v17 :: v_dual_mov_b32 v17, v105
	v_mov_b32_e32 v105, v81
	v_mov_b32_e32 v81, v95
	v_dual_mov_b32 v95, v24 :: v_dual_mov_b32 v24, v94
	v_mov_b32_e32 v94, v92
	v_dual_mov_b32 v92, v37 :: v_dual_mov_b32 v37, v89
	v_mov_b32_e32 v89, v133
	v_mov_b32_e32 v133, v79
	v_dual_mov_b32 v79, v78 :: v_dual_mov_b32 v78, v48
	v_mov_b32_e32 v48, v76
	v_dual_mov_b32 v76, v15 :: v_dual_mov_b32 v15, v73
	v_dual_mov_b32 v73, v74 :: v_dual_mov_b32 v74, v63
	;; [unrolled: 1-line block ×3, first 2 shown]
	v_mov_b32_e32 v154, v60
	v_mov_b32_e32 v60, v90
	v_dual_mov_b32 v90, v57 :: v_dual_mov_b32 v57, v75
	v_mov_b32_e32 v75, v47
	v_dual_mov_b32 v47, v46 :: v_dual_mov_b32 v46, v84
	v_dual_mov_b32 v84, v191 :: v_dual_mov_b32 v191, v44
	v_mov_b32_e32 v44, v170
	v_dual_mov_b32 v170, v67 :: v_dual_mov_b32 v67, v157
	v_mov_b32_e32 v157, v182
	v_lshlrev_b64_e32 v[182:183], v180, v[7:8]
	v_sub_nc_u32_e32 v186, 29, v177
	v_mov_b32_e32 v183, v143
	s_delay_alu instid0(VALU_DEP_3)
	v_dual_mov_b32 v182, v157 :: v_dual_and_b32 v177, 7, v182
	v_mov_b32_e32 v157, v67
	v_dual_mov_b32 v67, v170 :: v_dual_mov_b32 v170, v44
	v_dual_mov_b32 v44, v191 :: v_dual_mov_b32 v191, v84
	v_mov_b32_e32 v84, v46
	v_dual_mov_b32 v46, v47 :: v_dual_mov_b32 v47, v75
	v_mov_b32_e32 v75, v57
	;; [unrolled: 2-line block ×3, first 2 shown]
	v_mov_b32_e32 v154, v62
	v_dual_mov_b32 v62, v63 :: v_dual_mov_b32 v63, v74
	v_dual_mov_b32 v74, v73 :: v_dual_mov_b32 v73, v15
	v_dual_mov_b32 v15, v76 :: v_dual_mov_b32 v76, v48
	v_mov_b32_e32 v48, v78
	v_dual_mov_b32 v78, v79 :: v_dual_mov_b32 v79, v133
	v_mov_b32_e32 v133, v89
	v_mov_b32_e32 v89, v37
	v_dual_mov_b32 v37, v92 :: v_dual_mov_b32 v92, v94
	v_mov_b32_e32 v94, v24
	v_dual_mov_b32 v24, v95 :: v_dual_mov_b32 v95, v81
	v_mov_b32_e32 v81, v105
	v_mov_b32_e32 v105, v17
	v_dual_mov_b32 v17, v108 :: v_dual_mov_b32 v108, v110
	v_dual_mov_b32 v110, v173 :: v_dual_mov_b32 v173, v111
	v_mov_b32_e32 v111, v91
	v_mov_b32_e32 v91, v169
	v_mov_b32_e32 v169, v19
	v_dual_mov_b32 v19, v178 :: v_dual_mov_b32 v178, v127
	v_mov_b32_e32 v127, v141
	v_dual_mov_b32 v141, v140 :: v_dual_mov_b32 v140, v168
	v_dual_mov_b32 v168, v155 :: v_dual_mov_b32 v155, v64
	;; [unrolled: 1-line block ×5, first 2 shown]
	v_mov_b32_e32 v124, v12
	v_mov_b32_e32 v12, v188
	;; [unrolled: 1-line block ×3, first 2 shown]
	v_dual_mov_b32 v34, v1 :: v_dual_mov_b32 v1, v41
	v_mov_b32_e32 v41, v67
.LBB296_2056:                           ;   in Loop: Header=BB296_16 Depth=1
	s_wait_alu 0xfffe
	s_or_b32 exec_lo, exec_lo, s23
	v_lshlrev_b32_e32 v7, 8, v7
	v_lshl_add_u32 v180, v186, 10, 0x2000
	v_lshlrev_b32_e32 v177, 7, v177
	s_delay_alu instid0(VALU_DEP_3) | instskip(NEXT) | instid1(VALU_DEP_3)
	v_and_b32_e32 v7, 0x8000, v7
	v_and_b32_e32 v180, 0xfc00, v180
	s_delay_alu instid0(VALU_DEP_1)
	v_or3_b32 v186, v7, v180, v177
.LBB296_2057:                           ;   in Loop: Header=BB296_16 Depth=1
	s_wait_alu 0xfffe
	s_or_b32 exec_lo, exec_lo, s22
.LBB296_2058:                           ;   in Loop: Header=BB296_16 Depth=1
	s_wait_alu 0xfffe
	s_or_b32 exec_lo, exec_lo, s21
.LBB296_2059:                           ;   in Loop: Header=BB296_16 Depth=1
	s_wait_alu 0xfffe
	s_or_b32 exec_lo, exec_lo, s20
	v_cmp_lt_u64_e64 s1, s[8:9], v[28:29]
	v_dual_mov_b32 v67, v1 :: v_dual_mov_b32 v180, v41
	v_dual_mov_b32 v143, v170 :: v_dual_mov_b32 v28, 0
	s_and_saveexec_b32 s20, s1
	s_cbranch_execz .LBB296_14
; %bb.2060:                             ;   in Loop: Header=BB296_16 Depth=1
	v_lshrrev_b32_e32 v7, 24, v29
	v_bfrev_b32_e32 v28, 1
	s_mov_b32 s21, exec_lo
	s_delay_alu instid0(VALU_DEP_2)
	v_cmpx_ne_u32_e32 0x80, v7
	s_cbranch_execz .LBB296_13
; %bb.2061:                             ;   in Loop: Header=BB296_16 Depth=1
	v_and_b32_e32 v177, 0x7f, v7
	v_mov_b32_e32 v28, 0x7c010000
	s_mov_b32 s22, exec_lo
	s_delay_alu instid0(VALU_DEP_2)
	v_cmpx_ne_u32_e32 0x7f, v177
	s_cbranch_execz .LBB296_12
; %bb.2062:                             ;   in Loop: Header=BB296_16 Depth=1
	v_and_b32_e32 v28, 7, v7
	v_lshrrev_b32_e32 v29, 3, v177
	s_mov_b32 s23, exec_lo
	v_cmpx_gt_u32_e32 8, v177
	s_cbranch_execz .LBB296_11
; %bb.2063:                             ;   in Loop: Header=BB296_16 Depth=1
	v_clz_i32_u32_e32 v28, v28
	s_delay_alu instid0(VALU_DEP_1) | instskip(NEXT) | instid1(VALU_DEP_1)
	v_min_u32_e32 v177, 32, v28
	v_subrev_nc_u32_e32 v28, 28, v177
	s_delay_alu instid0(VALU_DEP_1) | instskip(SKIP_1) | instid1(VALU_DEP_2)
	v_lshlrev_b64_e32 v[28:29], v28, v[7:8]
	v_sub_nc_u32_e32 v29, 29, v177
	v_and_b32_e32 v28, 7, v28
	s_branch .LBB296_11
.LBB296_2064:
	s_or_b32 exec_lo, exec_lo, s17
	s_clause 0x1a
	scratch_load_b32 v75, off, s32 offset:1100
	scratch_load_b32 v76, off, s32 offset:1104
	;; [unrolled: 1-line block ×21, first 2 shown]
	scratch_load_b64 v[33:34], off, s32 offset:1164
	scratch_load_b32 v16, off, s32 offset:1172
	scratch_load_b32 v19, off, s32 offset:1176
	;; [unrolled: 1-line block ×5, first 2 shown]
.LBB296_2065:
	s_wait_alu 0xfffe
	s_or_b32 exec_lo, exec_lo, s16
	v_mbcnt_lo_u32_b32 v0, -1, 0
	v_max_num_f32_e32 v4, v18, v18
	s_delay_alu instid0(VALU_DEP_2) | instskip(SKIP_2) | instid1(VALU_DEP_3)
	v_xor_b32_e32 v1, 16, v0
	v_xor_b32_e32 v3, 8, v0
	;; [unrolled: 1-line block ×3, first 2 shown]
	v_cmp_gt_i32_e32 vcc_lo, 32, v1
	s_wait_alu 0xfffd
	v_cndmask_b32_e32 v1, v0, v1, vcc_lo
	v_cmp_gt_i32_e32 vcc_lo, 32, v3
	s_wait_alu 0xfffd
	s_delay_alu instid0(VALU_DEP_2)
	v_dual_cndmask_b32 v3, v0, v3 :: v_dual_lshlrev_b32 v2, 2, v1
	v_cmp_gt_i32_e32 vcc_lo, 32, v5
	ds_bpermute_b32 v1, v2, v18
	v_lshlrev_b32_e32 v3, 2, v3
	s_wait_alu 0xfffd
	v_cndmask_b32_e32 v5, v0, v5, vcc_lo
	s_wait_dscnt 0x0
	v_max_num_f32_e32 v1, v1, v1
	s_delay_alu instid0(VALU_DEP_1) | instskip(SKIP_3) | instid1(VALU_DEP_1)
	v_max_num_f32_e32 v1, v4, v1
	ds_bpermute_b32 v4, v3, v1
	s_wait_dscnt 0x0
	v_max_num_f32_e32 v6, v4, v4
	v_dual_max_num_f32 v1, v1, v6 :: v_dual_lshlrev_b32 v4, 2, v5
	v_xor_b32_e32 v6, 2, v0
	ds_bpermute_b32 v5, v4, v1
	v_cmp_gt_i32_e32 vcc_lo, 32, v6
	s_wait_alu 0xfffd
	v_cndmask_b32_e32 v6, v0, v6, vcc_lo
	s_delay_alu instid0(VALU_DEP_1) | instskip(SKIP_1) | instid1(VALU_DEP_1)
	v_lshlrev_b32_e32 v133, 2, v6
	v_xor_b32_e32 v6, 1, v0
	v_cmp_gt_i32_e32 vcc_lo, 32, v6
	s_wait_dscnt 0x0
	s_wait_alu 0xfffd
	v_dual_max_num_f32 v5, v5, v5 :: v_dual_cndmask_b32 v6, v0, v6
	s_delay_alu instid0(VALU_DEP_1) | instskip(SKIP_3) | instid1(VALU_DEP_1)
	v_dual_max_num_f32 v1, v1, v5 :: v_dual_lshlrev_b32 v18, 2, v6
	ds_bpermute_b32 v5, v133, v1
	s_wait_dscnt 0x0
	v_max_num_f32_e32 v5, v5, v5
	v_max_num_f32_e32 v0, v1, v5
	scratch_load_b32 v5, off, s32 offset:1060 ; 4-byte Folded Reload
	ds_bpermute_b32 v1, v18, v0
	s_wait_loadcnt 0x0
	v_cmp_eq_u32_e32 vcc_lo, 0, v5
	v_lshlrev_b32_e32 v5, 2, v78
	s_and_saveexec_b32 s1, vcc_lo
	s_cbranch_execz .LBB296_2067
; %bb.2066:
	s_wait_dscnt 0x0
	v_dual_max_num_f32 v1, v1, v1 :: v_dual_max_num_f32 v0, v0, v0
	s_delay_alu instid0(VALU_DEP_1)
	v_max_num_f32_e32 v0, v0, v1
	ds_store_b32 v5, v0 offset:512
.LBB296_2067:
	s_wait_alu 0xfffe
	s_or_b32 exec_lo, exec_lo, s1
	scratch_load_b32 v0, off, s32 offset:1060 ; 4-byte Folded Reload
	s_wait_storecnt 0x0
	s_wait_loadcnt_dscnt 0x0
	s_barrier_signal -1
	s_barrier_wait -1
	global_inv scope:SCOPE_SE
	v_cmp_gt_u32_e64 s1, 4, v0
	v_mov_b32_e32 v0, 0xff7fffff
	s_and_saveexec_b32 s2, s1
; %bb.2068:
	ds_load_b32 v0, v17 offset:512
; %bb.2069:
	s_wait_alu 0xfffe
	s_or_b32 exec_lo, exec_lo, s2
	s_wait_dscnt 0x0
	ds_bpermute_b32 v1, v133, v0
	v_max_num_f32_e32 v0, v0, v0
	v_subrev_nc_u32_e32 v7, s3, v92
	s_wait_dscnt 0x0
	v_dual_mov_b32 v6, 0 :: v_dual_max_num_f32 v1, v1, v1
	s_delay_alu instid0(VALU_DEP_1) | instskip(SKIP_3) | instid1(VALU_DEP_1)
	v_max_num_f32_e32 v0, v0, v1
	ds_bpermute_b32 v1, v18, v0
	s_wait_dscnt 0x0
	v_max_num_f32_e32 v1, v1, v1
	v_max_num_f32_e32 v0, v0, v1
	v_lshl_add_u32 v1, v7, 5, s19
	ds_bpermute_b32 v0, v6, v0
	v_min_i32_e32 v1, v1, v88
	s_delay_alu instid0(VALU_DEP_1) | instskip(NEXT) | instid1(VALU_DEP_1)
	v_subrev_nc_u32_e32 v1, s19, v1
	v_cmp_lt_i32_e64 s2, v77, v1
	s_and_saveexec_b32 s6, s2
	s_cbranch_execz .LBB296_2073
; %bb.2070:
	s_getpc_b64 s[8:9]
	s_wait_alu 0xfffe
	s_sext_i32_i16 s9, s9
	s_add_co_u32 s8, s8, llvm.amdgcn.dynlds.offset.table@rel32@lo+12
	s_wait_alu 0xfffe
	s_add_co_ci_u32 s9, s9, llvm.amdgcn.dynlds.offset.table@rel32@hi+24
	s_wait_kmcnt 0x0
	s_ashr_i32 s5, s4, 31
	v_mov_b32_e32 v6, 0
	s_wait_alu 0xfffe
	s_lshl_b64 s[16:17], s[4:5], 2
	v_mov_b32_e32 v8, v77
	s_wait_alu 0xfffe
	s_add_nc_u64 s[8:9], s[8:9], s[16:17]
	s_mov_b32 s5, 0
	s_load_b32 s3, s[8:9], 0x0
	s_wait_kmcnt 0x0
	v_lshl_add_u32 v7, v77, 2, s3
.LBB296_2071:                           ; =>This Inner Loop Header: Depth=1
	ds_load_b32 v9, v7
	v_add_nc_u32_e32 v8, 0x80, v8
	s_delay_alu instid0(VALU_DEP_1) | instskip(SKIP_3) | instid1(VALU_DEP_1)
	v_cmp_ge_i32_e64 s3, v8, v1
	s_or_b32 s5, s3, s5
	s_wait_dscnt 0x0
	v_sub_f32_e32 v9, v9, v0
	v_mul_f32_e32 v9, 0x3fb8aa3b, v9
	s_delay_alu instid0(VALU_DEP_1)
	v_exp_f32_e32 v9, v9
	ds_store_b32 v7, v9
	v_dual_add_f32 v6, v6, v9 :: v_dual_add_nc_u32 v7, 0x200, v7
	s_wait_alu 0xfffe
	s_and_not1_b32 exec_lo, exec_lo, s5
	s_cbranch_execnz .LBB296_2071
; %bb.2072:
	s_or_b32 exec_lo, exec_lo, s5
.LBB296_2073:
	s_wait_alu 0xfffe
	s_or_b32 exec_lo, exec_lo, s6
	ds_bpermute_b32 v2, v2, v6
	s_wait_dscnt 0x0
	v_add_f32_e32 v2, v6, v2
	ds_bpermute_b32 v3, v3, v2
	s_wait_dscnt 0x0
	v_add_f32_e32 v2, v2, v3
	;; [unrolled: 3-line block ×5, first 2 shown]
	s_and_saveexec_b32 s3, vcc_lo
; %bb.2074:
	ds_store_b32 v5, v2 offset:528
; %bb.2075:
	s_wait_alu 0xfffe
	s_or_b32 exec_lo, exec_lo, s3
	s_wait_loadcnt_dscnt 0x0
	s_barrier_signal -1
	s_barrier_wait -1
	global_inv scope:SCOPE_SE
	s_and_saveexec_b32 s3, s1
; %bb.2076:
	ds_load_b32 v2, v17 offset:528
; %bb.2077:
	s_wait_alu 0xfffe
	s_or_b32 exec_lo, exec_lo, s3
	s_wait_dscnt 0x0
	ds_bpermute_b32 v3, v133, v2
	s_wait_dscnt 0x0
	v_add_f32_e32 v2, v2, v3
	ds_bpermute_b32 v3, v18, v2
	s_wait_dscnt 0x0
	v_dual_add_f32 v2, v2, v3 :: v_dual_mov_b32 v3, 0
	ds_bpermute_b32 v2, v3, v2
	s_and_saveexec_b32 s1, s2
	s_cbranch_execz .LBB296_2080
; %bb.2078:
	s_wait_dscnt 0x0
	v_add_f32_e32 v4, 0x358637bd, v2
	s_wait_kmcnt 0x0
	s_ashr_i32 s5, s4, 31
	s_getpc_b64 s[2:3]
	s_wait_alu 0xfffe
	s_sext_i32_i16 s3, s3
	s_add_co_u32 s2, s2, llvm.amdgcn.dynlds.offset.table@rel32@lo+12
	s_wait_alu 0xfffe
	s_add_co_ci_u32 s3, s3, llvm.amdgcn.dynlds.offset.table@rel32@hi+24
	s_lshl_b64 s[6:7], s[4:5], 2
	s_wait_alu 0xfffe
	s_add_nc_u64 s[2:3], s[2:3], s[6:7]
	v_div_scale_f32 v3, null, v4, v4, 1.0
	s_load_b32 s2, s[2:3], 0x0
	v_rcp_f32_e32 v5, v3
	s_delay_alu instid0(TRANS32_DEP_1) | instskip(NEXT) | instid1(VALU_DEP_1)
	v_fma_f32 v6, -v3, v5, 1.0
	v_fmac_f32_e32 v5, v6, v5
	v_div_scale_f32 v7, vcc_lo, 1.0, v4, 1.0
	s_delay_alu instid0(VALU_DEP_1) | instskip(NEXT) | instid1(VALU_DEP_1)
	v_mul_f32_e32 v6, v7, v5
	v_fma_f32 v8, -v3, v6, v7
	s_delay_alu instid0(VALU_DEP_1) | instskip(NEXT) | instid1(VALU_DEP_1)
	v_fmac_f32_e32 v6, v8, v5
	v_fma_f32 v3, -v3, v6, v7
	s_wait_alu 0xfffd
	s_delay_alu instid0(VALU_DEP_1) | instskip(SKIP_3) | instid1(VALU_DEP_2)
	v_div_fmas_f32 v5, v3, v5, v6
	s_wait_kmcnt 0x0
	v_lshl_add_u32 v3, v77, 2, s2
	s_mov_b32 s2, 0
	v_div_fixup_f32 v4, v5, v4, 1.0
	v_mov_b32_e32 v5, v77
.LBB296_2079:                           ; =>This Inner Loop Header: Depth=1
	ds_load_b32 v6, v3
	s_wait_dscnt 0x0
	v_dual_mul_f32 v6, v4, v6 :: v_dual_add_nc_u32 v5, 0x80, v5
	s_delay_alu instid0(VALU_DEP_1)
	v_cmp_ge_i32_e32 vcc_lo, v5, v1
	ds_store_b32 v3, v6
	v_add_nc_u32_e32 v3, 0x200, v3
	s_wait_alu 0xfffe
	s_or_b32 s2, vcc_lo, s2
	s_wait_alu 0xfffe
	s_and_not1_b32 exec_lo, exec_lo, s2
	s_cbranch_execnz .LBB296_2079
.LBB296_2080:
	s_wait_alu 0xfffe
	s_or_b32 exec_lo, exec_lo, s1
	s_and_b32 s1, 0xffff, s15
	s_wait_loadcnt_dscnt 0x0
	s_wait_alu 0xfffe
	s_cmp_lg_u32 s1, 0
	s_barrier_signal -1
	s_cselect_b32 s1, -1, 0
	s_barrier_wait -1
	s_wait_alu 0xfffe
	s_cmp_lg_u32 s1, 0
	global_inv scope:SCOPE_SE
	s_wait_kmcnt 0x0
	s_add_co_ci_u32 s9, s11, 0
	s_wait_alu 0xfffe
	s_mul_i32 s1, s9, s12
	s_wait_alu 0xfffe
	s_mul_i32 s12, s1, s13
	s_mov_b32 s1, exec_lo
	v_cmpx_eq_u32_e32 0, v77
	s_cbranch_execz .LBB296_2082
; %bb.2081:
	s_wait_alu 0xfffe
	s_ashr_i32 s13, s12, 31
	s_mul_i32 s2, s9, ttmp9
	s_wait_alu 0xfffe
	s_lshl_b64 s[6:7], s[12:13], 2
	s_ashr_i32 s3, s2, 31
	s_wait_alu 0xfffe
	v_add_co_u32 v1, vcc_lo, v32, s6
	s_wait_alu 0xfffd
	v_add_co_ci_u32_e64 v3, null, s7, v25, vcc_lo
	s_lshl_b64 s[2:3], s[2:3], 2
	s_lshl_b32 s5, s14, 2
	s_wait_alu 0xfffe
	v_add_co_u32 v1, vcc_lo, v1, s2
	s_wait_alu 0xfffd
	v_add_co_ci_u32_e64 v4, null, s3, v3, vcc_lo
	v_add_co_u32 v3, vcc_lo, v24, s6
	s_wait_alu 0xfffd
	v_add_co_ci_u32_e64 v5, null, s7, v22, vcc_lo
	s_delay_alu instid0(VALU_DEP_2) | instskip(SKIP_1) | instid1(VALU_DEP_2)
	v_add_co_u32 v6, vcc_lo, v3, s2
	s_wait_alu 0xfffd
	v_add_co_ci_u32_e64 v7, null, s3, v5, vcc_lo
	v_add_co_u32 v3, vcc_lo, v1, s5
	s_wait_alu 0xfffd
	v_add_co_ci_u32_e64 v4, null, 0, v4, vcc_lo
	;; [unrolled: 3-line block ×3, first 2 shown]
	flat_store_b32 v[3:4], v0
	flat_store_b32 v[5:6], v2
.LBB296_2082:
	s_wait_alu 0xfffe
	s_or_b32 exec_lo, exec_lo, s1
	s_ashr_i32 s5, s4, 31
	s_getpc_b64 s[2:3]
	s_wait_alu 0xfffe
	s_sext_i32_i16 s3, s3
	s_add_co_u32 s2, s2, llvm.amdgcn.dynlds.offset.table@rel32@lo+12
	s_wait_alu 0xfffe
	s_add_co_ci_u32 s3, s3, llvm.amdgcn.dynlds.offset.table@rel32@hi+24
	v_dual_mov_b32 v102, 0 :: v_dual_mov_b32 v101, 0
	v_dual_mov_b32 v100, 0 :: v_dual_mov_b32 v99, 0
	;; [unrolled: 1-line block ×15, first 2 shown]
	v_mov_b32_e32 v37, 0
	v_mov_b32_e32 v21, 0
	s_lshl_b64 s[4:5], s[4:5], 2
	s_wait_alu 0xfffe
	s_add_nc_u64 s[14:15], s[2:3], s[4:5]
	s_and_saveexec_b32 s11, s0
	s_cbranch_execz .LBB296_4200
; %bb.2083:
	v_max_i32_e32 v30, v30, v19
	s_load_b32 s0, s[14:15], 0x0
	v_dual_mov_b32 v3, 0 :: v_dual_lshlrev_b32 v2, 3, v77
	v_add_co_u32 v0, vcc_lo, v10, v12
	s_delay_alu instid0(VALU_DEP_3)
	v_cvt_f32_u32_e32 v4, v30
	v_sub_nc_u32_e32 v8, 0, v30
	s_wait_alu 0xfffd
	v_add_co_ci_u32_e64 v1, null, v11, v23, vcc_lo
	v_add_co_u32 v5, vcc_lo, v33, v16
	v_rcp_iflag_f32_e32 v4, v4
	v_and_b32_e32 v7, 3, v77
	s_wait_alu 0xfffd
	v_add_co_ci_u32_e64 v6, null, 0, v34, vcc_lo
	v_dual_mov_b32 v55, 0 :: v_dual_and_b32 v16, 24, v2
	v_dual_mov_b32 v65, 0 :: v_dual_and_b32 v48, 0xf8, v2
	v_or_b32_e32 v52, 0x1f00, v2
	v_mov_b32_e32 v24, 0
	s_delay_alu instid0(TRANS32_DEP_1) | instskip(SKIP_2) | instid1(VALU_DEP_3)
	v_dual_mul_f32 v4, 0x4f7ffffe, v4 :: v_dual_lshlrev_b32 v7, 5, v7
	v_dual_mov_b32 v20, 0 :: v_dual_add_nc_u32 v51, -1, v13
	v_dual_mov_b32 v21, 0 :: v_dual_mov_b32 v28, 0
	v_cvt_u32_f32_e32 v4, v4
	s_delay_alu instid0(VALU_DEP_4) | instskip(SKIP_2) | instid1(VALU_DEP_4)
	v_lshl_or_b32 v2, v78, 7, v7
	v_add_co_u32 v7, vcc_lo, v14, v5
	v_dual_mov_b32 v37, 0 :: v_dual_mov_b32 v32, 0
	v_mul_lo_u32 v8, v8, v4
	v_dual_mov_b32 v25, 0 :: v_dual_mov_b32 v74, 0
	v_dual_mov_b32 v29, 0 :: v_dual_mov_b32 v66, 0
	;; [unrolled: 1-line block ×4, first 2 shown]
	v_mul_hi_u32 v9, v4, v8
	v_dual_mov_b32 v69, 0 :: v_dual_mov_b32 v80, 0
	s_wait_alu 0xfffd
	v_add_co_ci_u32_e64 v8, null, v15, v6, vcc_lo
	s_wait_kmcnt 0x0
	v_dual_mov_b32 v82, 0 :: v_dual_add_nc_u32 v15, s0, v2
	v_dual_mov_b32 v71, 0 :: v_dual_mov_b32 v96, 0
	v_dual_mov_b32 v86, 0 :: v_dual_add_nc_u32 v53, v4, v9
	v_dual_mov_b32 v83, 0 :: v_dual_mov_b32 v98, 0
	v_dual_mov_b32 v17, 0 :: v_dual_mov_b32 v100, 0
	;; [unrolled: 1-line block ×3, first 2 shown]
	v_mov_b32_e32 v87, 0
	v_mov_b32_e32 v97, 0
	;; [unrolled: 1-line block ×4, first 2 shown]
	s_mov_b32 s16, -1
	s_mov_b32 s17, 0xffffff
	s_mov_b32 s13, 0
	s_branch .LBB296_2086
.LBB296_2084:                           ;   in Loop: Header=BB296_2086 Depth=1
	s_wait_alu 0xfffe
	s_or_b32 exec_lo, exec_lo, s8
	v_dual_add_f32 v11, v11, v12 :: v_dual_add_f32 v12, v13, v14
	v_dual_add_f32 v13, v85, v167 :: v_dual_add_f32 v14, v44, v45
	v_add_f32_e32 v64, v182, v183
	s_delay_alu instid0(VALU_DEP_3) | instskip(NEXT) | instid1(VALU_DEP_4)
	v_add_f32_e32 v21, v21, v11
	v_add_f32_e32 v37, v37, v12
	s_delay_alu instid0(VALU_DEP_4) | instskip(SKIP_3) | instid1(VALU_DEP_3)
	v_dual_add_f32 v11, v42, v43 :: v_dual_add_f32 v28, v28, v14
	v_add_f32_e32 v12, v40, v41
	v_dual_add_f32 v25, v25, v13 :: v_dual_add_f32 v32, v32, v64
	v_dual_add_f32 v13, v49, v50 :: v_dual_add_f32 v4, v4, v5
	;; [unrolled: 1-line block ×3, first 2 shown]
	v_add_f32_e32 v29, v29, v11
	v_dual_add_f32 v11, v180, v181 :: v_dual_add_f32 v14, v38, v39
	v_add_f32_e32 v35, v35, v36
	s_delay_alu instid0(VALU_DEP_4) | instskip(SKIP_1) | instid1(VALU_DEP_4)
	v_dual_add_f32 v74, v74, v12 :: v_dual_add_f32 v65, v65, v13
	v_add_f32_e32 v12, v166, v151
	v_dual_add_f32 v55, v55, v11 :: v_dual_add_f32 v6, v6, v22
	v_add_f32_e32 v11, v33, v34
	v_dual_add_f32 v66, v66, v14 :: v_dual_add_f32 v67, v67, v35
	v_dual_add_f32 v70, v70, v4 :: v_dual_add_f32 v5, v176, v177
	v_add_f32_e32 v80, v80, v12
	s_delay_alu instid0(VALU_DEP_4) | instskip(SKIP_2) | instid1(VALU_DEP_1)
	v_dual_add_f32 v68, v68, v11 :: v_dual_add_f32 v69, v69, v6
	v_add_f32_e32 v4, v164, v165
	v_dual_add_f32 v11, v148, v150 :: v_dual_add_f32 v12, v145, v149
	v_dual_add_f32 v6, v160, v161 :: v_dual_add_f32 v17, v17, v11
	s_delay_alu instid0(VALU_DEP_1) | instskip(SKIP_3) | instid1(VALU_DEP_3)
	v_dual_add_f32 v24, v24, v4 :: v_dual_add_f32 v83, v83, v6
	v_dual_add_f32 v4, v146, v147 :: v_dual_add_f32 v71, v71, v5
	;; [unrolled: 1-line block ×3, first 2 shown]
	v_add_f32_e32 v81, v81, v12
	v_add_f32_e32 v86, v86, v4
	v_dual_add_f32 v11, v23, v84 :: v_dual_add_f32 v12, v130, v131
	s_delay_alu instid0(VALU_DEP_4) | instskip(NEXT) | instid1(VALU_DEP_2)
	v_dual_add_f32 v82, v82, v5 :: v_dual_add_f32 v5, v144, v135
	v_dual_add_f32 v96, v96, v6 :: v_dual_add_f32 v97, v97, v11
	s_delay_alu instid0(VALU_DEP_2)
	v_dual_add_f32 v98, v98, v12 :: v_dual_add_f32 v87, v87, v5
	;;#ASMSTART
	v_pk_mul_f16 v5, v115, v19;

	;;#ASMEND
	;;#ASMSTART
	v_pk_mul_f16 v6, v114, v10;

	;;#ASMEND
	;; [unrolled: 4-line block ×4, first 2 shown]
	;;#ASMSTART
	v_pk_add_f16 v5, v5, v6;

	;;#ASMEND
	;;#ASMSTART
	v_pk_add_f16 v5, v5, v9;

	;;#ASMEND
	;; [unrolled: 4-line block ×3, first 2 shown]
	v_dual_add_f32 v4, v128, v129 :: v_dual_and_b32 v9, 0xffff, v2
	v_lshrrev_b32_e32 v10, 16, v2
	;;#ASMSTART
	v_cvt_f32_f16 v9, v9;
	;;#ASMEND
	v_dual_add_f32 v2, v118, v119 :: v_dual_add_f32 v5, v116, v117
	;;#ASMSTART
	v_cvt_f32_f16 v10, v10;
	;;#ASMEND
	s_delay_alu instid0(VALU_DEP_2) | instskip(NEXT) | instid1(VALU_DEP_2)
	v_dual_add_f32 v6, v54, v103 :: v_dual_add_f32 v9, v9, v10
	v_dual_add_f32 v99, v99, v4 :: v_dual_add_f32 v100, v100, v2
	s_delay_alu instid0(VALU_DEP_2) | instskip(NEXT) | instid1(VALU_DEP_3)
	v_dual_add_f32 v101, v101, v5 :: v_dual_add_f32 v102, v102, v6
	v_add_f32_e32 v20, v20, v9
.LBB296_2085:                           ;   in Loop: Header=BB296_2086 Depth=1
	s_wait_alu 0xfffe
	s_or_b32 exec_lo, exec_lo, s20
	v_add_nc_u32_e32 v91, 4, v91
	v_add_co_u32 v7, s0, v7, 16
	s_wait_alu 0xf1ff
	v_add_co_ci_u32_e64 v8, null, 0, v8, s0
	s_delay_alu instid0(VALU_DEP_3)
	v_cmp_ge_i32_e32 vcc_lo, v91, v92
	v_add_nc_u32_e32 v93, 0x80, v93
	v_add_nc_u32_e32 v15, 0x200, v15
	s_or_b32 s13, vcc_lo, s13
	s_wait_alu 0xfffe
	s_and_not1_b32 exec_lo, exec_lo, s13
	s_cbranch_execz .LBB296_4199
.LBB296_2086:                           ; =>This Inner Loop Header: Depth=1
	scratch_load_b32 v4, off, s32 offset:336 ; 4-byte Folded Reload
	v_sub_nc_u32_e32 v2, 0, v93
	s_delay_alu instid0(VALU_DEP_1) | instskip(SKIP_1) | instid1(VALU_DEP_1)
	v_max_i32_e32 v2, v93, v2
	s_wait_loadcnt 0x0
	v_mul_hi_u32 v4, v2, v4
	s_delay_alu instid0(VALU_DEP_1) | instskip(NEXT) | instid1(VALU_DEP_1)
	v_mul_lo_u32 v5, v4, v89
	v_sub_nc_u32_e32 v2, v2, v5
	s_delay_alu instid0(VALU_DEP_1) | instskip(SKIP_2) | instid1(VALU_DEP_2)
	v_sub_nc_u32_e32 v6, v2, v89
	v_cmp_ge_u32_e32 vcc_lo, v2, v89
	s_wait_alu 0xfffd
	v_dual_cndmask_b32 v2, v2, v6 :: v_dual_add_nc_u32 v5, 1, v4
	s_delay_alu instid0(VALU_DEP_1) | instskip(SKIP_1) | instid1(VALU_DEP_3)
	v_cndmask_b32_e32 v4, v4, v5, vcc_lo
	v_ashrrev_i32_e32 v5, 31, v93
	v_cmp_ge_u32_e32 vcc_lo, v2, v89
	s_delay_alu instid0(VALU_DEP_3) | instskip(NEXT) | instid1(VALU_DEP_3)
	v_add_nc_u32_e32 v6, 1, v4
	v_xor_b32_e32 v5, v5, v90
	s_wait_alu 0xfffd
	s_delay_alu instid0(VALU_DEP_2) | instskip(NEXT) | instid1(VALU_DEP_1)
	v_cndmask_b32_e32 v2, v4, v6, vcc_lo
	v_xor_b32_e32 v2, v2, v5
	s_delay_alu instid0(VALU_DEP_1) | instskip(SKIP_3) | instid1(VALU_DEP_1)
	v_sub_nc_u32_e32 v2, v2, v5
	scratch_load_b64 v[4:5], off, s32 offset:328 ; 8-byte Folded Reload
	s_wait_loadcnt 0x0
	v_add_nc_u32_e32 v4, v2, v4
	v_sub_nc_u32_e32 v5, 0, v4
	s_delay_alu instid0(VALU_DEP_1) | instskip(NEXT) | instid1(VALU_DEP_1)
	v_max_i32_e32 v5, v4, v5
	v_mul_hi_u32 v6, v5, v53
	s_delay_alu instid0(VALU_DEP_1) | instskip(NEXT) | instid1(VALU_DEP_1)
	v_mul_lo_u32 v6, v6, v30
	v_sub_nc_u32_e32 v5, v5, v6
	s_delay_alu instid0(VALU_DEP_1) | instskip(SKIP_2) | instid1(VALU_DEP_2)
	v_sub_nc_u32_e32 v6, v5, v30
	v_cmp_ge_u32_e32 vcc_lo, v5, v30
	s_wait_alu 0xfffd
	v_cndmask_b32_e32 v5, v5, v6, vcc_lo
	s_delay_alu instid0(VALU_DEP_1) | instskip(SKIP_2) | instid1(VALU_DEP_2)
	v_sub_nc_u32_e32 v6, v5, v30
	v_cmp_ge_u32_e32 vcc_lo, v5, v30
	s_wait_alu 0xfffd
	v_cndmask_b32_e32 v5, v5, v6, vcc_lo
	v_ashrrev_i32_e32 v4, 31, v4
	s_delay_alu instid0(VALU_DEP_1) | instskip(NEXT) | instid1(VALU_DEP_1)
	v_xor_b32_e32 v5, v5, v4
	v_sub_nc_u32_e32 v4, v5, v4
	s_delay_alu instid0(VALU_DEP_1)
	v_cmp_eq_u32_e32 vcc_lo, 0, v4
	scratch_load_b32 v4, off, s32 offset:340 ; 4-byte Folded Reload
	s_wait_loadcnt 0x0
	v_cmp_gt_i32_e64 s0, v2, v4
	s_or_b32 s0, vcc_lo, s0
	s_wait_alu 0xfffe
	s_and_saveexec_b32 s20, s0
	s_cbranch_execz .LBB296_2085
; %bb.2087:                             ;   in Loop: Header=BB296_2086 Depth=1
	flat_load_b32 v2, v[7:8]
	ds_load_2addr_b64 v[11:14], v15 offset1:1
	ds_load_2addr_b64 v[33:36], v15 offset0:2 offset1:3
	v_mov_b32_e32 v38, 0
	s_mov_b32 s0, exec_lo
	s_wait_dscnt 0x1
	;;#ASMSTART
	v_cvt_f16_f32 v22, v11;

	;;#ASMEND
	;;#ASMSTART
	v_cvt_f16_f32 v4, v12;

	;;#ASMEND
	;; [unrolled: 4-line block ×4, first 2 shown]
	s_wait_dscnt 0x0
	;;#ASMSTART
	v_cvt_f16_f32 v33, v33;

	;;#ASMEND
	;;#ASMSTART
	v_cvt_f16_f32 v6, v34;

	;;#ASMEND
	;; [unrolled: 4-line block ×4, first 2 shown]
	v_mov_b32_e32 v36, 0
	s_wait_loadcnt 0x0
	v_mad_co_i64_i32 v[9:10], null, v2, v79, v[0:1]
	s_delay_alu instid0(VALU_DEP_1) | instskip(SKIP_1) | instid1(VALU_DEP_2)
	v_add_co_u32 v11, vcc_lo, v9, v48
	s_wait_alu 0xfffd
	v_add_co_ci_u32_e64 v12, null, 0, v10, vcc_lo
	flat_load_b64 v[13:14], v[11:12]
	flat_load_b32 v35, v[26:27]
	s_wait_loadcnt_dscnt 0x101
	v_and_b32_e32 v2, 0xff, v13
	s_delay_alu instid0(VALU_DEP_1)
	v_cmpx_ne_u16_e32 0, v2
	s_cbranch_execz .LBB296_2095
; %bb.2088:                             ;   in Loop: Header=BB296_2086 Depth=1
	v_mov_b32_e32 v38, 0x8000
	s_mov_b32 s1, exec_lo
	v_cmpx_ne_u16_e32 0x80, v2
	s_cbranch_execz .LBB296_2094
; %bb.2089:                             ;   in Loop: Header=BB296_2086 Depth=1
	v_and_b32_e32 v39, 0x7f, v13
	v_mov_b32_e32 v38, 0x7c01
	s_mov_b32 s2, exec_lo
	s_delay_alu instid0(VALU_DEP_2)
	v_cmpx_ne_u32_e32 0x7f, v39
	s_cbranch_execz .LBB296_2093
; %bb.2090:                             ;   in Loop: Header=BB296_2086 Depth=1
	v_and_b32_e32 v2, 7, v13
	v_lshrrev_b32_e32 v38, 3, v39
	s_mov_b32 s3, exec_lo
	v_cmpx_gt_u32_e32 8, v39
; %bb.2091:                             ;   in Loop: Header=BB296_2086 Depth=1
	s_delay_alu instid0(VALU_DEP_3) | instskip(NEXT) | instid1(VALU_DEP_1)
	v_clz_i32_u32_e32 v2, v2
	v_min_u32_e32 v2, 32, v2
	s_delay_alu instid0(VALU_DEP_1) | instskip(NEXT) | instid1(VALU_DEP_1)
	v_subrev_nc_u32_e32 v38, 28, v2
	v_lshlrev_b64_e32 v[49:50], v38, v[13:14]
	v_sub_nc_u32_e32 v38, 29, v2
	s_delay_alu instid0(VALU_DEP_2)
	v_and_b32_e32 v2, 7, v49
; %bb.2092:                             ;   in Loop: Header=BB296_2086 Depth=1
	s_wait_alu 0xfffe
	s_or_b32 exec_lo, exec_lo, s3
	v_lshlrev_b32_e32 v39, 8, v13
	v_lshl_add_u32 v38, v38, 10, 0x2000
	v_lshlrev_b32_e32 v2, 7, v2
	s_delay_alu instid0(VALU_DEP_3) | instskip(NEXT) | instid1(VALU_DEP_3)
	v_and_b32_e32 v39, 0x8000, v39
	v_and_b32_e32 v38, 0xfc00, v38
	s_delay_alu instid0(VALU_DEP_1)
	v_or3_b32 v38, v39, v38, v2
.LBB296_2093:                           ;   in Loop: Header=BB296_2086 Depth=1
	s_wait_alu 0xfffe
	s_or_b32 exec_lo, exec_lo, s2
.LBB296_2094:                           ;   in Loop: Header=BB296_2086 Depth=1
	s_wait_alu 0xfffe
	s_or_b32 exec_lo, exec_lo, s1
.LBB296_2095:                           ;   in Loop: Header=BB296_2086 Depth=1
	s_wait_alu 0xfffe
	s_or_b32 exec_lo, exec_lo, s0
	v_lshrrev_b16 v2, 8, v13
	s_mov_b32 s0, exec_lo
	s_delay_alu instid0(VALU_DEP_1)
	v_cmpx_ne_u16_e32 0, v2
	s_cbranch_execz .LBB296_2103
; %bb.2096:                             ;   in Loop: Header=BB296_2086 Depth=1
	v_bfrev_b32_e32 v36, 1
	s_mov_b32 s1, exec_lo
	v_cmpx_ne_u16_e32 0x80, v2
	s_cbranch_execz .LBB296_2102
; %bb.2097:                             ;   in Loop: Header=BB296_2086 Depth=1
	v_and_b32_e32 v39, 0xffff, v2
	v_mov_b32_e32 v36, 0x7c010000
	s_mov_b32 s2, exec_lo
	s_delay_alu instid0(VALU_DEP_2) | instskip(NEXT) | instid1(VALU_DEP_1)
	v_and_b32_e32 v50, 0x7f, v39
	v_cmpx_ne_u32_e32 0x7f, v50
	s_cbranch_execz .LBB296_2101
; %bb.2098:                             ;   in Loop: Header=BB296_2086 Depth=1
	v_and_b32_e32 v36, 7, v39
	v_lshrrev_b32_e32 v49, 3, v50
	s_mov_b32 s3, exec_lo
	v_cmpx_gt_u32_e32 8, v50
; %bb.2099:                             ;   in Loop: Header=BB296_2086 Depth=1
	s_delay_alu instid0(VALU_DEP_3) | instskip(NEXT) | instid1(VALU_DEP_1)
	v_clz_i32_u32_e32 v36, v36
	v_min_u32_e32 v36, 32, v36
	s_delay_alu instid0(VALU_DEP_1) | instskip(NEXT) | instid1(VALU_DEP_1)
	v_subrev_nc_u32_e32 v49, 28, v36
	v_lshlrev_b64_e32 v[84:85], v49, v[2:3]
	v_sub_nc_u32_e32 v49, 29, v36
	s_delay_alu instid0(VALU_DEP_2)
	v_and_b32_e32 v36, 7, v84
; %bb.2100:                             ;   in Loop: Header=BB296_2086 Depth=1
	s_wait_alu 0xfffe
	s_or_b32 exec_lo, exec_lo, s3
	v_lshlrev_b32_e32 v2, 8, v39
	v_lshl_add_u32 v39, v49, 10, 0x2000
	v_lshlrev_b32_e32 v36, 23, v36
	s_delay_alu instid0(VALU_DEP_2) | instskip(NEXT) | instid1(VALU_DEP_1)
	v_and_or_b32 v2, 0x8000, v2, v39
	v_lshl_or_b32 v36, v2, 16, v36
.LBB296_2101:                           ;   in Loop: Header=BB296_2086 Depth=1
	s_wait_alu 0xfffe
	s_or_b32 exec_lo, exec_lo, s2
.LBB296_2102:                           ;   in Loop: Header=BB296_2086 Depth=1
	s_wait_alu 0xfffe
	s_or_b32 exec_lo, exec_lo, s1
.LBB296_2103:                           ;   in Loop: Header=BB296_2086 Depth=1
	s_wait_alu 0xfffe
	s_or_b32 exec_lo, exec_lo, s0
	v_lshrrev_b32_e32 v2, 16, v13
	v_mov_b32_e32 v49, 0
	s_mov_b32 s0, exec_lo
	s_delay_alu instid0(VALU_DEP_2) | instskip(NEXT) | instid1(VALU_DEP_1)
	v_dual_mov_b32 v39, 0 :: v_dual_and_b32 v50, 0xff, v2
	v_cmpx_ne_u16_e32 0, v50
	s_cbranch_execz .LBB296_2111
; %bb.2104:                             ;   in Loop: Header=BB296_2086 Depth=1
	v_mov_b32_e32 v49, 0x8000
	s_mov_b32 s1, exec_lo
	v_cmpx_ne_u16_e32 0x80, v50
	s_cbranch_execz .LBB296_2110
; %bb.2105:                             ;   in Loop: Header=BB296_2086 Depth=1
	v_bfe_u32 v54, v13, 16, 7
	v_mov_b32_e32 v49, 0x7c01
	s_mov_b32 s2, exec_lo
	s_delay_alu instid0(VALU_DEP_2)
	v_cmpx_ne_u32_e32 0x7f, v54
	s_cbranch_execz .LBB296_2109
; %bb.2106:                             ;   in Loop: Header=BB296_2086 Depth=1
	v_and_b32_e32 v49, 7, v2
	v_lshrrev_b32_e32 v50, 3, v54
	s_mov_b32 s3, exec_lo
	v_cmpx_gt_u32_e32 8, v54
; %bb.2107:                             ;   in Loop: Header=BB296_2086 Depth=1
	s_delay_alu instid0(VALU_DEP_3) | instskip(NEXT) | instid1(VALU_DEP_1)
	v_clz_i32_u32_e32 v49, v49
	v_min_u32_e32 v54, 32, v49
	s_delay_alu instid0(VALU_DEP_1) | instskip(NEXT) | instid1(VALU_DEP_1)
	v_subrev_nc_u32_e32 v49, 28, v54
	v_lshlrev_b64_e32 v[49:50], v49, v[2:3]
	v_sub_nc_u32_e32 v50, 29, v54
	s_delay_alu instid0(VALU_DEP_2)
	v_and_b32_e32 v49, 7, v49
; %bb.2108:                             ;   in Loop: Header=BB296_2086 Depth=1
	s_wait_alu 0xfffe
	s_or_b32 exec_lo, exec_lo, s3
	v_lshlrev_b32_e32 v2, 8, v2
	v_lshl_add_u32 v50, v50, 10, 0x2000
	v_lshlrev_b32_e32 v49, 7, v49
	s_delay_alu instid0(VALU_DEP_3) | instskip(NEXT) | instid1(VALU_DEP_3)
	v_and_b32_e32 v2, 0x8000, v2
	v_and_b32_e32 v50, 0xfc00, v50
	s_delay_alu instid0(VALU_DEP_1)
	v_or3_b32 v49, v2, v50, v49
.LBB296_2109:                           ;   in Loop: Header=BB296_2086 Depth=1
	s_wait_alu 0xfffe
	s_or_b32 exec_lo, exec_lo, s2
.LBB296_2110:                           ;   in Loop: Header=BB296_2086 Depth=1
	s_wait_alu 0xfffe
	s_or_b32 exec_lo, exec_lo, s1
.LBB296_2111:                           ;   in Loop: Header=BB296_2086 Depth=1
	s_wait_alu 0xfffe
	s_or_b32 exec_lo, exec_lo, s0
	s_delay_alu instid0(SALU_CYCLE_1)
	s_mov_b32 s0, exec_lo
	v_cmpx_lt_u32_e32 0xffffff, v13
	s_cbranch_execz .LBB296_2119
; %bb.2112:                             ;   in Loop: Header=BB296_2086 Depth=1
	v_lshrrev_b32_e32 v2, 24, v13
	v_bfrev_b32_e32 v39, 1
	s_mov_b32 s1, exec_lo
	s_delay_alu instid0(VALU_DEP_2)
	v_cmpx_ne_u32_e32 0x80, v2
	s_cbranch_execz .LBB296_2118
; %bb.2113:                             ;   in Loop: Header=BB296_2086 Depth=1
	v_and_b32_e32 v54, 0x7f, v2
	v_mov_b32_e32 v39, 0x7c010000
	s_mov_b32 s2, exec_lo
	s_delay_alu instid0(VALU_DEP_2)
	v_cmpx_ne_u32_e32 0x7f, v54
	s_cbranch_execz .LBB296_2117
; %bb.2114:                             ;   in Loop: Header=BB296_2086 Depth=1
	v_and_b32_e32 v39, 7, v2
	v_lshrrev_b32_e32 v50, 3, v54
	s_mov_b32 s3, exec_lo
	v_cmpx_gt_u32_e32 8, v54
; %bb.2115:                             ;   in Loop: Header=BB296_2086 Depth=1
	s_delay_alu instid0(VALU_DEP_3) | instskip(NEXT) | instid1(VALU_DEP_1)
	v_clz_i32_u32_e32 v39, v39
	v_min_u32_e32 v39, 32, v39
	s_delay_alu instid0(VALU_DEP_1) | instskip(NEXT) | instid1(VALU_DEP_1)
	v_subrev_nc_u32_e32 v50, 28, v39
	v_lshlrev_b64_e32 v[84:85], v50, v[2:3]
	v_sub_nc_u32_e32 v50, 29, v39
	s_delay_alu instid0(VALU_DEP_2)
	v_and_b32_e32 v39, 7, v84
; %bb.2116:                             ;   in Loop: Header=BB296_2086 Depth=1
	s_wait_alu 0xfffe
	s_or_b32 exec_lo, exec_lo, s3
	v_lshlrev_b32_e32 v2, 8, v2
	v_lshl_add_u32 v50, v50, 10, 0x2000
	v_lshlrev_b32_e32 v39, 23, v39
	s_delay_alu instid0(VALU_DEP_2) | instskip(NEXT) | instid1(VALU_DEP_1)
	v_and_or_b32 v2, 0x8000, v2, v50
	v_lshl_or_b32 v39, v2, 16, v39
.LBB296_2117:                           ;   in Loop: Header=BB296_2086 Depth=1
	s_wait_alu 0xfffe
	s_or_b32 exec_lo, exec_lo, s2
.LBB296_2118:                           ;   in Loop: Header=BB296_2086 Depth=1
	s_wait_alu 0xfffe
	s_or_b32 exec_lo, exec_lo, s1
.LBB296_2119:                           ;   in Loop: Header=BB296_2086 Depth=1
	s_wait_alu 0xfffe
	s_or_b32 exec_lo, exec_lo, s0
	v_and_b32_e32 v84, 0xff, v14
	v_mov_b32_e32 v2, v14
	v_mov_b32_e32 v50, 0
	;; [unrolled: 1-line block ×3, first 2 shown]
	s_mov_b32 s0, exec_lo
	v_cmpx_ne_u16_e32 0, v84
	s_cbranch_execz .LBB296_2127
; %bb.2120:                             ;   in Loop: Header=BB296_2086 Depth=1
	v_mov_b32_e32 v54, 0x8000
	s_mov_b32 s1, exec_lo
	v_cmpx_ne_u16_e32 0x80, v84
	s_cbranch_execz .LBB296_2126
; %bb.2121:                             ;   in Loop: Header=BB296_2086 Depth=1
	v_and_b32_e32 v85, 0x7f, v14
	v_mov_b32_e32 v54, 0x7c01
	s_mov_b32 s2, exec_lo
	s_delay_alu instid0(VALU_DEP_2)
	v_cmpx_ne_u32_e32 0x7f, v85
	s_cbranch_execz .LBB296_2125
; %bb.2122:                             ;   in Loop: Header=BB296_2086 Depth=1
	v_and_b32_e32 v54, 7, v14
	v_lshrrev_b32_e32 v84, 3, v85
	s_mov_b32 s3, exec_lo
	v_cmpx_gt_u32_e32 8, v85
; %bb.2123:                             ;   in Loop: Header=BB296_2086 Depth=1
	s_delay_alu instid0(VALU_DEP_3) | instskip(NEXT) | instid1(VALU_DEP_1)
	v_clz_i32_u32_e32 v54, v54
	v_min_u32_e32 v54, 32, v54
	s_delay_alu instid0(VALU_DEP_1) | instskip(SKIP_1) | instid1(VALU_DEP_2)
	v_subrev_nc_u32_e32 v64, 28, v54
	v_sub_nc_u32_e32 v84, 29, v54
	v_lshlrev_b64_e32 v[112:113], v64, v[2:3]
	s_delay_alu instid0(VALU_DEP_1)
	v_and_b32_e32 v54, 7, v112
; %bb.2124:                             ;   in Loop: Header=BB296_2086 Depth=1
	s_wait_alu 0xfffe
	s_or_b32 exec_lo, exec_lo, s3
	v_lshlrev_b32_e32 v64, 8, v14
	v_lshl_add_u32 v84, v84, 10, 0x2000
	v_lshlrev_b32_e32 v54, 7, v54
	s_delay_alu instid0(VALU_DEP_3) | instskip(NEXT) | instid1(VALU_DEP_3)
	v_and_b32_e32 v64, 0x8000, v64
	v_and_b32_e32 v84, 0xfc00, v84
	s_delay_alu instid0(VALU_DEP_1)
	v_or3_b32 v54, v64, v84, v54
.LBB296_2125:                           ;   in Loop: Header=BB296_2086 Depth=1
	s_wait_alu 0xfffe
	s_or_b32 exec_lo, exec_lo, s2
.LBB296_2126:                           ;   in Loop: Header=BB296_2086 Depth=1
	s_wait_alu 0xfffe
	s_or_b32 exec_lo, exec_lo, s1
.LBB296_2127:                           ;   in Loop: Header=BB296_2086 Depth=1
	s_wait_alu 0xfffe
	s_or_b32 exec_lo, exec_lo, s0
	v_lshrrev_b16 v2, 8, v2
	v_mov_b32_e32 v84, 0
	s_mov_b32 s0, exec_lo
	s_delay_alu instid0(VALU_DEP_2)
	v_cmpx_ne_u16_e32 0, v2
	s_cbranch_execz .LBB296_2135
; %bb.2128:                             ;   in Loop: Header=BB296_2086 Depth=1
	v_bfrev_b32_e32 v84, 1
	s_mov_b32 s1, exec_lo
	v_cmpx_ne_u16_e32 0x80, v2
	s_cbranch_execz .LBB296_2134
; %bb.2129:                             ;   in Loop: Header=BB296_2086 Depth=1
	v_and_b32_e32 v85, 0xffff, v2
	v_mov_b32_e32 v84, 0x7c010000
	s_mov_b32 s2, exec_lo
	s_delay_alu instid0(VALU_DEP_2) | instskip(NEXT) | instid1(VALU_DEP_1)
	v_and_b32_e32 v112, 0x7f, v85
	v_cmpx_ne_u32_e32 0x7f, v112
	s_cbranch_execz .LBB296_2133
; %bb.2130:                             ;   in Loop: Header=BB296_2086 Depth=1
	v_and_b32_e32 v84, 7, v85
	v_lshrrev_b32_e32 v103, 3, v112
	s_mov_b32 s3, exec_lo
	v_cmpx_gt_u32_e32 8, v112
; %bb.2131:                             ;   in Loop: Header=BB296_2086 Depth=1
	s_delay_alu instid0(VALU_DEP_3) | instskip(NEXT) | instid1(VALU_DEP_1)
	v_clz_i32_u32_e32 v64, v84
	v_min_u32_e32 v64, 32, v64
	s_delay_alu instid0(VALU_DEP_1) | instskip(SKIP_1) | instid1(VALU_DEP_2)
	v_subrev_nc_u32_e32 v84, 28, v64
	v_sub_nc_u32_e32 v103, 29, v64
	v_lshlrev_b64_e32 v[112:113], v84, v[2:3]
	s_delay_alu instid0(VALU_DEP_1)
	v_and_b32_e32 v84, 7, v112
; %bb.2132:                             ;   in Loop: Header=BB296_2086 Depth=1
	s_wait_alu 0xfffe
	s_or_b32 exec_lo, exec_lo, s3
	v_lshlrev_b32_e32 v2, 8, v85
	v_lshl_add_u32 v64, v103, 10, 0x2000
	s_delay_alu instid0(VALU_DEP_1) | instskip(SKIP_1) | instid1(VALU_DEP_1)
	v_and_or_b32 v2, 0x8000, v2, v64
	v_lshlrev_b32_e32 v64, 23, v84
	v_lshl_or_b32 v84, v2, 16, v64
.LBB296_2133:                           ;   in Loop: Header=BB296_2086 Depth=1
	s_wait_alu 0xfffe
	s_or_b32 exec_lo, exec_lo, s2
.LBB296_2134:                           ;   in Loop: Header=BB296_2086 Depth=1
	s_wait_alu 0xfffe
	s_or_b32 exec_lo, exec_lo, s1
.LBB296_2135:                           ;   in Loop: Header=BB296_2086 Depth=1
	s_wait_alu 0xfffe
	s_or_b32 exec_lo, exec_lo, s0
	v_lshrrev_b32_e32 v2, 16, v14
	s_mov_b32 s0, exec_lo
	s_delay_alu instid0(VALU_DEP_1) | instskip(NEXT) | instid1(VALU_DEP_1)
	v_and_b32_e32 v85, 0xff, v2
	v_cmpx_ne_u16_e32 0, v85
	s_cbranch_execz .LBB296_2143
; %bb.2136:                             ;   in Loop: Header=BB296_2086 Depth=1
	v_mov_b32_e32 v50, 0x8000
	s_mov_b32 s1, exec_lo
	v_cmpx_ne_u16_e32 0x80, v85
	s_cbranch_execz .LBB296_2142
; %bb.2137:                             ;   in Loop: Header=BB296_2086 Depth=1
	v_bfe_u32 v103, v14, 16, 7
	v_mov_b32_e32 v50, 0x7c01
	s_mov_b32 s2, exec_lo
	s_delay_alu instid0(VALU_DEP_2)
	v_cmpx_ne_u32_e32 0x7f, v103
	s_cbranch_execz .LBB296_2141
; %bb.2138:                             ;   in Loop: Header=BB296_2086 Depth=1
	v_and_b32_e32 v50, 7, v2
	v_lshrrev_b32_e32 v85, 3, v103
	s_mov_b32 s3, exec_lo
	v_cmpx_gt_u32_e32 8, v103
; %bb.2139:                             ;   in Loop: Header=BB296_2086 Depth=1
	s_delay_alu instid0(VALU_DEP_3) | instskip(NEXT) | instid1(VALU_DEP_1)
	v_clz_i32_u32_e32 v50, v50
	v_min_u32_e32 v50, 32, v50
	s_delay_alu instid0(VALU_DEP_1) | instskip(SKIP_1) | instid1(VALU_DEP_2)
	v_subrev_nc_u32_e32 v64, 28, v50
	v_sub_nc_u32_e32 v85, 29, v50
	v_lshlrev_b64_e32 v[112:113], v64, v[2:3]
	s_delay_alu instid0(VALU_DEP_1)
	v_and_b32_e32 v50, 7, v112
; %bb.2140:                             ;   in Loop: Header=BB296_2086 Depth=1
	s_wait_alu 0xfffe
	s_or_b32 exec_lo, exec_lo, s3
	v_lshlrev_b32_e32 v2, 8, v2
	v_lshl_add_u32 v64, v85, 10, 0x2000
	v_lshlrev_b32_e32 v50, 7, v50
	s_delay_alu instid0(VALU_DEP_3) | instskip(NEXT) | instid1(VALU_DEP_3)
	v_and_b32_e32 v2, 0x8000, v2
	v_and_b32_e32 v64, 0xfc00, v64
	s_delay_alu instid0(VALU_DEP_1)
	v_or3_b32 v50, v2, v64, v50
.LBB296_2141:                           ;   in Loop: Header=BB296_2086 Depth=1
	s_wait_alu 0xfffe
	s_or_b32 exec_lo, exec_lo, s2
.LBB296_2142:                           ;   in Loop: Header=BB296_2086 Depth=1
	s_wait_alu 0xfffe
	s_or_b32 exec_lo, exec_lo, s1
.LBB296_2143:                           ;   in Loop: Header=BB296_2086 Depth=1
	s_wait_alu 0xfffe
	s_or_b32 exec_lo, exec_lo, s0
	v_cmp_lt_u64_e32 vcc_lo, s[16:17], v[13:14]
	v_mov_b32_e32 v13, 0
	s_and_saveexec_b32 s0, vcc_lo
	s_cbranch_execz .LBB296_2151
; %bb.2144:                             ;   in Loop: Header=BB296_2086 Depth=1
	v_lshrrev_b32_e32 v2, 24, v14
	v_bfrev_b32_e32 v13, 1
	s_mov_b32 s1, exec_lo
	s_delay_alu instid0(VALU_DEP_2)
	v_cmpx_ne_u32_e32 0x80, v2
	s_cbranch_execz .LBB296_2150
; %bb.2145:                             ;   in Loop: Header=BB296_2086 Depth=1
	v_and_b32_e32 v85, 0x7f, v2
	v_mov_b32_e32 v13, 0x7c010000
	s_mov_b32 s2, exec_lo
	s_delay_alu instid0(VALU_DEP_2)
	v_cmpx_ne_u32_e32 0x7f, v85
	s_cbranch_execz .LBB296_2149
; %bb.2146:                             ;   in Loop: Header=BB296_2086 Depth=1
	v_and_b32_e32 v13, 7, v2
	v_lshrrev_b32_e32 v14, 3, v85
	s_mov_b32 s3, exec_lo
	v_cmpx_gt_u32_e32 8, v85
; %bb.2147:                             ;   in Loop: Header=BB296_2086 Depth=1
	s_delay_alu instid0(VALU_DEP_3) | instskip(NEXT) | instid1(VALU_DEP_1)
	v_clz_i32_u32_e32 v13, v13
	v_min_u32_e32 v64, 32, v13
	s_delay_alu instid0(VALU_DEP_1) | instskip(NEXT) | instid1(VALU_DEP_1)
	v_subrev_nc_u32_e32 v13, 28, v64
	v_lshlrev_b64_e32 v[13:14], v13, v[2:3]
	v_sub_nc_u32_e32 v14, 29, v64
	s_delay_alu instid0(VALU_DEP_2)
	v_and_b32_e32 v13, 7, v13
; %bb.2148:                             ;   in Loop: Header=BB296_2086 Depth=1
	s_wait_alu 0xfffe
	s_or_b32 exec_lo, exec_lo, s3
	v_lshlrev_b32_e32 v2, 8, v2
	v_lshl_add_u32 v14, v14, 10, 0x2000
	v_lshlrev_b32_e32 v13, 23, v13
	s_delay_alu instid0(VALU_DEP_2) | instskip(NEXT) | instid1(VALU_DEP_1)
	v_and_or_b32 v2, 0x8000, v2, v14
	v_lshl_or_b32 v13, v2, 16, v13
.LBB296_2149:                           ;   in Loop: Header=BB296_2086 Depth=1
	s_wait_alu 0xfffe
	s_or_b32 exec_lo, exec_lo, s2
.LBB296_2150:                           ;   in Loop: Header=BB296_2086 Depth=1
	s_wait_alu 0xfffe
	s_or_b32 exec_lo, exec_lo, s1
.LBB296_2151:                           ;   in Loop: Header=BB296_2086 Depth=1
	s_wait_alu 0xfffe
	s_or_b32 exec_lo, exec_lo, s0
	v_add_nc_u32_e32 v2, v16, v93
	v_or_b32_e32 v49, v39, v49
	s_wait_loadcnt_dscnt 0x0
	v_fma_mixlo_f16 v39, v35, v39, 0 op_sel:[0,1,0] op_sel_hi:[0,1,0]
	v_cmp_eq_u32_e64 s0, v51, v91
	v_add_nc_u32_e32 v14, 1, v2
	v_add_nc_u32_e32 v64, 2, v2
	v_cmp_lt_i32_e32 vcc_lo, v2, v88
	v_add_nc_u32_e32 v85, 3, v2
	v_add_nc_u32_e32 v103, 4, v2
	v_cmp_lt_i32_e64 s3, v14, v88
	v_add_nc_u32_e32 v14, 6, v2
	v_add_nc_u32_e32 v112, 5, v2
	v_cmp_lt_i32_e64 s1, v64, v88
	v_add_nc_u32_e32 v64, 7, v2
	v_lshlrev_b32_e32 v2, 16, v39
	v_cmp_lt_i32_e64 s6, v14, v88
	v_fma_mixlo_f16 v14, v35, v49, 0 op_sel_hi:[0,1,0]
	v_fma_mixlo_f16 v49, v35, v36, 0 op_sel:[0,1,0] op_sel_hi:[0,1,0]
	v_or_b32_e32 v36, v36, v38
	v_or_b32_e32 v38, v84, v54
	v_cmp_lt_i32_e64 s2, v85, v88
	v_and_b32_e32 v14, 0xffff, v14
	v_lshlrev_b32_e32 v39, 16, v49
	v_or_b32_e32 v49, v13, v50
	v_fma_mixlo_f16 v36, v35, v36, 0 op_sel_hi:[0,1,0]
	v_fma_mixlo_f16 v50, v35, v84, 0 op_sel:[0,1,0] op_sel_hi:[0,1,0]
	v_fma_mixlo_f16 v38, v35, v38, 0 op_sel_hi:[0,1,0]
	v_fma_mixlo_f16 v13, v35, v13, 0 op_sel:[0,1,0] op_sel_hi:[0,1,0]
	v_fma_mixlo_f16 v35, v35, v49, 0 op_sel_hi:[0,1,0]
	v_and_b32_e32 v85, 0xffff, v36
	v_lshlrev_b32_e32 v50, 16, v50
	v_and_b32_e32 v84, 0xffff, v38
	v_lshlrev_b32_e32 v49, 16, v13
	v_and_b32_e32 v54, 0xffff, v35
	v_cmp_lt_i32_e64 s4, v103, v88
	v_cmp_lt_i32_e64 s5, v112, v88
	;; [unrolled: 1-line block ×3, first 2 shown]
	v_or_b32_e32 v13, v2, v14
	v_or_b32_e32 v35, v39, v85
	;; [unrolled: 1-line block ×4, first 2 shown]
	s_and_saveexec_b32 s8, s0
	s_cbranch_execz .LBB296_2153
; %bb.2152:                             ;   in Loop: Header=BB296_2086 Depth=1
	s_wait_alu 0xfffd
	v_cndmask_b32_e32 v13, 0, v85, vcc_lo
	v_cndmask_b32_e64 v35, 0, v39, s3
	v_cndmask_b32_e64 v14, 0, v14, s1
	;; [unrolled: 1-line block ×7, first 2 shown]
	v_or_b32_e32 v35, v13, v35
	v_or_b32_e32 v13, v14, v2
	;; [unrolled: 1-line block ×3, first 2 shown]
	s_delay_alu instid0(VALU_DEP_4)
	v_or_b32_e32 v38, v39, v49
.LBB296_2153:                           ;   in Loop: Header=BB296_2086 Depth=1
	s_wait_alu 0xfffe
	s_or_b32 exec_lo, exec_lo, s8
	v_and_b32_e32 v2, 0xffff, v22
	v_and_b32_e32 v14, 0xffff, v23
	;; [unrolled: 1-line block ×4, first 2 shown]
	s_mov_b32 s21, exec_lo
	v_lshl_or_b32 v115, v4, 16, v2
	;;#ASMSTART
	v_pk_mul_f16 v2, v115, v35;

	;;#ASMEND
	v_lshl_or_b32 v114, v5, 16, v14
	v_lshl_or_b32 v113, v6, 16, v22
	;; [unrolled: 1-line block ×3, first 2 shown]
	;;#ASMSTART
	v_pk_mul_f16 v4, v114, v13;

	;;#ASMEND
	;;#ASMSTART
	v_pk_mul_f16 v5, v113, v36;

	;;#ASMEND
	;; [unrolled: 4-line block ×3, first 2 shown]
	;;#ASMSTART
	v_pk_add_f16 v2, v2, v4;

	;;#ASMEND
	;;#ASMSTART
	v_pk_add_f16 v2, v2, v5;

	;;#ASMEND
	;; [unrolled: 4-line block ×3, first 2 shown]
	v_and_b32_e32 v4, 0xffff, v2
	v_lshrrev_b32_e32 v2, 16, v2
	;;#ASMSTART
	v_cvt_f32_f16 v54, v4;
	;;#ASMEND
	;;#ASMSTART
	v_cvt_f32_f16 v103, v2;
	;;#ASMEND
	flat_load_b64 v[13:14], v[11:12] offset:256
	flat_load_b32 v4, v[26:27]
	v_dual_mov_b32 v5, 0 :: v_dual_mov_b32 v6, 0
	s_wait_loadcnt_dscnt 0x101
	v_and_b32_e32 v2, 0xff, v13
	s_delay_alu instid0(VALU_DEP_1)
	v_cmpx_ne_u16_e32 0, v2
	s_cbranch_execz .LBB296_2161
; %bb.2154:                             ;   in Loop: Header=BB296_2086 Depth=1
	v_mov_b32_e32 v6, 0x8000
	s_mov_b32 s22, exec_lo
	v_cmpx_ne_u16_e32 0x80, v2
	s_cbranch_execz .LBB296_2160
; %bb.2155:                             ;   in Loop: Header=BB296_2086 Depth=1
	v_and_b32_e32 v19, 0x7f, v13
	v_mov_b32_e32 v6, 0x7c01
	s_mov_b32 s23, exec_lo
	s_delay_alu instid0(VALU_DEP_2)
	v_cmpx_ne_u32_e32 0x7f, v19
	s_cbranch_execz .LBB296_2159
; %bb.2156:                             ;   in Loop: Header=BB296_2086 Depth=1
	v_and_b32_e32 v2, 7, v13
	v_lshrrev_b32_e32 v6, 3, v19
	s_mov_b32 s24, exec_lo
	v_cmpx_gt_u32_e32 8, v19
; %bb.2157:                             ;   in Loop: Header=BB296_2086 Depth=1
	s_delay_alu instid0(VALU_DEP_3) | instskip(NEXT) | instid1(VALU_DEP_1)
	v_clz_i32_u32_e32 v2, v2
	v_min_u32_e32 v2, 32, v2
	s_delay_alu instid0(VALU_DEP_1) | instskip(NEXT) | instid1(VALU_DEP_1)
	v_subrev_nc_u32_e32 v6, 28, v2
	v_lshlrev_b64_e32 v[22:23], v6, v[13:14]
	v_sub_nc_u32_e32 v6, 29, v2
	s_delay_alu instid0(VALU_DEP_2)
	v_and_b32_e32 v2, 7, v22
; %bb.2158:                             ;   in Loop: Header=BB296_2086 Depth=1
	s_wait_alu 0xfffe
	s_or_b32 exec_lo, exec_lo, s24
	v_lshlrev_b32_e32 v19, 8, v13
	v_lshl_add_u32 v6, v6, 10, 0x2000
	v_lshlrev_b32_e32 v2, 7, v2
	s_delay_alu instid0(VALU_DEP_3) | instskip(NEXT) | instid1(VALU_DEP_3)
	v_and_b32_e32 v19, 0x8000, v19
	v_and_b32_e32 v6, 0xfc00, v6
	s_delay_alu instid0(VALU_DEP_1)
	v_or3_b32 v6, v19, v6, v2
.LBB296_2159:                           ;   in Loop: Header=BB296_2086 Depth=1
	s_wait_alu 0xfffe
	s_or_b32 exec_lo, exec_lo, s23
.LBB296_2160:                           ;   in Loop: Header=BB296_2086 Depth=1
	s_wait_alu 0xfffe
	s_or_b32 exec_lo, exec_lo, s22
.LBB296_2161:                           ;   in Loop: Header=BB296_2086 Depth=1
	s_wait_alu 0xfffe
	s_or_b32 exec_lo, exec_lo, s21
	v_lshrrev_b16 v2, 8, v13
	s_mov_b32 s21, exec_lo
	s_delay_alu instid0(VALU_DEP_1)
	v_cmpx_ne_u16_e32 0, v2
	s_cbranch_execz .LBB296_2169
; %bb.2162:                             ;   in Loop: Header=BB296_2086 Depth=1
	v_bfrev_b32_e32 v5, 1
	s_mov_b32 s22, exec_lo
	v_cmpx_ne_u16_e32 0x80, v2
	s_cbranch_execz .LBB296_2168
; %bb.2163:                             ;   in Loop: Header=BB296_2086 Depth=1
	v_and_b32_e32 v19, 0xffff, v2
	v_mov_b32_e32 v5, 0x7c010000
	s_mov_b32 s23, exec_lo
	s_delay_alu instid0(VALU_DEP_2) | instskip(NEXT) | instid1(VALU_DEP_1)
	v_and_b32_e32 v23, 0x7f, v19
	v_cmpx_ne_u32_e32 0x7f, v23
	s_cbranch_execz .LBB296_2167
; %bb.2164:                             ;   in Loop: Header=BB296_2086 Depth=1
	v_and_b32_e32 v5, 7, v19
	v_lshrrev_b32_e32 v22, 3, v23
	s_mov_b32 s24, exec_lo
	v_cmpx_gt_u32_e32 8, v23
; %bb.2165:                             ;   in Loop: Header=BB296_2086 Depth=1
	s_delay_alu instid0(VALU_DEP_3) | instskip(NEXT) | instid1(VALU_DEP_1)
	v_clz_i32_u32_e32 v5, v5
	v_min_u32_e32 v5, 32, v5
	s_delay_alu instid0(VALU_DEP_1) | instskip(NEXT) | instid1(VALU_DEP_1)
	v_subrev_nc_u32_e32 v22, 28, v5
	v_lshlrev_b64_e32 v[33:34], v22, v[2:3]
	v_sub_nc_u32_e32 v22, 29, v5
	s_delay_alu instid0(VALU_DEP_2)
	v_and_b32_e32 v5, 7, v33
; %bb.2166:                             ;   in Loop: Header=BB296_2086 Depth=1
	s_wait_alu 0xfffe
	s_or_b32 exec_lo, exec_lo, s24
	v_lshlrev_b32_e32 v2, 8, v19
	v_lshl_add_u32 v19, v22, 10, 0x2000
	v_lshlrev_b32_e32 v5, 23, v5
	s_delay_alu instid0(VALU_DEP_2) | instskip(NEXT) | instid1(VALU_DEP_1)
	v_and_or_b32 v2, 0x8000, v2, v19
	v_lshl_or_b32 v5, v2, 16, v5
.LBB296_2167:                           ;   in Loop: Header=BB296_2086 Depth=1
	s_wait_alu 0xfffe
	s_or_b32 exec_lo, exec_lo, s23
.LBB296_2168:                           ;   in Loop: Header=BB296_2086 Depth=1
	s_wait_alu 0xfffe
	s_or_b32 exec_lo, exec_lo, s22
.LBB296_2169:                           ;   in Loop: Header=BB296_2086 Depth=1
	s_wait_alu 0xfffe
	s_or_b32 exec_lo, exec_lo, s21
	v_lshrrev_b32_e32 v2, 16, v13
	v_mov_b32_e32 v19, 0
	s_mov_b32 s21, exec_lo
	s_delay_alu instid0(VALU_DEP_2) | instskip(NEXT) | instid1(VALU_DEP_1)
	v_dual_mov_b32 v22, 0 :: v_dual_and_b32 v23, 0xff, v2
	v_cmpx_ne_u16_e32 0, v23
	s_cbranch_execz .LBB296_2177
; %bb.2170:                             ;   in Loop: Header=BB296_2086 Depth=1
	v_mov_b32_e32 v22, 0x8000
	s_mov_b32 s22, exec_lo
	v_cmpx_ne_u16_e32 0x80, v23
	s_cbranch_execz .LBB296_2176
; %bb.2171:                             ;   in Loop: Header=BB296_2086 Depth=1
	v_bfe_u32 v33, v13, 16, 7
	v_mov_b32_e32 v22, 0x7c01
	s_mov_b32 s23, exec_lo
	s_delay_alu instid0(VALU_DEP_2)
	v_cmpx_ne_u32_e32 0x7f, v33
	s_cbranch_execz .LBB296_2175
; %bb.2172:                             ;   in Loop: Header=BB296_2086 Depth=1
	v_and_b32_e32 v22, 7, v2
	v_lshrrev_b32_e32 v23, 3, v33
	s_mov_b32 s24, exec_lo
	v_cmpx_gt_u32_e32 8, v33
; %bb.2173:                             ;   in Loop: Header=BB296_2086 Depth=1
	s_delay_alu instid0(VALU_DEP_3) | instskip(NEXT) | instid1(VALU_DEP_1)
	v_clz_i32_u32_e32 v22, v22
	v_min_u32_e32 v33, 32, v22
	s_delay_alu instid0(VALU_DEP_1) | instskip(NEXT) | instid1(VALU_DEP_1)
	v_subrev_nc_u32_e32 v22, 28, v33
	v_lshlrev_b64_e32 v[22:23], v22, v[2:3]
	v_sub_nc_u32_e32 v23, 29, v33
	s_delay_alu instid0(VALU_DEP_2)
	v_and_b32_e32 v22, 7, v22
; %bb.2174:                             ;   in Loop: Header=BB296_2086 Depth=1
	s_wait_alu 0xfffe
	s_or_b32 exec_lo, exec_lo, s24
	v_lshlrev_b32_e32 v2, 8, v2
	v_lshl_add_u32 v23, v23, 10, 0x2000
	v_lshlrev_b32_e32 v22, 7, v22
	s_delay_alu instid0(VALU_DEP_3) | instskip(NEXT) | instid1(VALU_DEP_3)
	v_and_b32_e32 v2, 0x8000, v2
	v_and_b32_e32 v23, 0xfc00, v23
	s_delay_alu instid0(VALU_DEP_1)
	v_or3_b32 v22, v2, v23, v22
.LBB296_2175:                           ;   in Loop: Header=BB296_2086 Depth=1
	s_wait_alu 0xfffe
	s_or_b32 exec_lo, exec_lo, s23
.LBB296_2176:                           ;   in Loop: Header=BB296_2086 Depth=1
	s_wait_alu 0xfffe
	s_or_b32 exec_lo, exec_lo, s22
.LBB296_2177:                           ;   in Loop: Header=BB296_2086 Depth=1
	s_wait_alu 0xfffe
	s_or_b32 exec_lo, exec_lo, s21
	s_delay_alu instid0(SALU_CYCLE_1)
	s_mov_b32 s21, exec_lo
	v_cmpx_lt_u32_e32 0xffffff, v13
	s_cbranch_execz .LBB296_2185
; %bb.2178:                             ;   in Loop: Header=BB296_2086 Depth=1
	v_lshrrev_b32_e32 v2, 24, v13
	v_bfrev_b32_e32 v19, 1
	s_mov_b32 s22, exec_lo
	s_delay_alu instid0(VALU_DEP_2)
	v_cmpx_ne_u32_e32 0x80, v2
	s_cbranch_execz .LBB296_2184
; %bb.2179:                             ;   in Loop: Header=BB296_2086 Depth=1
	v_and_b32_e32 v33, 0x7f, v2
	v_mov_b32_e32 v19, 0x7c010000
	s_mov_b32 s23, exec_lo
	s_delay_alu instid0(VALU_DEP_2)
	v_cmpx_ne_u32_e32 0x7f, v33
	s_cbranch_execz .LBB296_2183
; %bb.2180:                             ;   in Loop: Header=BB296_2086 Depth=1
	v_and_b32_e32 v19, 7, v2
	v_lshrrev_b32_e32 v23, 3, v33
	s_mov_b32 s24, exec_lo
	v_cmpx_gt_u32_e32 8, v33
; %bb.2181:                             ;   in Loop: Header=BB296_2086 Depth=1
	s_delay_alu instid0(VALU_DEP_3) | instskip(NEXT) | instid1(VALU_DEP_1)
	v_clz_i32_u32_e32 v19, v19
	v_min_u32_e32 v19, 32, v19
	s_delay_alu instid0(VALU_DEP_1) | instskip(NEXT) | instid1(VALU_DEP_1)
	v_subrev_nc_u32_e32 v23, 28, v19
	v_lshlrev_b64_e32 v[33:34], v23, v[2:3]
	v_sub_nc_u32_e32 v23, 29, v19
	s_delay_alu instid0(VALU_DEP_2)
	v_and_b32_e32 v19, 7, v33
; %bb.2182:                             ;   in Loop: Header=BB296_2086 Depth=1
	s_wait_alu 0xfffe
	s_or_b32 exec_lo, exec_lo, s24
	v_lshlrev_b32_e32 v2, 8, v2
	v_lshl_add_u32 v23, v23, 10, 0x2000
	v_lshlrev_b32_e32 v19, 23, v19
	s_delay_alu instid0(VALU_DEP_2) | instskip(NEXT) | instid1(VALU_DEP_1)
	v_and_or_b32 v2, 0x8000, v2, v23
	v_lshl_or_b32 v19, v2, 16, v19
.LBB296_2183:                           ;   in Loop: Header=BB296_2086 Depth=1
	s_wait_alu 0xfffe
	s_or_b32 exec_lo, exec_lo, s23
.LBB296_2184:                           ;   in Loop: Header=BB296_2086 Depth=1
	s_wait_alu 0xfffe
	s_or_b32 exec_lo, exec_lo, s22
.LBB296_2185:                           ;   in Loop: Header=BB296_2086 Depth=1
	s_wait_alu 0xfffe
	s_or_b32 exec_lo, exec_lo, s21
	v_dual_mov_b32 v23, 0 :: v_dual_and_b32 v34, 0xff, v14
	v_dual_mov_b32 v2, v14 :: v_dual_mov_b32 v33, 0
	s_mov_b32 s21, exec_lo
	s_delay_alu instid0(VALU_DEP_2)
	v_cmpx_ne_u16_e32 0, v34
	s_cbranch_execz .LBB296_2193
; %bb.2186:                             ;   in Loop: Header=BB296_2086 Depth=1
	v_mov_b32_e32 v33, 0x8000
	s_mov_b32 s22, exec_lo
	v_cmpx_ne_u16_e32 0x80, v34
	s_cbranch_execz .LBB296_2192
; %bb.2187:                             ;   in Loop: Header=BB296_2086 Depth=1
	v_and_b32_e32 v35, 0x7f, v14
	v_mov_b32_e32 v33, 0x7c01
	s_mov_b32 s23, exec_lo
	s_delay_alu instid0(VALU_DEP_2)
	v_cmpx_ne_u32_e32 0x7f, v35
	s_cbranch_execz .LBB296_2191
; %bb.2188:                             ;   in Loop: Header=BB296_2086 Depth=1
	v_and_b32_e32 v33, 7, v14
	v_lshrrev_b32_e32 v34, 3, v35
	s_mov_b32 s24, exec_lo
	v_cmpx_gt_u32_e32 8, v35
; %bb.2189:                             ;   in Loop: Header=BB296_2086 Depth=1
	s_delay_alu instid0(VALU_DEP_3) | instskip(NEXT) | instid1(VALU_DEP_1)
	v_clz_i32_u32_e32 v33, v33
	v_min_u32_e32 v35, 32, v33
	s_delay_alu instid0(VALU_DEP_1) | instskip(NEXT) | instid1(VALU_DEP_1)
	v_subrev_nc_u32_e32 v33, 28, v35
	v_lshlrev_b64_e32 v[33:34], v33, v[2:3]
	v_sub_nc_u32_e32 v34, 29, v35
	s_delay_alu instid0(VALU_DEP_2)
	v_and_b32_e32 v33, 7, v33
; %bb.2190:                             ;   in Loop: Header=BB296_2086 Depth=1
	s_wait_alu 0xfffe
	s_or_b32 exec_lo, exec_lo, s24
	v_lshlrev_b32_e32 v35, 8, v14
	v_lshl_add_u32 v34, v34, 10, 0x2000
	v_lshlrev_b32_e32 v33, 7, v33
	s_delay_alu instid0(VALU_DEP_3) | instskip(NEXT) | instid1(VALU_DEP_3)
	v_and_b32_e32 v35, 0x8000, v35
	v_and_b32_e32 v34, 0xfc00, v34
	s_delay_alu instid0(VALU_DEP_1)
	v_or3_b32 v33, v35, v34, v33
.LBB296_2191:                           ;   in Loop: Header=BB296_2086 Depth=1
	s_wait_alu 0xfffe
	s_or_b32 exec_lo, exec_lo, s23
.LBB296_2192:                           ;   in Loop: Header=BB296_2086 Depth=1
	s_wait_alu 0xfffe
	s_or_b32 exec_lo, exec_lo, s22
.LBB296_2193:                           ;   in Loop: Header=BB296_2086 Depth=1
	s_wait_alu 0xfffe
	s_or_b32 exec_lo, exec_lo, s21
	v_lshrrev_b16 v2, 8, v2
	v_mov_b32_e32 v34, 0
	s_mov_b32 s21, exec_lo
	s_delay_alu instid0(VALU_DEP_2)
	v_cmpx_ne_u16_e32 0, v2
	s_cbranch_execz .LBB296_2201
; %bb.2194:                             ;   in Loop: Header=BB296_2086 Depth=1
	v_bfrev_b32_e32 v34, 1
	s_mov_b32 s22, exec_lo
	v_cmpx_ne_u16_e32 0x80, v2
	s_cbranch_execz .LBB296_2200
; %bb.2195:                             ;   in Loop: Header=BB296_2086 Depth=1
	v_and_b32_e32 v35, 0xffff, v2
	v_mov_b32_e32 v34, 0x7c010000
	s_mov_b32 s23, exec_lo
	s_delay_alu instid0(VALU_DEP_2) | instskip(NEXT) | instid1(VALU_DEP_1)
	v_and_b32_e32 v38, 0x7f, v35
	v_cmpx_ne_u32_e32 0x7f, v38
	s_cbranch_execz .LBB296_2199
; %bb.2196:                             ;   in Loop: Header=BB296_2086 Depth=1
	v_and_b32_e32 v34, 7, v35
	v_lshrrev_b32_e32 v36, 3, v38
	s_mov_b32 s24, exec_lo
	v_cmpx_gt_u32_e32 8, v38
; %bb.2197:                             ;   in Loop: Header=BB296_2086 Depth=1
	s_delay_alu instid0(VALU_DEP_3) | instskip(NEXT) | instid1(VALU_DEP_1)
	v_clz_i32_u32_e32 v34, v34
	v_min_u32_e32 v34, 32, v34
	s_delay_alu instid0(VALU_DEP_1) | instskip(NEXT) | instid1(VALU_DEP_1)
	v_subrev_nc_u32_e32 v36, 28, v34
	v_lshlrev_b64_e32 v[38:39], v36, v[2:3]
	v_sub_nc_u32_e32 v36, 29, v34
	s_delay_alu instid0(VALU_DEP_2)
	v_and_b32_e32 v34, 7, v38
; %bb.2198:                             ;   in Loop: Header=BB296_2086 Depth=1
	s_wait_alu 0xfffe
	s_or_b32 exec_lo, exec_lo, s24
	v_lshlrev_b32_e32 v2, 8, v35
	v_lshl_add_u32 v35, v36, 10, 0x2000
	v_lshlrev_b32_e32 v34, 23, v34
	s_delay_alu instid0(VALU_DEP_2) | instskip(NEXT) | instid1(VALU_DEP_1)
	v_and_or_b32 v2, 0x8000, v2, v35
	v_lshl_or_b32 v34, v2, 16, v34
.LBB296_2199:                           ;   in Loop: Header=BB296_2086 Depth=1
	s_wait_alu 0xfffe
	s_or_b32 exec_lo, exec_lo, s23
.LBB296_2200:                           ;   in Loop: Header=BB296_2086 Depth=1
	s_wait_alu 0xfffe
	s_or_b32 exec_lo, exec_lo, s22
.LBB296_2201:                           ;   in Loop: Header=BB296_2086 Depth=1
	s_wait_alu 0xfffe
	s_or_b32 exec_lo, exec_lo, s21
	v_lshrrev_b32_e32 v2, 16, v14
	s_mov_b32 s21, exec_lo
	s_delay_alu instid0(VALU_DEP_1) | instskip(NEXT) | instid1(VALU_DEP_1)
	v_and_b32_e32 v35, 0xff, v2
	v_cmpx_ne_u16_e32 0, v35
	s_cbranch_execz .LBB296_2209
; %bb.2202:                             ;   in Loop: Header=BB296_2086 Depth=1
	v_mov_b32_e32 v23, 0x8000
	s_mov_b32 s22, exec_lo
	v_cmpx_ne_u16_e32 0x80, v35
	s_cbranch_execz .LBB296_2208
; %bb.2203:                             ;   in Loop: Header=BB296_2086 Depth=1
	v_bfe_u32 v36, v14, 16, 7
	v_mov_b32_e32 v23, 0x7c01
	s_mov_b32 s23, exec_lo
	s_delay_alu instid0(VALU_DEP_2)
	v_cmpx_ne_u32_e32 0x7f, v36
	s_cbranch_execz .LBB296_2207
; %bb.2204:                             ;   in Loop: Header=BB296_2086 Depth=1
	v_and_b32_e32 v23, 7, v2
	v_lshrrev_b32_e32 v35, 3, v36
	s_mov_b32 s24, exec_lo
	v_cmpx_gt_u32_e32 8, v36
; %bb.2205:                             ;   in Loop: Header=BB296_2086 Depth=1
	s_delay_alu instid0(VALU_DEP_3) | instskip(NEXT) | instid1(VALU_DEP_1)
	v_clz_i32_u32_e32 v23, v23
	v_min_u32_e32 v23, 32, v23
	s_delay_alu instid0(VALU_DEP_1) | instskip(NEXT) | instid1(VALU_DEP_1)
	v_subrev_nc_u32_e32 v35, 28, v23
	v_lshlrev_b64_e32 v[38:39], v35, v[2:3]
	v_sub_nc_u32_e32 v35, 29, v23
	s_delay_alu instid0(VALU_DEP_2)
	v_and_b32_e32 v23, 7, v38
; %bb.2206:                             ;   in Loop: Header=BB296_2086 Depth=1
	s_wait_alu 0xfffe
	s_or_b32 exec_lo, exec_lo, s24
	v_lshlrev_b32_e32 v2, 8, v2
	v_lshl_add_u32 v35, v35, 10, 0x2000
	v_lshlrev_b32_e32 v23, 7, v23
	s_delay_alu instid0(VALU_DEP_3) | instskip(NEXT) | instid1(VALU_DEP_3)
	v_and_b32_e32 v2, 0x8000, v2
	v_and_b32_e32 v35, 0xfc00, v35
	s_delay_alu instid0(VALU_DEP_1)
	v_or3_b32 v23, v2, v35, v23
.LBB296_2207:                           ;   in Loop: Header=BB296_2086 Depth=1
	s_wait_alu 0xfffe
	s_or_b32 exec_lo, exec_lo, s23
.LBB296_2208:                           ;   in Loop: Header=BB296_2086 Depth=1
	s_wait_alu 0xfffe
	s_or_b32 exec_lo, exec_lo, s22
.LBB296_2209:                           ;   in Loop: Header=BB296_2086 Depth=1
	s_wait_alu 0xfffe
	s_or_b32 exec_lo, exec_lo, s21
	v_cmp_lt_u64_e64 s8, s[16:17], v[13:14]
	v_mov_b32_e32 v13, 0
	s_and_saveexec_b32 s21, s8
	s_cbranch_execz .LBB296_2217
; %bb.2210:                             ;   in Loop: Header=BB296_2086 Depth=1
	v_lshrrev_b32_e32 v2, 24, v14
	v_bfrev_b32_e32 v13, 1
	s_mov_b32 s22, exec_lo
	s_delay_alu instid0(VALU_DEP_2)
	v_cmpx_ne_u32_e32 0x80, v2
	s_cbranch_execz .LBB296_2216
; %bb.2211:                             ;   in Loop: Header=BB296_2086 Depth=1
	v_and_b32_e32 v35, 0x7f, v2
	v_mov_b32_e32 v13, 0x7c010000
	s_mov_b32 s23, exec_lo
	s_delay_alu instid0(VALU_DEP_2)
	v_cmpx_ne_u32_e32 0x7f, v35
	s_cbranch_execz .LBB296_2215
; %bb.2212:                             ;   in Loop: Header=BB296_2086 Depth=1
	v_and_b32_e32 v13, 7, v2
	v_lshrrev_b32_e32 v14, 3, v35
	s_mov_b32 s24, exec_lo
	v_cmpx_gt_u32_e32 8, v35
; %bb.2213:                             ;   in Loop: Header=BB296_2086 Depth=1
	s_delay_alu instid0(VALU_DEP_3) | instskip(NEXT) | instid1(VALU_DEP_1)
	v_clz_i32_u32_e32 v13, v13
	v_min_u32_e32 v35, 32, v13
	s_delay_alu instid0(VALU_DEP_1) | instskip(NEXT) | instid1(VALU_DEP_1)
	v_subrev_nc_u32_e32 v13, 28, v35
	v_lshlrev_b64_e32 v[13:14], v13, v[2:3]
	v_sub_nc_u32_e32 v14, 29, v35
	s_delay_alu instid0(VALU_DEP_2)
	v_and_b32_e32 v13, 7, v13
; %bb.2214:                             ;   in Loop: Header=BB296_2086 Depth=1
	s_wait_alu 0xfffe
	s_or_b32 exec_lo, exec_lo, s24
	v_lshlrev_b32_e32 v2, 8, v2
	v_lshl_add_u32 v14, v14, 10, 0x2000
	v_lshlrev_b32_e32 v13, 23, v13
	s_delay_alu instid0(VALU_DEP_2) | instskip(NEXT) | instid1(VALU_DEP_1)
	v_and_or_b32 v2, 0x8000, v2, v14
	v_lshl_or_b32 v13, v2, 16, v13
.LBB296_2215:                           ;   in Loop: Header=BB296_2086 Depth=1
	s_wait_alu 0xfffe
	s_or_b32 exec_lo, exec_lo, s23
.LBB296_2216:                           ;   in Loop: Header=BB296_2086 Depth=1
	s_wait_alu 0xfffe
	s_or_b32 exec_lo, exec_lo, s22
.LBB296_2217:                           ;   in Loop: Header=BB296_2086 Depth=1
	s_wait_alu 0xfffe
	s_or_b32 exec_lo, exec_lo, s21
	v_or_b32_e32 v2, v19, v22
	s_wait_loadcnt_dscnt 0x0
	v_fma_mixlo_f16 v14, v4, v19, 0 op_sel:[0,1,0] op_sel_hi:[0,1,0]
	v_or_b32_e32 v19, v5, v6
	v_or_b32_e32 v22, v34, v33
	;; [unrolled: 1-line block ×3, first 2 shown]
	v_fma_mixlo_f16 v5, v4, v5, 0 op_sel:[0,1,0] op_sel_hi:[0,1,0]
	v_fma_mixlo_f16 v33, v4, v2, 0 op_sel_hi:[0,1,0]
	v_lshlrev_b32_e32 v2, 16, v14
	v_fma_mixlo_f16 v14, v4, v19, 0 op_sel_hi:[0,1,0]
	v_fma_mixlo_f16 v19, v4, v34, 0 op_sel:[0,1,0] op_sel_hi:[0,1,0]
	v_fma_mixlo_f16 v22, v4, v22, 0 op_sel_hi:[0,1,0]
	v_fma_mixlo_f16 v13, v4, v13, 0 op_sel:[0,1,0] op_sel_hi:[0,1,0]
	v_fma_mixlo_f16 v4, v4, v23, 0 op_sel_hi:[0,1,0]
	v_lshlrev_b32_e32 v6, 16, v5
	v_and_b32_e32 v5, 0xffff, v33
	v_and_b32_e32 v35, 0xffff, v14
	v_lshlrev_b32_e32 v23, 16, v19
	v_and_b32_e32 v34, 0xffff, v22
	v_lshlrev_b32_e32 v22, 16, v13
	v_and_b32_e32 v33, 0xffff, v4
	v_or_b32_e32 v4, v2, v5
	v_or_b32_e32 v19, v6, v35
	;; [unrolled: 1-line block ×3, first 2 shown]
	s_delay_alu instid0(VALU_DEP_4)
	v_or_b32_e32 v13, v22, v33
	s_and_saveexec_b32 s8, s0
	s_cbranch_execz .LBB296_2219
; %bb.2218:                             ;   in Loop: Header=BB296_2086 Depth=1
	s_wait_alu 0xfffd
	v_cndmask_b32_e32 v4, 0, v35, vcc_lo
	v_cndmask_b32_e64 v6, 0, v6, s3
	v_cndmask_b32_e64 v5, 0, v5, s1
	;; [unrolled: 1-line block ×7, first 2 shown]
	v_or_b32_e32 v19, v4, v6
	v_or_b32_e32 v4, v5, v2
	;; [unrolled: 1-line block ×3, first 2 shown]
	s_delay_alu instid0(VALU_DEP_4)
	v_or_b32_e32 v13, v23, v22
.LBB296_2219:                           ;   in Loop: Header=BB296_2086 Depth=1
	s_wait_alu 0xfffe
	s_or_b32 exec_lo, exec_lo, s8
	;;#ASMSTART
	v_pk_mul_f16 v2, v115, v19;

	;;#ASMEND
	;;#ASMSTART
	v_pk_mul_f16 v4, v114, v4;

	;;#ASMEND
	;; [unrolled: 4-line block ×4, first 2 shown]
	;;#ASMSTART
	v_pk_add_f16 v2, v2, v4;

	;;#ASMEND
	;;#ASMSTART
	v_pk_add_f16 v2, v2, v5;

	;;#ASMEND
	;; [unrolled: 4-line block ×3, first 2 shown]
	v_dual_mov_b32 v5, 0 :: v_dual_and_b32 v4, 0xffff, v2
	v_lshrrev_b32_e32 v2, 16, v2
	;;#ASMSTART
	v_cvt_f32_f16 v116, v4;
	;;#ASMEND
	;;#ASMSTART
	v_cvt_f32_f16 v117, v2;
	;;#ASMEND
	flat_load_b64 v[13:14], v[11:12] offset:512
	flat_load_b32 v4, v[26:27]
	v_mov_b32_e32 v6, 0
	s_mov_b32 s21, exec_lo
	s_wait_loadcnt_dscnt 0x101
	v_and_b32_e32 v2, 0xff, v13
	s_delay_alu instid0(VALU_DEP_1)
	v_cmpx_ne_u16_e32 0, v2
	s_cbranch_execz .LBB296_2227
; %bb.2220:                             ;   in Loop: Header=BB296_2086 Depth=1
	v_mov_b32_e32 v6, 0x8000
	s_mov_b32 s22, exec_lo
	v_cmpx_ne_u16_e32 0x80, v2
	s_cbranch_execz .LBB296_2226
; %bb.2221:                             ;   in Loop: Header=BB296_2086 Depth=1
	v_and_b32_e32 v19, 0x7f, v13
	v_mov_b32_e32 v6, 0x7c01
	s_mov_b32 s23, exec_lo
	s_delay_alu instid0(VALU_DEP_2)
	v_cmpx_ne_u32_e32 0x7f, v19
	s_cbranch_execz .LBB296_2225
; %bb.2222:                             ;   in Loop: Header=BB296_2086 Depth=1
	v_and_b32_e32 v2, 7, v13
	v_lshrrev_b32_e32 v6, 3, v19
	s_mov_b32 s24, exec_lo
	v_cmpx_gt_u32_e32 8, v19
; %bb.2223:                             ;   in Loop: Header=BB296_2086 Depth=1
	s_delay_alu instid0(VALU_DEP_3) | instskip(NEXT) | instid1(VALU_DEP_1)
	v_clz_i32_u32_e32 v2, v2
	v_min_u32_e32 v2, 32, v2
	s_delay_alu instid0(VALU_DEP_1) | instskip(NEXT) | instid1(VALU_DEP_1)
	v_subrev_nc_u32_e32 v6, 28, v2
	v_lshlrev_b64_e32 v[22:23], v6, v[13:14]
	v_sub_nc_u32_e32 v6, 29, v2
	s_delay_alu instid0(VALU_DEP_2)
	v_and_b32_e32 v2, 7, v22
; %bb.2224:                             ;   in Loop: Header=BB296_2086 Depth=1
	s_wait_alu 0xfffe
	s_or_b32 exec_lo, exec_lo, s24
	v_lshlrev_b32_e32 v19, 8, v13
	v_lshl_add_u32 v6, v6, 10, 0x2000
	v_lshlrev_b32_e32 v2, 7, v2
	s_delay_alu instid0(VALU_DEP_3) | instskip(NEXT) | instid1(VALU_DEP_3)
	v_and_b32_e32 v19, 0x8000, v19
	v_and_b32_e32 v6, 0xfc00, v6
	s_delay_alu instid0(VALU_DEP_1)
	v_or3_b32 v6, v19, v6, v2
.LBB296_2225:                           ;   in Loop: Header=BB296_2086 Depth=1
	s_wait_alu 0xfffe
	s_or_b32 exec_lo, exec_lo, s23
.LBB296_2226:                           ;   in Loop: Header=BB296_2086 Depth=1
	s_wait_alu 0xfffe
	s_or_b32 exec_lo, exec_lo, s22
.LBB296_2227:                           ;   in Loop: Header=BB296_2086 Depth=1
	s_wait_alu 0xfffe
	s_or_b32 exec_lo, exec_lo, s21
	v_lshrrev_b16 v2, 8, v13
	s_mov_b32 s21, exec_lo
	s_delay_alu instid0(VALU_DEP_1)
	v_cmpx_ne_u16_e32 0, v2
	s_cbranch_execz .LBB296_2235
; %bb.2228:                             ;   in Loop: Header=BB296_2086 Depth=1
	v_bfrev_b32_e32 v5, 1
	s_mov_b32 s22, exec_lo
	v_cmpx_ne_u16_e32 0x80, v2
	s_cbranch_execz .LBB296_2234
; %bb.2229:                             ;   in Loop: Header=BB296_2086 Depth=1
	v_and_b32_e32 v19, 0xffff, v2
	v_mov_b32_e32 v5, 0x7c010000
	s_mov_b32 s23, exec_lo
	s_delay_alu instid0(VALU_DEP_2) | instskip(NEXT) | instid1(VALU_DEP_1)
	v_and_b32_e32 v23, 0x7f, v19
	v_cmpx_ne_u32_e32 0x7f, v23
	s_cbranch_execz .LBB296_2233
; %bb.2230:                             ;   in Loop: Header=BB296_2086 Depth=1
	v_and_b32_e32 v5, 7, v19
	v_lshrrev_b32_e32 v22, 3, v23
	s_mov_b32 s24, exec_lo
	v_cmpx_gt_u32_e32 8, v23
; %bb.2231:                             ;   in Loop: Header=BB296_2086 Depth=1
	s_delay_alu instid0(VALU_DEP_3) | instskip(NEXT) | instid1(VALU_DEP_1)
	v_clz_i32_u32_e32 v5, v5
	v_min_u32_e32 v5, 32, v5
	s_delay_alu instid0(VALU_DEP_1) | instskip(NEXT) | instid1(VALU_DEP_1)
	v_subrev_nc_u32_e32 v22, 28, v5
	v_lshlrev_b64_e32 v[33:34], v22, v[2:3]
	v_sub_nc_u32_e32 v22, 29, v5
	s_delay_alu instid0(VALU_DEP_2)
	v_and_b32_e32 v5, 7, v33
; %bb.2232:                             ;   in Loop: Header=BB296_2086 Depth=1
	s_wait_alu 0xfffe
	s_or_b32 exec_lo, exec_lo, s24
	v_lshlrev_b32_e32 v2, 8, v19
	v_lshl_add_u32 v19, v22, 10, 0x2000
	v_lshlrev_b32_e32 v5, 23, v5
	s_delay_alu instid0(VALU_DEP_2) | instskip(NEXT) | instid1(VALU_DEP_1)
	v_and_or_b32 v2, 0x8000, v2, v19
	v_lshl_or_b32 v5, v2, 16, v5
.LBB296_2233:                           ;   in Loop: Header=BB296_2086 Depth=1
	s_wait_alu 0xfffe
	s_or_b32 exec_lo, exec_lo, s23
.LBB296_2234:                           ;   in Loop: Header=BB296_2086 Depth=1
	s_wait_alu 0xfffe
	s_or_b32 exec_lo, exec_lo, s22
.LBB296_2235:                           ;   in Loop: Header=BB296_2086 Depth=1
	s_wait_alu 0xfffe
	s_or_b32 exec_lo, exec_lo, s21
	v_lshrrev_b32_e32 v2, 16, v13
	v_mov_b32_e32 v19, 0
	s_mov_b32 s21, exec_lo
	s_delay_alu instid0(VALU_DEP_2) | instskip(NEXT) | instid1(VALU_DEP_1)
	v_dual_mov_b32 v22, 0 :: v_dual_and_b32 v23, 0xff, v2
	v_cmpx_ne_u16_e32 0, v23
	s_cbranch_execz .LBB296_2243
; %bb.2236:                             ;   in Loop: Header=BB296_2086 Depth=1
	v_mov_b32_e32 v22, 0x8000
	s_mov_b32 s22, exec_lo
	v_cmpx_ne_u16_e32 0x80, v23
	s_cbranch_execz .LBB296_2242
; %bb.2237:                             ;   in Loop: Header=BB296_2086 Depth=1
	v_bfe_u32 v33, v13, 16, 7
	v_mov_b32_e32 v22, 0x7c01
	s_mov_b32 s23, exec_lo
	s_delay_alu instid0(VALU_DEP_2)
	v_cmpx_ne_u32_e32 0x7f, v33
	s_cbranch_execz .LBB296_2241
; %bb.2238:                             ;   in Loop: Header=BB296_2086 Depth=1
	v_and_b32_e32 v22, 7, v2
	v_lshrrev_b32_e32 v23, 3, v33
	s_mov_b32 s24, exec_lo
	v_cmpx_gt_u32_e32 8, v33
; %bb.2239:                             ;   in Loop: Header=BB296_2086 Depth=1
	s_delay_alu instid0(VALU_DEP_3) | instskip(NEXT) | instid1(VALU_DEP_1)
	v_clz_i32_u32_e32 v22, v22
	v_min_u32_e32 v33, 32, v22
	s_delay_alu instid0(VALU_DEP_1) | instskip(NEXT) | instid1(VALU_DEP_1)
	v_subrev_nc_u32_e32 v22, 28, v33
	v_lshlrev_b64_e32 v[22:23], v22, v[2:3]
	v_sub_nc_u32_e32 v23, 29, v33
	s_delay_alu instid0(VALU_DEP_2)
	v_and_b32_e32 v22, 7, v22
; %bb.2240:                             ;   in Loop: Header=BB296_2086 Depth=1
	s_wait_alu 0xfffe
	s_or_b32 exec_lo, exec_lo, s24
	v_lshlrev_b32_e32 v2, 8, v2
	v_lshl_add_u32 v23, v23, 10, 0x2000
	v_lshlrev_b32_e32 v22, 7, v22
	s_delay_alu instid0(VALU_DEP_3) | instskip(NEXT) | instid1(VALU_DEP_3)
	v_and_b32_e32 v2, 0x8000, v2
	v_and_b32_e32 v23, 0xfc00, v23
	s_delay_alu instid0(VALU_DEP_1)
	v_or3_b32 v22, v2, v23, v22
.LBB296_2241:                           ;   in Loop: Header=BB296_2086 Depth=1
	s_wait_alu 0xfffe
	s_or_b32 exec_lo, exec_lo, s23
.LBB296_2242:                           ;   in Loop: Header=BB296_2086 Depth=1
	s_wait_alu 0xfffe
	s_or_b32 exec_lo, exec_lo, s22
.LBB296_2243:                           ;   in Loop: Header=BB296_2086 Depth=1
	s_wait_alu 0xfffe
	s_or_b32 exec_lo, exec_lo, s21
	s_delay_alu instid0(SALU_CYCLE_1)
	s_mov_b32 s21, exec_lo
	v_cmpx_lt_u32_e32 0xffffff, v13
	s_cbranch_execz .LBB296_2251
; %bb.2244:                             ;   in Loop: Header=BB296_2086 Depth=1
	v_lshrrev_b32_e32 v2, 24, v13
	v_bfrev_b32_e32 v19, 1
	s_mov_b32 s22, exec_lo
	s_delay_alu instid0(VALU_DEP_2)
	v_cmpx_ne_u32_e32 0x80, v2
	s_cbranch_execz .LBB296_2250
; %bb.2245:                             ;   in Loop: Header=BB296_2086 Depth=1
	v_and_b32_e32 v33, 0x7f, v2
	v_mov_b32_e32 v19, 0x7c010000
	s_mov_b32 s23, exec_lo
	s_delay_alu instid0(VALU_DEP_2)
	v_cmpx_ne_u32_e32 0x7f, v33
	s_cbranch_execz .LBB296_2249
; %bb.2246:                             ;   in Loop: Header=BB296_2086 Depth=1
	v_and_b32_e32 v19, 7, v2
	v_lshrrev_b32_e32 v23, 3, v33
	s_mov_b32 s24, exec_lo
	v_cmpx_gt_u32_e32 8, v33
; %bb.2247:                             ;   in Loop: Header=BB296_2086 Depth=1
	s_delay_alu instid0(VALU_DEP_3) | instskip(NEXT) | instid1(VALU_DEP_1)
	v_clz_i32_u32_e32 v19, v19
	v_min_u32_e32 v19, 32, v19
	s_delay_alu instid0(VALU_DEP_1) | instskip(NEXT) | instid1(VALU_DEP_1)
	v_subrev_nc_u32_e32 v23, 28, v19
	v_lshlrev_b64_e32 v[33:34], v23, v[2:3]
	v_sub_nc_u32_e32 v23, 29, v19
	s_delay_alu instid0(VALU_DEP_2)
	v_and_b32_e32 v19, 7, v33
; %bb.2248:                             ;   in Loop: Header=BB296_2086 Depth=1
	s_wait_alu 0xfffe
	s_or_b32 exec_lo, exec_lo, s24
	v_lshlrev_b32_e32 v2, 8, v2
	v_lshl_add_u32 v23, v23, 10, 0x2000
	v_lshlrev_b32_e32 v19, 23, v19
	s_delay_alu instid0(VALU_DEP_2) | instskip(NEXT) | instid1(VALU_DEP_1)
	v_and_or_b32 v2, 0x8000, v2, v23
	v_lshl_or_b32 v19, v2, 16, v19
.LBB296_2249:                           ;   in Loop: Header=BB296_2086 Depth=1
	s_wait_alu 0xfffe
	s_or_b32 exec_lo, exec_lo, s23
.LBB296_2250:                           ;   in Loop: Header=BB296_2086 Depth=1
	s_wait_alu 0xfffe
	s_or_b32 exec_lo, exec_lo, s22
.LBB296_2251:                           ;   in Loop: Header=BB296_2086 Depth=1
	s_wait_alu 0xfffe
	s_or_b32 exec_lo, exec_lo, s21
	v_dual_mov_b32 v23, 0 :: v_dual_and_b32 v34, 0xff, v14
	v_dual_mov_b32 v2, v14 :: v_dual_mov_b32 v33, 0
	s_mov_b32 s21, exec_lo
	s_delay_alu instid0(VALU_DEP_2)
	v_cmpx_ne_u16_e32 0, v34
	s_cbranch_execz .LBB296_2259
; %bb.2252:                             ;   in Loop: Header=BB296_2086 Depth=1
	v_mov_b32_e32 v33, 0x8000
	s_mov_b32 s22, exec_lo
	v_cmpx_ne_u16_e32 0x80, v34
	s_cbranch_execz .LBB296_2258
; %bb.2253:                             ;   in Loop: Header=BB296_2086 Depth=1
	v_and_b32_e32 v35, 0x7f, v14
	v_mov_b32_e32 v33, 0x7c01
	s_mov_b32 s23, exec_lo
	s_delay_alu instid0(VALU_DEP_2)
	v_cmpx_ne_u32_e32 0x7f, v35
	s_cbranch_execz .LBB296_2257
; %bb.2254:                             ;   in Loop: Header=BB296_2086 Depth=1
	v_and_b32_e32 v33, 7, v14
	v_lshrrev_b32_e32 v34, 3, v35
	s_mov_b32 s24, exec_lo
	v_cmpx_gt_u32_e32 8, v35
; %bb.2255:                             ;   in Loop: Header=BB296_2086 Depth=1
	s_delay_alu instid0(VALU_DEP_3) | instskip(NEXT) | instid1(VALU_DEP_1)
	v_clz_i32_u32_e32 v33, v33
	v_min_u32_e32 v35, 32, v33
	s_delay_alu instid0(VALU_DEP_1) | instskip(NEXT) | instid1(VALU_DEP_1)
	v_subrev_nc_u32_e32 v33, 28, v35
	v_lshlrev_b64_e32 v[33:34], v33, v[2:3]
	v_sub_nc_u32_e32 v34, 29, v35
	s_delay_alu instid0(VALU_DEP_2)
	v_and_b32_e32 v33, 7, v33
; %bb.2256:                             ;   in Loop: Header=BB296_2086 Depth=1
	s_wait_alu 0xfffe
	s_or_b32 exec_lo, exec_lo, s24
	v_lshlrev_b32_e32 v35, 8, v14
	v_lshl_add_u32 v34, v34, 10, 0x2000
	v_lshlrev_b32_e32 v33, 7, v33
	s_delay_alu instid0(VALU_DEP_3) | instskip(NEXT) | instid1(VALU_DEP_3)
	v_and_b32_e32 v35, 0x8000, v35
	v_and_b32_e32 v34, 0xfc00, v34
	s_delay_alu instid0(VALU_DEP_1)
	v_or3_b32 v33, v35, v34, v33
.LBB296_2257:                           ;   in Loop: Header=BB296_2086 Depth=1
	s_wait_alu 0xfffe
	s_or_b32 exec_lo, exec_lo, s23
.LBB296_2258:                           ;   in Loop: Header=BB296_2086 Depth=1
	s_wait_alu 0xfffe
	s_or_b32 exec_lo, exec_lo, s22
.LBB296_2259:                           ;   in Loop: Header=BB296_2086 Depth=1
	s_wait_alu 0xfffe
	s_or_b32 exec_lo, exec_lo, s21
	v_lshrrev_b16 v2, 8, v2
	v_mov_b32_e32 v34, 0
	s_mov_b32 s21, exec_lo
	s_delay_alu instid0(VALU_DEP_2)
	v_cmpx_ne_u16_e32 0, v2
	s_cbranch_execz .LBB296_2267
; %bb.2260:                             ;   in Loop: Header=BB296_2086 Depth=1
	v_bfrev_b32_e32 v34, 1
	s_mov_b32 s22, exec_lo
	v_cmpx_ne_u16_e32 0x80, v2
	s_cbranch_execz .LBB296_2266
; %bb.2261:                             ;   in Loop: Header=BB296_2086 Depth=1
	v_and_b32_e32 v35, 0xffff, v2
	v_mov_b32_e32 v34, 0x7c010000
	s_mov_b32 s23, exec_lo
	s_delay_alu instid0(VALU_DEP_2) | instskip(NEXT) | instid1(VALU_DEP_1)
	v_and_b32_e32 v38, 0x7f, v35
	v_cmpx_ne_u32_e32 0x7f, v38
	s_cbranch_execz .LBB296_2265
; %bb.2262:                             ;   in Loop: Header=BB296_2086 Depth=1
	v_and_b32_e32 v34, 7, v35
	v_lshrrev_b32_e32 v36, 3, v38
	s_mov_b32 s24, exec_lo
	v_cmpx_gt_u32_e32 8, v38
; %bb.2263:                             ;   in Loop: Header=BB296_2086 Depth=1
	s_delay_alu instid0(VALU_DEP_3) | instskip(NEXT) | instid1(VALU_DEP_1)
	v_clz_i32_u32_e32 v34, v34
	v_min_u32_e32 v34, 32, v34
	s_delay_alu instid0(VALU_DEP_1) | instskip(NEXT) | instid1(VALU_DEP_1)
	v_subrev_nc_u32_e32 v36, 28, v34
	v_lshlrev_b64_e32 v[38:39], v36, v[2:3]
	v_sub_nc_u32_e32 v36, 29, v34
	s_delay_alu instid0(VALU_DEP_2)
	v_and_b32_e32 v34, 7, v38
; %bb.2264:                             ;   in Loop: Header=BB296_2086 Depth=1
	s_wait_alu 0xfffe
	s_or_b32 exec_lo, exec_lo, s24
	v_lshlrev_b32_e32 v2, 8, v35
	v_lshl_add_u32 v35, v36, 10, 0x2000
	v_lshlrev_b32_e32 v34, 23, v34
	s_delay_alu instid0(VALU_DEP_2) | instskip(NEXT) | instid1(VALU_DEP_1)
	v_and_or_b32 v2, 0x8000, v2, v35
	v_lshl_or_b32 v34, v2, 16, v34
.LBB296_2265:                           ;   in Loop: Header=BB296_2086 Depth=1
	s_wait_alu 0xfffe
	s_or_b32 exec_lo, exec_lo, s23
.LBB296_2266:                           ;   in Loop: Header=BB296_2086 Depth=1
	s_wait_alu 0xfffe
	s_or_b32 exec_lo, exec_lo, s22
.LBB296_2267:                           ;   in Loop: Header=BB296_2086 Depth=1
	s_wait_alu 0xfffe
	s_or_b32 exec_lo, exec_lo, s21
	v_lshrrev_b32_e32 v2, 16, v14
	s_mov_b32 s21, exec_lo
	s_delay_alu instid0(VALU_DEP_1) | instskip(NEXT) | instid1(VALU_DEP_1)
	v_and_b32_e32 v35, 0xff, v2
	v_cmpx_ne_u16_e32 0, v35
	s_cbranch_execz .LBB296_2275
; %bb.2268:                             ;   in Loop: Header=BB296_2086 Depth=1
	v_mov_b32_e32 v23, 0x8000
	s_mov_b32 s22, exec_lo
	v_cmpx_ne_u16_e32 0x80, v35
	s_cbranch_execz .LBB296_2274
; %bb.2269:                             ;   in Loop: Header=BB296_2086 Depth=1
	v_bfe_u32 v36, v14, 16, 7
	v_mov_b32_e32 v23, 0x7c01
	s_mov_b32 s23, exec_lo
	s_delay_alu instid0(VALU_DEP_2)
	v_cmpx_ne_u32_e32 0x7f, v36
	s_cbranch_execz .LBB296_2273
; %bb.2270:                             ;   in Loop: Header=BB296_2086 Depth=1
	v_and_b32_e32 v23, 7, v2
	v_lshrrev_b32_e32 v35, 3, v36
	s_mov_b32 s24, exec_lo
	v_cmpx_gt_u32_e32 8, v36
; %bb.2271:                             ;   in Loop: Header=BB296_2086 Depth=1
	s_delay_alu instid0(VALU_DEP_3) | instskip(NEXT) | instid1(VALU_DEP_1)
	v_clz_i32_u32_e32 v23, v23
	v_min_u32_e32 v23, 32, v23
	s_delay_alu instid0(VALU_DEP_1) | instskip(NEXT) | instid1(VALU_DEP_1)
	v_subrev_nc_u32_e32 v35, 28, v23
	v_lshlrev_b64_e32 v[38:39], v35, v[2:3]
	v_sub_nc_u32_e32 v35, 29, v23
	s_delay_alu instid0(VALU_DEP_2)
	v_and_b32_e32 v23, 7, v38
; %bb.2272:                             ;   in Loop: Header=BB296_2086 Depth=1
	s_wait_alu 0xfffe
	s_or_b32 exec_lo, exec_lo, s24
	v_lshlrev_b32_e32 v2, 8, v2
	v_lshl_add_u32 v35, v35, 10, 0x2000
	v_lshlrev_b32_e32 v23, 7, v23
	s_delay_alu instid0(VALU_DEP_3) | instskip(NEXT) | instid1(VALU_DEP_3)
	v_and_b32_e32 v2, 0x8000, v2
	v_and_b32_e32 v35, 0xfc00, v35
	s_delay_alu instid0(VALU_DEP_1)
	v_or3_b32 v23, v2, v35, v23
.LBB296_2273:                           ;   in Loop: Header=BB296_2086 Depth=1
	s_wait_alu 0xfffe
	s_or_b32 exec_lo, exec_lo, s23
.LBB296_2274:                           ;   in Loop: Header=BB296_2086 Depth=1
	s_wait_alu 0xfffe
	s_or_b32 exec_lo, exec_lo, s22
.LBB296_2275:                           ;   in Loop: Header=BB296_2086 Depth=1
	s_wait_alu 0xfffe
	s_or_b32 exec_lo, exec_lo, s21
	v_cmp_lt_u64_e64 s8, s[16:17], v[13:14]
	v_mov_b32_e32 v13, 0
	s_and_saveexec_b32 s21, s8
	s_cbranch_execz .LBB296_2283
; %bb.2276:                             ;   in Loop: Header=BB296_2086 Depth=1
	v_lshrrev_b32_e32 v2, 24, v14
	v_bfrev_b32_e32 v13, 1
	s_mov_b32 s22, exec_lo
	s_delay_alu instid0(VALU_DEP_2)
	v_cmpx_ne_u32_e32 0x80, v2
	s_cbranch_execz .LBB296_2282
; %bb.2277:                             ;   in Loop: Header=BB296_2086 Depth=1
	v_and_b32_e32 v35, 0x7f, v2
	v_mov_b32_e32 v13, 0x7c010000
	s_mov_b32 s23, exec_lo
	s_delay_alu instid0(VALU_DEP_2)
	v_cmpx_ne_u32_e32 0x7f, v35
	s_cbranch_execz .LBB296_2281
; %bb.2278:                             ;   in Loop: Header=BB296_2086 Depth=1
	v_and_b32_e32 v13, 7, v2
	v_lshrrev_b32_e32 v14, 3, v35
	s_mov_b32 s24, exec_lo
	v_cmpx_gt_u32_e32 8, v35
; %bb.2279:                             ;   in Loop: Header=BB296_2086 Depth=1
	s_delay_alu instid0(VALU_DEP_3) | instskip(NEXT) | instid1(VALU_DEP_1)
	v_clz_i32_u32_e32 v13, v13
	v_min_u32_e32 v35, 32, v13
	s_delay_alu instid0(VALU_DEP_1) | instskip(NEXT) | instid1(VALU_DEP_1)
	v_subrev_nc_u32_e32 v13, 28, v35
	v_lshlrev_b64_e32 v[13:14], v13, v[2:3]
	v_sub_nc_u32_e32 v14, 29, v35
	s_delay_alu instid0(VALU_DEP_2)
	v_and_b32_e32 v13, 7, v13
; %bb.2280:                             ;   in Loop: Header=BB296_2086 Depth=1
	s_wait_alu 0xfffe
	s_or_b32 exec_lo, exec_lo, s24
	v_lshlrev_b32_e32 v2, 8, v2
	v_lshl_add_u32 v14, v14, 10, 0x2000
	v_lshlrev_b32_e32 v13, 23, v13
	s_delay_alu instid0(VALU_DEP_2) | instskip(NEXT) | instid1(VALU_DEP_1)
	v_and_or_b32 v2, 0x8000, v2, v14
	v_lshl_or_b32 v13, v2, 16, v13
.LBB296_2281:                           ;   in Loop: Header=BB296_2086 Depth=1
	s_wait_alu 0xfffe
	s_or_b32 exec_lo, exec_lo, s23
.LBB296_2282:                           ;   in Loop: Header=BB296_2086 Depth=1
	s_wait_alu 0xfffe
	s_or_b32 exec_lo, exec_lo, s22
.LBB296_2283:                           ;   in Loop: Header=BB296_2086 Depth=1
	s_wait_alu 0xfffe
	s_or_b32 exec_lo, exec_lo, s21
	v_or_b32_e32 v2, v19, v22
	s_wait_loadcnt_dscnt 0x0
	v_fma_mixlo_f16 v14, v4, v19, 0 op_sel:[0,1,0] op_sel_hi:[0,1,0]
	v_or_b32_e32 v19, v5, v6
	v_or_b32_e32 v22, v34, v33
	;; [unrolled: 1-line block ×3, first 2 shown]
	v_fma_mixlo_f16 v5, v4, v5, 0 op_sel:[0,1,0] op_sel_hi:[0,1,0]
	v_fma_mixlo_f16 v33, v4, v2, 0 op_sel_hi:[0,1,0]
	v_lshlrev_b32_e32 v2, 16, v14
	v_fma_mixlo_f16 v14, v4, v19, 0 op_sel_hi:[0,1,0]
	v_fma_mixlo_f16 v19, v4, v34, 0 op_sel:[0,1,0] op_sel_hi:[0,1,0]
	v_fma_mixlo_f16 v22, v4, v22, 0 op_sel_hi:[0,1,0]
	v_fma_mixlo_f16 v13, v4, v13, 0 op_sel:[0,1,0] op_sel_hi:[0,1,0]
	v_fma_mixlo_f16 v4, v4, v23, 0 op_sel_hi:[0,1,0]
	v_lshlrev_b32_e32 v6, 16, v5
	v_and_b32_e32 v5, 0xffff, v33
	v_and_b32_e32 v35, 0xffff, v14
	v_lshlrev_b32_e32 v23, 16, v19
	v_and_b32_e32 v34, 0xffff, v22
	v_lshlrev_b32_e32 v22, 16, v13
	v_and_b32_e32 v33, 0xffff, v4
	v_or_b32_e32 v4, v2, v5
	v_or_b32_e32 v19, v6, v35
	;; [unrolled: 1-line block ×3, first 2 shown]
	s_delay_alu instid0(VALU_DEP_4)
	v_or_b32_e32 v13, v22, v33
	s_and_saveexec_b32 s8, s0
	s_cbranch_execz .LBB296_2285
; %bb.2284:                             ;   in Loop: Header=BB296_2086 Depth=1
	s_wait_alu 0xfffd
	v_cndmask_b32_e32 v4, 0, v35, vcc_lo
	v_cndmask_b32_e64 v6, 0, v6, s3
	v_cndmask_b32_e64 v5, 0, v5, s1
	;; [unrolled: 1-line block ×7, first 2 shown]
	v_or_b32_e32 v19, v4, v6
	v_or_b32_e32 v4, v5, v2
	;; [unrolled: 1-line block ×3, first 2 shown]
	s_delay_alu instid0(VALU_DEP_4)
	v_or_b32_e32 v13, v23, v22
.LBB296_2285:                           ;   in Loop: Header=BB296_2086 Depth=1
	s_wait_alu 0xfffe
	s_or_b32 exec_lo, exec_lo, s8
	;;#ASMSTART
	v_pk_mul_f16 v2, v115, v19;

	;;#ASMEND
	;;#ASMSTART
	v_pk_mul_f16 v4, v114, v4;

	;;#ASMEND
	;; [unrolled: 4-line block ×4, first 2 shown]
	;;#ASMSTART
	v_pk_add_f16 v2, v2, v4;

	;;#ASMEND
	;;#ASMSTART
	v_pk_add_f16 v2, v2, v5;

	;;#ASMEND
	;; [unrolled: 4-line block ×3, first 2 shown]
	v_dual_mov_b32 v5, 0 :: v_dual_and_b32 v4, 0xffff, v2
	v_lshrrev_b32_e32 v2, 16, v2
	;;#ASMSTART
	v_cvt_f32_f16 v118, v4;
	;;#ASMEND
	;;#ASMSTART
	v_cvt_f32_f16 v119, v2;
	;;#ASMEND
	flat_load_b64 v[13:14], v[11:12] offset:768
	flat_load_b32 v4, v[26:27]
	v_mov_b32_e32 v6, 0
	s_mov_b32 s21, exec_lo
	s_wait_loadcnt_dscnt 0x101
	v_and_b32_e32 v2, 0xff, v13
	s_delay_alu instid0(VALU_DEP_1)
	v_cmpx_ne_u16_e32 0, v2
	s_cbranch_execz .LBB296_2293
; %bb.2286:                             ;   in Loop: Header=BB296_2086 Depth=1
	v_mov_b32_e32 v6, 0x8000
	s_mov_b32 s22, exec_lo
	v_cmpx_ne_u16_e32 0x80, v2
	s_cbranch_execz .LBB296_2292
; %bb.2287:                             ;   in Loop: Header=BB296_2086 Depth=1
	v_and_b32_e32 v19, 0x7f, v13
	v_mov_b32_e32 v6, 0x7c01
	s_mov_b32 s23, exec_lo
	s_delay_alu instid0(VALU_DEP_2)
	v_cmpx_ne_u32_e32 0x7f, v19
	s_cbranch_execz .LBB296_2291
; %bb.2288:                             ;   in Loop: Header=BB296_2086 Depth=1
	v_and_b32_e32 v2, 7, v13
	v_lshrrev_b32_e32 v6, 3, v19
	s_mov_b32 s24, exec_lo
	v_cmpx_gt_u32_e32 8, v19
; %bb.2289:                             ;   in Loop: Header=BB296_2086 Depth=1
	s_delay_alu instid0(VALU_DEP_3) | instskip(NEXT) | instid1(VALU_DEP_1)
	v_clz_i32_u32_e32 v2, v2
	v_min_u32_e32 v2, 32, v2
	s_delay_alu instid0(VALU_DEP_1) | instskip(NEXT) | instid1(VALU_DEP_1)
	v_subrev_nc_u32_e32 v6, 28, v2
	v_lshlrev_b64_e32 v[22:23], v6, v[13:14]
	v_sub_nc_u32_e32 v6, 29, v2
	s_delay_alu instid0(VALU_DEP_2)
	v_and_b32_e32 v2, 7, v22
; %bb.2290:                             ;   in Loop: Header=BB296_2086 Depth=1
	s_wait_alu 0xfffe
	s_or_b32 exec_lo, exec_lo, s24
	v_lshlrev_b32_e32 v19, 8, v13
	v_lshl_add_u32 v6, v6, 10, 0x2000
	v_lshlrev_b32_e32 v2, 7, v2
	s_delay_alu instid0(VALU_DEP_3) | instskip(NEXT) | instid1(VALU_DEP_3)
	v_and_b32_e32 v19, 0x8000, v19
	v_and_b32_e32 v6, 0xfc00, v6
	s_delay_alu instid0(VALU_DEP_1)
	v_or3_b32 v6, v19, v6, v2
.LBB296_2291:                           ;   in Loop: Header=BB296_2086 Depth=1
	s_wait_alu 0xfffe
	s_or_b32 exec_lo, exec_lo, s23
.LBB296_2292:                           ;   in Loop: Header=BB296_2086 Depth=1
	s_wait_alu 0xfffe
	s_or_b32 exec_lo, exec_lo, s22
.LBB296_2293:                           ;   in Loop: Header=BB296_2086 Depth=1
	s_wait_alu 0xfffe
	s_or_b32 exec_lo, exec_lo, s21
	v_lshrrev_b16 v2, 8, v13
	s_mov_b32 s21, exec_lo
	s_delay_alu instid0(VALU_DEP_1)
	v_cmpx_ne_u16_e32 0, v2
	s_cbranch_execz .LBB296_2301
; %bb.2294:                             ;   in Loop: Header=BB296_2086 Depth=1
	v_bfrev_b32_e32 v5, 1
	s_mov_b32 s22, exec_lo
	v_cmpx_ne_u16_e32 0x80, v2
	s_cbranch_execz .LBB296_2300
; %bb.2295:                             ;   in Loop: Header=BB296_2086 Depth=1
	v_and_b32_e32 v19, 0xffff, v2
	v_mov_b32_e32 v5, 0x7c010000
	s_mov_b32 s23, exec_lo
	s_delay_alu instid0(VALU_DEP_2) | instskip(NEXT) | instid1(VALU_DEP_1)
	v_and_b32_e32 v23, 0x7f, v19
	v_cmpx_ne_u32_e32 0x7f, v23
	s_cbranch_execz .LBB296_2299
; %bb.2296:                             ;   in Loop: Header=BB296_2086 Depth=1
	v_and_b32_e32 v5, 7, v19
	v_lshrrev_b32_e32 v22, 3, v23
	s_mov_b32 s24, exec_lo
	v_cmpx_gt_u32_e32 8, v23
; %bb.2297:                             ;   in Loop: Header=BB296_2086 Depth=1
	s_delay_alu instid0(VALU_DEP_3) | instskip(NEXT) | instid1(VALU_DEP_1)
	v_clz_i32_u32_e32 v5, v5
	v_min_u32_e32 v5, 32, v5
	s_delay_alu instid0(VALU_DEP_1) | instskip(NEXT) | instid1(VALU_DEP_1)
	v_subrev_nc_u32_e32 v22, 28, v5
	v_lshlrev_b64_e32 v[33:34], v22, v[2:3]
	v_sub_nc_u32_e32 v22, 29, v5
	s_delay_alu instid0(VALU_DEP_2)
	v_and_b32_e32 v5, 7, v33
; %bb.2298:                             ;   in Loop: Header=BB296_2086 Depth=1
	s_wait_alu 0xfffe
	s_or_b32 exec_lo, exec_lo, s24
	v_lshlrev_b32_e32 v2, 8, v19
	v_lshl_add_u32 v19, v22, 10, 0x2000
	v_lshlrev_b32_e32 v5, 23, v5
	s_delay_alu instid0(VALU_DEP_2) | instskip(NEXT) | instid1(VALU_DEP_1)
	v_and_or_b32 v2, 0x8000, v2, v19
	v_lshl_or_b32 v5, v2, 16, v5
.LBB296_2299:                           ;   in Loop: Header=BB296_2086 Depth=1
	s_wait_alu 0xfffe
	s_or_b32 exec_lo, exec_lo, s23
.LBB296_2300:                           ;   in Loop: Header=BB296_2086 Depth=1
	s_wait_alu 0xfffe
	s_or_b32 exec_lo, exec_lo, s22
.LBB296_2301:                           ;   in Loop: Header=BB296_2086 Depth=1
	s_wait_alu 0xfffe
	s_or_b32 exec_lo, exec_lo, s21
	v_lshrrev_b32_e32 v2, 16, v13
	v_mov_b32_e32 v19, 0
	s_mov_b32 s21, exec_lo
	s_delay_alu instid0(VALU_DEP_2) | instskip(NEXT) | instid1(VALU_DEP_1)
	v_dual_mov_b32 v22, 0 :: v_dual_and_b32 v23, 0xff, v2
	v_cmpx_ne_u16_e32 0, v23
	s_cbranch_execz .LBB296_2309
; %bb.2302:                             ;   in Loop: Header=BB296_2086 Depth=1
	v_mov_b32_e32 v22, 0x8000
	s_mov_b32 s22, exec_lo
	v_cmpx_ne_u16_e32 0x80, v23
	s_cbranch_execz .LBB296_2308
; %bb.2303:                             ;   in Loop: Header=BB296_2086 Depth=1
	v_bfe_u32 v33, v13, 16, 7
	v_mov_b32_e32 v22, 0x7c01
	s_mov_b32 s23, exec_lo
	s_delay_alu instid0(VALU_DEP_2)
	v_cmpx_ne_u32_e32 0x7f, v33
	s_cbranch_execz .LBB296_2307
; %bb.2304:                             ;   in Loop: Header=BB296_2086 Depth=1
	v_and_b32_e32 v22, 7, v2
	v_lshrrev_b32_e32 v23, 3, v33
	s_mov_b32 s24, exec_lo
	v_cmpx_gt_u32_e32 8, v33
; %bb.2305:                             ;   in Loop: Header=BB296_2086 Depth=1
	s_delay_alu instid0(VALU_DEP_3) | instskip(NEXT) | instid1(VALU_DEP_1)
	v_clz_i32_u32_e32 v22, v22
	v_min_u32_e32 v33, 32, v22
	s_delay_alu instid0(VALU_DEP_1) | instskip(NEXT) | instid1(VALU_DEP_1)
	v_subrev_nc_u32_e32 v22, 28, v33
	v_lshlrev_b64_e32 v[22:23], v22, v[2:3]
	v_sub_nc_u32_e32 v23, 29, v33
	s_delay_alu instid0(VALU_DEP_2)
	v_and_b32_e32 v22, 7, v22
; %bb.2306:                             ;   in Loop: Header=BB296_2086 Depth=1
	s_wait_alu 0xfffe
	s_or_b32 exec_lo, exec_lo, s24
	v_lshlrev_b32_e32 v2, 8, v2
	v_lshl_add_u32 v23, v23, 10, 0x2000
	v_lshlrev_b32_e32 v22, 7, v22
	s_delay_alu instid0(VALU_DEP_3) | instskip(NEXT) | instid1(VALU_DEP_3)
	v_and_b32_e32 v2, 0x8000, v2
	v_and_b32_e32 v23, 0xfc00, v23
	s_delay_alu instid0(VALU_DEP_1)
	v_or3_b32 v22, v2, v23, v22
.LBB296_2307:                           ;   in Loop: Header=BB296_2086 Depth=1
	s_wait_alu 0xfffe
	s_or_b32 exec_lo, exec_lo, s23
.LBB296_2308:                           ;   in Loop: Header=BB296_2086 Depth=1
	s_wait_alu 0xfffe
	s_or_b32 exec_lo, exec_lo, s22
.LBB296_2309:                           ;   in Loop: Header=BB296_2086 Depth=1
	s_wait_alu 0xfffe
	s_or_b32 exec_lo, exec_lo, s21
	s_delay_alu instid0(SALU_CYCLE_1)
	s_mov_b32 s21, exec_lo
	v_cmpx_lt_u32_e32 0xffffff, v13
	s_cbranch_execz .LBB296_2317
; %bb.2310:                             ;   in Loop: Header=BB296_2086 Depth=1
	v_lshrrev_b32_e32 v2, 24, v13
	v_bfrev_b32_e32 v19, 1
	s_mov_b32 s22, exec_lo
	s_delay_alu instid0(VALU_DEP_2)
	v_cmpx_ne_u32_e32 0x80, v2
	s_cbranch_execz .LBB296_2316
; %bb.2311:                             ;   in Loop: Header=BB296_2086 Depth=1
	v_and_b32_e32 v33, 0x7f, v2
	v_mov_b32_e32 v19, 0x7c010000
	s_mov_b32 s23, exec_lo
	s_delay_alu instid0(VALU_DEP_2)
	v_cmpx_ne_u32_e32 0x7f, v33
	s_cbranch_execz .LBB296_2315
; %bb.2312:                             ;   in Loop: Header=BB296_2086 Depth=1
	v_and_b32_e32 v19, 7, v2
	v_lshrrev_b32_e32 v23, 3, v33
	s_mov_b32 s24, exec_lo
	v_cmpx_gt_u32_e32 8, v33
; %bb.2313:                             ;   in Loop: Header=BB296_2086 Depth=1
	s_delay_alu instid0(VALU_DEP_3) | instskip(NEXT) | instid1(VALU_DEP_1)
	v_clz_i32_u32_e32 v19, v19
	v_min_u32_e32 v19, 32, v19
	s_delay_alu instid0(VALU_DEP_1) | instskip(NEXT) | instid1(VALU_DEP_1)
	v_subrev_nc_u32_e32 v23, 28, v19
	v_lshlrev_b64_e32 v[33:34], v23, v[2:3]
	v_sub_nc_u32_e32 v23, 29, v19
	s_delay_alu instid0(VALU_DEP_2)
	v_and_b32_e32 v19, 7, v33
; %bb.2314:                             ;   in Loop: Header=BB296_2086 Depth=1
	s_wait_alu 0xfffe
	s_or_b32 exec_lo, exec_lo, s24
	v_lshlrev_b32_e32 v2, 8, v2
	v_lshl_add_u32 v23, v23, 10, 0x2000
	v_lshlrev_b32_e32 v19, 23, v19
	s_delay_alu instid0(VALU_DEP_2) | instskip(NEXT) | instid1(VALU_DEP_1)
	v_and_or_b32 v2, 0x8000, v2, v23
	v_lshl_or_b32 v19, v2, 16, v19
.LBB296_2315:                           ;   in Loop: Header=BB296_2086 Depth=1
	s_wait_alu 0xfffe
	s_or_b32 exec_lo, exec_lo, s23
.LBB296_2316:                           ;   in Loop: Header=BB296_2086 Depth=1
	s_wait_alu 0xfffe
	s_or_b32 exec_lo, exec_lo, s22
.LBB296_2317:                           ;   in Loop: Header=BB296_2086 Depth=1
	s_wait_alu 0xfffe
	s_or_b32 exec_lo, exec_lo, s21
	v_dual_mov_b32 v23, 0 :: v_dual_and_b32 v34, 0xff, v14
	v_dual_mov_b32 v2, v14 :: v_dual_mov_b32 v33, 0
	s_mov_b32 s21, exec_lo
	s_delay_alu instid0(VALU_DEP_2)
	v_cmpx_ne_u16_e32 0, v34
	s_cbranch_execz .LBB296_2325
; %bb.2318:                             ;   in Loop: Header=BB296_2086 Depth=1
	v_mov_b32_e32 v33, 0x8000
	s_mov_b32 s22, exec_lo
	v_cmpx_ne_u16_e32 0x80, v34
	s_cbranch_execz .LBB296_2324
; %bb.2319:                             ;   in Loop: Header=BB296_2086 Depth=1
	v_and_b32_e32 v35, 0x7f, v14
	v_mov_b32_e32 v33, 0x7c01
	s_mov_b32 s23, exec_lo
	s_delay_alu instid0(VALU_DEP_2)
	v_cmpx_ne_u32_e32 0x7f, v35
	s_cbranch_execz .LBB296_2323
; %bb.2320:                             ;   in Loop: Header=BB296_2086 Depth=1
	v_and_b32_e32 v33, 7, v14
	v_lshrrev_b32_e32 v34, 3, v35
	s_mov_b32 s24, exec_lo
	v_cmpx_gt_u32_e32 8, v35
; %bb.2321:                             ;   in Loop: Header=BB296_2086 Depth=1
	s_delay_alu instid0(VALU_DEP_3) | instskip(NEXT) | instid1(VALU_DEP_1)
	v_clz_i32_u32_e32 v33, v33
	v_min_u32_e32 v35, 32, v33
	s_delay_alu instid0(VALU_DEP_1) | instskip(NEXT) | instid1(VALU_DEP_1)
	v_subrev_nc_u32_e32 v33, 28, v35
	v_lshlrev_b64_e32 v[33:34], v33, v[2:3]
	v_sub_nc_u32_e32 v34, 29, v35
	s_delay_alu instid0(VALU_DEP_2)
	v_and_b32_e32 v33, 7, v33
; %bb.2322:                             ;   in Loop: Header=BB296_2086 Depth=1
	s_wait_alu 0xfffe
	s_or_b32 exec_lo, exec_lo, s24
	v_lshlrev_b32_e32 v35, 8, v14
	v_lshl_add_u32 v34, v34, 10, 0x2000
	v_lshlrev_b32_e32 v33, 7, v33
	s_delay_alu instid0(VALU_DEP_3) | instskip(NEXT) | instid1(VALU_DEP_3)
	v_and_b32_e32 v35, 0x8000, v35
	v_and_b32_e32 v34, 0xfc00, v34
	s_delay_alu instid0(VALU_DEP_1)
	v_or3_b32 v33, v35, v34, v33
.LBB296_2323:                           ;   in Loop: Header=BB296_2086 Depth=1
	s_wait_alu 0xfffe
	s_or_b32 exec_lo, exec_lo, s23
.LBB296_2324:                           ;   in Loop: Header=BB296_2086 Depth=1
	s_wait_alu 0xfffe
	s_or_b32 exec_lo, exec_lo, s22
.LBB296_2325:                           ;   in Loop: Header=BB296_2086 Depth=1
	s_wait_alu 0xfffe
	s_or_b32 exec_lo, exec_lo, s21
	v_lshrrev_b16 v2, 8, v2
	v_mov_b32_e32 v34, 0
	s_mov_b32 s21, exec_lo
	s_delay_alu instid0(VALU_DEP_2)
	v_cmpx_ne_u16_e32 0, v2
	s_cbranch_execz .LBB296_2333
; %bb.2326:                             ;   in Loop: Header=BB296_2086 Depth=1
	v_bfrev_b32_e32 v34, 1
	s_mov_b32 s22, exec_lo
	v_cmpx_ne_u16_e32 0x80, v2
	s_cbranch_execz .LBB296_2332
; %bb.2327:                             ;   in Loop: Header=BB296_2086 Depth=1
	v_and_b32_e32 v35, 0xffff, v2
	v_mov_b32_e32 v34, 0x7c010000
	s_mov_b32 s23, exec_lo
	s_delay_alu instid0(VALU_DEP_2) | instskip(NEXT) | instid1(VALU_DEP_1)
	v_and_b32_e32 v38, 0x7f, v35
	v_cmpx_ne_u32_e32 0x7f, v38
	s_cbranch_execz .LBB296_2331
; %bb.2328:                             ;   in Loop: Header=BB296_2086 Depth=1
	v_and_b32_e32 v34, 7, v35
	v_lshrrev_b32_e32 v36, 3, v38
	s_mov_b32 s24, exec_lo
	v_cmpx_gt_u32_e32 8, v38
; %bb.2329:                             ;   in Loop: Header=BB296_2086 Depth=1
	s_delay_alu instid0(VALU_DEP_3) | instskip(NEXT) | instid1(VALU_DEP_1)
	v_clz_i32_u32_e32 v34, v34
	v_min_u32_e32 v34, 32, v34
	s_delay_alu instid0(VALU_DEP_1) | instskip(NEXT) | instid1(VALU_DEP_1)
	v_subrev_nc_u32_e32 v36, 28, v34
	v_lshlrev_b64_e32 v[38:39], v36, v[2:3]
	v_sub_nc_u32_e32 v36, 29, v34
	s_delay_alu instid0(VALU_DEP_2)
	v_and_b32_e32 v34, 7, v38
; %bb.2330:                             ;   in Loop: Header=BB296_2086 Depth=1
	s_wait_alu 0xfffe
	s_or_b32 exec_lo, exec_lo, s24
	v_lshlrev_b32_e32 v2, 8, v35
	v_lshl_add_u32 v35, v36, 10, 0x2000
	v_lshlrev_b32_e32 v34, 23, v34
	s_delay_alu instid0(VALU_DEP_2) | instskip(NEXT) | instid1(VALU_DEP_1)
	v_and_or_b32 v2, 0x8000, v2, v35
	v_lshl_or_b32 v34, v2, 16, v34
.LBB296_2331:                           ;   in Loop: Header=BB296_2086 Depth=1
	s_wait_alu 0xfffe
	s_or_b32 exec_lo, exec_lo, s23
.LBB296_2332:                           ;   in Loop: Header=BB296_2086 Depth=1
	s_wait_alu 0xfffe
	s_or_b32 exec_lo, exec_lo, s22
.LBB296_2333:                           ;   in Loop: Header=BB296_2086 Depth=1
	s_wait_alu 0xfffe
	s_or_b32 exec_lo, exec_lo, s21
	v_lshrrev_b32_e32 v2, 16, v14
	s_mov_b32 s21, exec_lo
	s_delay_alu instid0(VALU_DEP_1) | instskip(NEXT) | instid1(VALU_DEP_1)
	v_and_b32_e32 v35, 0xff, v2
	v_cmpx_ne_u16_e32 0, v35
	s_cbranch_execz .LBB296_2341
; %bb.2334:                             ;   in Loop: Header=BB296_2086 Depth=1
	v_mov_b32_e32 v23, 0x8000
	s_mov_b32 s22, exec_lo
	v_cmpx_ne_u16_e32 0x80, v35
	s_cbranch_execz .LBB296_2340
; %bb.2335:                             ;   in Loop: Header=BB296_2086 Depth=1
	v_bfe_u32 v36, v14, 16, 7
	v_mov_b32_e32 v23, 0x7c01
	s_mov_b32 s23, exec_lo
	s_delay_alu instid0(VALU_DEP_2)
	v_cmpx_ne_u32_e32 0x7f, v36
	s_cbranch_execz .LBB296_2339
; %bb.2336:                             ;   in Loop: Header=BB296_2086 Depth=1
	v_and_b32_e32 v23, 7, v2
	v_lshrrev_b32_e32 v35, 3, v36
	s_mov_b32 s24, exec_lo
	v_cmpx_gt_u32_e32 8, v36
; %bb.2337:                             ;   in Loop: Header=BB296_2086 Depth=1
	s_delay_alu instid0(VALU_DEP_3) | instskip(NEXT) | instid1(VALU_DEP_1)
	v_clz_i32_u32_e32 v23, v23
	v_min_u32_e32 v23, 32, v23
	s_delay_alu instid0(VALU_DEP_1) | instskip(NEXT) | instid1(VALU_DEP_1)
	v_subrev_nc_u32_e32 v35, 28, v23
	v_lshlrev_b64_e32 v[38:39], v35, v[2:3]
	v_sub_nc_u32_e32 v35, 29, v23
	s_delay_alu instid0(VALU_DEP_2)
	v_and_b32_e32 v23, 7, v38
; %bb.2338:                             ;   in Loop: Header=BB296_2086 Depth=1
	s_wait_alu 0xfffe
	s_or_b32 exec_lo, exec_lo, s24
	v_lshlrev_b32_e32 v2, 8, v2
	v_lshl_add_u32 v35, v35, 10, 0x2000
	v_lshlrev_b32_e32 v23, 7, v23
	s_delay_alu instid0(VALU_DEP_3) | instskip(NEXT) | instid1(VALU_DEP_3)
	v_and_b32_e32 v2, 0x8000, v2
	v_and_b32_e32 v35, 0xfc00, v35
	s_delay_alu instid0(VALU_DEP_1)
	v_or3_b32 v23, v2, v35, v23
.LBB296_2339:                           ;   in Loop: Header=BB296_2086 Depth=1
	s_wait_alu 0xfffe
	s_or_b32 exec_lo, exec_lo, s23
.LBB296_2340:                           ;   in Loop: Header=BB296_2086 Depth=1
	s_wait_alu 0xfffe
	s_or_b32 exec_lo, exec_lo, s22
.LBB296_2341:                           ;   in Loop: Header=BB296_2086 Depth=1
	s_wait_alu 0xfffe
	s_or_b32 exec_lo, exec_lo, s21
	v_cmp_lt_u64_e64 s8, s[16:17], v[13:14]
	v_mov_b32_e32 v13, 0
	s_and_saveexec_b32 s21, s8
	s_cbranch_execz .LBB296_2349
; %bb.2342:                             ;   in Loop: Header=BB296_2086 Depth=1
	v_lshrrev_b32_e32 v2, 24, v14
	v_bfrev_b32_e32 v13, 1
	s_mov_b32 s22, exec_lo
	s_delay_alu instid0(VALU_DEP_2)
	v_cmpx_ne_u32_e32 0x80, v2
	s_cbranch_execz .LBB296_2348
; %bb.2343:                             ;   in Loop: Header=BB296_2086 Depth=1
	v_and_b32_e32 v35, 0x7f, v2
	v_mov_b32_e32 v13, 0x7c010000
	s_mov_b32 s23, exec_lo
	s_delay_alu instid0(VALU_DEP_2)
	v_cmpx_ne_u32_e32 0x7f, v35
	s_cbranch_execz .LBB296_2347
; %bb.2344:                             ;   in Loop: Header=BB296_2086 Depth=1
	v_and_b32_e32 v13, 7, v2
	v_lshrrev_b32_e32 v14, 3, v35
	s_mov_b32 s24, exec_lo
	v_cmpx_gt_u32_e32 8, v35
; %bb.2345:                             ;   in Loop: Header=BB296_2086 Depth=1
	s_delay_alu instid0(VALU_DEP_3) | instskip(NEXT) | instid1(VALU_DEP_1)
	v_clz_i32_u32_e32 v13, v13
	v_min_u32_e32 v35, 32, v13
	s_delay_alu instid0(VALU_DEP_1) | instskip(NEXT) | instid1(VALU_DEP_1)
	v_subrev_nc_u32_e32 v13, 28, v35
	v_lshlrev_b64_e32 v[13:14], v13, v[2:3]
	v_sub_nc_u32_e32 v14, 29, v35
	s_delay_alu instid0(VALU_DEP_2)
	v_and_b32_e32 v13, 7, v13
; %bb.2346:                             ;   in Loop: Header=BB296_2086 Depth=1
	s_wait_alu 0xfffe
	s_or_b32 exec_lo, exec_lo, s24
	v_lshlrev_b32_e32 v2, 8, v2
	v_lshl_add_u32 v14, v14, 10, 0x2000
	v_lshlrev_b32_e32 v13, 23, v13
	s_delay_alu instid0(VALU_DEP_2) | instskip(NEXT) | instid1(VALU_DEP_1)
	v_and_or_b32 v2, 0x8000, v2, v14
	v_lshl_or_b32 v13, v2, 16, v13
.LBB296_2347:                           ;   in Loop: Header=BB296_2086 Depth=1
	s_wait_alu 0xfffe
	s_or_b32 exec_lo, exec_lo, s23
.LBB296_2348:                           ;   in Loop: Header=BB296_2086 Depth=1
	s_wait_alu 0xfffe
	s_or_b32 exec_lo, exec_lo, s22
.LBB296_2349:                           ;   in Loop: Header=BB296_2086 Depth=1
	s_wait_alu 0xfffe
	s_or_b32 exec_lo, exec_lo, s21
	v_or_b32_e32 v2, v19, v22
	s_wait_loadcnt_dscnt 0x0
	v_fma_mixlo_f16 v14, v4, v19, 0 op_sel:[0,1,0] op_sel_hi:[0,1,0]
	v_or_b32_e32 v19, v5, v6
	v_or_b32_e32 v22, v34, v33
	;; [unrolled: 1-line block ×3, first 2 shown]
	v_fma_mixlo_f16 v5, v4, v5, 0 op_sel:[0,1,0] op_sel_hi:[0,1,0]
	v_fma_mixlo_f16 v33, v4, v2, 0 op_sel_hi:[0,1,0]
	v_lshlrev_b32_e32 v2, 16, v14
	v_fma_mixlo_f16 v14, v4, v19, 0 op_sel_hi:[0,1,0]
	v_fma_mixlo_f16 v19, v4, v34, 0 op_sel:[0,1,0] op_sel_hi:[0,1,0]
	v_fma_mixlo_f16 v22, v4, v22, 0 op_sel_hi:[0,1,0]
	v_fma_mixlo_f16 v13, v4, v13, 0 op_sel:[0,1,0] op_sel_hi:[0,1,0]
	v_fma_mixlo_f16 v4, v4, v23, 0 op_sel_hi:[0,1,0]
	v_lshlrev_b32_e32 v6, 16, v5
	v_and_b32_e32 v5, 0xffff, v33
	v_and_b32_e32 v35, 0xffff, v14
	v_lshlrev_b32_e32 v23, 16, v19
	v_and_b32_e32 v34, 0xffff, v22
	v_lshlrev_b32_e32 v22, 16, v13
	v_and_b32_e32 v33, 0xffff, v4
	v_or_b32_e32 v4, v2, v5
	v_or_b32_e32 v19, v6, v35
	;; [unrolled: 1-line block ×3, first 2 shown]
	s_delay_alu instid0(VALU_DEP_4)
	v_or_b32_e32 v13, v22, v33
	s_and_saveexec_b32 s8, s0
	s_cbranch_execz .LBB296_2351
; %bb.2350:                             ;   in Loop: Header=BB296_2086 Depth=1
	s_wait_alu 0xfffd
	v_cndmask_b32_e32 v4, 0, v35, vcc_lo
	v_cndmask_b32_e64 v6, 0, v6, s3
	v_cndmask_b32_e64 v5, 0, v5, s1
	v_cndmask_b32_e64 v2, 0, v2, s2
	v_cndmask_b32_e64 v13, 0, v34, s4
	v_cndmask_b32_e64 v14, 0, v23, s5
	v_cndmask_b32_e64 v23, 0, v33, s6
	v_cndmask_b32_e64 v22, 0, v22, s7
	v_or_b32_e32 v19, v4, v6
	v_or_b32_e32 v4, v5, v2
	v_or_b32_e32 v14, v13, v14
	s_delay_alu instid0(VALU_DEP_4)
	v_or_b32_e32 v13, v23, v22
.LBB296_2351:                           ;   in Loop: Header=BB296_2086 Depth=1
	s_wait_alu 0xfffe
	s_or_b32 exec_lo, exec_lo, s8
	;;#ASMSTART
	v_pk_mul_f16 v2, v115, v19;

	;;#ASMEND
	;;#ASMSTART
	v_pk_mul_f16 v4, v114, v4;

	;;#ASMEND
	;; [unrolled: 4-line block ×4, first 2 shown]
	;;#ASMSTART
	v_pk_add_f16 v2, v2, v4;

	;;#ASMEND
	;;#ASMSTART
	v_pk_add_f16 v2, v2, v5;

	;;#ASMEND
	;; [unrolled: 4-line block ×3, first 2 shown]
	v_dual_mov_b32 v5, 0 :: v_dual_and_b32 v4, 0xffff, v2
	v_lshrrev_b32_e32 v2, 16, v2
	;;#ASMSTART
	v_cvt_f32_f16 v128, v4;
	;;#ASMEND
	;;#ASMSTART
	v_cvt_f32_f16 v129, v2;
	;;#ASMEND
	flat_load_b64 v[13:14], v[11:12] offset:1024
	flat_load_b32 v4, v[26:27]
	v_mov_b32_e32 v6, 0
	s_mov_b32 s21, exec_lo
	s_wait_loadcnt_dscnt 0x101
	v_and_b32_e32 v2, 0xff, v13
	s_delay_alu instid0(VALU_DEP_1)
	v_cmpx_ne_u16_e32 0, v2
	s_cbranch_execz .LBB296_2359
; %bb.2352:                             ;   in Loop: Header=BB296_2086 Depth=1
	v_mov_b32_e32 v6, 0x8000
	s_mov_b32 s22, exec_lo
	v_cmpx_ne_u16_e32 0x80, v2
	s_cbranch_execz .LBB296_2358
; %bb.2353:                             ;   in Loop: Header=BB296_2086 Depth=1
	v_and_b32_e32 v19, 0x7f, v13
	v_mov_b32_e32 v6, 0x7c01
	s_mov_b32 s23, exec_lo
	s_delay_alu instid0(VALU_DEP_2)
	v_cmpx_ne_u32_e32 0x7f, v19
	s_cbranch_execz .LBB296_2357
; %bb.2354:                             ;   in Loop: Header=BB296_2086 Depth=1
	v_and_b32_e32 v2, 7, v13
	v_lshrrev_b32_e32 v6, 3, v19
	s_mov_b32 s24, exec_lo
	v_cmpx_gt_u32_e32 8, v19
; %bb.2355:                             ;   in Loop: Header=BB296_2086 Depth=1
	s_delay_alu instid0(VALU_DEP_3) | instskip(NEXT) | instid1(VALU_DEP_1)
	v_clz_i32_u32_e32 v2, v2
	v_min_u32_e32 v2, 32, v2
	s_delay_alu instid0(VALU_DEP_1) | instskip(NEXT) | instid1(VALU_DEP_1)
	v_subrev_nc_u32_e32 v6, 28, v2
	v_lshlrev_b64_e32 v[22:23], v6, v[13:14]
	v_sub_nc_u32_e32 v6, 29, v2
	s_delay_alu instid0(VALU_DEP_2)
	v_and_b32_e32 v2, 7, v22
; %bb.2356:                             ;   in Loop: Header=BB296_2086 Depth=1
	s_wait_alu 0xfffe
	s_or_b32 exec_lo, exec_lo, s24
	v_lshlrev_b32_e32 v19, 8, v13
	v_lshl_add_u32 v6, v6, 10, 0x2000
	v_lshlrev_b32_e32 v2, 7, v2
	s_delay_alu instid0(VALU_DEP_3) | instskip(NEXT) | instid1(VALU_DEP_3)
	v_and_b32_e32 v19, 0x8000, v19
	v_and_b32_e32 v6, 0xfc00, v6
	s_delay_alu instid0(VALU_DEP_1)
	v_or3_b32 v6, v19, v6, v2
.LBB296_2357:                           ;   in Loop: Header=BB296_2086 Depth=1
	s_wait_alu 0xfffe
	s_or_b32 exec_lo, exec_lo, s23
.LBB296_2358:                           ;   in Loop: Header=BB296_2086 Depth=1
	s_wait_alu 0xfffe
	s_or_b32 exec_lo, exec_lo, s22
.LBB296_2359:                           ;   in Loop: Header=BB296_2086 Depth=1
	s_wait_alu 0xfffe
	s_or_b32 exec_lo, exec_lo, s21
	v_lshrrev_b16 v2, 8, v13
	s_mov_b32 s21, exec_lo
	s_delay_alu instid0(VALU_DEP_1)
	v_cmpx_ne_u16_e32 0, v2
	s_cbranch_execz .LBB296_2367
; %bb.2360:                             ;   in Loop: Header=BB296_2086 Depth=1
	v_bfrev_b32_e32 v5, 1
	s_mov_b32 s22, exec_lo
	v_cmpx_ne_u16_e32 0x80, v2
	s_cbranch_execz .LBB296_2366
; %bb.2361:                             ;   in Loop: Header=BB296_2086 Depth=1
	v_and_b32_e32 v19, 0xffff, v2
	v_mov_b32_e32 v5, 0x7c010000
	s_mov_b32 s23, exec_lo
	s_delay_alu instid0(VALU_DEP_2) | instskip(NEXT) | instid1(VALU_DEP_1)
	v_and_b32_e32 v23, 0x7f, v19
	v_cmpx_ne_u32_e32 0x7f, v23
	s_cbranch_execz .LBB296_2365
; %bb.2362:                             ;   in Loop: Header=BB296_2086 Depth=1
	v_and_b32_e32 v5, 7, v19
	v_lshrrev_b32_e32 v22, 3, v23
	s_mov_b32 s24, exec_lo
	v_cmpx_gt_u32_e32 8, v23
; %bb.2363:                             ;   in Loop: Header=BB296_2086 Depth=1
	s_delay_alu instid0(VALU_DEP_3) | instskip(NEXT) | instid1(VALU_DEP_1)
	v_clz_i32_u32_e32 v5, v5
	v_min_u32_e32 v5, 32, v5
	s_delay_alu instid0(VALU_DEP_1) | instskip(NEXT) | instid1(VALU_DEP_1)
	v_subrev_nc_u32_e32 v22, 28, v5
	v_lshlrev_b64_e32 v[33:34], v22, v[2:3]
	v_sub_nc_u32_e32 v22, 29, v5
	s_delay_alu instid0(VALU_DEP_2)
	v_and_b32_e32 v5, 7, v33
; %bb.2364:                             ;   in Loop: Header=BB296_2086 Depth=1
	s_wait_alu 0xfffe
	s_or_b32 exec_lo, exec_lo, s24
	v_lshlrev_b32_e32 v2, 8, v19
	v_lshl_add_u32 v19, v22, 10, 0x2000
	v_lshlrev_b32_e32 v5, 23, v5
	s_delay_alu instid0(VALU_DEP_2) | instskip(NEXT) | instid1(VALU_DEP_1)
	v_and_or_b32 v2, 0x8000, v2, v19
	v_lshl_or_b32 v5, v2, 16, v5
.LBB296_2365:                           ;   in Loop: Header=BB296_2086 Depth=1
	s_wait_alu 0xfffe
	s_or_b32 exec_lo, exec_lo, s23
.LBB296_2366:                           ;   in Loop: Header=BB296_2086 Depth=1
	s_wait_alu 0xfffe
	s_or_b32 exec_lo, exec_lo, s22
.LBB296_2367:                           ;   in Loop: Header=BB296_2086 Depth=1
	s_wait_alu 0xfffe
	s_or_b32 exec_lo, exec_lo, s21
	v_lshrrev_b32_e32 v2, 16, v13
	v_mov_b32_e32 v19, 0
	s_mov_b32 s21, exec_lo
	s_delay_alu instid0(VALU_DEP_2) | instskip(NEXT) | instid1(VALU_DEP_1)
	v_dual_mov_b32 v22, 0 :: v_dual_and_b32 v23, 0xff, v2
	v_cmpx_ne_u16_e32 0, v23
	s_cbranch_execz .LBB296_2375
; %bb.2368:                             ;   in Loop: Header=BB296_2086 Depth=1
	v_mov_b32_e32 v22, 0x8000
	s_mov_b32 s22, exec_lo
	v_cmpx_ne_u16_e32 0x80, v23
	s_cbranch_execz .LBB296_2374
; %bb.2369:                             ;   in Loop: Header=BB296_2086 Depth=1
	v_bfe_u32 v33, v13, 16, 7
	v_mov_b32_e32 v22, 0x7c01
	s_mov_b32 s23, exec_lo
	s_delay_alu instid0(VALU_DEP_2)
	v_cmpx_ne_u32_e32 0x7f, v33
	s_cbranch_execz .LBB296_2373
; %bb.2370:                             ;   in Loop: Header=BB296_2086 Depth=1
	v_and_b32_e32 v22, 7, v2
	v_lshrrev_b32_e32 v23, 3, v33
	s_mov_b32 s24, exec_lo
	v_cmpx_gt_u32_e32 8, v33
; %bb.2371:                             ;   in Loop: Header=BB296_2086 Depth=1
	s_delay_alu instid0(VALU_DEP_3) | instskip(NEXT) | instid1(VALU_DEP_1)
	v_clz_i32_u32_e32 v22, v22
	v_min_u32_e32 v33, 32, v22
	s_delay_alu instid0(VALU_DEP_1) | instskip(NEXT) | instid1(VALU_DEP_1)
	v_subrev_nc_u32_e32 v22, 28, v33
	v_lshlrev_b64_e32 v[22:23], v22, v[2:3]
	v_sub_nc_u32_e32 v23, 29, v33
	s_delay_alu instid0(VALU_DEP_2)
	v_and_b32_e32 v22, 7, v22
; %bb.2372:                             ;   in Loop: Header=BB296_2086 Depth=1
	s_wait_alu 0xfffe
	s_or_b32 exec_lo, exec_lo, s24
	v_lshlrev_b32_e32 v2, 8, v2
	v_lshl_add_u32 v23, v23, 10, 0x2000
	v_lshlrev_b32_e32 v22, 7, v22
	s_delay_alu instid0(VALU_DEP_3) | instskip(NEXT) | instid1(VALU_DEP_3)
	v_and_b32_e32 v2, 0x8000, v2
	v_and_b32_e32 v23, 0xfc00, v23
	s_delay_alu instid0(VALU_DEP_1)
	v_or3_b32 v22, v2, v23, v22
.LBB296_2373:                           ;   in Loop: Header=BB296_2086 Depth=1
	s_wait_alu 0xfffe
	s_or_b32 exec_lo, exec_lo, s23
.LBB296_2374:                           ;   in Loop: Header=BB296_2086 Depth=1
	s_wait_alu 0xfffe
	s_or_b32 exec_lo, exec_lo, s22
.LBB296_2375:                           ;   in Loop: Header=BB296_2086 Depth=1
	s_wait_alu 0xfffe
	s_or_b32 exec_lo, exec_lo, s21
	s_delay_alu instid0(SALU_CYCLE_1)
	s_mov_b32 s21, exec_lo
	v_cmpx_lt_u32_e32 0xffffff, v13
	s_cbranch_execz .LBB296_2383
; %bb.2376:                             ;   in Loop: Header=BB296_2086 Depth=1
	v_lshrrev_b32_e32 v2, 24, v13
	v_bfrev_b32_e32 v19, 1
	s_mov_b32 s22, exec_lo
	s_delay_alu instid0(VALU_DEP_2)
	v_cmpx_ne_u32_e32 0x80, v2
	s_cbranch_execz .LBB296_2382
; %bb.2377:                             ;   in Loop: Header=BB296_2086 Depth=1
	v_and_b32_e32 v33, 0x7f, v2
	v_mov_b32_e32 v19, 0x7c010000
	s_mov_b32 s23, exec_lo
	s_delay_alu instid0(VALU_DEP_2)
	v_cmpx_ne_u32_e32 0x7f, v33
	s_cbranch_execz .LBB296_2381
; %bb.2378:                             ;   in Loop: Header=BB296_2086 Depth=1
	v_and_b32_e32 v19, 7, v2
	v_lshrrev_b32_e32 v23, 3, v33
	s_mov_b32 s24, exec_lo
	v_cmpx_gt_u32_e32 8, v33
; %bb.2379:                             ;   in Loop: Header=BB296_2086 Depth=1
	s_delay_alu instid0(VALU_DEP_3) | instskip(NEXT) | instid1(VALU_DEP_1)
	v_clz_i32_u32_e32 v19, v19
	v_min_u32_e32 v19, 32, v19
	s_delay_alu instid0(VALU_DEP_1) | instskip(NEXT) | instid1(VALU_DEP_1)
	v_subrev_nc_u32_e32 v23, 28, v19
	v_lshlrev_b64_e32 v[33:34], v23, v[2:3]
	v_sub_nc_u32_e32 v23, 29, v19
	s_delay_alu instid0(VALU_DEP_2)
	v_and_b32_e32 v19, 7, v33
; %bb.2380:                             ;   in Loop: Header=BB296_2086 Depth=1
	s_wait_alu 0xfffe
	s_or_b32 exec_lo, exec_lo, s24
	v_lshlrev_b32_e32 v2, 8, v2
	v_lshl_add_u32 v23, v23, 10, 0x2000
	v_lshlrev_b32_e32 v19, 23, v19
	s_delay_alu instid0(VALU_DEP_2) | instskip(NEXT) | instid1(VALU_DEP_1)
	v_and_or_b32 v2, 0x8000, v2, v23
	v_lshl_or_b32 v19, v2, 16, v19
.LBB296_2381:                           ;   in Loop: Header=BB296_2086 Depth=1
	s_wait_alu 0xfffe
	s_or_b32 exec_lo, exec_lo, s23
.LBB296_2382:                           ;   in Loop: Header=BB296_2086 Depth=1
	s_wait_alu 0xfffe
	s_or_b32 exec_lo, exec_lo, s22
.LBB296_2383:                           ;   in Loop: Header=BB296_2086 Depth=1
	s_wait_alu 0xfffe
	s_or_b32 exec_lo, exec_lo, s21
	v_dual_mov_b32 v23, 0 :: v_dual_and_b32 v34, 0xff, v14
	v_dual_mov_b32 v2, v14 :: v_dual_mov_b32 v33, 0
	s_mov_b32 s21, exec_lo
	s_delay_alu instid0(VALU_DEP_2)
	v_cmpx_ne_u16_e32 0, v34
	s_cbranch_execz .LBB296_2391
; %bb.2384:                             ;   in Loop: Header=BB296_2086 Depth=1
	v_mov_b32_e32 v33, 0x8000
	s_mov_b32 s22, exec_lo
	v_cmpx_ne_u16_e32 0x80, v34
	s_cbranch_execz .LBB296_2390
; %bb.2385:                             ;   in Loop: Header=BB296_2086 Depth=1
	v_and_b32_e32 v35, 0x7f, v14
	v_mov_b32_e32 v33, 0x7c01
	s_mov_b32 s23, exec_lo
	s_delay_alu instid0(VALU_DEP_2)
	v_cmpx_ne_u32_e32 0x7f, v35
	s_cbranch_execz .LBB296_2389
; %bb.2386:                             ;   in Loop: Header=BB296_2086 Depth=1
	v_and_b32_e32 v33, 7, v14
	v_lshrrev_b32_e32 v34, 3, v35
	s_mov_b32 s24, exec_lo
	v_cmpx_gt_u32_e32 8, v35
; %bb.2387:                             ;   in Loop: Header=BB296_2086 Depth=1
	s_delay_alu instid0(VALU_DEP_3) | instskip(NEXT) | instid1(VALU_DEP_1)
	v_clz_i32_u32_e32 v33, v33
	v_min_u32_e32 v35, 32, v33
	s_delay_alu instid0(VALU_DEP_1) | instskip(NEXT) | instid1(VALU_DEP_1)
	v_subrev_nc_u32_e32 v33, 28, v35
	v_lshlrev_b64_e32 v[33:34], v33, v[2:3]
	v_sub_nc_u32_e32 v34, 29, v35
	s_delay_alu instid0(VALU_DEP_2)
	v_and_b32_e32 v33, 7, v33
; %bb.2388:                             ;   in Loop: Header=BB296_2086 Depth=1
	s_wait_alu 0xfffe
	s_or_b32 exec_lo, exec_lo, s24
	v_lshlrev_b32_e32 v35, 8, v14
	v_lshl_add_u32 v34, v34, 10, 0x2000
	v_lshlrev_b32_e32 v33, 7, v33
	s_delay_alu instid0(VALU_DEP_3) | instskip(NEXT) | instid1(VALU_DEP_3)
	v_and_b32_e32 v35, 0x8000, v35
	v_and_b32_e32 v34, 0xfc00, v34
	s_delay_alu instid0(VALU_DEP_1)
	v_or3_b32 v33, v35, v34, v33
.LBB296_2389:                           ;   in Loop: Header=BB296_2086 Depth=1
	s_wait_alu 0xfffe
	s_or_b32 exec_lo, exec_lo, s23
.LBB296_2390:                           ;   in Loop: Header=BB296_2086 Depth=1
	s_wait_alu 0xfffe
	s_or_b32 exec_lo, exec_lo, s22
.LBB296_2391:                           ;   in Loop: Header=BB296_2086 Depth=1
	s_wait_alu 0xfffe
	s_or_b32 exec_lo, exec_lo, s21
	v_lshrrev_b16 v2, 8, v2
	v_mov_b32_e32 v34, 0
	s_mov_b32 s21, exec_lo
	s_delay_alu instid0(VALU_DEP_2)
	v_cmpx_ne_u16_e32 0, v2
	s_cbranch_execz .LBB296_2399
; %bb.2392:                             ;   in Loop: Header=BB296_2086 Depth=1
	v_bfrev_b32_e32 v34, 1
	s_mov_b32 s22, exec_lo
	v_cmpx_ne_u16_e32 0x80, v2
	s_cbranch_execz .LBB296_2398
; %bb.2393:                             ;   in Loop: Header=BB296_2086 Depth=1
	v_and_b32_e32 v35, 0xffff, v2
	v_mov_b32_e32 v34, 0x7c010000
	s_mov_b32 s23, exec_lo
	s_delay_alu instid0(VALU_DEP_2) | instskip(NEXT) | instid1(VALU_DEP_1)
	v_and_b32_e32 v38, 0x7f, v35
	v_cmpx_ne_u32_e32 0x7f, v38
	s_cbranch_execz .LBB296_2397
; %bb.2394:                             ;   in Loop: Header=BB296_2086 Depth=1
	v_and_b32_e32 v34, 7, v35
	v_lshrrev_b32_e32 v36, 3, v38
	s_mov_b32 s24, exec_lo
	v_cmpx_gt_u32_e32 8, v38
; %bb.2395:                             ;   in Loop: Header=BB296_2086 Depth=1
	s_delay_alu instid0(VALU_DEP_3) | instskip(NEXT) | instid1(VALU_DEP_1)
	v_clz_i32_u32_e32 v34, v34
	v_min_u32_e32 v34, 32, v34
	s_delay_alu instid0(VALU_DEP_1) | instskip(NEXT) | instid1(VALU_DEP_1)
	v_subrev_nc_u32_e32 v36, 28, v34
	v_lshlrev_b64_e32 v[38:39], v36, v[2:3]
	v_sub_nc_u32_e32 v36, 29, v34
	s_delay_alu instid0(VALU_DEP_2)
	v_and_b32_e32 v34, 7, v38
; %bb.2396:                             ;   in Loop: Header=BB296_2086 Depth=1
	s_wait_alu 0xfffe
	s_or_b32 exec_lo, exec_lo, s24
	v_lshlrev_b32_e32 v2, 8, v35
	v_lshl_add_u32 v35, v36, 10, 0x2000
	v_lshlrev_b32_e32 v34, 23, v34
	s_delay_alu instid0(VALU_DEP_2) | instskip(NEXT) | instid1(VALU_DEP_1)
	v_and_or_b32 v2, 0x8000, v2, v35
	v_lshl_or_b32 v34, v2, 16, v34
.LBB296_2397:                           ;   in Loop: Header=BB296_2086 Depth=1
	s_wait_alu 0xfffe
	s_or_b32 exec_lo, exec_lo, s23
.LBB296_2398:                           ;   in Loop: Header=BB296_2086 Depth=1
	s_wait_alu 0xfffe
	s_or_b32 exec_lo, exec_lo, s22
.LBB296_2399:                           ;   in Loop: Header=BB296_2086 Depth=1
	s_wait_alu 0xfffe
	s_or_b32 exec_lo, exec_lo, s21
	v_lshrrev_b32_e32 v2, 16, v14
	s_mov_b32 s21, exec_lo
	s_delay_alu instid0(VALU_DEP_1) | instskip(NEXT) | instid1(VALU_DEP_1)
	v_and_b32_e32 v35, 0xff, v2
	v_cmpx_ne_u16_e32 0, v35
	s_cbranch_execz .LBB296_2407
; %bb.2400:                             ;   in Loop: Header=BB296_2086 Depth=1
	v_mov_b32_e32 v23, 0x8000
	s_mov_b32 s22, exec_lo
	v_cmpx_ne_u16_e32 0x80, v35
	s_cbranch_execz .LBB296_2406
; %bb.2401:                             ;   in Loop: Header=BB296_2086 Depth=1
	v_bfe_u32 v36, v14, 16, 7
	v_mov_b32_e32 v23, 0x7c01
	s_mov_b32 s23, exec_lo
	s_delay_alu instid0(VALU_DEP_2)
	v_cmpx_ne_u32_e32 0x7f, v36
	s_cbranch_execz .LBB296_2405
; %bb.2402:                             ;   in Loop: Header=BB296_2086 Depth=1
	v_and_b32_e32 v23, 7, v2
	v_lshrrev_b32_e32 v35, 3, v36
	s_mov_b32 s24, exec_lo
	v_cmpx_gt_u32_e32 8, v36
; %bb.2403:                             ;   in Loop: Header=BB296_2086 Depth=1
	s_delay_alu instid0(VALU_DEP_3) | instskip(NEXT) | instid1(VALU_DEP_1)
	v_clz_i32_u32_e32 v23, v23
	v_min_u32_e32 v23, 32, v23
	s_delay_alu instid0(VALU_DEP_1) | instskip(NEXT) | instid1(VALU_DEP_1)
	v_subrev_nc_u32_e32 v35, 28, v23
	v_lshlrev_b64_e32 v[38:39], v35, v[2:3]
	v_sub_nc_u32_e32 v35, 29, v23
	s_delay_alu instid0(VALU_DEP_2)
	v_and_b32_e32 v23, 7, v38
; %bb.2404:                             ;   in Loop: Header=BB296_2086 Depth=1
	s_wait_alu 0xfffe
	s_or_b32 exec_lo, exec_lo, s24
	v_lshlrev_b32_e32 v2, 8, v2
	v_lshl_add_u32 v35, v35, 10, 0x2000
	v_lshlrev_b32_e32 v23, 7, v23
	s_delay_alu instid0(VALU_DEP_3) | instskip(NEXT) | instid1(VALU_DEP_3)
	v_and_b32_e32 v2, 0x8000, v2
	v_and_b32_e32 v35, 0xfc00, v35
	s_delay_alu instid0(VALU_DEP_1)
	v_or3_b32 v23, v2, v35, v23
.LBB296_2405:                           ;   in Loop: Header=BB296_2086 Depth=1
	s_wait_alu 0xfffe
	s_or_b32 exec_lo, exec_lo, s23
.LBB296_2406:                           ;   in Loop: Header=BB296_2086 Depth=1
	s_wait_alu 0xfffe
	s_or_b32 exec_lo, exec_lo, s22
.LBB296_2407:                           ;   in Loop: Header=BB296_2086 Depth=1
	s_wait_alu 0xfffe
	s_or_b32 exec_lo, exec_lo, s21
	v_cmp_lt_u64_e64 s8, s[16:17], v[13:14]
	v_mov_b32_e32 v13, 0
	s_and_saveexec_b32 s21, s8
	s_cbranch_execz .LBB296_2415
; %bb.2408:                             ;   in Loop: Header=BB296_2086 Depth=1
	v_lshrrev_b32_e32 v2, 24, v14
	v_bfrev_b32_e32 v13, 1
	s_mov_b32 s22, exec_lo
	s_delay_alu instid0(VALU_DEP_2)
	v_cmpx_ne_u32_e32 0x80, v2
	s_cbranch_execz .LBB296_2414
; %bb.2409:                             ;   in Loop: Header=BB296_2086 Depth=1
	v_and_b32_e32 v35, 0x7f, v2
	v_mov_b32_e32 v13, 0x7c010000
	s_mov_b32 s23, exec_lo
	s_delay_alu instid0(VALU_DEP_2)
	v_cmpx_ne_u32_e32 0x7f, v35
	s_cbranch_execz .LBB296_2413
; %bb.2410:                             ;   in Loop: Header=BB296_2086 Depth=1
	v_and_b32_e32 v13, 7, v2
	v_lshrrev_b32_e32 v14, 3, v35
	s_mov_b32 s24, exec_lo
	v_cmpx_gt_u32_e32 8, v35
; %bb.2411:                             ;   in Loop: Header=BB296_2086 Depth=1
	s_delay_alu instid0(VALU_DEP_3) | instskip(NEXT) | instid1(VALU_DEP_1)
	v_clz_i32_u32_e32 v13, v13
	v_min_u32_e32 v35, 32, v13
	s_delay_alu instid0(VALU_DEP_1) | instskip(NEXT) | instid1(VALU_DEP_1)
	v_subrev_nc_u32_e32 v13, 28, v35
	v_lshlrev_b64_e32 v[13:14], v13, v[2:3]
	v_sub_nc_u32_e32 v14, 29, v35
	s_delay_alu instid0(VALU_DEP_2)
	v_and_b32_e32 v13, 7, v13
; %bb.2412:                             ;   in Loop: Header=BB296_2086 Depth=1
	s_wait_alu 0xfffe
	s_or_b32 exec_lo, exec_lo, s24
	v_lshlrev_b32_e32 v2, 8, v2
	v_lshl_add_u32 v14, v14, 10, 0x2000
	v_lshlrev_b32_e32 v13, 23, v13
	s_delay_alu instid0(VALU_DEP_2) | instskip(NEXT) | instid1(VALU_DEP_1)
	v_and_or_b32 v2, 0x8000, v2, v14
	v_lshl_or_b32 v13, v2, 16, v13
.LBB296_2413:                           ;   in Loop: Header=BB296_2086 Depth=1
	s_wait_alu 0xfffe
	s_or_b32 exec_lo, exec_lo, s23
.LBB296_2414:                           ;   in Loop: Header=BB296_2086 Depth=1
	s_wait_alu 0xfffe
	s_or_b32 exec_lo, exec_lo, s22
.LBB296_2415:                           ;   in Loop: Header=BB296_2086 Depth=1
	s_wait_alu 0xfffe
	s_or_b32 exec_lo, exec_lo, s21
	v_or_b32_e32 v2, v19, v22
	s_wait_loadcnt_dscnt 0x0
	v_fma_mixlo_f16 v14, v4, v19, 0 op_sel:[0,1,0] op_sel_hi:[0,1,0]
	v_or_b32_e32 v19, v5, v6
	v_or_b32_e32 v22, v34, v33
	;; [unrolled: 1-line block ×3, first 2 shown]
	v_fma_mixlo_f16 v5, v4, v5, 0 op_sel:[0,1,0] op_sel_hi:[0,1,0]
	v_fma_mixlo_f16 v33, v4, v2, 0 op_sel_hi:[0,1,0]
	v_lshlrev_b32_e32 v2, 16, v14
	v_fma_mixlo_f16 v14, v4, v19, 0 op_sel_hi:[0,1,0]
	v_fma_mixlo_f16 v19, v4, v34, 0 op_sel:[0,1,0] op_sel_hi:[0,1,0]
	v_fma_mixlo_f16 v22, v4, v22, 0 op_sel_hi:[0,1,0]
	v_fma_mixlo_f16 v13, v4, v13, 0 op_sel:[0,1,0] op_sel_hi:[0,1,0]
	v_fma_mixlo_f16 v4, v4, v23, 0 op_sel_hi:[0,1,0]
	v_lshlrev_b32_e32 v6, 16, v5
	v_and_b32_e32 v5, 0xffff, v33
	v_and_b32_e32 v35, 0xffff, v14
	v_lshlrev_b32_e32 v23, 16, v19
	v_and_b32_e32 v34, 0xffff, v22
	v_lshlrev_b32_e32 v22, 16, v13
	v_and_b32_e32 v33, 0xffff, v4
	v_or_b32_e32 v4, v2, v5
	v_or_b32_e32 v19, v6, v35
	;; [unrolled: 1-line block ×3, first 2 shown]
	s_delay_alu instid0(VALU_DEP_4)
	v_or_b32_e32 v13, v22, v33
	s_and_saveexec_b32 s8, s0
	s_cbranch_execz .LBB296_2417
; %bb.2416:                             ;   in Loop: Header=BB296_2086 Depth=1
	s_wait_alu 0xfffd
	v_cndmask_b32_e32 v4, 0, v35, vcc_lo
	v_cndmask_b32_e64 v6, 0, v6, s3
	v_cndmask_b32_e64 v5, 0, v5, s1
	;; [unrolled: 1-line block ×7, first 2 shown]
	v_or_b32_e32 v19, v4, v6
	v_or_b32_e32 v4, v5, v2
	;; [unrolled: 1-line block ×3, first 2 shown]
	s_delay_alu instid0(VALU_DEP_4)
	v_or_b32_e32 v13, v23, v22
.LBB296_2417:                           ;   in Loop: Header=BB296_2086 Depth=1
	s_wait_alu 0xfffe
	s_or_b32 exec_lo, exec_lo, s8
	;;#ASMSTART
	v_pk_mul_f16 v2, v115, v19;

	;;#ASMEND
	;;#ASMSTART
	v_pk_mul_f16 v4, v114, v4;

	;;#ASMEND
	;; [unrolled: 4-line block ×4, first 2 shown]
	;;#ASMSTART
	v_pk_add_f16 v2, v2, v4;

	;;#ASMEND
	;;#ASMSTART
	v_pk_add_f16 v2, v2, v5;

	;;#ASMEND
	;; [unrolled: 4-line block ×3, first 2 shown]
	v_dual_mov_b32 v5, 0 :: v_dual_and_b32 v4, 0xffff, v2
	v_lshrrev_b32_e32 v2, 16, v2
	;;#ASMSTART
	v_cvt_f32_f16 v130, v4;
	;;#ASMEND
	;;#ASMSTART
	v_cvt_f32_f16 v131, v2;
	;;#ASMEND
	flat_load_b64 v[13:14], v[11:12] offset:1280
	flat_load_b32 v4, v[26:27]
	v_mov_b32_e32 v6, 0
	s_mov_b32 s21, exec_lo
	s_wait_loadcnt_dscnt 0x101
	v_and_b32_e32 v2, 0xff, v13
	s_delay_alu instid0(VALU_DEP_1)
	v_cmpx_ne_u16_e32 0, v2
	s_cbranch_execz .LBB296_2425
; %bb.2418:                             ;   in Loop: Header=BB296_2086 Depth=1
	v_mov_b32_e32 v6, 0x8000
	s_mov_b32 s22, exec_lo
	v_cmpx_ne_u16_e32 0x80, v2
	s_cbranch_execz .LBB296_2424
; %bb.2419:                             ;   in Loop: Header=BB296_2086 Depth=1
	v_and_b32_e32 v19, 0x7f, v13
	v_mov_b32_e32 v6, 0x7c01
	s_mov_b32 s23, exec_lo
	s_delay_alu instid0(VALU_DEP_2)
	v_cmpx_ne_u32_e32 0x7f, v19
	s_cbranch_execz .LBB296_2423
; %bb.2420:                             ;   in Loop: Header=BB296_2086 Depth=1
	v_and_b32_e32 v2, 7, v13
	v_lshrrev_b32_e32 v6, 3, v19
	s_mov_b32 s24, exec_lo
	v_cmpx_gt_u32_e32 8, v19
; %bb.2421:                             ;   in Loop: Header=BB296_2086 Depth=1
	s_delay_alu instid0(VALU_DEP_3) | instskip(NEXT) | instid1(VALU_DEP_1)
	v_clz_i32_u32_e32 v2, v2
	v_min_u32_e32 v2, 32, v2
	s_delay_alu instid0(VALU_DEP_1) | instskip(NEXT) | instid1(VALU_DEP_1)
	v_subrev_nc_u32_e32 v6, 28, v2
	v_lshlrev_b64_e32 v[22:23], v6, v[13:14]
	v_sub_nc_u32_e32 v6, 29, v2
	s_delay_alu instid0(VALU_DEP_2)
	v_and_b32_e32 v2, 7, v22
; %bb.2422:                             ;   in Loop: Header=BB296_2086 Depth=1
	s_wait_alu 0xfffe
	s_or_b32 exec_lo, exec_lo, s24
	v_lshlrev_b32_e32 v19, 8, v13
	v_lshl_add_u32 v6, v6, 10, 0x2000
	v_lshlrev_b32_e32 v2, 7, v2
	s_delay_alu instid0(VALU_DEP_3) | instskip(NEXT) | instid1(VALU_DEP_3)
	v_and_b32_e32 v19, 0x8000, v19
	v_and_b32_e32 v6, 0xfc00, v6
	s_delay_alu instid0(VALU_DEP_1)
	v_or3_b32 v6, v19, v6, v2
.LBB296_2423:                           ;   in Loop: Header=BB296_2086 Depth=1
	s_wait_alu 0xfffe
	s_or_b32 exec_lo, exec_lo, s23
.LBB296_2424:                           ;   in Loop: Header=BB296_2086 Depth=1
	s_wait_alu 0xfffe
	s_or_b32 exec_lo, exec_lo, s22
.LBB296_2425:                           ;   in Loop: Header=BB296_2086 Depth=1
	s_wait_alu 0xfffe
	s_or_b32 exec_lo, exec_lo, s21
	v_lshrrev_b16 v2, 8, v13
	s_mov_b32 s21, exec_lo
	s_delay_alu instid0(VALU_DEP_1)
	v_cmpx_ne_u16_e32 0, v2
	s_cbranch_execz .LBB296_2433
; %bb.2426:                             ;   in Loop: Header=BB296_2086 Depth=1
	v_bfrev_b32_e32 v5, 1
	s_mov_b32 s22, exec_lo
	v_cmpx_ne_u16_e32 0x80, v2
	s_cbranch_execz .LBB296_2432
; %bb.2427:                             ;   in Loop: Header=BB296_2086 Depth=1
	v_and_b32_e32 v19, 0xffff, v2
	v_mov_b32_e32 v5, 0x7c010000
	s_mov_b32 s23, exec_lo
	s_delay_alu instid0(VALU_DEP_2) | instskip(NEXT) | instid1(VALU_DEP_1)
	v_and_b32_e32 v23, 0x7f, v19
	v_cmpx_ne_u32_e32 0x7f, v23
	s_cbranch_execz .LBB296_2431
; %bb.2428:                             ;   in Loop: Header=BB296_2086 Depth=1
	v_and_b32_e32 v5, 7, v19
	v_lshrrev_b32_e32 v22, 3, v23
	s_mov_b32 s24, exec_lo
	v_cmpx_gt_u32_e32 8, v23
; %bb.2429:                             ;   in Loop: Header=BB296_2086 Depth=1
	s_delay_alu instid0(VALU_DEP_3) | instskip(NEXT) | instid1(VALU_DEP_1)
	v_clz_i32_u32_e32 v5, v5
	v_min_u32_e32 v5, 32, v5
	s_delay_alu instid0(VALU_DEP_1) | instskip(NEXT) | instid1(VALU_DEP_1)
	v_subrev_nc_u32_e32 v22, 28, v5
	v_lshlrev_b64_e32 v[33:34], v22, v[2:3]
	v_sub_nc_u32_e32 v22, 29, v5
	s_delay_alu instid0(VALU_DEP_2)
	v_and_b32_e32 v5, 7, v33
; %bb.2430:                             ;   in Loop: Header=BB296_2086 Depth=1
	s_wait_alu 0xfffe
	s_or_b32 exec_lo, exec_lo, s24
	v_lshlrev_b32_e32 v2, 8, v19
	v_lshl_add_u32 v19, v22, 10, 0x2000
	v_lshlrev_b32_e32 v5, 23, v5
	s_delay_alu instid0(VALU_DEP_2) | instskip(NEXT) | instid1(VALU_DEP_1)
	v_and_or_b32 v2, 0x8000, v2, v19
	v_lshl_or_b32 v5, v2, 16, v5
.LBB296_2431:                           ;   in Loop: Header=BB296_2086 Depth=1
	s_wait_alu 0xfffe
	s_or_b32 exec_lo, exec_lo, s23
.LBB296_2432:                           ;   in Loop: Header=BB296_2086 Depth=1
	s_wait_alu 0xfffe
	s_or_b32 exec_lo, exec_lo, s22
.LBB296_2433:                           ;   in Loop: Header=BB296_2086 Depth=1
	s_wait_alu 0xfffe
	s_or_b32 exec_lo, exec_lo, s21
	v_lshrrev_b32_e32 v2, 16, v13
	v_mov_b32_e32 v19, 0
	s_mov_b32 s21, exec_lo
	s_delay_alu instid0(VALU_DEP_2) | instskip(NEXT) | instid1(VALU_DEP_1)
	v_dual_mov_b32 v22, 0 :: v_dual_and_b32 v23, 0xff, v2
	v_cmpx_ne_u16_e32 0, v23
	s_cbranch_execz .LBB296_2441
; %bb.2434:                             ;   in Loop: Header=BB296_2086 Depth=1
	v_mov_b32_e32 v22, 0x8000
	s_mov_b32 s22, exec_lo
	v_cmpx_ne_u16_e32 0x80, v23
	s_cbranch_execz .LBB296_2440
; %bb.2435:                             ;   in Loop: Header=BB296_2086 Depth=1
	v_bfe_u32 v33, v13, 16, 7
	v_mov_b32_e32 v22, 0x7c01
	s_mov_b32 s23, exec_lo
	s_delay_alu instid0(VALU_DEP_2)
	v_cmpx_ne_u32_e32 0x7f, v33
	s_cbranch_execz .LBB296_2439
; %bb.2436:                             ;   in Loop: Header=BB296_2086 Depth=1
	v_and_b32_e32 v22, 7, v2
	v_lshrrev_b32_e32 v23, 3, v33
	s_mov_b32 s24, exec_lo
	v_cmpx_gt_u32_e32 8, v33
; %bb.2437:                             ;   in Loop: Header=BB296_2086 Depth=1
	s_delay_alu instid0(VALU_DEP_3) | instskip(NEXT) | instid1(VALU_DEP_1)
	v_clz_i32_u32_e32 v22, v22
	v_min_u32_e32 v33, 32, v22
	s_delay_alu instid0(VALU_DEP_1) | instskip(NEXT) | instid1(VALU_DEP_1)
	v_subrev_nc_u32_e32 v22, 28, v33
	v_lshlrev_b64_e32 v[22:23], v22, v[2:3]
	v_sub_nc_u32_e32 v23, 29, v33
	s_delay_alu instid0(VALU_DEP_2)
	v_and_b32_e32 v22, 7, v22
; %bb.2438:                             ;   in Loop: Header=BB296_2086 Depth=1
	s_wait_alu 0xfffe
	s_or_b32 exec_lo, exec_lo, s24
	v_lshlrev_b32_e32 v2, 8, v2
	v_lshl_add_u32 v23, v23, 10, 0x2000
	v_lshlrev_b32_e32 v22, 7, v22
	s_delay_alu instid0(VALU_DEP_3) | instskip(NEXT) | instid1(VALU_DEP_3)
	v_and_b32_e32 v2, 0x8000, v2
	v_and_b32_e32 v23, 0xfc00, v23
	s_delay_alu instid0(VALU_DEP_1)
	v_or3_b32 v22, v2, v23, v22
.LBB296_2439:                           ;   in Loop: Header=BB296_2086 Depth=1
	s_wait_alu 0xfffe
	s_or_b32 exec_lo, exec_lo, s23
.LBB296_2440:                           ;   in Loop: Header=BB296_2086 Depth=1
	s_wait_alu 0xfffe
	s_or_b32 exec_lo, exec_lo, s22
.LBB296_2441:                           ;   in Loop: Header=BB296_2086 Depth=1
	s_wait_alu 0xfffe
	s_or_b32 exec_lo, exec_lo, s21
	s_delay_alu instid0(SALU_CYCLE_1)
	s_mov_b32 s21, exec_lo
	v_cmpx_lt_u32_e32 0xffffff, v13
	s_cbranch_execz .LBB296_2449
; %bb.2442:                             ;   in Loop: Header=BB296_2086 Depth=1
	v_lshrrev_b32_e32 v2, 24, v13
	v_bfrev_b32_e32 v19, 1
	s_mov_b32 s22, exec_lo
	s_delay_alu instid0(VALU_DEP_2)
	v_cmpx_ne_u32_e32 0x80, v2
	s_cbranch_execz .LBB296_2448
; %bb.2443:                             ;   in Loop: Header=BB296_2086 Depth=1
	v_and_b32_e32 v33, 0x7f, v2
	v_mov_b32_e32 v19, 0x7c010000
	s_mov_b32 s23, exec_lo
	s_delay_alu instid0(VALU_DEP_2)
	v_cmpx_ne_u32_e32 0x7f, v33
	s_cbranch_execz .LBB296_2447
; %bb.2444:                             ;   in Loop: Header=BB296_2086 Depth=1
	v_and_b32_e32 v19, 7, v2
	v_lshrrev_b32_e32 v23, 3, v33
	s_mov_b32 s24, exec_lo
	v_cmpx_gt_u32_e32 8, v33
; %bb.2445:                             ;   in Loop: Header=BB296_2086 Depth=1
	s_delay_alu instid0(VALU_DEP_3) | instskip(NEXT) | instid1(VALU_DEP_1)
	v_clz_i32_u32_e32 v19, v19
	v_min_u32_e32 v19, 32, v19
	s_delay_alu instid0(VALU_DEP_1) | instskip(NEXT) | instid1(VALU_DEP_1)
	v_subrev_nc_u32_e32 v23, 28, v19
	v_lshlrev_b64_e32 v[33:34], v23, v[2:3]
	v_sub_nc_u32_e32 v23, 29, v19
	s_delay_alu instid0(VALU_DEP_2)
	v_and_b32_e32 v19, 7, v33
; %bb.2446:                             ;   in Loop: Header=BB296_2086 Depth=1
	s_wait_alu 0xfffe
	s_or_b32 exec_lo, exec_lo, s24
	v_lshlrev_b32_e32 v2, 8, v2
	v_lshl_add_u32 v23, v23, 10, 0x2000
	v_lshlrev_b32_e32 v19, 23, v19
	s_delay_alu instid0(VALU_DEP_2) | instskip(NEXT) | instid1(VALU_DEP_1)
	v_and_or_b32 v2, 0x8000, v2, v23
	v_lshl_or_b32 v19, v2, 16, v19
.LBB296_2447:                           ;   in Loop: Header=BB296_2086 Depth=1
	s_wait_alu 0xfffe
	s_or_b32 exec_lo, exec_lo, s23
.LBB296_2448:                           ;   in Loop: Header=BB296_2086 Depth=1
	s_wait_alu 0xfffe
	s_or_b32 exec_lo, exec_lo, s22
.LBB296_2449:                           ;   in Loop: Header=BB296_2086 Depth=1
	s_wait_alu 0xfffe
	s_or_b32 exec_lo, exec_lo, s21
	v_dual_mov_b32 v23, 0 :: v_dual_and_b32 v34, 0xff, v14
	v_dual_mov_b32 v2, v14 :: v_dual_mov_b32 v33, 0
	s_mov_b32 s21, exec_lo
	s_delay_alu instid0(VALU_DEP_2)
	v_cmpx_ne_u16_e32 0, v34
	s_cbranch_execz .LBB296_2457
; %bb.2450:                             ;   in Loop: Header=BB296_2086 Depth=1
	v_mov_b32_e32 v33, 0x8000
	s_mov_b32 s22, exec_lo
	v_cmpx_ne_u16_e32 0x80, v34
	s_cbranch_execz .LBB296_2456
; %bb.2451:                             ;   in Loop: Header=BB296_2086 Depth=1
	v_and_b32_e32 v35, 0x7f, v14
	v_mov_b32_e32 v33, 0x7c01
	s_mov_b32 s23, exec_lo
	s_delay_alu instid0(VALU_DEP_2)
	v_cmpx_ne_u32_e32 0x7f, v35
	s_cbranch_execz .LBB296_2455
; %bb.2452:                             ;   in Loop: Header=BB296_2086 Depth=1
	v_and_b32_e32 v33, 7, v14
	v_lshrrev_b32_e32 v34, 3, v35
	s_mov_b32 s24, exec_lo
	v_cmpx_gt_u32_e32 8, v35
; %bb.2453:                             ;   in Loop: Header=BB296_2086 Depth=1
	s_delay_alu instid0(VALU_DEP_3) | instskip(NEXT) | instid1(VALU_DEP_1)
	v_clz_i32_u32_e32 v33, v33
	v_min_u32_e32 v35, 32, v33
	s_delay_alu instid0(VALU_DEP_1) | instskip(NEXT) | instid1(VALU_DEP_1)
	v_subrev_nc_u32_e32 v33, 28, v35
	v_lshlrev_b64_e32 v[33:34], v33, v[2:3]
	v_sub_nc_u32_e32 v34, 29, v35
	s_delay_alu instid0(VALU_DEP_2)
	v_and_b32_e32 v33, 7, v33
; %bb.2454:                             ;   in Loop: Header=BB296_2086 Depth=1
	s_wait_alu 0xfffe
	s_or_b32 exec_lo, exec_lo, s24
	v_lshlrev_b32_e32 v35, 8, v14
	v_lshl_add_u32 v34, v34, 10, 0x2000
	v_lshlrev_b32_e32 v33, 7, v33
	s_delay_alu instid0(VALU_DEP_3) | instskip(NEXT) | instid1(VALU_DEP_3)
	v_and_b32_e32 v35, 0x8000, v35
	v_and_b32_e32 v34, 0xfc00, v34
	s_delay_alu instid0(VALU_DEP_1)
	v_or3_b32 v33, v35, v34, v33
.LBB296_2455:                           ;   in Loop: Header=BB296_2086 Depth=1
	s_wait_alu 0xfffe
	s_or_b32 exec_lo, exec_lo, s23
.LBB296_2456:                           ;   in Loop: Header=BB296_2086 Depth=1
	s_wait_alu 0xfffe
	s_or_b32 exec_lo, exec_lo, s22
.LBB296_2457:                           ;   in Loop: Header=BB296_2086 Depth=1
	s_wait_alu 0xfffe
	s_or_b32 exec_lo, exec_lo, s21
	v_lshrrev_b16 v2, 8, v2
	v_mov_b32_e32 v34, 0
	s_mov_b32 s21, exec_lo
	s_delay_alu instid0(VALU_DEP_2)
	v_cmpx_ne_u16_e32 0, v2
	s_cbranch_execz .LBB296_2465
; %bb.2458:                             ;   in Loop: Header=BB296_2086 Depth=1
	v_bfrev_b32_e32 v34, 1
	s_mov_b32 s22, exec_lo
	v_cmpx_ne_u16_e32 0x80, v2
	s_cbranch_execz .LBB296_2464
; %bb.2459:                             ;   in Loop: Header=BB296_2086 Depth=1
	v_and_b32_e32 v35, 0xffff, v2
	v_mov_b32_e32 v34, 0x7c010000
	s_mov_b32 s23, exec_lo
	s_delay_alu instid0(VALU_DEP_2) | instskip(NEXT) | instid1(VALU_DEP_1)
	v_and_b32_e32 v38, 0x7f, v35
	v_cmpx_ne_u32_e32 0x7f, v38
	s_cbranch_execz .LBB296_2463
; %bb.2460:                             ;   in Loop: Header=BB296_2086 Depth=1
	v_and_b32_e32 v34, 7, v35
	v_lshrrev_b32_e32 v36, 3, v38
	s_mov_b32 s24, exec_lo
	v_cmpx_gt_u32_e32 8, v38
; %bb.2461:                             ;   in Loop: Header=BB296_2086 Depth=1
	s_delay_alu instid0(VALU_DEP_3) | instskip(NEXT) | instid1(VALU_DEP_1)
	v_clz_i32_u32_e32 v34, v34
	v_min_u32_e32 v34, 32, v34
	s_delay_alu instid0(VALU_DEP_1) | instskip(NEXT) | instid1(VALU_DEP_1)
	v_subrev_nc_u32_e32 v36, 28, v34
	v_lshlrev_b64_e32 v[38:39], v36, v[2:3]
	v_sub_nc_u32_e32 v36, 29, v34
	s_delay_alu instid0(VALU_DEP_2)
	v_and_b32_e32 v34, 7, v38
; %bb.2462:                             ;   in Loop: Header=BB296_2086 Depth=1
	s_wait_alu 0xfffe
	s_or_b32 exec_lo, exec_lo, s24
	v_lshlrev_b32_e32 v2, 8, v35
	v_lshl_add_u32 v35, v36, 10, 0x2000
	v_lshlrev_b32_e32 v34, 23, v34
	s_delay_alu instid0(VALU_DEP_2) | instskip(NEXT) | instid1(VALU_DEP_1)
	v_and_or_b32 v2, 0x8000, v2, v35
	v_lshl_or_b32 v34, v2, 16, v34
.LBB296_2463:                           ;   in Loop: Header=BB296_2086 Depth=1
	s_wait_alu 0xfffe
	s_or_b32 exec_lo, exec_lo, s23
.LBB296_2464:                           ;   in Loop: Header=BB296_2086 Depth=1
	s_wait_alu 0xfffe
	s_or_b32 exec_lo, exec_lo, s22
.LBB296_2465:                           ;   in Loop: Header=BB296_2086 Depth=1
	s_wait_alu 0xfffe
	s_or_b32 exec_lo, exec_lo, s21
	v_lshrrev_b32_e32 v2, 16, v14
	s_mov_b32 s21, exec_lo
	s_delay_alu instid0(VALU_DEP_1) | instskip(NEXT) | instid1(VALU_DEP_1)
	v_and_b32_e32 v35, 0xff, v2
	v_cmpx_ne_u16_e32 0, v35
	s_cbranch_execz .LBB296_2473
; %bb.2466:                             ;   in Loop: Header=BB296_2086 Depth=1
	v_mov_b32_e32 v23, 0x8000
	s_mov_b32 s22, exec_lo
	v_cmpx_ne_u16_e32 0x80, v35
	s_cbranch_execz .LBB296_2472
; %bb.2467:                             ;   in Loop: Header=BB296_2086 Depth=1
	v_bfe_u32 v36, v14, 16, 7
	v_mov_b32_e32 v23, 0x7c01
	s_mov_b32 s23, exec_lo
	s_delay_alu instid0(VALU_DEP_2)
	v_cmpx_ne_u32_e32 0x7f, v36
	s_cbranch_execz .LBB296_2471
; %bb.2468:                             ;   in Loop: Header=BB296_2086 Depth=1
	v_and_b32_e32 v23, 7, v2
	v_lshrrev_b32_e32 v35, 3, v36
	s_mov_b32 s24, exec_lo
	v_cmpx_gt_u32_e32 8, v36
; %bb.2469:                             ;   in Loop: Header=BB296_2086 Depth=1
	s_delay_alu instid0(VALU_DEP_3) | instskip(NEXT) | instid1(VALU_DEP_1)
	v_clz_i32_u32_e32 v23, v23
	v_min_u32_e32 v23, 32, v23
	s_delay_alu instid0(VALU_DEP_1) | instskip(NEXT) | instid1(VALU_DEP_1)
	v_subrev_nc_u32_e32 v35, 28, v23
	v_lshlrev_b64_e32 v[38:39], v35, v[2:3]
	v_sub_nc_u32_e32 v35, 29, v23
	s_delay_alu instid0(VALU_DEP_2)
	v_and_b32_e32 v23, 7, v38
; %bb.2470:                             ;   in Loop: Header=BB296_2086 Depth=1
	s_wait_alu 0xfffe
	s_or_b32 exec_lo, exec_lo, s24
	v_lshlrev_b32_e32 v2, 8, v2
	v_lshl_add_u32 v35, v35, 10, 0x2000
	v_lshlrev_b32_e32 v23, 7, v23
	s_delay_alu instid0(VALU_DEP_3) | instskip(NEXT) | instid1(VALU_DEP_3)
	v_and_b32_e32 v2, 0x8000, v2
	v_and_b32_e32 v35, 0xfc00, v35
	s_delay_alu instid0(VALU_DEP_1)
	v_or3_b32 v23, v2, v35, v23
.LBB296_2471:                           ;   in Loop: Header=BB296_2086 Depth=1
	s_wait_alu 0xfffe
	s_or_b32 exec_lo, exec_lo, s23
.LBB296_2472:                           ;   in Loop: Header=BB296_2086 Depth=1
	s_wait_alu 0xfffe
	s_or_b32 exec_lo, exec_lo, s22
.LBB296_2473:                           ;   in Loop: Header=BB296_2086 Depth=1
	s_wait_alu 0xfffe
	s_or_b32 exec_lo, exec_lo, s21
	v_cmp_lt_u64_e64 s8, s[16:17], v[13:14]
	v_mov_b32_e32 v13, 0
	s_and_saveexec_b32 s21, s8
	s_cbranch_execz .LBB296_2481
; %bb.2474:                             ;   in Loop: Header=BB296_2086 Depth=1
	v_lshrrev_b32_e32 v2, 24, v14
	v_bfrev_b32_e32 v13, 1
	s_mov_b32 s22, exec_lo
	s_delay_alu instid0(VALU_DEP_2)
	v_cmpx_ne_u32_e32 0x80, v2
	s_cbranch_execz .LBB296_2480
; %bb.2475:                             ;   in Loop: Header=BB296_2086 Depth=1
	v_and_b32_e32 v35, 0x7f, v2
	v_mov_b32_e32 v13, 0x7c010000
	s_mov_b32 s23, exec_lo
	s_delay_alu instid0(VALU_DEP_2)
	v_cmpx_ne_u32_e32 0x7f, v35
	s_cbranch_execz .LBB296_2479
; %bb.2476:                             ;   in Loop: Header=BB296_2086 Depth=1
	v_and_b32_e32 v13, 7, v2
	v_lshrrev_b32_e32 v14, 3, v35
	s_mov_b32 s24, exec_lo
	v_cmpx_gt_u32_e32 8, v35
; %bb.2477:                             ;   in Loop: Header=BB296_2086 Depth=1
	s_delay_alu instid0(VALU_DEP_3) | instskip(NEXT) | instid1(VALU_DEP_1)
	v_clz_i32_u32_e32 v13, v13
	v_min_u32_e32 v35, 32, v13
	s_delay_alu instid0(VALU_DEP_1) | instskip(NEXT) | instid1(VALU_DEP_1)
	v_subrev_nc_u32_e32 v13, 28, v35
	v_lshlrev_b64_e32 v[13:14], v13, v[2:3]
	v_sub_nc_u32_e32 v14, 29, v35
	s_delay_alu instid0(VALU_DEP_2)
	v_and_b32_e32 v13, 7, v13
; %bb.2478:                             ;   in Loop: Header=BB296_2086 Depth=1
	s_wait_alu 0xfffe
	s_or_b32 exec_lo, exec_lo, s24
	v_lshlrev_b32_e32 v2, 8, v2
	v_lshl_add_u32 v14, v14, 10, 0x2000
	v_lshlrev_b32_e32 v13, 23, v13
	s_delay_alu instid0(VALU_DEP_2) | instskip(NEXT) | instid1(VALU_DEP_1)
	v_and_or_b32 v2, 0x8000, v2, v14
	v_lshl_or_b32 v13, v2, 16, v13
.LBB296_2479:                           ;   in Loop: Header=BB296_2086 Depth=1
	s_wait_alu 0xfffe
	s_or_b32 exec_lo, exec_lo, s23
.LBB296_2480:                           ;   in Loop: Header=BB296_2086 Depth=1
	s_wait_alu 0xfffe
	s_or_b32 exec_lo, exec_lo, s22
.LBB296_2481:                           ;   in Loop: Header=BB296_2086 Depth=1
	s_wait_alu 0xfffe
	s_or_b32 exec_lo, exec_lo, s21
	v_or_b32_e32 v2, v19, v22
	s_wait_loadcnt_dscnt 0x0
	v_fma_mixlo_f16 v14, v4, v19, 0 op_sel:[0,1,0] op_sel_hi:[0,1,0]
	v_or_b32_e32 v19, v5, v6
	v_or_b32_e32 v22, v34, v33
	v_or_b32_e32 v23, v13, v23
	v_fma_mixlo_f16 v5, v4, v5, 0 op_sel:[0,1,0] op_sel_hi:[0,1,0]
	v_fma_mixlo_f16 v33, v4, v2, 0 op_sel_hi:[0,1,0]
	v_lshlrev_b32_e32 v2, 16, v14
	v_fma_mixlo_f16 v14, v4, v19, 0 op_sel_hi:[0,1,0]
	v_fma_mixlo_f16 v19, v4, v34, 0 op_sel:[0,1,0] op_sel_hi:[0,1,0]
	v_fma_mixlo_f16 v22, v4, v22, 0 op_sel_hi:[0,1,0]
	v_fma_mixlo_f16 v13, v4, v13, 0 op_sel:[0,1,0] op_sel_hi:[0,1,0]
	v_fma_mixlo_f16 v4, v4, v23, 0 op_sel_hi:[0,1,0]
	v_lshlrev_b32_e32 v6, 16, v5
	v_and_b32_e32 v5, 0xffff, v33
	v_and_b32_e32 v35, 0xffff, v14
	v_lshlrev_b32_e32 v23, 16, v19
	v_and_b32_e32 v34, 0xffff, v22
	v_lshlrev_b32_e32 v22, 16, v13
	v_and_b32_e32 v33, 0xffff, v4
	v_or_b32_e32 v4, v2, v5
	v_or_b32_e32 v19, v6, v35
	;; [unrolled: 1-line block ×3, first 2 shown]
	s_delay_alu instid0(VALU_DEP_4)
	v_or_b32_e32 v13, v22, v33
	s_and_saveexec_b32 s8, s0
	s_cbranch_execz .LBB296_2483
; %bb.2482:                             ;   in Loop: Header=BB296_2086 Depth=1
	s_wait_alu 0xfffd
	v_cndmask_b32_e32 v4, 0, v35, vcc_lo
	v_cndmask_b32_e64 v6, 0, v6, s3
	v_cndmask_b32_e64 v5, 0, v5, s1
	;; [unrolled: 1-line block ×7, first 2 shown]
	v_or_b32_e32 v19, v4, v6
	v_or_b32_e32 v4, v5, v2
	;; [unrolled: 1-line block ×3, first 2 shown]
	s_delay_alu instid0(VALU_DEP_4)
	v_or_b32_e32 v13, v23, v22
.LBB296_2483:                           ;   in Loop: Header=BB296_2086 Depth=1
	s_wait_alu 0xfffe
	s_or_b32 exec_lo, exec_lo, s8
	;;#ASMSTART
	v_pk_mul_f16 v2, v115, v19;

	;;#ASMEND
	;;#ASMSTART
	v_pk_mul_f16 v4, v114, v4;

	;;#ASMEND
	;;#ASMSTART
	v_pk_mul_f16 v5, v113, v14;

	;;#ASMEND
	;;#ASMSTART
	v_pk_mul_f16 v6, v112, v13;

	;;#ASMEND
	;;#ASMSTART
	v_pk_add_f16 v2, v2, v4;

	;;#ASMEND
	;;#ASMSTART
	v_pk_add_f16 v2, v2, v5;

	;;#ASMEND
	;; [unrolled: 4-line block ×3, first 2 shown]
	v_dual_mov_b32 v5, 0 :: v_dual_and_b32 v4, 0xffff, v2
	v_lshrrev_b32_e32 v2, 16, v2
	;;#ASMSTART
	v_cvt_f32_f16 v23, v4;
	;;#ASMEND
	;;#ASMSTART
	v_cvt_f32_f16 v84, v2;
	;;#ASMEND
	flat_load_b64 v[13:14], v[11:12] offset:1536
	flat_load_b32 v4, v[26:27]
	v_mov_b32_e32 v6, 0
	s_mov_b32 s21, exec_lo
	s_wait_loadcnt_dscnt 0x101
	v_and_b32_e32 v2, 0xff, v13
	s_delay_alu instid0(VALU_DEP_1)
	v_cmpx_ne_u16_e32 0, v2
	s_cbranch_execz .LBB296_2491
; %bb.2484:                             ;   in Loop: Header=BB296_2086 Depth=1
	v_mov_b32_e32 v6, 0x8000
	s_mov_b32 s22, exec_lo
	v_cmpx_ne_u16_e32 0x80, v2
	s_cbranch_execz .LBB296_2490
; %bb.2485:                             ;   in Loop: Header=BB296_2086 Depth=1
	v_and_b32_e32 v19, 0x7f, v13
	v_mov_b32_e32 v6, 0x7c01
	s_mov_b32 s23, exec_lo
	s_delay_alu instid0(VALU_DEP_2)
	v_cmpx_ne_u32_e32 0x7f, v19
	s_cbranch_execz .LBB296_2489
; %bb.2486:                             ;   in Loop: Header=BB296_2086 Depth=1
	v_and_b32_e32 v2, 7, v13
	v_lshrrev_b32_e32 v6, 3, v19
	s_mov_b32 s24, exec_lo
	v_cmpx_gt_u32_e32 8, v19
; %bb.2487:                             ;   in Loop: Header=BB296_2086 Depth=1
	s_delay_alu instid0(VALU_DEP_3) | instskip(NEXT) | instid1(VALU_DEP_1)
	v_clz_i32_u32_e32 v2, v2
	v_min_u32_e32 v2, 32, v2
	s_delay_alu instid0(VALU_DEP_1) | instskip(NEXT) | instid1(VALU_DEP_1)
	v_subrev_nc_u32_e32 v6, 28, v2
	v_lshlrev_b64_e32 v[33:34], v6, v[13:14]
	v_sub_nc_u32_e32 v6, 29, v2
	s_delay_alu instid0(VALU_DEP_2)
	v_and_b32_e32 v2, 7, v33
; %bb.2488:                             ;   in Loop: Header=BB296_2086 Depth=1
	s_wait_alu 0xfffe
	s_or_b32 exec_lo, exec_lo, s24
	v_lshlrev_b32_e32 v19, 8, v13
	v_lshl_add_u32 v6, v6, 10, 0x2000
	v_lshlrev_b32_e32 v2, 7, v2
	s_delay_alu instid0(VALU_DEP_3) | instskip(NEXT) | instid1(VALU_DEP_3)
	v_and_b32_e32 v19, 0x8000, v19
	v_and_b32_e32 v6, 0xfc00, v6
	s_delay_alu instid0(VALU_DEP_1)
	v_or3_b32 v6, v19, v6, v2
.LBB296_2489:                           ;   in Loop: Header=BB296_2086 Depth=1
	s_wait_alu 0xfffe
	s_or_b32 exec_lo, exec_lo, s23
.LBB296_2490:                           ;   in Loop: Header=BB296_2086 Depth=1
	s_wait_alu 0xfffe
	s_or_b32 exec_lo, exec_lo, s22
.LBB296_2491:                           ;   in Loop: Header=BB296_2086 Depth=1
	s_wait_alu 0xfffe
	s_or_b32 exec_lo, exec_lo, s21
	v_lshrrev_b16 v2, 8, v13
	s_mov_b32 s21, exec_lo
	s_delay_alu instid0(VALU_DEP_1)
	v_cmpx_ne_u16_e32 0, v2
	s_cbranch_execz .LBB296_2499
; %bb.2492:                             ;   in Loop: Header=BB296_2086 Depth=1
	v_bfrev_b32_e32 v5, 1
	s_mov_b32 s22, exec_lo
	v_cmpx_ne_u16_e32 0x80, v2
	s_cbranch_execz .LBB296_2498
; %bb.2493:                             ;   in Loop: Header=BB296_2086 Depth=1
	v_and_b32_e32 v19, 0xffff, v2
	v_mov_b32_e32 v5, 0x7c010000
	s_mov_b32 s23, exec_lo
	s_delay_alu instid0(VALU_DEP_2) | instskip(NEXT) | instid1(VALU_DEP_1)
	v_and_b32_e32 v33, 0x7f, v19
	v_cmpx_ne_u32_e32 0x7f, v33
	s_cbranch_execz .LBB296_2497
; %bb.2494:                             ;   in Loop: Header=BB296_2086 Depth=1
	v_and_b32_e32 v5, 7, v19
	v_lshrrev_b32_e32 v22, 3, v33
	s_mov_b32 s24, exec_lo
	v_cmpx_gt_u32_e32 8, v33
; %bb.2495:                             ;   in Loop: Header=BB296_2086 Depth=1
	s_delay_alu instid0(VALU_DEP_3) | instskip(NEXT) | instid1(VALU_DEP_1)
	v_clz_i32_u32_e32 v5, v5
	v_min_u32_e32 v5, 32, v5
	s_delay_alu instid0(VALU_DEP_1) | instskip(NEXT) | instid1(VALU_DEP_1)
	v_subrev_nc_u32_e32 v22, 28, v5
	v_lshlrev_b64_e32 v[33:34], v22, v[2:3]
	v_sub_nc_u32_e32 v22, 29, v5
	s_delay_alu instid0(VALU_DEP_2)
	v_and_b32_e32 v5, 7, v33
; %bb.2496:                             ;   in Loop: Header=BB296_2086 Depth=1
	s_wait_alu 0xfffe
	s_or_b32 exec_lo, exec_lo, s24
	v_lshlrev_b32_e32 v2, 8, v19
	v_lshl_add_u32 v19, v22, 10, 0x2000
	v_lshlrev_b32_e32 v5, 23, v5
	s_delay_alu instid0(VALU_DEP_2) | instskip(NEXT) | instid1(VALU_DEP_1)
	v_and_or_b32 v2, 0x8000, v2, v19
	v_lshl_or_b32 v5, v2, 16, v5
.LBB296_2497:                           ;   in Loop: Header=BB296_2086 Depth=1
	s_wait_alu 0xfffe
	s_or_b32 exec_lo, exec_lo, s23
.LBB296_2498:                           ;   in Loop: Header=BB296_2086 Depth=1
	s_wait_alu 0xfffe
	s_or_b32 exec_lo, exec_lo, s22
.LBB296_2499:                           ;   in Loop: Header=BB296_2086 Depth=1
	s_wait_alu 0xfffe
	s_or_b32 exec_lo, exec_lo, s21
	v_lshrrev_b32_e32 v2, 16, v13
	v_mov_b32_e32 v19, 0
	s_mov_b32 s21, exec_lo
	s_delay_alu instid0(VALU_DEP_2) | instskip(NEXT) | instid1(VALU_DEP_1)
	v_dual_mov_b32 v22, 0 :: v_dual_and_b32 v33, 0xff, v2
	v_cmpx_ne_u16_e32 0, v33
	s_cbranch_execz .LBB296_2507
; %bb.2500:                             ;   in Loop: Header=BB296_2086 Depth=1
	v_mov_b32_e32 v22, 0x8000
	s_mov_b32 s22, exec_lo
	v_cmpx_ne_u16_e32 0x80, v33
	s_cbranch_execz .LBB296_2506
; %bb.2501:                             ;   in Loop: Header=BB296_2086 Depth=1
	v_bfe_u32 v34, v13, 16, 7
	v_mov_b32_e32 v22, 0x7c01
	s_mov_b32 s23, exec_lo
	s_delay_alu instid0(VALU_DEP_2)
	v_cmpx_ne_u32_e32 0x7f, v34
	s_cbranch_execz .LBB296_2505
; %bb.2502:                             ;   in Loop: Header=BB296_2086 Depth=1
	v_and_b32_e32 v22, 7, v2
	v_lshrrev_b32_e32 v33, 3, v34
	s_mov_b32 s24, exec_lo
	v_cmpx_gt_u32_e32 8, v34
; %bb.2503:                             ;   in Loop: Header=BB296_2086 Depth=1
	s_delay_alu instid0(VALU_DEP_3) | instskip(NEXT) | instid1(VALU_DEP_1)
	v_clz_i32_u32_e32 v22, v22
	v_min_u32_e32 v22, 32, v22
	s_delay_alu instid0(VALU_DEP_1) | instskip(NEXT) | instid1(VALU_DEP_1)
	v_subrev_nc_u32_e32 v33, 28, v22
	v_lshlrev_b64_e32 v[34:35], v33, v[2:3]
	v_sub_nc_u32_e32 v33, 29, v22
	s_delay_alu instid0(VALU_DEP_2)
	v_and_b32_e32 v22, 7, v34
; %bb.2504:                             ;   in Loop: Header=BB296_2086 Depth=1
	s_wait_alu 0xfffe
	s_or_b32 exec_lo, exec_lo, s24
	v_lshlrev_b32_e32 v2, 8, v2
	v_lshl_add_u32 v33, v33, 10, 0x2000
	v_lshlrev_b32_e32 v22, 7, v22
	s_delay_alu instid0(VALU_DEP_3) | instskip(NEXT) | instid1(VALU_DEP_3)
	v_and_b32_e32 v2, 0x8000, v2
	v_and_b32_e32 v33, 0xfc00, v33
	s_delay_alu instid0(VALU_DEP_1)
	v_or3_b32 v22, v2, v33, v22
.LBB296_2505:                           ;   in Loop: Header=BB296_2086 Depth=1
	s_wait_alu 0xfffe
	s_or_b32 exec_lo, exec_lo, s23
.LBB296_2506:                           ;   in Loop: Header=BB296_2086 Depth=1
	s_wait_alu 0xfffe
	s_or_b32 exec_lo, exec_lo, s22
.LBB296_2507:                           ;   in Loop: Header=BB296_2086 Depth=1
	s_wait_alu 0xfffe
	s_or_b32 exec_lo, exec_lo, s21
	s_delay_alu instid0(SALU_CYCLE_1)
	s_mov_b32 s21, exec_lo
	v_cmpx_lt_u32_e32 0xffffff, v13
	s_cbranch_execz .LBB296_2515
; %bb.2508:                             ;   in Loop: Header=BB296_2086 Depth=1
	v_lshrrev_b32_e32 v2, 24, v13
	v_bfrev_b32_e32 v19, 1
	s_mov_b32 s22, exec_lo
	s_delay_alu instid0(VALU_DEP_2)
	v_cmpx_ne_u32_e32 0x80, v2
	s_cbranch_execz .LBB296_2514
; %bb.2509:                             ;   in Loop: Header=BB296_2086 Depth=1
	v_and_b32_e32 v34, 0x7f, v2
	v_mov_b32_e32 v19, 0x7c010000
	s_mov_b32 s23, exec_lo
	s_delay_alu instid0(VALU_DEP_2)
	v_cmpx_ne_u32_e32 0x7f, v34
	s_cbranch_execz .LBB296_2513
; %bb.2510:                             ;   in Loop: Header=BB296_2086 Depth=1
	v_and_b32_e32 v19, 7, v2
	v_lshrrev_b32_e32 v33, 3, v34
	s_mov_b32 s24, exec_lo
	v_cmpx_gt_u32_e32 8, v34
; %bb.2511:                             ;   in Loop: Header=BB296_2086 Depth=1
	s_delay_alu instid0(VALU_DEP_3) | instskip(NEXT) | instid1(VALU_DEP_1)
	v_clz_i32_u32_e32 v19, v19
	v_min_u32_e32 v19, 32, v19
	s_delay_alu instid0(VALU_DEP_1) | instskip(NEXT) | instid1(VALU_DEP_1)
	v_subrev_nc_u32_e32 v33, 28, v19
	v_lshlrev_b64_e32 v[34:35], v33, v[2:3]
	v_sub_nc_u32_e32 v33, 29, v19
	s_delay_alu instid0(VALU_DEP_2)
	v_and_b32_e32 v19, 7, v34
; %bb.2512:                             ;   in Loop: Header=BB296_2086 Depth=1
	s_wait_alu 0xfffe
	s_or_b32 exec_lo, exec_lo, s24
	v_lshlrev_b32_e32 v2, 8, v2
	v_lshl_add_u32 v33, v33, 10, 0x2000
	v_lshlrev_b32_e32 v19, 23, v19
	s_delay_alu instid0(VALU_DEP_2) | instskip(NEXT) | instid1(VALU_DEP_1)
	v_and_or_b32 v2, 0x8000, v2, v33
	v_lshl_or_b32 v19, v2, 16, v19
.LBB296_2513:                           ;   in Loop: Header=BB296_2086 Depth=1
	s_wait_alu 0xfffe
	s_or_b32 exec_lo, exec_lo, s23
.LBB296_2514:                           ;   in Loop: Header=BB296_2086 Depth=1
	s_wait_alu 0xfffe
	s_or_b32 exec_lo, exec_lo, s22
.LBB296_2515:                           ;   in Loop: Header=BB296_2086 Depth=1
	s_wait_alu 0xfffe
	s_or_b32 exec_lo, exec_lo, s21
	v_dual_mov_b32 v2, v14 :: v_dual_and_b32 v35, 0xff, v14
	v_dual_mov_b32 v33, 0 :: v_dual_mov_b32 v34, 0
	s_mov_b32 s21, exec_lo
	s_delay_alu instid0(VALU_DEP_2)
	v_cmpx_ne_u16_e32 0, v35
	s_cbranch_execz .LBB296_2523
; %bb.2516:                             ;   in Loop: Header=BB296_2086 Depth=1
	v_mov_b32_e32 v34, 0x8000
	s_mov_b32 s22, exec_lo
	v_cmpx_ne_u16_e32 0x80, v35
	s_cbranch_execz .LBB296_2522
; %bb.2517:                             ;   in Loop: Header=BB296_2086 Depth=1
	v_and_b32_e32 v36, 0x7f, v14
	v_mov_b32_e32 v34, 0x7c01
	s_mov_b32 s23, exec_lo
	s_delay_alu instid0(VALU_DEP_2)
	v_cmpx_ne_u32_e32 0x7f, v36
	s_cbranch_execz .LBB296_2521
; %bb.2518:                             ;   in Loop: Header=BB296_2086 Depth=1
	v_and_b32_e32 v34, 7, v14
	v_lshrrev_b32_e32 v35, 3, v36
	s_mov_b32 s24, exec_lo
	v_cmpx_gt_u32_e32 8, v36
; %bb.2519:                             ;   in Loop: Header=BB296_2086 Depth=1
	s_delay_alu instid0(VALU_DEP_3) | instskip(NEXT) | instid1(VALU_DEP_1)
	v_clz_i32_u32_e32 v34, v34
	v_min_u32_e32 v36, 32, v34
	s_delay_alu instid0(VALU_DEP_1) | instskip(NEXT) | instid1(VALU_DEP_1)
	v_subrev_nc_u32_e32 v34, 28, v36
	v_lshlrev_b64_e32 v[34:35], v34, v[2:3]
	v_sub_nc_u32_e32 v35, 29, v36
	s_delay_alu instid0(VALU_DEP_2)
	v_and_b32_e32 v34, 7, v34
; %bb.2520:                             ;   in Loop: Header=BB296_2086 Depth=1
	s_wait_alu 0xfffe
	s_or_b32 exec_lo, exec_lo, s24
	v_lshlrev_b32_e32 v36, 8, v14
	v_lshl_add_u32 v35, v35, 10, 0x2000
	v_lshlrev_b32_e32 v34, 7, v34
	s_delay_alu instid0(VALU_DEP_3) | instskip(NEXT) | instid1(VALU_DEP_3)
	v_and_b32_e32 v36, 0x8000, v36
	v_and_b32_e32 v35, 0xfc00, v35
	s_delay_alu instid0(VALU_DEP_1)
	v_or3_b32 v34, v36, v35, v34
.LBB296_2521:                           ;   in Loop: Header=BB296_2086 Depth=1
	s_wait_alu 0xfffe
	s_or_b32 exec_lo, exec_lo, s23
.LBB296_2522:                           ;   in Loop: Header=BB296_2086 Depth=1
	s_wait_alu 0xfffe
	s_or_b32 exec_lo, exec_lo, s22
.LBB296_2523:                           ;   in Loop: Header=BB296_2086 Depth=1
	s_wait_alu 0xfffe
	s_or_b32 exec_lo, exec_lo, s21
	v_lshrrev_b16 v2, 8, v2
	v_mov_b32_e32 v35, 0
	s_mov_b32 s21, exec_lo
	s_delay_alu instid0(VALU_DEP_2)
	v_cmpx_ne_u16_e32 0, v2
	s_cbranch_execz .LBB296_2531
; %bb.2524:                             ;   in Loop: Header=BB296_2086 Depth=1
	v_bfrev_b32_e32 v35, 1
	s_mov_b32 s22, exec_lo
	v_cmpx_ne_u16_e32 0x80, v2
	s_cbranch_execz .LBB296_2530
; %bb.2525:                             ;   in Loop: Header=BB296_2086 Depth=1
	v_and_b32_e32 v36, 0xffff, v2
	v_mov_b32_e32 v35, 0x7c010000
	s_mov_b32 s23, exec_lo
	s_delay_alu instid0(VALU_DEP_2) | instskip(NEXT) | instid1(VALU_DEP_1)
	v_and_b32_e32 v39, 0x7f, v36
	v_cmpx_ne_u32_e32 0x7f, v39
	s_cbranch_execz .LBB296_2529
; %bb.2526:                             ;   in Loop: Header=BB296_2086 Depth=1
	v_and_b32_e32 v35, 7, v36
	v_lshrrev_b32_e32 v38, 3, v39
	s_mov_b32 s24, exec_lo
	v_cmpx_gt_u32_e32 8, v39
; %bb.2527:                             ;   in Loop: Header=BB296_2086 Depth=1
	s_delay_alu instid0(VALU_DEP_3) | instskip(NEXT) | instid1(VALU_DEP_1)
	v_clz_i32_u32_e32 v35, v35
	v_min_u32_e32 v35, 32, v35
	s_delay_alu instid0(VALU_DEP_1) | instskip(NEXT) | instid1(VALU_DEP_1)
	v_subrev_nc_u32_e32 v38, 28, v35
	v_lshlrev_b64_e32 v[49:50], v38, v[2:3]
	v_sub_nc_u32_e32 v38, 29, v35
	s_delay_alu instid0(VALU_DEP_2)
	v_and_b32_e32 v35, 7, v49
; %bb.2528:                             ;   in Loop: Header=BB296_2086 Depth=1
	s_wait_alu 0xfffe
	s_or_b32 exec_lo, exec_lo, s24
	v_lshlrev_b32_e32 v2, 8, v36
	v_lshl_add_u32 v36, v38, 10, 0x2000
	v_lshlrev_b32_e32 v35, 23, v35
	s_delay_alu instid0(VALU_DEP_2) | instskip(NEXT) | instid1(VALU_DEP_1)
	v_and_or_b32 v2, 0x8000, v2, v36
	v_lshl_or_b32 v35, v2, 16, v35
.LBB296_2529:                           ;   in Loop: Header=BB296_2086 Depth=1
	s_wait_alu 0xfffe
	s_or_b32 exec_lo, exec_lo, s23
.LBB296_2530:                           ;   in Loop: Header=BB296_2086 Depth=1
	s_wait_alu 0xfffe
	s_or_b32 exec_lo, exec_lo, s22
.LBB296_2531:                           ;   in Loop: Header=BB296_2086 Depth=1
	s_wait_alu 0xfffe
	s_or_b32 exec_lo, exec_lo, s21
	v_lshrrev_b32_e32 v2, 16, v14
	s_mov_b32 s21, exec_lo
	s_delay_alu instid0(VALU_DEP_1) | instskip(NEXT) | instid1(VALU_DEP_1)
	v_and_b32_e32 v36, 0xff, v2
	v_cmpx_ne_u16_e32 0, v36
	s_cbranch_execz .LBB296_2539
; %bb.2532:                             ;   in Loop: Header=BB296_2086 Depth=1
	v_mov_b32_e32 v33, 0x8000
	s_mov_b32 s22, exec_lo
	v_cmpx_ne_u16_e32 0x80, v36
	s_cbranch_execz .LBB296_2538
; %bb.2533:                             ;   in Loop: Header=BB296_2086 Depth=1
	v_bfe_u32 v38, v14, 16, 7
	v_mov_b32_e32 v33, 0x7c01
	s_mov_b32 s23, exec_lo
	s_delay_alu instid0(VALU_DEP_2)
	v_cmpx_ne_u32_e32 0x7f, v38
	s_cbranch_execz .LBB296_2537
; %bb.2534:                             ;   in Loop: Header=BB296_2086 Depth=1
	v_and_b32_e32 v33, 7, v2
	v_lshrrev_b32_e32 v36, 3, v38
	s_mov_b32 s24, exec_lo
	v_cmpx_gt_u32_e32 8, v38
; %bb.2535:                             ;   in Loop: Header=BB296_2086 Depth=1
	s_delay_alu instid0(VALU_DEP_3) | instskip(NEXT) | instid1(VALU_DEP_1)
	v_clz_i32_u32_e32 v33, v33
	v_min_u32_e32 v33, 32, v33
	s_delay_alu instid0(VALU_DEP_1) | instskip(NEXT) | instid1(VALU_DEP_1)
	v_subrev_nc_u32_e32 v36, 28, v33
	v_lshlrev_b64_e32 v[38:39], v36, v[2:3]
	v_sub_nc_u32_e32 v36, 29, v33
	s_delay_alu instid0(VALU_DEP_2)
	v_and_b32_e32 v33, 7, v38
; %bb.2536:                             ;   in Loop: Header=BB296_2086 Depth=1
	s_wait_alu 0xfffe
	s_or_b32 exec_lo, exec_lo, s24
	v_lshlrev_b32_e32 v2, 8, v2
	v_lshl_add_u32 v36, v36, 10, 0x2000
	v_lshlrev_b32_e32 v33, 7, v33
	s_delay_alu instid0(VALU_DEP_3) | instskip(NEXT) | instid1(VALU_DEP_3)
	v_and_b32_e32 v2, 0x8000, v2
	v_and_b32_e32 v36, 0xfc00, v36
	s_delay_alu instid0(VALU_DEP_1)
	v_or3_b32 v33, v2, v36, v33
.LBB296_2537:                           ;   in Loop: Header=BB296_2086 Depth=1
	s_wait_alu 0xfffe
	s_or_b32 exec_lo, exec_lo, s23
.LBB296_2538:                           ;   in Loop: Header=BB296_2086 Depth=1
	s_wait_alu 0xfffe
	s_or_b32 exec_lo, exec_lo, s22
.LBB296_2539:                           ;   in Loop: Header=BB296_2086 Depth=1
	s_wait_alu 0xfffe
	s_or_b32 exec_lo, exec_lo, s21
	v_cmp_lt_u64_e64 s8, s[16:17], v[13:14]
	v_mov_b32_e32 v13, 0
	s_and_saveexec_b32 s21, s8
	s_cbranch_execz .LBB296_2547
; %bb.2540:                             ;   in Loop: Header=BB296_2086 Depth=1
	v_lshrrev_b32_e32 v2, 24, v14
	v_bfrev_b32_e32 v13, 1
	s_mov_b32 s22, exec_lo
	s_delay_alu instid0(VALU_DEP_2)
	v_cmpx_ne_u32_e32 0x80, v2
	s_cbranch_execz .LBB296_2546
; %bb.2541:                             ;   in Loop: Header=BB296_2086 Depth=1
	v_and_b32_e32 v36, 0x7f, v2
	v_mov_b32_e32 v13, 0x7c010000
	s_mov_b32 s23, exec_lo
	s_delay_alu instid0(VALU_DEP_2)
	v_cmpx_ne_u32_e32 0x7f, v36
	s_cbranch_execz .LBB296_2545
; %bb.2542:                             ;   in Loop: Header=BB296_2086 Depth=1
	v_and_b32_e32 v13, 7, v2
	v_lshrrev_b32_e32 v14, 3, v36
	s_mov_b32 s24, exec_lo
	v_cmpx_gt_u32_e32 8, v36
; %bb.2543:                             ;   in Loop: Header=BB296_2086 Depth=1
	s_delay_alu instid0(VALU_DEP_3) | instskip(NEXT) | instid1(VALU_DEP_1)
	v_clz_i32_u32_e32 v13, v13
	v_min_u32_e32 v36, 32, v13
	s_delay_alu instid0(VALU_DEP_1) | instskip(NEXT) | instid1(VALU_DEP_1)
	v_subrev_nc_u32_e32 v13, 28, v36
	v_lshlrev_b64_e32 v[13:14], v13, v[2:3]
	v_sub_nc_u32_e32 v14, 29, v36
	s_delay_alu instid0(VALU_DEP_2)
	v_and_b32_e32 v13, 7, v13
; %bb.2544:                             ;   in Loop: Header=BB296_2086 Depth=1
	s_wait_alu 0xfffe
	s_or_b32 exec_lo, exec_lo, s24
	v_lshlrev_b32_e32 v2, 8, v2
	v_lshl_add_u32 v14, v14, 10, 0x2000
	v_lshlrev_b32_e32 v13, 23, v13
	s_delay_alu instid0(VALU_DEP_2) | instskip(NEXT) | instid1(VALU_DEP_1)
	v_and_or_b32 v2, 0x8000, v2, v14
	v_lshl_or_b32 v13, v2, 16, v13
.LBB296_2545:                           ;   in Loop: Header=BB296_2086 Depth=1
	s_wait_alu 0xfffe
	s_or_b32 exec_lo, exec_lo, s23
.LBB296_2546:                           ;   in Loop: Header=BB296_2086 Depth=1
	s_wait_alu 0xfffe
	s_or_b32 exec_lo, exec_lo, s22
.LBB296_2547:                           ;   in Loop: Header=BB296_2086 Depth=1
	s_wait_alu 0xfffe
	s_or_b32 exec_lo, exec_lo, s21
	v_or_b32_e32 v2, v19, v22
	s_wait_loadcnt_dscnt 0x0
	v_fma_mixlo_f16 v14, v4, v19, 0 op_sel:[0,1,0] op_sel_hi:[0,1,0]
	v_or_b32_e32 v19, v5, v6
	v_or_b32_e32 v22, v35, v34
	;; [unrolled: 1-line block ×3, first 2 shown]
	v_fma_mixlo_f16 v5, v4, v5, 0 op_sel:[0,1,0] op_sel_hi:[0,1,0]
	v_fma_mixlo_f16 v34, v4, v2, 0 op_sel_hi:[0,1,0]
	v_lshlrev_b32_e32 v2, 16, v14
	v_fma_mixlo_f16 v14, v4, v19, 0 op_sel_hi:[0,1,0]
	v_fma_mixlo_f16 v19, v4, v35, 0 op_sel:[0,1,0] op_sel_hi:[0,1,0]
	v_fma_mixlo_f16 v22, v4, v22, 0 op_sel_hi:[0,1,0]
	v_fma_mixlo_f16 v13, v4, v13, 0 op_sel:[0,1,0] op_sel_hi:[0,1,0]
	v_fma_mixlo_f16 v4, v4, v33, 0 op_sel_hi:[0,1,0]
	v_lshlrev_b32_e32 v6, 16, v5
	v_and_b32_e32 v5, 0xffff, v34
	v_and_b32_e32 v36, 0xffff, v14
	v_lshlrev_b32_e32 v33, 16, v19
	v_and_b32_e32 v35, 0xffff, v22
	v_lshlrev_b32_e32 v22, 16, v13
	v_and_b32_e32 v34, 0xffff, v4
	v_or_b32_e32 v4, v2, v5
	v_or_b32_e32 v19, v6, v36
	;; [unrolled: 1-line block ×3, first 2 shown]
	s_delay_alu instid0(VALU_DEP_4)
	v_or_b32_e32 v13, v22, v34
	s_and_saveexec_b32 s8, s0
	s_cbranch_execz .LBB296_2549
; %bb.2548:                             ;   in Loop: Header=BB296_2086 Depth=1
	s_wait_alu 0xfffd
	v_cndmask_b32_e32 v4, 0, v36, vcc_lo
	v_cndmask_b32_e64 v6, 0, v6, s3
	v_cndmask_b32_e64 v5, 0, v5, s1
	v_cndmask_b32_e64 v2, 0, v2, s2
	v_cndmask_b32_e64 v13, 0, v35, s4
	v_cndmask_b32_e64 v14, 0, v33, s5
	v_cndmask_b32_e64 v33, 0, v34, s6
	v_cndmask_b32_e64 v22, 0, v22, s7
	v_or_b32_e32 v19, v4, v6
	v_or_b32_e32 v4, v5, v2
	;; [unrolled: 1-line block ×3, first 2 shown]
	s_delay_alu instid0(VALU_DEP_4)
	v_or_b32_e32 v13, v33, v22
.LBB296_2549:                           ;   in Loop: Header=BB296_2086 Depth=1
	s_wait_alu 0xfffe
	s_or_b32 exec_lo, exec_lo, s8
	;;#ASMSTART
	v_pk_mul_f16 v2, v115, v19;

	;;#ASMEND
	;;#ASMSTART
	v_pk_mul_f16 v4, v114, v4;

	;;#ASMEND
	;; [unrolled: 4-line block ×4, first 2 shown]
	;;#ASMSTART
	v_pk_add_f16 v2, v2, v4;

	;;#ASMEND
	;;#ASMSTART
	v_pk_add_f16 v2, v2, v5;

	;;#ASMEND
	;; [unrolled: 4-line block ×3, first 2 shown]
	v_dual_mov_b32 v5, 0 :: v_dual_and_b32 v4, 0xffff, v2
	v_lshrrev_b32_e32 v2, 16, v2
	;;#ASMSTART
	v_cvt_f32_f16 v132, v4;
	;;#ASMEND
	;;#ASMSTART
	v_cvt_f32_f16 v134, v2;
	;;#ASMEND
	flat_load_b64 v[13:14], v[11:12] offset:1792
	flat_load_b32 v4, v[26:27]
	v_mov_b32_e32 v6, 0
	s_mov_b32 s21, exec_lo
	s_wait_loadcnt_dscnt 0x101
	v_and_b32_e32 v2, 0xff, v13
	s_delay_alu instid0(VALU_DEP_1)
	v_cmpx_ne_u16_e32 0, v2
	s_cbranch_execz .LBB296_2557
; %bb.2550:                             ;   in Loop: Header=BB296_2086 Depth=1
	v_mov_b32_e32 v6, 0x8000
	s_mov_b32 s22, exec_lo
	v_cmpx_ne_u16_e32 0x80, v2
	s_cbranch_execz .LBB296_2556
; %bb.2551:                             ;   in Loop: Header=BB296_2086 Depth=1
	v_and_b32_e32 v19, 0x7f, v13
	v_mov_b32_e32 v6, 0x7c01
	s_mov_b32 s23, exec_lo
	s_delay_alu instid0(VALU_DEP_2)
	v_cmpx_ne_u32_e32 0x7f, v19
	s_cbranch_execz .LBB296_2555
; %bb.2552:                             ;   in Loop: Header=BB296_2086 Depth=1
	v_and_b32_e32 v2, 7, v13
	v_lshrrev_b32_e32 v6, 3, v19
	s_mov_b32 s24, exec_lo
	v_cmpx_gt_u32_e32 8, v19
; %bb.2553:                             ;   in Loop: Header=BB296_2086 Depth=1
	s_delay_alu instid0(VALU_DEP_3) | instskip(NEXT) | instid1(VALU_DEP_1)
	v_clz_i32_u32_e32 v2, v2
	v_min_u32_e32 v2, 32, v2
	s_delay_alu instid0(VALU_DEP_1) | instskip(NEXT) | instid1(VALU_DEP_1)
	v_subrev_nc_u32_e32 v6, 28, v2
	v_lshlrev_b64_e32 v[33:34], v6, v[13:14]
	v_sub_nc_u32_e32 v6, 29, v2
	s_delay_alu instid0(VALU_DEP_2)
	v_and_b32_e32 v2, 7, v33
; %bb.2554:                             ;   in Loop: Header=BB296_2086 Depth=1
	s_wait_alu 0xfffe
	s_or_b32 exec_lo, exec_lo, s24
	v_lshlrev_b32_e32 v19, 8, v13
	v_lshl_add_u32 v6, v6, 10, 0x2000
	v_lshlrev_b32_e32 v2, 7, v2
	s_delay_alu instid0(VALU_DEP_3) | instskip(NEXT) | instid1(VALU_DEP_3)
	v_and_b32_e32 v19, 0x8000, v19
	v_and_b32_e32 v6, 0xfc00, v6
	s_delay_alu instid0(VALU_DEP_1)
	v_or3_b32 v6, v19, v6, v2
.LBB296_2555:                           ;   in Loop: Header=BB296_2086 Depth=1
	s_wait_alu 0xfffe
	s_or_b32 exec_lo, exec_lo, s23
.LBB296_2556:                           ;   in Loop: Header=BB296_2086 Depth=1
	s_wait_alu 0xfffe
	s_or_b32 exec_lo, exec_lo, s22
.LBB296_2557:                           ;   in Loop: Header=BB296_2086 Depth=1
	s_wait_alu 0xfffe
	s_or_b32 exec_lo, exec_lo, s21
	v_lshrrev_b16 v2, 8, v13
	s_mov_b32 s21, exec_lo
	s_delay_alu instid0(VALU_DEP_1)
	v_cmpx_ne_u16_e32 0, v2
	s_cbranch_execz .LBB296_2565
; %bb.2558:                             ;   in Loop: Header=BB296_2086 Depth=1
	v_bfrev_b32_e32 v5, 1
	s_mov_b32 s22, exec_lo
	v_cmpx_ne_u16_e32 0x80, v2
	s_cbranch_execz .LBB296_2564
; %bb.2559:                             ;   in Loop: Header=BB296_2086 Depth=1
	v_and_b32_e32 v19, 0xffff, v2
	v_mov_b32_e32 v5, 0x7c010000
	s_mov_b32 s23, exec_lo
	s_delay_alu instid0(VALU_DEP_2) | instskip(NEXT) | instid1(VALU_DEP_1)
	v_and_b32_e32 v33, 0x7f, v19
	v_cmpx_ne_u32_e32 0x7f, v33
	s_cbranch_execz .LBB296_2563
; %bb.2560:                             ;   in Loop: Header=BB296_2086 Depth=1
	v_and_b32_e32 v5, 7, v19
	v_lshrrev_b32_e32 v22, 3, v33
	s_mov_b32 s24, exec_lo
	v_cmpx_gt_u32_e32 8, v33
; %bb.2561:                             ;   in Loop: Header=BB296_2086 Depth=1
	s_delay_alu instid0(VALU_DEP_3) | instskip(NEXT) | instid1(VALU_DEP_1)
	v_clz_i32_u32_e32 v5, v5
	v_min_u32_e32 v5, 32, v5
	s_delay_alu instid0(VALU_DEP_1) | instskip(NEXT) | instid1(VALU_DEP_1)
	v_subrev_nc_u32_e32 v22, 28, v5
	v_lshlrev_b64_e32 v[33:34], v22, v[2:3]
	v_sub_nc_u32_e32 v22, 29, v5
	s_delay_alu instid0(VALU_DEP_2)
	v_and_b32_e32 v5, 7, v33
; %bb.2562:                             ;   in Loop: Header=BB296_2086 Depth=1
	s_wait_alu 0xfffe
	s_or_b32 exec_lo, exec_lo, s24
	v_lshlrev_b32_e32 v2, 8, v19
	v_lshl_add_u32 v19, v22, 10, 0x2000
	v_lshlrev_b32_e32 v5, 23, v5
	s_delay_alu instid0(VALU_DEP_2) | instskip(NEXT) | instid1(VALU_DEP_1)
	v_and_or_b32 v2, 0x8000, v2, v19
	v_lshl_or_b32 v5, v2, 16, v5
.LBB296_2563:                           ;   in Loop: Header=BB296_2086 Depth=1
	s_wait_alu 0xfffe
	s_or_b32 exec_lo, exec_lo, s23
.LBB296_2564:                           ;   in Loop: Header=BB296_2086 Depth=1
	s_wait_alu 0xfffe
	s_or_b32 exec_lo, exec_lo, s22
.LBB296_2565:                           ;   in Loop: Header=BB296_2086 Depth=1
	s_wait_alu 0xfffe
	s_or_b32 exec_lo, exec_lo, s21
	v_lshrrev_b32_e32 v2, 16, v13
	v_mov_b32_e32 v19, 0
	s_mov_b32 s21, exec_lo
	s_delay_alu instid0(VALU_DEP_2) | instskip(NEXT) | instid1(VALU_DEP_1)
	v_dual_mov_b32 v22, 0 :: v_dual_and_b32 v33, 0xff, v2
	v_cmpx_ne_u16_e32 0, v33
	s_cbranch_execz .LBB296_2573
; %bb.2566:                             ;   in Loop: Header=BB296_2086 Depth=1
	v_mov_b32_e32 v22, 0x8000
	s_mov_b32 s22, exec_lo
	v_cmpx_ne_u16_e32 0x80, v33
	s_cbranch_execz .LBB296_2572
; %bb.2567:                             ;   in Loop: Header=BB296_2086 Depth=1
	v_bfe_u32 v34, v13, 16, 7
	v_mov_b32_e32 v22, 0x7c01
	s_mov_b32 s23, exec_lo
	s_delay_alu instid0(VALU_DEP_2)
	v_cmpx_ne_u32_e32 0x7f, v34
	s_cbranch_execz .LBB296_2571
; %bb.2568:                             ;   in Loop: Header=BB296_2086 Depth=1
	v_and_b32_e32 v22, 7, v2
	v_lshrrev_b32_e32 v33, 3, v34
	s_mov_b32 s24, exec_lo
	v_cmpx_gt_u32_e32 8, v34
; %bb.2569:                             ;   in Loop: Header=BB296_2086 Depth=1
	s_delay_alu instid0(VALU_DEP_3) | instskip(NEXT) | instid1(VALU_DEP_1)
	v_clz_i32_u32_e32 v22, v22
	v_min_u32_e32 v22, 32, v22
	s_delay_alu instid0(VALU_DEP_1) | instskip(NEXT) | instid1(VALU_DEP_1)
	v_subrev_nc_u32_e32 v33, 28, v22
	v_lshlrev_b64_e32 v[34:35], v33, v[2:3]
	v_sub_nc_u32_e32 v33, 29, v22
	s_delay_alu instid0(VALU_DEP_2)
	v_and_b32_e32 v22, 7, v34
; %bb.2570:                             ;   in Loop: Header=BB296_2086 Depth=1
	s_wait_alu 0xfffe
	s_or_b32 exec_lo, exec_lo, s24
	v_lshlrev_b32_e32 v2, 8, v2
	v_lshl_add_u32 v33, v33, 10, 0x2000
	v_lshlrev_b32_e32 v22, 7, v22
	s_delay_alu instid0(VALU_DEP_3) | instskip(NEXT) | instid1(VALU_DEP_3)
	v_and_b32_e32 v2, 0x8000, v2
	v_and_b32_e32 v33, 0xfc00, v33
	s_delay_alu instid0(VALU_DEP_1)
	v_or3_b32 v22, v2, v33, v22
.LBB296_2571:                           ;   in Loop: Header=BB296_2086 Depth=1
	s_wait_alu 0xfffe
	s_or_b32 exec_lo, exec_lo, s23
.LBB296_2572:                           ;   in Loop: Header=BB296_2086 Depth=1
	s_wait_alu 0xfffe
	s_or_b32 exec_lo, exec_lo, s22
.LBB296_2573:                           ;   in Loop: Header=BB296_2086 Depth=1
	s_wait_alu 0xfffe
	s_or_b32 exec_lo, exec_lo, s21
	s_delay_alu instid0(SALU_CYCLE_1)
	s_mov_b32 s21, exec_lo
	v_cmpx_lt_u32_e32 0xffffff, v13
	s_cbranch_execz .LBB296_2581
; %bb.2574:                             ;   in Loop: Header=BB296_2086 Depth=1
	v_lshrrev_b32_e32 v2, 24, v13
	v_bfrev_b32_e32 v19, 1
	s_mov_b32 s22, exec_lo
	s_delay_alu instid0(VALU_DEP_2)
	v_cmpx_ne_u32_e32 0x80, v2
	s_cbranch_execz .LBB296_2580
; %bb.2575:                             ;   in Loop: Header=BB296_2086 Depth=1
	v_and_b32_e32 v34, 0x7f, v2
	v_mov_b32_e32 v19, 0x7c010000
	s_mov_b32 s23, exec_lo
	s_delay_alu instid0(VALU_DEP_2)
	v_cmpx_ne_u32_e32 0x7f, v34
	s_cbranch_execz .LBB296_2579
; %bb.2576:                             ;   in Loop: Header=BB296_2086 Depth=1
	v_and_b32_e32 v19, 7, v2
	v_lshrrev_b32_e32 v33, 3, v34
	s_mov_b32 s24, exec_lo
	v_cmpx_gt_u32_e32 8, v34
; %bb.2577:                             ;   in Loop: Header=BB296_2086 Depth=1
	s_delay_alu instid0(VALU_DEP_3) | instskip(NEXT) | instid1(VALU_DEP_1)
	v_clz_i32_u32_e32 v19, v19
	v_min_u32_e32 v19, 32, v19
	s_delay_alu instid0(VALU_DEP_1) | instskip(NEXT) | instid1(VALU_DEP_1)
	v_subrev_nc_u32_e32 v33, 28, v19
	v_lshlrev_b64_e32 v[34:35], v33, v[2:3]
	v_sub_nc_u32_e32 v33, 29, v19
	s_delay_alu instid0(VALU_DEP_2)
	v_and_b32_e32 v19, 7, v34
; %bb.2578:                             ;   in Loop: Header=BB296_2086 Depth=1
	s_wait_alu 0xfffe
	s_or_b32 exec_lo, exec_lo, s24
	v_lshlrev_b32_e32 v2, 8, v2
	v_lshl_add_u32 v33, v33, 10, 0x2000
	v_lshlrev_b32_e32 v19, 23, v19
	s_delay_alu instid0(VALU_DEP_2) | instskip(NEXT) | instid1(VALU_DEP_1)
	v_and_or_b32 v2, 0x8000, v2, v33
	v_lshl_or_b32 v19, v2, 16, v19
.LBB296_2579:                           ;   in Loop: Header=BB296_2086 Depth=1
	s_wait_alu 0xfffe
	s_or_b32 exec_lo, exec_lo, s23
.LBB296_2580:                           ;   in Loop: Header=BB296_2086 Depth=1
	s_wait_alu 0xfffe
	s_or_b32 exec_lo, exec_lo, s22
.LBB296_2581:                           ;   in Loop: Header=BB296_2086 Depth=1
	s_wait_alu 0xfffe
	s_or_b32 exec_lo, exec_lo, s21
	v_dual_mov_b32 v2, v14 :: v_dual_and_b32 v35, 0xff, v14
	v_dual_mov_b32 v33, 0 :: v_dual_mov_b32 v34, 0
	s_mov_b32 s21, exec_lo
	s_delay_alu instid0(VALU_DEP_2)
	v_cmpx_ne_u16_e32 0, v35
	s_cbranch_execz .LBB296_2589
; %bb.2582:                             ;   in Loop: Header=BB296_2086 Depth=1
	v_mov_b32_e32 v34, 0x8000
	s_mov_b32 s22, exec_lo
	v_cmpx_ne_u16_e32 0x80, v35
	s_cbranch_execz .LBB296_2588
; %bb.2583:                             ;   in Loop: Header=BB296_2086 Depth=1
	v_and_b32_e32 v36, 0x7f, v14
	v_mov_b32_e32 v34, 0x7c01
	s_mov_b32 s23, exec_lo
	s_delay_alu instid0(VALU_DEP_2)
	v_cmpx_ne_u32_e32 0x7f, v36
	s_cbranch_execz .LBB296_2587
; %bb.2584:                             ;   in Loop: Header=BB296_2086 Depth=1
	v_and_b32_e32 v34, 7, v14
	v_lshrrev_b32_e32 v35, 3, v36
	s_mov_b32 s24, exec_lo
	v_cmpx_gt_u32_e32 8, v36
; %bb.2585:                             ;   in Loop: Header=BB296_2086 Depth=1
	s_delay_alu instid0(VALU_DEP_3) | instskip(NEXT) | instid1(VALU_DEP_1)
	v_clz_i32_u32_e32 v34, v34
	v_min_u32_e32 v36, 32, v34
	s_delay_alu instid0(VALU_DEP_1) | instskip(NEXT) | instid1(VALU_DEP_1)
	v_subrev_nc_u32_e32 v34, 28, v36
	v_lshlrev_b64_e32 v[34:35], v34, v[2:3]
	v_sub_nc_u32_e32 v35, 29, v36
	s_delay_alu instid0(VALU_DEP_2)
	v_and_b32_e32 v34, 7, v34
; %bb.2586:                             ;   in Loop: Header=BB296_2086 Depth=1
	s_wait_alu 0xfffe
	s_or_b32 exec_lo, exec_lo, s24
	v_lshlrev_b32_e32 v36, 8, v14
	v_lshl_add_u32 v35, v35, 10, 0x2000
	v_lshlrev_b32_e32 v34, 7, v34
	s_delay_alu instid0(VALU_DEP_3) | instskip(NEXT) | instid1(VALU_DEP_3)
	v_and_b32_e32 v36, 0x8000, v36
	v_and_b32_e32 v35, 0xfc00, v35
	s_delay_alu instid0(VALU_DEP_1)
	v_or3_b32 v34, v36, v35, v34
.LBB296_2587:                           ;   in Loop: Header=BB296_2086 Depth=1
	s_wait_alu 0xfffe
	s_or_b32 exec_lo, exec_lo, s23
.LBB296_2588:                           ;   in Loop: Header=BB296_2086 Depth=1
	s_wait_alu 0xfffe
	s_or_b32 exec_lo, exec_lo, s22
.LBB296_2589:                           ;   in Loop: Header=BB296_2086 Depth=1
	s_wait_alu 0xfffe
	s_or_b32 exec_lo, exec_lo, s21
	v_lshrrev_b16 v2, 8, v2
	v_mov_b32_e32 v35, 0
	s_mov_b32 s21, exec_lo
	s_delay_alu instid0(VALU_DEP_2)
	v_cmpx_ne_u16_e32 0, v2
	s_cbranch_execz .LBB296_2597
; %bb.2590:                             ;   in Loop: Header=BB296_2086 Depth=1
	v_bfrev_b32_e32 v35, 1
	s_mov_b32 s22, exec_lo
	v_cmpx_ne_u16_e32 0x80, v2
	s_cbranch_execz .LBB296_2596
; %bb.2591:                             ;   in Loop: Header=BB296_2086 Depth=1
	v_and_b32_e32 v36, 0xffff, v2
	v_mov_b32_e32 v35, 0x7c010000
	s_mov_b32 s23, exec_lo
	s_delay_alu instid0(VALU_DEP_2) | instskip(NEXT) | instid1(VALU_DEP_1)
	v_and_b32_e32 v39, 0x7f, v36
	v_cmpx_ne_u32_e32 0x7f, v39
	s_cbranch_execz .LBB296_2595
; %bb.2592:                             ;   in Loop: Header=BB296_2086 Depth=1
	v_and_b32_e32 v35, 7, v36
	v_lshrrev_b32_e32 v38, 3, v39
	s_mov_b32 s24, exec_lo
	v_cmpx_gt_u32_e32 8, v39
; %bb.2593:                             ;   in Loop: Header=BB296_2086 Depth=1
	s_delay_alu instid0(VALU_DEP_3) | instskip(NEXT) | instid1(VALU_DEP_1)
	v_clz_i32_u32_e32 v35, v35
	v_min_u32_e32 v35, 32, v35
	s_delay_alu instid0(VALU_DEP_1) | instskip(NEXT) | instid1(VALU_DEP_1)
	v_subrev_nc_u32_e32 v38, 28, v35
	v_lshlrev_b64_e32 v[49:50], v38, v[2:3]
	v_sub_nc_u32_e32 v38, 29, v35
	s_delay_alu instid0(VALU_DEP_2)
	v_and_b32_e32 v35, 7, v49
; %bb.2594:                             ;   in Loop: Header=BB296_2086 Depth=1
	s_wait_alu 0xfffe
	s_or_b32 exec_lo, exec_lo, s24
	v_lshlrev_b32_e32 v2, 8, v36
	v_lshl_add_u32 v36, v38, 10, 0x2000
	v_lshlrev_b32_e32 v35, 23, v35
	s_delay_alu instid0(VALU_DEP_2) | instskip(NEXT) | instid1(VALU_DEP_1)
	v_and_or_b32 v2, 0x8000, v2, v36
	v_lshl_or_b32 v35, v2, 16, v35
.LBB296_2595:                           ;   in Loop: Header=BB296_2086 Depth=1
	s_wait_alu 0xfffe
	s_or_b32 exec_lo, exec_lo, s23
.LBB296_2596:                           ;   in Loop: Header=BB296_2086 Depth=1
	s_wait_alu 0xfffe
	s_or_b32 exec_lo, exec_lo, s22
.LBB296_2597:                           ;   in Loop: Header=BB296_2086 Depth=1
	s_wait_alu 0xfffe
	s_or_b32 exec_lo, exec_lo, s21
	v_lshrrev_b32_e32 v2, 16, v14
	s_mov_b32 s21, exec_lo
	s_delay_alu instid0(VALU_DEP_1) | instskip(NEXT) | instid1(VALU_DEP_1)
	v_and_b32_e32 v36, 0xff, v2
	v_cmpx_ne_u16_e32 0, v36
	s_cbranch_execz .LBB296_2605
; %bb.2598:                             ;   in Loop: Header=BB296_2086 Depth=1
	v_mov_b32_e32 v33, 0x8000
	s_mov_b32 s22, exec_lo
	v_cmpx_ne_u16_e32 0x80, v36
	s_cbranch_execz .LBB296_2604
; %bb.2599:                             ;   in Loop: Header=BB296_2086 Depth=1
	v_bfe_u32 v38, v14, 16, 7
	v_mov_b32_e32 v33, 0x7c01
	s_mov_b32 s23, exec_lo
	s_delay_alu instid0(VALU_DEP_2)
	v_cmpx_ne_u32_e32 0x7f, v38
	s_cbranch_execz .LBB296_2603
; %bb.2600:                             ;   in Loop: Header=BB296_2086 Depth=1
	v_and_b32_e32 v33, 7, v2
	v_lshrrev_b32_e32 v36, 3, v38
	s_mov_b32 s24, exec_lo
	v_cmpx_gt_u32_e32 8, v38
; %bb.2601:                             ;   in Loop: Header=BB296_2086 Depth=1
	s_delay_alu instid0(VALU_DEP_3) | instskip(NEXT) | instid1(VALU_DEP_1)
	v_clz_i32_u32_e32 v33, v33
	v_min_u32_e32 v33, 32, v33
	s_delay_alu instid0(VALU_DEP_1) | instskip(NEXT) | instid1(VALU_DEP_1)
	v_subrev_nc_u32_e32 v36, 28, v33
	v_lshlrev_b64_e32 v[38:39], v36, v[2:3]
	v_sub_nc_u32_e32 v36, 29, v33
	s_delay_alu instid0(VALU_DEP_2)
	v_and_b32_e32 v33, 7, v38
; %bb.2602:                             ;   in Loop: Header=BB296_2086 Depth=1
	s_wait_alu 0xfffe
	s_or_b32 exec_lo, exec_lo, s24
	v_lshlrev_b32_e32 v2, 8, v2
	v_lshl_add_u32 v36, v36, 10, 0x2000
	v_lshlrev_b32_e32 v33, 7, v33
	s_delay_alu instid0(VALU_DEP_3) | instskip(NEXT) | instid1(VALU_DEP_3)
	v_and_b32_e32 v2, 0x8000, v2
	v_and_b32_e32 v36, 0xfc00, v36
	s_delay_alu instid0(VALU_DEP_1)
	v_or3_b32 v33, v2, v36, v33
.LBB296_2603:                           ;   in Loop: Header=BB296_2086 Depth=1
	s_wait_alu 0xfffe
	s_or_b32 exec_lo, exec_lo, s23
.LBB296_2604:                           ;   in Loop: Header=BB296_2086 Depth=1
	s_wait_alu 0xfffe
	s_or_b32 exec_lo, exec_lo, s22
.LBB296_2605:                           ;   in Loop: Header=BB296_2086 Depth=1
	s_wait_alu 0xfffe
	s_or_b32 exec_lo, exec_lo, s21
	v_cmp_lt_u64_e64 s8, s[16:17], v[13:14]
	v_mov_b32_e32 v13, 0
	s_and_saveexec_b32 s21, s8
	s_cbranch_execz .LBB296_2613
; %bb.2606:                             ;   in Loop: Header=BB296_2086 Depth=1
	v_lshrrev_b32_e32 v2, 24, v14
	v_bfrev_b32_e32 v13, 1
	s_mov_b32 s22, exec_lo
	s_delay_alu instid0(VALU_DEP_2)
	v_cmpx_ne_u32_e32 0x80, v2
	s_cbranch_execz .LBB296_2612
; %bb.2607:                             ;   in Loop: Header=BB296_2086 Depth=1
	v_and_b32_e32 v36, 0x7f, v2
	v_mov_b32_e32 v13, 0x7c010000
	s_mov_b32 s23, exec_lo
	s_delay_alu instid0(VALU_DEP_2)
	v_cmpx_ne_u32_e32 0x7f, v36
	s_cbranch_execz .LBB296_2611
; %bb.2608:                             ;   in Loop: Header=BB296_2086 Depth=1
	v_and_b32_e32 v13, 7, v2
	v_lshrrev_b32_e32 v14, 3, v36
	s_mov_b32 s24, exec_lo
	v_cmpx_gt_u32_e32 8, v36
; %bb.2609:                             ;   in Loop: Header=BB296_2086 Depth=1
	s_delay_alu instid0(VALU_DEP_3) | instskip(NEXT) | instid1(VALU_DEP_1)
	v_clz_i32_u32_e32 v13, v13
	v_min_u32_e32 v36, 32, v13
	s_delay_alu instid0(VALU_DEP_1) | instskip(NEXT) | instid1(VALU_DEP_1)
	v_subrev_nc_u32_e32 v13, 28, v36
	v_lshlrev_b64_e32 v[13:14], v13, v[2:3]
	v_sub_nc_u32_e32 v14, 29, v36
	s_delay_alu instid0(VALU_DEP_2)
	v_and_b32_e32 v13, 7, v13
; %bb.2610:                             ;   in Loop: Header=BB296_2086 Depth=1
	s_wait_alu 0xfffe
	s_or_b32 exec_lo, exec_lo, s24
	v_lshlrev_b32_e32 v2, 8, v2
	v_lshl_add_u32 v14, v14, 10, 0x2000
	v_lshlrev_b32_e32 v13, 23, v13
	s_delay_alu instid0(VALU_DEP_2) | instskip(NEXT) | instid1(VALU_DEP_1)
	v_and_or_b32 v2, 0x8000, v2, v14
	v_lshl_or_b32 v13, v2, 16, v13
.LBB296_2611:                           ;   in Loop: Header=BB296_2086 Depth=1
	s_wait_alu 0xfffe
	s_or_b32 exec_lo, exec_lo, s23
.LBB296_2612:                           ;   in Loop: Header=BB296_2086 Depth=1
	s_wait_alu 0xfffe
	s_or_b32 exec_lo, exec_lo, s22
.LBB296_2613:                           ;   in Loop: Header=BB296_2086 Depth=1
	s_wait_alu 0xfffe
	s_or_b32 exec_lo, exec_lo, s21
	v_or_b32_e32 v2, v19, v22
	s_wait_loadcnt_dscnt 0x0
	v_fma_mixlo_f16 v14, v4, v19, 0 op_sel:[0,1,0] op_sel_hi:[0,1,0]
	v_or_b32_e32 v19, v5, v6
	v_or_b32_e32 v22, v35, v34
	;; [unrolled: 1-line block ×3, first 2 shown]
	v_fma_mixlo_f16 v5, v4, v5, 0 op_sel:[0,1,0] op_sel_hi:[0,1,0]
	v_fma_mixlo_f16 v34, v4, v2, 0 op_sel_hi:[0,1,0]
	v_lshlrev_b32_e32 v2, 16, v14
	v_fma_mixlo_f16 v14, v4, v19, 0 op_sel_hi:[0,1,0]
	v_fma_mixlo_f16 v19, v4, v35, 0 op_sel:[0,1,0] op_sel_hi:[0,1,0]
	v_fma_mixlo_f16 v22, v4, v22, 0 op_sel_hi:[0,1,0]
	v_fma_mixlo_f16 v13, v4, v13, 0 op_sel:[0,1,0] op_sel_hi:[0,1,0]
	v_fma_mixlo_f16 v4, v4, v33, 0 op_sel_hi:[0,1,0]
	v_lshlrev_b32_e32 v6, 16, v5
	v_and_b32_e32 v5, 0xffff, v34
	v_and_b32_e32 v36, 0xffff, v14
	v_lshlrev_b32_e32 v33, 16, v19
	v_and_b32_e32 v35, 0xffff, v22
	v_lshlrev_b32_e32 v22, 16, v13
	v_and_b32_e32 v34, 0xffff, v4
	v_or_b32_e32 v4, v2, v5
	v_or_b32_e32 v19, v6, v36
	;; [unrolled: 1-line block ×3, first 2 shown]
	s_delay_alu instid0(VALU_DEP_4)
	v_or_b32_e32 v13, v22, v34
	s_and_saveexec_b32 s8, s0
	s_cbranch_execz .LBB296_2615
; %bb.2614:                             ;   in Loop: Header=BB296_2086 Depth=1
	s_wait_alu 0xfffd
	v_cndmask_b32_e32 v4, 0, v36, vcc_lo
	v_cndmask_b32_e64 v6, 0, v6, s3
	v_cndmask_b32_e64 v5, 0, v5, s1
	;; [unrolled: 1-line block ×7, first 2 shown]
	v_or_b32_e32 v19, v4, v6
	v_or_b32_e32 v4, v5, v2
	;; [unrolled: 1-line block ×3, first 2 shown]
	s_delay_alu instid0(VALU_DEP_4)
	v_or_b32_e32 v13, v33, v22
.LBB296_2615:                           ;   in Loop: Header=BB296_2086 Depth=1
	s_wait_alu 0xfffe
	s_or_b32 exec_lo, exec_lo, s8
	;;#ASMSTART
	v_pk_mul_f16 v2, v115, v19;

	;;#ASMEND
	;;#ASMSTART
	v_pk_mul_f16 v4, v114, v4;

	;;#ASMEND
	;; [unrolled: 4-line block ×4, first 2 shown]
	;;#ASMSTART
	v_pk_add_f16 v2, v2, v4;

	;;#ASMEND
	;;#ASMSTART
	v_pk_add_f16 v2, v2, v5;

	;;#ASMEND
	;; [unrolled: 4-line block ×3, first 2 shown]
	v_dual_mov_b32 v5, 0 :: v_dual_and_b32 v4, 0xffff, v2
	v_lshrrev_b32_e32 v2, 16, v2
	;;#ASMSTART
	v_cvt_f32_f16 v144, v4;
	;;#ASMEND
	;;#ASMSTART
	v_cvt_f32_f16 v135, v2;
	;;#ASMEND
	flat_load_b64 v[13:14], v[11:12] offset:2048
	flat_load_b32 v4, v[26:27]
	v_mov_b32_e32 v6, 0
	s_mov_b32 s21, exec_lo
	s_wait_loadcnt_dscnt 0x101
	v_and_b32_e32 v2, 0xff, v13
	s_delay_alu instid0(VALU_DEP_1)
	v_cmpx_ne_u16_e32 0, v2
	s_cbranch_execz .LBB296_2623
; %bb.2616:                             ;   in Loop: Header=BB296_2086 Depth=1
	v_mov_b32_e32 v6, 0x8000
	s_mov_b32 s22, exec_lo
	v_cmpx_ne_u16_e32 0x80, v2
	s_cbranch_execz .LBB296_2622
; %bb.2617:                             ;   in Loop: Header=BB296_2086 Depth=1
	v_and_b32_e32 v19, 0x7f, v13
	v_mov_b32_e32 v6, 0x7c01
	s_mov_b32 s23, exec_lo
	s_delay_alu instid0(VALU_DEP_2)
	v_cmpx_ne_u32_e32 0x7f, v19
	s_cbranch_execz .LBB296_2621
; %bb.2618:                             ;   in Loop: Header=BB296_2086 Depth=1
	v_and_b32_e32 v2, 7, v13
	v_lshrrev_b32_e32 v6, 3, v19
	s_mov_b32 s24, exec_lo
	v_cmpx_gt_u32_e32 8, v19
; %bb.2619:                             ;   in Loop: Header=BB296_2086 Depth=1
	s_delay_alu instid0(VALU_DEP_3) | instskip(NEXT) | instid1(VALU_DEP_1)
	v_clz_i32_u32_e32 v2, v2
	v_min_u32_e32 v2, 32, v2
	s_delay_alu instid0(VALU_DEP_1) | instskip(NEXT) | instid1(VALU_DEP_1)
	v_subrev_nc_u32_e32 v6, 28, v2
	v_lshlrev_b64_e32 v[33:34], v6, v[13:14]
	v_sub_nc_u32_e32 v6, 29, v2
	s_delay_alu instid0(VALU_DEP_2)
	v_and_b32_e32 v2, 7, v33
; %bb.2620:                             ;   in Loop: Header=BB296_2086 Depth=1
	s_wait_alu 0xfffe
	s_or_b32 exec_lo, exec_lo, s24
	v_lshlrev_b32_e32 v19, 8, v13
	v_lshl_add_u32 v6, v6, 10, 0x2000
	v_lshlrev_b32_e32 v2, 7, v2
	s_delay_alu instid0(VALU_DEP_3) | instskip(NEXT) | instid1(VALU_DEP_3)
	v_and_b32_e32 v19, 0x8000, v19
	v_and_b32_e32 v6, 0xfc00, v6
	s_delay_alu instid0(VALU_DEP_1)
	v_or3_b32 v6, v19, v6, v2
.LBB296_2621:                           ;   in Loop: Header=BB296_2086 Depth=1
	s_wait_alu 0xfffe
	s_or_b32 exec_lo, exec_lo, s23
.LBB296_2622:                           ;   in Loop: Header=BB296_2086 Depth=1
	s_wait_alu 0xfffe
	s_or_b32 exec_lo, exec_lo, s22
.LBB296_2623:                           ;   in Loop: Header=BB296_2086 Depth=1
	s_wait_alu 0xfffe
	s_or_b32 exec_lo, exec_lo, s21
	v_lshrrev_b16 v2, 8, v13
	s_mov_b32 s21, exec_lo
	s_delay_alu instid0(VALU_DEP_1)
	v_cmpx_ne_u16_e32 0, v2
	s_cbranch_execz .LBB296_2631
; %bb.2624:                             ;   in Loop: Header=BB296_2086 Depth=1
	v_bfrev_b32_e32 v5, 1
	s_mov_b32 s22, exec_lo
	v_cmpx_ne_u16_e32 0x80, v2
	s_cbranch_execz .LBB296_2630
; %bb.2625:                             ;   in Loop: Header=BB296_2086 Depth=1
	v_and_b32_e32 v19, 0xffff, v2
	v_mov_b32_e32 v5, 0x7c010000
	s_mov_b32 s23, exec_lo
	s_delay_alu instid0(VALU_DEP_2) | instskip(NEXT) | instid1(VALU_DEP_1)
	v_and_b32_e32 v33, 0x7f, v19
	v_cmpx_ne_u32_e32 0x7f, v33
	s_cbranch_execz .LBB296_2629
; %bb.2626:                             ;   in Loop: Header=BB296_2086 Depth=1
	v_and_b32_e32 v5, 7, v19
	v_lshrrev_b32_e32 v22, 3, v33
	s_mov_b32 s24, exec_lo
	v_cmpx_gt_u32_e32 8, v33
; %bb.2627:                             ;   in Loop: Header=BB296_2086 Depth=1
	s_delay_alu instid0(VALU_DEP_3) | instskip(NEXT) | instid1(VALU_DEP_1)
	v_clz_i32_u32_e32 v5, v5
	v_min_u32_e32 v5, 32, v5
	s_delay_alu instid0(VALU_DEP_1) | instskip(NEXT) | instid1(VALU_DEP_1)
	v_subrev_nc_u32_e32 v22, 28, v5
	v_lshlrev_b64_e32 v[33:34], v22, v[2:3]
	v_sub_nc_u32_e32 v22, 29, v5
	s_delay_alu instid0(VALU_DEP_2)
	v_and_b32_e32 v5, 7, v33
; %bb.2628:                             ;   in Loop: Header=BB296_2086 Depth=1
	s_wait_alu 0xfffe
	s_or_b32 exec_lo, exec_lo, s24
	v_lshlrev_b32_e32 v2, 8, v19
	v_lshl_add_u32 v19, v22, 10, 0x2000
	v_lshlrev_b32_e32 v5, 23, v5
	s_delay_alu instid0(VALU_DEP_2) | instskip(NEXT) | instid1(VALU_DEP_1)
	v_and_or_b32 v2, 0x8000, v2, v19
	v_lshl_or_b32 v5, v2, 16, v5
.LBB296_2629:                           ;   in Loop: Header=BB296_2086 Depth=1
	s_wait_alu 0xfffe
	s_or_b32 exec_lo, exec_lo, s23
.LBB296_2630:                           ;   in Loop: Header=BB296_2086 Depth=1
	s_wait_alu 0xfffe
	s_or_b32 exec_lo, exec_lo, s22
.LBB296_2631:                           ;   in Loop: Header=BB296_2086 Depth=1
	s_wait_alu 0xfffe
	s_or_b32 exec_lo, exec_lo, s21
	v_lshrrev_b32_e32 v2, 16, v13
	v_mov_b32_e32 v19, 0
	s_mov_b32 s21, exec_lo
	s_delay_alu instid0(VALU_DEP_2) | instskip(NEXT) | instid1(VALU_DEP_1)
	v_dual_mov_b32 v22, 0 :: v_dual_and_b32 v33, 0xff, v2
	v_cmpx_ne_u16_e32 0, v33
	s_cbranch_execz .LBB296_2639
; %bb.2632:                             ;   in Loop: Header=BB296_2086 Depth=1
	v_mov_b32_e32 v22, 0x8000
	s_mov_b32 s22, exec_lo
	v_cmpx_ne_u16_e32 0x80, v33
	s_cbranch_execz .LBB296_2638
; %bb.2633:                             ;   in Loop: Header=BB296_2086 Depth=1
	v_bfe_u32 v34, v13, 16, 7
	v_mov_b32_e32 v22, 0x7c01
	s_mov_b32 s23, exec_lo
	s_delay_alu instid0(VALU_DEP_2)
	v_cmpx_ne_u32_e32 0x7f, v34
	s_cbranch_execz .LBB296_2637
; %bb.2634:                             ;   in Loop: Header=BB296_2086 Depth=1
	v_and_b32_e32 v22, 7, v2
	v_lshrrev_b32_e32 v33, 3, v34
	s_mov_b32 s24, exec_lo
	v_cmpx_gt_u32_e32 8, v34
; %bb.2635:                             ;   in Loop: Header=BB296_2086 Depth=1
	s_delay_alu instid0(VALU_DEP_3) | instskip(NEXT) | instid1(VALU_DEP_1)
	v_clz_i32_u32_e32 v22, v22
	v_min_u32_e32 v22, 32, v22
	s_delay_alu instid0(VALU_DEP_1) | instskip(NEXT) | instid1(VALU_DEP_1)
	v_subrev_nc_u32_e32 v33, 28, v22
	v_lshlrev_b64_e32 v[34:35], v33, v[2:3]
	v_sub_nc_u32_e32 v33, 29, v22
	s_delay_alu instid0(VALU_DEP_2)
	v_and_b32_e32 v22, 7, v34
; %bb.2636:                             ;   in Loop: Header=BB296_2086 Depth=1
	s_wait_alu 0xfffe
	s_or_b32 exec_lo, exec_lo, s24
	v_lshlrev_b32_e32 v2, 8, v2
	v_lshl_add_u32 v33, v33, 10, 0x2000
	v_lshlrev_b32_e32 v22, 7, v22
	s_delay_alu instid0(VALU_DEP_3) | instskip(NEXT) | instid1(VALU_DEP_3)
	v_and_b32_e32 v2, 0x8000, v2
	v_and_b32_e32 v33, 0xfc00, v33
	s_delay_alu instid0(VALU_DEP_1)
	v_or3_b32 v22, v2, v33, v22
.LBB296_2637:                           ;   in Loop: Header=BB296_2086 Depth=1
	s_wait_alu 0xfffe
	s_or_b32 exec_lo, exec_lo, s23
.LBB296_2638:                           ;   in Loop: Header=BB296_2086 Depth=1
	s_wait_alu 0xfffe
	s_or_b32 exec_lo, exec_lo, s22
.LBB296_2639:                           ;   in Loop: Header=BB296_2086 Depth=1
	s_wait_alu 0xfffe
	s_or_b32 exec_lo, exec_lo, s21
	s_delay_alu instid0(SALU_CYCLE_1)
	s_mov_b32 s21, exec_lo
	v_cmpx_lt_u32_e32 0xffffff, v13
	s_cbranch_execz .LBB296_2647
; %bb.2640:                             ;   in Loop: Header=BB296_2086 Depth=1
	v_lshrrev_b32_e32 v2, 24, v13
	v_bfrev_b32_e32 v19, 1
	s_mov_b32 s22, exec_lo
	s_delay_alu instid0(VALU_DEP_2)
	v_cmpx_ne_u32_e32 0x80, v2
	s_cbranch_execz .LBB296_2646
; %bb.2641:                             ;   in Loop: Header=BB296_2086 Depth=1
	v_and_b32_e32 v34, 0x7f, v2
	v_mov_b32_e32 v19, 0x7c010000
	s_mov_b32 s23, exec_lo
	s_delay_alu instid0(VALU_DEP_2)
	v_cmpx_ne_u32_e32 0x7f, v34
	s_cbranch_execz .LBB296_2645
; %bb.2642:                             ;   in Loop: Header=BB296_2086 Depth=1
	v_and_b32_e32 v19, 7, v2
	v_lshrrev_b32_e32 v33, 3, v34
	s_mov_b32 s24, exec_lo
	v_cmpx_gt_u32_e32 8, v34
; %bb.2643:                             ;   in Loop: Header=BB296_2086 Depth=1
	s_delay_alu instid0(VALU_DEP_3) | instskip(NEXT) | instid1(VALU_DEP_1)
	v_clz_i32_u32_e32 v19, v19
	v_min_u32_e32 v19, 32, v19
	s_delay_alu instid0(VALU_DEP_1) | instskip(NEXT) | instid1(VALU_DEP_1)
	v_subrev_nc_u32_e32 v33, 28, v19
	v_lshlrev_b64_e32 v[34:35], v33, v[2:3]
	v_sub_nc_u32_e32 v33, 29, v19
	s_delay_alu instid0(VALU_DEP_2)
	v_and_b32_e32 v19, 7, v34
; %bb.2644:                             ;   in Loop: Header=BB296_2086 Depth=1
	s_wait_alu 0xfffe
	s_or_b32 exec_lo, exec_lo, s24
	v_lshlrev_b32_e32 v2, 8, v2
	v_lshl_add_u32 v33, v33, 10, 0x2000
	v_lshlrev_b32_e32 v19, 23, v19
	s_delay_alu instid0(VALU_DEP_2) | instskip(NEXT) | instid1(VALU_DEP_1)
	v_and_or_b32 v2, 0x8000, v2, v33
	v_lshl_or_b32 v19, v2, 16, v19
.LBB296_2645:                           ;   in Loop: Header=BB296_2086 Depth=1
	s_wait_alu 0xfffe
	s_or_b32 exec_lo, exec_lo, s23
.LBB296_2646:                           ;   in Loop: Header=BB296_2086 Depth=1
	s_wait_alu 0xfffe
	s_or_b32 exec_lo, exec_lo, s22
.LBB296_2647:                           ;   in Loop: Header=BB296_2086 Depth=1
	s_wait_alu 0xfffe
	s_or_b32 exec_lo, exec_lo, s21
	v_dual_mov_b32 v2, v14 :: v_dual_and_b32 v35, 0xff, v14
	v_dual_mov_b32 v33, 0 :: v_dual_mov_b32 v34, 0
	s_mov_b32 s21, exec_lo
	s_delay_alu instid0(VALU_DEP_2)
	v_cmpx_ne_u16_e32 0, v35
	s_cbranch_execz .LBB296_2655
; %bb.2648:                             ;   in Loop: Header=BB296_2086 Depth=1
	v_mov_b32_e32 v34, 0x8000
	s_mov_b32 s22, exec_lo
	v_cmpx_ne_u16_e32 0x80, v35
	s_cbranch_execz .LBB296_2654
; %bb.2649:                             ;   in Loop: Header=BB296_2086 Depth=1
	v_and_b32_e32 v36, 0x7f, v14
	v_mov_b32_e32 v34, 0x7c01
	s_mov_b32 s23, exec_lo
	s_delay_alu instid0(VALU_DEP_2)
	v_cmpx_ne_u32_e32 0x7f, v36
	s_cbranch_execz .LBB296_2653
; %bb.2650:                             ;   in Loop: Header=BB296_2086 Depth=1
	v_and_b32_e32 v34, 7, v14
	v_lshrrev_b32_e32 v35, 3, v36
	s_mov_b32 s24, exec_lo
	v_cmpx_gt_u32_e32 8, v36
; %bb.2651:                             ;   in Loop: Header=BB296_2086 Depth=1
	s_delay_alu instid0(VALU_DEP_3) | instskip(NEXT) | instid1(VALU_DEP_1)
	v_clz_i32_u32_e32 v34, v34
	v_min_u32_e32 v36, 32, v34
	s_delay_alu instid0(VALU_DEP_1) | instskip(NEXT) | instid1(VALU_DEP_1)
	v_subrev_nc_u32_e32 v34, 28, v36
	v_lshlrev_b64_e32 v[34:35], v34, v[2:3]
	v_sub_nc_u32_e32 v35, 29, v36
	s_delay_alu instid0(VALU_DEP_2)
	v_and_b32_e32 v34, 7, v34
; %bb.2652:                             ;   in Loop: Header=BB296_2086 Depth=1
	s_wait_alu 0xfffe
	s_or_b32 exec_lo, exec_lo, s24
	v_lshlrev_b32_e32 v36, 8, v14
	v_lshl_add_u32 v35, v35, 10, 0x2000
	v_lshlrev_b32_e32 v34, 7, v34
	s_delay_alu instid0(VALU_DEP_3) | instskip(NEXT) | instid1(VALU_DEP_3)
	v_and_b32_e32 v36, 0x8000, v36
	v_and_b32_e32 v35, 0xfc00, v35
	s_delay_alu instid0(VALU_DEP_1)
	v_or3_b32 v34, v36, v35, v34
.LBB296_2653:                           ;   in Loop: Header=BB296_2086 Depth=1
	s_wait_alu 0xfffe
	s_or_b32 exec_lo, exec_lo, s23
.LBB296_2654:                           ;   in Loop: Header=BB296_2086 Depth=1
	s_wait_alu 0xfffe
	s_or_b32 exec_lo, exec_lo, s22
.LBB296_2655:                           ;   in Loop: Header=BB296_2086 Depth=1
	s_wait_alu 0xfffe
	s_or_b32 exec_lo, exec_lo, s21
	v_lshrrev_b16 v2, 8, v2
	v_mov_b32_e32 v35, 0
	s_mov_b32 s21, exec_lo
	s_delay_alu instid0(VALU_DEP_2)
	v_cmpx_ne_u16_e32 0, v2
	s_cbranch_execz .LBB296_2663
; %bb.2656:                             ;   in Loop: Header=BB296_2086 Depth=1
	v_bfrev_b32_e32 v35, 1
	s_mov_b32 s22, exec_lo
	v_cmpx_ne_u16_e32 0x80, v2
	s_cbranch_execz .LBB296_2662
; %bb.2657:                             ;   in Loop: Header=BB296_2086 Depth=1
	v_and_b32_e32 v36, 0xffff, v2
	v_mov_b32_e32 v35, 0x7c010000
	s_mov_b32 s23, exec_lo
	s_delay_alu instid0(VALU_DEP_2) | instskip(NEXT) | instid1(VALU_DEP_1)
	v_and_b32_e32 v39, 0x7f, v36
	v_cmpx_ne_u32_e32 0x7f, v39
	s_cbranch_execz .LBB296_2661
; %bb.2658:                             ;   in Loop: Header=BB296_2086 Depth=1
	v_and_b32_e32 v35, 7, v36
	v_lshrrev_b32_e32 v38, 3, v39
	s_mov_b32 s24, exec_lo
	v_cmpx_gt_u32_e32 8, v39
; %bb.2659:                             ;   in Loop: Header=BB296_2086 Depth=1
	s_delay_alu instid0(VALU_DEP_3) | instskip(NEXT) | instid1(VALU_DEP_1)
	v_clz_i32_u32_e32 v35, v35
	v_min_u32_e32 v35, 32, v35
	s_delay_alu instid0(VALU_DEP_1) | instskip(NEXT) | instid1(VALU_DEP_1)
	v_subrev_nc_u32_e32 v38, 28, v35
	v_lshlrev_b64_e32 v[49:50], v38, v[2:3]
	v_sub_nc_u32_e32 v38, 29, v35
	s_delay_alu instid0(VALU_DEP_2)
	v_and_b32_e32 v35, 7, v49
; %bb.2660:                             ;   in Loop: Header=BB296_2086 Depth=1
	s_wait_alu 0xfffe
	s_or_b32 exec_lo, exec_lo, s24
	v_lshlrev_b32_e32 v2, 8, v36
	v_lshl_add_u32 v36, v38, 10, 0x2000
	v_lshlrev_b32_e32 v35, 23, v35
	s_delay_alu instid0(VALU_DEP_2) | instskip(NEXT) | instid1(VALU_DEP_1)
	v_and_or_b32 v2, 0x8000, v2, v36
	v_lshl_or_b32 v35, v2, 16, v35
.LBB296_2661:                           ;   in Loop: Header=BB296_2086 Depth=1
	s_wait_alu 0xfffe
	s_or_b32 exec_lo, exec_lo, s23
.LBB296_2662:                           ;   in Loop: Header=BB296_2086 Depth=1
	s_wait_alu 0xfffe
	s_or_b32 exec_lo, exec_lo, s22
.LBB296_2663:                           ;   in Loop: Header=BB296_2086 Depth=1
	s_wait_alu 0xfffe
	s_or_b32 exec_lo, exec_lo, s21
	v_lshrrev_b32_e32 v2, 16, v14
	s_mov_b32 s21, exec_lo
	s_delay_alu instid0(VALU_DEP_1) | instskip(NEXT) | instid1(VALU_DEP_1)
	v_and_b32_e32 v36, 0xff, v2
	v_cmpx_ne_u16_e32 0, v36
	s_cbranch_execz .LBB296_2671
; %bb.2664:                             ;   in Loop: Header=BB296_2086 Depth=1
	v_mov_b32_e32 v33, 0x8000
	s_mov_b32 s22, exec_lo
	v_cmpx_ne_u16_e32 0x80, v36
	s_cbranch_execz .LBB296_2670
; %bb.2665:                             ;   in Loop: Header=BB296_2086 Depth=1
	v_bfe_u32 v38, v14, 16, 7
	v_mov_b32_e32 v33, 0x7c01
	s_mov_b32 s23, exec_lo
	s_delay_alu instid0(VALU_DEP_2)
	v_cmpx_ne_u32_e32 0x7f, v38
	s_cbranch_execz .LBB296_2669
; %bb.2666:                             ;   in Loop: Header=BB296_2086 Depth=1
	v_and_b32_e32 v33, 7, v2
	v_lshrrev_b32_e32 v36, 3, v38
	s_mov_b32 s24, exec_lo
	v_cmpx_gt_u32_e32 8, v38
; %bb.2667:                             ;   in Loop: Header=BB296_2086 Depth=1
	s_delay_alu instid0(VALU_DEP_3) | instskip(NEXT) | instid1(VALU_DEP_1)
	v_clz_i32_u32_e32 v33, v33
	v_min_u32_e32 v33, 32, v33
	s_delay_alu instid0(VALU_DEP_1) | instskip(NEXT) | instid1(VALU_DEP_1)
	v_subrev_nc_u32_e32 v36, 28, v33
	v_lshlrev_b64_e32 v[38:39], v36, v[2:3]
	v_sub_nc_u32_e32 v36, 29, v33
	s_delay_alu instid0(VALU_DEP_2)
	v_and_b32_e32 v33, 7, v38
; %bb.2668:                             ;   in Loop: Header=BB296_2086 Depth=1
	s_wait_alu 0xfffe
	s_or_b32 exec_lo, exec_lo, s24
	v_lshlrev_b32_e32 v2, 8, v2
	v_lshl_add_u32 v36, v36, 10, 0x2000
	v_lshlrev_b32_e32 v33, 7, v33
	s_delay_alu instid0(VALU_DEP_3) | instskip(NEXT) | instid1(VALU_DEP_3)
	v_and_b32_e32 v2, 0x8000, v2
	v_and_b32_e32 v36, 0xfc00, v36
	s_delay_alu instid0(VALU_DEP_1)
	v_or3_b32 v33, v2, v36, v33
.LBB296_2669:                           ;   in Loop: Header=BB296_2086 Depth=1
	s_wait_alu 0xfffe
	s_or_b32 exec_lo, exec_lo, s23
.LBB296_2670:                           ;   in Loop: Header=BB296_2086 Depth=1
	s_wait_alu 0xfffe
	s_or_b32 exec_lo, exec_lo, s22
.LBB296_2671:                           ;   in Loop: Header=BB296_2086 Depth=1
	s_wait_alu 0xfffe
	s_or_b32 exec_lo, exec_lo, s21
	v_cmp_lt_u64_e64 s8, s[16:17], v[13:14]
	v_mov_b32_e32 v13, 0
	s_and_saveexec_b32 s21, s8
	s_cbranch_execz .LBB296_2679
; %bb.2672:                             ;   in Loop: Header=BB296_2086 Depth=1
	v_lshrrev_b32_e32 v2, 24, v14
	v_bfrev_b32_e32 v13, 1
	s_mov_b32 s22, exec_lo
	s_delay_alu instid0(VALU_DEP_2)
	v_cmpx_ne_u32_e32 0x80, v2
	s_cbranch_execz .LBB296_2678
; %bb.2673:                             ;   in Loop: Header=BB296_2086 Depth=1
	v_and_b32_e32 v36, 0x7f, v2
	v_mov_b32_e32 v13, 0x7c010000
	s_mov_b32 s23, exec_lo
	s_delay_alu instid0(VALU_DEP_2)
	v_cmpx_ne_u32_e32 0x7f, v36
	s_cbranch_execz .LBB296_2677
; %bb.2674:                             ;   in Loop: Header=BB296_2086 Depth=1
	v_and_b32_e32 v13, 7, v2
	v_lshrrev_b32_e32 v14, 3, v36
	s_mov_b32 s24, exec_lo
	v_cmpx_gt_u32_e32 8, v36
; %bb.2675:                             ;   in Loop: Header=BB296_2086 Depth=1
	s_delay_alu instid0(VALU_DEP_3) | instskip(NEXT) | instid1(VALU_DEP_1)
	v_clz_i32_u32_e32 v13, v13
	v_min_u32_e32 v36, 32, v13
	s_delay_alu instid0(VALU_DEP_1) | instskip(NEXT) | instid1(VALU_DEP_1)
	v_subrev_nc_u32_e32 v13, 28, v36
	v_lshlrev_b64_e32 v[13:14], v13, v[2:3]
	v_sub_nc_u32_e32 v14, 29, v36
	s_delay_alu instid0(VALU_DEP_2)
	v_and_b32_e32 v13, 7, v13
; %bb.2676:                             ;   in Loop: Header=BB296_2086 Depth=1
	s_wait_alu 0xfffe
	s_or_b32 exec_lo, exec_lo, s24
	v_lshlrev_b32_e32 v2, 8, v2
	v_lshl_add_u32 v14, v14, 10, 0x2000
	v_lshlrev_b32_e32 v13, 23, v13
	s_delay_alu instid0(VALU_DEP_2) | instskip(NEXT) | instid1(VALU_DEP_1)
	v_and_or_b32 v2, 0x8000, v2, v14
	v_lshl_or_b32 v13, v2, 16, v13
.LBB296_2677:                           ;   in Loop: Header=BB296_2086 Depth=1
	s_wait_alu 0xfffe
	s_or_b32 exec_lo, exec_lo, s23
.LBB296_2678:                           ;   in Loop: Header=BB296_2086 Depth=1
	s_wait_alu 0xfffe
	s_or_b32 exec_lo, exec_lo, s22
.LBB296_2679:                           ;   in Loop: Header=BB296_2086 Depth=1
	s_wait_alu 0xfffe
	s_or_b32 exec_lo, exec_lo, s21
	v_or_b32_e32 v2, v19, v22
	s_wait_loadcnt_dscnt 0x0
	v_fma_mixlo_f16 v14, v4, v19, 0 op_sel:[0,1,0] op_sel_hi:[0,1,0]
	v_or_b32_e32 v19, v5, v6
	v_or_b32_e32 v22, v35, v34
	;; [unrolled: 1-line block ×3, first 2 shown]
	v_fma_mixlo_f16 v5, v4, v5, 0 op_sel:[0,1,0] op_sel_hi:[0,1,0]
	v_fma_mixlo_f16 v34, v4, v2, 0 op_sel_hi:[0,1,0]
	v_lshlrev_b32_e32 v2, 16, v14
	v_fma_mixlo_f16 v14, v4, v19, 0 op_sel_hi:[0,1,0]
	v_fma_mixlo_f16 v19, v4, v35, 0 op_sel:[0,1,0] op_sel_hi:[0,1,0]
	v_fma_mixlo_f16 v22, v4, v22, 0 op_sel_hi:[0,1,0]
	v_fma_mixlo_f16 v13, v4, v13, 0 op_sel:[0,1,0] op_sel_hi:[0,1,0]
	v_fma_mixlo_f16 v4, v4, v33, 0 op_sel_hi:[0,1,0]
	v_lshlrev_b32_e32 v6, 16, v5
	v_and_b32_e32 v5, 0xffff, v34
	v_and_b32_e32 v36, 0xffff, v14
	v_lshlrev_b32_e32 v33, 16, v19
	v_and_b32_e32 v35, 0xffff, v22
	v_lshlrev_b32_e32 v22, 16, v13
	v_and_b32_e32 v34, 0xffff, v4
	v_or_b32_e32 v4, v2, v5
	v_or_b32_e32 v19, v6, v36
	;; [unrolled: 1-line block ×3, first 2 shown]
	s_delay_alu instid0(VALU_DEP_4)
	v_or_b32_e32 v13, v22, v34
	s_and_saveexec_b32 s8, s0
	s_cbranch_execz .LBB296_2681
; %bb.2680:                             ;   in Loop: Header=BB296_2086 Depth=1
	s_wait_alu 0xfffd
	v_cndmask_b32_e32 v4, 0, v36, vcc_lo
	v_cndmask_b32_e64 v6, 0, v6, s3
	v_cndmask_b32_e64 v5, 0, v5, s1
	v_cndmask_b32_e64 v2, 0, v2, s2
	v_cndmask_b32_e64 v13, 0, v35, s4
	v_cndmask_b32_e64 v14, 0, v33, s5
	v_cndmask_b32_e64 v33, 0, v34, s6
	v_cndmask_b32_e64 v22, 0, v22, s7
	v_or_b32_e32 v19, v4, v6
	v_or_b32_e32 v4, v5, v2
	;; [unrolled: 1-line block ×3, first 2 shown]
	s_delay_alu instid0(VALU_DEP_4)
	v_or_b32_e32 v13, v33, v22
.LBB296_2681:                           ;   in Loop: Header=BB296_2086 Depth=1
	s_wait_alu 0xfffe
	s_or_b32 exec_lo, exec_lo, s8
	;;#ASMSTART
	v_pk_mul_f16 v2, v115, v19;

	;;#ASMEND
	;;#ASMSTART
	v_pk_mul_f16 v4, v114, v4;

	;;#ASMEND
	;; [unrolled: 4-line block ×4, first 2 shown]
	;;#ASMSTART
	v_pk_add_f16 v2, v2, v4;

	;;#ASMEND
	;;#ASMSTART
	v_pk_add_f16 v2, v2, v5;

	;;#ASMEND
	;; [unrolled: 4-line block ×3, first 2 shown]
	v_dual_mov_b32 v5, 0 :: v_dual_and_b32 v4, 0xffff, v2
	v_lshrrev_b32_e32 v2, 16, v2
	;;#ASMSTART
	v_cvt_f32_f16 v146, v4;
	;;#ASMEND
	;;#ASMSTART
	v_cvt_f32_f16 v147, v2;
	;;#ASMEND
	flat_load_b64 v[13:14], v[11:12] offset:2304
	flat_load_b32 v4, v[26:27]
	v_mov_b32_e32 v6, 0
	s_mov_b32 s21, exec_lo
	s_wait_loadcnt_dscnt 0x101
	v_and_b32_e32 v2, 0xff, v13
	s_delay_alu instid0(VALU_DEP_1)
	v_cmpx_ne_u16_e32 0, v2
	s_cbranch_execz .LBB296_2689
; %bb.2682:                             ;   in Loop: Header=BB296_2086 Depth=1
	v_mov_b32_e32 v6, 0x8000
	s_mov_b32 s22, exec_lo
	v_cmpx_ne_u16_e32 0x80, v2
	s_cbranch_execz .LBB296_2688
; %bb.2683:                             ;   in Loop: Header=BB296_2086 Depth=1
	v_and_b32_e32 v19, 0x7f, v13
	v_mov_b32_e32 v6, 0x7c01
	s_mov_b32 s23, exec_lo
	s_delay_alu instid0(VALU_DEP_2)
	v_cmpx_ne_u32_e32 0x7f, v19
	s_cbranch_execz .LBB296_2687
; %bb.2684:                             ;   in Loop: Header=BB296_2086 Depth=1
	v_and_b32_e32 v2, 7, v13
	v_lshrrev_b32_e32 v6, 3, v19
	s_mov_b32 s24, exec_lo
	v_cmpx_gt_u32_e32 8, v19
; %bb.2685:                             ;   in Loop: Header=BB296_2086 Depth=1
	s_delay_alu instid0(VALU_DEP_3) | instskip(NEXT) | instid1(VALU_DEP_1)
	v_clz_i32_u32_e32 v2, v2
	v_min_u32_e32 v2, 32, v2
	s_delay_alu instid0(VALU_DEP_1) | instskip(NEXT) | instid1(VALU_DEP_1)
	v_subrev_nc_u32_e32 v6, 28, v2
	v_lshlrev_b64_e32 v[33:34], v6, v[13:14]
	v_sub_nc_u32_e32 v6, 29, v2
	s_delay_alu instid0(VALU_DEP_2)
	v_and_b32_e32 v2, 7, v33
; %bb.2686:                             ;   in Loop: Header=BB296_2086 Depth=1
	s_wait_alu 0xfffe
	s_or_b32 exec_lo, exec_lo, s24
	v_lshlrev_b32_e32 v19, 8, v13
	v_lshl_add_u32 v6, v6, 10, 0x2000
	v_lshlrev_b32_e32 v2, 7, v2
	s_delay_alu instid0(VALU_DEP_3) | instskip(NEXT) | instid1(VALU_DEP_3)
	v_and_b32_e32 v19, 0x8000, v19
	v_and_b32_e32 v6, 0xfc00, v6
	s_delay_alu instid0(VALU_DEP_1)
	v_or3_b32 v6, v19, v6, v2
.LBB296_2687:                           ;   in Loop: Header=BB296_2086 Depth=1
	s_wait_alu 0xfffe
	s_or_b32 exec_lo, exec_lo, s23
.LBB296_2688:                           ;   in Loop: Header=BB296_2086 Depth=1
	s_wait_alu 0xfffe
	s_or_b32 exec_lo, exec_lo, s22
.LBB296_2689:                           ;   in Loop: Header=BB296_2086 Depth=1
	s_wait_alu 0xfffe
	s_or_b32 exec_lo, exec_lo, s21
	v_lshrrev_b16 v2, 8, v13
	s_mov_b32 s21, exec_lo
	s_delay_alu instid0(VALU_DEP_1)
	v_cmpx_ne_u16_e32 0, v2
	s_cbranch_execz .LBB296_2697
; %bb.2690:                             ;   in Loop: Header=BB296_2086 Depth=1
	v_bfrev_b32_e32 v5, 1
	s_mov_b32 s22, exec_lo
	v_cmpx_ne_u16_e32 0x80, v2
	s_cbranch_execz .LBB296_2696
; %bb.2691:                             ;   in Loop: Header=BB296_2086 Depth=1
	v_and_b32_e32 v19, 0xffff, v2
	v_mov_b32_e32 v5, 0x7c010000
	s_mov_b32 s23, exec_lo
	s_delay_alu instid0(VALU_DEP_2) | instskip(NEXT) | instid1(VALU_DEP_1)
	v_and_b32_e32 v33, 0x7f, v19
	v_cmpx_ne_u32_e32 0x7f, v33
	s_cbranch_execz .LBB296_2695
; %bb.2692:                             ;   in Loop: Header=BB296_2086 Depth=1
	v_and_b32_e32 v5, 7, v19
	v_lshrrev_b32_e32 v22, 3, v33
	s_mov_b32 s24, exec_lo
	v_cmpx_gt_u32_e32 8, v33
; %bb.2693:                             ;   in Loop: Header=BB296_2086 Depth=1
	s_delay_alu instid0(VALU_DEP_3) | instskip(NEXT) | instid1(VALU_DEP_1)
	v_clz_i32_u32_e32 v5, v5
	v_min_u32_e32 v5, 32, v5
	s_delay_alu instid0(VALU_DEP_1) | instskip(NEXT) | instid1(VALU_DEP_1)
	v_subrev_nc_u32_e32 v22, 28, v5
	v_lshlrev_b64_e32 v[33:34], v22, v[2:3]
	v_sub_nc_u32_e32 v22, 29, v5
	s_delay_alu instid0(VALU_DEP_2)
	v_and_b32_e32 v5, 7, v33
; %bb.2694:                             ;   in Loop: Header=BB296_2086 Depth=1
	s_wait_alu 0xfffe
	s_or_b32 exec_lo, exec_lo, s24
	v_lshlrev_b32_e32 v2, 8, v19
	v_lshl_add_u32 v19, v22, 10, 0x2000
	v_lshlrev_b32_e32 v5, 23, v5
	s_delay_alu instid0(VALU_DEP_2) | instskip(NEXT) | instid1(VALU_DEP_1)
	v_and_or_b32 v2, 0x8000, v2, v19
	v_lshl_or_b32 v5, v2, 16, v5
.LBB296_2695:                           ;   in Loop: Header=BB296_2086 Depth=1
	s_wait_alu 0xfffe
	s_or_b32 exec_lo, exec_lo, s23
.LBB296_2696:                           ;   in Loop: Header=BB296_2086 Depth=1
	s_wait_alu 0xfffe
	s_or_b32 exec_lo, exec_lo, s22
.LBB296_2697:                           ;   in Loop: Header=BB296_2086 Depth=1
	s_wait_alu 0xfffe
	s_or_b32 exec_lo, exec_lo, s21
	v_lshrrev_b32_e32 v2, 16, v13
	v_mov_b32_e32 v19, 0
	s_mov_b32 s21, exec_lo
	s_delay_alu instid0(VALU_DEP_2) | instskip(NEXT) | instid1(VALU_DEP_1)
	v_dual_mov_b32 v22, 0 :: v_dual_and_b32 v33, 0xff, v2
	v_cmpx_ne_u16_e32 0, v33
	s_cbranch_execz .LBB296_2705
; %bb.2698:                             ;   in Loop: Header=BB296_2086 Depth=1
	v_mov_b32_e32 v22, 0x8000
	s_mov_b32 s22, exec_lo
	v_cmpx_ne_u16_e32 0x80, v33
	s_cbranch_execz .LBB296_2704
; %bb.2699:                             ;   in Loop: Header=BB296_2086 Depth=1
	v_bfe_u32 v34, v13, 16, 7
	v_mov_b32_e32 v22, 0x7c01
	s_mov_b32 s23, exec_lo
	s_delay_alu instid0(VALU_DEP_2)
	v_cmpx_ne_u32_e32 0x7f, v34
	s_cbranch_execz .LBB296_2703
; %bb.2700:                             ;   in Loop: Header=BB296_2086 Depth=1
	v_and_b32_e32 v22, 7, v2
	v_lshrrev_b32_e32 v33, 3, v34
	s_mov_b32 s24, exec_lo
	v_cmpx_gt_u32_e32 8, v34
; %bb.2701:                             ;   in Loop: Header=BB296_2086 Depth=1
	s_delay_alu instid0(VALU_DEP_3) | instskip(NEXT) | instid1(VALU_DEP_1)
	v_clz_i32_u32_e32 v22, v22
	v_min_u32_e32 v22, 32, v22
	s_delay_alu instid0(VALU_DEP_1) | instskip(NEXT) | instid1(VALU_DEP_1)
	v_subrev_nc_u32_e32 v33, 28, v22
	v_lshlrev_b64_e32 v[34:35], v33, v[2:3]
	v_sub_nc_u32_e32 v33, 29, v22
	s_delay_alu instid0(VALU_DEP_2)
	v_and_b32_e32 v22, 7, v34
; %bb.2702:                             ;   in Loop: Header=BB296_2086 Depth=1
	s_wait_alu 0xfffe
	s_or_b32 exec_lo, exec_lo, s24
	v_lshlrev_b32_e32 v2, 8, v2
	v_lshl_add_u32 v33, v33, 10, 0x2000
	v_lshlrev_b32_e32 v22, 7, v22
	s_delay_alu instid0(VALU_DEP_3) | instskip(NEXT) | instid1(VALU_DEP_3)
	v_and_b32_e32 v2, 0x8000, v2
	v_and_b32_e32 v33, 0xfc00, v33
	s_delay_alu instid0(VALU_DEP_1)
	v_or3_b32 v22, v2, v33, v22
.LBB296_2703:                           ;   in Loop: Header=BB296_2086 Depth=1
	s_wait_alu 0xfffe
	s_or_b32 exec_lo, exec_lo, s23
.LBB296_2704:                           ;   in Loop: Header=BB296_2086 Depth=1
	s_wait_alu 0xfffe
	s_or_b32 exec_lo, exec_lo, s22
.LBB296_2705:                           ;   in Loop: Header=BB296_2086 Depth=1
	s_wait_alu 0xfffe
	s_or_b32 exec_lo, exec_lo, s21
	s_delay_alu instid0(SALU_CYCLE_1)
	s_mov_b32 s21, exec_lo
	v_cmpx_lt_u32_e32 0xffffff, v13
	s_cbranch_execz .LBB296_2713
; %bb.2706:                             ;   in Loop: Header=BB296_2086 Depth=1
	v_lshrrev_b32_e32 v2, 24, v13
	v_bfrev_b32_e32 v19, 1
	s_mov_b32 s22, exec_lo
	s_delay_alu instid0(VALU_DEP_2)
	v_cmpx_ne_u32_e32 0x80, v2
	s_cbranch_execz .LBB296_2712
; %bb.2707:                             ;   in Loop: Header=BB296_2086 Depth=1
	v_and_b32_e32 v34, 0x7f, v2
	v_mov_b32_e32 v19, 0x7c010000
	s_mov_b32 s23, exec_lo
	s_delay_alu instid0(VALU_DEP_2)
	v_cmpx_ne_u32_e32 0x7f, v34
	s_cbranch_execz .LBB296_2711
; %bb.2708:                             ;   in Loop: Header=BB296_2086 Depth=1
	v_and_b32_e32 v19, 7, v2
	v_lshrrev_b32_e32 v33, 3, v34
	s_mov_b32 s24, exec_lo
	v_cmpx_gt_u32_e32 8, v34
; %bb.2709:                             ;   in Loop: Header=BB296_2086 Depth=1
	s_delay_alu instid0(VALU_DEP_3) | instskip(NEXT) | instid1(VALU_DEP_1)
	v_clz_i32_u32_e32 v19, v19
	v_min_u32_e32 v19, 32, v19
	s_delay_alu instid0(VALU_DEP_1) | instskip(NEXT) | instid1(VALU_DEP_1)
	v_subrev_nc_u32_e32 v33, 28, v19
	v_lshlrev_b64_e32 v[34:35], v33, v[2:3]
	v_sub_nc_u32_e32 v33, 29, v19
	s_delay_alu instid0(VALU_DEP_2)
	v_and_b32_e32 v19, 7, v34
; %bb.2710:                             ;   in Loop: Header=BB296_2086 Depth=1
	s_wait_alu 0xfffe
	s_or_b32 exec_lo, exec_lo, s24
	v_lshlrev_b32_e32 v2, 8, v2
	v_lshl_add_u32 v33, v33, 10, 0x2000
	v_lshlrev_b32_e32 v19, 23, v19
	s_delay_alu instid0(VALU_DEP_2) | instskip(NEXT) | instid1(VALU_DEP_1)
	v_and_or_b32 v2, 0x8000, v2, v33
	v_lshl_or_b32 v19, v2, 16, v19
.LBB296_2711:                           ;   in Loop: Header=BB296_2086 Depth=1
	s_wait_alu 0xfffe
	s_or_b32 exec_lo, exec_lo, s23
.LBB296_2712:                           ;   in Loop: Header=BB296_2086 Depth=1
	s_wait_alu 0xfffe
	s_or_b32 exec_lo, exec_lo, s22
.LBB296_2713:                           ;   in Loop: Header=BB296_2086 Depth=1
	s_wait_alu 0xfffe
	s_or_b32 exec_lo, exec_lo, s21
	v_dual_mov_b32 v2, v14 :: v_dual_and_b32 v35, 0xff, v14
	v_dual_mov_b32 v33, 0 :: v_dual_mov_b32 v34, 0
	s_mov_b32 s21, exec_lo
	s_delay_alu instid0(VALU_DEP_2)
	v_cmpx_ne_u16_e32 0, v35
	s_cbranch_execz .LBB296_2721
; %bb.2714:                             ;   in Loop: Header=BB296_2086 Depth=1
	v_mov_b32_e32 v34, 0x8000
	s_mov_b32 s22, exec_lo
	v_cmpx_ne_u16_e32 0x80, v35
	s_cbranch_execz .LBB296_2720
; %bb.2715:                             ;   in Loop: Header=BB296_2086 Depth=1
	v_and_b32_e32 v36, 0x7f, v14
	v_mov_b32_e32 v34, 0x7c01
	s_mov_b32 s23, exec_lo
	s_delay_alu instid0(VALU_DEP_2)
	v_cmpx_ne_u32_e32 0x7f, v36
	s_cbranch_execz .LBB296_2719
; %bb.2716:                             ;   in Loop: Header=BB296_2086 Depth=1
	v_and_b32_e32 v34, 7, v14
	v_lshrrev_b32_e32 v35, 3, v36
	s_mov_b32 s24, exec_lo
	v_cmpx_gt_u32_e32 8, v36
; %bb.2717:                             ;   in Loop: Header=BB296_2086 Depth=1
	s_delay_alu instid0(VALU_DEP_3) | instskip(NEXT) | instid1(VALU_DEP_1)
	v_clz_i32_u32_e32 v34, v34
	v_min_u32_e32 v36, 32, v34
	s_delay_alu instid0(VALU_DEP_1) | instskip(NEXT) | instid1(VALU_DEP_1)
	v_subrev_nc_u32_e32 v34, 28, v36
	v_lshlrev_b64_e32 v[34:35], v34, v[2:3]
	v_sub_nc_u32_e32 v35, 29, v36
	s_delay_alu instid0(VALU_DEP_2)
	v_and_b32_e32 v34, 7, v34
; %bb.2718:                             ;   in Loop: Header=BB296_2086 Depth=1
	s_wait_alu 0xfffe
	s_or_b32 exec_lo, exec_lo, s24
	v_lshlrev_b32_e32 v36, 8, v14
	v_lshl_add_u32 v35, v35, 10, 0x2000
	v_lshlrev_b32_e32 v34, 7, v34
	s_delay_alu instid0(VALU_DEP_3) | instskip(NEXT) | instid1(VALU_DEP_3)
	v_and_b32_e32 v36, 0x8000, v36
	v_and_b32_e32 v35, 0xfc00, v35
	s_delay_alu instid0(VALU_DEP_1)
	v_or3_b32 v34, v36, v35, v34
.LBB296_2719:                           ;   in Loop: Header=BB296_2086 Depth=1
	s_wait_alu 0xfffe
	s_or_b32 exec_lo, exec_lo, s23
.LBB296_2720:                           ;   in Loop: Header=BB296_2086 Depth=1
	s_wait_alu 0xfffe
	s_or_b32 exec_lo, exec_lo, s22
.LBB296_2721:                           ;   in Loop: Header=BB296_2086 Depth=1
	s_wait_alu 0xfffe
	s_or_b32 exec_lo, exec_lo, s21
	v_lshrrev_b16 v2, 8, v2
	v_mov_b32_e32 v35, 0
	s_mov_b32 s21, exec_lo
	s_delay_alu instid0(VALU_DEP_2)
	v_cmpx_ne_u16_e32 0, v2
	s_cbranch_execz .LBB296_2729
; %bb.2722:                             ;   in Loop: Header=BB296_2086 Depth=1
	v_bfrev_b32_e32 v35, 1
	s_mov_b32 s22, exec_lo
	v_cmpx_ne_u16_e32 0x80, v2
	s_cbranch_execz .LBB296_2728
; %bb.2723:                             ;   in Loop: Header=BB296_2086 Depth=1
	v_and_b32_e32 v36, 0xffff, v2
	v_mov_b32_e32 v35, 0x7c010000
	s_mov_b32 s23, exec_lo
	s_delay_alu instid0(VALU_DEP_2) | instskip(NEXT) | instid1(VALU_DEP_1)
	v_and_b32_e32 v39, 0x7f, v36
	v_cmpx_ne_u32_e32 0x7f, v39
	s_cbranch_execz .LBB296_2727
; %bb.2724:                             ;   in Loop: Header=BB296_2086 Depth=1
	v_and_b32_e32 v35, 7, v36
	v_lshrrev_b32_e32 v38, 3, v39
	s_mov_b32 s24, exec_lo
	v_cmpx_gt_u32_e32 8, v39
; %bb.2725:                             ;   in Loop: Header=BB296_2086 Depth=1
	s_delay_alu instid0(VALU_DEP_3) | instskip(NEXT) | instid1(VALU_DEP_1)
	v_clz_i32_u32_e32 v35, v35
	v_min_u32_e32 v35, 32, v35
	s_delay_alu instid0(VALU_DEP_1) | instskip(NEXT) | instid1(VALU_DEP_1)
	v_subrev_nc_u32_e32 v38, 28, v35
	v_lshlrev_b64_e32 v[49:50], v38, v[2:3]
	v_sub_nc_u32_e32 v38, 29, v35
	s_delay_alu instid0(VALU_DEP_2)
	v_and_b32_e32 v35, 7, v49
; %bb.2726:                             ;   in Loop: Header=BB296_2086 Depth=1
	s_wait_alu 0xfffe
	s_or_b32 exec_lo, exec_lo, s24
	v_lshlrev_b32_e32 v2, 8, v36
	v_lshl_add_u32 v36, v38, 10, 0x2000
	v_lshlrev_b32_e32 v35, 23, v35
	s_delay_alu instid0(VALU_DEP_2) | instskip(NEXT) | instid1(VALU_DEP_1)
	v_and_or_b32 v2, 0x8000, v2, v36
	v_lshl_or_b32 v35, v2, 16, v35
.LBB296_2727:                           ;   in Loop: Header=BB296_2086 Depth=1
	s_wait_alu 0xfffe
	s_or_b32 exec_lo, exec_lo, s23
.LBB296_2728:                           ;   in Loop: Header=BB296_2086 Depth=1
	s_wait_alu 0xfffe
	s_or_b32 exec_lo, exec_lo, s22
.LBB296_2729:                           ;   in Loop: Header=BB296_2086 Depth=1
	s_wait_alu 0xfffe
	s_or_b32 exec_lo, exec_lo, s21
	v_lshrrev_b32_e32 v2, 16, v14
	s_mov_b32 s21, exec_lo
	s_delay_alu instid0(VALU_DEP_1) | instskip(NEXT) | instid1(VALU_DEP_1)
	v_and_b32_e32 v36, 0xff, v2
	v_cmpx_ne_u16_e32 0, v36
	s_cbranch_execz .LBB296_2737
; %bb.2730:                             ;   in Loop: Header=BB296_2086 Depth=1
	v_mov_b32_e32 v33, 0x8000
	s_mov_b32 s22, exec_lo
	v_cmpx_ne_u16_e32 0x80, v36
	s_cbranch_execz .LBB296_2736
; %bb.2731:                             ;   in Loop: Header=BB296_2086 Depth=1
	v_bfe_u32 v38, v14, 16, 7
	v_mov_b32_e32 v33, 0x7c01
	s_mov_b32 s23, exec_lo
	s_delay_alu instid0(VALU_DEP_2)
	v_cmpx_ne_u32_e32 0x7f, v38
	s_cbranch_execz .LBB296_2735
; %bb.2732:                             ;   in Loop: Header=BB296_2086 Depth=1
	v_and_b32_e32 v33, 7, v2
	v_lshrrev_b32_e32 v36, 3, v38
	s_mov_b32 s24, exec_lo
	v_cmpx_gt_u32_e32 8, v38
; %bb.2733:                             ;   in Loop: Header=BB296_2086 Depth=1
	s_delay_alu instid0(VALU_DEP_3) | instskip(NEXT) | instid1(VALU_DEP_1)
	v_clz_i32_u32_e32 v33, v33
	v_min_u32_e32 v33, 32, v33
	s_delay_alu instid0(VALU_DEP_1) | instskip(NEXT) | instid1(VALU_DEP_1)
	v_subrev_nc_u32_e32 v36, 28, v33
	v_lshlrev_b64_e32 v[38:39], v36, v[2:3]
	v_sub_nc_u32_e32 v36, 29, v33
	s_delay_alu instid0(VALU_DEP_2)
	v_and_b32_e32 v33, 7, v38
; %bb.2734:                             ;   in Loop: Header=BB296_2086 Depth=1
	s_wait_alu 0xfffe
	s_or_b32 exec_lo, exec_lo, s24
	v_lshlrev_b32_e32 v2, 8, v2
	v_lshl_add_u32 v36, v36, 10, 0x2000
	v_lshlrev_b32_e32 v33, 7, v33
	s_delay_alu instid0(VALU_DEP_3) | instskip(NEXT) | instid1(VALU_DEP_3)
	v_and_b32_e32 v2, 0x8000, v2
	v_and_b32_e32 v36, 0xfc00, v36
	s_delay_alu instid0(VALU_DEP_1)
	v_or3_b32 v33, v2, v36, v33
.LBB296_2735:                           ;   in Loop: Header=BB296_2086 Depth=1
	s_wait_alu 0xfffe
	s_or_b32 exec_lo, exec_lo, s23
.LBB296_2736:                           ;   in Loop: Header=BB296_2086 Depth=1
	s_wait_alu 0xfffe
	s_or_b32 exec_lo, exec_lo, s22
.LBB296_2737:                           ;   in Loop: Header=BB296_2086 Depth=1
	s_wait_alu 0xfffe
	s_or_b32 exec_lo, exec_lo, s21
	v_cmp_lt_u64_e64 s8, s[16:17], v[13:14]
	v_mov_b32_e32 v13, 0
	s_and_saveexec_b32 s21, s8
	s_cbranch_execz .LBB296_2745
; %bb.2738:                             ;   in Loop: Header=BB296_2086 Depth=1
	v_lshrrev_b32_e32 v2, 24, v14
	v_bfrev_b32_e32 v13, 1
	s_mov_b32 s22, exec_lo
	s_delay_alu instid0(VALU_DEP_2)
	v_cmpx_ne_u32_e32 0x80, v2
	s_cbranch_execz .LBB296_2744
; %bb.2739:                             ;   in Loop: Header=BB296_2086 Depth=1
	v_and_b32_e32 v36, 0x7f, v2
	v_mov_b32_e32 v13, 0x7c010000
	s_mov_b32 s23, exec_lo
	s_delay_alu instid0(VALU_DEP_2)
	v_cmpx_ne_u32_e32 0x7f, v36
	s_cbranch_execz .LBB296_2743
; %bb.2740:                             ;   in Loop: Header=BB296_2086 Depth=1
	v_and_b32_e32 v13, 7, v2
	v_lshrrev_b32_e32 v14, 3, v36
	s_mov_b32 s24, exec_lo
	v_cmpx_gt_u32_e32 8, v36
; %bb.2741:                             ;   in Loop: Header=BB296_2086 Depth=1
	s_delay_alu instid0(VALU_DEP_3) | instskip(NEXT) | instid1(VALU_DEP_1)
	v_clz_i32_u32_e32 v13, v13
	v_min_u32_e32 v36, 32, v13
	s_delay_alu instid0(VALU_DEP_1) | instskip(NEXT) | instid1(VALU_DEP_1)
	v_subrev_nc_u32_e32 v13, 28, v36
	v_lshlrev_b64_e32 v[13:14], v13, v[2:3]
	v_sub_nc_u32_e32 v14, 29, v36
	s_delay_alu instid0(VALU_DEP_2)
	v_and_b32_e32 v13, 7, v13
; %bb.2742:                             ;   in Loop: Header=BB296_2086 Depth=1
	s_wait_alu 0xfffe
	s_or_b32 exec_lo, exec_lo, s24
	v_lshlrev_b32_e32 v2, 8, v2
	v_lshl_add_u32 v14, v14, 10, 0x2000
	v_lshlrev_b32_e32 v13, 23, v13
	s_delay_alu instid0(VALU_DEP_2) | instskip(NEXT) | instid1(VALU_DEP_1)
	v_and_or_b32 v2, 0x8000, v2, v14
	v_lshl_or_b32 v13, v2, 16, v13
.LBB296_2743:                           ;   in Loop: Header=BB296_2086 Depth=1
	s_wait_alu 0xfffe
	s_or_b32 exec_lo, exec_lo, s23
.LBB296_2744:                           ;   in Loop: Header=BB296_2086 Depth=1
	s_wait_alu 0xfffe
	s_or_b32 exec_lo, exec_lo, s22
.LBB296_2745:                           ;   in Loop: Header=BB296_2086 Depth=1
	s_wait_alu 0xfffe
	s_or_b32 exec_lo, exec_lo, s21
	v_or_b32_e32 v2, v19, v22
	s_wait_loadcnt_dscnt 0x0
	v_fma_mixlo_f16 v14, v4, v19, 0 op_sel:[0,1,0] op_sel_hi:[0,1,0]
	v_or_b32_e32 v19, v5, v6
	v_or_b32_e32 v22, v35, v34
	;; [unrolled: 1-line block ×3, first 2 shown]
	v_fma_mixlo_f16 v5, v4, v5, 0 op_sel:[0,1,0] op_sel_hi:[0,1,0]
	v_fma_mixlo_f16 v34, v4, v2, 0 op_sel_hi:[0,1,0]
	v_lshlrev_b32_e32 v2, 16, v14
	v_fma_mixlo_f16 v14, v4, v19, 0 op_sel_hi:[0,1,0]
	v_fma_mixlo_f16 v19, v4, v35, 0 op_sel:[0,1,0] op_sel_hi:[0,1,0]
	v_fma_mixlo_f16 v22, v4, v22, 0 op_sel_hi:[0,1,0]
	v_fma_mixlo_f16 v13, v4, v13, 0 op_sel:[0,1,0] op_sel_hi:[0,1,0]
	v_fma_mixlo_f16 v4, v4, v33, 0 op_sel_hi:[0,1,0]
	v_lshlrev_b32_e32 v6, 16, v5
	v_and_b32_e32 v5, 0xffff, v34
	v_and_b32_e32 v36, 0xffff, v14
	v_lshlrev_b32_e32 v33, 16, v19
	v_and_b32_e32 v35, 0xffff, v22
	v_lshlrev_b32_e32 v22, 16, v13
	v_and_b32_e32 v34, 0xffff, v4
	v_or_b32_e32 v4, v2, v5
	v_or_b32_e32 v19, v6, v36
	;; [unrolled: 1-line block ×3, first 2 shown]
	s_delay_alu instid0(VALU_DEP_4)
	v_or_b32_e32 v13, v22, v34
	s_and_saveexec_b32 s8, s0
	s_cbranch_execz .LBB296_2747
; %bb.2746:                             ;   in Loop: Header=BB296_2086 Depth=1
	s_wait_alu 0xfffd
	v_cndmask_b32_e32 v4, 0, v36, vcc_lo
	v_cndmask_b32_e64 v6, 0, v6, s3
	v_cndmask_b32_e64 v5, 0, v5, s1
	;; [unrolled: 1-line block ×7, first 2 shown]
	v_or_b32_e32 v19, v4, v6
	v_or_b32_e32 v4, v5, v2
	;; [unrolled: 1-line block ×3, first 2 shown]
	s_delay_alu instid0(VALU_DEP_4)
	v_or_b32_e32 v13, v33, v22
.LBB296_2747:                           ;   in Loop: Header=BB296_2086 Depth=1
	s_wait_alu 0xfffe
	s_or_b32 exec_lo, exec_lo, s8
	;;#ASMSTART
	v_pk_mul_f16 v2, v115, v19;

	;;#ASMEND
	;;#ASMSTART
	v_pk_mul_f16 v4, v114, v4;

	;;#ASMEND
	;; [unrolled: 4-line block ×4, first 2 shown]
	;;#ASMSTART
	v_pk_add_f16 v2, v2, v4;

	;;#ASMEND
	;;#ASMSTART
	v_pk_add_f16 v2, v2, v5;

	;;#ASMEND
	;;#ASMSTART
	v_pk_add_f16 v2, v2, v6;

	;;#ASMEND
	v_dual_mov_b32 v5, 0 :: v_dual_and_b32 v4, 0xffff, v2
	v_lshrrev_b32_e32 v2, 16, v2
	;;#ASMSTART
	v_cvt_f32_f16 v145, v4;
	;;#ASMEND
	;;#ASMSTART
	v_cvt_f32_f16 v149, v2;
	;;#ASMEND
	flat_load_b64 v[13:14], v[11:12] offset:2560
	flat_load_b32 v4, v[26:27]
	v_mov_b32_e32 v6, 0
	s_mov_b32 s21, exec_lo
	s_wait_loadcnt_dscnt 0x101
	v_and_b32_e32 v2, 0xff, v13
	s_delay_alu instid0(VALU_DEP_1)
	v_cmpx_ne_u16_e32 0, v2
	s_cbranch_execz .LBB296_2755
; %bb.2748:                             ;   in Loop: Header=BB296_2086 Depth=1
	v_mov_b32_e32 v6, 0x8000
	s_mov_b32 s22, exec_lo
	v_cmpx_ne_u16_e32 0x80, v2
	s_cbranch_execz .LBB296_2754
; %bb.2749:                             ;   in Loop: Header=BB296_2086 Depth=1
	v_and_b32_e32 v19, 0x7f, v13
	v_mov_b32_e32 v6, 0x7c01
	s_mov_b32 s23, exec_lo
	s_delay_alu instid0(VALU_DEP_2)
	v_cmpx_ne_u32_e32 0x7f, v19
	s_cbranch_execz .LBB296_2753
; %bb.2750:                             ;   in Loop: Header=BB296_2086 Depth=1
	v_and_b32_e32 v2, 7, v13
	v_lshrrev_b32_e32 v6, 3, v19
	s_mov_b32 s24, exec_lo
	v_cmpx_gt_u32_e32 8, v19
; %bb.2751:                             ;   in Loop: Header=BB296_2086 Depth=1
	s_delay_alu instid0(VALU_DEP_3) | instskip(NEXT) | instid1(VALU_DEP_1)
	v_clz_i32_u32_e32 v2, v2
	v_min_u32_e32 v2, 32, v2
	s_delay_alu instid0(VALU_DEP_1) | instskip(NEXT) | instid1(VALU_DEP_1)
	v_subrev_nc_u32_e32 v6, 28, v2
	v_lshlrev_b64_e32 v[33:34], v6, v[13:14]
	v_sub_nc_u32_e32 v6, 29, v2
	s_delay_alu instid0(VALU_DEP_2)
	v_and_b32_e32 v2, 7, v33
; %bb.2752:                             ;   in Loop: Header=BB296_2086 Depth=1
	s_wait_alu 0xfffe
	s_or_b32 exec_lo, exec_lo, s24
	v_lshlrev_b32_e32 v19, 8, v13
	v_lshl_add_u32 v6, v6, 10, 0x2000
	v_lshlrev_b32_e32 v2, 7, v2
	s_delay_alu instid0(VALU_DEP_3) | instskip(NEXT) | instid1(VALU_DEP_3)
	v_and_b32_e32 v19, 0x8000, v19
	v_and_b32_e32 v6, 0xfc00, v6
	s_delay_alu instid0(VALU_DEP_1)
	v_or3_b32 v6, v19, v6, v2
.LBB296_2753:                           ;   in Loop: Header=BB296_2086 Depth=1
	s_wait_alu 0xfffe
	s_or_b32 exec_lo, exec_lo, s23
.LBB296_2754:                           ;   in Loop: Header=BB296_2086 Depth=1
	s_wait_alu 0xfffe
	s_or_b32 exec_lo, exec_lo, s22
.LBB296_2755:                           ;   in Loop: Header=BB296_2086 Depth=1
	s_wait_alu 0xfffe
	s_or_b32 exec_lo, exec_lo, s21
	v_lshrrev_b16 v2, 8, v13
	s_mov_b32 s21, exec_lo
	s_delay_alu instid0(VALU_DEP_1)
	v_cmpx_ne_u16_e32 0, v2
	s_cbranch_execz .LBB296_2763
; %bb.2756:                             ;   in Loop: Header=BB296_2086 Depth=1
	v_bfrev_b32_e32 v5, 1
	s_mov_b32 s22, exec_lo
	v_cmpx_ne_u16_e32 0x80, v2
	s_cbranch_execz .LBB296_2762
; %bb.2757:                             ;   in Loop: Header=BB296_2086 Depth=1
	v_and_b32_e32 v19, 0xffff, v2
	v_mov_b32_e32 v5, 0x7c010000
	s_mov_b32 s23, exec_lo
	s_delay_alu instid0(VALU_DEP_2) | instskip(NEXT) | instid1(VALU_DEP_1)
	v_and_b32_e32 v33, 0x7f, v19
	v_cmpx_ne_u32_e32 0x7f, v33
	s_cbranch_execz .LBB296_2761
; %bb.2758:                             ;   in Loop: Header=BB296_2086 Depth=1
	v_and_b32_e32 v5, 7, v19
	v_lshrrev_b32_e32 v22, 3, v33
	s_mov_b32 s24, exec_lo
	v_cmpx_gt_u32_e32 8, v33
; %bb.2759:                             ;   in Loop: Header=BB296_2086 Depth=1
	s_delay_alu instid0(VALU_DEP_3) | instskip(NEXT) | instid1(VALU_DEP_1)
	v_clz_i32_u32_e32 v5, v5
	v_min_u32_e32 v5, 32, v5
	s_delay_alu instid0(VALU_DEP_1) | instskip(NEXT) | instid1(VALU_DEP_1)
	v_subrev_nc_u32_e32 v22, 28, v5
	v_lshlrev_b64_e32 v[33:34], v22, v[2:3]
	v_sub_nc_u32_e32 v22, 29, v5
	s_delay_alu instid0(VALU_DEP_2)
	v_and_b32_e32 v5, 7, v33
; %bb.2760:                             ;   in Loop: Header=BB296_2086 Depth=1
	s_wait_alu 0xfffe
	s_or_b32 exec_lo, exec_lo, s24
	v_lshlrev_b32_e32 v2, 8, v19
	v_lshl_add_u32 v19, v22, 10, 0x2000
	v_lshlrev_b32_e32 v5, 23, v5
	s_delay_alu instid0(VALU_DEP_2) | instskip(NEXT) | instid1(VALU_DEP_1)
	v_and_or_b32 v2, 0x8000, v2, v19
	v_lshl_or_b32 v5, v2, 16, v5
.LBB296_2761:                           ;   in Loop: Header=BB296_2086 Depth=1
	s_wait_alu 0xfffe
	s_or_b32 exec_lo, exec_lo, s23
.LBB296_2762:                           ;   in Loop: Header=BB296_2086 Depth=1
	s_wait_alu 0xfffe
	s_or_b32 exec_lo, exec_lo, s22
.LBB296_2763:                           ;   in Loop: Header=BB296_2086 Depth=1
	s_wait_alu 0xfffe
	s_or_b32 exec_lo, exec_lo, s21
	v_lshrrev_b32_e32 v2, 16, v13
	v_mov_b32_e32 v19, 0
	s_mov_b32 s21, exec_lo
	s_delay_alu instid0(VALU_DEP_2) | instskip(NEXT) | instid1(VALU_DEP_1)
	v_dual_mov_b32 v22, 0 :: v_dual_and_b32 v33, 0xff, v2
	v_cmpx_ne_u16_e32 0, v33
	s_cbranch_execz .LBB296_2771
; %bb.2764:                             ;   in Loop: Header=BB296_2086 Depth=1
	v_mov_b32_e32 v22, 0x8000
	s_mov_b32 s22, exec_lo
	v_cmpx_ne_u16_e32 0x80, v33
	s_cbranch_execz .LBB296_2770
; %bb.2765:                             ;   in Loop: Header=BB296_2086 Depth=1
	v_bfe_u32 v34, v13, 16, 7
	v_mov_b32_e32 v22, 0x7c01
	s_mov_b32 s23, exec_lo
	s_delay_alu instid0(VALU_DEP_2)
	v_cmpx_ne_u32_e32 0x7f, v34
	s_cbranch_execz .LBB296_2769
; %bb.2766:                             ;   in Loop: Header=BB296_2086 Depth=1
	v_and_b32_e32 v22, 7, v2
	v_lshrrev_b32_e32 v33, 3, v34
	s_mov_b32 s24, exec_lo
	v_cmpx_gt_u32_e32 8, v34
; %bb.2767:                             ;   in Loop: Header=BB296_2086 Depth=1
	s_delay_alu instid0(VALU_DEP_3) | instskip(NEXT) | instid1(VALU_DEP_1)
	v_clz_i32_u32_e32 v22, v22
	v_min_u32_e32 v22, 32, v22
	s_delay_alu instid0(VALU_DEP_1) | instskip(NEXT) | instid1(VALU_DEP_1)
	v_subrev_nc_u32_e32 v33, 28, v22
	v_lshlrev_b64_e32 v[34:35], v33, v[2:3]
	v_sub_nc_u32_e32 v33, 29, v22
	s_delay_alu instid0(VALU_DEP_2)
	v_and_b32_e32 v22, 7, v34
; %bb.2768:                             ;   in Loop: Header=BB296_2086 Depth=1
	s_wait_alu 0xfffe
	s_or_b32 exec_lo, exec_lo, s24
	v_lshlrev_b32_e32 v2, 8, v2
	v_lshl_add_u32 v33, v33, 10, 0x2000
	v_lshlrev_b32_e32 v22, 7, v22
	s_delay_alu instid0(VALU_DEP_3) | instskip(NEXT) | instid1(VALU_DEP_3)
	v_and_b32_e32 v2, 0x8000, v2
	v_and_b32_e32 v33, 0xfc00, v33
	s_delay_alu instid0(VALU_DEP_1)
	v_or3_b32 v22, v2, v33, v22
.LBB296_2769:                           ;   in Loop: Header=BB296_2086 Depth=1
	s_wait_alu 0xfffe
	s_or_b32 exec_lo, exec_lo, s23
.LBB296_2770:                           ;   in Loop: Header=BB296_2086 Depth=1
	s_wait_alu 0xfffe
	s_or_b32 exec_lo, exec_lo, s22
.LBB296_2771:                           ;   in Loop: Header=BB296_2086 Depth=1
	s_wait_alu 0xfffe
	s_or_b32 exec_lo, exec_lo, s21
	s_delay_alu instid0(SALU_CYCLE_1)
	s_mov_b32 s21, exec_lo
	v_cmpx_lt_u32_e32 0xffffff, v13
	s_cbranch_execz .LBB296_2779
; %bb.2772:                             ;   in Loop: Header=BB296_2086 Depth=1
	v_lshrrev_b32_e32 v2, 24, v13
	v_bfrev_b32_e32 v19, 1
	s_mov_b32 s22, exec_lo
	s_delay_alu instid0(VALU_DEP_2)
	v_cmpx_ne_u32_e32 0x80, v2
	s_cbranch_execz .LBB296_2778
; %bb.2773:                             ;   in Loop: Header=BB296_2086 Depth=1
	v_and_b32_e32 v34, 0x7f, v2
	v_mov_b32_e32 v19, 0x7c010000
	s_mov_b32 s23, exec_lo
	s_delay_alu instid0(VALU_DEP_2)
	v_cmpx_ne_u32_e32 0x7f, v34
	s_cbranch_execz .LBB296_2777
; %bb.2774:                             ;   in Loop: Header=BB296_2086 Depth=1
	v_and_b32_e32 v19, 7, v2
	v_lshrrev_b32_e32 v33, 3, v34
	s_mov_b32 s24, exec_lo
	v_cmpx_gt_u32_e32 8, v34
; %bb.2775:                             ;   in Loop: Header=BB296_2086 Depth=1
	s_delay_alu instid0(VALU_DEP_3) | instskip(NEXT) | instid1(VALU_DEP_1)
	v_clz_i32_u32_e32 v19, v19
	v_min_u32_e32 v19, 32, v19
	s_delay_alu instid0(VALU_DEP_1) | instskip(NEXT) | instid1(VALU_DEP_1)
	v_subrev_nc_u32_e32 v33, 28, v19
	v_lshlrev_b64_e32 v[34:35], v33, v[2:3]
	v_sub_nc_u32_e32 v33, 29, v19
	s_delay_alu instid0(VALU_DEP_2)
	v_and_b32_e32 v19, 7, v34
; %bb.2776:                             ;   in Loop: Header=BB296_2086 Depth=1
	s_wait_alu 0xfffe
	s_or_b32 exec_lo, exec_lo, s24
	v_lshlrev_b32_e32 v2, 8, v2
	v_lshl_add_u32 v33, v33, 10, 0x2000
	v_lshlrev_b32_e32 v19, 23, v19
	s_delay_alu instid0(VALU_DEP_2) | instskip(NEXT) | instid1(VALU_DEP_1)
	v_and_or_b32 v2, 0x8000, v2, v33
	v_lshl_or_b32 v19, v2, 16, v19
.LBB296_2777:                           ;   in Loop: Header=BB296_2086 Depth=1
	s_wait_alu 0xfffe
	s_or_b32 exec_lo, exec_lo, s23
.LBB296_2778:                           ;   in Loop: Header=BB296_2086 Depth=1
	s_wait_alu 0xfffe
	s_or_b32 exec_lo, exec_lo, s22
.LBB296_2779:                           ;   in Loop: Header=BB296_2086 Depth=1
	s_wait_alu 0xfffe
	s_or_b32 exec_lo, exec_lo, s21
	v_dual_mov_b32 v2, v14 :: v_dual_and_b32 v35, 0xff, v14
	v_dual_mov_b32 v33, 0 :: v_dual_mov_b32 v34, 0
	s_mov_b32 s21, exec_lo
	s_delay_alu instid0(VALU_DEP_2)
	v_cmpx_ne_u16_e32 0, v35
	s_cbranch_execz .LBB296_2787
; %bb.2780:                             ;   in Loop: Header=BB296_2086 Depth=1
	v_mov_b32_e32 v34, 0x8000
	s_mov_b32 s22, exec_lo
	v_cmpx_ne_u16_e32 0x80, v35
	s_cbranch_execz .LBB296_2786
; %bb.2781:                             ;   in Loop: Header=BB296_2086 Depth=1
	v_and_b32_e32 v36, 0x7f, v14
	v_mov_b32_e32 v34, 0x7c01
	s_mov_b32 s23, exec_lo
	s_delay_alu instid0(VALU_DEP_2)
	v_cmpx_ne_u32_e32 0x7f, v36
	s_cbranch_execz .LBB296_2785
; %bb.2782:                             ;   in Loop: Header=BB296_2086 Depth=1
	v_and_b32_e32 v34, 7, v14
	v_lshrrev_b32_e32 v35, 3, v36
	s_mov_b32 s24, exec_lo
	v_cmpx_gt_u32_e32 8, v36
; %bb.2783:                             ;   in Loop: Header=BB296_2086 Depth=1
	s_delay_alu instid0(VALU_DEP_3) | instskip(NEXT) | instid1(VALU_DEP_1)
	v_clz_i32_u32_e32 v34, v34
	v_min_u32_e32 v36, 32, v34
	s_delay_alu instid0(VALU_DEP_1) | instskip(NEXT) | instid1(VALU_DEP_1)
	v_subrev_nc_u32_e32 v34, 28, v36
	v_lshlrev_b64_e32 v[34:35], v34, v[2:3]
	v_sub_nc_u32_e32 v35, 29, v36
	s_delay_alu instid0(VALU_DEP_2)
	v_and_b32_e32 v34, 7, v34
; %bb.2784:                             ;   in Loop: Header=BB296_2086 Depth=1
	s_wait_alu 0xfffe
	s_or_b32 exec_lo, exec_lo, s24
	v_lshlrev_b32_e32 v36, 8, v14
	v_lshl_add_u32 v35, v35, 10, 0x2000
	v_lshlrev_b32_e32 v34, 7, v34
	s_delay_alu instid0(VALU_DEP_3) | instskip(NEXT) | instid1(VALU_DEP_3)
	v_and_b32_e32 v36, 0x8000, v36
	v_and_b32_e32 v35, 0xfc00, v35
	s_delay_alu instid0(VALU_DEP_1)
	v_or3_b32 v34, v36, v35, v34
.LBB296_2785:                           ;   in Loop: Header=BB296_2086 Depth=1
	s_wait_alu 0xfffe
	s_or_b32 exec_lo, exec_lo, s23
.LBB296_2786:                           ;   in Loop: Header=BB296_2086 Depth=1
	s_wait_alu 0xfffe
	s_or_b32 exec_lo, exec_lo, s22
.LBB296_2787:                           ;   in Loop: Header=BB296_2086 Depth=1
	s_wait_alu 0xfffe
	s_or_b32 exec_lo, exec_lo, s21
	v_lshrrev_b16 v2, 8, v2
	v_mov_b32_e32 v35, 0
	s_mov_b32 s21, exec_lo
	s_delay_alu instid0(VALU_DEP_2)
	v_cmpx_ne_u16_e32 0, v2
	s_cbranch_execz .LBB296_2795
; %bb.2788:                             ;   in Loop: Header=BB296_2086 Depth=1
	v_bfrev_b32_e32 v35, 1
	s_mov_b32 s22, exec_lo
	v_cmpx_ne_u16_e32 0x80, v2
	s_cbranch_execz .LBB296_2794
; %bb.2789:                             ;   in Loop: Header=BB296_2086 Depth=1
	v_and_b32_e32 v36, 0xffff, v2
	v_mov_b32_e32 v35, 0x7c010000
	s_mov_b32 s23, exec_lo
	s_delay_alu instid0(VALU_DEP_2) | instskip(NEXT) | instid1(VALU_DEP_1)
	v_and_b32_e32 v39, 0x7f, v36
	v_cmpx_ne_u32_e32 0x7f, v39
	s_cbranch_execz .LBB296_2793
; %bb.2790:                             ;   in Loop: Header=BB296_2086 Depth=1
	v_and_b32_e32 v35, 7, v36
	v_lshrrev_b32_e32 v38, 3, v39
	s_mov_b32 s24, exec_lo
	v_cmpx_gt_u32_e32 8, v39
; %bb.2791:                             ;   in Loop: Header=BB296_2086 Depth=1
	s_delay_alu instid0(VALU_DEP_3) | instskip(NEXT) | instid1(VALU_DEP_1)
	v_clz_i32_u32_e32 v35, v35
	v_min_u32_e32 v35, 32, v35
	s_delay_alu instid0(VALU_DEP_1) | instskip(NEXT) | instid1(VALU_DEP_1)
	v_subrev_nc_u32_e32 v38, 28, v35
	v_lshlrev_b64_e32 v[49:50], v38, v[2:3]
	v_sub_nc_u32_e32 v38, 29, v35
	s_delay_alu instid0(VALU_DEP_2)
	v_and_b32_e32 v35, 7, v49
; %bb.2792:                             ;   in Loop: Header=BB296_2086 Depth=1
	s_wait_alu 0xfffe
	s_or_b32 exec_lo, exec_lo, s24
	v_lshlrev_b32_e32 v2, 8, v36
	v_lshl_add_u32 v36, v38, 10, 0x2000
	v_lshlrev_b32_e32 v35, 23, v35
	s_delay_alu instid0(VALU_DEP_2) | instskip(NEXT) | instid1(VALU_DEP_1)
	v_and_or_b32 v2, 0x8000, v2, v36
	v_lshl_or_b32 v35, v2, 16, v35
.LBB296_2793:                           ;   in Loop: Header=BB296_2086 Depth=1
	s_wait_alu 0xfffe
	s_or_b32 exec_lo, exec_lo, s23
.LBB296_2794:                           ;   in Loop: Header=BB296_2086 Depth=1
	s_wait_alu 0xfffe
	s_or_b32 exec_lo, exec_lo, s22
.LBB296_2795:                           ;   in Loop: Header=BB296_2086 Depth=1
	s_wait_alu 0xfffe
	s_or_b32 exec_lo, exec_lo, s21
	v_lshrrev_b32_e32 v2, 16, v14
	s_mov_b32 s21, exec_lo
	s_delay_alu instid0(VALU_DEP_1) | instskip(NEXT) | instid1(VALU_DEP_1)
	v_and_b32_e32 v36, 0xff, v2
	v_cmpx_ne_u16_e32 0, v36
	s_cbranch_execz .LBB296_2803
; %bb.2796:                             ;   in Loop: Header=BB296_2086 Depth=1
	v_mov_b32_e32 v33, 0x8000
	s_mov_b32 s22, exec_lo
	v_cmpx_ne_u16_e32 0x80, v36
	s_cbranch_execz .LBB296_2802
; %bb.2797:                             ;   in Loop: Header=BB296_2086 Depth=1
	v_bfe_u32 v38, v14, 16, 7
	v_mov_b32_e32 v33, 0x7c01
	s_mov_b32 s23, exec_lo
	s_delay_alu instid0(VALU_DEP_2)
	v_cmpx_ne_u32_e32 0x7f, v38
	s_cbranch_execz .LBB296_2801
; %bb.2798:                             ;   in Loop: Header=BB296_2086 Depth=1
	v_and_b32_e32 v33, 7, v2
	v_lshrrev_b32_e32 v36, 3, v38
	s_mov_b32 s24, exec_lo
	v_cmpx_gt_u32_e32 8, v38
; %bb.2799:                             ;   in Loop: Header=BB296_2086 Depth=1
	s_delay_alu instid0(VALU_DEP_3) | instskip(NEXT) | instid1(VALU_DEP_1)
	v_clz_i32_u32_e32 v33, v33
	v_min_u32_e32 v33, 32, v33
	s_delay_alu instid0(VALU_DEP_1) | instskip(NEXT) | instid1(VALU_DEP_1)
	v_subrev_nc_u32_e32 v36, 28, v33
	v_lshlrev_b64_e32 v[38:39], v36, v[2:3]
	v_sub_nc_u32_e32 v36, 29, v33
	s_delay_alu instid0(VALU_DEP_2)
	v_and_b32_e32 v33, 7, v38
; %bb.2800:                             ;   in Loop: Header=BB296_2086 Depth=1
	s_wait_alu 0xfffe
	s_or_b32 exec_lo, exec_lo, s24
	v_lshlrev_b32_e32 v2, 8, v2
	v_lshl_add_u32 v36, v36, 10, 0x2000
	v_lshlrev_b32_e32 v33, 7, v33
	s_delay_alu instid0(VALU_DEP_3) | instskip(NEXT) | instid1(VALU_DEP_3)
	v_and_b32_e32 v2, 0x8000, v2
	v_and_b32_e32 v36, 0xfc00, v36
	s_delay_alu instid0(VALU_DEP_1)
	v_or3_b32 v33, v2, v36, v33
.LBB296_2801:                           ;   in Loop: Header=BB296_2086 Depth=1
	s_wait_alu 0xfffe
	s_or_b32 exec_lo, exec_lo, s23
.LBB296_2802:                           ;   in Loop: Header=BB296_2086 Depth=1
	s_wait_alu 0xfffe
	s_or_b32 exec_lo, exec_lo, s22
.LBB296_2803:                           ;   in Loop: Header=BB296_2086 Depth=1
	s_wait_alu 0xfffe
	s_or_b32 exec_lo, exec_lo, s21
	v_cmp_lt_u64_e64 s8, s[16:17], v[13:14]
	v_mov_b32_e32 v13, 0
	s_and_saveexec_b32 s21, s8
	s_cbranch_execz .LBB296_2811
; %bb.2804:                             ;   in Loop: Header=BB296_2086 Depth=1
	v_lshrrev_b32_e32 v2, 24, v14
	v_bfrev_b32_e32 v13, 1
	s_mov_b32 s22, exec_lo
	s_delay_alu instid0(VALU_DEP_2)
	v_cmpx_ne_u32_e32 0x80, v2
	s_cbranch_execz .LBB296_2810
; %bb.2805:                             ;   in Loop: Header=BB296_2086 Depth=1
	v_and_b32_e32 v36, 0x7f, v2
	v_mov_b32_e32 v13, 0x7c010000
	s_mov_b32 s23, exec_lo
	s_delay_alu instid0(VALU_DEP_2)
	v_cmpx_ne_u32_e32 0x7f, v36
	s_cbranch_execz .LBB296_2809
; %bb.2806:                             ;   in Loop: Header=BB296_2086 Depth=1
	v_and_b32_e32 v13, 7, v2
	v_lshrrev_b32_e32 v14, 3, v36
	s_mov_b32 s24, exec_lo
	v_cmpx_gt_u32_e32 8, v36
; %bb.2807:                             ;   in Loop: Header=BB296_2086 Depth=1
	s_delay_alu instid0(VALU_DEP_3) | instskip(NEXT) | instid1(VALU_DEP_1)
	v_clz_i32_u32_e32 v13, v13
	v_min_u32_e32 v36, 32, v13
	s_delay_alu instid0(VALU_DEP_1) | instskip(NEXT) | instid1(VALU_DEP_1)
	v_subrev_nc_u32_e32 v13, 28, v36
	v_lshlrev_b64_e32 v[13:14], v13, v[2:3]
	v_sub_nc_u32_e32 v14, 29, v36
	s_delay_alu instid0(VALU_DEP_2)
	v_and_b32_e32 v13, 7, v13
; %bb.2808:                             ;   in Loop: Header=BB296_2086 Depth=1
	s_wait_alu 0xfffe
	s_or_b32 exec_lo, exec_lo, s24
	v_lshlrev_b32_e32 v2, 8, v2
	v_lshl_add_u32 v14, v14, 10, 0x2000
	v_lshlrev_b32_e32 v13, 23, v13
	s_delay_alu instid0(VALU_DEP_2) | instskip(NEXT) | instid1(VALU_DEP_1)
	v_and_or_b32 v2, 0x8000, v2, v14
	v_lshl_or_b32 v13, v2, 16, v13
.LBB296_2809:                           ;   in Loop: Header=BB296_2086 Depth=1
	s_wait_alu 0xfffe
	s_or_b32 exec_lo, exec_lo, s23
.LBB296_2810:                           ;   in Loop: Header=BB296_2086 Depth=1
	s_wait_alu 0xfffe
	s_or_b32 exec_lo, exec_lo, s22
.LBB296_2811:                           ;   in Loop: Header=BB296_2086 Depth=1
	s_wait_alu 0xfffe
	s_or_b32 exec_lo, exec_lo, s21
	v_or_b32_e32 v2, v19, v22
	s_wait_loadcnt_dscnt 0x0
	v_fma_mixlo_f16 v14, v4, v19, 0 op_sel:[0,1,0] op_sel_hi:[0,1,0]
	v_or_b32_e32 v19, v5, v6
	v_or_b32_e32 v22, v35, v34
	;; [unrolled: 1-line block ×3, first 2 shown]
	v_fma_mixlo_f16 v5, v4, v5, 0 op_sel:[0,1,0] op_sel_hi:[0,1,0]
	v_fma_mixlo_f16 v34, v4, v2, 0 op_sel_hi:[0,1,0]
	v_lshlrev_b32_e32 v2, 16, v14
	v_fma_mixlo_f16 v14, v4, v19, 0 op_sel_hi:[0,1,0]
	v_fma_mixlo_f16 v19, v4, v35, 0 op_sel:[0,1,0] op_sel_hi:[0,1,0]
	v_fma_mixlo_f16 v22, v4, v22, 0 op_sel_hi:[0,1,0]
	v_fma_mixlo_f16 v13, v4, v13, 0 op_sel:[0,1,0] op_sel_hi:[0,1,0]
	v_fma_mixlo_f16 v4, v4, v33, 0 op_sel_hi:[0,1,0]
	v_lshlrev_b32_e32 v6, 16, v5
	v_and_b32_e32 v5, 0xffff, v34
	v_and_b32_e32 v36, 0xffff, v14
	v_lshlrev_b32_e32 v33, 16, v19
	v_and_b32_e32 v35, 0xffff, v22
	v_lshlrev_b32_e32 v22, 16, v13
	v_and_b32_e32 v34, 0xffff, v4
	v_or_b32_e32 v4, v2, v5
	v_or_b32_e32 v19, v6, v36
	;; [unrolled: 1-line block ×3, first 2 shown]
	s_delay_alu instid0(VALU_DEP_4)
	v_or_b32_e32 v13, v22, v34
	s_and_saveexec_b32 s8, s0
	s_cbranch_execz .LBB296_2813
; %bb.2812:                             ;   in Loop: Header=BB296_2086 Depth=1
	s_wait_alu 0xfffd
	v_cndmask_b32_e32 v4, 0, v36, vcc_lo
	v_cndmask_b32_e64 v6, 0, v6, s3
	v_cndmask_b32_e64 v5, 0, v5, s1
	;; [unrolled: 1-line block ×7, first 2 shown]
	v_or_b32_e32 v19, v4, v6
	v_or_b32_e32 v4, v5, v2
	;; [unrolled: 1-line block ×3, first 2 shown]
	s_delay_alu instid0(VALU_DEP_4)
	v_or_b32_e32 v13, v33, v22
.LBB296_2813:                           ;   in Loop: Header=BB296_2086 Depth=1
	s_wait_alu 0xfffe
	s_or_b32 exec_lo, exec_lo, s8
	;;#ASMSTART
	v_pk_mul_f16 v2, v115, v19;

	;;#ASMEND
	;;#ASMSTART
	v_pk_mul_f16 v4, v114, v4;

	;;#ASMEND
	;; [unrolled: 4-line block ×4, first 2 shown]
	;;#ASMSTART
	v_pk_add_f16 v2, v2, v4;

	;;#ASMEND
	;;#ASMSTART
	v_pk_add_f16 v2, v2, v5;

	;;#ASMEND
	;;#ASMSTART
	v_pk_add_f16 v2, v2, v6;

	;;#ASMEND
	v_dual_mov_b32 v5, 0 :: v_dual_and_b32 v4, 0xffff, v2
	v_lshrrev_b32_e32 v2, 16, v2
	;;#ASMSTART
	v_cvt_f32_f16 v148, v4;
	;;#ASMEND
	;;#ASMSTART
	v_cvt_f32_f16 v150, v2;
	;;#ASMEND
	flat_load_b64 v[13:14], v[11:12] offset:2816
	flat_load_b32 v4, v[26:27]
	v_mov_b32_e32 v6, 0
	s_mov_b32 s21, exec_lo
	s_wait_loadcnt_dscnt 0x101
	v_and_b32_e32 v2, 0xff, v13
	s_delay_alu instid0(VALU_DEP_1)
	v_cmpx_ne_u16_e32 0, v2
	s_cbranch_execz .LBB296_2821
; %bb.2814:                             ;   in Loop: Header=BB296_2086 Depth=1
	v_mov_b32_e32 v6, 0x8000
	s_mov_b32 s22, exec_lo
	v_cmpx_ne_u16_e32 0x80, v2
	s_cbranch_execz .LBB296_2820
; %bb.2815:                             ;   in Loop: Header=BB296_2086 Depth=1
	v_and_b32_e32 v19, 0x7f, v13
	v_mov_b32_e32 v6, 0x7c01
	s_mov_b32 s23, exec_lo
	s_delay_alu instid0(VALU_DEP_2)
	v_cmpx_ne_u32_e32 0x7f, v19
	s_cbranch_execz .LBB296_2819
; %bb.2816:                             ;   in Loop: Header=BB296_2086 Depth=1
	v_and_b32_e32 v2, 7, v13
	v_lshrrev_b32_e32 v6, 3, v19
	s_mov_b32 s24, exec_lo
	v_cmpx_gt_u32_e32 8, v19
; %bb.2817:                             ;   in Loop: Header=BB296_2086 Depth=1
	s_delay_alu instid0(VALU_DEP_3) | instskip(NEXT) | instid1(VALU_DEP_1)
	v_clz_i32_u32_e32 v2, v2
	v_min_u32_e32 v2, 32, v2
	s_delay_alu instid0(VALU_DEP_1) | instskip(NEXT) | instid1(VALU_DEP_1)
	v_subrev_nc_u32_e32 v6, 28, v2
	v_lshlrev_b64_e32 v[33:34], v6, v[13:14]
	v_sub_nc_u32_e32 v6, 29, v2
	s_delay_alu instid0(VALU_DEP_2)
	v_and_b32_e32 v2, 7, v33
; %bb.2818:                             ;   in Loop: Header=BB296_2086 Depth=1
	s_wait_alu 0xfffe
	s_or_b32 exec_lo, exec_lo, s24
	v_lshlrev_b32_e32 v19, 8, v13
	v_lshl_add_u32 v6, v6, 10, 0x2000
	v_lshlrev_b32_e32 v2, 7, v2
	s_delay_alu instid0(VALU_DEP_3) | instskip(NEXT) | instid1(VALU_DEP_3)
	v_and_b32_e32 v19, 0x8000, v19
	v_and_b32_e32 v6, 0xfc00, v6
	s_delay_alu instid0(VALU_DEP_1)
	v_or3_b32 v6, v19, v6, v2
.LBB296_2819:                           ;   in Loop: Header=BB296_2086 Depth=1
	s_wait_alu 0xfffe
	s_or_b32 exec_lo, exec_lo, s23
.LBB296_2820:                           ;   in Loop: Header=BB296_2086 Depth=1
	s_wait_alu 0xfffe
	s_or_b32 exec_lo, exec_lo, s22
.LBB296_2821:                           ;   in Loop: Header=BB296_2086 Depth=1
	s_wait_alu 0xfffe
	s_or_b32 exec_lo, exec_lo, s21
	v_lshrrev_b16 v2, 8, v13
	s_mov_b32 s21, exec_lo
	s_delay_alu instid0(VALU_DEP_1)
	v_cmpx_ne_u16_e32 0, v2
	s_cbranch_execz .LBB296_2829
; %bb.2822:                             ;   in Loop: Header=BB296_2086 Depth=1
	v_bfrev_b32_e32 v5, 1
	s_mov_b32 s22, exec_lo
	v_cmpx_ne_u16_e32 0x80, v2
	s_cbranch_execz .LBB296_2828
; %bb.2823:                             ;   in Loop: Header=BB296_2086 Depth=1
	v_and_b32_e32 v19, 0xffff, v2
	v_mov_b32_e32 v5, 0x7c010000
	s_mov_b32 s23, exec_lo
	s_delay_alu instid0(VALU_DEP_2) | instskip(NEXT) | instid1(VALU_DEP_1)
	v_and_b32_e32 v33, 0x7f, v19
	v_cmpx_ne_u32_e32 0x7f, v33
	s_cbranch_execz .LBB296_2827
; %bb.2824:                             ;   in Loop: Header=BB296_2086 Depth=1
	v_and_b32_e32 v5, 7, v19
	v_lshrrev_b32_e32 v22, 3, v33
	s_mov_b32 s24, exec_lo
	v_cmpx_gt_u32_e32 8, v33
; %bb.2825:                             ;   in Loop: Header=BB296_2086 Depth=1
	s_delay_alu instid0(VALU_DEP_3) | instskip(NEXT) | instid1(VALU_DEP_1)
	v_clz_i32_u32_e32 v5, v5
	v_min_u32_e32 v5, 32, v5
	s_delay_alu instid0(VALU_DEP_1) | instskip(NEXT) | instid1(VALU_DEP_1)
	v_subrev_nc_u32_e32 v22, 28, v5
	v_lshlrev_b64_e32 v[33:34], v22, v[2:3]
	v_sub_nc_u32_e32 v22, 29, v5
	s_delay_alu instid0(VALU_DEP_2)
	v_and_b32_e32 v5, 7, v33
; %bb.2826:                             ;   in Loop: Header=BB296_2086 Depth=1
	s_wait_alu 0xfffe
	s_or_b32 exec_lo, exec_lo, s24
	v_lshlrev_b32_e32 v2, 8, v19
	v_lshl_add_u32 v19, v22, 10, 0x2000
	v_lshlrev_b32_e32 v5, 23, v5
	s_delay_alu instid0(VALU_DEP_2) | instskip(NEXT) | instid1(VALU_DEP_1)
	v_and_or_b32 v2, 0x8000, v2, v19
	v_lshl_or_b32 v5, v2, 16, v5
.LBB296_2827:                           ;   in Loop: Header=BB296_2086 Depth=1
	s_wait_alu 0xfffe
	s_or_b32 exec_lo, exec_lo, s23
.LBB296_2828:                           ;   in Loop: Header=BB296_2086 Depth=1
	s_wait_alu 0xfffe
	s_or_b32 exec_lo, exec_lo, s22
.LBB296_2829:                           ;   in Loop: Header=BB296_2086 Depth=1
	s_wait_alu 0xfffe
	s_or_b32 exec_lo, exec_lo, s21
	v_lshrrev_b32_e32 v2, 16, v13
	v_mov_b32_e32 v19, 0
	s_mov_b32 s21, exec_lo
	s_delay_alu instid0(VALU_DEP_2) | instskip(NEXT) | instid1(VALU_DEP_1)
	v_dual_mov_b32 v22, 0 :: v_dual_and_b32 v33, 0xff, v2
	v_cmpx_ne_u16_e32 0, v33
	s_cbranch_execz .LBB296_2837
; %bb.2830:                             ;   in Loop: Header=BB296_2086 Depth=1
	v_mov_b32_e32 v22, 0x8000
	s_mov_b32 s22, exec_lo
	v_cmpx_ne_u16_e32 0x80, v33
	s_cbranch_execz .LBB296_2836
; %bb.2831:                             ;   in Loop: Header=BB296_2086 Depth=1
	v_bfe_u32 v34, v13, 16, 7
	v_mov_b32_e32 v22, 0x7c01
	s_mov_b32 s23, exec_lo
	s_delay_alu instid0(VALU_DEP_2)
	v_cmpx_ne_u32_e32 0x7f, v34
	s_cbranch_execz .LBB296_2835
; %bb.2832:                             ;   in Loop: Header=BB296_2086 Depth=1
	v_and_b32_e32 v22, 7, v2
	v_lshrrev_b32_e32 v33, 3, v34
	s_mov_b32 s24, exec_lo
	v_cmpx_gt_u32_e32 8, v34
; %bb.2833:                             ;   in Loop: Header=BB296_2086 Depth=1
	s_delay_alu instid0(VALU_DEP_3) | instskip(NEXT) | instid1(VALU_DEP_1)
	v_clz_i32_u32_e32 v22, v22
	v_min_u32_e32 v22, 32, v22
	s_delay_alu instid0(VALU_DEP_1) | instskip(NEXT) | instid1(VALU_DEP_1)
	v_subrev_nc_u32_e32 v33, 28, v22
	v_lshlrev_b64_e32 v[34:35], v33, v[2:3]
	v_sub_nc_u32_e32 v33, 29, v22
	s_delay_alu instid0(VALU_DEP_2)
	v_and_b32_e32 v22, 7, v34
; %bb.2834:                             ;   in Loop: Header=BB296_2086 Depth=1
	s_wait_alu 0xfffe
	s_or_b32 exec_lo, exec_lo, s24
	v_lshlrev_b32_e32 v2, 8, v2
	v_lshl_add_u32 v33, v33, 10, 0x2000
	v_lshlrev_b32_e32 v22, 7, v22
	s_delay_alu instid0(VALU_DEP_3) | instskip(NEXT) | instid1(VALU_DEP_3)
	v_and_b32_e32 v2, 0x8000, v2
	v_and_b32_e32 v33, 0xfc00, v33
	s_delay_alu instid0(VALU_DEP_1)
	v_or3_b32 v22, v2, v33, v22
.LBB296_2835:                           ;   in Loop: Header=BB296_2086 Depth=1
	s_wait_alu 0xfffe
	s_or_b32 exec_lo, exec_lo, s23
.LBB296_2836:                           ;   in Loop: Header=BB296_2086 Depth=1
	s_wait_alu 0xfffe
	s_or_b32 exec_lo, exec_lo, s22
.LBB296_2837:                           ;   in Loop: Header=BB296_2086 Depth=1
	s_wait_alu 0xfffe
	s_or_b32 exec_lo, exec_lo, s21
	s_delay_alu instid0(SALU_CYCLE_1)
	s_mov_b32 s21, exec_lo
	v_cmpx_lt_u32_e32 0xffffff, v13
	s_cbranch_execz .LBB296_2845
; %bb.2838:                             ;   in Loop: Header=BB296_2086 Depth=1
	v_lshrrev_b32_e32 v2, 24, v13
	v_bfrev_b32_e32 v19, 1
	s_mov_b32 s22, exec_lo
	s_delay_alu instid0(VALU_DEP_2)
	v_cmpx_ne_u32_e32 0x80, v2
	s_cbranch_execz .LBB296_2844
; %bb.2839:                             ;   in Loop: Header=BB296_2086 Depth=1
	v_and_b32_e32 v34, 0x7f, v2
	v_mov_b32_e32 v19, 0x7c010000
	s_mov_b32 s23, exec_lo
	s_delay_alu instid0(VALU_DEP_2)
	v_cmpx_ne_u32_e32 0x7f, v34
	s_cbranch_execz .LBB296_2843
; %bb.2840:                             ;   in Loop: Header=BB296_2086 Depth=1
	v_and_b32_e32 v19, 7, v2
	v_lshrrev_b32_e32 v33, 3, v34
	s_mov_b32 s24, exec_lo
	v_cmpx_gt_u32_e32 8, v34
; %bb.2841:                             ;   in Loop: Header=BB296_2086 Depth=1
	s_delay_alu instid0(VALU_DEP_3) | instskip(NEXT) | instid1(VALU_DEP_1)
	v_clz_i32_u32_e32 v19, v19
	v_min_u32_e32 v19, 32, v19
	s_delay_alu instid0(VALU_DEP_1) | instskip(NEXT) | instid1(VALU_DEP_1)
	v_subrev_nc_u32_e32 v33, 28, v19
	v_lshlrev_b64_e32 v[34:35], v33, v[2:3]
	v_sub_nc_u32_e32 v33, 29, v19
	s_delay_alu instid0(VALU_DEP_2)
	v_and_b32_e32 v19, 7, v34
; %bb.2842:                             ;   in Loop: Header=BB296_2086 Depth=1
	s_wait_alu 0xfffe
	s_or_b32 exec_lo, exec_lo, s24
	v_lshlrev_b32_e32 v2, 8, v2
	v_lshl_add_u32 v33, v33, 10, 0x2000
	v_lshlrev_b32_e32 v19, 23, v19
	s_delay_alu instid0(VALU_DEP_2) | instskip(NEXT) | instid1(VALU_DEP_1)
	v_and_or_b32 v2, 0x8000, v2, v33
	v_lshl_or_b32 v19, v2, 16, v19
.LBB296_2843:                           ;   in Loop: Header=BB296_2086 Depth=1
	s_wait_alu 0xfffe
	s_or_b32 exec_lo, exec_lo, s23
.LBB296_2844:                           ;   in Loop: Header=BB296_2086 Depth=1
	s_wait_alu 0xfffe
	s_or_b32 exec_lo, exec_lo, s22
.LBB296_2845:                           ;   in Loop: Header=BB296_2086 Depth=1
	s_wait_alu 0xfffe
	s_or_b32 exec_lo, exec_lo, s21
	v_dual_mov_b32 v2, v14 :: v_dual_and_b32 v35, 0xff, v14
	v_dual_mov_b32 v33, 0 :: v_dual_mov_b32 v34, 0
	s_mov_b32 s21, exec_lo
	s_delay_alu instid0(VALU_DEP_2)
	v_cmpx_ne_u16_e32 0, v35
	s_cbranch_execz .LBB296_2853
; %bb.2846:                             ;   in Loop: Header=BB296_2086 Depth=1
	v_mov_b32_e32 v34, 0x8000
	s_mov_b32 s22, exec_lo
	v_cmpx_ne_u16_e32 0x80, v35
	s_cbranch_execz .LBB296_2852
; %bb.2847:                             ;   in Loop: Header=BB296_2086 Depth=1
	v_and_b32_e32 v36, 0x7f, v14
	v_mov_b32_e32 v34, 0x7c01
	s_mov_b32 s23, exec_lo
	s_delay_alu instid0(VALU_DEP_2)
	v_cmpx_ne_u32_e32 0x7f, v36
	s_cbranch_execz .LBB296_2851
; %bb.2848:                             ;   in Loop: Header=BB296_2086 Depth=1
	v_and_b32_e32 v34, 7, v14
	v_lshrrev_b32_e32 v35, 3, v36
	s_mov_b32 s24, exec_lo
	v_cmpx_gt_u32_e32 8, v36
; %bb.2849:                             ;   in Loop: Header=BB296_2086 Depth=1
	s_delay_alu instid0(VALU_DEP_3) | instskip(NEXT) | instid1(VALU_DEP_1)
	v_clz_i32_u32_e32 v34, v34
	v_min_u32_e32 v36, 32, v34
	s_delay_alu instid0(VALU_DEP_1) | instskip(NEXT) | instid1(VALU_DEP_1)
	v_subrev_nc_u32_e32 v34, 28, v36
	v_lshlrev_b64_e32 v[34:35], v34, v[2:3]
	v_sub_nc_u32_e32 v35, 29, v36
	s_delay_alu instid0(VALU_DEP_2)
	v_and_b32_e32 v34, 7, v34
; %bb.2850:                             ;   in Loop: Header=BB296_2086 Depth=1
	s_wait_alu 0xfffe
	s_or_b32 exec_lo, exec_lo, s24
	v_lshlrev_b32_e32 v36, 8, v14
	v_lshl_add_u32 v35, v35, 10, 0x2000
	v_lshlrev_b32_e32 v34, 7, v34
	s_delay_alu instid0(VALU_DEP_3) | instskip(NEXT) | instid1(VALU_DEP_3)
	v_and_b32_e32 v36, 0x8000, v36
	v_and_b32_e32 v35, 0xfc00, v35
	s_delay_alu instid0(VALU_DEP_1)
	v_or3_b32 v34, v36, v35, v34
.LBB296_2851:                           ;   in Loop: Header=BB296_2086 Depth=1
	s_wait_alu 0xfffe
	s_or_b32 exec_lo, exec_lo, s23
.LBB296_2852:                           ;   in Loop: Header=BB296_2086 Depth=1
	s_wait_alu 0xfffe
	s_or_b32 exec_lo, exec_lo, s22
.LBB296_2853:                           ;   in Loop: Header=BB296_2086 Depth=1
	s_wait_alu 0xfffe
	s_or_b32 exec_lo, exec_lo, s21
	v_lshrrev_b16 v2, 8, v2
	v_mov_b32_e32 v35, 0
	s_mov_b32 s21, exec_lo
	s_delay_alu instid0(VALU_DEP_2)
	v_cmpx_ne_u16_e32 0, v2
	s_cbranch_execz .LBB296_2861
; %bb.2854:                             ;   in Loop: Header=BB296_2086 Depth=1
	v_bfrev_b32_e32 v35, 1
	s_mov_b32 s22, exec_lo
	v_cmpx_ne_u16_e32 0x80, v2
	s_cbranch_execz .LBB296_2860
; %bb.2855:                             ;   in Loop: Header=BB296_2086 Depth=1
	v_and_b32_e32 v36, 0xffff, v2
	v_mov_b32_e32 v35, 0x7c010000
	s_mov_b32 s23, exec_lo
	s_delay_alu instid0(VALU_DEP_2) | instskip(NEXT) | instid1(VALU_DEP_1)
	v_and_b32_e32 v39, 0x7f, v36
	v_cmpx_ne_u32_e32 0x7f, v39
	s_cbranch_execz .LBB296_2859
; %bb.2856:                             ;   in Loop: Header=BB296_2086 Depth=1
	v_and_b32_e32 v35, 7, v36
	v_lshrrev_b32_e32 v38, 3, v39
	s_mov_b32 s24, exec_lo
	v_cmpx_gt_u32_e32 8, v39
; %bb.2857:                             ;   in Loop: Header=BB296_2086 Depth=1
	s_delay_alu instid0(VALU_DEP_3) | instskip(NEXT) | instid1(VALU_DEP_1)
	v_clz_i32_u32_e32 v35, v35
	v_min_u32_e32 v35, 32, v35
	s_delay_alu instid0(VALU_DEP_1) | instskip(NEXT) | instid1(VALU_DEP_1)
	v_subrev_nc_u32_e32 v38, 28, v35
	v_lshlrev_b64_e32 v[49:50], v38, v[2:3]
	v_sub_nc_u32_e32 v38, 29, v35
	s_delay_alu instid0(VALU_DEP_2)
	v_and_b32_e32 v35, 7, v49
; %bb.2858:                             ;   in Loop: Header=BB296_2086 Depth=1
	s_wait_alu 0xfffe
	s_or_b32 exec_lo, exec_lo, s24
	v_lshlrev_b32_e32 v2, 8, v36
	v_lshl_add_u32 v36, v38, 10, 0x2000
	v_lshlrev_b32_e32 v35, 23, v35
	s_delay_alu instid0(VALU_DEP_2) | instskip(NEXT) | instid1(VALU_DEP_1)
	v_and_or_b32 v2, 0x8000, v2, v36
	v_lshl_or_b32 v35, v2, 16, v35
.LBB296_2859:                           ;   in Loop: Header=BB296_2086 Depth=1
	s_wait_alu 0xfffe
	s_or_b32 exec_lo, exec_lo, s23
.LBB296_2860:                           ;   in Loop: Header=BB296_2086 Depth=1
	s_wait_alu 0xfffe
	s_or_b32 exec_lo, exec_lo, s22
.LBB296_2861:                           ;   in Loop: Header=BB296_2086 Depth=1
	s_wait_alu 0xfffe
	s_or_b32 exec_lo, exec_lo, s21
	v_lshrrev_b32_e32 v2, 16, v14
	s_mov_b32 s21, exec_lo
	s_delay_alu instid0(VALU_DEP_1) | instskip(NEXT) | instid1(VALU_DEP_1)
	v_and_b32_e32 v36, 0xff, v2
	v_cmpx_ne_u16_e32 0, v36
	s_cbranch_execz .LBB296_2869
; %bb.2862:                             ;   in Loop: Header=BB296_2086 Depth=1
	v_mov_b32_e32 v33, 0x8000
	s_mov_b32 s22, exec_lo
	v_cmpx_ne_u16_e32 0x80, v36
	s_cbranch_execz .LBB296_2868
; %bb.2863:                             ;   in Loop: Header=BB296_2086 Depth=1
	v_bfe_u32 v38, v14, 16, 7
	v_mov_b32_e32 v33, 0x7c01
	s_mov_b32 s23, exec_lo
	s_delay_alu instid0(VALU_DEP_2)
	v_cmpx_ne_u32_e32 0x7f, v38
	s_cbranch_execz .LBB296_2867
; %bb.2864:                             ;   in Loop: Header=BB296_2086 Depth=1
	v_and_b32_e32 v33, 7, v2
	v_lshrrev_b32_e32 v36, 3, v38
	s_mov_b32 s24, exec_lo
	v_cmpx_gt_u32_e32 8, v38
; %bb.2865:                             ;   in Loop: Header=BB296_2086 Depth=1
	s_delay_alu instid0(VALU_DEP_3) | instskip(NEXT) | instid1(VALU_DEP_1)
	v_clz_i32_u32_e32 v33, v33
	v_min_u32_e32 v33, 32, v33
	s_delay_alu instid0(VALU_DEP_1) | instskip(NEXT) | instid1(VALU_DEP_1)
	v_subrev_nc_u32_e32 v36, 28, v33
	v_lshlrev_b64_e32 v[38:39], v36, v[2:3]
	v_sub_nc_u32_e32 v36, 29, v33
	s_delay_alu instid0(VALU_DEP_2)
	v_and_b32_e32 v33, 7, v38
; %bb.2866:                             ;   in Loop: Header=BB296_2086 Depth=1
	s_wait_alu 0xfffe
	s_or_b32 exec_lo, exec_lo, s24
	v_lshlrev_b32_e32 v2, 8, v2
	v_lshl_add_u32 v36, v36, 10, 0x2000
	v_lshlrev_b32_e32 v33, 7, v33
	s_delay_alu instid0(VALU_DEP_3) | instskip(NEXT) | instid1(VALU_DEP_3)
	v_and_b32_e32 v2, 0x8000, v2
	v_and_b32_e32 v36, 0xfc00, v36
	s_delay_alu instid0(VALU_DEP_1)
	v_or3_b32 v33, v2, v36, v33
.LBB296_2867:                           ;   in Loop: Header=BB296_2086 Depth=1
	s_wait_alu 0xfffe
	s_or_b32 exec_lo, exec_lo, s23
.LBB296_2868:                           ;   in Loop: Header=BB296_2086 Depth=1
	s_wait_alu 0xfffe
	s_or_b32 exec_lo, exec_lo, s22
.LBB296_2869:                           ;   in Loop: Header=BB296_2086 Depth=1
	s_wait_alu 0xfffe
	s_or_b32 exec_lo, exec_lo, s21
	v_cmp_lt_u64_e64 s8, s[16:17], v[13:14]
	v_mov_b32_e32 v13, 0
	s_and_saveexec_b32 s21, s8
	s_cbranch_execz .LBB296_2877
; %bb.2870:                             ;   in Loop: Header=BB296_2086 Depth=1
	v_lshrrev_b32_e32 v2, 24, v14
	v_bfrev_b32_e32 v13, 1
	s_mov_b32 s22, exec_lo
	s_delay_alu instid0(VALU_DEP_2)
	v_cmpx_ne_u32_e32 0x80, v2
	s_cbranch_execz .LBB296_2876
; %bb.2871:                             ;   in Loop: Header=BB296_2086 Depth=1
	v_and_b32_e32 v36, 0x7f, v2
	v_mov_b32_e32 v13, 0x7c010000
	s_mov_b32 s23, exec_lo
	s_delay_alu instid0(VALU_DEP_2)
	v_cmpx_ne_u32_e32 0x7f, v36
	s_cbranch_execz .LBB296_2875
; %bb.2872:                             ;   in Loop: Header=BB296_2086 Depth=1
	v_and_b32_e32 v13, 7, v2
	v_lshrrev_b32_e32 v14, 3, v36
	s_mov_b32 s24, exec_lo
	v_cmpx_gt_u32_e32 8, v36
; %bb.2873:                             ;   in Loop: Header=BB296_2086 Depth=1
	s_delay_alu instid0(VALU_DEP_3) | instskip(NEXT) | instid1(VALU_DEP_1)
	v_clz_i32_u32_e32 v13, v13
	v_min_u32_e32 v36, 32, v13
	s_delay_alu instid0(VALU_DEP_1) | instskip(NEXT) | instid1(VALU_DEP_1)
	v_subrev_nc_u32_e32 v13, 28, v36
	v_lshlrev_b64_e32 v[13:14], v13, v[2:3]
	v_sub_nc_u32_e32 v14, 29, v36
	s_delay_alu instid0(VALU_DEP_2)
	v_and_b32_e32 v13, 7, v13
; %bb.2874:                             ;   in Loop: Header=BB296_2086 Depth=1
	s_wait_alu 0xfffe
	s_or_b32 exec_lo, exec_lo, s24
	v_lshlrev_b32_e32 v2, 8, v2
	v_lshl_add_u32 v14, v14, 10, 0x2000
	v_lshlrev_b32_e32 v13, 23, v13
	s_delay_alu instid0(VALU_DEP_2) | instskip(NEXT) | instid1(VALU_DEP_1)
	v_and_or_b32 v2, 0x8000, v2, v14
	v_lshl_or_b32 v13, v2, 16, v13
.LBB296_2875:                           ;   in Loop: Header=BB296_2086 Depth=1
	s_wait_alu 0xfffe
	s_or_b32 exec_lo, exec_lo, s23
.LBB296_2876:                           ;   in Loop: Header=BB296_2086 Depth=1
	s_wait_alu 0xfffe
	s_or_b32 exec_lo, exec_lo, s22
.LBB296_2877:                           ;   in Loop: Header=BB296_2086 Depth=1
	s_wait_alu 0xfffe
	s_or_b32 exec_lo, exec_lo, s21
	v_or_b32_e32 v2, v19, v22
	s_wait_loadcnt_dscnt 0x0
	v_fma_mixlo_f16 v14, v4, v19, 0 op_sel:[0,1,0] op_sel_hi:[0,1,0]
	v_or_b32_e32 v19, v5, v6
	v_or_b32_e32 v22, v35, v34
	;; [unrolled: 1-line block ×3, first 2 shown]
	v_fma_mixlo_f16 v5, v4, v5, 0 op_sel:[0,1,0] op_sel_hi:[0,1,0]
	v_fma_mixlo_f16 v34, v4, v2, 0 op_sel_hi:[0,1,0]
	v_lshlrev_b32_e32 v2, 16, v14
	v_fma_mixlo_f16 v14, v4, v19, 0 op_sel_hi:[0,1,0]
	v_fma_mixlo_f16 v19, v4, v35, 0 op_sel:[0,1,0] op_sel_hi:[0,1,0]
	v_fma_mixlo_f16 v22, v4, v22, 0 op_sel_hi:[0,1,0]
	v_fma_mixlo_f16 v13, v4, v13, 0 op_sel:[0,1,0] op_sel_hi:[0,1,0]
	v_fma_mixlo_f16 v4, v4, v33, 0 op_sel_hi:[0,1,0]
	v_lshlrev_b32_e32 v6, 16, v5
	v_and_b32_e32 v5, 0xffff, v34
	v_and_b32_e32 v36, 0xffff, v14
	v_lshlrev_b32_e32 v33, 16, v19
	v_and_b32_e32 v35, 0xffff, v22
	v_lshlrev_b32_e32 v22, 16, v13
	v_and_b32_e32 v34, 0xffff, v4
	v_or_b32_e32 v4, v2, v5
	v_or_b32_e32 v19, v6, v36
	;; [unrolled: 1-line block ×3, first 2 shown]
	s_delay_alu instid0(VALU_DEP_4)
	v_or_b32_e32 v13, v22, v34
	s_and_saveexec_b32 s8, s0
	s_cbranch_execz .LBB296_2879
; %bb.2878:                             ;   in Loop: Header=BB296_2086 Depth=1
	s_wait_alu 0xfffd
	v_cndmask_b32_e32 v4, 0, v36, vcc_lo
	v_cndmask_b32_e64 v6, 0, v6, s3
	v_cndmask_b32_e64 v5, 0, v5, s1
	;; [unrolled: 1-line block ×7, first 2 shown]
	v_or_b32_e32 v19, v4, v6
	v_or_b32_e32 v4, v5, v2
	;; [unrolled: 1-line block ×3, first 2 shown]
	s_delay_alu instid0(VALU_DEP_4)
	v_or_b32_e32 v13, v33, v22
.LBB296_2879:                           ;   in Loop: Header=BB296_2086 Depth=1
	s_wait_alu 0xfffe
	s_or_b32 exec_lo, exec_lo, s8
	;;#ASMSTART
	v_pk_mul_f16 v2, v115, v19;

	;;#ASMEND
	;;#ASMSTART
	v_pk_mul_f16 v4, v114, v4;

	;;#ASMEND
	;; [unrolled: 4-line block ×4, first 2 shown]
	;;#ASMSTART
	v_pk_add_f16 v2, v2, v4;

	;;#ASMEND
	;;#ASMSTART
	v_pk_add_f16 v2, v2, v5;

	;;#ASMEND
	;; [unrolled: 4-line block ×3, first 2 shown]
	v_dual_mov_b32 v5, 0 :: v_dual_and_b32 v4, 0xffff, v2
	v_lshrrev_b32_e32 v2, 16, v2
	;;#ASMSTART
	v_cvt_f32_f16 v160, v4;
	;;#ASMEND
	;;#ASMSTART
	v_cvt_f32_f16 v161, v2;
	;;#ASMEND
	flat_load_b64 v[13:14], v[11:12] offset:3072
	flat_load_b32 v4, v[26:27]
	v_mov_b32_e32 v6, 0
	s_mov_b32 s21, exec_lo
	s_wait_loadcnt_dscnt 0x101
	v_and_b32_e32 v2, 0xff, v13
	s_delay_alu instid0(VALU_DEP_1)
	v_cmpx_ne_u16_e32 0, v2
	s_cbranch_execz .LBB296_2887
; %bb.2880:                             ;   in Loop: Header=BB296_2086 Depth=1
	v_mov_b32_e32 v6, 0x8000
	s_mov_b32 s22, exec_lo
	v_cmpx_ne_u16_e32 0x80, v2
	s_cbranch_execz .LBB296_2886
; %bb.2881:                             ;   in Loop: Header=BB296_2086 Depth=1
	v_and_b32_e32 v19, 0x7f, v13
	v_mov_b32_e32 v6, 0x7c01
	s_mov_b32 s23, exec_lo
	s_delay_alu instid0(VALU_DEP_2)
	v_cmpx_ne_u32_e32 0x7f, v19
	s_cbranch_execz .LBB296_2885
; %bb.2882:                             ;   in Loop: Header=BB296_2086 Depth=1
	v_and_b32_e32 v2, 7, v13
	v_lshrrev_b32_e32 v6, 3, v19
	s_mov_b32 s24, exec_lo
	v_cmpx_gt_u32_e32 8, v19
; %bb.2883:                             ;   in Loop: Header=BB296_2086 Depth=1
	s_delay_alu instid0(VALU_DEP_3) | instskip(NEXT) | instid1(VALU_DEP_1)
	v_clz_i32_u32_e32 v2, v2
	v_min_u32_e32 v2, 32, v2
	s_delay_alu instid0(VALU_DEP_1) | instskip(NEXT) | instid1(VALU_DEP_1)
	v_subrev_nc_u32_e32 v6, 28, v2
	v_lshlrev_b64_e32 v[33:34], v6, v[13:14]
	v_sub_nc_u32_e32 v6, 29, v2
	s_delay_alu instid0(VALU_DEP_2)
	v_and_b32_e32 v2, 7, v33
; %bb.2884:                             ;   in Loop: Header=BB296_2086 Depth=1
	s_wait_alu 0xfffe
	s_or_b32 exec_lo, exec_lo, s24
	v_lshlrev_b32_e32 v19, 8, v13
	v_lshl_add_u32 v6, v6, 10, 0x2000
	v_lshlrev_b32_e32 v2, 7, v2
	s_delay_alu instid0(VALU_DEP_3) | instskip(NEXT) | instid1(VALU_DEP_3)
	v_and_b32_e32 v19, 0x8000, v19
	v_and_b32_e32 v6, 0xfc00, v6
	s_delay_alu instid0(VALU_DEP_1)
	v_or3_b32 v6, v19, v6, v2
.LBB296_2885:                           ;   in Loop: Header=BB296_2086 Depth=1
	s_wait_alu 0xfffe
	s_or_b32 exec_lo, exec_lo, s23
.LBB296_2886:                           ;   in Loop: Header=BB296_2086 Depth=1
	s_wait_alu 0xfffe
	s_or_b32 exec_lo, exec_lo, s22
.LBB296_2887:                           ;   in Loop: Header=BB296_2086 Depth=1
	s_wait_alu 0xfffe
	s_or_b32 exec_lo, exec_lo, s21
	v_lshrrev_b16 v2, 8, v13
	s_mov_b32 s21, exec_lo
	s_delay_alu instid0(VALU_DEP_1)
	v_cmpx_ne_u16_e32 0, v2
	s_cbranch_execz .LBB296_2895
; %bb.2888:                             ;   in Loop: Header=BB296_2086 Depth=1
	v_bfrev_b32_e32 v5, 1
	s_mov_b32 s22, exec_lo
	v_cmpx_ne_u16_e32 0x80, v2
	s_cbranch_execz .LBB296_2894
; %bb.2889:                             ;   in Loop: Header=BB296_2086 Depth=1
	v_and_b32_e32 v19, 0xffff, v2
	v_mov_b32_e32 v5, 0x7c010000
	s_mov_b32 s23, exec_lo
	s_delay_alu instid0(VALU_DEP_2) | instskip(NEXT) | instid1(VALU_DEP_1)
	v_and_b32_e32 v33, 0x7f, v19
	v_cmpx_ne_u32_e32 0x7f, v33
	s_cbranch_execz .LBB296_2893
; %bb.2890:                             ;   in Loop: Header=BB296_2086 Depth=1
	v_and_b32_e32 v5, 7, v19
	v_lshrrev_b32_e32 v22, 3, v33
	s_mov_b32 s24, exec_lo
	v_cmpx_gt_u32_e32 8, v33
; %bb.2891:                             ;   in Loop: Header=BB296_2086 Depth=1
	s_delay_alu instid0(VALU_DEP_3) | instskip(NEXT) | instid1(VALU_DEP_1)
	v_clz_i32_u32_e32 v5, v5
	v_min_u32_e32 v5, 32, v5
	s_delay_alu instid0(VALU_DEP_1) | instskip(NEXT) | instid1(VALU_DEP_1)
	v_subrev_nc_u32_e32 v22, 28, v5
	v_lshlrev_b64_e32 v[33:34], v22, v[2:3]
	v_sub_nc_u32_e32 v22, 29, v5
	s_delay_alu instid0(VALU_DEP_2)
	v_and_b32_e32 v5, 7, v33
; %bb.2892:                             ;   in Loop: Header=BB296_2086 Depth=1
	s_wait_alu 0xfffe
	s_or_b32 exec_lo, exec_lo, s24
	v_lshlrev_b32_e32 v2, 8, v19
	v_lshl_add_u32 v19, v22, 10, 0x2000
	v_lshlrev_b32_e32 v5, 23, v5
	s_delay_alu instid0(VALU_DEP_2) | instskip(NEXT) | instid1(VALU_DEP_1)
	v_and_or_b32 v2, 0x8000, v2, v19
	v_lshl_or_b32 v5, v2, 16, v5
.LBB296_2893:                           ;   in Loop: Header=BB296_2086 Depth=1
	s_wait_alu 0xfffe
	s_or_b32 exec_lo, exec_lo, s23
.LBB296_2894:                           ;   in Loop: Header=BB296_2086 Depth=1
	s_wait_alu 0xfffe
	s_or_b32 exec_lo, exec_lo, s22
.LBB296_2895:                           ;   in Loop: Header=BB296_2086 Depth=1
	s_wait_alu 0xfffe
	s_or_b32 exec_lo, exec_lo, s21
	v_lshrrev_b32_e32 v2, 16, v13
	v_mov_b32_e32 v19, 0
	s_mov_b32 s21, exec_lo
	s_delay_alu instid0(VALU_DEP_2) | instskip(NEXT) | instid1(VALU_DEP_1)
	v_dual_mov_b32 v22, 0 :: v_dual_and_b32 v33, 0xff, v2
	v_cmpx_ne_u16_e32 0, v33
	s_cbranch_execz .LBB296_2903
; %bb.2896:                             ;   in Loop: Header=BB296_2086 Depth=1
	v_mov_b32_e32 v22, 0x8000
	s_mov_b32 s22, exec_lo
	v_cmpx_ne_u16_e32 0x80, v33
	s_cbranch_execz .LBB296_2902
; %bb.2897:                             ;   in Loop: Header=BB296_2086 Depth=1
	v_bfe_u32 v34, v13, 16, 7
	v_mov_b32_e32 v22, 0x7c01
	s_mov_b32 s23, exec_lo
	s_delay_alu instid0(VALU_DEP_2)
	v_cmpx_ne_u32_e32 0x7f, v34
	s_cbranch_execz .LBB296_2901
; %bb.2898:                             ;   in Loop: Header=BB296_2086 Depth=1
	v_and_b32_e32 v22, 7, v2
	v_lshrrev_b32_e32 v33, 3, v34
	s_mov_b32 s24, exec_lo
	v_cmpx_gt_u32_e32 8, v34
; %bb.2899:                             ;   in Loop: Header=BB296_2086 Depth=1
	s_delay_alu instid0(VALU_DEP_3) | instskip(NEXT) | instid1(VALU_DEP_1)
	v_clz_i32_u32_e32 v22, v22
	v_min_u32_e32 v22, 32, v22
	s_delay_alu instid0(VALU_DEP_1) | instskip(NEXT) | instid1(VALU_DEP_1)
	v_subrev_nc_u32_e32 v33, 28, v22
	v_lshlrev_b64_e32 v[34:35], v33, v[2:3]
	v_sub_nc_u32_e32 v33, 29, v22
	s_delay_alu instid0(VALU_DEP_2)
	v_and_b32_e32 v22, 7, v34
; %bb.2900:                             ;   in Loop: Header=BB296_2086 Depth=1
	s_wait_alu 0xfffe
	s_or_b32 exec_lo, exec_lo, s24
	v_lshlrev_b32_e32 v2, 8, v2
	v_lshl_add_u32 v33, v33, 10, 0x2000
	v_lshlrev_b32_e32 v22, 7, v22
	s_delay_alu instid0(VALU_DEP_3) | instskip(NEXT) | instid1(VALU_DEP_3)
	v_and_b32_e32 v2, 0x8000, v2
	v_and_b32_e32 v33, 0xfc00, v33
	s_delay_alu instid0(VALU_DEP_1)
	v_or3_b32 v22, v2, v33, v22
.LBB296_2901:                           ;   in Loop: Header=BB296_2086 Depth=1
	s_wait_alu 0xfffe
	s_or_b32 exec_lo, exec_lo, s23
.LBB296_2902:                           ;   in Loop: Header=BB296_2086 Depth=1
	s_wait_alu 0xfffe
	s_or_b32 exec_lo, exec_lo, s22
.LBB296_2903:                           ;   in Loop: Header=BB296_2086 Depth=1
	s_wait_alu 0xfffe
	s_or_b32 exec_lo, exec_lo, s21
	s_delay_alu instid0(SALU_CYCLE_1)
	s_mov_b32 s21, exec_lo
	v_cmpx_lt_u32_e32 0xffffff, v13
	s_cbranch_execz .LBB296_2911
; %bb.2904:                             ;   in Loop: Header=BB296_2086 Depth=1
	v_lshrrev_b32_e32 v2, 24, v13
	v_bfrev_b32_e32 v19, 1
	s_mov_b32 s22, exec_lo
	s_delay_alu instid0(VALU_DEP_2)
	v_cmpx_ne_u32_e32 0x80, v2
	s_cbranch_execz .LBB296_2910
; %bb.2905:                             ;   in Loop: Header=BB296_2086 Depth=1
	v_and_b32_e32 v34, 0x7f, v2
	v_mov_b32_e32 v19, 0x7c010000
	s_mov_b32 s23, exec_lo
	s_delay_alu instid0(VALU_DEP_2)
	v_cmpx_ne_u32_e32 0x7f, v34
	s_cbranch_execz .LBB296_2909
; %bb.2906:                             ;   in Loop: Header=BB296_2086 Depth=1
	v_and_b32_e32 v19, 7, v2
	v_lshrrev_b32_e32 v33, 3, v34
	s_mov_b32 s24, exec_lo
	v_cmpx_gt_u32_e32 8, v34
; %bb.2907:                             ;   in Loop: Header=BB296_2086 Depth=1
	s_delay_alu instid0(VALU_DEP_3) | instskip(NEXT) | instid1(VALU_DEP_1)
	v_clz_i32_u32_e32 v19, v19
	v_min_u32_e32 v19, 32, v19
	s_delay_alu instid0(VALU_DEP_1) | instskip(NEXT) | instid1(VALU_DEP_1)
	v_subrev_nc_u32_e32 v33, 28, v19
	v_lshlrev_b64_e32 v[34:35], v33, v[2:3]
	v_sub_nc_u32_e32 v33, 29, v19
	s_delay_alu instid0(VALU_DEP_2)
	v_and_b32_e32 v19, 7, v34
; %bb.2908:                             ;   in Loop: Header=BB296_2086 Depth=1
	s_wait_alu 0xfffe
	s_or_b32 exec_lo, exec_lo, s24
	v_lshlrev_b32_e32 v2, 8, v2
	v_lshl_add_u32 v33, v33, 10, 0x2000
	v_lshlrev_b32_e32 v19, 23, v19
	s_delay_alu instid0(VALU_DEP_2) | instskip(NEXT) | instid1(VALU_DEP_1)
	v_and_or_b32 v2, 0x8000, v2, v33
	v_lshl_or_b32 v19, v2, 16, v19
.LBB296_2909:                           ;   in Loop: Header=BB296_2086 Depth=1
	s_wait_alu 0xfffe
	s_or_b32 exec_lo, exec_lo, s23
.LBB296_2910:                           ;   in Loop: Header=BB296_2086 Depth=1
	s_wait_alu 0xfffe
	s_or_b32 exec_lo, exec_lo, s22
.LBB296_2911:                           ;   in Loop: Header=BB296_2086 Depth=1
	s_wait_alu 0xfffe
	s_or_b32 exec_lo, exec_lo, s21
	v_dual_mov_b32 v2, v14 :: v_dual_and_b32 v35, 0xff, v14
	v_dual_mov_b32 v33, 0 :: v_dual_mov_b32 v34, 0
	s_mov_b32 s21, exec_lo
	s_delay_alu instid0(VALU_DEP_2)
	v_cmpx_ne_u16_e32 0, v35
	s_cbranch_execz .LBB296_2919
; %bb.2912:                             ;   in Loop: Header=BB296_2086 Depth=1
	v_mov_b32_e32 v34, 0x8000
	s_mov_b32 s22, exec_lo
	v_cmpx_ne_u16_e32 0x80, v35
	s_cbranch_execz .LBB296_2918
; %bb.2913:                             ;   in Loop: Header=BB296_2086 Depth=1
	v_and_b32_e32 v36, 0x7f, v14
	v_mov_b32_e32 v34, 0x7c01
	s_mov_b32 s23, exec_lo
	s_delay_alu instid0(VALU_DEP_2)
	v_cmpx_ne_u32_e32 0x7f, v36
	s_cbranch_execz .LBB296_2917
; %bb.2914:                             ;   in Loop: Header=BB296_2086 Depth=1
	v_and_b32_e32 v34, 7, v14
	v_lshrrev_b32_e32 v35, 3, v36
	s_mov_b32 s24, exec_lo
	v_cmpx_gt_u32_e32 8, v36
; %bb.2915:                             ;   in Loop: Header=BB296_2086 Depth=1
	s_delay_alu instid0(VALU_DEP_3) | instskip(NEXT) | instid1(VALU_DEP_1)
	v_clz_i32_u32_e32 v34, v34
	v_min_u32_e32 v36, 32, v34
	s_delay_alu instid0(VALU_DEP_1) | instskip(NEXT) | instid1(VALU_DEP_1)
	v_subrev_nc_u32_e32 v34, 28, v36
	v_lshlrev_b64_e32 v[34:35], v34, v[2:3]
	v_sub_nc_u32_e32 v35, 29, v36
	s_delay_alu instid0(VALU_DEP_2)
	v_and_b32_e32 v34, 7, v34
; %bb.2916:                             ;   in Loop: Header=BB296_2086 Depth=1
	s_wait_alu 0xfffe
	s_or_b32 exec_lo, exec_lo, s24
	v_lshlrev_b32_e32 v36, 8, v14
	v_lshl_add_u32 v35, v35, 10, 0x2000
	v_lshlrev_b32_e32 v34, 7, v34
	s_delay_alu instid0(VALU_DEP_3) | instskip(NEXT) | instid1(VALU_DEP_3)
	v_and_b32_e32 v36, 0x8000, v36
	v_and_b32_e32 v35, 0xfc00, v35
	s_delay_alu instid0(VALU_DEP_1)
	v_or3_b32 v34, v36, v35, v34
.LBB296_2917:                           ;   in Loop: Header=BB296_2086 Depth=1
	s_wait_alu 0xfffe
	s_or_b32 exec_lo, exec_lo, s23
.LBB296_2918:                           ;   in Loop: Header=BB296_2086 Depth=1
	s_wait_alu 0xfffe
	s_or_b32 exec_lo, exec_lo, s22
.LBB296_2919:                           ;   in Loop: Header=BB296_2086 Depth=1
	s_wait_alu 0xfffe
	s_or_b32 exec_lo, exec_lo, s21
	v_lshrrev_b16 v2, 8, v2
	v_mov_b32_e32 v35, 0
	s_mov_b32 s21, exec_lo
	s_delay_alu instid0(VALU_DEP_2)
	v_cmpx_ne_u16_e32 0, v2
	s_cbranch_execz .LBB296_2927
; %bb.2920:                             ;   in Loop: Header=BB296_2086 Depth=1
	v_bfrev_b32_e32 v35, 1
	s_mov_b32 s22, exec_lo
	v_cmpx_ne_u16_e32 0x80, v2
	s_cbranch_execz .LBB296_2926
; %bb.2921:                             ;   in Loop: Header=BB296_2086 Depth=1
	v_and_b32_e32 v36, 0xffff, v2
	v_mov_b32_e32 v35, 0x7c010000
	s_mov_b32 s23, exec_lo
	s_delay_alu instid0(VALU_DEP_2) | instskip(NEXT) | instid1(VALU_DEP_1)
	v_and_b32_e32 v39, 0x7f, v36
	v_cmpx_ne_u32_e32 0x7f, v39
	s_cbranch_execz .LBB296_2925
; %bb.2922:                             ;   in Loop: Header=BB296_2086 Depth=1
	v_and_b32_e32 v35, 7, v36
	v_lshrrev_b32_e32 v38, 3, v39
	s_mov_b32 s24, exec_lo
	v_cmpx_gt_u32_e32 8, v39
; %bb.2923:                             ;   in Loop: Header=BB296_2086 Depth=1
	s_delay_alu instid0(VALU_DEP_3) | instskip(NEXT) | instid1(VALU_DEP_1)
	v_clz_i32_u32_e32 v35, v35
	v_min_u32_e32 v35, 32, v35
	s_delay_alu instid0(VALU_DEP_1) | instskip(NEXT) | instid1(VALU_DEP_1)
	v_subrev_nc_u32_e32 v38, 28, v35
	v_lshlrev_b64_e32 v[49:50], v38, v[2:3]
	v_sub_nc_u32_e32 v38, 29, v35
	s_delay_alu instid0(VALU_DEP_2)
	v_and_b32_e32 v35, 7, v49
; %bb.2924:                             ;   in Loop: Header=BB296_2086 Depth=1
	s_wait_alu 0xfffe
	s_or_b32 exec_lo, exec_lo, s24
	v_lshlrev_b32_e32 v2, 8, v36
	v_lshl_add_u32 v36, v38, 10, 0x2000
	v_lshlrev_b32_e32 v35, 23, v35
	s_delay_alu instid0(VALU_DEP_2) | instskip(NEXT) | instid1(VALU_DEP_1)
	v_and_or_b32 v2, 0x8000, v2, v36
	v_lshl_or_b32 v35, v2, 16, v35
.LBB296_2925:                           ;   in Loop: Header=BB296_2086 Depth=1
	s_wait_alu 0xfffe
	s_or_b32 exec_lo, exec_lo, s23
.LBB296_2926:                           ;   in Loop: Header=BB296_2086 Depth=1
	s_wait_alu 0xfffe
	s_or_b32 exec_lo, exec_lo, s22
.LBB296_2927:                           ;   in Loop: Header=BB296_2086 Depth=1
	s_wait_alu 0xfffe
	s_or_b32 exec_lo, exec_lo, s21
	v_lshrrev_b32_e32 v2, 16, v14
	s_mov_b32 s21, exec_lo
	s_delay_alu instid0(VALU_DEP_1) | instskip(NEXT) | instid1(VALU_DEP_1)
	v_and_b32_e32 v36, 0xff, v2
	v_cmpx_ne_u16_e32 0, v36
	s_cbranch_execz .LBB296_2935
; %bb.2928:                             ;   in Loop: Header=BB296_2086 Depth=1
	v_mov_b32_e32 v33, 0x8000
	s_mov_b32 s22, exec_lo
	v_cmpx_ne_u16_e32 0x80, v36
	s_cbranch_execz .LBB296_2934
; %bb.2929:                             ;   in Loop: Header=BB296_2086 Depth=1
	v_bfe_u32 v38, v14, 16, 7
	v_mov_b32_e32 v33, 0x7c01
	s_mov_b32 s23, exec_lo
	s_delay_alu instid0(VALU_DEP_2)
	v_cmpx_ne_u32_e32 0x7f, v38
	s_cbranch_execz .LBB296_2933
; %bb.2930:                             ;   in Loop: Header=BB296_2086 Depth=1
	v_and_b32_e32 v33, 7, v2
	v_lshrrev_b32_e32 v36, 3, v38
	s_mov_b32 s24, exec_lo
	v_cmpx_gt_u32_e32 8, v38
; %bb.2931:                             ;   in Loop: Header=BB296_2086 Depth=1
	s_delay_alu instid0(VALU_DEP_3) | instskip(NEXT) | instid1(VALU_DEP_1)
	v_clz_i32_u32_e32 v33, v33
	v_min_u32_e32 v33, 32, v33
	s_delay_alu instid0(VALU_DEP_1) | instskip(NEXT) | instid1(VALU_DEP_1)
	v_subrev_nc_u32_e32 v36, 28, v33
	v_lshlrev_b64_e32 v[38:39], v36, v[2:3]
	v_sub_nc_u32_e32 v36, 29, v33
	s_delay_alu instid0(VALU_DEP_2)
	v_and_b32_e32 v33, 7, v38
; %bb.2932:                             ;   in Loop: Header=BB296_2086 Depth=1
	s_wait_alu 0xfffe
	s_or_b32 exec_lo, exec_lo, s24
	v_lshlrev_b32_e32 v2, 8, v2
	v_lshl_add_u32 v36, v36, 10, 0x2000
	v_lshlrev_b32_e32 v33, 7, v33
	s_delay_alu instid0(VALU_DEP_3) | instskip(NEXT) | instid1(VALU_DEP_3)
	v_and_b32_e32 v2, 0x8000, v2
	v_and_b32_e32 v36, 0xfc00, v36
	s_delay_alu instid0(VALU_DEP_1)
	v_or3_b32 v33, v2, v36, v33
.LBB296_2933:                           ;   in Loop: Header=BB296_2086 Depth=1
	s_wait_alu 0xfffe
	s_or_b32 exec_lo, exec_lo, s23
.LBB296_2934:                           ;   in Loop: Header=BB296_2086 Depth=1
	s_wait_alu 0xfffe
	s_or_b32 exec_lo, exec_lo, s22
.LBB296_2935:                           ;   in Loop: Header=BB296_2086 Depth=1
	s_wait_alu 0xfffe
	s_or_b32 exec_lo, exec_lo, s21
	v_cmp_lt_u64_e64 s8, s[16:17], v[13:14]
	v_mov_b32_e32 v13, 0
	s_and_saveexec_b32 s21, s8
	s_cbranch_execz .LBB296_2943
; %bb.2936:                             ;   in Loop: Header=BB296_2086 Depth=1
	v_lshrrev_b32_e32 v2, 24, v14
	v_bfrev_b32_e32 v13, 1
	s_mov_b32 s22, exec_lo
	s_delay_alu instid0(VALU_DEP_2)
	v_cmpx_ne_u32_e32 0x80, v2
	s_cbranch_execz .LBB296_2942
; %bb.2937:                             ;   in Loop: Header=BB296_2086 Depth=1
	v_and_b32_e32 v36, 0x7f, v2
	v_mov_b32_e32 v13, 0x7c010000
	s_mov_b32 s23, exec_lo
	s_delay_alu instid0(VALU_DEP_2)
	v_cmpx_ne_u32_e32 0x7f, v36
	s_cbranch_execz .LBB296_2941
; %bb.2938:                             ;   in Loop: Header=BB296_2086 Depth=1
	v_and_b32_e32 v13, 7, v2
	v_lshrrev_b32_e32 v14, 3, v36
	s_mov_b32 s24, exec_lo
	v_cmpx_gt_u32_e32 8, v36
; %bb.2939:                             ;   in Loop: Header=BB296_2086 Depth=1
	s_delay_alu instid0(VALU_DEP_3) | instskip(NEXT) | instid1(VALU_DEP_1)
	v_clz_i32_u32_e32 v13, v13
	v_min_u32_e32 v36, 32, v13
	s_delay_alu instid0(VALU_DEP_1) | instskip(NEXT) | instid1(VALU_DEP_1)
	v_subrev_nc_u32_e32 v13, 28, v36
	v_lshlrev_b64_e32 v[13:14], v13, v[2:3]
	v_sub_nc_u32_e32 v14, 29, v36
	s_delay_alu instid0(VALU_DEP_2)
	v_and_b32_e32 v13, 7, v13
; %bb.2940:                             ;   in Loop: Header=BB296_2086 Depth=1
	s_wait_alu 0xfffe
	s_or_b32 exec_lo, exec_lo, s24
	v_lshlrev_b32_e32 v2, 8, v2
	v_lshl_add_u32 v14, v14, 10, 0x2000
	v_lshlrev_b32_e32 v13, 23, v13
	s_delay_alu instid0(VALU_DEP_2) | instskip(NEXT) | instid1(VALU_DEP_1)
	v_and_or_b32 v2, 0x8000, v2, v14
	v_lshl_or_b32 v13, v2, 16, v13
.LBB296_2941:                           ;   in Loop: Header=BB296_2086 Depth=1
	s_wait_alu 0xfffe
	s_or_b32 exec_lo, exec_lo, s23
.LBB296_2942:                           ;   in Loop: Header=BB296_2086 Depth=1
	s_wait_alu 0xfffe
	s_or_b32 exec_lo, exec_lo, s22
.LBB296_2943:                           ;   in Loop: Header=BB296_2086 Depth=1
	s_wait_alu 0xfffe
	s_or_b32 exec_lo, exec_lo, s21
	v_or_b32_e32 v2, v19, v22
	s_wait_loadcnt_dscnt 0x0
	v_fma_mixlo_f16 v14, v4, v19, 0 op_sel:[0,1,0] op_sel_hi:[0,1,0]
	v_or_b32_e32 v19, v5, v6
	v_or_b32_e32 v22, v35, v34
	;; [unrolled: 1-line block ×3, first 2 shown]
	v_fma_mixlo_f16 v5, v4, v5, 0 op_sel:[0,1,0] op_sel_hi:[0,1,0]
	v_fma_mixlo_f16 v34, v4, v2, 0 op_sel_hi:[0,1,0]
	v_lshlrev_b32_e32 v2, 16, v14
	v_fma_mixlo_f16 v14, v4, v19, 0 op_sel_hi:[0,1,0]
	v_fma_mixlo_f16 v19, v4, v35, 0 op_sel:[0,1,0] op_sel_hi:[0,1,0]
	v_fma_mixlo_f16 v22, v4, v22, 0 op_sel_hi:[0,1,0]
	v_fma_mixlo_f16 v13, v4, v13, 0 op_sel:[0,1,0] op_sel_hi:[0,1,0]
	v_fma_mixlo_f16 v4, v4, v33, 0 op_sel_hi:[0,1,0]
	v_lshlrev_b32_e32 v6, 16, v5
	v_and_b32_e32 v5, 0xffff, v34
	v_and_b32_e32 v36, 0xffff, v14
	v_lshlrev_b32_e32 v33, 16, v19
	v_and_b32_e32 v35, 0xffff, v22
	v_lshlrev_b32_e32 v22, 16, v13
	v_and_b32_e32 v34, 0xffff, v4
	v_or_b32_e32 v4, v2, v5
	v_or_b32_e32 v19, v6, v36
	;; [unrolled: 1-line block ×3, first 2 shown]
	s_delay_alu instid0(VALU_DEP_4)
	v_or_b32_e32 v13, v22, v34
	s_and_saveexec_b32 s8, s0
	s_cbranch_execz .LBB296_2945
; %bb.2944:                             ;   in Loop: Header=BB296_2086 Depth=1
	s_wait_alu 0xfffd
	v_cndmask_b32_e32 v4, 0, v36, vcc_lo
	v_cndmask_b32_e64 v6, 0, v6, s3
	v_cndmask_b32_e64 v5, 0, v5, s1
	;; [unrolled: 1-line block ×7, first 2 shown]
	v_or_b32_e32 v19, v4, v6
	v_or_b32_e32 v4, v5, v2
	;; [unrolled: 1-line block ×3, first 2 shown]
	s_delay_alu instid0(VALU_DEP_4)
	v_or_b32_e32 v13, v33, v22
.LBB296_2945:                           ;   in Loop: Header=BB296_2086 Depth=1
	s_wait_alu 0xfffe
	s_or_b32 exec_lo, exec_lo, s8
	;;#ASMSTART
	v_pk_mul_f16 v2, v115, v19;

	;;#ASMEND
	;;#ASMSTART
	v_pk_mul_f16 v4, v114, v4;

	;;#ASMEND
	;; [unrolled: 4-line block ×4, first 2 shown]
	;;#ASMSTART
	v_pk_add_f16 v2, v2, v4;

	;;#ASMEND
	;;#ASMSTART
	v_pk_add_f16 v2, v2, v5;

	;;#ASMEND
	;; [unrolled: 4-line block ×3, first 2 shown]
	v_dual_mov_b32 v5, 0 :: v_dual_and_b32 v4, 0xffff, v2
	v_lshrrev_b32_e32 v2, 16, v2
	;;#ASMSTART
	v_cvt_f32_f16 v162, v4;
	;;#ASMEND
	;;#ASMSTART
	v_cvt_f32_f16 v163, v2;
	;;#ASMEND
	flat_load_b64 v[13:14], v[11:12] offset:3328
	flat_load_b32 v4, v[26:27]
	v_mov_b32_e32 v6, 0
	s_mov_b32 s21, exec_lo
	s_wait_loadcnt_dscnt 0x101
	v_and_b32_e32 v2, 0xff, v13
	s_delay_alu instid0(VALU_DEP_1)
	v_cmpx_ne_u16_e32 0, v2
	s_cbranch_execz .LBB296_2953
; %bb.2946:                             ;   in Loop: Header=BB296_2086 Depth=1
	v_mov_b32_e32 v6, 0x8000
	s_mov_b32 s22, exec_lo
	v_cmpx_ne_u16_e32 0x80, v2
	s_cbranch_execz .LBB296_2952
; %bb.2947:                             ;   in Loop: Header=BB296_2086 Depth=1
	v_and_b32_e32 v19, 0x7f, v13
	v_mov_b32_e32 v6, 0x7c01
	s_mov_b32 s23, exec_lo
	s_delay_alu instid0(VALU_DEP_2)
	v_cmpx_ne_u32_e32 0x7f, v19
	s_cbranch_execz .LBB296_2951
; %bb.2948:                             ;   in Loop: Header=BB296_2086 Depth=1
	v_and_b32_e32 v2, 7, v13
	v_lshrrev_b32_e32 v6, 3, v19
	s_mov_b32 s24, exec_lo
	v_cmpx_gt_u32_e32 8, v19
; %bb.2949:                             ;   in Loop: Header=BB296_2086 Depth=1
	s_delay_alu instid0(VALU_DEP_3) | instskip(NEXT) | instid1(VALU_DEP_1)
	v_clz_i32_u32_e32 v2, v2
	v_min_u32_e32 v2, 32, v2
	s_delay_alu instid0(VALU_DEP_1) | instskip(NEXT) | instid1(VALU_DEP_1)
	v_subrev_nc_u32_e32 v6, 28, v2
	v_lshlrev_b64_e32 v[33:34], v6, v[13:14]
	v_sub_nc_u32_e32 v6, 29, v2
	s_delay_alu instid0(VALU_DEP_2)
	v_and_b32_e32 v2, 7, v33
; %bb.2950:                             ;   in Loop: Header=BB296_2086 Depth=1
	s_wait_alu 0xfffe
	s_or_b32 exec_lo, exec_lo, s24
	v_lshlrev_b32_e32 v19, 8, v13
	v_lshl_add_u32 v6, v6, 10, 0x2000
	v_lshlrev_b32_e32 v2, 7, v2
	s_delay_alu instid0(VALU_DEP_3) | instskip(NEXT) | instid1(VALU_DEP_3)
	v_and_b32_e32 v19, 0x8000, v19
	v_and_b32_e32 v6, 0xfc00, v6
	s_delay_alu instid0(VALU_DEP_1)
	v_or3_b32 v6, v19, v6, v2
.LBB296_2951:                           ;   in Loop: Header=BB296_2086 Depth=1
	s_wait_alu 0xfffe
	s_or_b32 exec_lo, exec_lo, s23
.LBB296_2952:                           ;   in Loop: Header=BB296_2086 Depth=1
	s_wait_alu 0xfffe
	s_or_b32 exec_lo, exec_lo, s22
.LBB296_2953:                           ;   in Loop: Header=BB296_2086 Depth=1
	s_wait_alu 0xfffe
	s_or_b32 exec_lo, exec_lo, s21
	v_lshrrev_b16 v2, 8, v13
	s_mov_b32 s21, exec_lo
	s_delay_alu instid0(VALU_DEP_1)
	v_cmpx_ne_u16_e32 0, v2
	s_cbranch_execz .LBB296_2961
; %bb.2954:                             ;   in Loop: Header=BB296_2086 Depth=1
	v_bfrev_b32_e32 v5, 1
	s_mov_b32 s22, exec_lo
	v_cmpx_ne_u16_e32 0x80, v2
	s_cbranch_execz .LBB296_2960
; %bb.2955:                             ;   in Loop: Header=BB296_2086 Depth=1
	v_and_b32_e32 v19, 0xffff, v2
	v_mov_b32_e32 v5, 0x7c010000
	s_mov_b32 s23, exec_lo
	s_delay_alu instid0(VALU_DEP_2) | instskip(NEXT) | instid1(VALU_DEP_1)
	v_and_b32_e32 v33, 0x7f, v19
	v_cmpx_ne_u32_e32 0x7f, v33
	s_cbranch_execz .LBB296_2959
; %bb.2956:                             ;   in Loop: Header=BB296_2086 Depth=1
	v_and_b32_e32 v5, 7, v19
	v_lshrrev_b32_e32 v22, 3, v33
	s_mov_b32 s24, exec_lo
	v_cmpx_gt_u32_e32 8, v33
; %bb.2957:                             ;   in Loop: Header=BB296_2086 Depth=1
	s_delay_alu instid0(VALU_DEP_3) | instskip(NEXT) | instid1(VALU_DEP_1)
	v_clz_i32_u32_e32 v5, v5
	v_min_u32_e32 v5, 32, v5
	s_delay_alu instid0(VALU_DEP_1) | instskip(NEXT) | instid1(VALU_DEP_1)
	v_subrev_nc_u32_e32 v22, 28, v5
	v_lshlrev_b64_e32 v[33:34], v22, v[2:3]
	v_sub_nc_u32_e32 v22, 29, v5
	s_delay_alu instid0(VALU_DEP_2)
	v_and_b32_e32 v5, 7, v33
; %bb.2958:                             ;   in Loop: Header=BB296_2086 Depth=1
	s_wait_alu 0xfffe
	s_or_b32 exec_lo, exec_lo, s24
	v_lshlrev_b32_e32 v2, 8, v19
	v_lshl_add_u32 v19, v22, 10, 0x2000
	v_lshlrev_b32_e32 v5, 23, v5
	s_delay_alu instid0(VALU_DEP_2) | instskip(NEXT) | instid1(VALU_DEP_1)
	v_and_or_b32 v2, 0x8000, v2, v19
	v_lshl_or_b32 v5, v2, 16, v5
.LBB296_2959:                           ;   in Loop: Header=BB296_2086 Depth=1
	s_wait_alu 0xfffe
	s_or_b32 exec_lo, exec_lo, s23
.LBB296_2960:                           ;   in Loop: Header=BB296_2086 Depth=1
	s_wait_alu 0xfffe
	s_or_b32 exec_lo, exec_lo, s22
.LBB296_2961:                           ;   in Loop: Header=BB296_2086 Depth=1
	s_wait_alu 0xfffe
	s_or_b32 exec_lo, exec_lo, s21
	v_lshrrev_b32_e32 v2, 16, v13
	v_mov_b32_e32 v19, 0
	s_mov_b32 s21, exec_lo
	s_delay_alu instid0(VALU_DEP_2) | instskip(NEXT) | instid1(VALU_DEP_1)
	v_dual_mov_b32 v22, 0 :: v_dual_and_b32 v33, 0xff, v2
	v_cmpx_ne_u16_e32 0, v33
	s_cbranch_execz .LBB296_2969
; %bb.2962:                             ;   in Loop: Header=BB296_2086 Depth=1
	v_mov_b32_e32 v22, 0x8000
	s_mov_b32 s22, exec_lo
	v_cmpx_ne_u16_e32 0x80, v33
	s_cbranch_execz .LBB296_2968
; %bb.2963:                             ;   in Loop: Header=BB296_2086 Depth=1
	v_bfe_u32 v34, v13, 16, 7
	v_mov_b32_e32 v22, 0x7c01
	s_mov_b32 s23, exec_lo
	s_delay_alu instid0(VALU_DEP_2)
	v_cmpx_ne_u32_e32 0x7f, v34
	s_cbranch_execz .LBB296_2967
; %bb.2964:                             ;   in Loop: Header=BB296_2086 Depth=1
	v_and_b32_e32 v22, 7, v2
	v_lshrrev_b32_e32 v33, 3, v34
	s_mov_b32 s24, exec_lo
	v_cmpx_gt_u32_e32 8, v34
; %bb.2965:                             ;   in Loop: Header=BB296_2086 Depth=1
	s_delay_alu instid0(VALU_DEP_3) | instskip(NEXT) | instid1(VALU_DEP_1)
	v_clz_i32_u32_e32 v22, v22
	v_min_u32_e32 v22, 32, v22
	s_delay_alu instid0(VALU_DEP_1) | instskip(NEXT) | instid1(VALU_DEP_1)
	v_subrev_nc_u32_e32 v33, 28, v22
	v_lshlrev_b64_e32 v[34:35], v33, v[2:3]
	v_sub_nc_u32_e32 v33, 29, v22
	s_delay_alu instid0(VALU_DEP_2)
	v_and_b32_e32 v22, 7, v34
; %bb.2966:                             ;   in Loop: Header=BB296_2086 Depth=1
	s_wait_alu 0xfffe
	s_or_b32 exec_lo, exec_lo, s24
	v_lshlrev_b32_e32 v2, 8, v2
	v_lshl_add_u32 v33, v33, 10, 0x2000
	v_lshlrev_b32_e32 v22, 7, v22
	s_delay_alu instid0(VALU_DEP_3) | instskip(NEXT) | instid1(VALU_DEP_3)
	v_and_b32_e32 v2, 0x8000, v2
	v_and_b32_e32 v33, 0xfc00, v33
	s_delay_alu instid0(VALU_DEP_1)
	v_or3_b32 v22, v2, v33, v22
.LBB296_2967:                           ;   in Loop: Header=BB296_2086 Depth=1
	s_wait_alu 0xfffe
	s_or_b32 exec_lo, exec_lo, s23
.LBB296_2968:                           ;   in Loop: Header=BB296_2086 Depth=1
	s_wait_alu 0xfffe
	s_or_b32 exec_lo, exec_lo, s22
.LBB296_2969:                           ;   in Loop: Header=BB296_2086 Depth=1
	s_wait_alu 0xfffe
	s_or_b32 exec_lo, exec_lo, s21
	s_delay_alu instid0(SALU_CYCLE_1)
	s_mov_b32 s21, exec_lo
	v_cmpx_lt_u32_e32 0xffffff, v13
	s_cbranch_execz .LBB296_2977
; %bb.2970:                             ;   in Loop: Header=BB296_2086 Depth=1
	v_lshrrev_b32_e32 v2, 24, v13
	v_bfrev_b32_e32 v19, 1
	s_mov_b32 s22, exec_lo
	s_delay_alu instid0(VALU_DEP_2)
	v_cmpx_ne_u32_e32 0x80, v2
	s_cbranch_execz .LBB296_2976
; %bb.2971:                             ;   in Loop: Header=BB296_2086 Depth=1
	v_and_b32_e32 v34, 0x7f, v2
	v_mov_b32_e32 v19, 0x7c010000
	s_mov_b32 s23, exec_lo
	s_delay_alu instid0(VALU_DEP_2)
	v_cmpx_ne_u32_e32 0x7f, v34
	s_cbranch_execz .LBB296_2975
; %bb.2972:                             ;   in Loop: Header=BB296_2086 Depth=1
	v_and_b32_e32 v19, 7, v2
	v_lshrrev_b32_e32 v33, 3, v34
	s_mov_b32 s24, exec_lo
	v_cmpx_gt_u32_e32 8, v34
; %bb.2973:                             ;   in Loop: Header=BB296_2086 Depth=1
	s_delay_alu instid0(VALU_DEP_3) | instskip(NEXT) | instid1(VALU_DEP_1)
	v_clz_i32_u32_e32 v19, v19
	v_min_u32_e32 v19, 32, v19
	s_delay_alu instid0(VALU_DEP_1) | instskip(NEXT) | instid1(VALU_DEP_1)
	v_subrev_nc_u32_e32 v33, 28, v19
	v_lshlrev_b64_e32 v[34:35], v33, v[2:3]
	v_sub_nc_u32_e32 v33, 29, v19
	s_delay_alu instid0(VALU_DEP_2)
	v_and_b32_e32 v19, 7, v34
; %bb.2974:                             ;   in Loop: Header=BB296_2086 Depth=1
	s_wait_alu 0xfffe
	s_or_b32 exec_lo, exec_lo, s24
	v_lshlrev_b32_e32 v2, 8, v2
	v_lshl_add_u32 v33, v33, 10, 0x2000
	v_lshlrev_b32_e32 v19, 23, v19
	s_delay_alu instid0(VALU_DEP_2) | instskip(NEXT) | instid1(VALU_DEP_1)
	v_and_or_b32 v2, 0x8000, v2, v33
	v_lshl_or_b32 v19, v2, 16, v19
.LBB296_2975:                           ;   in Loop: Header=BB296_2086 Depth=1
	s_wait_alu 0xfffe
	s_or_b32 exec_lo, exec_lo, s23
.LBB296_2976:                           ;   in Loop: Header=BB296_2086 Depth=1
	s_wait_alu 0xfffe
	s_or_b32 exec_lo, exec_lo, s22
.LBB296_2977:                           ;   in Loop: Header=BB296_2086 Depth=1
	s_wait_alu 0xfffe
	s_or_b32 exec_lo, exec_lo, s21
	v_dual_mov_b32 v2, v14 :: v_dual_and_b32 v35, 0xff, v14
	v_dual_mov_b32 v33, 0 :: v_dual_mov_b32 v34, 0
	s_mov_b32 s21, exec_lo
	s_delay_alu instid0(VALU_DEP_2)
	v_cmpx_ne_u16_e32 0, v35
	s_cbranch_execz .LBB296_2985
; %bb.2978:                             ;   in Loop: Header=BB296_2086 Depth=1
	v_mov_b32_e32 v34, 0x8000
	s_mov_b32 s22, exec_lo
	v_cmpx_ne_u16_e32 0x80, v35
	s_cbranch_execz .LBB296_2984
; %bb.2979:                             ;   in Loop: Header=BB296_2086 Depth=1
	v_and_b32_e32 v36, 0x7f, v14
	v_mov_b32_e32 v34, 0x7c01
	s_mov_b32 s23, exec_lo
	s_delay_alu instid0(VALU_DEP_2)
	v_cmpx_ne_u32_e32 0x7f, v36
	s_cbranch_execz .LBB296_2983
; %bb.2980:                             ;   in Loop: Header=BB296_2086 Depth=1
	v_and_b32_e32 v34, 7, v14
	v_lshrrev_b32_e32 v35, 3, v36
	s_mov_b32 s24, exec_lo
	v_cmpx_gt_u32_e32 8, v36
; %bb.2981:                             ;   in Loop: Header=BB296_2086 Depth=1
	s_delay_alu instid0(VALU_DEP_3) | instskip(NEXT) | instid1(VALU_DEP_1)
	v_clz_i32_u32_e32 v34, v34
	v_min_u32_e32 v36, 32, v34
	s_delay_alu instid0(VALU_DEP_1) | instskip(NEXT) | instid1(VALU_DEP_1)
	v_subrev_nc_u32_e32 v34, 28, v36
	v_lshlrev_b64_e32 v[34:35], v34, v[2:3]
	v_sub_nc_u32_e32 v35, 29, v36
	s_delay_alu instid0(VALU_DEP_2)
	v_and_b32_e32 v34, 7, v34
; %bb.2982:                             ;   in Loop: Header=BB296_2086 Depth=1
	s_wait_alu 0xfffe
	s_or_b32 exec_lo, exec_lo, s24
	v_lshlrev_b32_e32 v36, 8, v14
	v_lshl_add_u32 v35, v35, 10, 0x2000
	v_lshlrev_b32_e32 v34, 7, v34
	s_delay_alu instid0(VALU_DEP_3) | instskip(NEXT) | instid1(VALU_DEP_3)
	v_and_b32_e32 v36, 0x8000, v36
	v_and_b32_e32 v35, 0xfc00, v35
	s_delay_alu instid0(VALU_DEP_1)
	v_or3_b32 v34, v36, v35, v34
.LBB296_2983:                           ;   in Loop: Header=BB296_2086 Depth=1
	s_wait_alu 0xfffe
	s_or_b32 exec_lo, exec_lo, s23
.LBB296_2984:                           ;   in Loop: Header=BB296_2086 Depth=1
	s_wait_alu 0xfffe
	s_or_b32 exec_lo, exec_lo, s22
.LBB296_2985:                           ;   in Loop: Header=BB296_2086 Depth=1
	s_wait_alu 0xfffe
	s_or_b32 exec_lo, exec_lo, s21
	v_lshrrev_b16 v2, 8, v2
	v_mov_b32_e32 v35, 0
	s_mov_b32 s21, exec_lo
	s_delay_alu instid0(VALU_DEP_2)
	v_cmpx_ne_u16_e32 0, v2
	s_cbranch_execz .LBB296_2993
; %bb.2986:                             ;   in Loop: Header=BB296_2086 Depth=1
	v_bfrev_b32_e32 v35, 1
	s_mov_b32 s22, exec_lo
	v_cmpx_ne_u16_e32 0x80, v2
	s_cbranch_execz .LBB296_2992
; %bb.2987:                             ;   in Loop: Header=BB296_2086 Depth=1
	v_and_b32_e32 v36, 0xffff, v2
	v_mov_b32_e32 v35, 0x7c010000
	s_mov_b32 s23, exec_lo
	s_delay_alu instid0(VALU_DEP_2) | instskip(NEXT) | instid1(VALU_DEP_1)
	v_and_b32_e32 v39, 0x7f, v36
	v_cmpx_ne_u32_e32 0x7f, v39
	s_cbranch_execz .LBB296_2991
; %bb.2988:                             ;   in Loop: Header=BB296_2086 Depth=1
	v_and_b32_e32 v35, 7, v36
	v_lshrrev_b32_e32 v38, 3, v39
	s_mov_b32 s24, exec_lo
	v_cmpx_gt_u32_e32 8, v39
; %bb.2989:                             ;   in Loop: Header=BB296_2086 Depth=1
	s_delay_alu instid0(VALU_DEP_3) | instskip(NEXT) | instid1(VALU_DEP_1)
	v_clz_i32_u32_e32 v35, v35
	v_min_u32_e32 v35, 32, v35
	s_delay_alu instid0(VALU_DEP_1) | instskip(NEXT) | instid1(VALU_DEP_1)
	v_subrev_nc_u32_e32 v38, 28, v35
	v_lshlrev_b64_e32 v[49:50], v38, v[2:3]
	v_sub_nc_u32_e32 v38, 29, v35
	s_delay_alu instid0(VALU_DEP_2)
	v_and_b32_e32 v35, 7, v49
; %bb.2990:                             ;   in Loop: Header=BB296_2086 Depth=1
	s_wait_alu 0xfffe
	s_or_b32 exec_lo, exec_lo, s24
	v_lshlrev_b32_e32 v2, 8, v36
	v_lshl_add_u32 v36, v38, 10, 0x2000
	v_lshlrev_b32_e32 v35, 23, v35
	s_delay_alu instid0(VALU_DEP_2) | instskip(NEXT) | instid1(VALU_DEP_1)
	v_and_or_b32 v2, 0x8000, v2, v36
	v_lshl_or_b32 v35, v2, 16, v35
.LBB296_2991:                           ;   in Loop: Header=BB296_2086 Depth=1
	s_wait_alu 0xfffe
	s_or_b32 exec_lo, exec_lo, s23
.LBB296_2992:                           ;   in Loop: Header=BB296_2086 Depth=1
	s_wait_alu 0xfffe
	s_or_b32 exec_lo, exec_lo, s22
.LBB296_2993:                           ;   in Loop: Header=BB296_2086 Depth=1
	s_wait_alu 0xfffe
	s_or_b32 exec_lo, exec_lo, s21
	v_lshrrev_b32_e32 v2, 16, v14
	s_mov_b32 s21, exec_lo
	s_delay_alu instid0(VALU_DEP_1) | instskip(NEXT) | instid1(VALU_DEP_1)
	v_and_b32_e32 v36, 0xff, v2
	v_cmpx_ne_u16_e32 0, v36
	s_cbranch_execz .LBB296_3001
; %bb.2994:                             ;   in Loop: Header=BB296_2086 Depth=1
	v_mov_b32_e32 v33, 0x8000
	s_mov_b32 s22, exec_lo
	v_cmpx_ne_u16_e32 0x80, v36
	s_cbranch_execz .LBB296_3000
; %bb.2995:                             ;   in Loop: Header=BB296_2086 Depth=1
	v_bfe_u32 v38, v14, 16, 7
	v_mov_b32_e32 v33, 0x7c01
	s_mov_b32 s23, exec_lo
	s_delay_alu instid0(VALU_DEP_2)
	v_cmpx_ne_u32_e32 0x7f, v38
	s_cbranch_execz .LBB296_2999
; %bb.2996:                             ;   in Loop: Header=BB296_2086 Depth=1
	v_and_b32_e32 v33, 7, v2
	v_lshrrev_b32_e32 v36, 3, v38
	s_mov_b32 s24, exec_lo
	v_cmpx_gt_u32_e32 8, v38
; %bb.2997:                             ;   in Loop: Header=BB296_2086 Depth=1
	s_delay_alu instid0(VALU_DEP_3) | instskip(NEXT) | instid1(VALU_DEP_1)
	v_clz_i32_u32_e32 v33, v33
	v_min_u32_e32 v33, 32, v33
	s_delay_alu instid0(VALU_DEP_1) | instskip(NEXT) | instid1(VALU_DEP_1)
	v_subrev_nc_u32_e32 v36, 28, v33
	v_lshlrev_b64_e32 v[38:39], v36, v[2:3]
	v_sub_nc_u32_e32 v36, 29, v33
	s_delay_alu instid0(VALU_DEP_2)
	v_and_b32_e32 v33, 7, v38
; %bb.2998:                             ;   in Loop: Header=BB296_2086 Depth=1
	s_wait_alu 0xfffe
	s_or_b32 exec_lo, exec_lo, s24
	v_lshlrev_b32_e32 v2, 8, v2
	v_lshl_add_u32 v36, v36, 10, 0x2000
	v_lshlrev_b32_e32 v33, 7, v33
	s_delay_alu instid0(VALU_DEP_3) | instskip(NEXT) | instid1(VALU_DEP_3)
	v_and_b32_e32 v2, 0x8000, v2
	v_and_b32_e32 v36, 0xfc00, v36
	s_delay_alu instid0(VALU_DEP_1)
	v_or3_b32 v33, v2, v36, v33
.LBB296_2999:                           ;   in Loop: Header=BB296_2086 Depth=1
	s_wait_alu 0xfffe
	s_or_b32 exec_lo, exec_lo, s23
.LBB296_3000:                           ;   in Loop: Header=BB296_2086 Depth=1
	s_wait_alu 0xfffe
	s_or_b32 exec_lo, exec_lo, s22
.LBB296_3001:                           ;   in Loop: Header=BB296_2086 Depth=1
	s_wait_alu 0xfffe
	s_or_b32 exec_lo, exec_lo, s21
	v_cmp_lt_u64_e64 s8, s[16:17], v[13:14]
	v_mov_b32_e32 v13, 0
	s_and_saveexec_b32 s21, s8
	s_cbranch_execz .LBB296_3009
; %bb.3002:                             ;   in Loop: Header=BB296_2086 Depth=1
	v_lshrrev_b32_e32 v2, 24, v14
	v_bfrev_b32_e32 v13, 1
	s_mov_b32 s22, exec_lo
	s_delay_alu instid0(VALU_DEP_2)
	v_cmpx_ne_u32_e32 0x80, v2
	s_cbranch_execz .LBB296_3008
; %bb.3003:                             ;   in Loop: Header=BB296_2086 Depth=1
	v_and_b32_e32 v36, 0x7f, v2
	v_mov_b32_e32 v13, 0x7c010000
	s_mov_b32 s23, exec_lo
	s_delay_alu instid0(VALU_DEP_2)
	v_cmpx_ne_u32_e32 0x7f, v36
	s_cbranch_execz .LBB296_3007
; %bb.3004:                             ;   in Loop: Header=BB296_2086 Depth=1
	v_and_b32_e32 v13, 7, v2
	v_lshrrev_b32_e32 v14, 3, v36
	s_mov_b32 s24, exec_lo
	v_cmpx_gt_u32_e32 8, v36
; %bb.3005:                             ;   in Loop: Header=BB296_2086 Depth=1
	s_delay_alu instid0(VALU_DEP_3) | instskip(NEXT) | instid1(VALU_DEP_1)
	v_clz_i32_u32_e32 v13, v13
	v_min_u32_e32 v36, 32, v13
	s_delay_alu instid0(VALU_DEP_1) | instskip(NEXT) | instid1(VALU_DEP_1)
	v_subrev_nc_u32_e32 v13, 28, v36
	v_lshlrev_b64_e32 v[13:14], v13, v[2:3]
	v_sub_nc_u32_e32 v14, 29, v36
	s_delay_alu instid0(VALU_DEP_2)
	v_and_b32_e32 v13, 7, v13
; %bb.3006:                             ;   in Loop: Header=BB296_2086 Depth=1
	s_wait_alu 0xfffe
	s_or_b32 exec_lo, exec_lo, s24
	v_lshlrev_b32_e32 v2, 8, v2
	v_lshl_add_u32 v14, v14, 10, 0x2000
	v_lshlrev_b32_e32 v13, 23, v13
	s_delay_alu instid0(VALU_DEP_2) | instskip(NEXT) | instid1(VALU_DEP_1)
	v_and_or_b32 v2, 0x8000, v2, v14
	v_lshl_or_b32 v13, v2, 16, v13
.LBB296_3007:                           ;   in Loop: Header=BB296_2086 Depth=1
	s_wait_alu 0xfffe
	s_or_b32 exec_lo, exec_lo, s23
.LBB296_3008:                           ;   in Loop: Header=BB296_2086 Depth=1
	s_wait_alu 0xfffe
	s_or_b32 exec_lo, exec_lo, s22
.LBB296_3009:                           ;   in Loop: Header=BB296_2086 Depth=1
	s_wait_alu 0xfffe
	s_or_b32 exec_lo, exec_lo, s21
	v_or_b32_e32 v2, v19, v22
	s_wait_loadcnt_dscnt 0x0
	v_fma_mixlo_f16 v14, v4, v19, 0 op_sel:[0,1,0] op_sel_hi:[0,1,0]
	v_or_b32_e32 v19, v5, v6
	v_or_b32_e32 v22, v35, v34
	;; [unrolled: 1-line block ×3, first 2 shown]
	v_fma_mixlo_f16 v5, v4, v5, 0 op_sel:[0,1,0] op_sel_hi:[0,1,0]
	v_fma_mixlo_f16 v34, v4, v2, 0 op_sel_hi:[0,1,0]
	v_lshlrev_b32_e32 v2, 16, v14
	v_fma_mixlo_f16 v14, v4, v19, 0 op_sel_hi:[0,1,0]
	v_fma_mixlo_f16 v19, v4, v35, 0 op_sel:[0,1,0] op_sel_hi:[0,1,0]
	v_fma_mixlo_f16 v22, v4, v22, 0 op_sel_hi:[0,1,0]
	v_fma_mixlo_f16 v13, v4, v13, 0 op_sel:[0,1,0] op_sel_hi:[0,1,0]
	v_fma_mixlo_f16 v4, v4, v33, 0 op_sel_hi:[0,1,0]
	v_lshlrev_b32_e32 v6, 16, v5
	v_and_b32_e32 v5, 0xffff, v34
	v_and_b32_e32 v36, 0xffff, v14
	v_lshlrev_b32_e32 v33, 16, v19
	v_and_b32_e32 v35, 0xffff, v22
	v_lshlrev_b32_e32 v22, 16, v13
	v_and_b32_e32 v34, 0xffff, v4
	v_or_b32_e32 v4, v2, v5
	v_or_b32_e32 v19, v6, v36
	;; [unrolled: 1-line block ×3, first 2 shown]
	s_delay_alu instid0(VALU_DEP_4)
	v_or_b32_e32 v13, v22, v34
	s_and_saveexec_b32 s8, s0
	s_cbranch_execz .LBB296_3011
; %bb.3010:                             ;   in Loop: Header=BB296_2086 Depth=1
	s_wait_alu 0xfffd
	v_cndmask_b32_e32 v4, 0, v36, vcc_lo
	v_cndmask_b32_e64 v6, 0, v6, s3
	v_cndmask_b32_e64 v5, 0, v5, s1
	;; [unrolled: 1-line block ×7, first 2 shown]
	v_or_b32_e32 v19, v4, v6
	v_or_b32_e32 v4, v5, v2
	;; [unrolled: 1-line block ×3, first 2 shown]
	s_delay_alu instid0(VALU_DEP_4)
	v_or_b32_e32 v13, v33, v22
.LBB296_3011:                           ;   in Loop: Header=BB296_2086 Depth=1
	s_wait_alu 0xfffe
	s_or_b32 exec_lo, exec_lo, s8
	;;#ASMSTART
	v_pk_mul_f16 v2, v115, v19;

	;;#ASMEND
	;;#ASMSTART
	v_pk_mul_f16 v4, v114, v4;

	;;#ASMEND
	;; [unrolled: 4-line block ×4, first 2 shown]
	;;#ASMSTART
	v_pk_add_f16 v2, v2, v4;

	;;#ASMEND
	;;#ASMSTART
	v_pk_add_f16 v2, v2, v5;

	;;#ASMEND
	;;#ASMSTART
	v_pk_add_f16 v2, v2, v6;

	;;#ASMEND
	v_dual_mov_b32 v5, 0 :: v_dual_and_b32 v4, 0xffff, v2
	v_lshrrev_b32_e32 v2, 16, v2
	;;#ASMSTART
	v_cvt_f32_f16 v164, v4;
	;;#ASMEND
	;;#ASMSTART
	v_cvt_f32_f16 v165, v2;
	;;#ASMEND
	flat_load_b64 v[13:14], v[11:12] offset:3584
	flat_load_b32 v4, v[26:27]
	v_mov_b32_e32 v6, 0
	s_mov_b32 s21, exec_lo
	s_wait_loadcnt_dscnt 0x101
	v_and_b32_e32 v2, 0xff, v13
	s_delay_alu instid0(VALU_DEP_1)
	v_cmpx_ne_u16_e32 0, v2
	s_cbranch_execz .LBB296_3019
; %bb.3012:                             ;   in Loop: Header=BB296_2086 Depth=1
	v_mov_b32_e32 v6, 0x8000
	s_mov_b32 s22, exec_lo
	v_cmpx_ne_u16_e32 0x80, v2
	s_cbranch_execz .LBB296_3018
; %bb.3013:                             ;   in Loop: Header=BB296_2086 Depth=1
	v_and_b32_e32 v19, 0x7f, v13
	v_mov_b32_e32 v6, 0x7c01
	s_mov_b32 s23, exec_lo
	s_delay_alu instid0(VALU_DEP_2)
	v_cmpx_ne_u32_e32 0x7f, v19
	s_cbranch_execz .LBB296_3017
; %bb.3014:                             ;   in Loop: Header=BB296_2086 Depth=1
	v_and_b32_e32 v2, 7, v13
	v_lshrrev_b32_e32 v6, 3, v19
	s_mov_b32 s24, exec_lo
	v_cmpx_gt_u32_e32 8, v19
; %bb.3015:                             ;   in Loop: Header=BB296_2086 Depth=1
	s_delay_alu instid0(VALU_DEP_3) | instskip(NEXT) | instid1(VALU_DEP_1)
	v_clz_i32_u32_e32 v2, v2
	v_min_u32_e32 v2, 32, v2
	s_delay_alu instid0(VALU_DEP_1) | instskip(NEXT) | instid1(VALU_DEP_1)
	v_subrev_nc_u32_e32 v6, 28, v2
	v_lshlrev_b64_e32 v[33:34], v6, v[13:14]
	v_sub_nc_u32_e32 v6, 29, v2
	s_delay_alu instid0(VALU_DEP_2)
	v_and_b32_e32 v2, 7, v33
; %bb.3016:                             ;   in Loop: Header=BB296_2086 Depth=1
	s_wait_alu 0xfffe
	s_or_b32 exec_lo, exec_lo, s24
	v_lshlrev_b32_e32 v19, 8, v13
	v_lshl_add_u32 v6, v6, 10, 0x2000
	v_lshlrev_b32_e32 v2, 7, v2
	s_delay_alu instid0(VALU_DEP_3) | instskip(NEXT) | instid1(VALU_DEP_3)
	v_and_b32_e32 v19, 0x8000, v19
	v_and_b32_e32 v6, 0xfc00, v6
	s_delay_alu instid0(VALU_DEP_1)
	v_or3_b32 v6, v19, v6, v2
.LBB296_3017:                           ;   in Loop: Header=BB296_2086 Depth=1
	s_wait_alu 0xfffe
	s_or_b32 exec_lo, exec_lo, s23
.LBB296_3018:                           ;   in Loop: Header=BB296_2086 Depth=1
	s_wait_alu 0xfffe
	s_or_b32 exec_lo, exec_lo, s22
.LBB296_3019:                           ;   in Loop: Header=BB296_2086 Depth=1
	s_wait_alu 0xfffe
	s_or_b32 exec_lo, exec_lo, s21
	v_lshrrev_b16 v2, 8, v13
	s_mov_b32 s21, exec_lo
	s_delay_alu instid0(VALU_DEP_1)
	v_cmpx_ne_u16_e32 0, v2
	s_cbranch_execz .LBB296_3027
; %bb.3020:                             ;   in Loop: Header=BB296_2086 Depth=1
	v_bfrev_b32_e32 v5, 1
	s_mov_b32 s22, exec_lo
	v_cmpx_ne_u16_e32 0x80, v2
	s_cbranch_execz .LBB296_3026
; %bb.3021:                             ;   in Loop: Header=BB296_2086 Depth=1
	v_and_b32_e32 v19, 0xffff, v2
	v_mov_b32_e32 v5, 0x7c010000
	s_mov_b32 s23, exec_lo
	s_delay_alu instid0(VALU_DEP_2) | instskip(NEXT) | instid1(VALU_DEP_1)
	v_and_b32_e32 v33, 0x7f, v19
	v_cmpx_ne_u32_e32 0x7f, v33
	s_cbranch_execz .LBB296_3025
; %bb.3022:                             ;   in Loop: Header=BB296_2086 Depth=1
	v_and_b32_e32 v5, 7, v19
	v_lshrrev_b32_e32 v22, 3, v33
	s_mov_b32 s24, exec_lo
	v_cmpx_gt_u32_e32 8, v33
; %bb.3023:                             ;   in Loop: Header=BB296_2086 Depth=1
	s_delay_alu instid0(VALU_DEP_3) | instskip(NEXT) | instid1(VALU_DEP_1)
	v_clz_i32_u32_e32 v5, v5
	v_min_u32_e32 v5, 32, v5
	s_delay_alu instid0(VALU_DEP_1) | instskip(NEXT) | instid1(VALU_DEP_1)
	v_subrev_nc_u32_e32 v22, 28, v5
	v_lshlrev_b64_e32 v[33:34], v22, v[2:3]
	v_sub_nc_u32_e32 v22, 29, v5
	s_delay_alu instid0(VALU_DEP_2)
	v_and_b32_e32 v5, 7, v33
; %bb.3024:                             ;   in Loop: Header=BB296_2086 Depth=1
	s_wait_alu 0xfffe
	s_or_b32 exec_lo, exec_lo, s24
	v_lshlrev_b32_e32 v2, 8, v19
	v_lshl_add_u32 v19, v22, 10, 0x2000
	v_lshlrev_b32_e32 v5, 23, v5
	s_delay_alu instid0(VALU_DEP_2) | instskip(NEXT) | instid1(VALU_DEP_1)
	v_and_or_b32 v2, 0x8000, v2, v19
	v_lshl_or_b32 v5, v2, 16, v5
.LBB296_3025:                           ;   in Loop: Header=BB296_2086 Depth=1
	s_wait_alu 0xfffe
	s_or_b32 exec_lo, exec_lo, s23
.LBB296_3026:                           ;   in Loop: Header=BB296_2086 Depth=1
	s_wait_alu 0xfffe
	s_or_b32 exec_lo, exec_lo, s22
.LBB296_3027:                           ;   in Loop: Header=BB296_2086 Depth=1
	s_wait_alu 0xfffe
	s_or_b32 exec_lo, exec_lo, s21
	v_lshrrev_b32_e32 v2, 16, v13
	v_mov_b32_e32 v19, 0
	s_mov_b32 s21, exec_lo
	s_delay_alu instid0(VALU_DEP_2) | instskip(NEXT) | instid1(VALU_DEP_1)
	v_dual_mov_b32 v22, 0 :: v_dual_and_b32 v33, 0xff, v2
	v_cmpx_ne_u16_e32 0, v33
	s_cbranch_execz .LBB296_3035
; %bb.3028:                             ;   in Loop: Header=BB296_2086 Depth=1
	v_mov_b32_e32 v22, 0x8000
	s_mov_b32 s22, exec_lo
	v_cmpx_ne_u16_e32 0x80, v33
	s_cbranch_execz .LBB296_3034
; %bb.3029:                             ;   in Loop: Header=BB296_2086 Depth=1
	v_bfe_u32 v34, v13, 16, 7
	v_mov_b32_e32 v22, 0x7c01
	s_mov_b32 s23, exec_lo
	s_delay_alu instid0(VALU_DEP_2)
	v_cmpx_ne_u32_e32 0x7f, v34
	s_cbranch_execz .LBB296_3033
; %bb.3030:                             ;   in Loop: Header=BB296_2086 Depth=1
	v_and_b32_e32 v22, 7, v2
	v_lshrrev_b32_e32 v33, 3, v34
	s_mov_b32 s24, exec_lo
	v_cmpx_gt_u32_e32 8, v34
; %bb.3031:                             ;   in Loop: Header=BB296_2086 Depth=1
	s_delay_alu instid0(VALU_DEP_3) | instskip(NEXT) | instid1(VALU_DEP_1)
	v_clz_i32_u32_e32 v22, v22
	v_min_u32_e32 v22, 32, v22
	s_delay_alu instid0(VALU_DEP_1) | instskip(NEXT) | instid1(VALU_DEP_1)
	v_subrev_nc_u32_e32 v33, 28, v22
	v_lshlrev_b64_e32 v[34:35], v33, v[2:3]
	v_sub_nc_u32_e32 v33, 29, v22
	s_delay_alu instid0(VALU_DEP_2)
	v_and_b32_e32 v22, 7, v34
; %bb.3032:                             ;   in Loop: Header=BB296_2086 Depth=1
	s_wait_alu 0xfffe
	s_or_b32 exec_lo, exec_lo, s24
	v_lshlrev_b32_e32 v2, 8, v2
	v_lshl_add_u32 v33, v33, 10, 0x2000
	v_lshlrev_b32_e32 v22, 7, v22
	s_delay_alu instid0(VALU_DEP_3) | instskip(NEXT) | instid1(VALU_DEP_3)
	v_and_b32_e32 v2, 0x8000, v2
	v_and_b32_e32 v33, 0xfc00, v33
	s_delay_alu instid0(VALU_DEP_1)
	v_or3_b32 v22, v2, v33, v22
.LBB296_3033:                           ;   in Loop: Header=BB296_2086 Depth=1
	s_wait_alu 0xfffe
	s_or_b32 exec_lo, exec_lo, s23
.LBB296_3034:                           ;   in Loop: Header=BB296_2086 Depth=1
	s_wait_alu 0xfffe
	s_or_b32 exec_lo, exec_lo, s22
.LBB296_3035:                           ;   in Loop: Header=BB296_2086 Depth=1
	s_wait_alu 0xfffe
	s_or_b32 exec_lo, exec_lo, s21
	s_delay_alu instid0(SALU_CYCLE_1)
	s_mov_b32 s21, exec_lo
	v_cmpx_lt_u32_e32 0xffffff, v13
	s_cbranch_execz .LBB296_3043
; %bb.3036:                             ;   in Loop: Header=BB296_2086 Depth=1
	v_lshrrev_b32_e32 v2, 24, v13
	v_bfrev_b32_e32 v19, 1
	s_mov_b32 s22, exec_lo
	s_delay_alu instid0(VALU_DEP_2)
	v_cmpx_ne_u32_e32 0x80, v2
	s_cbranch_execz .LBB296_3042
; %bb.3037:                             ;   in Loop: Header=BB296_2086 Depth=1
	v_and_b32_e32 v34, 0x7f, v2
	v_mov_b32_e32 v19, 0x7c010000
	s_mov_b32 s23, exec_lo
	s_delay_alu instid0(VALU_DEP_2)
	v_cmpx_ne_u32_e32 0x7f, v34
	s_cbranch_execz .LBB296_3041
; %bb.3038:                             ;   in Loop: Header=BB296_2086 Depth=1
	v_and_b32_e32 v19, 7, v2
	v_lshrrev_b32_e32 v33, 3, v34
	s_mov_b32 s24, exec_lo
	v_cmpx_gt_u32_e32 8, v34
; %bb.3039:                             ;   in Loop: Header=BB296_2086 Depth=1
	s_delay_alu instid0(VALU_DEP_3) | instskip(NEXT) | instid1(VALU_DEP_1)
	v_clz_i32_u32_e32 v19, v19
	v_min_u32_e32 v19, 32, v19
	s_delay_alu instid0(VALU_DEP_1) | instskip(NEXT) | instid1(VALU_DEP_1)
	v_subrev_nc_u32_e32 v33, 28, v19
	v_lshlrev_b64_e32 v[34:35], v33, v[2:3]
	v_sub_nc_u32_e32 v33, 29, v19
	s_delay_alu instid0(VALU_DEP_2)
	v_and_b32_e32 v19, 7, v34
; %bb.3040:                             ;   in Loop: Header=BB296_2086 Depth=1
	s_wait_alu 0xfffe
	s_or_b32 exec_lo, exec_lo, s24
	v_lshlrev_b32_e32 v2, 8, v2
	v_lshl_add_u32 v33, v33, 10, 0x2000
	v_lshlrev_b32_e32 v19, 23, v19
	s_delay_alu instid0(VALU_DEP_2) | instskip(NEXT) | instid1(VALU_DEP_1)
	v_and_or_b32 v2, 0x8000, v2, v33
	v_lshl_or_b32 v19, v2, 16, v19
.LBB296_3041:                           ;   in Loop: Header=BB296_2086 Depth=1
	s_wait_alu 0xfffe
	s_or_b32 exec_lo, exec_lo, s23
.LBB296_3042:                           ;   in Loop: Header=BB296_2086 Depth=1
	s_wait_alu 0xfffe
	s_or_b32 exec_lo, exec_lo, s22
.LBB296_3043:                           ;   in Loop: Header=BB296_2086 Depth=1
	s_wait_alu 0xfffe
	s_or_b32 exec_lo, exec_lo, s21
	v_dual_mov_b32 v2, v14 :: v_dual_and_b32 v35, 0xff, v14
	v_dual_mov_b32 v33, 0 :: v_dual_mov_b32 v34, 0
	s_mov_b32 s21, exec_lo
	s_delay_alu instid0(VALU_DEP_2)
	v_cmpx_ne_u16_e32 0, v35
	s_cbranch_execz .LBB296_3051
; %bb.3044:                             ;   in Loop: Header=BB296_2086 Depth=1
	v_mov_b32_e32 v34, 0x8000
	s_mov_b32 s22, exec_lo
	v_cmpx_ne_u16_e32 0x80, v35
	s_cbranch_execz .LBB296_3050
; %bb.3045:                             ;   in Loop: Header=BB296_2086 Depth=1
	v_and_b32_e32 v36, 0x7f, v14
	v_mov_b32_e32 v34, 0x7c01
	s_mov_b32 s23, exec_lo
	s_delay_alu instid0(VALU_DEP_2)
	v_cmpx_ne_u32_e32 0x7f, v36
	s_cbranch_execz .LBB296_3049
; %bb.3046:                             ;   in Loop: Header=BB296_2086 Depth=1
	v_and_b32_e32 v34, 7, v14
	v_lshrrev_b32_e32 v35, 3, v36
	s_mov_b32 s24, exec_lo
	v_cmpx_gt_u32_e32 8, v36
; %bb.3047:                             ;   in Loop: Header=BB296_2086 Depth=1
	s_delay_alu instid0(VALU_DEP_3) | instskip(NEXT) | instid1(VALU_DEP_1)
	v_clz_i32_u32_e32 v34, v34
	v_min_u32_e32 v36, 32, v34
	s_delay_alu instid0(VALU_DEP_1) | instskip(NEXT) | instid1(VALU_DEP_1)
	v_subrev_nc_u32_e32 v34, 28, v36
	v_lshlrev_b64_e32 v[34:35], v34, v[2:3]
	v_sub_nc_u32_e32 v35, 29, v36
	s_delay_alu instid0(VALU_DEP_2)
	v_and_b32_e32 v34, 7, v34
; %bb.3048:                             ;   in Loop: Header=BB296_2086 Depth=1
	s_wait_alu 0xfffe
	s_or_b32 exec_lo, exec_lo, s24
	v_lshlrev_b32_e32 v36, 8, v14
	v_lshl_add_u32 v35, v35, 10, 0x2000
	v_lshlrev_b32_e32 v34, 7, v34
	s_delay_alu instid0(VALU_DEP_3) | instskip(NEXT) | instid1(VALU_DEP_3)
	v_and_b32_e32 v36, 0x8000, v36
	v_and_b32_e32 v35, 0xfc00, v35
	s_delay_alu instid0(VALU_DEP_1)
	v_or3_b32 v34, v36, v35, v34
.LBB296_3049:                           ;   in Loop: Header=BB296_2086 Depth=1
	s_wait_alu 0xfffe
	s_or_b32 exec_lo, exec_lo, s23
.LBB296_3050:                           ;   in Loop: Header=BB296_2086 Depth=1
	s_wait_alu 0xfffe
	s_or_b32 exec_lo, exec_lo, s22
.LBB296_3051:                           ;   in Loop: Header=BB296_2086 Depth=1
	s_wait_alu 0xfffe
	s_or_b32 exec_lo, exec_lo, s21
	v_lshrrev_b16 v2, 8, v2
	v_mov_b32_e32 v35, 0
	s_mov_b32 s21, exec_lo
	s_delay_alu instid0(VALU_DEP_2)
	v_cmpx_ne_u16_e32 0, v2
	s_cbranch_execz .LBB296_3059
; %bb.3052:                             ;   in Loop: Header=BB296_2086 Depth=1
	v_bfrev_b32_e32 v35, 1
	s_mov_b32 s22, exec_lo
	v_cmpx_ne_u16_e32 0x80, v2
	s_cbranch_execz .LBB296_3058
; %bb.3053:                             ;   in Loop: Header=BB296_2086 Depth=1
	v_and_b32_e32 v36, 0xffff, v2
	v_mov_b32_e32 v35, 0x7c010000
	s_mov_b32 s23, exec_lo
	s_delay_alu instid0(VALU_DEP_2) | instskip(NEXT) | instid1(VALU_DEP_1)
	v_and_b32_e32 v39, 0x7f, v36
	v_cmpx_ne_u32_e32 0x7f, v39
	s_cbranch_execz .LBB296_3057
; %bb.3054:                             ;   in Loop: Header=BB296_2086 Depth=1
	v_and_b32_e32 v35, 7, v36
	v_lshrrev_b32_e32 v38, 3, v39
	s_mov_b32 s24, exec_lo
	v_cmpx_gt_u32_e32 8, v39
; %bb.3055:                             ;   in Loop: Header=BB296_2086 Depth=1
	s_delay_alu instid0(VALU_DEP_3) | instskip(NEXT) | instid1(VALU_DEP_1)
	v_clz_i32_u32_e32 v35, v35
	v_min_u32_e32 v35, 32, v35
	s_delay_alu instid0(VALU_DEP_1) | instskip(NEXT) | instid1(VALU_DEP_1)
	v_subrev_nc_u32_e32 v38, 28, v35
	v_lshlrev_b64_e32 v[49:50], v38, v[2:3]
	v_sub_nc_u32_e32 v38, 29, v35
	s_delay_alu instid0(VALU_DEP_2)
	v_and_b32_e32 v35, 7, v49
; %bb.3056:                             ;   in Loop: Header=BB296_2086 Depth=1
	s_wait_alu 0xfffe
	s_or_b32 exec_lo, exec_lo, s24
	v_lshlrev_b32_e32 v2, 8, v36
	v_lshl_add_u32 v36, v38, 10, 0x2000
	v_lshlrev_b32_e32 v35, 23, v35
	s_delay_alu instid0(VALU_DEP_2) | instskip(NEXT) | instid1(VALU_DEP_1)
	v_and_or_b32 v2, 0x8000, v2, v36
	v_lshl_or_b32 v35, v2, 16, v35
.LBB296_3057:                           ;   in Loop: Header=BB296_2086 Depth=1
	s_wait_alu 0xfffe
	s_or_b32 exec_lo, exec_lo, s23
.LBB296_3058:                           ;   in Loop: Header=BB296_2086 Depth=1
	s_wait_alu 0xfffe
	s_or_b32 exec_lo, exec_lo, s22
.LBB296_3059:                           ;   in Loop: Header=BB296_2086 Depth=1
	s_wait_alu 0xfffe
	s_or_b32 exec_lo, exec_lo, s21
	v_lshrrev_b32_e32 v2, 16, v14
	s_mov_b32 s21, exec_lo
	s_delay_alu instid0(VALU_DEP_1) | instskip(NEXT) | instid1(VALU_DEP_1)
	v_and_b32_e32 v36, 0xff, v2
	v_cmpx_ne_u16_e32 0, v36
	s_cbranch_execz .LBB296_3067
; %bb.3060:                             ;   in Loop: Header=BB296_2086 Depth=1
	v_mov_b32_e32 v33, 0x8000
	s_mov_b32 s22, exec_lo
	v_cmpx_ne_u16_e32 0x80, v36
	s_cbranch_execz .LBB296_3066
; %bb.3061:                             ;   in Loop: Header=BB296_2086 Depth=1
	v_bfe_u32 v38, v14, 16, 7
	v_mov_b32_e32 v33, 0x7c01
	s_mov_b32 s23, exec_lo
	s_delay_alu instid0(VALU_DEP_2)
	v_cmpx_ne_u32_e32 0x7f, v38
	s_cbranch_execz .LBB296_3065
; %bb.3062:                             ;   in Loop: Header=BB296_2086 Depth=1
	v_and_b32_e32 v33, 7, v2
	v_lshrrev_b32_e32 v36, 3, v38
	s_mov_b32 s24, exec_lo
	v_cmpx_gt_u32_e32 8, v38
; %bb.3063:                             ;   in Loop: Header=BB296_2086 Depth=1
	s_delay_alu instid0(VALU_DEP_3) | instskip(NEXT) | instid1(VALU_DEP_1)
	v_clz_i32_u32_e32 v33, v33
	v_min_u32_e32 v33, 32, v33
	s_delay_alu instid0(VALU_DEP_1) | instskip(NEXT) | instid1(VALU_DEP_1)
	v_subrev_nc_u32_e32 v36, 28, v33
	v_lshlrev_b64_e32 v[38:39], v36, v[2:3]
	v_sub_nc_u32_e32 v36, 29, v33
	s_delay_alu instid0(VALU_DEP_2)
	v_and_b32_e32 v33, 7, v38
; %bb.3064:                             ;   in Loop: Header=BB296_2086 Depth=1
	s_wait_alu 0xfffe
	s_or_b32 exec_lo, exec_lo, s24
	v_lshlrev_b32_e32 v2, 8, v2
	v_lshl_add_u32 v36, v36, 10, 0x2000
	v_lshlrev_b32_e32 v33, 7, v33
	s_delay_alu instid0(VALU_DEP_3) | instskip(NEXT) | instid1(VALU_DEP_3)
	v_and_b32_e32 v2, 0x8000, v2
	v_and_b32_e32 v36, 0xfc00, v36
	s_delay_alu instid0(VALU_DEP_1)
	v_or3_b32 v33, v2, v36, v33
.LBB296_3065:                           ;   in Loop: Header=BB296_2086 Depth=1
	s_wait_alu 0xfffe
	s_or_b32 exec_lo, exec_lo, s23
.LBB296_3066:                           ;   in Loop: Header=BB296_2086 Depth=1
	s_wait_alu 0xfffe
	s_or_b32 exec_lo, exec_lo, s22
.LBB296_3067:                           ;   in Loop: Header=BB296_2086 Depth=1
	s_wait_alu 0xfffe
	s_or_b32 exec_lo, exec_lo, s21
	v_cmp_lt_u64_e64 s8, s[16:17], v[13:14]
	v_mov_b32_e32 v13, 0
	s_and_saveexec_b32 s21, s8
	s_cbranch_execz .LBB296_3075
; %bb.3068:                             ;   in Loop: Header=BB296_2086 Depth=1
	v_lshrrev_b32_e32 v2, 24, v14
	v_bfrev_b32_e32 v13, 1
	s_mov_b32 s22, exec_lo
	s_delay_alu instid0(VALU_DEP_2)
	v_cmpx_ne_u32_e32 0x80, v2
	s_cbranch_execz .LBB296_3074
; %bb.3069:                             ;   in Loop: Header=BB296_2086 Depth=1
	v_and_b32_e32 v36, 0x7f, v2
	v_mov_b32_e32 v13, 0x7c010000
	s_mov_b32 s23, exec_lo
	s_delay_alu instid0(VALU_DEP_2)
	v_cmpx_ne_u32_e32 0x7f, v36
	s_cbranch_execz .LBB296_3073
; %bb.3070:                             ;   in Loop: Header=BB296_2086 Depth=1
	v_and_b32_e32 v13, 7, v2
	v_lshrrev_b32_e32 v14, 3, v36
	s_mov_b32 s24, exec_lo
	v_cmpx_gt_u32_e32 8, v36
; %bb.3071:                             ;   in Loop: Header=BB296_2086 Depth=1
	s_delay_alu instid0(VALU_DEP_3) | instskip(NEXT) | instid1(VALU_DEP_1)
	v_clz_i32_u32_e32 v13, v13
	v_min_u32_e32 v36, 32, v13
	s_delay_alu instid0(VALU_DEP_1) | instskip(NEXT) | instid1(VALU_DEP_1)
	v_subrev_nc_u32_e32 v13, 28, v36
	v_lshlrev_b64_e32 v[13:14], v13, v[2:3]
	v_sub_nc_u32_e32 v14, 29, v36
	s_delay_alu instid0(VALU_DEP_2)
	v_and_b32_e32 v13, 7, v13
; %bb.3072:                             ;   in Loop: Header=BB296_2086 Depth=1
	s_wait_alu 0xfffe
	s_or_b32 exec_lo, exec_lo, s24
	v_lshlrev_b32_e32 v2, 8, v2
	v_lshl_add_u32 v14, v14, 10, 0x2000
	v_lshlrev_b32_e32 v13, 23, v13
	s_delay_alu instid0(VALU_DEP_2) | instskip(NEXT) | instid1(VALU_DEP_1)
	v_and_or_b32 v2, 0x8000, v2, v14
	v_lshl_or_b32 v13, v2, 16, v13
.LBB296_3073:                           ;   in Loop: Header=BB296_2086 Depth=1
	s_wait_alu 0xfffe
	s_or_b32 exec_lo, exec_lo, s23
.LBB296_3074:                           ;   in Loop: Header=BB296_2086 Depth=1
	s_wait_alu 0xfffe
	s_or_b32 exec_lo, exec_lo, s22
.LBB296_3075:                           ;   in Loop: Header=BB296_2086 Depth=1
	s_wait_alu 0xfffe
	s_or_b32 exec_lo, exec_lo, s21
	v_or_b32_e32 v2, v19, v22
	s_wait_loadcnt_dscnt 0x0
	v_fma_mixlo_f16 v14, v4, v19, 0 op_sel:[0,1,0] op_sel_hi:[0,1,0]
	v_or_b32_e32 v19, v5, v6
	v_or_b32_e32 v22, v35, v34
	;; [unrolled: 1-line block ×3, first 2 shown]
	v_fma_mixlo_f16 v5, v4, v5, 0 op_sel:[0,1,0] op_sel_hi:[0,1,0]
	v_fma_mixlo_f16 v34, v4, v2, 0 op_sel_hi:[0,1,0]
	v_lshlrev_b32_e32 v2, 16, v14
	v_fma_mixlo_f16 v14, v4, v19, 0 op_sel_hi:[0,1,0]
	v_fma_mixlo_f16 v19, v4, v35, 0 op_sel:[0,1,0] op_sel_hi:[0,1,0]
	v_fma_mixlo_f16 v22, v4, v22, 0 op_sel_hi:[0,1,0]
	v_fma_mixlo_f16 v13, v4, v13, 0 op_sel:[0,1,0] op_sel_hi:[0,1,0]
	v_fma_mixlo_f16 v4, v4, v33, 0 op_sel_hi:[0,1,0]
	v_lshlrev_b32_e32 v6, 16, v5
	v_and_b32_e32 v5, 0xffff, v34
	v_and_b32_e32 v36, 0xffff, v14
	v_lshlrev_b32_e32 v33, 16, v19
	v_and_b32_e32 v35, 0xffff, v22
	v_lshlrev_b32_e32 v22, 16, v13
	v_and_b32_e32 v34, 0xffff, v4
	v_or_b32_e32 v4, v2, v5
	v_or_b32_e32 v19, v6, v36
	;; [unrolled: 1-line block ×3, first 2 shown]
	s_delay_alu instid0(VALU_DEP_4)
	v_or_b32_e32 v13, v22, v34
	s_and_saveexec_b32 s8, s0
	s_cbranch_execz .LBB296_3077
; %bb.3076:                             ;   in Loop: Header=BB296_2086 Depth=1
	s_wait_alu 0xfffd
	v_cndmask_b32_e32 v4, 0, v36, vcc_lo
	v_cndmask_b32_e64 v6, 0, v6, s3
	v_cndmask_b32_e64 v5, 0, v5, s1
	;; [unrolled: 1-line block ×7, first 2 shown]
	v_or_b32_e32 v19, v4, v6
	v_or_b32_e32 v4, v5, v2
	;; [unrolled: 1-line block ×3, first 2 shown]
	s_delay_alu instid0(VALU_DEP_4)
	v_or_b32_e32 v13, v33, v22
.LBB296_3077:                           ;   in Loop: Header=BB296_2086 Depth=1
	s_wait_alu 0xfffe
	s_or_b32 exec_lo, exec_lo, s8
	;;#ASMSTART
	v_pk_mul_f16 v2, v115, v19;

	;;#ASMEND
	;;#ASMSTART
	v_pk_mul_f16 v4, v114, v4;

	;;#ASMEND
	;; [unrolled: 4-line block ×4, first 2 shown]
	;;#ASMSTART
	v_pk_add_f16 v2, v2, v4;

	;;#ASMEND
	;;#ASMSTART
	v_pk_add_f16 v2, v2, v5;

	;;#ASMEND
	;;#ASMSTART
	v_pk_add_f16 v2, v2, v6;

	;;#ASMEND
	v_dual_mov_b32 v5, 0 :: v_dual_and_b32 v4, 0xffff, v2
	v_lshrrev_b32_e32 v2, 16, v2
	;;#ASMSTART
	v_cvt_f32_f16 v166, v4;
	;;#ASMEND
	;;#ASMSTART
	v_cvt_f32_f16 v151, v2;
	;;#ASMEND
	flat_load_b64 v[13:14], v[11:12] offset:3840
	flat_load_b32 v4, v[26:27]
	v_mov_b32_e32 v6, 0
	s_mov_b32 s21, exec_lo
	s_wait_loadcnt_dscnt 0x101
	v_and_b32_e32 v2, 0xff, v13
	s_delay_alu instid0(VALU_DEP_1)
	v_cmpx_ne_u16_e32 0, v2
	s_cbranch_execz .LBB296_3085
; %bb.3078:                             ;   in Loop: Header=BB296_2086 Depth=1
	v_mov_b32_e32 v6, 0x8000
	s_mov_b32 s22, exec_lo
	v_cmpx_ne_u16_e32 0x80, v2
	s_cbranch_execz .LBB296_3084
; %bb.3079:                             ;   in Loop: Header=BB296_2086 Depth=1
	v_and_b32_e32 v19, 0x7f, v13
	v_mov_b32_e32 v6, 0x7c01
	s_mov_b32 s23, exec_lo
	s_delay_alu instid0(VALU_DEP_2)
	v_cmpx_ne_u32_e32 0x7f, v19
	s_cbranch_execz .LBB296_3083
; %bb.3080:                             ;   in Loop: Header=BB296_2086 Depth=1
	v_and_b32_e32 v2, 7, v13
	v_lshrrev_b32_e32 v6, 3, v19
	s_mov_b32 s24, exec_lo
	v_cmpx_gt_u32_e32 8, v19
; %bb.3081:                             ;   in Loop: Header=BB296_2086 Depth=1
	s_delay_alu instid0(VALU_DEP_3) | instskip(NEXT) | instid1(VALU_DEP_1)
	v_clz_i32_u32_e32 v2, v2
	v_min_u32_e32 v2, 32, v2
	s_delay_alu instid0(VALU_DEP_1) | instskip(NEXT) | instid1(VALU_DEP_1)
	v_subrev_nc_u32_e32 v6, 28, v2
	v_lshlrev_b64_e32 v[33:34], v6, v[13:14]
	v_sub_nc_u32_e32 v6, 29, v2
	s_delay_alu instid0(VALU_DEP_2)
	v_and_b32_e32 v2, 7, v33
; %bb.3082:                             ;   in Loop: Header=BB296_2086 Depth=1
	s_wait_alu 0xfffe
	s_or_b32 exec_lo, exec_lo, s24
	v_lshlrev_b32_e32 v19, 8, v13
	v_lshl_add_u32 v6, v6, 10, 0x2000
	v_lshlrev_b32_e32 v2, 7, v2
	s_delay_alu instid0(VALU_DEP_3) | instskip(NEXT) | instid1(VALU_DEP_3)
	v_and_b32_e32 v19, 0x8000, v19
	v_and_b32_e32 v6, 0xfc00, v6
	s_delay_alu instid0(VALU_DEP_1)
	v_or3_b32 v6, v19, v6, v2
.LBB296_3083:                           ;   in Loop: Header=BB296_2086 Depth=1
	s_wait_alu 0xfffe
	s_or_b32 exec_lo, exec_lo, s23
.LBB296_3084:                           ;   in Loop: Header=BB296_2086 Depth=1
	s_wait_alu 0xfffe
	s_or_b32 exec_lo, exec_lo, s22
.LBB296_3085:                           ;   in Loop: Header=BB296_2086 Depth=1
	s_wait_alu 0xfffe
	s_or_b32 exec_lo, exec_lo, s21
	v_lshrrev_b16 v2, 8, v13
	s_mov_b32 s21, exec_lo
	s_delay_alu instid0(VALU_DEP_1)
	v_cmpx_ne_u16_e32 0, v2
	s_cbranch_execz .LBB296_3093
; %bb.3086:                             ;   in Loop: Header=BB296_2086 Depth=1
	v_bfrev_b32_e32 v5, 1
	s_mov_b32 s22, exec_lo
	v_cmpx_ne_u16_e32 0x80, v2
	s_cbranch_execz .LBB296_3092
; %bb.3087:                             ;   in Loop: Header=BB296_2086 Depth=1
	v_and_b32_e32 v19, 0xffff, v2
	v_mov_b32_e32 v5, 0x7c010000
	s_mov_b32 s23, exec_lo
	s_delay_alu instid0(VALU_DEP_2) | instskip(NEXT) | instid1(VALU_DEP_1)
	v_and_b32_e32 v33, 0x7f, v19
	v_cmpx_ne_u32_e32 0x7f, v33
	s_cbranch_execz .LBB296_3091
; %bb.3088:                             ;   in Loop: Header=BB296_2086 Depth=1
	v_and_b32_e32 v5, 7, v19
	v_lshrrev_b32_e32 v22, 3, v33
	s_mov_b32 s24, exec_lo
	v_cmpx_gt_u32_e32 8, v33
; %bb.3089:                             ;   in Loop: Header=BB296_2086 Depth=1
	s_delay_alu instid0(VALU_DEP_3) | instskip(NEXT) | instid1(VALU_DEP_1)
	v_clz_i32_u32_e32 v5, v5
	v_min_u32_e32 v5, 32, v5
	s_delay_alu instid0(VALU_DEP_1) | instskip(NEXT) | instid1(VALU_DEP_1)
	v_subrev_nc_u32_e32 v22, 28, v5
	v_lshlrev_b64_e32 v[33:34], v22, v[2:3]
	v_sub_nc_u32_e32 v22, 29, v5
	s_delay_alu instid0(VALU_DEP_2)
	v_and_b32_e32 v5, 7, v33
; %bb.3090:                             ;   in Loop: Header=BB296_2086 Depth=1
	s_wait_alu 0xfffe
	s_or_b32 exec_lo, exec_lo, s24
	v_lshlrev_b32_e32 v2, 8, v19
	v_lshl_add_u32 v19, v22, 10, 0x2000
	v_lshlrev_b32_e32 v5, 23, v5
	s_delay_alu instid0(VALU_DEP_2) | instskip(NEXT) | instid1(VALU_DEP_1)
	v_and_or_b32 v2, 0x8000, v2, v19
	v_lshl_or_b32 v5, v2, 16, v5
.LBB296_3091:                           ;   in Loop: Header=BB296_2086 Depth=1
	s_wait_alu 0xfffe
	s_or_b32 exec_lo, exec_lo, s23
.LBB296_3092:                           ;   in Loop: Header=BB296_2086 Depth=1
	s_wait_alu 0xfffe
	s_or_b32 exec_lo, exec_lo, s22
.LBB296_3093:                           ;   in Loop: Header=BB296_2086 Depth=1
	s_wait_alu 0xfffe
	s_or_b32 exec_lo, exec_lo, s21
	v_lshrrev_b32_e32 v2, 16, v13
	v_mov_b32_e32 v19, 0
	s_mov_b32 s21, exec_lo
	s_delay_alu instid0(VALU_DEP_2) | instskip(NEXT) | instid1(VALU_DEP_1)
	v_dual_mov_b32 v22, 0 :: v_dual_and_b32 v33, 0xff, v2
	v_cmpx_ne_u16_e32 0, v33
	s_cbranch_execz .LBB296_3101
; %bb.3094:                             ;   in Loop: Header=BB296_2086 Depth=1
	v_mov_b32_e32 v22, 0x8000
	s_mov_b32 s22, exec_lo
	v_cmpx_ne_u16_e32 0x80, v33
	s_cbranch_execz .LBB296_3100
; %bb.3095:                             ;   in Loop: Header=BB296_2086 Depth=1
	v_bfe_u32 v34, v13, 16, 7
	v_mov_b32_e32 v22, 0x7c01
	s_mov_b32 s23, exec_lo
	s_delay_alu instid0(VALU_DEP_2)
	v_cmpx_ne_u32_e32 0x7f, v34
	s_cbranch_execz .LBB296_3099
; %bb.3096:                             ;   in Loop: Header=BB296_2086 Depth=1
	v_and_b32_e32 v22, 7, v2
	v_lshrrev_b32_e32 v33, 3, v34
	s_mov_b32 s24, exec_lo
	v_cmpx_gt_u32_e32 8, v34
; %bb.3097:                             ;   in Loop: Header=BB296_2086 Depth=1
	s_delay_alu instid0(VALU_DEP_3) | instskip(NEXT) | instid1(VALU_DEP_1)
	v_clz_i32_u32_e32 v22, v22
	v_min_u32_e32 v22, 32, v22
	s_delay_alu instid0(VALU_DEP_1) | instskip(NEXT) | instid1(VALU_DEP_1)
	v_subrev_nc_u32_e32 v33, 28, v22
	v_lshlrev_b64_e32 v[34:35], v33, v[2:3]
	v_sub_nc_u32_e32 v33, 29, v22
	s_delay_alu instid0(VALU_DEP_2)
	v_and_b32_e32 v22, 7, v34
; %bb.3098:                             ;   in Loop: Header=BB296_2086 Depth=1
	s_wait_alu 0xfffe
	s_or_b32 exec_lo, exec_lo, s24
	v_lshlrev_b32_e32 v2, 8, v2
	v_lshl_add_u32 v33, v33, 10, 0x2000
	v_lshlrev_b32_e32 v22, 7, v22
	s_delay_alu instid0(VALU_DEP_3) | instskip(NEXT) | instid1(VALU_DEP_3)
	v_and_b32_e32 v2, 0x8000, v2
	v_and_b32_e32 v33, 0xfc00, v33
	s_delay_alu instid0(VALU_DEP_1)
	v_or3_b32 v22, v2, v33, v22
.LBB296_3099:                           ;   in Loop: Header=BB296_2086 Depth=1
	s_wait_alu 0xfffe
	s_or_b32 exec_lo, exec_lo, s23
.LBB296_3100:                           ;   in Loop: Header=BB296_2086 Depth=1
	s_wait_alu 0xfffe
	s_or_b32 exec_lo, exec_lo, s22
.LBB296_3101:                           ;   in Loop: Header=BB296_2086 Depth=1
	s_wait_alu 0xfffe
	s_or_b32 exec_lo, exec_lo, s21
	s_delay_alu instid0(SALU_CYCLE_1)
	s_mov_b32 s21, exec_lo
	v_cmpx_lt_u32_e32 0xffffff, v13
	s_cbranch_execz .LBB296_3109
; %bb.3102:                             ;   in Loop: Header=BB296_2086 Depth=1
	v_lshrrev_b32_e32 v2, 24, v13
	v_bfrev_b32_e32 v19, 1
	s_mov_b32 s22, exec_lo
	s_delay_alu instid0(VALU_DEP_2)
	v_cmpx_ne_u32_e32 0x80, v2
	s_cbranch_execz .LBB296_3108
; %bb.3103:                             ;   in Loop: Header=BB296_2086 Depth=1
	v_and_b32_e32 v34, 0x7f, v2
	v_mov_b32_e32 v19, 0x7c010000
	s_mov_b32 s23, exec_lo
	s_delay_alu instid0(VALU_DEP_2)
	v_cmpx_ne_u32_e32 0x7f, v34
	s_cbranch_execz .LBB296_3107
; %bb.3104:                             ;   in Loop: Header=BB296_2086 Depth=1
	v_and_b32_e32 v19, 7, v2
	v_lshrrev_b32_e32 v33, 3, v34
	s_mov_b32 s24, exec_lo
	v_cmpx_gt_u32_e32 8, v34
; %bb.3105:                             ;   in Loop: Header=BB296_2086 Depth=1
	s_delay_alu instid0(VALU_DEP_3) | instskip(NEXT) | instid1(VALU_DEP_1)
	v_clz_i32_u32_e32 v19, v19
	v_min_u32_e32 v19, 32, v19
	s_delay_alu instid0(VALU_DEP_1) | instskip(NEXT) | instid1(VALU_DEP_1)
	v_subrev_nc_u32_e32 v33, 28, v19
	v_lshlrev_b64_e32 v[34:35], v33, v[2:3]
	v_sub_nc_u32_e32 v33, 29, v19
	s_delay_alu instid0(VALU_DEP_2)
	v_and_b32_e32 v19, 7, v34
; %bb.3106:                             ;   in Loop: Header=BB296_2086 Depth=1
	s_wait_alu 0xfffe
	s_or_b32 exec_lo, exec_lo, s24
	v_lshlrev_b32_e32 v2, 8, v2
	v_lshl_add_u32 v33, v33, 10, 0x2000
	v_lshlrev_b32_e32 v19, 23, v19
	s_delay_alu instid0(VALU_DEP_2) | instskip(NEXT) | instid1(VALU_DEP_1)
	v_and_or_b32 v2, 0x8000, v2, v33
	v_lshl_or_b32 v19, v2, 16, v19
.LBB296_3107:                           ;   in Loop: Header=BB296_2086 Depth=1
	s_wait_alu 0xfffe
	s_or_b32 exec_lo, exec_lo, s23
.LBB296_3108:                           ;   in Loop: Header=BB296_2086 Depth=1
	s_wait_alu 0xfffe
	s_or_b32 exec_lo, exec_lo, s22
.LBB296_3109:                           ;   in Loop: Header=BB296_2086 Depth=1
	s_wait_alu 0xfffe
	s_or_b32 exec_lo, exec_lo, s21
	v_dual_mov_b32 v2, v14 :: v_dual_and_b32 v35, 0xff, v14
	v_dual_mov_b32 v33, 0 :: v_dual_mov_b32 v34, 0
	s_mov_b32 s21, exec_lo
	s_delay_alu instid0(VALU_DEP_2)
	v_cmpx_ne_u16_e32 0, v35
	s_cbranch_execz .LBB296_3117
; %bb.3110:                             ;   in Loop: Header=BB296_2086 Depth=1
	v_mov_b32_e32 v34, 0x8000
	s_mov_b32 s22, exec_lo
	v_cmpx_ne_u16_e32 0x80, v35
	s_cbranch_execz .LBB296_3116
; %bb.3111:                             ;   in Loop: Header=BB296_2086 Depth=1
	v_and_b32_e32 v36, 0x7f, v14
	v_mov_b32_e32 v34, 0x7c01
	s_mov_b32 s23, exec_lo
	s_delay_alu instid0(VALU_DEP_2)
	v_cmpx_ne_u32_e32 0x7f, v36
	s_cbranch_execz .LBB296_3115
; %bb.3112:                             ;   in Loop: Header=BB296_2086 Depth=1
	v_and_b32_e32 v34, 7, v14
	v_lshrrev_b32_e32 v35, 3, v36
	s_mov_b32 s24, exec_lo
	v_cmpx_gt_u32_e32 8, v36
; %bb.3113:                             ;   in Loop: Header=BB296_2086 Depth=1
	s_delay_alu instid0(VALU_DEP_3) | instskip(NEXT) | instid1(VALU_DEP_1)
	v_clz_i32_u32_e32 v34, v34
	v_min_u32_e32 v36, 32, v34
	s_delay_alu instid0(VALU_DEP_1) | instskip(NEXT) | instid1(VALU_DEP_1)
	v_subrev_nc_u32_e32 v34, 28, v36
	v_lshlrev_b64_e32 v[34:35], v34, v[2:3]
	v_sub_nc_u32_e32 v35, 29, v36
	s_delay_alu instid0(VALU_DEP_2)
	v_and_b32_e32 v34, 7, v34
; %bb.3114:                             ;   in Loop: Header=BB296_2086 Depth=1
	s_wait_alu 0xfffe
	s_or_b32 exec_lo, exec_lo, s24
	v_lshlrev_b32_e32 v36, 8, v14
	v_lshl_add_u32 v35, v35, 10, 0x2000
	v_lshlrev_b32_e32 v34, 7, v34
	s_delay_alu instid0(VALU_DEP_3) | instskip(NEXT) | instid1(VALU_DEP_3)
	v_and_b32_e32 v36, 0x8000, v36
	v_and_b32_e32 v35, 0xfc00, v35
	s_delay_alu instid0(VALU_DEP_1)
	v_or3_b32 v34, v36, v35, v34
.LBB296_3115:                           ;   in Loop: Header=BB296_2086 Depth=1
	s_wait_alu 0xfffe
	s_or_b32 exec_lo, exec_lo, s23
.LBB296_3116:                           ;   in Loop: Header=BB296_2086 Depth=1
	s_wait_alu 0xfffe
	s_or_b32 exec_lo, exec_lo, s22
.LBB296_3117:                           ;   in Loop: Header=BB296_2086 Depth=1
	s_wait_alu 0xfffe
	s_or_b32 exec_lo, exec_lo, s21
	v_lshrrev_b16 v2, 8, v2
	v_mov_b32_e32 v35, 0
	s_mov_b32 s21, exec_lo
	s_delay_alu instid0(VALU_DEP_2)
	v_cmpx_ne_u16_e32 0, v2
	s_cbranch_execz .LBB296_3125
; %bb.3118:                             ;   in Loop: Header=BB296_2086 Depth=1
	v_bfrev_b32_e32 v35, 1
	s_mov_b32 s22, exec_lo
	v_cmpx_ne_u16_e32 0x80, v2
	s_cbranch_execz .LBB296_3124
; %bb.3119:                             ;   in Loop: Header=BB296_2086 Depth=1
	v_and_b32_e32 v36, 0xffff, v2
	v_mov_b32_e32 v35, 0x7c010000
	s_mov_b32 s23, exec_lo
	s_delay_alu instid0(VALU_DEP_2) | instskip(NEXT) | instid1(VALU_DEP_1)
	v_and_b32_e32 v39, 0x7f, v36
	v_cmpx_ne_u32_e32 0x7f, v39
	s_cbranch_execz .LBB296_3123
; %bb.3120:                             ;   in Loop: Header=BB296_2086 Depth=1
	v_and_b32_e32 v35, 7, v36
	v_lshrrev_b32_e32 v38, 3, v39
	s_mov_b32 s24, exec_lo
	v_cmpx_gt_u32_e32 8, v39
; %bb.3121:                             ;   in Loop: Header=BB296_2086 Depth=1
	s_delay_alu instid0(VALU_DEP_3) | instskip(NEXT) | instid1(VALU_DEP_1)
	v_clz_i32_u32_e32 v35, v35
	v_min_u32_e32 v35, 32, v35
	s_delay_alu instid0(VALU_DEP_1) | instskip(NEXT) | instid1(VALU_DEP_1)
	v_subrev_nc_u32_e32 v38, 28, v35
	v_lshlrev_b64_e32 v[49:50], v38, v[2:3]
	v_sub_nc_u32_e32 v38, 29, v35
	s_delay_alu instid0(VALU_DEP_2)
	v_and_b32_e32 v35, 7, v49
; %bb.3122:                             ;   in Loop: Header=BB296_2086 Depth=1
	s_wait_alu 0xfffe
	s_or_b32 exec_lo, exec_lo, s24
	v_lshlrev_b32_e32 v2, 8, v36
	v_lshl_add_u32 v36, v38, 10, 0x2000
	v_lshlrev_b32_e32 v35, 23, v35
	s_delay_alu instid0(VALU_DEP_2) | instskip(NEXT) | instid1(VALU_DEP_1)
	v_and_or_b32 v2, 0x8000, v2, v36
	v_lshl_or_b32 v35, v2, 16, v35
.LBB296_3123:                           ;   in Loop: Header=BB296_2086 Depth=1
	s_wait_alu 0xfffe
	s_or_b32 exec_lo, exec_lo, s23
.LBB296_3124:                           ;   in Loop: Header=BB296_2086 Depth=1
	s_wait_alu 0xfffe
	s_or_b32 exec_lo, exec_lo, s22
.LBB296_3125:                           ;   in Loop: Header=BB296_2086 Depth=1
	s_wait_alu 0xfffe
	s_or_b32 exec_lo, exec_lo, s21
	v_lshrrev_b32_e32 v2, 16, v14
	s_mov_b32 s21, exec_lo
	s_delay_alu instid0(VALU_DEP_1) | instskip(NEXT) | instid1(VALU_DEP_1)
	v_and_b32_e32 v36, 0xff, v2
	v_cmpx_ne_u16_e32 0, v36
	s_cbranch_execz .LBB296_3133
; %bb.3126:                             ;   in Loop: Header=BB296_2086 Depth=1
	v_mov_b32_e32 v33, 0x8000
	s_mov_b32 s22, exec_lo
	v_cmpx_ne_u16_e32 0x80, v36
	s_cbranch_execz .LBB296_3132
; %bb.3127:                             ;   in Loop: Header=BB296_2086 Depth=1
	v_bfe_u32 v38, v14, 16, 7
	v_mov_b32_e32 v33, 0x7c01
	s_mov_b32 s23, exec_lo
	s_delay_alu instid0(VALU_DEP_2)
	v_cmpx_ne_u32_e32 0x7f, v38
	s_cbranch_execz .LBB296_3131
; %bb.3128:                             ;   in Loop: Header=BB296_2086 Depth=1
	v_and_b32_e32 v33, 7, v2
	v_lshrrev_b32_e32 v36, 3, v38
	s_mov_b32 s24, exec_lo
	v_cmpx_gt_u32_e32 8, v38
; %bb.3129:                             ;   in Loop: Header=BB296_2086 Depth=1
	s_delay_alu instid0(VALU_DEP_3) | instskip(NEXT) | instid1(VALU_DEP_1)
	v_clz_i32_u32_e32 v33, v33
	v_min_u32_e32 v33, 32, v33
	s_delay_alu instid0(VALU_DEP_1) | instskip(NEXT) | instid1(VALU_DEP_1)
	v_subrev_nc_u32_e32 v36, 28, v33
	v_lshlrev_b64_e32 v[38:39], v36, v[2:3]
	v_sub_nc_u32_e32 v36, 29, v33
	s_delay_alu instid0(VALU_DEP_2)
	v_and_b32_e32 v33, 7, v38
; %bb.3130:                             ;   in Loop: Header=BB296_2086 Depth=1
	s_wait_alu 0xfffe
	s_or_b32 exec_lo, exec_lo, s24
	v_lshlrev_b32_e32 v2, 8, v2
	v_lshl_add_u32 v36, v36, 10, 0x2000
	v_lshlrev_b32_e32 v33, 7, v33
	s_delay_alu instid0(VALU_DEP_3) | instskip(NEXT) | instid1(VALU_DEP_3)
	v_and_b32_e32 v2, 0x8000, v2
	v_and_b32_e32 v36, 0xfc00, v36
	s_delay_alu instid0(VALU_DEP_1)
	v_or3_b32 v33, v2, v36, v33
.LBB296_3131:                           ;   in Loop: Header=BB296_2086 Depth=1
	s_wait_alu 0xfffe
	s_or_b32 exec_lo, exec_lo, s23
.LBB296_3132:                           ;   in Loop: Header=BB296_2086 Depth=1
	s_wait_alu 0xfffe
	s_or_b32 exec_lo, exec_lo, s22
.LBB296_3133:                           ;   in Loop: Header=BB296_2086 Depth=1
	s_wait_alu 0xfffe
	s_or_b32 exec_lo, exec_lo, s21
	v_cmp_lt_u64_e64 s8, s[16:17], v[13:14]
	v_mov_b32_e32 v13, 0
	s_and_saveexec_b32 s21, s8
	s_cbranch_execz .LBB296_3141
; %bb.3134:                             ;   in Loop: Header=BB296_2086 Depth=1
	v_lshrrev_b32_e32 v2, 24, v14
	v_bfrev_b32_e32 v13, 1
	s_mov_b32 s22, exec_lo
	s_delay_alu instid0(VALU_DEP_2)
	v_cmpx_ne_u32_e32 0x80, v2
	s_cbranch_execz .LBB296_3140
; %bb.3135:                             ;   in Loop: Header=BB296_2086 Depth=1
	v_and_b32_e32 v36, 0x7f, v2
	v_mov_b32_e32 v13, 0x7c010000
	s_mov_b32 s23, exec_lo
	s_delay_alu instid0(VALU_DEP_2)
	v_cmpx_ne_u32_e32 0x7f, v36
	s_cbranch_execz .LBB296_3139
; %bb.3136:                             ;   in Loop: Header=BB296_2086 Depth=1
	v_and_b32_e32 v13, 7, v2
	v_lshrrev_b32_e32 v14, 3, v36
	s_mov_b32 s24, exec_lo
	v_cmpx_gt_u32_e32 8, v36
; %bb.3137:                             ;   in Loop: Header=BB296_2086 Depth=1
	s_delay_alu instid0(VALU_DEP_3) | instskip(NEXT) | instid1(VALU_DEP_1)
	v_clz_i32_u32_e32 v13, v13
	v_min_u32_e32 v36, 32, v13
	s_delay_alu instid0(VALU_DEP_1) | instskip(NEXT) | instid1(VALU_DEP_1)
	v_subrev_nc_u32_e32 v13, 28, v36
	v_lshlrev_b64_e32 v[13:14], v13, v[2:3]
	v_sub_nc_u32_e32 v14, 29, v36
	s_delay_alu instid0(VALU_DEP_2)
	v_and_b32_e32 v13, 7, v13
; %bb.3138:                             ;   in Loop: Header=BB296_2086 Depth=1
	s_wait_alu 0xfffe
	s_or_b32 exec_lo, exec_lo, s24
	v_lshlrev_b32_e32 v2, 8, v2
	v_lshl_add_u32 v14, v14, 10, 0x2000
	v_lshlrev_b32_e32 v13, 23, v13
	s_delay_alu instid0(VALU_DEP_2) | instskip(NEXT) | instid1(VALU_DEP_1)
	v_and_or_b32 v2, 0x8000, v2, v14
	v_lshl_or_b32 v13, v2, 16, v13
.LBB296_3139:                           ;   in Loop: Header=BB296_2086 Depth=1
	s_wait_alu 0xfffe
	s_or_b32 exec_lo, exec_lo, s23
.LBB296_3140:                           ;   in Loop: Header=BB296_2086 Depth=1
	s_wait_alu 0xfffe
	s_or_b32 exec_lo, exec_lo, s22
.LBB296_3141:                           ;   in Loop: Header=BB296_2086 Depth=1
	s_wait_alu 0xfffe
	s_or_b32 exec_lo, exec_lo, s21
	v_or_b32_e32 v2, v19, v22
	s_wait_loadcnt_dscnt 0x0
	v_fma_mixlo_f16 v14, v4, v19, 0 op_sel:[0,1,0] op_sel_hi:[0,1,0]
	v_or_b32_e32 v19, v5, v6
	v_or_b32_e32 v22, v35, v34
	;; [unrolled: 1-line block ×3, first 2 shown]
	v_fma_mixlo_f16 v5, v4, v5, 0 op_sel:[0,1,0] op_sel_hi:[0,1,0]
	v_fma_mixlo_f16 v34, v4, v2, 0 op_sel_hi:[0,1,0]
	v_lshlrev_b32_e32 v2, 16, v14
	v_fma_mixlo_f16 v14, v4, v19, 0 op_sel_hi:[0,1,0]
	v_fma_mixlo_f16 v19, v4, v35, 0 op_sel:[0,1,0] op_sel_hi:[0,1,0]
	v_fma_mixlo_f16 v22, v4, v22, 0 op_sel_hi:[0,1,0]
	v_fma_mixlo_f16 v13, v4, v13, 0 op_sel:[0,1,0] op_sel_hi:[0,1,0]
	v_fma_mixlo_f16 v4, v4, v33, 0 op_sel_hi:[0,1,0]
	v_lshlrev_b32_e32 v6, 16, v5
	v_and_b32_e32 v5, 0xffff, v34
	v_and_b32_e32 v36, 0xffff, v14
	v_lshlrev_b32_e32 v33, 16, v19
	v_and_b32_e32 v35, 0xffff, v22
	v_lshlrev_b32_e32 v22, 16, v13
	v_and_b32_e32 v34, 0xffff, v4
	v_or_b32_e32 v4, v2, v5
	v_or_b32_e32 v19, v6, v36
	;; [unrolled: 1-line block ×3, first 2 shown]
	s_delay_alu instid0(VALU_DEP_4)
	v_or_b32_e32 v13, v22, v34
	s_and_saveexec_b32 s8, s0
	s_cbranch_execz .LBB296_3143
; %bb.3142:                             ;   in Loop: Header=BB296_2086 Depth=1
	s_wait_alu 0xfffd
	v_cndmask_b32_e32 v4, 0, v36, vcc_lo
	v_cndmask_b32_e64 v6, 0, v6, s3
	v_cndmask_b32_e64 v5, 0, v5, s1
	;; [unrolled: 1-line block ×7, first 2 shown]
	v_or_b32_e32 v19, v4, v6
	v_or_b32_e32 v4, v5, v2
	;; [unrolled: 1-line block ×3, first 2 shown]
	s_delay_alu instid0(VALU_DEP_4)
	v_or_b32_e32 v13, v33, v22
.LBB296_3143:                           ;   in Loop: Header=BB296_2086 Depth=1
	s_wait_alu 0xfffe
	s_or_b32 exec_lo, exec_lo, s8
	;;#ASMSTART
	v_pk_mul_f16 v2, v115, v19;

	;;#ASMEND
	;;#ASMSTART
	v_pk_mul_f16 v4, v114, v4;

	;;#ASMEND
	;;#ASMSTART
	v_pk_mul_f16 v5, v113, v14;

	;;#ASMEND
	;;#ASMSTART
	v_pk_mul_f16 v6, v112, v13;

	;;#ASMEND
	;;#ASMSTART
	v_pk_add_f16 v2, v2, v4;

	;;#ASMEND
	;;#ASMSTART
	v_pk_add_f16 v2, v2, v5;

	;;#ASMEND
	;; [unrolled: 4-line block ×3, first 2 shown]
	v_dual_mov_b32 v5, 0 :: v_dual_and_b32 v4, 0xffff, v2
	v_lshrrev_b32_e32 v2, 16, v2
	;;#ASMSTART
	v_cvt_f32_f16 v176, v4;
	;;#ASMEND
	;;#ASMSTART
	v_cvt_f32_f16 v177, v2;
	;;#ASMEND
	flat_load_b64 v[13:14], v[11:12] offset:4096
	flat_load_b32 v4, v[26:27]
	v_mov_b32_e32 v6, 0
	s_mov_b32 s21, exec_lo
	s_wait_loadcnt_dscnt 0x101
	v_and_b32_e32 v2, 0xff, v13
	s_delay_alu instid0(VALU_DEP_1)
	v_cmpx_ne_u16_e32 0, v2
	s_cbranch_execz .LBB296_3151
; %bb.3144:                             ;   in Loop: Header=BB296_2086 Depth=1
	v_mov_b32_e32 v6, 0x8000
	s_mov_b32 s22, exec_lo
	v_cmpx_ne_u16_e32 0x80, v2
	s_cbranch_execz .LBB296_3150
; %bb.3145:                             ;   in Loop: Header=BB296_2086 Depth=1
	v_and_b32_e32 v19, 0x7f, v13
	v_mov_b32_e32 v6, 0x7c01
	s_mov_b32 s23, exec_lo
	s_delay_alu instid0(VALU_DEP_2)
	v_cmpx_ne_u32_e32 0x7f, v19
	s_cbranch_execz .LBB296_3149
; %bb.3146:                             ;   in Loop: Header=BB296_2086 Depth=1
	v_and_b32_e32 v2, 7, v13
	v_lshrrev_b32_e32 v6, 3, v19
	s_mov_b32 s24, exec_lo
	v_cmpx_gt_u32_e32 8, v19
; %bb.3147:                             ;   in Loop: Header=BB296_2086 Depth=1
	s_delay_alu instid0(VALU_DEP_3) | instskip(NEXT) | instid1(VALU_DEP_1)
	v_clz_i32_u32_e32 v2, v2
	v_min_u32_e32 v2, 32, v2
	s_delay_alu instid0(VALU_DEP_1) | instskip(NEXT) | instid1(VALU_DEP_1)
	v_subrev_nc_u32_e32 v6, 28, v2
	v_lshlrev_b64_e32 v[33:34], v6, v[13:14]
	v_sub_nc_u32_e32 v6, 29, v2
	s_delay_alu instid0(VALU_DEP_2)
	v_and_b32_e32 v2, 7, v33
; %bb.3148:                             ;   in Loop: Header=BB296_2086 Depth=1
	s_wait_alu 0xfffe
	s_or_b32 exec_lo, exec_lo, s24
	v_lshlrev_b32_e32 v19, 8, v13
	v_lshl_add_u32 v6, v6, 10, 0x2000
	v_lshlrev_b32_e32 v2, 7, v2
	s_delay_alu instid0(VALU_DEP_3) | instskip(NEXT) | instid1(VALU_DEP_3)
	v_and_b32_e32 v19, 0x8000, v19
	v_and_b32_e32 v6, 0xfc00, v6
	s_delay_alu instid0(VALU_DEP_1)
	v_or3_b32 v6, v19, v6, v2
.LBB296_3149:                           ;   in Loop: Header=BB296_2086 Depth=1
	s_wait_alu 0xfffe
	s_or_b32 exec_lo, exec_lo, s23
.LBB296_3150:                           ;   in Loop: Header=BB296_2086 Depth=1
	s_wait_alu 0xfffe
	s_or_b32 exec_lo, exec_lo, s22
.LBB296_3151:                           ;   in Loop: Header=BB296_2086 Depth=1
	s_wait_alu 0xfffe
	s_or_b32 exec_lo, exec_lo, s21
	v_lshrrev_b16 v2, 8, v13
	s_mov_b32 s21, exec_lo
	s_delay_alu instid0(VALU_DEP_1)
	v_cmpx_ne_u16_e32 0, v2
	s_cbranch_execz .LBB296_3159
; %bb.3152:                             ;   in Loop: Header=BB296_2086 Depth=1
	v_bfrev_b32_e32 v5, 1
	s_mov_b32 s22, exec_lo
	v_cmpx_ne_u16_e32 0x80, v2
	s_cbranch_execz .LBB296_3158
; %bb.3153:                             ;   in Loop: Header=BB296_2086 Depth=1
	v_and_b32_e32 v19, 0xffff, v2
	v_mov_b32_e32 v5, 0x7c010000
	s_mov_b32 s23, exec_lo
	s_delay_alu instid0(VALU_DEP_2) | instskip(NEXT) | instid1(VALU_DEP_1)
	v_and_b32_e32 v33, 0x7f, v19
	v_cmpx_ne_u32_e32 0x7f, v33
	s_cbranch_execz .LBB296_3157
; %bb.3154:                             ;   in Loop: Header=BB296_2086 Depth=1
	v_and_b32_e32 v5, 7, v19
	v_lshrrev_b32_e32 v22, 3, v33
	s_mov_b32 s24, exec_lo
	v_cmpx_gt_u32_e32 8, v33
; %bb.3155:                             ;   in Loop: Header=BB296_2086 Depth=1
	s_delay_alu instid0(VALU_DEP_3) | instskip(NEXT) | instid1(VALU_DEP_1)
	v_clz_i32_u32_e32 v5, v5
	v_min_u32_e32 v5, 32, v5
	s_delay_alu instid0(VALU_DEP_1) | instskip(NEXT) | instid1(VALU_DEP_1)
	v_subrev_nc_u32_e32 v22, 28, v5
	v_lshlrev_b64_e32 v[33:34], v22, v[2:3]
	v_sub_nc_u32_e32 v22, 29, v5
	s_delay_alu instid0(VALU_DEP_2)
	v_and_b32_e32 v5, 7, v33
; %bb.3156:                             ;   in Loop: Header=BB296_2086 Depth=1
	s_wait_alu 0xfffe
	s_or_b32 exec_lo, exec_lo, s24
	v_lshlrev_b32_e32 v2, 8, v19
	v_lshl_add_u32 v19, v22, 10, 0x2000
	v_lshlrev_b32_e32 v5, 23, v5
	s_delay_alu instid0(VALU_DEP_2) | instskip(NEXT) | instid1(VALU_DEP_1)
	v_and_or_b32 v2, 0x8000, v2, v19
	v_lshl_or_b32 v5, v2, 16, v5
.LBB296_3157:                           ;   in Loop: Header=BB296_2086 Depth=1
	s_wait_alu 0xfffe
	s_or_b32 exec_lo, exec_lo, s23
.LBB296_3158:                           ;   in Loop: Header=BB296_2086 Depth=1
	s_wait_alu 0xfffe
	s_or_b32 exec_lo, exec_lo, s22
.LBB296_3159:                           ;   in Loop: Header=BB296_2086 Depth=1
	s_wait_alu 0xfffe
	s_or_b32 exec_lo, exec_lo, s21
	v_lshrrev_b32_e32 v2, 16, v13
	v_mov_b32_e32 v19, 0
	s_mov_b32 s21, exec_lo
	s_delay_alu instid0(VALU_DEP_2) | instskip(NEXT) | instid1(VALU_DEP_1)
	v_dual_mov_b32 v22, 0 :: v_dual_and_b32 v33, 0xff, v2
	v_cmpx_ne_u16_e32 0, v33
	s_cbranch_execz .LBB296_3167
; %bb.3160:                             ;   in Loop: Header=BB296_2086 Depth=1
	v_mov_b32_e32 v22, 0x8000
	s_mov_b32 s22, exec_lo
	v_cmpx_ne_u16_e32 0x80, v33
	s_cbranch_execz .LBB296_3166
; %bb.3161:                             ;   in Loop: Header=BB296_2086 Depth=1
	v_bfe_u32 v34, v13, 16, 7
	v_mov_b32_e32 v22, 0x7c01
	s_mov_b32 s23, exec_lo
	s_delay_alu instid0(VALU_DEP_2)
	v_cmpx_ne_u32_e32 0x7f, v34
	s_cbranch_execz .LBB296_3165
; %bb.3162:                             ;   in Loop: Header=BB296_2086 Depth=1
	v_and_b32_e32 v22, 7, v2
	v_lshrrev_b32_e32 v33, 3, v34
	s_mov_b32 s24, exec_lo
	v_cmpx_gt_u32_e32 8, v34
; %bb.3163:                             ;   in Loop: Header=BB296_2086 Depth=1
	s_delay_alu instid0(VALU_DEP_3) | instskip(NEXT) | instid1(VALU_DEP_1)
	v_clz_i32_u32_e32 v22, v22
	v_min_u32_e32 v22, 32, v22
	s_delay_alu instid0(VALU_DEP_1) | instskip(NEXT) | instid1(VALU_DEP_1)
	v_subrev_nc_u32_e32 v33, 28, v22
	v_lshlrev_b64_e32 v[34:35], v33, v[2:3]
	v_sub_nc_u32_e32 v33, 29, v22
	s_delay_alu instid0(VALU_DEP_2)
	v_and_b32_e32 v22, 7, v34
; %bb.3164:                             ;   in Loop: Header=BB296_2086 Depth=1
	s_wait_alu 0xfffe
	s_or_b32 exec_lo, exec_lo, s24
	v_lshlrev_b32_e32 v2, 8, v2
	v_lshl_add_u32 v33, v33, 10, 0x2000
	v_lshlrev_b32_e32 v22, 7, v22
	s_delay_alu instid0(VALU_DEP_3) | instskip(NEXT) | instid1(VALU_DEP_3)
	v_and_b32_e32 v2, 0x8000, v2
	v_and_b32_e32 v33, 0xfc00, v33
	s_delay_alu instid0(VALU_DEP_1)
	v_or3_b32 v22, v2, v33, v22
.LBB296_3165:                           ;   in Loop: Header=BB296_2086 Depth=1
	s_wait_alu 0xfffe
	s_or_b32 exec_lo, exec_lo, s23
.LBB296_3166:                           ;   in Loop: Header=BB296_2086 Depth=1
	s_wait_alu 0xfffe
	s_or_b32 exec_lo, exec_lo, s22
.LBB296_3167:                           ;   in Loop: Header=BB296_2086 Depth=1
	s_wait_alu 0xfffe
	s_or_b32 exec_lo, exec_lo, s21
	s_delay_alu instid0(SALU_CYCLE_1)
	s_mov_b32 s21, exec_lo
	v_cmpx_lt_u32_e32 0xffffff, v13
	s_cbranch_execz .LBB296_3175
; %bb.3168:                             ;   in Loop: Header=BB296_2086 Depth=1
	v_lshrrev_b32_e32 v2, 24, v13
	v_bfrev_b32_e32 v19, 1
	s_mov_b32 s22, exec_lo
	s_delay_alu instid0(VALU_DEP_2)
	v_cmpx_ne_u32_e32 0x80, v2
	s_cbranch_execz .LBB296_3174
; %bb.3169:                             ;   in Loop: Header=BB296_2086 Depth=1
	v_and_b32_e32 v34, 0x7f, v2
	v_mov_b32_e32 v19, 0x7c010000
	s_mov_b32 s23, exec_lo
	s_delay_alu instid0(VALU_DEP_2)
	v_cmpx_ne_u32_e32 0x7f, v34
	s_cbranch_execz .LBB296_3173
; %bb.3170:                             ;   in Loop: Header=BB296_2086 Depth=1
	v_and_b32_e32 v19, 7, v2
	v_lshrrev_b32_e32 v33, 3, v34
	s_mov_b32 s24, exec_lo
	v_cmpx_gt_u32_e32 8, v34
; %bb.3171:                             ;   in Loop: Header=BB296_2086 Depth=1
	s_delay_alu instid0(VALU_DEP_3) | instskip(NEXT) | instid1(VALU_DEP_1)
	v_clz_i32_u32_e32 v19, v19
	v_min_u32_e32 v19, 32, v19
	s_delay_alu instid0(VALU_DEP_1) | instskip(NEXT) | instid1(VALU_DEP_1)
	v_subrev_nc_u32_e32 v33, 28, v19
	v_lshlrev_b64_e32 v[34:35], v33, v[2:3]
	v_sub_nc_u32_e32 v33, 29, v19
	s_delay_alu instid0(VALU_DEP_2)
	v_and_b32_e32 v19, 7, v34
; %bb.3172:                             ;   in Loop: Header=BB296_2086 Depth=1
	s_wait_alu 0xfffe
	s_or_b32 exec_lo, exec_lo, s24
	v_lshlrev_b32_e32 v2, 8, v2
	v_lshl_add_u32 v33, v33, 10, 0x2000
	v_lshlrev_b32_e32 v19, 23, v19
	s_delay_alu instid0(VALU_DEP_2) | instskip(NEXT) | instid1(VALU_DEP_1)
	v_and_or_b32 v2, 0x8000, v2, v33
	v_lshl_or_b32 v19, v2, 16, v19
.LBB296_3173:                           ;   in Loop: Header=BB296_2086 Depth=1
	s_wait_alu 0xfffe
	s_or_b32 exec_lo, exec_lo, s23
.LBB296_3174:                           ;   in Loop: Header=BB296_2086 Depth=1
	s_wait_alu 0xfffe
	s_or_b32 exec_lo, exec_lo, s22
.LBB296_3175:                           ;   in Loop: Header=BB296_2086 Depth=1
	s_wait_alu 0xfffe
	s_or_b32 exec_lo, exec_lo, s21
	v_dual_mov_b32 v2, v14 :: v_dual_and_b32 v35, 0xff, v14
	v_dual_mov_b32 v33, 0 :: v_dual_mov_b32 v34, 0
	s_mov_b32 s21, exec_lo
	s_delay_alu instid0(VALU_DEP_2)
	v_cmpx_ne_u16_e32 0, v35
	s_cbranch_execz .LBB296_3183
; %bb.3176:                             ;   in Loop: Header=BB296_2086 Depth=1
	v_mov_b32_e32 v34, 0x8000
	s_mov_b32 s22, exec_lo
	v_cmpx_ne_u16_e32 0x80, v35
	s_cbranch_execz .LBB296_3182
; %bb.3177:                             ;   in Loop: Header=BB296_2086 Depth=1
	v_and_b32_e32 v36, 0x7f, v14
	v_mov_b32_e32 v34, 0x7c01
	s_mov_b32 s23, exec_lo
	s_delay_alu instid0(VALU_DEP_2)
	v_cmpx_ne_u32_e32 0x7f, v36
	s_cbranch_execz .LBB296_3181
; %bb.3178:                             ;   in Loop: Header=BB296_2086 Depth=1
	v_and_b32_e32 v34, 7, v14
	v_lshrrev_b32_e32 v35, 3, v36
	s_mov_b32 s24, exec_lo
	v_cmpx_gt_u32_e32 8, v36
; %bb.3179:                             ;   in Loop: Header=BB296_2086 Depth=1
	s_delay_alu instid0(VALU_DEP_3) | instskip(NEXT) | instid1(VALU_DEP_1)
	v_clz_i32_u32_e32 v34, v34
	v_min_u32_e32 v36, 32, v34
	s_delay_alu instid0(VALU_DEP_1) | instskip(NEXT) | instid1(VALU_DEP_1)
	v_subrev_nc_u32_e32 v34, 28, v36
	v_lshlrev_b64_e32 v[34:35], v34, v[2:3]
	v_sub_nc_u32_e32 v35, 29, v36
	s_delay_alu instid0(VALU_DEP_2)
	v_and_b32_e32 v34, 7, v34
; %bb.3180:                             ;   in Loop: Header=BB296_2086 Depth=1
	s_wait_alu 0xfffe
	s_or_b32 exec_lo, exec_lo, s24
	v_lshlrev_b32_e32 v36, 8, v14
	v_lshl_add_u32 v35, v35, 10, 0x2000
	v_lshlrev_b32_e32 v34, 7, v34
	s_delay_alu instid0(VALU_DEP_3) | instskip(NEXT) | instid1(VALU_DEP_3)
	v_and_b32_e32 v36, 0x8000, v36
	v_and_b32_e32 v35, 0xfc00, v35
	s_delay_alu instid0(VALU_DEP_1)
	v_or3_b32 v34, v36, v35, v34
.LBB296_3181:                           ;   in Loop: Header=BB296_2086 Depth=1
	s_wait_alu 0xfffe
	s_or_b32 exec_lo, exec_lo, s23
.LBB296_3182:                           ;   in Loop: Header=BB296_2086 Depth=1
	s_wait_alu 0xfffe
	s_or_b32 exec_lo, exec_lo, s22
.LBB296_3183:                           ;   in Loop: Header=BB296_2086 Depth=1
	s_wait_alu 0xfffe
	s_or_b32 exec_lo, exec_lo, s21
	v_lshrrev_b16 v2, 8, v2
	v_mov_b32_e32 v35, 0
	s_mov_b32 s21, exec_lo
	s_delay_alu instid0(VALU_DEP_2)
	v_cmpx_ne_u16_e32 0, v2
	s_cbranch_execz .LBB296_3191
; %bb.3184:                             ;   in Loop: Header=BB296_2086 Depth=1
	v_bfrev_b32_e32 v35, 1
	s_mov_b32 s22, exec_lo
	v_cmpx_ne_u16_e32 0x80, v2
	s_cbranch_execz .LBB296_3190
; %bb.3185:                             ;   in Loop: Header=BB296_2086 Depth=1
	v_and_b32_e32 v36, 0xffff, v2
	v_mov_b32_e32 v35, 0x7c010000
	s_mov_b32 s23, exec_lo
	s_delay_alu instid0(VALU_DEP_2) | instskip(NEXT) | instid1(VALU_DEP_1)
	v_and_b32_e32 v39, 0x7f, v36
	v_cmpx_ne_u32_e32 0x7f, v39
	s_cbranch_execz .LBB296_3189
; %bb.3186:                             ;   in Loop: Header=BB296_2086 Depth=1
	v_and_b32_e32 v35, 7, v36
	v_lshrrev_b32_e32 v38, 3, v39
	s_mov_b32 s24, exec_lo
	v_cmpx_gt_u32_e32 8, v39
; %bb.3187:                             ;   in Loop: Header=BB296_2086 Depth=1
	s_delay_alu instid0(VALU_DEP_3) | instskip(NEXT) | instid1(VALU_DEP_1)
	v_clz_i32_u32_e32 v35, v35
	v_min_u32_e32 v35, 32, v35
	s_delay_alu instid0(VALU_DEP_1) | instskip(NEXT) | instid1(VALU_DEP_1)
	v_subrev_nc_u32_e32 v38, 28, v35
	v_lshlrev_b64_e32 v[49:50], v38, v[2:3]
	v_sub_nc_u32_e32 v38, 29, v35
	s_delay_alu instid0(VALU_DEP_2)
	v_and_b32_e32 v35, 7, v49
; %bb.3188:                             ;   in Loop: Header=BB296_2086 Depth=1
	s_wait_alu 0xfffe
	s_or_b32 exec_lo, exec_lo, s24
	v_lshlrev_b32_e32 v2, 8, v36
	v_lshl_add_u32 v36, v38, 10, 0x2000
	v_lshlrev_b32_e32 v35, 23, v35
	s_delay_alu instid0(VALU_DEP_2) | instskip(NEXT) | instid1(VALU_DEP_1)
	v_and_or_b32 v2, 0x8000, v2, v36
	v_lshl_or_b32 v35, v2, 16, v35
.LBB296_3189:                           ;   in Loop: Header=BB296_2086 Depth=1
	s_wait_alu 0xfffe
	s_or_b32 exec_lo, exec_lo, s23
.LBB296_3190:                           ;   in Loop: Header=BB296_2086 Depth=1
	s_wait_alu 0xfffe
	s_or_b32 exec_lo, exec_lo, s22
.LBB296_3191:                           ;   in Loop: Header=BB296_2086 Depth=1
	s_wait_alu 0xfffe
	s_or_b32 exec_lo, exec_lo, s21
	v_lshrrev_b32_e32 v2, 16, v14
	s_mov_b32 s21, exec_lo
	s_delay_alu instid0(VALU_DEP_1) | instskip(NEXT) | instid1(VALU_DEP_1)
	v_and_b32_e32 v36, 0xff, v2
	v_cmpx_ne_u16_e32 0, v36
	s_cbranch_execz .LBB296_3199
; %bb.3192:                             ;   in Loop: Header=BB296_2086 Depth=1
	v_mov_b32_e32 v33, 0x8000
	s_mov_b32 s22, exec_lo
	v_cmpx_ne_u16_e32 0x80, v36
	s_cbranch_execz .LBB296_3198
; %bb.3193:                             ;   in Loop: Header=BB296_2086 Depth=1
	v_bfe_u32 v38, v14, 16, 7
	v_mov_b32_e32 v33, 0x7c01
	s_mov_b32 s23, exec_lo
	s_delay_alu instid0(VALU_DEP_2)
	v_cmpx_ne_u32_e32 0x7f, v38
	s_cbranch_execz .LBB296_3197
; %bb.3194:                             ;   in Loop: Header=BB296_2086 Depth=1
	v_and_b32_e32 v33, 7, v2
	v_lshrrev_b32_e32 v36, 3, v38
	s_mov_b32 s24, exec_lo
	v_cmpx_gt_u32_e32 8, v38
; %bb.3195:                             ;   in Loop: Header=BB296_2086 Depth=1
	s_delay_alu instid0(VALU_DEP_3) | instskip(NEXT) | instid1(VALU_DEP_1)
	v_clz_i32_u32_e32 v33, v33
	v_min_u32_e32 v33, 32, v33
	s_delay_alu instid0(VALU_DEP_1) | instskip(NEXT) | instid1(VALU_DEP_1)
	v_subrev_nc_u32_e32 v36, 28, v33
	v_lshlrev_b64_e32 v[38:39], v36, v[2:3]
	v_sub_nc_u32_e32 v36, 29, v33
	s_delay_alu instid0(VALU_DEP_2)
	v_and_b32_e32 v33, 7, v38
; %bb.3196:                             ;   in Loop: Header=BB296_2086 Depth=1
	s_wait_alu 0xfffe
	s_or_b32 exec_lo, exec_lo, s24
	v_lshlrev_b32_e32 v2, 8, v2
	v_lshl_add_u32 v36, v36, 10, 0x2000
	v_lshlrev_b32_e32 v33, 7, v33
	s_delay_alu instid0(VALU_DEP_3) | instskip(NEXT) | instid1(VALU_DEP_3)
	v_and_b32_e32 v2, 0x8000, v2
	v_and_b32_e32 v36, 0xfc00, v36
	s_delay_alu instid0(VALU_DEP_1)
	v_or3_b32 v33, v2, v36, v33
.LBB296_3197:                           ;   in Loop: Header=BB296_2086 Depth=1
	s_wait_alu 0xfffe
	s_or_b32 exec_lo, exec_lo, s23
.LBB296_3198:                           ;   in Loop: Header=BB296_2086 Depth=1
	s_wait_alu 0xfffe
	s_or_b32 exec_lo, exec_lo, s22
.LBB296_3199:                           ;   in Loop: Header=BB296_2086 Depth=1
	s_wait_alu 0xfffe
	s_or_b32 exec_lo, exec_lo, s21
	v_cmp_lt_u64_e64 s8, s[16:17], v[13:14]
	v_mov_b32_e32 v13, 0
	s_and_saveexec_b32 s21, s8
	s_cbranch_execz .LBB296_3207
; %bb.3200:                             ;   in Loop: Header=BB296_2086 Depth=1
	v_lshrrev_b32_e32 v2, 24, v14
	v_bfrev_b32_e32 v13, 1
	s_mov_b32 s22, exec_lo
	s_delay_alu instid0(VALU_DEP_2)
	v_cmpx_ne_u32_e32 0x80, v2
	s_cbranch_execz .LBB296_3206
; %bb.3201:                             ;   in Loop: Header=BB296_2086 Depth=1
	v_and_b32_e32 v36, 0x7f, v2
	v_mov_b32_e32 v13, 0x7c010000
	s_mov_b32 s23, exec_lo
	s_delay_alu instid0(VALU_DEP_2)
	v_cmpx_ne_u32_e32 0x7f, v36
	s_cbranch_execz .LBB296_3205
; %bb.3202:                             ;   in Loop: Header=BB296_2086 Depth=1
	v_and_b32_e32 v13, 7, v2
	v_lshrrev_b32_e32 v14, 3, v36
	s_mov_b32 s24, exec_lo
	v_cmpx_gt_u32_e32 8, v36
; %bb.3203:                             ;   in Loop: Header=BB296_2086 Depth=1
	s_delay_alu instid0(VALU_DEP_3) | instskip(NEXT) | instid1(VALU_DEP_1)
	v_clz_i32_u32_e32 v13, v13
	v_min_u32_e32 v36, 32, v13
	s_delay_alu instid0(VALU_DEP_1) | instskip(NEXT) | instid1(VALU_DEP_1)
	v_subrev_nc_u32_e32 v13, 28, v36
	v_lshlrev_b64_e32 v[13:14], v13, v[2:3]
	v_sub_nc_u32_e32 v14, 29, v36
	s_delay_alu instid0(VALU_DEP_2)
	v_and_b32_e32 v13, 7, v13
; %bb.3204:                             ;   in Loop: Header=BB296_2086 Depth=1
	s_wait_alu 0xfffe
	s_or_b32 exec_lo, exec_lo, s24
	v_lshlrev_b32_e32 v2, 8, v2
	v_lshl_add_u32 v14, v14, 10, 0x2000
	v_lshlrev_b32_e32 v13, 23, v13
	s_delay_alu instid0(VALU_DEP_2) | instskip(NEXT) | instid1(VALU_DEP_1)
	v_and_or_b32 v2, 0x8000, v2, v14
	v_lshl_or_b32 v13, v2, 16, v13
.LBB296_3205:                           ;   in Loop: Header=BB296_2086 Depth=1
	s_wait_alu 0xfffe
	s_or_b32 exec_lo, exec_lo, s23
.LBB296_3206:                           ;   in Loop: Header=BB296_2086 Depth=1
	s_wait_alu 0xfffe
	s_or_b32 exec_lo, exec_lo, s22
.LBB296_3207:                           ;   in Loop: Header=BB296_2086 Depth=1
	s_wait_alu 0xfffe
	s_or_b32 exec_lo, exec_lo, s21
	v_or_b32_e32 v2, v19, v22
	s_wait_loadcnt_dscnt 0x0
	v_fma_mixlo_f16 v14, v4, v19, 0 op_sel:[0,1,0] op_sel_hi:[0,1,0]
	v_or_b32_e32 v19, v5, v6
	v_or_b32_e32 v22, v35, v34
	;; [unrolled: 1-line block ×3, first 2 shown]
	v_fma_mixlo_f16 v5, v4, v5, 0 op_sel:[0,1,0] op_sel_hi:[0,1,0]
	v_fma_mixlo_f16 v34, v4, v2, 0 op_sel_hi:[0,1,0]
	v_lshlrev_b32_e32 v2, 16, v14
	v_fma_mixlo_f16 v14, v4, v19, 0 op_sel_hi:[0,1,0]
	v_fma_mixlo_f16 v19, v4, v35, 0 op_sel:[0,1,0] op_sel_hi:[0,1,0]
	v_fma_mixlo_f16 v22, v4, v22, 0 op_sel_hi:[0,1,0]
	v_fma_mixlo_f16 v13, v4, v13, 0 op_sel:[0,1,0] op_sel_hi:[0,1,0]
	v_fma_mixlo_f16 v4, v4, v33, 0 op_sel_hi:[0,1,0]
	v_lshlrev_b32_e32 v6, 16, v5
	v_and_b32_e32 v5, 0xffff, v34
	v_and_b32_e32 v36, 0xffff, v14
	v_lshlrev_b32_e32 v33, 16, v19
	v_and_b32_e32 v35, 0xffff, v22
	v_lshlrev_b32_e32 v22, 16, v13
	v_and_b32_e32 v34, 0xffff, v4
	v_or_b32_e32 v4, v2, v5
	v_or_b32_e32 v19, v6, v36
	;; [unrolled: 1-line block ×3, first 2 shown]
	s_delay_alu instid0(VALU_DEP_4)
	v_or_b32_e32 v13, v22, v34
	s_and_saveexec_b32 s8, s0
	s_cbranch_execz .LBB296_3209
; %bb.3208:                             ;   in Loop: Header=BB296_2086 Depth=1
	s_wait_alu 0xfffd
	v_cndmask_b32_e32 v4, 0, v36, vcc_lo
	v_cndmask_b32_e64 v6, 0, v6, s3
	v_cndmask_b32_e64 v5, 0, v5, s1
	;; [unrolled: 1-line block ×7, first 2 shown]
	v_or_b32_e32 v19, v4, v6
	v_or_b32_e32 v4, v5, v2
	;; [unrolled: 1-line block ×3, first 2 shown]
	s_delay_alu instid0(VALU_DEP_4)
	v_or_b32_e32 v13, v33, v22
.LBB296_3209:                           ;   in Loop: Header=BB296_2086 Depth=1
	s_wait_alu 0xfffe
	s_or_b32 exec_lo, exec_lo, s8
	;;#ASMSTART
	v_pk_mul_f16 v2, v115, v19;

	;;#ASMEND
	;;#ASMSTART
	v_pk_mul_f16 v4, v114, v4;

	;;#ASMEND
	;; [unrolled: 4-line block ×4, first 2 shown]
	;;#ASMSTART
	v_pk_add_f16 v2, v2, v4;

	;;#ASMEND
	;;#ASMSTART
	v_pk_add_f16 v2, v2, v5;

	;;#ASMEND
	;; [unrolled: 4-line block ×3, first 2 shown]
	v_dual_mov_b32 v19, 0 :: v_dual_and_b32 v4, 0xffff, v2
	v_lshrrev_b32_e32 v2, 16, v2
	;;#ASMSTART
	v_cvt_f32_f16 v4, v4;
	;;#ASMEND
	;;#ASMSTART
	v_cvt_f32_f16 v5, v2;
	;;#ASMEND
	flat_load_b64 v[13:14], v[11:12] offset:4352
	flat_load_b32 v6, v[26:27]
	v_mov_b32_e32 v22, 0
	s_mov_b32 s21, exec_lo
	s_wait_loadcnt_dscnt 0x101
	v_and_b32_e32 v2, 0xff, v13
	s_delay_alu instid0(VALU_DEP_1)
	v_cmpx_ne_u16_e32 0, v2
	s_cbranch_execz .LBB296_3217
; %bb.3210:                             ;   in Loop: Header=BB296_2086 Depth=1
	v_mov_b32_e32 v22, 0x8000
	s_mov_b32 s22, exec_lo
	v_cmpx_ne_u16_e32 0x80, v2
	s_cbranch_execz .LBB296_3216
; %bb.3211:                             ;   in Loop: Header=BB296_2086 Depth=1
	v_and_b32_e32 v33, 0x7f, v13
	v_mov_b32_e32 v22, 0x7c01
	s_mov_b32 s23, exec_lo
	s_delay_alu instid0(VALU_DEP_2)
	v_cmpx_ne_u32_e32 0x7f, v33
	s_cbranch_execz .LBB296_3215
; %bb.3212:                             ;   in Loop: Header=BB296_2086 Depth=1
	v_and_b32_e32 v2, 7, v13
	v_lshrrev_b32_e32 v22, 3, v33
	s_mov_b32 s24, exec_lo
	v_cmpx_gt_u32_e32 8, v33
; %bb.3213:                             ;   in Loop: Header=BB296_2086 Depth=1
	s_delay_alu instid0(VALU_DEP_3) | instskip(NEXT) | instid1(VALU_DEP_1)
	v_clz_i32_u32_e32 v2, v2
	v_min_u32_e32 v2, 32, v2
	s_delay_alu instid0(VALU_DEP_1) | instskip(NEXT) | instid1(VALU_DEP_1)
	v_subrev_nc_u32_e32 v22, 28, v2
	v_lshlrev_b64_e32 v[33:34], v22, v[13:14]
	v_sub_nc_u32_e32 v22, 29, v2
	s_delay_alu instid0(VALU_DEP_2)
	v_and_b32_e32 v2, 7, v33
; %bb.3214:                             ;   in Loop: Header=BB296_2086 Depth=1
	s_wait_alu 0xfffe
	s_or_b32 exec_lo, exec_lo, s24
	v_lshlrev_b32_e32 v33, 8, v13
	v_lshl_add_u32 v22, v22, 10, 0x2000
	v_lshlrev_b32_e32 v2, 7, v2
	s_delay_alu instid0(VALU_DEP_3) | instskip(NEXT) | instid1(VALU_DEP_3)
	v_and_b32_e32 v33, 0x8000, v33
	v_and_b32_e32 v22, 0xfc00, v22
	s_delay_alu instid0(VALU_DEP_1)
	v_or3_b32 v22, v33, v22, v2
.LBB296_3215:                           ;   in Loop: Header=BB296_2086 Depth=1
	s_wait_alu 0xfffe
	s_or_b32 exec_lo, exec_lo, s23
.LBB296_3216:                           ;   in Loop: Header=BB296_2086 Depth=1
	s_wait_alu 0xfffe
	s_or_b32 exec_lo, exec_lo, s22
.LBB296_3217:                           ;   in Loop: Header=BB296_2086 Depth=1
	s_wait_alu 0xfffe
	s_or_b32 exec_lo, exec_lo, s21
	v_lshrrev_b16 v2, 8, v13
	s_mov_b32 s21, exec_lo
	s_delay_alu instid0(VALU_DEP_1)
	v_cmpx_ne_u16_e32 0, v2
	s_cbranch_execz .LBB296_3225
; %bb.3218:                             ;   in Loop: Header=BB296_2086 Depth=1
	v_bfrev_b32_e32 v19, 1
	s_mov_b32 s22, exec_lo
	v_cmpx_ne_u16_e32 0x80, v2
	s_cbranch_execz .LBB296_3224
; %bb.3219:                             ;   in Loop: Header=BB296_2086 Depth=1
	v_and_b32_e32 v33, 0xffff, v2
	v_mov_b32_e32 v19, 0x7c010000
	s_mov_b32 s23, exec_lo
	s_delay_alu instid0(VALU_DEP_2) | instskip(NEXT) | instid1(VALU_DEP_1)
	v_and_b32_e32 v35, 0x7f, v33
	v_cmpx_ne_u32_e32 0x7f, v35
	s_cbranch_execz .LBB296_3223
; %bb.3220:                             ;   in Loop: Header=BB296_2086 Depth=1
	v_and_b32_e32 v19, 7, v33
	v_lshrrev_b32_e32 v34, 3, v35
	s_mov_b32 s24, exec_lo
	v_cmpx_gt_u32_e32 8, v35
; %bb.3221:                             ;   in Loop: Header=BB296_2086 Depth=1
	s_delay_alu instid0(VALU_DEP_3) | instskip(NEXT) | instid1(VALU_DEP_1)
	v_clz_i32_u32_e32 v19, v19
	v_min_u32_e32 v19, 32, v19
	s_delay_alu instid0(VALU_DEP_1) | instskip(NEXT) | instid1(VALU_DEP_1)
	v_subrev_nc_u32_e32 v34, 28, v19
	v_lshlrev_b64_e32 v[35:36], v34, v[2:3]
	v_sub_nc_u32_e32 v34, 29, v19
	s_delay_alu instid0(VALU_DEP_2)
	v_and_b32_e32 v19, 7, v35
; %bb.3222:                             ;   in Loop: Header=BB296_2086 Depth=1
	s_wait_alu 0xfffe
	s_or_b32 exec_lo, exec_lo, s24
	v_lshlrev_b32_e32 v2, 8, v33
	v_lshl_add_u32 v33, v34, 10, 0x2000
	v_lshlrev_b32_e32 v19, 23, v19
	s_delay_alu instid0(VALU_DEP_2) | instskip(NEXT) | instid1(VALU_DEP_1)
	v_and_or_b32 v2, 0x8000, v2, v33
	v_lshl_or_b32 v19, v2, 16, v19
.LBB296_3223:                           ;   in Loop: Header=BB296_2086 Depth=1
	s_wait_alu 0xfffe
	s_or_b32 exec_lo, exec_lo, s23
.LBB296_3224:                           ;   in Loop: Header=BB296_2086 Depth=1
	s_wait_alu 0xfffe
	s_or_b32 exec_lo, exec_lo, s22
.LBB296_3225:                           ;   in Loop: Header=BB296_2086 Depth=1
	s_wait_alu 0xfffe
	s_or_b32 exec_lo, exec_lo, s21
	v_lshrrev_b32_e32 v2, 16, v13
	v_mov_b32_e32 v33, 0
	s_mov_b32 s21, exec_lo
	s_delay_alu instid0(VALU_DEP_2) | instskip(NEXT) | instid1(VALU_DEP_1)
	v_dual_mov_b32 v34, 0 :: v_dual_and_b32 v35, 0xff, v2
	v_cmpx_ne_u16_e32 0, v35
	s_cbranch_execz .LBB296_3233
; %bb.3226:                             ;   in Loop: Header=BB296_2086 Depth=1
	v_mov_b32_e32 v34, 0x8000
	s_mov_b32 s22, exec_lo
	v_cmpx_ne_u16_e32 0x80, v35
	s_cbranch_execz .LBB296_3232
; %bb.3227:                             ;   in Loop: Header=BB296_2086 Depth=1
	v_bfe_u32 v36, v13, 16, 7
	v_mov_b32_e32 v34, 0x7c01
	s_mov_b32 s23, exec_lo
	s_delay_alu instid0(VALU_DEP_2)
	v_cmpx_ne_u32_e32 0x7f, v36
	s_cbranch_execz .LBB296_3231
; %bb.3228:                             ;   in Loop: Header=BB296_2086 Depth=1
	v_and_b32_e32 v34, 7, v2
	v_lshrrev_b32_e32 v35, 3, v36
	s_mov_b32 s24, exec_lo
	v_cmpx_gt_u32_e32 8, v36
; %bb.3229:                             ;   in Loop: Header=BB296_2086 Depth=1
	s_delay_alu instid0(VALU_DEP_3) | instskip(NEXT) | instid1(VALU_DEP_1)
	v_clz_i32_u32_e32 v34, v34
	v_min_u32_e32 v36, 32, v34
	s_delay_alu instid0(VALU_DEP_1) | instskip(NEXT) | instid1(VALU_DEP_1)
	v_subrev_nc_u32_e32 v34, 28, v36
	v_lshlrev_b64_e32 v[34:35], v34, v[2:3]
	v_sub_nc_u32_e32 v35, 29, v36
	s_delay_alu instid0(VALU_DEP_2)
	v_and_b32_e32 v34, 7, v34
; %bb.3230:                             ;   in Loop: Header=BB296_2086 Depth=1
	s_wait_alu 0xfffe
	s_or_b32 exec_lo, exec_lo, s24
	v_lshlrev_b32_e32 v2, 8, v2
	v_lshl_add_u32 v35, v35, 10, 0x2000
	v_lshlrev_b32_e32 v34, 7, v34
	s_delay_alu instid0(VALU_DEP_3) | instskip(NEXT) | instid1(VALU_DEP_3)
	v_and_b32_e32 v2, 0x8000, v2
	v_and_b32_e32 v35, 0xfc00, v35
	s_delay_alu instid0(VALU_DEP_1)
	v_or3_b32 v34, v2, v35, v34
.LBB296_3231:                           ;   in Loop: Header=BB296_2086 Depth=1
	s_wait_alu 0xfffe
	s_or_b32 exec_lo, exec_lo, s23
.LBB296_3232:                           ;   in Loop: Header=BB296_2086 Depth=1
	s_wait_alu 0xfffe
	s_or_b32 exec_lo, exec_lo, s22
.LBB296_3233:                           ;   in Loop: Header=BB296_2086 Depth=1
	s_wait_alu 0xfffe
	s_or_b32 exec_lo, exec_lo, s21
	s_delay_alu instid0(SALU_CYCLE_1)
	s_mov_b32 s21, exec_lo
	v_cmpx_lt_u32_e32 0xffffff, v13
	s_cbranch_execz .LBB296_3241
; %bb.3234:                             ;   in Loop: Header=BB296_2086 Depth=1
	v_lshrrev_b32_e32 v2, 24, v13
	v_bfrev_b32_e32 v33, 1
	s_mov_b32 s22, exec_lo
	s_delay_alu instid0(VALU_DEP_2)
	v_cmpx_ne_u32_e32 0x80, v2
	s_cbranch_execz .LBB296_3240
; %bb.3235:                             ;   in Loop: Header=BB296_2086 Depth=1
	v_and_b32_e32 v36, 0x7f, v2
	v_mov_b32_e32 v33, 0x7c010000
	s_mov_b32 s23, exec_lo
	s_delay_alu instid0(VALU_DEP_2)
	v_cmpx_ne_u32_e32 0x7f, v36
	s_cbranch_execz .LBB296_3239
; %bb.3236:                             ;   in Loop: Header=BB296_2086 Depth=1
	v_and_b32_e32 v33, 7, v2
	v_lshrrev_b32_e32 v35, 3, v36
	s_mov_b32 s24, exec_lo
	v_cmpx_gt_u32_e32 8, v36
; %bb.3237:                             ;   in Loop: Header=BB296_2086 Depth=1
	s_delay_alu instid0(VALU_DEP_3) | instskip(NEXT) | instid1(VALU_DEP_1)
	v_clz_i32_u32_e32 v33, v33
	v_min_u32_e32 v33, 32, v33
	s_delay_alu instid0(VALU_DEP_1) | instskip(NEXT) | instid1(VALU_DEP_1)
	v_subrev_nc_u32_e32 v35, 28, v33
	v_lshlrev_b64_e32 v[38:39], v35, v[2:3]
	v_sub_nc_u32_e32 v35, 29, v33
	s_delay_alu instid0(VALU_DEP_2)
	v_and_b32_e32 v33, 7, v38
; %bb.3238:                             ;   in Loop: Header=BB296_2086 Depth=1
	s_wait_alu 0xfffe
	s_or_b32 exec_lo, exec_lo, s24
	v_lshlrev_b32_e32 v2, 8, v2
	v_lshl_add_u32 v35, v35, 10, 0x2000
	v_lshlrev_b32_e32 v33, 23, v33
	s_delay_alu instid0(VALU_DEP_2) | instskip(NEXT) | instid1(VALU_DEP_1)
	v_and_or_b32 v2, 0x8000, v2, v35
	v_lshl_or_b32 v33, v2, 16, v33
.LBB296_3239:                           ;   in Loop: Header=BB296_2086 Depth=1
	s_wait_alu 0xfffe
	s_or_b32 exec_lo, exec_lo, s23
.LBB296_3240:                           ;   in Loop: Header=BB296_2086 Depth=1
	s_wait_alu 0xfffe
	s_or_b32 exec_lo, exec_lo, s22
.LBB296_3241:                           ;   in Loop: Header=BB296_2086 Depth=1
	s_wait_alu 0xfffe
	s_or_b32 exec_lo, exec_lo, s21
	v_dual_mov_b32 v35, 0 :: v_dual_and_b32 v38, 0xff, v14
	v_mov_b32_e32 v2, v14
	v_mov_b32_e32 v36, 0
	s_mov_b32 s21, exec_lo
	s_delay_alu instid0(VALU_DEP_3)
	v_cmpx_ne_u16_e32 0, v38
	s_cbranch_execz .LBB296_3249
; %bb.3242:                             ;   in Loop: Header=BB296_2086 Depth=1
	v_mov_b32_e32 v36, 0x8000
	s_mov_b32 s22, exec_lo
	v_cmpx_ne_u16_e32 0x80, v38
	s_cbranch_execz .LBB296_3248
; %bb.3243:                             ;   in Loop: Header=BB296_2086 Depth=1
	v_and_b32_e32 v39, 0x7f, v14
	v_mov_b32_e32 v36, 0x7c01
	s_mov_b32 s23, exec_lo
	s_delay_alu instid0(VALU_DEP_2)
	v_cmpx_ne_u32_e32 0x7f, v39
	s_cbranch_execz .LBB296_3247
; %bb.3244:                             ;   in Loop: Header=BB296_2086 Depth=1
	v_and_b32_e32 v36, 7, v14
	v_lshrrev_b32_e32 v38, 3, v39
	s_mov_b32 s24, exec_lo
	v_cmpx_gt_u32_e32 8, v39
; %bb.3245:                             ;   in Loop: Header=BB296_2086 Depth=1
	s_delay_alu instid0(VALU_DEP_3) | instskip(NEXT) | instid1(VALU_DEP_1)
	v_clz_i32_u32_e32 v36, v36
	v_min_u32_e32 v36, 32, v36
	s_delay_alu instid0(VALU_DEP_1) | instskip(NEXT) | instid1(VALU_DEP_1)
	v_subrev_nc_u32_e32 v38, 28, v36
	v_lshlrev_b64_e32 v[49:50], v38, v[2:3]
	v_sub_nc_u32_e32 v38, 29, v36
	s_delay_alu instid0(VALU_DEP_2)
	v_and_b32_e32 v36, 7, v49
; %bb.3246:                             ;   in Loop: Header=BB296_2086 Depth=1
	s_wait_alu 0xfffe
	s_or_b32 exec_lo, exec_lo, s24
	v_lshlrev_b32_e32 v39, 8, v14
	v_lshl_add_u32 v38, v38, 10, 0x2000
	v_lshlrev_b32_e32 v36, 7, v36
	s_delay_alu instid0(VALU_DEP_3) | instskip(NEXT) | instid1(VALU_DEP_3)
	v_and_b32_e32 v39, 0x8000, v39
	v_and_b32_e32 v38, 0xfc00, v38
	s_delay_alu instid0(VALU_DEP_1)
	v_or3_b32 v36, v39, v38, v36
.LBB296_3247:                           ;   in Loop: Header=BB296_2086 Depth=1
	s_wait_alu 0xfffe
	s_or_b32 exec_lo, exec_lo, s23
.LBB296_3248:                           ;   in Loop: Header=BB296_2086 Depth=1
	s_wait_alu 0xfffe
	s_or_b32 exec_lo, exec_lo, s22
.LBB296_3249:                           ;   in Loop: Header=BB296_2086 Depth=1
	s_wait_alu 0xfffe
	s_or_b32 exec_lo, exec_lo, s21
	v_lshrrev_b16 v2, 8, v2
	v_mov_b32_e32 v38, 0
	s_mov_b32 s21, exec_lo
	s_delay_alu instid0(VALU_DEP_2)
	v_cmpx_ne_u16_e32 0, v2
	s_cbranch_execz .LBB296_3257
; %bb.3250:                             ;   in Loop: Header=BB296_2086 Depth=1
	v_bfrev_b32_e32 v38, 1
	s_mov_b32 s22, exec_lo
	v_cmpx_ne_u16_e32 0x80, v2
	s_cbranch_execz .LBB296_3256
; %bb.3251:                             ;   in Loop: Header=BB296_2086 Depth=1
	v_and_b32_e32 v39, 0xffff, v2
	v_mov_b32_e32 v38, 0x7c010000
	s_mov_b32 s23, exec_lo
	s_delay_alu instid0(VALU_DEP_2) | instskip(NEXT) | instid1(VALU_DEP_1)
	v_and_b32_e32 v50, 0x7f, v39
	v_cmpx_ne_u32_e32 0x7f, v50
	s_cbranch_execz .LBB296_3255
; %bb.3252:                             ;   in Loop: Header=BB296_2086 Depth=1
	v_and_b32_e32 v38, 7, v39
	v_lshrrev_b32_e32 v49, 3, v50
	s_mov_b32 s24, exec_lo
	v_cmpx_gt_u32_e32 8, v50
; %bb.3253:                             ;   in Loop: Header=BB296_2086 Depth=1
	s_delay_alu instid0(VALU_DEP_3) | instskip(NEXT) | instid1(VALU_DEP_1)
	v_clz_i32_u32_e32 v38, v38
	v_min_u32_e32 v38, 32, v38
	s_delay_alu instid0(VALU_DEP_1) | instskip(NEXT) | instid1(VALU_DEP_1)
	v_subrev_nc_u32_e32 v49, 28, v38
	v_lshlrev_b64_e32 v[178:179], v49, v[2:3]
	v_sub_nc_u32_e32 v49, 29, v38
	s_delay_alu instid0(VALU_DEP_2)
	v_and_b32_e32 v38, 7, v178
; %bb.3254:                             ;   in Loop: Header=BB296_2086 Depth=1
	s_wait_alu 0xfffe
	s_or_b32 exec_lo, exec_lo, s24
	v_lshlrev_b32_e32 v2, 8, v39
	v_lshl_add_u32 v39, v49, 10, 0x2000
	v_lshlrev_b32_e32 v38, 23, v38
	s_delay_alu instid0(VALU_DEP_2) | instskip(NEXT) | instid1(VALU_DEP_1)
	v_and_or_b32 v2, 0x8000, v2, v39
	v_lshl_or_b32 v38, v2, 16, v38
.LBB296_3255:                           ;   in Loop: Header=BB296_2086 Depth=1
	s_wait_alu 0xfffe
	s_or_b32 exec_lo, exec_lo, s23
.LBB296_3256:                           ;   in Loop: Header=BB296_2086 Depth=1
	s_wait_alu 0xfffe
	s_or_b32 exec_lo, exec_lo, s22
.LBB296_3257:                           ;   in Loop: Header=BB296_2086 Depth=1
	s_wait_alu 0xfffe
	s_or_b32 exec_lo, exec_lo, s21
	v_lshrrev_b32_e32 v2, 16, v14
	s_mov_b32 s21, exec_lo
	s_delay_alu instid0(VALU_DEP_1) | instskip(NEXT) | instid1(VALU_DEP_1)
	v_and_b32_e32 v39, 0xff, v2
	v_cmpx_ne_u16_e32 0, v39
	s_cbranch_execz .LBB296_3265
; %bb.3258:                             ;   in Loop: Header=BB296_2086 Depth=1
	v_mov_b32_e32 v35, 0x8000
	s_mov_b32 s22, exec_lo
	v_cmpx_ne_u16_e32 0x80, v39
	s_cbranch_execz .LBB296_3264
; %bb.3259:                             ;   in Loop: Header=BB296_2086 Depth=1
	v_bfe_u32 v49, v14, 16, 7
	v_mov_b32_e32 v35, 0x7c01
	s_mov_b32 s23, exec_lo
	s_delay_alu instid0(VALU_DEP_2)
	v_cmpx_ne_u32_e32 0x7f, v49
	s_cbranch_execz .LBB296_3263
; %bb.3260:                             ;   in Loop: Header=BB296_2086 Depth=1
	v_and_b32_e32 v35, 7, v2
	v_lshrrev_b32_e32 v39, 3, v49
	s_mov_b32 s24, exec_lo
	v_cmpx_gt_u32_e32 8, v49
; %bb.3261:                             ;   in Loop: Header=BB296_2086 Depth=1
	s_delay_alu instid0(VALU_DEP_3) | instskip(NEXT) | instid1(VALU_DEP_1)
	v_clz_i32_u32_e32 v35, v35
	v_min_u32_e32 v35, 32, v35
	s_delay_alu instid0(VALU_DEP_1) | instskip(NEXT) | instid1(VALU_DEP_1)
	v_subrev_nc_u32_e32 v39, 28, v35
	v_lshlrev_b64_e32 v[49:50], v39, v[2:3]
	v_sub_nc_u32_e32 v39, 29, v35
	s_delay_alu instid0(VALU_DEP_2)
	v_and_b32_e32 v35, 7, v49
; %bb.3262:                             ;   in Loop: Header=BB296_2086 Depth=1
	s_wait_alu 0xfffe
	s_or_b32 exec_lo, exec_lo, s24
	v_lshlrev_b32_e32 v2, 8, v2
	v_lshl_add_u32 v39, v39, 10, 0x2000
	v_lshlrev_b32_e32 v35, 7, v35
	s_delay_alu instid0(VALU_DEP_3) | instskip(NEXT) | instid1(VALU_DEP_3)
	v_and_b32_e32 v2, 0x8000, v2
	v_and_b32_e32 v39, 0xfc00, v39
	s_delay_alu instid0(VALU_DEP_1)
	v_or3_b32 v35, v2, v39, v35
.LBB296_3263:                           ;   in Loop: Header=BB296_2086 Depth=1
	s_wait_alu 0xfffe
	s_or_b32 exec_lo, exec_lo, s23
.LBB296_3264:                           ;   in Loop: Header=BB296_2086 Depth=1
	s_wait_alu 0xfffe
	s_or_b32 exec_lo, exec_lo, s22
.LBB296_3265:                           ;   in Loop: Header=BB296_2086 Depth=1
	s_wait_alu 0xfffe
	s_or_b32 exec_lo, exec_lo, s21
	v_cmp_lt_u64_e64 s8, s[16:17], v[13:14]
	v_mov_b32_e32 v13, 0
	s_and_saveexec_b32 s21, s8
	s_cbranch_execz .LBB296_3273
; %bb.3266:                             ;   in Loop: Header=BB296_2086 Depth=1
	v_lshrrev_b32_e32 v2, 24, v14
	v_bfrev_b32_e32 v13, 1
	s_mov_b32 s22, exec_lo
	s_delay_alu instid0(VALU_DEP_2)
	v_cmpx_ne_u32_e32 0x80, v2
	s_cbranch_execz .LBB296_3272
; %bb.3267:                             ;   in Loop: Header=BB296_2086 Depth=1
	v_and_b32_e32 v39, 0x7f, v2
	v_mov_b32_e32 v13, 0x7c010000
	s_mov_b32 s23, exec_lo
	s_delay_alu instid0(VALU_DEP_2)
	v_cmpx_ne_u32_e32 0x7f, v39
	s_cbranch_execz .LBB296_3271
; %bb.3268:                             ;   in Loop: Header=BB296_2086 Depth=1
	v_and_b32_e32 v13, 7, v2
	v_lshrrev_b32_e32 v14, 3, v39
	s_mov_b32 s24, exec_lo
	v_cmpx_gt_u32_e32 8, v39
; %bb.3269:                             ;   in Loop: Header=BB296_2086 Depth=1
	s_delay_alu instid0(VALU_DEP_3) | instskip(NEXT) | instid1(VALU_DEP_1)
	v_clz_i32_u32_e32 v13, v13
	v_min_u32_e32 v39, 32, v13
	s_delay_alu instid0(VALU_DEP_1) | instskip(NEXT) | instid1(VALU_DEP_1)
	v_subrev_nc_u32_e32 v13, 28, v39
	v_lshlrev_b64_e32 v[13:14], v13, v[2:3]
	v_sub_nc_u32_e32 v14, 29, v39
	s_delay_alu instid0(VALU_DEP_2)
	v_and_b32_e32 v13, 7, v13
; %bb.3270:                             ;   in Loop: Header=BB296_2086 Depth=1
	s_wait_alu 0xfffe
	s_or_b32 exec_lo, exec_lo, s24
	v_lshlrev_b32_e32 v2, 8, v2
	v_lshl_add_u32 v14, v14, 10, 0x2000
	v_lshlrev_b32_e32 v13, 23, v13
	s_delay_alu instid0(VALU_DEP_2) | instskip(NEXT) | instid1(VALU_DEP_1)
	v_and_or_b32 v2, 0x8000, v2, v14
	v_lshl_or_b32 v13, v2, 16, v13
.LBB296_3271:                           ;   in Loop: Header=BB296_2086 Depth=1
	s_wait_alu 0xfffe
	s_or_b32 exec_lo, exec_lo, s23
.LBB296_3272:                           ;   in Loop: Header=BB296_2086 Depth=1
	s_wait_alu 0xfffe
	s_or_b32 exec_lo, exec_lo, s22
.LBB296_3273:                           ;   in Loop: Header=BB296_2086 Depth=1
	s_wait_alu 0xfffe
	s_or_b32 exec_lo, exec_lo, s21
	v_or_b32_e32 v2, v33, v34
	s_wait_loadcnt_dscnt 0x0
	v_fma_mixlo_f16 v14, v6, v33, 0 op_sel:[0,1,0] op_sel_hi:[0,1,0]
	v_or_b32_e32 v22, v19, v22
	v_or_b32_e32 v33, v38, v36
	;; [unrolled: 1-line block ×3, first 2 shown]
	v_fma_mixlo_f16 v34, v6, v2, 0 op_sel_hi:[0,1,0]
	v_fma_mixlo_f16 v19, v6, v19, 0 op_sel:[0,1,0] op_sel_hi:[0,1,0]
	v_lshlrev_b32_e32 v2, 16, v14
	v_fma_mixlo_f16 v22, v6, v22, 0 op_sel_hi:[0,1,0]
	v_fma_mixlo_f16 v33, v6, v33, 0 op_sel_hi:[0,1,0]
	v_and_b32_e32 v14, 0xffff, v34
	v_fma_mixlo_f16 v34, v6, v38, 0 op_sel:[0,1,0] op_sel_hi:[0,1,0]
	v_fma_mixlo_f16 v13, v6, v13, 0 op_sel:[0,1,0] op_sel_hi:[0,1,0]
	v_fma_mixlo_f16 v6, v6, v35, 0 op_sel_hi:[0,1,0]
	v_lshlrev_b32_e32 v19, 16, v19
	v_and_b32_e32 v39, 0xffff, v22
	v_lshlrev_b32_e32 v35, 16, v34
	v_and_b32_e32 v38, 0xffff, v33
	;; [unrolled: 2-line block ×3, first 2 shown]
	v_or_b32_e32 v6, v2, v14
	v_or_b32_e32 v33, v19, v39
	;; [unrolled: 1-line block ×3, first 2 shown]
	s_delay_alu instid0(VALU_DEP_4)
	v_or_b32_e32 v13, v34, v36
	s_and_saveexec_b32 s8, s0
	s_cbranch_execz .LBB296_3275
; %bb.3274:                             ;   in Loop: Header=BB296_2086 Depth=1
	s_wait_alu 0xfffd
	v_cndmask_b32_e32 v6, 0, v39, vcc_lo
	v_cndmask_b32_e64 v13, 0, v19, s3
	v_cndmask_b32_e64 v14, 0, v14, s1
	;; [unrolled: 1-line block ×7, first 2 shown]
	v_or_b32_e32 v33, v6, v13
	v_or_b32_e32 v6, v14, v2
	;; [unrolled: 1-line block ×3, first 2 shown]
	s_delay_alu instid0(VALU_DEP_4)
	v_or_b32_e32 v13, v35, v34
.LBB296_3275:                           ;   in Loop: Header=BB296_2086 Depth=1
	s_wait_alu 0xfffe
	s_or_b32 exec_lo, exec_lo, s8
	;;#ASMSTART
	v_pk_mul_f16 v2, v115, v33;

	;;#ASMEND
	;;#ASMSTART
	v_pk_mul_f16 v6, v114, v6;

	;;#ASMEND
	;; [unrolled: 4-line block ×4, first 2 shown]
	;;#ASMSTART
	v_pk_add_f16 v2, v2, v6;

	;;#ASMEND
	;;#ASMSTART
	v_pk_add_f16 v2, v2, v14;

	;;#ASMEND
	;; [unrolled: 4-line block ×3, first 2 shown]
	v_dual_mov_b32 v33, 0 :: v_dual_and_b32 v6, 0xffff, v2
	v_lshrrev_b32_e32 v2, 16, v2
	;;#ASMSTART
	v_cvt_f32_f16 v6, v6;
	;;#ASMEND
	;;#ASMSTART
	v_cvt_f32_f16 v22, v2;
	;;#ASMEND
	flat_load_b64 v[13:14], v[11:12] offset:4608
	flat_load_b32 v19, v[26:27]
	v_mov_b32_e32 v34, 0
	s_mov_b32 s21, exec_lo
	s_wait_loadcnt_dscnt 0x101
	v_and_b32_e32 v2, 0xff, v13
	s_delay_alu instid0(VALU_DEP_1)
	v_cmpx_ne_u16_e32 0, v2
	s_cbranch_execz .LBB296_3283
; %bb.3276:                             ;   in Loop: Header=BB296_2086 Depth=1
	v_mov_b32_e32 v34, 0x8000
	s_mov_b32 s22, exec_lo
	v_cmpx_ne_u16_e32 0x80, v2
	s_cbranch_execz .LBB296_3282
; %bb.3277:                             ;   in Loop: Header=BB296_2086 Depth=1
	v_and_b32_e32 v35, 0x7f, v13
	v_mov_b32_e32 v34, 0x7c01
	s_mov_b32 s23, exec_lo
	s_delay_alu instid0(VALU_DEP_2)
	v_cmpx_ne_u32_e32 0x7f, v35
	s_cbranch_execz .LBB296_3281
; %bb.3278:                             ;   in Loop: Header=BB296_2086 Depth=1
	v_and_b32_e32 v2, 7, v13
	v_lshrrev_b32_e32 v34, 3, v35
	s_mov_b32 s24, exec_lo
	v_cmpx_gt_u32_e32 8, v35
; %bb.3279:                             ;   in Loop: Header=BB296_2086 Depth=1
	s_delay_alu instid0(VALU_DEP_3) | instskip(NEXT) | instid1(VALU_DEP_1)
	v_clz_i32_u32_e32 v2, v2
	v_min_u32_e32 v2, 32, v2
	s_delay_alu instid0(VALU_DEP_1) | instskip(NEXT) | instid1(VALU_DEP_1)
	v_subrev_nc_u32_e32 v34, 28, v2
	v_lshlrev_b64_e32 v[35:36], v34, v[13:14]
	v_sub_nc_u32_e32 v34, 29, v2
	s_delay_alu instid0(VALU_DEP_2)
	v_and_b32_e32 v2, 7, v35
; %bb.3280:                             ;   in Loop: Header=BB296_2086 Depth=1
	s_wait_alu 0xfffe
	s_or_b32 exec_lo, exec_lo, s24
	v_lshlrev_b32_e32 v35, 8, v13
	v_lshl_add_u32 v34, v34, 10, 0x2000
	v_lshlrev_b32_e32 v2, 7, v2
	s_delay_alu instid0(VALU_DEP_3) | instskip(NEXT) | instid1(VALU_DEP_3)
	v_and_b32_e32 v35, 0x8000, v35
	v_and_b32_e32 v34, 0xfc00, v34
	s_delay_alu instid0(VALU_DEP_1)
	v_or3_b32 v34, v35, v34, v2
.LBB296_3281:                           ;   in Loop: Header=BB296_2086 Depth=1
	s_wait_alu 0xfffe
	s_or_b32 exec_lo, exec_lo, s23
.LBB296_3282:                           ;   in Loop: Header=BB296_2086 Depth=1
	s_wait_alu 0xfffe
	s_or_b32 exec_lo, exec_lo, s22
.LBB296_3283:                           ;   in Loop: Header=BB296_2086 Depth=1
	s_wait_alu 0xfffe
	s_or_b32 exec_lo, exec_lo, s21
	v_lshrrev_b16 v2, 8, v13
	s_mov_b32 s21, exec_lo
	s_delay_alu instid0(VALU_DEP_1)
	v_cmpx_ne_u16_e32 0, v2
	s_cbranch_execz .LBB296_3291
; %bb.3284:                             ;   in Loop: Header=BB296_2086 Depth=1
	v_bfrev_b32_e32 v33, 1
	s_mov_b32 s22, exec_lo
	v_cmpx_ne_u16_e32 0x80, v2
	s_cbranch_execz .LBB296_3290
; %bb.3285:                             ;   in Loop: Header=BB296_2086 Depth=1
	v_and_b32_e32 v35, 0xffff, v2
	v_mov_b32_e32 v33, 0x7c010000
	s_mov_b32 s23, exec_lo
	s_delay_alu instid0(VALU_DEP_2) | instskip(NEXT) | instid1(VALU_DEP_1)
	v_and_b32_e32 v38, 0x7f, v35
	v_cmpx_ne_u32_e32 0x7f, v38
	s_cbranch_execz .LBB296_3289
; %bb.3286:                             ;   in Loop: Header=BB296_2086 Depth=1
	v_and_b32_e32 v33, 7, v35
	v_lshrrev_b32_e32 v36, 3, v38
	s_mov_b32 s24, exec_lo
	v_cmpx_gt_u32_e32 8, v38
; %bb.3287:                             ;   in Loop: Header=BB296_2086 Depth=1
	s_delay_alu instid0(VALU_DEP_3) | instskip(NEXT) | instid1(VALU_DEP_1)
	v_clz_i32_u32_e32 v33, v33
	v_min_u32_e32 v33, 32, v33
	s_delay_alu instid0(VALU_DEP_1) | instskip(NEXT) | instid1(VALU_DEP_1)
	v_subrev_nc_u32_e32 v36, 28, v33
	v_lshlrev_b64_e32 v[38:39], v36, v[2:3]
	v_sub_nc_u32_e32 v36, 29, v33
	s_delay_alu instid0(VALU_DEP_2)
	v_and_b32_e32 v33, 7, v38
; %bb.3288:                             ;   in Loop: Header=BB296_2086 Depth=1
	s_wait_alu 0xfffe
	s_or_b32 exec_lo, exec_lo, s24
	v_lshlrev_b32_e32 v2, 8, v35
	v_lshl_add_u32 v35, v36, 10, 0x2000
	v_lshlrev_b32_e32 v33, 23, v33
	s_delay_alu instid0(VALU_DEP_2) | instskip(NEXT) | instid1(VALU_DEP_1)
	v_and_or_b32 v2, 0x8000, v2, v35
	v_lshl_or_b32 v33, v2, 16, v33
.LBB296_3289:                           ;   in Loop: Header=BB296_2086 Depth=1
	s_wait_alu 0xfffe
	s_or_b32 exec_lo, exec_lo, s23
.LBB296_3290:                           ;   in Loop: Header=BB296_2086 Depth=1
	s_wait_alu 0xfffe
	s_or_b32 exec_lo, exec_lo, s22
.LBB296_3291:                           ;   in Loop: Header=BB296_2086 Depth=1
	s_wait_alu 0xfffe
	s_or_b32 exec_lo, exec_lo, s21
	v_lshrrev_b32_e32 v2, 16, v13
	v_mov_b32_e32 v36, 0
	s_mov_b32 s21, exec_lo
	s_delay_alu instid0(VALU_DEP_2) | instskip(NEXT) | instid1(VALU_DEP_1)
	v_dual_mov_b32 v35, 0 :: v_dual_and_b32 v38, 0xff, v2
	v_cmpx_ne_u16_e32 0, v38
	s_cbranch_execz .LBB296_3299
; %bb.3292:                             ;   in Loop: Header=BB296_2086 Depth=1
	v_mov_b32_e32 v36, 0x8000
	s_mov_b32 s22, exec_lo
	v_cmpx_ne_u16_e32 0x80, v38
	s_cbranch_execz .LBB296_3298
; %bb.3293:                             ;   in Loop: Header=BB296_2086 Depth=1
	v_bfe_u32 v39, v13, 16, 7
	v_mov_b32_e32 v36, 0x7c01
	s_mov_b32 s23, exec_lo
	s_delay_alu instid0(VALU_DEP_2)
	v_cmpx_ne_u32_e32 0x7f, v39
	s_cbranch_execz .LBB296_3297
; %bb.3294:                             ;   in Loop: Header=BB296_2086 Depth=1
	v_and_b32_e32 v36, 7, v2
	v_lshrrev_b32_e32 v38, 3, v39
	s_mov_b32 s24, exec_lo
	v_cmpx_gt_u32_e32 8, v39
; %bb.3295:                             ;   in Loop: Header=BB296_2086 Depth=1
	s_delay_alu instid0(VALU_DEP_3) | instskip(NEXT) | instid1(VALU_DEP_1)
	v_clz_i32_u32_e32 v36, v36
	v_min_u32_e32 v36, 32, v36
	s_delay_alu instid0(VALU_DEP_1) | instskip(NEXT) | instid1(VALU_DEP_1)
	v_subrev_nc_u32_e32 v38, 28, v36
	v_lshlrev_b64_e32 v[49:50], v38, v[2:3]
	v_sub_nc_u32_e32 v38, 29, v36
	s_delay_alu instid0(VALU_DEP_2)
	v_and_b32_e32 v36, 7, v49
; %bb.3296:                             ;   in Loop: Header=BB296_2086 Depth=1
	s_wait_alu 0xfffe
	s_or_b32 exec_lo, exec_lo, s24
	v_lshlrev_b32_e32 v2, 8, v2
	v_lshl_add_u32 v38, v38, 10, 0x2000
	v_lshlrev_b32_e32 v36, 7, v36
	s_delay_alu instid0(VALU_DEP_3) | instskip(NEXT) | instid1(VALU_DEP_3)
	v_and_b32_e32 v2, 0x8000, v2
	v_and_b32_e32 v38, 0xfc00, v38
	s_delay_alu instid0(VALU_DEP_1)
	v_or3_b32 v36, v2, v38, v36
.LBB296_3297:                           ;   in Loop: Header=BB296_2086 Depth=1
	s_wait_alu 0xfffe
	s_or_b32 exec_lo, exec_lo, s23
.LBB296_3298:                           ;   in Loop: Header=BB296_2086 Depth=1
	s_wait_alu 0xfffe
	s_or_b32 exec_lo, exec_lo, s22
.LBB296_3299:                           ;   in Loop: Header=BB296_2086 Depth=1
	s_wait_alu 0xfffe
	s_or_b32 exec_lo, exec_lo, s21
	s_delay_alu instid0(SALU_CYCLE_1)
	s_mov_b32 s21, exec_lo
	v_cmpx_lt_u32_e32 0xffffff, v13
	s_cbranch_execz .LBB296_3307
; %bb.3300:                             ;   in Loop: Header=BB296_2086 Depth=1
	v_lshrrev_b32_e32 v2, 24, v13
	v_bfrev_b32_e32 v35, 1
	s_mov_b32 s22, exec_lo
	s_delay_alu instid0(VALU_DEP_2)
	v_cmpx_ne_u32_e32 0x80, v2
	s_cbranch_execz .LBB296_3306
; %bb.3301:                             ;   in Loop: Header=BB296_2086 Depth=1
	v_and_b32_e32 v39, 0x7f, v2
	v_mov_b32_e32 v35, 0x7c010000
	s_mov_b32 s23, exec_lo
	s_delay_alu instid0(VALU_DEP_2)
	v_cmpx_ne_u32_e32 0x7f, v39
	s_cbranch_execz .LBB296_3305
; %bb.3302:                             ;   in Loop: Header=BB296_2086 Depth=1
	v_and_b32_e32 v35, 7, v2
	v_lshrrev_b32_e32 v38, 3, v39
	s_mov_b32 s24, exec_lo
	v_cmpx_gt_u32_e32 8, v39
; %bb.3303:                             ;   in Loop: Header=BB296_2086 Depth=1
	s_delay_alu instid0(VALU_DEP_3) | instskip(NEXT) | instid1(VALU_DEP_1)
	v_clz_i32_u32_e32 v35, v35
	v_min_u32_e32 v35, 32, v35
	s_delay_alu instid0(VALU_DEP_1) | instskip(NEXT) | instid1(VALU_DEP_1)
	v_subrev_nc_u32_e32 v38, 28, v35
	v_lshlrev_b64_e32 v[49:50], v38, v[2:3]
	v_sub_nc_u32_e32 v38, 29, v35
	s_delay_alu instid0(VALU_DEP_2)
	v_and_b32_e32 v35, 7, v49
; %bb.3304:                             ;   in Loop: Header=BB296_2086 Depth=1
	s_wait_alu 0xfffe
	s_or_b32 exec_lo, exec_lo, s24
	v_lshlrev_b32_e32 v2, 8, v2
	v_lshl_add_u32 v38, v38, 10, 0x2000
	v_lshlrev_b32_e32 v35, 23, v35
	s_delay_alu instid0(VALU_DEP_2) | instskip(NEXT) | instid1(VALU_DEP_1)
	v_and_or_b32 v2, 0x8000, v2, v38
	v_lshl_or_b32 v35, v2, 16, v35
.LBB296_3305:                           ;   in Loop: Header=BB296_2086 Depth=1
	s_wait_alu 0xfffe
	s_or_b32 exec_lo, exec_lo, s23
.LBB296_3306:                           ;   in Loop: Header=BB296_2086 Depth=1
	s_wait_alu 0xfffe
	s_or_b32 exec_lo, exec_lo, s22
.LBB296_3307:                           ;   in Loop: Header=BB296_2086 Depth=1
	s_wait_alu 0xfffe
	s_or_b32 exec_lo, exec_lo, s21
	v_dual_mov_b32 v2, v14 :: v_dual_and_b32 v49, 0xff, v14
	v_dual_mov_b32 v38, 0 :: v_dual_mov_b32 v39, 0
	s_mov_b32 s21, exec_lo
	s_delay_alu instid0(VALU_DEP_2)
	v_cmpx_ne_u16_e32 0, v49
	s_cbranch_execz .LBB296_3315
; %bb.3308:                             ;   in Loop: Header=BB296_2086 Depth=1
	v_mov_b32_e32 v39, 0x8000
	s_mov_b32 s22, exec_lo
	v_cmpx_ne_u16_e32 0x80, v49
	s_cbranch_execz .LBB296_3314
; %bb.3309:                             ;   in Loop: Header=BB296_2086 Depth=1
	v_and_b32_e32 v50, 0x7f, v14
	v_mov_b32_e32 v39, 0x7c01
	s_mov_b32 s23, exec_lo
	s_delay_alu instid0(VALU_DEP_2)
	v_cmpx_ne_u32_e32 0x7f, v50
	s_cbranch_execz .LBB296_3313
; %bb.3310:                             ;   in Loop: Header=BB296_2086 Depth=1
	v_and_b32_e32 v39, 7, v14
	v_lshrrev_b32_e32 v49, 3, v50
	s_mov_b32 s24, exec_lo
	v_cmpx_gt_u32_e32 8, v50
; %bb.3311:                             ;   in Loop: Header=BB296_2086 Depth=1
	s_delay_alu instid0(VALU_DEP_3) | instskip(NEXT) | instid1(VALU_DEP_1)
	v_clz_i32_u32_e32 v39, v39
	v_min_u32_e32 v39, 32, v39
	s_delay_alu instid0(VALU_DEP_1) | instskip(NEXT) | instid1(VALU_DEP_1)
	v_subrev_nc_u32_e32 v49, 28, v39
	v_lshlrev_b64_e32 v[178:179], v49, v[2:3]
	v_sub_nc_u32_e32 v49, 29, v39
	s_delay_alu instid0(VALU_DEP_2)
	v_and_b32_e32 v39, 7, v178
; %bb.3312:                             ;   in Loop: Header=BB296_2086 Depth=1
	s_wait_alu 0xfffe
	s_or_b32 exec_lo, exec_lo, s24
	v_lshlrev_b32_e32 v50, 8, v14
	v_lshl_add_u32 v49, v49, 10, 0x2000
	v_lshlrev_b32_e32 v39, 7, v39
	s_delay_alu instid0(VALU_DEP_3) | instskip(NEXT) | instid1(VALU_DEP_3)
	v_and_b32_e32 v50, 0x8000, v50
	v_and_b32_e32 v49, 0xfc00, v49
	s_delay_alu instid0(VALU_DEP_1)
	v_or3_b32 v39, v50, v49, v39
.LBB296_3313:                           ;   in Loop: Header=BB296_2086 Depth=1
	s_wait_alu 0xfffe
	s_or_b32 exec_lo, exec_lo, s23
.LBB296_3314:                           ;   in Loop: Header=BB296_2086 Depth=1
	s_wait_alu 0xfffe
	s_or_b32 exec_lo, exec_lo, s22
.LBB296_3315:                           ;   in Loop: Header=BB296_2086 Depth=1
	s_wait_alu 0xfffe
	s_or_b32 exec_lo, exec_lo, s21
	v_lshrrev_b16 v2, 8, v2
	v_mov_b32_e32 v49, 0
	s_mov_b32 s21, exec_lo
	s_delay_alu instid0(VALU_DEP_2)
	v_cmpx_ne_u16_e32 0, v2
	s_cbranch_execz .LBB296_3323
; %bb.3316:                             ;   in Loop: Header=BB296_2086 Depth=1
	v_bfrev_b32_e32 v49, 1
	s_mov_b32 s22, exec_lo
	v_cmpx_ne_u16_e32 0x80, v2
	s_cbranch_execz .LBB296_3322
; %bb.3317:                             ;   in Loop: Header=BB296_2086 Depth=1
	v_and_b32_e32 v50, 0xffff, v2
	v_mov_b32_e32 v49, 0x7c010000
	s_mov_b32 s23, exec_lo
	s_delay_alu instid0(VALU_DEP_2) | instskip(NEXT) | instid1(VALU_DEP_1)
	v_and_b32_e32 v167, 0x7f, v50
	v_cmpx_ne_u32_e32 0x7f, v167
	s_cbranch_execz .LBB296_3321
; %bb.3318:                             ;   in Loop: Header=BB296_2086 Depth=1
	v_and_b32_e32 v49, 7, v50
	v_lshrrev_b32_e32 v85, 3, v167
	s_mov_b32 s24, exec_lo
	v_cmpx_gt_u32_e32 8, v167
; %bb.3319:                             ;   in Loop: Header=BB296_2086 Depth=1
	s_delay_alu instid0(VALU_DEP_3) | instskip(NEXT) | instid1(VALU_DEP_1)
	v_clz_i32_u32_e32 v49, v49
	v_min_u32_e32 v49, 32, v49
	s_delay_alu instid0(VALU_DEP_1) | instskip(SKIP_1) | instid1(VALU_DEP_2)
	v_subrev_nc_u32_e32 v64, 28, v49
	v_sub_nc_u32_e32 v85, 29, v49
	v_lshlrev_b64_e32 v[178:179], v64, v[2:3]
	s_delay_alu instid0(VALU_DEP_1)
	v_and_b32_e32 v49, 7, v178
; %bb.3320:                             ;   in Loop: Header=BB296_2086 Depth=1
	s_wait_alu 0xfffe
	s_or_b32 exec_lo, exec_lo, s24
	v_lshlrev_b32_e32 v2, 8, v50
	v_lshl_add_u32 v50, v85, 10, 0x2000
	v_lshlrev_b32_e32 v49, 23, v49
	s_delay_alu instid0(VALU_DEP_2) | instskip(NEXT) | instid1(VALU_DEP_1)
	v_and_or_b32 v2, 0x8000, v2, v50
	v_lshl_or_b32 v49, v2, 16, v49
.LBB296_3321:                           ;   in Loop: Header=BB296_2086 Depth=1
	s_wait_alu 0xfffe
	s_or_b32 exec_lo, exec_lo, s23
.LBB296_3322:                           ;   in Loop: Header=BB296_2086 Depth=1
	s_wait_alu 0xfffe
	s_or_b32 exec_lo, exec_lo, s22
.LBB296_3323:                           ;   in Loop: Header=BB296_2086 Depth=1
	s_wait_alu 0xfffe
	s_or_b32 exec_lo, exec_lo, s21
	v_lshrrev_b32_e32 v2, 16, v14
	s_mov_b32 s21, exec_lo
	s_delay_alu instid0(VALU_DEP_1) | instskip(NEXT) | instid1(VALU_DEP_1)
	v_and_b32_e32 v50, 0xff, v2
	v_cmpx_ne_u16_e32 0, v50
	s_cbranch_execz .LBB296_3331
; %bb.3324:                             ;   in Loop: Header=BB296_2086 Depth=1
	v_mov_b32_e32 v38, 0x8000
	s_mov_b32 s22, exec_lo
	v_cmpx_ne_u16_e32 0x80, v50
	s_cbranch_execz .LBB296_3330
; %bb.3325:                             ;   in Loop: Header=BB296_2086 Depth=1
	v_bfe_u32 v85, v14, 16, 7
	v_mov_b32_e32 v38, 0x7c01
	s_mov_b32 s23, exec_lo
	s_delay_alu instid0(VALU_DEP_2)
	v_cmpx_ne_u32_e32 0x7f, v85
	s_cbranch_execz .LBB296_3329
; %bb.3326:                             ;   in Loop: Header=BB296_2086 Depth=1
	v_and_b32_e32 v38, 7, v2
	v_lshrrev_b32_e32 v50, 3, v85
	s_mov_b32 s24, exec_lo
	v_cmpx_gt_u32_e32 8, v85
; %bb.3327:                             ;   in Loop: Header=BB296_2086 Depth=1
	s_delay_alu instid0(VALU_DEP_3) | instskip(NEXT) | instid1(VALU_DEP_1)
	v_clz_i32_u32_e32 v38, v38
	v_min_u32_e32 v38, 32, v38
	s_delay_alu instid0(VALU_DEP_1) | instskip(NEXT) | instid1(VALU_DEP_1)
	v_subrev_nc_u32_e32 v50, 28, v38
	v_lshlrev_b64_e32 v[178:179], v50, v[2:3]
	v_sub_nc_u32_e32 v50, 29, v38
	s_delay_alu instid0(VALU_DEP_2)
	v_and_b32_e32 v38, 7, v178
; %bb.3328:                             ;   in Loop: Header=BB296_2086 Depth=1
	s_wait_alu 0xfffe
	s_or_b32 exec_lo, exec_lo, s24
	v_lshlrev_b32_e32 v2, 8, v2
	v_lshl_add_u32 v50, v50, 10, 0x2000
	v_lshlrev_b32_e32 v38, 7, v38
	s_delay_alu instid0(VALU_DEP_3) | instskip(NEXT) | instid1(VALU_DEP_3)
	v_and_b32_e32 v2, 0x8000, v2
	v_and_b32_e32 v50, 0xfc00, v50
	s_delay_alu instid0(VALU_DEP_1)
	v_or3_b32 v38, v2, v50, v38
.LBB296_3329:                           ;   in Loop: Header=BB296_2086 Depth=1
	s_wait_alu 0xfffe
	s_or_b32 exec_lo, exec_lo, s23
.LBB296_3330:                           ;   in Loop: Header=BB296_2086 Depth=1
	s_wait_alu 0xfffe
	s_or_b32 exec_lo, exec_lo, s22
.LBB296_3331:                           ;   in Loop: Header=BB296_2086 Depth=1
	s_wait_alu 0xfffe
	s_or_b32 exec_lo, exec_lo, s21
	v_cmp_lt_u64_e64 s8, s[16:17], v[13:14]
	v_mov_b32_e32 v13, 0
	s_and_saveexec_b32 s21, s8
	s_cbranch_execz .LBB296_3339
; %bb.3332:                             ;   in Loop: Header=BB296_2086 Depth=1
	v_lshrrev_b32_e32 v2, 24, v14
	v_bfrev_b32_e32 v13, 1
	s_mov_b32 s22, exec_lo
	s_delay_alu instid0(VALU_DEP_2)
	v_cmpx_ne_u32_e32 0x80, v2
	s_cbranch_execz .LBB296_3338
; %bb.3333:                             ;   in Loop: Header=BB296_2086 Depth=1
	v_and_b32_e32 v50, 0x7f, v2
	v_mov_b32_e32 v13, 0x7c010000
	s_mov_b32 s23, exec_lo
	s_delay_alu instid0(VALU_DEP_2)
	v_cmpx_ne_u32_e32 0x7f, v50
	s_cbranch_execz .LBB296_3337
; %bb.3334:                             ;   in Loop: Header=BB296_2086 Depth=1
	v_and_b32_e32 v13, 7, v2
	v_lshrrev_b32_e32 v14, 3, v50
	s_mov_b32 s24, exec_lo
	v_cmpx_gt_u32_e32 8, v50
; %bb.3335:                             ;   in Loop: Header=BB296_2086 Depth=1
	s_delay_alu instid0(VALU_DEP_3) | instskip(NEXT) | instid1(VALU_DEP_1)
	v_clz_i32_u32_e32 v13, v13
	v_min_u32_e32 v50, 32, v13
	s_delay_alu instid0(VALU_DEP_1) | instskip(NEXT) | instid1(VALU_DEP_1)
	v_subrev_nc_u32_e32 v13, 28, v50
	v_lshlrev_b64_e32 v[13:14], v13, v[2:3]
	v_sub_nc_u32_e32 v14, 29, v50
	s_delay_alu instid0(VALU_DEP_2)
	v_and_b32_e32 v13, 7, v13
; %bb.3336:                             ;   in Loop: Header=BB296_2086 Depth=1
	s_wait_alu 0xfffe
	s_or_b32 exec_lo, exec_lo, s24
	v_lshlrev_b32_e32 v2, 8, v2
	v_lshl_add_u32 v14, v14, 10, 0x2000
	v_lshlrev_b32_e32 v13, 23, v13
	s_delay_alu instid0(VALU_DEP_2) | instskip(NEXT) | instid1(VALU_DEP_1)
	v_and_or_b32 v2, 0x8000, v2, v14
	v_lshl_or_b32 v13, v2, 16, v13
.LBB296_3337:                           ;   in Loop: Header=BB296_2086 Depth=1
	s_wait_alu 0xfffe
	s_or_b32 exec_lo, exec_lo, s23
.LBB296_3338:                           ;   in Loop: Header=BB296_2086 Depth=1
	s_wait_alu 0xfffe
	s_or_b32 exec_lo, exec_lo, s22
.LBB296_3339:                           ;   in Loop: Header=BB296_2086 Depth=1
	s_wait_alu 0xfffe
	s_or_b32 exec_lo, exec_lo, s21
	v_or_b32_e32 v2, v35, v36
	s_wait_loadcnt_dscnt 0x0
	v_fma_mixlo_f16 v14, v19, v35, 0 op_sel:[0,1,0] op_sel_hi:[0,1,0]
	v_or_b32_e32 v34, v33, v34
	v_or_b32_e32 v35, v49, v39
	;; [unrolled: 1-line block ×3, first 2 shown]
	v_fma_mixlo_f16 v36, v19, v2, 0 op_sel_hi:[0,1,0]
	v_fma_mixlo_f16 v33, v19, v33, 0 op_sel:[0,1,0] op_sel_hi:[0,1,0]
	v_lshlrev_b32_e32 v2, 16, v14
	v_fma_mixlo_f16 v34, v19, v34, 0 op_sel_hi:[0,1,0]
	v_fma_mixlo_f16 v35, v19, v35, 0 op_sel_hi:[0,1,0]
	v_and_b32_e32 v14, 0xffff, v36
	v_fma_mixlo_f16 v36, v19, v49, 0 op_sel:[0,1,0] op_sel_hi:[0,1,0]
	v_fma_mixlo_f16 v13, v19, v13, 0 op_sel:[0,1,0] op_sel_hi:[0,1,0]
	v_fma_mixlo_f16 v19, v19, v38, 0 op_sel_hi:[0,1,0]
	v_lshlrev_b32_e32 v33, 16, v33
	v_and_b32_e32 v50, 0xffff, v34
	v_lshlrev_b32_e32 v38, 16, v36
	v_and_b32_e32 v49, 0xffff, v35
	;; [unrolled: 2-line block ×3, first 2 shown]
	v_or_b32_e32 v13, v2, v14
	v_or_b32_e32 v35, v33, v50
	v_or_b32_e32 v34, v38, v49
	s_delay_alu instid0(VALU_DEP_4)
	v_or_b32_e32 v19, v36, v39
	s_and_saveexec_b32 s8, s0
	s_cbranch_execz .LBB296_3341
; %bb.3340:                             ;   in Loop: Header=BB296_2086 Depth=1
	s_wait_alu 0xfffd
	v_cndmask_b32_e32 v13, 0, v50, vcc_lo
	v_cndmask_b32_e64 v19, 0, v33, s3
	v_cndmask_b32_e64 v14, 0, v14, s1
	;; [unrolled: 1-line block ×7, first 2 shown]
	v_or_b32_e32 v35, v13, v19
	v_or_b32_e32 v13, v14, v2
	v_or_b32_e32 v34, v33, v34
	s_delay_alu instid0(VALU_DEP_4)
	v_or_b32_e32 v19, v38, v36
.LBB296_3341:                           ;   in Loop: Header=BB296_2086 Depth=1
	s_wait_alu 0xfffe
	s_or_b32 exec_lo, exec_lo, s8
	;;#ASMSTART
	v_pk_mul_f16 v2, v115, v35;

	;;#ASMEND
	;;#ASMSTART
	v_pk_mul_f16 v13, v114, v13;

	;;#ASMEND
	;; [unrolled: 4-line block ×4, first 2 shown]
	;;#ASMSTART
	v_pk_add_f16 v2, v2, v13;

	;;#ASMEND
	;;#ASMSTART
	v_pk_add_f16 v2, v2, v14;

	;;#ASMEND
	;; [unrolled: 4-line block ×3, first 2 shown]
	v_dual_mov_b32 v36, 0 :: v_dual_and_b32 v13, 0xffff, v2
	v_lshrrev_b32_e32 v2, 16, v2
	;;#ASMSTART
	v_cvt_f32_f16 v33, v13;
	;;#ASMEND
	;;#ASMSTART
	v_cvt_f32_f16 v34, v2;
	;;#ASMEND
	flat_load_b64 v[13:14], v[11:12] offset:4864
	flat_load_b32 v19, v[26:27]
	s_mov_b32 s21, exec_lo
	s_wait_loadcnt_dscnt 0x101
	v_dual_mov_b32 v35, 0 :: v_dual_and_b32 v2, 0xff, v13
	s_delay_alu instid0(VALU_DEP_1)
	v_cmpx_ne_u16_e32 0, v2
	s_cbranch_execz .LBB296_3349
; %bb.3342:                             ;   in Loop: Header=BB296_2086 Depth=1
	v_mov_b32_e32 v36, 0x8000
	s_mov_b32 s22, exec_lo
	v_cmpx_ne_u16_e32 0x80, v2
	s_cbranch_execz .LBB296_3348
; %bb.3343:                             ;   in Loop: Header=BB296_2086 Depth=1
	v_and_b32_e32 v38, 0x7f, v13
	v_mov_b32_e32 v36, 0x7c01
	s_mov_b32 s23, exec_lo
	s_delay_alu instid0(VALU_DEP_2)
	v_cmpx_ne_u32_e32 0x7f, v38
	s_cbranch_execz .LBB296_3347
; %bb.3344:                             ;   in Loop: Header=BB296_2086 Depth=1
	v_and_b32_e32 v2, 7, v13
	v_lshrrev_b32_e32 v36, 3, v38
	s_mov_b32 s24, exec_lo
	v_cmpx_gt_u32_e32 8, v38
; %bb.3345:                             ;   in Loop: Header=BB296_2086 Depth=1
	s_delay_alu instid0(VALU_DEP_3) | instskip(NEXT) | instid1(VALU_DEP_1)
	v_clz_i32_u32_e32 v2, v2
	v_min_u32_e32 v2, 32, v2
	s_delay_alu instid0(VALU_DEP_1) | instskip(NEXT) | instid1(VALU_DEP_1)
	v_subrev_nc_u32_e32 v36, 28, v2
	v_lshlrev_b64_e32 v[38:39], v36, v[13:14]
	v_sub_nc_u32_e32 v36, 29, v2
	s_delay_alu instid0(VALU_DEP_2)
	v_and_b32_e32 v2, 7, v38
; %bb.3346:                             ;   in Loop: Header=BB296_2086 Depth=1
	s_wait_alu 0xfffe
	s_or_b32 exec_lo, exec_lo, s24
	v_lshlrev_b32_e32 v38, 8, v13
	v_lshl_add_u32 v36, v36, 10, 0x2000
	v_lshlrev_b32_e32 v2, 7, v2
	s_delay_alu instid0(VALU_DEP_3) | instskip(NEXT) | instid1(VALU_DEP_3)
	v_and_b32_e32 v38, 0x8000, v38
	v_and_b32_e32 v36, 0xfc00, v36
	s_delay_alu instid0(VALU_DEP_1)
	v_or3_b32 v36, v38, v36, v2
.LBB296_3347:                           ;   in Loop: Header=BB296_2086 Depth=1
	s_wait_alu 0xfffe
	s_or_b32 exec_lo, exec_lo, s23
.LBB296_3348:                           ;   in Loop: Header=BB296_2086 Depth=1
	s_wait_alu 0xfffe
	s_or_b32 exec_lo, exec_lo, s22
.LBB296_3349:                           ;   in Loop: Header=BB296_2086 Depth=1
	s_wait_alu 0xfffe
	s_or_b32 exec_lo, exec_lo, s21
	v_lshrrev_b16 v2, 8, v13
	s_mov_b32 s21, exec_lo
	s_delay_alu instid0(VALU_DEP_1)
	v_cmpx_ne_u16_e32 0, v2
	s_cbranch_execz .LBB296_3357
; %bb.3350:                             ;   in Loop: Header=BB296_2086 Depth=1
	v_bfrev_b32_e32 v35, 1
	s_mov_b32 s22, exec_lo
	v_cmpx_ne_u16_e32 0x80, v2
	s_cbranch_execz .LBB296_3356
; %bb.3351:                             ;   in Loop: Header=BB296_2086 Depth=1
	v_and_b32_e32 v38, 0xffff, v2
	v_mov_b32_e32 v35, 0x7c010000
	s_mov_b32 s23, exec_lo
	s_delay_alu instid0(VALU_DEP_2) | instskip(NEXT) | instid1(VALU_DEP_1)
	v_and_b32_e32 v49, 0x7f, v38
	v_cmpx_ne_u32_e32 0x7f, v49
	s_cbranch_execz .LBB296_3355
; %bb.3352:                             ;   in Loop: Header=BB296_2086 Depth=1
	v_and_b32_e32 v35, 7, v38
	v_lshrrev_b32_e32 v39, 3, v49
	s_mov_b32 s24, exec_lo
	v_cmpx_gt_u32_e32 8, v49
; %bb.3353:                             ;   in Loop: Header=BB296_2086 Depth=1
	s_delay_alu instid0(VALU_DEP_3) | instskip(NEXT) | instid1(VALU_DEP_1)
	v_clz_i32_u32_e32 v35, v35
	v_min_u32_e32 v35, 32, v35
	s_delay_alu instid0(VALU_DEP_1) | instskip(NEXT) | instid1(VALU_DEP_1)
	v_subrev_nc_u32_e32 v39, 28, v35
	v_lshlrev_b64_e32 v[49:50], v39, v[2:3]
	v_sub_nc_u32_e32 v39, 29, v35
	s_delay_alu instid0(VALU_DEP_2)
	v_and_b32_e32 v35, 7, v49
; %bb.3354:                             ;   in Loop: Header=BB296_2086 Depth=1
	s_wait_alu 0xfffe
	s_or_b32 exec_lo, exec_lo, s24
	v_lshlrev_b32_e32 v2, 8, v38
	v_lshl_add_u32 v38, v39, 10, 0x2000
	v_lshlrev_b32_e32 v35, 23, v35
	s_delay_alu instid0(VALU_DEP_2) | instskip(NEXT) | instid1(VALU_DEP_1)
	v_and_or_b32 v2, 0x8000, v2, v38
	v_lshl_or_b32 v35, v2, 16, v35
.LBB296_3355:                           ;   in Loop: Header=BB296_2086 Depth=1
	s_wait_alu 0xfffe
	s_or_b32 exec_lo, exec_lo, s23
.LBB296_3356:                           ;   in Loop: Header=BB296_2086 Depth=1
	s_wait_alu 0xfffe
	s_or_b32 exec_lo, exec_lo, s22
.LBB296_3357:                           ;   in Loop: Header=BB296_2086 Depth=1
	s_wait_alu 0xfffe
	s_or_b32 exec_lo, exec_lo, s21
	v_lshrrev_b32_e32 v2, 16, v13
	v_mov_b32_e32 v39, 0
	s_mov_b32 s21, exec_lo
	s_delay_alu instid0(VALU_DEP_2) | instskip(NEXT) | instid1(VALU_DEP_1)
	v_dual_mov_b32 v38, 0 :: v_dual_and_b32 v49, 0xff, v2
	v_cmpx_ne_u16_e32 0, v49
	s_cbranch_execz .LBB296_3365
; %bb.3358:                             ;   in Loop: Header=BB296_2086 Depth=1
	v_mov_b32_e32 v39, 0x8000
	s_mov_b32 s22, exec_lo
	v_cmpx_ne_u16_e32 0x80, v49
	s_cbranch_execz .LBB296_3364
; %bb.3359:                             ;   in Loop: Header=BB296_2086 Depth=1
	v_bfe_u32 v50, v13, 16, 7
	v_mov_b32_e32 v39, 0x7c01
	s_mov_b32 s23, exec_lo
	s_delay_alu instid0(VALU_DEP_2)
	v_cmpx_ne_u32_e32 0x7f, v50
	s_cbranch_execz .LBB296_3363
; %bb.3360:                             ;   in Loop: Header=BB296_2086 Depth=1
	v_and_b32_e32 v39, 7, v2
	v_lshrrev_b32_e32 v49, 3, v50
	s_mov_b32 s24, exec_lo
	v_cmpx_gt_u32_e32 8, v50
; %bb.3361:                             ;   in Loop: Header=BB296_2086 Depth=1
	s_delay_alu instid0(VALU_DEP_3) | instskip(NEXT) | instid1(VALU_DEP_1)
	v_clz_i32_u32_e32 v39, v39
	v_min_u32_e32 v39, 32, v39
	s_delay_alu instid0(VALU_DEP_1) | instskip(NEXT) | instid1(VALU_DEP_1)
	v_subrev_nc_u32_e32 v49, 28, v39
	v_lshlrev_b64_e32 v[178:179], v49, v[2:3]
	v_sub_nc_u32_e32 v49, 29, v39
	s_delay_alu instid0(VALU_DEP_2)
	v_and_b32_e32 v39, 7, v178
; %bb.3362:                             ;   in Loop: Header=BB296_2086 Depth=1
	s_wait_alu 0xfffe
	s_or_b32 exec_lo, exec_lo, s24
	v_lshlrev_b32_e32 v2, 8, v2
	v_lshl_add_u32 v49, v49, 10, 0x2000
	v_lshlrev_b32_e32 v39, 7, v39
	s_delay_alu instid0(VALU_DEP_3) | instskip(NEXT) | instid1(VALU_DEP_3)
	v_and_b32_e32 v2, 0x8000, v2
	v_and_b32_e32 v49, 0xfc00, v49
	s_delay_alu instid0(VALU_DEP_1)
	v_or3_b32 v39, v2, v49, v39
.LBB296_3363:                           ;   in Loop: Header=BB296_2086 Depth=1
	s_wait_alu 0xfffe
	s_or_b32 exec_lo, exec_lo, s23
.LBB296_3364:                           ;   in Loop: Header=BB296_2086 Depth=1
	s_wait_alu 0xfffe
	s_or_b32 exec_lo, exec_lo, s22
.LBB296_3365:                           ;   in Loop: Header=BB296_2086 Depth=1
	s_wait_alu 0xfffe
	s_or_b32 exec_lo, exec_lo, s21
	s_delay_alu instid0(SALU_CYCLE_1)
	s_mov_b32 s21, exec_lo
	v_cmpx_lt_u32_e32 0xffffff, v13
	s_cbranch_execz .LBB296_3373
; %bb.3366:                             ;   in Loop: Header=BB296_2086 Depth=1
	v_lshrrev_b32_e32 v2, 24, v13
	v_bfrev_b32_e32 v38, 1
	s_mov_b32 s22, exec_lo
	s_delay_alu instid0(VALU_DEP_2)
	v_cmpx_ne_u32_e32 0x80, v2
	s_cbranch_execz .LBB296_3372
; %bb.3367:                             ;   in Loop: Header=BB296_2086 Depth=1
	v_and_b32_e32 v50, 0x7f, v2
	v_mov_b32_e32 v38, 0x7c010000
	s_mov_b32 s23, exec_lo
	s_delay_alu instid0(VALU_DEP_2)
	v_cmpx_ne_u32_e32 0x7f, v50
	s_cbranch_execz .LBB296_3371
; %bb.3368:                             ;   in Loop: Header=BB296_2086 Depth=1
	v_and_b32_e32 v38, 7, v2
	v_lshrrev_b32_e32 v49, 3, v50
	s_mov_b32 s24, exec_lo
	v_cmpx_gt_u32_e32 8, v50
; %bb.3369:                             ;   in Loop: Header=BB296_2086 Depth=1
	s_delay_alu instid0(VALU_DEP_3) | instskip(NEXT) | instid1(VALU_DEP_1)
	v_clz_i32_u32_e32 v38, v38
	v_min_u32_e32 v38, 32, v38
	s_delay_alu instid0(VALU_DEP_1) | instskip(NEXT) | instid1(VALU_DEP_1)
	v_subrev_nc_u32_e32 v49, 28, v38
	v_lshlrev_b64_e32 v[178:179], v49, v[2:3]
	v_sub_nc_u32_e32 v49, 29, v38
	s_delay_alu instid0(VALU_DEP_2)
	v_and_b32_e32 v38, 7, v178
; %bb.3370:                             ;   in Loop: Header=BB296_2086 Depth=1
	s_wait_alu 0xfffe
	s_or_b32 exec_lo, exec_lo, s24
	v_lshlrev_b32_e32 v2, 8, v2
	v_lshl_add_u32 v49, v49, 10, 0x2000
	v_lshlrev_b32_e32 v38, 23, v38
	s_delay_alu instid0(VALU_DEP_2) | instskip(NEXT) | instid1(VALU_DEP_1)
	v_and_or_b32 v2, 0x8000, v2, v49
	v_lshl_or_b32 v38, v2, 16, v38
.LBB296_3371:                           ;   in Loop: Header=BB296_2086 Depth=1
	s_wait_alu 0xfffe
	s_or_b32 exec_lo, exec_lo, s23
.LBB296_3372:                           ;   in Loop: Header=BB296_2086 Depth=1
	s_wait_alu 0xfffe
	s_or_b32 exec_lo, exec_lo, s22
.LBB296_3373:                           ;   in Loop: Header=BB296_2086 Depth=1
	s_wait_alu 0xfffe
	s_or_b32 exec_lo, exec_lo, s21
	v_dual_mov_b32 v2, v14 :: v_dual_and_b32 v85, 0xff, v14
	v_dual_mov_b32 v49, 0 :: v_dual_mov_b32 v50, 0
	s_mov_b32 s21, exec_lo
	s_delay_alu instid0(VALU_DEP_2)
	v_cmpx_ne_u16_e32 0, v85
	s_cbranch_execz .LBB296_3381
; %bb.3374:                             ;   in Loop: Header=BB296_2086 Depth=1
	v_mov_b32_e32 v50, 0x8000
	s_mov_b32 s22, exec_lo
	v_cmpx_ne_u16_e32 0x80, v85
	s_cbranch_execz .LBB296_3380
; %bb.3375:                             ;   in Loop: Header=BB296_2086 Depth=1
	v_and_b32_e32 v167, 0x7f, v14
	v_mov_b32_e32 v50, 0x7c01
	s_mov_b32 s23, exec_lo
	s_delay_alu instid0(VALU_DEP_2)
	v_cmpx_ne_u32_e32 0x7f, v167
	s_cbranch_execz .LBB296_3379
; %bb.3376:                             ;   in Loop: Header=BB296_2086 Depth=1
	v_and_b32_e32 v50, 7, v14
	v_lshrrev_b32_e32 v85, 3, v167
	s_mov_b32 s24, exec_lo
	v_cmpx_gt_u32_e32 8, v167
; %bb.3377:                             ;   in Loop: Header=BB296_2086 Depth=1
	s_delay_alu instid0(VALU_DEP_3) | instskip(NEXT) | instid1(VALU_DEP_1)
	v_clz_i32_u32_e32 v50, v50
	v_min_u32_e32 v50, 32, v50
	s_delay_alu instid0(VALU_DEP_1) | instskip(SKIP_1) | instid1(VALU_DEP_2)
	v_subrev_nc_u32_e32 v64, 28, v50
	v_sub_nc_u32_e32 v85, 29, v50
	v_lshlrev_b64_e32 v[178:179], v64, v[2:3]
	s_delay_alu instid0(VALU_DEP_1)
	v_and_b32_e32 v50, 7, v178
; %bb.3378:                             ;   in Loop: Header=BB296_2086 Depth=1
	s_wait_alu 0xfffe
	s_or_b32 exec_lo, exec_lo, s24
	v_lshlrev_b32_e32 v64, 8, v14
	v_lshl_add_u32 v85, v85, 10, 0x2000
	v_lshlrev_b32_e32 v50, 7, v50
	s_delay_alu instid0(VALU_DEP_3) | instskip(NEXT) | instid1(VALU_DEP_3)
	v_and_b32_e32 v64, 0x8000, v64
	v_and_b32_e32 v85, 0xfc00, v85
	s_delay_alu instid0(VALU_DEP_1)
	v_or3_b32 v50, v64, v85, v50
.LBB296_3379:                           ;   in Loop: Header=BB296_2086 Depth=1
	s_wait_alu 0xfffe
	s_or_b32 exec_lo, exec_lo, s23
.LBB296_3380:                           ;   in Loop: Header=BB296_2086 Depth=1
	s_wait_alu 0xfffe
	s_or_b32 exec_lo, exec_lo, s22
.LBB296_3381:                           ;   in Loop: Header=BB296_2086 Depth=1
	s_wait_alu 0xfffe
	s_or_b32 exec_lo, exec_lo, s21
	v_lshrrev_b16 v2, 8, v2
	v_mov_b32_e32 v85, 0
	s_mov_b32 s21, exec_lo
	s_delay_alu instid0(VALU_DEP_2)
	v_cmpx_ne_u16_e32 0, v2
	s_cbranch_execz .LBB296_3389
; %bb.3382:                             ;   in Loop: Header=BB296_2086 Depth=1
	v_bfrev_b32_e32 v85, 1
	s_mov_b32 s22, exec_lo
	v_cmpx_ne_u16_e32 0x80, v2
	s_cbranch_execz .LBB296_3388
; %bb.3383:                             ;   in Loop: Header=BB296_2086 Depth=1
	v_and_b32_e32 v167, 0xffff, v2
	v_mov_b32_e32 v85, 0x7c010000
	s_mov_b32 s23, exec_lo
	s_delay_alu instid0(VALU_DEP_2) | instskip(NEXT) | instid1(VALU_DEP_1)
	v_and_b32_e32 v179, 0x7f, v167
	v_cmpx_ne_u32_e32 0x7f, v179
	s_cbranch_execz .LBB296_3387
; %bb.3384:                             ;   in Loop: Header=BB296_2086 Depth=1
	v_and_b32_e32 v85, 7, v167
	v_lshrrev_b32_e32 v178, 3, v179
	s_mov_b32 s24, exec_lo
	v_cmpx_gt_u32_e32 8, v179
; %bb.3385:                             ;   in Loop: Header=BB296_2086 Depth=1
	s_delay_alu instid0(VALU_DEP_3) | instskip(NEXT) | instid1(VALU_DEP_1)
	v_clz_i32_u32_e32 v64, v85
	v_min_u32_e32 v64, 32, v64
	s_delay_alu instid0(VALU_DEP_1) | instskip(SKIP_1) | instid1(VALU_DEP_2)
	v_subrev_nc_u32_e32 v85, 28, v64
	v_sub_nc_u32_e32 v178, 29, v64
	v_lshlrev_b64_e32 v[179:180], v85, v[2:3]
	s_delay_alu instid0(VALU_DEP_1)
	v_and_b32_e32 v85, 7, v179
; %bb.3386:                             ;   in Loop: Header=BB296_2086 Depth=1
	s_wait_alu 0xfffe
	s_or_b32 exec_lo, exec_lo, s24
	v_lshlrev_b32_e32 v2, 8, v167
	v_lshl_add_u32 v64, v178, 10, 0x2000
	s_delay_alu instid0(VALU_DEP_1) | instskip(SKIP_1) | instid1(VALU_DEP_1)
	v_and_or_b32 v2, 0x8000, v2, v64
	v_lshlrev_b32_e32 v64, 23, v85
	v_lshl_or_b32 v85, v2, 16, v64
.LBB296_3387:                           ;   in Loop: Header=BB296_2086 Depth=1
	s_wait_alu 0xfffe
	s_or_b32 exec_lo, exec_lo, s23
.LBB296_3388:                           ;   in Loop: Header=BB296_2086 Depth=1
	s_wait_alu 0xfffe
	s_or_b32 exec_lo, exec_lo, s22
.LBB296_3389:                           ;   in Loop: Header=BB296_2086 Depth=1
	s_wait_alu 0xfffe
	s_or_b32 exec_lo, exec_lo, s21
	v_lshrrev_b32_e32 v2, 16, v14
	s_mov_b32 s21, exec_lo
	s_delay_alu instid0(VALU_DEP_1) | instskip(NEXT) | instid1(VALU_DEP_1)
	v_and_b32_e32 v167, 0xff, v2
	v_cmpx_ne_u16_e64 0, v167
	s_cbranch_execz .LBB296_3397
; %bb.3390:                             ;   in Loop: Header=BB296_2086 Depth=1
	v_mov_b32_e32 v49, 0x8000
	s_mov_b32 s22, exec_lo
	v_cmpx_ne_u16_e64 0x80, v167
	s_cbranch_execz .LBB296_3396
; %bb.3391:                             ;   in Loop: Header=BB296_2086 Depth=1
	v_bfe_u32 v178, v14, 16, 7
	v_mov_b32_e32 v49, 0x7c01
	s_mov_b32 s23, exec_lo
	s_delay_alu instid0(VALU_DEP_2)
	v_cmpx_ne_u32_e32 0x7f, v178
	s_cbranch_execz .LBB296_3395
; %bb.3392:                             ;   in Loop: Header=BB296_2086 Depth=1
	v_and_b32_e32 v49, 7, v2
	v_lshrrev_b32_e32 v167, 3, v178
	s_mov_b32 s24, exec_lo
	v_cmpx_gt_u32_e32 8, v178
; %bb.3393:                             ;   in Loop: Header=BB296_2086 Depth=1
	s_delay_alu instid0(VALU_DEP_3) | instskip(NEXT) | instid1(VALU_DEP_1)
	v_clz_i32_u32_e32 v49, v49
	v_min_u32_e32 v49, 32, v49
	s_delay_alu instid0(VALU_DEP_1) | instskip(SKIP_1) | instid1(VALU_DEP_2)
	v_subrev_nc_u32_e32 v64, 28, v49
	v_sub_nc_u32_e32 v167, 29, v49
	v_lshlrev_b64_e32 v[178:179], v64, v[2:3]
	s_delay_alu instid0(VALU_DEP_1)
	v_and_b32_e32 v49, 7, v178
; %bb.3394:                             ;   in Loop: Header=BB296_2086 Depth=1
	s_wait_alu 0xfffe
	s_or_b32 exec_lo, exec_lo, s24
	v_lshlrev_b32_e32 v2, 8, v2
	v_lshl_add_u32 v64, v167, 10, 0x2000
	v_lshlrev_b32_e32 v49, 7, v49
	s_delay_alu instid0(VALU_DEP_3) | instskip(NEXT) | instid1(VALU_DEP_3)
	v_and_b32_e32 v2, 0x8000, v2
	v_and_b32_e32 v64, 0xfc00, v64
	s_delay_alu instid0(VALU_DEP_1)
	v_or3_b32 v49, v2, v64, v49
.LBB296_3395:                           ;   in Loop: Header=BB296_2086 Depth=1
	s_wait_alu 0xfffe
	s_or_b32 exec_lo, exec_lo, s23
.LBB296_3396:                           ;   in Loop: Header=BB296_2086 Depth=1
	s_wait_alu 0xfffe
	s_or_b32 exec_lo, exec_lo, s22
.LBB296_3397:                           ;   in Loop: Header=BB296_2086 Depth=1
	s_wait_alu 0xfffe
	s_or_b32 exec_lo, exec_lo, s21
	v_cmp_lt_u64_e64 s8, s[16:17], v[13:14]
	v_mov_b32_e32 v13, 0
	s_and_saveexec_b32 s21, s8
	s_cbranch_execz .LBB296_3405
; %bb.3398:                             ;   in Loop: Header=BB296_2086 Depth=1
	v_lshrrev_b32_e32 v2, 24, v14
	v_bfrev_b32_e32 v13, 1
	s_mov_b32 s22, exec_lo
	s_delay_alu instid0(VALU_DEP_2)
	v_cmpx_ne_u32_e32 0x80, v2
	s_cbranch_execz .LBB296_3404
; %bb.3399:                             ;   in Loop: Header=BB296_2086 Depth=1
	v_and_b32_e32 v167, 0x7f, v2
	v_mov_b32_e32 v13, 0x7c010000
	s_mov_b32 s23, exec_lo
	s_delay_alu instid0(VALU_DEP_2)
	v_cmpx_ne_u32_e32 0x7f, v167
	s_cbranch_execz .LBB296_3403
; %bb.3400:                             ;   in Loop: Header=BB296_2086 Depth=1
	v_and_b32_e32 v13, 7, v2
	v_lshrrev_b32_e32 v14, 3, v167
	s_mov_b32 s24, exec_lo
	v_cmpx_gt_u32_e32 8, v167
; %bb.3401:                             ;   in Loop: Header=BB296_2086 Depth=1
	s_delay_alu instid0(VALU_DEP_3) | instskip(NEXT) | instid1(VALU_DEP_1)
	v_clz_i32_u32_e32 v13, v13
	v_min_u32_e32 v64, 32, v13
	s_delay_alu instid0(VALU_DEP_1) | instskip(NEXT) | instid1(VALU_DEP_1)
	v_subrev_nc_u32_e32 v13, 28, v64
	v_lshlrev_b64_e32 v[13:14], v13, v[2:3]
	v_sub_nc_u32_e32 v14, 29, v64
	s_delay_alu instid0(VALU_DEP_2)
	v_and_b32_e32 v13, 7, v13
; %bb.3402:                             ;   in Loop: Header=BB296_2086 Depth=1
	s_wait_alu 0xfffe
	s_or_b32 exec_lo, exec_lo, s24
	v_lshlrev_b32_e32 v2, 8, v2
	v_lshl_add_u32 v14, v14, 10, 0x2000
	v_lshlrev_b32_e32 v13, 23, v13
	s_delay_alu instid0(VALU_DEP_2) | instskip(NEXT) | instid1(VALU_DEP_1)
	v_and_or_b32 v2, 0x8000, v2, v14
	v_lshl_or_b32 v13, v2, 16, v13
.LBB296_3403:                           ;   in Loop: Header=BB296_2086 Depth=1
	s_wait_alu 0xfffe
	s_or_b32 exec_lo, exec_lo, s23
.LBB296_3404:                           ;   in Loop: Header=BB296_2086 Depth=1
	s_wait_alu 0xfffe
	s_or_b32 exec_lo, exec_lo, s22
.LBB296_3405:                           ;   in Loop: Header=BB296_2086 Depth=1
	s_wait_alu 0xfffe
	s_or_b32 exec_lo, exec_lo, s21
	v_or_b32_e32 v2, v38, v39
	s_wait_loadcnt_dscnt 0x0
	v_fma_mixlo_f16 v14, v19, v38, 0 op_sel:[0,1,0] op_sel_hi:[0,1,0]
	v_or_b32_e32 v36, v35, v36
	v_or_b32_e32 v38, v85, v50
	;; [unrolled: 1-line block ×3, first 2 shown]
	v_fma_mixlo_f16 v39, v19, v2, 0 op_sel_hi:[0,1,0]
	v_fma_mixlo_f16 v35, v19, v35, 0 op_sel:[0,1,0] op_sel_hi:[0,1,0]
	v_lshlrev_b32_e32 v2, 16, v14
	v_fma_mixlo_f16 v36, v19, v36, 0 op_sel_hi:[0,1,0]
	v_fma_mixlo_f16 v38, v19, v38, 0 op_sel_hi:[0,1,0]
	v_and_b32_e32 v14, 0xffff, v39
	v_fma_mixlo_f16 v39, v19, v85, 0 op_sel:[0,1,0] op_sel_hi:[0,1,0]
	v_fma_mixlo_f16 v13, v19, v13, 0 op_sel:[0,1,0] op_sel_hi:[0,1,0]
	v_fma_mixlo_f16 v19, v19, v49, 0 op_sel_hi:[0,1,0]
	v_lshlrev_b32_e32 v35, 16, v35
	v_and_b32_e32 v167, 0xffff, v36
	v_lshlrev_b32_e32 v49, 16, v39
	v_and_b32_e32 v85, 0xffff, v38
	;; [unrolled: 2-line block ×3, first 2 shown]
	v_or_b32_e32 v13, v2, v14
	v_or_b32_e32 v38, v35, v167
	;; [unrolled: 1-line block ×3, first 2 shown]
	s_delay_alu instid0(VALU_DEP_4)
	v_or_b32_e32 v19, v39, v50
	s_and_saveexec_b32 s8, s0
	s_cbranch_execz .LBB296_3407
; %bb.3406:                             ;   in Loop: Header=BB296_2086 Depth=1
	s_wait_alu 0xfffd
	v_cndmask_b32_e32 v13, 0, v167, vcc_lo
	v_cndmask_b32_e64 v19, 0, v35, s3
	v_cndmask_b32_e64 v14, 0, v14, s1
	;; [unrolled: 1-line block ×7, first 2 shown]
	v_or_b32_e32 v38, v13, v19
	v_or_b32_e32 v13, v14, v2
	;; [unrolled: 1-line block ×3, first 2 shown]
	s_delay_alu instid0(VALU_DEP_4)
	v_or_b32_e32 v19, v49, v39
.LBB296_3407:                           ;   in Loop: Header=BB296_2086 Depth=1
	s_wait_alu 0xfffe
	s_or_b32 exec_lo, exec_lo, s8
	;;#ASMSTART
	v_pk_mul_f16 v2, v115, v38;

	;;#ASMEND
	;;#ASMSTART
	v_pk_mul_f16 v13, v114, v13;

	;;#ASMEND
	;;#ASMSTART
	v_pk_mul_f16 v14, v113, v36;

	;;#ASMEND
	;;#ASMSTART
	v_pk_mul_f16 v19, v112, v19;

	;;#ASMEND
	;;#ASMSTART
	v_pk_add_f16 v2, v2, v13;

	;;#ASMEND
	;;#ASMSTART
	v_pk_add_f16 v2, v2, v14;

	;;#ASMEND
	;; [unrolled: 4-line block ×3, first 2 shown]
	v_dual_mov_b32 v38, 0 :: v_dual_and_b32 v13, 0xffff, v2
	v_lshrrev_b32_e32 v2, 16, v2
	;;#ASMSTART
	v_cvt_f32_f16 v35, v13;
	;;#ASMEND
	;;#ASMSTART
	v_cvt_f32_f16 v36, v2;
	;;#ASMEND
	flat_load_b64 v[13:14], v[11:12] offset:5120
	flat_load_b32 v19, v[26:27]
	s_mov_b32 s21, exec_lo
	s_wait_loadcnt_dscnt 0x101
	v_dual_mov_b32 v39, 0 :: v_dual_and_b32 v2, 0xff, v13
	s_delay_alu instid0(VALU_DEP_1)
	v_cmpx_ne_u16_e32 0, v2
	s_cbranch_execz .LBB296_3415
; %bb.3408:                             ;   in Loop: Header=BB296_2086 Depth=1
	v_mov_b32_e32 v39, 0x8000
	s_mov_b32 s22, exec_lo
	v_cmpx_ne_u16_e32 0x80, v2
	s_cbranch_execz .LBB296_3414
; %bb.3409:                             ;   in Loop: Header=BB296_2086 Depth=1
	v_and_b32_e32 v49, 0x7f, v13
	v_mov_b32_e32 v39, 0x7c01
	s_mov_b32 s23, exec_lo
	s_delay_alu instid0(VALU_DEP_2)
	v_cmpx_ne_u32_e32 0x7f, v49
	s_cbranch_execz .LBB296_3413
; %bb.3410:                             ;   in Loop: Header=BB296_2086 Depth=1
	v_and_b32_e32 v2, 7, v13
	v_lshrrev_b32_e32 v39, 3, v49
	s_mov_b32 s24, exec_lo
	v_cmpx_gt_u32_e32 8, v49
; %bb.3411:                             ;   in Loop: Header=BB296_2086 Depth=1
	s_delay_alu instid0(VALU_DEP_3) | instskip(NEXT) | instid1(VALU_DEP_1)
	v_clz_i32_u32_e32 v2, v2
	v_min_u32_e32 v2, 32, v2
	s_delay_alu instid0(VALU_DEP_1) | instskip(NEXT) | instid1(VALU_DEP_1)
	v_subrev_nc_u32_e32 v39, 28, v2
	v_lshlrev_b64_e32 v[49:50], v39, v[13:14]
	v_sub_nc_u32_e32 v39, 29, v2
	s_delay_alu instid0(VALU_DEP_2)
	v_and_b32_e32 v2, 7, v49
; %bb.3412:                             ;   in Loop: Header=BB296_2086 Depth=1
	s_wait_alu 0xfffe
	s_or_b32 exec_lo, exec_lo, s24
	v_lshlrev_b32_e32 v49, 8, v13
	v_lshl_add_u32 v39, v39, 10, 0x2000
	v_lshlrev_b32_e32 v2, 7, v2
	s_delay_alu instid0(VALU_DEP_3) | instskip(NEXT) | instid1(VALU_DEP_3)
	v_and_b32_e32 v49, 0x8000, v49
	v_and_b32_e32 v39, 0xfc00, v39
	s_delay_alu instid0(VALU_DEP_1)
	v_or3_b32 v39, v49, v39, v2
.LBB296_3413:                           ;   in Loop: Header=BB296_2086 Depth=1
	s_wait_alu 0xfffe
	s_or_b32 exec_lo, exec_lo, s23
.LBB296_3414:                           ;   in Loop: Header=BB296_2086 Depth=1
	s_wait_alu 0xfffe
	s_or_b32 exec_lo, exec_lo, s22
.LBB296_3415:                           ;   in Loop: Header=BB296_2086 Depth=1
	s_wait_alu 0xfffe
	s_or_b32 exec_lo, exec_lo, s21
	v_lshrrev_b16 v2, 8, v13
	s_mov_b32 s21, exec_lo
	s_delay_alu instid0(VALU_DEP_1)
	v_cmpx_ne_u16_e32 0, v2
	s_cbranch_execz .LBB296_3423
; %bb.3416:                             ;   in Loop: Header=BB296_2086 Depth=1
	v_bfrev_b32_e32 v38, 1
	s_mov_b32 s22, exec_lo
	v_cmpx_ne_u16_e32 0x80, v2
	s_cbranch_execz .LBB296_3422
; %bb.3417:                             ;   in Loop: Header=BB296_2086 Depth=1
	v_and_b32_e32 v49, 0xffff, v2
	v_mov_b32_e32 v38, 0x7c010000
	s_mov_b32 s23, exec_lo
	s_delay_alu instid0(VALU_DEP_2) | instskip(NEXT) | instid1(VALU_DEP_1)
	v_and_b32_e32 v85, 0x7f, v49
	v_cmpx_ne_u32_e32 0x7f, v85
	s_cbranch_execz .LBB296_3421
; %bb.3418:                             ;   in Loop: Header=BB296_2086 Depth=1
	v_and_b32_e32 v38, 7, v49
	v_lshrrev_b32_e32 v50, 3, v85
	s_mov_b32 s24, exec_lo
	v_cmpx_gt_u32_e32 8, v85
; %bb.3419:                             ;   in Loop: Header=BB296_2086 Depth=1
	s_delay_alu instid0(VALU_DEP_3) | instskip(NEXT) | instid1(VALU_DEP_1)
	v_clz_i32_u32_e32 v38, v38
	v_min_u32_e32 v38, 32, v38
	s_delay_alu instid0(VALU_DEP_1) | instskip(NEXT) | instid1(VALU_DEP_1)
	v_subrev_nc_u32_e32 v50, 28, v38
	v_lshlrev_b64_e32 v[178:179], v50, v[2:3]
	v_sub_nc_u32_e32 v50, 29, v38
	s_delay_alu instid0(VALU_DEP_2)
	v_and_b32_e32 v38, 7, v178
; %bb.3420:                             ;   in Loop: Header=BB296_2086 Depth=1
	s_wait_alu 0xfffe
	s_or_b32 exec_lo, exec_lo, s24
	v_lshlrev_b32_e32 v2, 8, v49
	v_lshl_add_u32 v49, v50, 10, 0x2000
	v_lshlrev_b32_e32 v38, 23, v38
	s_delay_alu instid0(VALU_DEP_2) | instskip(NEXT) | instid1(VALU_DEP_1)
	v_and_or_b32 v2, 0x8000, v2, v49
	v_lshl_or_b32 v38, v2, 16, v38
.LBB296_3421:                           ;   in Loop: Header=BB296_2086 Depth=1
	s_wait_alu 0xfffe
	s_or_b32 exec_lo, exec_lo, s23
.LBB296_3422:                           ;   in Loop: Header=BB296_2086 Depth=1
	s_wait_alu 0xfffe
	s_or_b32 exec_lo, exec_lo, s22
.LBB296_3423:                           ;   in Loop: Header=BB296_2086 Depth=1
	s_wait_alu 0xfffe
	s_or_b32 exec_lo, exec_lo, s21
	v_lshrrev_b32_e32 v2, 16, v13
	v_mov_b32_e32 v49, 0
	s_mov_b32 s21, exec_lo
	s_delay_alu instid0(VALU_DEP_2) | instskip(NEXT) | instid1(VALU_DEP_1)
	v_dual_mov_b32 v50, 0 :: v_dual_and_b32 v85, 0xff, v2
	v_cmpx_ne_u16_e32 0, v85
	s_cbranch_execz .LBB296_3431
; %bb.3424:                             ;   in Loop: Header=BB296_2086 Depth=1
	v_mov_b32_e32 v50, 0x8000
	s_mov_b32 s22, exec_lo
	v_cmpx_ne_u16_e32 0x80, v85
	s_cbranch_execz .LBB296_3430
; %bb.3425:                             ;   in Loop: Header=BB296_2086 Depth=1
	v_bfe_u32 v167, v13, 16, 7
	v_mov_b32_e32 v50, 0x7c01
	s_mov_b32 s23, exec_lo
	s_delay_alu instid0(VALU_DEP_2)
	v_cmpx_ne_u32_e32 0x7f, v167
	s_cbranch_execz .LBB296_3429
; %bb.3426:                             ;   in Loop: Header=BB296_2086 Depth=1
	v_and_b32_e32 v50, 7, v2
	v_lshrrev_b32_e32 v85, 3, v167
	s_mov_b32 s24, exec_lo
	v_cmpx_gt_u32_e32 8, v167
; %bb.3427:                             ;   in Loop: Header=BB296_2086 Depth=1
	s_delay_alu instid0(VALU_DEP_3) | instskip(NEXT) | instid1(VALU_DEP_1)
	v_clz_i32_u32_e32 v50, v50
	v_min_u32_e32 v50, 32, v50
	s_delay_alu instid0(VALU_DEP_1) | instskip(SKIP_1) | instid1(VALU_DEP_2)
	v_subrev_nc_u32_e32 v64, 28, v50
	v_sub_nc_u32_e32 v85, 29, v50
	v_lshlrev_b64_e32 v[178:179], v64, v[2:3]
	s_delay_alu instid0(VALU_DEP_1)
	v_and_b32_e32 v50, 7, v178
; %bb.3428:                             ;   in Loop: Header=BB296_2086 Depth=1
	s_wait_alu 0xfffe
	s_or_b32 exec_lo, exec_lo, s24
	v_lshlrev_b32_e32 v2, 8, v2
	v_lshl_add_u32 v64, v85, 10, 0x2000
	v_lshlrev_b32_e32 v50, 7, v50
	s_delay_alu instid0(VALU_DEP_3) | instskip(NEXT) | instid1(VALU_DEP_3)
	v_and_b32_e32 v2, 0x8000, v2
	v_and_b32_e32 v64, 0xfc00, v64
	s_delay_alu instid0(VALU_DEP_1)
	v_or3_b32 v50, v2, v64, v50
.LBB296_3429:                           ;   in Loop: Header=BB296_2086 Depth=1
	s_wait_alu 0xfffe
	s_or_b32 exec_lo, exec_lo, s23
.LBB296_3430:                           ;   in Loop: Header=BB296_2086 Depth=1
	s_wait_alu 0xfffe
	s_or_b32 exec_lo, exec_lo, s22
.LBB296_3431:                           ;   in Loop: Header=BB296_2086 Depth=1
	s_wait_alu 0xfffe
	s_or_b32 exec_lo, exec_lo, s21
	s_delay_alu instid0(SALU_CYCLE_1)
	s_mov_b32 s21, exec_lo
	v_cmpx_lt_u32_e32 0xffffff, v13
	s_cbranch_execz .LBB296_3439
; %bb.3432:                             ;   in Loop: Header=BB296_2086 Depth=1
	v_lshrrev_b32_e32 v2, 24, v13
	v_bfrev_b32_e32 v49, 1
	s_mov_b32 s22, exec_lo
	s_delay_alu instid0(VALU_DEP_2)
	v_cmpx_ne_u32_e32 0x80, v2
	s_cbranch_execz .LBB296_3438
; %bb.3433:                             ;   in Loop: Header=BB296_2086 Depth=1
	v_and_b32_e32 v167, 0x7f, v2
	v_mov_b32_e32 v49, 0x7c010000
	s_mov_b32 s23, exec_lo
	s_delay_alu instid0(VALU_DEP_2)
	v_cmpx_ne_u32_e32 0x7f, v167
	s_cbranch_execz .LBB296_3437
; %bb.3434:                             ;   in Loop: Header=BB296_2086 Depth=1
	v_and_b32_e32 v49, 7, v2
	v_lshrrev_b32_e32 v85, 3, v167
	s_mov_b32 s24, exec_lo
	v_cmpx_gt_u32_e32 8, v167
; %bb.3435:                             ;   in Loop: Header=BB296_2086 Depth=1
	s_delay_alu instid0(VALU_DEP_3) | instskip(NEXT) | instid1(VALU_DEP_1)
	v_clz_i32_u32_e32 v49, v49
	v_min_u32_e32 v49, 32, v49
	s_delay_alu instid0(VALU_DEP_1) | instskip(SKIP_1) | instid1(VALU_DEP_2)
	v_subrev_nc_u32_e32 v64, 28, v49
	v_sub_nc_u32_e32 v85, 29, v49
	v_lshlrev_b64_e32 v[178:179], v64, v[2:3]
	s_delay_alu instid0(VALU_DEP_1)
	v_and_b32_e32 v49, 7, v178
; %bb.3436:                             ;   in Loop: Header=BB296_2086 Depth=1
	s_wait_alu 0xfffe
	s_or_b32 exec_lo, exec_lo, s24
	v_lshlrev_b32_e32 v2, 8, v2
	v_lshl_add_u32 v64, v85, 10, 0x2000
	v_lshlrev_b32_e32 v49, 23, v49
	s_delay_alu instid0(VALU_DEP_2) | instskip(NEXT) | instid1(VALU_DEP_1)
	v_and_or_b32 v2, 0x8000, v2, v64
	v_lshl_or_b32 v49, v2, 16, v49
.LBB296_3437:                           ;   in Loop: Header=BB296_2086 Depth=1
	s_wait_alu 0xfffe
	s_or_b32 exec_lo, exec_lo, s23
.LBB296_3438:                           ;   in Loop: Header=BB296_2086 Depth=1
	s_wait_alu 0xfffe
	s_or_b32 exec_lo, exec_lo, s22
.LBB296_3439:                           ;   in Loop: Header=BB296_2086 Depth=1
	s_wait_alu 0xfffe
	s_or_b32 exec_lo, exec_lo, s21
	v_dual_mov_b32 v85, 0 :: v_dual_and_b32 v178, 0xff, v14
	v_dual_mov_b32 v2, v14 :: v_dual_mov_b32 v167, 0
	s_mov_b32 s21, exec_lo
	s_delay_alu instid0(VALU_DEP_2)
	v_cmpx_ne_u16_e64 0, v178
	s_cbranch_execz .LBB296_3447
; %bb.3440:                             ;   in Loop: Header=BB296_2086 Depth=1
	v_mov_b32_e32 v167, 0x8000
	s_mov_b32 s22, exec_lo
	v_cmpx_ne_u16_e64 0x80, v178
	s_cbranch_execz .LBB296_3446
; %bb.3441:                             ;   in Loop: Header=BB296_2086 Depth=1
	v_and_b32_e32 v179, 0x7f, v14
	v_mov_b32_e32 v167, 0x7c01
	s_mov_b32 s23, exec_lo
	s_delay_alu instid0(VALU_DEP_2)
	v_cmpx_ne_u32_e32 0x7f, v179
	s_cbranch_execz .LBB296_3445
; %bb.3442:                             ;   in Loop: Header=BB296_2086 Depth=1
	v_and_b32_e32 v167, 7, v14
	v_lshrrev_b32_e32 v178, 3, v179
	s_mov_b32 s24, exec_lo
	v_cmpx_gt_u32_e32 8, v179
; %bb.3443:                             ;   in Loop: Header=BB296_2086 Depth=1
	s_delay_alu instid0(VALU_DEP_3) | instskip(NEXT) | instid1(VALU_DEP_1)
	v_clz_i32_u32_e32 v64, v167
	v_min_u32_e32 v64, 32, v64
	s_delay_alu instid0(VALU_DEP_1) | instskip(SKIP_1) | instid1(VALU_DEP_2)
	v_subrev_nc_u32_e32 v167, 28, v64
	v_sub_nc_u32_e32 v178, 29, v64
	v_lshlrev_b64_e32 v[179:180], v167, v[2:3]
	s_delay_alu instid0(VALU_DEP_1)
	v_and_b32_e32 v167, 7, v179
; %bb.3444:                             ;   in Loop: Header=BB296_2086 Depth=1
	s_wait_alu 0xfffe
	s_or_b32 exec_lo, exec_lo, s24
	v_lshlrev_b32_e32 v64, 8, v14
	v_lshl_add_u32 v178, v178, 10, 0x2000
	v_lshlrev_b32_e32 v167, 7, v167
	s_delay_alu instid0(VALU_DEP_3) | instskip(NEXT) | instid1(VALU_DEP_3)
	v_and_b32_e32 v64, 0x8000, v64
	v_and_b32_e32 v178, 0xfc00, v178
	s_delay_alu instid0(VALU_DEP_1)
	v_or3_b32 v167, v64, v178, v167
.LBB296_3445:                           ;   in Loop: Header=BB296_2086 Depth=1
	s_wait_alu 0xfffe
	s_or_b32 exec_lo, exec_lo, s23
.LBB296_3446:                           ;   in Loop: Header=BB296_2086 Depth=1
	s_wait_alu 0xfffe
	s_or_b32 exec_lo, exec_lo, s22
.LBB296_3447:                           ;   in Loop: Header=BB296_2086 Depth=1
	s_wait_alu 0xfffe
	s_or_b32 exec_lo, exec_lo, s21
	v_lshrrev_b16 v2, 8, v2
	v_mov_b32_e32 v178, 0
	s_mov_b32 s21, exec_lo
	s_delay_alu instid0(VALU_DEP_2)
	v_cmpx_ne_u16_e32 0, v2
	s_cbranch_execz .LBB296_3455
; %bb.3448:                             ;   in Loop: Header=BB296_2086 Depth=1
	v_bfrev_b32_e32 v178, 1
	s_mov_b32 s22, exec_lo
	v_cmpx_ne_u16_e32 0x80, v2
	s_cbranch_execz .LBB296_3454
; %bb.3449:                             ;   in Loop: Header=BB296_2086 Depth=1
	v_and_b32_e32 v179, 0xffff, v2
	v_mov_b32_e32 v178, 0x7c010000
	s_mov_b32 s23, exec_lo
	s_delay_alu instid0(VALU_DEP_2) | instskip(NEXT) | instid1(VALU_DEP_1)
	v_and_b32_e32 v181, 0x7f, v179
	v_cmpx_ne_u32_e32 0x7f, v181
	s_cbranch_execz .LBB296_3453
; %bb.3450:                             ;   in Loop: Header=BB296_2086 Depth=1
	v_and_b32_e32 v178, 7, v179
	v_lshrrev_b32_e32 v180, 3, v181
	s_mov_b32 s24, exec_lo
	v_cmpx_gt_u32_e32 8, v181
; %bb.3451:                             ;   in Loop: Header=BB296_2086 Depth=1
	s_delay_alu instid0(VALU_DEP_3) | instskip(NEXT) | instid1(VALU_DEP_1)
	v_clz_i32_u32_e32 v64, v178
	v_min_u32_e32 v64, 32, v64
	s_delay_alu instid0(VALU_DEP_1) | instskip(SKIP_1) | instid1(VALU_DEP_2)
	v_subrev_nc_u32_e32 v178, 28, v64
	v_sub_nc_u32_e32 v180, 29, v64
	v_lshlrev_b64_e32 v[181:182], v178, v[2:3]
	s_delay_alu instid0(VALU_DEP_1)
	v_and_b32_e32 v178, 7, v181
; %bb.3452:                             ;   in Loop: Header=BB296_2086 Depth=1
	s_wait_alu 0xfffe
	s_or_b32 exec_lo, exec_lo, s24
	v_lshlrev_b32_e32 v2, 8, v179
	v_lshl_add_u32 v64, v180, 10, 0x2000
	s_delay_alu instid0(VALU_DEP_1) | instskip(SKIP_1) | instid1(VALU_DEP_1)
	v_and_or_b32 v2, 0x8000, v2, v64
	v_lshlrev_b32_e32 v64, 23, v178
	v_lshl_or_b32 v178, v2, 16, v64
.LBB296_3453:                           ;   in Loop: Header=BB296_2086 Depth=1
	s_wait_alu 0xfffe
	s_or_b32 exec_lo, exec_lo, s23
.LBB296_3454:                           ;   in Loop: Header=BB296_2086 Depth=1
	s_wait_alu 0xfffe
	s_or_b32 exec_lo, exec_lo, s22
.LBB296_3455:                           ;   in Loop: Header=BB296_2086 Depth=1
	s_wait_alu 0xfffe
	s_or_b32 exec_lo, exec_lo, s21
	v_lshrrev_b32_e32 v2, 16, v14
	s_mov_b32 s21, exec_lo
	s_delay_alu instid0(VALU_DEP_1) | instskip(NEXT) | instid1(VALU_DEP_1)
	v_and_b32_e32 v179, 0xff, v2
	v_cmpx_ne_u16_e64 0, v179
	s_cbranch_execz .LBB296_3463
; %bb.3456:                             ;   in Loop: Header=BB296_2086 Depth=1
	v_mov_b32_e32 v85, 0x8000
	s_mov_b32 s22, exec_lo
	v_cmpx_ne_u16_e64 0x80, v179
	s_cbranch_execz .LBB296_3462
; %bb.3457:                             ;   in Loop: Header=BB296_2086 Depth=1
	v_bfe_u32 v180, v14, 16, 7
	v_mov_b32_e32 v85, 0x7c01
	s_mov_b32 s23, exec_lo
	s_delay_alu instid0(VALU_DEP_2)
	v_cmpx_ne_u32_e32 0x7f, v180
	s_cbranch_execz .LBB296_3461
; %bb.3458:                             ;   in Loop: Header=BB296_2086 Depth=1
	v_and_b32_e32 v85, 7, v2
	v_lshrrev_b32_e32 v179, 3, v180
	s_mov_b32 s24, exec_lo
	v_cmpx_gt_u32_e32 8, v180
; %bb.3459:                             ;   in Loop: Header=BB296_2086 Depth=1
	s_delay_alu instid0(VALU_DEP_3) | instskip(NEXT) | instid1(VALU_DEP_1)
	v_clz_i32_u32_e32 v64, v85
	v_min_u32_e32 v64, 32, v64
	s_delay_alu instid0(VALU_DEP_1) | instskip(SKIP_1) | instid1(VALU_DEP_2)
	v_subrev_nc_u32_e32 v85, 28, v64
	v_sub_nc_u32_e32 v179, 29, v64
	v_lshlrev_b64_e32 v[180:181], v85, v[2:3]
	s_delay_alu instid0(VALU_DEP_1)
	v_and_b32_e32 v85, 7, v180
; %bb.3460:                             ;   in Loop: Header=BB296_2086 Depth=1
	s_wait_alu 0xfffe
	s_or_b32 exec_lo, exec_lo, s24
	v_lshlrev_b32_e32 v2, 8, v2
	v_lshl_add_u32 v64, v179, 10, 0x2000
	v_lshlrev_b32_e32 v85, 7, v85
	s_delay_alu instid0(VALU_DEP_3) | instskip(NEXT) | instid1(VALU_DEP_3)
	v_and_b32_e32 v2, 0x8000, v2
	v_and_b32_e32 v64, 0xfc00, v64
	s_delay_alu instid0(VALU_DEP_1)
	v_or3_b32 v85, v2, v64, v85
.LBB296_3461:                           ;   in Loop: Header=BB296_2086 Depth=1
	s_wait_alu 0xfffe
	s_or_b32 exec_lo, exec_lo, s23
.LBB296_3462:                           ;   in Loop: Header=BB296_2086 Depth=1
	s_wait_alu 0xfffe
	s_or_b32 exec_lo, exec_lo, s22
.LBB296_3463:                           ;   in Loop: Header=BB296_2086 Depth=1
	s_wait_alu 0xfffe
	s_or_b32 exec_lo, exec_lo, s21
	v_cmp_lt_u64_e64 s8, s[16:17], v[13:14]
	v_mov_b32_e32 v13, 0
	s_and_saveexec_b32 s21, s8
	s_cbranch_execz .LBB296_3471
; %bb.3464:                             ;   in Loop: Header=BB296_2086 Depth=1
	v_lshrrev_b32_e32 v2, 24, v14
	v_bfrev_b32_e32 v13, 1
	s_mov_b32 s22, exec_lo
	s_delay_alu instid0(VALU_DEP_2)
	v_cmpx_ne_u32_e32 0x80, v2
	s_cbranch_execz .LBB296_3470
; %bb.3465:                             ;   in Loop: Header=BB296_2086 Depth=1
	v_and_b32_e32 v179, 0x7f, v2
	v_mov_b32_e32 v13, 0x7c010000
	s_mov_b32 s23, exec_lo
	s_delay_alu instid0(VALU_DEP_2)
	v_cmpx_ne_u32_e32 0x7f, v179
	s_cbranch_execz .LBB296_3469
; %bb.3466:                             ;   in Loop: Header=BB296_2086 Depth=1
	v_and_b32_e32 v13, 7, v2
	v_lshrrev_b32_e32 v14, 3, v179
	s_mov_b32 s24, exec_lo
	v_cmpx_gt_u32_e32 8, v179
; %bb.3467:                             ;   in Loop: Header=BB296_2086 Depth=1
	s_delay_alu instid0(VALU_DEP_3) | instskip(NEXT) | instid1(VALU_DEP_1)
	v_clz_i32_u32_e32 v13, v13
	v_min_u32_e32 v64, 32, v13
	s_delay_alu instid0(VALU_DEP_1) | instskip(NEXT) | instid1(VALU_DEP_1)
	v_subrev_nc_u32_e32 v13, 28, v64
	v_lshlrev_b64_e32 v[13:14], v13, v[2:3]
	v_sub_nc_u32_e32 v14, 29, v64
	s_delay_alu instid0(VALU_DEP_2)
	v_and_b32_e32 v13, 7, v13
; %bb.3468:                             ;   in Loop: Header=BB296_2086 Depth=1
	s_wait_alu 0xfffe
	s_or_b32 exec_lo, exec_lo, s24
	v_lshlrev_b32_e32 v2, 8, v2
	v_lshl_add_u32 v14, v14, 10, 0x2000
	v_lshlrev_b32_e32 v13, 23, v13
	s_delay_alu instid0(VALU_DEP_2) | instskip(NEXT) | instid1(VALU_DEP_1)
	v_and_or_b32 v2, 0x8000, v2, v14
	v_lshl_or_b32 v13, v2, 16, v13
.LBB296_3469:                           ;   in Loop: Header=BB296_2086 Depth=1
	s_wait_alu 0xfffe
	s_or_b32 exec_lo, exec_lo, s23
.LBB296_3470:                           ;   in Loop: Header=BB296_2086 Depth=1
	s_wait_alu 0xfffe
	s_or_b32 exec_lo, exec_lo, s22
.LBB296_3471:                           ;   in Loop: Header=BB296_2086 Depth=1
	s_wait_alu 0xfffe
	s_or_b32 exec_lo, exec_lo, s21
	v_or_b32_e32 v2, v49, v50
	s_wait_loadcnt_dscnt 0x0
	v_fma_mixlo_f16 v14, v19, v49, 0 op_sel:[0,1,0] op_sel_hi:[0,1,0]
	v_or_b32_e32 v39, v38, v39
	v_or_b32_e32 v49, v178, v167
	;; [unrolled: 1-line block ×3, first 2 shown]
	v_fma_mixlo_f16 v50, v19, v2, 0 op_sel_hi:[0,1,0]
	v_fma_mixlo_f16 v38, v19, v38, 0 op_sel:[0,1,0] op_sel_hi:[0,1,0]
	v_lshlrev_b32_e32 v2, 16, v14
	v_fma_mixlo_f16 v39, v19, v39, 0 op_sel_hi:[0,1,0]
	v_fma_mixlo_f16 v49, v19, v49, 0 op_sel_hi:[0,1,0]
	v_and_b32_e32 v14, 0xffff, v50
	v_fma_mixlo_f16 v50, v19, v178, 0 op_sel:[0,1,0] op_sel_hi:[0,1,0]
	v_fma_mixlo_f16 v13, v19, v13, 0 op_sel:[0,1,0] op_sel_hi:[0,1,0]
	v_fma_mixlo_f16 v19, v19, v64, 0 op_sel_hi:[0,1,0]
	v_lshlrev_b32_e32 v38, 16, v38
	v_and_b32_e32 v179, 0xffff, v39
	v_lshlrev_b32_e32 v85, 16, v50
	v_and_b32_e32 v178, 0xffff, v49
	;; [unrolled: 2-line block ×3, first 2 shown]
	v_or_b32_e32 v13, v2, v14
	v_or_b32_e32 v49, v38, v179
	;; [unrolled: 1-line block ×3, first 2 shown]
	s_delay_alu instid0(VALU_DEP_4)
	v_or_b32_e32 v19, v50, v167
	s_and_saveexec_b32 s8, s0
	s_cbranch_execz .LBB296_3473
; %bb.3472:                             ;   in Loop: Header=BB296_2086 Depth=1
	s_wait_alu 0xfffd
	v_cndmask_b32_e32 v13, 0, v179, vcc_lo
	v_cndmask_b32_e64 v19, 0, v38, s3
	v_cndmask_b32_e64 v14, 0, v14, s1
	v_cndmask_b32_e64 v2, 0, v2, s2
	v_cndmask_b32_e64 v38, 0, v178, s4
	v_cndmask_b32_e64 v39, 0, v85, s5
	v_cndmask_b32_e64 v64, 0, v167, s6
	v_cndmask_b32_e64 v50, 0, v50, s7
	v_or_b32_e32 v49, v13, v19
	v_or_b32_e32 v13, v14, v2
	;; [unrolled: 1-line block ×3, first 2 shown]
	s_delay_alu instid0(VALU_DEP_4)
	v_or_b32_e32 v19, v64, v50
.LBB296_3473:                           ;   in Loop: Header=BB296_2086 Depth=1
	s_wait_alu 0xfffe
	s_or_b32 exec_lo, exec_lo, s8
	;;#ASMSTART
	v_pk_mul_f16 v2, v115, v49;

	;;#ASMEND
	;;#ASMSTART
	v_pk_mul_f16 v13, v114, v13;

	;;#ASMEND
	;; [unrolled: 4-line block ×4, first 2 shown]
	;;#ASMSTART
	v_pk_add_f16 v2, v2, v13;

	;;#ASMEND
	;;#ASMSTART
	v_pk_add_f16 v2, v2, v14;

	;;#ASMEND
	;; [unrolled: 4-line block ×3, first 2 shown]
	v_dual_mov_b32 v50, 0 :: v_dual_and_b32 v13, 0xffff, v2
	v_lshrrev_b32_e32 v2, 16, v2
	;;#ASMSTART
	v_cvt_f32_f16 v38, v13;
	;;#ASMEND
	;;#ASMSTART
	v_cvt_f32_f16 v39, v2;
	;;#ASMEND
	flat_load_b64 v[13:14], v[11:12] offset:5376
	flat_load_b32 v19, v[26:27]
	s_mov_b32 s21, exec_lo
	s_wait_loadcnt_dscnt 0x101
	v_dual_mov_b32 v49, 0 :: v_dual_and_b32 v2, 0xff, v13
	s_delay_alu instid0(VALU_DEP_1)
	v_cmpx_ne_u16_e32 0, v2
	s_cbranch_execz .LBB296_3481
; %bb.3474:                             ;   in Loop: Header=BB296_2086 Depth=1
	v_mov_b32_e32 v50, 0x8000
	s_mov_b32 s22, exec_lo
	v_cmpx_ne_u16_e32 0x80, v2
	s_cbranch_execz .LBB296_3480
; %bb.3475:                             ;   in Loop: Header=BB296_2086 Depth=1
	v_and_b32_e32 v85, 0x7f, v13
	v_mov_b32_e32 v50, 0x7c01
	s_mov_b32 s23, exec_lo
	s_delay_alu instid0(VALU_DEP_2)
	v_cmpx_ne_u32_e32 0x7f, v85
	s_cbranch_execz .LBB296_3479
; %bb.3476:                             ;   in Loop: Header=BB296_2086 Depth=1
	v_and_b32_e32 v2, 7, v13
	v_lshrrev_b32_e32 v50, 3, v85
	s_mov_b32 s24, exec_lo
	v_cmpx_gt_u32_e32 8, v85
; %bb.3477:                             ;   in Loop: Header=BB296_2086 Depth=1
	s_delay_alu instid0(VALU_DEP_3) | instskip(NEXT) | instid1(VALU_DEP_1)
	v_clz_i32_u32_e32 v2, v2
	v_min_u32_e32 v2, 32, v2
	s_delay_alu instid0(VALU_DEP_1) | instskip(NEXT) | instid1(VALU_DEP_1)
	v_subrev_nc_u32_e32 v50, 28, v2
	v_lshlrev_b64_e32 v[178:179], v50, v[13:14]
	v_sub_nc_u32_e32 v50, 29, v2
	s_delay_alu instid0(VALU_DEP_2)
	v_and_b32_e32 v2, 7, v178
; %bb.3478:                             ;   in Loop: Header=BB296_2086 Depth=1
	s_wait_alu 0xfffe
	s_or_b32 exec_lo, exec_lo, s24
	v_lshlrev_b32_e32 v64, 8, v13
	v_lshl_add_u32 v50, v50, 10, 0x2000
	v_lshlrev_b32_e32 v2, 7, v2
	s_delay_alu instid0(VALU_DEP_3) | instskip(NEXT) | instid1(VALU_DEP_3)
	v_and_b32_e32 v64, 0x8000, v64
	v_and_b32_e32 v50, 0xfc00, v50
	s_delay_alu instid0(VALU_DEP_1)
	v_or3_b32 v50, v64, v50, v2
.LBB296_3479:                           ;   in Loop: Header=BB296_2086 Depth=1
	s_wait_alu 0xfffe
	s_or_b32 exec_lo, exec_lo, s23
.LBB296_3480:                           ;   in Loop: Header=BB296_2086 Depth=1
	s_wait_alu 0xfffe
	s_or_b32 exec_lo, exec_lo, s22
.LBB296_3481:                           ;   in Loop: Header=BB296_2086 Depth=1
	s_wait_alu 0xfffe
	s_or_b32 exec_lo, exec_lo, s21
	v_lshrrev_b16 v2, 8, v13
	s_mov_b32 s21, exec_lo
	s_delay_alu instid0(VALU_DEP_1)
	v_cmpx_ne_u16_e32 0, v2
	s_cbranch_execz .LBB296_3489
; %bb.3482:                             ;   in Loop: Header=BB296_2086 Depth=1
	v_bfrev_b32_e32 v49, 1
	s_mov_b32 s22, exec_lo
	v_cmpx_ne_u16_e32 0x80, v2
	s_cbranch_execz .LBB296_3488
; %bb.3483:                             ;   in Loop: Header=BB296_2086 Depth=1
	v_and_b32_e32 v85, 0xffff, v2
	v_mov_b32_e32 v49, 0x7c010000
	s_mov_b32 s23, exec_lo
	s_delay_alu instid0(VALU_DEP_2) | instskip(NEXT) | instid1(VALU_DEP_1)
	v_and_b32_e32 v178, 0x7f, v85
	v_cmpx_ne_u32_e32 0x7f, v178
	s_cbranch_execz .LBB296_3487
; %bb.3484:                             ;   in Loop: Header=BB296_2086 Depth=1
	v_and_b32_e32 v49, 7, v85
	v_lshrrev_b32_e32 v167, 3, v178
	s_mov_b32 s24, exec_lo
	v_cmpx_gt_u32_e32 8, v178
; %bb.3485:                             ;   in Loop: Header=BB296_2086 Depth=1
	s_delay_alu instid0(VALU_DEP_3) | instskip(NEXT) | instid1(VALU_DEP_1)
	v_clz_i32_u32_e32 v49, v49
	v_min_u32_e32 v49, 32, v49
	s_delay_alu instid0(VALU_DEP_1) | instskip(SKIP_1) | instid1(VALU_DEP_2)
	v_subrev_nc_u32_e32 v64, 28, v49
	v_sub_nc_u32_e32 v167, 29, v49
	v_lshlrev_b64_e32 v[178:179], v64, v[2:3]
	s_delay_alu instid0(VALU_DEP_1)
	v_and_b32_e32 v49, 7, v178
; %bb.3486:                             ;   in Loop: Header=BB296_2086 Depth=1
	s_wait_alu 0xfffe
	s_or_b32 exec_lo, exec_lo, s24
	v_lshlrev_b32_e32 v2, 8, v85
	v_lshl_add_u32 v64, v167, 10, 0x2000
	v_lshlrev_b32_e32 v49, 23, v49
	s_delay_alu instid0(VALU_DEP_2) | instskip(NEXT) | instid1(VALU_DEP_1)
	v_and_or_b32 v2, 0x8000, v2, v64
	v_lshl_or_b32 v49, v2, 16, v49
.LBB296_3487:                           ;   in Loop: Header=BB296_2086 Depth=1
	s_wait_alu 0xfffe
	s_or_b32 exec_lo, exec_lo, s23
.LBB296_3488:                           ;   in Loop: Header=BB296_2086 Depth=1
	s_wait_alu 0xfffe
	s_or_b32 exec_lo, exec_lo, s22
.LBB296_3489:                           ;   in Loop: Header=BB296_2086 Depth=1
	s_wait_alu 0xfffe
	s_or_b32 exec_lo, exec_lo, s21
	v_lshrrev_b32_e32 v2, 16, v13
	v_mov_b32_e32 v167, 0
	s_mov_b32 s21, exec_lo
	s_delay_alu instid0(VALU_DEP_2) | instskip(NEXT) | instid1(VALU_DEP_1)
	v_dual_mov_b32 v85, 0 :: v_dual_and_b32 v178, 0xff, v2
	v_cmpx_ne_u16_e64 0, v178
	s_cbranch_execz .LBB296_3497
; %bb.3490:                             ;   in Loop: Header=BB296_2086 Depth=1
	v_mov_b32_e32 v167, 0x8000
	s_mov_b32 s22, exec_lo
	v_cmpx_ne_u16_e64 0x80, v178
	s_cbranch_execz .LBB296_3496
; %bb.3491:                             ;   in Loop: Header=BB296_2086 Depth=1
	v_bfe_u32 v179, v13, 16, 7
	v_mov_b32_e32 v167, 0x7c01
	s_mov_b32 s23, exec_lo
	s_delay_alu instid0(VALU_DEP_2)
	v_cmpx_ne_u32_e32 0x7f, v179
	s_cbranch_execz .LBB296_3495
; %bb.3492:                             ;   in Loop: Header=BB296_2086 Depth=1
	v_and_b32_e32 v167, 7, v2
	v_lshrrev_b32_e32 v178, 3, v179
	s_mov_b32 s24, exec_lo
	v_cmpx_gt_u32_e32 8, v179
; %bb.3493:                             ;   in Loop: Header=BB296_2086 Depth=1
	s_delay_alu instid0(VALU_DEP_3) | instskip(NEXT) | instid1(VALU_DEP_1)
	v_clz_i32_u32_e32 v64, v167
	v_min_u32_e32 v64, 32, v64
	s_delay_alu instid0(VALU_DEP_1) | instskip(SKIP_1) | instid1(VALU_DEP_2)
	v_subrev_nc_u32_e32 v167, 28, v64
	v_sub_nc_u32_e32 v178, 29, v64
	v_lshlrev_b64_e32 v[179:180], v167, v[2:3]
	s_delay_alu instid0(VALU_DEP_1)
	v_and_b32_e32 v167, 7, v179
; %bb.3494:                             ;   in Loop: Header=BB296_2086 Depth=1
	s_wait_alu 0xfffe
	s_or_b32 exec_lo, exec_lo, s24
	v_lshlrev_b32_e32 v2, 8, v2
	v_lshl_add_u32 v64, v178, 10, 0x2000
	v_lshlrev_b32_e32 v167, 7, v167
	s_delay_alu instid0(VALU_DEP_3) | instskip(NEXT) | instid1(VALU_DEP_3)
	v_and_b32_e32 v2, 0x8000, v2
	v_and_b32_e32 v64, 0xfc00, v64
	s_delay_alu instid0(VALU_DEP_1)
	v_or3_b32 v167, v2, v64, v167
.LBB296_3495:                           ;   in Loop: Header=BB296_2086 Depth=1
	s_wait_alu 0xfffe
	s_or_b32 exec_lo, exec_lo, s23
.LBB296_3496:                           ;   in Loop: Header=BB296_2086 Depth=1
	s_wait_alu 0xfffe
	s_or_b32 exec_lo, exec_lo, s22
.LBB296_3497:                           ;   in Loop: Header=BB296_2086 Depth=1
	s_wait_alu 0xfffe
	s_or_b32 exec_lo, exec_lo, s21
	s_delay_alu instid0(SALU_CYCLE_1)
	s_mov_b32 s21, exec_lo
	v_cmpx_lt_u32_e32 0xffffff, v13
	s_cbranch_execz .LBB296_3505
; %bb.3498:                             ;   in Loop: Header=BB296_2086 Depth=1
	v_lshrrev_b32_e32 v2, 24, v13
	v_bfrev_b32_e32 v85, 1
	s_mov_b32 s22, exec_lo
	s_delay_alu instid0(VALU_DEP_2)
	v_cmpx_ne_u32_e32 0x80, v2
	s_cbranch_execz .LBB296_3504
; %bb.3499:                             ;   in Loop: Header=BB296_2086 Depth=1
	v_and_b32_e32 v179, 0x7f, v2
	v_mov_b32_e32 v85, 0x7c010000
	s_mov_b32 s23, exec_lo
	s_delay_alu instid0(VALU_DEP_2)
	v_cmpx_ne_u32_e32 0x7f, v179
	s_cbranch_execz .LBB296_3503
; %bb.3500:                             ;   in Loop: Header=BB296_2086 Depth=1
	v_and_b32_e32 v85, 7, v2
	v_lshrrev_b32_e32 v178, 3, v179
	s_mov_b32 s24, exec_lo
	v_cmpx_gt_u32_e32 8, v179
; %bb.3501:                             ;   in Loop: Header=BB296_2086 Depth=1
	s_delay_alu instid0(VALU_DEP_3) | instskip(NEXT) | instid1(VALU_DEP_1)
	v_clz_i32_u32_e32 v64, v85
	v_min_u32_e32 v64, 32, v64
	s_delay_alu instid0(VALU_DEP_1) | instskip(SKIP_1) | instid1(VALU_DEP_2)
	v_subrev_nc_u32_e32 v85, 28, v64
	v_sub_nc_u32_e32 v178, 29, v64
	v_lshlrev_b64_e32 v[179:180], v85, v[2:3]
	s_delay_alu instid0(VALU_DEP_1)
	v_and_b32_e32 v85, 7, v179
; %bb.3502:                             ;   in Loop: Header=BB296_2086 Depth=1
	s_wait_alu 0xfffe
	s_or_b32 exec_lo, exec_lo, s24
	v_lshlrev_b32_e32 v2, 8, v2
	v_lshl_add_u32 v64, v178, 10, 0x2000
	s_delay_alu instid0(VALU_DEP_1) | instskip(SKIP_1) | instid1(VALU_DEP_1)
	v_and_or_b32 v2, 0x8000, v2, v64
	v_lshlrev_b32_e32 v64, 23, v85
	v_lshl_or_b32 v85, v2, 16, v64
.LBB296_3503:                           ;   in Loop: Header=BB296_2086 Depth=1
	s_wait_alu 0xfffe
	s_or_b32 exec_lo, exec_lo, s23
.LBB296_3504:                           ;   in Loop: Header=BB296_2086 Depth=1
	s_wait_alu 0xfffe
	s_or_b32 exec_lo, exec_lo, s22
.LBB296_3505:                           ;   in Loop: Header=BB296_2086 Depth=1
	s_wait_alu 0xfffe
	s_or_b32 exec_lo, exec_lo, s21
	v_dual_mov_b32 v179, 0 :: v_dual_and_b32 v180, 0xff, v14
	v_mov_b32_e32 v2, v14
	v_mov_b32_e32 v178, 0
	s_mov_b32 s21, exec_lo
	s_delay_alu instid0(VALU_DEP_3)
	v_cmpx_ne_u16_e64 0, v180
	s_cbranch_execz .LBB296_3513
; %bb.3506:                             ;   in Loop: Header=BB296_2086 Depth=1
	v_mov_b32_e32 v179, 0x8000
	s_mov_b32 s22, exec_lo
	v_cmpx_ne_u16_e64 0x80, v180
	s_cbranch_execz .LBB296_3512
; %bb.3507:                             ;   in Loop: Header=BB296_2086 Depth=1
	v_and_b32_e32 v181, 0x7f, v14
	v_mov_b32_e32 v179, 0x7c01
	s_mov_b32 s23, exec_lo
	s_delay_alu instid0(VALU_DEP_2)
	v_cmpx_ne_u32_e32 0x7f, v181
	s_cbranch_execz .LBB296_3511
; %bb.3508:                             ;   in Loop: Header=BB296_2086 Depth=1
	v_and_b32_e32 v179, 7, v14
	v_lshrrev_b32_e32 v180, 3, v181
	s_mov_b32 s24, exec_lo
	v_cmpx_gt_u32_e32 8, v181
; %bb.3509:                             ;   in Loop: Header=BB296_2086 Depth=1
	s_delay_alu instid0(VALU_DEP_3) | instskip(NEXT) | instid1(VALU_DEP_1)
	v_clz_i32_u32_e32 v64, v179
	v_min_u32_e32 v64, 32, v64
	s_delay_alu instid0(VALU_DEP_1) | instskip(NEXT) | instid1(VALU_DEP_1)
	v_subrev_nc_u32_e32 v179, 28, v64
	v_lshlrev_b64_e32 v[179:180], v179, v[2:3]
	v_sub_nc_u32_e32 v180, 29, v64
	s_delay_alu instid0(VALU_DEP_2)
	v_and_b32_e32 v179, 7, v179
; %bb.3510:                             ;   in Loop: Header=BB296_2086 Depth=1
	s_wait_alu 0xfffe
	s_or_b32 exec_lo, exec_lo, s24
	v_lshlrev_b32_e32 v64, 8, v14
	v_lshl_add_u32 v180, v180, 10, 0x2000
	v_lshlrev_b32_e32 v179, 7, v179
	s_delay_alu instid0(VALU_DEP_3) | instskip(NEXT) | instid1(VALU_DEP_3)
	v_and_b32_e32 v64, 0x8000, v64
	v_and_b32_e32 v180, 0xfc00, v180
	s_delay_alu instid0(VALU_DEP_1)
	v_or3_b32 v179, v64, v180, v179
.LBB296_3511:                           ;   in Loop: Header=BB296_2086 Depth=1
	s_wait_alu 0xfffe
	s_or_b32 exec_lo, exec_lo, s23
.LBB296_3512:                           ;   in Loop: Header=BB296_2086 Depth=1
	s_wait_alu 0xfffe
	s_or_b32 exec_lo, exec_lo, s22
.LBB296_3513:                           ;   in Loop: Header=BB296_2086 Depth=1
	s_wait_alu 0xfffe
	s_or_b32 exec_lo, exec_lo, s21
	v_lshrrev_b16 v2, 8, v2
	v_mov_b32_e32 v180, 0
	s_mov_b32 s21, exec_lo
	s_delay_alu instid0(VALU_DEP_2)
	v_cmpx_ne_u16_e32 0, v2
	s_cbranch_execz .LBB296_3521
; %bb.3514:                             ;   in Loop: Header=BB296_2086 Depth=1
	v_bfrev_b32_e32 v180, 1
	s_mov_b32 s22, exec_lo
	v_cmpx_ne_u16_e32 0x80, v2
	s_cbranch_execz .LBB296_3520
; %bb.3515:                             ;   in Loop: Header=BB296_2086 Depth=1
	v_and_b32_e32 v181, 0xffff, v2
	v_mov_b32_e32 v180, 0x7c010000
	s_mov_b32 s23, exec_lo
	s_delay_alu instid0(VALU_DEP_2) | instskip(NEXT) | instid1(VALU_DEP_1)
	v_and_b32_e32 v183, 0x7f, v181
	v_cmpx_ne_u32_e32 0x7f, v183
	s_cbranch_execz .LBB296_3519
; %bb.3516:                             ;   in Loop: Header=BB296_2086 Depth=1
	v_and_b32_e32 v180, 7, v181
	v_lshrrev_b32_e32 v182, 3, v183
	s_mov_b32 s24, exec_lo
	v_cmpx_gt_u32_e32 8, v183
; %bb.3517:                             ;   in Loop: Header=BB296_2086 Depth=1
	s_delay_alu instid0(VALU_DEP_3) | instskip(NEXT) | instid1(VALU_DEP_1)
	v_clz_i32_u32_e32 v64, v180
	v_min_u32_e32 v64, 32, v64
	s_delay_alu instid0(VALU_DEP_1) | instskip(SKIP_1) | instid1(VALU_DEP_2)
	v_subrev_nc_u32_e32 v180, 28, v64
	v_sub_nc_u32_e32 v182, 29, v64
	v_lshlrev_b64_e32 v[40:41], v180, v[2:3]
	s_delay_alu instid0(VALU_DEP_1)
	v_and_b32_e32 v180, 7, v40
; %bb.3518:                             ;   in Loop: Header=BB296_2086 Depth=1
	s_wait_alu 0xfffe
	s_or_b32 exec_lo, exec_lo, s24
	v_lshlrev_b32_e32 v2, 8, v181
	v_lshl_add_u32 v64, v182, 10, 0x2000
	s_delay_alu instid0(VALU_DEP_1) | instskip(SKIP_1) | instid1(VALU_DEP_1)
	v_and_or_b32 v2, 0x8000, v2, v64
	v_lshlrev_b32_e32 v64, 23, v180
	v_lshl_or_b32 v180, v2, 16, v64
.LBB296_3519:                           ;   in Loop: Header=BB296_2086 Depth=1
	s_wait_alu 0xfffe
	s_or_b32 exec_lo, exec_lo, s23
.LBB296_3520:                           ;   in Loop: Header=BB296_2086 Depth=1
	s_wait_alu 0xfffe
	s_or_b32 exec_lo, exec_lo, s22
.LBB296_3521:                           ;   in Loop: Header=BB296_2086 Depth=1
	s_wait_alu 0xfffe
	s_or_b32 exec_lo, exec_lo, s21
	v_lshrrev_b32_e32 v2, 16, v14
	s_mov_b32 s21, exec_lo
	s_delay_alu instid0(VALU_DEP_1) | instskip(NEXT) | instid1(VALU_DEP_1)
	v_and_b32_e32 v181, 0xff, v2
	v_cmpx_ne_u16_e64 0, v181
	s_cbranch_execz .LBB296_3529
; %bb.3522:                             ;   in Loop: Header=BB296_2086 Depth=1
	v_mov_b32_e32 v178, 0x8000
	s_mov_b32 s22, exec_lo
	v_cmpx_ne_u16_e64 0x80, v181
	s_cbranch_execz .LBB296_3528
; %bb.3523:                             ;   in Loop: Header=BB296_2086 Depth=1
	v_bfe_u32 v182, v14, 16, 7
	v_mov_b32_e32 v178, 0x7c01
	s_mov_b32 s23, exec_lo
	s_delay_alu instid0(VALU_DEP_2)
	v_cmpx_ne_u32_e32 0x7f, v182
	s_cbranch_execz .LBB296_3527
; %bb.3524:                             ;   in Loop: Header=BB296_2086 Depth=1
	v_and_b32_e32 v178, 7, v2
	v_lshrrev_b32_e32 v181, 3, v182
	s_mov_b32 s24, exec_lo
	v_cmpx_gt_u32_e32 8, v182
; %bb.3525:                             ;   in Loop: Header=BB296_2086 Depth=1
	s_delay_alu instid0(VALU_DEP_3) | instskip(NEXT) | instid1(VALU_DEP_1)
	v_clz_i32_u32_e32 v64, v178
	v_min_u32_e32 v64, 32, v64
	s_delay_alu instid0(VALU_DEP_1) | instskip(SKIP_1) | instid1(VALU_DEP_2)
	v_subrev_nc_u32_e32 v178, 28, v64
	v_sub_nc_u32_e32 v181, 29, v64
	v_lshlrev_b64_e32 v[182:183], v178, v[2:3]
	s_delay_alu instid0(VALU_DEP_1)
	v_and_b32_e32 v178, 7, v182
; %bb.3526:                             ;   in Loop: Header=BB296_2086 Depth=1
	s_wait_alu 0xfffe
	s_or_b32 exec_lo, exec_lo, s24
	v_lshlrev_b32_e32 v2, 8, v2
	v_lshl_add_u32 v64, v181, 10, 0x2000
	v_lshlrev_b32_e32 v178, 7, v178
	s_delay_alu instid0(VALU_DEP_3) | instskip(NEXT) | instid1(VALU_DEP_3)
	v_and_b32_e32 v2, 0x8000, v2
	v_and_b32_e32 v64, 0xfc00, v64
	s_delay_alu instid0(VALU_DEP_1)
	v_or3_b32 v178, v2, v64, v178
.LBB296_3527:                           ;   in Loop: Header=BB296_2086 Depth=1
	s_wait_alu 0xfffe
	s_or_b32 exec_lo, exec_lo, s23
.LBB296_3528:                           ;   in Loop: Header=BB296_2086 Depth=1
	s_wait_alu 0xfffe
	s_or_b32 exec_lo, exec_lo, s22
.LBB296_3529:                           ;   in Loop: Header=BB296_2086 Depth=1
	s_wait_alu 0xfffe
	s_or_b32 exec_lo, exec_lo, s21
	v_cmp_lt_u64_e64 s8, s[16:17], v[13:14]
	v_mov_b32_e32 v13, 0
	s_and_saveexec_b32 s21, s8
	s_cbranch_execz .LBB296_3537
; %bb.3530:                             ;   in Loop: Header=BB296_2086 Depth=1
	v_lshrrev_b32_e32 v2, 24, v14
	v_bfrev_b32_e32 v13, 1
	s_mov_b32 s22, exec_lo
	s_delay_alu instid0(VALU_DEP_2)
	v_cmpx_ne_u32_e32 0x80, v2
	s_cbranch_execz .LBB296_3536
; %bb.3531:                             ;   in Loop: Header=BB296_2086 Depth=1
	v_and_b32_e32 v181, 0x7f, v2
	v_mov_b32_e32 v13, 0x7c010000
	s_mov_b32 s23, exec_lo
	s_delay_alu instid0(VALU_DEP_2)
	v_cmpx_ne_u32_e32 0x7f, v181
	s_cbranch_execz .LBB296_3535
; %bb.3532:                             ;   in Loop: Header=BB296_2086 Depth=1
	v_and_b32_e32 v13, 7, v2
	v_lshrrev_b32_e32 v14, 3, v181
	s_mov_b32 s24, exec_lo
	v_cmpx_gt_u32_e32 8, v181
; %bb.3533:                             ;   in Loop: Header=BB296_2086 Depth=1
	s_delay_alu instid0(VALU_DEP_3) | instskip(NEXT) | instid1(VALU_DEP_1)
	v_clz_i32_u32_e32 v13, v13
	v_min_u32_e32 v64, 32, v13
	s_delay_alu instid0(VALU_DEP_1) | instskip(NEXT) | instid1(VALU_DEP_1)
	v_subrev_nc_u32_e32 v13, 28, v64
	v_lshlrev_b64_e32 v[13:14], v13, v[2:3]
	v_sub_nc_u32_e32 v14, 29, v64
	s_delay_alu instid0(VALU_DEP_2)
	v_and_b32_e32 v13, 7, v13
; %bb.3534:                             ;   in Loop: Header=BB296_2086 Depth=1
	s_wait_alu 0xfffe
	s_or_b32 exec_lo, exec_lo, s24
	v_lshlrev_b32_e32 v2, 8, v2
	v_lshl_add_u32 v14, v14, 10, 0x2000
	v_lshlrev_b32_e32 v13, 23, v13
	s_delay_alu instid0(VALU_DEP_2) | instskip(NEXT) | instid1(VALU_DEP_1)
	v_and_or_b32 v2, 0x8000, v2, v14
	v_lshl_or_b32 v13, v2, 16, v13
.LBB296_3535:                           ;   in Loop: Header=BB296_2086 Depth=1
	s_wait_alu 0xfffe
	s_or_b32 exec_lo, exec_lo, s23
.LBB296_3536:                           ;   in Loop: Header=BB296_2086 Depth=1
	s_wait_alu 0xfffe
	s_or_b32 exec_lo, exec_lo, s22
.LBB296_3537:                           ;   in Loop: Header=BB296_2086 Depth=1
	s_wait_alu 0xfffe
	s_or_b32 exec_lo, exec_lo, s21
	v_or_b32_e32 v2, v85, v167
	s_wait_loadcnt_dscnt 0x0
	v_fma_mixlo_f16 v14, v19, v85, 0 op_sel:[0,1,0] op_sel_hi:[0,1,0]
	v_or_b32_e32 v50, v49, v50
	v_or_b32_e32 v64, v180, v179
	;; [unrolled: 1-line block ×3, first 2 shown]
	v_fma_mixlo_f16 v85, v19, v2, 0 op_sel_hi:[0,1,0]
	v_fma_mixlo_f16 v49, v19, v49, 0 op_sel:[0,1,0] op_sel_hi:[0,1,0]
	v_lshlrev_b32_e32 v2, 16, v14
	v_fma_mixlo_f16 v50, v19, v50, 0 op_sel_hi:[0,1,0]
	v_fma_mixlo_f16 v64, v19, v64, 0 op_sel_hi:[0,1,0]
	v_and_b32_e32 v14, 0xffff, v85
	v_fma_mixlo_f16 v85, v19, v180, 0 op_sel:[0,1,0] op_sel_hi:[0,1,0]
	v_fma_mixlo_f16 v13, v19, v13, 0 op_sel:[0,1,0] op_sel_hi:[0,1,0]
	v_fma_mixlo_f16 v19, v19, v167, 0 op_sel_hi:[0,1,0]
	v_lshlrev_b32_e32 v49, 16, v49
	v_and_b32_e32 v181, 0xffff, v50
	v_lshlrev_b32_e32 v178, 16, v85
	v_and_b32_e32 v180, 0xffff, v64
	v_lshlrev_b32_e32 v167, 16, v13
	v_and_b32_e32 v179, 0xffff, v19
	v_or_b32_e32 v13, v2, v14
	v_or_b32_e32 v85, v49, v181
	;; [unrolled: 1-line block ×3, first 2 shown]
	s_delay_alu instid0(VALU_DEP_4)
	v_or_b32_e32 v19, v167, v179
	s_and_saveexec_b32 s8, s0
	s_cbranch_execz .LBB296_3539
; %bb.3538:                             ;   in Loop: Header=BB296_2086 Depth=1
	s_wait_alu 0xfffd
	v_cndmask_b32_e32 v13, 0, v181, vcc_lo
	v_cndmask_b32_e64 v19, 0, v49, s3
	v_cndmask_b32_e64 v14, 0, v14, s1
	;; [unrolled: 1-line block ×7, first 2 shown]
	v_or_b32_e32 v85, v13, v19
	v_or_b32_e32 v13, v14, v2
	;; [unrolled: 1-line block ×3, first 2 shown]
	s_delay_alu instid0(VALU_DEP_4)
	v_or_b32_e32 v19, v64, v167
.LBB296_3539:                           ;   in Loop: Header=BB296_2086 Depth=1
	s_wait_alu 0xfffe
	s_or_b32 exec_lo, exec_lo, s8
	;;#ASMSTART
	v_pk_mul_f16 v2, v115, v85;

	;;#ASMEND
	;;#ASMSTART
	v_pk_mul_f16 v13, v114, v13;

	;;#ASMEND
	;; [unrolled: 4-line block ×4, first 2 shown]
	;;#ASMSTART
	v_pk_add_f16 v2, v2, v13;

	;;#ASMEND
	;;#ASMSTART
	v_pk_add_f16 v2, v2, v14;

	;;#ASMEND
	;; [unrolled: 4-line block ×3, first 2 shown]
	v_and_b32_e32 v13, 0xffff, v2
	v_lshrrev_b32_e32 v2, 16, v2
	;;#ASMSTART
	v_cvt_f32_f16 v49, v13;
	;;#ASMEND
	;;#ASMSTART
	v_cvt_f32_f16 v50, v2;
	;;#ASMEND
	flat_load_b64 v[13:14], v[11:12] offset:5632
	flat_load_b32 v19, v[26:27]
	v_mov_b32_e32 v167, 0
	s_mov_b32 s21, exec_lo
	s_wait_loadcnt_dscnt 0x101
	v_dual_mov_b32 v85, 0 :: v_dual_and_b32 v2, 0xff, v13
	s_delay_alu instid0(VALU_DEP_1)
	v_cmpx_ne_u16_e32 0, v2
	s_cbranch_execz .LBB296_3547
; %bb.3540:                             ;   in Loop: Header=BB296_2086 Depth=1
	v_mov_b32_e32 v167, 0x8000
	s_mov_b32 s22, exec_lo
	v_cmpx_ne_u16_e32 0x80, v2
	s_cbranch_execz .LBB296_3546
; %bb.3541:                             ;   in Loop: Header=BB296_2086 Depth=1
	v_and_b32_e32 v178, 0x7f, v13
	v_mov_b32_e32 v167, 0x7c01
	s_mov_b32 s23, exec_lo
	s_delay_alu instid0(VALU_DEP_2)
	v_cmpx_ne_u32_e32 0x7f, v178
	s_cbranch_execz .LBB296_3545
; %bb.3542:                             ;   in Loop: Header=BB296_2086 Depth=1
	v_and_b32_e32 v2, 7, v13
	v_lshrrev_b32_e32 v167, 3, v178
	s_mov_b32 s24, exec_lo
	v_cmpx_gt_u32_e32 8, v178
; %bb.3543:                             ;   in Loop: Header=BB296_2086 Depth=1
	s_delay_alu instid0(VALU_DEP_3) | instskip(NEXT) | instid1(VALU_DEP_1)
	v_clz_i32_u32_e32 v2, v2
	v_min_u32_e32 v2, 32, v2
	s_delay_alu instid0(VALU_DEP_1) | instskip(SKIP_1) | instid1(VALU_DEP_2)
	v_subrev_nc_u32_e32 v64, 28, v2
	v_sub_nc_u32_e32 v167, 29, v2
	v_lshlrev_b64_e32 v[178:179], v64, v[13:14]
	s_delay_alu instid0(VALU_DEP_1)
	v_and_b32_e32 v2, 7, v178
; %bb.3544:                             ;   in Loop: Header=BB296_2086 Depth=1
	s_wait_alu 0xfffe
	s_or_b32 exec_lo, exec_lo, s24
	v_lshlrev_b32_e32 v64, 8, v13
	v_lshl_add_u32 v167, v167, 10, 0x2000
	v_lshlrev_b32_e32 v2, 7, v2
	s_delay_alu instid0(VALU_DEP_3) | instskip(NEXT) | instid1(VALU_DEP_3)
	v_and_b32_e32 v64, 0x8000, v64
	v_and_b32_e32 v167, 0xfc00, v167
	s_delay_alu instid0(VALU_DEP_1)
	v_or3_b32 v167, v64, v167, v2
.LBB296_3545:                           ;   in Loop: Header=BB296_2086 Depth=1
	s_wait_alu 0xfffe
	s_or_b32 exec_lo, exec_lo, s23
.LBB296_3546:                           ;   in Loop: Header=BB296_2086 Depth=1
	s_wait_alu 0xfffe
	s_or_b32 exec_lo, exec_lo, s22
.LBB296_3547:                           ;   in Loop: Header=BB296_2086 Depth=1
	s_wait_alu 0xfffe
	s_or_b32 exec_lo, exec_lo, s21
	v_lshrrev_b16 v2, 8, v13
	s_mov_b32 s21, exec_lo
	s_delay_alu instid0(VALU_DEP_1)
	v_cmpx_ne_u16_e32 0, v2
	s_cbranch_execz .LBB296_3555
; %bb.3548:                             ;   in Loop: Header=BB296_2086 Depth=1
	v_bfrev_b32_e32 v85, 1
	s_mov_b32 s22, exec_lo
	v_cmpx_ne_u16_e32 0x80, v2
	s_cbranch_execz .LBB296_3554
; %bb.3549:                             ;   in Loop: Header=BB296_2086 Depth=1
	v_and_b32_e32 v178, 0xffff, v2
	v_mov_b32_e32 v85, 0x7c010000
	s_mov_b32 s23, exec_lo
	s_delay_alu instid0(VALU_DEP_2) | instskip(NEXT) | instid1(VALU_DEP_1)
	v_and_b32_e32 v180, 0x7f, v178
	v_cmpx_ne_u32_e32 0x7f, v180
	s_cbranch_execz .LBB296_3553
; %bb.3550:                             ;   in Loop: Header=BB296_2086 Depth=1
	v_and_b32_e32 v85, 7, v178
	v_lshrrev_b32_e32 v179, 3, v180
	s_mov_b32 s24, exec_lo
	v_cmpx_gt_u32_e32 8, v180
; %bb.3551:                             ;   in Loop: Header=BB296_2086 Depth=1
	s_delay_alu instid0(VALU_DEP_3) | instskip(NEXT) | instid1(VALU_DEP_1)
	v_clz_i32_u32_e32 v64, v85
	v_min_u32_e32 v64, 32, v64
	s_delay_alu instid0(VALU_DEP_1) | instskip(SKIP_1) | instid1(VALU_DEP_2)
	v_subrev_nc_u32_e32 v85, 28, v64
	v_sub_nc_u32_e32 v179, 29, v64
	v_lshlrev_b64_e32 v[180:181], v85, v[2:3]
	s_delay_alu instid0(VALU_DEP_1)
	v_and_b32_e32 v85, 7, v180
; %bb.3552:                             ;   in Loop: Header=BB296_2086 Depth=1
	s_wait_alu 0xfffe
	s_or_b32 exec_lo, exec_lo, s24
	v_lshlrev_b32_e32 v2, 8, v178
	v_lshl_add_u32 v64, v179, 10, 0x2000
	s_delay_alu instid0(VALU_DEP_1) | instskip(SKIP_1) | instid1(VALU_DEP_1)
	v_and_or_b32 v2, 0x8000, v2, v64
	v_lshlrev_b32_e32 v64, 23, v85
	v_lshl_or_b32 v85, v2, 16, v64
.LBB296_3553:                           ;   in Loop: Header=BB296_2086 Depth=1
	s_wait_alu 0xfffe
	s_or_b32 exec_lo, exec_lo, s23
.LBB296_3554:                           ;   in Loop: Header=BB296_2086 Depth=1
	s_wait_alu 0xfffe
	s_or_b32 exec_lo, exec_lo, s22
.LBB296_3555:                           ;   in Loop: Header=BB296_2086 Depth=1
	s_wait_alu 0xfffe
	s_or_b32 exec_lo, exec_lo, s21
	v_lshrrev_b32_e32 v2, 16, v13
	v_mov_b32_e32 v178, 0
	s_mov_b32 s21, exec_lo
	s_delay_alu instid0(VALU_DEP_2) | instskip(NEXT) | instid1(VALU_DEP_1)
	v_dual_mov_b32 v179, 0 :: v_dual_and_b32 v180, 0xff, v2
	v_cmpx_ne_u16_e64 0, v180
	s_cbranch_execz .LBB296_3563
; %bb.3556:                             ;   in Loop: Header=BB296_2086 Depth=1
	v_mov_b32_e32 v179, 0x8000
	s_mov_b32 s22, exec_lo
	v_cmpx_ne_u16_e64 0x80, v180
	s_cbranch_execz .LBB296_3562
; %bb.3557:                             ;   in Loop: Header=BB296_2086 Depth=1
	v_bfe_u32 v181, v13, 16, 7
	v_mov_b32_e32 v179, 0x7c01
	s_mov_b32 s23, exec_lo
	s_delay_alu instid0(VALU_DEP_2)
	v_cmpx_ne_u32_e32 0x7f, v181
	s_cbranch_execz .LBB296_3561
; %bb.3558:                             ;   in Loop: Header=BB296_2086 Depth=1
	v_and_b32_e32 v179, 7, v2
	v_lshrrev_b32_e32 v180, 3, v181
	s_mov_b32 s24, exec_lo
	v_cmpx_gt_u32_e32 8, v181
; %bb.3559:                             ;   in Loop: Header=BB296_2086 Depth=1
	s_delay_alu instid0(VALU_DEP_3) | instskip(NEXT) | instid1(VALU_DEP_1)
	v_clz_i32_u32_e32 v64, v179
	v_min_u32_e32 v64, 32, v64
	s_delay_alu instid0(VALU_DEP_1) | instskip(NEXT) | instid1(VALU_DEP_1)
	v_subrev_nc_u32_e32 v179, 28, v64
	v_lshlrev_b64_e32 v[179:180], v179, v[2:3]
	v_sub_nc_u32_e32 v180, 29, v64
	s_delay_alu instid0(VALU_DEP_2)
	v_and_b32_e32 v179, 7, v179
; %bb.3560:                             ;   in Loop: Header=BB296_2086 Depth=1
	s_wait_alu 0xfffe
	s_or_b32 exec_lo, exec_lo, s24
	v_lshlrev_b32_e32 v2, 8, v2
	v_lshl_add_u32 v64, v180, 10, 0x2000
	v_lshlrev_b32_e32 v179, 7, v179
	s_delay_alu instid0(VALU_DEP_3) | instskip(NEXT) | instid1(VALU_DEP_3)
	v_and_b32_e32 v2, 0x8000, v2
	v_and_b32_e32 v64, 0xfc00, v64
	s_delay_alu instid0(VALU_DEP_1)
	v_or3_b32 v179, v2, v64, v179
.LBB296_3561:                           ;   in Loop: Header=BB296_2086 Depth=1
	s_wait_alu 0xfffe
	s_or_b32 exec_lo, exec_lo, s23
.LBB296_3562:                           ;   in Loop: Header=BB296_2086 Depth=1
	s_wait_alu 0xfffe
	s_or_b32 exec_lo, exec_lo, s22
.LBB296_3563:                           ;   in Loop: Header=BB296_2086 Depth=1
	s_wait_alu 0xfffe
	s_or_b32 exec_lo, exec_lo, s21
	s_delay_alu instid0(SALU_CYCLE_1)
	s_mov_b32 s21, exec_lo
	v_cmpx_lt_u32_e32 0xffffff, v13
	s_cbranch_execz .LBB296_3571
; %bb.3564:                             ;   in Loop: Header=BB296_2086 Depth=1
	v_lshrrev_b32_e32 v2, 24, v13
	v_bfrev_b32_e32 v178, 1
	s_mov_b32 s22, exec_lo
	s_delay_alu instid0(VALU_DEP_2)
	v_cmpx_ne_u32_e32 0x80, v2
	s_cbranch_execz .LBB296_3570
; %bb.3565:                             ;   in Loop: Header=BB296_2086 Depth=1
	v_and_b32_e32 v181, 0x7f, v2
	v_mov_b32_e32 v178, 0x7c010000
	s_mov_b32 s23, exec_lo
	s_delay_alu instid0(VALU_DEP_2)
	v_cmpx_ne_u32_e32 0x7f, v181
	s_cbranch_execz .LBB296_3569
; %bb.3566:                             ;   in Loop: Header=BB296_2086 Depth=1
	v_and_b32_e32 v178, 7, v2
	v_lshrrev_b32_e32 v180, 3, v181
	s_mov_b32 s24, exec_lo
	v_cmpx_gt_u32_e32 8, v181
; %bb.3567:                             ;   in Loop: Header=BB296_2086 Depth=1
	s_delay_alu instid0(VALU_DEP_3) | instskip(NEXT) | instid1(VALU_DEP_1)
	v_clz_i32_u32_e32 v64, v178
	v_min_u32_e32 v64, 32, v64
	s_delay_alu instid0(VALU_DEP_1) | instskip(SKIP_1) | instid1(VALU_DEP_2)
	v_subrev_nc_u32_e32 v178, 28, v64
	v_sub_nc_u32_e32 v180, 29, v64
	v_lshlrev_b64_e32 v[181:182], v178, v[2:3]
	s_delay_alu instid0(VALU_DEP_1)
	v_and_b32_e32 v178, 7, v181
; %bb.3568:                             ;   in Loop: Header=BB296_2086 Depth=1
	s_wait_alu 0xfffe
	s_or_b32 exec_lo, exec_lo, s24
	v_lshlrev_b32_e32 v2, 8, v2
	v_lshl_add_u32 v64, v180, 10, 0x2000
	s_delay_alu instid0(VALU_DEP_1) | instskip(SKIP_1) | instid1(VALU_DEP_1)
	v_and_or_b32 v2, 0x8000, v2, v64
	v_lshlrev_b32_e32 v64, 23, v178
	v_lshl_or_b32 v178, v2, 16, v64
.LBB296_3569:                           ;   in Loop: Header=BB296_2086 Depth=1
	s_wait_alu 0xfffe
	s_or_b32 exec_lo, exec_lo, s23
.LBB296_3570:                           ;   in Loop: Header=BB296_2086 Depth=1
	s_wait_alu 0xfffe
	s_or_b32 exec_lo, exec_lo, s22
.LBB296_3571:                           ;   in Loop: Header=BB296_2086 Depth=1
	s_wait_alu 0xfffe
	s_or_b32 exec_lo, exec_lo, s21
	v_dual_mov_b32 v181, 0 :: v_dual_and_b32 v182, 0xff, v14
	v_mov_b32_e32 v2, v14
	v_mov_b32_e32 v180, 0
	s_mov_b32 s21, exec_lo
	s_delay_alu instid0(VALU_DEP_3)
	v_cmpx_ne_u16_e64 0, v182
	s_cbranch_execz .LBB296_3579
; %bb.3572:                             ;   in Loop: Header=BB296_2086 Depth=1
	v_mov_b32_e32 v181, 0x8000
	s_mov_b32 s22, exec_lo
	v_cmpx_ne_u16_e64 0x80, v182
	s_cbranch_execz .LBB296_3578
; %bb.3573:                             ;   in Loop: Header=BB296_2086 Depth=1
	v_and_b32_e32 v183, 0x7f, v14
	v_mov_b32_e32 v181, 0x7c01
	s_mov_b32 s23, exec_lo
	s_delay_alu instid0(VALU_DEP_2)
	v_cmpx_ne_u32_e32 0x7f, v183
	s_cbranch_execz .LBB296_3577
; %bb.3574:                             ;   in Loop: Header=BB296_2086 Depth=1
	v_and_b32_e32 v181, 7, v14
	v_lshrrev_b32_e32 v182, 3, v183
	s_mov_b32 s24, exec_lo
	v_cmpx_gt_u32_e32 8, v183
; %bb.3575:                             ;   in Loop: Header=BB296_2086 Depth=1
	s_delay_alu instid0(VALU_DEP_3) | instskip(NEXT) | instid1(VALU_DEP_1)
	v_clz_i32_u32_e32 v64, v181
	v_min_u32_e32 v64, 32, v64
	s_delay_alu instid0(VALU_DEP_1) | instskip(NEXT) | instid1(VALU_DEP_1)
	v_subrev_nc_u32_e32 v181, 28, v64
	v_lshlrev_b64_e32 v[181:182], v181, v[2:3]
	v_sub_nc_u32_e32 v182, 29, v64
	s_delay_alu instid0(VALU_DEP_2)
	v_and_b32_e32 v181, 7, v181
; %bb.3576:                             ;   in Loop: Header=BB296_2086 Depth=1
	s_wait_alu 0xfffe
	s_or_b32 exec_lo, exec_lo, s24
	v_lshlrev_b32_e32 v64, 8, v14
	v_lshl_add_u32 v182, v182, 10, 0x2000
	v_lshlrev_b32_e32 v181, 7, v181
	s_delay_alu instid0(VALU_DEP_3) | instskip(NEXT) | instid1(VALU_DEP_3)
	v_and_b32_e32 v64, 0x8000, v64
	v_and_b32_e32 v182, 0xfc00, v182
	s_delay_alu instid0(VALU_DEP_1)
	v_or3_b32 v181, v64, v182, v181
.LBB296_3577:                           ;   in Loop: Header=BB296_2086 Depth=1
	s_wait_alu 0xfffe
	s_or_b32 exec_lo, exec_lo, s23
.LBB296_3578:                           ;   in Loop: Header=BB296_2086 Depth=1
	s_wait_alu 0xfffe
	s_or_b32 exec_lo, exec_lo, s22
.LBB296_3579:                           ;   in Loop: Header=BB296_2086 Depth=1
	s_wait_alu 0xfffe
	s_or_b32 exec_lo, exec_lo, s21
	v_lshrrev_b16 v2, 8, v2
	v_mov_b32_e32 v182, 0
	s_mov_b32 s21, exec_lo
	s_delay_alu instid0(VALU_DEP_2)
	v_cmpx_ne_u16_e32 0, v2
	s_cbranch_execz .LBB296_3587
; %bb.3580:                             ;   in Loop: Header=BB296_2086 Depth=1
	v_bfrev_b32_e32 v182, 1
	s_mov_b32 s22, exec_lo
	v_cmpx_ne_u16_e32 0x80, v2
	s_cbranch_execz .LBB296_3586
; %bb.3581:                             ;   in Loop: Header=BB296_2086 Depth=1
	v_and_b32_e32 v183, 0xffff, v2
	v_mov_b32_e32 v182, 0x7c010000
	s_mov_b32 s23, exec_lo
	s_delay_alu instid0(VALU_DEP_2) | instskip(NEXT) | instid1(VALU_DEP_1)
	v_and_b32_e32 v41, 0x7f, v183
	v_cmpx_ne_u32_e32 0x7f, v41
	s_cbranch_execz .LBB296_3585
; %bb.3582:                             ;   in Loop: Header=BB296_2086 Depth=1
	v_and_b32_e32 v182, 7, v183
	v_lshrrev_b32_e32 v40, 3, v41
	s_mov_b32 s24, exec_lo
	v_cmpx_gt_u32_e32 8, v41
; %bb.3583:                             ;   in Loop: Header=BB296_2086 Depth=1
	s_delay_alu instid0(VALU_DEP_3) | instskip(NEXT) | instid1(VALU_DEP_1)
	v_clz_i32_u32_e32 v64, v182
	v_min_u32_e32 v64, 32, v64
	s_delay_alu instid0(VALU_DEP_1) | instskip(SKIP_1) | instid1(VALU_DEP_2)
	v_subrev_nc_u32_e32 v182, 28, v64
	v_sub_nc_u32_e32 v40, 29, v64
	v_lshlrev_b64_e32 v[41:42], v182, v[2:3]
	s_delay_alu instid0(VALU_DEP_1)
	v_and_b32_e32 v182, 7, v41
; %bb.3584:                             ;   in Loop: Header=BB296_2086 Depth=1
	s_wait_alu 0xfffe
	s_or_b32 exec_lo, exec_lo, s24
	v_lshlrev_b32_e32 v2, 8, v183
	v_lshl_add_u32 v64, v40, 10, 0x2000
	s_delay_alu instid0(VALU_DEP_1) | instskip(SKIP_1) | instid1(VALU_DEP_1)
	v_and_or_b32 v2, 0x8000, v2, v64
	v_lshlrev_b32_e32 v64, 23, v182
	v_lshl_or_b32 v182, v2, 16, v64
.LBB296_3585:                           ;   in Loop: Header=BB296_2086 Depth=1
	s_wait_alu 0xfffe
	s_or_b32 exec_lo, exec_lo, s23
.LBB296_3586:                           ;   in Loop: Header=BB296_2086 Depth=1
	s_wait_alu 0xfffe
	s_or_b32 exec_lo, exec_lo, s22
.LBB296_3587:                           ;   in Loop: Header=BB296_2086 Depth=1
	s_wait_alu 0xfffe
	s_or_b32 exec_lo, exec_lo, s21
	v_lshrrev_b32_e32 v2, 16, v14
	s_mov_b32 s21, exec_lo
	s_delay_alu instid0(VALU_DEP_1) | instskip(NEXT) | instid1(VALU_DEP_1)
	v_and_b32_e32 v183, 0xff, v2
	v_cmpx_ne_u16_e64 0, v183
	s_cbranch_execz .LBB296_3595
; %bb.3588:                             ;   in Loop: Header=BB296_2086 Depth=1
	v_mov_b32_e32 v180, 0x8000
	s_mov_b32 s22, exec_lo
	v_cmpx_ne_u16_e64 0x80, v183
	s_cbranch_execz .LBB296_3594
; %bb.3589:                             ;   in Loop: Header=BB296_2086 Depth=1
	v_bfe_u32 v40, v14, 16, 7
	v_mov_b32_e32 v180, 0x7c01
	s_mov_b32 s23, exec_lo
	s_delay_alu instid0(VALU_DEP_2)
	v_cmpx_ne_u32_e32 0x7f, v40
	s_cbranch_execz .LBB296_3593
; %bb.3590:                             ;   in Loop: Header=BB296_2086 Depth=1
	v_and_b32_e32 v180, 7, v2
	v_lshrrev_b32_e32 v183, 3, v40
	s_mov_b32 s24, exec_lo
	v_cmpx_gt_u32_e32 8, v40
; %bb.3591:                             ;   in Loop: Header=BB296_2086 Depth=1
	s_delay_alu instid0(VALU_DEP_3) | instskip(NEXT) | instid1(VALU_DEP_1)
	v_clz_i32_u32_e32 v64, v180
	v_min_u32_e32 v64, 32, v64
	s_delay_alu instid0(VALU_DEP_1) | instskip(SKIP_1) | instid1(VALU_DEP_2)
	v_subrev_nc_u32_e32 v180, 28, v64
	v_sub_nc_u32_e32 v183, 29, v64
	v_lshlrev_b64_e32 v[40:41], v180, v[2:3]
	s_delay_alu instid0(VALU_DEP_1)
	v_and_b32_e32 v180, 7, v40
; %bb.3592:                             ;   in Loop: Header=BB296_2086 Depth=1
	s_wait_alu 0xfffe
	s_or_b32 exec_lo, exec_lo, s24
	v_lshlrev_b32_e32 v2, 8, v2
	v_lshl_add_u32 v64, v183, 10, 0x2000
	v_lshlrev_b32_e32 v180, 7, v180
	s_delay_alu instid0(VALU_DEP_3) | instskip(NEXT) | instid1(VALU_DEP_3)
	v_and_b32_e32 v2, 0x8000, v2
	v_and_b32_e32 v64, 0xfc00, v64
	s_delay_alu instid0(VALU_DEP_1)
	v_or3_b32 v180, v2, v64, v180
.LBB296_3593:                           ;   in Loop: Header=BB296_2086 Depth=1
	s_wait_alu 0xfffe
	s_or_b32 exec_lo, exec_lo, s23
.LBB296_3594:                           ;   in Loop: Header=BB296_2086 Depth=1
	s_wait_alu 0xfffe
	s_or_b32 exec_lo, exec_lo, s22
.LBB296_3595:                           ;   in Loop: Header=BB296_2086 Depth=1
	s_wait_alu 0xfffe
	s_or_b32 exec_lo, exec_lo, s21
	v_cmp_lt_u64_e64 s8, s[16:17], v[13:14]
	v_mov_b32_e32 v13, 0
	s_and_saveexec_b32 s21, s8
	s_cbranch_execz .LBB296_3603
; %bb.3596:                             ;   in Loop: Header=BB296_2086 Depth=1
	v_lshrrev_b32_e32 v2, 24, v14
	v_bfrev_b32_e32 v13, 1
	s_mov_b32 s22, exec_lo
	s_delay_alu instid0(VALU_DEP_2)
	v_cmpx_ne_u32_e32 0x80, v2
	s_cbranch_execz .LBB296_3602
; %bb.3597:                             ;   in Loop: Header=BB296_2086 Depth=1
	v_and_b32_e32 v183, 0x7f, v2
	v_mov_b32_e32 v13, 0x7c010000
	s_mov_b32 s23, exec_lo
	s_delay_alu instid0(VALU_DEP_2)
	v_cmpx_ne_u32_e32 0x7f, v183
	s_cbranch_execz .LBB296_3601
; %bb.3598:                             ;   in Loop: Header=BB296_2086 Depth=1
	v_and_b32_e32 v13, 7, v2
	v_lshrrev_b32_e32 v14, 3, v183
	s_mov_b32 s24, exec_lo
	v_cmpx_gt_u32_e32 8, v183
; %bb.3599:                             ;   in Loop: Header=BB296_2086 Depth=1
	s_delay_alu instid0(VALU_DEP_3) | instskip(NEXT) | instid1(VALU_DEP_1)
	v_clz_i32_u32_e32 v13, v13
	v_min_u32_e32 v64, 32, v13
	s_delay_alu instid0(VALU_DEP_1) | instskip(NEXT) | instid1(VALU_DEP_1)
	v_subrev_nc_u32_e32 v13, 28, v64
	v_lshlrev_b64_e32 v[13:14], v13, v[2:3]
	v_sub_nc_u32_e32 v14, 29, v64
	s_delay_alu instid0(VALU_DEP_2)
	v_and_b32_e32 v13, 7, v13
; %bb.3600:                             ;   in Loop: Header=BB296_2086 Depth=1
	s_wait_alu 0xfffe
	s_or_b32 exec_lo, exec_lo, s24
	v_lshlrev_b32_e32 v2, 8, v2
	v_lshl_add_u32 v14, v14, 10, 0x2000
	v_lshlrev_b32_e32 v13, 23, v13
	s_delay_alu instid0(VALU_DEP_2) | instskip(NEXT) | instid1(VALU_DEP_1)
	v_and_or_b32 v2, 0x8000, v2, v14
	v_lshl_or_b32 v13, v2, 16, v13
.LBB296_3601:                           ;   in Loop: Header=BB296_2086 Depth=1
	s_wait_alu 0xfffe
	s_or_b32 exec_lo, exec_lo, s23
.LBB296_3602:                           ;   in Loop: Header=BB296_2086 Depth=1
	s_wait_alu 0xfffe
	s_or_b32 exec_lo, exec_lo, s22
.LBB296_3603:                           ;   in Loop: Header=BB296_2086 Depth=1
	s_wait_alu 0xfffe
	s_or_b32 exec_lo, exec_lo, s21
	v_or_b32_e32 v2, v178, v179
	s_wait_loadcnt_dscnt 0x0
	v_fma_mixlo_f16 v14, v19, v178, 0 op_sel:[0,1,0] op_sel_hi:[0,1,0]
	v_or_b32_e32 v64, v85, v167
	v_or_b32_e32 v167, v182, v181
	;; [unrolled: 1-line block ×3, first 2 shown]
	v_fma_mixlo_f16 v178, v19, v2, 0 op_sel_hi:[0,1,0]
	v_fma_mixlo_f16 v85, v19, v85, 0 op_sel:[0,1,0] op_sel_hi:[0,1,0]
	v_lshlrev_b32_e32 v2, 16, v14
	v_fma_mixlo_f16 v64, v19, v64, 0 op_sel_hi:[0,1,0]
	v_fma_mixlo_f16 v167, v19, v167, 0 op_sel_hi:[0,1,0]
	v_and_b32_e32 v14, 0xffff, v178
	v_fma_mixlo_f16 v178, v19, v182, 0 op_sel:[0,1,0] op_sel_hi:[0,1,0]
	v_fma_mixlo_f16 v13, v19, v13, 0 op_sel:[0,1,0] op_sel_hi:[0,1,0]
	v_fma_mixlo_f16 v19, v19, v179, 0 op_sel_hi:[0,1,0]
	v_lshlrev_b32_e32 v85, 16, v85
	v_and_b32_e32 v183, 0xffff, v64
	v_lshlrev_b32_e32 v180, 16, v178
	v_and_b32_e32 v182, 0xffff, v167
	v_lshlrev_b32_e32 v179, 16, v13
	v_and_b32_e32 v181, 0xffff, v19
	v_or_b32_e32 v13, v2, v14
	v_or_b32_e32 v178, v85, v183
	;; [unrolled: 1-line block ×3, first 2 shown]
	s_delay_alu instid0(VALU_DEP_4)
	v_or_b32_e32 v19, v179, v181
	s_and_saveexec_b32 s8, s0
	s_cbranch_execz .LBB296_3605
; %bb.3604:                             ;   in Loop: Header=BB296_2086 Depth=1
	s_wait_alu 0xfffd
	v_cndmask_b32_e32 v13, 0, v183, vcc_lo
	v_cndmask_b32_e64 v19, 0, v85, s3
	v_cndmask_b32_e64 v14, 0, v14, s1
	v_cndmask_b32_e64 v2, 0, v2, s2
	v_cndmask_b32_e64 v64, 0, v182, s4
	v_cndmask_b32_e64 v85, 0, v180, s5
	v_cndmask_b32_e64 v180, 0, v181, s6
	v_cndmask_b32_e64 v179, 0, v179, s7
	v_or_b32_e32 v178, v13, v19
	v_or_b32_e32 v13, v14, v2
	;; [unrolled: 1-line block ×3, first 2 shown]
	s_delay_alu instid0(VALU_DEP_4)
	v_or_b32_e32 v19, v180, v179
.LBB296_3605:                           ;   in Loop: Header=BB296_2086 Depth=1
	s_wait_alu 0xfffe
	s_or_b32 exec_lo, exec_lo, s8
	;;#ASMSTART
	v_pk_mul_f16 v2, v115, v178;

	;;#ASMEND
	;;#ASMSTART
	v_pk_mul_f16 v13, v114, v13;

	;;#ASMEND
	;;#ASMSTART
	v_pk_mul_f16 v14, v113, v167;

	;;#ASMEND
	;;#ASMSTART
	v_pk_mul_f16 v19, v112, v19;

	;;#ASMEND
	;;#ASMSTART
	v_pk_add_f16 v2, v2, v13;

	;;#ASMEND
	;;#ASMSTART
	v_pk_add_f16 v2, v2, v14;

	;;#ASMEND
	;; [unrolled: 4-line block ×3, first 2 shown]
	v_and_b32_e32 v13, 0xffff, v2
	v_lshrrev_b32_e32 v2, 16, v2
	;;#ASMSTART
	v_cvt_f32_f16 v178, v13;
	;;#ASMEND
	;;#ASMSTART
	v_cvt_f32_f16 v179, v2;
	;;#ASMEND
	flat_load_b64 v[13:14], v[11:12] offset:5888
	flat_load_b32 v19, v[26:27]
	v_mov_b32_e32 v167, 0
	s_mov_b32 s21, exec_lo
	s_wait_loadcnt_dscnt 0x101
	v_dual_mov_b32 v85, 0 :: v_dual_and_b32 v2, 0xff, v13
	s_delay_alu instid0(VALU_DEP_1)
	v_cmpx_ne_u16_e32 0, v2
	s_cbranch_execz .LBB296_3613
; %bb.3606:                             ;   in Loop: Header=BB296_2086 Depth=1
	v_mov_b32_e32 v167, 0x8000
	s_mov_b32 s22, exec_lo
	v_cmpx_ne_u16_e32 0x80, v2
	s_cbranch_execz .LBB296_3612
; %bb.3607:                             ;   in Loop: Header=BB296_2086 Depth=1
	v_and_b32_e32 v180, 0x7f, v13
	v_mov_b32_e32 v167, 0x7c01
	s_mov_b32 s23, exec_lo
	s_delay_alu instid0(VALU_DEP_2)
	v_cmpx_ne_u32_e32 0x7f, v180
	s_cbranch_execz .LBB296_3611
; %bb.3608:                             ;   in Loop: Header=BB296_2086 Depth=1
	v_and_b32_e32 v2, 7, v13
	v_lshrrev_b32_e32 v167, 3, v180
	s_mov_b32 s24, exec_lo
	v_cmpx_gt_u32_e32 8, v180
; %bb.3609:                             ;   in Loop: Header=BB296_2086 Depth=1
	s_delay_alu instid0(VALU_DEP_3) | instskip(NEXT) | instid1(VALU_DEP_1)
	v_clz_i32_u32_e32 v2, v2
	v_min_u32_e32 v2, 32, v2
	s_delay_alu instid0(VALU_DEP_1) | instskip(SKIP_1) | instid1(VALU_DEP_2)
	v_subrev_nc_u32_e32 v64, 28, v2
	v_sub_nc_u32_e32 v167, 29, v2
	v_lshlrev_b64_e32 v[180:181], v64, v[13:14]
	s_delay_alu instid0(VALU_DEP_1)
	v_and_b32_e32 v2, 7, v180
; %bb.3610:                             ;   in Loop: Header=BB296_2086 Depth=1
	s_wait_alu 0xfffe
	s_or_b32 exec_lo, exec_lo, s24
	v_lshlrev_b32_e32 v64, 8, v13
	v_lshl_add_u32 v167, v167, 10, 0x2000
	v_lshlrev_b32_e32 v2, 7, v2
	s_delay_alu instid0(VALU_DEP_3) | instskip(NEXT) | instid1(VALU_DEP_3)
	v_and_b32_e32 v64, 0x8000, v64
	v_and_b32_e32 v167, 0xfc00, v167
	s_delay_alu instid0(VALU_DEP_1)
	v_or3_b32 v167, v64, v167, v2
.LBB296_3611:                           ;   in Loop: Header=BB296_2086 Depth=1
	s_wait_alu 0xfffe
	s_or_b32 exec_lo, exec_lo, s23
.LBB296_3612:                           ;   in Loop: Header=BB296_2086 Depth=1
	s_wait_alu 0xfffe
	s_or_b32 exec_lo, exec_lo, s22
.LBB296_3613:                           ;   in Loop: Header=BB296_2086 Depth=1
	s_wait_alu 0xfffe
	s_or_b32 exec_lo, exec_lo, s21
	v_lshrrev_b16 v2, 8, v13
	s_mov_b32 s21, exec_lo
	s_delay_alu instid0(VALU_DEP_1)
	v_cmpx_ne_u16_e32 0, v2
	s_cbranch_execz .LBB296_3621
; %bb.3614:                             ;   in Loop: Header=BB296_2086 Depth=1
	v_bfrev_b32_e32 v85, 1
	s_mov_b32 s22, exec_lo
	v_cmpx_ne_u16_e32 0x80, v2
	s_cbranch_execz .LBB296_3620
; %bb.3615:                             ;   in Loop: Header=BB296_2086 Depth=1
	v_and_b32_e32 v180, 0xffff, v2
	v_mov_b32_e32 v85, 0x7c010000
	s_mov_b32 s23, exec_lo
	s_delay_alu instid0(VALU_DEP_2) | instskip(NEXT) | instid1(VALU_DEP_1)
	v_and_b32_e32 v182, 0x7f, v180
	v_cmpx_ne_u32_e32 0x7f, v182
	s_cbranch_execz .LBB296_3619
; %bb.3616:                             ;   in Loop: Header=BB296_2086 Depth=1
	v_and_b32_e32 v85, 7, v180
	v_lshrrev_b32_e32 v181, 3, v182
	s_mov_b32 s24, exec_lo
	v_cmpx_gt_u32_e32 8, v182
; %bb.3617:                             ;   in Loop: Header=BB296_2086 Depth=1
	s_delay_alu instid0(VALU_DEP_3) | instskip(NEXT) | instid1(VALU_DEP_1)
	v_clz_i32_u32_e32 v64, v85
	v_min_u32_e32 v64, 32, v64
	s_delay_alu instid0(VALU_DEP_1) | instskip(SKIP_1) | instid1(VALU_DEP_2)
	v_subrev_nc_u32_e32 v85, 28, v64
	v_sub_nc_u32_e32 v181, 29, v64
	v_lshlrev_b64_e32 v[182:183], v85, v[2:3]
	s_delay_alu instid0(VALU_DEP_1)
	v_and_b32_e32 v85, 7, v182
; %bb.3618:                             ;   in Loop: Header=BB296_2086 Depth=1
	s_wait_alu 0xfffe
	s_or_b32 exec_lo, exec_lo, s24
	v_lshlrev_b32_e32 v2, 8, v180
	v_lshl_add_u32 v64, v181, 10, 0x2000
	s_delay_alu instid0(VALU_DEP_1) | instskip(SKIP_1) | instid1(VALU_DEP_1)
	v_and_or_b32 v2, 0x8000, v2, v64
	v_lshlrev_b32_e32 v64, 23, v85
	v_lshl_or_b32 v85, v2, 16, v64
.LBB296_3619:                           ;   in Loop: Header=BB296_2086 Depth=1
	s_wait_alu 0xfffe
	s_or_b32 exec_lo, exec_lo, s23
.LBB296_3620:                           ;   in Loop: Header=BB296_2086 Depth=1
	s_wait_alu 0xfffe
	s_or_b32 exec_lo, exec_lo, s22
.LBB296_3621:                           ;   in Loop: Header=BB296_2086 Depth=1
	s_wait_alu 0xfffe
	s_or_b32 exec_lo, exec_lo, s21
	v_lshrrev_b32_e32 v2, 16, v13
	v_mov_b32_e32 v180, 0
	s_mov_b32 s21, exec_lo
	s_delay_alu instid0(VALU_DEP_2) | instskip(NEXT) | instid1(VALU_DEP_1)
	v_dual_mov_b32 v181, 0 :: v_dual_and_b32 v182, 0xff, v2
	v_cmpx_ne_u16_e64 0, v182
	s_cbranch_execz .LBB296_3629
; %bb.3622:                             ;   in Loop: Header=BB296_2086 Depth=1
	v_mov_b32_e32 v181, 0x8000
	s_mov_b32 s22, exec_lo
	v_cmpx_ne_u16_e64 0x80, v182
	s_cbranch_execz .LBB296_3628
; %bb.3623:                             ;   in Loop: Header=BB296_2086 Depth=1
	v_bfe_u32 v183, v13, 16, 7
	v_mov_b32_e32 v181, 0x7c01
	s_mov_b32 s23, exec_lo
	s_delay_alu instid0(VALU_DEP_2)
	v_cmpx_ne_u32_e32 0x7f, v183
	s_cbranch_execz .LBB296_3627
; %bb.3624:                             ;   in Loop: Header=BB296_2086 Depth=1
	v_and_b32_e32 v181, 7, v2
	v_lshrrev_b32_e32 v182, 3, v183
	s_mov_b32 s24, exec_lo
	v_cmpx_gt_u32_e32 8, v183
; %bb.3625:                             ;   in Loop: Header=BB296_2086 Depth=1
	s_delay_alu instid0(VALU_DEP_3) | instskip(NEXT) | instid1(VALU_DEP_1)
	v_clz_i32_u32_e32 v64, v181
	v_min_u32_e32 v64, 32, v64
	s_delay_alu instid0(VALU_DEP_1) | instskip(NEXT) | instid1(VALU_DEP_1)
	v_subrev_nc_u32_e32 v181, 28, v64
	v_lshlrev_b64_e32 v[181:182], v181, v[2:3]
	v_sub_nc_u32_e32 v182, 29, v64
	s_delay_alu instid0(VALU_DEP_2)
	v_and_b32_e32 v181, 7, v181
; %bb.3626:                             ;   in Loop: Header=BB296_2086 Depth=1
	s_wait_alu 0xfffe
	s_or_b32 exec_lo, exec_lo, s24
	v_lshlrev_b32_e32 v2, 8, v2
	v_lshl_add_u32 v64, v182, 10, 0x2000
	v_lshlrev_b32_e32 v181, 7, v181
	s_delay_alu instid0(VALU_DEP_3) | instskip(NEXT) | instid1(VALU_DEP_3)
	v_and_b32_e32 v2, 0x8000, v2
	v_and_b32_e32 v64, 0xfc00, v64
	s_delay_alu instid0(VALU_DEP_1)
	v_or3_b32 v181, v2, v64, v181
.LBB296_3627:                           ;   in Loop: Header=BB296_2086 Depth=1
	s_wait_alu 0xfffe
	s_or_b32 exec_lo, exec_lo, s23
.LBB296_3628:                           ;   in Loop: Header=BB296_2086 Depth=1
	s_wait_alu 0xfffe
	s_or_b32 exec_lo, exec_lo, s22
.LBB296_3629:                           ;   in Loop: Header=BB296_2086 Depth=1
	s_wait_alu 0xfffe
	s_or_b32 exec_lo, exec_lo, s21
	s_delay_alu instid0(SALU_CYCLE_1)
	s_mov_b32 s21, exec_lo
	v_cmpx_lt_u32_e32 0xffffff, v13
	s_cbranch_execz .LBB296_3637
; %bb.3630:                             ;   in Loop: Header=BB296_2086 Depth=1
	v_lshrrev_b32_e32 v2, 24, v13
	v_bfrev_b32_e32 v180, 1
	s_mov_b32 s22, exec_lo
	s_delay_alu instid0(VALU_DEP_2)
	v_cmpx_ne_u32_e32 0x80, v2
	s_cbranch_execz .LBB296_3636
; %bb.3631:                             ;   in Loop: Header=BB296_2086 Depth=1
	v_and_b32_e32 v183, 0x7f, v2
	v_mov_b32_e32 v180, 0x7c010000
	s_mov_b32 s23, exec_lo
	s_delay_alu instid0(VALU_DEP_2)
	v_cmpx_ne_u32_e32 0x7f, v183
	s_cbranch_execz .LBB296_3635
; %bb.3632:                             ;   in Loop: Header=BB296_2086 Depth=1
	v_and_b32_e32 v180, 7, v2
	v_lshrrev_b32_e32 v182, 3, v183
	s_mov_b32 s24, exec_lo
	v_cmpx_gt_u32_e32 8, v183
; %bb.3633:                             ;   in Loop: Header=BB296_2086 Depth=1
	s_delay_alu instid0(VALU_DEP_3) | instskip(NEXT) | instid1(VALU_DEP_1)
	v_clz_i32_u32_e32 v64, v180
	v_min_u32_e32 v64, 32, v64
	s_delay_alu instid0(VALU_DEP_1) | instskip(SKIP_1) | instid1(VALU_DEP_2)
	v_subrev_nc_u32_e32 v180, 28, v64
	v_sub_nc_u32_e32 v182, 29, v64
	v_lshlrev_b64_e32 v[40:41], v180, v[2:3]
	s_delay_alu instid0(VALU_DEP_1)
	v_and_b32_e32 v180, 7, v40
; %bb.3634:                             ;   in Loop: Header=BB296_2086 Depth=1
	s_wait_alu 0xfffe
	s_or_b32 exec_lo, exec_lo, s24
	v_lshlrev_b32_e32 v2, 8, v2
	v_lshl_add_u32 v64, v182, 10, 0x2000
	s_delay_alu instid0(VALU_DEP_1) | instskip(SKIP_1) | instid1(VALU_DEP_1)
	v_and_or_b32 v2, 0x8000, v2, v64
	v_lshlrev_b32_e32 v64, 23, v180
	v_lshl_or_b32 v180, v2, 16, v64
.LBB296_3635:                           ;   in Loop: Header=BB296_2086 Depth=1
	s_wait_alu 0xfffe
	s_or_b32 exec_lo, exec_lo, s23
.LBB296_3636:                           ;   in Loop: Header=BB296_2086 Depth=1
	s_wait_alu 0xfffe
	s_or_b32 exec_lo, exec_lo, s22
.LBB296_3637:                           ;   in Loop: Header=BB296_2086 Depth=1
	s_wait_alu 0xfffe
	s_or_b32 exec_lo, exec_lo, s21
	v_dual_mov_b32 v183, 0 :: v_dual_and_b32 v40, 0xff, v14
	v_mov_b32_e32 v2, v14
	v_mov_b32_e32 v182, 0
	s_mov_b32 s21, exec_lo
	s_delay_alu instid0(VALU_DEP_3)
	v_cmpx_ne_u16_e32 0, v40
	s_cbranch_execz .LBB296_3645
; %bb.3638:                             ;   in Loop: Header=BB296_2086 Depth=1
	v_mov_b32_e32 v183, 0x8000
	s_mov_b32 s22, exec_lo
	v_cmpx_ne_u16_e32 0x80, v40
	s_cbranch_execz .LBB296_3644
; %bb.3639:                             ;   in Loop: Header=BB296_2086 Depth=1
	v_and_b32_e32 v41, 0x7f, v14
	v_mov_b32_e32 v183, 0x7c01
	s_mov_b32 s23, exec_lo
	s_delay_alu instid0(VALU_DEP_2)
	v_cmpx_ne_u32_e32 0x7f, v41
	s_cbranch_execz .LBB296_3643
; %bb.3640:                             ;   in Loop: Header=BB296_2086 Depth=1
	v_and_b32_e32 v183, 7, v14
	v_lshrrev_b32_e32 v40, 3, v41
	s_mov_b32 s24, exec_lo
	v_cmpx_gt_u32_e32 8, v41
; %bb.3641:                             ;   in Loop: Header=BB296_2086 Depth=1
	s_delay_alu instid0(VALU_DEP_3) | instskip(NEXT) | instid1(VALU_DEP_1)
	v_clz_i32_u32_e32 v64, v183
	v_min_u32_e32 v64, 32, v64
	s_delay_alu instid0(VALU_DEP_1) | instskip(SKIP_1) | instid1(VALU_DEP_2)
	v_subrev_nc_u32_e32 v183, 28, v64
	v_sub_nc_u32_e32 v40, 29, v64
	v_lshlrev_b64_e32 v[41:42], v183, v[2:3]
	s_delay_alu instid0(VALU_DEP_1)
	v_and_b32_e32 v183, 7, v41
; %bb.3642:                             ;   in Loop: Header=BB296_2086 Depth=1
	s_wait_alu 0xfffe
	s_or_b32 exec_lo, exec_lo, s24
	v_lshlrev_b32_e32 v64, 8, v14
	v_lshl_add_u32 v40, v40, 10, 0x2000
	v_lshlrev_b32_e32 v183, 7, v183
	s_delay_alu instid0(VALU_DEP_3) | instskip(NEXT) | instid1(VALU_DEP_3)
	v_and_b32_e32 v64, 0x8000, v64
	v_and_b32_e32 v40, 0xfc00, v40
	s_delay_alu instid0(VALU_DEP_1)
	v_or3_b32 v183, v64, v40, v183
.LBB296_3643:                           ;   in Loop: Header=BB296_2086 Depth=1
	s_wait_alu 0xfffe
	s_or_b32 exec_lo, exec_lo, s23
.LBB296_3644:                           ;   in Loop: Header=BB296_2086 Depth=1
	s_wait_alu 0xfffe
	s_or_b32 exec_lo, exec_lo, s22
.LBB296_3645:                           ;   in Loop: Header=BB296_2086 Depth=1
	s_wait_alu 0xfffe
	s_or_b32 exec_lo, exec_lo, s21
	v_lshrrev_b16 v2, 8, v2
	v_mov_b32_e32 v40, 0
	s_mov_b32 s21, exec_lo
	s_delay_alu instid0(VALU_DEP_2)
	v_cmpx_ne_u16_e32 0, v2
	s_cbranch_execz .LBB296_3653
; %bb.3646:                             ;   in Loop: Header=BB296_2086 Depth=1
	v_bfrev_b32_e32 v40, 1
	s_mov_b32 s22, exec_lo
	v_cmpx_ne_u16_e32 0x80, v2
	s_cbranch_execz .LBB296_3652
; %bb.3647:                             ;   in Loop: Header=BB296_2086 Depth=1
	v_and_b32_e32 v41, 0xffff, v2
	v_mov_b32_e32 v40, 0x7c010000
	s_mov_b32 s23, exec_lo
	s_delay_alu instid0(VALU_DEP_2) | instskip(NEXT) | instid1(VALU_DEP_1)
	v_and_b32_e32 v43, 0x7f, v41
	v_cmpx_ne_u32_e32 0x7f, v43
	s_cbranch_execz .LBB296_3651
; %bb.3648:                             ;   in Loop: Header=BB296_2086 Depth=1
	v_and_b32_e32 v40, 7, v41
	v_lshrrev_b32_e32 v42, 3, v43
	s_mov_b32 s24, exec_lo
	v_cmpx_gt_u32_e32 8, v43
; %bb.3649:                             ;   in Loop: Header=BB296_2086 Depth=1
	s_delay_alu instid0(VALU_DEP_3) | instskip(NEXT) | instid1(VALU_DEP_1)
	v_clz_i32_u32_e32 v64, v40
	v_min_u32_e32 v64, 32, v64
	s_delay_alu instid0(VALU_DEP_1) | instskip(SKIP_1) | instid1(VALU_DEP_2)
	v_subrev_nc_u32_e32 v40, 28, v64
	v_sub_nc_u32_e32 v42, 29, v64
	v_lshlrev_b64_e32 v[43:44], v40, v[2:3]
	s_delay_alu instid0(VALU_DEP_1)
	v_and_b32_e32 v40, 7, v43
; %bb.3650:                             ;   in Loop: Header=BB296_2086 Depth=1
	s_wait_alu 0xfffe
	s_or_b32 exec_lo, exec_lo, s24
	v_lshlrev_b32_e32 v2, 8, v41
	v_lshl_add_u32 v64, v42, 10, 0x2000
	s_delay_alu instid0(VALU_DEP_1) | instskip(SKIP_1) | instid1(VALU_DEP_1)
	v_and_or_b32 v2, 0x8000, v2, v64
	v_lshlrev_b32_e32 v64, 23, v40
	v_lshl_or_b32 v40, v2, 16, v64
.LBB296_3651:                           ;   in Loop: Header=BB296_2086 Depth=1
	s_wait_alu 0xfffe
	s_or_b32 exec_lo, exec_lo, s23
.LBB296_3652:                           ;   in Loop: Header=BB296_2086 Depth=1
	s_wait_alu 0xfffe
	s_or_b32 exec_lo, exec_lo, s22
.LBB296_3653:                           ;   in Loop: Header=BB296_2086 Depth=1
	s_wait_alu 0xfffe
	s_or_b32 exec_lo, exec_lo, s21
	v_lshrrev_b32_e32 v2, 16, v14
	s_mov_b32 s21, exec_lo
	s_delay_alu instid0(VALU_DEP_1) | instskip(NEXT) | instid1(VALU_DEP_1)
	v_and_b32_e32 v41, 0xff, v2
	v_cmpx_ne_u16_e32 0, v41
	s_cbranch_execz .LBB296_3661
; %bb.3654:                             ;   in Loop: Header=BB296_2086 Depth=1
	v_mov_b32_e32 v182, 0x8000
	s_mov_b32 s22, exec_lo
	v_cmpx_ne_u16_e32 0x80, v41
	s_cbranch_execz .LBB296_3660
; %bb.3655:                             ;   in Loop: Header=BB296_2086 Depth=1
	v_bfe_u32 v42, v14, 16, 7
	v_mov_b32_e32 v182, 0x7c01
	s_mov_b32 s23, exec_lo
	s_delay_alu instid0(VALU_DEP_2)
	v_cmpx_ne_u32_e32 0x7f, v42
	s_cbranch_execz .LBB296_3659
; %bb.3656:                             ;   in Loop: Header=BB296_2086 Depth=1
	v_and_b32_e32 v182, 7, v2
	v_lshrrev_b32_e32 v41, 3, v42
	s_mov_b32 s24, exec_lo
	v_cmpx_gt_u32_e32 8, v42
; %bb.3657:                             ;   in Loop: Header=BB296_2086 Depth=1
	s_delay_alu instid0(VALU_DEP_3) | instskip(NEXT) | instid1(VALU_DEP_1)
	v_clz_i32_u32_e32 v64, v182
	v_min_u32_e32 v64, 32, v64
	s_delay_alu instid0(VALU_DEP_1) | instskip(SKIP_1) | instid1(VALU_DEP_2)
	v_subrev_nc_u32_e32 v182, 28, v64
	v_sub_nc_u32_e32 v41, 29, v64
	v_lshlrev_b64_e32 v[42:43], v182, v[2:3]
	s_delay_alu instid0(VALU_DEP_1)
	v_and_b32_e32 v182, 7, v42
; %bb.3658:                             ;   in Loop: Header=BB296_2086 Depth=1
	s_wait_alu 0xfffe
	s_or_b32 exec_lo, exec_lo, s24
	v_lshlrev_b32_e32 v2, 8, v2
	v_lshl_add_u32 v64, v41, 10, 0x2000
	v_lshlrev_b32_e32 v182, 7, v182
	s_delay_alu instid0(VALU_DEP_3) | instskip(NEXT) | instid1(VALU_DEP_3)
	v_and_b32_e32 v2, 0x8000, v2
	v_and_b32_e32 v64, 0xfc00, v64
	s_delay_alu instid0(VALU_DEP_1)
	v_or3_b32 v182, v2, v64, v182
.LBB296_3659:                           ;   in Loop: Header=BB296_2086 Depth=1
	s_wait_alu 0xfffe
	s_or_b32 exec_lo, exec_lo, s23
.LBB296_3660:                           ;   in Loop: Header=BB296_2086 Depth=1
	s_wait_alu 0xfffe
	s_or_b32 exec_lo, exec_lo, s22
.LBB296_3661:                           ;   in Loop: Header=BB296_2086 Depth=1
	s_wait_alu 0xfffe
	s_or_b32 exec_lo, exec_lo, s21
	v_cmp_lt_u64_e64 s8, s[16:17], v[13:14]
	v_mov_b32_e32 v13, 0
	s_and_saveexec_b32 s21, s8
	s_cbranch_execz .LBB296_3669
; %bb.3662:                             ;   in Loop: Header=BB296_2086 Depth=1
	v_lshrrev_b32_e32 v2, 24, v14
	v_bfrev_b32_e32 v13, 1
	s_mov_b32 s22, exec_lo
	s_delay_alu instid0(VALU_DEP_2)
	v_cmpx_ne_u32_e32 0x80, v2
	s_cbranch_execz .LBB296_3668
; %bb.3663:                             ;   in Loop: Header=BB296_2086 Depth=1
	v_and_b32_e32 v41, 0x7f, v2
	v_mov_b32_e32 v13, 0x7c010000
	s_mov_b32 s23, exec_lo
	s_delay_alu instid0(VALU_DEP_2)
	v_cmpx_ne_u32_e32 0x7f, v41
	s_cbranch_execz .LBB296_3667
; %bb.3664:                             ;   in Loop: Header=BB296_2086 Depth=1
	v_and_b32_e32 v13, 7, v2
	v_lshrrev_b32_e32 v14, 3, v41
	s_mov_b32 s24, exec_lo
	v_cmpx_gt_u32_e32 8, v41
; %bb.3665:                             ;   in Loop: Header=BB296_2086 Depth=1
	s_delay_alu instid0(VALU_DEP_3) | instskip(NEXT) | instid1(VALU_DEP_1)
	v_clz_i32_u32_e32 v13, v13
	v_min_u32_e32 v64, 32, v13
	s_delay_alu instid0(VALU_DEP_1) | instskip(NEXT) | instid1(VALU_DEP_1)
	v_subrev_nc_u32_e32 v13, 28, v64
	v_lshlrev_b64_e32 v[13:14], v13, v[2:3]
	v_sub_nc_u32_e32 v14, 29, v64
	s_delay_alu instid0(VALU_DEP_2)
	v_and_b32_e32 v13, 7, v13
; %bb.3666:                             ;   in Loop: Header=BB296_2086 Depth=1
	s_wait_alu 0xfffe
	s_or_b32 exec_lo, exec_lo, s24
	v_lshlrev_b32_e32 v2, 8, v2
	v_lshl_add_u32 v14, v14, 10, 0x2000
	v_lshlrev_b32_e32 v13, 23, v13
	s_delay_alu instid0(VALU_DEP_2) | instskip(NEXT) | instid1(VALU_DEP_1)
	v_and_or_b32 v2, 0x8000, v2, v14
	v_lshl_or_b32 v13, v2, 16, v13
.LBB296_3667:                           ;   in Loop: Header=BB296_2086 Depth=1
	s_wait_alu 0xfffe
	s_or_b32 exec_lo, exec_lo, s23
.LBB296_3668:                           ;   in Loop: Header=BB296_2086 Depth=1
	s_wait_alu 0xfffe
	s_or_b32 exec_lo, exec_lo, s22
.LBB296_3669:                           ;   in Loop: Header=BB296_2086 Depth=1
	s_wait_alu 0xfffe
	s_or_b32 exec_lo, exec_lo, s21
	v_or_b32_e32 v2, v180, v181
	s_wait_loadcnt_dscnt 0x0
	v_fma_mixlo_f16 v14, v19, v180, 0 op_sel:[0,1,0] op_sel_hi:[0,1,0]
	v_or_b32_e32 v64, v85, v167
	v_or_b32_e32 v167, v40, v183
	;; [unrolled: 1-line block ×3, first 2 shown]
	v_fma_mixlo_f16 v180, v19, v2, 0 op_sel_hi:[0,1,0]
	v_fma_mixlo_f16 v85, v19, v85, 0 op_sel:[0,1,0] op_sel_hi:[0,1,0]
	v_lshlrev_b32_e32 v2, 16, v14
	v_fma_mixlo_f16 v64, v19, v64, 0 op_sel_hi:[0,1,0]
	v_fma_mixlo_f16 v167, v19, v167, 0 op_sel_hi:[0,1,0]
	v_and_b32_e32 v14, 0xffff, v180
	v_fma_mixlo_f16 v180, v19, v40, 0 op_sel:[0,1,0] op_sel_hi:[0,1,0]
	v_fma_mixlo_f16 v13, v19, v13, 0 op_sel:[0,1,0] op_sel_hi:[0,1,0]
	v_fma_mixlo_f16 v19, v19, v181, 0 op_sel_hi:[0,1,0]
	v_lshlrev_b32_e32 v85, 16, v85
	v_and_b32_e32 v41, 0xffff, v64
	v_lshlrev_b32_e32 v182, 16, v180
	v_and_b32_e32 v40, 0xffff, v167
	;; [unrolled: 2-line block ×3, first 2 shown]
	v_or_b32_e32 v13, v2, v14
	v_or_b32_e32 v180, v85, v41
	;; [unrolled: 1-line block ×3, first 2 shown]
	s_delay_alu instid0(VALU_DEP_4)
	v_or_b32_e32 v19, v181, v183
	s_and_saveexec_b32 s8, s0
	s_cbranch_execz .LBB296_3671
; %bb.3670:                             ;   in Loop: Header=BB296_2086 Depth=1
	s_wait_alu 0xfffd
	v_cndmask_b32_e32 v13, 0, v41, vcc_lo
	v_cndmask_b32_e64 v19, 0, v85, s3
	v_cndmask_b32_e64 v14, 0, v14, s1
	;; [unrolled: 1-line block ×7, first 2 shown]
	v_or_b32_e32 v180, v13, v19
	v_or_b32_e32 v13, v14, v2
	;; [unrolled: 1-line block ×3, first 2 shown]
	s_delay_alu instid0(VALU_DEP_4)
	v_or_b32_e32 v19, v182, v181
.LBB296_3671:                           ;   in Loop: Header=BB296_2086 Depth=1
	s_wait_alu 0xfffe
	s_or_b32 exec_lo, exec_lo, s8
	;;#ASMSTART
	v_pk_mul_f16 v2, v115, v180;

	;;#ASMEND
	;;#ASMSTART
	v_pk_mul_f16 v13, v114, v13;

	;;#ASMEND
	;;#ASMSTART
	v_pk_mul_f16 v14, v113, v167;

	;;#ASMEND
	;;#ASMSTART
	v_pk_mul_f16 v19, v112, v19;

	;;#ASMEND
	;;#ASMSTART
	v_pk_add_f16 v2, v2, v13;

	;;#ASMEND
	;;#ASMSTART
	v_pk_add_f16 v2, v2, v14;

	;;#ASMEND
	;; [unrolled: 4-line block ×3, first 2 shown]
	v_and_b32_e32 v13, 0xffff, v2
	v_lshrrev_b32_e32 v2, 16, v2
	;;#ASMSTART
	v_cvt_f32_f16 v180, v13;
	;;#ASMEND
	;;#ASMSTART
	v_cvt_f32_f16 v181, v2;
	;;#ASMEND
	flat_load_b64 v[13:14], v[11:12] offset:6144
	flat_load_b32 v19, v[26:27]
	v_mov_b32_e32 v167, 0
	s_mov_b32 s21, exec_lo
	s_wait_loadcnt_dscnt 0x101
	v_dual_mov_b32 v85, 0 :: v_dual_and_b32 v2, 0xff, v13
	s_delay_alu instid0(VALU_DEP_1)
	v_cmpx_ne_u16_e32 0, v2
	s_cbranch_execz .LBB296_3679
; %bb.3672:                             ;   in Loop: Header=BB296_2086 Depth=1
	v_mov_b32_e32 v167, 0x8000
	s_mov_b32 s22, exec_lo
	v_cmpx_ne_u16_e32 0x80, v2
	s_cbranch_execz .LBB296_3678
; %bb.3673:                             ;   in Loop: Header=BB296_2086 Depth=1
	v_and_b32_e32 v182, 0x7f, v13
	v_mov_b32_e32 v167, 0x7c01
	s_mov_b32 s23, exec_lo
	s_delay_alu instid0(VALU_DEP_2)
	v_cmpx_ne_u32_e32 0x7f, v182
	s_cbranch_execz .LBB296_3677
; %bb.3674:                             ;   in Loop: Header=BB296_2086 Depth=1
	v_and_b32_e32 v2, 7, v13
	v_lshrrev_b32_e32 v167, 3, v182
	s_mov_b32 s24, exec_lo
	v_cmpx_gt_u32_e32 8, v182
; %bb.3675:                             ;   in Loop: Header=BB296_2086 Depth=1
	s_delay_alu instid0(VALU_DEP_3) | instskip(NEXT) | instid1(VALU_DEP_1)
	v_clz_i32_u32_e32 v2, v2
	v_min_u32_e32 v2, 32, v2
	s_delay_alu instid0(VALU_DEP_1) | instskip(SKIP_1) | instid1(VALU_DEP_2)
	v_subrev_nc_u32_e32 v64, 28, v2
	v_sub_nc_u32_e32 v167, 29, v2
	v_lshlrev_b64_e32 v[182:183], v64, v[13:14]
	s_delay_alu instid0(VALU_DEP_1)
	v_and_b32_e32 v2, 7, v182
; %bb.3676:                             ;   in Loop: Header=BB296_2086 Depth=1
	s_wait_alu 0xfffe
	s_or_b32 exec_lo, exec_lo, s24
	v_lshlrev_b32_e32 v64, 8, v13
	v_lshl_add_u32 v167, v167, 10, 0x2000
	v_lshlrev_b32_e32 v2, 7, v2
	s_delay_alu instid0(VALU_DEP_3) | instskip(NEXT) | instid1(VALU_DEP_3)
	v_and_b32_e32 v64, 0x8000, v64
	v_and_b32_e32 v167, 0xfc00, v167
	s_delay_alu instid0(VALU_DEP_1)
	v_or3_b32 v167, v64, v167, v2
.LBB296_3677:                           ;   in Loop: Header=BB296_2086 Depth=1
	s_wait_alu 0xfffe
	s_or_b32 exec_lo, exec_lo, s23
.LBB296_3678:                           ;   in Loop: Header=BB296_2086 Depth=1
	s_wait_alu 0xfffe
	s_or_b32 exec_lo, exec_lo, s22
.LBB296_3679:                           ;   in Loop: Header=BB296_2086 Depth=1
	s_wait_alu 0xfffe
	s_or_b32 exec_lo, exec_lo, s21
	v_lshrrev_b16 v2, 8, v13
	s_mov_b32 s21, exec_lo
	s_delay_alu instid0(VALU_DEP_1)
	v_cmpx_ne_u16_e32 0, v2
	s_cbranch_execz .LBB296_3687
; %bb.3680:                             ;   in Loop: Header=BB296_2086 Depth=1
	v_bfrev_b32_e32 v85, 1
	s_mov_b32 s22, exec_lo
	v_cmpx_ne_u16_e32 0x80, v2
	s_cbranch_execz .LBB296_3686
; %bb.3681:                             ;   in Loop: Header=BB296_2086 Depth=1
	v_and_b32_e32 v182, 0xffff, v2
	v_mov_b32_e32 v85, 0x7c010000
	s_mov_b32 s23, exec_lo
	s_delay_alu instid0(VALU_DEP_2) | instskip(NEXT) | instid1(VALU_DEP_1)
	v_and_b32_e32 v40, 0x7f, v182
	v_cmpx_ne_u32_e32 0x7f, v40
	s_cbranch_execz .LBB296_3685
; %bb.3682:                             ;   in Loop: Header=BB296_2086 Depth=1
	v_and_b32_e32 v85, 7, v182
	v_lshrrev_b32_e32 v183, 3, v40
	s_mov_b32 s24, exec_lo
	v_cmpx_gt_u32_e32 8, v40
; %bb.3683:                             ;   in Loop: Header=BB296_2086 Depth=1
	s_delay_alu instid0(VALU_DEP_3) | instskip(NEXT) | instid1(VALU_DEP_1)
	v_clz_i32_u32_e32 v64, v85
	v_min_u32_e32 v64, 32, v64
	s_delay_alu instid0(VALU_DEP_1) | instskip(SKIP_1) | instid1(VALU_DEP_2)
	v_subrev_nc_u32_e32 v85, 28, v64
	v_sub_nc_u32_e32 v183, 29, v64
	v_lshlrev_b64_e32 v[40:41], v85, v[2:3]
	s_delay_alu instid0(VALU_DEP_1)
	v_and_b32_e32 v85, 7, v40
; %bb.3684:                             ;   in Loop: Header=BB296_2086 Depth=1
	s_wait_alu 0xfffe
	s_or_b32 exec_lo, exec_lo, s24
	v_lshlrev_b32_e32 v2, 8, v182
	v_lshl_add_u32 v64, v183, 10, 0x2000
	s_delay_alu instid0(VALU_DEP_1) | instskip(SKIP_1) | instid1(VALU_DEP_1)
	v_and_or_b32 v2, 0x8000, v2, v64
	v_lshlrev_b32_e32 v64, 23, v85
	v_lshl_or_b32 v85, v2, 16, v64
.LBB296_3685:                           ;   in Loop: Header=BB296_2086 Depth=1
	s_wait_alu 0xfffe
	s_or_b32 exec_lo, exec_lo, s23
.LBB296_3686:                           ;   in Loop: Header=BB296_2086 Depth=1
	s_wait_alu 0xfffe
	s_or_b32 exec_lo, exec_lo, s22
.LBB296_3687:                           ;   in Loop: Header=BB296_2086 Depth=1
	s_wait_alu 0xfffe
	s_or_b32 exec_lo, exec_lo, s21
	v_lshrrev_b32_e32 v2, 16, v13
	v_mov_b32_e32 v182, 0
	s_mov_b32 s21, exec_lo
	s_delay_alu instid0(VALU_DEP_2) | instskip(NEXT) | instid1(VALU_DEP_1)
	v_dual_mov_b32 v183, 0 :: v_dual_and_b32 v40, 0xff, v2
	v_cmpx_ne_u16_e32 0, v40
	s_cbranch_execz .LBB296_3695
; %bb.3688:                             ;   in Loop: Header=BB296_2086 Depth=1
	v_mov_b32_e32 v183, 0x8000
	s_mov_b32 s22, exec_lo
	v_cmpx_ne_u16_e32 0x80, v40
	s_cbranch_execz .LBB296_3694
; %bb.3689:                             ;   in Loop: Header=BB296_2086 Depth=1
	v_bfe_u32 v41, v13, 16, 7
	v_mov_b32_e32 v183, 0x7c01
	s_mov_b32 s23, exec_lo
	s_delay_alu instid0(VALU_DEP_2)
	v_cmpx_ne_u32_e32 0x7f, v41
	s_cbranch_execz .LBB296_3693
; %bb.3690:                             ;   in Loop: Header=BB296_2086 Depth=1
	v_and_b32_e32 v183, 7, v2
	v_lshrrev_b32_e32 v40, 3, v41
	s_mov_b32 s24, exec_lo
	v_cmpx_gt_u32_e32 8, v41
; %bb.3691:                             ;   in Loop: Header=BB296_2086 Depth=1
	s_delay_alu instid0(VALU_DEP_3) | instskip(NEXT) | instid1(VALU_DEP_1)
	v_clz_i32_u32_e32 v64, v183
	v_min_u32_e32 v64, 32, v64
	s_delay_alu instid0(VALU_DEP_1) | instskip(SKIP_1) | instid1(VALU_DEP_2)
	v_subrev_nc_u32_e32 v183, 28, v64
	v_sub_nc_u32_e32 v40, 29, v64
	v_lshlrev_b64_e32 v[41:42], v183, v[2:3]
	s_delay_alu instid0(VALU_DEP_1)
	v_and_b32_e32 v183, 7, v41
; %bb.3692:                             ;   in Loop: Header=BB296_2086 Depth=1
	s_wait_alu 0xfffe
	s_or_b32 exec_lo, exec_lo, s24
	v_lshlrev_b32_e32 v2, 8, v2
	v_lshl_add_u32 v64, v40, 10, 0x2000
	v_lshlrev_b32_e32 v183, 7, v183
	s_delay_alu instid0(VALU_DEP_3) | instskip(NEXT) | instid1(VALU_DEP_3)
	v_and_b32_e32 v2, 0x8000, v2
	v_and_b32_e32 v64, 0xfc00, v64
	s_delay_alu instid0(VALU_DEP_1)
	v_or3_b32 v183, v2, v64, v183
.LBB296_3693:                           ;   in Loop: Header=BB296_2086 Depth=1
	s_wait_alu 0xfffe
	s_or_b32 exec_lo, exec_lo, s23
.LBB296_3694:                           ;   in Loop: Header=BB296_2086 Depth=1
	s_wait_alu 0xfffe
	s_or_b32 exec_lo, exec_lo, s22
.LBB296_3695:                           ;   in Loop: Header=BB296_2086 Depth=1
	s_wait_alu 0xfffe
	s_or_b32 exec_lo, exec_lo, s21
	s_delay_alu instid0(SALU_CYCLE_1)
	s_mov_b32 s21, exec_lo
	v_cmpx_lt_u32_e32 0xffffff, v13
	s_cbranch_execz .LBB296_3703
; %bb.3696:                             ;   in Loop: Header=BB296_2086 Depth=1
	v_lshrrev_b32_e32 v2, 24, v13
	v_bfrev_b32_e32 v182, 1
	s_mov_b32 s22, exec_lo
	s_delay_alu instid0(VALU_DEP_2)
	v_cmpx_ne_u32_e32 0x80, v2
	s_cbranch_execz .LBB296_3702
; %bb.3697:                             ;   in Loop: Header=BB296_2086 Depth=1
	v_and_b32_e32 v41, 0x7f, v2
	v_mov_b32_e32 v182, 0x7c010000
	s_mov_b32 s23, exec_lo
	s_delay_alu instid0(VALU_DEP_2)
	v_cmpx_ne_u32_e32 0x7f, v41
	s_cbranch_execz .LBB296_3701
; %bb.3698:                             ;   in Loop: Header=BB296_2086 Depth=1
	v_and_b32_e32 v182, 7, v2
	v_lshrrev_b32_e32 v40, 3, v41
	s_mov_b32 s24, exec_lo
	v_cmpx_gt_u32_e32 8, v41
; %bb.3699:                             ;   in Loop: Header=BB296_2086 Depth=1
	s_delay_alu instid0(VALU_DEP_3) | instskip(NEXT) | instid1(VALU_DEP_1)
	v_clz_i32_u32_e32 v64, v182
	v_min_u32_e32 v64, 32, v64
	s_delay_alu instid0(VALU_DEP_1) | instskip(SKIP_1) | instid1(VALU_DEP_2)
	v_subrev_nc_u32_e32 v182, 28, v64
	v_sub_nc_u32_e32 v40, 29, v64
	v_lshlrev_b64_e32 v[41:42], v182, v[2:3]
	s_delay_alu instid0(VALU_DEP_1)
	v_and_b32_e32 v182, 7, v41
; %bb.3700:                             ;   in Loop: Header=BB296_2086 Depth=1
	s_wait_alu 0xfffe
	s_or_b32 exec_lo, exec_lo, s24
	v_lshlrev_b32_e32 v2, 8, v2
	v_lshl_add_u32 v64, v40, 10, 0x2000
	s_delay_alu instid0(VALU_DEP_1) | instskip(SKIP_1) | instid1(VALU_DEP_1)
	v_and_or_b32 v2, 0x8000, v2, v64
	v_lshlrev_b32_e32 v64, 23, v182
	v_lshl_or_b32 v182, v2, 16, v64
.LBB296_3701:                           ;   in Loop: Header=BB296_2086 Depth=1
	s_wait_alu 0xfffe
	s_or_b32 exec_lo, exec_lo, s23
.LBB296_3702:                           ;   in Loop: Header=BB296_2086 Depth=1
	s_wait_alu 0xfffe
	s_or_b32 exec_lo, exec_lo, s22
.LBB296_3703:                           ;   in Loop: Header=BB296_2086 Depth=1
	s_wait_alu 0xfffe
	s_or_b32 exec_lo, exec_lo, s21
	v_dual_mov_b32 v41, 0 :: v_dual_and_b32 v42, 0xff, v14
	v_mov_b32_e32 v2, v14
	v_mov_b32_e32 v40, 0
	s_mov_b32 s21, exec_lo
	s_delay_alu instid0(VALU_DEP_3)
	v_cmpx_ne_u16_e32 0, v42
	s_cbranch_execz .LBB296_3711
; %bb.3704:                             ;   in Loop: Header=BB296_2086 Depth=1
	v_mov_b32_e32 v41, 0x8000
	s_mov_b32 s22, exec_lo
	v_cmpx_ne_u16_e32 0x80, v42
	s_cbranch_execz .LBB296_3710
; %bb.3705:                             ;   in Loop: Header=BB296_2086 Depth=1
	v_and_b32_e32 v43, 0x7f, v14
	v_mov_b32_e32 v41, 0x7c01
	s_mov_b32 s23, exec_lo
	s_delay_alu instid0(VALU_DEP_2)
	v_cmpx_ne_u32_e32 0x7f, v43
	s_cbranch_execz .LBB296_3709
; %bb.3706:                             ;   in Loop: Header=BB296_2086 Depth=1
	v_and_b32_e32 v41, 7, v14
	v_lshrrev_b32_e32 v42, 3, v43
	s_mov_b32 s24, exec_lo
	v_cmpx_gt_u32_e32 8, v43
; %bb.3707:                             ;   in Loop: Header=BB296_2086 Depth=1
	s_delay_alu instid0(VALU_DEP_3) | instskip(NEXT) | instid1(VALU_DEP_1)
	v_clz_i32_u32_e32 v64, v41
	v_min_u32_e32 v64, 32, v64
	s_delay_alu instid0(VALU_DEP_1) | instskip(NEXT) | instid1(VALU_DEP_1)
	v_subrev_nc_u32_e32 v41, 28, v64
	v_lshlrev_b64_e32 v[41:42], v41, v[2:3]
	v_sub_nc_u32_e32 v42, 29, v64
	s_delay_alu instid0(VALU_DEP_2)
	v_and_b32_e32 v41, 7, v41
; %bb.3708:                             ;   in Loop: Header=BB296_2086 Depth=1
	s_wait_alu 0xfffe
	s_or_b32 exec_lo, exec_lo, s24
	v_lshlrev_b32_e32 v64, 8, v14
	v_lshl_add_u32 v42, v42, 10, 0x2000
	v_lshlrev_b32_e32 v41, 7, v41
	s_delay_alu instid0(VALU_DEP_3) | instskip(NEXT) | instid1(VALU_DEP_3)
	v_and_b32_e32 v64, 0x8000, v64
	v_and_b32_e32 v42, 0xfc00, v42
	s_delay_alu instid0(VALU_DEP_1)
	v_or3_b32 v41, v64, v42, v41
.LBB296_3709:                           ;   in Loop: Header=BB296_2086 Depth=1
	s_wait_alu 0xfffe
	s_or_b32 exec_lo, exec_lo, s23
.LBB296_3710:                           ;   in Loop: Header=BB296_2086 Depth=1
	s_wait_alu 0xfffe
	s_or_b32 exec_lo, exec_lo, s22
.LBB296_3711:                           ;   in Loop: Header=BB296_2086 Depth=1
	s_wait_alu 0xfffe
	s_or_b32 exec_lo, exec_lo, s21
	v_lshrrev_b16 v2, 8, v2
	v_mov_b32_e32 v42, 0
	s_mov_b32 s21, exec_lo
	s_delay_alu instid0(VALU_DEP_2)
	v_cmpx_ne_u16_e32 0, v2
	s_cbranch_execz .LBB296_3719
; %bb.3712:                             ;   in Loop: Header=BB296_2086 Depth=1
	v_bfrev_b32_e32 v42, 1
	s_mov_b32 s22, exec_lo
	v_cmpx_ne_u16_e32 0x80, v2
	s_cbranch_execz .LBB296_3718
; %bb.3713:                             ;   in Loop: Header=BB296_2086 Depth=1
	v_and_b32_e32 v43, 0xffff, v2
	v_mov_b32_e32 v42, 0x7c010000
	s_mov_b32 s23, exec_lo
	s_delay_alu instid0(VALU_DEP_2) | instskip(NEXT) | instid1(VALU_DEP_1)
	v_and_b32_e32 v45, 0x7f, v43
	v_cmpx_ne_u32_e32 0x7f, v45
	s_cbranch_execz .LBB296_3717
; %bb.3714:                             ;   in Loop: Header=BB296_2086 Depth=1
	v_and_b32_e32 v42, 7, v43
	v_lshrrev_b32_e32 v44, 3, v45
	s_mov_b32 s24, exec_lo
	v_cmpx_gt_u32_e32 8, v45
; %bb.3715:                             ;   in Loop: Header=BB296_2086 Depth=1
	s_delay_alu instid0(VALU_DEP_3) | instskip(NEXT) | instid1(VALU_DEP_1)
	v_clz_i32_u32_e32 v64, v42
	v_min_u32_e32 v64, 32, v64
	s_delay_alu instid0(VALU_DEP_1) | instskip(SKIP_1) | instid1(VALU_DEP_2)
	v_subrev_nc_u32_e32 v42, 28, v64
	v_sub_nc_u32_e32 v44, 29, v64
	v_lshlrev_b64_e32 v[45:46], v42, v[2:3]
	s_delay_alu instid0(VALU_DEP_1)
	v_and_b32_e32 v42, 7, v45
; %bb.3716:                             ;   in Loop: Header=BB296_2086 Depth=1
	s_wait_alu 0xfffe
	s_or_b32 exec_lo, exec_lo, s24
	v_lshlrev_b32_e32 v2, 8, v43
	v_lshl_add_u32 v64, v44, 10, 0x2000
	s_delay_alu instid0(VALU_DEP_1) | instskip(SKIP_1) | instid1(VALU_DEP_1)
	v_and_or_b32 v2, 0x8000, v2, v64
	v_lshlrev_b32_e32 v64, 23, v42
	v_lshl_or_b32 v42, v2, 16, v64
.LBB296_3717:                           ;   in Loop: Header=BB296_2086 Depth=1
	s_wait_alu 0xfffe
	s_or_b32 exec_lo, exec_lo, s23
.LBB296_3718:                           ;   in Loop: Header=BB296_2086 Depth=1
	s_wait_alu 0xfffe
	s_or_b32 exec_lo, exec_lo, s22
.LBB296_3719:                           ;   in Loop: Header=BB296_2086 Depth=1
	s_wait_alu 0xfffe
	s_or_b32 exec_lo, exec_lo, s21
	v_lshrrev_b32_e32 v2, 16, v14
	s_mov_b32 s21, exec_lo
	s_delay_alu instid0(VALU_DEP_1) | instskip(NEXT) | instid1(VALU_DEP_1)
	v_and_b32_e32 v43, 0xff, v2
	v_cmpx_ne_u16_e32 0, v43
	s_cbranch_execz .LBB296_3727
; %bb.3720:                             ;   in Loop: Header=BB296_2086 Depth=1
	v_mov_b32_e32 v40, 0x8000
	s_mov_b32 s22, exec_lo
	v_cmpx_ne_u16_e32 0x80, v43
	s_cbranch_execz .LBB296_3726
; %bb.3721:                             ;   in Loop: Header=BB296_2086 Depth=1
	v_bfe_u32 v44, v14, 16, 7
	v_mov_b32_e32 v40, 0x7c01
	s_mov_b32 s23, exec_lo
	s_delay_alu instid0(VALU_DEP_2)
	v_cmpx_ne_u32_e32 0x7f, v44
	s_cbranch_execz .LBB296_3725
; %bb.3722:                             ;   in Loop: Header=BB296_2086 Depth=1
	v_and_b32_e32 v40, 7, v2
	v_lshrrev_b32_e32 v43, 3, v44
	s_mov_b32 s24, exec_lo
	v_cmpx_gt_u32_e32 8, v44
; %bb.3723:                             ;   in Loop: Header=BB296_2086 Depth=1
	s_delay_alu instid0(VALU_DEP_3) | instskip(NEXT) | instid1(VALU_DEP_1)
	v_clz_i32_u32_e32 v64, v40
	v_min_u32_e32 v64, 32, v64
	s_delay_alu instid0(VALU_DEP_1) | instskip(SKIP_1) | instid1(VALU_DEP_2)
	v_subrev_nc_u32_e32 v40, 28, v64
	v_sub_nc_u32_e32 v43, 29, v64
	v_lshlrev_b64_e32 v[44:45], v40, v[2:3]
	s_delay_alu instid0(VALU_DEP_1)
	v_and_b32_e32 v40, 7, v44
; %bb.3724:                             ;   in Loop: Header=BB296_2086 Depth=1
	s_wait_alu 0xfffe
	s_or_b32 exec_lo, exec_lo, s24
	v_lshlrev_b32_e32 v2, 8, v2
	v_lshl_add_u32 v64, v43, 10, 0x2000
	v_lshlrev_b32_e32 v40, 7, v40
	s_delay_alu instid0(VALU_DEP_3) | instskip(NEXT) | instid1(VALU_DEP_3)
	v_and_b32_e32 v2, 0x8000, v2
	v_and_b32_e32 v64, 0xfc00, v64
	s_delay_alu instid0(VALU_DEP_1)
	v_or3_b32 v40, v2, v64, v40
.LBB296_3725:                           ;   in Loop: Header=BB296_2086 Depth=1
	s_wait_alu 0xfffe
	s_or_b32 exec_lo, exec_lo, s23
.LBB296_3726:                           ;   in Loop: Header=BB296_2086 Depth=1
	s_wait_alu 0xfffe
	s_or_b32 exec_lo, exec_lo, s22
.LBB296_3727:                           ;   in Loop: Header=BB296_2086 Depth=1
	s_wait_alu 0xfffe
	s_or_b32 exec_lo, exec_lo, s21
	v_cmp_lt_u64_e64 s8, s[16:17], v[13:14]
	v_mov_b32_e32 v13, 0
	s_and_saveexec_b32 s21, s8
	s_cbranch_execz .LBB296_3735
; %bb.3728:                             ;   in Loop: Header=BB296_2086 Depth=1
	v_lshrrev_b32_e32 v2, 24, v14
	v_bfrev_b32_e32 v13, 1
	s_mov_b32 s22, exec_lo
	s_delay_alu instid0(VALU_DEP_2)
	v_cmpx_ne_u32_e32 0x80, v2
	s_cbranch_execz .LBB296_3734
; %bb.3729:                             ;   in Loop: Header=BB296_2086 Depth=1
	v_and_b32_e32 v43, 0x7f, v2
	v_mov_b32_e32 v13, 0x7c010000
	s_mov_b32 s23, exec_lo
	s_delay_alu instid0(VALU_DEP_2)
	v_cmpx_ne_u32_e32 0x7f, v43
	s_cbranch_execz .LBB296_3733
; %bb.3730:                             ;   in Loop: Header=BB296_2086 Depth=1
	v_and_b32_e32 v13, 7, v2
	v_lshrrev_b32_e32 v14, 3, v43
	s_mov_b32 s24, exec_lo
	v_cmpx_gt_u32_e32 8, v43
; %bb.3731:                             ;   in Loop: Header=BB296_2086 Depth=1
	s_delay_alu instid0(VALU_DEP_3) | instskip(NEXT) | instid1(VALU_DEP_1)
	v_clz_i32_u32_e32 v13, v13
	v_min_u32_e32 v64, 32, v13
	s_delay_alu instid0(VALU_DEP_1) | instskip(NEXT) | instid1(VALU_DEP_1)
	v_subrev_nc_u32_e32 v13, 28, v64
	v_lshlrev_b64_e32 v[13:14], v13, v[2:3]
	v_sub_nc_u32_e32 v14, 29, v64
	s_delay_alu instid0(VALU_DEP_2)
	v_and_b32_e32 v13, 7, v13
; %bb.3732:                             ;   in Loop: Header=BB296_2086 Depth=1
	s_wait_alu 0xfffe
	s_or_b32 exec_lo, exec_lo, s24
	v_lshlrev_b32_e32 v2, 8, v2
	v_lshl_add_u32 v14, v14, 10, 0x2000
	v_lshlrev_b32_e32 v13, 23, v13
	s_delay_alu instid0(VALU_DEP_2) | instskip(NEXT) | instid1(VALU_DEP_1)
	v_and_or_b32 v2, 0x8000, v2, v14
	v_lshl_or_b32 v13, v2, 16, v13
.LBB296_3733:                           ;   in Loop: Header=BB296_2086 Depth=1
	s_wait_alu 0xfffe
	s_or_b32 exec_lo, exec_lo, s23
.LBB296_3734:                           ;   in Loop: Header=BB296_2086 Depth=1
	s_wait_alu 0xfffe
	s_or_b32 exec_lo, exec_lo, s22
.LBB296_3735:                           ;   in Loop: Header=BB296_2086 Depth=1
	s_wait_alu 0xfffe
	s_or_b32 exec_lo, exec_lo, s21
	v_or_b32_e32 v2, v182, v183
	s_wait_loadcnt_dscnt 0x0
	v_fma_mixlo_f16 v14, v19, v182, 0 op_sel:[0,1,0] op_sel_hi:[0,1,0]
	v_or_b32_e32 v64, v85, v167
	v_or_b32_e32 v167, v42, v41
	;; [unrolled: 1-line block ×3, first 2 shown]
	v_fma_mixlo_f16 v182, v19, v2, 0 op_sel_hi:[0,1,0]
	v_fma_mixlo_f16 v85, v19, v85, 0 op_sel:[0,1,0] op_sel_hi:[0,1,0]
	v_lshlrev_b32_e32 v2, 16, v14
	v_fma_mixlo_f16 v64, v19, v64, 0 op_sel_hi:[0,1,0]
	v_fma_mixlo_f16 v167, v19, v167, 0 op_sel_hi:[0,1,0]
	v_and_b32_e32 v14, 0xffff, v182
	v_fma_mixlo_f16 v182, v19, v42, 0 op_sel:[0,1,0] op_sel_hi:[0,1,0]
	v_fma_mixlo_f16 v13, v19, v13, 0 op_sel:[0,1,0] op_sel_hi:[0,1,0]
	v_fma_mixlo_f16 v19, v19, v183, 0 op_sel_hi:[0,1,0]
	v_lshlrev_b32_e32 v85, 16, v85
	v_and_b32_e32 v43, 0xffff, v64
	v_lshlrev_b32_e32 v40, 16, v182
	v_and_b32_e32 v42, 0xffff, v167
	;; [unrolled: 2-line block ×3, first 2 shown]
	v_or_b32_e32 v13, v2, v14
	v_or_b32_e32 v182, v85, v43
	;; [unrolled: 1-line block ×3, first 2 shown]
	s_delay_alu instid0(VALU_DEP_4)
	v_or_b32_e32 v19, v183, v41
	s_and_saveexec_b32 s8, s0
	s_cbranch_execz .LBB296_3737
; %bb.3736:                             ;   in Loop: Header=BB296_2086 Depth=1
	s_wait_alu 0xfffd
	v_cndmask_b32_e32 v13, 0, v43, vcc_lo
	v_cndmask_b32_e64 v19, 0, v85, s3
	v_cndmask_b32_e64 v14, 0, v14, s1
	;; [unrolled: 1-line block ×7, first 2 shown]
	v_or_b32_e32 v182, v13, v19
	v_or_b32_e32 v13, v14, v2
	;; [unrolled: 1-line block ×3, first 2 shown]
	s_delay_alu instid0(VALU_DEP_4)
	v_or_b32_e32 v19, v40, v183
.LBB296_3737:                           ;   in Loop: Header=BB296_2086 Depth=1
	s_wait_alu 0xfffe
	s_or_b32 exec_lo, exec_lo, s8
	;;#ASMSTART
	v_pk_mul_f16 v2, v115, v182;

	;;#ASMEND
	;;#ASMSTART
	v_pk_mul_f16 v13, v114, v13;

	;;#ASMEND
	;; [unrolled: 4-line block ×4, first 2 shown]
	;;#ASMSTART
	v_pk_add_f16 v2, v2, v13;

	;;#ASMEND
	;;#ASMSTART
	v_pk_add_f16 v2, v2, v14;

	;;#ASMEND
	;; [unrolled: 4-line block ×3, first 2 shown]
	v_and_b32_e32 v13, 0xffff, v2
	v_lshrrev_b32_e32 v2, 16, v2
	;;#ASMSTART
	v_cvt_f32_f16 v182, v13;
	;;#ASMEND
	;;#ASMSTART
	v_cvt_f32_f16 v183, v2;
	;;#ASMEND
	flat_load_b64 v[13:14], v[11:12] offset:6400
	flat_load_b32 v19, v[26:27]
	v_mov_b32_e32 v167, 0
	s_mov_b32 s21, exec_lo
	s_wait_loadcnt_dscnt 0x101
	v_dual_mov_b32 v85, 0 :: v_dual_and_b32 v2, 0xff, v13
	s_delay_alu instid0(VALU_DEP_1)
	v_cmpx_ne_u16_e32 0, v2
	s_cbranch_execz .LBB296_3745
; %bb.3738:                             ;   in Loop: Header=BB296_2086 Depth=1
	v_mov_b32_e32 v167, 0x8000
	s_mov_b32 s22, exec_lo
	v_cmpx_ne_u16_e32 0x80, v2
	s_cbranch_execz .LBB296_3744
; %bb.3739:                             ;   in Loop: Header=BB296_2086 Depth=1
	v_and_b32_e32 v40, 0x7f, v13
	v_mov_b32_e32 v167, 0x7c01
	s_mov_b32 s23, exec_lo
	s_delay_alu instid0(VALU_DEP_2)
	v_cmpx_ne_u32_e32 0x7f, v40
	s_cbranch_execz .LBB296_3743
; %bb.3740:                             ;   in Loop: Header=BB296_2086 Depth=1
	v_and_b32_e32 v2, 7, v13
	v_lshrrev_b32_e32 v167, 3, v40
	s_mov_b32 s24, exec_lo
	v_cmpx_gt_u32_e32 8, v40
; %bb.3741:                             ;   in Loop: Header=BB296_2086 Depth=1
	s_delay_alu instid0(VALU_DEP_3) | instskip(NEXT) | instid1(VALU_DEP_1)
	v_clz_i32_u32_e32 v2, v2
	v_min_u32_e32 v2, 32, v2
	s_delay_alu instid0(VALU_DEP_1) | instskip(SKIP_1) | instid1(VALU_DEP_2)
	v_subrev_nc_u32_e32 v64, 28, v2
	v_sub_nc_u32_e32 v167, 29, v2
	v_lshlrev_b64_e32 v[40:41], v64, v[13:14]
	s_delay_alu instid0(VALU_DEP_1)
	v_and_b32_e32 v2, 7, v40
; %bb.3742:                             ;   in Loop: Header=BB296_2086 Depth=1
	s_wait_alu 0xfffe
	s_or_b32 exec_lo, exec_lo, s24
	v_lshlrev_b32_e32 v64, 8, v13
	v_lshl_add_u32 v167, v167, 10, 0x2000
	v_lshlrev_b32_e32 v2, 7, v2
	s_delay_alu instid0(VALU_DEP_3) | instskip(NEXT) | instid1(VALU_DEP_3)
	v_and_b32_e32 v64, 0x8000, v64
	v_and_b32_e32 v167, 0xfc00, v167
	s_delay_alu instid0(VALU_DEP_1)
	v_or3_b32 v167, v64, v167, v2
.LBB296_3743:                           ;   in Loop: Header=BB296_2086 Depth=1
	s_wait_alu 0xfffe
	s_or_b32 exec_lo, exec_lo, s23
.LBB296_3744:                           ;   in Loop: Header=BB296_2086 Depth=1
	s_wait_alu 0xfffe
	s_or_b32 exec_lo, exec_lo, s22
.LBB296_3745:                           ;   in Loop: Header=BB296_2086 Depth=1
	s_wait_alu 0xfffe
	s_or_b32 exec_lo, exec_lo, s21
	v_lshrrev_b16 v2, 8, v13
	s_mov_b32 s21, exec_lo
	s_delay_alu instid0(VALU_DEP_1)
	v_cmpx_ne_u16_e32 0, v2
	s_cbranch_execz .LBB296_3753
; %bb.3746:                             ;   in Loop: Header=BB296_2086 Depth=1
	v_bfrev_b32_e32 v85, 1
	s_mov_b32 s22, exec_lo
	v_cmpx_ne_u16_e32 0x80, v2
	s_cbranch_execz .LBB296_3752
; %bb.3747:                             ;   in Loop: Header=BB296_2086 Depth=1
	v_and_b32_e32 v40, 0xffff, v2
	v_mov_b32_e32 v85, 0x7c010000
	s_mov_b32 s23, exec_lo
	s_delay_alu instid0(VALU_DEP_2) | instskip(NEXT) | instid1(VALU_DEP_1)
	v_and_b32_e32 v42, 0x7f, v40
	v_cmpx_ne_u32_e32 0x7f, v42
	s_cbranch_execz .LBB296_3751
; %bb.3748:                             ;   in Loop: Header=BB296_2086 Depth=1
	v_and_b32_e32 v85, 7, v40
	v_lshrrev_b32_e32 v41, 3, v42
	s_mov_b32 s24, exec_lo
	v_cmpx_gt_u32_e32 8, v42
; %bb.3749:                             ;   in Loop: Header=BB296_2086 Depth=1
	s_delay_alu instid0(VALU_DEP_3) | instskip(NEXT) | instid1(VALU_DEP_1)
	v_clz_i32_u32_e32 v64, v85
	v_min_u32_e32 v64, 32, v64
	s_delay_alu instid0(VALU_DEP_1) | instskip(SKIP_1) | instid1(VALU_DEP_2)
	v_subrev_nc_u32_e32 v85, 28, v64
	v_sub_nc_u32_e32 v41, 29, v64
	v_lshlrev_b64_e32 v[42:43], v85, v[2:3]
	s_delay_alu instid0(VALU_DEP_1)
	v_and_b32_e32 v85, 7, v42
; %bb.3750:                             ;   in Loop: Header=BB296_2086 Depth=1
	s_wait_alu 0xfffe
	s_or_b32 exec_lo, exec_lo, s24
	v_lshlrev_b32_e32 v2, 8, v40
	v_lshl_add_u32 v64, v41, 10, 0x2000
	s_delay_alu instid0(VALU_DEP_1) | instskip(SKIP_1) | instid1(VALU_DEP_1)
	v_and_or_b32 v2, 0x8000, v2, v64
	v_lshlrev_b32_e32 v64, 23, v85
	v_lshl_or_b32 v85, v2, 16, v64
.LBB296_3751:                           ;   in Loop: Header=BB296_2086 Depth=1
	s_wait_alu 0xfffe
	s_or_b32 exec_lo, exec_lo, s23
.LBB296_3752:                           ;   in Loop: Header=BB296_2086 Depth=1
	s_wait_alu 0xfffe
	s_or_b32 exec_lo, exec_lo, s22
.LBB296_3753:                           ;   in Loop: Header=BB296_2086 Depth=1
	s_wait_alu 0xfffe
	s_or_b32 exec_lo, exec_lo, s21
	v_lshrrev_b32_e32 v2, 16, v13
	v_mov_b32_e32 v40, 0
	s_mov_b32 s21, exec_lo
	s_delay_alu instid0(VALU_DEP_2) | instskip(NEXT) | instid1(VALU_DEP_1)
	v_dual_mov_b32 v41, 0 :: v_dual_and_b32 v42, 0xff, v2
	v_cmpx_ne_u16_e32 0, v42
	s_cbranch_execz .LBB296_3761
; %bb.3754:                             ;   in Loop: Header=BB296_2086 Depth=1
	v_mov_b32_e32 v41, 0x8000
	s_mov_b32 s22, exec_lo
	v_cmpx_ne_u16_e32 0x80, v42
	s_cbranch_execz .LBB296_3760
; %bb.3755:                             ;   in Loop: Header=BB296_2086 Depth=1
	v_bfe_u32 v43, v13, 16, 7
	v_mov_b32_e32 v41, 0x7c01
	s_mov_b32 s23, exec_lo
	s_delay_alu instid0(VALU_DEP_2)
	v_cmpx_ne_u32_e32 0x7f, v43
	s_cbranch_execz .LBB296_3759
; %bb.3756:                             ;   in Loop: Header=BB296_2086 Depth=1
	v_and_b32_e32 v41, 7, v2
	v_lshrrev_b32_e32 v42, 3, v43
	s_mov_b32 s24, exec_lo
	v_cmpx_gt_u32_e32 8, v43
; %bb.3757:                             ;   in Loop: Header=BB296_2086 Depth=1
	s_delay_alu instid0(VALU_DEP_3) | instskip(NEXT) | instid1(VALU_DEP_1)
	v_clz_i32_u32_e32 v64, v41
	v_min_u32_e32 v64, 32, v64
	s_delay_alu instid0(VALU_DEP_1) | instskip(NEXT) | instid1(VALU_DEP_1)
	v_subrev_nc_u32_e32 v41, 28, v64
	v_lshlrev_b64_e32 v[41:42], v41, v[2:3]
	v_sub_nc_u32_e32 v42, 29, v64
	s_delay_alu instid0(VALU_DEP_2)
	v_and_b32_e32 v41, 7, v41
; %bb.3758:                             ;   in Loop: Header=BB296_2086 Depth=1
	s_wait_alu 0xfffe
	s_or_b32 exec_lo, exec_lo, s24
	v_lshlrev_b32_e32 v2, 8, v2
	v_lshl_add_u32 v64, v42, 10, 0x2000
	v_lshlrev_b32_e32 v41, 7, v41
	s_delay_alu instid0(VALU_DEP_3) | instskip(NEXT) | instid1(VALU_DEP_3)
	v_and_b32_e32 v2, 0x8000, v2
	v_and_b32_e32 v64, 0xfc00, v64
	s_delay_alu instid0(VALU_DEP_1)
	v_or3_b32 v41, v2, v64, v41
.LBB296_3759:                           ;   in Loop: Header=BB296_2086 Depth=1
	s_wait_alu 0xfffe
	s_or_b32 exec_lo, exec_lo, s23
.LBB296_3760:                           ;   in Loop: Header=BB296_2086 Depth=1
	s_wait_alu 0xfffe
	s_or_b32 exec_lo, exec_lo, s22
.LBB296_3761:                           ;   in Loop: Header=BB296_2086 Depth=1
	s_wait_alu 0xfffe
	s_or_b32 exec_lo, exec_lo, s21
	s_delay_alu instid0(SALU_CYCLE_1)
	s_mov_b32 s21, exec_lo
	v_cmpx_lt_u32_e32 0xffffff, v13
	s_cbranch_execz .LBB296_3769
; %bb.3762:                             ;   in Loop: Header=BB296_2086 Depth=1
	v_lshrrev_b32_e32 v2, 24, v13
	v_bfrev_b32_e32 v40, 1
	s_mov_b32 s22, exec_lo
	s_delay_alu instid0(VALU_DEP_2)
	v_cmpx_ne_u32_e32 0x80, v2
	s_cbranch_execz .LBB296_3768
; %bb.3763:                             ;   in Loop: Header=BB296_2086 Depth=1
	v_and_b32_e32 v43, 0x7f, v2
	v_mov_b32_e32 v40, 0x7c010000
	s_mov_b32 s23, exec_lo
	s_delay_alu instid0(VALU_DEP_2)
	v_cmpx_ne_u32_e32 0x7f, v43
	s_cbranch_execz .LBB296_3767
; %bb.3764:                             ;   in Loop: Header=BB296_2086 Depth=1
	v_and_b32_e32 v40, 7, v2
	v_lshrrev_b32_e32 v42, 3, v43
	s_mov_b32 s24, exec_lo
	v_cmpx_gt_u32_e32 8, v43
; %bb.3765:                             ;   in Loop: Header=BB296_2086 Depth=1
	s_delay_alu instid0(VALU_DEP_3) | instskip(NEXT) | instid1(VALU_DEP_1)
	v_clz_i32_u32_e32 v64, v40
	v_min_u32_e32 v64, 32, v64
	s_delay_alu instid0(VALU_DEP_1) | instskip(SKIP_1) | instid1(VALU_DEP_2)
	v_subrev_nc_u32_e32 v40, 28, v64
	v_sub_nc_u32_e32 v42, 29, v64
	v_lshlrev_b64_e32 v[43:44], v40, v[2:3]
	s_delay_alu instid0(VALU_DEP_1)
	v_and_b32_e32 v40, 7, v43
; %bb.3766:                             ;   in Loop: Header=BB296_2086 Depth=1
	s_wait_alu 0xfffe
	s_or_b32 exec_lo, exec_lo, s24
	v_lshlrev_b32_e32 v2, 8, v2
	v_lshl_add_u32 v64, v42, 10, 0x2000
	s_delay_alu instid0(VALU_DEP_1) | instskip(SKIP_1) | instid1(VALU_DEP_1)
	v_and_or_b32 v2, 0x8000, v2, v64
	v_lshlrev_b32_e32 v64, 23, v40
	v_lshl_or_b32 v40, v2, 16, v64
.LBB296_3767:                           ;   in Loop: Header=BB296_2086 Depth=1
	s_wait_alu 0xfffe
	s_or_b32 exec_lo, exec_lo, s23
.LBB296_3768:                           ;   in Loop: Header=BB296_2086 Depth=1
	s_wait_alu 0xfffe
	s_or_b32 exec_lo, exec_lo, s22
.LBB296_3769:                           ;   in Loop: Header=BB296_2086 Depth=1
	s_wait_alu 0xfffe
	s_or_b32 exec_lo, exec_lo, s21
	v_dual_mov_b32 v43, 0 :: v_dual_and_b32 v44, 0xff, v14
	v_mov_b32_e32 v2, v14
	v_mov_b32_e32 v42, 0
	s_mov_b32 s21, exec_lo
	s_delay_alu instid0(VALU_DEP_3)
	v_cmpx_ne_u16_e32 0, v44
	s_cbranch_execz .LBB296_3777
; %bb.3770:                             ;   in Loop: Header=BB296_2086 Depth=1
	v_mov_b32_e32 v43, 0x8000
	s_mov_b32 s22, exec_lo
	v_cmpx_ne_u16_e32 0x80, v44
	s_cbranch_execz .LBB296_3776
; %bb.3771:                             ;   in Loop: Header=BB296_2086 Depth=1
	v_and_b32_e32 v45, 0x7f, v14
	v_mov_b32_e32 v43, 0x7c01
	s_mov_b32 s23, exec_lo
	s_delay_alu instid0(VALU_DEP_2)
	v_cmpx_ne_u32_e32 0x7f, v45
	s_cbranch_execz .LBB296_3775
; %bb.3772:                             ;   in Loop: Header=BB296_2086 Depth=1
	v_and_b32_e32 v43, 7, v14
	v_lshrrev_b32_e32 v44, 3, v45
	s_mov_b32 s24, exec_lo
	v_cmpx_gt_u32_e32 8, v45
; %bb.3773:                             ;   in Loop: Header=BB296_2086 Depth=1
	s_delay_alu instid0(VALU_DEP_3) | instskip(NEXT) | instid1(VALU_DEP_1)
	v_clz_i32_u32_e32 v64, v43
	v_min_u32_e32 v64, 32, v64
	s_delay_alu instid0(VALU_DEP_1) | instskip(NEXT) | instid1(VALU_DEP_1)
	v_subrev_nc_u32_e32 v43, 28, v64
	v_lshlrev_b64_e32 v[43:44], v43, v[2:3]
	v_sub_nc_u32_e32 v44, 29, v64
	s_delay_alu instid0(VALU_DEP_2)
	v_and_b32_e32 v43, 7, v43
; %bb.3774:                             ;   in Loop: Header=BB296_2086 Depth=1
	s_wait_alu 0xfffe
	s_or_b32 exec_lo, exec_lo, s24
	v_lshlrev_b32_e32 v64, 8, v14
	v_lshl_add_u32 v44, v44, 10, 0x2000
	v_lshlrev_b32_e32 v43, 7, v43
	s_delay_alu instid0(VALU_DEP_3) | instskip(NEXT) | instid1(VALU_DEP_3)
	v_and_b32_e32 v64, 0x8000, v64
	v_and_b32_e32 v44, 0xfc00, v44
	s_delay_alu instid0(VALU_DEP_1)
	v_or3_b32 v43, v64, v44, v43
.LBB296_3775:                           ;   in Loop: Header=BB296_2086 Depth=1
	s_wait_alu 0xfffe
	s_or_b32 exec_lo, exec_lo, s23
.LBB296_3776:                           ;   in Loop: Header=BB296_2086 Depth=1
	s_wait_alu 0xfffe
	s_or_b32 exec_lo, exec_lo, s22
.LBB296_3777:                           ;   in Loop: Header=BB296_2086 Depth=1
	s_wait_alu 0xfffe
	s_or_b32 exec_lo, exec_lo, s21
	v_lshrrev_b16 v2, 8, v2
	v_mov_b32_e32 v44, 0
	s_mov_b32 s21, exec_lo
	s_delay_alu instid0(VALU_DEP_2)
	v_cmpx_ne_u16_e32 0, v2
	s_cbranch_execz .LBB296_3785
; %bb.3778:                             ;   in Loop: Header=BB296_2086 Depth=1
	v_bfrev_b32_e32 v44, 1
	s_mov_b32 s22, exec_lo
	v_cmpx_ne_u16_e32 0x80, v2
	s_cbranch_execz .LBB296_3784
; %bb.3779:                             ;   in Loop: Header=BB296_2086 Depth=1
	v_and_b32_e32 v45, 0xffff, v2
	v_mov_b32_e32 v44, 0x7c010000
	s_mov_b32 s23, exec_lo
	s_delay_alu instid0(VALU_DEP_2) | instskip(NEXT) | instid1(VALU_DEP_1)
	v_and_b32_e32 v47, 0x7f, v45
	v_cmpx_ne_u32_e32 0x7f, v47
	s_cbranch_execz .LBB296_3783
; %bb.3780:                             ;   in Loop: Header=BB296_2086 Depth=1
	v_and_b32_e32 v44, 7, v45
	v_lshrrev_b32_e32 v46, 3, v47
	s_mov_b32 s24, exec_lo
	v_cmpx_gt_u32_e32 8, v47
; %bb.3781:                             ;   in Loop: Header=BB296_2086 Depth=1
	s_delay_alu instid0(VALU_DEP_3) | instskip(NEXT) | instid1(VALU_DEP_1)
	v_clz_i32_u32_e32 v64, v44
	v_min_u32_e32 v64, 32, v64
	s_delay_alu instid0(VALU_DEP_1) | instskip(SKIP_1) | instid1(VALU_DEP_2)
	v_subrev_nc_u32_e32 v44, 28, v64
	v_sub_nc_u32_e32 v46, 29, v64
	v_lshlrev_b64_e32 v[56:57], v44, v[2:3]
	s_delay_alu instid0(VALU_DEP_1)
	v_and_b32_e32 v44, 7, v56
; %bb.3782:                             ;   in Loop: Header=BB296_2086 Depth=1
	s_wait_alu 0xfffe
	s_or_b32 exec_lo, exec_lo, s24
	v_lshlrev_b32_e32 v2, 8, v45
	v_lshl_add_u32 v64, v46, 10, 0x2000
	s_delay_alu instid0(VALU_DEP_1) | instskip(SKIP_1) | instid1(VALU_DEP_1)
	v_and_or_b32 v2, 0x8000, v2, v64
	v_lshlrev_b32_e32 v64, 23, v44
	v_lshl_or_b32 v44, v2, 16, v64
.LBB296_3783:                           ;   in Loop: Header=BB296_2086 Depth=1
	s_wait_alu 0xfffe
	s_or_b32 exec_lo, exec_lo, s23
.LBB296_3784:                           ;   in Loop: Header=BB296_2086 Depth=1
	s_wait_alu 0xfffe
	s_or_b32 exec_lo, exec_lo, s22
.LBB296_3785:                           ;   in Loop: Header=BB296_2086 Depth=1
	s_wait_alu 0xfffe
	s_or_b32 exec_lo, exec_lo, s21
	v_lshrrev_b32_e32 v2, 16, v14
	s_mov_b32 s21, exec_lo
	s_delay_alu instid0(VALU_DEP_1) | instskip(NEXT) | instid1(VALU_DEP_1)
	v_and_b32_e32 v45, 0xff, v2
	v_cmpx_ne_u16_e32 0, v45
	s_cbranch_execz .LBB296_3793
; %bb.3786:                             ;   in Loop: Header=BB296_2086 Depth=1
	v_mov_b32_e32 v42, 0x8000
	s_mov_b32 s22, exec_lo
	v_cmpx_ne_u16_e32 0x80, v45
	s_cbranch_execz .LBB296_3792
; %bb.3787:                             ;   in Loop: Header=BB296_2086 Depth=1
	v_bfe_u32 v46, v14, 16, 7
	v_mov_b32_e32 v42, 0x7c01
	s_mov_b32 s23, exec_lo
	s_delay_alu instid0(VALU_DEP_2)
	v_cmpx_ne_u32_e32 0x7f, v46
	s_cbranch_execz .LBB296_3791
; %bb.3788:                             ;   in Loop: Header=BB296_2086 Depth=1
	v_and_b32_e32 v42, 7, v2
	v_lshrrev_b32_e32 v45, 3, v46
	s_mov_b32 s24, exec_lo
	v_cmpx_gt_u32_e32 8, v46
; %bb.3789:                             ;   in Loop: Header=BB296_2086 Depth=1
	s_delay_alu instid0(VALU_DEP_3) | instskip(NEXT) | instid1(VALU_DEP_1)
	v_clz_i32_u32_e32 v64, v42
	v_min_u32_e32 v64, 32, v64
	s_delay_alu instid0(VALU_DEP_1) | instskip(SKIP_1) | instid1(VALU_DEP_2)
	v_subrev_nc_u32_e32 v42, 28, v64
	v_sub_nc_u32_e32 v45, 29, v64
	v_lshlrev_b64_e32 v[46:47], v42, v[2:3]
	s_delay_alu instid0(VALU_DEP_1)
	v_and_b32_e32 v42, 7, v46
; %bb.3790:                             ;   in Loop: Header=BB296_2086 Depth=1
	s_wait_alu 0xfffe
	s_or_b32 exec_lo, exec_lo, s24
	v_lshlrev_b32_e32 v2, 8, v2
	v_lshl_add_u32 v64, v45, 10, 0x2000
	v_lshlrev_b32_e32 v42, 7, v42
	s_delay_alu instid0(VALU_DEP_3) | instskip(NEXT) | instid1(VALU_DEP_3)
	v_and_b32_e32 v2, 0x8000, v2
	v_and_b32_e32 v64, 0xfc00, v64
	s_delay_alu instid0(VALU_DEP_1)
	v_or3_b32 v42, v2, v64, v42
.LBB296_3791:                           ;   in Loop: Header=BB296_2086 Depth=1
	s_wait_alu 0xfffe
	s_or_b32 exec_lo, exec_lo, s23
.LBB296_3792:                           ;   in Loop: Header=BB296_2086 Depth=1
	s_wait_alu 0xfffe
	s_or_b32 exec_lo, exec_lo, s22
.LBB296_3793:                           ;   in Loop: Header=BB296_2086 Depth=1
	s_wait_alu 0xfffe
	s_or_b32 exec_lo, exec_lo, s21
	v_cmp_lt_u64_e64 s8, s[16:17], v[13:14]
	v_mov_b32_e32 v13, 0
	s_and_saveexec_b32 s21, s8
	s_cbranch_execz .LBB296_3801
; %bb.3794:                             ;   in Loop: Header=BB296_2086 Depth=1
	v_lshrrev_b32_e32 v2, 24, v14
	v_bfrev_b32_e32 v13, 1
	s_mov_b32 s22, exec_lo
	s_delay_alu instid0(VALU_DEP_2)
	v_cmpx_ne_u32_e32 0x80, v2
	s_cbranch_execz .LBB296_3800
; %bb.3795:                             ;   in Loop: Header=BB296_2086 Depth=1
	v_and_b32_e32 v45, 0x7f, v2
	v_mov_b32_e32 v13, 0x7c010000
	s_mov_b32 s23, exec_lo
	s_delay_alu instid0(VALU_DEP_2)
	v_cmpx_ne_u32_e32 0x7f, v45
	s_cbranch_execz .LBB296_3799
; %bb.3796:                             ;   in Loop: Header=BB296_2086 Depth=1
	v_and_b32_e32 v13, 7, v2
	v_lshrrev_b32_e32 v14, 3, v45
	s_mov_b32 s24, exec_lo
	v_cmpx_gt_u32_e32 8, v45
; %bb.3797:                             ;   in Loop: Header=BB296_2086 Depth=1
	s_delay_alu instid0(VALU_DEP_3) | instskip(NEXT) | instid1(VALU_DEP_1)
	v_clz_i32_u32_e32 v13, v13
	v_min_u32_e32 v64, 32, v13
	s_delay_alu instid0(VALU_DEP_1) | instskip(NEXT) | instid1(VALU_DEP_1)
	v_subrev_nc_u32_e32 v13, 28, v64
	v_lshlrev_b64_e32 v[13:14], v13, v[2:3]
	v_sub_nc_u32_e32 v14, 29, v64
	s_delay_alu instid0(VALU_DEP_2)
	v_and_b32_e32 v13, 7, v13
; %bb.3798:                             ;   in Loop: Header=BB296_2086 Depth=1
	s_wait_alu 0xfffe
	s_or_b32 exec_lo, exec_lo, s24
	v_lshlrev_b32_e32 v2, 8, v2
	v_lshl_add_u32 v14, v14, 10, 0x2000
	v_lshlrev_b32_e32 v13, 23, v13
	s_delay_alu instid0(VALU_DEP_2) | instskip(NEXT) | instid1(VALU_DEP_1)
	v_and_or_b32 v2, 0x8000, v2, v14
	v_lshl_or_b32 v13, v2, 16, v13
.LBB296_3799:                           ;   in Loop: Header=BB296_2086 Depth=1
	s_wait_alu 0xfffe
	s_or_b32 exec_lo, exec_lo, s23
.LBB296_3800:                           ;   in Loop: Header=BB296_2086 Depth=1
	s_wait_alu 0xfffe
	s_or_b32 exec_lo, exec_lo, s22
.LBB296_3801:                           ;   in Loop: Header=BB296_2086 Depth=1
	s_wait_alu 0xfffe
	s_or_b32 exec_lo, exec_lo, s21
	v_or_b32_e32 v2, v40, v41
	s_wait_loadcnt_dscnt 0x0
	v_fma_mixlo_f16 v14, v19, v40, 0 op_sel:[0,1,0] op_sel_hi:[0,1,0]
	v_or_b32_e32 v64, v85, v167
	v_or_b32_e32 v167, v44, v43
	;; [unrolled: 1-line block ×3, first 2 shown]
	v_fma_mixlo_f16 v40, v19, v2, 0 op_sel_hi:[0,1,0]
	v_fma_mixlo_f16 v85, v19, v85, 0 op_sel:[0,1,0] op_sel_hi:[0,1,0]
	v_lshlrev_b32_e32 v2, 16, v14
	v_fma_mixlo_f16 v64, v19, v64, 0 op_sel_hi:[0,1,0]
	v_fma_mixlo_f16 v167, v19, v167, 0 op_sel_hi:[0,1,0]
	v_and_b32_e32 v14, 0xffff, v40
	v_fma_mixlo_f16 v40, v19, v44, 0 op_sel:[0,1,0] op_sel_hi:[0,1,0]
	v_fma_mixlo_f16 v13, v19, v13, 0 op_sel:[0,1,0] op_sel_hi:[0,1,0]
	v_fma_mixlo_f16 v19, v19, v41, 0 op_sel_hi:[0,1,0]
	v_lshlrev_b32_e32 v85, 16, v85
	v_and_b32_e32 v45, 0xffff, v64
	v_lshlrev_b32_e32 v42, 16, v40
	v_and_b32_e32 v44, 0xffff, v167
	v_lshlrev_b32_e32 v41, 16, v13
	v_and_b32_e32 v43, 0xffff, v19
	v_or_b32_e32 v13, v2, v14
	v_or_b32_e32 v40, v85, v45
	;; [unrolled: 1-line block ×3, first 2 shown]
	s_delay_alu instid0(VALU_DEP_4)
	v_or_b32_e32 v19, v41, v43
	s_and_saveexec_b32 s8, s0
	s_cbranch_execz .LBB296_3803
; %bb.3802:                             ;   in Loop: Header=BB296_2086 Depth=1
	s_wait_alu 0xfffd
	v_cndmask_b32_e32 v13, 0, v45, vcc_lo
	v_cndmask_b32_e64 v19, 0, v85, s3
	v_cndmask_b32_e64 v14, 0, v14, s1
	;; [unrolled: 1-line block ×7, first 2 shown]
	v_or_b32_e32 v40, v13, v19
	v_or_b32_e32 v13, v14, v2
	v_or_b32_e32 v167, v64, v85
	s_delay_alu instid0(VALU_DEP_4)
	v_or_b32_e32 v19, v42, v41
.LBB296_3803:                           ;   in Loop: Header=BB296_2086 Depth=1
	s_wait_alu 0xfffe
	s_or_b32 exec_lo, exec_lo, s8
	;;#ASMSTART
	v_pk_mul_f16 v2, v115, v40;

	;;#ASMEND
	;;#ASMSTART
	v_pk_mul_f16 v13, v114, v13;

	;;#ASMEND
	;; [unrolled: 4-line block ×4, first 2 shown]
	;;#ASMSTART
	v_pk_add_f16 v2, v2, v13;

	;;#ASMEND
	;;#ASMSTART
	v_pk_add_f16 v2, v2, v14;

	;;#ASMEND
	;; [unrolled: 4-line block ×3, first 2 shown]
	v_and_b32_e32 v13, 0xffff, v2
	v_lshrrev_b32_e32 v2, 16, v2
	;;#ASMSTART
	v_cvt_f32_f16 v40, v13;
	;;#ASMEND
	;;#ASMSTART
	v_cvt_f32_f16 v41, v2;
	;;#ASMEND
	flat_load_b64 v[13:14], v[11:12] offset:6656
	flat_load_b32 v19, v[26:27]
	v_mov_b32_e32 v167, 0
	s_mov_b32 s21, exec_lo
	s_wait_loadcnt_dscnt 0x101
	v_dual_mov_b32 v85, 0 :: v_dual_and_b32 v2, 0xff, v13
	s_delay_alu instid0(VALU_DEP_1)
	v_cmpx_ne_u16_e32 0, v2
	s_cbranch_execz .LBB296_3811
; %bb.3804:                             ;   in Loop: Header=BB296_2086 Depth=1
	v_mov_b32_e32 v167, 0x8000
	s_mov_b32 s22, exec_lo
	v_cmpx_ne_u16_e32 0x80, v2
	s_cbranch_execz .LBB296_3810
; %bb.3805:                             ;   in Loop: Header=BB296_2086 Depth=1
	v_and_b32_e32 v42, 0x7f, v13
	v_mov_b32_e32 v167, 0x7c01
	s_mov_b32 s23, exec_lo
	s_delay_alu instid0(VALU_DEP_2)
	v_cmpx_ne_u32_e32 0x7f, v42
	s_cbranch_execz .LBB296_3809
; %bb.3806:                             ;   in Loop: Header=BB296_2086 Depth=1
	v_and_b32_e32 v2, 7, v13
	v_lshrrev_b32_e32 v167, 3, v42
	s_mov_b32 s24, exec_lo
	v_cmpx_gt_u32_e32 8, v42
; %bb.3807:                             ;   in Loop: Header=BB296_2086 Depth=1
	s_delay_alu instid0(VALU_DEP_3) | instskip(NEXT) | instid1(VALU_DEP_1)
	v_clz_i32_u32_e32 v2, v2
	v_min_u32_e32 v2, 32, v2
	s_delay_alu instid0(VALU_DEP_1) | instskip(SKIP_1) | instid1(VALU_DEP_2)
	v_subrev_nc_u32_e32 v64, 28, v2
	v_sub_nc_u32_e32 v167, 29, v2
	v_lshlrev_b64_e32 v[42:43], v64, v[13:14]
	s_delay_alu instid0(VALU_DEP_1)
	v_and_b32_e32 v2, 7, v42
; %bb.3808:                             ;   in Loop: Header=BB296_2086 Depth=1
	s_wait_alu 0xfffe
	s_or_b32 exec_lo, exec_lo, s24
	v_lshlrev_b32_e32 v64, 8, v13
	v_lshl_add_u32 v167, v167, 10, 0x2000
	v_lshlrev_b32_e32 v2, 7, v2
	s_delay_alu instid0(VALU_DEP_3) | instskip(NEXT) | instid1(VALU_DEP_3)
	v_and_b32_e32 v64, 0x8000, v64
	v_and_b32_e32 v167, 0xfc00, v167
	s_delay_alu instid0(VALU_DEP_1)
	v_or3_b32 v167, v64, v167, v2
.LBB296_3809:                           ;   in Loop: Header=BB296_2086 Depth=1
	s_wait_alu 0xfffe
	s_or_b32 exec_lo, exec_lo, s23
.LBB296_3810:                           ;   in Loop: Header=BB296_2086 Depth=1
	s_wait_alu 0xfffe
	s_or_b32 exec_lo, exec_lo, s22
.LBB296_3811:                           ;   in Loop: Header=BB296_2086 Depth=1
	s_wait_alu 0xfffe
	s_or_b32 exec_lo, exec_lo, s21
	v_lshrrev_b16 v2, 8, v13
	s_mov_b32 s21, exec_lo
	s_delay_alu instid0(VALU_DEP_1)
	v_cmpx_ne_u16_e32 0, v2
	s_cbranch_execz .LBB296_3819
; %bb.3812:                             ;   in Loop: Header=BB296_2086 Depth=1
	v_bfrev_b32_e32 v85, 1
	s_mov_b32 s22, exec_lo
	v_cmpx_ne_u16_e32 0x80, v2
	s_cbranch_execz .LBB296_3818
; %bb.3813:                             ;   in Loop: Header=BB296_2086 Depth=1
	v_and_b32_e32 v42, 0xffff, v2
	v_mov_b32_e32 v85, 0x7c010000
	s_mov_b32 s23, exec_lo
	s_delay_alu instid0(VALU_DEP_2) | instskip(NEXT) | instid1(VALU_DEP_1)
	v_and_b32_e32 v44, 0x7f, v42
	v_cmpx_ne_u32_e32 0x7f, v44
	s_cbranch_execz .LBB296_3817
; %bb.3814:                             ;   in Loop: Header=BB296_2086 Depth=1
	v_and_b32_e32 v85, 7, v42
	v_lshrrev_b32_e32 v43, 3, v44
	s_mov_b32 s24, exec_lo
	v_cmpx_gt_u32_e32 8, v44
; %bb.3815:                             ;   in Loop: Header=BB296_2086 Depth=1
	s_delay_alu instid0(VALU_DEP_3) | instskip(NEXT) | instid1(VALU_DEP_1)
	v_clz_i32_u32_e32 v64, v85
	v_min_u32_e32 v64, 32, v64
	s_delay_alu instid0(VALU_DEP_1) | instskip(SKIP_1) | instid1(VALU_DEP_2)
	v_subrev_nc_u32_e32 v85, 28, v64
	v_sub_nc_u32_e32 v43, 29, v64
	v_lshlrev_b64_e32 v[44:45], v85, v[2:3]
	s_delay_alu instid0(VALU_DEP_1)
	v_and_b32_e32 v85, 7, v44
; %bb.3816:                             ;   in Loop: Header=BB296_2086 Depth=1
	s_wait_alu 0xfffe
	s_or_b32 exec_lo, exec_lo, s24
	v_lshlrev_b32_e32 v2, 8, v42
	v_lshl_add_u32 v64, v43, 10, 0x2000
	s_delay_alu instid0(VALU_DEP_1) | instskip(SKIP_1) | instid1(VALU_DEP_1)
	v_and_or_b32 v2, 0x8000, v2, v64
	v_lshlrev_b32_e32 v64, 23, v85
	v_lshl_or_b32 v85, v2, 16, v64
.LBB296_3817:                           ;   in Loop: Header=BB296_2086 Depth=1
	s_wait_alu 0xfffe
	s_or_b32 exec_lo, exec_lo, s23
.LBB296_3818:                           ;   in Loop: Header=BB296_2086 Depth=1
	s_wait_alu 0xfffe
	s_or_b32 exec_lo, exec_lo, s22
.LBB296_3819:                           ;   in Loop: Header=BB296_2086 Depth=1
	s_wait_alu 0xfffe
	s_or_b32 exec_lo, exec_lo, s21
	v_lshrrev_b32_e32 v2, 16, v13
	v_mov_b32_e32 v42, 0
	s_mov_b32 s21, exec_lo
	s_delay_alu instid0(VALU_DEP_2) | instskip(NEXT) | instid1(VALU_DEP_1)
	v_dual_mov_b32 v43, 0 :: v_dual_and_b32 v44, 0xff, v2
	v_cmpx_ne_u16_e32 0, v44
	s_cbranch_execz .LBB296_3827
; %bb.3820:                             ;   in Loop: Header=BB296_2086 Depth=1
	v_mov_b32_e32 v43, 0x8000
	s_mov_b32 s22, exec_lo
	v_cmpx_ne_u16_e32 0x80, v44
	s_cbranch_execz .LBB296_3826
; %bb.3821:                             ;   in Loop: Header=BB296_2086 Depth=1
	v_bfe_u32 v45, v13, 16, 7
	v_mov_b32_e32 v43, 0x7c01
	s_mov_b32 s23, exec_lo
	s_delay_alu instid0(VALU_DEP_2)
	v_cmpx_ne_u32_e32 0x7f, v45
	s_cbranch_execz .LBB296_3825
; %bb.3822:                             ;   in Loop: Header=BB296_2086 Depth=1
	v_and_b32_e32 v43, 7, v2
	v_lshrrev_b32_e32 v44, 3, v45
	s_mov_b32 s24, exec_lo
	v_cmpx_gt_u32_e32 8, v45
; %bb.3823:                             ;   in Loop: Header=BB296_2086 Depth=1
	s_delay_alu instid0(VALU_DEP_3) | instskip(NEXT) | instid1(VALU_DEP_1)
	v_clz_i32_u32_e32 v64, v43
	v_min_u32_e32 v64, 32, v64
	s_delay_alu instid0(VALU_DEP_1) | instskip(NEXT) | instid1(VALU_DEP_1)
	v_subrev_nc_u32_e32 v43, 28, v64
	v_lshlrev_b64_e32 v[43:44], v43, v[2:3]
	v_sub_nc_u32_e32 v44, 29, v64
	s_delay_alu instid0(VALU_DEP_2)
	v_and_b32_e32 v43, 7, v43
; %bb.3824:                             ;   in Loop: Header=BB296_2086 Depth=1
	s_wait_alu 0xfffe
	s_or_b32 exec_lo, exec_lo, s24
	v_lshlrev_b32_e32 v2, 8, v2
	v_lshl_add_u32 v64, v44, 10, 0x2000
	v_lshlrev_b32_e32 v43, 7, v43
	s_delay_alu instid0(VALU_DEP_3) | instskip(NEXT) | instid1(VALU_DEP_3)
	v_and_b32_e32 v2, 0x8000, v2
	v_and_b32_e32 v64, 0xfc00, v64
	s_delay_alu instid0(VALU_DEP_1)
	v_or3_b32 v43, v2, v64, v43
.LBB296_3825:                           ;   in Loop: Header=BB296_2086 Depth=1
	s_wait_alu 0xfffe
	s_or_b32 exec_lo, exec_lo, s23
.LBB296_3826:                           ;   in Loop: Header=BB296_2086 Depth=1
	s_wait_alu 0xfffe
	s_or_b32 exec_lo, exec_lo, s22
.LBB296_3827:                           ;   in Loop: Header=BB296_2086 Depth=1
	s_wait_alu 0xfffe
	s_or_b32 exec_lo, exec_lo, s21
	s_delay_alu instid0(SALU_CYCLE_1)
	s_mov_b32 s21, exec_lo
	v_cmpx_lt_u32_e32 0xffffff, v13
	s_cbranch_execz .LBB296_3835
; %bb.3828:                             ;   in Loop: Header=BB296_2086 Depth=1
	v_lshrrev_b32_e32 v2, 24, v13
	v_bfrev_b32_e32 v42, 1
	s_mov_b32 s22, exec_lo
	s_delay_alu instid0(VALU_DEP_2)
	v_cmpx_ne_u32_e32 0x80, v2
	s_cbranch_execz .LBB296_3834
; %bb.3829:                             ;   in Loop: Header=BB296_2086 Depth=1
	v_and_b32_e32 v45, 0x7f, v2
	v_mov_b32_e32 v42, 0x7c010000
	s_mov_b32 s23, exec_lo
	s_delay_alu instid0(VALU_DEP_2)
	v_cmpx_ne_u32_e32 0x7f, v45
	s_cbranch_execz .LBB296_3833
; %bb.3830:                             ;   in Loop: Header=BB296_2086 Depth=1
	v_and_b32_e32 v42, 7, v2
	v_lshrrev_b32_e32 v44, 3, v45
	s_mov_b32 s24, exec_lo
	v_cmpx_gt_u32_e32 8, v45
; %bb.3831:                             ;   in Loop: Header=BB296_2086 Depth=1
	s_delay_alu instid0(VALU_DEP_3) | instskip(NEXT) | instid1(VALU_DEP_1)
	v_clz_i32_u32_e32 v64, v42
	v_min_u32_e32 v64, 32, v64
	s_delay_alu instid0(VALU_DEP_1) | instskip(SKIP_1) | instid1(VALU_DEP_2)
	v_subrev_nc_u32_e32 v42, 28, v64
	v_sub_nc_u32_e32 v44, 29, v64
	v_lshlrev_b64_e32 v[45:46], v42, v[2:3]
	s_delay_alu instid0(VALU_DEP_1)
	v_and_b32_e32 v42, 7, v45
; %bb.3832:                             ;   in Loop: Header=BB296_2086 Depth=1
	s_wait_alu 0xfffe
	s_or_b32 exec_lo, exec_lo, s24
	v_lshlrev_b32_e32 v2, 8, v2
	v_lshl_add_u32 v64, v44, 10, 0x2000
	s_delay_alu instid0(VALU_DEP_1) | instskip(SKIP_1) | instid1(VALU_DEP_1)
	v_and_or_b32 v2, 0x8000, v2, v64
	v_lshlrev_b32_e32 v64, 23, v42
	v_lshl_or_b32 v42, v2, 16, v64
.LBB296_3833:                           ;   in Loop: Header=BB296_2086 Depth=1
	s_wait_alu 0xfffe
	s_or_b32 exec_lo, exec_lo, s23
.LBB296_3834:                           ;   in Loop: Header=BB296_2086 Depth=1
	s_wait_alu 0xfffe
	s_or_b32 exec_lo, exec_lo, s22
.LBB296_3835:                           ;   in Loop: Header=BB296_2086 Depth=1
	s_wait_alu 0xfffe
	s_or_b32 exec_lo, exec_lo, s21
	v_dual_mov_b32 v45, 0 :: v_dual_and_b32 v46, 0xff, v14
	v_mov_b32_e32 v2, v14
	v_mov_b32_e32 v44, 0
	s_mov_b32 s21, exec_lo
	s_delay_alu instid0(VALU_DEP_3)
	v_cmpx_ne_u16_e32 0, v46
	s_cbranch_execz .LBB296_3843
; %bb.3836:                             ;   in Loop: Header=BB296_2086 Depth=1
	v_mov_b32_e32 v45, 0x8000
	s_mov_b32 s22, exec_lo
	v_cmpx_ne_u16_e32 0x80, v46
	s_cbranch_execz .LBB296_3842
; %bb.3837:                             ;   in Loop: Header=BB296_2086 Depth=1
	v_and_b32_e32 v47, 0x7f, v14
	v_mov_b32_e32 v45, 0x7c01
	s_mov_b32 s23, exec_lo
	s_delay_alu instid0(VALU_DEP_2)
	v_cmpx_ne_u32_e32 0x7f, v47
	s_cbranch_execz .LBB296_3841
; %bb.3838:                             ;   in Loop: Header=BB296_2086 Depth=1
	v_and_b32_e32 v45, 7, v14
	v_lshrrev_b32_e32 v46, 3, v47
	s_mov_b32 s24, exec_lo
	v_cmpx_gt_u32_e32 8, v47
; %bb.3839:                             ;   in Loop: Header=BB296_2086 Depth=1
	s_delay_alu instid0(VALU_DEP_3) | instskip(NEXT) | instid1(VALU_DEP_1)
	v_clz_i32_u32_e32 v64, v45
	v_min_u32_e32 v64, 32, v64
	s_delay_alu instid0(VALU_DEP_1) | instskip(NEXT) | instid1(VALU_DEP_1)
	v_subrev_nc_u32_e32 v45, 28, v64
	v_lshlrev_b64_e32 v[45:46], v45, v[2:3]
	v_sub_nc_u32_e32 v46, 29, v64
	s_delay_alu instid0(VALU_DEP_2)
	v_and_b32_e32 v45, 7, v45
; %bb.3840:                             ;   in Loop: Header=BB296_2086 Depth=1
	s_wait_alu 0xfffe
	s_or_b32 exec_lo, exec_lo, s24
	v_lshlrev_b32_e32 v64, 8, v14
	v_lshl_add_u32 v46, v46, 10, 0x2000
	v_lshlrev_b32_e32 v45, 7, v45
	s_delay_alu instid0(VALU_DEP_3) | instskip(NEXT) | instid1(VALU_DEP_3)
	v_and_b32_e32 v64, 0x8000, v64
	v_and_b32_e32 v46, 0xfc00, v46
	s_delay_alu instid0(VALU_DEP_1)
	v_or3_b32 v45, v64, v46, v45
.LBB296_3841:                           ;   in Loop: Header=BB296_2086 Depth=1
	s_wait_alu 0xfffe
	s_or_b32 exec_lo, exec_lo, s23
.LBB296_3842:                           ;   in Loop: Header=BB296_2086 Depth=1
	s_wait_alu 0xfffe
	s_or_b32 exec_lo, exec_lo, s22
.LBB296_3843:                           ;   in Loop: Header=BB296_2086 Depth=1
	s_wait_alu 0xfffe
	s_or_b32 exec_lo, exec_lo, s21
	v_lshrrev_b16 v2, 8, v2
	v_mov_b32_e32 v46, 0
	s_mov_b32 s21, exec_lo
	s_delay_alu instid0(VALU_DEP_2)
	v_cmpx_ne_u16_e32 0, v2
	s_cbranch_execz .LBB296_3851
; %bb.3844:                             ;   in Loop: Header=BB296_2086 Depth=1
	v_bfrev_b32_e32 v46, 1
	s_mov_b32 s22, exec_lo
	v_cmpx_ne_u16_e32 0x80, v2
	s_cbranch_execz .LBB296_3850
; %bb.3845:                             ;   in Loop: Header=BB296_2086 Depth=1
	v_and_b32_e32 v47, 0xffff, v2
	v_mov_b32_e32 v46, 0x7c010000
	s_mov_b32 s23, exec_lo
	s_delay_alu instid0(VALU_DEP_2) | instskip(NEXT) | instid1(VALU_DEP_1)
	v_and_b32_e32 v57, 0x7f, v47
	v_cmpx_ne_u32_e32 0x7f, v57
	s_cbranch_execz .LBB296_3849
; %bb.3846:                             ;   in Loop: Header=BB296_2086 Depth=1
	v_and_b32_e32 v46, 7, v47
	v_lshrrev_b32_e32 v56, 3, v57
	s_mov_b32 s24, exec_lo
	v_cmpx_gt_u32_e32 8, v57
; %bb.3847:                             ;   in Loop: Header=BB296_2086 Depth=1
	s_delay_alu instid0(VALU_DEP_3) | instskip(NEXT) | instid1(VALU_DEP_1)
	v_clz_i32_u32_e32 v64, v46
	v_min_u32_e32 v64, 32, v64
	s_delay_alu instid0(VALU_DEP_1) | instskip(SKIP_1) | instid1(VALU_DEP_2)
	v_subrev_nc_u32_e32 v46, 28, v64
	v_sub_nc_u32_e32 v56, 29, v64
	v_lshlrev_b64_e32 v[57:58], v46, v[2:3]
	s_delay_alu instid0(VALU_DEP_1)
	v_and_b32_e32 v46, 7, v57
; %bb.3848:                             ;   in Loop: Header=BB296_2086 Depth=1
	s_wait_alu 0xfffe
	s_or_b32 exec_lo, exec_lo, s24
	v_lshlrev_b32_e32 v2, 8, v47
	v_lshl_add_u32 v64, v56, 10, 0x2000
	s_delay_alu instid0(VALU_DEP_1) | instskip(SKIP_1) | instid1(VALU_DEP_1)
	v_and_or_b32 v2, 0x8000, v2, v64
	v_lshlrev_b32_e32 v64, 23, v46
	v_lshl_or_b32 v46, v2, 16, v64
.LBB296_3849:                           ;   in Loop: Header=BB296_2086 Depth=1
	s_wait_alu 0xfffe
	s_or_b32 exec_lo, exec_lo, s23
.LBB296_3850:                           ;   in Loop: Header=BB296_2086 Depth=1
	s_wait_alu 0xfffe
	s_or_b32 exec_lo, exec_lo, s22
.LBB296_3851:                           ;   in Loop: Header=BB296_2086 Depth=1
	s_wait_alu 0xfffe
	s_or_b32 exec_lo, exec_lo, s21
	v_lshrrev_b32_e32 v2, 16, v14
	s_mov_b32 s21, exec_lo
	s_delay_alu instid0(VALU_DEP_1) | instskip(NEXT) | instid1(VALU_DEP_1)
	v_and_b32_e32 v47, 0xff, v2
	v_cmpx_ne_u16_e32 0, v47
	s_cbranch_execz .LBB296_3859
; %bb.3852:                             ;   in Loop: Header=BB296_2086 Depth=1
	v_mov_b32_e32 v44, 0x8000
	s_mov_b32 s22, exec_lo
	v_cmpx_ne_u16_e32 0x80, v47
	s_cbranch_execz .LBB296_3858
; %bb.3853:                             ;   in Loop: Header=BB296_2086 Depth=1
	v_bfe_u32 v56, v14, 16, 7
	v_mov_b32_e32 v44, 0x7c01
	s_mov_b32 s23, exec_lo
	s_delay_alu instid0(VALU_DEP_2)
	v_cmpx_ne_u32_e32 0x7f, v56
	s_cbranch_execz .LBB296_3857
; %bb.3854:                             ;   in Loop: Header=BB296_2086 Depth=1
	v_and_b32_e32 v44, 7, v2
	v_lshrrev_b32_e32 v47, 3, v56
	s_mov_b32 s24, exec_lo
	v_cmpx_gt_u32_e32 8, v56
; %bb.3855:                             ;   in Loop: Header=BB296_2086 Depth=1
	s_delay_alu instid0(VALU_DEP_3) | instskip(NEXT) | instid1(VALU_DEP_1)
	v_clz_i32_u32_e32 v64, v44
	v_min_u32_e32 v64, 32, v64
	s_delay_alu instid0(VALU_DEP_1) | instskip(SKIP_1) | instid1(VALU_DEP_2)
	v_subrev_nc_u32_e32 v44, 28, v64
	v_sub_nc_u32_e32 v47, 29, v64
	v_lshlrev_b64_e32 v[56:57], v44, v[2:3]
	s_delay_alu instid0(VALU_DEP_1)
	v_and_b32_e32 v44, 7, v56
; %bb.3856:                             ;   in Loop: Header=BB296_2086 Depth=1
	s_wait_alu 0xfffe
	s_or_b32 exec_lo, exec_lo, s24
	v_lshlrev_b32_e32 v2, 8, v2
	v_lshl_add_u32 v64, v47, 10, 0x2000
	v_lshlrev_b32_e32 v44, 7, v44
	s_delay_alu instid0(VALU_DEP_3) | instskip(NEXT) | instid1(VALU_DEP_3)
	v_and_b32_e32 v2, 0x8000, v2
	v_and_b32_e32 v64, 0xfc00, v64
	s_delay_alu instid0(VALU_DEP_1)
	v_or3_b32 v44, v2, v64, v44
.LBB296_3857:                           ;   in Loop: Header=BB296_2086 Depth=1
	s_wait_alu 0xfffe
	s_or_b32 exec_lo, exec_lo, s23
.LBB296_3858:                           ;   in Loop: Header=BB296_2086 Depth=1
	s_wait_alu 0xfffe
	s_or_b32 exec_lo, exec_lo, s22
.LBB296_3859:                           ;   in Loop: Header=BB296_2086 Depth=1
	s_wait_alu 0xfffe
	s_or_b32 exec_lo, exec_lo, s21
	v_cmp_lt_u64_e64 s8, s[16:17], v[13:14]
	v_mov_b32_e32 v13, 0
	s_and_saveexec_b32 s21, s8
	s_cbranch_execz .LBB296_3867
; %bb.3860:                             ;   in Loop: Header=BB296_2086 Depth=1
	v_lshrrev_b32_e32 v2, 24, v14
	v_bfrev_b32_e32 v13, 1
	s_mov_b32 s22, exec_lo
	s_delay_alu instid0(VALU_DEP_2)
	v_cmpx_ne_u32_e32 0x80, v2
	s_cbranch_execz .LBB296_3866
; %bb.3861:                             ;   in Loop: Header=BB296_2086 Depth=1
	v_and_b32_e32 v47, 0x7f, v2
	v_mov_b32_e32 v13, 0x7c010000
	s_mov_b32 s23, exec_lo
	s_delay_alu instid0(VALU_DEP_2)
	v_cmpx_ne_u32_e32 0x7f, v47
	s_cbranch_execz .LBB296_3865
; %bb.3862:                             ;   in Loop: Header=BB296_2086 Depth=1
	v_and_b32_e32 v13, 7, v2
	v_lshrrev_b32_e32 v14, 3, v47
	s_mov_b32 s24, exec_lo
	v_cmpx_gt_u32_e32 8, v47
; %bb.3863:                             ;   in Loop: Header=BB296_2086 Depth=1
	s_delay_alu instid0(VALU_DEP_3) | instskip(NEXT) | instid1(VALU_DEP_1)
	v_clz_i32_u32_e32 v13, v13
	v_min_u32_e32 v64, 32, v13
	s_delay_alu instid0(VALU_DEP_1) | instskip(NEXT) | instid1(VALU_DEP_1)
	v_subrev_nc_u32_e32 v13, 28, v64
	v_lshlrev_b64_e32 v[13:14], v13, v[2:3]
	v_sub_nc_u32_e32 v14, 29, v64
	s_delay_alu instid0(VALU_DEP_2)
	v_and_b32_e32 v13, 7, v13
; %bb.3864:                             ;   in Loop: Header=BB296_2086 Depth=1
	s_wait_alu 0xfffe
	s_or_b32 exec_lo, exec_lo, s24
	v_lshlrev_b32_e32 v2, 8, v2
	v_lshl_add_u32 v14, v14, 10, 0x2000
	v_lshlrev_b32_e32 v13, 23, v13
	s_delay_alu instid0(VALU_DEP_2) | instskip(NEXT) | instid1(VALU_DEP_1)
	v_and_or_b32 v2, 0x8000, v2, v14
	v_lshl_or_b32 v13, v2, 16, v13
.LBB296_3865:                           ;   in Loop: Header=BB296_2086 Depth=1
	s_wait_alu 0xfffe
	s_or_b32 exec_lo, exec_lo, s23
.LBB296_3866:                           ;   in Loop: Header=BB296_2086 Depth=1
	s_wait_alu 0xfffe
	s_or_b32 exec_lo, exec_lo, s22
.LBB296_3867:                           ;   in Loop: Header=BB296_2086 Depth=1
	s_wait_alu 0xfffe
	s_or_b32 exec_lo, exec_lo, s21
	v_or_b32_e32 v2, v42, v43
	s_wait_loadcnt_dscnt 0x0
	v_fma_mixlo_f16 v14, v19, v42, 0 op_sel:[0,1,0] op_sel_hi:[0,1,0]
	v_or_b32_e32 v64, v85, v167
	v_or_b32_e32 v167, v46, v45
	;; [unrolled: 1-line block ×3, first 2 shown]
	v_fma_mixlo_f16 v42, v19, v2, 0 op_sel_hi:[0,1,0]
	v_fma_mixlo_f16 v85, v19, v85, 0 op_sel:[0,1,0] op_sel_hi:[0,1,0]
	v_lshlrev_b32_e32 v2, 16, v14
	v_fma_mixlo_f16 v64, v19, v64, 0 op_sel_hi:[0,1,0]
	v_fma_mixlo_f16 v167, v19, v167, 0 op_sel_hi:[0,1,0]
	v_and_b32_e32 v14, 0xffff, v42
	v_fma_mixlo_f16 v42, v19, v46, 0 op_sel:[0,1,0] op_sel_hi:[0,1,0]
	v_fma_mixlo_f16 v13, v19, v13, 0 op_sel:[0,1,0] op_sel_hi:[0,1,0]
	v_fma_mixlo_f16 v19, v19, v43, 0 op_sel_hi:[0,1,0]
	v_lshlrev_b32_e32 v85, 16, v85
	v_and_b32_e32 v47, 0xffff, v64
	v_lshlrev_b32_e32 v44, 16, v42
	v_and_b32_e32 v46, 0xffff, v167
	;; [unrolled: 2-line block ×3, first 2 shown]
	v_or_b32_e32 v13, v2, v14
	v_or_b32_e32 v42, v85, v47
	;; [unrolled: 1-line block ×3, first 2 shown]
	s_delay_alu instid0(VALU_DEP_4)
	v_or_b32_e32 v19, v43, v45
	s_and_saveexec_b32 s8, s0
	s_cbranch_execz .LBB296_3869
; %bb.3868:                             ;   in Loop: Header=BB296_2086 Depth=1
	s_wait_alu 0xfffd
	v_cndmask_b32_e32 v13, 0, v47, vcc_lo
	v_cndmask_b32_e64 v19, 0, v85, s3
	v_cndmask_b32_e64 v14, 0, v14, s1
	;; [unrolled: 1-line block ×7, first 2 shown]
	v_or_b32_e32 v42, v13, v19
	v_or_b32_e32 v13, v14, v2
	;; [unrolled: 1-line block ×3, first 2 shown]
	s_delay_alu instid0(VALU_DEP_4)
	v_or_b32_e32 v19, v44, v43
.LBB296_3869:                           ;   in Loop: Header=BB296_2086 Depth=1
	s_wait_alu 0xfffe
	s_or_b32 exec_lo, exec_lo, s8
	;;#ASMSTART
	v_pk_mul_f16 v2, v115, v42;

	;;#ASMEND
	;;#ASMSTART
	v_pk_mul_f16 v13, v114, v13;

	;;#ASMEND
	;; [unrolled: 4-line block ×4, first 2 shown]
	;;#ASMSTART
	v_pk_add_f16 v2, v2, v13;

	;;#ASMEND
	;;#ASMSTART
	v_pk_add_f16 v2, v2, v14;

	;;#ASMEND
	;; [unrolled: 4-line block ×3, first 2 shown]
	v_and_b32_e32 v13, 0xffff, v2
	v_lshrrev_b32_e32 v2, 16, v2
	;;#ASMSTART
	v_cvt_f32_f16 v42, v13;
	;;#ASMEND
	;;#ASMSTART
	v_cvt_f32_f16 v43, v2;
	;;#ASMEND
	flat_load_b64 v[13:14], v[11:12] offset:6912
	flat_load_b32 v19, v[26:27]
	v_mov_b32_e32 v167, 0
	s_mov_b32 s21, exec_lo
	s_wait_loadcnt_dscnt 0x101
	v_dual_mov_b32 v85, 0 :: v_dual_and_b32 v2, 0xff, v13
	s_delay_alu instid0(VALU_DEP_1)
	v_cmpx_ne_u16_e32 0, v2
	s_cbranch_execz .LBB296_3877
; %bb.3870:                             ;   in Loop: Header=BB296_2086 Depth=1
	v_mov_b32_e32 v167, 0x8000
	s_mov_b32 s22, exec_lo
	v_cmpx_ne_u16_e32 0x80, v2
	s_cbranch_execz .LBB296_3876
; %bb.3871:                             ;   in Loop: Header=BB296_2086 Depth=1
	v_and_b32_e32 v44, 0x7f, v13
	v_mov_b32_e32 v167, 0x7c01
	s_mov_b32 s23, exec_lo
	s_delay_alu instid0(VALU_DEP_2)
	v_cmpx_ne_u32_e32 0x7f, v44
	s_cbranch_execz .LBB296_3875
; %bb.3872:                             ;   in Loop: Header=BB296_2086 Depth=1
	v_and_b32_e32 v2, 7, v13
	v_lshrrev_b32_e32 v167, 3, v44
	s_mov_b32 s24, exec_lo
	v_cmpx_gt_u32_e32 8, v44
; %bb.3873:                             ;   in Loop: Header=BB296_2086 Depth=1
	s_delay_alu instid0(VALU_DEP_3) | instskip(NEXT) | instid1(VALU_DEP_1)
	v_clz_i32_u32_e32 v2, v2
	v_min_u32_e32 v2, 32, v2
	s_delay_alu instid0(VALU_DEP_1) | instskip(SKIP_1) | instid1(VALU_DEP_2)
	v_subrev_nc_u32_e32 v64, 28, v2
	v_sub_nc_u32_e32 v167, 29, v2
	v_lshlrev_b64_e32 v[44:45], v64, v[13:14]
	s_delay_alu instid0(VALU_DEP_1)
	v_and_b32_e32 v2, 7, v44
; %bb.3874:                             ;   in Loop: Header=BB296_2086 Depth=1
	s_wait_alu 0xfffe
	s_or_b32 exec_lo, exec_lo, s24
	v_lshlrev_b32_e32 v64, 8, v13
	v_lshl_add_u32 v167, v167, 10, 0x2000
	v_lshlrev_b32_e32 v2, 7, v2
	s_delay_alu instid0(VALU_DEP_3) | instskip(NEXT) | instid1(VALU_DEP_3)
	v_and_b32_e32 v64, 0x8000, v64
	v_and_b32_e32 v167, 0xfc00, v167
	s_delay_alu instid0(VALU_DEP_1)
	v_or3_b32 v167, v64, v167, v2
.LBB296_3875:                           ;   in Loop: Header=BB296_2086 Depth=1
	s_wait_alu 0xfffe
	s_or_b32 exec_lo, exec_lo, s23
.LBB296_3876:                           ;   in Loop: Header=BB296_2086 Depth=1
	s_wait_alu 0xfffe
	s_or_b32 exec_lo, exec_lo, s22
.LBB296_3877:                           ;   in Loop: Header=BB296_2086 Depth=1
	s_wait_alu 0xfffe
	s_or_b32 exec_lo, exec_lo, s21
	v_lshrrev_b16 v2, 8, v13
	s_mov_b32 s21, exec_lo
	s_delay_alu instid0(VALU_DEP_1)
	v_cmpx_ne_u16_e32 0, v2
	s_cbranch_execz .LBB296_3885
; %bb.3878:                             ;   in Loop: Header=BB296_2086 Depth=1
	v_bfrev_b32_e32 v85, 1
	s_mov_b32 s22, exec_lo
	v_cmpx_ne_u16_e32 0x80, v2
	s_cbranch_execz .LBB296_3884
; %bb.3879:                             ;   in Loop: Header=BB296_2086 Depth=1
	v_and_b32_e32 v44, 0xffff, v2
	v_mov_b32_e32 v85, 0x7c010000
	s_mov_b32 s23, exec_lo
	s_delay_alu instid0(VALU_DEP_2) | instskip(NEXT) | instid1(VALU_DEP_1)
	v_and_b32_e32 v46, 0x7f, v44
	v_cmpx_ne_u32_e32 0x7f, v46
	s_cbranch_execz .LBB296_3883
; %bb.3880:                             ;   in Loop: Header=BB296_2086 Depth=1
	v_and_b32_e32 v85, 7, v44
	v_lshrrev_b32_e32 v45, 3, v46
	s_mov_b32 s24, exec_lo
	v_cmpx_gt_u32_e32 8, v46
; %bb.3881:                             ;   in Loop: Header=BB296_2086 Depth=1
	s_delay_alu instid0(VALU_DEP_3) | instskip(NEXT) | instid1(VALU_DEP_1)
	v_clz_i32_u32_e32 v64, v85
	v_min_u32_e32 v64, 32, v64
	s_delay_alu instid0(VALU_DEP_1) | instskip(SKIP_1) | instid1(VALU_DEP_2)
	v_subrev_nc_u32_e32 v85, 28, v64
	v_sub_nc_u32_e32 v45, 29, v64
	v_lshlrev_b64_e32 v[46:47], v85, v[2:3]
	s_delay_alu instid0(VALU_DEP_1)
	v_and_b32_e32 v85, 7, v46
; %bb.3882:                             ;   in Loop: Header=BB296_2086 Depth=1
	s_wait_alu 0xfffe
	s_or_b32 exec_lo, exec_lo, s24
	v_lshlrev_b32_e32 v2, 8, v44
	v_lshl_add_u32 v64, v45, 10, 0x2000
	s_delay_alu instid0(VALU_DEP_1) | instskip(SKIP_1) | instid1(VALU_DEP_1)
	v_and_or_b32 v2, 0x8000, v2, v64
	v_lshlrev_b32_e32 v64, 23, v85
	v_lshl_or_b32 v85, v2, 16, v64
.LBB296_3883:                           ;   in Loop: Header=BB296_2086 Depth=1
	s_wait_alu 0xfffe
	s_or_b32 exec_lo, exec_lo, s23
.LBB296_3884:                           ;   in Loop: Header=BB296_2086 Depth=1
	s_wait_alu 0xfffe
	s_or_b32 exec_lo, exec_lo, s22
.LBB296_3885:                           ;   in Loop: Header=BB296_2086 Depth=1
	s_wait_alu 0xfffe
	s_or_b32 exec_lo, exec_lo, s21
	v_lshrrev_b32_e32 v2, 16, v13
	v_mov_b32_e32 v44, 0
	s_mov_b32 s21, exec_lo
	s_delay_alu instid0(VALU_DEP_2) | instskip(NEXT) | instid1(VALU_DEP_1)
	v_dual_mov_b32 v45, 0 :: v_dual_and_b32 v46, 0xff, v2
	v_cmpx_ne_u16_e32 0, v46
	s_cbranch_execz .LBB296_3893
; %bb.3886:                             ;   in Loop: Header=BB296_2086 Depth=1
	v_mov_b32_e32 v45, 0x8000
	s_mov_b32 s22, exec_lo
	v_cmpx_ne_u16_e32 0x80, v46
	s_cbranch_execz .LBB296_3892
; %bb.3887:                             ;   in Loop: Header=BB296_2086 Depth=1
	v_bfe_u32 v47, v13, 16, 7
	v_mov_b32_e32 v45, 0x7c01
	s_mov_b32 s23, exec_lo
	s_delay_alu instid0(VALU_DEP_2)
	v_cmpx_ne_u32_e32 0x7f, v47
	s_cbranch_execz .LBB296_3891
; %bb.3888:                             ;   in Loop: Header=BB296_2086 Depth=1
	v_and_b32_e32 v45, 7, v2
	v_lshrrev_b32_e32 v46, 3, v47
	s_mov_b32 s24, exec_lo
	v_cmpx_gt_u32_e32 8, v47
; %bb.3889:                             ;   in Loop: Header=BB296_2086 Depth=1
	s_delay_alu instid0(VALU_DEP_3) | instskip(NEXT) | instid1(VALU_DEP_1)
	v_clz_i32_u32_e32 v64, v45
	v_min_u32_e32 v64, 32, v64
	s_delay_alu instid0(VALU_DEP_1) | instskip(NEXT) | instid1(VALU_DEP_1)
	v_subrev_nc_u32_e32 v45, 28, v64
	v_lshlrev_b64_e32 v[45:46], v45, v[2:3]
	v_sub_nc_u32_e32 v46, 29, v64
	s_delay_alu instid0(VALU_DEP_2)
	v_and_b32_e32 v45, 7, v45
; %bb.3890:                             ;   in Loop: Header=BB296_2086 Depth=1
	s_wait_alu 0xfffe
	s_or_b32 exec_lo, exec_lo, s24
	v_lshlrev_b32_e32 v2, 8, v2
	v_lshl_add_u32 v64, v46, 10, 0x2000
	v_lshlrev_b32_e32 v45, 7, v45
	s_delay_alu instid0(VALU_DEP_3) | instskip(NEXT) | instid1(VALU_DEP_3)
	v_and_b32_e32 v2, 0x8000, v2
	v_and_b32_e32 v64, 0xfc00, v64
	s_delay_alu instid0(VALU_DEP_1)
	v_or3_b32 v45, v2, v64, v45
.LBB296_3891:                           ;   in Loop: Header=BB296_2086 Depth=1
	s_wait_alu 0xfffe
	s_or_b32 exec_lo, exec_lo, s23
.LBB296_3892:                           ;   in Loop: Header=BB296_2086 Depth=1
	s_wait_alu 0xfffe
	s_or_b32 exec_lo, exec_lo, s22
.LBB296_3893:                           ;   in Loop: Header=BB296_2086 Depth=1
	s_wait_alu 0xfffe
	s_or_b32 exec_lo, exec_lo, s21
	s_delay_alu instid0(SALU_CYCLE_1)
	s_mov_b32 s21, exec_lo
	v_cmpx_lt_u32_e32 0xffffff, v13
	s_cbranch_execz .LBB296_3901
; %bb.3894:                             ;   in Loop: Header=BB296_2086 Depth=1
	v_lshrrev_b32_e32 v2, 24, v13
	v_bfrev_b32_e32 v44, 1
	s_mov_b32 s22, exec_lo
	s_delay_alu instid0(VALU_DEP_2)
	v_cmpx_ne_u32_e32 0x80, v2
	s_cbranch_execz .LBB296_3900
; %bb.3895:                             ;   in Loop: Header=BB296_2086 Depth=1
	v_and_b32_e32 v47, 0x7f, v2
	v_mov_b32_e32 v44, 0x7c010000
	s_mov_b32 s23, exec_lo
	s_delay_alu instid0(VALU_DEP_2)
	v_cmpx_ne_u32_e32 0x7f, v47
	s_cbranch_execz .LBB296_3899
; %bb.3896:                             ;   in Loop: Header=BB296_2086 Depth=1
	v_and_b32_e32 v44, 7, v2
	v_lshrrev_b32_e32 v46, 3, v47
	s_mov_b32 s24, exec_lo
	v_cmpx_gt_u32_e32 8, v47
; %bb.3897:                             ;   in Loop: Header=BB296_2086 Depth=1
	s_delay_alu instid0(VALU_DEP_3) | instskip(NEXT) | instid1(VALU_DEP_1)
	v_clz_i32_u32_e32 v64, v44
	v_min_u32_e32 v64, 32, v64
	s_delay_alu instid0(VALU_DEP_1) | instskip(SKIP_1) | instid1(VALU_DEP_2)
	v_subrev_nc_u32_e32 v44, 28, v64
	v_sub_nc_u32_e32 v46, 29, v64
	v_lshlrev_b64_e32 v[56:57], v44, v[2:3]
	s_delay_alu instid0(VALU_DEP_1)
	v_and_b32_e32 v44, 7, v56
; %bb.3898:                             ;   in Loop: Header=BB296_2086 Depth=1
	s_wait_alu 0xfffe
	s_or_b32 exec_lo, exec_lo, s24
	v_lshlrev_b32_e32 v2, 8, v2
	v_lshl_add_u32 v64, v46, 10, 0x2000
	s_delay_alu instid0(VALU_DEP_1) | instskip(SKIP_1) | instid1(VALU_DEP_1)
	v_and_or_b32 v2, 0x8000, v2, v64
	v_lshlrev_b32_e32 v64, 23, v44
	v_lshl_or_b32 v44, v2, 16, v64
.LBB296_3899:                           ;   in Loop: Header=BB296_2086 Depth=1
	s_wait_alu 0xfffe
	s_or_b32 exec_lo, exec_lo, s23
.LBB296_3900:                           ;   in Loop: Header=BB296_2086 Depth=1
	s_wait_alu 0xfffe
	s_or_b32 exec_lo, exec_lo, s22
.LBB296_3901:                           ;   in Loop: Header=BB296_2086 Depth=1
	s_wait_alu 0xfffe
	s_or_b32 exec_lo, exec_lo, s21
	v_dual_mov_b32 v47, 0 :: v_dual_and_b32 v56, 0xff, v14
	v_mov_b32_e32 v2, v14
	v_mov_b32_e32 v46, 0
	s_mov_b32 s21, exec_lo
	s_delay_alu instid0(VALU_DEP_3)
	v_cmpx_ne_u16_e32 0, v56
	s_cbranch_execz .LBB296_3909
; %bb.3902:                             ;   in Loop: Header=BB296_2086 Depth=1
	v_mov_b32_e32 v47, 0x8000
	s_mov_b32 s22, exec_lo
	v_cmpx_ne_u16_e32 0x80, v56
	s_cbranch_execz .LBB296_3908
; %bb.3903:                             ;   in Loop: Header=BB296_2086 Depth=1
	v_and_b32_e32 v57, 0x7f, v14
	v_mov_b32_e32 v47, 0x7c01
	s_mov_b32 s23, exec_lo
	s_delay_alu instid0(VALU_DEP_2)
	v_cmpx_ne_u32_e32 0x7f, v57
	s_cbranch_execz .LBB296_3907
; %bb.3904:                             ;   in Loop: Header=BB296_2086 Depth=1
	v_and_b32_e32 v47, 7, v14
	v_lshrrev_b32_e32 v56, 3, v57
	s_mov_b32 s24, exec_lo
	v_cmpx_gt_u32_e32 8, v57
; %bb.3905:                             ;   in Loop: Header=BB296_2086 Depth=1
	s_delay_alu instid0(VALU_DEP_3) | instskip(NEXT) | instid1(VALU_DEP_1)
	v_clz_i32_u32_e32 v64, v47
	v_min_u32_e32 v64, 32, v64
	s_delay_alu instid0(VALU_DEP_1) | instskip(SKIP_1) | instid1(VALU_DEP_2)
	v_subrev_nc_u32_e32 v47, 28, v64
	v_sub_nc_u32_e32 v56, 29, v64
	v_lshlrev_b64_e32 v[57:58], v47, v[2:3]
	s_delay_alu instid0(VALU_DEP_1)
	v_and_b32_e32 v47, 7, v57
; %bb.3906:                             ;   in Loop: Header=BB296_2086 Depth=1
	s_wait_alu 0xfffe
	s_or_b32 exec_lo, exec_lo, s24
	v_lshlrev_b32_e32 v64, 8, v14
	v_lshl_add_u32 v56, v56, 10, 0x2000
	v_lshlrev_b32_e32 v47, 7, v47
	s_delay_alu instid0(VALU_DEP_3) | instskip(NEXT) | instid1(VALU_DEP_3)
	v_and_b32_e32 v64, 0x8000, v64
	v_and_b32_e32 v56, 0xfc00, v56
	s_delay_alu instid0(VALU_DEP_1)
	v_or3_b32 v47, v64, v56, v47
.LBB296_3907:                           ;   in Loop: Header=BB296_2086 Depth=1
	s_wait_alu 0xfffe
	s_or_b32 exec_lo, exec_lo, s23
.LBB296_3908:                           ;   in Loop: Header=BB296_2086 Depth=1
	s_wait_alu 0xfffe
	s_or_b32 exec_lo, exec_lo, s22
.LBB296_3909:                           ;   in Loop: Header=BB296_2086 Depth=1
	s_wait_alu 0xfffe
	s_or_b32 exec_lo, exec_lo, s21
	v_lshrrev_b16 v2, 8, v2
	v_mov_b32_e32 v56, 0
	s_mov_b32 s21, exec_lo
	s_delay_alu instid0(VALU_DEP_2)
	v_cmpx_ne_u16_e32 0, v2
	s_cbranch_execz .LBB296_3917
; %bb.3910:                             ;   in Loop: Header=BB296_2086 Depth=1
	v_bfrev_b32_e32 v56, 1
	s_mov_b32 s22, exec_lo
	v_cmpx_ne_u16_e32 0x80, v2
	s_cbranch_execz .LBB296_3916
; %bb.3911:                             ;   in Loop: Header=BB296_2086 Depth=1
	v_and_b32_e32 v57, 0xffff, v2
	v_mov_b32_e32 v56, 0x7c010000
	s_mov_b32 s23, exec_lo
	s_delay_alu instid0(VALU_DEP_2) | instskip(NEXT) | instid1(VALU_DEP_1)
	v_and_b32_e32 v59, 0x7f, v57
	v_cmpx_ne_u32_e32 0x7f, v59
	s_cbranch_execz .LBB296_3915
; %bb.3912:                             ;   in Loop: Header=BB296_2086 Depth=1
	v_and_b32_e32 v56, 7, v57
	v_lshrrev_b32_e32 v58, 3, v59
	s_mov_b32 s24, exec_lo
	v_cmpx_gt_u32_e32 8, v59
; %bb.3913:                             ;   in Loop: Header=BB296_2086 Depth=1
	s_delay_alu instid0(VALU_DEP_3) | instskip(NEXT) | instid1(VALU_DEP_1)
	v_clz_i32_u32_e32 v64, v56
	v_min_u32_e32 v64, 32, v64
	s_delay_alu instid0(VALU_DEP_1) | instskip(SKIP_1) | instid1(VALU_DEP_2)
	v_subrev_nc_u32_e32 v56, 28, v64
	v_sub_nc_u32_e32 v58, 29, v64
	v_lshlrev_b64_e32 v[59:60], v56, v[2:3]
	s_delay_alu instid0(VALU_DEP_1)
	v_and_b32_e32 v56, 7, v59
; %bb.3914:                             ;   in Loop: Header=BB296_2086 Depth=1
	s_wait_alu 0xfffe
	s_or_b32 exec_lo, exec_lo, s24
	v_lshlrev_b32_e32 v2, 8, v57
	v_lshl_add_u32 v64, v58, 10, 0x2000
	s_delay_alu instid0(VALU_DEP_1) | instskip(SKIP_1) | instid1(VALU_DEP_1)
	v_and_or_b32 v2, 0x8000, v2, v64
	v_lshlrev_b32_e32 v64, 23, v56
	v_lshl_or_b32 v56, v2, 16, v64
.LBB296_3915:                           ;   in Loop: Header=BB296_2086 Depth=1
	s_wait_alu 0xfffe
	s_or_b32 exec_lo, exec_lo, s23
.LBB296_3916:                           ;   in Loop: Header=BB296_2086 Depth=1
	s_wait_alu 0xfffe
	s_or_b32 exec_lo, exec_lo, s22
.LBB296_3917:                           ;   in Loop: Header=BB296_2086 Depth=1
	s_wait_alu 0xfffe
	s_or_b32 exec_lo, exec_lo, s21
	v_lshrrev_b32_e32 v2, 16, v14
	s_mov_b32 s21, exec_lo
	s_delay_alu instid0(VALU_DEP_1) | instskip(NEXT) | instid1(VALU_DEP_1)
	v_and_b32_e32 v57, 0xff, v2
	v_cmpx_ne_u16_e32 0, v57
	s_cbranch_execz .LBB296_3925
; %bb.3918:                             ;   in Loop: Header=BB296_2086 Depth=1
	v_mov_b32_e32 v46, 0x8000
	s_mov_b32 s22, exec_lo
	v_cmpx_ne_u16_e32 0x80, v57
	s_cbranch_execz .LBB296_3924
; %bb.3919:                             ;   in Loop: Header=BB296_2086 Depth=1
	v_bfe_u32 v58, v14, 16, 7
	v_mov_b32_e32 v46, 0x7c01
	s_mov_b32 s23, exec_lo
	s_delay_alu instid0(VALU_DEP_2)
	v_cmpx_ne_u32_e32 0x7f, v58
	s_cbranch_execz .LBB296_3923
; %bb.3920:                             ;   in Loop: Header=BB296_2086 Depth=1
	v_and_b32_e32 v46, 7, v2
	v_lshrrev_b32_e32 v57, 3, v58
	s_mov_b32 s24, exec_lo
	v_cmpx_gt_u32_e32 8, v58
; %bb.3921:                             ;   in Loop: Header=BB296_2086 Depth=1
	s_delay_alu instid0(VALU_DEP_3) | instskip(NEXT) | instid1(VALU_DEP_1)
	v_clz_i32_u32_e32 v64, v46
	v_min_u32_e32 v64, 32, v64
	s_delay_alu instid0(VALU_DEP_1) | instskip(SKIP_1) | instid1(VALU_DEP_2)
	v_subrev_nc_u32_e32 v46, 28, v64
	v_sub_nc_u32_e32 v57, 29, v64
	v_lshlrev_b64_e32 v[58:59], v46, v[2:3]
	s_delay_alu instid0(VALU_DEP_1)
	v_and_b32_e32 v46, 7, v58
; %bb.3922:                             ;   in Loop: Header=BB296_2086 Depth=1
	s_wait_alu 0xfffe
	s_or_b32 exec_lo, exec_lo, s24
	v_lshlrev_b32_e32 v2, 8, v2
	v_lshl_add_u32 v64, v57, 10, 0x2000
	v_lshlrev_b32_e32 v46, 7, v46
	s_delay_alu instid0(VALU_DEP_3) | instskip(NEXT) | instid1(VALU_DEP_3)
	v_and_b32_e32 v2, 0x8000, v2
	v_and_b32_e32 v64, 0xfc00, v64
	s_delay_alu instid0(VALU_DEP_1)
	v_or3_b32 v46, v2, v64, v46
.LBB296_3923:                           ;   in Loop: Header=BB296_2086 Depth=1
	s_wait_alu 0xfffe
	s_or_b32 exec_lo, exec_lo, s23
.LBB296_3924:                           ;   in Loop: Header=BB296_2086 Depth=1
	s_wait_alu 0xfffe
	s_or_b32 exec_lo, exec_lo, s22
.LBB296_3925:                           ;   in Loop: Header=BB296_2086 Depth=1
	s_wait_alu 0xfffe
	s_or_b32 exec_lo, exec_lo, s21
	v_cmp_lt_u64_e64 s8, s[16:17], v[13:14]
	v_mov_b32_e32 v13, 0
	s_and_saveexec_b32 s21, s8
	s_cbranch_execz .LBB296_3933
; %bb.3926:                             ;   in Loop: Header=BB296_2086 Depth=1
	v_lshrrev_b32_e32 v2, 24, v14
	v_bfrev_b32_e32 v13, 1
	s_mov_b32 s22, exec_lo
	s_delay_alu instid0(VALU_DEP_2)
	v_cmpx_ne_u32_e32 0x80, v2
	s_cbranch_execz .LBB296_3932
; %bb.3927:                             ;   in Loop: Header=BB296_2086 Depth=1
	v_and_b32_e32 v57, 0x7f, v2
	v_mov_b32_e32 v13, 0x7c010000
	s_mov_b32 s23, exec_lo
	s_delay_alu instid0(VALU_DEP_2)
	v_cmpx_ne_u32_e32 0x7f, v57
	s_cbranch_execz .LBB296_3931
; %bb.3928:                             ;   in Loop: Header=BB296_2086 Depth=1
	v_and_b32_e32 v13, 7, v2
	v_lshrrev_b32_e32 v14, 3, v57
	s_mov_b32 s24, exec_lo
	v_cmpx_gt_u32_e32 8, v57
; %bb.3929:                             ;   in Loop: Header=BB296_2086 Depth=1
	s_delay_alu instid0(VALU_DEP_3) | instskip(NEXT) | instid1(VALU_DEP_1)
	v_clz_i32_u32_e32 v13, v13
	v_min_u32_e32 v64, 32, v13
	s_delay_alu instid0(VALU_DEP_1) | instskip(NEXT) | instid1(VALU_DEP_1)
	v_subrev_nc_u32_e32 v13, 28, v64
	v_lshlrev_b64_e32 v[13:14], v13, v[2:3]
	v_sub_nc_u32_e32 v14, 29, v64
	s_delay_alu instid0(VALU_DEP_2)
	v_and_b32_e32 v13, 7, v13
; %bb.3930:                             ;   in Loop: Header=BB296_2086 Depth=1
	s_wait_alu 0xfffe
	s_or_b32 exec_lo, exec_lo, s24
	v_lshlrev_b32_e32 v2, 8, v2
	v_lshl_add_u32 v14, v14, 10, 0x2000
	v_lshlrev_b32_e32 v13, 23, v13
	s_delay_alu instid0(VALU_DEP_2) | instskip(NEXT) | instid1(VALU_DEP_1)
	v_and_or_b32 v2, 0x8000, v2, v14
	v_lshl_or_b32 v13, v2, 16, v13
.LBB296_3931:                           ;   in Loop: Header=BB296_2086 Depth=1
	s_wait_alu 0xfffe
	s_or_b32 exec_lo, exec_lo, s23
.LBB296_3932:                           ;   in Loop: Header=BB296_2086 Depth=1
	s_wait_alu 0xfffe
	s_or_b32 exec_lo, exec_lo, s22
.LBB296_3933:                           ;   in Loop: Header=BB296_2086 Depth=1
	s_wait_alu 0xfffe
	s_or_b32 exec_lo, exec_lo, s21
	v_or_b32_e32 v2, v44, v45
	s_wait_loadcnt_dscnt 0x0
	v_fma_mixlo_f16 v14, v19, v44, 0 op_sel:[0,1,0] op_sel_hi:[0,1,0]
	v_or_b32_e32 v64, v85, v167
	v_or_b32_e32 v167, v56, v47
	;; [unrolled: 1-line block ×3, first 2 shown]
	v_fma_mixlo_f16 v44, v19, v2, 0 op_sel_hi:[0,1,0]
	v_fma_mixlo_f16 v85, v19, v85, 0 op_sel:[0,1,0] op_sel_hi:[0,1,0]
	v_lshlrev_b32_e32 v2, 16, v14
	v_fma_mixlo_f16 v64, v19, v64, 0 op_sel_hi:[0,1,0]
	v_fma_mixlo_f16 v167, v19, v167, 0 op_sel_hi:[0,1,0]
	v_and_b32_e32 v14, 0xffff, v44
	v_fma_mixlo_f16 v44, v19, v56, 0 op_sel:[0,1,0] op_sel_hi:[0,1,0]
	v_fma_mixlo_f16 v13, v19, v13, 0 op_sel:[0,1,0] op_sel_hi:[0,1,0]
	v_fma_mixlo_f16 v19, v19, v45, 0 op_sel_hi:[0,1,0]
	v_lshlrev_b32_e32 v85, 16, v85
	v_and_b32_e32 v57, 0xffff, v64
	v_lshlrev_b32_e32 v46, 16, v44
	v_and_b32_e32 v56, 0xffff, v167
	;; [unrolled: 2-line block ×3, first 2 shown]
	v_or_b32_e32 v13, v2, v14
	v_or_b32_e32 v44, v85, v57
	;; [unrolled: 1-line block ×3, first 2 shown]
	s_delay_alu instid0(VALU_DEP_4)
	v_or_b32_e32 v19, v45, v47
	s_and_saveexec_b32 s8, s0
	s_cbranch_execz .LBB296_3935
; %bb.3934:                             ;   in Loop: Header=BB296_2086 Depth=1
	s_wait_alu 0xfffd
	v_cndmask_b32_e32 v13, 0, v57, vcc_lo
	v_cndmask_b32_e64 v19, 0, v85, s3
	v_cndmask_b32_e64 v14, 0, v14, s1
	;; [unrolled: 1-line block ×7, first 2 shown]
	v_or_b32_e32 v44, v13, v19
	v_or_b32_e32 v13, v14, v2
	;; [unrolled: 1-line block ×3, first 2 shown]
	s_delay_alu instid0(VALU_DEP_4)
	v_or_b32_e32 v19, v46, v45
.LBB296_3935:                           ;   in Loop: Header=BB296_2086 Depth=1
	s_wait_alu 0xfffe
	s_or_b32 exec_lo, exec_lo, s8
	;;#ASMSTART
	v_pk_mul_f16 v2, v115, v44;

	;;#ASMEND
	;;#ASMSTART
	v_pk_mul_f16 v13, v114, v13;

	;;#ASMEND
	;; [unrolled: 4-line block ×4, first 2 shown]
	;;#ASMSTART
	v_pk_add_f16 v2, v2, v13;

	;;#ASMEND
	;;#ASMSTART
	v_pk_add_f16 v2, v2, v14;

	;;#ASMEND
	;;#ASMSTART
	v_pk_add_f16 v2, v2, v19;

	;;#ASMEND
	v_and_b32_e32 v13, 0xffff, v2
	v_lshrrev_b32_e32 v2, 16, v2
	;;#ASMSTART
	v_cvt_f32_f16 v44, v13;
	;;#ASMEND
	;;#ASMSTART
	v_cvt_f32_f16 v45, v2;
	;;#ASMEND
	flat_load_b64 v[13:14], v[11:12] offset:7168
	flat_load_b32 v19, v[26:27]
	v_mov_b32_e32 v167, 0
	s_mov_b32 s21, exec_lo
	s_wait_loadcnt_dscnt 0x101
	v_dual_mov_b32 v85, 0 :: v_dual_and_b32 v2, 0xff, v13
	s_delay_alu instid0(VALU_DEP_1)
	v_cmpx_ne_u16_e32 0, v2
	s_cbranch_execz .LBB296_3943
; %bb.3936:                             ;   in Loop: Header=BB296_2086 Depth=1
	v_mov_b32_e32 v167, 0x8000
	s_mov_b32 s22, exec_lo
	v_cmpx_ne_u16_e32 0x80, v2
	s_cbranch_execz .LBB296_3942
; %bb.3937:                             ;   in Loop: Header=BB296_2086 Depth=1
	v_and_b32_e32 v46, 0x7f, v13
	v_mov_b32_e32 v167, 0x7c01
	s_mov_b32 s23, exec_lo
	s_delay_alu instid0(VALU_DEP_2)
	v_cmpx_ne_u32_e32 0x7f, v46
	s_cbranch_execz .LBB296_3941
; %bb.3938:                             ;   in Loop: Header=BB296_2086 Depth=1
	v_and_b32_e32 v2, 7, v13
	v_lshrrev_b32_e32 v167, 3, v46
	s_mov_b32 s24, exec_lo
	v_cmpx_gt_u32_e32 8, v46
; %bb.3939:                             ;   in Loop: Header=BB296_2086 Depth=1
	s_delay_alu instid0(VALU_DEP_3) | instskip(NEXT) | instid1(VALU_DEP_1)
	v_clz_i32_u32_e32 v2, v2
	v_min_u32_e32 v2, 32, v2
	s_delay_alu instid0(VALU_DEP_1) | instskip(SKIP_1) | instid1(VALU_DEP_2)
	v_subrev_nc_u32_e32 v64, 28, v2
	v_sub_nc_u32_e32 v167, 29, v2
	v_lshlrev_b64_e32 v[46:47], v64, v[13:14]
	s_delay_alu instid0(VALU_DEP_1)
	v_and_b32_e32 v2, 7, v46
; %bb.3940:                             ;   in Loop: Header=BB296_2086 Depth=1
	s_wait_alu 0xfffe
	s_or_b32 exec_lo, exec_lo, s24
	v_lshlrev_b32_e32 v64, 8, v13
	v_lshl_add_u32 v167, v167, 10, 0x2000
	v_lshlrev_b32_e32 v2, 7, v2
	s_delay_alu instid0(VALU_DEP_3) | instskip(NEXT) | instid1(VALU_DEP_3)
	v_and_b32_e32 v64, 0x8000, v64
	v_and_b32_e32 v167, 0xfc00, v167
	s_delay_alu instid0(VALU_DEP_1)
	v_or3_b32 v167, v64, v167, v2
.LBB296_3941:                           ;   in Loop: Header=BB296_2086 Depth=1
	s_wait_alu 0xfffe
	s_or_b32 exec_lo, exec_lo, s23
.LBB296_3942:                           ;   in Loop: Header=BB296_2086 Depth=1
	s_wait_alu 0xfffe
	s_or_b32 exec_lo, exec_lo, s22
.LBB296_3943:                           ;   in Loop: Header=BB296_2086 Depth=1
	s_wait_alu 0xfffe
	s_or_b32 exec_lo, exec_lo, s21
	v_lshrrev_b16 v2, 8, v13
	s_mov_b32 s21, exec_lo
	s_delay_alu instid0(VALU_DEP_1)
	v_cmpx_ne_u16_e32 0, v2
	s_cbranch_execz .LBB296_3951
; %bb.3944:                             ;   in Loop: Header=BB296_2086 Depth=1
	v_bfrev_b32_e32 v85, 1
	s_mov_b32 s22, exec_lo
	v_cmpx_ne_u16_e32 0x80, v2
	s_cbranch_execz .LBB296_3950
; %bb.3945:                             ;   in Loop: Header=BB296_2086 Depth=1
	v_and_b32_e32 v46, 0xffff, v2
	v_mov_b32_e32 v85, 0x7c010000
	s_mov_b32 s23, exec_lo
	s_delay_alu instid0(VALU_DEP_2) | instskip(NEXT) | instid1(VALU_DEP_1)
	v_and_b32_e32 v56, 0x7f, v46
	v_cmpx_ne_u32_e32 0x7f, v56
	s_cbranch_execz .LBB296_3949
; %bb.3946:                             ;   in Loop: Header=BB296_2086 Depth=1
	v_and_b32_e32 v85, 7, v46
	v_lshrrev_b32_e32 v47, 3, v56
	s_mov_b32 s24, exec_lo
	v_cmpx_gt_u32_e32 8, v56
; %bb.3947:                             ;   in Loop: Header=BB296_2086 Depth=1
	s_delay_alu instid0(VALU_DEP_3) | instskip(NEXT) | instid1(VALU_DEP_1)
	v_clz_i32_u32_e32 v64, v85
	v_min_u32_e32 v64, 32, v64
	s_delay_alu instid0(VALU_DEP_1) | instskip(SKIP_1) | instid1(VALU_DEP_2)
	v_subrev_nc_u32_e32 v85, 28, v64
	v_sub_nc_u32_e32 v47, 29, v64
	v_lshlrev_b64_e32 v[56:57], v85, v[2:3]
	s_delay_alu instid0(VALU_DEP_1)
	v_and_b32_e32 v85, 7, v56
; %bb.3948:                             ;   in Loop: Header=BB296_2086 Depth=1
	s_wait_alu 0xfffe
	s_or_b32 exec_lo, exec_lo, s24
	v_lshlrev_b32_e32 v2, 8, v46
	v_lshl_add_u32 v64, v47, 10, 0x2000
	s_delay_alu instid0(VALU_DEP_1) | instskip(SKIP_1) | instid1(VALU_DEP_1)
	v_and_or_b32 v2, 0x8000, v2, v64
	v_lshlrev_b32_e32 v64, 23, v85
	v_lshl_or_b32 v85, v2, 16, v64
.LBB296_3949:                           ;   in Loop: Header=BB296_2086 Depth=1
	s_wait_alu 0xfffe
	s_or_b32 exec_lo, exec_lo, s23
.LBB296_3950:                           ;   in Loop: Header=BB296_2086 Depth=1
	s_wait_alu 0xfffe
	s_or_b32 exec_lo, exec_lo, s22
.LBB296_3951:                           ;   in Loop: Header=BB296_2086 Depth=1
	s_wait_alu 0xfffe
	s_or_b32 exec_lo, exec_lo, s21
	v_lshrrev_b32_e32 v2, 16, v13
	v_mov_b32_e32 v46, 0
	s_mov_b32 s21, exec_lo
	s_delay_alu instid0(VALU_DEP_2) | instskip(NEXT) | instid1(VALU_DEP_1)
	v_dual_mov_b32 v47, 0 :: v_dual_and_b32 v56, 0xff, v2
	v_cmpx_ne_u16_e32 0, v56
	s_cbranch_execz .LBB296_3959
; %bb.3952:                             ;   in Loop: Header=BB296_2086 Depth=1
	v_mov_b32_e32 v47, 0x8000
	s_mov_b32 s22, exec_lo
	v_cmpx_ne_u16_e32 0x80, v56
	s_cbranch_execz .LBB296_3958
; %bb.3953:                             ;   in Loop: Header=BB296_2086 Depth=1
	v_bfe_u32 v57, v13, 16, 7
	v_mov_b32_e32 v47, 0x7c01
	s_mov_b32 s23, exec_lo
	s_delay_alu instid0(VALU_DEP_2)
	v_cmpx_ne_u32_e32 0x7f, v57
	s_cbranch_execz .LBB296_3957
; %bb.3954:                             ;   in Loop: Header=BB296_2086 Depth=1
	v_and_b32_e32 v47, 7, v2
	v_lshrrev_b32_e32 v56, 3, v57
	s_mov_b32 s24, exec_lo
	v_cmpx_gt_u32_e32 8, v57
; %bb.3955:                             ;   in Loop: Header=BB296_2086 Depth=1
	s_delay_alu instid0(VALU_DEP_3) | instskip(NEXT) | instid1(VALU_DEP_1)
	v_clz_i32_u32_e32 v64, v47
	v_min_u32_e32 v64, 32, v64
	s_delay_alu instid0(VALU_DEP_1) | instskip(SKIP_1) | instid1(VALU_DEP_2)
	v_subrev_nc_u32_e32 v47, 28, v64
	v_sub_nc_u32_e32 v56, 29, v64
	v_lshlrev_b64_e32 v[57:58], v47, v[2:3]
	s_delay_alu instid0(VALU_DEP_1)
	v_and_b32_e32 v47, 7, v57
; %bb.3956:                             ;   in Loop: Header=BB296_2086 Depth=1
	s_wait_alu 0xfffe
	s_or_b32 exec_lo, exec_lo, s24
	v_lshlrev_b32_e32 v2, 8, v2
	v_lshl_add_u32 v64, v56, 10, 0x2000
	v_lshlrev_b32_e32 v47, 7, v47
	s_delay_alu instid0(VALU_DEP_3) | instskip(NEXT) | instid1(VALU_DEP_3)
	v_and_b32_e32 v2, 0x8000, v2
	v_and_b32_e32 v64, 0xfc00, v64
	s_delay_alu instid0(VALU_DEP_1)
	v_or3_b32 v47, v2, v64, v47
.LBB296_3957:                           ;   in Loop: Header=BB296_2086 Depth=1
	s_wait_alu 0xfffe
	s_or_b32 exec_lo, exec_lo, s23
.LBB296_3958:                           ;   in Loop: Header=BB296_2086 Depth=1
	s_wait_alu 0xfffe
	s_or_b32 exec_lo, exec_lo, s22
.LBB296_3959:                           ;   in Loop: Header=BB296_2086 Depth=1
	s_wait_alu 0xfffe
	s_or_b32 exec_lo, exec_lo, s21
	s_delay_alu instid0(SALU_CYCLE_1)
	s_mov_b32 s21, exec_lo
	v_cmpx_lt_u32_e32 0xffffff, v13
	s_cbranch_execz .LBB296_3967
; %bb.3960:                             ;   in Loop: Header=BB296_2086 Depth=1
	v_lshrrev_b32_e32 v2, 24, v13
	v_bfrev_b32_e32 v46, 1
	s_mov_b32 s22, exec_lo
	s_delay_alu instid0(VALU_DEP_2)
	v_cmpx_ne_u32_e32 0x80, v2
	s_cbranch_execz .LBB296_3966
; %bb.3961:                             ;   in Loop: Header=BB296_2086 Depth=1
	v_and_b32_e32 v57, 0x7f, v2
	v_mov_b32_e32 v46, 0x7c010000
	s_mov_b32 s23, exec_lo
	s_delay_alu instid0(VALU_DEP_2)
	v_cmpx_ne_u32_e32 0x7f, v57
	s_cbranch_execz .LBB296_3965
; %bb.3962:                             ;   in Loop: Header=BB296_2086 Depth=1
	v_and_b32_e32 v46, 7, v2
	v_lshrrev_b32_e32 v56, 3, v57
	s_mov_b32 s24, exec_lo
	v_cmpx_gt_u32_e32 8, v57
; %bb.3963:                             ;   in Loop: Header=BB296_2086 Depth=1
	s_delay_alu instid0(VALU_DEP_3) | instskip(NEXT) | instid1(VALU_DEP_1)
	v_clz_i32_u32_e32 v64, v46
	v_min_u32_e32 v64, 32, v64
	s_delay_alu instid0(VALU_DEP_1) | instskip(SKIP_1) | instid1(VALU_DEP_2)
	v_subrev_nc_u32_e32 v46, 28, v64
	v_sub_nc_u32_e32 v56, 29, v64
	v_lshlrev_b64_e32 v[57:58], v46, v[2:3]
	s_delay_alu instid0(VALU_DEP_1)
	v_and_b32_e32 v46, 7, v57
; %bb.3964:                             ;   in Loop: Header=BB296_2086 Depth=1
	s_wait_alu 0xfffe
	s_or_b32 exec_lo, exec_lo, s24
	v_lshlrev_b32_e32 v2, 8, v2
	v_lshl_add_u32 v64, v56, 10, 0x2000
	s_delay_alu instid0(VALU_DEP_1) | instskip(SKIP_1) | instid1(VALU_DEP_1)
	v_and_or_b32 v2, 0x8000, v2, v64
	v_lshlrev_b32_e32 v64, 23, v46
	v_lshl_or_b32 v46, v2, 16, v64
.LBB296_3965:                           ;   in Loop: Header=BB296_2086 Depth=1
	s_wait_alu 0xfffe
	s_or_b32 exec_lo, exec_lo, s23
.LBB296_3966:                           ;   in Loop: Header=BB296_2086 Depth=1
	s_wait_alu 0xfffe
	s_or_b32 exec_lo, exec_lo, s22
.LBB296_3967:                           ;   in Loop: Header=BB296_2086 Depth=1
	s_wait_alu 0xfffe
	s_or_b32 exec_lo, exec_lo, s21
	v_dual_mov_b32 v57, 0 :: v_dual_and_b32 v58, 0xff, v14
	v_mov_b32_e32 v2, v14
	v_mov_b32_e32 v56, 0
	s_mov_b32 s21, exec_lo
	s_delay_alu instid0(VALU_DEP_3)
	v_cmpx_ne_u16_e32 0, v58
	s_cbranch_execz .LBB296_3975
; %bb.3968:                             ;   in Loop: Header=BB296_2086 Depth=1
	v_mov_b32_e32 v57, 0x8000
	s_mov_b32 s22, exec_lo
	v_cmpx_ne_u16_e32 0x80, v58
	s_cbranch_execz .LBB296_3974
; %bb.3969:                             ;   in Loop: Header=BB296_2086 Depth=1
	v_and_b32_e32 v59, 0x7f, v14
	v_mov_b32_e32 v57, 0x7c01
	s_mov_b32 s23, exec_lo
	s_delay_alu instid0(VALU_DEP_2)
	v_cmpx_ne_u32_e32 0x7f, v59
	s_cbranch_execz .LBB296_3973
; %bb.3970:                             ;   in Loop: Header=BB296_2086 Depth=1
	v_and_b32_e32 v57, 7, v14
	v_lshrrev_b32_e32 v58, 3, v59
	s_mov_b32 s24, exec_lo
	v_cmpx_gt_u32_e32 8, v59
; %bb.3971:                             ;   in Loop: Header=BB296_2086 Depth=1
	s_delay_alu instid0(VALU_DEP_3) | instskip(NEXT) | instid1(VALU_DEP_1)
	v_clz_i32_u32_e32 v64, v57
	v_min_u32_e32 v64, 32, v64
	s_delay_alu instid0(VALU_DEP_1) | instskip(NEXT) | instid1(VALU_DEP_1)
	v_subrev_nc_u32_e32 v57, 28, v64
	v_lshlrev_b64_e32 v[57:58], v57, v[2:3]
	v_sub_nc_u32_e32 v58, 29, v64
	s_delay_alu instid0(VALU_DEP_2)
	v_and_b32_e32 v57, 7, v57
; %bb.3972:                             ;   in Loop: Header=BB296_2086 Depth=1
	s_wait_alu 0xfffe
	s_or_b32 exec_lo, exec_lo, s24
	v_lshlrev_b32_e32 v64, 8, v14
	v_lshl_add_u32 v58, v58, 10, 0x2000
	v_lshlrev_b32_e32 v57, 7, v57
	s_delay_alu instid0(VALU_DEP_3) | instskip(NEXT) | instid1(VALU_DEP_3)
	v_and_b32_e32 v64, 0x8000, v64
	v_and_b32_e32 v58, 0xfc00, v58
	s_delay_alu instid0(VALU_DEP_1)
	v_or3_b32 v57, v64, v58, v57
.LBB296_3973:                           ;   in Loop: Header=BB296_2086 Depth=1
	s_wait_alu 0xfffe
	s_or_b32 exec_lo, exec_lo, s23
.LBB296_3974:                           ;   in Loop: Header=BB296_2086 Depth=1
	s_wait_alu 0xfffe
	s_or_b32 exec_lo, exec_lo, s22
.LBB296_3975:                           ;   in Loop: Header=BB296_2086 Depth=1
	s_wait_alu 0xfffe
	s_or_b32 exec_lo, exec_lo, s21
	v_lshrrev_b16 v2, 8, v2
	v_mov_b32_e32 v58, 0
	s_mov_b32 s21, exec_lo
	s_delay_alu instid0(VALU_DEP_2)
	v_cmpx_ne_u16_e32 0, v2
	s_cbranch_execz .LBB296_3983
; %bb.3976:                             ;   in Loop: Header=BB296_2086 Depth=1
	v_bfrev_b32_e32 v58, 1
	s_mov_b32 s22, exec_lo
	v_cmpx_ne_u16_e32 0x80, v2
	s_cbranch_execz .LBB296_3982
; %bb.3977:                             ;   in Loop: Header=BB296_2086 Depth=1
	v_and_b32_e32 v59, 0xffff, v2
	v_mov_b32_e32 v58, 0x7c010000
	s_mov_b32 s23, exec_lo
	s_delay_alu instid0(VALU_DEP_2) | instskip(NEXT) | instid1(VALU_DEP_1)
	v_and_b32_e32 v61, 0x7f, v59
	v_cmpx_ne_u32_e32 0x7f, v61
	s_cbranch_execz .LBB296_3981
; %bb.3978:                             ;   in Loop: Header=BB296_2086 Depth=1
	v_and_b32_e32 v58, 7, v59
	v_lshrrev_b32_e32 v60, 3, v61
	s_mov_b32 s24, exec_lo
	v_cmpx_gt_u32_e32 8, v61
; %bb.3979:                             ;   in Loop: Header=BB296_2086 Depth=1
	s_delay_alu instid0(VALU_DEP_3) | instskip(NEXT) | instid1(VALU_DEP_1)
	v_clz_i32_u32_e32 v64, v58
	v_min_u32_e32 v64, 32, v64
	s_delay_alu instid0(VALU_DEP_1) | instskip(SKIP_1) | instid1(VALU_DEP_2)
	v_subrev_nc_u32_e32 v58, 28, v64
	v_sub_nc_u32_e32 v60, 29, v64
	v_lshlrev_b64_e32 v[61:62], v58, v[2:3]
	s_delay_alu instid0(VALU_DEP_1)
	v_and_b32_e32 v58, 7, v61
; %bb.3980:                             ;   in Loop: Header=BB296_2086 Depth=1
	s_wait_alu 0xfffe
	s_or_b32 exec_lo, exec_lo, s24
	v_lshlrev_b32_e32 v2, 8, v59
	v_lshl_add_u32 v64, v60, 10, 0x2000
	s_delay_alu instid0(VALU_DEP_1) | instskip(SKIP_1) | instid1(VALU_DEP_1)
	v_and_or_b32 v2, 0x8000, v2, v64
	v_lshlrev_b32_e32 v64, 23, v58
	v_lshl_or_b32 v58, v2, 16, v64
.LBB296_3981:                           ;   in Loop: Header=BB296_2086 Depth=1
	s_wait_alu 0xfffe
	s_or_b32 exec_lo, exec_lo, s23
.LBB296_3982:                           ;   in Loop: Header=BB296_2086 Depth=1
	s_wait_alu 0xfffe
	s_or_b32 exec_lo, exec_lo, s22
.LBB296_3983:                           ;   in Loop: Header=BB296_2086 Depth=1
	s_wait_alu 0xfffe
	s_or_b32 exec_lo, exec_lo, s21
	v_lshrrev_b32_e32 v2, 16, v14
	s_mov_b32 s21, exec_lo
	s_delay_alu instid0(VALU_DEP_1) | instskip(NEXT) | instid1(VALU_DEP_1)
	v_and_b32_e32 v59, 0xff, v2
	v_cmpx_ne_u16_e32 0, v59
	s_cbranch_execz .LBB296_3991
; %bb.3984:                             ;   in Loop: Header=BB296_2086 Depth=1
	v_mov_b32_e32 v56, 0x8000
	s_mov_b32 s22, exec_lo
	v_cmpx_ne_u16_e32 0x80, v59
	s_cbranch_execz .LBB296_3990
; %bb.3985:                             ;   in Loop: Header=BB296_2086 Depth=1
	v_bfe_u32 v60, v14, 16, 7
	v_mov_b32_e32 v56, 0x7c01
	s_mov_b32 s23, exec_lo
	s_delay_alu instid0(VALU_DEP_2)
	v_cmpx_ne_u32_e32 0x7f, v60
	s_cbranch_execz .LBB296_3989
; %bb.3986:                             ;   in Loop: Header=BB296_2086 Depth=1
	v_and_b32_e32 v56, 7, v2
	v_lshrrev_b32_e32 v59, 3, v60
	s_mov_b32 s24, exec_lo
	v_cmpx_gt_u32_e32 8, v60
; %bb.3987:                             ;   in Loop: Header=BB296_2086 Depth=1
	s_delay_alu instid0(VALU_DEP_3) | instskip(NEXT) | instid1(VALU_DEP_1)
	v_clz_i32_u32_e32 v64, v56
	v_min_u32_e32 v64, 32, v64
	s_delay_alu instid0(VALU_DEP_1) | instskip(SKIP_1) | instid1(VALU_DEP_2)
	v_subrev_nc_u32_e32 v56, 28, v64
	v_sub_nc_u32_e32 v59, 29, v64
	v_lshlrev_b64_e32 v[60:61], v56, v[2:3]
	s_delay_alu instid0(VALU_DEP_1)
	v_and_b32_e32 v56, 7, v60
; %bb.3988:                             ;   in Loop: Header=BB296_2086 Depth=1
	s_wait_alu 0xfffe
	s_or_b32 exec_lo, exec_lo, s24
	v_lshlrev_b32_e32 v2, 8, v2
	v_lshl_add_u32 v64, v59, 10, 0x2000
	v_lshlrev_b32_e32 v56, 7, v56
	s_delay_alu instid0(VALU_DEP_3) | instskip(NEXT) | instid1(VALU_DEP_3)
	v_and_b32_e32 v2, 0x8000, v2
	v_and_b32_e32 v64, 0xfc00, v64
	s_delay_alu instid0(VALU_DEP_1)
	v_or3_b32 v56, v2, v64, v56
.LBB296_3989:                           ;   in Loop: Header=BB296_2086 Depth=1
	s_wait_alu 0xfffe
	s_or_b32 exec_lo, exec_lo, s23
.LBB296_3990:                           ;   in Loop: Header=BB296_2086 Depth=1
	s_wait_alu 0xfffe
	s_or_b32 exec_lo, exec_lo, s22
.LBB296_3991:                           ;   in Loop: Header=BB296_2086 Depth=1
	s_wait_alu 0xfffe
	s_or_b32 exec_lo, exec_lo, s21
	v_cmp_lt_u64_e64 s8, s[16:17], v[13:14]
	v_mov_b32_e32 v13, 0
	s_and_saveexec_b32 s21, s8
	s_cbranch_execz .LBB296_3999
; %bb.3992:                             ;   in Loop: Header=BB296_2086 Depth=1
	v_lshrrev_b32_e32 v2, 24, v14
	v_bfrev_b32_e32 v13, 1
	s_mov_b32 s22, exec_lo
	s_delay_alu instid0(VALU_DEP_2)
	v_cmpx_ne_u32_e32 0x80, v2
	s_cbranch_execz .LBB296_3998
; %bb.3993:                             ;   in Loop: Header=BB296_2086 Depth=1
	v_and_b32_e32 v59, 0x7f, v2
	v_mov_b32_e32 v13, 0x7c010000
	s_mov_b32 s23, exec_lo
	s_delay_alu instid0(VALU_DEP_2)
	v_cmpx_ne_u32_e32 0x7f, v59
	s_cbranch_execz .LBB296_3997
; %bb.3994:                             ;   in Loop: Header=BB296_2086 Depth=1
	v_and_b32_e32 v13, 7, v2
	v_lshrrev_b32_e32 v14, 3, v59
	s_mov_b32 s24, exec_lo
	v_cmpx_gt_u32_e32 8, v59
; %bb.3995:                             ;   in Loop: Header=BB296_2086 Depth=1
	s_delay_alu instid0(VALU_DEP_3) | instskip(NEXT) | instid1(VALU_DEP_1)
	v_clz_i32_u32_e32 v13, v13
	v_min_u32_e32 v64, 32, v13
	s_delay_alu instid0(VALU_DEP_1) | instskip(NEXT) | instid1(VALU_DEP_1)
	v_subrev_nc_u32_e32 v13, 28, v64
	v_lshlrev_b64_e32 v[13:14], v13, v[2:3]
	v_sub_nc_u32_e32 v14, 29, v64
	s_delay_alu instid0(VALU_DEP_2)
	v_and_b32_e32 v13, 7, v13
; %bb.3996:                             ;   in Loop: Header=BB296_2086 Depth=1
	s_wait_alu 0xfffe
	s_or_b32 exec_lo, exec_lo, s24
	v_lshlrev_b32_e32 v2, 8, v2
	v_lshl_add_u32 v14, v14, 10, 0x2000
	v_lshlrev_b32_e32 v13, 23, v13
	s_delay_alu instid0(VALU_DEP_2) | instskip(NEXT) | instid1(VALU_DEP_1)
	v_and_or_b32 v2, 0x8000, v2, v14
	v_lshl_or_b32 v13, v2, 16, v13
.LBB296_3997:                           ;   in Loop: Header=BB296_2086 Depth=1
	s_wait_alu 0xfffe
	s_or_b32 exec_lo, exec_lo, s23
.LBB296_3998:                           ;   in Loop: Header=BB296_2086 Depth=1
	s_wait_alu 0xfffe
	s_or_b32 exec_lo, exec_lo, s22
.LBB296_3999:                           ;   in Loop: Header=BB296_2086 Depth=1
	s_wait_alu 0xfffe
	s_or_b32 exec_lo, exec_lo, s21
	v_or_b32_e32 v2, v46, v47
	s_wait_loadcnt_dscnt 0x0
	v_fma_mixlo_f16 v14, v19, v46, 0 op_sel:[0,1,0] op_sel_hi:[0,1,0]
	v_or_b32_e32 v64, v85, v167
	v_or_b32_e32 v167, v58, v57
	;; [unrolled: 1-line block ×3, first 2 shown]
	v_fma_mixlo_f16 v46, v19, v2, 0 op_sel_hi:[0,1,0]
	v_fma_mixlo_f16 v85, v19, v85, 0 op_sel:[0,1,0] op_sel_hi:[0,1,0]
	v_lshlrev_b32_e32 v2, 16, v14
	v_fma_mixlo_f16 v64, v19, v64, 0 op_sel_hi:[0,1,0]
	v_fma_mixlo_f16 v167, v19, v167, 0 op_sel_hi:[0,1,0]
	v_and_b32_e32 v14, 0xffff, v46
	v_fma_mixlo_f16 v46, v19, v58, 0 op_sel:[0,1,0] op_sel_hi:[0,1,0]
	v_fma_mixlo_f16 v13, v19, v13, 0 op_sel:[0,1,0] op_sel_hi:[0,1,0]
	v_fma_mixlo_f16 v19, v19, v47, 0 op_sel_hi:[0,1,0]
	v_lshlrev_b32_e32 v85, 16, v85
	v_and_b32_e32 v59, 0xffff, v64
	v_lshlrev_b32_e32 v56, 16, v46
	v_and_b32_e32 v58, 0xffff, v167
	;; [unrolled: 2-line block ×3, first 2 shown]
	v_or_b32_e32 v13, v2, v14
	v_or_b32_e32 v46, v85, v59
	;; [unrolled: 1-line block ×3, first 2 shown]
	s_delay_alu instid0(VALU_DEP_4)
	v_or_b32_e32 v19, v47, v57
	s_and_saveexec_b32 s8, s0
	s_cbranch_execz .LBB296_4001
; %bb.4000:                             ;   in Loop: Header=BB296_2086 Depth=1
	s_wait_alu 0xfffd
	v_cndmask_b32_e32 v13, 0, v59, vcc_lo
	v_cndmask_b32_e64 v19, 0, v85, s3
	v_cndmask_b32_e64 v14, 0, v14, s1
	v_cndmask_b32_e64 v2, 0, v2, s2
	v_cndmask_b32_e64 v64, 0, v58, s4
	v_cndmask_b32_e64 v85, 0, v56, s5
	v_cndmask_b32_e64 v56, 0, v57, s6
	v_cndmask_b32_e64 v47, 0, v47, s7
	v_or_b32_e32 v46, v13, v19
	v_or_b32_e32 v13, v14, v2
	v_or_b32_e32 v167, v64, v85
	s_delay_alu instid0(VALU_DEP_4)
	v_or_b32_e32 v19, v56, v47
.LBB296_4001:                           ;   in Loop: Header=BB296_2086 Depth=1
	s_wait_alu 0xfffe
	s_or_b32 exec_lo, exec_lo, s8
	;;#ASMSTART
	v_pk_mul_f16 v2, v115, v46;

	;;#ASMEND
	;;#ASMSTART
	v_pk_mul_f16 v13, v114, v13;

	;;#ASMEND
	;; [unrolled: 4-line block ×4, first 2 shown]
	;;#ASMSTART
	v_pk_add_f16 v2, v2, v13;

	;;#ASMEND
	;;#ASMSTART
	v_pk_add_f16 v2, v2, v14;

	;;#ASMEND
	;; [unrolled: 4-line block ×3, first 2 shown]
	v_dual_mov_b32 v46, 0 :: v_dual_and_b32 v13, 0xffff, v2
	v_lshrrev_b32_e32 v2, 16, v2
	;;#ASMSTART
	v_cvt_f32_f16 v85, v13;
	;;#ASMEND
	;;#ASMSTART
	v_cvt_f32_f16 v167, v2;
	;;#ASMEND
	flat_load_b64 v[13:14], v[11:12] offset:7424
	flat_load_b32 v19, v[26:27]
	s_mov_b32 s21, exec_lo
	s_wait_loadcnt_dscnt 0x101
	v_dual_mov_b32 v47, 0 :: v_dual_and_b32 v2, 0xff, v13
	s_delay_alu instid0(VALU_DEP_1)
	v_cmpx_ne_u16_e32 0, v2
	s_cbranch_execz .LBB296_4009
; %bb.4002:                             ;   in Loop: Header=BB296_2086 Depth=1
	v_mov_b32_e32 v47, 0x8000
	s_mov_b32 s22, exec_lo
	v_cmpx_ne_u16_e32 0x80, v2
	s_cbranch_execz .LBB296_4008
; %bb.4003:                             ;   in Loop: Header=BB296_2086 Depth=1
	v_and_b32_e32 v56, 0x7f, v13
	v_mov_b32_e32 v47, 0x7c01
	s_mov_b32 s23, exec_lo
	s_delay_alu instid0(VALU_DEP_2)
	v_cmpx_ne_u32_e32 0x7f, v56
	s_cbranch_execz .LBB296_4007
; %bb.4004:                             ;   in Loop: Header=BB296_2086 Depth=1
	v_and_b32_e32 v2, 7, v13
	v_lshrrev_b32_e32 v47, 3, v56
	s_mov_b32 s24, exec_lo
	v_cmpx_gt_u32_e32 8, v56
; %bb.4005:                             ;   in Loop: Header=BB296_2086 Depth=1
	s_delay_alu instid0(VALU_DEP_3) | instskip(NEXT) | instid1(VALU_DEP_1)
	v_clz_i32_u32_e32 v2, v2
	v_min_u32_e32 v2, 32, v2
	s_delay_alu instid0(VALU_DEP_1) | instskip(SKIP_1) | instid1(VALU_DEP_2)
	v_subrev_nc_u32_e32 v64, 28, v2
	v_sub_nc_u32_e32 v47, 29, v2
	v_lshlrev_b64_e32 v[56:57], v64, v[13:14]
	s_delay_alu instid0(VALU_DEP_1)
	v_and_b32_e32 v2, 7, v56
; %bb.4006:                             ;   in Loop: Header=BB296_2086 Depth=1
	s_wait_alu 0xfffe
	s_or_b32 exec_lo, exec_lo, s24
	v_lshlrev_b32_e32 v64, 8, v13
	v_lshl_add_u32 v47, v47, 10, 0x2000
	v_lshlrev_b32_e32 v2, 7, v2
	s_delay_alu instid0(VALU_DEP_3) | instskip(NEXT) | instid1(VALU_DEP_3)
	v_and_b32_e32 v64, 0x8000, v64
	v_and_b32_e32 v47, 0xfc00, v47
	s_delay_alu instid0(VALU_DEP_1)
	v_or3_b32 v47, v64, v47, v2
.LBB296_4007:                           ;   in Loop: Header=BB296_2086 Depth=1
	s_wait_alu 0xfffe
	s_or_b32 exec_lo, exec_lo, s23
.LBB296_4008:                           ;   in Loop: Header=BB296_2086 Depth=1
	s_wait_alu 0xfffe
	s_or_b32 exec_lo, exec_lo, s22
.LBB296_4009:                           ;   in Loop: Header=BB296_2086 Depth=1
	s_wait_alu 0xfffe
	s_or_b32 exec_lo, exec_lo, s21
	v_lshrrev_b16 v2, 8, v13
	s_mov_b32 s21, exec_lo
	s_delay_alu instid0(VALU_DEP_1)
	v_cmpx_ne_u16_e32 0, v2
	s_cbranch_execz .LBB296_4017
; %bb.4010:                             ;   in Loop: Header=BB296_2086 Depth=1
	v_bfrev_b32_e32 v46, 1
	s_mov_b32 s22, exec_lo
	v_cmpx_ne_u16_e32 0x80, v2
	s_cbranch_execz .LBB296_4016
; %bb.4011:                             ;   in Loop: Header=BB296_2086 Depth=1
	v_and_b32_e32 v56, 0xffff, v2
	v_mov_b32_e32 v46, 0x7c010000
	s_mov_b32 s23, exec_lo
	s_delay_alu instid0(VALU_DEP_2) | instskip(NEXT) | instid1(VALU_DEP_1)
	v_and_b32_e32 v58, 0x7f, v56
	v_cmpx_ne_u32_e32 0x7f, v58
	s_cbranch_execz .LBB296_4015
; %bb.4012:                             ;   in Loop: Header=BB296_2086 Depth=1
	v_and_b32_e32 v46, 7, v56
	v_lshrrev_b32_e32 v57, 3, v58
	s_mov_b32 s24, exec_lo
	v_cmpx_gt_u32_e32 8, v58
; %bb.4013:                             ;   in Loop: Header=BB296_2086 Depth=1
	s_delay_alu instid0(VALU_DEP_3) | instskip(NEXT) | instid1(VALU_DEP_1)
	v_clz_i32_u32_e32 v64, v46
	v_min_u32_e32 v64, 32, v64
	s_delay_alu instid0(VALU_DEP_1) | instskip(SKIP_1) | instid1(VALU_DEP_2)
	v_subrev_nc_u32_e32 v46, 28, v64
	v_sub_nc_u32_e32 v57, 29, v64
	v_lshlrev_b64_e32 v[58:59], v46, v[2:3]
	s_delay_alu instid0(VALU_DEP_1)
	v_and_b32_e32 v46, 7, v58
; %bb.4014:                             ;   in Loop: Header=BB296_2086 Depth=1
	s_wait_alu 0xfffe
	s_or_b32 exec_lo, exec_lo, s24
	v_lshlrev_b32_e32 v2, 8, v56
	v_lshl_add_u32 v64, v57, 10, 0x2000
	s_delay_alu instid0(VALU_DEP_1) | instskip(SKIP_1) | instid1(VALU_DEP_1)
	v_and_or_b32 v2, 0x8000, v2, v64
	v_lshlrev_b32_e32 v64, 23, v46
	v_lshl_or_b32 v46, v2, 16, v64
.LBB296_4015:                           ;   in Loop: Header=BB296_2086 Depth=1
	s_wait_alu 0xfffe
	s_or_b32 exec_lo, exec_lo, s23
.LBB296_4016:                           ;   in Loop: Header=BB296_2086 Depth=1
	s_wait_alu 0xfffe
	s_or_b32 exec_lo, exec_lo, s22
.LBB296_4017:                           ;   in Loop: Header=BB296_2086 Depth=1
	s_wait_alu 0xfffe
	s_or_b32 exec_lo, exec_lo, s21
	v_lshrrev_b32_e32 v2, 16, v13
	v_mov_b32_e32 v56, 0
	s_mov_b32 s21, exec_lo
	s_delay_alu instid0(VALU_DEP_2) | instskip(NEXT) | instid1(VALU_DEP_1)
	v_dual_mov_b32 v57, 0 :: v_dual_and_b32 v58, 0xff, v2
	v_cmpx_ne_u16_e32 0, v58
	s_cbranch_execz .LBB296_4025
; %bb.4018:                             ;   in Loop: Header=BB296_2086 Depth=1
	v_mov_b32_e32 v57, 0x8000
	s_mov_b32 s22, exec_lo
	v_cmpx_ne_u16_e32 0x80, v58
	s_cbranch_execz .LBB296_4024
; %bb.4019:                             ;   in Loop: Header=BB296_2086 Depth=1
	v_bfe_u32 v59, v13, 16, 7
	v_mov_b32_e32 v57, 0x7c01
	s_mov_b32 s23, exec_lo
	s_delay_alu instid0(VALU_DEP_2)
	v_cmpx_ne_u32_e32 0x7f, v59
	s_cbranch_execz .LBB296_4023
; %bb.4020:                             ;   in Loop: Header=BB296_2086 Depth=1
	v_and_b32_e32 v57, 7, v2
	v_lshrrev_b32_e32 v58, 3, v59
	s_mov_b32 s24, exec_lo
	v_cmpx_gt_u32_e32 8, v59
; %bb.4021:                             ;   in Loop: Header=BB296_2086 Depth=1
	s_delay_alu instid0(VALU_DEP_3) | instskip(NEXT) | instid1(VALU_DEP_1)
	v_clz_i32_u32_e32 v64, v57
	v_min_u32_e32 v64, 32, v64
	s_delay_alu instid0(VALU_DEP_1) | instskip(NEXT) | instid1(VALU_DEP_1)
	v_subrev_nc_u32_e32 v57, 28, v64
	v_lshlrev_b64_e32 v[57:58], v57, v[2:3]
	v_sub_nc_u32_e32 v58, 29, v64
	s_delay_alu instid0(VALU_DEP_2)
	v_and_b32_e32 v57, 7, v57
; %bb.4022:                             ;   in Loop: Header=BB296_2086 Depth=1
	s_wait_alu 0xfffe
	s_or_b32 exec_lo, exec_lo, s24
	v_lshlrev_b32_e32 v2, 8, v2
	v_lshl_add_u32 v64, v58, 10, 0x2000
	v_lshlrev_b32_e32 v57, 7, v57
	s_delay_alu instid0(VALU_DEP_3) | instskip(NEXT) | instid1(VALU_DEP_3)
	v_and_b32_e32 v2, 0x8000, v2
	v_and_b32_e32 v64, 0xfc00, v64
	s_delay_alu instid0(VALU_DEP_1)
	v_or3_b32 v57, v2, v64, v57
.LBB296_4023:                           ;   in Loop: Header=BB296_2086 Depth=1
	s_wait_alu 0xfffe
	s_or_b32 exec_lo, exec_lo, s23
.LBB296_4024:                           ;   in Loop: Header=BB296_2086 Depth=1
	s_wait_alu 0xfffe
	s_or_b32 exec_lo, exec_lo, s22
.LBB296_4025:                           ;   in Loop: Header=BB296_2086 Depth=1
	s_wait_alu 0xfffe
	s_or_b32 exec_lo, exec_lo, s21
	s_delay_alu instid0(SALU_CYCLE_1)
	s_mov_b32 s21, exec_lo
	v_cmpx_lt_u32_e32 0xffffff, v13
	s_cbranch_execz .LBB296_4033
; %bb.4026:                             ;   in Loop: Header=BB296_2086 Depth=1
	v_lshrrev_b32_e32 v2, 24, v13
	v_bfrev_b32_e32 v56, 1
	s_mov_b32 s22, exec_lo
	s_delay_alu instid0(VALU_DEP_2)
	v_cmpx_ne_u32_e32 0x80, v2
	s_cbranch_execz .LBB296_4032
; %bb.4027:                             ;   in Loop: Header=BB296_2086 Depth=1
	v_and_b32_e32 v59, 0x7f, v2
	v_mov_b32_e32 v56, 0x7c010000
	s_mov_b32 s23, exec_lo
	s_delay_alu instid0(VALU_DEP_2)
	v_cmpx_ne_u32_e32 0x7f, v59
	s_cbranch_execz .LBB296_4031
; %bb.4028:                             ;   in Loop: Header=BB296_2086 Depth=1
	v_and_b32_e32 v56, 7, v2
	v_lshrrev_b32_e32 v58, 3, v59
	s_mov_b32 s24, exec_lo
	v_cmpx_gt_u32_e32 8, v59
; %bb.4029:                             ;   in Loop: Header=BB296_2086 Depth=1
	s_delay_alu instid0(VALU_DEP_3) | instskip(NEXT) | instid1(VALU_DEP_1)
	v_clz_i32_u32_e32 v64, v56
	v_min_u32_e32 v64, 32, v64
	s_delay_alu instid0(VALU_DEP_1) | instskip(SKIP_1) | instid1(VALU_DEP_2)
	v_subrev_nc_u32_e32 v56, 28, v64
	v_sub_nc_u32_e32 v58, 29, v64
	v_lshlrev_b64_e32 v[59:60], v56, v[2:3]
	s_delay_alu instid0(VALU_DEP_1)
	v_and_b32_e32 v56, 7, v59
; %bb.4030:                             ;   in Loop: Header=BB296_2086 Depth=1
	s_wait_alu 0xfffe
	s_or_b32 exec_lo, exec_lo, s24
	v_lshlrev_b32_e32 v2, 8, v2
	v_lshl_add_u32 v64, v58, 10, 0x2000
	s_delay_alu instid0(VALU_DEP_1) | instskip(SKIP_1) | instid1(VALU_DEP_1)
	v_and_or_b32 v2, 0x8000, v2, v64
	v_lshlrev_b32_e32 v64, 23, v56
	v_lshl_or_b32 v56, v2, 16, v64
.LBB296_4031:                           ;   in Loop: Header=BB296_2086 Depth=1
	s_wait_alu 0xfffe
	s_or_b32 exec_lo, exec_lo, s23
.LBB296_4032:                           ;   in Loop: Header=BB296_2086 Depth=1
	s_wait_alu 0xfffe
	s_or_b32 exec_lo, exec_lo, s22
.LBB296_4033:                           ;   in Loop: Header=BB296_2086 Depth=1
	s_wait_alu 0xfffe
	s_or_b32 exec_lo, exec_lo, s21
	v_dual_mov_b32 v59, 0 :: v_dual_and_b32 v60, 0xff, v14
	v_mov_b32_e32 v2, v14
	v_mov_b32_e32 v58, 0
	s_mov_b32 s21, exec_lo
	s_delay_alu instid0(VALU_DEP_3)
	v_cmpx_ne_u16_e32 0, v60
	s_cbranch_execz .LBB296_4041
; %bb.4034:                             ;   in Loop: Header=BB296_2086 Depth=1
	v_mov_b32_e32 v59, 0x8000
	s_mov_b32 s22, exec_lo
	v_cmpx_ne_u16_e32 0x80, v60
	s_cbranch_execz .LBB296_4040
; %bb.4035:                             ;   in Loop: Header=BB296_2086 Depth=1
	v_and_b32_e32 v61, 0x7f, v14
	v_mov_b32_e32 v59, 0x7c01
	s_mov_b32 s23, exec_lo
	s_delay_alu instid0(VALU_DEP_2)
	v_cmpx_ne_u32_e32 0x7f, v61
	s_cbranch_execz .LBB296_4039
; %bb.4036:                             ;   in Loop: Header=BB296_2086 Depth=1
	v_and_b32_e32 v59, 7, v14
	v_lshrrev_b32_e32 v60, 3, v61
	s_mov_b32 s24, exec_lo
	v_cmpx_gt_u32_e32 8, v61
; %bb.4037:                             ;   in Loop: Header=BB296_2086 Depth=1
	s_delay_alu instid0(VALU_DEP_3) | instskip(NEXT) | instid1(VALU_DEP_1)
	v_clz_i32_u32_e32 v64, v59
	v_min_u32_e32 v64, 32, v64
	s_delay_alu instid0(VALU_DEP_1) | instskip(NEXT) | instid1(VALU_DEP_1)
	v_subrev_nc_u32_e32 v59, 28, v64
	v_lshlrev_b64_e32 v[59:60], v59, v[2:3]
	v_sub_nc_u32_e32 v60, 29, v64
	s_delay_alu instid0(VALU_DEP_2)
	v_and_b32_e32 v59, 7, v59
; %bb.4038:                             ;   in Loop: Header=BB296_2086 Depth=1
	s_wait_alu 0xfffe
	s_or_b32 exec_lo, exec_lo, s24
	v_lshlrev_b32_e32 v64, 8, v14
	v_lshl_add_u32 v60, v60, 10, 0x2000
	v_lshlrev_b32_e32 v59, 7, v59
	s_delay_alu instid0(VALU_DEP_3) | instskip(NEXT) | instid1(VALU_DEP_3)
	v_and_b32_e32 v64, 0x8000, v64
	v_and_b32_e32 v60, 0xfc00, v60
	s_delay_alu instid0(VALU_DEP_1)
	v_or3_b32 v59, v64, v60, v59
.LBB296_4039:                           ;   in Loop: Header=BB296_2086 Depth=1
	s_wait_alu 0xfffe
	s_or_b32 exec_lo, exec_lo, s23
.LBB296_4040:                           ;   in Loop: Header=BB296_2086 Depth=1
	s_wait_alu 0xfffe
	s_or_b32 exec_lo, exec_lo, s22
.LBB296_4041:                           ;   in Loop: Header=BB296_2086 Depth=1
	s_wait_alu 0xfffe
	s_or_b32 exec_lo, exec_lo, s21
	v_lshrrev_b16 v2, 8, v2
	v_mov_b32_e32 v60, 0
	s_mov_b32 s21, exec_lo
	s_delay_alu instid0(VALU_DEP_2)
	v_cmpx_ne_u16_e32 0, v2
	s_cbranch_execz .LBB296_4049
; %bb.4042:                             ;   in Loop: Header=BB296_2086 Depth=1
	v_bfrev_b32_e32 v60, 1
	s_mov_b32 s22, exec_lo
	v_cmpx_ne_u16_e32 0x80, v2
	s_cbranch_execz .LBB296_4048
; %bb.4043:                             ;   in Loop: Header=BB296_2086 Depth=1
	v_and_b32_e32 v61, 0xffff, v2
	v_mov_b32_e32 v60, 0x7c010000
	s_mov_b32 s23, exec_lo
	s_delay_alu instid0(VALU_DEP_2) | instskip(NEXT) | instid1(VALU_DEP_1)
	v_and_b32_e32 v63, 0x7f, v61
	v_cmpx_ne_u32_e32 0x7f, v63
	s_cbranch_execz .LBB296_4047
; %bb.4044:                             ;   in Loop: Header=BB296_2086 Depth=1
	v_and_b32_e32 v60, 7, v61
	v_lshrrev_b32_e32 v62, 3, v63
	s_mov_b32 s24, exec_lo
	v_cmpx_gt_u32_e32 8, v63
; %bb.4045:                             ;   in Loop: Header=BB296_2086 Depth=1
	s_delay_alu instid0(VALU_DEP_3) | instskip(NEXT) | instid1(VALU_DEP_1)
	v_clz_i32_u32_e32 v64, v60
	v_min_u32_e32 v64, 32, v64
	s_delay_alu instid0(VALU_DEP_1) | instskip(SKIP_1) | instid1(VALU_DEP_2)
	v_subrev_nc_u32_e32 v60, 28, v64
	v_sub_nc_u32_e32 v62, 29, v64
	v_lshlrev_b64_e32 v[72:73], v60, v[2:3]
	s_delay_alu instid0(VALU_DEP_1)
	v_and_b32_e32 v60, 7, v72
; %bb.4046:                             ;   in Loop: Header=BB296_2086 Depth=1
	s_wait_alu 0xfffe
	s_or_b32 exec_lo, exec_lo, s24
	v_lshlrev_b32_e32 v2, 8, v61
	v_lshl_add_u32 v64, v62, 10, 0x2000
	s_delay_alu instid0(VALU_DEP_1) | instskip(SKIP_1) | instid1(VALU_DEP_1)
	v_and_or_b32 v2, 0x8000, v2, v64
	v_lshlrev_b32_e32 v64, 23, v60
	v_lshl_or_b32 v60, v2, 16, v64
.LBB296_4047:                           ;   in Loop: Header=BB296_2086 Depth=1
	s_wait_alu 0xfffe
	s_or_b32 exec_lo, exec_lo, s23
.LBB296_4048:                           ;   in Loop: Header=BB296_2086 Depth=1
	s_wait_alu 0xfffe
	s_or_b32 exec_lo, exec_lo, s22
.LBB296_4049:                           ;   in Loop: Header=BB296_2086 Depth=1
	s_wait_alu 0xfffe
	s_or_b32 exec_lo, exec_lo, s21
	v_lshrrev_b32_e32 v2, 16, v14
	s_mov_b32 s21, exec_lo
	s_delay_alu instid0(VALU_DEP_1) | instskip(NEXT) | instid1(VALU_DEP_1)
	v_and_b32_e32 v61, 0xff, v2
	v_cmpx_ne_u16_e32 0, v61
	s_cbranch_execz .LBB296_4057
; %bb.4050:                             ;   in Loop: Header=BB296_2086 Depth=1
	v_mov_b32_e32 v58, 0x8000
	s_mov_b32 s22, exec_lo
	v_cmpx_ne_u16_e32 0x80, v61
	s_cbranch_execz .LBB296_4056
; %bb.4051:                             ;   in Loop: Header=BB296_2086 Depth=1
	v_bfe_u32 v62, v14, 16, 7
	v_mov_b32_e32 v58, 0x7c01
	s_mov_b32 s23, exec_lo
	s_delay_alu instid0(VALU_DEP_2)
	v_cmpx_ne_u32_e32 0x7f, v62
	s_cbranch_execz .LBB296_4055
; %bb.4052:                             ;   in Loop: Header=BB296_2086 Depth=1
	v_and_b32_e32 v58, 7, v2
	v_lshrrev_b32_e32 v61, 3, v62
	s_mov_b32 s24, exec_lo
	v_cmpx_gt_u32_e32 8, v62
; %bb.4053:                             ;   in Loop: Header=BB296_2086 Depth=1
	s_delay_alu instid0(VALU_DEP_3) | instskip(NEXT) | instid1(VALU_DEP_1)
	v_clz_i32_u32_e32 v64, v58
	v_min_u32_e32 v64, 32, v64
	s_delay_alu instid0(VALU_DEP_1) | instskip(SKIP_1) | instid1(VALU_DEP_2)
	v_subrev_nc_u32_e32 v58, 28, v64
	v_sub_nc_u32_e32 v61, 29, v64
	v_lshlrev_b64_e32 v[62:63], v58, v[2:3]
	s_delay_alu instid0(VALU_DEP_1)
	v_and_b32_e32 v58, 7, v62
; %bb.4054:                             ;   in Loop: Header=BB296_2086 Depth=1
	s_wait_alu 0xfffe
	s_or_b32 exec_lo, exec_lo, s24
	v_lshlrev_b32_e32 v2, 8, v2
	v_lshl_add_u32 v64, v61, 10, 0x2000
	v_lshlrev_b32_e32 v58, 7, v58
	s_delay_alu instid0(VALU_DEP_3) | instskip(NEXT) | instid1(VALU_DEP_3)
	v_and_b32_e32 v2, 0x8000, v2
	v_and_b32_e32 v64, 0xfc00, v64
	s_delay_alu instid0(VALU_DEP_1)
	v_or3_b32 v58, v2, v64, v58
.LBB296_4055:                           ;   in Loop: Header=BB296_2086 Depth=1
	s_wait_alu 0xfffe
	s_or_b32 exec_lo, exec_lo, s23
.LBB296_4056:                           ;   in Loop: Header=BB296_2086 Depth=1
	s_wait_alu 0xfffe
	s_or_b32 exec_lo, exec_lo, s22
.LBB296_4057:                           ;   in Loop: Header=BB296_2086 Depth=1
	s_wait_alu 0xfffe
	s_or_b32 exec_lo, exec_lo, s21
	v_cmp_lt_u64_e64 s8, s[16:17], v[13:14]
	v_mov_b32_e32 v13, 0
	s_and_saveexec_b32 s21, s8
	s_cbranch_execz .LBB296_4065
; %bb.4058:                             ;   in Loop: Header=BB296_2086 Depth=1
	v_lshrrev_b32_e32 v2, 24, v14
	v_bfrev_b32_e32 v13, 1
	s_mov_b32 s22, exec_lo
	s_delay_alu instid0(VALU_DEP_2)
	v_cmpx_ne_u32_e32 0x80, v2
	s_cbranch_execz .LBB296_4064
; %bb.4059:                             ;   in Loop: Header=BB296_2086 Depth=1
	v_and_b32_e32 v61, 0x7f, v2
	v_mov_b32_e32 v13, 0x7c010000
	s_mov_b32 s23, exec_lo
	s_delay_alu instid0(VALU_DEP_2)
	v_cmpx_ne_u32_e32 0x7f, v61
	s_cbranch_execz .LBB296_4063
; %bb.4060:                             ;   in Loop: Header=BB296_2086 Depth=1
	v_and_b32_e32 v13, 7, v2
	v_lshrrev_b32_e32 v14, 3, v61
	s_mov_b32 s24, exec_lo
	v_cmpx_gt_u32_e32 8, v61
; %bb.4061:                             ;   in Loop: Header=BB296_2086 Depth=1
	s_delay_alu instid0(VALU_DEP_3) | instskip(NEXT) | instid1(VALU_DEP_1)
	v_clz_i32_u32_e32 v13, v13
	v_min_u32_e32 v64, 32, v13
	s_delay_alu instid0(VALU_DEP_1) | instskip(NEXT) | instid1(VALU_DEP_1)
	v_subrev_nc_u32_e32 v13, 28, v64
	v_lshlrev_b64_e32 v[13:14], v13, v[2:3]
	v_sub_nc_u32_e32 v14, 29, v64
	s_delay_alu instid0(VALU_DEP_2)
	v_and_b32_e32 v13, 7, v13
; %bb.4062:                             ;   in Loop: Header=BB296_2086 Depth=1
	s_wait_alu 0xfffe
	s_or_b32 exec_lo, exec_lo, s24
	v_lshlrev_b32_e32 v2, 8, v2
	v_lshl_add_u32 v14, v14, 10, 0x2000
	v_lshlrev_b32_e32 v13, 23, v13
	s_delay_alu instid0(VALU_DEP_2) | instskip(NEXT) | instid1(VALU_DEP_1)
	v_and_or_b32 v2, 0x8000, v2, v14
	v_lshl_or_b32 v13, v2, 16, v13
.LBB296_4063:                           ;   in Loop: Header=BB296_2086 Depth=1
	s_wait_alu 0xfffe
	s_or_b32 exec_lo, exec_lo, s23
.LBB296_4064:                           ;   in Loop: Header=BB296_2086 Depth=1
	s_wait_alu 0xfffe
	s_or_b32 exec_lo, exec_lo, s22
.LBB296_4065:                           ;   in Loop: Header=BB296_2086 Depth=1
	s_wait_alu 0xfffe
	s_or_b32 exec_lo, exec_lo, s21
	v_or_b32_e32 v2, v56, v57
	s_wait_loadcnt_dscnt 0x0
	v_fma_mixlo_f16 v14, v19, v56, 0 op_sel:[0,1,0] op_sel_hi:[0,1,0]
	v_or_b32_e32 v64, v46, v47
	v_or_b32_e32 v47, v60, v59
	;; [unrolled: 1-line block ×3, first 2 shown]
	v_fma_mixlo_f16 v56, v19, v2, 0 op_sel_hi:[0,1,0]
	v_fma_mixlo_f16 v46, v19, v46, 0 op_sel:[0,1,0] op_sel_hi:[0,1,0]
	v_lshlrev_b32_e32 v2, 16, v14
	v_fma_mixlo_f16 v64, v19, v64, 0 op_sel_hi:[0,1,0]
	v_fma_mixlo_f16 v47, v19, v47, 0 op_sel_hi:[0,1,0]
	v_and_b32_e32 v14, 0xffff, v56
	v_fma_mixlo_f16 v56, v19, v60, 0 op_sel:[0,1,0] op_sel_hi:[0,1,0]
	v_fma_mixlo_f16 v13, v19, v13, 0 op_sel:[0,1,0] op_sel_hi:[0,1,0]
	v_fma_mixlo_f16 v19, v19, v57, 0 op_sel_hi:[0,1,0]
	v_lshlrev_b32_e32 v46, 16, v46
	v_and_b32_e32 v61, 0xffff, v64
	v_lshlrev_b32_e32 v58, 16, v56
	v_and_b32_e32 v60, 0xffff, v47
	;; [unrolled: 2-line block ×3, first 2 shown]
	v_or_b32_e32 v13, v2, v14
	v_or_b32_e32 v56, v46, v61
	;; [unrolled: 1-line block ×3, first 2 shown]
	s_delay_alu instid0(VALU_DEP_4)
	v_or_b32_e32 v19, v57, v59
	s_and_saveexec_b32 s8, s0
	s_cbranch_execz .LBB296_4067
; %bb.4066:                             ;   in Loop: Header=BB296_2086 Depth=1
	s_wait_alu 0xfffd
	v_cndmask_b32_e32 v13, 0, v61, vcc_lo
	v_cndmask_b32_e64 v19, 0, v46, s3
	v_cndmask_b32_e64 v14, 0, v14, s1
	;; [unrolled: 1-line block ×7, first 2 shown]
	v_or_b32_e32 v56, v13, v19
	v_or_b32_e32 v13, v14, v2
	;; [unrolled: 1-line block ×3, first 2 shown]
	s_delay_alu instid0(VALU_DEP_4)
	v_or_b32_e32 v19, v58, v57
.LBB296_4067:                           ;   in Loop: Header=BB296_2086 Depth=1
	s_wait_alu 0xfffe
	s_or_b32 exec_lo, exec_lo, s8
	;;#ASMSTART
	v_pk_mul_f16 v2, v115, v56;

	;;#ASMEND
	;;#ASMSTART
	v_pk_mul_f16 v13, v114, v13;

	;;#ASMEND
	;; [unrolled: 4-line block ×4, first 2 shown]
	;;#ASMSTART
	v_pk_add_f16 v2, v2, v13;

	;;#ASMEND
	;;#ASMSTART
	v_pk_add_f16 v2, v2, v14;

	;;#ASMEND
	;; [unrolled: 4-line block ×3, first 2 shown]
	v_dual_mov_b32 v46, 0 :: v_dual_and_b32 v13, 0xffff, v2
	v_lshrrev_b32_e32 v2, 16, v2
	;;#ASMSTART
	v_cvt_f32_f16 v13, v13;
	;;#ASMEND
	;;#ASMSTART
	v_cvt_f32_f16 v14, v2;
	;;#ASMEND
	flat_load_b64 v[11:12], v[11:12] offset:7680
	flat_load_b32 v19, v[26:27]
	s_mov_b32 s21, exec_lo
	s_wait_loadcnt_dscnt 0x101
	v_dual_mov_b32 v47, 0 :: v_dual_and_b32 v2, 0xff, v11
	s_delay_alu instid0(VALU_DEP_1)
	v_cmpx_ne_u16_e32 0, v2
	s_cbranch_execz .LBB296_4075
; %bb.4068:                             ;   in Loop: Header=BB296_2086 Depth=1
	v_mov_b32_e32 v47, 0x8000
	s_mov_b32 s22, exec_lo
	v_cmpx_ne_u16_e32 0x80, v2
	s_cbranch_execz .LBB296_4074
; %bb.4069:                             ;   in Loop: Header=BB296_2086 Depth=1
	v_and_b32_e32 v56, 0x7f, v11
	v_mov_b32_e32 v47, 0x7c01
	s_mov_b32 s23, exec_lo
	s_delay_alu instid0(VALU_DEP_2)
	v_cmpx_ne_u32_e32 0x7f, v56
	s_cbranch_execz .LBB296_4073
; %bb.4070:                             ;   in Loop: Header=BB296_2086 Depth=1
	v_and_b32_e32 v2, 7, v11
	v_lshrrev_b32_e32 v47, 3, v56
	s_mov_b32 s24, exec_lo
	v_cmpx_gt_u32_e32 8, v56
; %bb.4071:                             ;   in Loop: Header=BB296_2086 Depth=1
	s_delay_alu instid0(VALU_DEP_3) | instskip(NEXT) | instid1(VALU_DEP_1)
	v_clz_i32_u32_e32 v2, v2
	v_min_u32_e32 v2, 32, v2
	s_delay_alu instid0(VALU_DEP_1) | instskip(SKIP_1) | instid1(VALU_DEP_2)
	v_subrev_nc_u32_e32 v64, 28, v2
	v_sub_nc_u32_e32 v47, 29, v2
	v_lshlrev_b64_e32 v[56:57], v64, v[11:12]
	s_delay_alu instid0(VALU_DEP_1)
	v_and_b32_e32 v2, 7, v56
; %bb.4072:                             ;   in Loop: Header=BB296_2086 Depth=1
	s_wait_alu 0xfffe
	s_or_b32 exec_lo, exec_lo, s24
	v_lshlrev_b32_e32 v64, 8, v11
	v_lshl_add_u32 v47, v47, 10, 0x2000
	v_lshlrev_b32_e32 v2, 7, v2
	s_delay_alu instid0(VALU_DEP_3) | instskip(NEXT) | instid1(VALU_DEP_3)
	v_and_b32_e32 v64, 0x8000, v64
	v_and_b32_e32 v47, 0xfc00, v47
	s_delay_alu instid0(VALU_DEP_1)
	v_or3_b32 v47, v64, v47, v2
.LBB296_4073:                           ;   in Loop: Header=BB296_2086 Depth=1
	s_wait_alu 0xfffe
	s_or_b32 exec_lo, exec_lo, s23
.LBB296_4074:                           ;   in Loop: Header=BB296_2086 Depth=1
	s_wait_alu 0xfffe
	s_or_b32 exec_lo, exec_lo, s22
.LBB296_4075:                           ;   in Loop: Header=BB296_2086 Depth=1
	s_wait_alu 0xfffe
	s_or_b32 exec_lo, exec_lo, s21
	v_lshrrev_b16 v2, 8, v11
	s_mov_b32 s21, exec_lo
	s_delay_alu instid0(VALU_DEP_1)
	v_cmpx_ne_u16_e32 0, v2
	s_cbranch_execz .LBB296_4083
; %bb.4076:                             ;   in Loop: Header=BB296_2086 Depth=1
	v_bfrev_b32_e32 v46, 1
	s_mov_b32 s22, exec_lo
	v_cmpx_ne_u16_e32 0x80, v2
	s_cbranch_execz .LBB296_4082
; %bb.4077:                             ;   in Loop: Header=BB296_2086 Depth=1
	v_and_b32_e32 v56, 0xffff, v2
	v_mov_b32_e32 v46, 0x7c010000
	s_mov_b32 s23, exec_lo
	s_delay_alu instid0(VALU_DEP_2) | instskip(NEXT) | instid1(VALU_DEP_1)
	v_and_b32_e32 v58, 0x7f, v56
	v_cmpx_ne_u32_e32 0x7f, v58
	s_cbranch_execz .LBB296_4081
; %bb.4078:                             ;   in Loop: Header=BB296_2086 Depth=1
	v_and_b32_e32 v46, 7, v56
	v_lshrrev_b32_e32 v57, 3, v58
	s_mov_b32 s24, exec_lo
	v_cmpx_gt_u32_e32 8, v58
; %bb.4079:                             ;   in Loop: Header=BB296_2086 Depth=1
	s_delay_alu instid0(VALU_DEP_3) | instskip(NEXT) | instid1(VALU_DEP_1)
	v_clz_i32_u32_e32 v64, v46
	v_min_u32_e32 v64, 32, v64
	s_delay_alu instid0(VALU_DEP_1) | instskip(SKIP_1) | instid1(VALU_DEP_2)
	v_subrev_nc_u32_e32 v46, 28, v64
	v_sub_nc_u32_e32 v57, 29, v64
	v_lshlrev_b64_e32 v[58:59], v46, v[2:3]
	s_delay_alu instid0(VALU_DEP_1)
	v_and_b32_e32 v46, 7, v58
; %bb.4080:                             ;   in Loop: Header=BB296_2086 Depth=1
	s_wait_alu 0xfffe
	s_or_b32 exec_lo, exec_lo, s24
	v_lshlrev_b32_e32 v2, 8, v56
	v_lshl_add_u32 v64, v57, 10, 0x2000
	s_delay_alu instid0(VALU_DEP_1) | instskip(SKIP_1) | instid1(VALU_DEP_1)
	v_and_or_b32 v2, 0x8000, v2, v64
	v_lshlrev_b32_e32 v64, 23, v46
	v_lshl_or_b32 v46, v2, 16, v64
.LBB296_4081:                           ;   in Loop: Header=BB296_2086 Depth=1
	s_wait_alu 0xfffe
	s_or_b32 exec_lo, exec_lo, s23
.LBB296_4082:                           ;   in Loop: Header=BB296_2086 Depth=1
	s_wait_alu 0xfffe
	s_or_b32 exec_lo, exec_lo, s22
.LBB296_4083:                           ;   in Loop: Header=BB296_2086 Depth=1
	s_wait_alu 0xfffe
	s_or_b32 exec_lo, exec_lo, s21
	v_lshrrev_b32_e32 v2, 16, v11
	v_mov_b32_e32 v56, 0
	s_mov_b32 s21, exec_lo
	s_delay_alu instid0(VALU_DEP_2) | instskip(NEXT) | instid1(VALU_DEP_1)
	v_dual_mov_b32 v57, 0 :: v_dual_and_b32 v58, 0xff, v2
	v_cmpx_ne_u16_e32 0, v58
	s_cbranch_execz .LBB296_4091
; %bb.4084:                             ;   in Loop: Header=BB296_2086 Depth=1
	v_mov_b32_e32 v57, 0x8000
	s_mov_b32 s22, exec_lo
	v_cmpx_ne_u16_e32 0x80, v58
	s_cbranch_execz .LBB296_4090
; %bb.4085:                             ;   in Loop: Header=BB296_2086 Depth=1
	v_bfe_u32 v59, v11, 16, 7
	v_mov_b32_e32 v57, 0x7c01
	s_mov_b32 s23, exec_lo
	s_delay_alu instid0(VALU_DEP_2)
	v_cmpx_ne_u32_e32 0x7f, v59
	s_cbranch_execz .LBB296_4089
; %bb.4086:                             ;   in Loop: Header=BB296_2086 Depth=1
	v_and_b32_e32 v57, 7, v2
	v_lshrrev_b32_e32 v58, 3, v59
	s_mov_b32 s24, exec_lo
	v_cmpx_gt_u32_e32 8, v59
; %bb.4087:                             ;   in Loop: Header=BB296_2086 Depth=1
	s_delay_alu instid0(VALU_DEP_3) | instskip(NEXT) | instid1(VALU_DEP_1)
	v_clz_i32_u32_e32 v64, v57
	v_min_u32_e32 v64, 32, v64
	s_delay_alu instid0(VALU_DEP_1) | instskip(NEXT) | instid1(VALU_DEP_1)
	v_subrev_nc_u32_e32 v57, 28, v64
	v_lshlrev_b64_e32 v[57:58], v57, v[2:3]
	v_sub_nc_u32_e32 v58, 29, v64
	s_delay_alu instid0(VALU_DEP_2)
	v_and_b32_e32 v57, 7, v57
; %bb.4088:                             ;   in Loop: Header=BB296_2086 Depth=1
	s_wait_alu 0xfffe
	s_or_b32 exec_lo, exec_lo, s24
	v_lshlrev_b32_e32 v2, 8, v2
	v_lshl_add_u32 v64, v58, 10, 0x2000
	v_lshlrev_b32_e32 v57, 7, v57
	s_delay_alu instid0(VALU_DEP_3) | instskip(NEXT) | instid1(VALU_DEP_3)
	v_and_b32_e32 v2, 0x8000, v2
	v_and_b32_e32 v64, 0xfc00, v64
	s_delay_alu instid0(VALU_DEP_1)
	v_or3_b32 v57, v2, v64, v57
.LBB296_4089:                           ;   in Loop: Header=BB296_2086 Depth=1
	s_wait_alu 0xfffe
	s_or_b32 exec_lo, exec_lo, s23
.LBB296_4090:                           ;   in Loop: Header=BB296_2086 Depth=1
	s_wait_alu 0xfffe
	s_or_b32 exec_lo, exec_lo, s22
.LBB296_4091:                           ;   in Loop: Header=BB296_2086 Depth=1
	s_wait_alu 0xfffe
	s_or_b32 exec_lo, exec_lo, s21
	s_delay_alu instid0(SALU_CYCLE_1)
	s_mov_b32 s21, exec_lo
	v_cmpx_lt_u32_e32 0xffffff, v11
	s_cbranch_execz .LBB296_4099
; %bb.4092:                             ;   in Loop: Header=BB296_2086 Depth=1
	v_lshrrev_b32_e32 v2, 24, v11
	v_bfrev_b32_e32 v56, 1
	s_mov_b32 s22, exec_lo
	s_delay_alu instid0(VALU_DEP_2)
	v_cmpx_ne_u32_e32 0x80, v2
	s_cbranch_execz .LBB296_4098
; %bb.4093:                             ;   in Loop: Header=BB296_2086 Depth=1
	v_and_b32_e32 v59, 0x7f, v2
	v_mov_b32_e32 v56, 0x7c010000
	s_mov_b32 s23, exec_lo
	s_delay_alu instid0(VALU_DEP_2)
	v_cmpx_ne_u32_e32 0x7f, v59
	s_cbranch_execz .LBB296_4097
; %bb.4094:                             ;   in Loop: Header=BB296_2086 Depth=1
	v_and_b32_e32 v56, 7, v2
	v_lshrrev_b32_e32 v58, 3, v59
	s_mov_b32 s24, exec_lo
	v_cmpx_gt_u32_e32 8, v59
; %bb.4095:                             ;   in Loop: Header=BB296_2086 Depth=1
	s_delay_alu instid0(VALU_DEP_3) | instskip(NEXT) | instid1(VALU_DEP_1)
	v_clz_i32_u32_e32 v64, v56
	v_min_u32_e32 v64, 32, v64
	s_delay_alu instid0(VALU_DEP_1) | instskip(SKIP_1) | instid1(VALU_DEP_2)
	v_subrev_nc_u32_e32 v56, 28, v64
	v_sub_nc_u32_e32 v58, 29, v64
	v_lshlrev_b64_e32 v[59:60], v56, v[2:3]
	s_delay_alu instid0(VALU_DEP_1)
	v_and_b32_e32 v56, 7, v59
; %bb.4096:                             ;   in Loop: Header=BB296_2086 Depth=1
	s_wait_alu 0xfffe
	s_or_b32 exec_lo, exec_lo, s24
	v_lshlrev_b32_e32 v2, 8, v2
	v_lshl_add_u32 v64, v58, 10, 0x2000
	s_delay_alu instid0(VALU_DEP_1) | instskip(SKIP_1) | instid1(VALU_DEP_1)
	v_and_or_b32 v2, 0x8000, v2, v64
	v_lshlrev_b32_e32 v64, 23, v56
	v_lshl_or_b32 v56, v2, 16, v64
.LBB296_4097:                           ;   in Loop: Header=BB296_2086 Depth=1
	s_wait_alu 0xfffe
	s_or_b32 exec_lo, exec_lo, s23
.LBB296_4098:                           ;   in Loop: Header=BB296_2086 Depth=1
	s_wait_alu 0xfffe
	s_or_b32 exec_lo, exec_lo, s22
.LBB296_4099:                           ;   in Loop: Header=BB296_2086 Depth=1
	s_wait_alu 0xfffe
	s_or_b32 exec_lo, exec_lo, s21
	v_dual_mov_b32 v59, 0 :: v_dual_and_b32 v60, 0xff, v12
	v_mov_b32_e32 v2, v12
	v_mov_b32_e32 v58, 0
	s_mov_b32 s21, exec_lo
	s_delay_alu instid0(VALU_DEP_3)
	v_cmpx_ne_u16_e32 0, v60
	s_cbranch_execz .LBB296_4107
; %bb.4100:                             ;   in Loop: Header=BB296_2086 Depth=1
	v_mov_b32_e32 v59, 0x8000
	s_mov_b32 s22, exec_lo
	v_cmpx_ne_u16_e32 0x80, v60
	s_cbranch_execz .LBB296_4106
; %bb.4101:                             ;   in Loop: Header=BB296_2086 Depth=1
	v_and_b32_e32 v61, 0x7f, v12
	v_mov_b32_e32 v59, 0x7c01
	s_mov_b32 s23, exec_lo
	s_delay_alu instid0(VALU_DEP_2)
	v_cmpx_ne_u32_e32 0x7f, v61
	s_cbranch_execz .LBB296_4105
; %bb.4102:                             ;   in Loop: Header=BB296_2086 Depth=1
	v_and_b32_e32 v59, 7, v12
	v_lshrrev_b32_e32 v60, 3, v61
	s_mov_b32 s24, exec_lo
	v_cmpx_gt_u32_e32 8, v61
; %bb.4103:                             ;   in Loop: Header=BB296_2086 Depth=1
	s_delay_alu instid0(VALU_DEP_3) | instskip(NEXT) | instid1(VALU_DEP_1)
	v_clz_i32_u32_e32 v64, v59
	v_min_u32_e32 v64, 32, v64
	s_delay_alu instid0(VALU_DEP_1) | instskip(NEXT) | instid1(VALU_DEP_1)
	v_subrev_nc_u32_e32 v59, 28, v64
	v_lshlrev_b64_e32 v[59:60], v59, v[2:3]
	v_sub_nc_u32_e32 v60, 29, v64
	s_delay_alu instid0(VALU_DEP_2)
	v_and_b32_e32 v59, 7, v59
; %bb.4104:                             ;   in Loop: Header=BB296_2086 Depth=1
	s_wait_alu 0xfffe
	s_or_b32 exec_lo, exec_lo, s24
	v_lshlrev_b32_e32 v64, 8, v12
	v_lshl_add_u32 v60, v60, 10, 0x2000
	v_lshlrev_b32_e32 v59, 7, v59
	s_delay_alu instid0(VALU_DEP_3) | instskip(NEXT) | instid1(VALU_DEP_3)
	v_and_b32_e32 v64, 0x8000, v64
	v_and_b32_e32 v60, 0xfc00, v60
	s_delay_alu instid0(VALU_DEP_1)
	v_or3_b32 v59, v64, v60, v59
.LBB296_4105:                           ;   in Loop: Header=BB296_2086 Depth=1
	s_wait_alu 0xfffe
	s_or_b32 exec_lo, exec_lo, s23
.LBB296_4106:                           ;   in Loop: Header=BB296_2086 Depth=1
	s_wait_alu 0xfffe
	s_or_b32 exec_lo, exec_lo, s22
.LBB296_4107:                           ;   in Loop: Header=BB296_2086 Depth=1
	s_wait_alu 0xfffe
	s_or_b32 exec_lo, exec_lo, s21
	v_lshrrev_b16 v2, 8, v2
	v_mov_b32_e32 v60, 0
	s_mov_b32 s21, exec_lo
	s_delay_alu instid0(VALU_DEP_2)
	v_cmpx_ne_u16_e32 0, v2
	s_cbranch_execz .LBB296_4115
; %bb.4108:                             ;   in Loop: Header=BB296_2086 Depth=1
	v_bfrev_b32_e32 v60, 1
	s_mov_b32 s22, exec_lo
	v_cmpx_ne_u16_e32 0x80, v2
	s_cbranch_execz .LBB296_4114
; %bb.4109:                             ;   in Loop: Header=BB296_2086 Depth=1
	v_and_b32_e32 v61, 0xffff, v2
	v_mov_b32_e32 v60, 0x7c010000
	s_mov_b32 s23, exec_lo
	s_delay_alu instid0(VALU_DEP_2) | instskip(NEXT) | instid1(VALU_DEP_1)
	v_and_b32_e32 v63, 0x7f, v61
	v_cmpx_ne_u32_e32 0x7f, v63
	s_cbranch_execz .LBB296_4113
; %bb.4110:                             ;   in Loop: Header=BB296_2086 Depth=1
	v_and_b32_e32 v60, 7, v61
	v_lshrrev_b32_e32 v62, 3, v63
	s_mov_b32 s24, exec_lo
	v_cmpx_gt_u32_e32 8, v63
; %bb.4111:                             ;   in Loop: Header=BB296_2086 Depth=1
	s_delay_alu instid0(VALU_DEP_3) | instskip(NEXT) | instid1(VALU_DEP_1)
	v_clz_i32_u32_e32 v64, v60
	v_min_u32_e32 v64, 32, v64
	s_delay_alu instid0(VALU_DEP_1) | instskip(SKIP_1) | instid1(VALU_DEP_2)
	v_subrev_nc_u32_e32 v60, 28, v64
	v_sub_nc_u32_e32 v62, 29, v64
	v_lshlrev_b64_e32 v[72:73], v60, v[2:3]
	s_delay_alu instid0(VALU_DEP_1)
	v_and_b32_e32 v60, 7, v72
; %bb.4112:                             ;   in Loop: Header=BB296_2086 Depth=1
	s_wait_alu 0xfffe
	s_or_b32 exec_lo, exec_lo, s24
	v_lshlrev_b32_e32 v2, 8, v61
	v_lshl_add_u32 v64, v62, 10, 0x2000
	s_delay_alu instid0(VALU_DEP_1) | instskip(SKIP_1) | instid1(VALU_DEP_1)
	v_and_or_b32 v2, 0x8000, v2, v64
	v_lshlrev_b32_e32 v64, 23, v60
	v_lshl_or_b32 v60, v2, 16, v64
.LBB296_4113:                           ;   in Loop: Header=BB296_2086 Depth=1
	s_wait_alu 0xfffe
	s_or_b32 exec_lo, exec_lo, s23
.LBB296_4114:                           ;   in Loop: Header=BB296_2086 Depth=1
	s_wait_alu 0xfffe
	s_or_b32 exec_lo, exec_lo, s22
.LBB296_4115:                           ;   in Loop: Header=BB296_2086 Depth=1
	s_wait_alu 0xfffe
	s_or_b32 exec_lo, exec_lo, s21
	v_lshrrev_b32_e32 v2, 16, v12
	s_mov_b32 s21, exec_lo
	s_delay_alu instid0(VALU_DEP_1) | instskip(NEXT) | instid1(VALU_DEP_1)
	v_and_b32_e32 v61, 0xff, v2
	v_cmpx_ne_u16_e32 0, v61
	s_cbranch_execz .LBB296_4123
; %bb.4116:                             ;   in Loop: Header=BB296_2086 Depth=1
	v_mov_b32_e32 v58, 0x8000
	s_mov_b32 s22, exec_lo
	v_cmpx_ne_u16_e32 0x80, v61
	s_cbranch_execz .LBB296_4122
; %bb.4117:                             ;   in Loop: Header=BB296_2086 Depth=1
	v_bfe_u32 v62, v12, 16, 7
	v_mov_b32_e32 v58, 0x7c01
	s_mov_b32 s23, exec_lo
	s_delay_alu instid0(VALU_DEP_2)
	v_cmpx_ne_u32_e32 0x7f, v62
	s_cbranch_execz .LBB296_4121
; %bb.4118:                             ;   in Loop: Header=BB296_2086 Depth=1
	v_and_b32_e32 v58, 7, v2
	v_lshrrev_b32_e32 v61, 3, v62
	s_mov_b32 s24, exec_lo
	v_cmpx_gt_u32_e32 8, v62
; %bb.4119:                             ;   in Loop: Header=BB296_2086 Depth=1
	s_delay_alu instid0(VALU_DEP_3) | instskip(NEXT) | instid1(VALU_DEP_1)
	v_clz_i32_u32_e32 v64, v58
	v_min_u32_e32 v64, 32, v64
	s_delay_alu instid0(VALU_DEP_1) | instskip(SKIP_1) | instid1(VALU_DEP_2)
	v_subrev_nc_u32_e32 v58, 28, v64
	v_sub_nc_u32_e32 v61, 29, v64
	v_lshlrev_b64_e32 v[62:63], v58, v[2:3]
	s_delay_alu instid0(VALU_DEP_1)
	v_and_b32_e32 v58, 7, v62
; %bb.4120:                             ;   in Loop: Header=BB296_2086 Depth=1
	s_wait_alu 0xfffe
	s_or_b32 exec_lo, exec_lo, s24
	v_lshlrev_b32_e32 v2, 8, v2
	v_lshl_add_u32 v64, v61, 10, 0x2000
	v_lshlrev_b32_e32 v58, 7, v58
	s_delay_alu instid0(VALU_DEP_3) | instskip(NEXT) | instid1(VALU_DEP_3)
	v_and_b32_e32 v2, 0x8000, v2
	v_and_b32_e32 v64, 0xfc00, v64
	s_delay_alu instid0(VALU_DEP_1)
	v_or3_b32 v58, v2, v64, v58
.LBB296_4121:                           ;   in Loop: Header=BB296_2086 Depth=1
	s_wait_alu 0xfffe
	s_or_b32 exec_lo, exec_lo, s23
.LBB296_4122:                           ;   in Loop: Header=BB296_2086 Depth=1
	s_wait_alu 0xfffe
	s_or_b32 exec_lo, exec_lo, s22
.LBB296_4123:                           ;   in Loop: Header=BB296_2086 Depth=1
	s_wait_alu 0xfffe
	s_or_b32 exec_lo, exec_lo, s21
	v_cmp_lt_u64_e64 s8, s[16:17], v[11:12]
	v_mov_b32_e32 v11, 0
	s_and_saveexec_b32 s21, s8
	s_cbranch_execz .LBB296_4131
; %bb.4124:                             ;   in Loop: Header=BB296_2086 Depth=1
	v_lshrrev_b32_e32 v2, 24, v12
	v_bfrev_b32_e32 v11, 1
	s_mov_b32 s22, exec_lo
	s_delay_alu instid0(VALU_DEP_2)
	v_cmpx_ne_u32_e32 0x80, v2
	s_cbranch_execz .LBB296_4130
; %bb.4125:                             ;   in Loop: Header=BB296_2086 Depth=1
	v_and_b32_e32 v61, 0x7f, v2
	v_mov_b32_e32 v11, 0x7c010000
	s_mov_b32 s23, exec_lo
	s_delay_alu instid0(VALU_DEP_2)
	v_cmpx_ne_u32_e32 0x7f, v61
	s_cbranch_execz .LBB296_4129
; %bb.4126:                             ;   in Loop: Header=BB296_2086 Depth=1
	v_and_b32_e32 v11, 7, v2
	v_lshrrev_b32_e32 v12, 3, v61
	s_mov_b32 s24, exec_lo
	v_cmpx_gt_u32_e32 8, v61
; %bb.4127:                             ;   in Loop: Header=BB296_2086 Depth=1
	s_delay_alu instid0(VALU_DEP_3) | instskip(NEXT) | instid1(VALU_DEP_1)
	v_clz_i32_u32_e32 v11, v11
	v_min_u32_e32 v64, 32, v11
	s_delay_alu instid0(VALU_DEP_1) | instskip(NEXT) | instid1(VALU_DEP_1)
	v_subrev_nc_u32_e32 v11, 28, v64
	v_lshlrev_b64_e32 v[11:12], v11, v[2:3]
	v_sub_nc_u32_e32 v12, 29, v64
	s_delay_alu instid0(VALU_DEP_2)
	v_and_b32_e32 v11, 7, v11
; %bb.4128:                             ;   in Loop: Header=BB296_2086 Depth=1
	s_wait_alu 0xfffe
	s_or_b32 exec_lo, exec_lo, s24
	v_lshlrev_b32_e32 v2, 8, v2
	v_lshl_add_u32 v12, v12, 10, 0x2000
	v_lshlrev_b32_e32 v11, 23, v11
	s_delay_alu instid0(VALU_DEP_2) | instskip(NEXT) | instid1(VALU_DEP_1)
	v_and_or_b32 v2, 0x8000, v2, v12
	v_lshl_or_b32 v11, v2, 16, v11
.LBB296_4129:                           ;   in Loop: Header=BB296_2086 Depth=1
	s_wait_alu 0xfffe
	s_or_b32 exec_lo, exec_lo, s23
.LBB296_4130:                           ;   in Loop: Header=BB296_2086 Depth=1
	s_wait_alu 0xfffe
	s_or_b32 exec_lo, exec_lo, s22
.LBB296_4131:                           ;   in Loop: Header=BB296_2086 Depth=1
	s_wait_alu 0xfffe
	s_or_b32 exec_lo, exec_lo, s21
	v_or_b32_e32 v2, v56, v57
	s_wait_loadcnt_dscnt 0x0
	v_fma_mixlo_f16 v12, v19, v56, 0 op_sel:[0,1,0] op_sel_hi:[0,1,0]
	v_or_b32_e32 v64, v46, v47
	v_or_b32_e32 v47, v60, v59
	;; [unrolled: 1-line block ×3, first 2 shown]
	v_fma_mixlo_f16 v56, v19, v2, 0 op_sel_hi:[0,1,0]
	v_fma_mixlo_f16 v46, v19, v46, 0 op_sel:[0,1,0] op_sel_hi:[0,1,0]
	v_lshlrev_b32_e32 v2, 16, v12
	v_fma_mixlo_f16 v64, v19, v64, 0 op_sel_hi:[0,1,0]
	v_fma_mixlo_f16 v47, v19, v47, 0 op_sel_hi:[0,1,0]
	v_and_b32_e32 v12, 0xffff, v56
	v_fma_mixlo_f16 v56, v19, v60, 0 op_sel:[0,1,0] op_sel_hi:[0,1,0]
	v_fma_mixlo_f16 v11, v19, v11, 0 op_sel:[0,1,0] op_sel_hi:[0,1,0]
	v_fma_mixlo_f16 v19, v19, v57, 0 op_sel_hi:[0,1,0]
	v_lshlrev_b32_e32 v46, 16, v46
	v_and_b32_e32 v61, 0xffff, v64
	v_lshlrev_b32_e32 v58, 16, v56
	v_and_b32_e32 v60, 0xffff, v47
	;; [unrolled: 2-line block ×3, first 2 shown]
	v_or_b32_e32 v11, v2, v12
	v_or_b32_e32 v56, v46, v61
	;; [unrolled: 1-line block ×3, first 2 shown]
	s_delay_alu instid0(VALU_DEP_4)
	v_or_b32_e32 v19, v57, v59
	s_and_saveexec_b32 s8, s0
	s_cbranch_execz .LBB296_4133
; %bb.4132:                             ;   in Loop: Header=BB296_2086 Depth=1
	s_wait_alu 0xfffd
	v_cndmask_b32_e32 v11, 0, v61, vcc_lo
	v_cndmask_b32_e64 v19, 0, v46, s3
	v_cndmask_b32_e64 v12, 0, v12, s1
	;; [unrolled: 1-line block ×7, first 2 shown]
	v_or_b32_e32 v56, v11, v19
	v_or_b32_e32 v11, v12, v2
	;; [unrolled: 1-line block ×3, first 2 shown]
	s_delay_alu instid0(VALU_DEP_4)
	v_or_b32_e32 v19, v58, v57
.LBB296_4133:                           ;   in Loop: Header=BB296_2086 Depth=1
	s_wait_alu 0xfffe
	s_or_b32 exec_lo, exec_lo, s8
	v_add_co_u32 v9, s8, v9, v52
	s_wait_alu 0xf1ff
	v_add_co_ci_u32_e64 v10, null, 0, v10, s8
	;;#ASMSTART
	v_pk_mul_f16 v2, v115, v56;

	;;#ASMEND
	;;#ASMSTART
	v_pk_mul_f16 v11, v114, v11;

	;;#ASMEND
	;; [unrolled: 4-line block ×4, first 2 shown]
	;;#ASMSTART
	v_pk_add_f16 v2, v2, v11;

	;;#ASMEND
	;;#ASMSTART
	v_pk_add_f16 v2, v2, v12;

	;;#ASMEND
	;; [unrolled: 4-line block ×3, first 2 shown]
	v_lshrrev_b32_e32 v12, 16, v2
	v_dual_mov_b32 v47, 0 :: v_dual_and_b32 v2, 0xffff, v2
	;;#ASMSTART
	v_cvt_f32_f16 v11, v2;
	;;#ASMEND
	;;#ASMSTART
	v_cvt_f32_f16 v12, v12;
	;;#ASMEND
	flat_load_b64 v[9:10], v[9:10]
	flat_load_b32 v19, v[26:27]
	v_mov_b32_e32 v46, 0
	s_mov_b32 s21, exec_lo
	s_wait_loadcnt_dscnt 0x101
	v_and_b32_e32 v2, 0xff, v9
	s_delay_alu instid0(VALU_DEP_1)
	v_cmpx_ne_u16_e32 0, v2
	s_cbranch_execz .LBB296_4141
; %bb.4134:                             ;   in Loop: Header=BB296_2086 Depth=1
	v_mov_b32_e32 v47, 0x8000
	s_mov_b32 s22, exec_lo
	v_cmpx_ne_u16_e32 0x80, v2
	s_cbranch_execz .LBB296_4140
; %bb.4135:                             ;   in Loop: Header=BB296_2086 Depth=1
	v_and_b32_e32 v56, 0x7f, v9
	v_mov_b32_e32 v47, 0x7c01
	s_mov_b32 s23, exec_lo
	s_delay_alu instid0(VALU_DEP_2)
	v_cmpx_ne_u32_e32 0x7f, v56
	s_cbranch_execz .LBB296_4139
; %bb.4136:                             ;   in Loop: Header=BB296_2086 Depth=1
	v_and_b32_e32 v2, 7, v9
	v_lshrrev_b32_e32 v47, 3, v56
	s_mov_b32 s24, exec_lo
	v_cmpx_gt_u32_e32 8, v56
; %bb.4137:                             ;   in Loop: Header=BB296_2086 Depth=1
	s_delay_alu instid0(VALU_DEP_3) | instskip(NEXT) | instid1(VALU_DEP_1)
	v_clz_i32_u32_e32 v2, v2
	v_min_u32_e32 v2, 32, v2
	s_delay_alu instid0(VALU_DEP_1) | instskip(SKIP_1) | instid1(VALU_DEP_2)
	v_subrev_nc_u32_e32 v64, 28, v2
	v_sub_nc_u32_e32 v47, 29, v2
	v_lshlrev_b64_e32 v[56:57], v64, v[9:10]
	s_delay_alu instid0(VALU_DEP_1)
	v_and_b32_e32 v2, 7, v56
; %bb.4138:                             ;   in Loop: Header=BB296_2086 Depth=1
	s_wait_alu 0xfffe
	s_or_b32 exec_lo, exec_lo, s24
	v_lshlrev_b32_e32 v64, 8, v9
	v_lshl_add_u32 v47, v47, 10, 0x2000
	v_lshlrev_b32_e32 v2, 7, v2
	s_delay_alu instid0(VALU_DEP_3) | instskip(NEXT) | instid1(VALU_DEP_3)
	v_and_b32_e32 v64, 0x8000, v64
	v_and_b32_e32 v47, 0xfc00, v47
	s_delay_alu instid0(VALU_DEP_1)
	v_or3_b32 v47, v64, v47, v2
.LBB296_4139:                           ;   in Loop: Header=BB296_2086 Depth=1
	s_wait_alu 0xfffe
	s_or_b32 exec_lo, exec_lo, s23
.LBB296_4140:                           ;   in Loop: Header=BB296_2086 Depth=1
	s_wait_alu 0xfffe
	s_or_b32 exec_lo, exec_lo, s22
.LBB296_4141:                           ;   in Loop: Header=BB296_2086 Depth=1
	s_wait_alu 0xfffe
	s_or_b32 exec_lo, exec_lo, s21
	v_lshrrev_b16 v2, 8, v9
	s_mov_b32 s21, exec_lo
	s_delay_alu instid0(VALU_DEP_1)
	v_cmpx_ne_u16_e32 0, v2
	s_cbranch_execz .LBB296_4149
; %bb.4142:                             ;   in Loop: Header=BB296_2086 Depth=1
	v_bfrev_b32_e32 v46, 1
	s_mov_b32 s22, exec_lo
	v_cmpx_ne_u16_e32 0x80, v2
	s_cbranch_execz .LBB296_4148
; %bb.4143:                             ;   in Loop: Header=BB296_2086 Depth=1
	v_and_b32_e32 v56, 0xffff, v2
	v_mov_b32_e32 v46, 0x7c010000
	s_mov_b32 s23, exec_lo
	s_delay_alu instid0(VALU_DEP_2) | instskip(NEXT) | instid1(VALU_DEP_1)
	v_and_b32_e32 v58, 0x7f, v56
	v_cmpx_ne_u32_e32 0x7f, v58
	s_cbranch_execz .LBB296_4147
; %bb.4144:                             ;   in Loop: Header=BB296_2086 Depth=1
	v_and_b32_e32 v46, 7, v56
	v_lshrrev_b32_e32 v57, 3, v58
	s_mov_b32 s24, exec_lo
	v_cmpx_gt_u32_e32 8, v58
; %bb.4145:                             ;   in Loop: Header=BB296_2086 Depth=1
	s_delay_alu instid0(VALU_DEP_3) | instskip(NEXT) | instid1(VALU_DEP_1)
	v_clz_i32_u32_e32 v64, v46
	v_min_u32_e32 v64, 32, v64
	s_delay_alu instid0(VALU_DEP_1) | instskip(SKIP_1) | instid1(VALU_DEP_2)
	v_subrev_nc_u32_e32 v46, 28, v64
	v_sub_nc_u32_e32 v57, 29, v64
	v_lshlrev_b64_e32 v[58:59], v46, v[2:3]
	s_delay_alu instid0(VALU_DEP_1)
	v_and_b32_e32 v46, 7, v58
; %bb.4146:                             ;   in Loop: Header=BB296_2086 Depth=1
	s_wait_alu 0xfffe
	s_or_b32 exec_lo, exec_lo, s24
	v_lshlrev_b32_e32 v2, 8, v56
	v_lshl_add_u32 v64, v57, 10, 0x2000
	s_delay_alu instid0(VALU_DEP_1) | instskip(SKIP_1) | instid1(VALU_DEP_1)
	v_and_or_b32 v2, 0x8000, v2, v64
	v_lshlrev_b32_e32 v64, 23, v46
	v_lshl_or_b32 v46, v2, 16, v64
.LBB296_4147:                           ;   in Loop: Header=BB296_2086 Depth=1
	s_wait_alu 0xfffe
	s_or_b32 exec_lo, exec_lo, s23
.LBB296_4148:                           ;   in Loop: Header=BB296_2086 Depth=1
	s_wait_alu 0xfffe
	s_or_b32 exec_lo, exec_lo, s22
.LBB296_4149:                           ;   in Loop: Header=BB296_2086 Depth=1
	s_wait_alu 0xfffe
	s_or_b32 exec_lo, exec_lo, s21
	v_lshrrev_b32_e32 v2, 16, v9
	v_mov_b32_e32 v56, 0
	s_mov_b32 s21, exec_lo
	s_delay_alu instid0(VALU_DEP_2) | instskip(NEXT) | instid1(VALU_DEP_1)
	v_dual_mov_b32 v57, 0 :: v_dual_and_b32 v58, 0xff, v2
	v_cmpx_ne_u16_e32 0, v58
	s_cbranch_execz .LBB296_4157
; %bb.4150:                             ;   in Loop: Header=BB296_2086 Depth=1
	v_mov_b32_e32 v57, 0x8000
	s_mov_b32 s22, exec_lo
	v_cmpx_ne_u16_e32 0x80, v58
	s_cbranch_execz .LBB296_4156
; %bb.4151:                             ;   in Loop: Header=BB296_2086 Depth=1
	v_bfe_u32 v59, v9, 16, 7
	v_mov_b32_e32 v57, 0x7c01
	s_mov_b32 s23, exec_lo
	s_delay_alu instid0(VALU_DEP_2)
	v_cmpx_ne_u32_e32 0x7f, v59
	s_cbranch_execz .LBB296_4155
; %bb.4152:                             ;   in Loop: Header=BB296_2086 Depth=1
	v_and_b32_e32 v57, 7, v2
	v_lshrrev_b32_e32 v58, 3, v59
	s_mov_b32 s24, exec_lo
	v_cmpx_gt_u32_e32 8, v59
; %bb.4153:                             ;   in Loop: Header=BB296_2086 Depth=1
	s_delay_alu instid0(VALU_DEP_3) | instskip(NEXT) | instid1(VALU_DEP_1)
	v_clz_i32_u32_e32 v64, v57
	v_min_u32_e32 v64, 32, v64
	s_delay_alu instid0(VALU_DEP_1) | instskip(NEXT) | instid1(VALU_DEP_1)
	v_subrev_nc_u32_e32 v57, 28, v64
	v_lshlrev_b64_e32 v[57:58], v57, v[2:3]
	v_sub_nc_u32_e32 v58, 29, v64
	s_delay_alu instid0(VALU_DEP_2)
	v_and_b32_e32 v57, 7, v57
; %bb.4154:                             ;   in Loop: Header=BB296_2086 Depth=1
	s_wait_alu 0xfffe
	s_or_b32 exec_lo, exec_lo, s24
	v_lshlrev_b32_e32 v2, 8, v2
	v_lshl_add_u32 v64, v58, 10, 0x2000
	v_lshlrev_b32_e32 v57, 7, v57
	s_delay_alu instid0(VALU_DEP_3) | instskip(NEXT) | instid1(VALU_DEP_3)
	v_and_b32_e32 v2, 0x8000, v2
	v_and_b32_e32 v64, 0xfc00, v64
	s_delay_alu instid0(VALU_DEP_1)
	v_or3_b32 v57, v2, v64, v57
.LBB296_4155:                           ;   in Loop: Header=BB296_2086 Depth=1
	s_wait_alu 0xfffe
	s_or_b32 exec_lo, exec_lo, s23
.LBB296_4156:                           ;   in Loop: Header=BB296_2086 Depth=1
	s_wait_alu 0xfffe
	s_or_b32 exec_lo, exec_lo, s22
.LBB296_4157:                           ;   in Loop: Header=BB296_2086 Depth=1
	s_wait_alu 0xfffe
	s_or_b32 exec_lo, exec_lo, s21
	s_delay_alu instid0(SALU_CYCLE_1)
	s_mov_b32 s21, exec_lo
	v_cmpx_lt_u32_e32 0xffffff, v9
	s_cbranch_execz .LBB296_4165
; %bb.4158:                             ;   in Loop: Header=BB296_2086 Depth=1
	v_lshrrev_b32_e32 v2, 24, v9
	v_bfrev_b32_e32 v56, 1
	s_mov_b32 s22, exec_lo
	s_delay_alu instid0(VALU_DEP_2)
	v_cmpx_ne_u32_e32 0x80, v2
	s_cbranch_execz .LBB296_4164
; %bb.4159:                             ;   in Loop: Header=BB296_2086 Depth=1
	v_and_b32_e32 v59, 0x7f, v2
	v_mov_b32_e32 v56, 0x7c010000
	s_mov_b32 s23, exec_lo
	s_delay_alu instid0(VALU_DEP_2)
	v_cmpx_ne_u32_e32 0x7f, v59
	s_cbranch_execz .LBB296_4163
; %bb.4160:                             ;   in Loop: Header=BB296_2086 Depth=1
	v_and_b32_e32 v56, 7, v2
	v_lshrrev_b32_e32 v58, 3, v59
	s_mov_b32 s24, exec_lo
	v_cmpx_gt_u32_e32 8, v59
; %bb.4161:                             ;   in Loop: Header=BB296_2086 Depth=1
	s_delay_alu instid0(VALU_DEP_3) | instskip(NEXT) | instid1(VALU_DEP_1)
	v_clz_i32_u32_e32 v64, v56
	v_min_u32_e32 v64, 32, v64
	s_delay_alu instid0(VALU_DEP_1) | instskip(SKIP_1) | instid1(VALU_DEP_2)
	v_subrev_nc_u32_e32 v56, 28, v64
	v_sub_nc_u32_e32 v58, 29, v64
	v_lshlrev_b64_e32 v[59:60], v56, v[2:3]
	s_delay_alu instid0(VALU_DEP_1)
	v_and_b32_e32 v56, 7, v59
; %bb.4162:                             ;   in Loop: Header=BB296_2086 Depth=1
	s_wait_alu 0xfffe
	s_or_b32 exec_lo, exec_lo, s24
	v_lshlrev_b32_e32 v2, 8, v2
	v_lshl_add_u32 v64, v58, 10, 0x2000
	s_delay_alu instid0(VALU_DEP_1) | instskip(SKIP_1) | instid1(VALU_DEP_1)
	v_and_or_b32 v2, 0x8000, v2, v64
	v_lshlrev_b32_e32 v64, 23, v56
	v_lshl_or_b32 v56, v2, 16, v64
.LBB296_4163:                           ;   in Loop: Header=BB296_2086 Depth=1
	s_wait_alu 0xfffe
	s_or_b32 exec_lo, exec_lo, s23
.LBB296_4164:                           ;   in Loop: Header=BB296_2086 Depth=1
	s_wait_alu 0xfffe
	s_or_b32 exec_lo, exec_lo, s22
.LBB296_4165:                           ;   in Loop: Header=BB296_2086 Depth=1
	s_wait_alu 0xfffe
	s_or_b32 exec_lo, exec_lo, s21
	v_dual_mov_b32 v59, 0 :: v_dual_and_b32 v60, 0xff, v10
	v_mov_b32_e32 v2, v10
	v_mov_b32_e32 v58, 0
	s_mov_b32 s21, exec_lo
	s_delay_alu instid0(VALU_DEP_3)
	v_cmpx_ne_u16_e32 0, v60
	s_cbranch_execz .LBB296_4173
; %bb.4166:                             ;   in Loop: Header=BB296_2086 Depth=1
	v_mov_b32_e32 v59, 0x8000
	s_mov_b32 s22, exec_lo
	v_cmpx_ne_u16_e32 0x80, v60
	s_cbranch_execz .LBB296_4172
; %bb.4167:                             ;   in Loop: Header=BB296_2086 Depth=1
	v_and_b32_e32 v61, 0x7f, v10
	v_mov_b32_e32 v59, 0x7c01
	s_mov_b32 s23, exec_lo
	s_delay_alu instid0(VALU_DEP_2)
	v_cmpx_ne_u32_e32 0x7f, v61
	s_cbranch_execz .LBB296_4171
; %bb.4168:                             ;   in Loop: Header=BB296_2086 Depth=1
	v_and_b32_e32 v59, 7, v10
	v_lshrrev_b32_e32 v60, 3, v61
	s_mov_b32 s24, exec_lo
	v_cmpx_gt_u32_e32 8, v61
; %bb.4169:                             ;   in Loop: Header=BB296_2086 Depth=1
	s_delay_alu instid0(VALU_DEP_3) | instskip(NEXT) | instid1(VALU_DEP_1)
	v_clz_i32_u32_e32 v64, v59
	v_min_u32_e32 v64, 32, v64
	s_delay_alu instid0(VALU_DEP_1) | instskip(NEXT) | instid1(VALU_DEP_1)
	v_subrev_nc_u32_e32 v59, 28, v64
	v_lshlrev_b64_e32 v[59:60], v59, v[2:3]
	v_sub_nc_u32_e32 v60, 29, v64
	s_delay_alu instid0(VALU_DEP_2)
	v_and_b32_e32 v59, 7, v59
; %bb.4170:                             ;   in Loop: Header=BB296_2086 Depth=1
	s_wait_alu 0xfffe
	s_or_b32 exec_lo, exec_lo, s24
	v_lshlrev_b32_e32 v64, 8, v10
	v_lshl_add_u32 v60, v60, 10, 0x2000
	v_lshlrev_b32_e32 v59, 7, v59
	s_delay_alu instid0(VALU_DEP_3) | instskip(NEXT) | instid1(VALU_DEP_3)
	v_and_b32_e32 v64, 0x8000, v64
	v_and_b32_e32 v60, 0xfc00, v60
	s_delay_alu instid0(VALU_DEP_1)
	v_or3_b32 v59, v64, v60, v59
.LBB296_4171:                           ;   in Loop: Header=BB296_2086 Depth=1
	s_wait_alu 0xfffe
	s_or_b32 exec_lo, exec_lo, s23
.LBB296_4172:                           ;   in Loop: Header=BB296_2086 Depth=1
	s_wait_alu 0xfffe
	s_or_b32 exec_lo, exec_lo, s22
.LBB296_4173:                           ;   in Loop: Header=BB296_2086 Depth=1
	s_wait_alu 0xfffe
	s_or_b32 exec_lo, exec_lo, s21
	v_lshrrev_b16 v2, 8, v2
	v_mov_b32_e32 v60, 0
	s_mov_b32 s21, exec_lo
	s_delay_alu instid0(VALU_DEP_2)
	v_cmpx_ne_u16_e32 0, v2
	s_cbranch_execz .LBB296_4181
; %bb.4174:                             ;   in Loop: Header=BB296_2086 Depth=1
	v_bfrev_b32_e32 v60, 1
	s_mov_b32 s22, exec_lo
	v_cmpx_ne_u16_e32 0x80, v2
	s_cbranch_execz .LBB296_4180
; %bb.4175:                             ;   in Loop: Header=BB296_2086 Depth=1
	v_and_b32_e32 v61, 0xffff, v2
	v_mov_b32_e32 v60, 0x7c010000
	s_mov_b32 s23, exec_lo
	s_delay_alu instid0(VALU_DEP_2) | instskip(NEXT) | instid1(VALU_DEP_1)
	v_and_b32_e32 v63, 0x7f, v61
	v_cmpx_ne_u32_e32 0x7f, v63
	s_cbranch_execz .LBB296_4179
; %bb.4176:                             ;   in Loop: Header=BB296_2086 Depth=1
	v_and_b32_e32 v60, 7, v61
	v_lshrrev_b32_e32 v62, 3, v63
	s_mov_b32 s24, exec_lo
	v_cmpx_gt_u32_e32 8, v63
; %bb.4177:                             ;   in Loop: Header=BB296_2086 Depth=1
	s_delay_alu instid0(VALU_DEP_3) | instskip(NEXT) | instid1(VALU_DEP_1)
	v_clz_i32_u32_e32 v64, v60
	v_min_u32_e32 v64, 32, v64
	s_delay_alu instid0(VALU_DEP_1) | instskip(SKIP_1) | instid1(VALU_DEP_2)
	v_subrev_nc_u32_e32 v60, 28, v64
	v_sub_nc_u32_e32 v62, 29, v64
	v_lshlrev_b64_e32 v[72:73], v60, v[2:3]
	s_delay_alu instid0(VALU_DEP_1)
	v_and_b32_e32 v60, 7, v72
; %bb.4178:                             ;   in Loop: Header=BB296_2086 Depth=1
	s_wait_alu 0xfffe
	s_or_b32 exec_lo, exec_lo, s24
	v_lshlrev_b32_e32 v2, 8, v61
	v_lshl_add_u32 v64, v62, 10, 0x2000
	s_delay_alu instid0(VALU_DEP_1) | instskip(SKIP_1) | instid1(VALU_DEP_1)
	v_and_or_b32 v2, 0x8000, v2, v64
	v_lshlrev_b32_e32 v64, 23, v60
	v_lshl_or_b32 v60, v2, 16, v64
.LBB296_4179:                           ;   in Loop: Header=BB296_2086 Depth=1
	s_wait_alu 0xfffe
	s_or_b32 exec_lo, exec_lo, s23
.LBB296_4180:                           ;   in Loop: Header=BB296_2086 Depth=1
	s_wait_alu 0xfffe
	s_or_b32 exec_lo, exec_lo, s22
.LBB296_4181:                           ;   in Loop: Header=BB296_2086 Depth=1
	s_wait_alu 0xfffe
	s_or_b32 exec_lo, exec_lo, s21
	v_lshrrev_b32_e32 v2, 16, v10
	s_mov_b32 s21, exec_lo
	s_delay_alu instid0(VALU_DEP_1) | instskip(NEXT) | instid1(VALU_DEP_1)
	v_and_b32_e32 v61, 0xff, v2
	v_cmpx_ne_u16_e32 0, v61
	s_cbranch_execz .LBB296_4189
; %bb.4182:                             ;   in Loop: Header=BB296_2086 Depth=1
	v_mov_b32_e32 v58, 0x8000
	s_mov_b32 s22, exec_lo
	v_cmpx_ne_u16_e32 0x80, v61
	s_cbranch_execz .LBB296_4188
; %bb.4183:                             ;   in Loop: Header=BB296_2086 Depth=1
	v_bfe_u32 v62, v10, 16, 7
	v_mov_b32_e32 v58, 0x7c01
	s_mov_b32 s23, exec_lo
	s_delay_alu instid0(VALU_DEP_2)
	v_cmpx_ne_u32_e32 0x7f, v62
	s_cbranch_execz .LBB296_4187
; %bb.4184:                             ;   in Loop: Header=BB296_2086 Depth=1
	v_and_b32_e32 v58, 7, v2
	v_lshrrev_b32_e32 v61, 3, v62
	s_mov_b32 s24, exec_lo
	v_cmpx_gt_u32_e32 8, v62
; %bb.4185:                             ;   in Loop: Header=BB296_2086 Depth=1
	s_delay_alu instid0(VALU_DEP_3) | instskip(NEXT) | instid1(VALU_DEP_1)
	v_clz_i32_u32_e32 v64, v58
	v_min_u32_e32 v64, 32, v64
	s_delay_alu instid0(VALU_DEP_1) | instskip(SKIP_1) | instid1(VALU_DEP_2)
	v_subrev_nc_u32_e32 v58, 28, v64
	v_sub_nc_u32_e32 v61, 29, v64
	v_lshlrev_b64_e32 v[62:63], v58, v[2:3]
	s_delay_alu instid0(VALU_DEP_1)
	v_and_b32_e32 v58, 7, v62
; %bb.4186:                             ;   in Loop: Header=BB296_2086 Depth=1
	s_wait_alu 0xfffe
	s_or_b32 exec_lo, exec_lo, s24
	v_lshlrev_b32_e32 v2, 8, v2
	v_lshl_add_u32 v64, v61, 10, 0x2000
	v_lshlrev_b32_e32 v58, 7, v58
	s_delay_alu instid0(VALU_DEP_3) | instskip(NEXT) | instid1(VALU_DEP_3)
	v_and_b32_e32 v2, 0x8000, v2
	v_and_b32_e32 v64, 0xfc00, v64
	s_delay_alu instid0(VALU_DEP_1)
	v_or3_b32 v58, v2, v64, v58
.LBB296_4187:                           ;   in Loop: Header=BB296_2086 Depth=1
	s_wait_alu 0xfffe
	s_or_b32 exec_lo, exec_lo, s23
.LBB296_4188:                           ;   in Loop: Header=BB296_2086 Depth=1
	s_wait_alu 0xfffe
	s_or_b32 exec_lo, exec_lo, s22
.LBB296_4189:                           ;   in Loop: Header=BB296_2086 Depth=1
	s_wait_alu 0xfffe
	s_or_b32 exec_lo, exec_lo, s21
	v_cmp_lt_u64_e64 s8, s[16:17], v[9:10]
	v_mov_b32_e32 v9, 0
	s_and_saveexec_b32 s21, s8
	s_cbranch_execz .LBB296_4197
; %bb.4190:                             ;   in Loop: Header=BB296_2086 Depth=1
	v_lshrrev_b32_e32 v2, 24, v10
	v_bfrev_b32_e32 v9, 1
	s_mov_b32 s22, exec_lo
	s_delay_alu instid0(VALU_DEP_2)
	v_cmpx_ne_u32_e32 0x80, v2
	s_cbranch_execz .LBB296_4196
; %bb.4191:                             ;   in Loop: Header=BB296_2086 Depth=1
	v_and_b32_e32 v61, 0x7f, v2
	v_mov_b32_e32 v9, 0x7c010000
	s_mov_b32 s23, exec_lo
	s_delay_alu instid0(VALU_DEP_2)
	v_cmpx_ne_u32_e32 0x7f, v61
	s_cbranch_execz .LBB296_4195
; %bb.4192:                             ;   in Loop: Header=BB296_2086 Depth=1
	v_and_b32_e32 v9, 7, v2
	v_lshrrev_b32_e32 v10, 3, v61
	s_mov_b32 s24, exec_lo
	v_cmpx_gt_u32_e32 8, v61
; %bb.4193:                             ;   in Loop: Header=BB296_2086 Depth=1
	s_delay_alu instid0(VALU_DEP_3) | instskip(NEXT) | instid1(VALU_DEP_1)
	v_clz_i32_u32_e32 v9, v9
	v_min_u32_e32 v64, 32, v9
	s_delay_alu instid0(VALU_DEP_1) | instskip(NEXT) | instid1(VALU_DEP_1)
	v_subrev_nc_u32_e32 v9, 28, v64
	v_lshlrev_b64_e32 v[9:10], v9, v[2:3]
	v_sub_nc_u32_e32 v10, 29, v64
	s_delay_alu instid0(VALU_DEP_2)
	v_and_b32_e32 v9, 7, v9
; %bb.4194:                             ;   in Loop: Header=BB296_2086 Depth=1
	s_wait_alu 0xfffe
	s_or_b32 exec_lo, exec_lo, s24
	v_lshlrev_b32_e32 v2, 8, v2
	v_lshl_add_u32 v10, v10, 10, 0x2000
	v_lshlrev_b32_e32 v9, 23, v9
	s_delay_alu instid0(VALU_DEP_2) | instskip(NEXT) | instid1(VALU_DEP_1)
	v_and_or_b32 v2, 0x8000, v2, v10
	v_lshl_or_b32 v9, v2, 16, v9
.LBB296_4195:                           ;   in Loop: Header=BB296_2086 Depth=1
	s_wait_alu 0xfffe
	s_or_b32 exec_lo, exec_lo, s23
.LBB296_4196:                           ;   in Loop: Header=BB296_2086 Depth=1
	s_wait_alu 0xfffe
	s_or_b32 exec_lo, exec_lo, s22
.LBB296_4197:                           ;   in Loop: Header=BB296_2086 Depth=1
	s_wait_alu 0xfffe
	s_or_b32 exec_lo, exec_lo, s21
	v_or_b32_e32 v2, v56, v57
	s_wait_loadcnt_dscnt 0x0
	v_fma_mixlo_f16 v10, v19, v56, 0 op_sel:[0,1,0] op_sel_hi:[0,1,0]
	v_or_b32_e32 v64, v46, v47
	v_fma_mixlo_f16 v47, v19, v46, 0 op_sel:[0,1,0] op_sel_hi:[0,1,0]
	v_or_b32_e32 v57, v60, v59
	v_fma_mixlo_f16 v2, v19, v2, 0 op_sel_hi:[0,1,0]
	v_or_b32_e32 v58, v9, v58
	v_lshlrev_b32_e32 v46, 16, v10
	v_lshlrev_b32_e32 v56, 16, v47
	v_fma_mixlo_f16 v10, v19, v64, 0 op_sel_hi:[0,1,0]
	v_and_b32_e32 v47, 0xffff, v2
	v_fma_mixlo_f16 v2, v19, v60, 0 op_sel:[0,1,0] op_sel_hi:[0,1,0]
	v_fma_mixlo_f16 v64, v19, v57, 0 op_sel_hi:[0,1,0]
	v_fma_mixlo_f16 v9, v19, v9, 0 op_sel:[0,1,0] op_sel_hi:[0,1,0]
	v_fma_mixlo_f16 v19, v19, v58, 0 op_sel_hi:[0,1,0]
	v_and_b32_e32 v61, 0xffff, v10
	v_lshlrev_b32_e32 v58, 16, v2
	v_and_b32_e32 v60, 0xffff, v64
	v_lshlrev_b32_e32 v57, 16, v9
	v_and_b32_e32 v59, 0xffff, v19
	v_or_b32_e32 v10, v46, v47
	v_or_b32_e32 v19, v56, v61
	;; [unrolled: 1-line block ×3, first 2 shown]
	s_delay_alu instid0(VALU_DEP_4)
	v_or_b32_e32 v2, v57, v59
	s_and_saveexec_b32 s8, s0
	s_cbranch_execz .LBB296_2084
; %bb.4198:                             ;   in Loop: Header=BB296_2086 Depth=1
	s_wait_alu 0xfffd
	v_cndmask_b32_e32 v2, 0, v61, vcc_lo
	v_cndmask_b32_e64 v9, 0, v56, s3
	v_cndmask_b32_e64 v10, 0, v47, s1
	;; [unrolled: 1-line block ×7, first 2 shown]
	v_or_b32_e32 v19, v2, v9
	v_or_b32_e32 v10, v10, v64
	v_or_b32_e32 v9, v46, v47
	s_delay_alu instid0(VALU_DEP_4)
	v_or_b32_e32 v2, v56, v57
	s_branch .LBB296_2084
.LBB296_4199:
	s_or_b32 exec_lo, exec_lo, s13
.LBB296_4200:
	s_wait_alu 0xfffe
	s_or_b32 exec_lo, exec_lo, s11
	ds_bpermute_b32 v0, v133, v102
	ds_bpermute_b32 v1, v133, v101
	;; [unrolled: 1-line block ×17, first 2 shown]
	s_wait_storecnt 0x0
	s_wait_loadcnt_dscnt 0x0
	s_barrier_signal -1
	s_barrier_wait -1
	v_dual_add_f32 v0, v102, v0 :: v_dual_add_f32 v1, v101, v1
	v_dual_add_f32 v2, v100, v2 :: v_dual_add_f32 v3, v99, v3
	v_add_f32_e32 v16, v98, v4
	v_add_f32_e32 v6, v96, v6
	v_dual_add_f32 v22, v87, v7 :: v_dual_add_f32 v23, v86, v8
	v_add_f32_e32 v9, v81, v9
	v_add_f32_e32 v17, v17, v10
	;; [unrolled: 3-line block ×3, first 2 shown]
	ds_bpermute_b32 v4, v18, v0
	ds_bpermute_b32 v5, v18, v1
	;; [unrolled: 1-line block ×7, first 2 shown]
	v_dual_add_f32 v35, v80, v14 :: v_dual_add_f32 v36, v71, v15
	ds_bpermute_b32 v13, v18, v23
	ds_bpermute_b32 v14, v18, v9
	;; [unrolled: 1-line block ×9, first 2 shown]
	s_wait_dscnt 0x0
	global_inv scope:SCOPE_SE
	s_load_b32 s0, s[14:15], 0x0
	v_dual_add_f32 v7, v0, v4 :: v_dual_add_f32 v4, v1, v5
	v_add_f32_e32 v10, v2, v8
	v_dual_add_f32 v8, v3, v12 :: v_dual_add_f32 v5, v16, v27
	v_add_f32_e32 v1, v6, v33
	v_add_f32_e32 v0, v22, v34
	ds_bpermute_b32 v22, v133, v67
	ds_bpermute_b32 v27, v133, v66
	v_dual_add_f32 v15, v23, v13 :: v_dual_add_f32 v14, v9, v14
	v_dual_add_f32 v13, v17, v38 :: v_dual_add_f32 v12, v11, v39
	v_add_f32_e32 v11, v26, v49
	v_add_f32_e32 v9, v24, v50
	ds_bpermute_b32 v24, v133, v74
	ds_bpermute_b32 v26, v133, v55
	;; [unrolled: 1-line block ×3, first 2 shown]
	v_dual_add_f32 v2, v19, v30 :: v_dual_add_f32 v17, v70, v48
	ds_bpermute_b32 v30, v133, v65
	v_add_f32_e32 v6, v35, v51
	ds_bpermute_b32 v34, v133, v31
	ds_bpermute_b32 v35, v133, v29
	;; [unrolled: 1-line block ×4, first 2 shown]
	s_wait_dscnt 0x9
	v_dual_add_f32 v3, v36, v52 :: v_dual_add_f32 v22, v67, v22
	s_wait_dscnt 0x8
	v_add_f32_e32 v27, v66, v27
	ds_bpermute_b32 v23, v18, v17
	ds_bpermute_b32 v38, v133, v25
	;; [unrolled: 1-line block ×6, first 2 shown]
	s_wait_dscnt 0xc
	v_dual_add_f32 v24, v74, v24 :: v_dual_add_f32 v55, v55, v26
	s_wait_dscnt 0xb
	v_add_f32_e32 v32, v32, v33
	s_mov_b32 s1, exec_lo
	s_wait_dscnt 0xa
	v_add_f32_e32 v36, v65, v30
	ds_bpermute_b32 v30, v133, v28
	ds_bpermute_b32 v53, v18, v27
	s_wait_dscnt 0xa
	v_dual_add_f32 v33, v31, v34 :: v_dual_add_f32 v34, v29, v35
	ds_bpermute_b32 v35, v18, v24
	ds_bpermute_b32 v64, v18, v55
	;; [unrolled: 1-line block ×3, first 2 shown]
	s_wait_dscnt 0xb
	v_dual_add_f32 v16, v69, v16 :: v_dual_add_f32 v19, v68, v19
	ds_bpermute_b32 v66, v18, v33
	s_wait_dscnt 0x9
	v_add_f32_e32 v37, v37, v39
	ds_bpermute_b32 v54, v18, v36
	ds_bpermute_b32 v50, v18, v16
	;; [unrolled: 1-line block ×3, first 2 shown]
	v_add_f32_e32 v38, v25, v38
	v_add_f32_e32 v31, v17, v23
	s_wait_dscnt 0x9
	v_dual_add_f32 v39, v21, v48 :: v_dual_add_f32 v48, v20, v49
	ds_bpermute_b32 v69, v18, v37
	s_wait_dscnt 0x9
	v_add_f32_e32 v68, v28, v30
	v_add_f32_e32 v28, v22, v52
	ds_bpermute_b32 v70, v18, v39
	ds_bpermute_b32 v71, v18, v48
	s_wait_dscnt 0x8
	v_dual_add_f32 v25, v24, v35 :: v_dual_add_f32 v24, v55, v64
	s_wait_dscnt 0x7
	v_add_f32_e32 v23, v32, v65
	scratch_load_b32 v32, off, s32 offset:1060 th:TH_LOAD_LU ; 4-byte Folded Reload
	ds_bpermute_b32 v20, v18, v68
	v_add_f32_e32 v27, v27, v53
	ds_bpermute_b32 v67, v18, v34
	s_wait_dscnt 0x7
	v_add_f32_e32 v26, v36, v54
	s_wait_dscnt 0x5
	v_dual_add_f32 v30, v16, v50 :: v_dual_add_f32 v29, v19, v51
	ds_bpermute_b32 v49, v18, v38
	v_add_f32_e32 v22, v33, v66
	s_wait_dscnt 0x5
	v_dual_add_f32 v18, v37, v69 :: v_dual_lshlrev_b32 v35, 10, v78
	s_wait_dscnt 0x3
	v_dual_add_f32 v16, v39, v70 :: v_dual_add_f32 v17, v48, v71
	s_wait_dscnt 0x1
	v_dual_add_f32 v21, v34, v67 :: v_dual_and_b32 v34, 0x3c3, v77
	s_wait_dscnt 0x0
	v_add_f32_e32 v19, v38, v49
	s_wait_loadcnt 0x0
	v_and_b32_e32 v33, 28, v32
	v_add_f32_e32 v20, v68, v20
	v_lshrrev_b32_e32 v32, 2, v32
	s_wait_kmcnt 0x0
	s_delay_alu instid0(VALU_DEP_3)
	v_add_nc_u32_e32 v33, s0, v33
	v_cmpx_eq_u32_e32 64, v34
	s_cbranch_execz .LBB296_4202
; %bb.4201:
	s_delay_alu instid0(VALU_DEP_2) | instskip(NEXT) | instid1(VALU_DEP_1)
	v_add_nc_u32_e32 v36, v33, v35
	v_add_nc_u32_e32 v37, 0xfffff800, v36
	;; [unrolled: 1-line block ×9, first 2 shown]
	ds_store_b32 v37, v7
	ds_store_b32 v38, v4
	ds_store_b32 v39, v10
	ds_store_b32 v48, v8
	ds_store_b32 v49, v5
	ds_store_b32 v50, v2
	ds_store_b32 v51, v1
	ds_store_b32 v52, v0
	v_add_nc_u32_e32 v37, 0xfffff900, v36
	v_add_nc_u32_e32 v38, 0xfffff920, v36
	v_add_nc_u32_e32 v39, 0xfffff940, v36
	v_add_nc_u32_e32 v48, 0xfffff960, v36
	v_add_nc_u32_e32 v49, 0xfffff980, v36
	v_add_nc_u32_e32 v50, 0xfffff9a0, v36
	v_add_nc_u32_e32 v51, 0xfffff9c0, v36
	v_add_nc_u32_e32 v52, 0xfffff9e0, v36
	ds_store_b32 v37, v15
	ds_store_b32 v38, v14
	ds_store_b32 v39, v13
	ds_store_b32 v48, v12
	ds_store_b32 v49, v11
	ds_store_b32 v50, v9
	ds_store_b32 v51, v6
	ds_store_b32 v52, v3
	v_add_nc_u32_e32 v37, 0xfffffa00, v36
	v_add_nc_u32_e32 v38, 0xfffffa20, v36
	v_add_nc_u32_e32 v39, 0xfffffa40, v36
	v_add_nc_u32_e32 v48, 0xfffffa60, v36
	v_add_nc_u32_e32 v49, 0xfffffa80, v36
	v_add_nc_u32_e32 v50, 0xfffffaa0, v36
	v_add_nc_u32_e32 v51, 0xfffffac0, v36
	v_add_nc_u32_e32 v52, 0xfffffae0, v36
	;; [unrolled: 16-line block ×3, first 2 shown]
	ds_store_b32 v37, v23
	ds_store_b32 v38, v22
	;; [unrolled: 1-line block ×8, first 2 shown]
.LBB296_4202:
	s_wait_alu 0xfffe
	s_or_b32 exec_lo, exec_lo, s1
	v_lshlrev_b32_e32 v32, 2, v32
	s_wait_dscnt 0x0
	s_barrier_signal -1
	s_barrier_wait -1
	global_inv scope:SCOPE_SE
	v_add3_u32 v32, s0, v35, v32
	s_mov_b32 s0, exec_lo
	v_cmpx_eq_u32_e32 0, v34
	s_cbranch_execz .LBB296_4204
; %bb.4203:
	ds_load_2addr_b32 v[34:35], v32 offset1:8
	ds_load_2addr_b32 v[36:37], v32 offset0:16 offset1:24
	ds_load_2addr_b32 v[38:39], v32 offset0:32 offset1:40
	;; [unrolled: 1-line block ×12, first 2 shown]
	s_wait_dscnt 0xc
	v_dual_add_f32 v7, v34, v7 :: v_dual_add_f32 v4, v35, v4
	s_wait_dscnt 0xa
	v_dual_add_f32 v10, v36, v10 :: v_dual_add_f32 v5, v38, v5
	;; [unrolled: 2-line block ×4, first 2 shown]
	ds_load_2addr_b32 v[34:35], v32 offset0:208 offset1:216
	ds_load_2addr_b32 v[36:37], v32 offset0:224 offset1:232
	ds_load_2addr_b32 v[38:39], v32 offset0:240 offset1:248
	s_wait_dscnt 0xa
	v_dual_add_f32 v0, v49, v0 :: v_dual_add_f32 v13, v52, v13
	s_wait_dscnt 0x9
	v_dual_add_f32 v14, v51, v14 :: v_dual_add_f32 v11, v54, v11
	v_dual_add_f32 v12, v53, v12 :: v_dual_add_f32 v9, v55, v9
	s_wait_dscnt 0x8
	v_dual_add_f32 v6, v64, v6 :: v_dual_add_f32 v3, v65, v3
	s_wait_dscnt 0x7
	;; [unrolled: 2-line block ×9, first 2 shown]
	v_dual_add_f32 v16, v38, v16 :: v_dual_add_f32 v17, v39, v17
.LBB296_4204:
	s_wait_alu 0xfffe
	s_or_b32 exec_lo, exec_lo, s0
	v_and_b32_e32 v34, 0x3e3, v77
	s_mov_b32 s0, exec_lo
	s_wait_loadcnt 0x0
	s_barrier_signal -1
	s_barrier_wait -1
	global_inv scope:SCOPE_SE
	v_cmpx_eq_u32_e32 32, v34
	s_cbranch_execz .LBB296_4206
; %bb.4205:
	ds_store_2addr_b32 v33, v7, v4 offset1:8
	ds_store_2addr_b32 v33, v10, v8 offset0:16 offset1:24
	ds_store_2addr_b32 v33, v5, v2 offset0:32 offset1:40
	;; [unrolled: 1-line block ×15, first 2 shown]
.LBB296_4206:
	s_wait_alu 0xfffe
	s_or_b32 exec_lo, exec_lo, s0
	v_cmp_eq_u32_e32 vcc_lo, 0, v34
	s_wait_loadcnt_dscnt 0x0
	s_barrier_signal -1
	s_barrier_wait -1
	global_inv scope:SCOPE_SE
	s_and_saveexec_b32 s0, vcc_lo
	s_cbranch_execz .LBB296_4208
; %bb.4207:
	ds_load_2addr_b32 v[33:34], v32 offset1:8
	ds_load_2addr_b32 v[35:36], v32 offset0:16 offset1:24
	ds_load_2addr_b32 v[37:38], v32 offset0:32 offset1:40
	;; [unrolled: 1-line block ×12, first 2 shown]
	s_wait_dscnt 0xc
	v_dual_add_f32 v7, v33, v7 :: v_dual_add_f32 v4, v34, v4
	s_wait_dscnt 0xa
	v_dual_add_f32 v10, v35, v10 :: v_dual_add_f32 v5, v37, v5
	;; [unrolled: 2-line block ×3, first 2 shown]
	v_dual_add_f32 v2, v38, v2 :: v_dual_add_f32 v1, v48, v1
	ds_load_2addr_b32 v[33:34], v32 offset0:208 offset1:216
	ds_load_2addr_b32 v[35:36], v32 offset0:224 offset1:232
	;; [unrolled: 1-line block ×3, first 2 shown]
	s_wait_dscnt 0xa
	v_dual_add_f32 v0, v49, v0 :: v_dual_add_f32 v13, v52, v13
	s_wait_dscnt 0x9
	v_dual_add_f32 v14, v51, v14 :: v_dual_add_f32 v11, v54, v11
	v_dual_add_f32 v12, v53, v12 :: v_dual_add_f32 v9, v55, v9
	s_wait_dscnt 0x8
	v_dual_add_f32 v6, v64, v6 :: v_dual_add_f32 v3, v65, v3
	s_wait_dscnt 0x7
	;; [unrolled: 2-line block ×9, first 2 shown]
	v_dual_add_f32 v16, v37, v16 :: v_dual_add_f32 v17, v38, v17
.LBB296_4208:
	s_wait_alu 0xfffe
	s_or_b32 exec_lo, exec_lo, s0
	s_wait_loadcnt 0x0
	s_barrier_signal -1
	s_barrier_wait -1
	global_inv scope:SCOPE_SE
	s_and_b32 exec_lo, exec_lo, vcc_lo
	s_cbranch_execz .LBB296_4210
; %bb.4209:
	s_lshl_b32 s0, s12, 8
	s_mul_i32 s2, s10, s9
	s_wait_alu 0xfffe
	s_ashr_i32 s1, s0, 31
	s_ashr_i32 s3, s2, 31
	s_wait_alu 0xfffe
	s_lshl_b64 s[0:1], s[0:1], 1
	v_lshrrev_b32_e32 v34, 1, v77
	s_wait_alu 0xfffe
	v_add_co_u32 v32, vcc_lo, v76, s0
	s_wait_alu 0xfffd
	v_add_co_ci_u32_e64 v33, null, s1, v75, vcc_lo
	s_lshl_b64 s[0:1], s[2:3], 1
	;;#ASMSTART
	v_cvt_f16_f32 v7, v7;

	;;#ASMEND
	s_wait_alu 0xfffe
	v_add_co_u32 v32, vcc_lo, v32, s0
	s_wait_alu 0xfffd
	v_add_co_ci_u32_e64 v33, null, s1, v33, vcc_lo
	s_delay_alu instid0(VALU_DEP_2) | instskip(SKIP_1) | instid1(VALU_DEP_2)
	v_add_co_u32 v32, vcc_lo, v32, s19
	s_wait_alu 0xfffd
	v_add_co_ci_u32_e64 v33, null, 0, v33, vcc_lo
	s_delay_alu instid0(VALU_DEP_2) | instskip(SKIP_1) | instid1(VALU_DEP_2)
	v_add_co_u32 v32, vcc_lo, v32, v34
	s_wait_alu 0xfffd
	v_add_co_ci_u32_e64 v33, null, 0, v33, vcc_lo
	flat_store_b16 v[32:33], v7
	;;#ASMSTART
	v_cvt_f16_f32 v4, v4;

	;;#ASMEND
	flat_store_b16 v[32:33], v4 offset:16
	;;#ASMSTART
	v_cvt_f16_f32 v4, v10;

	;;#ASMEND
	flat_store_b16 v[32:33], v4 offset:32
	;; [unrolled: 5-line block ×31, first 2 shown]
.LBB296_4210:
	s_or_b32 exec_lo, exec_lo, s18
	s_clause 0x1f
	scratch_load_b32 v191, off, s32 offset:8
	scratch_load_b32 v190, off, s32 offset:12
	;; [unrolled: 1-line block ×32, first 2 shown]
	s_clause 0x1f
	scratch_load_b32 v127, off, s32 offset:136
	scratch_load_b32 v126, off, s32 offset:140
	scratch_load_b32 v125, off, s32 offset:144
	scratch_load_b32 v124, off, s32 offset:148
	scratch_load_b32 v123, off, s32 offset:152
	scratch_load_b32 v122, off, s32 offset:156
	scratch_load_b32 v121, off, s32 offset:160
	scratch_load_b32 v120, off, s32 offset:164
	scratch_load_b32 v111, off, s32 offset:168
	scratch_load_b32 v110, off, s32 offset:172
	scratch_load_b32 v109, off, s32 offset:176
	scratch_load_b32 v108, off, s32 offset:180
	scratch_load_b32 v107, off, s32 offset:184
	scratch_load_b32 v106, off, s32 offset:188
	scratch_load_b32 v105, off, s32 offset:192
	scratch_load_b32 v104, off, s32 offset:196
	scratch_load_b32 v95, off, s32 offset:200
	scratch_load_b32 v94, off, s32 offset:204
	scratch_load_b32 v93, off, s32 offset:208
	scratch_load_b32 v92, off, s32 offset:212
	scratch_load_b32 v91, off, s32 offset:216
	scratch_load_b32 v90, off, s32 offset:220
	scratch_load_b32 v89, off, s32 offset:224
	scratch_load_b32 v88, off, s32 offset:228
	scratch_load_b32 v79, off, s32 offset:232
	scratch_load_b32 v78, off, s32 offset:236
	scratch_load_b32 v77, off, s32 offset:240
	scratch_load_b32 v76, off, s32 offset:244
	scratch_load_b32 v75, off, s32 offset:248
	scratch_load_b32 v74, off, s32 offset:252
	scratch_load_b32 v73, off, s32 offset:256
	scratch_load_b32 v72, off, s32 offset:260
	s_clause 0xf
	scratch_load_b32 v63, off, s32 offset:264
	scratch_load_b32 v62, off, s32 offset:268
	;; [unrolled: 1-line block ×16, first 2 shown]
	s_wait_loadcnt_dscnt 0x0
	s_setpc_b64 s[30:31]
.Lfunc_end296:
	.size	_ZN4vllm22paged_attention_kernelIthLi256ELi32ELi128ELNS_18Fp8KVCacheDataTypeE1ELb1ELi512EEEvPfS2_PT_PKS3_PKT0_S9_ifPKiSB_iPKfiiiSD_SD_iiiii, .Lfunc_end296-_ZN4vllm22paged_attention_kernelIthLi256ELi32ELi128ELNS_18Fp8KVCacheDataTypeE1ELb1ELi512EEEvPfS2_PT_PKS3_PKT0_S9_ifPKiSB_iPKfiiiSD_SD_iiiii
                                        ; -- End function
	.set .L_ZN4vllm22paged_attention_kernelIthLi256ELi32ELi128ELNS_18Fp8KVCacheDataTypeE1ELb1ELi512EEEvPfS2_PT_PKS3_PKT0_S9_ifPKiSB_iPKfiiiSD_SD_iiiii.num_vgpr, 192
	.set .L_ZN4vllm22paged_attention_kernelIthLi256ELi32ELi128ELNS_18Fp8KVCacheDataTypeE1ELb1ELi512EEEvPfS2_PT_PKS3_PKT0_S9_ifPKiSB_iPKfiiiSD_SD_iiiii.num_agpr, 0
	.set .L_ZN4vllm22paged_attention_kernelIthLi256ELi32ELi128ELNS_18Fp8KVCacheDataTypeE1ELb1ELi512EEEvPfS2_PT_PKS3_PKT0_S9_ifPKiSB_iPKfiiiSD_SD_iiiii.numbered_sgpr, 33
	.set .L_ZN4vllm22paged_attention_kernelIthLi256ELi32ELi128ELNS_18Fp8KVCacheDataTypeE1ELb1ELi512EEEvPfS2_PT_PKS3_PKT0_S9_ifPKiSB_iPKfiiiSD_SD_iiiii.num_named_barrier, 0
	.set .L_ZN4vllm22paged_attention_kernelIthLi256ELi32ELi128ELNS_18Fp8KVCacheDataTypeE1ELb1ELi512EEEvPfS2_PT_PKS3_PKT0_S9_ifPKiSB_iPKfiiiSD_SD_iiiii.private_seg_size, 1196
	.set .L_ZN4vllm22paged_attention_kernelIthLi256ELi32ELi128ELNS_18Fp8KVCacheDataTypeE1ELb1ELi512EEEvPfS2_PT_PKS3_PKT0_S9_ifPKiSB_iPKfiiiSD_SD_iiiii.uses_vcc, 1
	.set .L_ZN4vllm22paged_attention_kernelIthLi256ELi32ELi128ELNS_18Fp8KVCacheDataTypeE1ELb1ELi512EEEvPfS2_PT_PKS3_PKT0_S9_ifPKiSB_iPKfiiiSD_SD_iiiii.uses_flat_scratch, 1
	.set .L_ZN4vllm22paged_attention_kernelIthLi256ELi32ELi128ELNS_18Fp8KVCacheDataTypeE1ELb1ELi512EEEvPfS2_PT_PKS3_PKT0_S9_ifPKiSB_iPKfiiiSD_SD_iiiii.has_dyn_sized_stack, 0
	.set .L_ZN4vllm22paged_attention_kernelIthLi256ELi32ELi128ELNS_18Fp8KVCacheDataTypeE1ELb1ELi512EEEvPfS2_PT_PKS3_PKT0_S9_ifPKiSB_iPKfiiiSD_SD_iiiii.has_recursion, 0
	.set .L_ZN4vllm22paged_attention_kernelIthLi256ELi32ELi128ELNS_18Fp8KVCacheDataTypeE1ELb1ELi512EEEvPfS2_PT_PKS3_PKT0_S9_ifPKiSB_iPKfiiiSD_SD_iiiii.has_indirect_call, 0
	.section	.AMDGPU.csdata,"",@progbits
; Function info:
; codeLenInByte = 167984
; TotalNumSgprs: 35
; NumVgprs: 192
; ScratchSize: 1196
; MemoryBound: 0
	.section	.text._ZN4vllm25paged_attention_v2_kernelIthLi256ELi32ELi128ELNS_18Fp8KVCacheDataTypeE1ELb1ELi512EEEvPfS2_PT_PKS3_PKT0_S9_ifPKiSB_iPKfiiiSD_SD_iiiii,"axG",@progbits,_ZN4vllm25paged_attention_v2_kernelIthLi256ELi32ELi128ELNS_18Fp8KVCacheDataTypeE1ELb1ELi512EEEvPfS2_PT_PKS3_PKT0_S9_ifPKiSB_iPKfiiiSD_SD_iiiii,comdat
	.protected	_ZN4vllm25paged_attention_v2_kernelIthLi256ELi32ELi128ELNS_18Fp8KVCacheDataTypeE1ELb1ELi512EEEvPfS2_PT_PKS3_PKT0_S9_ifPKiSB_iPKfiiiSD_SD_iiiii ; -- Begin function _ZN4vllm25paged_attention_v2_kernelIthLi256ELi32ELi128ELNS_18Fp8KVCacheDataTypeE1ELb1ELi512EEEvPfS2_PT_PKS3_PKT0_S9_ifPKiSB_iPKfiiiSD_SD_iiiii
	.globl	_ZN4vllm25paged_attention_v2_kernelIthLi256ELi32ELi128ELNS_18Fp8KVCacheDataTypeE1ELb1ELi512EEEvPfS2_PT_PKS3_PKT0_S9_ifPKiSB_iPKfiiiSD_SD_iiiii
	.p2align	8
	.type	_ZN4vllm25paged_attention_v2_kernelIthLi256ELi32ELi128ELNS_18Fp8KVCacheDataTypeE1ELb1ELi512EEEvPfS2_PT_PKS3_PKT0_S9_ifPKiSB_iPKfiiiSD_SD_iiiii,@function
_ZN4vllm25paged_attention_v2_kernelIthLi256ELi32ELi128ELNS_18Fp8KVCacheDataTypeE1ELb1ELi512EEEvPfS2_PT_PKS3_PKT0_S9_ifPKiSB_iPKfiiiSD_SD_iiiii: ; @_ZN4vllm25paged_attention_v2_kernelIthLi256ELi32ELi128ELNS_18Fp8KVCacheDataTypeE1ELb1ELi512EEEvPfS2_PT_PKS3_PKT0_S9_ifPKiSB_iPKfiiiSD_SD_iiiii
; %bb.0:
	s_clause 0x3
	s_load_b256 s[12:19], s[0:1], 0x68
	s_load_b32 s4, s[0:1], 0x88
	s_load_b256 s[20:27], s[0:1], 0x0
	s_load_b256 s[36:43], s[0:1], 0x20
	s_mov_b32 s32, 0
	v_mov_b32_e32 v31, v0
	s_getpc_b64 s[2:3]
	s_sext_i32_i16 s3, s3
	s_add_co_u32 s2, s2, _ZN4vllm22paged_attention_kernelIthLi256ELi32ELi128ELNS_18Fp8KVCacheDataTypeE1ELb1ELi512EEEvPfS2_PT_PKS3_PKT0_S9_ifPKiSB_iPKfiiiSD_SD_iiiii@rel32@lo+8
	s_add_co_ci_u32 s3, s3, _ZN4vllm22paged_attention_kernelIthLi256ELi32ELi128ELNS_18Fp8KVCacheDataTypeE1ELb1ELi512EEEvPfS2_PT_PKS3_PKT0_S9_ifPKiSB_iPKfiiiSD_SD_iiiii@rel32@hi+16
	s_add_nc_u64 s[8:9], s[0:1], 0x90
	s_wait_kmcnt 0x0
	v_dual_mov_b32 v1, s19 :: v_dual_mov_b32 v2, s4
	s_clause 0x2
	s_load_b96 s[4:6], s[0:1], 0x40
	s_load_b64 s[10:11], s[0:1], 0x50
	s_load_b96 s[28:30], s[0:1], 0x58
	v_dual_mov_b32 v0, s20 :: v_dual_mov_b32 v3, s23
	v_mov_b32_e32 v4, s24
	scratch_store_b64 off, v[1:2], s32
	v_dual_mov_b32 v1, s21 :: v_dual_mov_b32 v2, s22
	v_dual_mov_b32 v5, s25 :: v_dual_mov_b32 v6, s26
	;; [unrolled: 1-line block ×6, first 2 shown]
	s_wait_kmcnt 0x0
	v_dual_mov_b32 v15, s43 :: v_dual_mov_b32 v16, s4
	v_dual_mov_b32 v17, s5 :: v_dual_mov_b32 v18, s6
	;; [unrolled: 1-line block ×8, first 2 shown]
	s_mov_b32 s15, 13
	s_wait_alu 0xfffe
	s_swappc_b64 s[30:31], s[2:3]
	s_endpgm
	.section	.rodata,"a",@progbits
	.p2align	6, 0x0
	.amdhsa_kernel _ZN4vllm25paged_attention_v2_kernelIthLi256ELi32ELi128ELNS_18Fp8KVCacheDataTypeE1ELb1ELi512EEEvPfS2_PT_PKS3_PKT0_S9_ifPKiSB_iPKfiiiSD_SD_iiiii
		.amdhsa_group_segment_fixed_size 544
		.amdhsa_private_segment_fixed_size 1196
		.amdhsa_kernarg_size 400
		.amdhsa_user_sgpr_count 2
		.amdhsa_user_sgpr_dispatch_ptr 0
		.amdhsa_user_sgpr_queue_ptr 0
		.amdhsa_user_sgpr_kernarg_segment_ptr 1
		.amdhsa_user_sgpr_dispatch_id 0
		.amdhsa_user_sgpr_private_segment_size 0
		.amdhsa_wavefront_size32 1
		.amdhsa_uses_dynamic_stack 0
		.amdhsa_enable_private_segment 1
		.amdhsa_system_sgpr_workgroup_id_x 1
		.amdhsa_system_sgpr_workgroup_id_y 1
		.amdhsa_system_sgpr_workgroup_id_z 1
		.amdhsa_system_sgpr_workgroup_info 0
		.amdhsa_system_vgpr_workitem_id 0
		.amdhsa_next_free_vgpr 192
		.amdhsa_next_free_sgpr 44
		.amdhsa_reserve_vcc 1
		.amdhsa_float_round_mode_32 0
		.amdhsa_float_round_mode_16_64 0
		.amdhsa_float_denorm_mode_32 3
		.amdhsa_float_denorm_mode_16_64 3
		.amdhsa_fp16_overflow 0
		.amdhsa_workgroup_processor_mode 1
		.amdhsa_memory_ordered 1
		.amdhsa_forward_progress 1
		.amdhsa_inst_pref_size 3
		.amdhsa_round_robin_scheduling 0
		.amdhsa_exception_fp_ieee_invalid_op 0
		.amdhsa_exception_fp_denorm_src 0
		.amdhsa_exception_fp_ieee_div_zero 0
		.amdhsa_exception_fp_ieee_overflow 0
		.amdhsa_exception_fp_ieee_underflow 0
		.amdhsa_exception_fp_ieee_inexact 0
		.amdhsa_exception_int_div_zero 0
	.end_amdhsa_kernel
	.section	.text._ZN4vllm25paged_attention_v2_kernelIthLi256ELi32ELi128ELNS_18Fp8KVCacheDataTypeE1ELb1ELi512EEEvPfS2_PT_PKS3_PKT0_S9_ifPKiSB_iPKfiiiSD_SD_iiiii,"axG",@progbits,_ZN4vllm25paged_attention_v2_kernelIthLi256ELi32ELi128ELNS_18Fp8KVCacheDataTypeE1ELb1ELi512EEEvPfS2_PT_PKS3_PKT0_S9_ifPKiSB_iPKfiiiSD_SD_iiiii,comdat
.Lfunc_end297:
	.size	_ZN4vllm25paged_attention_v2_kernelIthLi256ELi32ELi128ELNS_18Fp8KVCacheDataTypeE1ELb1ELi512EEEvPfS2_PT_PKS3_PKT0_S9_ifPKiSB_iPKfiiiSD_SD_iiiii, .Lfunc_end297-_ZN4vllm25paged_attention_v2_kernelIthLi256ELi32ELi128ELNS_18Fp8KVCacheDataTypeE1ELb1ELi512EEEvPfS2_PT_PKS3_PKT0_S9_ifPKiSB_iPKfiiiSD_SD_iiiii
                                        ; -- End function
	.set _ZN4vllm25paged_attention_v2_kernelIthLi256ELi32ELi128ELNS_18Fp8KVCacheDataTypeE1ELb1ELi512EEEvPfS2_PT_PKS3_PKT0_S9_ifPKiSB_iPKfiiiSD_SD_iiiii.num_vgpr, max(32, .L_ZN4vllm22paged_attention_kernelIthLi256ELi32ELi128ELNS_18Fp8KVCacheDataTypeE1ELb1ELi512EEEvPfS2_PT_PKS3_PKT0_S9_ifPKiSB_iPKfiiiSD_SD_iiiii.num_vgpr)
	.set _ZN4vllm25paged_attention_v2_kernelIthLi256ELi32ELi128ELNS_18Fp8KVCacheDataTypeE1ELb1ELi512EEEvPfS2_PT_PKS3_PKT0_S9_ifPKiSB_iPKfiiiSD_SD_iiiii.num_agpr, max(0, .L_ZN4vllm22paged_attention_kernelIthLi256ELi32ELi128ELNS_18Fp8KVCacheDataTypeE1ELb1ELi512EEEvPfS2_PT_PKS3_PKT0_S9_ifPKiSB_iPKfiiiSD_SD_iiiii.num_agpr)
	.set _ZN4vllm25paged_attention_v2_kernelIthLi256ELi32ELi128ELNS_18Fp8KVCacheDataTypeE1ELb1ELi512EEEvPfS2_PT_PKS3_PKT0_S9_ifPKiSB_iPKfiiiSD_SD_iiiii.numbered_sgpr, max(44, .L_ZN4vllm22paged_attention_kernelIthLi256ELi32ELi128ELNS_18Fp8KVCacheDataTypeE1ELb1ELi512EEEvPfS2_PT_PKS3_PKT0_S9_ifPKiSB_iPKfiiiSD_SD_iiiii.numbered_sgpr)
	.set _ZN4vllm25paged_attention_v2_kernelIthLi256ELi32ELi128ELNS_18Fp8KVCacheDataTypeE1ELb1ELi512EEEvPfS2_PT_PKS3_PKT0_S9_ifPKiSB_iPKfiiiSD_SD_iiiii.num_named_barrier, max(0, .L_ZN4vllm22paged_attention_kernelIthLi256ELi32ELi128ELNS_18Fp8KVCacheDataTypeE1ELb1ELi512EEEvPfS2_PT_PKS3_PKT0_S9_ifPKiSB_iPKfiiiSD_SD_iiiii.num_named_barrier)
	.set _ZN4vllm25paged_attention_v2_kernelIthLi256ELi32ELi128ELNS_18Fp8KVCacheDataTypeE1ELb1ELi512EEEvPfS2_PT_PKS3_PKT0_S9_ifPKiSB_iPKfiiiSD_SD_iiiii.private_seg_size, 0+max(.L_ZN4vllm22paged_attention_kernelIthLi256ELi32ELi128ELNS_18Fp8KVCacheDataTypeE1ELb1ELi512EEEvPfS2_PT_PKS3_PKT0_S9_ifPKiSB_iPKfiiiSD_SD_iiiii.private_seg_size)
	.set _ZN4vllm25paged_attention_v2_kernelIthLi256ELi32ELi128ELNS_18Fp8KVCacheDataTypeE1ELb1ELi512EEEvPfS2_PT_PKS3_PKT0_S9_ifPKiSB_iPKfiiiSD_SD_iiiii.uses_vcc, or(1, .L_ZN4vllm22paged_attention_kernelIthLi256ELi32ELi128ELNS_18Fp8KVCacheDataTypeE1ELb1ELi512EEEvPfS2_PT_PKS3_PKT0_S9_ifPKiSB_iPKfiiiSD_SD_iiiii.uses_vcc)
	.set _ZN4vllm25paged_attention_v2_kernelIthLi256ELi32ELi128ELNS_18Fp8KVCacheDataTypeE1ELb1ELi512EEEvPfS2_PT_PKS3_PKT0_S9_ifPKiSB_iPKfiiiSD_SD_iiiii.uses_flat_scratch, or(0, .L_ZN4vllm22paged_attention_kernelIthLi256ELi32ELi128ELNS_18Fp8KVCacheDataTypeE1ELb1ELi512EEEvPfS2_PT_PKS3_PKT0_S9_ifPKiSB_iPKfiiiSD_SD_iiiii.uses_flat_scratch)
	.set _ZN4vllm25paged_attention_v2_kernelIthLi256ELi32ELi128ELNS_18Fp8KVCacheDataTypeE1ELb1ELi512EEEvPfS2_PT_PKS3_PKT0_S9_ifPKiSB_iPKfiiiSD_SD_iiiii.has_dyn_sized_stack, or(0, .L_ZN4vllm22paged_attention_kernelIthLi256ELi32ELi128ELNS_18Fp8KVCacheDataTypeE1ELb1ELi512EEEvPfS2_PT_PKS3_PKT0_S9_ifPKiSB_iPKfiiiSD_SD_iiiii.has_dyn_sized_stack)
	.set _ZN4vllm25paged_attention_v2_kernelIthLi256ELi32ELi128ELNS_18Fp8KVCacheDataTypeE1ELb1ELi512EEEvPfS2_PT_PKS3_PKT0_S9_ifPKiSB_iPKfiiiSD_SD_iiiii.has_recursion, or(0, .L_ZN4vllm22paged_attention_kernelIthLi256ELi32ELi128ELNS_18Fp8KVCacheDataTypeE1ELb1ELi512EEEvPfS2_PT_PKS3_PKT0_S9_ifPKiSB_iPKfiiiSD_SD_iiiii.has_recursion)
	.set _ZN4vllm25paged_attention_v2_kernelIthLi256ELi32ELi128ELNS_18Fp8KVCacheDataTypeE1ELb1ELi512EEEvPfS2_PT_PKS3_PKT0_S9_ifPKiSB_iPKfiiiSD_SD_iiiii.has_indirect_call, or(0, .L_ZN4vllm22paged_attention_kernelIthLi256ELi32ELi128ELNS_18Fp8KVCacheDataTypeE1ELb1ELi512EEEvPfS2_PT_PKS3_PKT0_S9_ifPKiSB_iPKfiiiSD_SD_iiiii.has_indirect_call)
	.section	.AMDGPU.csdata,"",@progbits
; Kernel info:
; codeLenInByte = 272
; TotalNumSgprs: 46
; NumVgprs: 192
; ScratchSize: 1196
; MemoryBound: 0
; FloatMode: 240
; IeeeMode: 1
; LDSByteSize: 544 bytes/workgroup (compile time only)
; SGPRBlocks: 0
; VGPRBlocks: 23
; NumSGPRsForWavesPerEU: 46
; NumVGPRsForWavesPerEU: 192
; Occupancy: 8
; WaveLimiterHint : 1
; COMPUTE_PGM_RSRC2:SCRATCH_EN: 1
; COMPUTE_PGM_RSRC2:USER_SGPR: 2
; COMPUTE_PGM_RSRC2:TRAP_HANDLER: 0
; COMPUTE_PGM_RSRC2:TGID_X_EN: 1
; COMPUTE_PGM_RSRC2:TGID_Y_EN: 1
; COMPUTE_PGM_RSRC2:TGID_Z_EN: 1
; COMPUTE_PGM_RSRC2:TIDIG_COMP_CNT: 0
	.section	.text._ZN4vllm25paged_attention_v2_kernelIthLi32ELi32ELi128ELNS_18Fp8KVCacheDataTypeE1ELb0ELi512EEEvPfS2_PT_PKS3_PKT0_S9_ifPKiSB_iPKfiiiSD_SD_iiiii,"axG",@progbits,_ZN4vllm25paged_attention_v2_kernelIthLi32ELi32ELi128ELNS_18Fp8KVCacheDataTypeE1ELb0ELi512EEEvPfS2_PT_PKS3_PKT0_S9_ifPKiSB_iPKfiiiSD_SD_iiiii,comdat
	.protected	_ZN4vllm25paged_attention_v2_kernelIthLi32ELi32ELi128ELNS_18Fp8KVCacheDataTypeE1ELb0ELi512EEEvPfS2_PT_PKS3_PKT0_S9_ifPKiSB_iPKfiiiSD_SD_iiiii ; -- Begin function _ZN4vllm25paged_attention_v2_kernelIthLi32ELi32ELi128ELNS_18Fp8KVCacheDataTypeE1ELb0ELi512EEEvPfS2_PT_PKS3_PKT0_S9_ifPKiSB_iPKfiiiSD_SD_iiiii
	.globl	_ZN4vllm25paged_attention_v2_kernelIthLi32ELi32ELi128ELNS_18Fp8KVCacheDataTypeE1ELb0ELi512EEEvPfS2_PT_PKS3_PKT0_S9_ifPKiSB_iPKfiiiSD_SD_iiiii
	.p2align	8
	.type	_ZN4vllm25paged_attention_v2_kernelIthLi32ELi32ELi128ELNS_18Fp8KVCacheDataTypeE1ELb0ELi512EEEvPfS2_PT_PKS3_PKT0_S9_ifPKiSB_iPKfiiiSD_SD_iiiii,@function
_ZN4vllm25paged_attention_v2_kernelIthLi32ELi32ELi128ELNS_18Fp8KVCacheDataTypeE1ELb0ELi512EEEvPfS2_PT_PKS3_PKT0_S9_ifPKiSB_iPKfiiiSD_SD_iiiii: ; @_ZN4vllm25paged_attention_v2_kernelIthLi32ELi32ELi128ELNS_18Fp8KVCacheDataTypeE1ELb0ELi512EEEvPfS2_PT_PKS3_PKT0_S9_ifPKiSB_iPKfiiiSD_SD_iiiii
; %bb.0:
	s_load_b64 s[2:3], s[0:1], 0x40
	s_and_b32 s15, ttmp7, 0xffff
	s_lshr_b32 s26, ttmp7, 16
	s_lshl_b32 s4, s15, 2
	s_lshl_b32 s28, s26, 9
	s_wait_kmcnt 0x0
	s_load_b32 s27, s[2:3], s4 offset:0x0
	s_wait_kmcnt 0x0
	s_cmp_ge_i32 s28, s27
	s_cbranch_scc1 .LBB298_570
; %bb.1:
	s_clause 0x1
	s_load_b32 s29, s[0:1], 0x90
	s_load_b64 s[4:5], s[0:1], 0x30
	s_wait_kmcnt 0x0
	s_abs_i32 s7, s29
	s_abs_i32 s2, s4
	s_xor_b32 s4, s29, s4
	s_cvt_f32_u32 s3, s2
	s_sub_co_i32 s6, 0, s2
	s_ashr_i32 s4, s4, 31
	s_delay_alu instid0(SALU_CYCLE_1) | instskip(NEXT) | instid1(TRANS32_DEP_1)
	v_rcp_iflag_f32_e32 v1, s3
	v_readfirstlane_b32 s3, v1
	s_mul_f32 s3, s3, 0x4f7ffffe
	s_wait_alu 0xfffe
	s_delay_alu instid0(SALU_CYCLE_2) | instskip(SKIP_1) | instid1(SALU_CYCLE_2)
	s_cvt_u32_f32 s3, s3
	s_wait_alu 0xfffe
	s_mul_i32 s6, s6, s3
	s_delay_alu instid0(SALU_CYCLE_1) | instskip(NEXT) | instid1(SALU_CYCLE_1)
	s_mul_hi_u32 s6, s3, s6
	s_add_co_i32 s3, s3, s6
	s_wait_alu 0xfffe
	s_mul_hi_u32 s3, s7, s3
	s_wait_alu 0xfffe
	s_mul_i32 s6, s3, s2
	s_delay_alu instid0(SALU_CYCLE_1)
	s_sub_co_i32 s6, s7, s6
	s_add_co_i32 s7, s3, 1
	s_sub_co_i32 s8, s6, s2
	s_cmp_ge_u32 s6, s2
	s_cselect_b32 s3, s7, s3
	s_cselect_b32 s6, s8, s6
	s_wait_alu 0xfffe
	s_add_co_i32 s7, s3, 1
	s_cmp_ge_u32 s6, s2
	s_load_b64 s[8:9], s[0:1], 0x50
	s_cselect_b32 s2, s7, s3
	s_mov_b32 s3, 0
	s_wait_alu 0xfffe
	s_xor_b32 s2, s2, s4
	s_mov_b32 s24, s3
	s_wait_alu 0xfffe
	s_sub_co_i32 s10, s2, s4
	s_delay_alu instid0(SALU_CYCLE_1) | instskip(NEXT) | instid1(SALU_CYCLE_1)
	s_abs_i32 s4, s10
	s_cvt_f32_u32 s2, s4
	s_wait_alu 0xfffe
	s_delay_alu instid0(SALU_CYCLE_2) | instskip(NEXT) | instid1(TRANS32_DEP_1)
	v_rcp_iflag_f32_e32 v1, s2
	v_readfirstlane_b32 s2, v1
	s_mul_f32 s2, s2, 0x4f7ffffe
	s_wait_alu 0xfffe
	s_delay_alu instid0(SALU_CYCLE_2) | instskip(SKIP_2) | instid1(SALU_CYCLE_1)
	s_cvt_u32_f32 s6, s2
	s_sub_co_i32 s2, 0, s4
	s_wait_alu 0xfffe
	s_mul_i32 s2, s2, s6
	s_wait_alu 0xfffe
	s_mul_hi_u32 s7, s6, s2
	s_abs_i32 s2, ttmp9
	s_add_co_i32 s6, s6, s7
	s_mov_b32 s7, s3
	s_wait_kmcnt 0x0
	s_cmp_eq_u64 s[8:9], 0
	s_cbranch_scc1 .LBB298_3
; %bb.2:
	s_mov_b32 s12, ttmp9
	s_ashr_i32 s13, ttmp9, 31
	s_delay_alu instid0(SALU_CYCLE_1) | instskip(NEXT) | instid1(SALU_CYCLE_1)
	s_lshl_b64 s[12:13], s[12:13], 2
	s_add_nc_u64 s[8:9], s[8:9], s[12:13]
	s_load_b32 s24, s[8:9], 0x0
.LBB298_3:
	s_load_b96 s[12:14], s[0:1], 0x58
	s_mul_u64 s[6:7], s[2:3], s[6:7]
	s_ashr_i32 s3, ttmp9, 31
	s_ashr_i32 s6, s10, 31
	s_lshl_b32 s16, ttmp9, 5
	s_mov_b32 s8, exec_lo
	v_cmpx_gt_u32_e32 4, v0
	s_cbranch_execz .LBB298_5
; %bb.4:
	s_load_b64 s[10:11], s[0:1], 0x18
	s_wait_kmcnt 0x0
	s_mul_i32 s18, s12, s15
	s_ashr_i32 s17, s16, 31
	s_ashr_i32 s19, s18, 31
	v_lshlrev_b32_e32 v5, 4, v0
	s_lshl_b64 s[18:19], s[18:19], 1
	s_delay_alu instid0(SALU_CYCLE_1) | instskip(SKIP_1) | instid1(SALU_CYCLE_1)
	s_add_nc_u64 s[10:11], s[10:11], s[18:19]
	s_lshl_b64 s[18:19], s[16:17], 1
	s_add_nc_u64 s[10:11], s[10:11], s[18:19]
	global_load_b128 v[1:4], v5, s[10:11]
	s_wait_loadcnt 0x0
	ds_store_b128 v5, v[1:4]
.LBB298_5:
	s_or_b32 exec_lo, exec_lo, s8
	s_add_co_i32 s8, s27, 31
	s_lshl_b32 s31, s26, 4
	s_ashr_i32 s9, s8, 31
	s_wait_alu 0xfffe
	s_xor_b32 s3, s3, s6
	s_lshr_b32 s9, s9, 27
	s_add_co_i32 s6, s31, 16
	s_add_co_i32 s8, s8, s9
	v_lshrrev_b32_e32 v11, 5, v0
	s_ashr_i32 s30, s8, 5
	s_mul_i32 s8, s7, s4
	s_min_i32 s17, s6, s30
	s_sub_co_i32 s2, s2, s8
	s_clause 0x1
	s_load_b64 s[18:19], s[0:1], 0x38
	s_load_b32 s6, s[0:1], 0x48
	s_add_co_i32 s8, s7, 1
	s_sub_co_i32 s9, s2, s4
	s_cmp_ge_u32 s2, s4
	v_dual_mov_b32 v15, 0xff7fffff :: v_dual_and_b32 v12, 31, v0
	s_cselect_b32 s7, s8, s7
	s_cselect_b32 s2, s9, s2
	s_wait_kmcnt 0x0
	s_clause 0x1
	s_load_b32 s12, s[0:1], 0x98
	s_load_b128 s[8:11], s[0:1], 0x68
	s_add_co_i32 s20, s7, 1
	s_cmp_ge_u32 s2, s4
	v_add_nc_u32_e32 v13, s31, v11
	s_cselect_b32 s2, s20, s7
	v_lshlrev_b32_e32 v17, 2, v12
	s_wait_alu 0xfffe
	s_xor_b32 s2, s2, s3
	s_wait_dscnt 0x0
	s_wait_alu 0xfffe
	s_sub_co_i32 s3, s2, s3
	v_cmp_gt_i32_e64 s2, s17, v13
	v_lshlrev_b32_e32 v14, 2, v13
	s_wait_alu 0xfffe
	s_mul_i32 s22, s3, s14
	s_mul_i32 s20, s6, s15
	s_barrier_signal -1
	s_ashr_i32 s21, s20, 31
	s_barrier_wait -1
	global_inv scope:SCOPE_SE
	s_and_saveexec_b32 s14, s2
	s_cbranch_execz .LBB298_265
; %bb.6:
	s_load_b64 s[6:7], s[0:1], 0x20
	s_ashr_i32 s23, s22, 31
	s_cmp_neq_f32 s24, 0
	v_lshlrev_b32_e32 v3, 5, v11
	v_dual_mov_b32 v2, 0 :: v_dual_lshlrev_b32 v1, 4, v12
	s_cselect_b32 vcc_lo, -1, 0
	s_lshl_b64 s[34:35], s[20:21], 2
	v_lshl_or_b32 v4, v11, 7, v17
	s_add_nc_u64 s[34:35], s[18:19], s[34:35]
	v_add3_u32 v16, s28, v3, v12
	v_add_co_u32 v3, s3, s34, v14
	s_delay_alu instid0(VALU_DEP_3)
	v_dual_mov_b32 v19, v13 :: v_dual_add_nc_u32 v18, 0x60, v4
	s_wait_alu 0xf1ff
	v_add_co_ci_u32_e64 v4, null, s35, 0, s3
	v_mov_b32_e32 v15, 0xff7fffff
	s_mov_b32 s25, s13
	s_mov_b32 s33, 0
	s_wait_kmcnt 0x0
	s_add_nc_u64 s[6:7], s[6:7], s[22:23]
	s_sub_co_i32 s23, 1, s27
	v_add_co_u32 v5, s3, s6, v1
	s_wait_alu 0xf1ff
	v_add_co_ci_u32_e64 v6, null, s7, 0, s3
	s_mov_b32 s6, -1
	s_mov_b32 s7, 0xffffff
	s_branch .LBB298_11
.LBB298_7:                              ;   in Loop: Header=BB298_11 Depth=1
	s_or_b32 exec_lo, exec_lo, s36
	v_lshlrev_b32_e32 v1, 8, v1
	v_lshl_add_u32 v8, v8, 10, 0x2000
	v_lshlrev_b32_e32 v7, 23, v7
	s_delay_alu instid0(VALU_DEP_2) | instskip(NEXT) | instid1(VALU_DEP_1)
	v_and_or_b32 v1, 0x8000, v1, v8
	v_lshl_or_b32 v7, v1, 16, v7
.LBB298_8:                              ;   in Loop: Header=BB298_11 Depth=1
	s_wait_alu 0xfffe
	s_or_b32 exec_lo, exec_lo, s35
.LBB298_9:                              ;   in Loop: Header=BB298_11 Depth=1
	s_wait_alu 0xfffe
	s_or_b32 exec_lo, exec_lo, s34
.LBB298_10:                             ;   in Loop: Header=BB298_11 Depth=1
	s_wait_alu 0xfffe
	s_or_b32 exec_lo, exec_lo, s4
	ds_load_b128 v[50:53], v2
	v_or_b32_e32 v21, v22, v21
	v_or_b32_e32 v1, v25, v23
	;; [unrolled: 1-line block ×3, first 2 shown]
	v_fma_mixlo_f16 v8, v20, v25, 0 op_sel:[0,1,0] op_sel_hi:[0,1,0]
	v_or_b32_e32 v25, v29, v26
	v_fma_mixlo_f16 v22, v20, v22, 0 op_sel:[0,1,0] op_sel_hi:[0,1,0]
	v_fma_mixlo_f16 v21, v20, v21, 0 op_sel_hi:[0,1,0]
	v_fma_mixlo_f16 v1, v20, v1, 0 op_sel_hi:[0,1,0]
	;; [unrolled: 1-line block ×3, first 2 shown]
	v_fma_mixlo_f16 v24, v20, v27, 0 op_sel:[0,1,0] op_sel_hi:[0,1,0]
	v_fma_mixlo_f16 v26, v20, v29, 0 op_sel:[0,1,0] op_sel_hi:[0,1,0]
	v_fma_mixlo_f16 v25, v20, v25, 0 op_sel_hi:[0,1,0]
	v_and_b32_e32 v22, 0xffff, v22
	v_and_b32_e32 v21, 0xffff, v21
	;; [unrolled: 1-line block ×3, first 2 shown]
	v_or_b32_e32 v28, v30, v28
	v_fma_mixlo_f16 v30, v20, v30, 0 op_sel:[0,1,0] op_sel_hi:[0,1,0]
	v_or_b32_e32 v31, v33, v31
	v_or_b32_e32 v32, v34, v32
	s_wait_dscnt 0x0
	v_and_b32_e32 v27, 0xffff, v50
	v_lshrrev_b32_e32 v29, 16, v50
	v_lshrrev_b32_e32 v54, 16, v51
	v_and_b32_e32 v51, 0xffff, v51
	;;#ASMSTART
	v_cvt_f32_f16 v1, v27;
	;;#ASMEND
	;;#ASMSTART
	v_cvt_f32_f16 v27, v29;
	;;#ASMEND
	;; [unrolled: 3-line block ×6, first 2 shown]
	v_and_b32_e32 v8, 0xffff, v8
	v_and_b32_e32 v21, 0xffff, v52
	v_lshrrev_b32_e32 v22, 16, v52
	;;#ASMSTART
	v_cvt_f32_f16 v52, v55;
	;;#ASMEND
	v_and_b32_e32 v23, 0xffff, v23
	;;#ASMSTART
	v_cvt_f32_f16 v55, v8;
	;;#ASMEND
	;;#ASMSTART
	v_cvt_f32_f16 v56, v21;
	;;#ASMEND
	;;#ASMSTART
	v_cvt_f32_f16 v57, v22;
	;;#ASMEND
	;;#ASMSTART
	v_cvt_f32_f16 v58, v23;
	;;#ASMEND
	v_and_b32_e32 v8, 0xffff, v24
	v_and_b32_e32 v21, 0xffff, v53
	v_lshrrev_b32_e32 v22, 16, v53
	v_and_b32_e32 v23, 0xffff, v25
	v_and_b32_e32 v24, 0xffff, v26
	;;#ASMSTART
	v_cvt_f32_f16 v25, v8;
	;;#ASMEND
	;;#ASMSTART
	v_cvt_f32_f16 v26, v21;
	;;#ASMEND
	;; [unrolled: 3-line block ×5, first 2 shown]
	ds_load_b128 v[21:24], v2 offset:16
	v_fma_mixlo_f16 v28, v20, v28, 0 op_sel_hi:[0,1,0]
	v_or_b32_e32 v8, v41, v39
	v_fma_mixlo_f16 v39, v20, v41, 0 op_sel:[0,1,0] op_sel_hi:[0,1,0]
	v_or_b32_e32 v41, v44, v43
	v_and_b32_e32 v62, 0xffff, v30
	v_and_b32_e32 v61, 0xffff, v28
	v_fma_mixlo_f16 v33, v20, v33, 0 op_sel:[0,1,0] op_sel_hi:[0,1,0]
	v_fma_mixlo_f16 v31, v20, v31, 0 op_sel_hi:[0,1,0]
	v_or_b32_e32 v35, v36, v35
	v_fma_mixlo_f16 v32, v20, v32, 0 op_sel_hi:[0,1,0]
	v_fma_mixlo_f16 v34, v20, v34, 0 op_sel:[0,1,0] op_sel_hi:[0,1,0]
	v_fma_mixlo_f16 v36, v20, v36, 0 op_sel:[0,1,0] op_sel_hi:[0,1,0]
	v_or_b32_e32 v37, v38, v37
	v_fma_mixlo_f16 v35, v20, v35, 0 op_sel_hi:[0,1,0]
	v_and_b32_e32 v65, 0xffff, v32
	v_or_b32_e32 v40, v42, v40
	v_and_b32_e32 v67, 0xffff, v36
	v_or_b32_e32 v45, v47, v45
	v_or_b32_e32 v9, v10, v9
	s_wait_dscnt 0x0
	v_and_b32_e32 v43, 0xffff, v21
	v_lshrrev_b32_e32 v21, 16, v21
	;;#ASMSTART
	v_cvt_f32_f16 v43, v43;
	;;#ASMEND
	;;#ASMSTART
	v_cvt_f32_f16 v28, v21;
	;;#ASMEND
	;; [unrolled: 3-line block ×3, first 2 shown]
	v_mul_f32_e32 v30, v43, v30
	;;#ASMSTART
	v_cvt_f32_f16 v61, v62;
	;;#ASMEND
	v_and_b32_e32 v63, 0xffff, v22
	v_lshrrev_b32_e32 v22, 16, v22
	;;#ASMSTART
	v_cvt_f32_f16 v62, v63;
	;;#ASMEND
	v_fmac_f32_e32 v30, v1, v29
	v_mul_f32_e32 v1, v28, v61
	;;#ASMSTART
	v_cvt_f32_f16 v63, v22;
	;;#ASMEND
	v_and_b32_e32 v22, 0xffff, v33
	v_and_b32_e32 v33, 0xffff, v23
	;; [unrolled: 1-line block ×3, first 2 shown]
	;;#ASMSTART
	v_cvt_f32_f16 v31, v21;
	;;#ASMEND
	;;#ASMSTART
	v_cvt_f32_f16 v32, v22;
	;;#ASMEND
	;; [unrolled: 3-line block ×3, first 2 shown]
	v_lshrrev_b32_e32 v23, 16, v23
	;;#ASMSTART
	v_cvt_f32_f16 v64, v23;
	;;#ASMEND
	;;#ASMSTART
	v_cvt_f32_f16 v65, v65;
	;;#ASMEND
	v_and_b32_e32 v21, 0xffff, v34
	;;#ASMSTART
	v_cvt_f32_f16 v34, v21;
	;;#ASMEND
	v_fmac_f32_e32 v1, v27, v50
	v_dual_mul_f32 v27, v63, v32 :: v_dual_mul_f32 v32, v33, v65
	v_dual_mul_f32 v33, v64, v34 :: v_dual_and_b32 v22, 0xffff, v24
	v_lshrrev_b32_e32 v23, 16, v24
	v_and_b32_e32 v24, 0xffff, v35
	v_fma_mixlo_f16 v69, v20, v10, 0 op_sel:[0,1,0] op_sel_hi:[0,1,0]
	s_delay_alu instid0(VALU_DEP_4)
	v_fmac_f32_e32 v33, v57, v25
	;;#ASMSTART
	v_cvt_f32_f16 v35, v22;
	;;#ASMEND
	;;#ASMSTART
	v_cvt_f32_f16 v36, v23;
	;;#ASMEND
	;; [unrolled: 3-line block ×4, first 2 shown]
	ds_load_b128 v[21:24], v2 offset:32
	v_or_b32_e32 v10, v48, v46
	v_or_b32_e32 v46, v7, v49
	v_fma_mixlo_f16 v38, v20, v38, 0 op_sel:[0,1,0] op_sel_hi:[0,1,0]
	v_fma_mixlo_f16 v37, v20, v37, 0 op_sel_hi:[0,1,0]
	v_fma_mixlo_f16 v8, v20, v8, 0 op_sel_hi:[0,1,0]
	v_fma_mixlo_f16 v42, v20, v42, 0 op_sel:[0,1,0] op_sel_hi:[0,1,0]
	v_fma_mixlo_f16 v40, v20, v40, 0 op_sel_hi:[0,1,0]
	v_fma_mixlo_f16 v41, v20, v41, 0 op_sel_hi:[0,1,0]
	v_fma_mixlo_f16 v44, v20, v44, 0 op_sel:[0,1,0] op_sel_hi:[0,1,0]
	v_dual_mul_f32 v34, v35, v66 :: v_dual_mul_f32 v35, v36, v67
	v_fmac_f32_e32 v27, v54, v55
	v_fma_mixlo_f16 v47, v20, v47, 0 op_sel:[0,1,0] op_sel_hi:[0,1,0]
	v_fma_mixlo_f16 v45, v20, v45, 0 op_sel_hi:[0,1,0]
	v_fma_mixlo_f16 v49, v20, v9, 0 op_sel_hi:[0,1,0]
	v_fma_mixlo_f16 v48, v20, v48, 0 op_sel:[0,1,0] op_sel_hi:[0,1,0]
	v_fma_mixlo_f16 v43, v20, v10, 0 op_sel_hi:[0,1,0]
	v_fma_mixlo_f16 v46, v20, v46, 0 op_sel_hi:[0,1,0]
	v_fma_mixlo_f16 v20, v20, v7, 0 op_sel:[0,1,0] op_sel_hi:[0,1,0]
	s_wait_dscnt 0x0
	v_and_b32_e32 v7, 0xffff, v21
	v_lshrrev_b32_e32 v9, 16, v21
	;;#ASMSTART
	v_cvt_f32_f16 v21, v7;
	;;#ASMEND
	v_and_b32_e32 v7, 0xffff, v37
	v_and_b32_e32 v10, 0xffff, v38
	v_dual_mul_f32 v28, v62, v31 :: v_dual_and_b32 v37, 0xffff, v22
	v_lshrrev_b32_e32 v38, 16, v22
	;;#ASMSTART
	v_cvt_f32_f16 v22, v9;
	;;#ASMEND
	;;#ASMSTART
	v_cvt_f32_f16 v29, v7;
	;;#ASMEND
	;; [unrolled: 3-line block ×3, first 2 shown]
	v_and_b32_e32 v7, 0xffff, v8
	v_and_b32_e32 v8, 0xffff, v39
	;; [unrolled: 1-line block ×3, first 2 shown]
	v_lshrrev_b32_e32 v10, 16, v23
	v_dual_fmac_f32 v1, v22, v31 :: v_dual_add_nc_u32 v68, s23, v16
	;;#ASMSTART
	v_cvt_f32_f16 v37, v37;
	;;#ASMEND
	;;#ASMSTART
	v_cvt_f32_f16 v38, v38;
	;;#ASMEND
	;; [unrolled: 3-line block ×4, first 2 shown]
	v_and_b32_e32 v7, 0xffff, v42
	v_and_b32_e32 v8, 0xffff, v24
	;; [unrolled: 1-line block ×3, first 2 shown]
	v_fmac_f32_e32 v35, v53, v60
	v_and_b32_e32 v62, 0xffff, v40
	;;#ASMSTART
	v_cvt_f32_f16 v40, v9;
	;;#ASMEND
	;;#ASMSTART
	v_cvt_f32_f16 v61, v10;
	;;#ASMEND
	v_lshrrev_b32_e32 v9, 16, v24
	v_dual_fmac_f32 v27, v38, v39 :: v_dual_and_b32 v10, 0xffff, v41
	;;#ASMSTART
	v_cvt_f32_f16 v62, v62;
	;;#ASMEND
	;;#ASMSTART
	v_cvt_f32_f16 v24, v7;
	;;#ASMEND
	;; [unrolled: 3-line block ×6, first 2 shown]
	ds_load_b128 v[7:10], v2 offset:48
	v_fmac_f32_e32 v28, v51, v52
	v_fmac_f32_e32 v30, v21, v29
	v_dual_fmac_f32 v33, v61, v24 :: v_dual_and_b32 v24, 0xffff, v69
	v_fmac_f32_e32 v32, v56, v58
	s_delay_alu instid0(VALU_DEP_4) | instskip(SKIP_2) | instid1(VALU_DEP_4)
	v_dual_fmac_f32 v28, v37, v23 :: v_dual_and_b32 v23, 0xffff, v49
	v_fmac_f32_e32 v34, v26, v59
	v_cvt_f32_i32_e32 v68, v68
	v_fmac_f32_e32 v32, v40, v62
	v_fmac_f32_e32 v35, v42, v70
	v_cmp_gt_i32_e64 s3, s27, v16
	v_fmac_f32_e32 v34, v41, v44
	v_add_nc_u32_e32 v16, 0x80, v16
	v_add_nc_u32_e32 v19, 4, v19
	v_add_co_u32 v3, s4, v3, 16
	s_wait_alu 0xf1ff
	v_add_co_ci_u32_e64 v4, null, 0, v4, s4
	s_wait_dscnt 0x0
	v_and_b32_e32 v21, 0xffff, v7
	v_lshrrev_b32_e32 v22, 16, v7
	;;#ASMSTART
	v_cvt_f32_f16 v7, v21;
	;;#ASMEND
	;;#ASMSTART
	v_cvt_f32_f16 v21, v22;
	;;#ASMEND
	;; [unrolled: 3-line block ×4, first 2 shown]
	v_dual_fmac_f32 v30, v7, v22 :: v_dual_fmac_f32 v1, v21, v23
	v_and_b32_e32 v7, 0xffff, v8
	v_lshrrev_b32_e32 v8, 16, v8
	v_and_b32_e32 v22, 0xffff, v45
	;;#ASMSTART
	v_cvt_f32_f16 v7, v7;
	;;#ASMEND
	;;#ASMSTART
	v_cvt_f32_f16 v8, v8;
	;;#ASMEND
	;;#ASMSTART
	v_cvt_f32_f16 v21, v22;
	;;#ASMEND
	v_fmac_f32_e32 v28, v7, v21
	v_add_f32_e32 v1, v30, v1
	v_and_b32_e32 v7, 0xffff, v9
	v_and_b32_e32 v21, 0xffff, v48
	s_delay_alu instid0(VALU_DEP_3)
	v_dual_add_f32 v1, v1, v28 :: v_dual_and_b32 v24, 0xffff, v47
	;;#ASMSTART
	v_cvt_f32_f16 v22, v24;
	;;#ASMEND
	v_fmac_f32_e32 v27, v8, v22
	v_lshrrev_b32_e32 v8, 16, v9
	v_and_b32_e32 v9, 0xffff, v43
	;;#ASMSTART
	v_cvt_f32_f16 v7, v7;
	;;#ASMEND
	;;#ASMSTART
	v_cvt_f32_f16 v8, v8;
	;;#ASMEND
	;; [unrolled: 3-line block ×3, first 2 shown]
	s_delay_alu instid0(VALU_DEP_1)
	v_fmac_f32_e32 v32, v7, v9
	v_add_f32_e32 v1, v27, v1
	;;#ASMSTART
	v_cvt_f32_f16 v21, v21;
	;;#ASMEND
	v_and_b32_e32 v7, 0xffff, v10
	v_lshrrev_b32_e32 v9, 16, v10
	v_dual_fmac_f32 v33, v8, v21 :: v_dual_and_b32 v10, 0xffff, v46
	v_add_f32_e32 v1, v1, v32
	;;#ASMSTART
	v_cvt_f32_f16 v7, v7;
	;;#ASMEND
	;;#ASMSTART
	v_cvt_f32_f16 v8, v9;
	;;#ASMEND
	;; [unrolled: 3-line block ×3, first 2 shown]
	s_delay_alu instid0(VALU_DEP_1) | instskip(SKIP_3) | instid1(VALU_DEP_2)
	v_dual_add_f32 v1, v33, v1 :: v_dual_and_b32 v10, 0xffff, v20
	v_dual_fmac_f32 v34, v7, v9 :: v_dual_mul_f32 v7, s24, v68
	;;#ASMSTART
	v_cvt_f32_f16 v9, v10;
	;;#ASMEND
	v_fmac_f32_e32 v35, v8, v9
	v_add_f32_e32 v1, v1, v34
	s_delay_alu instid0(VALU_DEP_3) | instskip(NEXT) | instid1(VALU_DEP_2)
	v_cndmask_b32_e32 v7, 0, v7, vcc_lo
	v_add_f32_e32 v1, v35, v1
	s_delay_alu instid0(VALU_DEP_1) | instskip(SKIP_1) | instid1(VALU_DEP_2)
	v_fmac_f32_e32 v7, s5, v1
	v_max_num_f32_e32 v1, v15, v15
	v_cndmask_b32_e64 v8, 0, v7, s3
	s_delay_alu instid0(VALU_DEP_2)
	v_max_num_f32_e32 v1, v1, v7
	ds_store_b32 v18, v8
	v_cndmask_b32_e64 v15, v15, v1, s3
	v_cmp_le_i32_e64 s3, s17, v19
	v_add_nc_u32_e32 v18, 0x200, v18
	s_or_b32 s33, s3, s33
	s_delay_alu instid0(SALU_CYCLE_1)
	s_and_not1_b32 exec_lo, exec_lo, s33
	s_cbranch_execz .LBB298_264
.LBB298_11:                             ; =>This Inner Loop Header: Depth=1
	global_load_b32 v1, v[3:4], off
	v_mov_b32_e32 v21, 0
	s_mov_b32 s4, exec_lo
	s_wait_loadcnt 0x0
	v_mad_co_i64_i32 v[7:8], null, v1, s25, v[5:6]
	global_load_b64 v[9:10], v[7:8], off
	global_load_b32 v20, v2, s[8:9]
	s_wait_loadcnt 0x1
	v_and_b32_e32 v1, 0xff, v9
	s_delay_alu instid0(VALU_DEP_1)
	v_cmpx_ne_u16_e32 0, v1
	s_cbranch_execz .LBB298_19
; %bb.12:                               ;   in Loop: Header=BB298_11 Depth=1
	v_mov_b32_e32 v21, 0x8000
	s_mov_b32 s34, exec_lo
	v_cmpx_ne_u16_e32 0x80, v1
	s_cbranch_execz .LBB298_18
; %bb.13:                               ;   in Loop: Header=BB298_11 Depth=1
	v_and_b32_e32 v22, 0x7f, v9
	v_mov_b32_e32 v21, 0x7c01
	s_mov_b32 s35, exec_lo
	s_delay_alu instid0(VALU_DEP_2)
	v_cmpx_ne_u32_e32 0x7f, v22
	s_cbranch_execz .LBB298_17
; %bb.14:                               ;   in Loop: Header=BB298_11 Depth=1
	v_and_b32_e32 v1, 7, v9
	v_lshrrev_b32_e32 v21, 3, v22
	s_mov_b32 s36, exec_lo
	v_cmpx_gt_u32_e32 8, v22
; %bb.15:                               ;   in Loop: Header=BB298_11 Depth=1
	s_delay_alu instid0(VALU_DEP_3) | instskip(NEXT) | instid1(VALU_DEP_1)
	v_clz_i32_u32_e32 v1, v1
	v_min_u32_e32 v1, 32, v1
	s_delay_alu instid0(VALU_DEP_1) | instskip(NEXT) | instid1(VALU_DEP_1)
	v_subrev_nc_u32_e32 v21, 28, v1
	v_lshlrev_b64_e32 v[22:23], v21, v[9:10]
	v_sub_nc_u32_e32 v21, 29, v1
	s_delay_alu instid0(VALU_DEP_2)
	v_and_b32_e32 v1, 7, v22
; %bb.16:                               ;   in Loop: Header=BB298_11 Depth=1
	s_or_b32 exec_lo, exec_lo, s36
	v_lshlrev_b32_e32 v22, 8, v9
	s_delay_alu instid0(VALU_DEP_3) | instskip(NEXT) | instid1(VALU_DEP_3)
	v_lshl_add_u32 v21, v21, 10, 0x2000
	v_lshlrev_b32_e32 v1, 7, v1
	s_delay_alu instid0(VALU_DEP_3) | instskip(NEXT) | instid1(VALU_DEP_3)
	v_and_b32_e32 v22, 0x8000, v22
	v_and_b32_e32 v21, 0xfc00, v21
	s_delay_alu instid0(VALU_DEP_1)
	v_or3_b32 v21, v22, v21, v1
.LBB298_17:                             ;   in Loop: Header=BB298_11 Depth=1
	s_wait_alu 0xfffe
	s_or_b32 exec_lo, exec_lo, s35
.LBB298_18:                             ;   in Loop: Header=BB298_11 Depth=1
	s_wait_alu 0xfffe
	s_or_b32 exec_lo, exec_lo, s34
.LBB298_19:                             ;   in Loop: Header=BB298_11 Depth=1
	s_wait_alu 0xfffe
	s_or_b32 exec_lo, exec_lo, s4
	v_lshrrev_b16 v1, 8, v9
	v_dual_mov_b32 v23, 0 :: v_dual_mov_b32 v22, 0
	s_mov_b32 s4, exec_lo
	s_delay_alu instid0(VALU_DEP_2)
	v_cmpx_ne_u16_e32 0, v1
	s_cbranch_execz .LBB298_27
; %bb.20:                               ;   in Loop: Header=BB298_11 Depth=1
	v_bfrev_b32_e32 v22, 1
	s_mov_b32 s34, exec_lo
	v_cmpx_ne_u16_e32 0x80, v1
	s_cbranch_execz .LBB298_26
; %bb.21:                               ;   in Loop: Header=BB298_11 Depth=1
	v_and_b32_e32 v24, 0xffff, v1
	v_mov_b32_e32 v22, 0x7c010000
	s_mov_b32 s35, exec_lo
	s_delay_alu instid0(VALU_DEP_2) | instskip(NEXT) | instid1(VALU_DEP_1)
	v_and_b32_e32 v26, 0x7f, v24
	v_cmpx_ne_u32_e32 0x7f, v26
	s_cbranch_execz .LBB298_25
; %bb.22:                               ;   in Loop: Header=BB298_11 Depth=1
	v_and_b32_e32 v22, 7, v24
	v_lshrrev_b32_e32 v25, 3, v26
	s_mov_b32 s36, exec_lo
	v_cmpx_gt_u32_e32 8, v26
; %bb.23:                               ;   in Loop: Header=BB298_11 Depth=1
	s_delay_alu instid0(VALU_DEP_3) | instskip(NEXT) | instid1(VALU_DEP_1)
	v_clz_i32_u32_e32 v22, v22
	v_min_u32_e32 v22, 32, v22
	s_delay_alu instid0(VALU_DEP_1) | instskip(NEXT) | instid1(VALU_DEP_1)
	v_subrev_nc_u32_e32 v25, 28, v22
	v_lshlrev_b64_e32 v[26:27], v25, v[1:2]
	v_sub_nc_u32_e32 v25, 29, v22
	s_delay_alu instid0(VALU_DEP_2)
	v_and_b32_e32 v22, 7, v26
; %bb.24:                               ;   in Loop: Header=BB298_11 Depth=1
	s_or_b32 exec_lo, exec_lo, s36
	v_lshlrev_b32_e32 v1, 8, v24
	s_delay_alu instid0(VALU_DEP_3) | instskip(NEXT) | instid1(VALU_DEP_3)
	v_lshl_add_u32 v24, v25, 10, 0x2000
	v_lshlrev_b32_e32 v22, 23, v22
	s_delay_alu instid0(VALU_DEP_2) | instskip(NEXT) | instid1(VALU_DEP_1)
	v_and_or_b32 v1, 0x8000, v1, v24
	v_lshl_or_b32 v22, v1, 16, v22
.LBB298_25:                             ;   in Loop: Header=BB298_11 Depth=1
	s_wait_alu 0xfffe
	s_or_b32 exec_lo, exec_lo, s35
.LBB298_26:                             ;   in Loop: Header=BB298_11 Depth=1
	s_wait_alu 0xfffe
	s_or_b32 exec_lo, exec_lo, s34
.LBB298_27:                             ;   in Loop: Header=BB298_11 Depth=1
	s_wait_alu 0xfffe
	s_or_b32 exec_lo, exec_lo, s4
	v_lshrrev_b32_e32 v1, 16, v9
	s_mov_b32 s4, exec_lo
	s_delay_alu instid0(VALU_DEP_1) | instskip(NEXT) | instid1(VALU_DEP_1)
	v_and_b32_e32 v24, 0xff, v1
	v_cmpx_ne_u16_e32 0, v24
	s_cbranch_execz .LBB298_35
; %bb.28:                               ;   in Loop: Header=BB298_11 Depth=1
	v_mov_b32_e32 v23, 0x8000
	s_mov_b32 s34, exec_lo
	v_cmpx_ne_u16_e32 0x80, v24
	s_cbranch_execz .LBB298_34
; %bb.29:                               ;   in Loop: Header=BB298_11 Depth=1
	v_bfe_u32 v25, v9, 16, 7
	v_mov_b32_e32 v23, 0x7c01
	s_mov_b32 s35, exec_lo
	s_delay_alu instid0(VALU_DEP_2)
	v_cmpx_ne_u32_e32 0x7f, v25
	s_cbranch_execz .LBB298_33
; %bb.30:                               ;   in Loop: Header=BB298_11 Depth=1
	v_and_b32_e32 v23, 7, v1
	v_lshrrev_b32_e32 v24, 3, v25
	s_mov_b32 s36, exec_lo
	v_cmpx_gt_u32_e32 8, v25
; %bb.31:                               ;   in Loop: Header=BB298_11 Depth=1
	s_delay_alu instid0(VALU_DEP_3) | instskip(NEXT) | instid1(VALU_DEP_1)
	v_clz_i32_u32_e32 v23, v23
	v_min_u32_e32 v25, 32, v23
	s_delay_alu instid0(VALU_DEP_1) | instskip(NEXT) | instid1(VALU_DEP_1)
	v_subrev_nc_u32_e32 v23, 28, v25
	v_lshlrev_b64_e32 v[23:24], v23, v[1:2]
	v_sub_nc_u32_e32 v24, 29, v25
	s_delay_alu instid0(VALU_DEP_2)
	v_and_b32_e32 v23, 7, v23
; %bb.32:                               ;   in Loop: Header=BB298_11 Depth=1
	s_or_b32 exec_lo, exec_lo, s36
	v_lshlrev_b32_e32 v1, 8, v1
	s_delay_alu instid0(VALU_DEP_3) | instskip(NEXT) | instid1(VALU_DEP_3)
	v_lshl_add_u32 v24, v24, 10, 0x2000
	v_lshlrev_b32_e32 v23, 7, v23
	s_delay_alu instid0(VALU_DEP_3) | instskip(NEXT) | instid1(VALU_DEP_3)
	v_and_b32_e32 v1, 0x8000, v1
	v_and_b32_e32 v24, 0xfc00, v24
	s_delay_alu instid0(VALU_DEP_1)
	v_or3_b32 v23, v1, v24, v23
.LBB298_33:                             ;   in Loop: Header=BB298_11 Depth=1
	s_wait_alu 0xfffe
	s_or_b32 exec_lo, exec_lo, s35
.LBB298_34:                             ;   in Loop: Header=BB298_11 Depth=1
	s_wait_alu 0xfffe
	s_or_b32 exec_lo, exec_lo, s34
.LBB298_35:                             ;   in Loop: Header=BB298_11 Depth=1
	s_wait_alu 0xfffe
	s_or_b32 exec_lo, exec_lo, s4
	v_dual_mov_b32 v24, 0 :: v_dual_mov_b32 v25, 0
	s_mov_b32 s4, exec_lo
	v_cmpx_lt_u32_e32 0xffffff, v9
	s_cbranch_execz .LBB298_43
; %bb.36:                               ;   in Loop: Header=BB298_11 Depth=1
	v_lshrrev_b32_e32 v1, 24, v9
	v_bfrev_b32_e32 v25, 1
	s_mov_b32 s34, exec_lo
	s_delay_alu instid0(VALU_DEP_2)
	v_cmpx_ne_u32_e32 0x80, v1
	s_cbranch_execz .LBB298_42
; %bb.37:                               ;   in Loop: Header=BB298_11 Depth=1
	v_and_b32_e32 v27, 0x7f, v1
	v_mov_b32_e32 v25, 0x7c010000
	s_mov_b32 s35, exec_lo
	s_delay_alu instid0(VALU_DEP_2)
	v_cmpx_ne_u32_e32 0x7f, v27
	s_cbranch_execz .LBB298_41
; %bb.38:                               ;   in Loop: Header=BB298_11 Depth=1
	v_and_b32_e32 v25, 7, v1
	v_lshrrev_b32_e32 v26, 3, v27
	s_mov_b32 s36, exec_lo
	v_cmpx_gt_u32_e32 8, v27
; %bb.39:                               ;   in Loop: Header=BB298_11 Depth=1
	s_delay_alu instid0(VALU_DEP_3) | instskip(NEXT) | instid1(VALU_DEP_1)
	v_clz_i32_u32_e32 v25, v25
	v_min_u32_e32 v27, 32, v25
	s_delay_alu instid0(VALU_DEP_1) | instskip(NEXT) | instid1(VALU_DEP_1)
	v_subrev_nc_u32_e32 v25, 28, v27
	v_lshlrev_b64_e32 v[25:26], v25, v[1:2]
	v_sub_nc_u32_e32 v26, 29, v27
	s_delay_alu instid0(VALU_DEP_2)
	v_and_b32_e32 v25, 7, v25
; %bb.40:                               ;   in Loop: Header=BB298_11 Depth=1
	s_or_b32 exec_lo, exec_lo, s36
	v_lshlrev_b32_e32 v1, 8, v1
	s_delay_alu instid0(VALU_DEP_3) | instskip(NEXT) | instid1(VALU_DEP_3)
	v_lshl_add_u32 v26, v26, 10, 0x2000
	v_lshlrev_b32_e32 v25, 23, v25
	s_delay_alu instid0(VALU_DEP_2) | instskip(NEXT) | instid1(VALU_DEP_1)
	v_and_or_b32 v1, 0x8000, v1, v26
	v_lshl_or_b32 v25, v1, 16, v25
.LBB298_41:                             ;   in Loop: Header=BB298_11 Depth=1
	s_wait_alu 0xfffe
	s_or_b32 exec_lo, exec_lo, s35
.LBB298_42:                             ;   in Loop: Header=BB298_11 Depth=1
	s_wait_alu 0xfffe
	s_or_b32 exec_lo, exec_lo, s34
.LBB298_43:                             ;   in Loop: Header=BB298_11 Depth=1
	s_wait_alu 0xfffe
	s_or_b32 exec_lo, exec_lo, s4
	v_dual_mov_b32 v1, v10 :: v_dual_and_b32 v26, 0xff, v10
	s_mov_b32 s4, exec_lo
	s_delay_alu instid0(VALU_DEP_1)
	v_cmpx_ne_u16_e32 0, v26
	s_cbranch_execz .LBB298_51
; %bb.44:                               ;   in Loop: Header=BB298_11 Depth=1
	v_mov_b32_e32 v24, 0x8000
	s_mov_b32 s34, exec_lo
	v_cmpx_ne_u16_e32 0x80, v26
	s_cbranch_execz .LBB298_50
; %bb.45:                               ;   in Loop: Header=BB298_11 Depth=1
	v_and_b32_e32 v27, 0x7f, v10
	v_mov_b32_e32 v24, 0x7c01
	s_mov_b32 s35, exec_lo
	s_delay_alu instid0(VALU_DEP_2)
	v_cmpx_ne_u32_e32 0x7f, v27
	s_cbranch_execz .LBB298_49
; %bb.46:                               ;   in Loop: Header=BB298_11 Depth=1
	v_and_b32_e32 v24, 7, v10
	v_lshrrev_b32_e32 v26, 3, v27
	s_mov_b32 s36, exec_lo
	v_cmpx_gt_u32_e32 8, v27
; %bb.47:                               ;   in Loop: Header=BB298_11 Depth=1
	s_delay_alu instid0(VALU_DEP_3) | instskip(NEXT) | instid1(VALU_DEP_1)
	v_clz_i32_u32_e32 v24, v24
	v_min_u32_e32 v24, 32, v24
	s_delay_alu instid0(VALU_DEP_1) | instskip(NEXT) | instid1(VALU_DEP_1)
	v_subrev_nc_u32_e32 v26, 28, v24
	v_lshlrev_b64_e32 v[27:28], v26, v[1:2]
	v_sub_nc_u32_e32 v26, 29, v24
	s_delay_alu instid0(VALU_DEP_2)
	v_and_b32_e32 v24, 7, v27
; %bb.48:                               ;   in Loop: Header=BB298_11 Depth=1
	s_or_b32 exec_lo, exec_lo, s36
	v_lshlrev_b32_e32 v27, 8, v10
	s_delay_alu instid0(VALU_DEP_3) | instskip(NEXT) | instid1(VALU_DEP_3)
	v_lshl_add_u32 v26, v26, 10, 0x2000
	v_lshlrev_b32_e32 v24, 7, v24
	s_delay_alu instid0(VALU_DEP_3) | instskip(NEXT) | instid1(VALU_DEP_3)
	v_and_b32_e32 v27, 0x8000, v27
	v_and_b32_e32 v26, 0xfc00, v26
	s_delay_alu instid0(VALU_DEP_1)
	v_or3_b32 v24, v27, v26, v24
.LBB298_49:                             ;   in Loop: Header=BB298_11 Depth=1
	s_wait_alu 0xfffe
	s_or_b32 exec_lo, exec_lo, s35
.LBB298_50:                             ;   in Loop: Header=BB298_11 Depth=1
	s_wait_alu 0xfffe
	s_or_b32 exec_lo, exec_lo, s34
.LBB298_51:                             ;   in Loop: Header=BB298_11 Depth=1
	s_wait_alu 0xfffe
	s_or_b32 exec_lo, exec_lo, s4
	v_lshrrev_b16 v1, 8, v1
	v_dual_mov_b32 v26, 0 :: v_dual_mov_b32 v27, 0
	s_mov_b32 s4, exec_lo
	s_delay_alu instid0(VALU_DEP_2)
	v_cmpx_ne_u16_e32 0, v1
	s_cbranch_execz .LBB298_59
; %bb.52:                               ;   in Loop: Header=BB298_11 Depth=1
	v_bfrev_b32_e32 v27, 1
	s_mov_b32 s34, exec_lo
	v_cmpx_ne_u16_e32 0x80, v1
	s_cbranch_execz .LBB298_58
; %bb.53:                               ;   in Loop: Header=BB298_11 Depth=1
	v_and_b32_e32 v28, 0xffff, v1
	v_mov_b32_e32 v27, 0x7c010000
	s_mov_b32 s35, exec_lo
	s_delay_alu instid0(VALU_DEP_2) | instskip(NEXT) | instid1(VALU_DEP_1)
	v_and_b32_e32 v30, 0x7f, v28
	v_cmpx_ne_u32_e32 0x7f, v30
	s_cbranch_execz .LBB298_57
; %bb.54:                               ;   in Loop: Header=BB298_11 Depth=1
	v_and_b32_e32 v27, 7, v28
	v_lshrrev_b32_e32 v29, 3, v30
	s_mov_b32 s36, exec_lo
	v_cmpx_gt_u32_e32 8, v30
; %bb.55:                               ;   in Loop: Header=BB298_11 Depth=1
	s_delay_alu instid0(VALU_DEP_3) | instskip(NEXT) | instid1(VALU_DEP_1)
	v_clz_i32_u32_e32 v27, v27
	v_min_u32_e32 v27, 32, v27
	s_delay_alu instid0(VALU_DEP_1) | instskip(NEXT) | instid1(VALU_DEP_1)
	v_subrev_nc_u32_e32 v29, 28, v27
	v_lshlrev_b64_e32 v[30:31], v29, v[1:2]
	v_sub_nc_u32_e32 v29, 29, v27
	s_delay_alu instid0(VALU_DEP_2)
	v_and_b32_e32 v27, 7, v30
; %bb.56:                               ;   in Loop: Header=BB298_11 Depth=1
	s_or_b32 exec_lo, exec_lo, s36
	v_lshlrev_b32_e32 v1, 8, v28
	s_delay_alu instid0(VALU_DEP_3) | instskip(NEXT) | instid1(VALU_DEP_3)
	v_lshl_add_u32 v28, v29, 10, 0x2000
	v_lshlrev_b32_e32 v27, 23, v27
	s_delay_alu instid0(VALU_DEP_2) | instskip(NEXT) | instid1(VALU_DEP_1)
	v_and_or_b32 v1, 0x8000, v1, v28
	v_lshl_or_b32 v27, v1, 16, v27
.LBB298_57:                             ;   in Loop: Header=BB298_11 Depth=1
	s_wait_alu 0xfffe
	s_or_b32 exec_lo, exec_lo, s35
.LBB298_58:                             ;   in Loop: Header=BB298_11 Depth=1
	s_wait_alu 0xfffe
	s_or_b32 exec_lo, exec_lo, s34
.LBB298_59:                             ;   in Loop: Header=BB298_11 Depth=1
	s_wait_alu 0xfffe
	s_or_b32 exec_lo, exec_lo, s4
	v_lshrrev_b32_e32 v1, 16, v10
	s_mov_b32 s4, exec_lo
	s_delay_alu instid0(VALU_DEP_1) | instskip(NEXT) | instid1(VALU_DEP_1)
	v_and_b32_e32 v28, 0xff, v1
	v_cmpx_ne_u16_e32 0, v28
	s_cbranch_execz .LBB298_67
; %bb.60:                               ;   in Loop: Header=BB298_11 Depth=1
	v_mov_b32_e32 v26, 0x8000
	s_mov_b32 s34, exec_lo
	v_cmpx_ne_u16_e32 0x80, v28
	s_cbranch_execz .LBB298_66
; %bb.61:                               ;   in Loop: Header=BB298_11 Depth=1
	v_bfe_u32 v29, v10, 16, 7
	v_mov_b32_e32 v26, 0x7c01
	s_mov_b32 s35, exec_lo
	s_delay_alu instid0(VALU_DEP_2)
	v_cmpx_ne_u32_e32 0x7f, v29
	s_cbranch_execz .LBB298_65
; %bb.62:                               ;   in Loop: Header=BB298_11 Depth=1
	v_and_b32_e32 v26, 7, v1
	v_lshrrev_b32_e32 v28, 3, v29
	s_mov_b32 s36, exec_lo
	v_cmpx_gt_u32_e32 8, v29
; %bb.63:                               ;   in Loop: Header=BB298_11 Depth=1
	s_delay_alu instid0(VALU_DEP_3) | instskip(NEXT) | instid1(VALU_DEP_1)
	v_clz_i32_u32_e32 v26, v26
	v_min_u32_e32 v26, 32, v26
	s_delay_alu instid0(VALU_DEP_1) | instskip(NEXT) | instid1(VALU_DEP_1)
	v_subrev_nc_u32_e32 v28, 28, v26
	v_lshlrev_b64_e32 v[29:30], v28, v[1:2]
	v_sub_nc_u32_e32 v28, 29, v26
	s_delay_alu instid0(VALU_DEP_2)
	v_and_b32_e32 v26, 7, v29
; %bb.64:                               ;   in Loop: Header=BB298_11 Depth=1
	s_or_b32 exec_lo, exec_lo, s36
	v_lshlrev_b32_e32 v1, 8, v1
	s_delay_alu instid0(VALU_DEP_3) | instskip(NEXT) | instid1(VALU_DEP_3)
	v_lshl_add_u32 v28, v28, 10, 0x2000
	v_lshlrev_b32_e32 v26, 7, v26
	s_delay_alu instid0(VALU_DEP_3) | instskip(NEXT) | instid1(VALU_DEP_3)
	v_and_b32_e32 v1, 0x8000, v1
	v_and_b32_e32 v28, 0xfc00, v28
	s_delay_alu instid0(VALU_DEP_1)
	v_or3_b32 v26, v1, v28, v26
.LBB298_65:                             ;   in Loop: Header=BB298_11 Depth=1
	s_wait_alu 0xfffe
	s_or_b32 exec_lo, exec_lo, s35
.LBB298_66:                             ;   in Loop: Header=BB298_11 Depth=1
	s_wait_alu 0xfffe
	s_or_b32 exec_lo, exec_lo, s34
.LBB298_67:                             ;   in Loop: Header=BB298_11 Depth=1
	s_wait_alu 0xfffe
	s_or_b32 exec_lo, exec_lo, s4
	v_dual_mov_b32 v28, 0 :: v_dual_mov_b32 v29, 0
	s_mov_b32 s4, exec_lo
	v_cmpx_lt_u64_e64 s[6:7], v[9:10]
	s_cbranch_execz .LBB298_75
; %bb.68:                               ;   in Loop: Header=BB298_11 Depth=1
	v_lshrrev_b32_e32 v1, 24, v10
	v_bfrev_b32_e32 v29, 1
	s_mov_b32 s34, exec_lo
	s_delay_alu instid0(VALU_DEP_2)
	v_cmpx_ne_u32_e32 0x80, v1
	s_cbranch_execz .LBB298_74
; %bb.69:                               ;   in Loop: Header=BB298_11 Depth=1
	v_and_b32_e32 v30, 0x7f, v1
	v_mov_b32_e32 v29, 0x7c010000
	s_mov_b32 s35, exec_lo
	s_delay_alu instid0(VALU_DEP_2)
	v_cmpx_ne_u32_e32 0x7f, v30
	s_cbranch_execz .LBB298_73
; %bb.70:                               ;   in Loop: Header=BB298_11 Depth=1
	v_and_b32_e32 v9, 7, v1
	v_lshrrev_b32_e32 v10, 3, v30
	s_mov_b32 s36, exec_lo
	v_cmpx_gt_u32_e32 8, v30
; %bb.71:                               ;   in Loop: Header=BB298_11 Depth=1
	s_delay_alu instid0(VALU_DEP_3) | instskip(NEXT) | instid1(VALU_DEP_1)
	v_clz_i32_u32_e32 v9, v9
	v_min_u32_e32 v29, 32, v9
	s_delay_alu instid0(VALU_DEP_1) | instskip(NEXT) | instid1(VALU_DEP_1)
	v_subrev_nc_u32_e32 v9, 28, v29
	v_lshlrev_b64_e32 v[9:10], v9, v[1:2]
	v_sub_nc_u32_e32 v10, 29, v29
	s_delay_alu instid0(VALU_DEP_2)
	v_and_b32_e32 v9, 7, v9
; %bb.72:                               ;   in Loop: Header=BB298_11 Depth=1
	s_or_b32 exec_lo, exec_lo, s36
	v_lshlrev_b32_e32 v1, 8, v1
	s_delay_alu instid0(VALU_DEP_3) | instskip(NEXT) | instid1(VALU_DEP_3)
	v_lshl_add_u32 v10, v10, 10, 0x2000
	v_lshlrev_b32_e32 v9, 23, v9
	s_delay_alu instid0(VALU_DEP_2) | instskip(NEXT) | instid1(VALU_DEP_1)
	v_and_or_b32 v1, 0x8000, v1, v10
	v_lshl_or_b32 v29, v1, 16, v9
.LBB298_73:                             ;   in Loop: Header=BB298_11 Depth=1
	s_wait_alu 0xfffe
	s_or_b32 exec_lo, exec_lo, s35
.LBB298_74:                             ;   in Loop: Header=BB298_11 Depth=1
	s_wait_alu 0xfffe
	s_or_b32 exec_lo, exec_lo, s34
.LBB298_75:                             ;   in Loop: Header=BB298_11 Depth=1
	s_wait_alu 0xfffe
	s_or_b32 exec_lo, exec_lo, s4
	global_load_b64 v[9:10], v[7:8], off offset:8
	s_mov_b32 s4, exec_lo
	s_wait_loadcnt 0x0
	v_and_b32_e32 v1, 0xff, v9
	s_delay_alu instid0(VALU_DEP_1)
	v_cmpx_ne_u16_e32 0, v1
	s_cbranch_execz .LBB298_83
; %bb.76:                               ;   in Loop: Header=BB298_11 Depth=1
	v_mov_b32_e32 v28, 0x8000
	s_mov_b32 s34, exec_lo
	v_cmpx_ne_u16_e32 0x80, v1
	s_cbranch_execz .LBB298_82
; %bb.77:                               ;   in Loop: Header=BB298_11 Depth=1
	v_and_b32_e32 v30, 0x7f, v9
	v_mov_b32_e32 v28, 0x7c01
	s_mov_b32 s35, exec_lo
	s_delay_alu instid0(VALU_DEP_2)
	v_cmpx_ne_u32_e32 0x7f, v30
	s_cbranch_execz .LBB298_81
; %bb.78:                               ;   in Loop: Header=BB298_11 Depth=1
	v_and_b32_e32 v1, 7, v9
	v_lshrrev_b32_e32 v28, 3, v30
	s_mov_b32 s36, exec_lo
	v_cmpx_gt_u32_e32 8, v30
; %bb.79:                               ;   in Loop: Header=BB298_11 Depth=1
	s_delay_alu instid0(VALU_DEP_3) | instskip(NEXT) | instid1(VALU_DEP_1)
	v_clz_i32_u32_e32 v1, v1
	v_min_u32_e32 v1, 32, v1
	s_delay_alu instid0(VALU_DEP_1) | instskip(NEXT) | instid1(VALU_DEP_1)
	v_subrev_nc_u32_e32 v28, 28, v1
	v_lshlrev_b64_e32 v[30:31], v28, v[9:10]
	v_sub_nc_u32_e32 v28, 29, v1
	s_delay_alu instid0(VALU_DEP_2)
	v_and_b32_e32 v1, 7, v30
; %bb.80:                               ;   in Loop: Header=BB298_11 Depth=1
	s_or_b32 exec_lo, exec_lo, s36
	v_lshlrev_b32_e32 v30, 8, v9
	s_delay_alu instid0(VALU_DEP_3) | instskip(NEXT) | instid1(VALU_DEP_3)
	v_lshl_add_u32 v28, v28, 10, 0x2000
	v_lshlrev_b32_e32 v1, 7, v1
	s_delay_alu instid0(VALU_DEP_3) | instskip(NEXT) | instid1(VALU_DEP_3)
	v_and_b32_e32 v30, 0x8000, v30
	v_and_b32_e32 v28, 0xfc00, v28
	s_delay_alu instid0(VALU_DEP_1)
	v_or3_b32 v28, v30, v28, v1
.LBB298_81:                             ;   in Loop: Header=BB298_11 Depth=1
	s_wait_alu 0xfffe
	s_or_b32 exec_lo, exec_lo, s35
.LBB298_82:                             ;   in Loop: Header=BB298_11 Depth=1
	s_wait_alu 0xfffe
	s_or_b32 exec_lo, exec_lo, s34
.LBB298_83:                             ;   in Loop: Header=BB298_11 Depth=1
	s_wait_alu 0xfffe
	s_or_b32 exec_lo, exec_lo, s4
	v_lshrrev_b16 v1, 8, v9
	v_dual_mov_b32 v31, 0 :: v_dual_mov_b32 v30, 0
	s_mov_b32 s4, exec_lo
	s_delay_alu instid0(VALU_DEP_2)
	v_cmpx_ne_u16_e32 0, v1
	s_cbranch_execz .LBB298_91
; %bb.84:                               ;   in Loop: Header=BB298_11 Depth=1
	v_bfrev_b32_e32 v30, 1
	s_mov_b32 s34, exec_lo
	v_cmpx_ne_u16_e32 0x80, v1
	s_cbranch_execz .LBB298_90
; %bb.85:                               ;   in Loop: Header=BB298_11 Depth=1
	v_and_b32_e32 v32, 0xffff, v1
	v_mov_b32_e32 v30, 0x7c010000
	s_mov_b32 s35, exec_lo
	s_delay_alu instid0(VALU_DEP_2) | instskip(NEXT) | instid1(VALU_DEP_1)
	v_and_b32_e32 v34, 0x7f, v32
	v_cmpx_ne_u32_e32 0x7f, v34
	s_cbranch_execz .LBB298_89
; %bb.86:                               ;   in Loop: Header=BB298_11 Depth=1
	v_and_b32_e32 v30, 7, v32
	v_lshrrev_b32_e32 v33, 3, v34
	s_mov_b32 s36, exec_lo
	v_cmpx_gt_u32_e32 8, v34
; %bb.87:                               ;   in Loop: Header=BB298_11 Depth=1
	s_delay_alu instid0(VALU_DEP_3) | instskip(NEXT) | instid1(VALU_DEP_1)
	v_clz_i32_u32_e32 v30, v30
	v_min_u32_e32 v30, 32, v30
	s_delay_alu instid0(VALU_DEP_1) | instskip(NEXT) | instid1(VALU_DEP_1)
	v_subrev_nc_u32_e32 v33, 28, v30
	v_lshlrev_b64_e32 v[34:35], v33, v[1:2]
	v_sub_nc_u32_e32 v33, 29, v30
	s_delay_alu instid0(VALU_DEP_2)
	v_and_b32_e32 v30, 7, v34
; %bb.88:                               ;   in Loop: Header=BB298_11 Depth=1
	s_or_b32 exec_lo, exec_lo, s36
	v_lshlrev_b32_e32 v1, 8, v32
	s_delay_alu instid0(VALU_DEP_3) | instskip(NEXT) | instid1(VALU_DEP_3)
	v_lshl_add_u32 v32, v33, 10, 0x2000
	v_lshlrev_b32_e32 v30, 23, v30
	s_delay_alu instid0(VALU_DEP_2) | instskip(NEXT) | instid1(VALU_DEP_1)
	v_and_or_b32 v1, 0x8000, v1, v32
	v_lshl_or_b32 v30, v1, 16, v30
.LBB298_89:                             ;   in Loop: Header=BB298_11 Depth=1
	s_wait_alu 0xfffe
	s_or_b32 exec_lo, exec_lo, s35
.LBB298_90:                             ;   in Loop: Header=BB298_11 Depth=1
	s_wait_alu 0xfffe
	s_or_b32 exec_lo, exec_lo, s34
.LBB298_91:                             ;   in Loop: Header=BB298_11 Depth=1
	s_wait_alu 0xfffe
	s_or_b32 exec_lo, exec_lo, s4
	v_lshrrev_b32_e32 v1, 16, v9
	s_mov_b32 s4, exec_lo
	s_delay_alu instid0(VALU_DEP_1) | instskip(NEXT) | instid1(VALU_DEP_1)
	v_and_b32_e32 v32, 0xff, v1
	v_cmpx_ne_u16_e32 0, v32
	s_cbranch_execz .LBB298_99
; %bb.92:                               ;   in Loop: Header=BB298_11 Depth=1
	v_mov_b32_e32 v31, 0x8000
	s_mov_b32 s34, exec_lo
	v_cmpx_ne_u16_e32 0x80, v32
	s_cbranch_execz .LBB298_98
; %bb.93:                               ;   in Loop: Header=BB298_11 Depth=1
	v_bfe_u32 v33, v9, 16, 7
	v_mov_b32_e32 v31, 0x7c01
	s_mov_b32 s35, exec_lo
	s_delay_alu instid0(VALU_DEP_2)
	v_cmpx_ne_u32_e32 0x7f, v33
	s_cbranch_execz .LBB298_97
; %bb.94:                               ;   in Loop: Header=BB298_11 Depth=1
	v_and_b32_e32 v31, 7, v1
	v_lshrrev_b32_e32 v32, 3, v33
	s_mov_b32 s36, exec_lo
	v_cmpx_gt_u32_e32 8, v33
; %bb.95:                               ;   in Loop: Header=BB298_11 Depth=1
	s_delay_alu instid0(VALU_DEP_3) | instskip(NEXT) | instid1(VALU_DEP_1)
	v_clz_i32_u32_e32 v31, v31
	v_min_u32_e32 v33, 32, v31
	s_delay_alu instid0(VALU_DEP_1) | instskip(NEXT) | instid1(VALU_DEP_1)
	v_subrev_nc_u32_e32 v31, 28, v33
	v_lshlrev_b64_e32 v[31:32], v31, v[1:2]
	v_sub_nc_u32_e32 v32, 29, v33
	s_delay_alu instid0(VALU_DEP_2)
	v_and_b32_e32 v31, 7, v31
; %bb.96:                               ;   in Loop: Header=BB298_11 Depth=1
	s_or_b32 exec_lo, exec_lo, s36
	v_lshlrev_b32_e32 v1, 8, v1
	s_delay_alu instid0(VALU_DEP_3) | instskip(NEXT) | instid1(VALU_DEP_3)
	v_lshl_add_u32 v32, v32, 10, 0x2000
	v_lshlrev_b32_e32 v31, 7, v31
	s_delay_alu instid0(VALU_DEP_3) | instskip(NEXT) | instid1(VALU_DEP_3)
	v_and_b32_e32 v1, 0x8000, v1
	v_and_b32_e32 v32, 0xfc00, v32
	s_delay_alu instid0(VALU_DEP_1)
	v_or3_b32 v31, v1, v32, v31
.LBB298_97:                             ;   in Loop: Header=BB298_11 Depth=1
	s_wait_alu 0xfffe
	s_or_b32 exec_lo, exec_lo, s35
.LBB298_98:                             ;   in Loop: Header=BB298_11 Depth=1
	s_wait_alu 0xfffe
	s_or_b32 exec_lo, exec_lo, s34
.LBB298_99:                             ;   in Loop: Header=BB298_11 Depth=1
	s_wait_alu 0xfffe
	s_or_b32 exec_lo, exec_lo, s4
	v_dual_mov_b32 v32, 0 :: v_dual_mov_b32 v33, 0
	s_mov_b32 s4, exec_lo
	v_cmpx_lt_u32_e32 0xffffff, v9
	s_cbranch_execz .LBB298_107
; %bb.100:                              ;   in Loop: Header=BB298_11 Depth=1
	v_lshrrev_b32_e32 v1, 24, v9
	v_bfrev_b32_e32 v33, 1
	s_mov_b32 s34, exec_lo
	s_delay_alu instid0(VALU_DEP_2)
	v_cmpx_ne_u32_e32 0x80, v1
	s_cbranch_execz .LBB298_106
; %bb.101:                              ;   in Loop: Header=BB298_11 Depth=1
	v_and_b32_e32 v35, 0x7f, v1
	v_mov_b32_e32 v33, 0x7c010000
	s_mov_b32 s35, exec_lo
	s_delay_alu instid0(VALU_DEP_2)
	v_cmpx_ne_u32_e32 0x7f, v35
	s_cbranch_execz .LBB298_105
; %bb.102:                              ;   in Loop: Header=BB298_11 Depth=1
	v_and_b32_e32 v33, 7, v1
	v_lshrrev_b32_e32 v34, 3, v35
	s_mov_b32 s36, exec_lo
	v_cmpx_gt_u32_e32 8, v35
; %bb.103:                              ;   in Loop: Header=BB298_11 Depth=1
	s_delay_alu instid0(VALU_DEP_3) | instskip(NEXT) | instid1(VALU_DEP_1)
	v_clz_i32_u32_e32 v33, v33
	v_min_u32_e32 v35, 32, v33
	s_delay_alu instid0(VALU_DEP_1) | instskip(NEXT) | instid1(VALU_DEP_1)
	v_subrev_nc_u32_e32 v33, 28, v35
	v_lshlrev_b64_e32 v[33:34], v33, v[1:2]
	v_sub_nc_u32_e32 v34, 29, v35
	s_delay_alu instid0(VALU_DEP_2)
	v_and_b32_e32 v33, 7, v33
; %bb.104:                              ;   in Loop: Header=BB298_11 Depth=1
	s_or_b32 exec_lo, exec_lo, s36
	v_lshlrev_b32_e32 v1, 8, v1
	s_delay_alu instid0(VALU_DEP_3) | instskip(NEXT) | instid1(VALU_DEP_3)
	v_lshl_add_u32 v34, v34, 10, 0x2000
	v_lshlrev_b32_e32 v33, 23, v33
	s_delay_alu instid0(VALU_DEP_2) | instskip(NEXT) | instid1(VALU_DEP_1)
	v_and_or_b32 v1, 0x8000, v1, v34
	v_lshl_or_b32 v33, v1, 16, v33
.LBB298_105:                            ;   in Loop: Header=BB298_11 Depth=1
	s_wait_alu 0xfffe
	s_or_b32 exec_lo, exec_lo, s35
.LBB298_106:                            ;   in Loop: Header=BB298_11 Depth=1
	s_wait_alu 0xfffe
	s_or_b32 exec_lo, exec_lo, s34
.LBB298_107:                            ;   in Loop: Header=BB298_11 Depth=1
	s_wait_alu 0xfffe
	s_or_b32 exec_lo, exec_lo, s4
	v_dual_mov_b32 v1, v10 :: v_dual_and_b32 v34, 0xff, v10
	s_mov_b32 s4, exec_lo
	s_delay_alu instid0(VALU_DEP_1)
	v_cmpx_ne_u16_e32 0, v34
	s_cbranch_execz .LBB298_115
; %bb.108:                              ;   in Loop: Header=BB298_11 Depth=1
	v_mov_b32_e32 v32, 0x8000
	s_mov_b32 s34, exec_lo
	v_cmpx_ne_u16_e32 0x80, v34
	s_cbranch_execz .LBB298_114
; %bb.109:                              ;   in Loop: Header=BB298_11 Depth=1
	v_and_b32_e32 v35, 0x7f, v10
	v_mov_b32_e32 v32, 0x7c01
	s_mov_b32 s35, exec_lo
	s_delay_alu instid0(VALU_DEP_2)
	v_cmpx_ne_u32_e32 0x7f, v35
	s_cbranch_execz .LBB298_113
; %bb.110:                              ;   in Loop: Header=BB298_11 Depth=1
	v_and_b32_e32 v32, 7, v10
	v_lshrrev_b32_e32 v34, 3, v35
	s_mov_b32 s36, exec_lo
	v_cmpx_gt_u32_e32 8, v35
; %bb.111:                              ;   in Loop: Header=BB298_11 Depth=1
	s_delay_alu instid0(VALU_DEP_3) | instskip(NEXT) | instid1(VALU_DEP_1)
	v_clz_i32_u32_e32 v32, v32
	v_min_u32_e32 v32, 32, v32
	s_delay_alu instid0(VALU_DEP_1) | instskip(NEXT) | instid1(VALU_DEP_1)
	v_subrev_nc_u32_e32 v34, 28, v32
	v_lshlrev_b64_e32 v[35:36], v34, v[1:2]
	v_sub_nc_u32_e32 v34, 29, v32
	s_delay_alu instid0(VALU_DEP_2)
	v_and_b32_e32 v32, 7, v35
; %bb.112:                              ;   in Loop: Header=BB298_11 Depth=1
	s_or_b32 exec_lo, exec_lo, s36
	v_lshlrev_b32_e32 v35, 8, v10
	s_delay_alu instid0(VALU_DEP_3) | instskip(NEXT) | instid1(VALU_DEP_3)
	v_lshl_add_u32 v34, v34, 10, 0x2000
	v_lshlrev_b32_e32 v32, 7, v32
	s_delay_alu instid0(VALU_DEP_3) | instskip(NEXT) | instid1(VALU_DEP_3)
	v_and_b32_e32 v35, 0x8000, v35
	v_and_b32_e32 v34, 0xfc00, v34
	s_delay_alu instid0(VALU_DEP_1)
	v_or3_b32 v32, v35, v34, v32
.LBB298_113:                            ;   in Loop: Header=BB298_11 Depth=1
	s_wait_alu 0xfffe
	s_or_b32 exec_lo, exec_lo, s35
.LBB298_114:                            ;   in Loop: Header=BB298_11 Depth=1
	s_wait_alu 0xfffe
	s_or_b32 exec_lo, exec_lo, s34
.LBB298_115:                            ;   in Loop: Header=BB298_11 Depth=1
	s_wait_alu 0xfffe
	s_or_b32 exec_lo, exec_lo, s4
	v_lshrrev_b16 v1, 8, v1
	v_dual_mov_b32 v35, 0 :: v_dual_mov_b32 v34, 0
	s_mov_b32 s4, exec_lo
	s_delay_alu instid0(VALU_DEP_2)
	v_cmpx_ne_u16_e32 0, v1
	s_cbranch_execz .LBB298_123
; %bb.116:                              ;   in Loop: Header=BB298_11 Depth=1
	v_bfrev_b32_e32 v34, 1
	s_mov_b32 s34, exec_lo
	v_cmpx_ne_u16_e32 0x80, v1
	s_cbranch_execz .LBB298_122
; %bb.117:                              ;   in Loop: Header=BB298_11 Depth=1
	v_and_b32_e32 v36, 0xffff, v1
	v_mov_b32_e32 v34, 0x7c010000
	s_mov_b32 s35, exec_lo
	s_delay_alu instid0(VALU_DEP_2) | instskip(NEXT) | instid1(VALU_DEP_1)
	v_and_b32_e32 v38, 0x7f, v36
	v_cmpx_ne_u32_e32 0x7f, v38
	s_cbranch_execz .LBB298_121
; %bb.118:                              ;   in Loop: Header=BB298_11 Depth=1
	v_and_b32_e32 v34, 7, v36
	v_lshrrev_b32_e32 v37, 3, v38
	s_mov_b32 s36, exec_lo
	v_cmpx_gt_u32_e32 8, v38
; %bb.119:                              ;   in Loop: Header=BB298_11 Depth=1
	s_delay_alu instid0(VALU_DEP_3) | instskip(NEXT) | instid1(VALU_DEP_1)
	v_clz_i32_u32_e32 v34, v34
	v_min_u32_e32 v34, 32, v34
	s_delay_alu instid0(VALU_DEP_1) | instskip(NEXT) | instid1(VALU_DEP_1)
	v_subrev_nc_u32_e32 v37, 28, v34
	v_lshlrev_b64_e32 v[38:39], v37, v[1:2]
	v_sub_nc_u32_e32 v37, 29, v34
	s_delay_alu instid0(VALU_DEP_2)
	v_and_b32_e32 v34, 7, v38
; %bb.120:                              ;   in Loop: Header=BB298_11 Depth=1
	s_or_b32 exec_lo, exec_lo, s36
	v_lshlrev_b32_e32 v1, 8, v36
	s_delay_alu instid0(VALU_DEP_3) | instskip(NEXT) | instid1(VALU_DEP_3)
	v_lshl_add_u32 v36, v37, 10, 0x2000
	v_lshlrev_b32_e32 v34, 23, v34
	s_delay_alu instid0(VALU_DEP_2) | instskip(NEXT) | instid1(VALU_DEP_1)
	v_and_or_b32 v1, 0x8000, v1, v36
	v_lshl_or_b32 v34, v1, 16, v34
.LBB298_121:                            ;   in Loop: Header=BB298_11 Depth=1
	s_wait_alu 0xfffe
	s_or_b32 exec_lo, exec_lo, s35
.LBB298_122:                            ;   in Loop: Header=BB298_11 Depth=1
	s_wait_alu 0xfffe
	s_or_b32 exec_lo, exec_lo, s34
.LBB298_123:                            ;   in Loop: Header=BB298_11 Depth=1
	s_wait_alu 0xfffe
	s_or_b32 exec_lo, exec_lo, s4
	v_lshrrev_b32_e32 v1, 16, v10
	s_mov_b32 s4, exec_lo
	s_delay_alu instid0(VALU_DEP_1) | instskip(NEXT) | instid1(VALU_DEP_1)
	v_and_b32_e32 v36, 0xff, v1
	v_cmpx_ne_u16_e32 0, v36
	s_cbranch_execz .LBB298_131
; %bb.124:                              ;   in Loop: Header=BB298_11 Depth=1
	v_mov_b32_e32 v35, 0x8000
	s_mov_b32 s34, exec_lo
	v_cmpx_ne_u16_e32 0x80, v36
	s_cbranch_execz .LBB298_130
; %bb.125:                              ;   in Loop: Header=BB298_11 Depth=1
	v_bfe_u32 v37, v10, 16, 7
	v_mov_b32_e32 v35, 0x7c01
	s_mov_b32 s35, exec_lo
	s_delay_alu instid0(VALU_DEP_2)
	v_cmpx_ne_u32_e32 0x7f, v37
	s_cbranch_execz .LBB298_129
; %bb.126:                              ;   in Loop: Header=BB298_11 Depth=1
	v_and_b32_e32 v35, 7, v1
	v_lshrrev_b32_e32 v36, 3, v37
	s_mov_b32 s36, exec_lo
	v_cmpx_gt_u32_e32 8, v37
; %bb.127:                              ;   in Loop: Header=BB298_11 Depth=1
	s_delay_alu instid0(VALU_DEP_3) | instskip(NEXT) | instid1(VALU_DEP_1)
	v_clz_i32_u32_e32 v35, v35
	v_min_u32_e32 v37, 32, v35
	s_delay_alu instid0(VALU_DEP_1) | instskip(NEXT) | instid1(VALU_DEP_1)
	v_subrev_nc_u32_e32 v35, 28, v37
	v_lshlrev_b64_e32 v[35:36], v35, v[1:2]
	v_sub_nc_u32_e32 v36, 29, v37
	s_delay_alu instid0(VALU_DEP_2)
	v_and_b32_e32 v35, 7, v35
; %bb.128:                              ;   in Loop: Header=BB298_11 Depth=1
	s_or_b32 exec_lo, exec_lo, s36
	v_lshlrev_b32_e32 v1, 8, v1
	s_delay_alu instid0(VALU_DEP_3) | instskip(NEXT) | instid1(VALU_DEP_3)
	v_lshl_add_u32 v36, v36, 10, 0x2000
	v_lshlrev_b32_e32 v35, 7, v35
	s_delay_alu instid0(VALU_DEP_3) | instskip(NEXT) | instid1(VALU_DEP_3)
	v_and_b32_e32 v1, 0x8000, v1
	v_and_b32_e32 v36, 0xfc00, v36
	s_delay_alu instid0(VALU_DEP_1)
	v_or3_b32 v35, v1, v36, v35
.LBB298_129:                            ;   in Loop: Header=BB298_11 Depth=1
	s_wait_alu 0xfffe
	s_or_b32 exec_lo, exec_lo, s35
.LBB298_130:                            ;   in Loop: Header=BB298_11 Depth=1
	s_wait_alu 0xfffe
	s_or_b32 exec_lo, exec_lo, s34
.LBB298_131:                            ;   in Loop: Header=BB298_11 Depth=1
	s_wait_alu 0xfffe
	s_or_b32 exec_lo, exec_lo, s4
	v_dual_mov_b32 v37, 0 :: v_dual_mov_b32 v36, 0
	s_mov_b32 s4, exec_lo
	v_cmpx_lt_u64_e64 s[6:7], v[9:10]
	s_cbranch_execz .LBB298_139
; %bb.132:                              ;   in Loop: Header=BB298_11 Depth=1
	v_lshrrev_b32_e32 v1, 24, v10
	v_bfrev_b32_e32 v36, 1
	s_mov_b32 s34, exec_lo
	s_delay_alu instid0(VALU_DEP_2)
	v_cmpx_ne_u32_e32 0x80, v1
	s_cbranch_execz .LBB298_138
; %bb.133:                              ;   in Loop: Header=BB298_11 Depth=1
	v_and_b32_e32 v38, 0x7f, v1
	v_mov_b32_e32 v36, 0x7c010000
	s_mov_b32 s35, exec_lo
	s_delay_alu instid0(VALU_DEP_2)
	v_cmpx_ne_u32_e32 0x7f, v38
	s_cbranch_execz .LBB298_137
; %bb.134:                              ;   in Loop: Header=BB298_11 Depth=1
	v_and_b32_e32 v9, 7, v1
	v_lshrrev_b32_e32 v10, 3, v38
	s_mov_b32 s36, exec_lo
	v_cmpx_gt_u32_e32 8, v38
; %bb.135:                              ;   in Loop: Header=BB298_11 Depth=1
	s_delay_alu instid0(VALU_DEP_3) | instskip(NEXT) | instid1(VALU_DEP_1)
	v_clz_i32_u32_e32 v9, v9
	v_min_u32_e32 v36, 32, v9
	s_delay_alu instid0(VALU_DEP_1) | instskip(NEXT) | instid1(VALU_DEP_1)
	v_subrev_nc_u32_e32 v9, 28, v36
	v_lshlrev_b64_e32 v[9:10], v9, v[1:2]
	v_sub_nc_u32_e32 v10, 29, v36
	s_delay_alu instid0(VALU_DEP_2)
	v_and_b32_e32 v9, 7, v9
; %bb.136:                              ;   in Loop: Header=BB298_11 Depth=1
	s_or_b32 exec_lo, exec_lo, s36
	v_lshlrev_b32_e32 v1, 8, v1
	s_delay_alu instid0(VALU_DEP_3) | instskip(NEXT) | instid1(VALU_DEP_3)
	v_lshl_add_u32 v10, v10, 10, 0x2000
	v_lshlrev_b32_e32 v9, 23, v9
	s_delay_alu instid0(VALU_DEP_2) | instskip(NEXT) | instid1(VALU_DEP_1)
	v_and_or_b32 v1, 0x8000, v1, v10
	v_lshl_or_b32 v36, v1, 16, v9
.LBB298_137:                            ;   in Loop: Header=BB298_11 Depth=1
	s_wait_alu 0xfffe
	s_or_b32 exec_lo, exec_lo, s35
.LBB298_138:                            ;   in Loop: Header=BB298_11 Depth=1
	s_wait_alu 0xfffe
	s_or_b32 exec_lo, exec_lo, s34
.LBB298_139:                            ;   in Loop: Header=BB298_11 Depth=1
	s_wait_alu 0xfffe
	s_or_b32 exec_lo, exec_lo, s4
	global_load_b64 v[9:10], v[7:8], off offset:512
	s_mov_b32 s4, exec_lo
	s_wait_loadcnt 0x0
	v_and_b32_e32 v1, 0xff, v9
	s_delay_alu instid0(VALU_DEP_1)
	v_cmpx_ne_u16_e32 0, v1
	s_cbranch_execz .LBB298_147
; %bb.140:                              ;   in Loop: Header=BB298_11 Depth=1
	v_mov_b32_e32 v37, 0x8000
	s_mov_b32 s34, exec_lo
	v_cmpx_ne_u16_e32 0x80, v1
	s_cbranch_execz .LBB298_146
; %bb.141:                              ;   in Loop: Header=BB298_11 Depth=1
	v_and_b32_e32 v38, 0x7f, v9
	v_mov_b32_e32 v37, 0x7c01
	s_mov_b32 s35, exec_lo
	s_delay_alu instid0(VALU_DEP_2)
	v_cmpx_ne_u32_e32 0x7f, v38
	s_cbranch_execz .LBB298_145
; %bb.142:                              ;   in Loop: Header=BB298_11 Depth=1
	v_and_b32_e32 v1, 7, v9
	v_lshrrev_b32_e32 v37, 3, v38
	s_mov_b32 s36, exec_lo
	v_cmpx_gt_u32_e32 8, v38
; %bb.143:                              ;   in Loop: Header=BB298_11 Depth=1
	s_delay_alu instid0(VALU_DEP_3) | instskip(NEXT) | instid1(VALU_DEP_1)
	v_clz_i32_u32_e32 v1, v1
	v_min_u32_e32 v1, 32, v1
	s_delay_alu instid0(VALU_DEP_1) | instskip(NEXT) | instid1(VALU_DEP_1)
	v_subrev_nc_u32_e32 v37, 28, v1
	v_lshlrev_b64_e32 v[38:39], v37, v[9:10]
	v_sub_nc_u32_e32 v37, 29, v1
	s_delay_alu instid0(VALU_DEP_2)
	v_and_b32_e32 v1, 7, v38
; %bb.144:                              ;   in Loop: Header=BB298_11 Depth=1
	s_or_b32 exec_lo, exec_lo, s36
	v_lshlrev_b32_e32 v38, 8, v9
	s_delay_alu instid0(VALU_DEP_3) | instskip(NEXT) | instid1(VALU_DEP_3)
	v_lshl_add_u32 v37, v37, 10, 0x2000
	v_lshlrev_b32_e32 v1, 7, v1
	s_delay_alu instid0(VALU_DEP_3) | instskip(NEXT) | instid1(VALU_DEP_3)
	v_and_b32_e32 v38, 0x8000, v38
	v_and_b32_e32 v37, 0xfc00, v37
	s_delay_alu instid0(VALU_DEP_1)
	v_or3_b32 v37, v38, v37, v1
.LBB298_145:                            ;   in Loop: Header=BB298_11 Depth=1
	s_wait_alu 0xfffe
	s_or_b32 exec_lo, exec_lo, s35
.LBB298_146:                            ;   in Loop: Header=BB298_11 Depth=1
	s_wait_alu 0xfffe
	s_or_b32 exec_lo, exec_lo, s34
.LBB298_147:                            ;   in Loop: Header=BB298_11 Depth=1
	s_wait_alu 0xfffe
	s_or_b32 exec_lo, exec_lo, s4
	v_lshrrev_b16 v1, 8, v9
	v_dual_mov_b32 v39, 0 :: v_dual_mov_b32 v38, 0
	s_mov_b32 s4, exec_lo
	s_delay_alu instid0(VALU_DEP_2)
	v_cmpx_ne_u16_e32 0, v1
	s_cbranch_execz .LBB298_155
; %bb.148:                              ;   in Loop: Header=BB298_11 Depth=1
	v_bfrev_b32_e32 v38, 1
	s_mov_b32 s34, exec_lo
	v_cmpx_ne_u16_e32 0x80, v1
	s_cbranch_execz .LBB298_154
; %bb.149:                              ;   in Loop: Header=BB298_11 Depth=1
	v_and_b32_e32 v40, 0xffff, v1
	v_mov_b32_e32 v38, 0x7c010000
	s_mov_b32 s35, exec_lo
	s_delay_alu instid0(VALU_DEP_2) | instskip(NEXT) | instid1(VALU_DEP_1)
	v_and_b32_e32 v42, 0x7f, v40
	v_cmpx_ne_u32_e32 0x7f, v42
	s_cbranch_execz .LBB298_153
; %bb.150:                              ;   in Loop: Header=BB298_11 Depth=1
	v_and_b32_e32 v38, 7, v40
	v_lshrrev_b32_e32 v41, 3, v42
	s_mov_b32 s36, exec_lo
	v_cmpx_gt_u32_e32 8, v42
; %bb.151:                              ;   in Loop: Header=BB298_11 Depth=1
	s_delay_alu instid0(VALU_DEP_3) | instskip(NEXT) | instid1(VALU_DEP_1)
	v_clz_i32_u32_e32 v38, v38
	v_min_u32_e32 v38, 32, v38
	s_delay_alu instid0(VALU_DEP_1) | instskip(NEXT) | instid1(VALU_DEP_1)
	v_subrev_nc_u32_e32 v41, 28, v38
	v_lshlrev_b64_e32 v[42:43], v41, v[1:2]
	v_sub_nc_u32_e32 v41, 29, v38
	s_delay_alu instid0(VALU_DEP_2)
	v_and_b32_e32 v38, 7, v42
; %bb.152:                              ;   in Loop: Header=BB298_11 Depth=1
	s_or_b32 exec_lo, exec_lo, s36
	v_lshlrev_b32_e32 v1, 8, v40
	s_delay_alu instid0(VALU_DEP_3) | instskip(NEXT) | instid1(VALU_DEP_3)
	v_lshl_add_u32 v40, v41, 10, 0x2000
	v_lshlrev_b32_e32 v38, 23, v38
	s_delay_alu instid0(VALU_DEP_2) | instskip(NEXT) | instid1(VALU_DEP_1)
	v_and_or_b32 v1, 0x8000, v1, v40
	v_lshl_or_b32 v38, v1, 16, v38
.LBB298_153:                            ;   in Loop: Header=BB298_11 Depth=1
	s_wait_alu 0xfffe
	s_or_b32 exec_lo, exec_lo, s35
.LBB298_154:                            ;   in Loop: Header=BB298_11 Depth=1
	s_wait_alu 0xfffe
	s_or_b32 exec_lo, exec_lo, s34
.LBB298_155:                            ;   in Loop: Header=BB298_11 Depth=1
	s_wait_alu 0xfffe
	s_or_b32 exec_lo, exec_lo, s4
	v_lshrrev_b32_e32 v1, 16, v9
	s_mov_b32 s4, exec_lo
	s_delay_alu instid0(VALU_DEP_1) | instskip(NEXT) | instid1(VALU_DEP_1)
	v_and_b32_e32 v40, 0xff, v1
	v_cmpx_ne_u16_e32 0, v40
	s_cbranch_execz .LBB298_163
; %bb.156:                              ;   in Loop: Header=BB298_11 Depth=1
	v_mov_b32_e32 v39, 0x8000
	s_mov_b32 s34, exec_lo
	v_cmpx_ne_u16_e32 0x80, v40
	s_cbranch_execz .LBB298_162
; %bb.157:                              ;   in Loop: Header=BB298_11 Depth=1
	v_bfe_u32 v41, v9, 16, 7
	v_mov_b32_e32 v39, 0x7c01
	s_mov_b32 s35, exec_lo
	s_delay_alu instid0(VALU_DEP_2)
	v_cmpx_ne_u32_e32 0x7f, v41
	s_cbranch_execz .LBB298_161
; %bb.158:                              ;   in Loop: Header=BB298_11 Depth=1
	v_and_b32_e32 v39, 7, v1
	v_lshrrev_b32_e32 v40, 3, v41
	s_mov_b32 s36, exec_lo
	v_cmpx_gt_u32_e32 8, v41
; %bb.159:                              ;   in Loop: Header=BB298_11 Depth=1
	s_delay_alu instid0(VALU_DEP_3) | instskip(NEXT) | instid1(VALU_DEP_1)
	v_clz_i32_u32_e32 v39, v39
	v_min_u32_e32 v41, 32, v39
	s_delay_alu instid0(VALU_DEP_1) | instskip(NEXT) | instid1(VALU_DEP_1)
	v_subrev_nc_u32_e32 v39, 28, v41
	v_lshlrev_b64_e32 v[39:40], v39, v[1:2]
	v_sub_nc_u32_e32 v40, 29, v41
	s_delay_alu instid0(VALU_DEP_2)
	v_and_b32_e32 v39, 7, v39
; %bb.160:                              ;   in Loop: Header=BB298_11 Depth=1
	s_or_b32 exec_lo, exec_lo, s36
	v_lshlrev_b32_e32 v1, 8, v1
	s_delay_alu instid0(VALU_DEP_3) | instskip(NEXT) | instid1(VALU_DEP_3)
	v_lshl_add_u32 v40, v40, 10, 0x2000
	v_lshlrev_b32_e32 v39, 7, v39
	s_delay_alu instid0(VALU_DEP_3) | instskip(NEXT) | instid1(VALU_DEP_3)
	v_and_b32_e32 v1, 0x8000, v1
	v_and_b32_e32 v40, 0xfc00, v40
	s_delay_alu instid0(VALU_DEP_1)
	v_or3_b32 v39, v1, v40, v39
.LBB298_161:                            ;   in Loop: Header=BB298_11 Depth=1
	s_wait_alu 0xfffe
	s_or_b32 exec_lo, exec_lo, s35
.LBB298_162:                            ;   in Loop: Header=BB298_11 Depth=1
	s_wait_alu 0xfffe
	s_or_b32 exec_lo, exec_lo, s34
.LBB298_163:                            ;   in Loop: Header=BB298_11 Depth=1
	s_wait_alu 0xfffe
	s_or_b32 exec_lo, exec_lo, s4
	v_dual_mov_b32 v40, 0 :: v_dual_mov_b32 v41, 0
	s_mov_b32 s4, exec_lo
	v_cmpx_lt_u32_e32 0xffffff, v9
	s_cbranch_execz .LBB298_171
; %bb.164:                              ;   in Loop: Header=BB298_11 Depth=1
	v_lshrrev_b32_e32 v1, 24, v9
	v_bfrev_b32_e32 v41, 1
	s_mov_b32 s34, exec_lo
	s_delay_alu instid0(VALU_DEP_2)
	v_cmpx_ne_u32_e32 0x80, v1
	s_cbranch_execz .LBB298_170
; %bb.165:                              ;   in Loop: Header=BB298_11 Depth=1
	v_and_b32_e32 v43, 0x7f, v1
	v_mov_b32_e32 v41, 0x7c010000
	s_mov_b32 s35, exec_lo
	s_delay_alu instid0(VALU_DEP_2)
	v_cmpx_ne_u32_e32 0x7f, v43
	s_cbranch_execz .LBB298_169
; %bb.166:                              ;   in Loop: Header=BB298_11 Depth=1
	v_and_b32_e32 v41, 7, v1
	v_lshrrev_b32_e32 v42, 3, v43
	s_mov_b32 s36, exec_lo
	v_cmpx_gt_u32_e32 8, v43
; %bb.167:                              ;   in Loop: Header=BB298_11 Depth=1
	s_delay_alu instid0(VALU_DEP_3) | instskip(NEXT) | instid1(VALU_DEP_1)
	v_clz_i32_u32_e32 v41, v41
	v_min_u32_e32 v43, 32, v41
	s_delay_alu instid0(VALU_DEP_1) | instskip(NEXT) | instid1(VALU_DEP_1)
	v_subrev_nc_u32_e32 v41, 28, v43
	v_lshlrev_b64_e32 v[41:42], v41, v[1:2]
	v_sub_nc_u32_e32 v42, 29, v43
	s_delay_alu instid0(VALU_DEP_2)
	v_and_b32_e32 v41, 7, v41
; %bb.168:                              ;   in Loop: Header=BB298_11 Depth=1
	s_or_b32 exec_lo, exec_lo, s36
	v_lshlrev_b32_e32 v1, 8, v1
	s_delay_alu instid0(VALU_DEP_3) | instskip(NEXT) | instid1(VALU_DEP_3)
	v_lshl_add_u32 v42, v42, 10, 0x2000
	v_lshlrev_b32_e32 v41, 23, v41
	s_delay_alu instid0(VALU_DEP_2) | instskip(NEXT) | instid1(VALU_DEP_1)
	v_and_or_b32 v1, 0x8000, v1, v42
	v_lshl_or_b32 v41, v1, 16, v41
.LBB298_169:                            ;   in Loop: Header=BB298_11 Depth=1
	s_wait_alu 0xfffe
	s_or_b32 exec_lo, exec_lo, s35
.LBB298_170:                            ;   in Loop: Header=BB298_11 Depth=1
	s_wait_alu 0xfffe
	s_or_b32 exec_lo, exec_lo, s34
.LBB298_171:                            ;   in Loop: Header=BB298_11 Depth=1
	s_wait_alu 0xfffe
	s_or_b32 exec_lo, exec_lo, s4
	v_dual_mov_b32 v1, v10 :: v_dual_and_b32 v42, 0xff, v10
	s_mov_b32 s4, exec_lo
	s_delay_alu instid0(VALU_DEP_1)
	v_cmpx_ne_u16_e32 0, v42
	s_cbranch_execz .LBB298_179
; %bb.172:                              ;   in Loop: Header=BB298_11 Depth=1
	v_mov_b32_e32 v40, 0x8000
	s_mov_b32 s34, exec_lo
	v_cmpx_ne_u16_e32 0x80, v42
	s_cbranch_execz .LBB298_178
; %bb.173:                              ;   in Loop: Header=BB298_11 Depth=1
	v_and_b32_e32 v43, 0x7f, v10
	v_mov_b32_e32 v40, 0x7c01
	s_mov_b32 s35, exec_lo
	s_delay_alu instid0(VALU_DEP_2)
	v_cmpx_ne_u32_e32 0x7f, v43
	s_cbranch_execz .LBB298_177
; %bb.174:                              ;   in Loop: Header=BB298_11 Depth=1
	v_and_b32_e32 v40, 7, v10
	v_lshrrev_b32_e32 v42, 3, v43
	s_mov_b32 s36, exec_lo
	v_cmpx_gt_u32_e32 8, v43
; %bb.175:                              ;   in Loop: Header=BB298_11 Depth=1
	s_delay_alu instid0(VALU_DEP_3) | instskip(NEXT) | instid1(VALU_DEP_1)
	v_clz_i32_u32_e32 v40, v40
	v_min_u32_e32 v40, 32, v40
	s_delay_alu instid0(VALU_DEP_1) | instskip(NEXT) | instid1(VALU_DEP_1)
	v_subrev_nc_u32_e32 v42, 28, v40
	v_lshlrev_b64_e32 v[43:44], v42, v[1:2]
	v_sub_nc_u32_e32 v42, 29, v40
	s_delay_alu instid0(VALU_DEP_2)
	v_and_b32_e32 v40, 7, v43
; %bb.176:                              ;   in Loop: Header=BB298_11 Depth=1
	s_or_b32 exec_lo, exec_lo, s36
	v_lshlrev_b32_e32 v43, 8, v10
	s_delay_alu instid0(VALU_DEP_3) | instskip(NEXT) | instid1(VALU_DEP_3)
	v_lshl_add_u32 v42, v42, 10, 0x2000
	v_lshlrev_b32_e32 v40, 7, v40
	s_delay_alu instid0(VALU_DEP_3) | instskip(NEXT) | instid1(VALU_DEP_3)
	v_and_b32_e32 v43, 0x8000, v43
	v_and_b32_e32 v42, 0xfc00, v42
	s_delay_alu instid0(VALU_DEP_1)
	v_or3_b32 v40, v43, v42, v40
.LBB298_177:                            ;   in Loop: Header=BB298_11 Depth=1
	s_wait_alu 0xfffe
	s_or_b32 exec_lo, exec_lo, s35
.LBB298_178:                            ;   in Loop: Header=BB298_11 Depth=1
	s_wait_alu 0xfffe
	s_or_b32 exec_lo, exec_lo, s34
.LBB298_179:                            ;   in Loop: Header=BB298_11 Depth=1
	s_wait_alu 0xfffe
	s_or_b32 exec_lo, exec_lo, s4
	v_lshrrev_b16 v1, 8, v1
	v_dual_mov_b32 v43, 0 :: v_dual_mov_b32 v42, 0
	s_mov_b32 s4, exec_lo
	s_delay_alu instid0(VALU_DEP_2)
	v_cmpx_ne_u16_e32 0, v1
	s_cbranch_execz .LBB298_187
; %bb.180:                              ;   in Loop: Header=BB298_11 Depth=1
	v_bfrev_b32_e32 v42, 1
	s_mov_b32 s34, exec_lo
	v_cmpx_ne_u16_e32 0x80, v1
	s_cbranch_execz .LBB298_186
; %bb.181:                              ;   in Loop: Header=BB298_11 Depth=1
	v_and_b32_e32 v44, 0xffff, v1
	v_mov_b32_e32 v42, 0x7c010000
	s_mov_b32 s35, exec_lo
	s_delay_alu instid0(VALU_DEP_2) | instskip(NEXT) | instid1(VALU_DEP_1)
	v_and_b32_e32 v46, 0x7f, v44
	v_cmpx_ne_u32_e32 0x7f, v46
	s_cbranch_execz .LBB298_185
; %bb.182:                              ;   in Loop: Header=BB298_11 Depth=1
	v_and_b32_e32 v42, 7, v44
	v_lshrrev_b32_e32 v45, 3, v46
	s_mov_b32 s36, exec_lo
	v_cmpx_gt_u32_e32 8, v46
; %bb.183:                              ;   in Loop: Header=BB298_11 Depth=1
	s_delay_alu instid0(VALU_DEP_3) | instskip(NEXT) | instid1(VALU_DEP_1)
	v_clz_i32_u32_e32 v42, v42
	v_min_u32_e32 v42, 32, v42
	s_delay_alu instid0(VALU_DEP_1) | instskip(NEXT) | instid1(VALU_DEP_1)
	v_subrev_nc_u32_e32 v45, 28, v42
	v_lshlrev_b64_e32 v[46:47], v45, v[1:2]
	v_sub_nc_u32_e32 v45, 29, v42
	s_delay_alu instid0(VALU_DEP_2)
	v_and_b32_e32 v42, 7, v46
; %bb.184:                              ;   in Loop: Header=BB298_11 Depth=1
	s_or_b32 exec_lo, exec_lo, s36
	v_lshlrev_b32_e32 v1, 8, v44
	s_delay_alu instid0(VALU_DEP_3) | instskip(NEXT) | instid1(VALU_DEP_3)
	v_lshl_add_u32 v44, v45, 10, 0x2000
	v_lshlrev_b32_e32 v42, 23, v42
	s_delay_alu instid0(VALU_DEP_2) | instskip(NEXT) | instid1(VALU_DEP_1)
	v_and_or_b32 v1, 0x8000, v1, v44
	v_lshl_or_b32 v42, v1, 16, v42
.LBB298_185:                            ;   in Loop: Header=BB298_11 Depth=1
	s_wait_alu 0xfffe
	s_or_b32 exec_lo, exec_lo, s35
.LBB298_186:                            ;   in Loop: Header=BB298_11 Depth=1
	s_wait_alu 0xfffe
	s_or_b32 exec_lo, exec_lo, s34
.LBB298_187:                            ;   in Loop: Header=BB298_11 Depth=1
	s_wait_alu 0xfffe
	s_or_b32 exec_lo, exec_lo, s4
	v_lshrrev_b32_e32 v1, 16, v10
	s_mov_b32 s4, exec_lo
	s_delay_alu instid0(VALU_DEP_1) | instskip(NEXT) | instid1(VALU_DEP_1)
	v_and_b32_e32 v44, 0xff, v1
	v_cmpx_ne_u16_e32 0, v44
	s_cbranch_execz .LBB298_195
; %bb.188:                              ;   in Loop: Header=BB298_11 Depth=1
	v_mov_b32_e32 v43, 0x8000
	s_mov_b32 s34, exec_lo
	v_cmpx_ne_u16_e32 0x80, v44
	s_cbranch_execz .LBB298_194
; %bb.189:                              ;   in Loop: Header=BB298_11 Depth=1
	v_bfe_u32 v45, v10, 16, 7
	v_mov_b32_e32 v43, 0x7c01
	s_mov_b32 s35, exec_lo
	s_delay_alu instid0(VALU_DEP_2)
	v_cmpx_ne_u32_e32 0x7f, v45
	s_cbranch_execz .LBB298_193
; %bb.190:                              ;   in Loop: Header=BB298_11 Depth=1
	v_and_b32_e32 v43, 7, v1
	v_lshrrev_b32_e32 v44, 3, v45
	s_mov_b32 s36, exec_lo
	v_cmpx_gt_u32_e32 8, v45
; %bb.191:                              ;   in Loop: Header=BB298_11 Depth=1
	s_delay_alu instid0(VALU_DEP_3) | instskip(NEXT) | instid1(VALU_DEP_1)
	v_clz_i32_u32_e32 v43, v43
	v_min_u32_e32 v45, 32, v43
	s_delay_alu instid0(VALU_DEP_1) | instskip(NEXT) | instid1(VALU_DEP_1)
	v_subrev_nc_u32_e32 v43, 28, v45
	v_lshlrev_b64_e32 v[43:44], v43, v[1:2]
	v_sub_nc_u32_e32 v44, 29, v45
	s_delay_alu instid0(VALU_DEP_2)
	v_and_b32_e32 v43, 7, v43
; %bb.192:                              ;   in Loop: Header=BB298_11 Depth=1
	s_or_b32 exec_lo, exec_lo, s36
	v_lshlrev_b32_e32 v1, 8, v1
	s_delay_alu instid0(VALU_DEP_3) | instskip(NEXT) | instid1(VALU_DEP_3)
	v_lshl_add_u32 v44, v44, 10, 0x2000
	v_lshlrev_b32_e32 v43, 7, v43
	s_delay_alu instid0(VALU_DEP_3) | instskip(NEXT) | instid1(VALU_DEP_3)
	v_and_b32_e32 v1, 0x8000, v1
	v_and_b32_e32 v44, 0xfc00, v44
	s_delay_alu instid0(VALU_DEP_1)
	v_or3_b32 v43, v1, v44, v43
.LBB298_193:                            ;   in Loop: Header=BB298_11 Depth=1
	s_wait_alu 0xfffe
	s_or_b32 exec_lo, exec_lo, s35
.LBB298_194:                            ;   in Loop: Header=BB298_11 Depth=1
	s_wait_alu 0xfffe
	s_or_b32 exec_lo, exec_lo, s34
.LBB298_195:                            ;   in Loop: Header=BB298_11 Depth=1
	s_wait_alu 0xfffe
	s_or_b32 exec_lo, exec_lo, s4
	v_cmp_lt_u64_e64 s3, s[6:7], v[9:10]
	v_dual_mov_b32 v9, 0 :: v_dual_mov_b32 v44, 0
	s_and_saveexec_b32 s4, s3
	s_cbranch_execz .LBB298_203
; %bb.196:                              ;   in Loop: Header=BB298_11 Depth=1
	v_lshrrev_b32_e32 v1, 24, v10
	v_bfrev_b32_e32 v44, 1
	s_mov_b32 s34, exec_lo
	s_delay_alu instid0(VALU_DEP_2)
	v_cmpx_ne_u32_e32 0x80, v1
	s_cbranch_execz .LBB298_202
; %bb.197:                              ;   in Loop: Header=BB298_11 Depth=1
	v_and_b32_e32 v45, 0x7f, v1
	v_mov_b32_e32 v44, 0x7c010000
	s_mov_b32 s35, exec_lo
	s_delay_alu instid0(VALU_DEP_2)
	v_cmpx_ne_u32_e32 0x7f, v45
	s_cbranch_execz .LBB298_201
; %bb.198:                              ;   in Loop: Header=BB298_11 Depth=1
	v_and_b32_e32 v10, 7, v1
	v_lshrrev_b32_e32 v44, 3, v45
	s_mov_b32 s36, exec_lo
	v_cmpx_gt_u32_e32 8, v45
; %bb.199:                              ;   in Loop: Header=BB298_11 Depth=1
	s_delay_alu instid0(VALU_DEP_3) | instskip(NEXT) | instid1(VALU_DEP_1)
	v_clz_i32_u32_e32 v10, v10
	v_min_u32_e32 v10, 32, v10
	s_delay_alu instid0(VALU_DEP_1) | instskip(NEXT) | instid1(VALU_DEP_1)
	v_subrev_nc_u32_e32 v44, 28, v10
	v_lshlrev_b64_e32 v[45:46], v44, v[1:2]
	v_sub_nc_u32_e32 v44, 29, v10
	s_delay_alu instid0(VALU_DEP_2)
	v_and_b32_e32 v10, 7, v45
; %bb.200:                              ;   in Loop: Header=BB298_11 Depth=1
	s_or_b32 exec_lo, exec_lo, s36
	v_lshlrev_b32_e32 v1, 8, v1
	s_delay_alu instid0(VALU_DEP_3) | instskip(NEXT) | instid1(VALU_DEP_3)
	v_lshl_add_u32 v44, v44, 10, 0x2000
	v_lshlrev_b32_e32 v10, 23, v10
	s_delay_alu instid0(VALU_DEP_2) | instskip(NEXT) | instid1(VALU_DEP_1)
	v_and_or_b32 v1, 0x8000, v1, v44
	v_lshl_or_b32 v44, v1, 16, v10
.LBB298_201:                            ;   in Loop: Header=BB298_11 Depth=1
	s_wait_alu 0xfffe
	s_or_b32 exec_lo, exec_lo, s35
.LBB298_202:                            ;   in Loop: Header=BB298_11 Depth=1
	s_wait_alu 0xfffe
	s_or_b32 exec_lo, exec_lo, s34
.LBB298_203:                            ;   in Loop: Header=BB298_11 Depth=1
	s_wait_alu 0xfffe
	s_or_b32 exec_lo, exec_lo, s4
	global_load_b64 v[7:8], v[7:8], off offset:520
	s_mov_b32 s4, exec_lo
	s_wait_loadcnt 0x0
	v_and_b32_e32 v1, 0xff, v7
	s_delay_alu instid0(VALU_DEP_1)
	v_cmpx_ne_u16_e32 0, v1
	s_cbranch_execz .LBB298_211
; %bb.204:                              ;   in Loop: Header=BB298_11 Depth=1
	v_mov_b32_e32 v9, 0x8000
	s_mov_b32 s34, exec_lo
	v_cmpx_ne_u16_e32 0x80, v1
	s_cbranch_execz .LBB298_210
; %bb.205:                              ;   in Loop: Header=BB298_11 Depth=1
	v_and_b32_e32 v10, 0x7f, v7
	v_mov_b32_e32 v9, 0x7c01
	s_mov_b32 s35, exec_lo
	s_delay_alu instid0(VALU_DEP_2)
	v_cmpx_ne_u32_e32 0x7f, v10
	s_cbranch_execz .LBB298_209
; %bb.206:                              ;   in Loop: Header=BB298_11 Depth=1
	v_and_b32_e32 v1, 7, v7
	v_lshrrev_b32_e32 v9, 3, v10
	s_mov_b32 s36, exec_lo
	v_cmpx_gt_u32_e32 8, v10
; %bb.207:                              ;   in Loop: Header=BB298_11 Depth=1
	s_delay_alu instid0(VALU_DEP_3) | instskip(NEXT) | instid1(VALU_DEP_1)
	v_clz_i32_u32_e32 v1, v1
	v_min_u32_e32 v1, 32, v1
	s_delay_alu instid0(VALU_DEP_1) | instskip(NEXT) | instid1(VALU_DEP_1)
	v_subrev_nc_u32_e32 v9, 28, v1
	v_lshlrev_b64_e32 v[45:46], v9, v[7:8]
	v_sub_nc_u32_e32 v9, 29, v1
	s_delay_alu instid0(VALU_DEP_2)
	v_and_b32_e32 v1, 7, v45
; %bb.208:                              ;   in Loop: Header=BB298_11 Depth=1
	s_or_b32 exec_lo, exec_lo, s36
	v_lshlrev_b32_e32 v10, 8, v7
	s_delay_alu instid0(VALU_DEP_3) | instskip(NEXT) | instid1(VALU_DEP_3)
	v_lshl_add_u32 v9, v9, 10, 0x2000
	v_lshlrev_b32_e32 v1, 7, v1
	s_delay_alu instid0(VALU_DEP_3) | instskip(NEXT) | instid1(VALU_DEP_3)
	v_and_b32_e32 v10, 0x8000, v10
	v_and_b32_e32 v9, 0xfc00, v9
	s_delay_alu instid0(VALU_DEP_1)
	v_or3_b32 v9, v10, v9, v1
.LBB298_209:                            ;   in Loop: Header=BB298_11 Depth=1
	s_wait_alu 0xfffe
	s_or_b32 exec_lo, exec_lo, s35
.LBB298_210:                            ;   in Loop: Header=BB298_11 Depth=1
	s_wait_alu 0xfffe
	s_or_b32 exec_lo, exec_lo, s34
.LBB298_211:                            ;   in Loop: Header=BB298_11 Depth=1
	s_wait_alu 0xfffe
	s_or_b32 exec_lo, exec_lo, s4
	v_lshrrev_b16 v1, 8, v7
	v_dual_mov_b32 v45, 0 :: v_dual_mov_b32 v10, 0
	s_mov_b32 s4, exec_lo
	s_delay_alu instid0(VALU_DEP_2)
	v_cmpx_ne_u16_e32 0, v1
	s_cbranch_execz .LBB298_219
; %bb.212:                              ;   in Loop: Header=BB298_11 Depth=1
	v_bfrev_b32_e32 v10, 1
	s_mov_b32 s34, exec_lo
	v_cmpx_ne_u16_e32 0x80, v1
	s_cbranch_execz .LBB298_218
; %bb.213:                              ;   in Loop: Header=BB298_11 Depth=1
	v_and_b32_e32 v46, 0xffff, v1
	v_mov_b32_e32 v10, 0x7c010000
	s_mov_b32 s35, exec_lo
	s_delay_alu instid0(VALU_DEP_2) | instskip(NEXT) | instid1(VALU_DEP_1)
	v_and_b32_e32 v48, 0x7f, v46
	v_cmpx_ne_u32_e32 0x7f, v48
	s_cbranch_execz .LBB298_217
; %bb.214:                              ;   in Loop: Header=BB298_11 Depth=1
	v_and_b32_e32 v10, 7, v46
	v_lshrrev_b32_e32 v47, 3, v48
	s_mov_b32 s36, exec_lo
	v_cmpx_gt_u32_e32 8, v48
; %bb.215:                              ;   in Loop: Header=BB298_11 Depth=1
	s_delay_alu instid0(VALU_DEP_3) | instskip(NEXT) | instid1(VALU_DEP_1)
	v_clz_i32_u32_e32 v10, v10
	v_min_u32_e32 v10, 32, v10
	s_delay_alu instid0(VALU_DEP_1) | instskip(NEXT) | instid1(VALU_DEP_1)
	v_subrev_nc_u32_e32 v47, 28, v10
	v_lshlrev_b64_e32 v[48:49], v47, v[1:2]
	v_sub_nc_u32_e32 v47, 29, v10
	s_delay_alu instid0(VALU_DEP_2)
	v_and_b32_e32 v10, 7, v48
; %bb.216:                              ;   in Loop: Header=BB298_11 Depth=1
	s_or_b32 exec_lo, exec_lo, s36
	v_lshlrev_b32_e32 v1, 8, v46
	s_delay_alu instid0(VALU_DEP_3) | instskip(NEXT) | instid1(VALU_DEP_3)
	v_lshl_add_u32 v46, v47, 10, 0x2000
	v_lshlrev_b32_e32 v10, 23, v10
	s_delay_alu instid0(VALU_DEP_2) | instskip(NEXT) | instid1(VALU_DEP_1)
	v_and_or_b32 v1, 0x8000, v1, v46
	v_lshl_or_b32 v10, v1, 16, v10
.LBB298_217:                            ;   in Loop: Header=BB298_11 Depth=1
	s_wait_alu 0xfffe
	s_or_b32 exec_lo, exec_lo, s35
.LBB298_218:                            ;   in Loop: Header=BB298_11 Depth=1
	s_wait_alu 0xfffe
	s_or_b32 exec_lo, exec_lo, s34
.LBB298_219:                            ;   in Loop: Header=BB298_11 Depth=1
	s_wait_alu 0xfffe
	s_or_b32 exec_lo, exec_lo, s4
	v_lshrrev_b32_e32 v1, 16, v7
	s_mov_b32 s4, exec_lo
	s_delay_alu instid0(VALU_DEP_1) | instskip(NEXT) | instid1(VALU_DEP_1)
	v_and_b32_e32 v46, 0xff, v1
	v_cmpx_ne_u16_e32 0, v46
	s_cbranch_execz .LBB298_227
; %bb.220:                              ;   in Loop: Header=BB298_11 Depth=1
	v_mov_b32_e32 v45, 0x8000
	s_mov_b32 s34, exec_lo
	v_cmpx_ne_u16_e32 0x80, v46
	s_cbranch_execz .LBB298_226
; %bb.221:                              ;   in Loop: Header=BB298_11 Depth=1
	v_bfe_u32 v47, v7, 16, 7
	v_mov_b32_e32 v45, 0x7c01
	s_mov_b32 s35, exec_lo
	s_delay_alu instid0(VALU_DEP_2)
	v_cmpx_ne_u32_e32 0x7f, v47
	s_cbranch_execz .LBB298_225
; %bb.222:                              ;   in Loop: Header=BB298_11 Depth=1
	v_and_b32_e32 v45, 7, v1
	v_lshrrev_b32_e32 v46, 3, v47
	s_mov_b32 s36, exec_lo
	v_cmpx_gt_u32_e32 8, v47
; %bb.223:                              ;   in Loop: Header=BB298_11 Depth=1
	s_delay_alu instid0(VALU_DEP_3) | instskip(NEXT) | instid1(VALU_DEP_1)
	v_clz_i32_u32_e32 v45, v45
	v_min_u32_e32 v47, 32, v45
	s_delay_alu instid0(VALU_DEP_1) | instskip(NEXT) | instid1(VALU_DEP_1)
	v_subrev_nc_u32_e32 v45, 28, v47
	v_lshlrev_b64_e32 v[45:46], v45, v[1:2]
	v_sub_nc_u32_e32 v46, 29, v47
	s_delay_alu instid0(VALU_DEP_2)
	v_and_b32_e32 v45, 7, v45
; %bb.224:                              ;   in Loop: Header=BB298_11 Depth=1
	s_or_b32 exec_lo, exec_lo, s36
	v_lshlrev_b32_e32 v1, 8, v1
	s_delay_alu instid0(VALU_DEP_3) | instskip(NEXT) | instid1(VALU_DEP_3)
	v_lshl_add_u32 v46, v46, 10, 0x2000
	v_lshlrev_b32_e32 v45, 7, v45
	s_delay_alu instid0(VALU_DEP_3) | instskip(NEXT) | instid1(VALU_DEP_3)
	v_and_b32_e32 v1, 0x8000, v1
	v_and_b32_e32 v46, 0xfc00, v46
	s_delay_alu instid0(VALU_DEP_1)
	v_or3_b32 v45, v1, v46, v45
.LBB298_225:                            ;   in Loop: Header=BB298_11 Depth=1
	s_wait_alu 0xfffe
	s_or_b32 exec_lo, exec_lo, s35
.LBB298_226:                            ;   in Loop: Header=BB298_11 Depth=1
	s_wait_alu 0xfffe
	s_or_b32 exec_lo, exec_lo, s34
.LBB298_227:                            ;   in Loop: Header=BB298_11 Depth=1
	s_wait_alu 0xfffe
	s_or_b32 exec_lo, exec_lo, s4
	v_dual_mov_b32 v46, 0 :: v_dual_mov_b32 v47, 0
	s_mov_b32 s4, exec_lo
	v_cmpx_lt_u32_e32 0xffffff, v7
	s_cbranch_execz .LBB298_235
; %bb.228:                              ;   in Loop: Header=BB298_11 Depth=1
	v_lshrrev_b32_e32 v1, 24, v7
	v_bfrev_b32_e32 v47, 1
	s_mov_b32 s34, exec_lo
	s_delay_alu instid0(VALU_DEP_2)
	v_cmpx_ne_u32_e32 0x80, v1
	s_cbranch_execz .LBB298_234
; %bb.229:                              ;   in Loop: Header=BB298_11 Depth=1
	v_and_b32_e32 v49, 0x7f, v1
	v_mov_b32_e32 v47, 0x7c010000
	s_mov_b32 s35, exec_lo
	s_delay_alu instid0(VALU_DEP_2)
	v_cmpx_ne_u32_e32 0x7f, v49
	s_cbranch_execz .LBB298_233
; %bb.230:                              ;   in Loop: Header=BB298_11 Depth=1
	v_and_b32_e32 v47, 7, v1
	v_lshrrev_b32_e32 v48, 3, v49
	s_mov_b32 s36, exec_lo
	v_cmpx_gt_u32_e32 8, v49
; %bb.231:                              ;   in Loop: Header=BB298_11 Depth=1
	s_delay_alu instid0(VALU_DEP_3) | instskip(NEXT) | instid1(VALU_DEP_1)
	v_clz_i32_u32_e32 v47, v47
	v_min_u32_e32 v49, 32, v47
	s_delay_alu instid0(VALU_DEP_1) | instskip(NEXT) | instid1(VALU_DEP_1)
	v_subrev_nc_u32_e32 v47, 28, v49
	v_lshlrev_b64_e32 v[47:48], v47, v[1:2]
	v_sub_nc_u32_e32 v48, 29, v49
	s_delay_alu instid0(VALU_DEP_2)
	v_and_b32_e32 v47, 7, v47
; %bb.232:                              ;   in Loop: Header=BB298_11 Depth=1
	s_or_b32 exec_lo, exec_lo, s36
	v_lshlrev_b32_e32 v1, 8, v1
	s_delay_alu instid0(VALU_DEP_3) | instskip(NEXT) | instid1(VALU_DEP_3)
	v_lshl_add_u32 v48, v48, 10, 0x2000
	v_lshlrev_b32_e32 v47, 23, v47
	s_delay_alu instid0(VALU_DEP_2) | instskip(NEXT) | instid1(VALU_DEP_1)
	v_and_or_b32 v1, 0x8000, v1, v48
	v_lshl_or_b32 v47, v1, 16, v47
.LBB298_233:                            ;   in Loop: Header=BB298_11 Depth=1
	s_wait_alu 0xfffe
	s_or_b32 exec_lo, exec_lo, s35
.LBB298_234:                            ;   in Loop: Header=BB298_11 Depth=1
	s_wait_alu 0xfffe
	s_or_b32 exec_lo, exec_lo, s34
.LBB298_235:                            ;   in Loop: Header=BB298_11 Depth=1
	s_wait_alu 0xfffe
	s_or_b32 exec_lo, exec_lo, s4
	v_dual_mov_b32 v1, v8 :: v_dual_and_b32 v48, 0xff, v8
	s_mov_b32 s4, exec_lo
	s_delay_alu instid0(VALU_DEP_1)
	v_cmpx_ne_u16_e32 0, v48
	s_cbranch_execz .LBB298_243
; %bb.236:                              ;   in Loop: Header=BB298_11 Depth=1
	v_mov_b32_e32 v46, 0x8000
	s_mov_b32 s34, exec_lo
	v_cmpx_ne_u16_e32 0x80, v48
	s_cbranch_execz .LBB298_242
; %bb.237:                              ;   in Loop: Header=BB298_11 Depth=1
	v_and_b32_e32 v49, 0x7f, v8
	v_mov_b32_e32 v46, 0x7c01
	s_mov_b32 s35, exec_lo
	s_delay_alu instid0(VALU_DEP_2)
	v_cmpx_ne_u32_e32 0x7f, v49
	s_cbranch_execz .LBB298_241
; %bb.238:                              ;   in Loop: Header=BB298_11 Depth=1
	v_and_b32_e32 v46, 7, v8
	v_lshrrev_b32_e32 v48, 3, v49
	s_mov_b32 s36, exec_lo
	v_cmpx_gt_u32_e32 8, v49
; %bb.239:                              ;   in Loop: Header=BB298_11 Depth=1
	s_delay_alu instid0(VALU_DEP_3) | instskip(NEXT) | instid1(VALU_DEP_1)
	v_clz_i32_u32_e32 v46, v46
	v_min_u32_e32 v46, 32, v46
	s_delay_alu instid0(VALU_DEP_1) | instskip(NEXT) | instid1(VALU_DEP_1)
	v_subrev_nc_u32_e32 v48, 28, v46
	v_lshlrev_b64_e32 v[49:50], v48, v[1:2]
	v_sub_nc_u32_e32 v48, 29, v46
	s_delay_alu instid0(VALU_DEP_2)
	v_and_b32_e32 v46, 7, v49
; %bb.240:                              ;   in Loop: Header=BB298_11 Depth=1
	s_or_b32 exec_lo, exec_lo, s36
	v_lshlrev_b32_e32 v49, 8, v8
	s_delay_alu instid0(VALU_DEP_3) | instskip(NEXT) | instid1(VALU_DEP_3)
	v_lshl_add_u32 v48, v48, 10, 0x2000
	v_lshlrev_b32_e32 v46, 7, v46
	s_delay_alu instid0(VALU_DEP_3) | instskip(NEXT) | instid1(VALU_DEP_3)
	v_and_b32_e32 v49, 0x8000, v49
	v_and_b32_e32 v48, 0xfc00, v48
	s_delay_alu instid0(VALU_DEP_1)
	v_or3_b32 v46, v49, v48, v46
.LBB298_241:                            ;   in Loop: Header=BB298_11 Depth=1
	s_wait_alu 0xfffe
	s_or_b32 exec_lo, exec_lo, s35
.LBB298_242:                            ;   in Loop: Header=BB298_11 Depth=1
	s_wait_alu 0xfffe
	s_or_b32 exec_lo, exec_lo, s34
.LBB298_243:                            ;   in Loop: Header=BB298_11 Depth=1
	s_wait_alu 0xfffe
	s_or_b32 exec_lo, exec_lo, s4
	v_lshrrev_b16 v1, 8, v1
	v_dual_mov_b32 v49, 0 :: v_dual_mov_b32 v48, 0
	s_mov_b32 s4, exec_lo
	s_delay_alu instid0(VALU_DEP_2)
	v_cmpx_ne_u16_e32 0, v1
	s_cbranch_execz .LBB298_251
; %bb.244:                              ;   in Loop: Header=BB298_11 Depth=1
	v_bfrev_b32_e32 v48, 1
	s_mov_b32 s34, exec_lo
	v_cmpx_ne_u16_e32 0x80, v1
	s_cbranch_execz .LBB298_250
; %bb.245:                              ;   in Loop: Header=BB298_11 Depth=1
	v_and_b32_e32 v50, 0xffff, v1
	v_mov_b32_e32 v48, 0x7c010000
	s_mov_b32 s35, exec_lo
	s_delay_alu instid0(VALU_DEP_2) | instskip(NEXT) | instid1(VALU_DEP_1)
	v_and_b32_e32 v52, 0x7f, v50
	v_cmpx_ne_u32_e32 0x7f, v52
	s_cbranch_execz .LBB298_249
; %bb.246:                              ;   in Loop: Header=BB298_11 Depth=1
	v_and_b32_e32 v48, 7, v50
	v_lshrrev_b32_e32 v51, 3, v52
	s_mov_b32 s36, exec_lo
	v_cmpx_gt_u32_e32 8, v52
; %bb.247:                              ;   in Loop: Header=BB298_11 Depth=1
	s_delay_alu instid0(VALU_DEP_3) | instskip(NEXT) | instid1(VALU_DEP_1)
	v_clz_i32_u32_e32 v48, v48
	v_min_u32_e32 v48, 32, v48
	s_delay_alu instid0(VALU_DEP_1) | instskip(NEXT) | instid1(VALU_DEP_1)
	v_subrev_nc_u32_e32 v51, 28, v48
	v_lshlrev_b64_e32 v[52:53], v51, v[1:2]
	v_sub_nc_u32_e32 v51, 29, v48
	s_delay_alu instid0(VALU_DEP_2)
	v_and_b32_e32 v48, 7, v52
; %bb.248:                              ;   in Loop: Header=BB298_11 Depth=1
	s_or_b32 exec_lo, exec_lo, s36
	v_lshlrev_b32_e32 v1, 8, v50
	s_delay_alu instid0(VALU_DEP_3) | instskip(NEXT) | instid1(VALU_DEP_3)
	v_lshl_add_u32 v50, v51, 10, 0x2000
	v_lshlrev_b32_e32 v48, 23, v48
	s_delay_alu instid0(VALU_DEP_2) | instskip(NEXT) | instid1(VALU_DEP_1)
	v_and_or_b32 v1, 0x8000, v1, v50
	v_lshl_or_b32 v48, v1, 16, v48
.LBB298_249:                            ;   in Loop: Header=BB298_11 Depth=1
	s_wait_alu 0xfffe
	s_or_b32 exec_lo, exec_lo, s35
.LBB298_250:                            ;   in Loop: Header=BB298_11 Depth=1
	s_wait_alu 0xfffe
	s_or_b32 exec_lo, exec_lo, s34
.LBB298_251:                            ;   in Loop: Header=BB298_11 Depth=1
	s_wait_alu 0xfffe
	s_or_b32 exec_lo, exec_lo, s4
	v_lshrrev_b32_e32 v1, 16, v8
	s_mov_b32 s4, exec_lo
	s_delay_alu instid0(VALU_DEP_1) | instskip(NEXT) | instid1(VALU_DEP_1)
	v_and_b32_e32 v50, 0xff, v1
	v_cmpx_ne_u16_e32 0, v50
	s_cbranch_execz .LBB298_259
; %bb.252:                              ;   in Loop: Header=BB298_11 Depth=1
	v_mov_b32_e32 v49, 0x8000
	s_mov_b32 s34, exec_lo
	v_cmpx_ne_u16_e32 0x80, v50
	s_cbranch_execz .LBB298_258
; %bb.253:                              ;   in Loop: Header=BB298_11 Depth=1
	v_bfe_u32 v51, v8, 16, 7
	v_mov_b32_e32 v49, 0x7c01
	s_mov_b32 s35, exec_lo
	s_delay_alu instid0(VALU_DEP_2)
	v_cmpx_ne_u32_e32 0x7f, v51
	s_cbranch_execz .LBB298_257
; %bb.254:                              ;   in Loop: Header=BB298_11 Depth=1
	v_and_b32_e32 v49, 7, v1
	v_lshrrev_b32_e32 v50, 3, v51
	s_mov_b32 s36, exec_lo
	v_cmpx_gt_u32_e32 8, v51
; %bb.255:                              ;   in Loop: Header=BB298_11 Depth=1
	s_delay_alu instid0(VALU_DEP_3) | instskip(NEXT) | instid1(VALU_DEP_1)
	v_clz_i32_u32_e32 v49, v49
	v_min_u32_e32 v51, 32, v49
	s_delay_alu instid0(VALU_DEP_1) | instskip(NEXT) | instid1(VALU_DEP_1)
	v_subrev_nc_u32_e32 v49, 28, v51
	v_lshlrev_b64_e32 v[49:50], v49, v[1:2]
	v_sub_nc_u32_e32 v50, 29, v51
	s_delay_alu instid0(VALU_DEP_2)
	v_and_b32_e32 v49, 7, v49
; %bb.256:                              ;   in Loop: Header=BB298_11 Depth=1
	s_or_b32 exec_lo, exec_lo, s36
	v_lshlrev_b32_e32 v1, 8, v1
	s_delay_alu instid0(VALU_DEP_3) | instskip(NEXT) | instid1(VALU_DEP_3)
	v_lshl_add_u32 v50, v50, 10, 0x2000
	v_lshlrev_b32_e32 v49, 7, v49
	s_delay_alu instid0(VALU_DEP_3) | instskip(NEXT) | instid1(VALU_DEP_3)
	v_and_b32_e32 v1, 0x8000, v1
	v_and_b32_e32 v50, 0xfc00, v50
	s_delay_alu instid0(VALU_DEP_1)
	v_or3_b32 v49, v1, v50, v49
.LBB298_257:                            ;   in Loop: Header=BB298_11 Depth=1
	s_wait_alu 0xfffe
	s_or_b32 exec_lo, exec_lo, s35
.LBB298_258:                            ;   in Loop: Header=BB298_11 Depth=1
	s_wait_alu 0xfffe
	s_or_b32 exec_lo, exec_lo, s34
.LBB298_259:                            ;   in Loop: Header=BB298_11 Depth=1
	s_wait_alu 0xfffe
	s_or_b32 exec_lo, exec_lo, s4
	v_cmp_lt_u64_e64 s3, s[6:7], v[7:8]
	v_mov_b32_e32 v7, 0
	s_and_saveexec_b32 s4, s3
	s_cbranch_execz .LBB298_10
; %bb.260:                              ;   in Loop: Header=BB298_11 Depth=1
	v_lshrrev_b32_e32 v1, 24, v8
	v_bfrev_b32_e32 v7, 1
	s_mov_b32 s34, exec_lo
	s_delay_alu instid0(VALU_DEP_2)
	v_cmpx_ne_u32_e32 0x80, v1
	s_cbranch_execz .LBB298_9
; %bb.261:                              ;   in Loop: Header=BB298_11 Depth=1
	v_and_b32_e32 v50, 0x7f, v1
	v_mov_b32_e32 v7, 0x7c010000
	s_mov_b32 s35, exec_lo
	s_delay_alu instid0(VALU_DEP_2)
	v_cmpx_ne_u32_e32 0x7f, v50
	s_cbranch_execz .LBB298_8
; %bb.262:                              ;   in Loop: Header=BB298_11 Depth=1
	v_and_b32_e32 v7, 7, v1
	v_lshrrev_b32_e32 v8, 3, v50
	s_mov_b32 s36, exec_lo
	v_cmpx_gt_u32_e32 8, v50
	s_cbranch_execz .LBB298_7
; %bb.263:                              ;   in Loop: Header=BB298_11 Depth=1
	v_clz_i32_u32_e32 v7, v7
	s_delay_alu instid0(VALU_DEP_1) | instskip(NEXT) | instid1(VALU_DEP_1)
	v_min_u32_e32 v50, 32, v7
	v_subrev_nc_u32_e32 v7, 28, v50
	s_delay_alu instid0(VALU_DEP_1) | instskip(SKIP_1) | instid1(VALU_DEP_2)
	v_lshlrev_b64_e32 v[7:8], v7, v[1:2]
	v_sub_nc_u32_e32 v8, 29, v50
	v_and_b32_e32 v7, 7, v7
	s_branch .LBB298_7
.LBB298_264:
	s_or_b32 exec_lo, exec_lo, s33
.LBB298_265:
	s_delay_alu instid0(SALU_CYCLE_1)
	s_or_b32 exec_lo, exec_lo, s14
	v_mbcnt_lo_u32_b32 v1, -1, 0
	s_load_b128 s[4:7], s[0:1], 0x0
	s_wait_kmcnt 0x0
	s_clause 0x1
	s_load_b64 s[8:9], s[0:1], 0x10
	s_load_b64 s[24:25], s[0:1], 0x28
	v_max_num_f32_e32 v5, v15, v15
	v_xor_b32_e32 v2, 16, v1
	v_xor_b32_e32 v4, 8, v1
	s_delay_alu instid0(VALU_DEP_2) | instskip(SKIP_2) | instid1(VALU_DEP_3)
	v_cmp_gt_i32_e32 vcc_lo, 32, v2
	s_wait_alu 0xfffd
	v_cndmask_b32_e32 v2, v1, v2, vcc_lo
	v_cmp_gt_i32_e32 vcc_lo, 32, v4
	s_delay_alu instid0(VALU_DEP_2)
	v_lshlrev_b32_e32 v2, 2, v2
	s_wait_alu 0xfffd
	v_cndmask_b32_e32 v4, v1, v4, vcc_lo
	ds_bpermute_b32 v3, v2, v15
	s_wait_dscnt 0x0
	v_dual_max_num_f32 v6, v3, v3 :: v_dual_lshlrev_b32 v3, 2, v4
	s_delay_alu instid0(VALU_DEP_1)
	v_max_num_f32_e32 v4, v5, v6
	v_xor_b32_e32 v6, 4, v1
	ds_bpermute_b32 v5, v3, v4
	v_cmp_gt_i32_e32 vcc_lo, 32, v6
	s_wait_alu 0xfffd
	v_cndmask_b32_e32 v6, v1, v6, vcc_lo
	s_wait_dscnt 0x0
	v_max_num_f32_e32 v7, v5, v5
	s_delay_alu instid0(VALU_DEP_1)
	v_dual_max_num_f32 v4, v4, v7 :: v_dual_lshlrev_b32 v5, 2, v6
	v_xor_b32_e32 v7, 2, v1
	ds_bpermute_b32 v6, v5, v4
	v_cmp_gt_i32_e32 vcc_lo, 32, v7
	s_wait_dscnt 0x0
	s_wait_alu 0xfffd
	v_dual_cndmask_b32 v7, v1, v7 :: v_dual_max_num_f32 v6, v6, v6
	s_delay_alu instid0(VALU_DEP_1) | instskip(SKIP_1) | instid1(VALU_DEP_1)
	v_lshlrev_b32_e32 v15, 2, v7
	v_xor_b32_e32 v7, 1, v1
	v_cmp_gt_i32_e32 vcc_lo, 32, v7
	s_wait_alu 0xfffd
	v_dual_max_num_f32 v4, v4, v6 :: v_dual_cndmask_b32 v7, v1, v7
	ds_bpermute_b32 v6, v15, v4
	v_cmp_eq_u32_e32 vcc_lo, 0, v12
	v_lshlrev_b32_e32 v16, 2, v7
	s_wait_dscnt 0x0
	v_max_num_f32_e32 v6, v6, v6
	s_delay_alu instid0(VALU_DEP_1)
	v_dual_max_num_f32 v1, v4, v6 :: v_dual_lshlrev_b32 v6, 2, v11
	ds_bpermute_b32 v4, v16, v1
	s_and_saveexec_b32 s0, vcc_lo
	s_cbranch_execz .LBB298_267
; %bb.266:
	s_wait_dscnt 0x0
	v_dual_max_num_f32 v4, v4, v4 :: v_dual_max_num_f32 v1, v1, v1
	s_delay_alu instid0(VALU_DEP_1)
	v_max_num_f32_e32 v1, v1, v4
	ds_store_b32 v6, v1 offset:64
.LBB298_267:
	s_or_b32 exec_lo, exec_lo, s0
	v_cmp_gt_u32_e64 s0, 4, v12
	v_mov_b32_e32 v1, 0xff7fffff
	s_wait_loadcnt_dscnt 0x0
	s_barrier_signal -1
	s_barrier_wait -1
	global_inv scope:SCOPE_SE
	s_and_saveexec_b32 s1, s0
; %bb.268:
	ds_load_b32 v1, v17 offset:64
; %bb.269:
	s_or_b32 exec_lo, exec_lo, s1
	s_wait_dscnt 0x0
	ds_bpermute_b32 v4, v15, v1
	v_max_num_f32_e32 v1, v1, v1
	s_sub_co_i32 s1, s17, s31
	v_mov_b32_e32 v7, 0
	s_lshl_b32 s1, s1, 5
	s_delay_alu instid0(SALU_CYCLE_1) | instskip(NEXT) | instid1(SALU_CYCLE_1)
	s_add_co_i32 s1, s1, s28
	s_min_i32 s1, s1, s27
	s_delay_alu instid0(SALU_CYCLE_1) | instskip(NEXT) | instid1(SALU_CYCLE_1)
	s_sub_co_i32 s14, s1, s28
	v_cmp_gt_i32_e64 s1, s14, v0
	s_wait_dscnt 0x0
	v_max_num_f32_e32 v4, v4, v4
	s_delay_alu instid0(VALU_DEP_1) | instskip(SKIP_3) | instid1(VALU_DEP_1)
	v_max_num_f32_e32 v1, v1, v4
	ds_bpermute_b32 v4, v16, v1
	s_wait_dscnt 0x0
	v_max_num_f32_e32 v4, v4, v4
	v_max_num_f32_e32 v1, v1, v4
	v_lshl_add_u32 v4, v0, 2, 0x60
	ds_bpermute_b32 v1, v7, v1
	s_and_saveexec_b32 s23, s1
	s_cbranch_execz .LBB298_273
; %bb.270:
	v_lshl_add_u32 v8, v0, 2, 0x60
	v_mov_b32_e32 v7, 0
	v_mov_b32_e32 v9, v0
	s_mov_b32 s31, 0
.LBB298_271:                            ; =>This Inner Loop Header: Depth=1
	ds_load_b32 v10, v8
	v_add_nc_u32_e32 v9, 0x80, v9
	s_delay_alu instid0(VALU_DEP_1) | instskip(SKIP_4) | instid1(VALU_DEP_1)
	v_cmp_le_i32_e64 s3, s14, v9
	s_wait_alu 0xfffe
	s_or_b32 s31, s3, s31
	s_wait_dscnt 0x0
	v_sub_f32_e32 v10, v10, v1
	v_mul_f32_e32 v10, 0x3fb8aa3b, v10
	s_delay_alu instid0(VALU_DEP_1)
	v_exp_f32_e32 v10, v10
	ds_store_b32 v8, v10
	v_dual_add_f32 v7, v7, v10 :: v_dual_add_nc_u32 v8, 0x200, v8
	s_wait_alu 0xfffe
	s_and_not1_b32 exec_lo, exec_lo, s31
	s_cbranch_execnz .LBB298_271
; %bb.272:
	s_or_b32 exec_lo, exec_lo, s31
.LBB298_273:
	s_wait_alu 0xfffe
	s_or_b32 exec_lo, exec_lo, s23
	ds_bpermute_b32 v2, v2, v7
	s_wait_dscnt 0x0
	v_add_f32_e32 v2, v7, v2
	ds_bpermute_b32 v3, v3, v2
	s_wait_dscnt 0x0
	v_add_f32_e32 v2, v2, v3
	ds_bpermute_b32 v3, v5, v2
	s_wait_dscnt 0x0
	v_add_f32_e32 v2, v2, v3
	ds_bpermute_b32 v3, v15, v2
	s_wait_dscnt 0x0
	v_add_f32_e32 v2, v2, v3
	ds_bpermute_b32 v3, v16, v2
	s_wait_dscnt 0x0
	v_add_f32_e32 v2, v2, v3
	s_and_saveexec_b32 s3, vcc_lo
; %bb.274:
	ds_store_b32 v6, v2 offset:80
; %bb.275:
	s_wait_alu 0xfffe
	s_or_b32 exec_lo, exec_lo, s3
	s_wait_loadcnt_dscnt 0x0
	s_barrier_signal -1
	s_barrier_wait -1
	global_inv scope:SCOPE_SE
	s_and_saveexec_b32 s3, s0
; %bb.276:
	ds_load_b32 v2, v17 offset:80
; %bb.277:
	s_wait_alu 0xfffe
	s_or_b32 exec_lo, exec_lo, s3
	s_wait_dscnt 0x0
	ds_bpermute_b32 v3, v15, v2
	s_wait_dscnt 0x0
	v_add_f32_e32 v2, v2, v3
	ds_bpermute_b32 v3, v16, v2
	s_wait_dscnt 0x0
	v_dual_add_f32 v2, v2, v3 :: v_dual_mov_b32 v3, 0
	ds_bpermute_b32 v2, v3, v2
	s_and_saveexec_b32 s0, s1
	s_cbranch_execz .LBB298_280
; %bb.278:
	s_wait_dscnt 0x0
	v_add_f32_e32 v3, 0x358637bd, v2
	s_mov_b32 s1, 0
	s_delay_alu instid0(VALU_DEP_1) | instskip(SKIP_1) | instid1(VALU_DEP_2)
	v_div_scale_f32 v5, null, v3, v3, 1.0
	v_div_scale_f32 v8, vcc_lo, 1.0, v3, 1.0
	v_rcp_f32_e32 v6, v5
	s_delay_alu instid0(TRANS32_DEP_1) | instskip(NEXT) | instid1(VALU_DEP_1)
	v_fma_f32 v7, -v5, v6, 1.0
	v_fmac_f32_e32 v6, v7, v6
	s_delay_alu instid0(VALU_DEP_1) | instskip(NEXT) | instid1(VALU_DEP_1)
	v_mul_f32_e32 v7, v8, v6
	v_fma_f32 v9, -v5, v7, v8
	s_delay_alu instid0(VALU_DEP_1) | instskip(NEXT) | instid1(VALU_DEP_1)
	v_fmac_f32_e32 v7, v9, v6
	v_fma_f32 v5, -v5, v7, v8
	s_wait_alu 0xfffd
	s_delay_alu instid0(VALU_DEP_1) | instskip(NEXT) | instid1(VALU_DEP_1)
	v_div_fmas_f32 v5, v5, v6, v7
	v_div_fixup_f32 v3, v5, v3, 1.0
	v_mov_b32_e32 v5, v0
.LBB298_279:                            ; =>This Inner Loop Header: Depth=1
	ds_load_b32 v6, v4
	s_wait_dscnt 0x0
	v_dual_mul_f32 v6, v3, v6 :: v_dual_add_nc_u32 v5, 0x80, v5
	s_delay_alu instid0(VALU_DEP_1) | instskip(SKIP_3) | instid1(SALU_CYCLE_1)
	v_cmp_le_i32_e32 vcc_lo, s14, v5
	ds_store_b32 v4, v6
	v_add_nc_u32_e32 v4, 0x200, v4
	s_or_b32 s1, vcc_lo, s1
	s_and_not1_b32 exec_lo, exec_lo, s1
	s_cbranch_execnz .LBB298_279
.LBB298_280:
	s_or_b32 exec_lo, exec_lo, s0
	s_mul_i32 s0, s12, s15
	s_wait_loadcnt_dscnt 0x0
	s_mul_i32 s14, s0, s29
	s_mov_b32 s0, exec_lo
	s_barrier_signal -1
	s_barrier_wait -1
	global_inv scope:SCOPE_SE
	v_cmpx_eq_u32_e32 0, v0
	s_cbranch_execz .LBB298_282
; %bb.281:
	s_wait_alu 0xfffe
	s_ashr_i32 s15, s14, 31
	s_mul_i32 s34, s12, ttmp9
	s_lshl_b32 s1, s26, 2
	s_wait_alu 0xfffe
	s_lshl_b64 s[36:37], s[14:15], 2
	s_ashr_i32 s35, s34, 31
	v_mov_b32_e32 v3, s1
	s_add_nc_u64 s[6:7], s[6:7], s[36:37]
	s_wait_alu 0xfffe
	s_lshl_b64 s[34:35], s[34:35], 2
	s_add_nc_u64 s[4:5], s[4:5], s[36:37]
	s_wait_alu 0xfffe
	s_add_nc_u64 s[6:7], s[6:7], s[34:35]
	s_add_nc_u64 s[4:5], s[4:5], s[34:35]
	s_clause 0x1
	global_store_b32 v3, v1, s[6:7]
	global_store_b32 v3, v2, s[4:5]
.LBB298_282:
	s_or_b32 exec_lo, exec_lo, s0
	v_dual_mov_b32 v19, 0 :: v_dual_mov_b32 v20, 0
	v_dual_mov_b32 v18, 0 :: v_dual_and_b32 v17, 3, v0
	v_mov_b32_e32 v21, 0
	s_and_saveexec_b32 s1, s2
	s_cbranch_execz .LBB298_550
; %bb.283:
	v_dual_mov_b32 v2, 0 :: v_dual_lshlrev_b32 v1, 3, v0
	v_dual_mov_b32 v18, 0 :: v_dual_lshlrev_b32 v3, 5, v17
	s_ashr_i32 s23, s22, 31
	s_delay_alu instid0(VALU_DEP_2)
	v_dual_mov_b32 v20, 0 :: v_dual_and_b32 v5, 24, v1
	v_and_b32_e32 v1, 0xf8, v1
	s_wait_kmcnt 0x0
	s_wait_alu 0xfffe
	s_add_nc_u64 s[6:7], s[24:25], s[22:23]
	v_lshl_or_b32 v7, v11, 7, v3
	v_lshl_add_u32 v6, v11, 5, s28
	v_mov_b32_e32 v21, 0
	s_wait_alu 0xfffe
	v_add_co_u32 v3, s0, s6, v1
	s_wait_alu 0xf1ff
	v_add_co_ci_u32_e64 v4, null, s7, 0, s0
	s_lshl_b64 s[6:7], s[20:21], 2
	v_add3_u32 v22, v6, v5, 7
	s_wait_alu 0xfffe
	s_add_nc_u64 s[6:7], s[18:19], s[6:7]
	v_add_nc_u32_e32 v23, 0x60, v7
	s_wait_alu 0xfffe
	v_add_co_u32 v5, s0, s6, v14
	s_wait_alu 0xf1ff
	v_add_co_ci_u32_e64 v6, null, s7, 0, s0
	v_mov_b32_e32 v19, 0
	s_mov_b32 s2, -1
	s_mov_b32 s4, s13
	s_mov_b32 s3, 0xffffff
	s_add_co_i32 s30, s30, -1
	s_mov_b32 s5, 0
	s_branch .LBB298_285
.LBB298_284:                            ;   in Loop: Header=BB298_285 Depth=1
	s_wait_alu 0xfffe
	s_or_b32 exec_lo, exec_lo, s0
	;;#ASMSTART
	v_pk_mul_f16 v1, v34, v40;

	;;#ASMEND
	;;#ASMSTART
	v_pk_mul_f16 v7, v32, v7;

	;;#ASMEND
	;; [unrolled: 4-line block ×4, first 2 shown]
	;;#ASMSTART
	v_pk_add_f16 v1, v1, v7;

	;;#ASMEND
	;;#ASMSTART
	v_pk_add_f16 v1, v1, v8;

	;;#ASMEND
	;; [unrolled: 4-line block ×3, first 2 shown]
	v_add_nc_u32_e32 v13, 4, v13
	v_and_b32_e32 v14, 0xffff, v1
	v_lshrrev_b32_e32 v24, 16, v1
	v_add_f32_e32 v1, v9, v10
	;;#ASMSTART
	v_cvt_f32_f16 v9, v14;
	;;#ASMEND
	v_dual_add_f32 v7, v36, v37 :: v_dual_add_f32 v8, v33, v35
	;;#ASMSTART
	v_cvt_f32_f16 v10, v24;
	;;#ASMEND
	s_delay_alu instid0(VALU_DEP_2) | instskip(SKIP_2) | instid1(VALU_DEP_3)
	v_dual_add_f32 v9, v9, v10 :: v_dual_add_f32 v20, v20, v1
	v_cmp_le_i32_e32 vcc_lo, s17, v13
	v_add_co_u32 v5, s0, v5, 16
	v_dual_add_f32 v21, v21, v7 :: v_dual_add_f32 v18, v18, v9
	v_dual_add_f32 v19, v19, v8 :: v_dual_add_nc_u32 v22, 0x80, v22
	v_add_nc_u32_e32 v23, 0x200, v23
	s_wait_alu 0xf1ff
	v_add_co_ci_u32_e64 v6, null, 0, v6, s0
	s_or_b32 s5, vcc_lo, s5
	s_wait_alu 0xfffe
	s_and_not1_b32 exec_lo, exec_lo, s5
	s_cbranch_execz .LBB298_549
.LBB298_285:                            ; =>This Inner Loop Header: Depth=1
	global_load_b32 v1, v[5:6], off
	ds_load_2addr_b64 v[24:27], v23 offset1:1
	ds_load_2addr_b64 v[36:39], v23 offset0:2 offset1:3
	s_mov_b32 s0, exec_lo
	s_wait_dscnt 0x1
	;;#ASMSTART
	v_cvt_f16_f32 v30, v24;

	;;#ASMEND
	;;#ASMSTART
	v_cvt_f16_f32 v31, v25;

	;;#ASMEND
	;; [unrolled: 4-line block ×4, first 2 shown]
	s_wait_dscnt 0x0
	;;#ASMSTART
	v_cvt_f16_f32 v36, v36;

	;;#ASMEND
	;;#ASMSTART
	v_cvt_f16_f32 v33, v37;

	;;#ASMEND
	;; [unrolled: 4-line block ×4, first 2 shown]
	v_mov_b32_e32 v25, 0
	s_wait_loadcnt 0x0
	s_wait_alu 0xfffe
	v_mad_co_i64_i32 v[7:8], null, v1, s4, v[3:4]
	global_load_b64 v[9:10], v[7:8], off
	global_load_b32 v24, v2, s[10:11]
	s_wait_loadcnt 0x1
	v_and_b32_e32 v1, 0xff, v9
	s_delay_alu instid0(VALU_DEP_1)
	v_cmpx_ne_u16_e32 0, v1
	s_cbranch_execz .LBB298_293
; %bb.286:                              ;   in Loop: Header=BB298_285 Depth=1
	v_mov_b32_e32 v25, 0x8000
	s_mov_b32 s6, exec_lo
	v_cmpx_ne_u16_e32 0x80, v1
	s_cbranch_execz .LBB298_292
; %bb.287:                              ;   in Loop: Header=BB298_285 Depth=1
	v_and_b32_e32 v26, 0x7f, v9
	v_mov_b32_e32 v25, 0x7c01
	s_mov_b32 s7, exec_lo
	s_delay_alu instid0(VALU_DEP_2)
	v_cmpx_ne_u32_e32 0x7f, v26
	s_cbranch_execz .LBB298_291
; %bb.288:                              ;   in Loop: Header=BB298_285 Depth=1
	v_and_b32_e32 v1, 7, v9
	v_lshrrev_b32_e32 v14, 3, v26
	s_mov_b32 s13, exec_lo
	v_cmpx_gt_u32_e32 8, v26
; %bb.289:                              ;   in Loop: Header=BB298_285 Depth=1
	s_delay_alu instid0(VALU_DEP_3) | instskip(NEXT) | instid1(VALU_DEP_1)
	v_clz_i32_u32_e32 v1, v1
	v_min_u32_e32 v1, 32, v1
	s_delay_alu instid0(VALU_DEP_1) | instskip(NEXT) | instid1(VALU_DEP_1)
	v_subrev_nc_u32_e32 v14, 28, v1
	v_lshlrev_b64_e32 v[25:26], v14, v[9:10]
	v_sub_nc_u32_e32 v14, 29, v1
	s_delay_alu instid0(VALU_DEP_2)
	v_and_b32_e32 v1, 7, v25
; %bb.290:                              ;   in Loop: Header=BB298_285 Depth=1
	s_or_b32 exec_lo, exec_lo, s13
	v_lshlrev_b32_e32 v25, 8, v9
	s_delay_alu instid0(VALU_DEP_3) | instskip(NEXT) | instid1(VALU_DEP_3)
	v_lshl_add_u32 v14, v14, 10, 0x2000
	v_lshlrev_b32_e32 v1, 7, v1
	s_delay_alu instid0(VALU_DEP_3) | instskip(NEXT) | instid1(VALU_DEP_3)
	v_and_b32_e32 v25, 0x8000, v25
	v_and_b32_e32 v14, 0xfc00, v14
	s_delay_alu instid0(VALU_DEP_1)
	v_or3_b32 v25, v25, v14, v1
.LBB298_291:                            ;   in Loop: Header=BB298_285 Depth=1
	s_wait_alu 0xfffe
	s_or_b32 exec_lo, exec_lo, s7
.LBB298_292:                            ;   in Loop: Header=BB298_285 Depth=1
	s_wait_alu 0xfffe
	s_or_b32 exec_lo, exec_lo, s6
.LBB298_293:                            ;   in Loop: Header=BB298_285 Depth=1
	s_delay_alu instid0(SALU_CYCLE_1) | instskip(SKIP_4) | instid1(VALU_DEP_3)
	s_or_b32 exec_lo, exec_lo, s0
	v_lshrrev_b16 v1, 8, v9
	v_mov_b32_e32 v14, 0
	v_mov_b32_e32 v26, 0
	s_mov_b32 s0, exec_lo
	v_cmpx_ne_u16_e32 0, v1
	s_cbranch_execz .LBB298_301
; %bb.294:                              ;   in Loop: Header=BB298_285 Depth=1
	v_bfrev_b32_e32 v26, 1
	s_mov_b32 s6, exec_lo
	v_cmpx_ne_u16_e32 0x80, v1
	s_cbranch_execz .LBB298_300
; %bb.295:                              ;   in Loop: Header=BB298_285 Depth=1
	v_and_b32_e32 v27, 0xffff, v1
	v_mov_b32_e32 v26, 0x7c010000
	s_mov_b32 s7, exec_lo
	s_delay_alu instid0(VALU_DEP_2) | instskip(NEXT) | instid1(VALU_DEP_1)
	v_and_b32_e32 v29, 0x7f, v27
	v_cmpx_ne_u32_e32 0x7f, v29
	s_cbranch_execz .LBB298_299
; %bb.296:                              ;   in Loop: Header=BB298_285 Depth=1
	v_and_b32_e32 v26, 7, v27
	v_lshrrev_b32_e32 v28, 3, v29
	s_mov_b32 s13, exec_lo
	v_cmpx_gt_u32_e32 8, v29
; %bb.297:                              ;   in Loop: Header=BB298_285 Depth=1
	s_delay_alu instid0(VALU_DEP_3) | instskip(NEXT) | instid1(VALU_DEP_1)
	v_clz_i32_u32_e32 v26, v26
	v_min_u32_e32 v26, 32, v26
	s_delay_alu instid0(VALU_DEP_1) | instskip(NEXT) | instid1(VALU_DEP_1)
	v_subrev_nc_u32_e32 v28, 28, v26
	v_lshlrev_b64_e32 v[38:39], v28, v[1:2]
	v_sub_nc_u32_e32 v28, 29, v26
	s_delay_alu instid0(VALU_DEP_2)
	v_and_b32_e32 v26, 7, v38
; %bb.298:                              ;   in Loop: Header=BB298_285 Depth=1
	s_or_b32 exec_lo, exec_lo, s13
	v_lshlrev_b32_e32 v1, 8, v27
	s_delay_alu instid0(VALU_DEP_3) | instskip(NEXT) | instid1(VALU_DEP_3)
	v_lshl_add_u32 v27, v28, 10, 0x2000
	v_lshlrev_b32_e32 v26, 23, v26
	s_delay_alu instid0(VALU_DEP_2) | instskip(NEXT) | instid1(VALU_DEP_1)
	v_and_or_b32 v1, 0x8000, v1, v27
	v_lshl_or_b32 v26, v1, 16, v26
.LBB298_299:                            ;   in Loop: Header=BB298_285 Depth=1
	s_wait_alu 0xfffe
	s_or_b32 exec_lo, exec_lo, s7
.LBB298_300:                            ;   in Loop: Header=BB298_285 Depth=1
	s_wait_alu 0xfffe
	s_or_b32 exec_lo, exec_lo, s6
.LBB298_301:                            ;   in Loop: Header=BB298_285 Depth=1
	s_wait_alu 0xfffe
	s_or_b32 exec_lo, exec_lo, s0
	v_lshrrev_b32_e32 v1, 16, v9
	s_mov_b32 s0, exec_lo
	s_delay_alu instid0(VALU_DEP_1) | instskip(NEXT) | instid1(VALU_DEP_1)
	v_and_b32_e32 v27, 0xff, v1
	v_cmpx_ne_u16_e32 0, v27
	s_cbranch_execz .LBB298_309
; %bb.302:                              ;   in Loop: Header=BB298_285 Depth=1
	v_mov_b32_e32 v14, 0x8000
	s_mov_b32 s6, exec_lo
	v_cmpx_ne_u16_e32 0x80, v27
	s_cbranch_execz .LBB298_308
; %bb.303:                              ;   in Loop: Header=BB298_285 Depth=1
	v_bfe_u32 v28, v9, 16, 7
	v_mov_b32_e32 v14, 0x7c01
	s_mov_b32 s7, exec_lo
	s_delay_alu instid0(VALU_DEP_2)
	v_cmpx_ne_u32_e32 0x7f, v28
	s_cbranch_execz .LBB298_307
; %bb.304:                              ;   in Loop: Header=BB298_285 Depth=1
	v_and_b32_e32 v14, 7, v1
	v_lshrrev_b32_e32 v27, 3, v28
	s_mov_b32 s13, exec_lo
	v_cmpx_gt_u32_e32 8, v28
; %bb.305:                              ;   in Loop: Header=BB298_285 Depth=1
	s_delay_alu instid0(VALU_DEP_3) | instskip(NEXT) | instid1(VALU_DEP_1)
	v_clz_i32_u32_e32 v14, v14
	v_min_u32_e32 v14, 32, v14
	s_delay_alu instid0(VALU_DEP_1) | instskip(NEXT) | instid1(VALU_DEP_1)
	v_subrev_nc_u32_e32 v27, 28, v14
	v_lshlrev_b64_e32 v[28:29], v27, v[1:2]
	v_sub_nc_u32_e32 v27, 29, v14
	s_delay_alu instid0(VALU_DEP_2)
	v_and_b32_e32 v14, 7, v28
; %bb.306:                              ;   in Loop: Header=BB298_285 Depth=1
	s_or_b32 exec_lo, exec_lo, s13
	v_lshlrev_b32_e32 v1, 8, v1
	s_delay_alu instid0(VALU_DEP_3) | instskip(NEXT) | instid1(VALU_DEP_3)
	v_lshl_add_u32 v27, v27, 10, 0x2000
	v_lshlrev_b32_e32 v14, 7, v14
	s_delay_alu instid0(VALU_DEP_3) | instskip(NEXT) | instid1(VALU_DEP_3)
	v_and_b32_e32 v1, 0x8000, v1
	v_and_b32_e32 v27, 0xfc00, v27
	s_delay_alu instid0(VALU_DEP_1)
	v_or3_b32 v14, v1, v27, v14
.LBB298_307:                            ;   in Loop: Header=BB298_285 Depth=1
	s_wait_alu 0xfffe
	s_or_b32 exec_lo, exec_lo, s7
.LBB298_308:                            ;   in Loop: Header=BB298_285 Depth=1
	s_wait_alu 0xfffe
	s_or_b32 exec_lo, exec_lo, s6
.LBB298_309:                            ;   in Loop: Header=BB298_285 Depth=1
	s_wait_alu 0xfffe
	s_or_b32 exec_lo, exec_lo, s0
	v_dual_mov_b32 v27, 0 :: v_dual_mov_b32 v28, 0
	s_mov_b32 s0, exec_lo
	v_cmpx_lt_u32_e32 0xffffff, v9
	s_cbranch_execz .LBB298_317
; %bb.310:                              ;   in Loop: Header=BB298_285 Depth=1
	v_lshrrev_b32_e32 v1, 24, v9
	v_bfrev_b32_e32 v28, 1
	s_mov_b32 s6, exec_lo
	s_delay_alu instid0(VALU_DEP_2)
	v_cmpx_ne_u32_e32 0x80, v1
	s_cbranch_execz .LBB298_316
; %bb.311:                              ;   in Loop: Header=BB298_285 Depth=1
	v_and_b32_e32 v38, 0x7f, v1
	v_mov_b32_e32 v28, 0x7c010000
	s_mov_b32 s7, exec_lo
	s_delay_alu instid0(VALU_DEP_2)
	v_cmpx_ne_u32_e32 0x7f, v38
	s_cbranch_execz .LBB298_315
; %bb.312:                              ;   in Loop: Header=BB298_285 Depth=1
	v_and_b32_e32 v28, 7, v1
	v_lshrrev_b32_e32 v29, 3, v38
	s_mov_b32 s13, exec_lo
	v_cmpx_gt_u32_e32 8, v38
; %bb.313:                              ;   in Loop: Header=BB298_285 Depth=1
	s_delay_alu instid0(VALU_DEP_3) | instskip(NEXT) | instid1(VALU_DEP_1)
	v_clz_i32_u32_e32 v28, v28
	v_min_u32_e32 v38, 32, v28
	s_delay_alu instid0(VALU_DEP_1) | instskip(NEXT) | instid1(VALU_DEP_1)
	v_subrev_nc_u32_e32 v28, 28, v38
	v_lshlrev_b64_e32 v[28:29], v28, v[1:2]
	v_sub_nc_u32_e32 v29, 29, v38
	s_delay_alu instid0(VALU_DEP_2)
	v_and_b32_e32 v28, 7, v28
; %bb.314:                              ;   in Loop: Header=BB298_285 Depth=1
	s_or_b32 exec_lo, exec_lo, s13
	v_lshlrev_b32_e32 v1, 8, v1
	s_delay_alu instid0(VALU_DEP_3) | instskip(NEXT) | instid1(VALU_DEP_3)
	v_lshl_add_u32 v29, v29, 10, 0x2000
	v_lshlrev_b32_e32 v28, 23, v28
	s_delay_alu instid0(VALU_DEP_2) | instskip(NEXT) | instid1(VALU_DEP_1)
	v_and_or_b32 v1, 0x8000, v1, v29
	v_lshl_or_b32 v28, v1, 16, v28
.LBB298_315:                            ;   in Loop: Header=BB298_285 Depth=1
	s_wait_alu 0xfffe
	s_or_b32 exec_lo, exec_lo, s7
.LBB298_316:                            ;   in Loop: Header=BB298_285 Depth=1
	s_wait_alu 0xfffe
	s_or_b32 exec_lo, exec_lo, s6
.LBB298_317:                            ;   in Loop: Header=BB298_285 Depth=1
	s_wait_alu 0xfffe
	s_or_b32 exec_lo, exec_lo, s0
	v_and_b32_e32 v29, 0xff, v10
	v_mov_b32_e32 v1, v10
	s_mov_b32 s0, exec_lo
	s_delay_alu instid0(VALU_DEP_2)
	v_cmpx_ne_u16_e32 0, v29
	s_cbranch_execz .LBB298_325
; %bb.318:                              ;   in Loop: Header=BB298_285 Depth=1
	v_mov_b32_e32 v27, 0x8000
	s_mov_b32 s6, exec_lo
	v_cmpx_ne_u16_e32 0x80, v29
	s_cbranch_execz .LBB298_324
; %bb.319:                              ;   in Loop: Header=BB298_285 Depth=1
	v_and_b32_e32 v38, 0x7f, v10
	v_mov_b32_e32 v27, 0x7c01
	s_mov_b32 s7, exec_lo
	s_delay_alu instid0(VALU_DEP_2)
	v_cmpx_ne_u32_e32 0x7f, v38
	s_cbranch_execz .LBB298_323
; %bb.320:                              ;   in Loop: Header=BB298_285 Depth=1
	v_and_b32_e32 v27, 7, v10
	v_lshrrev_b32_e32 v29, 3, v38
	s_mov_b32 s13, exec_lo
	v_cmpx_gt_u32_e32 8, v38
; %bb.321:                              ;   in Loop: Header=BB298_285 Depth=1
	s_delay_alu instid0(VALU_DEP_3) | instskip(NEXT) | instid1(VALU_DEP_1)
	v_clz_i32_u32_e32 v27, v27
	v_min_u32_e32 v27, 32, v27
	s_delay_alu instid0(VALU_DEP_1) | instskip(NEXT) | instid1(VALU_DEP_1)
	v_subrev_nc_u32_e32 v29, 28, v27
	v_lshlrev_b64_e32 v[38:39], v29, v[1:2]
	v_sub_nc_u32_e32 v29, 29, v27
	s_delay_alu instid0(VALU_DEP_2)
	v_and_b32_e32 v27, 7, v38
; %bb.322:                              ;   in Loop: Header=BB298_285 Depth=1
	s_or_b32 exec_lo, exec_lo, s13
	v_lshlrev_b32_e32 v38, 8, v10
	s_delay_alu instid0(VALU_DEP_3) | instskip(NEXT) | instid1(VALU_DEP_3)
	v_lshl_add_u32 v29, v29, 10, 0x2000
	v_lshlrev_b32_e32 v27, 7, v27
	s_delay_alu instid0(VALU_DEP_3) | instskip(NEXT) | instid1(VALU_DEP_3)
	v_and_b32_e32 v38, 0x8000, v38
	v_and_b32_e32 v29, 0xfc00, v29
	s_delay_alu instid0(VALU_DEP_1)
	v_or3_b32 v27, v38, v29, v27
.LBB298_323:                            ;   in Loop: Header=BB298_285 Depth=1
	s_wait_alu 0xfffe
	s_or_b32 exec_lo, exec_lo, s7
.LBB298_324:                            ;   in Loop: Header=BB298_285 Depth=1
	s_wait_alu 0xfffe
	s_or_b32 exec_lo, exec_lo, s6
.LBB298_325:                            ;   in Loop: Header=BB298_285 Depth=1
	s_wait_alu 0xfffe
	s_or_b32 exec_lo, exec_lo, s0
	v_lshrrev_b16 v1, 8, v1
	v_dual_mov_b32 v38, 0 :: v_dual_mov_b32 v29, 0
	s_mov_b32 s0, exec_lo
	s_delay_alu instid0(VALU_DEP_2)
	v_cmpx_ne_u16_e32 0, v1
	s_cbranch_execz .LBB298_333
; %bb.326:                              ;   in Loop: Header=BB298_285 Depth=1
	v_bfrev_b32_e32 v29, 1
	s_mov_b32 s6, exec_lo
	v_cmpx_ne_u16_e32 0x80, v1
	s_cbranch_execz .LBB298_332
; %bb.327:                              ;   in Loop: Header=BB298_285 Depth=1
	v_and_b32_e32 v39, 0xffff, v1
	v_mov_b32_e32 v29, 0x7c010000
	s_mov_b32 s7, exec_lo
	s_delay_alu instid0(VALU_DEP_2) | instskip(NEXT) | instid1(VALU_DEP_1)
	v_and_b32_e32 v41, 0x7f, v39
	v_cmpx_ne_u32_e32 0x7f, v41
	s_cbranch_execz .LBB298_331
; %bb.328:                              ;   in Loop: Header=BB298_285 Depth=1
	v_and_b32_e32 v29, 7, v39
	v_lshrrev_b32_e32 v40, 3, v41
	s_mov_b32 s13, exec_lo
	v_cmpx_gt_u32_e32 8, v41
; %bb.329:                              ;   in Loop: Header=BB298_285 Depth=1
	s_delay_alu instid0(VALU_DEP_3) | instskip(NEXT) | instid1(VALU_DEP_1)
	v_clz_i32_u32_e32 v29, v29
	v_min_u32_e32 v29, 32, v29
	s_delay_alu instid0(VALU_DEP_1) | instskip(NEXT) | instid1(VALU_DEP_1)
	v_subrev_nc_u32_e32 v40, 28, v29
	v_lshlrev_b64_e32 v[41:42], v40, v[1:2]
	v_sub_nc_u32_e32 v40, 29, v29
	s_delay_alu instid0(VALU_DEP_2)
	v_and_b32_e32 v29, 7, v41
; %bb.330:                              ;   in Loop: Header=BB298_285 Depth=1
	s_or_b32 exec_lo, exec_lo, s13
	v_lshlrev_b32_e32 v1, 8, v39
	s_delay_alu instid0(VALU_DEP_3) | instskip(NEXT) | instid1(VALU_DEP_3)
	v_lshl_add_u32 v39, v40, 10, 0x2000
	v_lshlrev_b32_e32 v29, 23, v29
	s_delay_alu instid0(VALU_DEP_2) | instskip(NEXT) | instid1(VALU_DEP_1)
	v_and_or_b32 v1, 0x8000, v1, v39
	v_lshl_or_b32 v29, v1, 16, v29
.LBB298_331:                            ;   in Loop: Header=BB298_285 Depth=1
	s_wait_alu 0xfffe
	s_or_b32 exec_lo, exec_lo, s7
.LBB298_332:                            ;   in Loop: Header=BB298_285 Depth=1
	s_wait_alu 0xfffe
	s_or_b32 exec_lo, exec_lo, s6
.LBB298_333:                            ;   in Loop: Header=BB298_285 Depth=1
	s_wait_alu 0xfffe
	s_or_b32 exec_lo, exec_lo, s0
	v_lshrrev_b32_e32 v1, 16, v10
	s_mov_b32 s0, exec_lo
	s_delay_alu instid0(VALU_DEP_1) | instskip(NEXT) | instid1(VALU_DEP_1)
	v_and_b32_e32 v39, 0xff, v1
	v_cmpx_ne_u16_e32 0, v39
	s_cbranch_execz .LBB298_341
; %bb.334:                              ;   in Loop: Header=BB298_285 Depth=1
	v_mov_b32_e32 v38, 0x8000
	s_mov_b32 s6, exec_lo
	v_cmpx_ne_u16_e32 0x80, v39
	s_cbranch_execz .LBB298_340
; %bb.335:                              ;   in Loop: Header=BB298_285 Depth=1
	v_bfe_u32 v40, v10, 16, 7
	v_mov_b32_e32 v38, 0x7c01
	s_mov_b32 s7, exec_lo
	s_delay_alu instid0(VALU_DEP_2)
	v_cmpx_ne_u32_e32 0x7f, v40
	s_cbranch_execz .LBB298_339
; %bb.336:                              ;   in Loop: Header=BB298_285 Depth=1
	v_and_b32_e32 v38, 7, v1
	v_lshrrev_b32_e32 v39, 3, v40
	s_mov_b32 s13, exec_lo
	v_cmpx_gt_u32_e32 8, v40
; %bb.337:                              ;   in Loop: Header=BB298_285 Depth=1
	s_delay_alu instid0(VALU_DEP_3) | instskip(NEXT) | instid1(VALU_DEP_1)
	v_clz_i32_u32_e32 v38, v38
	v_min_u32_e32 v40, 32, v38
	s_delay_alu instid0(VALU_DEP_1) | instskip(NEXT) | instid1(VALU_DEP_1)
	v_subrev_nc_u32_e32 v38, 28, v40
	v_lshlrev_b64_e32 v[38:39], v38, v[1:2]
	v_sub_nc_u32_e32 v39, 29, v40
	s_delay_alu instid0(VALU_DEP_2)
	v_and_b32_e32 v38, 7, v38
; %bb.338:                              ;   in Loop: Header=BB298_285 Depth=1
	s_or_b32 exec_lo, exec_lo, s13
	v_lshlrev_b32_e32 v1, 8, v1
	s_delay_alu instid0(VALU_DEP_3) | instskip(NEXT) | instid1(VALU_DEP_3)
	v_lshl_add_u32 v39, v39, 10, 0x2000
	v_lshlrev_b32_e32 v38, 7, v38
	s_delay_alu instid0(VALU_DEP_3) | instskip(NEXT) | instid1(VALU_DEP_3)
	v_and_b32_e32 v1, 0x8000, v1
	v_and_b32_e32 v39, 0xfc00, v39
	s_delay_alu instid0(VALU_DEP_1)
	v_or3_b32 v38, v1, v39, v38
.LBB298_339:                            ;   in Loop: Header=BB298_285 Depth=1
	s_wait_alu 0xfffe
	s_or_b32 exec_lo, exec_lo, s7
.LBB298_340:                            ;   in Loop: Header=BB298_285 Depth=1
	s_wait_alu 0xfffe
	s_or_b32 exec_lo, exec_lo, s6
.LBB298_341:                            ;   in Loop: Header=BB298_285 Depth=1
	s_wait_alu 0xfffe
	s_or_b32 exec_lo, exec_lo, s0
	v_cmp_lt_u64_e32 vcc_lo, s[2:3], v[9:10]
	v_mov_b32_e32 v9, 0
	s_and_saveexec_b32 s0, vcc_lo
	s_cbranch_execz .LBB298_349
; %bb.342:                              ;   in Loop: Header=BB298_285 Depth=1
	v_lshrrev_b32_e32 v1, 24, v10
	v_bfrev_b32_e32 v9, 1
	s_mov_b32 s6, exec_lo
	s_delay_alu instid0(VALU_DEP_2)
	v_cmpx_ne_u32_e32 0x80, v1
	s_cbranch_execz .LBB298_348
; %bb.343:                              ;   in Loop: Header=BB298_285 Depth=1
	v_and_b32_e32 v39, 0x7f, v1
	v_mov_b32_e32 v9, 0x7c010000
	s_mov_b32 s7, exec_lo
	s_delay_alu instid0(VALU_DEP_2)
	v_cmpx_ne_u32_e32 0x7f, v39
	s_cbranch_execz .LBB298_347
; %bb.344:                              ;   in Loop: Header=BB298_285 Depth=1
	v_and_b32_e32 v9, 7, v1
	v_lshrrev_b32_e32 v10, 3, v39
	s_mov_b32 s13, exec_lo
	v_cmpx_gt_u32_e32 8, v39
; %bb.345:                              ;   in Loop: Header=BB298_285 Depth=1
	s_delay_alu instid0(VALU_DEP_3) | instskip(NEXT) | instid1(VALU_DEP_1)
	v_clz_i32_u32_e32 v9, v9
	v_min_u32_e32 v39, 32, v9
	s_delay_alu instid0(VALU_DEP_1) | instskip(NEXT) | instid1(VALU_DEP_1)
	v_subrev_nc_u32_e32 v9, 28, v39
	v_lshlrev_b64_e32 v[9:10], v9, v[1:2]
	v_sub_nc_u32_e32 v10, 29, v39
	s_delay_alu instid0(VALU_DEP_2)
	v_and_b32_e32 v9, 7, v9
; %bb.346:                              ;   in Loop: Header=BB298_285 Depth=1
	s_or_b32 exec_lo, exec_lo, s13
	v_lshlrev_b32_e32 v1, 8, v1
	s_delay_alu instid0(VALU_DEP_3) | instskip(NEXT) | instid1(VALU_DEP_3)
	v_lshl_add_u32 v10, v10, 10, 0x2000
	v_lshlrev_b32_e32 v9, 23, v9
	s_delay_alu instid0(VALU_DEP_2) | instskip(NEXT) | instid1(VALU_DEP_1)
	v_and_or_b32 v1, 0x8000, v1, v10
	v_lshl_or_b32 v9, v1, 16, v9
.LBB298_347:                            ;   in Loop: Header=BB298_285 Depth=1
	s_wait_alu 0xfffe
	s_or_b32 exec_lo, exec_lo, s7
.LBB298_348:                            ;   in Loop: Header=BB298_285 Depth=1
	s_wait_alu 0xfffe
	s_or_b32 exec_lo, exec_lo, s6
.LBB298_349:                            ;   in Loop: Header=BB298_285 Depth=1
	s_wait_alu 0xfffe
	s_or_b32 exec_lo, exec_lo, s0
	v_or_b32_e32 v1, v28, v14
	s_wait_loadcnt 0x0
	v_fma_mixlo_f16 v10, v24, v28, 0 op_sel:[0,1,0] op_sel_hi:[0,1,0]
	v_or_b32_e32 v25, v26, v25
	v_fma_mixlo_f16 v26, v24, v26, 0 op_sel:[0,1,0] op_sel_hi:[0,1,0]
	v_or_b32_e32 v27, v29, v27
	v_fma_mixlo_f16 v1, v24, v1, 0 op_sel_hi:[0,1,0]
	v_or_b32_e32 v28, v9, v38
	v_fma_mixlo_f16 v9, v24, v9, 0 op_sel:[0,1,0] op_sel_hi:[0,1,0]
	v_lshlrev_b32_e32 v44, 16, v26
	v_fma_mixlo_f16 v26, v24, v27, 0 op_sel_hi:[0,1,0]
	v_and_b32_e32 v41, 0xffff, v1
	v_fma_mixlo_f16 v1, v24, v25, 0 op_sel_hi:[0,1,0]
	v_fma_mixlo_f16 v25, v24, v29, 0 op_sel:[0,1,0] op_sel_hi:[0,1,0]
	v_fma_mixlo_f16 v24, v24, v28, 0 op_sel_hi:[0,1,0]
	v_lshlrev_b32_e32 v10, 16, v10
	v_and_b32_e32 v45, 0xffff, v26
	v_and_b32_e32 v46, 0xffff, v1
	v_lshlrev_b32_e32 v42, 16, v25
	v_lshlrev_b32_e32 v39, 16, v9
	v_and_b32_e32 v43, 0xffff, v24
	v_add_nc_u32_e32 v14, -7, v22
	v_cmp_eq_u32_e32 vcc_lo, s30, v13
	v_or_b32_e32 v1, v10, v41
	v_or_b32_e32 v9, v44, v46
	;; [unrolled: 1-line block ×4, first 2 shown]
	v_add_nc_u32_e32 v29, -6, v22
	v_add_nc_u32_e32 v28, -5, v22
	v_add_nc_u32_e32 v27, -4, v22
	v_add_nc_u32_e32 v26, -3, v22
	v_add_nc_u32_e32 v25, -2, v22
	v_add_nc_u32_e32 v24, -1, v22
	s_and_saveexec_b32 s6, vcc_lo
	s_cbranch_execz .LBB298_351
; %bb.350:                              ;   in Loop: Header=BB298_285 Depth=1
	v_cmp_gt_i32_e64 s0, s27, v14
	s_wait_alu 0xf1ff
	s_delay_alu instid0(VALU_DEP_1) | instskip(SKIP_2) | instid1(VALU_DEP_1)
	v_cndmask_b32_e64 v1, 0, v46, s0
	v_cmp_gt_i32_e64 s0, s27, v29
	s_wait_alu 0xf1ff
	v_cndmask_b32_e64 v9, 0, v44, s0
	v_cmp_gt_i32_e64 s0, s27, v28
	s_delay_alu instid0(VALU_DEP_2) | instskip(SKIP_1) | instid1(VALU_DEP_2)
	v_or_b32_e32 v9, v9, v1
	s_wait_alu 0xf1ff
	v_cndmask_b32_e64 v38, 0, v41, s0
	v_cmp_gt_i32_e64 s0, s27, v27
	s_wait_alu 0xf1ff
	s_delay_alu instid0(VALU_DEP_1) | instskip(SKIP_1) | instid1(VALU_DEP_2)
	v_cndmask_b32_e64 v10, 0, v10, s0
	v_cmp_gt_i32_e64 s0, s27, v26
	v_or_b32_e32 v1, v10, v38
	s_wait_alu 0xf1ff
	s_delay_alu instid0(VALU_DEP_2) | instskip(SKIP_2) | instid1(VALU_DEP_1)
	v_cndmask_b32_e64 v40, 0, v45, s0
	v_cmp_gt_i32_e64 s0, s27, v25
	s_wait_alu 0xf1ff
	v_cndmask_b32_e64 v41, 0, v42, s0
	v_cmp_gt_i32_e64 s0, s27, v24
	s_delay_alu instid0(VALU_DEP_2) | instskip(SKIP_1) | instid1(VALU_DEP_2)
	v_or_b32_e32 v38, v41, v40
	s_wait_alu 0xf1ff
	v_cndmask_b32_e64 v42, 0, v43, s0
	v_cmp_gt_i32_e64 s0, s27, v22
	s_wait_alu 0xf1ff
	s_delay_alu instid0(VALU_DEP_1) | instskip(NEXT) | instid1(VALU_DEP_1)
	v_cndmask_b32_e64 v39, 0, v39, s0
	v_or_b32_e32 v40, v39, v42
.LBB298_351:                            ;   in Loop: Header=BB298_285 Depth=1
	s_wait_alu 0xfffe
	s_or_b32 exec_lo, exec_lo, s6
	v_and_b32_e32 v10, 0xffff, v30
	v_and_b32_e32 v30, 0xffff, v34
	v_and_b32_e32 v37, 0xffff, v37
	v_and_b32_e32 v36, 0xffff, v36
	s_mov_b32 s6, exec_lo
	s_delay_alu instid0(VALU_DEP_3) | instskip(NEXT) | instid1(VALU_DEP_3)
	v_lshl_or_b32 v32, v32, 16, v30
	v_lshl_or_b32 v30, v35, 16, v37
	v_mov_b32_e32 v37, 0
	v_lshl_or_b32 v34, v31, 16, v10
	;;#ASMSTART
	v_pk_mul_f16 v9, v34, v9;

	;;#ASMEND
	;;#ASMSTART
	v_pk_mul_f16 v1, v32, v1;

	;;#ASMEND
	v_lshl_or_b32 v31, v33, 16, v36
	;;#ASMSTART
	v_pk_mul_f16 v10, v31, v38;

	;;#ASMEND
	;;#ASMSTART
	v_pk_mul_f16 v33, v30, v40;

	;;#ASMEND
	;;#ASMSTART
	v_pk_add_f16 v1, v9, v1;

	;;#ASMEND
	;;#ASMSTART
	v_pk_add_f16 v1, v1, v10;
	;; [unrolled: 4-line block ×3, first 2 shown]

	;;#ASMEND
	v_and_b32_e32 v9, 0xffff, v1
	v_lshrrev_b32_e32 v1, 16, v1
	;;#ASMSTART
	v_cvt_f32_f16 v33, v9;
	;;#ASMEND
	;;#ASMSTART
	v_cvt_f32_f16 v35, v1;
	;;#ASMEND
	global_load_b64 v[9:10], v[7:8], off offset:256
	global_load_b32 v36, v37, s[10:11]
	s_wait_loadcnt 0x1
	v_dual_mov_b32 v38, 0 :: v_dual_and_b32 v1, 0xff, v9
	s_delay_alu instid0(VALU_DEP_1)
	v_cmpx_ne_u16_e32 0, v1
	s_cbranch_execz .LBB298_359
; %bb.352:                              ;   in Loop: Header=BB298_285 Depth=1
	v_mov_b32_e32 v38, 0x8000
	s_mov_b32 s7, exec_lo
	v_cmpx_ne_u16_e32 0x80, v1
	s_cbranch_execz .LBB298_358
; %bb.353:                              ;   in Loop: Header=BB298_285 Depth=1
	v_and_b32_e32 v39, 0x7f, v9
	v_mov_b32_e32 v38, 0x7c01
	s_mov_b32 s13, exec_lo
	s_delay_alu instid0(VALU_DEP_2)
	v_cmpx_ne_u32_e32 0x7f, v39
	s_cbranch_execz .LBB298_357
; %bb.354:                              ;   in Loop: Header=BB298_285 Depth=1
	v_and_b32_e32 v1, 7, v9
	v_lshrrev_b32_e32 v38, 3, v39
	s_mov_b32 s15, exec_lo
	v_cmpx_gt_u32_e32 8, v39
; %bb.355:                              ;   in Loop: Header=BB298_285 Depth=1
	s_delay_alu instid0(VALU_DEP_3) | instskip(NEXT) | instid1(VALU_DEP_1)
	v_clz_i32_u32_e32 v1, v1
	v_min_u32_e32 v1, 32, v1
	s_delay_alu instid0(VALU_DEP_1) | instskip(NEXT) | instid1(VALU_DEP_1)
	v_subrev_nc_u32_e32 v38, 28, v1
	v_lshlrev_b64_e32 v[39:40], v38, v[9:10]
	v_sub_nc_u32_e32 v38, 29, v1
	s_delay_alu instid0(VALU_DEP_2)
	v_and_b32_e32 v1, 7, v39
; %bb.356:                              ;   in Loop: Header=BB298_285 Depth=1
	s_wait_alu 0xfffe
	s_or_b32 exec_lo, exec_lo, s15
	v_lshlrev_b32_e32 v39, 8, v9
	v_lshl_add_u32 v38, v38, 10, 0x2000
	v_lshlrev_b32_e32 v1, 7, v1
	s_delay_alu instid0(VALU_DEP_3) | instskip(NEXT) | instid1(VALU_DEP_3)
	v_and_b32_e32 v39, 0x8000, v39
	v_and_b32_e32 v38, 0xfc00, v38
	s_delay_alu instid0(VALU_DEP_1)
	v_or3_b32 v38, v39, v38, v1
.LBB298_357:                            ;   in Loop: Header=BB298_285 Depth=1
	s_or_b32 exec_lo, exec_lo, s13
.LBB298_358:                            ;   in Loop: Header=BB298_285 Depth=1
	s_wait_alu 0xfffe
	s_or_b32 exec_lo, exec_lo, s7
.LBB298_359:                            ;   in Loop: Header=BB298_285 Depth=1
	s_wait_alu 0xfffe
	s_or_b32 exec_lo, exec_lo, s6
	v_lshrrev_b16 v1, 8, v9
	s_mov_b32 s6, exec_lo
	s_delay_alu instid0(VALU_DEP_1)
	v_cmpx_ne_u16_e32 0, v1
	s_cbranch_execz .LBB298_367
; %bb.360:                              ;   in Loop: Header=BB298_285 Depth=1
	v_bfrev_b32_e32 v37, 1
	s_mov_b32 s7, exec_lo
	v_cmpx_ne_u16_e32 0x80, v1
	s_cbranch_execz .LBB298_366
; %bb.361:                              ;   in Loop: Header=BB298_285 Depth=1
	v_and_b32_e32 v39, 0xffff, v1
	v_mov_b32_e32 v37, 0x7c010000
	s_mov_b32 s13, exec_lo
	s_delay_alu instid0(VALU_DEP_2) | instskip(NEXT) | instid1(VALU_DEP_1)
	v_and_b32_e32 v41, 0x7f, v39
	v_cmpx_ne_u32_e32 0x7f, v41
	s_cbranch_execz .LBB298_365
; %bb.362:                              ;   in Loop: Header=BB298_285 Depth=1
	v_and_b32_e32 v37, 7, v39
	v_lshrrev_b32_e32 v40, 3, v41
	s_mov_b32 s15, exec_lo
	v_cmpx_gt_u32_e32 8, v41
; %bb.363:                              ;   in Loop: Header=BB298_285 Depth=1
	s_delay_alu instid0(VALU_DEP_3) | instskip(NEXT) | instid1(VALU_DEP_1)
	v_clz_i32_u32_e32 v37, v37
	v_min_u32_e32 v37, 32, v37
	s_delay_alu instid0(VALU_DEP_1) | instskip(NEXT) | instid1(VALU_DEP_1)
	v_subrev_nc_u32_e32 v40, 28, v37
	v_lshlrev_b64_e32 v[41:42], v40, v[1:2]
	v_sub_nc_u32_e32 v40, 29, v37
	s_delay_alu instid0(VALU_DEP_2)
	v_and_b32_e32 v37, 7, v41
; %bb.364:                              ;   in Loop: Header=BB298_285 Depth=1
	s_wait_alu 0xfffe
	s_or_b32 exec_lo, exec_lo, s15
	v_lshlrev_b32_e32 v1, 8, v39
	v_lshl_add_u32 v39, v40, 10, 0x2000
	v_lshlrev_b32_e32 v37, 23, v37
	s_delay_alu instid0(VALU_DEP_2) | instskip(NEXT) | instid1(VALU_DEP_1)
	v_and_or_b32 v1, 0x8000, v1, v39
	v_lshl_or_b32 v37, v1, 16, v37
.LBB298_365:                            ;   in Loop: Header=BB298_285 Depth=1
	s_or_b32 exec_lo, exec_lo, s13
.LBB298_366:                            ;   in Loop: Header=BB298_285 Depth=1
	s_wait_alu 0xfffe
	s_or_b32 exec_lo, exec_lo, s7
.LBB298_367:                            ;   in Loop: Header=BB298_285 Depth=1
	s_wait_alu 0xfffe
	s_or_b32 exec_lo, exec_lo, s6
	v_lshrrev_b32_e32 v1, 16, v9
	v_mov_b32_e32 v39, 0
	s_mov_b32 s6, exec_lo
	s_delay_alu instid0(VALU_DEP_2) | instskip(NEXT) | instid1(VALU_DEP_1)
	v_dual_mov_b32 v40, 0 :: v_dual_and_b32 v41, 0xff, v1
	v_cmpx_ne_u16_e32 0, v41
	s_cbranch_execz .LBB298_375
; %bb.368:                              ;   in Loop: Header=BB298_285 Depth=1
	v_mov_b32_e32 v40, 0x8000
	s_mov_b32 s7, exec_lo
	v_cmpx_ne_u16_e32 0x80, v41
	s_cbranch_execz .LBB298_374
; %bb.369:                              ;   in Loop: Header=BB298_285 Depth=1
	v_bfe_u32 v42, v9, 16, 7
	v_mov_b32_e32 v40, 0x7c01
	s_mov_b32 s13, exec_lo
	s_delay_alu instid0(VALU_DEP_2)
	v_cmpx_ne_u32_e32 0x7f, v42
	s_cbranch_execz .LBB298_373
; %bb.370:                              ;   in Loop: Header=BB298_285 Depth=1
	v_and_b32_e32 v40, 7, v1
	v_lshrrev_b32_e32 v41, 3, v42
	s_mov_b32 s15, exec_lo
	v_cmpx_gt_u32_e32 8, v42
; %bb.371:                              ;   in Loop: Header=BB298_285 Depth=1
	s_delay_alu instid0(VALU_DEP_3) | instskip(NEXT) | instid1(VALU_DEP_1)
	v_clz_i32_u32_e32 v40, v40
	v_min_u32_e32 v42, 32, v40
	s_delay_alu instid0(VALU_DEP_1) | instskip(NEXT) | instid1(VALU_DEP_1)
	v_subrev_nc_u32_e32 v40, 28, v42
	v_lshlrev_b64_e32 v[40:41], v40, v[1:2]
	v_sub_nc_u32_e32 v41, 29, v42
	s_delay_alu instid0(VALU_DEP_2)
	v_and_b32_e32 v40, 7, v40
; %bb.372:                              ;   in Loop: Header=BB298_285 Depth=1
	s_wait_alu 0xfffe
	s_or_b32 exec_lo, exec_lo, s15
	v_lshlrev_b32_e32 v1, 8, v1
	v_lshl_add_u32 v41, v41, 10, 0x2000
	v_lshlrev_b32_e32 v40, 7, v40
	s_delay_alu instid0(VALU_DEP_3) | instskip(NEXT) | instid1(VALU_DEP_3)
	v_and_b32_e32 v1, 0x8000, v1
	v_and_b32_e32 v41, 0xfc00, v41
	s_delay_alu instid0(VALU_DEP_1)
	v_or3_b32 v40, v1, v41, v40
.LBB298_373:                            ;   in Loop: Header=BB298_285 Depth=1
	s_or_b32 exec_lo, exec_lo, s13
.LBB298_374:                            ;   in Loop: Header=BB298_285 Depth=1
	s_wait_alu 0xfffe
	s_or_b32 exec_lo, exec_lo, s7
.LBB298_375:                            ;   in Loop: Header=BB298_285 Depth=1
	s_wait_alu 0xfffe
	s_or_b32 exec_lo, exec_lo, s6
	s_delay_alu instid0(SALU_CYCLE_1)
	s_mov_b32 s6, exec_lo
	v_cmpx_lt_u32_e32 0xffffff, v9
	s_cbranch_execz .LBB298_383
; %bb.376:                              ;   in Loop: Header=BB298_285 Depth=1
	v_lshrrev_b32_e32 v1, 24, v9
	v_bfrev_b32_e32 v39, 1
	s_mov_b32 s7, exec_lo
	s_delay_alu instid0(VALU_DEP_2)
	v_cmpx_ne_u32_e32 0x80, v1
	s_cbranch_execz .LBB298_382
; %bb.377:                              ;   in Loop: Header=BB298_285 Depth=1
	v_and_b32_e32 v42, 0x7f, v1
	v_mov_b32_e32 v39, 0x7c010000
	s_mov_b32 s13, exec_lo
	s_delay_alu instid0(VALU_DEP_2)
	v_cmpx_ne_u32_e32 0x7f, v42
	s_cbranch_execz .LBB298_381
; %bb.378:                              ;   in Loop: Header=BB298_285 Depth=1
	v_and_b32_e32 v39, 7, v1
	v_lshrrev_b32_e32 v41, 3, v42
	s_mov_b32 s15, exec_lo
	v_cmpx_gt_u32_e32 8, v42
; %bb.379:                              ;   in Loop: Header=BB298_285 Depth=1
	s_delay_alu instid0(VALU_DEP_3) | instskip(NEXT) | instid1(VALU_DEP_1)
	v_clz_i32_u32_e32 v39, v39
	v_min_u32_e32 v39, 32, v39
	s_delay_alu instid0(VALU_DEP_1) | instskip(NEXT) | instid1(VALU_DEP_1)
	v_subrev_nc_u32_e32 v41, 28, v39
	v_lshlrev_b64_e32 v[42:43], v41, v[1:2]
	v_sub_nc_u32_e32 v41, 29, v39
	s_delay_alu instid0(VALU_DEP_2)
	v_and_b32_e32 v39, 7, v42
; %bb.380:                              ;   in Loop: Header=BB298_285 Depth=1
	s_wait_alu 0xfffe
	s_or_b32 exec_lo, exec_lo, s15
	v_lshlrev_b32_e32 v1, 8, v1
	v_lshl_add_u32 v41, v41, 10, 0x2000
	v_lshlrev_b32_e32 v39, 23, v39
	s_delay_alu instid0(VALU_DEP_2) | instskip(NEXT) | instid1(VALU_DEP_1)
	v_and_or_b32 v1, 0x8000, v1, v41
	v_lshl_or_b32 v39, v1, 16, v39
.LBB298_381:                            ;   in Loop: Header=BB298_285 Depth=1
	s_or_b32 exec_lo, exec_lo, s13
.LBB298_382:                            ;   in Loop: Header=BB298_285 Depth=1
	s_wait_alu 0xfffe
	s_or_b32 exec_lo, exec_lo, s7
.LBB298_383:                            ;   in Loop: Header=BB298_285 Depth=1
	s_wait_alu 0xfffe
	s_or_b32 exec_lo, exec_lo, s6
	v_dual_mov_b32 v42, 0 :: v_dual_and_b32 v43, 0xff, v10
	v_mov_b32_e32 v1, v10
	v_mov_b32_e32 v41, 0
	s_mov_b32 s6, exec_lo
	s_delay_alu instid0(VALU_DEP_3)
	v_cmpx_ne_u16_e32 0, v43
	s_cbranch_execz .LBB298_391
; %bb.384:                              ;   in Loop: Header=BB298_285 Depth=1
	v_mov_b32_e32 v42, 0x8000
	s_mov_b32 s7, exec_lo
	v_cmpx_ne_u16_e32 0x80, v43
	s_cbranch_execz .LBB298_390
; %bb.385:                              ;   in Loop: Header=BB298_285 Depth=1
	v_and_b32_e32 v44, 0x7f, v10
	v_mov_b32_e32 v42, 0x7c01
	s_mov_b32 s13, exec_lo
	s_delay_alu instid0(VALU_DEP_2)
	v_cmpx_ne_u32_e32 0x7f, v44
	s_cbranch_execz .LBB298_389
; %bb.386:                              ;   in Loop: Header=BB298_285 Depth=1
	v_and_b32_e32 v42, 7, v10
	v_lshrrev_b32_e32 v43, 3, v44
	s_mov_b32 s15, exec_lo
	v_cmpx_gt_u32_e32 8, v44
; %bb.387:                              ;   in Loop: Header=BB298_285 Depth=1
	s_delay_alu instid0(VALU_DEP_3) | instskip(NEXT) | instid1(VALU_DEP_1)
	v_clz_i32_u32_e32 v42, v42
	v_min_u32_e32 v44, 32, v42
	s_delay_alu instid0(VALU_DEP_1) | instskip(NEXT) | instid1(VALU_DEP_1)
	v_subrev_nc_u32_e32 v42, 28, v44
	v_lshlrev_b64_e32 v[42:43], v42, v[1:2]
	v_sub_nc_u32_e32 v43, 29, v44
	s_delay_alu instid0(VALU_DEP_2)
	v_and_b32_e32 v42, 7, v42
; %bb.388:                              ;   in Loop: Header=BB298_285 Depth=1
	s_wait_alu 0xfffe
	s_or_b32 exec_lo, exec_lo, s15
	v_lshlrev_b32_e32 v44, 8, v10
	v_lshl_add_u32 v43, v43, 10, 0x2000
	v_lshlrev_b32_e32 v42, 7, v42
	s_delay_alu instid0(VALU_DEP_3) | instskip(NEXT) | instid1(VALU_DEP_3)
	v_and_b32_e32 v44, 0x8000, v44
	v_and_b32_e32 v43, 0xfc00, v43
	s_delay_alu instid0(VALU_DEP_1)
	v_or3_b32 v42, v44, v43, v42
.LBB298_389:                            ;   in Loop: Header=BB298_285 Depth=1
	s_or_b32 exec_lo, exec_lo, s13
.LBB298_390:                            ;   in Loop: Header=BB298_285 Depth=1
	s_wait_alu 0xfffe
	s_or_b32 exec_lo, exec_lo, s7
.LBB298_391:                            ;   in Loop: Header=BB298_285 Depth=1
	s_wait_alu 0xfffe
	s_or_b32 exec_lo, exec_lo, s6
	v_lshrrev_b16 v1, 8, v1
	v_mov_b32_e32 v43, 0
	s_mov_b32 s6, exec_lo
	s_delay_alu instid0(VALU_DEP_2)
	v_cmpx_ne_u16_e32 0, v1
	s_cbranch_execz .LBB298_399
; %bb.392:                              ;   in Loop: Header=BB298_285 Depth=1
	v_bfrev_b32_e32 v43, 1
	s_mov_b32 s7, exec_lo
	v_cmpx_ne_u16_e32 0x80, v1
	s_cbranch_execz .LBB298_398
; %bb.393:                              ;   in Loop: Header=BB298_285 Depth=1
	v_and_b32_e32 v44, 0xffff, v1
	v_mov_b32_e32 v43, 0x7c010000
	s_mov_b32 s13, exec_lo
	s_delay_alu instid0(VALU_DEP_2) | instskip(NEXT) | instid1(VALU_DEP_1)
	v_and_b32_e32 v46, 0x7f, v44
	v_cmpx_ne_u32_e32 0x7f, v46
	s_cbranch_execz .LBB298_397
; %bb.394:                              ;   in Loop: Header=BB298_285 Depth=1
	v_and_b32_e32 v43, 7, v44
	v_lshrrev_b32_e32 v45, 3, v46
	s_mov_b32 s15, exec_lo
	v_cmpx_gt_u32_e32 8, v46
; %bb.395:                              ;   in Loop: Header=BB298_285 Depth=1
	s_delay_alu instid0(VALU_DEP_3) | instskip(NEXT) | instid1(VALU_DEP_1)
	v_clz_i32_u32_e32 v43, v43
	v_min_u32_e32 v43, 32, v43
	s_delay_alu instid0(VALU_DEP_1) | instskip(NEXT) | instid1(VALU_DEP_1)
	v_subrev_nc_u32_e32 v45, 28, v43
	v_lshlrev_b64_e32 v[46:47], v45, v[1:2]
	v_sub_nc_u32_e32 v45, 29, v43
	s_delay_alu instid0(VALU_DEP_2)
	v_and_b32_e32 v43, 7, v46
; %bb.396:                              ;   in Loop: Header=BB298_285 Depth=1
	s_wait_alu 0xfffe
	s_or_b32 exec_lo, exec_lo, s15
	v_lshlrev_b32_e32 v1, 8, v44
	v_lshl_add_u32 v44, v45, 10, 0x2000
	v_lshlrev_b32_e32 v43, 23, v43
	s_delay_alu instid0(VALU_DEP_2) | instskip(NEXT) | instid1(VALU_DEP_1)
	v_and_or_b32 v1, 0x8000, v1, v44
	v_lshl_or_b32 v43, v1, 16, v43
.LBB298_397:                            ;   in Loop: Header=BB298_285 Depth=1
	s_or_b32 exec_lo, exec_lo, s13
.LBB298_398:                            ;   in Loop: Header=BB298_285 Depth=1
	s_wait_alu 0xfffe
	s_or_b32 exec_lo, exec_lo, s7
.LBB298_399:                            ;   in Loop: Header=BB298_285 Depth=1
	s_wait_alu 0xfffe
	s_or_b32 exec_lo, exec_lo, s6
	v_lshrrev_b32_e32 v1, 16, v10
	s_mov_b32 s6, exec_lo
	s_delay_alu instid0(VALU_DEP_1) | instskip(NEXT) | instid1(VALU_DEP_1)
	v_and_b32_e32 v44, 0xff, v1
	v_cmpx_ne_u16_e32 0, v44
	s_cbranch_execz .LBB298_407
; %bb.400:                              ;   in Loop: Header=BB298_285 Depth=1
	v_mov_b32_e32 v41, 0x8000
	s_mov_b32 s7, exec_lo
	v_cmpx_ne_u16_e32 0x80, v44
	s_cbranch_execz .LBB298_406
; %bb.401:                              ;   in Loop: Header=BB298_285 Depth=1
	v_bfe_u32 v45, v10, 16, 7
	v_mov_b32_e32 v41, 0x7c01
	s_mov_b32 s13, exec_lo
	s_delay_alu instid0(VALU_DEP_2)
	v_cmpx_ne_u32_e32 0x7f, v45
	s_cbranch_execz .LBB298_405
; %bb.402:                              ;   in Loop: Header=BB298_285 Depth=1
	v_and_b32_e32 v41, 7, v1
	v_lshrrev_b32_e32 v44, 3, v45
	s_mov_b32 s15, exec_lo
	v_cmpx_gt_u32_e32 8, v45
; %bb.403:                              ;   in Loop: Header=BB298_285 Depth=1
	s_delay_alu instid0(VALU_DEP_3) | instskip(NEXT) | instid1(VALU_DEP_1)
	v_clz_i32_u32_e32 v41, v41
	v_min_u32_e32 v41, 32, v41
	s_delay_alu instid0(VALU_DEP_1) | instskip(NEXT) | instid1(VALU_DEP_1)
	v_subrev_nc_u32_e32 v44, 28, v41
	v_lshlrev_b64_e32 v[45:46], v44, v[1:2]
	v_sub_nc_u32_e32 v44, 29, v41
	s_delay_alu instid0(VALU_DEP_2)
	v_and_b32_e32 v41, 7, v45
; %bb.404:                              ;   in Loop: Header=BB298_285 Depth=1
	s_wait_alu 0xfffe
	s_or_b32 exec_lo, exec_lo, s15
	v_lshlrev_b32_e32 v1, 8, v1
	v_lshl_add_u32 v44, v44, 10, 0x2000
	v_lshlrev_b32_e32 v41, 7, v41
	s_delay_alu instid0(VALU_DEP_3) | instskip(NEXT) | instid1(VALU_DEP_3)
	v_and_b32_e32 v1, 0x8000, v1
	v_and_b32_e32 v44, 0xfc00, v44
	s_delay_alu instid0(VALU_DEP_1)
	v_or3_b32 v41, v1, v44, v41
.LBB298_405:                            ;   in Loop: Header=BB298_285 Depth=1
	s_or_b32 exec_lo, exec_lo, s13
.LBB298_406:                            ;   in Loop: Header=BB298_285 Depth=1
	s_wait_alu 0xfffe
	s_or_b32 exec_lo, exec_lo, s7
.LBB298_407:                            ;   in Loop: Header=BB298_285 Depth=1
	s_wait_alu 0xfffe
	s_or_b32 exec_lo, exec_lo, s6
	v_cmp_lt_u64_e64 s0, s[2:3], v[9:10]
	v_mov_b32_e32 v9, 0
	s_and_saveexec_b32 s6, s0
	s_cbranch_execz .LBB298_415
; %bb.408:                              ;   in Loop: Header=BB298_285 Depth=1
	v_lshrrev_b32_e32 v1, 24, v10
	v_bfrev_b32_e32 v9, 1
	s_mov_b32 s7, exec_lo
	s_delay_alu instid0(VALU_DEP_2)
	v_cmpx_ne_u32_e32 0x80, v1
	s_cbranch_execz .LBB298_414
; %bb.409:                              ;   in Loop: Header=BB298_285 Depth=1
	v_and_b32_e32 v44, 0x7f, v1
	v_mov_b32_e32 v9, 0x7c010000
	s_mov_b32 s13, exec_lo
	s_delay_alu instid0(VALU_DEP_2)
	v_cmpx_ne_u32_e32 0x7f, v44
	s_cbranch_execz .LBB298_413
; %bb.410:                              ;   in Loop: Header=BB298_285 Depth=1
	v_and_b32_e32 v9, 7, v1
	v_lshrrev_b32_e32 v10, 3, v44
	s_mov_b32 s15, exec_lo
	v_cmpx_gt_u32_e32 8, v44
; %bb.411:                              ;   in Loop: Header=BB298_285 Depth=1
	s_delay_alu instid0(VALU_DEP_3) | instskip(NEXT) | instid1(VALU_DEP_1)
	v_clz_i32_u32_e32 v9, v9
	v_min_u32_e32 v44, 32, v9
	s_delay_alu instid0(VALU_DEP_1) | instskip(NEXT) | instid1(VALU_DEP_1)
	v_subrev_nc_u32_e32 v9, 28, v44
	v_lshlrev_b64_e32 v[9:10], v9, v[1:2]
	v_sub_nc_u32_e32 v10, 29, v44
	s_delay_alu instid0(VALU_DEP_2)
	v_and_b32_e32 v9, 7, v9
; %bb.412:                              ;   in Loop: Header=BB298_285 Depth=1
	s_wait_alu 0xfffe
	s_or_b32 exec_lo, exec_lo, s15
	v_lshlrev_b32_e32 v1, 8, v1
	v_lshl_add_u32 v10, v10, 10, 0x2000
	v_lshlrev_b32_e32 v9, 23, v9
	s_delay_alu instid0(VALU_DEP_2) | instskip(NEXT) | instid1(VALU_DEP_1)
	v_and_or_b32 v1, 0x8000, v1, v10
	v_lshl_or_b32 v9, v1, 16, v9
.LBB298_413:                            ;   in Loop: Header=BB298_285 Depth=1
	s_or_b32 exec_lo, exec_lo, s13
.LBB298_414:                            ;   in Loop: Header=BB298_285 Depth=1
	s_wait_alu 0xfffe
	s_or_b32 exec_lo, exec_lo, s7
.LBB298_415:                            ;   in Loop: Header=BB298_285 Depth=1
	s_wait_alu 0xfffe
	s_or_b32 exec_lo, exec_lo, s6
	v_or_b32_e32 v1, v39, v40
	s_wait_loadcnt 0x0
	v_fma_mixlo_f16 v10, v36, v39, 0 op_sel:[0,1,0] op_sel_hi:[0,1,0]
	v_or_b32_e32 v39, v37, v38
	v_fma_mixlo_f16 v37, v36, v37, 0 op_sel:[0,1,0] op_sel_hi:[0,1,0]
	v_or_b32_e32 v40, v43, v42
	v_or_b32_e32 v41, v9, v41
	v_fma_mixlo_f16 v42, v36, v1, 0 op_sel_hi:[0,1,0]
	v_fma_mixlo_f16 v9, v36, v9, 0 op_sel:[0,1,0] op_sel_hi:[0,1,0]
	v_lshlrev_b32_e32 v38, 16, v37
	v_fma_mixlo_f16 v37, v36, v39, 0 op_sel_hi:[0,1,0]
	v_fma_mixlo_f16 v39, v36, v43, 0 op_sel:[0,1,0] op_sel_hi:[0,1,0]
	v_fma_mixlo_f16 v40, v36, v40, 0 op_sel_hi:[0,1,0]
	v_fma_mixlo_f16 v41, v36, v41, 0 op_sel_hi:[0,1,0]
	v_lshlrev_b32_e32 v1, 16, v10
	v_and_b32_e32 v10, 0xffff, v42
	v_and_b32_e32 v44, 0xffff, v37
	v_lshlrev_b32_e32 v36, 16, v39
	v_and_b32_e32 v40, 0xffff, v40
	v_lshlrev_b32_e32 v9, 16, v9
	v_and_b32_e32 v37, 0xffff, v41
	v_or_b32_e32 v39, v1, v10
	v_or_b32_e32 v43, v38, v44
	;; [unrolled: 1-line block ×3, first 2 shown]
	s_delay_alu instid0(VALU_DEP_4)
	v_or_b32_e32 v41, v9, v37
	s_and_saveexec_b32 s6, vcc_lo
	s_cbranch_execz .LBB298_417
; %bb.416:                              ;   in Loop: Header=BB298_285 Depth=1
	v_cmp_gt_i32_e64 s0, s27, v14
	s_wait_alu 0xf1ff
	s_delay_alu instid0(VALU_DEP_1) | instskip(SKIP_2) | instid1(VALU_DEP_1)
	v_cndmask_b32_e64 v39, 0, v44, s0
	v_cmp_gt_i32_e64 s0, s27, v29
	s_wait_alu 0xf1ff
	v_cndmask_b32_e64 v38, 0, v38, s0
	v_cmp_gt_i32_e64 s0, s27, v28
	s_delay_alu instid0(VALU_DEP_2) | instskip(SKIP_1) | instid1(VALU_DEP_2)
	v_or_b32_e32 v43, v38, v39
	s_wait_alu 0xf1ff
	v_cndmask_b32_e64 v10, 0, v10, s0
	v_cmp_gt_i32_e64 s0, s27, v27
	s_wait_alu 0xf1ff
	s_delay_alu instid0(VALU_DEP_1) | instskip(SKIP_1) | instid1(VALU_DEP_2)
	v_cndmask_b32_e64 v1, 0, v1, s0
	v_cmp_gt_i32_e64 s0, s27, v26
	v_or_b32_e32 v39, v1, v10
	s_wait_alu 0xf1ff
	s_delay_alu instid0(VALU_DEP_2) | instskip(SKIP_2) | instid1(VALU_DEP_1)
	v_cndmask_b32_e64 v40, 0, v40, s0
	v_cmp_gt_i32_e64 s0, s27, v25
	s_wait_alu 0xf1ff
	v_cndmask_b32_e64 v36, 0, v36, s0
	v_cmp_gt_i32_e64 s0, s27, v24
	s_delay_alu instid0(VALU_DEP_2) | instskip(SKIP_1) | instid1(VALU_DEP_2)
	v_or_b32_e32 v42, v36, v40
	s_wait_alu 0xf1ff
	v_cndmask_b32_e64 v37, 0, v37, s0
	v_cmp_gt_i32_e64 s0, s27, v22
	s_wait_alu 0xf1ff
	s_delay_alu instid0(VALU_DEP_1) | instskip(NEXT) | instid1(VALU_DEP_1)
	v_cndmask_b32_e64 v9, 0, v9, s0
	v_or_b32_e32 v41, v9, v37
.LBB298_417:                            ;   in Loop: Header=BB298_285 Depth=1
	s_wait_alu 0xfffe
	s_or_b32 exec_lo, exec_lo, s6
	;;#ASMSTART
	v_pk_mul_f16 v1, v34, v43;

	;;#ASMEND
	;;#ASMSTART
	v_pk_mul_f16 v9, v32, v39;

	;;#ASMEND
	;; [unrolled: 4-line block ×4, first 2 shown]
	;;#ASMSTART
	v_pk_add_f16 v1, v1, v9;

	;;#ASMEND
	;;#ASMSTART
	v_pk_add_f16 v1, v1, v10;

	;;#ASMEND
	;; [unrolled: 4-line block ×3, first 2 shown]
	v_dual_mov_b32 v40, 0 :: v_dual_and_b32 v9, 0xffff, v1
	v_lshrrev_b32_e32 v1, 16, v1
	;;#ASMSTART
	v_cvt_f32_f16 v36, v9;
	;;#ASMEND
	;;#ASMSTART
	v_cvt_f32_f16 v37, v1;
	;;#ASMEND
	global_load_b64 v[9:10], v[7:8], off offset:512
	v_mov_b32_e32 v39, 0
	s_mov_b32 s6, exec_lo
	global_load_b32 v38, v39, s[10:11]
	s_wait_loadcnt 0x1
	v_and_b32_e32 v1, 0xff, v9
	s_delay_alu instid0(VALU_DEP_1)
	v_cmpx_ne_u16_e32 0, v1
	s_cbranch_execz .LBB298_425
; %bb.418:                              ;   in Loop: Header=BB298_285 Depth=1
	v_mov_b32_e32 v40, 0x8000
	s_mov_b32 s7, exec_lo
	v_cmpx_ne_u16_e32 0x80, v1
	s_cbranch_execz .LBB298_424
; %bb.419:                              ;   in Loop: Header=BB298_285 Depth=1
	v_and_b32_e32 v41, 0x7f, v9
	v_mov_b32_e32 v40, 0x7c01
	s_mov_b32 s13, exec_lo
	s_delay_alu instid0(VALU_DEP_2)
	v_cmpx_ne_u32_e32 0x7f, v41
	s_cbranch_execz .LBB298_423
; %bb.420:                              ;   in Loop: Header=BB298_285 Depth=1
	v_and_b32_e32 v1, 7, v9
	v_lshrrev_b32_e32 v40, 3, v41
	s_mov_b32 s15, exec_lo
	v_cmpx_gt_u32_e32 8, v41
; %bb.421:                              ;   in Loop: Header=BB298_285 Depth=1
	s_delay_alu instid0(VALU_DEP_3) | instskip(NEXT) | instid1(VALU_DEP_1)
	v_clz_i32_u32_e32 v1, v1
	v_min_u32_e32 v1, 32, v1
	s_delay_alu instid0(VALU_DEP_1) | instskip(NEXT) | instid1(VALU_DEP_1)
	v_subrev_nc_u32_e32 v40, 28, v1
	v_lshlrev_b64_e32 v[41:42], v40, v[9:10]
	v_sub_nc_u32_e32 v40, 29, v1
	s_delay_alu instid0(VALU_DEP_2)
	v_and_b32_e32 v1, 7, v41
; %bb.422:                              ;   in Loop: Header=BB298_285 Depth=1
	s_wait_alu 0xfffe
	s_or_b32 exec_lo, exec_lo, s15
	v_lshlrev_b32_e32 v41, 8, v9
	v_lshl_add_u32 v40, v40, 10, 0x2000
	v_lshlrev_b32_e32 v1, 7, v1
	s_delay_alu instid0(VALU_DEP_3) | instskip(NEXT) | instid1(VALU_DEP_3)
	v_and_b32_e32 v41, 0x8000, v41
	v_and_b32_e32 v40, 0xfc00, v40
	s_delay_alu instid0(VALU_DEP_1)
	v_or3_b32 v40, v41, v40, v1
.LBB298_423:                            ;   in Loop: Header=BB298_285 Depth=1
	s_or_b32 exec_lo, exec_lo, s13
.LBB298_424:                            ;   in Loop: Header=BB298_285 Depth=1
	s_wait_alu 0xfffe
	s_or_b32 exec_lo, exec_lo, s7
.LBB298_425:                            ;   in Loop: Header=BB298_285 Depth=1
	s_wait_alu 0xfffe
	s_or_b32 exec_lo, exec_lo, s6
	v_lshrrev_b16 v1, 8, v9
	s_mov_b32 s6, exec_lo
	s_delay_alu instid0(VALU_DEP_1)
	v_cmpx_ne_u16_e32 0, v1
	s_cbranch_execz .LBB298_433
; %bb.426:                              ;   in Loop: Header=BB298_285 Depth=1
	v_bfrev_b32_e32 v39, 1
	s_mov_b32 s7, exec_lo
	v_cmpx_ne_u16_e32 0x80, v1
	s_cbranch_execz .LBB298_432
; %bb.427:                              ;   in Loop: Header=BB298_285 Depth=1
	v_and_b32_e32 v41, 0xffff, v1
	v_mov_b32_e32 v39, 0x7c010000
	s_mov_b32 s13, exec_lo
	s_delay_alu instid0(VALU_DEP_2) | instskip(NEXT) | instid1(VALU_DEP_1)
	v_and_b32_e32 v43, 0x7f, v41
	v_cmpx_ne_u32_e32 0x7f, v43
	s_cbranch_execz .LBB298_431
; %bb.428:                              ;   in Loop: Header=BB298_285 Depth=1
	v_and_b32_e32 v39, 7, v41
	v_lshrrev_b32_e32 v42, 3, v43
	s_mov_b32 s15, exec_lo
	v_cmpx_gt_u32_e32 8, v43
; %bb.429:                              ;   in Loop: Header=BB298_285 Depth=1
	s_delay_alu instid0(VALU_DEP_3) | instskip(NEXT) | instid1(VALU_DEP_1)
	v_clz_i32_u32_e32 v39, v39
	v_min_u32_e32 v39, 32, v39
	s_delay_alu instid0(VALU_DEP_1) | instskip(NEXT) | instid1(VALU_DEP_1)
	v_subrev_nc_u32_e32 v42, 28, v39
	v_lshlrev_b64_e32 v[43:44], v42, v[1:2]
	v_sub_nc_u32_e32 v42, 29, v39
	s_delay_alu instid0(VALU_DEP_2)
	v_and_b32_e32 v39, 7, v43
; %bb.430:                              ;   in Loop: Header=BB298_285 Depth=1
	s_wait_alu 0xfffe
	s_or_b32 exec_lo, exec_lo, s15
	v_lshlrev_b32_e32 v1, 8, v41
	v_lshl_add_u32 v41, v42, 10, 0x2000
	v_lshlrev_b32_e32 v39, 23, v39
	s_delay_alu instid0(VALU_DEP_2) | instskip(NEXT) | instid1(VALU_DEP_1)
	v_and_or_b32 v1, 0x8000, v1, v41
	v_lshl_or_b32 v39, v1, 16, v39
.LBB298_431:                            ;   in Loop: Header=BB298_285 Depth=1
	s_or_b32 exec_lo, exec_lo, s13
.LBB298_432:                            ;   in Loop: Header=BB298_285 Depth=1
	s_wait_alu 0xfffe
	s_or_b32 exec_lo, exec_lo, s7
.LBB298_433:                            ;   in Loop: Header=BB298_285 Depth=1
	s_wait_alu 0xfffe
	s_or_b32 exec_lo, exec_lo, s6
	v_lshrrev_b32_e32 v1, 16, v9
	v_mov_b32_e32 v41, 0
	s_mov_b32 s6, exec_lo
	s_delay_alu instid0(VALU_DEP_2) | instskip(NEXT) | instid1(VALU_DEP_1)
	v_dual_mov_b32 v42, 0 :: v_dual_and_b32 v43, 0xff, v1
	v_cmpx_ne_u16_e32 0, v43
	s_cbranch_execz .LBB298_441
; %bb.434:                              ;   in Loop: Header=BB298_285 Depth=1
	v_mov_b32_e32 v42, 0x8000
	s_mov_b32 s7, exec_lo
	v_cmpx_ne_u16_e32 0x80, v43
	s_cbranch_execz .LBB298_440
; %bb.435:                              ;   in Loop: Header=BB298_285 Depth=1
	v_bfe_u32 v44, v9, 16, 7
	v_mov_b32_e32 v42, 0x7c01
	s_mov_b32 s13, exec_lo
	s_delay_alu instid0(VALU_DEP_2)
	v_cmpx_ne_u32_e32 0x7f, v44
	s_cbranch_execz .LBB298_439
; %bb.436:                              ;   in Loop: Header=BB298_285 Depth=1
	v_and_b32_e32 v42, 7, v1
	v_lshrrev_b32_e32 v43, 3, v44
	s_mov_b32 s15, exec_lo
	v_cmpx_gt_u32_e32 8, v44
; %bb.437:                              ;   in Loop: Header=BB298_285 Depth=1
	s_delay_alu instid0(VALU_DEP_3) | instskip(NEXT) | instid1(VALU_DEP_1)
	v_clz_i32_u32_e32 v42, v42
	v_min_u32_e32 v44, 32, v42
	s_delay_alu instid0(VALU_DEP_1) | instskip(NEXT) | instid1(VALU_DEP_1)
	v_subrev_nc_u32_e32 v42, 28, v44
	v_lshlrev_b64_e32 v[42:43], v42, v[1:2]
	v_sub_nc_u32_e32 v43, 29, v44
	s_delay_alu instid0(VALU_DEP_2)
	v_and_b32_e32 v42, 7, v42
; %bb.438:                              ;   in Loop: Header=BB298_285 Depth=1
	s_wait_alu 0xfffe
	s_or_b32 exec_lo, exec_lo, s15
	v_lshlrev_b32_e32 v1, 8, v1
	v_lshl_add_u32 v43, v43, 10, 0x2000
	v_lshlrev_b32_e32 v42, 7, v42
	s_delay_alu instid0(VALU_DEP_3) | instskip(NEXT) | instid1(VALU_DEP_3)
	v_and_b32_e32 v1, 0x8000, v1
	v_and_b32_e32 v43, 0xfc00, v43
	s_delay_alu instid0(VALU_DEP_1)
	v_or3_b32 v42, v1, v43, v42
.LBB298_439:                            ;   in Loop: Header=BB298_285 Depth=1
	s_or_b32 exec_lo, exec_lo, s13
.LBB298_440:                            ;   in Loop: Header=BB298_285 Depth=1
	s_wait_alu 0xfffe
	s_or_b32 exec_lo, exec_lo, s7
.LBB298_441:                            ;   in Loop: Header=BB298_285 Depth=1
	s_wait_alu 0xfffe
	s_or_b32 exec_lo, exec_lo, s6
	s_delay_alu instid0(SALU_CYCLE_1)
	s_mov_b32 s6, exec_lo
	v_cmpx_lt_u32_e32 0xffffff, v9
	s_cbranch_execz .LBB298_449
; %bb.442:                              ;   in Loop: Header=BB298_285 Depth=1
	v_lshrrev_b32_e32 v1, 24, v9
	v_bfrev_b32_e32 v41, 1
	s_mov_b32 s7, exec_lo
	s_delay_alu instid0(VALU_DEP_2)
	v_cmpx_ne_u32_e32 0x80, v1
	s_cbranch_execz .LBB298_448
; %bb.443:                              ;   in Loop: Header=BB298_285 Depth=1
	v_and_b32_e32 v44, 0x7f, v1
	v_mov_b32_e32 v41, 0x7c010000
	s_mov_b32 s13, exec_lo
	s_delay_alu instid0(VALU_DEP_2)
	v_cmpx_ne_u32_e32 0x7f, v44
	s_cbranch_execz .LBB298_447
; %bb.444:                              ;   in Loop: Header=BB298_285 Depth=1
	v_and_b32_e32 v41, 7, v1
	v_lshrrev_b32_e32 v43, 3, v44
	s_mov_b32 s15, exec_lo
	v_cmpx_gt_u32_e32 8, v44
; %bb.445:                              ;   in Loop: Header=BB298_285 Depth=1
	s_delay_alu instid0(VALU_DEP_3) | instskip(NEXT) | instid1(VALU_DEP_1)
	v_clz_i32_u32_e32 v41, v41
	v_min_u32_e32 v41, 32, v41
	s_delay_alu instid0(VALU_DEP_1) | instskip(NEXT) | instid1(VALU_DEP_1)
	v_subrev_nc_u32_e32 v43, 28, v41
	v_lshlrev_b64_e32 v[44:45], v43, v[1:2]
	v_sub_nc_u32_e32 v43, 29, v41
	s_delay_alu instid0(VALU_DEP_2)
	v_and_b32_e32 v41, 7, v44
; %bb.446:                              ;   in Loop: Header=BB298_285 Depth=1
	s_wait_alu 0xfffe
	s_or_b32 exec_lo, exec_lo, s15
	v_lshlrev_b32_e32 v1, 8, v1
	v_lshl_add_u32 v43, v43, 10, 0x2000
	v_lshlrev_b32_e32 v41, 23, v41
	s_delay_alu instid0(VALU_DEP_2) | instskip(NEXT) | instid1(VALU_DEP_1)
	v_and_or_b32 v1, 0x8000, v1, v43
	v_lshl_or_b32 v41, v1, 16, v41
.LBB298_447:                            ;   in Loop: Header=BB298_285 Depth=1
	s_or_b32 exec_lo, exec_lo, s13
.LBB298_448:                            ;   in Loop: Header=BB298_285 Depth=1
	s_wait_alu 0xfffe
	s_or_b32 exec_lo, exec_lo, s7
.LBB298_449:                            ;   in Loop: Header=BB298_285 Depth=1
	s_wait_alu 0xfffe
	s_or_b32 exec_lo, exec_lo, s6
	v_dual_mov_b32 v44, 0 :: v_dual_and_b32 v45, 0xff, v10
	v_mov_b32_e32 v1, v10
	v_mov_b32_e32 v43, 0
	s_mov_b32 s6, exec_lo
	s_delay_alu instid0(VALU_DEP_3)
	v_cmpx_ne_u16_e32 0, v45
	s_cbranch_execz .LBB298_457
; %bb.450:                              ;   in Loop: Header=BB298_285 Depth=1
	v_mov_b32_e32 v44, 0x8000
	s_mov_b32 s7, exec_lo
	v_cmpx_ne_u16_e32 0x80, v45
	s_cbranch_execz .LBB298_456
; %bb.451:                              ;   in Loop: Header=BB298_285 Depth=1
	v_and_b32_e32 v46, 0x7f, v10
	v_mov_b32_e32 v44, 0x7c01
	s_mov_b32 s13, exec_lo
	s_delay_alu instid0(VALU_DEP_2)
	v_cmpx_ne_u32_e32 0x7f, v46
	s_cbranch_execz .LBB298_455
; %bb.452:                              ;   in Loop: Header=BB298_285 Depth=1
	v_and_b32_e32 v44, 7, v10
	v_lshrrev_b32_e32 v45, 3, v46
	s_mov_b32 s15, exec_lo
	v_cmpx_gt_u32_e32 8, v46
; %bb.453:                              ;   in Loop: Header=BB298_285 Depth=1
	s_delay_alu instid0(VALU_DEP_3) | instskip(NEXT) | instid1(VALU_DEP_1)
	v_clz_i32_u32_e32 v44, v44
	v_min_u32_e32 v46, 32, v44
	s_delay_alu instid0(VALU_DEP_1) | instskip(NEXT) | instid1(VALU_DEP_1)
	v_subrev_nc_u32_e32 v44, 28, v46
	v_lshlrev_b64_e32 v[44:45], v44, v[1:2]
	v_sub_nc_u32_e32 v45, 29, v46
	s_delay_alu instid0(VALU_DEP_2)
	v_and_b32_e32 v44, 7, v44
; %bb.454:                              ;   in Loop: Header=BB298_285 Depth=1
	s_wait_alu 0xfffe
	s_or_b32 exec_lo, exec_lo, s15
	v_lshlrev_b32_e32 v46, 8, v10
	v_lshl_add_u32 v45, v45, 10, 0x2000
	v_lshlrev_b32_e32 v44, 7, v44
	s_delay_alu instid0(VALU_DEP_3) | instskip(NEXT) | instid1(VALU_DEP_3)
	v_and_b32_e32 v46, 0x8000, v46
	v_and_b32_e32 v45, 0xfc00, v45
	s_delay_alu instid0(VALU_DEP_1)
	v_or3_b32 v44, v46, v45, v44
.LBB298_455:                            ;   in Loop: Header=BB298_285 Depth=1
	s_or_b32 exec_lo, exec_lo, s13
.LBB298_456:                            ;   in Loop: Header=BB298_285 Depth=1
	s_wait_alu 0xfffe
	s_or_b32 exec_lo, exec_lo, s7
.LBB298_457:                            ;   in Loop: Header=BB298_285 Depth=1
	s_wait_alu 0xfffe
	s_or_b32 exec_lo, exec_lo, s6
	v_lshrrev_b16 v1, 8, v1
	v_mov_b32_e32 v45, 0
	s_mov_b32 s6, exec_lo
	s_delay_alu instid0(VALU_DEP_2)
	v_cmpx_ne_u16_e32 0, v1
	s_cbranch_execz .LBB298_465
; %bb.458:                              ;   in Loop: Header=BB298_285 Depth=1
	v_bfrev_b32_e32 v45, 1
	s_mov_b32 s7, exec_lo
	v_cmpx_ne_u16_e32 0x80, v1
	s_cbranch_execz .LBB298_464
; %bb.459:                              ;   in Loop: Header=BB298_285 Depth=1
	v_and_b32_e32 v46, 0xffff, v1
	v_mov_b32_e32 v45, 0x7c010000
	s_mov_b32 s13, exec_lo
	s_delay_alu instid0(VALU_DEP_2) | instskip(NEXT) | instid1(VALU_DEP_1)
	v_and_b32_e32 v48, 0x7f, v46
	v_cmpx_ne_u32_e32 0x7f, v48
	s_cbranch_execz .LBB298_463
; %bb.460:                              ;   in Loop: Header=BB298_285 Depth=1
	v_and_b32_e32 v45, 7, v46
	v_lshrrev_b32_e32 v47, 3, v48
	s_mov_b32 s15, exec_lo
	v_cmpx_gt_u32_e32 8, v48
; %bb.461:                              ;   in Loop: Header=BB298_285 Depth=1
	s_delay_alu instid0(VALU_DEP_3) | instskip(NEXT) | instid1(VALU_DEP_1)
	v_clz_i32_u32_e32 v45, v45
	v_min_u32_e32 v45, 32, v45
	s_delay_alu instid0(VALU_DEP_1) | instskip(NEXT) | instid1(VALU_DEP_1)
	v_subrev_nc_u32_e32 v47, 28, v45
	v_lshlrev_b64_e32 v[48:49], v47, v[1:2]
	v_sub_nc_u32_e32 v47, 29, v45
	s_delay_alu instid0(VALU_DEP_2)
	v_and_b32_e32 v45, 7, v48
; %bb.462:                              ;   in Loop: Header=BB298_285 Depth=1
	s_wait_alu 0xfffe
	s_or_b32 exec_lo, exec_lo, s15
	v_lshlrev_b32_e32 v1, 8, v46
	v_lshl_add_u32 v46, v47, 10, 0x2000
	v_lshlrev_b32_e32 v45, 23, v45
	s_delay_alu instid0(VALU_DEP_2) | instskip(NEXT) | instid1(VALU_DEP_1)
	v_and_or_b32 v1, 0x8000, v1, v46
	v_lshl_or_b32 v45, v1, 16, v45
.LBB298_463:                            ;   in Loop: Header=BB298_285 Depth=1
	s_or_b32 exec_lo, exec_lo, s13
.LBB298_464:                            ;   in Loop: Header=BB298_285 Depth=1
	s_wait_alu 0xfffe
	s_or_b32 exec_lo, exec_lo, s7
.LBB298_465:                            ;   in Loop: Header=BB298_285 Depth=1
	s_wait_alu 0xfffe
	s_or_b32 exec_lo, exec_lo, s6
	v_lshrrev_b32_e32 v1, 16, v10
	s_mov_b32 s6, exec_lo
	s_delay_alu instid0(VALU_DEP_1) | instskip(NEXT) | instid1(VALU_DEP_1)
	v_and_b32_e32 v46, 0xff, v1
	v_cmpx_ne_u16_e32 0, v46
	s_cbranch_execz .LBB298_473
; %bb.466:                              ;   in Loop: Header=BB298_285 Depth=1
	v_mov_b32_e32 v43, 0x8000
	s_mov_b32 s7, exec_lo
	v_cmpx_ne_u16_e32 0x80, v46
	s_cbranch_execz .LBB298_472
; %bb.467:                              ;   in Loop: Header=BB298_285 Depth=1
	v_bfe_u32 v47, v10, 16, 7
	v_mov_b32_e32 v43, 0x7c01
	s_mov_b32 s13, exec_lo
	s_delay_alu instid0(VALU_DEP_2)
	v_cmpx_ne_u32_e32 0x7f, v47
	s_cbranch_execz .LBB298_471
; %bb.468:                              ;   in Loop: Header=BB298_285 Depth=1
	v_and_b32_e32 v43, 7, v1
	v_lshrrev_b32_e32 v46, 3, v47
	s_mov_b32 s15, exec_lo
	v_cmpx_gt_u32_e32 8, v47
; %bb.469:                              ;   in Loop: Header=BB298_285 Depth=1
	s_delay_alu instid0(VALU_DEP_3) | instskip(NEXT) | instid1(VALU_DEP_1)
	v_clz_i32_u32_e32 v43, v43
	v_min_u32_e32 v43, 32, v43
	s_delay_alu instid0(VALU_DEP_1) | instskip(NEXT) | instid1(VALU_DEP_1)
	v_subrev_nc_u32_e32 v46, 28, v43
	v_lshlrev_b64_e32 v[47:48], v46, v[1:2]
	v_sub_nc_u32_e32 v46, 29, v43
	s_delay_alu instid0(VALU_DEP_2)
	v_and_b32_e32 v43, 7, v47
; %bb.470:                              ;   in Loop: Header=BB298_285 Depth=1
	s_wait_alu 0xfffe
	s_or_b32 exec_lo, exec_lo, s15
	v_lshlrev_b32_e32 v1, 8, v1
	v_lshl_add_u32 v46, v46, 10, 0x2000
	v_lshlrev_b32_e32 v43, 7, v43
	s_delay_alu instid0(VALU_DEP_3) | instskip(NEXT) | instid1(VALU_DEP_3)
	v_and_b32_e32 v1, 0x8000, v1
	v_and_b32_e32 v46, 0xfc00, v46
	s_delay_alu instid0(VALU_DEP_1)
	v_or3_b32 v43, v1, v46, v43
.LBB298_471:                            ;   in Loop: Header=BB298_285 Depth=1
	s_or_b32 exec_lo, exec_lo, s13
.LBB298_472:                            ;   in Loop: Header=BB298_285 Depth=1
	s_wait_alu 0xfffe
	s_or_b32 exec_lo, exec_lo, s7
.LBB298_473:                            ;   in Loop: Header=BB298_285 Depth=1
	s_wait_alu 0xfffe
	s_or_b32 exec_lo, exec_lo, s6
	v_cmp_lt_u64_e64 s0, s[2:3], v[9:10]
	v_mov_b32_e32 v9, 0
	s_and_saveexec_b32 s6, s0
	s_cbranch_execz .LBB298_481
; %bb.474:                              ;   in Loop: Header=BB298_285 Depth=1
	v_lshrrev_b32_e32 v1, 24, v10
	v_bfrev_b32_e32 v9, 1
	s_mov_b32 s7, exec_lo
	s_delay_alu instid0(VALU_DEP_2)
	v_cmpx_ne_u32_e32 0x80, v1
	s_cbranch_execz .LBB298_480
; %bb.475:                              ;   in Loop: Header=BB298_285 Depth=1
	v_and_b32_e32 v46, 0x7f, v1
	v_mov_b32_e32 v9, 0x7c010000
	s_mov_b32 s13, exec_lo
	s_delay_alu instid0(VALU_DEP_2)
	v_cmpx_ne_u32_e32 0x7f, v46
	s_cbranch_execz .LBB298_479
; %bb.476:                              ;   in Loop: Header=BB298_285 Depth=1
	v_and_b32_e32 v9, 7, v1
	v_lshrrev_b32_e32 v10, 3, v46
	s_mov_b32 s15, exec_lo
	v_cmpx_gt_u32_e32 8, v46
; %bb.477:                              ;   in Loop: Header=BB298_285 Depth=1
	s_delay_alu instid0(VALU_DEP_3) | instskip(NEXT) | instid1(VALU_DEP_1)
	v_clz_i32_u32_e32 v9, v9
	v_min_u32_e32 v46, 32, v9
	s_delay_alu instid0(VALU_DEP_1) | instskip(NEXT) | instid1(VALU_DEP_1)
	v_subrev_nc_u32_e32 v9, 28, v46
	v_lshlrev_b64_e32 v[9:10], v9, v[1:2]
	v_sub_nc_u32_e32 v10, 29, v46
	s_delay_alu instid0(VALU_DEP_2)
	v_and_b32_e32 v9, 7, v9
; %bb.478:                              ;   in Loop: Header=BB298_285 Depth=1
	s_wait_alu 0xfffe
	s_or_b32 exec_lo, exec_lo, s15
	v_lshlrev_b32_e32 v1, 8, v1
	v_lshl_add_u32 v10, v10, 10, 0x2000
	v_lshlrev_b32_e32 v9, 23, v9
	s_delay_alu instid0(VALU_DEP_2) | instskip(NEXT) | instid1(VALU_DEP_1)
	v_and_or_b32 v1, 0x8000, v1, v10
	v_lshl_or_b32 v9, v1, 16, v9
.LBB298_479:                            ;   in Loop: Header=BB298_285 Depth=1
	s_or_b32 exec_lo, exec_lo, s13
.LBB298_480:                            ;   in Loop: Header=BB298_285 Depth=1
	s_wait_alu 0xfffe
	s_or_b32 exec_lo, exec_lo, s7
.LBB298_481:                            ;   in Loop: Header=BB298_285 Depth=1
	s_wait_alu 0xfffe
	s_or_b32 exec_lo, exec_lo, s6
	v_or_b32_e32 v1, v41, v42
	s_wait_loadcnt 0x0
	v_fma_mixlo_f16 v10, v38, v41, 0 op_sel:[0,1,0] op_sel_hi:[0,1,0]
	v_or_b32_e32 v41, v39, v40
	v_fma_mixlo_f16 v39, v38, v39, 0 op_sel:[0,1,0] op_sel_hi:[0,1,0]
	v_or_b32_e32 v42, v45, v44
	v_or_b32_e32 v43, v9, v43
	v_fma_mixlo_f16 v44, v38, v1, 0 op_sel_hi:[0,1,0]
	v_fma_mixlo_f16 v9, v38, v9, 0 op_sel:[0,1,0] op_sel_hi:[0,1,0]
	v_lshlrev_b32_e32 v40, 16, v39
	v_fma_mixlo_f16 v39, v38, v41, 0 op_sel_hi:[0,1,0]
	v_fma_mixlo_f16 v41, v38, v45, 0 op_sel:[0,1,0] op_sel_hi:[0,1,0]
	v_fma_mixlo_f16 v42, v38, v42, 0 op_sel_hi:[0,1,0]
	v_fma_mixlo_f16 v43, v38, v43, 0 op_sel_hi:[0,1,0]
	v_lshlrev_b32_e32 v1, 16, v10
	v_and_b32_e32 v10, 0xffff, v44
	v_and_b32_e32 v46, 0xffff, v39
	v_lshlrev_b32_e32 v38, 16, v41
	v_and_b32_e32 v42, 0xffff, v42
	v_lshlrev_b32_e32 v9, 16, v9
	v_and_b32_e32 v39, 0xffff, v43
	v_or_b32_e32 v41, v1, v10
	v_or_b32_e32 v45, v40, v46
	;; [unrolled: 1-line block ×3, first 2 shown]
	s_delay_alu instid0(VALU_DEP_4)
	v_or_b32_e32 v43, v9, v39
	s_and_saveexec_b32 s6, vcc_lo
	s_cbranch_execz .LBB298_483
; %bb.482:                              ;   in Loop: Header=BB298_285 Depth=1
	v_cmp_gt_i32_e64 s0, s27, v14
	s_wait_alu 0xf1ff
	s_delay_alu instid0(VALU_DEP_1) | instskip(SKIP_2) | instid1(VALU_DEP_1)
	v_cndmask_b32_e64 v41, 0, v46, s0
	v_cmp_gt_i32_e64 s0, s27, v29
	s_wait_alu 0xf1ff
	v_cndmask_b32_e64 v40, 0, v40, s0
	v_cmp_gt_i32_e64 s0, s27, v28
	s_delay_alu instid0(VALU_DEP_2) | instskip(SKIP_1) | instid1(VALU_DEP_2)
	v_or_b32_e32 v45, v40, v41
	s_wait_alu 0xf1ff
	v_cndmask_b32_e64 v10, 0, v10, s0
	v_cmp_gt_i32_e64 s0, s27, v27
	s_wait_alu 0xf1ff
	s_delay_alu instid0(VALU_DEP_1) | instskip(SKIP_1) | instid1(VALU_DEP_2)
	v_cndmask_b32_e64 v1, 0, v1, s0
	v_cmp_gt_i32_e64 s0, s27, v26
	v_or_b32_e32 v41, v1, v10
	s_wait_alu 0xf1ff
	s_delay_alu instid0(VALU_DEP_2) | instskip(SKIP_2) | instid1(VALU_DEP_1)
	v_cndmask_b32_e64 v42, 0, v42, s0
	v_cmp_gt_i32_e64 s0, s27, v25
	s_wait_alu 0xf1ff
	v_cndmask_b32_e64 v38, 0, v38, s0
	v_cmp_gt_i32_e64 s0, s27, v24
	s_delay_alu instid0(VALU_DEP_2) | instskip(SKIP_1) | instid1(VALU_DEP_2)
	v_or_b32_e32 v44, v38, v42
	s_wait_alu 0xf1ff
	v_cndmask_b32_e64 v39, 0, v39, s0
	v_cmp_gt_i32_e64 s0, s27, v22
	s_wait_alu 0xf1ff
	s_delay_alu instid0(VALU_DEP_1) | instskip(NEXT) | instid1(VALU_DEP_1)
	v_cndmask_b32_e64 v9, 0, v9, s0
	v_or_b32_e32 v43, v9, v39
.LBB298_483:                            ;   in Loop: Header=BB298_285 Depth=1
	s_wait_alu 0xfffe
	s_or_b32 exec_lo, exec_lo, s6
	;;#ASMSTART
	v_pk_mul_f16 v1, v34, v45;

	;;#ASMEND
	;;#ASMSTART
	v_pk_mul_f16 v9, v32, v41;

	;;#ASMEND
	;; [unrolled: 4-line block ×4, first 2 shown]
	;;#ASMSTART
	v_pk_add_f16 v1, v1, v9;

	;;#ASMEND
	;;#ASMSTART
	v_pk_add_f16 v1, v1, v10;

	;;#ASMEND
	;; [unrolled: 4-line block ×3, first 2 shown]
	v_dual_mov_b32 v40, 0 :: v_dual_and_b32 v9, 0xffff, v1
	v_lshrrev_b32_e32 v1, 16, v1
	;;#ASMSTART
	v_cvt_f32_f16 v9, v9;
	;;#ASMEND
	;;#ASMSTART
	v_cvt_f32_f16 v10, v1;
	;;#ASMEND
	global_load_b64 v[7:8], v[7:8], off offset:768
	v_mov_b32_e32 v39, 0
	s_mov_b32 s6, exec_lo
	global_load_b32 v38, v39, s[10:11]
	s_wait_loadcnt 0x1
	v_and_b32_e32 v1, 0xff, v7
	s_delay_alu instid0(VALU_DEP_1)
	v_cmpx_ne_u16_e32 0, v1
	s_cbranch_execz .LBB298_491
; %bb.484:                              ;   in Loop: Header=BB298_285 Depth=1
	v_mov_b32_e32 v40, 0x8000
	s_mov_b32 s7, exec_lo
	v_cmpx_ne_u16_e32 0x80, v1
	s_cbranch_execz .LBB298_490
; %bb.485:                              ;   in Loop: Header=BB298_285 Depth=1
	v_and_b32_e32 v41, 0x7f, v7
	v_mov_b32_e32 v40, 0x7c01
	s_mov_b32 s13, exec_lo
	s_delay_alu instid0(VALU_DEP_2)
	v_cmpx_ne_u32_e32 0x7f, v41
	s_cbranch_execz .LBB298_489
; %bb.486:                              ;   in Loop: Header=BB298_285 Depth=1
	v_and_b32_e32 v1, 7, v7
	v_lshrrev_b32_e32 v40, 3, v41
	s_mov_b32 s15, exec_lo
	v_cmpx_gt_u32_e32 8, v41
; %bb.487:                              ;   in Loop: Header=BB298_285 Depth=1
	s_delay_alu instid0(VALU_DEP_3) | instskip(NEXT) | instid1(VALU_DEP_1)
	v_clz_i32_u32_e32 v1, v1
	v_min_u32_e32 v1, 32, v1
	s_delay_alu instid0(VALU_DEP_1) | instskip(NEXT) | instid1(VALU_DEP_1)
	v_subrev_nc_u32_e32 v40, 28, v1
	v_lshlrev_b64_e32 v[41:42], v40, v[7:8]
	v_sub_nc_u32_e32 v40, 29, v1
	s_delay_alu instid0(VALU_DEP_2)
	v_and_b32_e32 v1, 7, v41
; %bb.488:                              ;   in Loop: Header=BB298_285 Depth=1
	s_wait_alu 0xfffe
	s_or_b32 exec_lo, exec_lo, s15
	v_lshlrev_b32_e32 v41, 8, v7
	v_lshl_add_u32 v40, v40, 10, 0x2000
	v_lshlrev_b32_e32 v1, 7, v1
	s_delay_alu instid0(VALU_DEP_3) | instskip(NEXT) | instid1(VALU_DEP_3)
	v_and_b32_e32 v41, 0x8000, v41
	v_and_b32_e32 v40, 0xfc00, v40
	s_delay_alu instid0(VALU_DEP_1)
	v_or3_b32 v40, v41, v40, v1
.LBB298_489:                            ;   in Loop: Header=BB298_285 Depth=1
	s_or_b32 exec_lo, exec_lo, s13
.LBB298_490:                            ;   in Loop: Header=BB298_285 Depth=1
	s_wait_alu 0xfffe
	s_or_b32 exec_lo, exec_lo, s7
.LBB298_491:                            ;   in Loop: Header=BB298_285 Depth=1
	s_wait_alu 0xfffe
	s_or_b32 exec_lo, exec_lo, s6
	v_lshrrev_b16 v1, 8, v7
	s_mov_b32 s6, exec_lo
	s_delay_alu instid0(VALU_DEP_1)
	v_cmpx_ne_u16_e32 0, v1
	s_cbranch_execz .LBB298_499
; %bb.492:                              ;   in Loop: Header=BB298_285 Depth=1
	v_bfrev_b32_e32 v39, 1
	s_mov_b32 s7, exec_lo
	v_cmpx_ne_u16_e32 0x80, v1
	s_cbranch_execz .LBB298_498
; %bb.493:                              ;   in Loop: Header=BB298_285 Depth=1
	v_and_b32_e32 v41, 0xffff, v1
	v_mov_b32_e32 v39, 0x7c010000
	s_mov_b32 s13, exec_lo
	s_delay_alu instid0(VALU_DEP_2) | instskip(NEXT) | instid1(VALU_DEP_1)
	v_and_b32_e32 v43, 0x7f, v41
	v_cmpx_ne_u32_e32 0x7f, v43
	s_cbranch_execz .LBB298_497
; %bb.494:                              ;   in Loop: Header=BB298_285 Depth=1
	v_and_b32_e32 v39, 7, v41
	v_lshrrev_b32_e32 v42, 3, v43
	s_mov_b32 s15, exec_lo
	v_cmpx_gt_u32_e32 8, v43
; %bb.495:                              ;   in Loop: Header=BB298_285 Depth=1
	s_delay_alu instid0(VALU_DEP_3) | instskip(NEXT) | instid1(VALU_DEP_1)
	v_clz_i32_u32_e32 v39, v39
	v_min_u32_e32 v39, 32, v39
	s_delay_alu instid0(VALU_DEP_1) | instskip(NEXT) | instid1(VALU_DEP_1)
	v_subrev_nc_u32_e32 v42, 28, v39
	v_lshlrev_b64_e32 v[43:44], v42, v[1:2]
	v_sub_nc_u32_e32 v42, 29, v39
	s_delay_alu instid0(VALU_DEP_2)
	v_and_b32_e32 v39, 7, v43
; %bb.496:                              ;   in Loop: Header=BB298_285 Depth=1
	s_wait_alu 0xfffe
	s_or_b32 exec_lo, exec_lo, s15
	v_lshlrev_b32_e32 v1, 8, v41
	v_lshl_add_u32 v41, v42, 10, 0x2000
	v_lshlrev_b32_e32 v39, 23, v39
	s_delay_alu instid0(VALU_DEP_2) | instskip(NEXT) | instid1(VALU_DEP_1)
	v_and_or_b32 v1, 0x8000, v1, v41
	v_lshl_or_b32 v39, v1, 16, v39
.LBB298_497:                            ;   in Loop: Header=BB298_285 Depth=1
	s_or_b32 exec_lo, exec_lo, s13
.LBB298_498:                            ;   in Loop: Header=BB298_285 Depth=1
	s_wait_alu 0xfffe
	s_or_b32 exec_lo, exec_lo, s7
.LBB298_499:                            ;   in Loop: Header=BB298_285 Depth=1
	s_wait_alu 0xfffe
	s_or_b32 exec_lo, exec_lo, s6
	v_lshrrev_b32_e32 v1, 16, v7
	v_mov_b32_e32 v41, 0
	s_mov_b32 s6, exec_lo
	s_delay_alu instid0(VALU_DEP_2) | instskip(NEXT) | instid1(VALU_DEP_1)
	v_dual_mov_b32 v42, 0 :: v_dual_and_b32 v43, 0xff, v1
	v_cmpx_ne_u16_e32 0, v43
	s_cbranch_execz .LBB298_507
; %bb.500:                              ;   in Loop: Header=BB298_285 Depth=1
	v_mov_b32_e32 v42, 0x8000
	s_mov_b32 s7, exec_lo
	v_cmpx_ne_u16_e32 0x80, v43
	s_cbranch_execz .LBB298_506
; %bb.501:                              ;   in Loop: Header=BB298_285 Depth=1
	v_bfe_u32 v44, v7, 16, 7
	v_mov_b32_e32 v42, 0x7c01
	s_mov_b32 s13, exec_lo
	s_delay_alu instid0(VALU_DEP_2)
	v_cmpx_ne_u32_e32 0x7f, v44
	s_cbranch_execz .LBB298_505
; %bb.502:                              ;   in Loop: Header=BB298_285 Depth=1
	v_and_b32_e32 v42, 7, v1
	v_lshrrev_b32_e32 v43, 3, v44
	s_mov_b32 s15, exec_lo
	v_cmpx_gt_u32_e32 8, v44
; %bb.503:                              ;   in Loop: Header=BB298_285 Depth=1
	s_delay_alu instid0(VALU_DEP_3) | instskip(NEXT) | instid1(VALU_DEP_1)
	v_clz_i32_u32_e32 v42, v42
	v_min_u32_e32 v44, 32, v42
	s_delay_alu instid0(VALU_DEP_1) | instskip(NEXT) | instid1(VALU_DEP_1)
	v_subrev_nc_u32_e32 v42, 28, v44
	v_lshlrev_b64_e32 v[42:43], v42, v[1:2]
	v_sub_nc_u32_e32 v43, 29, v44
	s_delay_alu instid0(VALU_DEP_2)
	v_and_b32_e32 v42, 7, v42
; %bb.504:                              ;   in Loop: Header=BB298_285 Depth=1
	s_wait_alu 0xfffe
	s_or_b32 exec_lo, exec_lo, s15
	v_lshlrev_b32_e32 v1, 8, v1
	v_lshl_add_u32 v43, v43, 10, 0x2000
	v_lshlrev_b32_e32 v42, 7, v42
	s_delay_alu instid0(VALU_DEP_3) | instskip(NEXT) | instid1(VALU_DEP_3)
	v_and_b32_e32 v1, 0x8000, v1
	v_and_b32_e32 v43, 0xfc00, v43
	s_delay_alu instid0(VALU_DEP_1)
	v_or3_b32 v42, v1, v43, v42
.LBB298_505:                            ;   in Loop: Header=BB298_285 Depth=1
	s_or_b32 exec_lo, exec_lo, s13
.LBB298_506:                            ;   in Loop: Header=BB298_285 Depth=1
	s_wait_alu 0xfffe
	s_or_b32 exec_lo, exec_lo, s7
.LBB298_507:                            ;   in Loop: Header=BB298_285 Depth=1
	s_wait_alu 0xfffe
	s_or_b32 exec_lo, exec_lo, s6
	s_delay_alu instid0(SALU_CYCLE_1)
	s_mov_b32 s6, exec_lo
	v_cmpx_lt_u32_e32 0xffffff, v7
	s_cbranch_execz .LBB298_515
; %bb.508:                              ;   in Loop: Header=BB298_285 Depth=1
	v_lshrrev_b32_e32 v1, 24, v7
	v_bfrev_b32_e32 v41, 1
	s_mov_b32 s7, exec_lo
	s_delay_alu instid0(VALU_DEP_2)
	v_cmpx_ne_u32_e32 0x80, v1
	s_cbranch_execz .LBB298_514
; %bb.509:                              ;   in Loop: Header=BB298_285 Depth=1
	v_and_b32_e32 v44, 0x7f, v1
	v_mov_b32_e32 v41, 0x7c010000
	s_mov_b32 s13, exec_lo
	s_delay_alu instid0(VALU_DEP_2)
	v_cmpx_ne_u32_e32 0x7f, v44
	s_cbranch_execz .LBB298_513
; %bb.510:                              ;   in Loop: Header=BB298_285 Depth=1
	v_and_b32_e32 v41, 7, v1
	v_lshrrev_b32_e32 v43, 3, v44
	s_mov_b32 s15, exec_lo
	v_cmpx_gt_u32_e32 8, v44
; %bb.511:                              ;   in Loop: Header=BB298_285 Depth=1
	s_delay_alu instid0(VALU_DEP_3) | instskip(NEXT) | instid1(VALU_DEP_1)
	v_clz_i32_u32_e32 v41, v41
	v_min_u32_e32 v41, 32, v41
	s_delay_alu instid0(VALU_DEP_1) | instskip(NEXT) | instid1(VALU_DEP_1)
	v_subrev_nc_u32_e32 v43, 28, v41
	v_lshlrev_b64_e32 v[44:45], v43, v[1:2]
	v_sub_nc_u32_e32 v43, 29, v41
	s_delay_alu instid0(VALU_DEP_2)
	v_and_b32_e32 v41, 7, v44
; %bb.512:                              ;   in Loop: Header=BB298_285 Depth=1
	s_wait_alu 0xfffe
	s_or_b32 exec_lo, exec_lo, s15
	v_lshlrev_b32_e32 v1, 8, v1
	v_lshl_add_u32 v43, v43, 10, 0x2000
	v_lshlrev_b32_e32 v41, 23, v41
	s_delay_alu instid0(VALU_DEP_2) | instskip(NEXT) | instid1(VALU_DEP_1)
	v_and_or_b32 v1, 0x8000, v1, v43
	v_lshl_or_b32 v41, v1, 16, v41
.LBB298_513:                            ;   in Loop: Header=BB298_285 Depth=1
	s_or_b32 exec_lo, exec_lo, s13
.LBB298_514:                            ;   in Loop: Header=BB298_285 Depth=1
	s_wait_alu 0xfffe
	s_or_b32 exec_lo, exec_lo, s7
.LBB298_515:                            ;   in Loop: Header=BB298_285 Depth=1
	s_wait_alu 0xfffe
	s_or_b32 exec_lo, exec_lo, s6
	v_dual_mov_b32 v44, 0 :: v_dual_and_b32 v45, 0xff, v8
	v_mov_b32_e32 v1, v8
	v_mov_b32_e32 v43, 0
	s_mov_b32 s6, exec_lo
	s_delay_alu instid0(VALU_DEP_3)
	v_cmpx_ne_u16_e32 0, v45
	s_cbranch_execz .LBB298_523
; %bb.516:                              ;   in Loop: Header=BB298_285 Depth=1
	v_mov_b32_e32 v44, 0x8000
	s_mov_b32 s7, exec_lo
	v_cmpx_ne_u16_e32 0x80, v45
	s_cbranch_execz .LBB298_522
; %bb.517:                              ;   in Loop: Header=BB298_285 Depth=1
	v_and_b32_e32 v46, 0x7f, v8
	v_mov_b32_e32 v44, 0x7c01
	s_mov_b32 s13, exec_lo
	s_delay_alu instid0(VALU_DEP_2)
	v_cmpx_ne_u32_e32 0x7f, v46
	s_cbranch_execz .LBB298_521
; %bb.518:                              ;   in Loop: Header=BB298_285 Depth=1
	v_and_b32_e32 v44, 7, v8
	v_lshrrev_b32_e32 v45, 3, v46
	s_mov_b32 s15, exec_lo
	v_cmpx_gt_u32_e32 8, v46
; %bb.519:                              ;   in Loop: Header=BB298_285 Depth=1
	s_delay_alu instid0(VALU_DEP_3) | instskip(NEXT) | instid1(VALU_DEP_1)
	v_clz_i32_u32_e32 v44, v44
	v_min_u32_e32 v46, 32, v44
	s_delay_alu instid0(VALU_DEP_1) | instskip(NEXT) | instid1(VALU_DEP_1)
	v_subrev_nc_u32_e32 v44, 28, v46
	v_lshlrev_b64_e32 v[44:45], v44, v[1:2]
	v_sub_nc_u32_e32 v45, 29, v46
	s_delay_alu instid0(VALU_DEP_2)
	v_and_b32_e32 v44, 7, v44
; %bb.520:                              ;   in Loop: Header=BB298_285 Depth=1
	s_wait_alu 0xfffe
	s_or_b32 exec_lo, exec_lo, s15
	v_lshlrev_b32_e32 v46, 8, v8
	v_lshl_add_u32 v45, v45, 10, 0x2000
	v_lshlrev_b32_e32 v44, 7, v44
	s_delay_alu instid0(VALU_DEP_3) | instskip(NEXT) | instid1(VALU_DEP_3)
	v_and_b32_e32 v46, 0x8000, v46
	v_and_b32_e32 v45, 0xfc00, v45
	s_delay_alu instid0(VALU_DEP_1)
	v_or3_b32 v44, v46, v45, v44
.LBB298_521:                            ;   in Loop: Header=BB298_285 Depth=1
	s_or_b32 exec_lo, exec_lo, s13
.LBB298_522:                            ;   in Loop: Header=BB298_285 Depth=1
	s_wait_alu 0xfffe
	s_or_b32 exec_lo, exec_lo, s7
.LBB298_523:                            ;   in Loop: Header=BB298_285 Depth=1
	s_wait_alu 0xfffe
	s_or_b32 exec_lo, exec_lo, s6
	v_lshrrev_b16 v1, 8, v1
	v_mov_b32_e32 v45, 0
	s_mov_b32 s6, exec_lo
	s_delay_alu instid0(VALU_DEP_2)
	v_cmpx_ne_u16_e32 0, v1
	s_cbranch_execz .LBB298_531
; %bb.524:                              ;   in Loop: Header=BB298_285 Depth=1
	v_bfrev_b32_e32 v45, 1
	s_mov_b32 s7, exec_lo
	v_cmpx_ne_u16_e32 0x80, v1
	s_cbranch_execz .LBB298_530
; %bb.525:                              ;   in Loop: Header=BB298_285 Depth=1
	v_and_b32_e32 v46, 0xffff, v1
	v_mov_b32_e32 v45, 0x7c010000
	s_mov_b32 s13, exec_lo
	s_delay_alu instid0(VALU_DEP_2) | instskip(NEXT) | instid1(VALU_DEP_1)
	v_and_b32_e32 v48, 0x7f, v46
	v_cmpx_ne_u32_e32 0x7f, v48
	s_cbranch_execz .LBB298_529
; %bb.526:                              ;   in Loop: Header=BB298_285 Depth=1
	v_and_b32_e32 v45, 7, v46
	v_lshrrev_b32_e32 v47, 3, v48
	s_mov_b32 s15, exec_lo
	v_cmpx_gt_u32_e32 8, v48
; %bb.527:                              ;   in Loop: Header=BB298_285 Depth=1
	s_delay_alu instid0(VALU_DEP_3) | instskip(NEXT) | instid1(VALU_DEP_1)
	v_clz_i32_u32_e32 v45, v45
	v_min_u32_e32 v45, 32, v45
	s_delay_alu instid0(VALU_DEP_1) | instskip(NEXT) | instid1(VALU_DEP_1)
	v_subrev_nc_u32_e32 v47, 28, v45
	v_lshlrev_b64_e32 v[48:49], v47, v[1:2]
	v_sub_nc_u32_e32 v47, 29, v45
	s_delay_alu instid0(VALU_DEP_2)
	v_and_b32_e32 v45, 7, v48
; %bb.528:                              ;   in Loop: Header=BB298_285 Depth=1
	s_wait_alu 0xfffe
	s_or_b32 exec_lo, exec_lo, s15
	v_lshlrev_b32_e32 v1, 8, v46
	v_lshl_add_u32 v46, v47, 10, 0x2000
	v_lshlrev_b32_e32 v45, 23, v45
	s_delay_alu instid0(VALU_DEP_2) | instskip(NEXT) | instid1(VALU_DEP_1)
	v_and_or_b32 v1, 0x8000, v1, v46
	v_lshl_or_b32 v45, v1, 16, v45
.LBB298_529:                            ;   in Loop: Header=BB298_285 Depth=1
	s_or_b32 exec_lo, exec_lo, s13
.LBB298_530:                            ;   in Loop: Header=BB298_285 Depth=1
	s_wait_alu 0xfffe
	s_or_b32 exec_lo, exec_lo, s7
.LBB298_531:                            ;   in Loop: Header=BB298_285 Depth=1
	s_wait_alu 0xfffe
	s_or_b32 exec_lo, exec_lo, s6
	v_lshrrev_b32_e32 v1, 16, v8
	s_mov_b32 s6, exec_lo
	s_delay_alu instid0(VALU_DEP_1) | instskip(NEXT) | instid1(VALU_DEP_1)
	v_and_b32_e32 v46, 0xff, v1
	v_cmpx_ne_u16_e32 0, v46
	s_cbranch_execz .LBB298_539
; %bb.532:                              ;   in Loop: Header=BB298_285 Depth=1
	v_mov_b32_e32 v43, 0x8000
	s_mov_b32 s7, exec_lo
	v_cmpx_ne_u16_e32 0x80, v46
	s_cbranch_execz .LBB298_538
; %bb.533:                              ;   in Loop: Header=BB298_285 Depth=1
	v_bfe_u32 v47, v8, 16, 7
	v_mov_b32_e32 v43, 0x7c01
	s_mov_b32 s13, exec_lo
	s_delay_alu instid0(VALU_DEP_2)
	v_cmpx_ne_u32_e32 0x7f, v47
	s_cbranch_execz .LBB298_537
; %bb.534:                              ;   in Loop: Header=BB298_285 Depth=1
	v_and_b32_e32 v43, 7, v1
	v_lshrrev_b32_e32 v46, 3, v47
	s_mov_b32 s15, exec_lo
	v_cmpx_gt_u32_e32 8, v47
; %bb.535:                              ;   in Loop: Header=BB298_285 Depth=1
	s_delay_alu instid0(VALU_DEP_3) | instskip(NEXT) | instid1(VALU_DEP_1)
	v_clz_i32_u32_e32 v43, v43
	v_min_u32_e32 v43, 32, v43
	s_delay_alu instid0(VALU_DEP_1) | instskip(NEXT) | instid1(VALU_DEP_1)
	v_subrev_nc_u32_e32 v46, 28, v43
	v_lshlrev_b64_e32 v[47:48], v46, v[1:2]
	v_sub_nc_u32_e32 v46, 29, v43
	s_delay_alu instid0(VALU_DEP_2)
	v_and_b32_e32 v43, 7, v47
; %bb.536:                              ;   in Loop: Header=BB298_285 Depth=1
	s_wait_alu 0xfffe
	s_or_b32 exec_lo, exec_lo, s15
	v_lshlrev_b32_e32 v1, 8, v1
	v_lshl_add_u32 v46, v46, 10, 0x2000
	v_lshlrev_b32_e32 v43, 7, v43
	s_delay_alu instid0(VALU_DEP_3) | instskip(NEXT) | instid1(VALU_DEP_3)
	v_and_b32_e32 v1, 0x8000, v1
	v_and_b32_e32 v46, 0xfc00, v46
	s_delay_alu instid0(VALU_DEP_1)
	v_or3_b32 v43, v1, v46, v43
.LBB298_537:                            ;   in Loop: Header=BB298_285 Depth=1
	s_or_b32 exec_lo, exec_lo, s13
.LBB298_538:                            ;   in Loop: Header=BB298_285 Depth=1
	s_wait_alu 0xfffe
	s_or_b32 exec_lo, exec_lo, s7
.LBB298_539:                            ;   in Loop: Header=BB298_285 Depth=1
	s_wait_alu 0xfffe
	s_or_b32 exec_lo, exec_lo, s6
	v_cmp_lt_u64_e64 s0, s[2:3], v[7:8]
	v_mov_b32_e32 v7, 0
	s_and_saveexec_b32 s6, s0
	s_cbranch_execz .LBB298_547
; %bb.540:                              ;   in Loop: Header=BB298_285 Depth=1
	v_lshrrev_b32_e32 v1, 24, v8
	v_bfrev_b32_e32 v7, 1
	s_mov_b32 s7, exec_lo
	s_delay_alu instid0(VALU_DEP_2)
	v_cmpx_ne_u32_e32 0x80, v1
	s_cbranch_execz .LBB298_546
; %bb.541:                              ;   in Loop: Header=BB298_285 Depth=1
	v_and_b32_e32 v46, 0x7f, v1
	v_mov_b32_e32 v7, 0x7c010000
	s_mov_b32 s13, exec_lo
	s_delay_alu instid0(VALU_DEP_2)
	v_cmpx_ne_u32_e32 0x7f, v46
	s_cbranch_execz .LBB298_545
; %bb.542:                              ;   in Loop: Header=BB298_285 Depth=1
	v_and_b32_e32 v7, 7, v1
	v_lshrrev_b32_e32 v8, 3, v46
	s_mov_b32 s15, exec_lo
	v_cmpx_gt_u32_e32 8, v46
; %bb.543:                              ;   in Loop: Header=BB298_285 Depth=1
	s_delay_alu instid0(VALU_DEP_3) | instskip(NEXT) | instid1(VALU_DEP_1)
	v_clz_i32_u32_e32 v7, v7
	v_min_u32_e32 v46, 32, v7
	s_delay_alu instid0(VALU_DEP_1) | instskip(NEXT) | instid1(VALU_DEP_1)
	v_subrev_nc_u32_e32 v7, 28, v46
	v_lshlrev_b64_e32 v[7:8], v7, v[1:2]
	v_sub_nc_u32_e32 v8, 29, v46
	s_delay_alu instid0(VALU_DEP_2)
	v_and_b32_e32 v7, 7, v7
; %bb.544:                              ;   in Loop: Header=BB298_285 Depth=1
	s_wait_alu 0xfffe
	s_or_b32 exec_lo, exec_lo, s15
	v_lshlrev_b32_e32 v1, 8, v1
	v_lshl_add_u32 v8, v8, 10, 0x2000
	v_lshlrev_b32_e32 v7, 23, v7
	s_delay_alu instid0(VALU_DEP_2) | instskip(NEXT) | instid1(VALU_DEP_1)
	v_and_or_b32 v1, 0x8000, v1, v8
	v_lshl_or_b32 v7, v1, 16, v7
.LBB298_545:                            ;   in Loop: Header=BB298_285 Depth=1
	s_or_b32 exec_lo, exec_lo, s13
.LBB298_546:                            ;   in Loop: Header=BB298_285 Depth=1
	s_wait_alu 0xfffe
	s_or_b32 exec_lo, exec_lo, s7
.LBB298_547:                            ;   in Loop: Header=BB298_285 Depth=1
	s_wait_alu 0xfffe
	s_or_b32 exec_lo, exec_lo, s6
	v_or_b32_e32 v1, v41, v42
	s_wait_loadcnt 0x0
	v_fma_mixlo_f16 v8, v38, v41, 0 op_sel:[0,1,0] op_sel_hi:[0,1,0]
	v_or_b32_e32 v40, v39, v40
	v_fma_mixlo_f16 v39, v38, v39, 0 op_sel:[0,1,0] op_sel_hi:[0,1,0]
	v_or_b32_e32 v42, v45, v44
	v_or_b32_e32 v43, v7, v43
	v_fma_mixlo_f16 v41, v38, v1, 0 op_sel_hi:[0,1,0]
	v_lshlrev_b32_e32 v1, 16, v8
	v_lshlrev_b32_e32 v44, 16, v39
	v_fma_mixlo_f16 v8, v38, v40, 0 op_sel_hi:[0,1,0]
	v_fma_mixlo_f16 v39, v38, v45, 0 op_sel:[0,1,0] op_sel_hi:[0,1,0]
	v_fma_mixlo_f16 v40, v38, v42, 0 op_sel_hi:[0,1,0]
	v_fma_mixlo_f16 v7, v38, v7, 0 op_sel:[0,1,0] op_sel_hi:[0,1,0]
	v_fma_mixlo_f16 v38, v38, v43, 0 op_sel_hi:[0,1,0]
	v_and_b32_e32 v41, 0xffff, v41
	v_and_b32_e32 v46, 0xffff, v8
	v_lshlrev_b32_e32 v42, 16, v39
	v_and_b32_e32 v45, 0xffff, v40
	v_lshlrev_b32_e32 v8, 16, v7
	v_and_b32_e32 v43, 0xffff, v38
	v_or_b32_e32 v7, v1, v41
	v_or_b32_e32 v40, v44, v46
	;; [unrolled: 1-line block ×3, first 2 shown]
	s_delay_alu instid0(VALU_DEP_4)
	v_or_b32_e32 v38, v8, v43
	s_and_saveexec_b32 s0, vcc_lo
	s_cbranch_execz .LBB298_284
; %bb.548:                              ;   in Loop: Header=BB298_285 Depth=1
	v_cmp_gt_i32_e32 vcc_lo, s27, v14
	s_wait_alu 0xfffd
	v_cndmask_b32_e32 v7, 0, v46, vcc_lo
	v_cmp_gt_i32_e32 vcc_lo, s27, v29
	s_wait_alu 0xfffd
	v_cndmask_b32_e32 v14, 0, v44, vcc_lo
	v_cmp_gt_i32_e32 vcc_lo, s27, v28
	s_delay_alu instid0(VALU_DEP_2)
	v_or_b32_e32 v40, v14, v7
	s_wait_alu 0xfffd
	v_cndmask_b32_e32 v28, 0, v41, vcc_lo
	v_cmp_gt_i32_e32 vcc_lo, s27, v27
	s_wait_alu 0xfffd
	v_cndmask_b32_e32 v1, 0, v1, vcc_lo
	v_cmp_gt_i32_e32 vcc_lo, s27, v26
	;; [unrolled: 3-line block ×4, first 2 shown]
	s_delay_alu instid0(VALU_DEP_2)
	v_or_b32_e32 v39, v25, v26
	s_wait_alu 0xfffd
	v_cndmask_b32_e32 v24, 0, v43, vcc_lo
	v_cmp_gt_i32_e32 vcc_lo, s27, v22
	v_or_b32_e32 v7, v1, v28
	s_wait_alu 0xfffd
	v_cndmask_b32_e32 v8, 0, v8, vcc_lo
	s_delay_alu instid0(VALU_DEP_1)
	v_or_b32_e32 v38, v8, v24
	s_branch .LBB298_284
.LBB298_549:
	s_or_b32 exec_lo, exec_lo, s5
.LBB298_550:
	s_wait_alu 0xfffe
	s_or_b32 exec_lo, exec_lo, s1
	ds_bpermute_b32 v1, v15, v19
	ds_bpermute_b32 v2, v15, v21
	;; [unrolled: 1-line block ×4, first 2 shown]
	v_lshrrev_b32_e32 v5, 2, v12
	s_mov_b32 s0, exec_lo
	s_wait_storecnt 0x0
	s_wait_loadcnt_dscnt 0x0
	s_barrier_signal -1
	s_barrier_wait -1
	global_inv scope:SCOPE_SE
	v_dual_add_f32 v1, v19, v1 :: v_dual_add_f32 v2, v21, v2
	v_dual_add_f32 v7, v20, v3 :: v_dual_add_f32 v8, v18, v4
	ds_bpermute_b32 v3, v16, v1
	ds_bpermute_b32 v9, v16, v2
	;; [unrolled: 1-line block ×4, first 2 shown]
	v_and_b32_e32 v4, 28, v12
	v_and_b32_e32 v12, 0x3c3, v0
	s_delay_alu instid0(VALU_DEP_2)
	v_add_nc_u32_e32 v6, 0x60, v4
	s_wait_dscnt 0x2
	v_dual_add_f32 v4, v1, v3 :: v_dual_add_f32 v3, v2, v9
	s_wait_dscnt 0x0
	v_dual_add_f32 v2, v7, v10 :: v_dual_add_f32 v1, v8, v13
	v_cmpx_eq_u32_e32 64, v12
	s_cbranch_execz .LBB298_552
; %bb.551:
	v_lshl_add_u32 v7, v11, 7, v6
	s_delay_alu instid0(VALU_DEP_1)
	v_add_nc_u32_e32 v8, 0xffffff00, v7
	v_add_nc_u32_e32 v9, 0xffffff20, v7
	v_add_nc_u32_e32 v10, 0xffffff40, v7
	v_add_nc_u32_e32 v7, 0xffffff60, v7
	ds_store_b32 v8, v4
	ds_store_b32 v9, v3
	;; [unrolled: 1-line block ×4, first 2 shown]
.LBB298_552:
	s_wait_alu 0xfffe
	s_or_b32 exec_lo, exec_lo, s0
	v_and_b32_e32 v7, 0x3e0, v0
	v_lshlrev_b32_e32 v5, 2, v5
	s_mov_b32 s1, exec_lo
	v_cmp_eq_u32_e32 vcc_lo, 0, v17
	s_wait_loadcnt_dscnt 0x0
	v_lshlrev_b32_e32 v7, 2, v7
	s_barrier_signal -1
	s_barrier_wait -1
	global_inv scope:SCOPE_SE
	v_add3_u32 v5, 0x60, v7, v5
	v_cmpx_gt_u32_e32 64, v0
	s_cbranch_execz .LBB298_559
; %bb.553:
	s_and_saveexec_b32 s0, vcc_lo
	s_cbranch_execnz .LBB298_571
; %bb.554:
	s_wait_alu 0xfffe
	s_or_b32 exec_lo, exec_lo, s0
	s_and_saveexec_b32 s0, vcc_lo
	s_cbranch_execnz .LBB298_572
.LBB298_555:
	s_wait_alu 0xfffe
	s_or_b32 exec_lo, exec_lo, s0
	s_and_saveexec_b32 s0, vcc_lo
	s_cbranch_execnz .LBB298_573
.LBB298_556:
	s_wait_alu 0xfffe
	s_or_b32 exec_lo, exec_lo, s0
	s_and_saveexec_b32 s0, vcc_lo
	s_cbranch_execz .LBB298_558
.LBB298_557:
	ds_load_b32 v7, v5 offset:96
	s_wait_dscnt 0x0
	v_add_f32_e32 v1, v1, v7
.LBB298_558:
	s_wait_alu 0xfffe
	s_or_b32 exec_lo, exec_lo, s0
.LBB298_559:
	s_wait_alu 0xfffe
	s_or_b32 exec_lo, exec_lo, s1
	v_and_b32_e32 v7, 0x3e3, v0
	s_mov_b32 s1, exec_lo
	s_wait_loadcnt 0x0
	s_barrier_signal -1
	s_barrier_wait -1
	global_inv scope:SCOPE_SE
	v_cmpx_eq_u32_e32 32, v7
	s_cbranch_execz .LBB298_561
; %bb.560:
	ds_store_2addr_b32 v6, v4, v3 offset1:8
	ds_store_2addr_b32 v6, v2, v1 offset0:16 offset1:24
.LBB298_561:
	s_wait_alu 0xfffe
	s_or_b32 exec_lo, exec_lo, s1
	s_delay_alu instid0(SALU_CYCLE_1)
	s_mov_b32 s1, exec_lo
	s_wait_loadcnt_dscnt 0x0
	s_barrier_signal -1
	s_barrier_wait -1
	global_inv scope:SCOPE_SE
	v_cmpx_gt_u32_e32 32, v0
	s_cbranch_execz .LBB298_568
; %bb.562:
	s_and_saveexec_b32 s0, vcc_lo
	s_cbranch_execnz .LBB298_574
; %bb.563:
	s_wait_alu 0xfffe
	s_or_b32 exec_lo, exec_lo, s0
	s_and_saveexec_b32 s0, vcc_lo
	s_cbranch_execnz .LBB298_575
.LBB298_564:
	s_wait_alu 0xfffe
	s_or_b32 exec_lo, exec_lo, s0
	s_and_saveexec_b32 s0, vcc_lo
	s_cbranch_execnz .LBB298_576
.LBB298_565:
	s_wait_alu 0xfffe
	s_or_b32 exec_lo, exec_lo, s0
	s_and_saveexec_b32 s0, vcc_lo
	s_cbranch_execz .LBB298_567
.LBB298_566:
	ds_load_b32 v5, v5 offset:96
	s_wait_dscnt 0x0
	v_add_f32_e32 v1, v1, v5
.LBB298_567:
	s_wait_alu 0xfffe
	s_or_b32 exec_lo, exec_lo, s0
.LBB298_568:
	s_wait_alu 0xfffe
	s_or_b32 exec_lo, exec_lo, s1
	s_mov_b32 s1, 0
	s_wait_loadcnt 0x0
	s_barrier_signal -1
	s_barrier_wait -1
	global_inv scope:SCOPE_SE
	s_mov_b32 s0, exec_lo
	v_cmpx_eq_u32_e32 0, v7
	s_cbranch_execz .LBB298_570
; %bb.569:
	s_lshl_b32 s2, s14, 5
	s_mul_i32 s4, s12, s16
	s_wait_alu 0xfffe
	s_ashr_i32 s3, s2, 31
	s_ashr_i32 s5, s4, 31
	s_wait_alu 0xfffe
	s_lshl_b64 s[2:3], s[2:3], 1
	s_lshl_b64 s[4:5], s[4:5], 1
	s_wait_kmcnt 0x0
	s_wait_alu 0xfffe
	s_add_nc_u64 s[2:3], s[8:9], s[2:3]
	v_lshrrev_b32_e32 v0, 1, v0
	s_lshl_b32 s0, s26, 6
	s_wait_alu 0xfffe
	s_add_nc_u64 s[2:3], s[2:3], s[4:5]
	;;#ASMSTART
	v_cvt_f16_f32 v4, v4;

	;;#ASMEND
	s_wait_alu 0xfffe
	s_add_nc_u64 s[0:1], s[2:3], s[0:1]
	global_store_b16 v0, v4, s[0:1]
	;;#ASMSTART
	v_cvt_f16_f32 v3, v3;

	;;#ASMEND
	global_store_b16 v0, v3, s[0:1] offset:16
	;;#ASMSTART
	v_cvt_f16_f32 v2, v2;

	;;#ASMEND
	global_store_b16 v0, v2, s[0:1] offset:32
	;; [unrolled: 5-line block ×3, first 2 shown]
.LBB298_570:
	s_endpgm
.LBB298_571:
	ds_load_b32 v7, v5
	s_wait_dscnt 0x0
	v_add_f32_e32 v4, v4, v7
	s_wait_alu 0xfffe
	s_or_b32 exec_lo, exec_lo, s0
	s_and_saveexec_b32 s0, vcc_lo
	s_cbranch_execz .LBB298_555
.LBB298_572:
	ds_load_b32 v7, v5 offset:32
	s_wait_dscnt 0x0
	v_add_f32_e32 v3, v3, v7
	s_wait_alu 0xfffe
	s_or_b32 exec_lo, exec_lo, s0
	s_and_saveexec_b32 s0, vcc_lo
	s_cbranch_execz .LBB298_556
.LBB298_573:
	ds_load_b32 v7, v5 offset:64
	s_wait_dscnt 0x0
	v_add_f32_e32 v2, v2, v7
	s_wait_alu 0xfffe
	s_or_b32 exec_lo, exec_lo, s0
	s_and_saveexec_b32 s0, vcc_lo
	s_cbranch_execnz .LBB298_557
	s_branch .LBB298_558
.LBB298_574:
	ds_load_b32 v6, v5
	s_wait_dscnt 0x0
	v_add_f32_e32 v4, v4, v6
	s_wait_alu 0xfffe
	s_or_b32 exec_lo, exec_lo, s0
	s_and_saveexec_b32 s0, vcc_lo
	s_cbranch_execz .LBB298_564
.LBB298_575:
	ds_load_b32 v6, v5 offset:32
	s_wait_dscnt 0x0
	v_add_f32_e32 v3, v3, v6
	s_wait_alu 0xfffe
	s_or_b32 exec_lo, exec_lo, s0
	s_and_saveexec_b32 s0, vcc_lo
	s_cbranch_execz .LBB298_565
.LBB298_576:
	ds_load_b32 v6, v5 offset:64
	s_wait_dscnt 0x0
	v_add_f32_e32 v2, v2, v6
	s_wait_alu 0xfffe
	s_or_b32 exec_lo, exec_lo, s0
	s_and_saveexec_b32 s0, vcc_lo
	s_cbranch_execnz .LBB298_566
	s_branch .LBB298_567
	.section	.rodata,"a",@progbits
	.p2align	6, 0x0
	.amdhsa_kernel _ZN4vllm25paged_attention_v2_kernelIthLi32ELi32ELi128ELNS_18Fp8KVCacheDataTypeE1ELb0ELi512EEEvPfS2_PT_PKS3_PKT0_S9_ifPKiSB_iPKfiiiSD_SD_iiiii
		.amdhsa_group_segment_fixed_size 96
		.amdhsa_private_segment_fixed_size 0
		.amdhsa_kernarg_size 400
		.amdhsa_user_sgpr_count 2
		.amdhsa_user_sgpr_dispatch_ptr 0
		.amdhsa_user_sgpr_queue_ptr 0
		.amdhsa_user_sgpr_kernarg_segment_ptr 1
		.amdhsa_user_sgpr_dispatch_id 0
		.amdhsa_user_sgpr_private_segment_size 0
		.amdhsa_wavefront_size32 1
		.amdhsa_uses_dynamic_stack 0
		.amdhsa_enable_private_segment 0
		.amdhsa_system_sgpr_workgroup_id_x 1
		.amdhsa_system_sgpr_workgroup_id_y 1
		.amdhsa_system_sgpr_workgroup_id_z 1
		.amdhsa_system_sgpr_workgroup_info 0
		.amdhsa_system_vgpr_workitem_id 0
		.amdhsa_next_free_vgpr 71
		.amdhsa_next_free_sgpr 38
		.amdhsa_reserve_vcc 1
		.amdhsa_float_round_mode_32 0
		.amdhsa_float_round_mode_16_64 0
		.amdhsa_float_denorm_mode_32 3
		.amdhsa_float_denorm_mode_16_64 3
		.amdhsa_fp16_overflow 0
		.amdhsa_workgroup_processor_mode 1
		.amdhsa_memory_ordered 1
		.amdhsa_forward_progress 1
		.amdhsa_inst_pref_size 159
		.amdhsa_round_robin_scheduling 0
		.amdhsa_exception_fp_ieee_invalid_op 0
		.amdhsa_exception_fp_denorm_src 0
		.amdhsa_exception_fp_ieee_div_zero 0
		.amdhsa_exception_fp_ieee_overflow 0
		.amdhsa_exception_fp_ieee_underflow 0
		.amdhsa_exception_fp_ieee_inexact 0
		.amdhsa_exception_int_div_zero 0
	.end_amdhsa_kernel
	.section	.text._ZN4vllm25paged_attention_v2_kernelIthLi32ELi32ELi128ELNS_18Fp8KVCacheDataTypeE1ELb0ELi512EEEvPfS2_PT_PKS3_PKT0_S9_ifPKiSB_iPKfiiiSD_SD_iiiii,"axG",@progbits,_ZN4vllm25paged_attention_v2_kernelIthLi32ELi32ELi128ELNS_18Fp8KVCacheDataTypeE1ELb0ELi512EEEvPfS2_PT_PKS3_PKT0_S9_ifPKiSB_iPKfiiiSD_SD_iiiii,comdat
.Lfunc_end298:
	.size	_ZN4vllm25paged_attention_v2_kernelIthLi32ELi32ELi128ELNS_18Fp8KVCacheDataTypeE1ELb0ELi512EEEvPfS2_PT_PKS3_PKT0_S9_ifPKiSB_iPKfiiiSD_SD_iiiii, .Lfunc_end298-_ZN4vllm25paged_attention_v2_kernelIthLi32ELi32ELi128ELNS_18Fp8KVCacheDataTypeE1ELb0ELi512EEEvPfS2_PT_PKS3_PKT0_S9_ifPKiSB_iPKfiiiSD_SD_iiiii
                                        ; -- End function
	.set _ZN4vllm25paged_attention_v2_kernelIthLi32ELi32ELi128ELNS_18Fp8KVCacheDataTypeE1ELb0ELi512EEEvPfS2_PT_PKS3_PKT0_S9_ifPKiSB_iPKfiiiSD_SD_iiiii.num_vgpr, 71
	.set _ZN4vllm25paged_attention_v2_kernelIthLi32ELi32ELi128ELNS_18Fp8KVCacheDataTypeE1ELb0ELi512EEEvPfS2_PT_PKS3_PKT0_S9_ifPKiSB_iPKfiiiSD_SD_iiiii.num_agpr, 0
	.set _ZN4vllm25paged_attention_v2_kernelIthLi32ELi32ELi128ELNS_18Fp8KVCacheDataTypeE1ELb0ELi512EEEvPfS2_PT_PKS3_PKT0_S9_ifPKiSB_iPKfiiiSD_SD_iiiii.numbered_sgpr, 38
	.set _ZN4vllm25paged_attention_v2_kernelIthLi32ELi32ELi128ELNS_18Fp8KVCacheDataTypeE1ELb0ELi512EEEvPfS2_PT_PKS3_PKT0_S9_ifPKiSB_iPKfiiiSD_SD_iiiii.num_named_barrier, 0
	.set _ZN4vllm25paged_attention_v2_kernelIthLi32ELi32ELi128ELNS_18Fp8KVCacheDataTypeE1ELb0ELi512EEEvPfS2_PT_PKS3_PKT0_S9_ifPKiSB_iPKfiiiSD_SD_iiiii.private_seg_size, 0
	.set _ZN4vllm25paged_attention_v2_kernelIthLi32ELi32ELi128ELNS_18Fp8KVCacheDataTypeE1ELb0ELi512EEEvPfS2_PT_PKS3_PKT0_S9_ifPKiSB_iPKfiiiSD_SD_iiiii.uses_vcc, 1
	.set _ZN4vllm25paged_attention_v2_kernelIthLi32ELi32ELi128ELNS_18Fp8KVCacheDataTypeE1ELb0ELi512EEEvPfS2_PT_PKS3_PKT0_S9_ifPKiSB_iPKfiiiSD_SD_iiiii.uses_flat_scratch, 0
	.set _ZN4vllm25paged_attention_v2_kernelIthLi32ELi32ELi128ELNS_18Fp8KVCacheDataTypeE1ELb0ELi512EEEvPfS2_PT_PKS3_PKT0_S9_ifPKiSB_iPKfiiiSD_SD_iiiii.has_dyn_sized_stack, 0
	.set _ZN4vllm25paged_attention_v2_kernelIthLi32ELi32ELi128ELNS_18Fp8KVCacheDataTypeE1ELb0ELi512EEEvPfS2_PT_PKS3_PKT0_S9_ifPKiSB_iPKfiiiSD_SD_iiiii.has_recursion, 0
	.set _ZN4vllm25paged_attention_v2_kernelIthLi32ELi32ELi128ELNS_18Fp8KVCacheDataTypeE1ELb0ELi512EEEvPfS2_PT_PKS3_PKT0_S9_ifPKiSB_iPKfiiiSD_SD_iiiii.has_indirect_call, 0
	.section	.AMDGPU.csdata,"",@progbits
; Kernel info:
; codeLenInByte = 20296
; TotalNumSgprs: 40
; NumVgprs: 71
; ScratchSize: 0
; MemoryBound: 0
; FloatMode: 240
; IeeeMode: 1
; LDSByteSize: 96 bytes/workgroup (compile time only)
; SGPRBlocks: 0
; VGPRBlocks: 8
; NumSGPRsForWavesPerEU: 40
; NumVGPRsForWavesPerEU: 71
; Occupancy: 16
; WaveLimiterHint : 1
; COMPUTE_PGM_RSRC2:SCRATCH_EN: 0
; COMPUTE_PGM_RSRC2:USER_SGPR: 2
; COMPUTE_PGM_RSRC2:TRAP_HANDLER: 0
; COMPUTE_PGM_RSRC2:TGID_X_EN: 1
; COMPUTE_PGM_RSRC2:TGID_Y_EN: 1
; COMPUTE_PGM_RSRC2:TGID_Z_EN: 1
; COMPUTE_PGM_RSRC2:TIDIG_COMP_CNT: 0
	.section	.text._ZN4vllm25paged_attention_v2_kernelIthLi64ELi32ELi128ELNS_18Fp8KVCacheDataTypeE1ELb0ELi512EEEvPfS2_PT_PKS3_PKT0_S9_ifPKiSB_iPKfiiiSD_SD_iiiii,"axG",@progbits,_ZN4vllm25paged_attention_v2_kernelIthLi64ELi32ELi128ELNS_18Fp8KVCacheDataTypeE1ELb0ELi512EEEvPfS2_PT_PKS3_PKT0_S9_ifPKiSB_iPKfiiiSD_SD_iiiii,comdat
	.protected	_ZN4vllm25paged_attention_v2_kernelIthLi64ELi32ELi128ELNS_18Fp8KVCacheDataTypeE1ELb0ELi512EEEvPfS2_PT_PKS3_PKT0_S9_ifPKiSB_iPKfiiiSD_SD_iiiii ; -- Begin function _ZN4vllm25paged_attention_v2_kernelIthLi64ELi32ELi128ELNS_18Fp8KVCacheDataTypeE1ELb0ELi512EEEvPfS2_PT_PKS3_PKT0_S9_ifPKiSB_iPKfiiiSD_SD_iiiii
	.globl	_ZN4vllm25paged_attention_v2_kernelIthLi64ELi32ELi128ELNS_18Fp8KVCacheDataTypeE1ELb0ELi512EEEvPfS2_PT_PKS3_PKT0_S9_ifPKiSB_iPKfiiiSD_SD_iiiii
	.p2align	8
	.type	_ZN4vllm25paged_attention_v2_kernelIthLi64ELi32ELi128ELNS_18Fp8KVCacheDataTypeE1ELb0ELi512EEEvPfS2_PT_PKS3_PKT0_S9_ifPKiSB_iPKfiiiSD_SD_iiiii,@function
_ZN4vllm25paged_attention_v2_kernelIthLi64ELi32ELi128ELNS_18Fp8KVCacheDataTypeE1ELb0ELi512EEEvPfS2_PT_PKS3_PKT0_S9_ifPKiSB_iPKfiiiSD_SD_iiiii: ; @_ZN4vllm25paged_attention_v2_kernelIthLi64ELi32ELi128ELNS_18Fp8KVCacheDataTypeE1ELb0ELi512EEEvPfS2_PT_PKS3_PKT0_S9_ifPKiSB_iPKfiiiSD_SD_iiiii
; %bb.0:
	s_load_b64 s[2:3], s[0:1], 0x40
	s_and_b32 s22, ttmp7, 0xffff
	s_lshr_b32 s26, ttmp7, 16
	s_lshl_b32 s4, s22, 2
	s_lshl_b32 s28, s26, 9
	s_wait_kmcnt 0x0
	s_load_b32 s27, s[2:3], s4 offset:0x0
	s_wait_kmcnt 0x0
	s_cmp_ge_i32 s28, s27
	s_cbranch_scc1 .LBB299_1098
; %bb.1:
	s_clause 0x1
	s_load_b32 s23, s[0:1], 0x90
	s_load_b64 s[4:5], s[0:1], 0x30
	s_wait_kmcnt 0x0
	s_abs_i32 s7, s23
	s_abs_i32 s2, s4
	s_xor_b32 s4, s23, s4
	s_cvt_f32_u32 s3, s2
	s_sub_co_i32 s6, 0, s2
	s_ashr_i32 s4, s4, 31
	s_delay_alu instid0(SALU_CYCLE_1) | instskip(NEXT) | instid1(TRANS32_DEP_1)
	v_rcp_iflag_f32_e32 v1, s3
	v_readfirstlane_b32 s3, v1
	s_mul_f32 s3, s3, 0x4f7ffffe
	s_wait_alu 0xfffe
	s_delay_alu instid0(SALU_CYCLE_2) | instskip(SKIP_1) | instid1(SALU_CYCLE_2)
	s_cvt_u32_f32 s3, s3
	s_wait_alu 0xfffe
	s_mul_i32 s6, s6, s3
	s_delay_alu instid0(SALU_CYCLE_1) | instskip(NEXT) | instid1(SALU_CYCLE_1)
	s_mul_hi_u32 s6, s3, s6
	s_add_co_i32 s3, s3, s6
	s_wait_alu 0xfffe
	s_mul_hi_u32 s3, s7, s3
	s_wait_alu 0xfffe
	s_mul_i32 s6, s3, s2
	s_delay_alu instid0(SALU_CYCLE_1)
	s_sub_co_i32 s6, s7, s6
	s_add_co_i32 s7, s3, 1
	s_sub_co_i32 s8, s6, s2
	s_cmp_ge_u32 s6, s2
	s_cselect_b32 s3, s7, s3
	s_cselect_b32 s6, s8, s6
	s_wait_alu 0xfffe
	s_add_co_i32 s7, s3, 1
	s_cmp_ge_u32 s6, s2
	s_load_b64 s[8:9], s[0:1], 0x50
	s_cselect_b32 s2, s7, s3
	s_mov_b32 s3, 0
	s_wait_alu 0xfffe
	s_xor_b32 s2, s2, s4
	s_mov_b32 s24, s3
	s_wait_alu 0xfffe
	s_sub_co_i32 s10, s2, s4
	s_delay_alu instid0(SALU_CYCLE_1) | instskip(NEXT) | instid1(SALU_CYCLE_1)
	s_abs_i32 s4, s10
	s_cvt_f32_u32 s2, s4
	s_wait_alu 0xfffe
	s_delay_alu instid0(SALU_CYCLE_2) | instskip(NEXT) | instid1(TRANS32_DEP_1)
	v_rcp_iflag_f32_e32 v1, s2
	v_readfirstlane_b32 s2, v1
	s_mul_f32 s2, s2, 0x4f7ffffe
	s_wait_alu 0xfffe
	s_delay_alu instid0(SALU_CYCLE_2) | instskip(SKIP_2) | instid1(SALU_CYCLE_1)
	s_cvt_u32_f32 s6, s2
	s_sub_co_i32 s2, 0, s4
	s_wait_alu 0xfffe
	s_mul_i32 s2, s2, s6
	s_wait_alu 0xfffe
	s_mul_hi_u32 s7, s6, s2
	s_abs_i32 s2, ttmp9
	s_add_co_i32 s6, s6, s7
	s_mov_b32 s7, s3
	s_wait_kmcnt 0x0
	s_cmp_eq_u64 s[8:9], 0
	s_cbranch_scc1 .LBB299_3
; %bb.2:
	s_mov_b32 s12, ttmp9
	s_ashr_i32 s13, ttmp9, 31
	s_delay_alu instid0(SALU_CYCLE_1) | instskip(NEXT) | instid1(SALU_CYCLE_1)
	s_lshl_b64 s[12:13], s[12:13], 2
	s_add_nc_u64 s[8:9], s[8:9], s[12:13]
	s_load_b32 s24, s[8:9], 0x0
.LBB299_3:
	s_load_b96 s[12:14], s[0:1], 0x58
	s_mul_u64 s[6:7], s[2:3], s[6:7]
	s_ashr_i32 s3, ttmp9, 31
	s_ashr_i32 s6, s10, 31
	s_lshl_b32 s16, ttmp9, 6
	s_mov_b32 s8, exec_lo
	v_cmpx_gt_u32_e32 8, v0
	s_cbranch_execz .LBB299_5
; %bb.4:
	s_load_b64 s[10:11], s[0:1], 0x18
	s_wait_kmcnt 0x0
	s_mul_i32 s18, s12, s22
	s_ashr_i32 s17, s16, 31
	s_ashr_i32 s19, s18, 31
	v_lshlrev_b32_e32 v5, 4, v0
	s_lshl_b64 s[18:19], s[18:19], 1
	s_delay_alu instid0(SALU_CYCLE_1) | instskip(SKIP_1) | instid1(SALU_CYCLE_1)
	s_add_nc_u64 s[10:11], s[10:11], s[18:19]
	s_lshl_b64 s[18:19], s[16:17], 1
	s_add_nc_u64 s[10:11], s[10:11], s[18:19]
	global_load_b128 v[1:4], v5, s[10:11]
	s_wait_loadcnt 0x0
	ds_store_b128 v5, v[1:4]
.LBB299_5:
	s_or_b32 exec_lo, exec_lo, s8
	s_add_co_i32 s8, s27, 31
	s_lshl_b32 s30, s26, 4
	s_ashr_i32 s9, s8, 31
	s_wait_alu 0xfffe
	s_xor_b32 s3, s3, s6
	s_lshr_b32 s9, s9, 27
	s_add_co_i32 s6, s30, 16
	s_add_co_i32 s8, s8, s9
	v_lshrrev_b32_e32 v11, 5, v0
	s_ashr_i32 s29, s8, 5
	s_mul_i32 s8, s7, s4
	s_min_i32 s17, s6, s29
	s_sub_co_i32 s2, s2, s8
	s_clause 0x1
	s_load_b64 s[18:19], s[0:1], 0x38
	s_load_b32 s6, s[0:1], 0x48
	s_add_co_i32 s8, s7, 1
	s_sub_co_i32 s9, s2, s4
	s_cmp_ge_u32 s2, s4
	v_and_b32_e32 v12, 31, v0
	s_cselect_b32 s7, s8, s7
	s_cselect_b32 s2, s9, s2
	s_wait_kmcnt 0x0
	s_clause 0x1
	s_load_b32 s12, s[0:1], 0x98
	s_load_b128 s[8:11], s[0:1], 0x68
	s_add_co_i32 s15, s7, 1
	s_cmp_ge_u32 s2, s4
	v_dual_mov_b32 v16, 0xff7fffff :: v_dual_add_nc_u32 v13, s30, v11
	s_cselect_b32 s2, s15, s7
	v_lshlrev_b32_e32 v15, 2, v12
	s_wait_alu 0xfffe
	s_xor_b32 s2, s2, s3
	v_lshlrev_b32_e32 v14, 2, v13
	s_wait_alu 0xfffe
	s_sub_co_i32 s3, s2, s3
	v_cmp_gt_i32_e64 s2, s17, v13
	s_wait_alu 0xfffe
	s_mul_i32 s14, s3, s14
	s_wait_dscnt 0x0
	s_mul_i32 s20, s6, s22
	s_barrier_signal -1
	s_ashr_i32 s21, s20, 31
	s_barrier_wait -1
	global_inv scope:SCOPE_SE
	s_and_saveexec_b32 s25, s2
	s_cbranch_execz .LBB299_521
; %bb.6:
	s_load_b64 s[6:7], s[0:1], 0x20
	s_ashr_i32 s15, s14, 31
	s_cmp_neq_f32 s24, 0
	v_dual_mov_b32 v16, 0xff7fffff :: v_dual_lshlrev_b32 v3, 5, v11
	v_dual_mov_b32 v2, 0 :: v_dual_lshlrev_b32 v1, 4, v12
	s_cselect_b32 vcc_lo, -1, 0
	s_lshl_b64 s[34:35], s[20:21], 2
	v_lshl_or_b32 v4, v11, 7, v15
	s_add_nc_u64 s[34:35], s[18:19], s[34:35]
	v_add3_u32 v17, s28, v3, v12
	v_add_co_u32 v3, s3, s34, v14
	s_delay_alu instid0(VALU_DEP_3)
	v_dual_mov_b32 v19, v13 :: v_dual_add_nc_u32 v18, 0xa0, v4
	s_wait_alu 0xf1ff
	v_add_co_ci_u32_e64 v4, null, s35, 0, s3
	s_mov_b32 s31, s13
	s_mov_b32 s33, 0
	s_wait_kmcnt 0x0
	s_add_nc_u64 s[6:7], s[6:7], s[14:15]
	s_sub_co_i32 s15, 1, s27
	v_add_co_u32 v5, s3, s6, v1
	s_wait_alu 0xf1ff
	v_add_co_ci_u32_e64 v6, null, s7, 0, s3
	s_mov_b32 s6, -1
	s_mov_b32 s7, 0xffffff
	s_branch .LBB299_11
.LBB299_7:                              ;   in Loop: Header=BB299_11 Depth=1
	s_or_b32 exec_lo, exec_lo, s36
	v_lshlrev_b32_e32 v1, 8, v1
	v_lshl_add_u32 v8, v8, 10, 0x2000
	v_lshlrev_b32_e32 v7, 23, v7
	s_delay_alu instid0(VALU_DEP_2) | instskip(NEXT) | instid1(VALU_DEP_1)
	v_and_or_b32 v1, 0x8000, v1, v8
	v_lshl_or_b32 v7, v1, 16, v7
.LBB299_8:                              ;   in Loop: Header=BB299_11 Depth=1
	s_wait_alu 0xfffe
	s_or_b32 exec_lo, exec_lo, s35
.LBB299_9:                              ;   in Loop: Header=BB299_11 Depth=1
	s_wait_alu 0xfffe
	s_or_b32 exec_lo, exec_lo, s34
.LBB299_10:                             ;   in Loop: Header=BB299_11 Depth=1
	s_wait_alu 0xfffe
	s_or_b32 exec_lo, exec_lo, s4
	ds_load_b128 v[82:85], v2
	v_or_b32_e32 v21, v22, v21
	v_or_b32_e32 v1, v25, v23
	;; [unrolled: 1-line block ×3, first 2 shown]
	v_fma_mixlo_f16 v8, v20, v25, 0 op_sel:[0,1,0] op_sel_hi:[0,1,0]
	v_or_b32_e32 v25, v29, v26
	v_fma_mixlo_f16 v22, v20, v22, 0 op_sel:[0,1,0] op_sel_hi:[0,1,0]
	v_fma_mixlo_f16 v21, v20, v21, 0 op_sel_hi:[0,1,0]
	v_fma_mixlo_f16 v23, v20, v23, 0 op_sel_hi:[0,1,0]
	v_fma_mixlo_f16 v26, v20, v29, 0 op_sel:[0,1,0] op_sel_hi:[0,1,0]
	v_fma_mixlo_f16 v1, v20, v1, 0 op_sel_hi:[0,1,0]
	v_fma_mixlo_f16 v25, v20, v25, 0 op_sel_hi:[0,1,0]
	v_fma_mixlo_f16 v24, v20, v27, 0 op_sel:[0,1,0] op_sel_hi:[0,1,0]
	v_and_b32_e32 v22, 0xffff, v22
	v_and_b32_e32 v23, 0xffff, v23
	v_or_b32_e32 v111, v75, v76
	v_or_b32_e32 v50, v53, v50
	v_fma_mixlo_f16 v53, v20, v53, 0 op_sel:[0,1,0] op_sel_hi:[0,1,0]
	v_or_b32_e32 v65, v64, v65
	v_or_b32_e32 v9, v10, v9
	s_wait_dscnt 0x0
	v_and_b32_e32 v27, 0xffff, v82
	v_lshrrev_b32_e32 v82, 16, v82
	;;#ASMSTART
	v_cvt_f32_f16 v29, v27;
	;;#ASMEND
	;;#ASMSTART
	v_cvt_f32_f16 v88, v82;
	;;#ASMEND
	v_and_b32_e32 v21, 0xffff, v21
	v_lshrrev_b32_e32 v86, 16, v83
	;;#ASMSTART
	v_cvt_f32_f16 v89, v21;
	;;#ASMEND
	;;#ASMSTART
	v_cvt_f32_f16 v90, v22;
	;;#ASMEND
	v_and_b32_e32 v21, 0xffff, v84
	v_lshrrev_b32_e32 v22, 16, v84
	v_and_b32_e32 v83, 0xffff, v83
	;;#ASMSTART
	v_cvt_f32_f16 v97, v83;
	;;#ASMEND
	;;#ASMSTART
	v_cvt_f32_f16 v98, v86;
	;;#ASMEND
	v_and_b32_e32 v1, 0xffff, v1
	v_and_b32_e32 v8, 0xffff, v8
	;;#ASMSTART
	v_cvt_f32_f16 v99, v1;
	;;#ASMEND
	;;#ASMSTART
	v_cvt_f32_f16 v100, v8;
	;;#ASMEND
	;;#ASMSTART
	v_cvt_f32_f16 v101, v21;
	;;#ASMEND
	;;#ASMSTART
	v_cvt_f32_f16 v86, v22;
	;;#ASMEND
	;;#ASMSTART
	v_cvt_f32_f16 v102, v23;
	;;#ASMEND
	v_lshrrev_b32_e32 v21, 16, v85
	v_and_b32_e32 v22, 0xffff, v25
	v_and_b32_e32 v23, 0xffff, v26
	;; [unrolled: 1-line block ×4, first 2 shown]
	;;#ASMSTART
	v_cvt_f32_f16 v87, v1;
	;;#ASMEND
	;;#ASMSTART
	v_cvt_f32_f16 v82, v8;
	;;#ASMEND
	;; [unrolled: 3-line block ×5, first 2 shown]
	ds_load_b128 v[21:24], v2 offset:16
	v_or_b32_e32 v25, v30, v28
	v_or_b32_e32 v1, v33, v31
	v_or_b32_e32 v27, v35, v32
	v_or_b32_e32 v28, v37, v36
	v_fma_mixlo_f16 v26, v20, v30, 0 op_sel:[0,1,0] op_sel_hi:[0,1,0]
	v_fma_mixlo_f16 v25, v20, v25, 0 op_sel_hi:[0,1,0]
	v_fma_mixlo_f16 v8, v20, v33, 0 op_sel:[0,1,0] op_sel_hi:[0,1,0]
	v_fma_mixlo_f16 v1, v20, v1, 0 op_sel_hi:[0,1,0]
	v_fma_mixlo_f16 v27, v20, v27, 0 op_sel_hi:[0,1,0]
	;; [unrolled: 1-line block ×3, first 2 shown]
	v_fma_mixlo_f16 v30, v20, v35, 0 op_sel:[0,1,0] op_sel_hi:[0,1,0]
	v_and_b32_e32 v25, 0xffff, v25
	v_and_b32_e32 v26, 0xffff, v26
	;; [unrolled: 1-line block ×5, first 2 shown]
	v_fma_mixlo_f16 v50, v20, v50, 0 op_sel_hi:[0,1,0]
	v_and_b32_e32 v53, 0xffff, v53
	v_or_b32_e32 v81, v7, v81
	s_wait_dscnt 0x0
	v_and_b32_e32 v31, 0xffff, v21
	v_lshrrev_b32_e32 v32, 16, v21
	v_fma_mixlo_f16 v21, v20, v37, 0 op_sel:[0,1,0] op_sel_hi:[0,1,0]
	;;#ASMSTART
	v_cvt_f32_f16 v31, v31;
	;;#ASMEND
	v_and_b32_e32 v35, 0xffff, v22
	v_lshrrev_b32_e32 v36, 16, v22
	;;#ASMSTART
	v_cvt_f32_f16 v22, v32;
	;;#ASMEND
	;;#ASMSTART
	v_cvt_f32_f16 v32, v25;
	;;#ASMEND
	v_and_b32_e32 v25, 0xffff, v23
	;;#ASMSTART
	v_cvt_f32_f16 v33, v26;
	;;#ASMEND
	;;#ASMSTART
	v_cvt_f32_f16 v35, v35;
	;;#ASMEND
	;; [unrolled: 3-line block ×3, first 2 shown]
	v_lshrrev_b32_e32 v26, 16, v23
	;;#ASMSTART
	v_cvt_f32_f16 v23, v1;
	;;#ASMEND
	;;#ASMSTART
	v_cvt_f32_f16 v37, v8;
	;;#ASMEND
	;; [unrolled: 3-line block ×3, first 2 shown]
	v_and_b32_e32 v25, 0xffff, v28
	;;#ASMSTART
	v_cvt_f32_f16 v103, v26;
	;;#ASMEND
	;;#ASMSTART
	v_cvt_f32_f16 v92, v27;
	;;#ASMEND
	v_and_b32_e32 v1, 0xffff, v30
	v_and_b32_e32 v8, 0xffff, v24
	v_lshrrev_b32_e32 v24, 16, v24
	v_and_b32_e32 v21, 0xffff, v21
	;;#ASMSTART
	v_cvt_f32_f16 v104, v1;
	;;#ASMEND
	;;#ASMSTART
	v_cvt_f32_f16 v105, v8;
	;;#ASMEND
	;; [unrolled: 3-line block ×5, first 2 shown]
	ds_load_b128 v[25:28], v2 offset:32
	v_or_b32_e32 v21, v38, v34
	v_or_b32_e32 v8, v41, v39
	v_fma_mixlo_f16 v34, v20, v38, 0 op_sel:[0,1,0] op_sel_hi:[0,1,0]
	v_or_b32_e32 v38, v43, v40
	v_mul_f32_e32 v1, v31, v32
	v_or_b32_e32 v40, v46, v44
	v_mul_f32_e32 v23, v35, v23
	v_fma_mixlo_f16 v31, v20, v41, 0 op_sel:[0,1,0] op_sel_hi:[0,1,0]
	v_fma_mixlo_f16 v41, v20, v21, 0 op_sel_hi:[0,1,0]
	v_fma_mixlo_f16 v32, v20, v8, 0 op_sel_hi:[0,1,0]
	v_mul_f32_e32 v8, v22, v33
	v_fma_mixlo_f16 v33, v20, v38, 0 op_sel_hi:[0,1,0]
	v_fma_mixlo_f16 v43, v20, v43, 0 op_sel:[0,1,0] op_sel_hi:[0,1,0]
	v_fma_mixlo_f16 v38, v20, v40, 0 op_sel_hi:[0,1,0]
	v_fma_mixlo_f16 v40, v20, v46, 0 op_sel:[0,1,0] op_sel_hi:[0,1,0]
	v_fmac_f32_e32 v1, v29, v89
	v_fmac_f32_e32 v23, v97, v99
	v_or_b32_e32 v30, v77, v73
	v_fma_mixlo_f16 v24, v20, v77, 0 op_sel:[0,1,0] op_sel_hi:[0,1,0]
	s_wait_dscnt 0x0
	v_and_b32_e32 v29, 0xffff, v25
	v_lshrrev_b32_e32 v25, 16, v25
	;;#ASMSTART
	v_cvt_f32_f16 v109, v29;
	;;#ASMEND
	v_and_b32_e32 v29, 0xffff, v41
	v_and_b32_e32 v35, 0xffff, v26
	v_lshrrev_b32_e32 v26, 16, v26
	v_or_b32_e32 v39, v69, v70
	v_fmac_f32_e32 v8, v88, v90
	v_and_b32_e32 v34, 0xffff, v34
	;;#ASMSTART
	v_cvt_f32_f16 v77, v25;
	;;#ASMEND
	;;#ASMSTART
	v_cvt_f32_f16 v110, v29;
	;;#ASMEND
	;;#ASMSTART
	v_cvt_f32_f16 v88, v34;
	;;#ASMEND
	;;#ASMSTART
	v_cvt_f32_f16 v70, v35;
	;;#ASMEND
	;;#ASMSTART
	v_cvt_f32_f16 v73, v26;
	;;#ASMEND
	v_and_b32_e32 v25, 0xffff, v32
	v_and_b32_e32 v26, 0xffff, v31
	;; [unrolled: 1-line block ×3, first 2 shown]
	v_lshrrev_b32_e32 v27, 16, v27
	v_dual_fmac_f32 v1, v109, v110 :: v_dual_and_b32 v32, 0xffff, v33
	v_dual_mul_f32 v22, v36, v37 :: v_dual_mul_f32 v21, v91, v92
	;;#ASMSTART
	v_cvt_f32_f16 v89, v25;
	;;#ASMEND
	;;#ASMSTART
	v_cvt_f32_f16 v90, v26;
	;;#ASMEND
	;; [unrolled: 3-line block ×5, first 2 shown]
	v_and_b32_e32 v25, 0xffff, v43
	v_and_b32_e32 v26, 0xffff, v28
	v_lshrrev_b32_e32 v27, 16, v28
	v_dual_fmac_f32 v23, v70, v89 :: v_dual_and_b32 v28, 0xffff, v38
	v_and_b32_e32 v29, 0xffff, v40
	;;#ASMSTART
	v_cvt_f32_f16 v37, v25;
	;;#ASMEND
	;;#ASMSTART
	v_cvt_f32_f16 v32, v26;
	;;#ASMEND
	;; [unrolled: 3-line block ×5, first 2 shown]
	ds_load_b128 v[93:96], v2 offset:48
	v_or_b32_e32 v25, v49, v47
	v_or_b32_e32 v26, v45, v42
	v_fma_mixlo_f16 v38, v20, v45, 0 op_sel:[0,1,0] op_sel_hi:[0,1,0]
	v_fma_mixlo_f16 v27, v20, v30, 0 op_sel_hi:[0,1,0]
	v_fma_mixlo_f16 v30, v20, v39, 0 op_sel_hi:[0,1,0]
	;; [unrolled: 1-line block ×3, first 2 shown]
	v_or_b32_e32 v25, v51, v48
	v_or_b32_e32 v36, v55, v52
	v_fma_mixlo_f16 v39, v20, v26, 0 op_sel_hi:[0,1,0]
	v_fma_mixlo_f16 v43, v20, v49, 0 op_sel:[0,1,0] op_sel_hi:[0,1,0]
	v_fmac_f32_e32 v21, v101, v102
	v_fma_mixlo_f16 v45, v20, v25, 0 op_sel_hi:[0,1,0]
	v_mul_f32_e32 v25, v105, v107
	v_fma_mixlo_f16 v49, v20, v36, 0 op_sel_hi:[0,1,0]
	v_and_b32_e32 v39, 0xffff, v39
	v_and_b32_e32 v41, 0xffff, v38
	v_fmac_f32_e32 v21, v91, v92
	v_fmac_f32_e32 v25, v82, v84
	v_and_b32_e32 v44, 0xffff, v44
	s_wait_dscnt 0x0
	v_and_b32_e32 v36, 0xffff, v93
	v_lshrrev_b32_e32 v40, 16, v93
	v_and_b32_e32 v42, 0xffff, v94
	v_lshrrev_b32_e32 v46, 16, v94
	;;#ASMSTART
	v_cvt_f32_f16 v36, v36;
	;;#ASMEND
	;;#ASMSTART
	v_cvt_f32_f16 v38, v40;
	;;#ASMEND
	;;#ASMSTART
	v_cvt_f32_f16 v39, v39;
	;;#ASMEND
	;;#ASMSTART
	v_cvt_f32_f16 v40, v41;
	;;#ASMEND
	;;#ASMSTART
	v_cvt_f32_f16 v41, v42;
	;;#ASMEND
	;;#ASMSTART
	v_cvt_f32_f16 v42, v46;
	;;#ASMEND
	v_lshrrev_b32_e32 v52, 16, v95
	v_dual_fmac_f32 v25, v32, v34 :: v_dual_and_b32 v46, 0xffff, v43
	v_or_b32_e32 v29, v71, v72
	v_fma_mixlo_f16 v48, v20, v51, 0 op_sel:[0,1,0] op_sel_hi:[0,1,0]
	v_fma_mixlo_f16 v51, v20, v55, 0 op_sel:[0,1,0] op_sel_hi:[0,1,0]
	v_and_b32_e32 v47, 0xffff, v95
	v_and_b32_e32 v55, 0xffff, v45
	;;#ASMSTART
	v_cvt_f32_f16 v43, v44;
	;;#ASMEND
	;;#ASMSTART
	v_cvt_f32_f16 v44, v46;
	;;#ASMEND
	;; [unrolled: 3-line block ×4, first 2 shown]
	v_dual_fmac_f32 v23, v41, v43 :: v_dual_and_b32 v52, 0xffff, v96
	v_fma_mixlo_f16 v28, v20, v69, 0 op_sel:[0,1,0] op_sel_hi:[0,1,0]
	;;#ASMSTART
	v_cvt_f32_f16 v47, v55;
	;;#ASMEND
	v_dual_fmac_f32 v1, v36, v39 :: v_dual_and_b32 v48, 0xffff, v48
	v_lshrrev_b32_e32 v72, 16, v96
	;;#ASMSTART
	v_cvt_f32_f16 v55, v48;
	;;#ASMEND
	;;#ASMSTART
	v_cvt_f32_f16 v69, v52;
	;;#ASMEND
	v_fma_mixlo_f16 v52, v20, v29, 0 op_sel_hi:[0,1,0]
	v_or_b32_e32 v29, v57, v54
	v_and_b32_e32 v49, 0xffff, v49
	v_and_b32_e32 v51, 0xffff, v51
	;;#ASMSTART
	v_cvt_f32_f16 v72, v72;
	;;#ASMEND
	;;#ASMSTART
	v_cvt_f32_f16 v76, v49;
	;;#ASMEND
	;; [unrolled: 3-line block ×3, first 2 shown]
	ds_load_b128 v[94:97], v2 offset:64
	v_fma_mixlo_f16 v54, v20, v57, 0 op_sel:[0,1,0] op_sel_hi:[0,1,0]
	v_fma_mixlo_f16 v57, v20, v29, 0 op_sel_hi:[0,1,0]
	v_or_b32_e32 v29, v59, v56
	v_or_b32_e32 v56, v61, v60
	v_mul_f32_e32 v26, v103, v104
	v_fma_mixlo_f16 v61, v20, v61, 0 op_sel:[0,1,0] op_sel_hi:[0,1,0]
	v_fma_mixlo_f16 v51, v20, v71, 0 op_sel:[0,1,0] op_sel_hi:[0,1,0]
	v_fma_mixlo_f16 v60, v20, v29, 0 op_sel_hi:[0,1,0]
	v_mul_f32_e32 v29, v106, v108
	v_fma_mixlo_f16 v59, v20, v59, 0 op_sel:[0,1,0] op_sel_hi:[0,1,0]
	v_fma_mixlo_f16 v71, v20, v56, 0 op_sel_hi:[0,1,0]
	v_fmac_f32_e32 v21, v45, v47
	v_fma_mixlo_f16 v48, v20, v75, 0 op_sel:[0,1,0] op_sel_hi:[0,1,0]
	v_dual_fmac_f32 v29, v83, v85 :: v_dual_fmac_f32 v22, v98, v100
	v_dual_fmac_f32 v26, v86, v87 :: v_dual_fmac_f32 v25, v69, v76
	v_fmac_f32_e32 v8, v77, v88
	s_wait_dscnt 0x0
	s_delay_alu instid0(VALU_DEP_3) | instskip(SKIP_2) | instid1(VALU_DEP_2)
	v_dual_fmac_f32 v29, v33, v35 :: v_dual_and_b32 v56, 0xffff, v94
	v_lshrrev_b32_e32 v82, 16, v94
	;;#ASMSTART
	v_cvt_f32_f16 v75, v56;
	;;#ASMEND
	v_dual_fmac_f32 v29, v72, v93 :: v_dual_and_b32 v50, 0xffff, v50
	v_and_b32_e32 v56, 0xffff, v95
	v_lshrrev_b32_e32 v83, 16, v95
	;;#ASMSTART
	v_cvt_f32_f16 v86, v82;
	;;#ASMEND
	;;#ASMSTART
	v_cvt_f32_f16 v87, v50;
	;;#ASMEND
	;;#ASMSTART
	v_cvt_f32_f16 v94, v53;
	;;#ASMEND
	;;#ASMSTART
	v_cvt_f32_f16 v95, v56;
	;;#ASMEND
	;;#ASMSTART
	v_cvt_f32_f16 v98, v83;
	;;#ASMEND
	v_dual_fmac_f32 v1, v75, v87 :: v_dual_and_b32 v50, 0xffff, v57
	v_and_b32_e32 v53, 0xffff, v54
	v_and_b32_e32 v54, 0xffff, v96
	v_lshrrev_b32_e32 v56, 16, v96
	v_and_b32_e32 v57, 0xffff, v60
	;;#ASMSTART
	v_cvt_f32_f16 v96, v50;
	;;#ASMEND
	v_dual_fmac_f32 v23, v95, v96 :: v_dual_and_b32 v82, 0xffff, v61
	;;#ASMSTART
	v_cvt_f32_f16 v99, v53;
	;;#ASMEND
	;;#ASMSTART
	v_cvt_f32_f16 v53, v54;
	;;#ASMEND
	;; [unrolled: 3-line block ×4, first 2 shown]
	v_dual_fmac_f32 v21, v53, v56 :: v_dual_and_b32 v50, 0xffff, v59
	v_and_b32_e32 v57, 0xffff, v97
	v_lshrrev_b32_e32 v59, 16, v97
	v_and_b32_e32 v60, 0xffff, v71
	;;#ASMSTART
	v_cvt_f32_f16 v61, v50;
	;;#ASMEND
	;;#ASMSTART
	v_cvt_f32_f16 v71, v57;
	;;#ASMEND
	;; [unrolled: 3-line block ×5, first 2 shown]
	ds_load_b128 v[82:85], v2 offset:80
	v_or_b32_e32 v50, v62, v58
	v_or_b32_e32 v60, v67, v63
	v_fma_mixlo_f16 v59, v20, v62, 0 op_sel:[0,1,0] op_sel_hi:[0,1,0]
	v_fma_mixlo_f16 v57, v20, v64, 0 op_sel:[0,1,0] op_sel_hi:[0,1,0]
	v_fma_mixlo_f16 v58, v20, v65, 0 op_sel_hi:[0,1,0]
	v_fma_mixlo_f16 v62, v20, v50, 0 op_sel_hi:[0,1,0]
	v_or_b32_e32 v50, v68, v66
	v_fma_mixlo_f16 v60, v20, v60, 0 op_sel_hi:[0,1,0]
	v_fma_mixlo_f16 v63, v20, v67, 0 op_sel:[0,1,0] op_sel_hi:[0,1,0]
	v_add_nc_u32_e32 v64, s15, v17
	v_fma_mixlo_f16 v67, v20, v68, 0 op_sel:[0,1,0] op_sel_hi:[0,1,0]
	v_fma_mixlo_f16 v66, v20, v50, 0 op_sel_hi:[0,1,0]
	v_or_b32_e32 v65, v79, v74
	v_dual_fmac_f32 v22, v73, v90 :: v_dual_and_b32 v59, 0xffff, v59
	v_fmac_f32_e32 v25, v71, v100
	v_or_b32_e32 v68, v80, v78
	v_and_b32_e32 v57, 0xffff, v57
	s_wait_dscnt 0x0
	v_dual_fmac_f32 v29, v97, v101 :: v_dual_and_b32 v74, 0xffff, v82
	v_lshrrev_b32_e32 v73, 16, v82
	;;#ASMSTART
	v_cvt_f32_f16 v70, v74;
	;;#ASMEND
	v_and_b32_e32 v74, 0xffff, v62
	v_and_b32_e32 v77, 0xffff, v83
	v_lshrrev_b32_e32 v78, 16, v83
	;;#ASMSTART
	v_cvt_f32_f16 v62, v73;
	;;#ASMEND
	;;#ASMSTART
	v_cvt_f32_f16 v73, v74;
	;;#ASMEND
	;; [unrolled: 3-line block ×3, first 2 shown]
	v_and_b32_e32 v58, 0xffff, v58
	v_and_b32_e32 v59, 0xffff, v84
	v_lshrrev_b32_e32 v84, 16, v84
	v_dual_fmac_f32 v1, v70, v73 :: v_dual_and_b32 v60, 0xffff, v60
	v_cvt_f32_i32_e32 v50, v64
	v_fma_mixlo_f16 v64, v20, v79, 0 op_sel:[0,1,0] op_sel_hi:[0,1,0]
	;;#ASMSTART
	v_cvt_f32_f16 v77, v77;
	;;#ASMEND
	;;#ASMSTART
	v_cvt_f32_f16 v78, v78;
	;;#ASMEND
	;; [unrolled: 3-line block ×7, first 2 shown]
	v_and_b32_e32 v57, 0xffff, v63
	v_lshrrev_b32_e32 v59, 16, v85
	v_and_b32_e32 v89, 0xffff, v67
	v_dual_fmac_f32 v23, v77, v79 :: v_dual_and_b32 v58, 0xffff, v85
	v_dual_fmac_f32 v21, v83, v88 :: v_dual_and_b32 v60, 0xffff, v66
	;;#ASMSTART
	v_cvt_f32_f16 v63, v57;
	;;#ASMEND
	;;#ASMSTART
	v_cvt_f32_f16 v66, v58;
	;;#ASMEND
	;; [unrolled: 3-line block ×5, first 2 shown]
	ds_load_b128 v[57:60], v2 offset:96
	v_fma_mixlo_f16 v49, v20, v111, 0 op_sel_hi:[0,1,0]
	v_fma_mixlo_f16 v65, v20, v65, 0 op_sel_hi:[0,1,0]
	v_fma_mixlo_f16 v10, v20, v10, 0 op_sel:[0,1,0] op_sel_hi:[0,1,0]
	v_fma_mixlo_f16 v9, v20, v9, 0 op_sel_hi:[0,1,0]
	v_fma_mixlo_f16 v80, v20, v80, 0 op_sel:[0,1,0] op_sel_hi:[0,1,0]
	v_fma_mixlo_f16 v68, v20, v68, 0 op_sel_hi:[0,1,0]
	v_fma_mixlo_f16 v81, v20, v81, 0 op_sel_hi:[0,1,0]
	v_fma_mixlo_f16 v7, v20, v7, 0 op_sel:[0,1,0] op_sel_hi:[0,1,0]
	v_fmac_f32_e32 v26, v31, v37
	v_dual_fmac_f32 v25, v66, v85 :: v_dual_and_b32 v32, 0xffff, v28
	v_dual_fmac_f32 v29, v67, v89 :: v_dual_and_b32 v30, 0xffff, v30
	;; [unrolled: 1-line block ×3, first 2 shown]
	v_and_b32_e32 v45, 0xffff, v48
	v_fmac_f32_e32 v22, v42, v44
	v_fmac_f32_e32 v26, v46, v55
	v_cmp_gt_i32_e64 s3, s27, v17
	s_wait_dscnt 0x0
	v_and_b32_e32 v20, 0xffff, v57
	v_lshrrev_b32_e32 v31, 16, v57
	v_and_b32_e32 v33, 0xffff, v58
	;;#ASMSTART
	v_cvt_f32_f16 v20, v20;
	;;#ASMEND
	v_lshrrev_b32_e32 v37, 16, v58
	;;#ASMSTART
	v_cvt_f32_f16 v28, v31;
	;;#ASMEND
	;;#ASMSTART
	v_cvt_f32_f16 v34, v30;
	;;#ASMEND
	;; [unrolled: 3-line block ×4, first 2 shown]
	v_and_b32_e32 v30, 0xffff, v24
	v_and_b32_e32 v31, 0xffff, v59
	v_lshrrev_b32_e32 v32, 16, v59
	v_and_b32_e32 v33, 0xffff, v52
	;;#ASMSTART
	v_cvt_f32_f16 v37, v37;
	;;#ASMEND
	;;#ASMSTART
	v_cvt_f32_f16 v24, v27;
	;;#ASMEND
	;; [unrolled: 3-line block ×6, first 2 shown]
	v_and_b32_e32 v31, 0xffff, v60
	v_lshrrev_b32_e32 v32, 16, v60
	v_and_b32_e32 v33, 0xffff, v49
	v_dual_fmac_f32 v1, v20, v34 :: v_dual_and_b32 v30, 0xffff, v51
	;;#ASMSTART
	v_cvt_f32_f16 v41, v30;
	;;#ASMEND
	;;#ASMSTART
	v_cvt_f32_f16 v42, v31;
	;;#ASMEND
	;; [unrolled: 3-line block ×5, first 2 shown]
	ds_load_b128 v[30:33], v2 offset:112
	v_fmac_f32_e32 v8, v86, v94
	v_dual_fmac_f32 v22, v98, v99 :: v_dual_fmac_f32 v23, v36, v24
	v_fmac_f32_e32 v26, v54, v61
	v_fmac_f32_e32 v21, v38, v40
	s_delay_alu instid0(VALU_DEP_4) | instskip(NEXT) | instid1(VALU_DEP_4)
	v_fmac_f32_e32 v8, v62, v74
	v_fmac_f32_e32 v22, v78, v82
	s_delay_alu instid0(VALU_DEP_4) | instskip(NEXT) | instid1(VALU_DEP_3)
	v_dual_fmac_f32 v25, v42, v44 :: v_dual_fmac_f32 v26, v84, v63
	v_dual_fmac_f32 v29, v43, v45 :: v_dual_fmac_f32 v8, v28, v35
	s_delay_alu instid0(VALU_DEP_3) | instskip(SKIP_1) | instid1(VALU_DEP_4)
	v_dual_fmac_f32 v22, v37, v27 :: v_dual_and_b32 v27, 0xffff, v9
	v_and_b32_e32 v28, 0xffff, v10
	v_dual_fmac_f32 v26, v39, v41 :: v_dual_add_nc_u32 v19, 4, v19
	v_add_co_u32 v3, s4, v3, 16
	v_add_nc_u32_e32 v17, 0x80, v17
	s_wait_dscnt 0x0
	v_and_b32_e32 v20, 0xffff, v30
	v_lshrrev_b32_e32 v24, 16, v30
	;;#ASMSTART
	v_cvt_f32_f16 v9, v20;
	;;#ASMEND
	;;#ASMSTART
	v_cvt_f32_f16 v10, v24;
	;;#ASMEND
	;; [unrolled: 3-line block ×4, first 2 shown]
	v_fmac_f32_e32 v1, v9, v20
	v_dual_fmac_f32 v8, v10, v24 :: v_dual_and_b32 v9, 0xffff, v31
	v_lshrrev_b32_e32 v20, 16, v31
	v_and_b32_e32 v27, 0xffff, v65
	;;#ASMSTART
	v_cvt_f32_f16 v9, v9;
	;;#ASMEND
	;;#ASMSTART
	v_cvt_f32_f16 v10, v20;
	;;#ASMEND
	;; [unrolled: 3-line block ×3, first 2 shown]
	v_fmac_f32_e32 v23, v9, v20
	v_add_f32_e32 v1, v1, v8
	v_and_b32_e32 v9, 0xffff, v32
	s_wait_alu 0xf1ff
	v_add_co_ci_u32_e64 v4, null, 0, v4, s4
	s_delay_alu instid0(VALU_DEP_3)
	v_dual_add_f32 v1, v1, v23 :: v_dual_and_b32 v28, 0xffff, v64
	;;#ASMSTART
	v_cvt_f32_f16 v24, v28;
	;;#ASMEND
	v_fmac_f32_e32 v22, v10, v24
	v_lshrrev_b32_e32 v10, 16, v32
	;;#ASMSTART
	v_cvt_f32_f16 v8, v9;
	;;#ASMEND
	;;#ASMSTART
	v_cvt_f32_f16 v9, v10;
	;;#ASMEND
	s_delay_alu instid0(VALU_DEP_2) | instskip(SKIP_4) | instid1(VALU_DEP_2)
	v_dual_add_f32 v1, v22, v1 :: v_dual_and_b32 v24, 0xffff, v80
	v_and_b32_e32 v20, 0xffff, v68
	;;#ASMSTART
	v_cvt_f32_f16 v10, v20;
	;;#ASMEND
	v_fmac_f32_e32 v21, v8, v10
	;;#ASMSTART
	v_cvt_f32_f16 v20, v24;
	;;#ASMEND
	v_fmac_f32_e32 v26, v9, v20
	v_and_b32_e32 v8, 0xffff, v33
	v_lshrrev_b32_e32 v10, 16, v33
	v_dual_add_f32 v1, v1, v21 :: v_dual_and_b32 v20, 0xffff, v7
	v_mul_f32_e32 v7, s24, v50
	;;#ASMSTART
	v_cvt_f32_f16 v8, v8;
	;;#ASMEND
	;;#ASMSTART
	v_cvt_f32_f16 v9, v10;
	;;#ASMEND
	v_and_b32_e32 v22, 0xffff, v81
	;;#ASMSTART
	v_cvt_f32_f16 v10, v22;
	;;#ASMEND
	v_fmac_f32_e32 v25, v8, v10
	v_add_f32_e32 v1, v26, v1
	;;#ASMSTART
	v_cvt_f32_f16 v8, v20;
	;;#ASMEND
	v_fmac_f32_e32 v29, v9, v8
	v_cndmask_b32_e32 v7, 0, v7, vcc_lo
	s_delay_alu instid0(VALU_DEP_3) | instskip(NEXT) | instid1(VALU_DEP_1)
	v_add_f32_e32 v1, v1, v25
	v_add_f32_e32 v1, v29, v1
	s_delay_alu instid0(VALU_DEP_1) | instskip(SKIP_1) | instid1(VALU_DEP_2)
	v_fmac_f32_e32 v7, s5, v1
	v_max_num_f32_e32 v1, v16, v16
	v_cndmask_b32_e64 v8, 0, v7, s3
	s_delay_alu instid0(VALU_DEP_2)
	v_max_num_f32_e32 v1, v1, v7
	ds_store_b32 v18, v8
	v_cndmask_b32_e64 v16, v16, v1, s3
	v_cmp_le_i32_e64 s3, s17, v19
	v_add_nc_u32_e32 v18, 0x200, v18
	s_or_b32 s33, s3, s33
	s_delay_alu instid0(SALU_CYCLE_1)
	s_and_not1_b32 exec_lo, exec_lo, s33
	s_cbranch_execz .LBB299_520
.LBB299_11:                             ; =>This Inner Loop Header: Depth=1
	global_load_b32 v1, v[3:4], off
	v_mov_b32_e32 v21, 0
	s_mov_b32 s4, exec_lo
	s_wait_loadcnt 0x0
	s_wait_alu 0xfffe
	v_mad_co_i64_i32 v[7:8], null, v1, s31, v[5:6]
	global_load_b64 v[9:10], v[7:8], off
	global_load_b32 v20, v2, s[8:9]
	s_wait_loadcnt 0x1
	v_and_b32_e32 v1, 0xff, v9
	s_delay_alu instid0(VALU_DEP_1)
	v_cmpx_ne_u16_e32 0, v1
	s_cbranch_execz .LBB299_19
; %bb.12:                               ;   in Loop: Header=BB299_11 Depth=1
	v_mov_b32_e32 v21, 0x8000
	s_mov_b32 s34, exec_lo
	v_cmpx_ne_u16_e32 0x80, v1
	s_cbranch_execz .LBB299_18
; %bb.13:                               ;   in Loop: Header=BB299_11 Depth=1
	v_and_b32_e32 v22, 0x7f, v9
	v_mov_b32_e32 v21, 0x7c01
	s_mov_b32 s35, exec_lo
	s_delay_alu instid0(VALU_DEP_2)
	v_cmpx_ne_u32_e32 0x7f, v22
	s_cbranch_execz .LBB299_17
; %bb.14:                               ;   in Loop: Header=BB299_11 Depth=1
	v_and_b32_e32 v1, 7, v9
	v_lshrrev_b32_e32 v21, 3, v22
	s_mov_b32 s36, exec_lo
	v_cmpx_gt_u32_e32 8, v22
; %bb.15:                               ;   in Loop: Header=BB299_11 Depth=1
	s_delay_alu instid0(VALU_DEP_3) | instskip(NEXT) | instid1(VALU_DEP_1)
	v_clz_i32_u32_e32 v1, v1
	v_min_u32_e32 v1, 32, v1
	s_delay_alu instid0(VALU_DEP_1) | instskip(NEXT) | instid1(VALU_DEP_1)
	v_subrev_nc_u32_e32 v21, 28, v1
	v_lshlrev_b64_e32 v[22:23], v21, v[9:10]
	v_sub_nc_u32_e32 v21, 29, v1
	s_delay_alu instid0(VALU_DEP_2)
	v_and_b32_e32 v1, 7, v22
; %bb.16:                               ;   in Loop: Header=BB299_11 Depth=1
	s_or_b32 exec_lo, exec_lo, s36
	v_lshlrev_b32_e32 v22, 8, v9
	s_delay_alu instid0(VALU_DEP_3) | instskip(NEXT) | instid1(VALU_DEP_3)
	v_lshl_add_u32 v21, v21, 10, 0x2000
	v_lshlrev_b32_e32 v1, 7, v1
	s_delay_alu instid0(VALU_DEP_3) | instskip(NEXT) | instid1(VALU_DEP_3)
	v_and_b32_e32 v22, 0x8000, v22
	v_and_b32_e32 v21, 0xfc00, v21
	s_delay_alu instid0(VALU_DEP_1)
	v_or3_b32 v21, v22, v21, v1
.LBB299_17:                             ;   in Loop: Header=BB299_11 Depth=1
	s_wait_alu 0xfffe
	s_or_b32 exec_lo, exec_lo, s35
.LBB299_18:                             ;   in Loop: Header=BB299_11 Depth=1
	s_wait_alu 0xfffe
	s_or_b32 exec_lo, exec_lo, s34
.LBB299_19:                             ;   in Loop: Header=BB299_11 Depth=1
	s_delay_alu instid0(SALU_CYCLE_1) | instskip(SKIP_3) | instid1(VALU_DEP_2)
	s_or_b32 exec_lo, exec_lo, s4
	v_lshrrev_b16 v1, 8, v9
	v_dual_mov_b32 v23, 0 :: v_dual_mov_b32 v22, 0
	s_mov_b32 s4, exec_lo
	v_cmpx_ne_u16_e32 0, v1
	s_cbranch_execz .LBB299_27
; %bb.20:                               ;   in Loop: Header=BB299_11 Depth=1
	v_bfrev_b32_e32 v22, 1
	s_mov_b32 s34, exec_lo
	v_cmpx_ne_u16_e32 0x80, v1
	s_cbranch_execz .LBB299_26
; %bb.21:                               ;   in Loop: Header=BB299_11 Depth=1
	v_and_b32_e32 v24, 0xffff, v1
	v_mov_b32_e32 v22, 0x7c010000
	s_mov_b32 s35, exec_lo
	s_delay_alu instid0(VALU_DEP_2) | instskip(NEXT) | instid1(VALU_DEP_1)
	v_and_b32_e32 v26, 0x7f, v24
	v_cmpx_ne_u32_e32 0x7f, v26
	s_cbranch_execz .LBB299_25
; %bb.22:                               ;   in Loop: Header=BB299_11 Depth=1
	v_and_b32_e32 v22, 7, v24
	v_lshrrev_b32_e32 v25, 3, v26
	s_mov_b32 s36, exec_lo
	v_cmpx_gt_u32_e32 8, v26
; %bb.23:                               ;   in Loop: Header=BB299_11 Depth=1
	s_delay_alu instid0(VALU_DEP_3) | instskip(NEXT) | instid1(VALU_DEP_1)
	v_clz_i32_u32_e32 v22, v22
	v_min_u32_e32 v22, 32, v22
	s_delay_alu instid0(VALU_DEP_1) | instskip(NEXT) | instid1(VALU_DEP_1)
	v_subrev_nc_u32_e32 v25, 28, v22
	v_lshlrev_b64_e32 v[26:27], v25, v[1:2]
	v_sub_nc_u32_e32 v25, 29, v22
	s_delay_alu instid0(VALU_DEP_2)
	v_and_b32_e32 v22, 7, v26
; %bb.24:                               ;   in Loop: Header=BB299_11 Depth=1
	s_or_b32 exec_lo, exec_lo, s36
	v_lshlrev_b32_e32 v1, 8, v24
	s_delay_alu instid0(VALU_DEP_3) | instskip(NEXT) | instid1(VALU_DEP_3)
	v_lshl_add_u32 v24, v25, 10, 0x2000
	v_lshlrev_b32_e32 v22, 23, v22
	s_delay_alu instid0(VALU_DEP_2) | instskip(NEXT) | instid1(VALU_DEP_1)
	v_and_or_b32 v1, 0x8000, v1, v24
	v_lshl_or_b32 v22, v1, 16, v22
.LBB299_25:                             ;   in Loop: Header=BB299_11 Depth=1
	s_wait_alu 0xfffe
	s_or_b32 exec_lo, exec_lo, s35
.LBB299_26:                             ;   in Loop: Header=BB299_11 Depth=1
	s_wait_alu 0xfffe
	s_or_b32 exec_lo, exec_lo, s34
.LBB299_27:                             ;   in Loop: Header=BB299_11 Depth=1
	s_wait_alu 0xfffe
	s_or_b32 exec_lo, exec_lo, s4
	v_lshrrev_b32_e32 v1, 16, v9
	s_mov_b32 s4, exec_lo
	s_delay_alu instid0(VALU_DEP_1) | instskip(NEXT) | instid1(VALU_DEP_1)
	v_and_b32_e32 v24, 0xff, v1
	v_cmpx_ne_u16_e32 0, v24
	s_cbranch_execz .LBB299_35
; %bb.28:                               ;   in Loop: Header=BB299_11 Depth=1
	v_mov_b32_e32 v23, 0x8000
	s_mov_b32 s34, exec_lo
	v_cmpx_ne_u16_e32 0x80, v24
	s_cbranch_execz .LBB299_34
; %bb.29:                               ;   in Loop: Header=BB299_11 Depth=1
	v_bfe_u32 v25, v9, 16, 7
	v_mov_b32_e32 v23, 0x7c01
	s_mov_b32 s35, exec_lo
	s_delay_alu instid0(VALU_DEP_2)
	v_cmpx_ne_u32_e32 0x7f, v25
	s_cbranch_execz .LBB299_33
; %bb.30:                               ;   in Loop: Header=BB299_11 Depth=1
	v_and_b32_e32 v23, 7, v1
	v_lshrrev_b32_e32 v24, 3, v25
	s_mov_b32 s36, exec_lo
	v_cmpx_gt_u32_e32 8, v25
; %bb.31:                               ;   in Loop: Header=BB299_11 Depth=1
	s_delay_alu instid0(VALU_DEP_3) | instskip(NEXT) | instid1(VALU_DEP_1)
	v_clz_i32_u32_e32 v23, v23
	v_min_u32_e32 v25, 32, v23
	s_delay_alu instid0(VALU_DEP_1) | instskip(NEXT) | instid1(VALU_DEP_1)
	v_subrev_nc_u32_e32 v23, 28, v25
	v_lshlrev_b64_e32 v[23:24], v23, v[1:2]
	v_sub_nc_u32_e32 v24, 29, v25
	s_delay_alu instid0(VALU_DEP_2)
	v_and_b32_e32 v23, 7, v23
; %bb.32:                               ;   in Loop: Header=BB299_11 Depth=1
	s_or_b32 exec_lo, exec_lo, s36
	v_lshlrev_b32_e32 v1, 8, v1
	s_delay_alu instid0(VALU_DEP_3) | instskip(NEXT) | instid1(VALU_DEP_3)
	v_lshl_add_u32 v24, v24, 10, 0x2000
	v_lshlrev_b32_e32 v23, 7, v23
	s_delay_alu instid0(VALU_DEP_3) | instskip(NEXT) | instid1(VALU_DEP_3)
	v_and_b32_e32 v1, 0x8000, v1
	v_and_b32_e32 v24, 0xfc00, v24
	s_delay_alu instid0(VALU_DEP_1)
	v_or3_b32 v23, v1, v24, v23
.LBB299_33:                             ;   in Loop: Header=BB299_11 Depth=1
	s_wait_alu 0xfffe
	s_or_b32 exec_lo, exec_lo, s35
.LBB299_34:                             ;   in Loop: Header=BB299_11 Depth=1
	s_wait_alu 0xfffe
	s_or_b32 exec_lo, exec_lo, s34
.LBB299_35:                             ;   in Loop: Header=BB299_11 Depth=1
	s_wait_alu 0xfffe
	s_or_b32 exec_lo, exec_lo, s4
	v_dual_mov_b32 v24, 0 :: v_dual_mov_b32 v25, 0
	s_mov_b32 s4, exec_lo
	v_cmpx_lt_u32_e32 0xffffff, v9
	s_cbranch_execz .LBB299_43
; %bb.36:                               ;   in Loop: Header=BB299_11 Depth=1
	v_lshrrev_b32_e32 v1, 24, v9
	v_bfrev_b32_e32 v25, 1
	s_mov_b32 s34, exec_lo
	s_delay_alu instid0(VALU_DEP_2)
	v_cmpx_ne_u32_e32 0x80, v1
	s_cbranch_execz .LBB299_42
; %bb.37:                               ;   in Loop: Header=BB299_11 Depth=1
	v_and_b32_e32 v27, 0x7f, v1
	v_mov_b32_e32 v25, 0x7c010000
	s_mov_b32 s35, exec_lo
	s_delay_alu instid0(VALU_DEP_2)
	v_cmpx_ne_u32_e32 0x7f, v27
	s_cbranch_execz .LBB299_41
; %bb.38:                               ;   in Loop: Header=BB299_11 Depth=1
	v_and_b32_e32 v25, 7, v1
	v_lshrrev_b32_e32 v26, 3, v27
	s_mov_b32 s36, exec_lo
	v_cmpx_gt_u32_e32 8, v27
; %bb.39:                               ;   in Loop: Header=BB299_11 Depth=1
	s_delay_alu instid0(VALU_DEP_3) | instskip(NEXT) | instid1(VALU_DEP_1)
	v_clz_i32_u32_e32 v25, v25
	v_min_u32_e32 v27, 32, v25
	s_delay_alu instid0(VALU_DEP_1) | instskip(NEXT) | instid1(VALU_DEP_1)
	v_subrev_nc_u32_e32 v25, 28, v27
	v_lshlrev_b64_e32 v[25:26], v25, v[1:2]
	v_sub_nc_u32_e32 v26, 29, v27
	s_delay_alu instid0(VALU_DEP_2)
	v_and_b32_e32 v25, 7, v25
; %bb.40:                               ;   in Loop: Header=BB299_11 Depth=1
	s_or_b32 exec_lo, exec_lo, s36
	v_lshlrev_b32_e32 v1, 8, v1
	s_delay_alu instid0(VALU_DEP_3) | instskip(NEXT) | instid1(VALU_DEP_3)
	v_lshl_add_u32 v26, v26, 10, 0x2000
	v_lshlrev_b32_e32 v25, 23, v25
	s_delay_alu instid0(VALU_DEP_2) | instskip(NEXT) | instid1(VALU_DEP_1)
	v_and_or_b32 v1, 0x8000, v1, v26
	v_lshl_or_b32 v25, v1, 16, v25
.LBB299_41:                             ;   in Loop: Header=BB299_11 Depth=1
	s_wait_alu 0xfffe
	s_or_b32 exec_lo, exec_lo, s35
.LBB299_42:                             ;   in Loop: Header=BB299_11 Depth=1
	s_wait_alu 0xfffe
	s_or_b32 exec_lo, exec_lo, s34
.LBB299_43:                             ;   in Loop: Header=BB299_11 Depth=1
	s_wait_alu 0xfffe
	s_or_b32 exec_lo, exec_lo, s4
	v_dual_mov_b32 v1, v10 :: v_dual_and_b32 v26, 0xff, v10
	s_mov_b32 s4, exec_lo
	s_delay_alu instid0(VALU_DEP_1)
	v_cmpx_ne_u16_e32 0, v26
	s_cbranch_execz .LBB299_51
; %bb.44:                               ;   in Loop: Header=BB299_11 Depth=1
	v_mov_b32_e32 v24, 0x8000
	s_mov_b32 s34, exec_lo
	v_cmpx_ne_u16_e32 0x80, v26
	s_cbranch_execz .LBB299_50
; %bb.45:                               ;   in Loop: Header=BB299_11 Depth=1
	v_and_b32_e32 v27, 0x7f, v10
	v_mov_b32_e32 v24, 0x7c01
	s_mov_b32 s35, exec_lo
	s_delay_alu instid0(VALU_DEP_2)
	v_cmpx_ne_u32_e32 0x7f, v27
	s_cbranch_execz .LBB299_49
; %bb.46:                               ;   in Loop: Header=BB299_11 Depth=1
	v_and_b32_e32 v24, 7, v10
	v_lshrrev_b32_e32 v26, 3, v27
	s_mov_b32 s36, exec_lo
	v_cmpx_gt_u32_e32 8, v27
; %bb.47:                               ;   in Loop: Header=BB299_11 Depth=1
	s_delay_alu instid0(VALU_DEP_3) | instskip(NEXT) | instid1(VALU_DEP_1)
	v_clz_i32_u32_e32 v24, v24
	v_min_u32_e32 v24, 32, v24
	s_delay_alu instid0(VALU_DEP_1) | instskip(NEXT) | instid1(VALU_DEP_1)
	v_subrev_nc_u32_e32 v26, 28, v24
	v_lshlrev_b64_e32 v[27:28], v26, v[1:2]
	v_sub_nc_u32_e32 v26, 29, v24
	s_delay_alu instid0(VALU_DEP_2)
	v_and_b32_e32 v24, 7, v27
; %bb.48:                               ;   in Loop: Header=BB299_11 Depth=1
	s_or_b32 exec_lo, exec_lo, s36
	v_lshlrev_b32_e32 v27, 8, v10
	s_delay_alu instid0(VALU_DEP_3) | instskip(NEXT) | instid1(VALU_DEP_3)
	v_lshl_add_u32 v26, v26, 10, 0x2000
	v_lshlrev_b32_e32 v24, 7, v24
	s_delay_alu instid0(VALU_DEP_3) | instskip(NEXT) | instid1(VALU_DEP_3)
	v_and_b32_e32 v27, 0x8000, v27
	v_and_b32_e32 v26, 0xfc00, v26
	s_delay_alu instid0(VALU_DEP_1)
	v_or3_b32 v24, v27, v26, v24
.LBB299_49:                             ;   in Loop: Header=BB299_11 Depth=1
	s_wait_alu 0xfffe
	s_or_b32 exec_lo, exec_lo, s35
.LBB299_50:                             ;   in Loop: Header=BB299_11 Depth=1
	s_wait_alu 0xfffe
	s_or_b32 exec_lo, exec_lo, s34
.LBB299_51:                             ;   in Loop: Header=BB299_11 Depth=1
	s_wait_alu 0xfffe
	s_or_b32 exec_lo, exec_lo, s4
	v_lshrrev_b16 v1, 8, v1
	v_dual_mov_b32 v26, 0 :: v_dual_mov_b32 v27, 0
	s_mov_b32 s4, exec_lo
	s_delay_alu instid0(VALU_DEP_2)
	v_cmpx_ne_u16_e32 0, v1
	s_cbranch_execz .LBB299_59
; %bb.52:                               ;   in Loop: Header=BB299_11 Depth=1
	v_bfrev_b32_e32 v27, 1
	s_mov_b32 s34, exec_lo
	v_cmpx_ne_u16_e32 0x80, v1
	s_cbranch_execz .LBB299_58
; %bb.53:                               ;   in Loop: Header=BB299_11 Depth=1
	v_and_b32_e32 v28, 0xffff, v1
	v_mov_b32_e32 v27, 0x7c010000
	s_mov_b32 s35, exec_lo
	s_delay_alu instid0(VALU_DEP_2) | instskip(NEXT) | instid1(VALU_DEP_1)
	v_and_b32_e32 v30, 0x7f, v28
	v_cmpx_ne_u32_e32 0x7f, v30
	s_cbranch_execz .LBB299_57
; %bb.54:                               ;   in Loop: Header=BB299_11 Depth=1
	v_and_b32_e32 v27, 7, v28
	v_lshrrev_b32_e32 v29, 3, v30
	s_mov_b32 s36, exec_lo
	v_cmpx_gt_u32_e32 8, v30
; %bb.55:                               ;   in Loop: Header=BB299_11 Depth=1
	s_delay_alu instid0(VALU_DEP_3) | instskip(NEXT) | instid1(VALU_DEP_1)
	v_clz_i32_u32_e32 v27, v27
	v_min_u32_e32 v27, 32, v27
	s_delay_alu instid0(VALU_DEP_1) | instskip(NEXT) | instid1(VALU_DEP_1)
	v_subrev_nc_u32_e32 v29, 28, v27
	v_lshlrev_b64_e32 v[30:31], v29, v[1:2]
	v_sub_nc_u32_e32 v29, 29, v27
	s_delay_alu instid0(VALU_DEP_2)
	v_and_b32_e32 v27, 7, v30
; %bb.56:                               ;   in Loop: Header=BB299_11 Depth=1
	s_or_b32 exec_lo, exec_lo, s36
	v_lshlrev_b32_e32 v1, 8, v28
	s_delay_alu instid0(VALU_DEP_3) | instskip(NEXT) | instid1(VALU_DEP_3)
	v_lshl_add_u32 v28, v29, 10, 0x2000
	v_lshlrev_b32_e32 v27, 23, v27
	s_delay_alu instid0(VALU_DEP_2) | instskip(NEXT) | instid1(VALU_DEP_1)
	v_and_or_b32 v1, 0x8000, v1, v28
	v_lshl_or_b32 v27, v1, 16, v27
.LBB299_57:                             ;   in Loop: Header=BB299_11 Depth=1
	s_wait_alu 0xfffe
	s_or_b32 exec_lo, exec_lo, s35
.LBB299_58:                             ;   in Loop: Header=BB299_11 Depth=1
	s_wait_alu 0xfffe
	s_or_b32 exec_lo, exec_lo, s34
.LBB299_59:                             ;   in Loop: Header=BB299_11 Depth=1
	s_wait_alu 0xfffe
	s_or_b32 exec_lo, exec_lo, s4
	v_lshrrev_b32_e32 v1, 16, v10
	s_mov_b32 s4, exec_lo
	s_delay_alu instid0(VALU_DEP_1) | instskip(NEXT) | instid1(VALU_DEP_1)
	v_and_b32_e32 v28, 0xff, v1
	v_cmpx_ne_u16_e32 0, v28
	s_cbranch_execz .LBB299_67
; %bb.60:                               ;   in Loop: Header=BB299_11 Depth=1
	v_mov_b32_e32 v26, 0x8000
	s_mov_b32 s34, exec_lo
	v_cmpx_ne_u16_e32 0x80, v28
	s_cbranch_execz .LBB299_66
; %bb.61:                               ;   in Loop: Header=BB299_11 Depth=1
	v_bfe_u32 v29, v10, 16, 7
	v_mov_b32_e32 v26, 0x7c01
	s_mov_b32 s35, exec_lo
	s_delay_alu instid0(VALU_DEP_2)
	v_cmpx_ne_u32_e32 0x7f, v29
	s_cbranch_execz .LBB299_65
; %bb.62:                               ;   in Loop: Header=BB299_11 Depth=1
	v_and_b32_e32 v26, 7, v1
	v_lshrrev_b32_e32 v28, 3, v29
	s_mov_b32 s36, exec_lo
	v_cmpx_gt_u32_e32 8, v29
; %bb.63:                               ;   in Loop: Header=BB299_11 Depth=1
	s_delay_alu instid0(VALU_DEP_3) | instskip(NEXT) | instid1(VALU_DEP_1)
	v_clz_i32_u32_e32 v26, v26
	v_min_u32_e32 v26, 32, v26
	s_delay_alu instid0(VALU_DEP_1) | instskip(NEXT) | instid1(VALU_DEP_1)
	v_subrev_nc_u32_e32 v28, 28, v26
	v_lshlrev_b64_e32 v[29:30], v28, v[1:2]
	v_sub_nc_u32_e32 v28, 29, v26
	s_delay_alu instid0(VALU_DEP_2)
	v_and_b32_e32 v26, 7, v29
; %bb.64:                               ;   in Loop: Header=BB299_11 Depth=1
	s_or_b32 exec_lo, exec_lo, s36
	v_lshlrev_b32_e32 v1, 8, v1
	s_delay_alu instid0(VALU_DEP_3) | instskip(NEXT) | instid1(VALU_DEP_3)
	v_lshl_add_u32 v28, v28, 10, 0x2000
	v_lshlrev_b32_e32 v26, 7, v26
	s_delay_alu instid0(VALU_DEP_3) | instskip(NEXT) | instid1(VALU_DEP_3)
	v_and_b32_e32 v1, 0x8000, v1
	v_and_b32_e32 v28, 0xfc00, v28
	s_delay_alu instid0(VALU_DEP_1)
	v_or3_b32 v26, v1, v28, v26
.LBB299_65:                             ;   in Loop: Header=BB299_11 Depth=1
	s_wait_alu 0xfffe
	s_or_b32 exec_lo, exec_lo, s35
.LBB299_66:                             ;   in Loop: Header=BB299_11 Depth=1
	s_wait_alu 0xfffe
	s_or_b32 exec_lo, exec_lo, s34
.LBB299_67:                             ;   in Loop: Header=BB299_11 Depth=1
	s_wait_alu 0xfffe
	s_or_b32 exec_lo, exec_lo, s4
	v_dual_mov_b32 v28, 0 :: v_dual_mov_b32 v29, 0
	s_mov_b32 s4, exec_lo
	v_cmpx_lt_u64_e64 s[6:7], v[9:10]
	s_cbranch_execz .LBB299_75
; %bb.68:                               ;   in Loop: Header=BB299_11 Depth=1
	v_lshrrev_b32_e32 v1, 24, v10
	v_bfrev_b32_e32 v29, 1
	s_mov_b32 s34, exec_lo
	s_delay_alu instid0(VALU_DEP_2)
	v_cmpx_ne_u32_e32 0x80, v1
	s_cbranch_execz .LBB299_74
; %bb.69:                               ;   in Loop: Header=BB299_11 Depth=1
	v_and_b32_e32 v30, 0x7f, v1
	v_mov_b32_e32 v29, 0x7c010000
	s_mov_b32 s35, exec_lo
	s_delay_alu instid0(VALU_DEP_2)
	v_cmpx_ne_u32_e32 0x7f, v30
	s_cbranch_execz .LBB299_73
; %bb.70:                               ;   in Loop: Header=BB299_11 Depth=1
	v_and_b32_e32 v9, 7, v1
	v_lshrrev_b32_e32 v10, 3, v30
	s_mov_b32 s36, exec_lo
	v_cmpx_gt_u32_e32 8, v30
; %bb.71:                               ;   in Loop: Header=BB299_11 Depth=1
	s_delay_alu instid0(VALU_DEP_3) | instskip(NEXT) | instid1(VALU_DEP_1)
	v_clz_i32_u32_e32 v9, v9
	v_min_u32_e32 v29, 32, v9
	s_delay_alu instid0(VALU_DEP_1) | instskip(NEXT) | instid1(VALU_DEP_1)
	v_subrev_nc_u32_e32 v9, 28, v29
	v_lshlrev_b64_e32 v[9:10], v9, v[1:2]
	v_sub_nc_u32_e32 v10, 29, v29
	s_delay_alu instid0(VALU_DEP_2)
	v_and_b32_e32 v9, 7, v9
; %bb.72:                               ;   in Loop: Header=BB299_11 Depth=1
	s_or_b32 exec_lo, exec_lo, s36
	v_lshlrev_b32_e32 v1, 8, v1
	s_delay_alu instid0(VALU_DEP_3) | instskip(NEXT) | instid1(VALU_DEP_3)
	v_lshl_add_u32 v10, v10, 10, 0x2000
	v_lshlrev_b32_e32 v9, 23, v9
	s_delay_alu instid0(VALU_DEP_2) | instskip(NEXT) | instid1(VALU_DEP_1)
	v_and_or_b32 v1, 0x8000, v1, v10
	v_lshl_or_b32 v29, v1, 16, v9
.LBB299_73:                             ;   in Loop: Header=BB299_11 Depth=1
	s_wait_alu 0xfffe
	s_or_b32 exec_lo, exec_lo, s35
.LBB299_74:                             ;   in Loop: Header=BB299_11 Depth=1
	s_wait_alu 0xfffe
	s_or_b32 exec_lo, exec_lo, s34
.LBB299_75:                             ;   in Loop: Header=BB299_11 Depth=1
	s_wait_alu 0xfffe
	s_or_b32 exec_lo, exec_lo, s4
	global_load_b64 v[9:10], v[7:8], off offset:8
	s_mov_b32 s4, exec_lo
	s_wait_loadcnt 0x0
	v_and_b32_e32 v1, 0xff, v9
	s_delay_alu instid0(VALU_DEP_1)
	v_cmpx_ne_u16_e32 0, v1
	s_cbranch_execz .LBB299_83
; %bb.76:                               ;   in Loop: Header=BB299_11 Depth=1
	v_mov_b32_e32 v28, 0x8000
	s_mov_b32 s34, exec_lo
	v_cmpx_ne_u16_e32 0x80, v1
	s_cbranch_execz .LBB299_82
; %bb.77:                               ;   in Loop: Header=BB299_11 Depth=1
	v_and_b32_e32 v30, 0x7f, v9
	v_mov_b32_e32 v28, 0x7c01
	s_mov_b32 s35, exec_lo
	s_delay_alu instid0(VALU_DEP_2)
	v_cmpx_ne_u32_e32 0x7f, v30
	s_cbranch_execz .LBB299_81
; %bb.78:                               ;   in Loop: Header=BB299_11 Depth=1
	v_and_b32_e32 v1, 7, v9
	v_lshrrev_b32_e32 v28, 3, v30
	s_mov_b32 s36, exec_lo
	v_cmpx_gt_u32_e32 8, v30
; %bb.79:                               ;   in Loop: Header=BB299_11 Depth=1
	s_delay_alu instid0(VALU_DEP_3) | instskip(NEXT) | instid1(VALU_DEP_1)
	v_clz_i32_u32_e32 v1, v1
	v_min_u32_e32 v1, 32, v1
	s_delay_alu instid0(VALU_DEP_1) | instskip(NEXT) | instid1(VALU_DEP_1)
	v_subrev_nc_u32_e32 v28, 28, v1
	v_lshlrev_b64_e32 v[30:31], v28, v[9:10]
	v_sub_nc_u32_e32 v28, 29, v1
	s_delay_alu instid0(VALU_DEP_2)
	v_and_b32_e32 v1, 7, v30
; %bb.80:                               ;   in Loop: Header=BB299_11 Depth=1
	s_or_b32 exec_lo, exec_lo, s36
	v_lshlrev_b32_e32 v30, 8, v9
	s_delay_alu instid0(VALU_DEP_3) | instskip(NEXT) | instid1(VALU_DEP_3)
	v_lshl_add_u32 v28, v28, 10, 0x2000
	v_lshlrev_b32_e32 v1, 7, v1
	s_delay_alu instid0(VALU_DEP_3) | instskip(NEXT) | instid1(VALU_DEP_3)
	v_and_b32_e32 v30, 0x8000, v30
	v_and_b32_e32 v28, 0xfc00, v28
	s_delay_alu instid0(VALU_DEP_1)
	v_or3_b32 v28, v30, v28, v1
.LBB299_81:                             ;   in Loop: Header=BB299_11 Depth=1
	s_wait_alu 0xfffe
	s_or_b32 exec_lo, exec_lo, s35
.LBB299_82:                             ;   in Loop: Header=BB299_11 Depth=1
	s_wait_alu 0xfffe
	s_or_b32 exec_lo, exec_lo, s34
.LBB299_83:                             ;   in Loop: Header=BB299_11 Depth=1
	s_wait_alu 0xfffe
	s_or_b32 exec_lo, exec_lo, s4
	v_lshrrev_b16 v1, 8, v9
	v_dual_mov_b32 v31, 0 :: v_dual_mov_b32 v30, 0
	s_mov_b32 s4, exec_lo
	s_delay_alu instid0(VALU_DEP_2)
	v_cmpx_ne_u16_e32 0, v1
	s_cbranch_execz .LBB299_91
; %bb.84:                               ;   in Loop: Header=BB299_11 Depth=1
	v_bfrev_b32_e32 v30, 1
	s_mov_b32 s34, exec_lo
	v_cmpx_ne_u16_e32 0x80, v1
	s_cbranch_execz .LBB299_90
; %bb.85:                               ;   in Loop: Header=BB299_11 Depth=1
	v_and_b32_e32 v32, 0xffff, v1
	v_mov_b32_e32 v30, 0x7c010000
	s_mov_b32 s35, exec_lo
	s_delay_alu instid0(VALU_DEP_2) | instskip(NEXT) | instid1(VALU_DEP_1)
	v_and_b32_e32 v34, 0x7f, v32
	v_cmpx_ne_u32_e32 0x7f, v34
	s_cbranch_execz .LBB299_89
; %bb.86:                               ;   in Loop: Header=BB299_11 Depth=1
	v_and_b32_e32 v30, 7, v32
	v_lshrrev_b32_e32 v33, 3, v34
	s_mov_b32 s36, exec_lo
	v_cmpx_gt_u32_e32 8, v34
; %bb.87:                               ;   in Loop: Header=BB299_11 Depth=1
	s_delay_alu instid0(VALU_DEP_3) | instskip(NEXT) | instid1(VALU_DEP_1)
	v_clz_i32_u32_e32 v30, v30
	v_min_u32_e32 v30, 32, v30
	s_delay_alu instid0(VALU_DEP_1) | instskip(NEXT) | instid1(VALU_DEP_1)
	v_subrev_nc_u32_e32 v33, 28, v30
	v_lshlrev_b64_e32 v[34:35], v33, v[1:2]
	v_sub_nc_u32_e32 v33, 29, v30
	s_delay_alu instid0(VALU_DEP_2)
	v_and_b32_e32 v30, 7, v34
; %bb.88:                               ;   in Loop: Header=BB299_11 Depth=1
	s_or_b32 exec_lo, exec_lo, s36
	v_lshlrev_b32_e32 v1, 8, v32
	s_delay_alu instid0(VALU_DEP_3) | instskip(NEXT) | instid1(VALU_DEP_3)
	v_lshl_add_u32 v32, v33, 10, 0x2000
	v_lshlrev_b32_e32 v30, 23, v30
	s_delay_alu instid0(VALU_DEP_2) | instskip(NEXT) | instid1(VALU_DEP_1)
	v_and_or_b32 v1, 0x8000, v1, v32
	v_lshl_or_b32 v30, v1, 16, v30
.LBB299_89:                             ;   in Loop: Header=BB299_11 Depth=1
	s_wait_alu 0xfffe
	s_or_b32 exec_lo, exec_lo, s35
.LBB299_90:                             ;   in Loop: Header=BB299_11 Depth=1
	s_wait_alu 0xfffe
	s_or_b32 exec_lo, exec_lo, s34
.LBB299_91:                             ;   in Loop: Header=BB299_11 Depth=1
	s_wait_alu 0xfffe
	s_or_b32 exec_lo, exec_lo, s4
	v_lshrrev_b32_e32 v1, 16, v9
	s_mov_b32 s4, exec_lo
	s_delay_alu instid0(VALU_DEP_1) | instskip(NEXT) | instid1(VALU_DEP_1)
	v_and_b32_e32 v32, 0xff, v1
	v_cmpx_ne_u16_e32 0, v32
	s_cbranch_execz .LBB299_99
; %bb.92:                               ;   in Loop: Header=BB299_11 Depth=1
	v_mov_b32_e32 v31, 0x8000
	s_mov_b32 s34, exec_lo
	v_cmpx_ne_u16_e32 0x80, v32
	s_cbranch_execz .LBB299_98
; %bb.93:                               ;   in Loop: Header=BB299_11 Depth=1
	v_bfe_u32 v33, v9, 16, 7
	v_mov_b32_e32 v31, 0x7c01
	s_mov_b32 s35, exec_lo
	s_delay_alu instid0(VALU_DEP_2)
	v_cmpx_ne_u32_e32 0x7f, v33
	s_cbranch_execz .LBB299_97
; %bb.94:                               ;   in Loop: Header=BB299_11 Depth=1
	v_and_b32_e32 v31, 7, v1
	v_lshrrev_b32_e32 v32, 3, v33
	s_mov_b32 s36, exec_lo
	v_cmpx_gt_u32_e32 8, v33
; %bb.95:                               ;   in Loop: Header=BB299_11 Depth=1
	s_delay_alu instid0(VALU_DEP_3) | instskip(NEXT) | instid1(VALU_DEP_1)
	v_clz_i32_u32_e32 v31, v31
	v_min_u32_e32 v33, 32, v31
	s_delay_alu instid0(VALU_DEP_1) | instskip(NEXT) | instid1(VALU_DEP_1)
	v_subrev_nc_u32_e32 v31, 28, v33
	v_lshlrev_b64_e32 v[31:32], v31, v[1:2]
	v_sub_nc_u32_e32 v32, 29, v33
	s_delay_alu instid0(VALU_DEP_2)
	v_and_b32_e32 v31, 7, v31
; %bb.96:                               ;   in Loop: Header=BB299_11 Depth=1
	s_or_b32 exec_lo, exec_lo, s36
	v_lshlrev_b32_e32 v1, 8, v1
	s_delay_alu instid0(VALU_DEP_3) | instskip(NEXT) | instid1(VALU_DEP_3)
	v_lshl_add_u32 v32, v32, 10, 0x2000
	v_lshlrev_b32_e32 v31, 7, v31
	s_delay_alu instid0(VALU_DEP_3) | instskip(NEXT) | instid1(VALU_DEP_3)
	v_and_b32_e32 v1, 0x8000, v1
	v_and_b32_e32 v32, 0xfc00, v32
	s_delay_alu instid0(VALU_DEP_1)
	v_or3_b32 v31, v1, v32, v31
.LBB299_97:                             ;   in Loop: Header=BB299_11 Depth=1
	s_wait_alu 0xfffe
	s_or_b32 exec_lo, exec_lo, s35
.LBB299_98:                             ;   in Loop: Header=BB299_11 Depth=1
	s_wait_alu 0xfffe
	s_or_b32 exec_lo, exec_lo, s34
.LBB299_99:                             ;   in Loop: Header=BB299_11 Depth=1
	s_wait_alu 0xfffe
	s_or_b32 exec_lo, exec_lo, s4
	v_dual_mov_b32 v32, 0 :: v_dual_mov_b32 v33, 0
	s_mov_b32 s4, exec_lo
	v_cmpx_lt_u32_e32 0xffffff, v9
	s_cbranch_execz .LBB299_107
; %bb.100:                              ;   in Loop: Header=BB299_11 Depth=1
	v_lshrrev_b32_e32 v1, 24, v9
	v_bfrev_b32_e32 v33, 1
	s_mov_b32 s34, exec_lo
	s_delay_alu instid0(VALU_DEP_2)
	v_cmpx_ne_u32_e32 0x80, v1
	s_cbranch_execz .LBB299_106
; %bb.101:                              ;   in Loop: Header=BB299_11 Depth=1
	v_and_b32_e32 v35, 0x7f, v1
	v_mov_b32_e32 v33, 0x7c010000
	s_mov_b32 s35, exec_lo
	s_delay_alu instid0(VALU_DEP_2)
	v_cmpx_ne_u32_e32 0x7f, v35
	s_cbranch_execz .LBB299_105
; %bb.102:                              ;   in Loop: Header=BB299_11 Depth=1
	v_and_b32_e32 v33, 7, v1
	v_lshrrev_b32_e32 v34, 3, v35
	s_mov_b32 s36, exec_lo
	v_cmpx_gt_u32_e32 8, v35
; %bb.103:                              ;   in Loop: Header=BB299_11 Depth=1
	s_delay_alu instid0(VALU_DEP_3) | instskip(NEXT) | instid1(VALU_DEP_1)
	v_clz_i32_u32_e32 v33, v33
	v_min_u32_e32 v35, 32, v33
	s_delay_alu instid0(VALU_DEP_1) | instskip(NEXT) | instid1(VALU_DEP_1)
	v_subrev_nc_u32_e32 v33, 28, v35
	v_lshlrev_b64_e32 v[33:34], v33, v[1:2]
	v_sub_nc_u32_e32 v34, 29, v35
	s_delay_alu instid0(VALU_DEP_2)
	v_and_b32_e32 v33, 7, v33
; %bb.104:                              ;   in Loop: Header=BB299_11 Depth=1
	s_or_b32 exec_lo, exec_lo, s36
	v_lshlrev_b32_e32 v1, 8, v1
	s_delay_alu instid0(VALU_DEP_3) | instskip(NEXT) | instid1(VALU_DEP_3)
	v_lshl_add_u32 v34, v34, 10, 0x2000
	v_lshlrev_b32_e32 v33, 23, v33
	s_delay_alu instid0(VALU_DEP_2) | instskip(NEXT) | instid1(VALU_DEP_1)
	v_and_or_b32 v1, 0x8000, v1, v34
	v_lshl_or_b32 v33, v1, 16, v33
.LBB299_105:                            ;   in Loop: Header=BB299_11 Depth=1
	s_wait_alu 0xfffe
	s_or_b32 exec_lo, exec_lo, s35
.LBB299_106:                            ;   in Loop: Header=BB299_11 Depth=1
	s_wait_alu 0xfffe
	s_or_b32 exec_lo, exec_lo, s34
.LBB299_107:                            ;   in Loop: Header=BB299_11 Depth=1
	s_wait_alu 0xfffe
	s_or_b32 exec_lo, exec_lo, s4
	v_dual_mov_b32 v1, v10 :: v_dual_and_b32 v34, 0xff, v10
	s_mov_b32 s4, exec_lo
	s_delay_alu instid0(VALU_DEP_1)
	v_cmpx_ne_u16_e32 0, v34
	s_cbranch_execz .LBB299_115
; %bb.108:                              ;   in Loop: Header=BB299_11 Depth=1
	v_mov_b32_e32 v32, 0x8000
	s_mov_b32 s34, exec_lo
	v_cmpx_ne_u16_e32 0x80, v34
	s_cbranch_execz .LBB299_114
; %bb.109:                              ;   in Loop: Header=BB299_11 Depth=1
	v_and_b32_e32 v35, 0x7f, v10
	v_mov_b32_e32 v32, 0x7c01
	s_mov_b32 s35, exec_lo
	s_delay_alu instid0(VALU_DEP_2)
	v_cmpx_ne_u32_e32 0x7f, v35
	s_cbranch_execz .LBB299_113
; %bb.110:                              ;   in Loop: Header=BB299_11 Depth=1
	v_and_b32_e32 v32, 7, v10
	v_lshrrev_b32_e32 v34, 3, v35
	s_mov_b32 s36, exec_lo
	v_cmpx_gt_u32_e32 8, v35
; %bb.111:                              ;   in Loop: Header=BB299_11 Depth=1
	s_delay_alu instid0(VALU_DEP_3) | instskip(NEXT) | instid1(VALU_DEP_1)
	v_clz_i32_u32_e32 v32, v32
	v_min_u32_e32 v32, 32, v32
	s_delay_alu instid0(VALU_DEP_1) | instskip(NEXT) | instid1(VALU_DEP_1)
	v_subrev_nc_u32_e32 v34, 28, v32
	v_lshlrev_b64_e32 v[35:36], v34, v[1:2]
	v_sub_nc_u32_e32 v34, 29, v32
	s_delay_alu instid0(VALU_DEP_2)
	v_and_b32_e32 v32, 7, v35
; %bb.112:                              ;   in Loop: Header=BB299_11 Depth=1
	s_or_b32 exec_lo, exec_lo, s36
	v_lshlrev_b32_e32 v35, 8, v10
	s_delay_alu instid0(VALU_DEP_3) | instskip(NEXT) | instid1(VALU_DEP_3)
	v_lshl_add_u32 v34, v34, 10, 0x2000
	v_lshlrev_b32_e32 v32, 7, v32
	s_delay_alu instid0(VALU_DEP_3) | instskip(NEXT) | instid1(VALU_DEP_3)
	v_and_b32_e32 v35, 0x8000, v35
	v_and_b32_e32 v34, 0xfc00, v34
	s_delay_alu instid0(VALU_DEP_1)
	v_or3_b32 v32, v35, v34, v32
.LBB299_113:                            ;   in Loop: Header=BB299_11 Depth=1
	s_wait_alu 0xfffe
	s_or_b32 exec_lo, exec_lo, s35
.LBB299_114:                            ;   in Loop: Header=BB299_11 Depth=1
	s_wait_alu 0xfffe
	s_or_b32 exec_lo, exec_lo, s34
.LBB299_115:                            ;   in Loop: Header=BB299_11 Depth=1
	s_wait_alu 0xfffe
	s_or_b32 exec_lo, exec_lo, s4
	v_lshrrev_b16 v1, 8, v1
	v_dual_mov_b32 v36, 0 :: v_dual_mov_b32 v35, 0
	s_mov_b32 s4, exec_lo
	s_delay_alu instid0(VALU_DEP_2)
	v_cmpx_ne_u16_e32 0, v1
	s_cbranch_execz .LBB299_123
; %bb.116:                              ;   in Loop: Header=BB299_11 Depth=1
	v_bfrev_b32_e32 v35, 1
	s_mov_b32 s34, exec_lo
	v_cmpx_ne_u16_e32 0x80, v1
	s_cbranch_execz .LBB299_122
; %bb.117:                              ;   in Loop: Header=BB299_11 Depth=1
	v_and_b32_e32 v34, 0xffff, v1
	v_mov_b32_e32 v35, 0x7c010000
	s_mov_b32 s35, exec_lo
	s_delay_alu instid0(VALU_DEP_2) | instskip(NEXT) | instid1(VALU_DEP_1)
	v_and_b32_e32 v38, 0x7f, v34
	v_cmpx_ne_u32_e32 0x7f, v38
	s_cbranch_execz .LBB299_121
; %bb.118:                              ;   in Loop: Header=BB299_11 Depth=1
	v_and_b32_e32 v35, 7, v34
	v_lshrrev_b32_e32 v37, 3, v38
	s_mov_b32 s36, exec_lo
	v_cmpx_gt_u32_e32 8, v38
; %bb.119:                              ;   in Loop: Header=BB299_11 Depth=1
	s_delay_alu instid0(VALU_DEP_3) | instskip(NEXT) | instid1(VALU_DEP_1)
	v_clz_i32_u32_e32 v35, v35
	v_min_u32_e32 v35, 32, v35
	s_delay_alu instid0(VALU_DEP_1) | instskip(NEXT) | instid1(VALU_DEP_1)
	v_subrev_nc_u32_e32 v37, 28, v35
	v_lshlrev_b64_e32 v[38:39], v37, v[1:2]
	v_sub_nc_u32_e32 v37, 29, v35
	s_delay_alu instid0(VALU_DEP_2)
	v_and_b32_e32 v35, 7, v38
; %bb.120:                              ;   in Loop: Header=BB299_11 Depth=1
	s_or_b32 exec_lo, exec_lo, s36
	v_lshlrev_b32_e32 v1, 8, v34
	s_delay_alu instid0(VALU_DEP_3) | instskip(NEXT) | instid1(VALU_DEP_1)
	v_lshl_add_u32 v34, v37, 10, 0x2000
	v_and_or_b32 v1, 0x8000, v1, v34
	v_lshlrev_b32_e32 v34, 23, v35
	s_delay_alu instid0(VALU_DEP_1)
	v_lshl_or_b32 v35, v1, 16, v34
.LBB299_121:                            ;   in Loop: Header=BB299_11 Depth=1
	s_wait_alu 0xfffe
	s_or_b32 exec_lo, exec_lo, s35
.LBB299_122:                            ;   in Loop: Header=BB299_11 Depth=1
	s_wait_alu 0xfffe
	s_or_b32 exec_lo, exec_lo, s34
.LBB299_123:                            ;   in Loop: Header=BB299_11 Depth=1
	s_wait_alu 0xfffe
	s_or_b32 exec_lo, exec_lo, s4
	v_lshrrev_b32_e32 v1, 16, v10
	s_mov_b32 s4, exec_lo
	s_delay_alu instid0(VALU_DEP_1) | instskip(NEXT) | instid1(VALU_DEP_1)
	v_and_b32_e32 v34, 0xff, v1
	v_cmpx_ne_u16_e32 0, v34
	s_cbranch_execz .LBB299_131
; %bb.124:                              ;   in Loop: Header=BB299_11 Depth=1
	v_mov_b32_e32 v36, 0x8000
	s_mov_b32 s34, exec_lo
	v_cmpx_ne_u16_e32 0x80, v34
	s_cbranch_execz .LBB299_130
; %bb.125:                              ;   in Loop: Header=BB299_11 Depth=1
	v_bfe_u32 v37, v10, 16, 7
	v_mov_b32_e32 v36, 0x7c01
	s_mov_b32 s35, exec_lo
	s_delay_alu instid0(VALU_DEP_2)
	v_cmpx_ne_u32_e32 0x7f, v37
	s_cbranch_execz .LBB299_129
; %bb.126:                              ;   in Loop: Header=BB299_11 Depth=1
	v_and_b32_e32 v34, 7, v1
	v_lshrrev_b32_e32 v36, 3, v37
	s_mov_b32 s36, exec_lo
	v_cmpx_gt_u32_e32 8, v37
; %bb.127:                              ;   in Loop: Header=BB299_11 Depth=1
	s_delay_alu instid0(VALU_DEP_3) | instskip(NEXT) | instid1(VALU_DEP_1)
	v_clz_i32_u32_e32 v34, v34
	v_min_u32_e32 v34, 32, v34
	s_delay_alu instid0(VALU_DEP_1) | instskip(NEXT) | instid1(VALU_DEP_1)
	v_subrev_nc_u32_e32 v36, 28, v34
	v_lshlrev_b64_e32 v[37:38], v36, v[1:2]
	v_sub_nc_u32_e32 v36, 29, v34
	s_delay_alu instid0(VALU_DEP_2)
	v_and_b32_e32 v34, 7, v37
; %bb.128:                              ;   in Loop: Header=BB299_11 Depth=1
	s_or_b32 exec_lo, exec_lo, s36
	v_lshlrev_b32_e32 v1, 8, v1
	s_delay_alu instid0(VALU_DEP_3) | instskip(NEXT) | instid1(VALU_DEP_3)
	v_lshl_add_u32 v36, v36, 10, 0x2000
	v_lshlrev_b32_e32 v34, 7, v34
	s_delay_alu instid0(VALU_DEP_3) | instskip(NEXT) | instid1(VALU_DEP_3)
	v_and_b32_e32 v1, 0x8000, v1
	v_and_b32_e32 v36, 0xfc00, v36
	s_delay_alu instid0(VALU_DEP_1)
	v_or3_b32 v36, v1, v36, v34
.LBB299_129:                            ;   in Loop: Header=BB299_11 Depth=1
	s_wait_alu 0xfffe
	s_or_b32 exec_lo, exec_lo, s35
.LBB299_130:                            ;   in Loop: Header=BB299_11 Depth=1
	s_wait_alu 0xfffe
	s_or_b32 exec_lo, exec_lo, s34
.LBB299_131:                            ;   in Loop: Header=BB299_11 Depth=1
	s_wait_alu 0xfffe
	s_or_b32 exec_lo, exec_lo, s4
	v_dual_mov_b32 v34, 0 :: v_dual_mov_b32 v37, 0
	s_mov_b32 s4, exec_lo
	v_cmpx_lt_u64_e64 s[6:7], v[9:10]
	s_cbranch_execz .LBB299_139
; %bb.132:                              ;   in Loop: Header=BB299_11 Depth=1
	v_lshrrev_b32_e32 v1, 24, v10
	v_bfrev_b32_e32 v37, 1
	s_mov_b32 s34, exec_lo
	s_delay_alu instid0(VALU_DEP_2)
	v_cmpx_ne_u32_e32 0x80, v1
	s_cbranch_execz .LBB299_138
; %bb.133:                              ;   in Loop: Header=BB299_11 Depth=1
	v_and_b32_e32 v38, 0x7f, v1
	v_mov_b32_e32 v37, 0x7c010000
	s_mov_b32 s35, exec_lo
	s_delay_alu instid0(VALU_DEP_2)
	v_cmpx_ne_u32_e32 0x7f, v38
	s_cbranch_execz .LBB299_137
; %bb.134:                              ;   in Loop: Header=BB299_11 Depth=1
	v_and_b32_e32 v9, 7, v1
	v_lshrrev_b32_e32 v10, 3, v38
	s_mov_b32 s36, exec_lo
	v_cmpx_gt_u32_e32 8, v38
; %bb.135:                              ;   in Loop: Header=BB299_11 Depth=1
	s_delay_alu instid0(VALU_DEP_3) | instskip(NEXT) | instid1(VALU_DEP_1)
	v_clz_i32_u32_e32 v9, v9
	v_min_u32_e32 v37, 32, v9
	s_delay_alu instid0(VALU_DEP_1) | instskip(NEXT) | instid1(VALU_DEP_1)
	v_subrev_nc_u32_e32 v9, 28, v37
	v_lshlrev_b64_e32 v[9:10], v9, v[1:2]
	v_sub_nc_u32_e32 v10, 29, v37
	s_delay_alu instid0(VALU_DEP_2)
	v_and_b32_e32 v9, 7, v9
; %bb.136:                              ;   in Loop: Header=BB299_11 Depth=1
	s_or_b32 exec_lo, exec_lo, s36
	v_lshlrev_b32_e32 v1, 8, v1
	s_delay_alu instid0(VALU_DEP_3) | instskip(NEXT) | instid1(VALU_DEP_3)
	v_lshl_add_u32 v10, v10, 10, 0x2000
	v_lshlrev_b32_e32 v9, 23, v9
	s_delay_alu instid0(VALU_DEP_2) | instskip(NEXT) | instid1(VALU_DEP_1)
	v_and_or_b32 v1, 0x8000, v1, v10
	v_lshl_or_b32 v37, v1, 16, v9
.LBB299_137:                            ;   in Loop: Header=BB299_11 Depth=1
	s_wait_alu 0xfffe
	s_or_b32 exec_lo, exec_lo, s35
.LBB299_138:                            ;   in Loop: Header=BB299_11 Depth=1
	s_wait_alu 0xfffe
	s_or_b32 exec_lo, exec_lo, s34
.LBB299_139:                            ;   in Loop: Header=BB299_11 Depth=1
	s_wait_alu 0xfffe
	s_or_b32 exec_lo, exec_lo, s4
	global_load_b64 v[9:10], v[7:8], off offset:512
	s_mov_b32 s4, exec_lo
	s_wait_loadcnt 0x0
	v_and_b32_e32 v1, 0xff, v9
	s_delay_alu instid0(VALU_DEP_1)
	v_cmpx_ne_u16_e32 0, v1
	s_cbranch_execz .LBB299_147
; %bb.140:                              ;   in Loop: Header=BB299_11 Depth=1
	v_mov_b32_e32 v34, 0x8000
	s_mov_b32 s34, exec_lo
	v_cmpx_ne_u16_e32 0x80, v1
	s_cbranch_execz .LBB299_146
; %bb.141:                              ;   in Loop: Header=BB299_11 Depth=1
	v_and_b32_e32 v38, 0x7f, v9
	v_mov_b32_e32 v34, 0x7c01
	s_mov_b32 s35, exec_lo
	s_delay_alu instid0(VALU_DEP_2)
	v_cmpx_ne_u32_e32 0x7f, v38
	s_cbranch_execz .LBB299_145
; %bb.142:                              ;   in Loop: Header=BB299_11 Depth=1
	v_and_b32_e32 v1, 7, v9
	v_lshrrev_b32_e32 v34, 3, v38
	s_mov_b32 s36, exec_lo
	v_cmpx_gt_u32_e32 8, v38
; %bb.143:                              ;   in Loop: Header=BB299_11 Depth=1
	s_delay_alu instid0(VALU_DEP_3) | instskip(NEXT) | instid1(VALU_DEP_1)
	v_clz_i32_u32_e32 v1, v1
	v_min_u32_e32 v1, 32, v1
	s_delay_alu instid0(VALU_DEP_1) | instskip(NEXT) | instid1(VALU_DEP_1)
	v_subrev_nc_u32_e32 v34, 28, v1
	v_lshlrev_b64_e32 v[38:39], v34, v[9:10]
	v_sub_nc_u32_e32 v34, 29, v1
	s_delay_alu instid0(VALU_DEP_2)
	v_and_b32_e32 v1, 7, v38
; %bb.144:                              ;   in Loop: Header=BB299_11 Depth=1
	s_or_b32 exec_lo, exec_lo, s36
	v_lshlrev_b32_e32 v38, 8, v9
	s_delay_alu instid0(VALU_DEP_3) | instskip(NEXT) | instid1(VALU_DEP_3)
	v_lshl_add_u32 v34, v34, 10, 0x2000
	v_lshlrev_b32_e32 v1, 7, v1
	s_delay_alu instid0(VALU_DEP_3) | instskip(NEXT) | instid1(VALU_DEP_3)
	v_and_b32_e32 v38, 0x8000, v38
	v_and_b32_e32 v34, 0xfc00, v34
	s_delay_alu instid0(VALU_DEP_1)
	v_or3_b32 v34, v38, v34, v1
.LBB299_145:                            ;   in Loop: Header=BB299_11 Depth=1
	s_wait_alu 0xfffe
	s_or_b32 exec_lo, exec_lo, s35
.LBB299_146:                            ;   in Loop: Header=BB299_11 Depth=1
	s_wait_alu 0xfffe
	s_or_b32 exec_lo, exec_lo, s34
.LBB299_147:                            ;   in Loop: Header=BB299_11 Depth=1
	s_wait_alu 0xfffe
	s_or_b32 exec_lo, exec_lo, s4
	v_lshrrev_b16 v1, 8, v9
	v_dual_mov_b32 v39, 0 :: v_dual_mov_b32 v38, 0
	s_mov_b32 s4, exec_lo
	s_delay_alu instid0(VALU_DEP_2)
	v_cmpx_ne_u16_e32 0, v1
	s_cbranch_execz .LBB299_155
; %bb.148:                              ;   in Loop: Header=BB299_11 Depth=1
	v_bfrev_b32_e32 v38, 1
	s_mov_b32 s34, exec_lo
	v_cmpx_ne_u16_e32 0x80, v1
	s_cbranch_execz .LBB299_154
; %bb.149:                              ;   in Loop: Header=BB299_11 Depth=1
	v_and_b32_e32 v40, 0xffff, v1
	v_mov_b32_e32 v38, 0x7c010000
	s_mov_b32 s35, exec_lo
	s_delay_alu instid0(VALU_DEP_2) | instskip(NEXT) | instid1(VALU_DEP_1)
	v_and_b32_e32 v42, 0x7f, v40
	v_cmpx_ne_u32_e32 0x7f, v42
	s_cbranch_execz .LBB299_153
; %bb.150:                              ;   in Loop: Header=BB299_11 Depth=1
	v_and_b32_e32 v38, 7, v40
	v_lshrrev_b32_e32 v41, 3, v42
	s_mov_b32 s36, exec_lo
	v_cmpx_gt_u32_e32 8, v42
; %bb.151:                              ;   in Loop: Header=BB299_11 Depth=1
	s_delay_alu instid0(VALU_DEP_3) | instskip(NEXT) | instid1(VALU_DEP_1)
	v_clz_i32_u32_e32 v38, v38
	v_min_u32_e32 v38, 32, v38
	s_delay_alu instid0(VALU_DEP_1) | instskip(NEXT) | instid1(VALU_DEP_1)
	v_subrev_nc_u32_e32 v41, 28, v38
	v_lshlrev_b64_e32 v[42:43], v41, v[1:2]
	v_sub_nc_u32_e32 v41, 29, v38
	s_delay_alu instid0(VALU_DEP_2)
	v_and_b32_e32 v38, 7, v42
; %bb.152:                              ;   in Loop: Header=BB299_11 Depth=1
	s_or_b32 exec_lo, exec_lo, s36
	v_lshlrev_b32_e32 v1, 8, v40
	s_delay_alu instid0(VALU_DEP_3) | instskip(NEXT) | instid1(VALU_DEP_3)
	v_lshl_add_u32 v40, v41, 10, 0x2000
	v_lshlrev_b32_e32 v38, 23, v38
	s_delay_alu instid0(VALU_DEP_2) | instskip(NEXT) | instid1(VALU_DEP_1)
	v_and_or_b32 v1, 0x8000, v1, v40
	v_lshl_or_b32 v38, v1, 16, v38
.LBB299_153:                            ;   in Loop: Header=BB299_11 Depth=1
	s_wait_alu 0xfffe
	s_or_b32 exec_lo, exec_lo, s35
.LBB299_154:                            ;   in Loop: Header=BB299_11 Depth=1
	s_wait_alu 0xfffe
	s_or_b32 exec_lo, exec_lo, s34
.LBB299_155:                            ;   in Loop: Header=BB299_11 Depth=1
	s_wait_alu 0xfffe
	s_or_b32 exec_lo, exec_lo, s4
	v_lshrrev_b32_e32 v1, 16, v9
	s_mov_b32 s4, exec_lo
	s_delay_alu instid0(VALU_DEP_1) | instskip(NEXT) | instid1(VALU_DEP_1)
	v_and_b32_e32 v40, 0xff, v1
	v_cmpx_ne_u16_e32 0, v40
	s_cbranch_execz .LBB299_163
; %bb.156:                              ;   in Loop: Header=BB299_11 Depth=1
	v_mov_b32_e32 v39, 0x8000
	s_mov_b32 s34, exec_lo
	v_cmpx_ne_u16_e32 0x80, v40
	s_cbranch_execz .LBB299_162
; %bb.157:                              ;   in Loop: Header=BB299_11 Depth=1
	v_bfe_u32 v41, v9, 16, 7
	v_mov_b32_e32 v39, 0x7c01
	s_mov_b32 s35, exec_lo
	s_delay_alu instid0(VALU_DEP_2)
	v_cmpx_ne_u32_e32 0x7f, v41
	s_cbranch_execz .LBB299_161
; %bb.158:                              ;   in Loop: Header=BB299_11 Depth=1
	v_and_b32_e32 v39, 7, v1
	v_lshrrev_b32_e32 v40, 3, v41
	s_mov_b32 s36, exec_lo
	v_cmpx_gt_u32_e32 8, v41
; %bb.159:                              ;   in Loop: Header=BB299_11 Depth=1
	s_delay_alu instid0(VALU_DEP_3) | instskip(NEXT) | instid1(VALU_DEP_1)
	v_clz_i32_u32_e32 v39, v39
	v_min_u32_e32 v41, 32, v39
	s_delay_alu instid0(VALU_DEP_1) | instskip(NEXT) | instid1(VALU_DEP_1)
	v_subrev_nc_u32_e32 v39, 28, v41
	v_lshlrev_b64_e32 v[39:40], v39, v[1:2]
	v_sub_nc_u32_e32 v40, 29, v41
	s_delay_alu instid0(VALU_DEP_2)
	v_and_b32_e32 v39, 7, v39
; %bb.160:                              ;   in Loop: Header=BB299_11 Depth=1
	s_or_b32 exec_lo, exec_lo, s36
	v_lshlrev_b32_e32 v1, 8, v1
	s_delay_alu instid0(VALU_DEP_3) | instskip(NEXT) | instid1(VALU_DEP_3)
	v_lshl_add_u32 v40, v40, 10, 0x2000
	v_lshlrev_b32_e32 v39, 7, v39
	s_delay_alu instid0(VALU_DEP_3) | instskip(NEXT) | instid1(VALU_DEP_3)
	v_and_b32_e32 v1, 0x8000, v1
	v_and_b32_e32 v40, 0xfc00, v40
	s_delay_alu instid0(VALU_DEP_1)
	v_or3_b32 v39, v1, v40, v39
.LBB299_161:                            ;   in Loop: Header=BB299_11 Depth=1
	s_wait_alu 0xfffe
	s_or_b32 exec_lo, exec_lo, s35
.LBB299_162:                            ;   in Loop: Header=BB299_11 Depth=1
	s_wait_alu 0xfffe
	s_or_b32 exec_lo, exec_lo, s34
.LBB299_163:                            ;   in Loop: Header=BB299_11 Depth=1
	s_wait_alu 0xfffe
	s_or_b32 exec_lo, exec_lo, s4
	v_dual_mov_b32 v40, 0 :: v_dual_mov_b32 v41, 0
	s_mov_b32 s4, exec_lo
	v_cmpx_lt_u32_e32 0xffffff, v9
	s_cbranch_execz .LBB299_171
; %bb.164:                              ;   in Loop: Header=BB299_11 Depth=1
	v_lshrrev_b32_e32 v1, 24, v9
	v_bfrev_b32_e32 v41, 1
	s_mov_b32 s34, exec_lo
	s_delay_alu instid0(VALU_DEP_2)
	v_cmpx_ne_u32_e32 0x80, v1
	s_cbranch_execz .LBB299_170
; %bb.165:                              ;   in Loop: Header=BB299_11 Depth=1
	v_and_b32_e32 v43, 0x7f, v1
	v_mov_b32_e32 v41, 0x7c010000
	s_mov_b32 s35, exec_lo
	s_delay_alu instid0(VALU_DEP_2)
	v_cmpx_ne_u32_e32 0x7f, v43
	s_cbranch_execz .LBB299_169
; %bb.166:                              ;   in Loop: Header=BB299_11 Depth=1
	v_and_b32_e32 v41, 7, v1
	v_lshrrev_b32_e32 v42, 3, v43
	s_mov_b32 s36, exec_lo
	v_cmpx_gt_u32_e32 8, v43
; %bb.167:                              ;   in Loop: Header=BB299_11 Depth=1
	s_delay_alu instid0(VALU_DEP_3) | instskip(NEXT) | instid1(VALU_DEP_1)
	v_clz_i32_u32_e32 v41, v41
	v_min_u32_e32 v43, 32, v41
	s_delay_alu instid0(VALU_DEP_1) | instskip(NEXT) | instid1(VALU_DEP_1)
	v_subrev_nc_u32_e32 v41, 28, v43
	v_lshlrev_b64_e32 v[41:42], v41, v[1:2]
	v_sub_nc_u32_e32 v42, 29, v43
	s_delay_alu instid0(VALU_DEP_2)
	v_and_b32_e32 v41, 7, v41
; %bb.168:                              ;   in Loop: Header=BB299_11 Depth=1
	s_or_b32 exec_lo, exec_lo, s36
	v_lshlrev_b32_e32 v1, 8, v1
	s_delay_alu instid0(VALU_DEP_3) | instskip(NEXT) | instid1(VALU_DEP_3)
	v_lshl_add_u32 v42, v42, 10, 0x2000
	v_lshlrev_b32_e32 v41, 23, v41
	s_delay_alu instid0(VALU_DEP_2) | instskip(NEXT) | instid1(VALU_DEP_1)
	v_and_or_b32 v1, 0x8000, v1, v42
	v_lshl_or_b32 v41, v1, 16, v41
.LBB299_169:                            ;   in Loop: Header=BB299_11 Depth=1
	s_wait_alu 0xfffe
	s_or_b32 exec_lo, exec_lo, s35
.LBB299_170:                            ;   in Loop: Header=BB299_11 Depth=1
	s_wait_alu 0xfffe
	s_or_b32 exec_lo, exec_lo, s34
.LBB299_171:                            ;   in Loop: Header=BB299_11 Depth=1
	s_wait_alu 0xfffe
	s_or_b32 exec_lo, exec_lo, s4
	v_dual_mov_b32 v1, v10 :: v_dual_and_b32 v42, 0xff, v10
	s_mov_b32 s4, exec_lo
	s_delay_alu instid0(VALU_DEP_1)
	v_cmpx_ne_u16_e32 0, v42
	s_cbranch_execz .LBB299_179
; %bb.172:                              ;   in Loop: Header=BB299_11 Depth=1
	v_mov_b32_e32 v40, 0x8000
	s_mov_b32 s34, exec_lo
	v_cmpx_ne_u16_e32 0x80, v42
	s_cbranch_execz .LBB299_178
; %bb.173:                              ;   in Loop: Header=BB299_11 Depth=1
	v_and_b32_e32 v43, 0x7f, v10
	v_mov_b32_e32 v40, 0x7c01
	s_mov_b32 s35, exec_lo
	s_delay_alu instid0(VALU_DEP_2)
	v_cmpx_ne_u32_e32 0x7f, v43
	s_cbranch_execz .LBB299_177
; %bb.174:                              ;   in Loop: Header=BB299_11 Depth=1
	v_and_b32_e32 v40, 7, v10
	v_lshrrev_b32_e32 v42, 3, v43
	s_mov_b32 s36, exec_lo
	v_cmpx_gt_u32_e32 8, v43
; %bb.175:                              ;   in Loop: Header=BB299_11 Depth=1
	s_delay_alu instid0(VALU_DEP_3) | instskip(NEXT) | instid1(VALU_DEP_1)
	v_clz_i32_u32_e32 v40, v40
	v_min_u32_e32 v40, 32, v40
	s_delay_alu instid0(VALU_DEP_1) | instskip(NEXT) | instid1(VALU_DEP_1)
	v_subrev_nc_u32_e32 v42, 28, v40
	v_lshlrev_b64_e32 v[43:44], v42, v[1:2]
	v_sub_nc_u32_e32 v42, 29, v40
	s_delay_alu instid0(VALU_DEP_2)
	v_and_b32_e32 v40, 7, v43
; %bb.176:                              ;   in Loop: Header=BB299_11 Depth=1
	s_or_b32 exec_lo, exec_lo, s36
	v_lshlrev_b32_e32 v43, 8, v10
	s_delay_alu instid0(VALU_DEP_3) | instskip(NEXT) | instid1(VALU_DEP_3)
	v_lshl_add_u32 v42, v42, 10, 0x2000
	v_lshlrev_b32_e32 v40, 7, v40
	s_delay_alu instid0(VALU_DEP_3) | instskip(NEXT) | instid1(VALU_DEP_3)
	v_and_b32_e32 v43, 0x8000, v43
	v_and_b32_e32 v42, 0xfc00, v42
	s_delay_alu instid0(VALU_DEP_1)
	v_or3_b32 v40, v43, v42, v40
.LBB299_177:                            ;   in Loop: Header=BB299_11 Depth=1
	s_wait_alu 0xfffe
	s_or_b32 exec_lo, exec_lo, s35
.LBB299_178:                            ;   in Loop: Header=BB299_11 Depth=1
	s_wait_alu 0xfffe
	s_or_b32 exec_lo, exec_lo, s34
.LBB299_179:                            ;   in Loop: Header=BB299_11 Depth=1
	s_wait_alu 0xfffe
	s_or_b32 exec_lo, exec_lo, s4
	v_lshrrev_b16 v1, 8, v1
	v_dual_mov_b32 v44, 0 :: v_dual_mov_b32 v43, 0
	s_mov_b32 s4, exec_lo
	s_delay_alu instid0(VALU_DEP_2)
	v_cmpx_ne_u16_e32 0, v1
	s_cbranch_execz .LBB299_187
; %bb.180:                              ;   in Loop: Header=BB299_11 Depth=1
	v_bfrev_b32_e32 v43, 1
	s_mov_b32 s34, exec_lo
	v_cmpx_ne_u16_e32 0x80, v1
	s_cbranch_execz .LBB299_186
; %bb.181:                              ;   in Loop: Header=BB299_11 Depth=1
	v_and_b32_e32 v42, 0xffff, v1
	v_mov_b32_e32 v43, 0x7c010000
	s_mov_b32 s35, exec_lo
	s_delay_alu instid0(VALU_DEP_2) | instskip(NEXT) | instid1(VALU_DEP_1)
	v_and_b32_e32 v46, 0x7f, v42
	v_cmpx_ne_u32_e32 0x7f, v46
	s_cbranch_execz .LBB299_185
; %bb.182:                              ;   in Loop: Header=BB299_11 Depth=1
	v_and_b32_e32 v43, 7, v42
	v_lshrrev_b32_e32 v45, 3, v46
	s_mov_b32 s36, exec_lo
	v_cmpx_gt_u32_e32 8, v46
; %bb.183:                              ;   in Loop: Header=BB299_11 Depth=1
	s_delay_alu instid0(VALU_DEP_3) | instskip(NEXT) | instid1(VALU_DEP_1)
	v_clz_i32_u32_e32 v43, v43
	v_min_u32_e32 v43, 32, v43
	s_delay_alu instid0(VALU_DEP_1) | instskip(NEXT) | instid1(VALU_DEP_1)
	v_subrev_nc_u32_e32 v45, 28, v43
	v_lshlrev_b64_e32 v[46:47], v45, v[1:2]
	v_sub_nc_u32_e32 v45, 29, v43
	s_delay_alu instid0(VALU_DEP_2)
	v_and_b32_e32 v43, 7, v46
; %bb.184:                              ;   in Loop: Header=BB299_11 Depth=1
	s_or_b32 exec_lo, exec_lo, s36
	v_lshlrev_b32_e32 v1, 8, v42
	s_delay_alu instid0(VALU_DEP_3) | instskip(NEXT) | instid1(VALU_DEP_1)
	v_lshl_add_u32 v42, v45, 10, 0x2000
	v_and_or_b32 v1, 0x8000, v1, v42
	v_lshlrev_b32_e32 v42, 23, v43
	s_delay_alu instid0(VALU_DEP_1)
	v_lshl_or_b32 v43, v1, 16, v42
.LBB299_185:                            ;   in Loop: Header=BB299_11 Depth=1
	s_wait_alu 0xfffe
	s_or_b32 exec_lo, exec_lo, s35
.LBB299_186:                            ;   in Loop: Header=BB299_11 Depth=1
	s_wait_alu 0xfffe
	s_or_b32 exec_lo, exec_lo, s34
.LBB299_187:                            ;   in Loop: Header=BB299_11 Depth=1
	s_wait_alu 0xfffe
	s_or_b32 exec_lo, exec_lo, s4
	v_lshrrev_b32_e32 v1, 16, v10
	s_mov_b32 s4, exec_lo
	s_delay_alu instid0(VALU_DEP_1) | instskip(NEXT) | instid1(VALU_DEP_1)
	v_and_b32_e32 v42, 0xff, v1
	v_cmpx_ne_u16_e32 0, v42
	s_cbranch_execz .LBB299_195
; %bb.188:                              ;   in Loop: Header=BB299_11 Depth=1
	v_mov_b32_e32 v44, 0x8000
	s_mov_b32 s34, exec_lo
	v_cmpx_ne_u16_e32 0x80, v42
	s_cbranch_execz .LBB299_194
; %bb.189:                              ;   in Loop: Header=BB299_11 Depth=1
	v_bfe_u32 v45, v10, 16, 7
	v_mov_b32_e32 v44, 0x7c01
	s_mov_b32 s35, exec_lo
	s_delay_alu instid0(VALU_DEP_2)
	v_cmpx_ne_u32_e32 0x7f, v45
	s_cbranch_execz .LBB299_193
; %bb.190:                              ;   in Loop: Header=BB299_11 Depth=1
	v_and_b32_e32 v42, 7, v1
	v_lshrrev_b32_e32 v44, 3, v45
	s_mov_b32 s36, exec_lo
	v_cmpx_gt_u32_e32 8, v45
; %bb.191:                              ;   in Loop: Header=BB299_11 Depth=1
	s_delay_alu instid0(VALU_DEP_3) | instskip(NEXT) | instid1(VALU_DEP_1)
	v_clz_i32_u32_e32 v42, v42
	v_min_u32_e32 v42, 32, v42
	s_delay_alu instid0(VALU_DEP_1) | instskip(NEXT) | instid1(VALU_DEP_1)
	v_subrev_nc_u32_e32 v44, 28, v42
	v_lshlrev_b64_e32 v[45:46], v44, v[1:2]
	v_sub_nc_u32_e32 v44, 29, v42
	s_delay_alu instid0(VALU_DEP_2)
	v_and_b32_e32 v42, 7, v45
; %bb.192:                              ;   in Loop: Header=BB299_11 Depth=1
	s_or_b32 exec_lo, exec_lo, s36
	v_lshlrev_b32_e32 v1, 8, v1
	s_delay_alu instid0(VALU_DEP_3) | instskip(NEXT) | instid1(VALU_DEP_3)
	v_lshl_add_u32 v44, v44, 10, 0x2000
	v_lshlrev_b32_e32 v42, 7, v42
	s_delay_alu instid0(VALU_DEP_3) | instskip(NEXT) | instid1(VALU_DEP_3)
	v_and_b32_e32 v1, 0x8000, v1
	v_and_b32_e32 v44, 0xfc00, v44
	s_delay_alu instid0(VALU_DEP_1)
	v_or3_b32 v44, v1, v44, v42
.LBB299_193:                            ;   in Loop: Header=BB299_11 Depth=1
	s_wait_alu 0xfffe
	s_or_b32 exec_lo, exec_lo, s35
.LBB299_194:                            ;   in Loop: Header=BB299_11 Depth=1
	s_wait_alu 0xfffe
	s_or_b32 exec_lo, exec_lo, s34
.LBB299_195:                            ;   in Loop: Header=BB299_11 Depth=1
	s_wait_alu 0xfffe
	s_or_b32 exec_lo, exec_lo, s4
	v_mov_b32_e32 v42, 0
	v_mov_b32_e32 v46, 0
	s_mov_b32 s4, exec_lo
	v_cmpx_lt_u64_e64 s[6:7], v[9:10]
	s_cbranch_execz .LBB299_203
; %bb.196:                              ;   in Loop: Header=BB299_11 Depth=1
	v_lshrrev_b32_e32 v1, 24, v10
	v_bfrev_b32_e32 v46, 1
	s_mov_b32 s34, exec_lo
	s_delay_alu instid0(VALU_DEP_2)
	v_cmpx_ne_u32_e32 0x80, v1
	s_cbranch_execz .LBB299_202
; %bb.197:                              ;   in Loop: Header=BB299_11 Depth=1
	v_and_b32_e32 v45, 0x7f, v1
	v_mov_b32_e32 v46, 0x7c010000
	s_mov_b32 s35, exec_lo
	s_delay_alu instid0(VALU_DEP_2)
	v_cmpx_ne_u32_e32 0x7f, v45
	s_cbranch_execz .LBB299_201
; %bb.198:                              ;   in Loop: Header=BB299_11 Depth=1
	v_and_b32_e32 v9, 7, v1
	v_lshrrev_b32_e32 v10, 3, v45
	s_mov_b32 s36, exec_lo
	v_cmpx_gt_u32_e32 8, v45
; %bb.199:                              ;   in Loop: Header=BB299_11 Depth=1
	s_delay_alu instid0(VALU_DEP_3) | instskip(NEXT) | instid1(VALU_DEP_1)
	v_clz_i32_u32_e32 v9, v9
	v_min_u32_e32 v45, 32, v9
	s_delay_alu instid0(VALU_DEP_1) | instskip(NEXT) | instid1(VALU_DEP_1)
	v_subrev_nc_u32_e32 v9, 28, v45
	v_lshlrev_b64_e32 v[9:10], v9, v[1:2]
	v_sub_nc_u32_e32 v10, 29, v45
	s_delay_alu instid0(VALU_DEP_2)
	v_and_b32_e32 v9, 7, v9
; %bb.200:                              ;   in Loop: Header=BB299_11 Depth=1
	s_or_b32 exec_lo, exec_lo, s36
	v_lshlrev_b32_e32 v1, 8, v1
	s_delay_alu instid0(VALU_DEP_3) | instskip(NEXT) | instid1(VALU_DEP_3)
	v_lshl_add_u32 v10, v10, 10, 0x2000
	v_lshlrev_b32_e32 v9, 23, v9
	s_delay_alu instid0(VALU_DEP_2) | instskip(NEXT) | instid1(VALU_DEP_1)
	v_and_or_b32 v1, 0x8000, v1, v10
	v_lshl_or_b32 v46, v1, 16, v9
.LBB299_201:                            ;   in Loop: Header=BB299_11 Depth=1
	s_wait_alu 0xfffe
	s_or_b32 exec_lo, exec_lo, s35
.LBB299_202:                            ;   in Loop: Header=BB299_11 Depth=1
	s_wait_alu 0xfffe
	s_or_b32 exec_lo, exec_lo, s34
.LBB299_203:                            ;   in Loop: Header=BB299_11 Depth=1
	s_wait_alu 0xfffe
	s_or_b32 exec_lo, exec_lo, s4
	global_load_b64 v[9:10], v[7:8], off offset:520
	s_mov_b32 s4, exec_lo
	s_wait_loadcnt 0x0
	v_and_b32_e32 v1, 0xff, v9
	s_delay_alu instid0(VALU_DEP_1)
	v_cmpx_ne_u16_e32 0, v1
	s_cbranch_execz .LBB299_211
; %bb.204:                              ;   in Loop: Header=BB299_11 Depth=1
	v_mov_b32_e32 v42, 0x8000
	s_mov_b32 s34, exec_lo
	v_cmpx_ne_u16_e32 0x80, v1
	s_cbranch_execz .LBB299_210
; %bb.205:                              ;   in Loop: Header=BB299_11 Depth=1
	v_and_b32_e32 v45, 0x7f, v9
	v_mov_b32_e32 v42, 0x7c01
	s_mov_b32 s35, exec_lo
	s_delay_alu instid0(VALU_DEP_2)
	v_cmpx_ne_u32_e32 0x7f, v45
	s_cbranch_execz .LBB299_209
; %bb.206:                              ;   in Loop: Header=BB299_11 Depth=1
	v_and_b32_e32 v1, 7, v9
	v_lshrrev_b32_e32 v42, 3, v45
	s_mov_b32 s36, exec_lo
	v_cmpx_gt_u32_e32 8, v45
; %bb.207:                              ;   in Loop: Header=BB299_11 Depth=1
	s_delay_alu instid0(VALU_DEP_3) | instskip(NEXT) | instid1(VALU_DEP_1)
	v_clz_i32_u32_e32 v1, v1
	v_min_u32_e32 v1, 32, v1
	s_delay_alu instid0(VALU_DEP_1) | instskip(NEXT) | instid1(VALU_DEP_1)
	v_subrev_nc_u32_e32 v42, 28, v1
	v_lshlrev_b64_e32 v[47:48], v42, v[9:10]
	v_sub_nc_u32_e32 v42, 29, v1
	s_delay_alu instid0(VALU_DEP_2)
	v_and_b32_e32 v1, 7, v47
; %bb.208:                              ;   in Loop: Header=BB299_11 Depth=1
	s_or_b32 exec_lo, exec_lo, s36
	v_lshlrev_b32_e32 v45, 8, v9
	s_delay_alu instid0(VALU_DEP_3) | instskip(NEXT) | instid1(VALU_DEP_3)
	v_lshl_add_u32 v42, v42, 10, 0x2000
	v_lshlrev_b32_e32 v1, 7, v1
	s_delay_alu instid0(VALU_DEP_3) | instskip(NEXT) | instid1(VALU_DEP_3)
	v_and_b32_e32 v45, 0x8000, v45
	v_and_b32_e32 v42, 0xfc00, v42
	s_delay_alu instid0(VALU_DEP_1)
	v_or3_b32 v42, v45, v42, v1
.LBB299_209:                            ;   in Loop: Header=BB299_11 Depth=1
	s_wait_alu 0xfffe
	s_or_b32 exec_lo, exec_lo, s35
.LBB299_210:                            ;   in Loop: Header=BB299_11 Depth=1
	s_wait_alu 0xfffe
	s_or_b32 exec_lo, exec_lo, s34
.LBB299_211:                            ;   in Loop: Header=BB299_11 Depth=1
	s_wait_alu 0xfffe
	s_or_b32 exec_lo, exec_lo, s4
	v_lshrrev_b16 v1, 8, v9
	v_mov_b32_e32 v47, 0
	v_mov_b32_e32 v45, 0
	s_mov_b32 s4, exec_lo
	s_delay_alu instid0(VALU_DEP_3)
	v_cmpx_ne_u16_e32 0, v1
	s_cbranch_execz .LBB299_219
; %bb.212:                              ;   in Loop: Header=BB299_11 Depth=1
	v_bfrev_b32_e32 v45, 1
	s_mov_b32 s34, exec_lo
	v_cmpx_ne_u16_e32 0x80, v1
	s_cbranch_execz .LBB299_218
; %bb.213:                              ;   in Loop: Header=BB299_11 Depth=1
	v_and_b32_e32 v48, 0xffff, v1
	v_mov_b32_e32 v45, 0x7c010000
	s_mov_b32 s35, exec_lo
	s_delay_alu instid0(VALU_DEP_2) | instskip(NEXT) | instid1(VALU_DEP_1)
	v_and_b32_e32 v50, 0x7f, v48
	v_cmpx_ne_u32_e32 0x7f, v50
	s_cbranch_execz .LBB299_217
; %bb.214:                              ;   in Loop: Header=BB299_11 Depth=1
	v_and_b32_e32 v45, 7, v48
	v_lshrrev_b32_e32 v49, 3, v50
	s_mov_b32 s36, exec_lo
	v_cmpx_gt_u32_e32 8, v50
; %bb.215:                              ;   in Loop: Header=BB299_11 Depth=1
	s_delay_alu instid0(VALU_DEP_3) | instskip(NEXT) | instid1(VALU_DEP_1)
	v_clz_i32_u32_e32 v45, v45
	v_min_u32_e32 v45, 32, v45
	s_delay_alu instid0(VALU_DEP_1) | instskip(NEXT) | instid1(VALU_DEP_1)
	v_subrev_nc_u32_e32 v49, 28, v45
	v_lshlrev_b64_e32 v[50:51], v49, v[1:2]
	v_sub_nc_u32_e32 v49, 29, v45
	s_delay_alu instid0(VALU_DEP_2)
	v_and_b32_e32 v45, 7, v50
; %bb.216:                              ;   in Loop: Header=BB299_11 Depth=1
	s_or_b32 exec_lo, exec_lo, s36
	v_lshlrev_b32_e32 v1, 8, v48
	s_delay_alu instid0(VALU_DEP_3) | instskip(NEXT) | instid1(VALU_DEP_3)
	v_lshl_add_u32 v48, v49, 10, 0x2000
	v_lshlrev_b32_e32 v45, 23, v45
	s_delay_alu instid0(VALU_DEP_2) | instskip(NEXT) | instid1(VALU_DEP_1)
	v_and_or_b32 v1, 0x8000, v1, v48
	v_lshl_or_b32 v45, v1, 16, v45
.LBB299_217:                            ;   in Loop: Header=BB299_11 Depth=1
	s_wait_alu 0xfffe
	s_or_b32 exec_lo, exec_lo, s35
.LBB299_218:                            ;   in Loop: Header=BB299_11 Depth=1
	s_wait_alu 0xfffe
	s_or_b32 exec_lo, exec_lo, s34
.LBB299_219:                            ;   in Loop: Header=BB299_11 Depth=1
	s_wait_alu 0xfffe
	s_or_b32 exec_lo, exec_lo, s4
	v_lshrrev_b32_e32 v1, 16, v9
	s_mov_b32 s4, exec_lo
	s_delay_alu instid0(VALU_DEP_1) | instskip(NEXT) | instid1(VALU_DEP_1)
	v_and_b32_e32 v48, 0xff, v1
	v_cmpx_ne_u16_e32 0, v48
	s_cbranch_execz .LBB299_227
; %bb.220:                              ;   in Loop: Header=BB299_11 Depth=1
	v_mov_b32_e32 v47, 0x8000
	s_mov_b32 s34, exec_lo
	v_cmpx_ne_u16_e32 0x80, v48
	s_cbranch_execz .LBB299_226
; %bb.221:                              ;   in Loop: Header=BB299_11 Depth=1
	v_bfe_u32 v49, v9, 16, 7
	v_mov_b32_e32 v47, 0x7c01
	s_mov_b32 s35, exec_lo
	s_delay_alu instid0(VALU_DEP_2)
	v_cmpx_ne_u32_e32 0x7f, v49
	s_cbranch_execz .LBB299_225
; %bb.222:                              ;   in Loop: Header=BB299_11 Depth=1
	v_and_b32_e32 v47, 7, v1
	v_lshrrev_b32_e32 v48, 3, v49
	s_mov_b32 s36, exec_lo
	v_cmpx_gt_u32_e32 8, v49
; %bb.223:                              ;   in Loop: Header=BB299_11 Depth=1
	s_delay_alu instid0(VALU_DEP_3) | instskip(NEXT) | instid1(VALU_DEP_1)
	v_clz_i32_u32_e32 v47, v47
	v_min_u32_e32 v49, 32, v47
	s_delay_alu instid0(VALU_DEP_1) | instskip(NEXT) | instid1(VALU_DEP_1)
	v_subrev_nc_u32_e32 v47, 28, v49
	v_lshlrev_b64_e32 v[47:48], v47, v[1:2]
	v_sub_nc_u32_e32 v48, 29, v49
	s_delay_alu instid0(VALU_DEP_2)
	v_and_b32_e32 v47, 7, v47
; %bb.224:                              ;   in Loop: Header=BB299_11 Depth=1
	s_or_b32 exec_lo, exec_lo, s36
	v_lshlrev_b32_e32 v1, 8, v1
	s_delay_alu instid0(VALU_DEP_3) | instskip(NEXT) | instid1(VALU_DEP_3)
	v_lshl_add_u32 v48, v48, 10, 0x2000
	v_lshlrev_b32_e32 v47, 7, v47
	s_delay_alu instid0(VALU_DEP_3) | instskip(NEXT) | instid1(VALU_DEP_3)
	v_and_b32_e32 v1, 0x8000, v1
	v_and_b32_e32 v48, 0xfc00, v48
	s_delay_alu instid0(VALU_DEP_1)
	v_or3_b32 v47, v1, v48, v47
.LBB299_225:                            ;   in Loop: Header=BB299_11 Depth=1
	s_wait_alu 0xfffe
	s_or_b32 exec_lo, exec_lo, s35
.LBB299_226:                            ;   in Loop: Header=BB299_11 Depth=1
	s_wait_alu 0xfffe
	s_or_b32 exec_lo, exec_lo, s34
.LBB299_227:                            ;   in Loop: Header=BB299_11 Depth=1
	s_wait_alu 0xfffe
	s_or_b32 exec_lo, exec_lo, s4
	v_dual_mov_b32 v48, 0 :: v_dual_mov_b32 v49, 0
	s_mov_b32 s4, exec_lo
	v_cmpx_lt_u32_e32 0xffffff, v9
	s_cbranch_execz .LBB299_235
; %bb.228:                              ;   in Loop: Header=BB299_11 Depth=1
	v_lshrrev_b32_e32 v1, 24, v9
	v_bfrev_b32_e32 v49, 1
	s_mov_b32 s34, exec_lo
	s_delay_alu instid0(VALU_DEP_2)
	v_cmpx_ne_u32_e32 0x80, v1
	s_cbranch_execz .LBB299_234
; %bb.229:                              ;   in Loop: Header=BB299_11 Depth=1
	v_and_b32_e32 v51, 0x7f, v1
	v_mov_b32_e32 v49, 0x7c010000
	s_mov_b32 s35, exec_lo
	s_delay_alu instid0(VALU_DEP_2)
	v_cmpx_ne_u32_e32 0x7f, v51
	s_cbranch_execz .LBB299_233
; %bb.230:                              ;   in Loop: Header=BB299_11 Depth=1
	v_and_b32_e32 v49, 7, v1
	v_lshrrev_b32_e32 v50, 3, v51
	s_mov_b32 s36, exec_lo
	v_cmpx_gt_u32_e32 8, v51
; %bb.231:                              ;   in Loop: Header=BB299_11 Depth=1
	s_delay_alu instid0(VALU_DEP_3) | instskip(NEXT) | instid1(VALU_DEP_1)
	v_clz_i32_u32_e32 v49, v49
	v_min_u32_e32 v51, 32, v49
	s_delay_alu instid0(VALU_DEP_1) | instskip(NEXT) | instid1(VALU_DEP_1)
	v_subrev_nc_u32_e32 v49, 28, v51
	v_lshlrev_b64_e32 v[49:50], v49, v[1:2]
	v_sub_nc_u32_e32 v50, 29, v51
	s_delay_alu instid0(VALU_DEP_2)
	v_and_b32_e32 v49, 7, v49
; %bb.232:                              ;   in Loop: Header=BB299_11 Depth=1
	s_or_b32 exec_lo, exec_lo, s36
	v_lshlrev_b32_e32 v1, 8, v1
	s_delay_alu instid0(VALU_DEP_3) | instskip(NEXT) | instid1(VALU_DEP_3)
	v_lshl_add_u32 v50, v50, 10, 0x2000
	v_lshlrev_b32_e32 v49, 23, v49
	s_delay_alu instid0(VALU_DEP_2) | instskip(NEXT) | instid1(VALU_DEP_1)
	v_and_or_b32 v1, 0x8000, v1, v50
	v_lshl_or_b32 v49, v1, 16, v49
.LBB299_233:                            ;   in Loop: Header=BB299_11 Depth=1
	s_wait_alu 0xfffe
	s_or_b32 exec_lo, exec_lo, s35
.LBB299_234:                            ;   in Loop: Header=BB299_11 Depth=1
	s_wait_alu 0xfffe
	s_or_b32 exec_lo, exec_lo, s34
.LBB299_235:                            ;   in Loop: Header=BB299_11 Depth=1
	s_wait_alu 0xfffe
	s_or_b32 exec_lo, exec_lo, s4
	v_dual_mov_b32 v1, v10 :: v_dual_and_b32 v50, 0xff, v10
	s_mov_b32 s4, exec_lo
	s_delay_alu instid0(VALU_DEP_1)
	v_cmpx_ne_u16_e32 0, v50
	s_cbranch_execz .LBB299_243
; %bb.236:                              ;   in Loop: Header=BB299_11 Depth=1
	v_mov_b32_e32 v48, 0x8000
	s_mov_b32 s34, exec_lo
	v_cmpx_ne_u16_e32 0x80, v50
	s_cbranch_execz .LBB299_242
; %bb.237:                              ;   in Loop: Header=BB299_11 Depth=1
	v_and_b32_e32 v51, 0x7f, v10
	v_mov_b32_e32 v48, 0x7c01
	s_mov_b32 s35, exec_lo
	s_delay_alu instid0(VALU_DEP_2)
	v_cmpx_ne_u32_e32 0x7f, v51
	s_cbranch_execz .LBB299_241
; %bb.238:                              ;   in Loop: Header=BB299_11 Depth=1
	v_and_b32_e32 v48, 7, v10
	v_lshrrev_b32_e32 v50, 3, v51
	s_mov_b32 s36, exec_lo
	v_cmpx_gt_u32_e32 8, v51
; %bb.239:                              ;   in Loop: Header=BB299_11 Depth=1
	s_delay_alu instid0(VALU_DEP_3) | instskip(NEXT) | instid1(VALU_DEP_1)
	v_clz_i32_u32_e32 v48, v48
	v_min_u32_e32 v48, 32, v48
	s_delay_alu instid0(VALU_DEP_1) | instskip(NEXT) | instid1(VALU_DEP_1)
	v_subrev_nc_u32_e32 v50, 28, v48
	v_lshlrev_b64_e32 v[51:52], v50, v[1:2]
	v_sub_nc_u32_e32 v50, 29, v48
	s_delay_alu instid0(VALU_DEP_2)
	v_and_b32_e32 v48, 7, v51
; %bb.240:                              ;   in Loop: Header=BB299_11 Depth=1
	s_or_b32 exec_lo, exec_lo, s36
	v_lshlrev_b32_e32 v51, 8, v10
	s_delay_alu instid0(VALU_DEP_3) | instskip(NEXT) | instid1(VALU_DEP_3)
	v_lshl_add_u32 v50, v50, 10, 0x2000
	v_lshlrev_b32_e32 v48, 7, v48
	s_delay_alu instid0(VALU_DEP_3) | instskip(NEXT) | instid1(VALU_DEP_3)
	v_and_b32_e32 v51, 0x8000, v51
	v_and_b32_e32 v50, 0xfc00, v50
	s_delay_alu instid0(VALU_DEP_1)
	v_or3_b32 v48, v51, v50, v48
.LBB299_241:                            ;   in Loop: Header=BB299_11 Depth=1
	s_wait_alu 0xfffe
	s_or_b32 exec_lo, exec_lo, s35
.LBB299_242:                            ;   in Loop: Header=BB299_11 Depth=1
	s_wait_alu 0xfffe
	s_or_b32 exec_lo, exec_lo, s34
.LBB299_243:                            ;   in Loop: Header=BB299_11 Depth=1
	s_wait_alu 0xfffe
	s_or_b32 exec_lo, exec_lo, s4
	v_lshrrev_b16 v1, 8, v1
	v_dual_mov_b32 v52, 0 :: v_dual_mov_b32 v51, 0
	s_mov_b32 s4, exec_lo
	s_delay_alu instid0(VALU_DEP_2)
	v_cmpx_ne_u16_e32 0, v1
	s_cbranch_execz .LBB299_251
; %bb.244:                              ;   in Loop: Header=BB299_11 Depth=1
	v_bfrev_b32_e32 v51, 1
	s_mov_b32 s34, exec_lo
	v_cmpx_ne_u16_e32 0x80, v1
	s_cbranch_execz .LBB299_250
; %bb.245:                              ;   in Loop: Header=BB299_11 Depth=1
	v_and_b32_e32 v50, 0xffff, v1
	v_mov_b32_e32 v51, 0x7c010000
	s_mov_b32 s35, exec_lo
	s_delay_alu instid0(VALU_DEP_2) | instskip(NEXT) | instid1(VALU_DEP_1)
	v_and_b32_e32 v54, 0x7f, v50
	v_cmpx_ne_u32_e32 0x7f, v54
	s_cbranch_execz .LBB299_249
; %bb.246:                              ;   in Loop: Header=BB299_11 Depth=1
	v_and_b32_e32 v51, 7, v50
	v_lshrrev_b32_e32 v53, 3, v54
	s_mov_b32 s36, exec_lo
	v_cmpx_gt_u32_e32 8, v54
; %bb.247:                              ;   in Loop: Header=BB299_11 Depth=1
	s_delay_alu instid0(VALU_DEP_3) | instskip(NEXT) | instid1(VALU_DEP_1)
	v_clz_i32_u32_e32 v51, v51
	v_min_u32_e32 v51, 32, v51
	s_delay_alu instid0(VALU_DEP_1) | instskip(NEXT) | instid1(VALU_DEP_1)
	v_subrev_nc_u32_e32 v53, 28, v51
	v_lshlrev_b64_e32 v[54:55], v53, v[1:2]
	v_sub_nc_u32_e32 v53, 29, v51
	s_delay_alu instid0(VALU_DEP_2)
	v_and_b32_e32 v51, 7, v54
; %bb.248:                              ;   in Loop: Header=BB299_11 Depth=1
	s_or_b32 exec_lo, exec_lo, s36
	v_lshlrev_b32_e32 v1, 8, v50
	s_delay_alu instid0(VALU_DEP_3) | instskip(NEXT) | instid1(VALU_DEP_1)
	v_lshl_add_u32 v50, v53, 10, 0x2000
	v_and_or_b32 v1, 0x8000, v1, v50
	v_lshlrev_b32_e32 v50, 23, v51
	s_delay_alu instid0(VALU_DEP_1)
	v_lshl_or_b32 v51, v1, 16, v50
.LBB299_249:                            ;   in Loop: Header=BB299_11 Depth=1
	s_wait_alu 0xfffe
	s_or_b32 exec_lo, exec_lo, s35
.LBB299_250:                            ;   in Loop: Header=BB299_11 Depth=1
	s_wait_alu 0xfffe
	s_or_b32 exec_lo, exec_lo, s34
.LBB299_251:                            ;   in Loop: Header=BB299_11 Depth=1
	s_wait_alu 0xfffe
	s_or_b32 exec_lo, exec_lo, s4
	v_lshrrev_b32_e32 v1, 16, v10
	s_mov_b32 s4, exec_lo
	s_delay_alu instid0(VALU_DEP_1) | instskip(NEXT) | instid1(VALU_DEP_1)
	v_and_b32_e32 v50, 0xff, v1
	v_cmpx_ne_u16_e32 0, v50
	s_cbranch_execz .LBB299_259
; %bb.252:                              ;   in Loop: Header=BB299_11 Depth=1
	v_mov_b32_e32 v52, 0x8000
	s_mov_b32 s34, exec_lo
	v_cmpx_ne_u16_e32 0x80, v50
	s_cbranch_execz .LBB299_258
; %bb.253:                              ;   in Loop: Header=BB299_11 Depth=1
	v_bfe_u32 v53, v10, 16, 7
	v_mov_b32_e32 v52, 0x7c01
	s_mov_b32 s35, exec_lo
	s_delay_alu instid0(VALU_DEP_2)
	v_cmpx_ne_u32_e32 0x7f, v53
	s_cbranch_execz .LBB299_257
; %bb.254:                              ;   in Loop: Header=BB299_11 Depth=1
	v_and_b32_e32 v50, 7, v1
	v_lshrrev_b32_e32 v52, 3, v53
	s_mov_b32 s36, exec_lo
	v_cmpx_gt_u32_e32 8, v53
; %bb.255:                              ;   in Loop: Header=BB299_11 Depth=1
	s_delay_alu instid0(VALU_DEP_3) | instskip(NEXT) | instid1(VALU_DEP_1)
	v_clz_i32_u32_e32 v50, v50
	v_min_u32_e32 v50, 32, v50
	s_delay_alu instid0(VALU_DEP_1) | instskip(NEXT) | instid1(VALU_DEP_1)
	v_subrev_nc_u32_e32 v52, 28, v50
	v_lshlrev_b64_e32 v[53:54], v52, v[1:2]
	v_sub_nc_u32_e32 v52, 29, v50
	s_delay_alu instid0(VALU_DEP_2)
	v_and_b32_e32 v50, 7, v53
; %bb.256:                              ;   in Loop: Header=BB299_11 Depth=1
	s_or_b32 exec_lo, exec_lo, s36
	v_lshlrev_b32_e32 v1, 8, v1
	s_delay_alu instid0(VALU_DEP_3) | instskip(NEXT) | instid1(VALU_DEP_3)
	v_lshl_add_u32 v52, v52, 10, 0x2000
	v_lshlrev_b32_e32 v50, 7, v50
	s_delay_alu instid0(VALU_DEP_3) | instskip(NEXT) | instid1(VALU_DEP_3)
	v_and_b32_e32 v1, 0x8000, v1
	v_and_b32_e32 v52, 0xfc00, v52
	s_delay_alu instid0(VALU_DEP_1)
	v_or3_b32 v52, v1, v52, v50
.LBB299_257:                            ;   in Loop: Header=BB299_11 Depth=1
	s_wait_alu 0xfffe
	s_or_b32 exec_lo, exec_lo, s35
.LBB299_258:                            ;   in Loop: Header=BB299_11 Depth=1
	s_wait_alu 0xfffe
	s_or_b32 exec_lo, exec_lo, s34
.LBB299_259:                            ;   in Loop: Header=BB299_11 Depth=1
	s_wait_alu 0xfffe
	s_or_b32 exec_lo, exec_lo, s4
	v_dual_mov_b32 v50, 0 :: v_dual_mov_b32 v55, 0
	s_mov_b32 s4, exec_lo
	v_cmpx_lt_u64_e64 s[6:7], v[9:10]
	s_cbranch_execz .LBB299_267
; %bb.260:                              ;   in Loop: Header=BB299_11 Depth=1
	v_lshrrev_b32_e32 v1, 24, v10
	v_bfrev_b32_e32 v55, 1
	s_mov_b32 s34, exec_lo
	s_delay_alu instid0(VALU_DEP_2)
	v_cmpx_ne_u32_e32 0x80, v1
	s_cbranch_execz .LBB299_266
; %bb.261:                              ;   in Loop: Header=BB299_11 Depth=1
	v_and_b32_e32 v53, 0x7f, v1
	v_mov_b32_e32 v55, 0x7c010000
	s_mov_b32 s35, exec_lo
	s_delay_alu instid0(VALU_DEP_2)
	v_cmpx_ne_u32_e32 0x7f, v53
	s_cbranch_execz .LBB299_265
; %bb.262:                              ;   in Loop: Header=BB299_11 Depth=1
	v_and_b32_e32 v9, 7, v1
	v_lshrrev_b32_e32 v10, 3, v53
	s_mov_b32 s36, exec_lo
	v_cmpx_gt_u32_e32 8, v53
; %bb.263:                              ;   in Loop: Header=BB299_11 Depth=1
	s_delay_alu instid0(VALU_DEP_3) | instskip(NEXT) | instid1(VALU_DEP_1)
	v_clz_i32_u32_e32 v9, v9
	v_min_u32_e32 v53, 32, v9
	s_delay_alu instid0(VALU_DEP_1) | instskip(NEXT) | instid1(VALU_DEP_1)
	v_subrev_nc_u32_e32 v9, 28, v53
	v_lshlrev_b64_e32 v[9:10], v9, v[1:2]
	v_sub_nc_u32_e32 v10, 29, v53
	s_delay_alu instid0(VALU_DEP_2)
	v_and_b32_e32 v9, 7, v9
; %bb.264:                              ;   in Loop: Header=BB299_11 Depth=1
	s_or_b32 exec_lo, exec_lo, s36
	v_lshlrev_b32_e32 v1, 8, v1
	s_delay_alu instid0(VALU_DEP_3) | instskip(NEXT) | instid1(VALU_DEP_3)
	v_lshl_add_u32 v10, v10, 10, 0x2000
	v_lshlrev_b32_e32 v9, 23, v9
	s_delay_alu instid0(VALU_DEP_2) | instskip(NEXT) | instid1(VALU_DEP_1)
	v_and_or_b32 v1, 0x8000, v1, v10
	v_lshl_or_b32 v55, v1, 16, v9
.LBB299_265:                            ;   in Loop: Header=BB299_11 Depth=1
	s_wait_alu 0xfffe
	s_or_b32 exec_lo, exec_lo, s35
.LBB299_266:                            ;   in Loop: Header=BB299_11 Depth=1
	s_wait_alu 0xfffe
	s_or_b32 exec_lo, exec_lo, s34
.LBB299_267:                            ;   in Loop: Header=BB299_11 Depth=1
	s_wait_alu 0xfffe
	s_or_b32 exec_lo, exec_lo, s4
	global_load_b64 v[9:10], v[7:8], off offset:1024
	s_mov_b32 s4, exec_lo
	s_wait_loadcnt 0x0
	v_and_b32_e32 v1, 0xff, v9
	s_delay_alu instid0(VALU_DEP_1)
	v_cmpx_ne_u16_e32 0, v1
	s_cbranch_execz .LBB299_275
; %bb.268:                              ;   in Loop: Header=BB299_11 Depth=1
	v_mov_b32_e32 v50, 0x8000
	s_mov_b32 s34, exec_lo
	v_cmpx_ne_u16_e32 0x80, v1
	s_cbranch_execz .LBB299_274
; %bb.269:                              ;   in Loop: Header=BB299_11 Depth=1
	v_and_b32_e32 v53, 0x7f, v9
	v_mov_b32_e32 v50, 0x7c01
	s_mov_b32 s35, exec_lo
	s_delay_alu instid0(VALU_DEP_2)
	v_cmpx_ne_u32_e32 0x7f, v53
	s_cbranch_execz .LBB299_273
; %bb.270:                              ;   in Loop: Header=BB299_11 Depth=1
	v_and_b32_e32 v1, 7, v9
	v_lshrrev_b32_e32 v50, 3, v53
	s_mov_b32 s36, exec_lo
	v_cmpx_gt_u32_e32 8, v53
; %bb.271:                              ;   in Loop: Header=BB299_11 Depth=1
	s_delay_alu instid0(VALU_DEP_3) | instskip(NEXT) | instid1(VALU_DEP_1)
	v_clz_i32_u32_e32 v1, v1
	v_min_u32_e32 v1, 32, v1
	s_delay_alu instid0(VALU_DEP_1) | instskip(NEXT) | instid1(VALU_DEP_1)
	v_subrev_nc_u32_e32 v50, 28, v1
	v_lshlrev_b64_e32 v[53:54], v50, v[9:10]
	v_sub_nc_u32_e32 v50, 29, v1
	s_delay_alu instid0(VALU_DEP_2)
	v_and_b32_e32 v1, 7, v53
; %bb.272:                              ;   in Loop: Header=BB299_11 Depth=1
	s_or_b32 exec_lo, exec_lo, s36
	v_lshlrev_b32_e32 v53, 8, v9
	s_delay_alu instid0(VALU_DEP_3) | instskip(NEXT) | instid1(VALU_DEP_3)
	v_lshl_add_u32 v50, v50, 10, 0x2000
	v_lshlrev_b32_e32 v1, 7, v1
	s_delay_alu instid0(VALU_DEP_3) | instskip(NEXT) | instid1(VALU_DEP_3)
	v_and_b32_e32 v53, 0x8000, v53
	v_and_b32_e32 v50, 0xfc00, v50
	s_delay_alu instid0(VALU_DEP_1)
	v_or3_b32 v50, v53, v50, v1
.LBB299_273:                            ;   in Loop: Header=BB299_11 Depth=1
	s_wait_alu 0xfffe
	s_or_b32 exec_lo, exec_lo, s35
.LBB299_274:                            ;   in Loop: Header=BB299_11 Depth=1
	s_wait_alu 0xfffe
	s_or_b32 exec_lo, exec_lo, s34
.LBB299_275:                            ;   in Loop: Header=BB299_11 Depth=1
	s_wait_alu 0xfffe
	s_or_b32 exec_lo, exec_lo, s4
	v_lshrrev_b16 v1, 8, v9
	v_dual_mov_b32 v54, 0 :: v_dual_mov_b32 v53, 0
	s_mov_b32 s4, exec_lo
	s_delay_alu instid0(VALU_DEP_2)
	v_cmpx_ne_u16_e32 0, v1
	s_cbranch_execz .LBB299_283
; %bb.276:                              ;   in Loop: Header=BB299_11 Depth=1
	v_bfrev_b32_e32 v53, 1
	s_mov_b32 s34, exec_lo
	v_cmpx_ne_u16_e32 0x80, v1
	s_cbranch_execz .LBB299_282
; %bb.277:                              ;   in Loop: Header=BB299_11 Depth=1
	v_and_b32_e32 v56, 0xffff, v1
	v_mov_b32_e32 v53, 0x7c010000
	s_mov_b32 s35, exec_lo
	s_delay_alu instid0(VALU_DEP_2) | instskip(NEXT) | instid1(VALU_DEP_1)
	v_and_b32_e32 v58, 0x7f, v56
	v_cmpx_ne_u32_e32 0x7f, v58
	s_cbranch_execz .LBB299_281
; %bb.278:                              ;   in Loop: Header=BB299_11 Depth=1
	v_and_b32_e32 v53, 7, v56
	v_lshrrev_b32_e32 v57, 3, v58
	s_mov_b32 s36, exec_lo
	v_cmpx_gt_u32_e32 8, v58
; %bb.279:                              ;   in Loop: Header=BB299_11 Depth=1
	s_delay_alu instid0(VALU_DEP_3) | instskip(NEXT) | instid1(VALU_DEP_1)
	v_clz_i32_u32_e32 v53, v53
	v_min_u32_e32 v53, 32, v53
	s_delay_alu instid0(VALU_DEP_1) | instskip(NEXT) | instid1(VALU_DEP_1)
	v_subrev_nc_u32_e32 v57, 28, v53
	v_lshlrev_b64_e32 v[58:59], v57, v[1:2]
	v_sub_nc_u32_e32 v57, 29, v53
	s_delay_alu instid0(VALU_DEP_2)
	v_and_b32_e32 v53, 7, v58
; %bb.280:                              ;   in Loop: Header=BB299_11 Depth=1
	s_or_b32 exec_lo, exec_lo, s36
	v_lshlrev_b32_e32 v1, 8, v56
	s_delay_alu instid0(VALU_DEP_3) | instskip(NEXT) | instid1(VALU_DEP_3)
	v_lshl_add_u32 v56, v57, 10, 0x2000
	v_lshlrev_b32_e32 v53, 23, v53
	s_delay_alu instid0(VALU_DEP_2) | instskip(NEXT) | instid1(VALU_DEP_1)
	v_and_or_b32 v1, 0x8000, v1, v56
	v_lshl_or_b32 v53, v1, 16, v53
.LBB299_281:                            ;   in Loop: Header=BB299_11 Depth=1
	s_wait_alu 0xfffe
	s_or_b32 exec_lo, exec_lo, s35
.LBB299_282:                            ;   in Loop: Header=BB299_11 Depth=1
	s_wait_alu 0xfffe
	s_or_b32 exec_lo, exec_lo, s34
.LBB299_283:                            ;   in Loop: Header=BB299_11 Depth=1
	s_wait_alu 0xfffe
	s_or_b32 exec_lo, exec_lo, s4
	v_lshrrev_b32_e32 v1, 16, v9
	s_mov_b32 s4, exec_lo
	s_delay_alu instid0(VALU_DEP_1) | instskip(NEXT) | instid1(VALU_DEP_1)
	v_and_b32_e32 v56, 0xff, v1
	v_cmpx_ne_u16_e32 0, v56
	s_cbranch_execz .LBB299_291
; %bb.284:                              ;   in Loop: Header=BB299_11 Depth=1
	v_mov_b32_e32 v54, 0x8000
	s_mov_b32 s34, exec_lo
	v_cmpx_ne_u16_e32 0x80, v56
	s_cbranch_execz .LBB299_290
; %bb.285:                              ;   in Loop: Header=BB299_11 Depth=1
	v_bfe_u32 v57, v9, 16, 7
	v_mov_b32_e32 v54, 0x7c01
	s_mov_b32 s35, exec_lo
	s_delay_alu instid0(VALU_DEP_2)
	v_cmpx_ne_u32_e32 0x7f, v57
	s_cbranch_execz .LBB299_289
; %bb.286:                              ;   in Loop: Header=BB299_11 Depth=1
	v_and_b32_e32 v54, 7, v1
	v_lshrrev_b32_e32 v56, 3, v57
	s_mov_b32 s36, exec_lo
	v_cmpx_gt_u32_e32 8, v57
; %bb.287:                              ;   in Loop: Header=BB299_11 Depth=1
	s_delay_alu instid0(VALU_DEP_3) | instskip(NEXT) | instid1(VALU_DEP_1)
	v_clz_i32_u32_e32 v54, v54
	v_min_u32_e32 v54, 32, v54
	s_delay_alu instid0(VALU_DEP_1) | instskip(NEXT) | instid1(VALU_DEP_1)
	v_subrev_nc_u32_e32 v56, 28, v54
	v_lshlrev_b64_e32 v[57:58], v56, v[1:2]
	v_sub_nc_u32_e32 v56, 29, v54
	s_delay_alu instid0(VALU_DEP_2)
	v_and_b32_e32 v54, 7, v57
; %bb.288:                              ;   in Loop: Header=BB299_11 Depth=1
	s_or_b32 exec_lo, exec_lo, s36
	v_lshlrev_b32_e32 v1, 8, v1
	s_delay_alu instid0(VALU_DEP_3) | instskip(NEXT) | instid1(VALU_DEP_3)
	v_lshl_add_u32 v56, v56, 10, 0x2000
	v_lshlrev_b32_e32 v54, 7, v54
	s_delay_alu instid0(VALU_DEP_3) | instskip(NEXT) | instid1(VALU_DEP_3)
	v_and_b32_e32 v1, 0x8000, v1
	v_and_b32_e32 v56, 0xfc00, v56
	s_delay_alu instid0(VALU_DEP_1)
	v_or3_b32 v54, v1, v56, v54
.LBB299_289:                            ;   in Loop: Header=BB299_11 Depth=1
	s_wait_alu 0xfffe
	s_or_b32 exec_lo, exec_lo, s35
.LBB299_290:                            ;   in Loop: Header=BB299_11 Depth=1
	s_wait_alu 0xfffe
	s_or_b32 exec_lo, exec_lo, s34
.LBB299_291:                            ;   in Loop: Header=BB299_11 Depth=1
	s_wait_alu 0xfffe
	s_or_b32 exec_lo, exec_lo, s4
	v_dual_mov_b32 v56, 0 :: v_dual_mov_b32 v57, 0
	s_mov_b32 s4, exec_lo
	v_cmpx_lt_u32_e32 0xffffff, v9
	s_cbranch_execz .LBB299_299
; %bb.292:                              ;   in Loop: Header=BB299_11 Depth=1
	v_lshrrev_b32_e32 v1, 24, v9
	v_bfrev_b32_e32 v57, 1
	s_mov_b32 s34, exec_lo
	s_delay_alu instid0(VALU_DEP_2)
	v_cmpx_ne_u32_e32 0x80, v1
	s_cbranch_execz .LBB299_298
; %bb.293:                              ;   in Loop: Header=BB299_11 Depth=1
	v_and_b32_e32 v59, 0x7f, v1
	v_mov_b32_e32 v57, 0x7c010000
	s_mov_b32 s35, exec_lo
	s_delay_alu instid0(VALU_DEP_2)
	v_cmpx_ne_u32_e32 0x7f, v59
	s_cbranch_execz .LBB299_297
; %bb.294:                              ;   in Loop: Header=BB299_11 Depth=1
	v_and_b32_e32 v57, 7, v1
	v_lshrrev_b32_e32 v58, 3, v59
	s_mov_b32 s36, exec_lo
	v_cmpx_gt_u32_e32 8, v59
; %bb.295:                              ;   in Loop: Header=BB299_11 Depth=1
	s_delay_alu instid0(VALU_DEP_3) | instskip(NEXT) | instid1(VALU_DEP_1)
	v_clz_i32_u32_e32 v57, v57
	v_min_u32_e32 v59, 32, v57
	s_delay_alu instid0(VALU_DEP_1) | instskip(NEXT) | instid1(VALU_DEP_1)
	v_subrev_nc_u32_e32 v57, 28, v59
	v_lshlrev_b64_e32 v[57:58], v57, v[1:2]
	v_sub_nc_u32_e32 v58, 29, v59
	s_delay_alu instid0(VALU_DEP_2)
	v_and_b32_e32 v57, 7, v57
; %bb.296:                              ;   in Loop: Header=BB299_11 Depth=1
	s_or_b32 exec_lo, exec_lo, s36
	v_lshlrev_b32_e32 v1, 8, v1
	s_delay_alu instid0(VALU_DEP_3) | instskip(NEXT) | instid1(VALU_DEP_3)
	v_lshl_add_u32 v58, v58, 10, 0x2000
	v_lshlrev_b32_e32 v57, 23, v57
	s_delay_alu instid0(VALU_DEP_2) | instskip(NEXT) | instid1(VALU_DEP_1)
	v_and_or_b32 v1, 0x8000, v1, v58
	v_lshl_or_b32 v57, v1, 16, v57
.LBB299_297:                            ;   in Loop: Header=BB299_11 Depth=1
	s_wait_alu 0xfffe
	s_or_b32 exec_lo, exec_lo, s35
.LBB299_298:                            ;   in Loop: Header=BB299_11 Depth=1
	s_wait_alu 0xfffe
	s_or_b32 exec_lo, exec_lo, s34
.LBB299_299:                            ;   in Loop: Header=BB299_11 Depth=1
	s_wait_alu 0xfffe
	s_or_b32 exec_lo, exec_lo, s4
	v_dual_mov_b32 v1, v10 :: v_dual_and_b32 v58, 0xff, v10
	s_mov_b32 s4, exec_lo
	s_delay_alu instid0(VALU_DEP_1)
	v_cmpx_ne_u16_e32 0, v58
	s_cbranch_execz .LBB299_307
; %bb.300:                              ;   in Loop: Header=BB299_11 Depth=1
	v_mov_b32_e32 v56, 0x8000
	s_mov_b32 s34, exec_lo
	v_cmpx_ne_u16_e32 0x80, v58
	s_cbranch_execz .LBB299_306
; %bb.301:                              ;   in Loop: Header=BB299_11 Depth=1
	v_and_b32_e32 v59, 0x7f, v10
	v_mov_b32_e32 v56, 0x7c01
	s_mov_b32 s35, exec_lo
	s_delay_alu instid0(VALU_DEP_2)
	v_cmpx_ne_u32_e32 0x7f, v59
	s_cbranch_execz .LBB299_305
; %bb.302:                              ;   in Loop: Header=BB299_11 Depth=1
	v_and_b32_e32 v56, 7, v10
	v_lshrrev_b32_e32 v58, 3, v59
	s_mov_b32 s36, exec_lo
	v_cmpx_gt_u32_e32 8, v59
; %bb.303:                              ;   in Loop: Header=BB299_11 Depth=1
	s_delay_alu instid0(VALU_DEP_3) | instskip(NEXT) | instid1(VALU_DEP_1)
	v_clz_i32_u32_e32 v56, v56
	v_min_u32_e32 v56, 32, v56
	s_delay_alu instid0(VALU_DEP_1) | instskip(NEXT) | instid1(VALU_DEP_1)
	v_subrev_nc_u32_e32 v58, 28, v56
	v_lshlrev_b64_e32 v[59:60], v58, v[1:2]
	v_sub_nc_u32_e32 v58, 29, v56
	s_delay_alu instid0(VALU_DEP_2)
	v_and_b32_e32 v56, 7, v59
; %bb.304:                              ;   in Loop: Header=BB299_11 Depth=1
	s_or_b32 exec_lo, exec_lo, s36
	v_lshlrev_b32_e32 v59, 8, v10
	s_delay_alu instid0(VALU_DEP_3) | instskip(NEXT) | instid1(VALU_DEP_3)
	v_lshl_add_u32 v58, v58, 10, 0x2000
	v_lshlrev_b32_e32 v56, 7, v56
	s_delay_alu instid0(VALU_DEP_3) | instskip(NEXT) | instid1(VALU_DEP_3)
	v_and_b32_e32 v59, 0x8000, v59
	v_and_b32_e32 v58, 0xfc00, v58
	s_delay_alu instid0(VALU_DEP_1)
	v_or3_b32 v56, v59, v58, v56
.LBB299_305:                            ;   in Loop: Header=BB299_11 Depth=1
	s_wait_alu 0xfffe
	s_or_b32 exec_lo, exec_lo, s35
.LBB299_306:                            ;   in Loop: Header=BB299_11 Depth=1
	s_wait_alu 0xfffe
	s_or_b32 exec_lo, exec_lo, s34
.LBB299_307:                            ;   in Loop: Header=BB299_11 Depth=1
	s_wait_alu 0xfffe
	s_or_b32 exec_lo, exec_lo, s4
	v_lshrrev_b16 v1, 8, v1
	v_dual_mov_b32 v60, 0 :: v_dual_mov_b32 v59, 0
	s_mov_b32 s4, exec_lo
	s_delay_alu instid0(VALU_DEP_2)
	v_cmpx_ne_u16_e32 0, v1
	s_cbranch_execz .LBB299_315
; %bb.308:                              ;   in Loop: Header=BB299_11 Depth=1
	v_bfrev_b32_e32 v59, 1
	s_mov_b32 s34, exec_lo
	v_cmpx_ne_u16_e32 0x80, v1
	s_cbranch_execz .LBB299_314
; %bb.309:                              ;   in Loop: Header=BB299_11 Depth=1
	v_and_b32_e32 v58, 0xffff, v1
	v_mov_b32_e32 v59, 0x7c010000
	s_mov_b32 s35, exec_lo
	s_delay_alu instid0(VALU_DEP_2) | instskip(NEXT) | instid1(VALU_DEP_1)
	v_and_b32_e32 v62, 0x7f, v58
	v_cmpx_ne_u32_e32 0x7f, v62
	s_cbranch_execz .LBB299_313
; %bb.310:                              ;   in Loop: Header=BB299_11 Depth=1
	v_and_b32_e32 v59, 7, v58
	v_lshrrev_b32_e32 v61, 3, v62
	s_mov_b32 s36, exec_lo
	v_cmpx_gt_u32_e32 8, v62
; %bb.311:                              ;   in Loop: Header=BB299_11 Depth=1
	s_delay_alu instid0(VALU_DEP_3) | instskip(NEXT) | instid1(VALU_DEP_1)
	v_clz_i32_u32_e32 v59, v59
	v_min_u32_e32 v59, 32, v59
	s_delay_alu instid0(VALU_DEP_1) | instskip(NEXT) | instid1(VALU_DEP_1)
	v_subrev_nc_u32_e32 v61, 28, v59
	v_lshlrev_b64_e32 v[62:63], v61, v[1:2]
	v_sub_nc_u32_e32 v61, 29, v59
	s_delay_alu instid0(VALU_DEP_2)
	v_and_b32_e32 v59, 7, v62
; %bb.312:                              ;   in Loop: Header=BB299_11 Depth=1
	s_or_b32 exec_lo, exec_lo, s36
	v_lshlrev_b32_e32 v1, 8, v58
	s_delay_alu instid0(VALU_DEP_3) | instskip(NEXT) | instid1(VALU_DEP_1)
	v_lshl_add_u32 v58, v61, 10, 0x2000
	v_and_or_b32 v1, 0x8000, v1, v58
	v_lshlrev_b32_e32 v58, 23, v59
	s_delay_alu instid0(VALU_DEP_1)
	v_lshl_or_b32 v59, v1, 16, v58
.LBB299_313:                            ;   in Loop: Header=BB299_11 Depth=1
	s_wait_alu 0xfffe
	s_or_b32 exec_lo, exec_lo, s35
.LBB299_314:                            ;   in Loop: Header=BB299_11 Depth=1
	s_wait_alu 0xfffe
	s_or_b32 exec_lo, exec_lo, s34
.LBB299_315:                            ;   in Loop: Header=BB299_11 Depth=1
	s_wait_alu 0xfffe
	s_or_b32 exec_lo, exec_lo, s4
	v_lshrrev_b32_e32 v1, 16, v10
	s_mov_b32 s4, exec_lo
	s_delay_alu instid0(VALU_DEP_1) | instskip(NEXT) | instid1(VALU_DEP_1)
	v_and_b32_e32 v58, 0xff, v1
	v_cmpx_ne_u16_e32 0, v58
	s_cbranch_execz .LBB299_323
; %bb.316:                              ;   in Loop: Header=BB299_11 Depth=1
	v_mov_b32_e32 v60, 0x8000
	s_mov_b32 s34, exec_lo
	v_cmpx_ne_u16_e32 0x80, v58
	s_cbranch_execz .LBB299_322
; %bb.317:                              ;   in Loop: Header=BB299_11 Depth=1
	v_bfe_u32 v61, v10, 16, 7
	v_mov_b32_e32 v60, 0x7c01
	s_mov_b32 s35, exec_lo
	s_delay_alu instid0(VALU_DEP_2)
	v_cmpx_ne_u32_e32 0x7f, v61
	s_cbranch_execz .LBB299_321
; %bb.318:                              ;   in Loop: Header=BB299_11 Depth=1
	v_and_b32_e32 v58, 7, v1
	v_lshrrev_b32_e32 v60, 3, v61
	s_mov_b32 s36, exec_lo
	v_cmpx_gt_u32_e32 8, v61
; %bb.319:                              ;   in Loop: Header=BB299_11 Depth=1
	s_delay_alu instid0(VALU_DEP_3) | instskip(NEXT) | instid1(VALU_DEP_1)
	v_clz_i32_u32_e32 v58, v58
	v_min_u32_e32 v58, 32, v58
	s_delay_alu instid0(VALU_DEP_1) | instskip(NEXT) | instid1(VALU_DEP_1)
	v_subrev_nc_u32_e32 v60, 28, v58
	v_lshlrev_b64_e32 v[61:62], v60, v[1:2]
	v_sub_nc_u32_e32 v60, 29, v58
	s_delay_alu instid0(VALU_DEP_2)
	v_and_b32_e32 v58, 7, v61
; %bb.320:                              ;   in Loop: Header=BB299_11 Depth=1
	s_or_b32 exec_lo, exec_lo, s36
	v_lshlrev_b32_e32 v1, 8, v1
	s_delay_alu instid0(VALU_DEP_3) | instskip(NEXT) | instid1(VALU_DEP_3)
	v_lshl_add_u32 v60, v60, 10, 0x2000
	v_lshlrev_b32_e32 v58, 7, v58
	s_delay_alu instid0(VALU_DEP_3) | instskip(NEXT) | instid1(VALU_DEP_3)
	v_and_b32_e32 v1, 0x8000, v1
	v_and_b32_e32 v60, 0xfc00, v60
	s_delay_alu instid0(VALU_DEP_1)
	v_or3_b32 v60, v1, v60, v58
.LBB299_321:                            ;   in Loop: Header=BB299_11 Depth=1
	s_wait_alu 0xfffe
	s_or_b32 exec_lo, exec_lo, s35
.LBB299_322:                            ;   in Loop: Header=BB299_11 Depth=1
	s_wait_alu 0xfffe
	s_or_b32 exec_lo, exec_lo, s34
.LBB299_323:                            ;   in Loop: Header=BB299_11 Depth=1
	s_wait_alu 0xfffe
	s_or_b32 exec_lo, exec_lo, s4
	v_dual_mov_b32 v58, 0 :: v_dual_mov_b32 v61, 0
	s_mov_b32 s4, exec_lo
	v_cmpx_lt_u64_e64 s[6:7], v[9:10]
	s_cbranch_execz .LBB299_331
; %bb.324:                              ;   in Loop: Header=BB299_11 Depth=1
	v_lshrrev_b32_e32 v1, 24, v10
	v_bfrev_b32_e32 v61, 1
	s_mov_b32 s34, exec_lo
	s_delay_alu instid0(VALU_DEP_2)
	v_cmpx_ne_u32_e32 0x80, v1
	s_cbranch_execz .LBB299_330
; %bb.325:                              ;   in Loop: Header=BB299_11 Depth=1
	v_and_b32_e32 v62, 0x7f, v1
	v_mov_b32_e32 v61, 0x7c010000
	s_mov_b32 s35, exec_lo
	s_delay_alu instid0(VALU_DEP_2)
	v_cmpx_ne_u32_e32 0x7f, v62
	s_cbranch_execz .LBB299_329
; %bb.326:                              ;   in Loop: Header=BB299_11 Depth=1
	v_and_b32_e32 v9, 7, v1
	v_lshrrev_b32_e32 v10, 3, v62
	s_mov_b32 s36, exec_lo
	v_cmpx_gt_u32_e32 8, v62
; %bb.327:                              ;   in Loop: Header=BB299_11 Depth=1
	s_delay_alu instid0(VALU_DEP_3) | instskip(NEXT) | instid1(VALU_DEP_1)
	v_clz_i32_u32_e32 v9, v9
	v_min_u32_e32 v61, 32, v9
	s_delay_alu instid0(VALU_DEP_1) | instskip(NEXT) | instid1(VALU_DEP_1)
	v_subrev_nc_u32_e32 v9, 28, v61
	v_lshlrev_b64_e32 v[9:10], v9, v[1:2]
	v_sub_nc_u32_e32 v10, 29, v61
	s_delay_alu instid0(VALU_DEP_2)
	v_and_b32_e32 v9, 7, v9
; %bb.328:                              ;   in Loop: Header=BB299_11 Depth=1
	s_or_b32 exec_lo, exec_lo, s36
	v_lshlrev_b32_e32 v1, 8, v1
	s_delay_alu instid0(VALU_DEP_3) | instskip(NEXT) | instid1(VALU_DEP_3)
	v_lshl_add_u32 v10, v10, 10, 0x2000
	v_lshlrev_b32_e32 v9, 23, v9
	s_delay_alu instid0(VALU_DEP_2) | instskip(NEXT) | instid1(VALU_DEP_1)
	v_and_or_b32 v1, 0x8000, v1, v10
	v_lshl_or_b32 v61, v1, 16, v9
.LBB299_329:                            ;   in Loop: Header=BB299_11 Depth=1
	s_wait_alu 0xfffe
	s_or_b32 exec_lo, exec_lo, s35
.LBB299_330:                            ;   in Loop: Header=BB299_11 Depth=1
	s_wait_alu 0xfffe
	s_or_b32 exec_lo, exec_lo, s34
.LBB299_331:                            ;   in Loop: Header=BB299_11 Depth=1
	s_wait_alu 0xfffe
	s_or_b32 exec_lo, exec_lo, s4
	global_load_b64 v[9:10], v[7:8], off offset:1032
	s_mov_b32 s4, exec_lo
	s_wait_loadcnt 0x0
	v_and_b32_e32 v1, 0xff, v9
	s_delay_alu instid0(VALU_DEP_1)
	v_cmpx_ne_u16_e32 0, v1
	s_cbranch_execz .LBB299_339
; %bb.332:                              ;   in Loop: Header=BB299_11 Depth=1
	v_mov_b32_e32 v58, 0x8000
	s_mov_b32 s34, exec_lo
	v_cmpx_ne_u16_e32 0x80, v1
	s_cbranch_execz .LBB299_338
; %bb.333:                              ;   in Loop: Header=BB299_11 Depth=1
	v_and_b32_e32 v62, 0x7f, v9
	v_mov_b32_e32 v58, 0x7c01
	s_mov_b32 s35, exec_lo
	s_delay_alu instid0(VALU_DEP_2)
	v_cmpx_ne_u32_e32 0x7f, v62
	s_cbranch_execz .LBB299_337
; %bb.334:                              ;   in Loop: Header=BB299_11 Depth=1
	v_and_b32_e32 v1, 7, v9
	v_lshrrev_b32_e32 v58, 3, v62
	s_mov_b32 s36, exec_lo
	v_cmpx_gt_u32_e32 8, v62
; %bb.335:                              ;   in Loop: Header=BB299_11 Depth=1
	s_delay_alu instid0(VALU_DEP_3) | instskip(NEXT) | instid1(VALU_DEP_1)
	v_clz_i32_u32_e32 v1, v1
	v_min_u32_e32 v1, 32, v1
	s_delay_alu instid0(VALU_DEP_1) | instskip(NEXT) | instid1(VALU_DEP_1)
	v_subrev_nc_u32_e32 v58, 28, v1
	v_lshlrev_b64_e32 v[62:63], v58, v[9:10]
	v_sub_nc_u32_e32 v58, 29, v1
	s_delay_alu instid0(VALU_DEP_2)
	v_and_b32_e32 v1, 7, v62
; %bb.336:                              ;   in Loop: Header=BB299_11 Depth=1
	s_or_b32 exec_lo, exec_lo, s36
	v_lshlrev_b32_e32 v62, 8, v9
	s_delay_alu instid0(VALU_DEP_3) | instskip(NEXT) | instid1(VALU_DEP_3)
	v_lshl_add_u32 v58, v58, 10, 0x2000
	v_lshlrev_b32_e32 v1, 7, v1
	s_delay_alu instid0(VALU_DEP_3) | instskip(NEXT) | instid1(VALU_DEP_3)
	v_and_b32_e32 v62, 0x8000, v62
	v_and_b32_e32 v58, 0xfc00, v58
	s_delay_alu instid0(VALU_DEP_1)
	v_or3_b32 v58, v62, v58, v1
.LBB299_337:                            ;   in Loop: Header=BB299_11 Depth=1
	s_wait_alu 0xfffe
	s_or_b32 exec_lo, exec_lo, s35
.LBB299_338:                            ;   in Loop: Header=BB299_11 Depth=1
	s_wait_alu 0xfffe
	s_or_b32 exec_lo, exec_lo, s34
.LBB299_339:                            ;   in Loop: Header=BB299_11 Depth=1
	s_wait_alu 0xfffe
	s_or_b32 exec_lo, exec_lo, s4
	v_lshrrev_b16 v1, 8, v9
	v_dual_mov_b32 v65, 0 :: v_dual_mov_b32 v62, 0
	s_mov_b32 s4, exec_lo
	s_delay_alu instid0(VALU_DEP_2)
	v_cmpx_ne_u16_e32 0, v1
	s_cbranch_execz .LBB299_347
; %bb.340:                              ;   in Loop: Header=BB299_11 Depth=1
	v_bfrev_b32_e32 v62, 1
	s_mov_b32 s34, exec_lo
	v_cmpx_ne_u16_e32 0x80, v1
	s_cbranch_execz .LBB299_346
; %bb.341:                              ;   in Loop: Header=BB299_11 Depth=1
	v_and_b32_e32 v63, 0xffff, v1
	v_mov_b32_e32 v62, 0x7c010000
	s_mov_b32 s35, exec_lo
	s_delay_alu instid0(VALU_DEP_2) | instskip(NEXT) | instid1(VALU_DEP_1)
	v_and_b32_e32 v66, 0x7f, v63
	v_cmpx_ne_u32_e32 0x7f, v66
	s_cbranch_execz .LBB299_345
; %bb.342:                              ;   in Loop: Header=BB299_11 Depth=1
	v_and_b32_e32 v62, 7, v63
	v_lshrrev_b32_e32 v64, 3, v66
	s_mov_b32 s36, exec_lo
	v_cmpx_gt_u32_e32 8, v66
; %bb.343:                              ;   in Loop: Header=BB299_11 Depth=1
	s_delay_alu instid0(VALU_DEP_3) | instskip(NEXT) | instid1(VALU_DEP_1)
	v_clz_i32_u32_e32 v62, v62
	v_min_u32_e32 v62, 32, v62
	s_delay_alu instid0(VALU_DEP_1) | instskip(NEXT) | instid1(VALU_DEP_1)
	v_subrev_nc_u32_e32 v64, 28, v62
	v_lshlrev_b64_e32 v[66:67], v64, v[1:2]
	v_sub_nc_u32_e32 v64, 29, v62
	s_delay_alu instid0(VALU_DEP_2)
	v_and_b32_e32 v62, 7, v66
; %bb.344:                              ;   in Loop: Header=BB299_11 Depth=1
	s_or_b32 exec_lo, exec_lo, s36
	v_lshlrev_b32_e32 v1, 8, v63
	s_delay_alu instid0(VALU_DEP_3) | instskip(NEXT) | instid1(VALU_DEP_3)
	v_lshl_add_u32 v63, v64, 10, 0x2000
	v_lshlrev_b32_e32 v62, 23, v62
	s_delay_alu instid0(VALU_DEP_2) | instskip(NEXT) | instid1(VALU_DEP_1)
	v_and_or_b32 v1, 0x8000, v1, v63
	v_lshl_or_b32 v62, v1, 16, v62
.LBB299_345:                            ;   in Loop: Header=BB299_11 Depth=1
	s_wait_alu 0xfffe
	s_or_b32 exec_lo, exec_lo, s35
.LBB299_346:                            ;   in Loop: Header=BB299_11 Depth=1
	s_wait_alu 0xfffe
	s_or_b32 exec_lo, exec_lo, s34
.LBB299_347:                            ;   in Loop: Header=BB299_11 Depth=1
	s_wait_alu 0xfffe
	s_or_b32 exec_lo, exec_lo, s4
	v_lshrrev_b32_e32 v1, 16, v9
	s_mov_b32 s4, exec_lo
	s_delay_alu instid0(VALU_DEP_1) | instskip(NEXT) | instid1(VALU_DEP_1)
	v_and_b32_e32 v63, 0xff, v1
	v_cmpx_ne_u16_e32 0, v63
	s_cbranch_execz .LBB299_355
; %bb.348:                              ;   in Loop: Header=BB299_11 Depth=1
	v_mov_b32_e32 v65, 0x8000
	s_mov_b32 s34, exec_lo
	v_cmpx_ne_u16_e32 0x80, v63
	s_cbranch_execz .LBB299_354
; %bb.349:                              ;   in Loop: Header=BB299_11 Depth=1
	v_bfe_u32 v66, v9, 16, 7
	v_mov_b32_e32 v65, 0x7c01
	s_mov_b32 s35, exec_lo
	s_delay_alu instid0(VALU_DEP_2)
	v_cmpx_ne_u32_e32 0x7f, v66
	s_cbranch_execz .LBB299_353
; %bb.350:                              ;   in Loop: Header=BB299_11 Depth=1
	v_and_b32_e32 v63, 7, v1
	v_lshrrev_b32_e32 v64, 3, v66
	s_mov_b32 s36, exec_lo
	v_cmpx_gt_u32_e32 8, v66
; %bb.351:                              ;   in Loop: Header=BB299_11 Depth=1
	s_delay_alu instid0(VALU_DEP_3) | instskip(NEXT) | instid1(VALU_DEP_1)
	v_clz_i32_u32_e32 v63, v63
	v_min_u32_e32 v65, 32, v63
	s_delay_alu instid0(VALU_DEP_1) | instskip(NEXT) | instid1(VALU_DEP_1)
	v_subrev_nc_u32_e32 v63, 28, v65
	v_lshlrev_b64_e32 v[63:64], v63, v[1:2]
	v_sub_nc_u32_e32 v64, 29, v65
	s_delay_alu instid0(VALU_DEP_2)
	v_and_b32_e32 v63, 7, v63
; %bb.352:                              ;   in Loop: Header=BB299_11 Depth=1
	s_or_b32 exec_lo, exec_lo, s36
	v_lshlrev_b32_e32 v1, 8, v1
	s_delay_alu instid0(VALU_DEP_3) | instskip(NEXT) | instid1(VALU_DEP_3)
	v_lshl_add_u32 v64, v64, 10, 0x2000
	v_lshlrev_b32_e32 v63, 7, v63
	s_delay_alu instid0(VALU_DEP_3) | instskip(NEXT) | instid1(VALU_DEP_3)
	v_and_b32_e32 v1, 0x8000, v1
	v_and_b32_e32 v64, 0xfc00, v64
	s_delay_alu instid0(VALU_DEP_1)
	v_or3_b32 v65, v1, v64, v63
.LBB299_353:                            ;   in Loop: Header=BB299_11 Depth=1
	s_wait_alu 0xfffe
	s_or_b32 exec_lo, exec_lo, s35
.LBB299_354:                            ;   in Loop: Header=BB299_11 Depth=1
	s_wait_alu 0xfffe
	s_or_b32 exec_lo, exec_lo, s34
.LBB299_355:                            ;   in Loop: Header=BB299_11 Depth=1
	s_wait_alu 0xfffe
	s_or_b32 exec_lo, exec_lo, s4
	v_dual_mov_b32 v63, 0 :: v_dual_mov_b32 v64, 0
	s_mov_b32 s4, exec_lo
	v_cmpx_lt_u32_e32 0xffffff, v9
	s_cbranch_execz .LBB299_363
; %bb.356:                              ;   in Loop: Header=BB299_11 Depth=1
	v_lshrrev_b32_e32 v1, 24, v9
	v_bfrev_b32_e32 v64, 1
	s_mov_b32 s34, exec_lo
	s_delay_alu instid0(VALU_DEP_2)
	v_cmpx_ne_u32_e32 0x80, v1
	s_cbranch_execz .LBB299_362
; %bb.357:                              ;   in Loop: Header=BB299_11 Depth=1
	v_and_b32_e32 v67, 0x7f, v1
	v_mov_b32_e32 v64, 0x7c010000
	s_mov_b32 s35, exec_lo
	s_delay_alu instid0(VALU_DEP_2)
	v_cmpx_ne_u32_e32 0x7f, v67
	s_cbranch_execz .LBB299_361
; %bb.358:                              ;   in Loop: Header=BB299_11 Depth=1
	v_and_b32_e32 v64, 7, v1
	v_lshrrev_b32_e32 v66, 3, v67
	s_mov_b32 s36, exec_lo
	v_cmpx_gt_u32_e32 8, v67
; %bb.359:                              ;   in Loop: Header=BB299_11 Depth=1
	s_delay_alu instid0(VALU_DEP_3) | instskip(NEXT) | instid1(VALU_DEP_1)
	v_clz_i32_u32_e32 v64, v64
	v_min_u32_e32 v64, 32, v64
	s_delay_alu instid0(VALU_DEP_1) | instskip(NEXT) | instid1(VALU_DEP_1)
	v_subrev_nc_u32_e32 v66, 28, v64
	v_lshlrev_b64_e32 v[67:68], v66, v[1:2]
	v_sub_nc_u32_e32 v66, 29, v64
	s_delay_alu instid0(VALU_DEP_2)
	v_and_b32_e32 v64, 7, v67
; %bb.360:                              ;   in Loop: Header=BB299_11 Depth=1
	s_or_b32 exec_lo, exec_lo, s36
	v_lshlrev_b32_e32 v1, 8, v1
	s_delay_alu instid0(VALU_DEP_3) | instskip(NEXT) | instid1(VALU_DEP_3)
	v_lshl_add_u32 v66, v66, 10, 0x2000
	v_lshlrev_b32_e32 v64, 23, v64
	s_delay_alu instid0(VALU_DEP_2) | instskip(NEXT) | instid1(VALU_DEP_1)
	v_and_or_b32 v1, 0x8000, v1, v66
	v_lshl_or_b32 v64, v1, 16, v64
.LBB299_361:                            ;   in Loop: Header=BB299_11 Depth=1
	s_wait_alu 0xfffe
	s_or_b32 exec_lo, exec_lo, s35
.LBB299_362:                            ;   in Loop: Header=BB299_11 Depth=1
	s_wait_alu 0xfffe
	s_or_b32 exec_lo, exec_lo, s34
.LBB299_363:                            ;   in Loop: Header=BB299_11 Depth=1
	s_wait_alu 0xfffe
	s_or_b32 exec_lo, exec_lo, s4
	v_dual_mov_b32 v1, v10 :: v_dual_and_b32 v66, 0xff, v10
	s_mov_b32 s4, exec_lo
	s_delay_alu instid0(VALU_DEP_1)
	v_cmpx_ne_u16_e32 0, v66
	s_cbranch_execz .LBB299_371
; %bb.364:                              ;   in Loop: Header=BB299_11 Depth=1
	v_mov_b32_e32 v63, 0x8000
	s_mov_b32 s34, exec_lo
	v_cmpx_ne_u16_e32 0x80, v66
	s_cbranch_execz .LBB299_370
; %bb.365:                              ;   in Loop: Header=BB299_11 Depth=1
	v_and_b32_e32 v67, 0x7f, v10
	v_mov_b32_e32 v63, 0x7c01
	s_mov_b32 s35, exec_lo
	s_delay_alu instid0(VALU_DEP_2)
	v_cmpx_ne_u32_e32 0x7f, v67
	s_cbranch_execz .LBB299_369
; %bb.366:                              ;   in Loop: Header=BB299_11 Depth=1
	v_and_b32_e32 v63, 7, v10
	v_lshrrev_b32_e32 v66, 3, v67
	s_mov_b32 s36, exec_lo
	v_cmpx_gt_u32_e32 8, v67
; %bb.367:                              ;   in Loop: Header=BB299_11 Depth=1
	s_delay_alu instid0(VALU_DEP_3) | instskip(NEXT) | instid1(VALU_DEP_1)
	v_clz_i32_u32_e32 v63, v63
	v_min_u32_e32 v63, 32, v63
	s_delay_alu instid0(VALU_DEP_1) | instskip(NEXT) | instid1(VALU_DEP_1)
	v_subrev_nc_u32_e32 v66, 28, v63
	v_lshlrev_b64_e32 v[67:68], v66, v[1:2]
	v_sub_nc_u32_e32 v66, 29, v63
	s_delay_alu instid0(VALU_DEP_2)
	v_and_b32_e32 v63, 7, v67
; %bb.368:                              ;   in Loop: Header=BB299_11 Depth=1
	s_or_b32 exec_lo, exec_lo, s36
	v_lshlrev_b32_e32 v67, 8, v10
	s_delay_alu instid0(VALU_DEP_3) | instskip(NEXT) | instid1(VALU_DEP_3)
	v_lshl_add_u32 v66, v66, 10, 0x2000
	v_lshlrev_b32_e32 v63, 7, v63
	s_delay_alu instid0(VALU_DEP_3) | instskip(NEXT) | instid1(VALU_DEP_3)
	v_and_b32_e32 v67, 0x8000, v67
	v_and_b32_e32 v66, 0xfc00, v66
	s_delay_alu instid0(VALU_DEP_1)
	v_or3_b32 v63, v67, v66, v63
.LBB299_369:                            ;   in Loop: Header=BB299_11 Depth=1
	s_wait_alu 0xfffe
	s_or_b32 exec_lo, exec_lo, s35
.LBB299_370:                            ;   in Loop: Header=BB299_11 Depth=1
	s_wait_alu 0xfffe
	s_or_b32 exec_lo, exec_lo, s34
.LBB299_371:                            ;   in Loop: Header=BB299_11 Depth=1
	s_wait_alu 0xfffe
	s_or_b32 exec_lo, exec_lo, s4
	v_lshrrev_b16 v1, 8, v1
	v_dual_mov_b32 v66, 0 :: v_dual_mov_b32 v67, 0
	s_mov_b32 s4, exec_lo
	s_delay_alu instid0(VALU_DEP_2)
	v_cmpx_ne_u16_e32 0, v1
	s_cbranch_execz .LBB299_379
; %bb.372:                              ;   in Loop: Header=BB299_11 Depth=1
	v_bfrev_b32_e32 v67, 1
	s_mov_b32 s34, exec_lo
	v_cmpx_ne_u16_e32 0x80, v1
	s_cbranch_execz .LBB299_378
; %bb.373:                              ;   in Loop: Header=BB299_11 Depth=1
	v_and_b32_e32 v68, 0xffff, v1
	v_mov_b32_e32 v67, 0x7c010000
	s_mov_b32 s35, exec_lo
	s_delay_alu instid0(VALU_DEP_2) | instskip(NEXT) | instid1(VALU_DEP_1)
	v_and_b32_e32 v70, 0x7f, v68
	v_cmpx_ne_u32_e32 0x7f, v70
	s_cbranch_execz .LBB299_377
; %bb.374:                              ;   in Loop: Header=BB299_11 Depth=1
	v_and_b32_e32 v67, 7, v68
	v_lshrrev_b32_e32 v69, 3, v70
	s_mov_b32 s36, exec_lo
	v_cmpx_gt_u32_e32 8, v70
; %bb.375:                              ;   in Loop: Header=BB299_11 Depth=1
	s_delay_alu instid0(VALU_DEP_3) | instskip(NEXT) | instid1(VALU_DEP_1)
	v_clz_i32_u32_e32 v67, v67
	v_min_u32_e32 v67, 32, v67
	s_delay_alu instid0(VALU_DEP_1) | instskip(NEXT) | instid1(VALU_DEP_1)
	v_subrev_nc_u32_e32 v69, 28, v67
	v_lshlrev_b64_e32 v[70:71], v69, v[1:2]
	v_sub_nc_u32_e32 v69, 29, v67
	s_delay_alu instid0(VALU_DEP_2)
	v_and_b32_e32 v67, 7, v70
; %bb.376:                              ;   in Loop: Header=BB299_11 Depth=1
	s_or_b32 exec_lo, exec_lo, s36
	v_lshlrev_b32_e32 v1, 8, v68
	s_delay_alu instid0(VALU_DEP_3) | instskip(NEXT) | instid1(VALU_DEP_3)
	v_lshl_add_u32 v68, v69, 10, 0x2000
	v_lshlrev_b32_e32 v67, 23, v67
	s_delay_alu instid0(VALU_DEP_2) | instskip(NEXT) | instid1(VALU_DEP_1)
	v_and_or_b32 v1, 0x8000, v1, v68
	v_lshl_or_b32 v67, v1, 16, v67
.LBB299_377:                            ;   in Loop: Header=BB299_11 Depth=1
	s_wait_alu 0xfffe
	s_or_b32 exec_lo, exec_lo, s35
.LBB299_378:                            ;   in Loop: Header=BB299_11 Depth=1
	s_wait_alu 0xfffe
	s_or_b32 exec_lo, exec_lo, s34
.LBB299_379:                            ;   in Loop: Header=BB299_11 Depth=1
	s_wait_alu 0xfffe
	s_or_b32 exec_lo, exec_lo, s4
	v_lshrrev_b32_e32 v1, 16, v10
	s_mov_b32 s4, exec_lo
	s_delay_alu instid0(VALU_DEP_1) | instskip(NEXT) | instid1(VALU_DEP_1)
	v_and_b32_e32 v68, 0xff, v1
	v_cmpx_ne_u16_e32 0, v68
	s_cbranch_execz .LBB299_387
; %bb.380:                              ;   in Loop: Header=BB299_11 Depth=1
	v_mov_b32_e32 v66, 0x8000
	s_mov_b32 s34, exec_lo
	v_cmpx_ne_u16_e32 0x80, v68
	s_cbranch_execz .LBB299_386
; %bb.381:                              ;   in Loop: Header=BB299_11 Depth=1
	v_bfe_u32 v69, v10, 16, 7
	v_mov_b32_e32 v66, 0x7c01
	s_mov_b32 s35, exec_lo
	s_delay_alu instid0(VALU_DEP_2)
	v_cmpx_ne_u32_e32 0x7f, v69
	s_cbranch_execz .LBB299_385
; %bb.382:                              ;   in Loop: Header=BB299_11 Depth=1
	v_and_b32_e32 v66, 7, v1
	v_lshrrev_b32_e32 v68, 3, v69
	s_mov_b32 s36, exec_lo
	v_cmpx_gt_u32_e32 8, v69
; %bb.383:                              ;   in Loop: Header=BB299_11 Depth=1
	s_delay_alu instid0(VALU_DEP_3) | instskip(NEXT) | instid1(VALU_DEP_1)
	v_clz_i32_u32_e32 v66, v66
	v_min_u32_e32 v66, 32, v66
	s_delay_alu instid0(VALU_DEP_1) | instskip(NEXT) | instid1(VALU_DEP_1)
	v_subrev_nc_u32_e32 v68, 28, v66
	v_lshlrev_b64_e32 v[69:70], v68, v[1:2]
	v_sub_nc_u32_e32 v68, 29, v66
	s_delay_alu instid0(VALU_DEP_2)
	v_and_b32_e32 v66, 7, v69
; %bb.384:                              ;   in Loop: Header=BB299_11 Depth=1
	s_or_b32 exec_lo, exec_lo, s36
	v_lshlrev_b32_e32 v1, 8, v1
	s_delay_alu instid0(VALU_DEP_3) | instskip(NEXT) | instid1(VALU_DEP_3)
	v_lshl_add_u32 v68, v68, 10, 0x2000
	v_lshlrev_b32_e32 v66, 7, v66
	s_delay_alu instid0(VALU_DEP_3) | instskip(NEXT) | instid1(VALU_DEP_3)
	v_and_b32_e32 v1, 0x8000, v1
	v_and_b32_e32 v68, 0xfc00, v68
	s_delay_alu instid0(VALU_DEP_1)
	v_or3_b32 v66, v1, v68, v66
.LBB299_385:                            ;   in Loop: Header=BB299_11 Depth=1
	s_wait_alu 0xfffe
	s_or_b32 exec_lo, exec_lo, s35
.LBB299_386:                            ;   in Loop: Header=BB299_11 Depth=1
	s_wait_alu 0xfffe
	s_or_b32 exec_lo, exec_lo, s34
.LBB299_387:                            ;   in Loop: Header=BB299_11 Depth=1
	s_wait_alu 0xfffe
	s_or_b32 exec_lo, exec_lo, s4
	v_mov_b32_e32 v70, 0
	v_mov_b32_e32 v68, 0
	s_mov_b32 s4, exec_lo
	v_cmpx_lt_u64_e64 s[6:7], v[9:10]
	s_cbranch_execz .LBB299_395
; %bb.388:                              ;   in Loop: Header=BB299_11 Depth=1
	v_lshrrev_b32_e32 v1, 24, v10
	v_bfrev_b32_e32 v68, 1
	s_mov_b32 s34, exec_lo
	s_delay_alu instid0(VALU_DEP_2)
	v_cmpx_ne_u32_e32 0x80, v1
	s_cbranch_execz .LBB299_394
; %bb.389:                              ;   in Loop: Header=BB299_11 Depth=1
	v_and_b32_e32 v69, 0x7f, v1
	v_mov_b32_e32 v68, 0x7c010000
	s_mov_b32 s35, exec_lo
	s_delay_alu instid0(VALU_DEP_2)
	v_cmpx_ne_u32_e32 0x7f, v69
	s_cbranch_execz .LBB299_393
; %bb.390:                              ;   in Loop: Header=BB299_11 Depth=1
	v_and_b32_e32 v9, 7, v1
	v_lshrrev_b32_e32 v10, 3, v69
	s_mov_b32 s36, exec_lo
	v_cmpx_gt_u32_e32 8, v69
; %bb.391:                              ;   in Loop: Header=BB299_11 Depth=1
	s_delay_alu instid0(VALU_DEP_3) | instskip(NEXT) | instid1(VALU_DEP_1)
	v_clz_i32_u32_e32 v9, v9
	v_min_u32_e32 v68, 32, v9
	s_delay_alu instid0(VALU_DEP_1) | instskip(NEXT) | instid1(VALU_DEP_1)
	v_subrev_nc_u32_e32 v9, 28, v68
	v_lshlrev_b64_e32 v[9:10], v9, v[1:2]
	v_sub_nc_u32_e32 v10, 29, v68
	s_delay_alu instid0(VALU_DEP_2)
	v_and_b32_e32 v9, 7, v9
; %bb.392:                              ;   in Loop: Header=BB299_11 Depth=1
	s_or_b32 exec_lo, exec_lo, s36
	v_lshlrev_b32_e32 v1, 8, v1
	s_delay_alu instid0(VALU_DEP_3) | instskip(NEXT) | instid1(VALU_DEP_3)
	v_lshl_add_u32 v10, v10, 10, 0x2000
	v_lshlrev_b32_e32 v9, 23, v9
	s_delay_alu instid0(VALU_DEP_2) | instskip(NEXT) | instid1(VALU_DEP_1)
	v_and_or_b32 v1, 0x8000, v1, v10
	v_lshl_or_b32 v68, v1, 16, v9
.LBB299_393:                            ;   in Loop: Header=BB299_11 Depth=1
	s_wait_alu 0xfffe
	s_or_b32 exec_lo, exec_lo, s35
.LBB299_394:                            ;   in Loop: Header=BB299_11 Depth=1
	s_wait_alu 0xfffe
	s_or_b32 exec_lo, exec_lo, s34
.LBB299_395:                            ;   in Loop: Header=BB299_11 Depth=1
	s_wait_alu 0xfffe
	s_or_b32 exec_lo, exec_lo, s4
	global_load_b64 v[9:10], v[7:8], off offset:1536
	s_mov_b32 s4, exec_lo
	s_wait_loadcnt 0x0
	v_and_b32_e32 v1, 0xff, v9
	s_delay_alu instid0(VALU_DEP_1)
	v_cmpx_ne_u16_e32 0, v1
	s_cbranch_execz .LBB299_403
; %bb.396:                              ;   in Loop: Header=BB299_11 Depth=1
	v_mov_b32_e32 v70, 0x8000
	s_mov_b32 s34, exec_lo
	v_cmpx_ne_u16_e32 0x80, v1
	s_cbranch_execz .LBB299_402
; %bb.397:                              ;   in Loop: Header=BB299_11 Depth=1
	v_and_b32_e32 v71, 0x7f, v9
	v_mov_b32_e32 v70, 0x7c01
	s_mov_b32 s35, exec_lo
	s_delay_alu instid0(VALU_DEP_2)
	v_cmpx_ne_u32_e32 0x7f, v71
	s_cbranch_execz .LBB299_401
; %bb.398:                              ;   in Loop: Header=BB299_11 Depth=1
	v_and_b32_e32 v1, 7, v9
	v_lshrrev_b32_e32 v69, 3, v71
	s_mov_b32 s36, exec_lo
	v_cmpx_gt_u32_e32 8, v71
; %bb.399:                              ;   in Loop: Header=BB299_11 Depth=1
	s_delay_alu instid0(VALU_DEP_3) | instskip(NEXT) | instid1(VALU_DEP_1)
	v_clz_i32_u32_e32 v1, v1
	v_min_u32_e32 v1, 32, v1
	s_delay_alu instid0(VALU_DEP_1) | instskip(NEXT) | instid1(VALU_DEP_1)
	v_subrev_nc_u32_e32 v69, 28, v1
	v_lshlrev_b64_e32 v[70:71], v69, v[9:10]
	v_sub_nc_u32_e32 v69, 29, v1
	s_delay_alu instid0(VALU_DEP_2)
	v_and_b32_e32 v1, 7, v70
; %bb.400:                              ;   in Loop: Header=BB299_11 Depth=1
	s_or_b32 exec_lo, exec_lo, s36
	v_lshlrev_b32_e32 v70, 8, v9
	s_delay_alu instid0(VALU_DEP_3) | instskip(NEXT) | instid1(VALU_DEP_3)
	v_lshl_add_u32 v69, v69, 10, 0x2000
	v_lshlrev_b32_e32 v1, 7, v1
	s_delay_alu instid0(VALU_DEP_3) | instskip(NEXT) | instid1(VALU_DEP_3)
	v_and_b32_e32 v70, 0x8000, v70
	v_and_b32_e32 v69, 0xfc00, v69
	s_delay_alu instid0(VALU_DEP_1)
	v_or3_b32 v70, v70, v69, v1
.LBB299_401:                            ;   in Loop: Header=BB299_11 Depth=1
	s_wait_alu 0xfffe
	s_or_b32 exec_lo, exec_lo, s35
.LBB299_402:                            ;   in Loop: Header=BB299_11 Depth=1
	s_wait_alu 0xfffe
	s_or_b32 exec_lo, exec_lo, s34
.LBB299_403:                            ;   in Loop: Header=BB299_11 Depth=1
	s_wait_alu 0xfffe
	s_or_b32 exec_lo, exec_lo, s4
	v_lshrrev_b16 v1, 8, v9
	v_mov_b32_e32 v73, 0
	v_mov_b32_e32 v69, 0
	s_mov_b32 s4, exec_lo
	s_delay_alu instid0(VALU_DEP_3)
	v_cmpx_ne_u16_e32 0, v1
	s_cbranch_execz .LBB299_411
; %bb.404:                              ;   in Loop: Header=BB299_11 Depth=1
	v_bfrev_b32_e32 v69, 1
	s_mov_b32 s34, exec_lo
	v_cmpx_ne_u16_e32 0x80, v1
	s_cbranch_execz .LBB299_410
; %bb.405:                              ;   in Loop: Header=BB299_11 Depth=1
	v_and_b32_e32 v71, 0xffff, v1
	v_mov_b32_e32 v69, 0x7c010000
	s_mov_b32 s35, exec_lo
	s_delay_alu instid0(VALU_DEP_2) | instskip(NEXT) | instid1(VALU_DEP_1)
	v_and_b32_e32 v74, 0x7f, v71
	v_cmpx_ne_u32_e32 0x7f, v74
	s_cbranch_execz .LBB299_409
; %bb.406:                              ;   in Loop: Header=BB299_11 Depth=1
	v_and_b32_e32 v69, 7, v71
	v_lshrrev_b32_e32 v72, 3, v74
	s_mov_b32 s36, exec_lo
	v_cmpx_gt_u32_e32 8, v74
; %bb.407:                              ;   in Loop: Header=BB299_11 Depth=1
	s_delay_alu instid0(VALU_DEP_3) | instskip(NEXT) | instid1(VALU_DEP_1)
	v_clz_i32_u32_e32 v69, v69
	v_min_u32_e32 v69, 32, v69
	s_delay_alu instid0(VALU_DEP_1) | instskip(NEXT) | instid1(VALU_DEP_1)
	v_subrev_nc_u32_e32 v72, 28, v69
	v_lshlrev_b64_e32 v[74:75], v72, v[1:2]
	v_sub_nc_u32_e32 v72, 29, v69
	s_delay_alu instid0(VALU_DEP_2)
	v_and_b32_e32 v69, 7, v74
; %bb.408:                              ;   in Loop: Header=BB299_11 Depth=1
	s_or_b32 exec_lo, exec_lo, s36
	v_lshlrev_b32_e32 v1, 8, v71
	s_delay_alu instid0(VALU_DEP_3) | instskip(NEXT) | instid1(VALU_DEP_3)
	v_lshl_add_u32 v71, v72, 10, 0x2000
	v_lshlrev_b32_e32 v69, 23, v69
	s_delay_alu instid0(VALU_DEP_2) | instskip(NEXT) | instid1(VALU_DEP_1)
	v_and_or_b32 v1, 0x8000, v1, v71
	v_lshl_or_b32 v69, v1, 16, v69
.LBB299_409:                            ;   in Loop: Header=BB299_11 Depth=1
	s_wait_alu 0xfffe
	s_or_b32 exec_lo, exec_lo, s35
.LBB299_410:                            ;   in Loop: Header=BB299_11 Depth=1
	s_wait_alu 0xfffe
	s_or_b32 exec_lo, exec_lo, s34
.LBB299_411:                            ;   in Loop: Header=BB299_11 Depth=1
	s_wait_alu 0xfffe
	s_or_b32 exec_lo, exec_lo, s4
	v_lshrrev_b32_e32 v1, 16, v9
	s_mov_b32 s4, exec_lo
	s_delay_alu instid0(VALU_DEP_1) | instskip(NEXT) | instid1(VALU_DEP_1)
	v_and_b32_e32 v71, 0xff, v1
	v_cmpx_ne_u16_e32 0, v71
	s_cbranch_execz .LBB299_419
; %bb.412:                              ;   in Loop: Header=BB299_11 Depth=1
	v_mov_b32_e32 v73, 0x8000
	s_mov_b32 s34, exec_lo
	v_cmpx_ne_u16_e32 0x80, v71
	s_cbranch_execz .LBB299_418
; %bb.413:                              ;   in Loop: Header=BB299_11 Depth=1
	v_bfe_u32 v74, v9, 16, 7
	v_mov_b32_e32 v73, 0x7c01
	s_mov_b32 s35, exec_lo
	s_delay_alu instid0(VALU_DEP_2)
	v_cmpx_ne_u32_e32 0x7f, v74
	s_cbranch_execz .LBB299_417
; %bb.414:                              ;   in Loop: Header=BB299_11 Depth=1
	v_and_b32_e32 v71, 7, v1
	v_lshrrev_b32_e32 v72, 3, v74
	s_mov_b32 s36, exec_lo
	v_cmpx_gt_u32_e32 8, v74
; %bb.415:                              ;   in Loop: Header=BB299_11 Depth=1
	s_delay_alu instid0(VALU_DEP_3) | instskip(NEXT) | instid1(VALU_DEP_1)
	v_clz_i32_u32_e32 v71, v71
	v_min_u32_e32 v73, 32, v71
	s_delay_alu instid0(VALU_DEP_1) | instskip(NEXT) | instid1(VALU_DEP_1)
	v_subrev_nc_u32_e32 v71, 28, v73
	v_lshlrev_b64_e32 v[71:72], v71, v[1:2]
	v_sub_nc_u32_e32 v72, 29, v73
	s_delay_alu instid0(VALU_DEP_2)
	v_and_b32_e32 v71, 7, v71
; %bb.416:                              ;   in Loop: Header=BB299_11 Depth=1
	s_or_b32 exec_lo, exec_lo, s36
	v_lshlrev_b32_e32 v1, 8, v1
	s_delay_alu instid0(VALU_DEP_3) | instskip(NEXT) | instid1(VALU_DEP_3)
	v_lshl_add_u32 v72, v72, 10, 0x2000
	v_lshlrev_b32_e32 v71, 7, v71
	s_delay_alu instid0(VALU_DEP_3) | instskip(NEXT) | instid1(VALU_DEP_3)
	v_and_b32_e32 v1, 0x8000, v1
	v_and_b32_e32 v72, 0xfc00, v72
	s_delay_alu instid0(VALU_DEP_1)
	v_or3_b32 v73, v1, v72, v71
.LBB299_417:                            ;   in Loop: Header=BB299_11 Depth=1
	s_wait_alu 0xfffe
	s_or_b32 exec_lo, exec_lo, s35
.LBB299_418:                            ;   in Loop: Header=BB299_11 Depth=1
	s_wait_alu 0xfffe
	s_or_b32 exec_lo, exec_lo, s34
.LBB299_419:                            ;   in Loop: Header=BB299_11 Depth=1
	s_wait_alu 0xfffe
	s_or_b32 exec_lo, exec_lo, s4
	v_dual_mov_b32 v72, 0 :: v_dual_mov_b32 v77, 0
	s_mov_b32 s4, exec_lo
	v_cmpx_lt_u32_e32 0xffffff, v9
	s_cbranch_execz .LBB299_427
; %bb.420:                              ;   in Loop: Header=BB299_11 Depth=1
	v_lshrrev_b32_e32 v1, 24, v9
	v_bfrev_b32_e32 v77, 1
	s_mov_b32 s34, exec_lo
	s_delay_alu instid0(VALU_DEP_2)
	v_cmpx_ne_u32_e32 0x80, v1
	s_cbranch_execz .LBB299_426
; %bb.421:                              ;   in Loop: Header=BB299_11 Depth=1
	v_and_b32_e32 v75, 0x7f, v1
	v_mov_b32_e32 v77, 0x7c010000
	s_mov_b32 s35, exec_lo
	s_delay_alu instid0(VALU_DEP_2)
	v_cmpx_ne_u32_e32 0x7f, v75
	s_cbranch_execz .LBB299_425
; %bb.422:                              ;   in Loop: Header=BB299_11 Depth=1
	v_and_b32_e32 v71, 7, v1
	v_lshrrev_b32_e32 v74, 3, v75
	s_mov_b32 s36, exec_lo
	v_cmpx_gt_u32_e32 8, v75
; %bb.423:                              ;   in Loop: Header=BB299_11 Depth=1
	s_delay_alu instid0(VALU_DEP_3) | instskip(NEXT) | instid1(VALU_DEP_1)
	v_clz_i32_u32_e32 v71, v71
	v_min_u32_e32 v71, 32, v71
	s_delay_alu instid0(VALU_DEP_1) | instskip(NEXT) | instid1(VALU_DEP_1)
	v_subrev_nc_u32_e32 v74, 28, v71
	v_lshlrev_b64_e32 v[75:76], v74, v[1:2]
	v_sub_nc_u32_e32 v74, 29, v71
	s_delay_alu instid0(VALU_DEP_2)
	v_and_b32_e32 v71, 7, v75
; %bb.424:                              ;   in Loop: Header=BB299_11 Depth=1
	s_or_b32 exec_lo, exec_lo, s36
	v_lshlrev_b32_e32 v1, 8, v1
	s_delay_alu instid0(VALU_DEP_3) | instskip(NEXT) | instid1(VALU_DEP_3)
	v_lshl_add_u32 v74, v74, 10, 0x2000
	v_lshlrev_b32_e32 v71, 23, v71
	s_delay_alu instid0(VALU_DEP_2) | instskip(NEXT) | instid1(VALU_DEP_1)
	v_and_or_b32 v1, 0x8000, v1, v74
	v_lshl_or_b32 v77, v1, 16, v71
.LBB299_425:                            ;   in Loop: Header=BB299_11 Depth=1
	s_wait_alu 0xfffe
	s_or_b32 exec_lo, exec_lo, s35
.LBB299_426:                            ;   in Loop: Header=BB299_11 Depth=1
	s_wait_alu 0xfffe
	s_or_b32 exec_lo, exec_lo, s34
.LBB299_427:                            ;   in Loop: Header=BB299_11 Depth=1
	s_wait_alu 0xfffe
	s_or_b32 exec_lo, exec_lo, s4
	v_and_b32_e32 v71, 0xff, v10
	v_mov_b32_e32 v1, v10
	s_mov_b32 s4, exec_lo
	s_delay_alu instid0(VALU_DEP_2)
	v_cmpx_ne_u16_e32 0, v71
	s_cbranch_execz .LBB299_435
; %bb.428:                              ;   in Loop: Header=BB299_11 Depth=1
	v_mov_b32_e32 v72, 0x8000
	s_mov_b32 s34, exec_lo
	v_cmpx_ne_u16_e32 0x80, v71
	s_cbranch_execz .LBB299_434
; %bb.429:                              ;   in Loop: Header=BB299_11 Depth=1
	v_and_b32_e32 v74, 0x7f, v10
	v_mov_b32_e32 v72, 0x7c01
	s_mov_b32 s35, exec_lo
	s_delay_alu instid0(VALU_DEP_2)
	v_cmpx_ne_u32_e32 0x7f, v74
	s_cbranch_execz .LBB299_433
; %bb.430:                              ;   in Loop: Header=BB299_11 Depth=1
	v_and_b32_e32 v71, 7, v10
	v_lshrrev_b32_e32 v72, 3, v74
	s_mov_b32 s36, exec_lo
	v_cmpx_gt_u32_e32 8, v74
; %bb.431:                              ;   in Loop: Header=BB299_11 Depth=1
	s_delay_alu instid0(VALU_DEP_3) | instskip(NEXT) | instid1(VALU_DEP_1)
	v_clz_i32_u32_e32 v71, v71
	v_min_u32_e32 v74, 32, v71
	s_delay_alu instid0(VALU_DEP_1) | instskip(NEXT) | instid1(VALU_DEP_1)
	v_subrev_nc_u32_e32 v71, 28, v74
	v_lshlrev_b64_e32 v[71:72], v71, v[1:2]
	v_sub_nc_u32_e32 v72, 29, v74
	s_delay_alu instid0(VALU_DEP_2)
	v_and_b32_e32 v71, 7, v71
; %bb.432:                              ;   in Loop: Header=BB299_11 Depth=1
	s_or_b32 exec_lo, exec_lo, s36
	v_lshlrev_b32_e32 v74, 8, v10
	s_delay_alu instid0(VALU_DEP_3) | instskip(NEXT) | instid1(VALU_DEP_3)
	v_lshl_add_u32 v72, v72, 10, 0x2000
	v_lshlrev_b32_e32 v71, 7, v71
	s_delay_alu instid0(VALU_DEP_3) | instskip(NEXT) | instid1(VALU_DEP_3)
	v_and_b32_e32 v74, 0x8000, v74
	v_and_b32_e32 v72, 0xfc00, v72
	s_delay_alu instid0(VALU_DEP_1)
	v_or3_b32 v72, v74, v72, v71
.LBB299_433:                            ;   in Loop: Header=BB299_11 Depth=1
	s_wait_alu 0xfffe
	s_or_b32 exec_lo, exec_lo, s35
.LBB299_434:                            ;   in Loop: Header=BB299_11 Depth=1
	s_wait_alu 0xfffe
	s_or_b32 exec_lo, exec_lo, s34
.LBB299_435:                            ;   in Loop: Header=BB299_11 Depth=1
	s_wait_alu 0xfffe
	s_or_b32 exec_lo, exec_lo, s4
	v_lshrrev_b16 v1, 8, v1
	v_dual_mov_b32 v76, 0 :: v_dual_mov_b32 v71, 0
	s_mov_b32 s4, exec_lo
	s_delay_alu instid0(VALU_DEP_2)
	v_cmpx_ne_u16_e32 0, v1
	s_cbranch_execz .LBB299_443
; %bb.436:                              ;   in Loop: Header=BB299_11 Depth=1
	v_bfrev_b32_e32 v71, 1
	s_mov_b32 s34, exec_lo
	v_cmpx_ne_u16_e32 0x80, v1
	s_cbranch_execz .LBB299_442
; %bb.437:                              ;   in Loop: Header=BB299_11 Depth=1
	v_and_b32_e32 v74, 0xffff, v1
	v_mov_b32_e32 v71, 0x7c010000
	s_mov_b32 s35, exec_lo
	s_delay_alu instid0(VALU_DEP_2) | instskip(NEXT) | instid1(VALU_DEP_1)
	v_and_b32_e32 v78, 0x7f, v74
	v_cmpx_ne_u32_e32 0x7f, v78
	s_cbranch_execz .LBB299_441
; %bb.438:                              ;   in Loop: Header=BB299_11 Depth=1
	v_and_b32_e32 v71, 7, v74
	v_lshrrev_b32_e32 v75, 3, v78
	s_mov_b32 s36, exec_lo
	v_cmpx_gt_u32_e32 8, v78
; %bb.439:                              ;   in Loop: Header=BB299_11 Depth=1
	s_delay_alu instid0(VALU_DEP_3) | instskip(NEXT) | instid1(VALU_DEP_1)
	v_clz_i32_u32_e32 v71, v71
	v_min_u32_e32 v71, 32, v71
	s_delay_alu instid0(VALU_DEP_1) | instskip(NEXT) | instid1(VALU_DEP_1)
	v_subrev_nc_u32_e32 v75, 28, v71
	v_lshlrev_b64_e32 v[78:79], v75, v[1:2]
	v_sub_nc_u32_e32 v75, 29, v71
	s_delay_alu instid0(VALU_DEP_2)
	v_and_b32_e32 v71, 7, v78
; %bb.440:                              ;   in Loop: Header=BB299_11 Depth=1
	s_or_b32 exec_lo, exec_lo, s36
	v_lshlrev_b32_e32 v1, 8, v74
	s_delay_alu instid0(VALU_DEP_3) | instskip(NEXT) | instid1(VALU_DEP_3)
	v_lshl_add_u32 v74, v75, 10, 0x2000
	v_lshlrev_b32_e32 v71, 23, v71
	s_delay_alu instid0(VALU_DEP_2) | instskip(NEXT) | instid1(VALU_DEP_1)
	v_and_or_b32 v1, 0x8000, v1, v74
	v_lshl_or_b32 v71, v1, 16, v71
.LBB299_441:                            ;   in Loop: Header=BB299_11 Depth=1
	s_wait_alu 0xfffe
	s_or_b32 exec_lo, exec_lo, s35
.LBB299_442:                            ;   in Loop: Header=BB299_11 Depth=1
	s_wait_alu 0xfffe
	s_or_b32 exec_lo, exec_lo, s34
.LBB299_443:                            ;   in Loop: Header=BB299_11 Depth=1
	s_wait_alu 0xfffe
	s_or_b32 exec_lo, exec_lo, s4
	v_lshrrev_b32_e32 v1, 16, v10
	s_mov_b32 s4, exec_lo
	s_delay_alu instid0(VALU_DEP_1) | instskip(NEXT) | instid1(VALU_DEP_1)
	v_and_b32_e32 v74, 0xff, v1
	v_cmpx_ne_u16_e32 0, v74
	s_cbranch_execz .LBB299_451
; %bb.444:                              ;   in Loop: Header=BB299_11 Depth=1
	v_mov_b32_e32 v76, 0x8000
	s_mov_b32 s34, exec_lo
	v_cmpx_ne_u16_e32 0x80, v74
	s_cbranch_execz .LBB299_450
; %bb.445:                              ;   in Loop: Header=BB299_11 Depth=1
	v_bfe_u32 v78, v10, 16, 7
	v_mov_b32_e32 v76, 0x7c01
	s_mov_b32 s35, exec_lo
	s_delay_alu instid0(VALU_DEP_2)
	v_cmpx_ne_u32_e32 0x7f, v78
	s_cbranch_execz .LBB299_449
; %bb.446:                              ;   in Loop: Header=BB299_11 Depth=1
	v_and_b32_e32 v74, 7, v1
	v_lshrrev_b32_e32 v75, 3, v78
	s_mov_b32 s36, exec_lo
	v_cmpx_gt_u32_e32 8, v78
; %bb.447:                              ;   in Loop: Header=BB299_11 Depth=1
	s_delay_alu instid0(VALU_DEP_3) | instskip(NEXT) | instid1(VALU_DEP_1)
	v_clz_i32_u32_e32 v74, v74
	v_min_u32_e32 v76, 32, v74
	s_delay_alu instid0(VALU_DEP_1) | instskip(NEXT) | instid1(VALU_DEP_1)
	v_subrev_nc_u32_e32 v74, 28, v76
	v_lshlrev_b64_e32 v[74:75], v74, v[1:2]
	v_sub_nc_u32_e32 v75, 29, v76
	s_delay_alu instid0(VALU_DEP_2)
	v_and_b32_e32 v74, 7, v74
; %bb.448:                              ;   in Loop: Header=BB299_11 Depth=1
	s_or_b32 exec_lo, exec_lo, s36
	v_lshlrev_b32_e32 v1, 8, v1
	s_delay_alu instid0(VALU_DEP_3) | instskip(NEXT) | instid1(VALU_DEP_3)
	v_lshl_add_u32 v75, v75, 10, 0x2000
	v_lshlrev_b32_e32 v74, 7, v74
	s_delay_alu instid0(VALU_DEP_3) | instskip(NEXT) | instid1(VALU_DEP_3)
	v_and_b32_e32 v1, 0x8000, v1
	v_and_b32_e32 v75, 0xfc00, v75
	s_delay_alu instid0(VALU_DEP_1)
	v_or3_b32 v76, v1, v75, v74
.LBB299_449:                            ;   in Loop: Header=BB299_11 Depth=1
	s_wait_alu 0xfffe
	s_or_b32 exec_lo, exec_lo, s35
.LBB299_450:                            ;   in Loop: Header=BB299_11 Depth=1
	s_wait_alu 0xfffe
	s_or_b32 exec_lo, exec_lo, s34
.LBB299_451:                            ;   in Loop: Header=BB299_11 Depth=1
	s_wait_alu 0xfffe
	s_or_b32 exec_lo, exec_lo, s4
	v_cmp_lt_u64_e64 s3, s[6:7], v[9:10]
	v_mov_b32_e32 v9, 0
	v_mov_b32_e32 v75, 0
	s_and_saveexec_b32 s4, s3
	s_cbranch_execz .LBB299_459
; %bb.452:                              ;   in Loop: Header=BB299_11 Depth=1
	v_lshrrev_b32_e32 v1, 24, v10
	v_bfrev_b32_e32 v75, 1
	s_mov_b32 s34, exec_lo
	s_delay_alu instid0(VALU_DEP_2)
	v_cmpx_ne_u32_e32 0x80, v1
	s_cbranch_execz .LBB299_458
; %bb.453:                              ;   in Loop: Header=BB299_11 Depth=1
	v_and_b32_e32 v78, 0x7f, v1
	v_mov_b32_e32 v75, 0x7c010000
	s_mov_b32 s35, exec_lo
	s_delay_alu instid0(VALU_DEP_2)
	v_cmpx_ne_u32_e32 0x7f, v78
	s_cbranch_execz .LBB299_457
; %bb.454:                              ;   in Loop: Header=BB299_11 Depth=1
	v_and_b32_e32 v10, 7, v1
	v_lshrrev_b32_e32 v74, 3, v78
	s_mov_b32 s36, exec_lo
	v_cmpx_gt_u32_e32 8, v78
; %bb.455:                              ;   in Loop: Header=BB299_11 Depth=1
	s_delay_alu instid0(VALU_DEP_3) | instskip(NEXT) | instid1(VALU_DEP_1)
	v_clz_i32_u32_e32 v10, v10
	v_min_u32_e32 v10, 32, v10
	s_delay_alu instid0(VALU_DEP_1) | instskip(NEXT) | instid1(VALU_DEP_1)
	v_subrev_nc_u32_e32 v74, 28, v10
	v_lshlrev_b64_e32 v[78:79], v74, v[1:2]
	v_sub_nc_u32_e32 v74, 29, v10
	s_delay_alu instid0(VALU_DEP_2)
	v_and_b32_e32 v10, 7, v78
; %bb.456:                              ;   in Loop: Header=BB299_11 Depth=1
	s_or_b32 exec_lo, exec_lo, s36
	v_lshlrev_b32_e32 v1, 8, v1
	s_delay_alu instid0(VALU_DEP_3) | instskip(NEXT) | instid1(VALU_DEP_3)
	v_lshl_add_u32 v74, v74, 10, 0x2000
	v_lshlrev_b32_e32 v10, 23, v10
	s_delay_alu instid0(VALU_DEP_2) | instskip(NEXT) | instid1(VALU_DEP_1)
	v_and_or_b32 v1, 0x8000, v1, v74
	v_lshl_or_b32 v75, v1, 16, v10
.LBB299_457:                            ;   in Loop: Header=BB299_11 Depth=1
	s_wait_alu 0xfffe
	s_or_b32 exec_lo, exec_lo, s35
.LBB299_458:                            ;   in Loop: Header=BB299_11 Depth=1
	s_wait_alu 0xfffe
	s_or_b32 exec_lo, exec_lo, s34
.LBB299_459:                            ;   in Loop: Header=BB299_11 Depth=1
	s_wait_alu 0xfffe
	s_or_b32 exec_lo, exec_lo, s4
	global_load_b64 v[7:8], v[7:8], off offset:1544
	s_mov_b32 s4, exec_lo
	s_wait_loadcnt 0x0
	v_and_b32_e32 v1, 0xff, v7
	s_delay_alu instid0(VALU_DEP_1)
	v_cmpx_ne_u16_e32 0, v1
	s_cbranch_execz .LBB299_467
; %bb.460:                              ;   in Loop: Header=BB299_11 Depth=1
	v_mov_b32_e32 v9, 0x8000
	s_mov_b32 s34, exec_lo
	v_cmpx_ne_u16_e32 0x80, v1
	s_cbranch_execz .LBB299_466
; %bb.461:                              ;   in Loop: Header=BB299_11 Depth=1
	v_and_b32_e32 v10, 0x7f, v7
	v_mov_b32_e32 v9, 0x7c01
	s_mov_b32 s35, exec_lo
	s_delay_alu instid0(VALU_DEP_2)
	v_cmpx_ne_u32_e32 0x7f, v10
	s_cbranch_execz .LBB299_465
; %bb.462:                              ;   in Loop: Header=BB299_11 Depth=1
	v_and_b32_e32 v1, 7, v7
	v_lshrrev_b32_e32 v9, 3, v10
	s_mov_b32 s36, exec_lo
	v_cmpx_gt_u32_e32 8, v10
; %bb.463:                              ;   in Loop: Header=BB299_11 Depth=1
	s_delay_alu instid0(VALU_DEP_3) | instskip(NEXT) | instid1(VALU_DEP_1)
	v_clz_i32_u32_e32 v1, v1
	v_min_u32_e32 v1, 32, v1
	s_delay_alu instid0(VALU_DEP_1) | instskip(NEXT) | instid1(VALU_DEP_1)
	v_subrev_nc_u32_e32 v9, 28, v1
	v_lshlrev_b64_e32 v[78:79], v9, v[7:8]
	v_sub_nc_u32_e32 v9, 29, v1
	s_delay_alu instid0(VALU_DEP_2)
	v_and_b32_e32 v1, 7, v78
; %bb.464:                              ;   in Loop: Header=BB299_11 Depth=1
	s_or_b32 exec_lo, exec_lo, s36
	v_lshlrev_b32_e32 v10, 8, v7
	s_delay_alu instid0(VALU_DEP_3) | instskip(NEXT) | instid1(VALU_DEP_3)
	v_lshl_add_u32 v9, v9, 10, 0x2000
	v_lshlrev_b32_e32 v1, 7, v1
	s_delay_alu instid0(VALU_DEP_3) | instskip(NEXT) | instid1(VALU_DEP_3)
	v_and_b32_e32 v10, 0x8000, v10
	v_and_b32_e32 v9, 0xfc00, v9
	s_delay_alu instid0(VALU_DEP_1)
	v_or3_b32 v9, v10, v9, v1
.LBB299_465:                            ;   in Loop: Header=BB299_11 Depth=1
	s_wait_alu 0xfffe
	s_or_b32 exec_lo, exec_lo, s35
.LBB299_466:                            ;   in Loop: Header=BB299_11 Depth=1
	s_wait_alu 0xfffe
	s_or_b32 exec_lo, exec_lo, s34
.LBB299_467:                            ;   in Loop: Header=BB299_11 Depth=1
	s_wait_alu 0xfffe
	s_or_b32 exec_lo, exec_lo, s4
	v_lshrrev_b16 v1, 8, v7
	v_mov_b32_e32 v74, 0
	v_mov_b32_e32 v10, 0
	s_mov_b32 s4, exec_lo
	s_delay_alu instid0(VALU_DEP_3)
	v_cmpx_ne_u16_e32 0, v1
	s_cbranch_execz .LBB299_475
; %bb.468:                              ;   in Loop: Header=BB299_11 Depth=1
	v_bfrev_b32_e32 v10, 1
	s_mov_b32 s34, exec_lo
	v_cmpx_ne_u16_e32 0x80, v1
	s_cbranch_execz .LBB299_474
; %bb.469:                              ;   in Loop: Header=BB299_11 Depth=1
	v_and_b32_e32 v78, 0xffff, v1
	v_mov_b32_e32 v10, 0x7c010000
	s_mov_b32 s35, exec_lo
	s_delay_alu instid0(VALU_DEP_2) | instskip(NEXT) | instid1(VALU_DEP_1)
	v_and_b32_e32 v80, 0x7f, v78
	v_cmpx_ne_u32_e32 0x7f, v80
	s_cbranch_execz .LBB299_473
; %bb.470:                              ;   in Loop: Header=BB299_11 Depth=1
	v_and_b32_e32 v10, 7, v78
	v_lshrrev_b32_e32 v79, 3, v80
	s_mov_b32 s36, exec_lo
	v_cmpx_gt_u32_e32 8, v80
; %bb.471:                              ;   in Loop: Header=BB299_11 Depth=1
	s_delay_alu instid0(VALU_DEP_3) | instskip(NEXT) | instid1(VALU_DEP_1)
	v_clz_i32_u32_e32 v10, v10
	v_min_u32_e32 v10, 32, v10
	s_delay_alu instid0(VALU_DEP_1) | instskip(NEXT) | instid1(VALU_DEP_1)
	v_subrev_nc_u32_e32 v79, 28, v10
	v_lshlrev_b64_e32 v[80:81], v79, v[1:2]
	v_sub_nc_u32_e32 v79, 29, v10
	s_delay_alu instid0(VALU_DEP_2)
	v_and_b32_e32 v10, 7, v80
; %bb.472:                              ;   in Loop: Header=BB299_11 Depth=1
	s_or_b32 exec_lo, exec_lo, s36
	v_lshlrev_b32_e32 v1, 8, v78
	s_delay_alu instid0(VALU_DEP_3) | instskip(NEXT) | instid1(VALU_DEP_3)
	v_lshl_add_u32 v78, v79, 10, 0x2000
	v_lshlrev_b32_e32 v10, 23, v10
	s_delay_alu instid0(VALU_DEP_2) | instskip(NEXT) | instid1(VALU_DEP_1)
	v_and_or_b32 v1, 0x8000, v1, v78
	v_lshl_or_b32 v10, v1, 16, v10
.LBB299_473:                            ;   in Loop: Header=BB299_11 Depth=1
	s_wait_alu 0xfffe
	s_or_b32 exec_lo, exec_lo, s35
.LBB299_474:                            ;   in Loop: Header=BB299_11 Depth=1
	s_wait_alu 0xfffe
	s_or_b32 exec_lo, exec_lo, s34
.LBB299_475:                            ;   in Loop: Header=BB299_11 Depth=1
	s_wait_alu 0xfffe
	s_or_b32 exec_lo, exec_lo, s4
	v_lshrrev_b32_e32 v1, 16, v7
	s_mov_b32 s4, exec_lo
	s_delay_alu instid0(VALU_DEP_1) | instskip(NEXT) | instid1(VALU_DEP_1)
	v_and_b32_e32 v78, 0xff, v1
	v_cmpx_ne_u16_e32 0, v78
	s_cbranch_execz .LBB299_483
; %bb.476:                              ;   in Loop: Header=BB299_11 Depth=1
	v_mov_b32_e32 v74, 0x8000
	s_mov_b32 s34, exec_lo
	v_cmpx_ne_u16_e32 0x80, v78
	s_cbranch_execz .LBB299_482
; %bb.477:                              ;   in Loop: Header=BB299_11 Depth=1
	v_bfe_u32 v79, v7, 16, 7
	v_mov_b32_e32 v74, 0x7c01
	s_mov_b32 s35, exec_lo
	s_delay_alu instid0(VALU_DEP_2)
	v_cmpx_ne_u32_e32 0x7f, v79
	s_cbranch_execz .LBB299_481
; %bb.478:                              ;   in Loop: Header=BB299_11 Depth=1
	v_and_b32_e32 v74, 7, v1
	v_lshrrev_b32_e32 v78, 3, v79
	s_mov_b32 s36, exec_lo
	v_cmpx_gt_u32_e32 8, v79
; %bb.479:                              ;   in Loop: Header=BB299_11 Depth=1
	s_delay_alu instid0(VALU_DEP_3) | instskip(NEXT) | instid1(VALU_DEP_1)
	v_clz_i32_u32_e32 v74, v74
	v_min_u32_e32 v74, 32, v74
	s_delay_alu instid0(VALU_DEP_1) | instskip(NEXT) | instid1(VALU_DEP_1)
	v_subrev_nc_u32_e32 v78, 28, v74
	v_lshlrev_b64_e32 v[79:80], v78, v[1:2]
	v_sub_nc_u32_e32 v78, 29, v74
	s_delay_alu instid0(VALU_DEP_2)
	v_and_b32_e32 v74, 7, v79
; %bb.480:                              ;   in Loop: Header=BB299_11 Depth=1
	s_or_b32 exec_lo, exec_lo, s36
	v_lshlrev_b32_e32 v1, 8, v1
	s_delay_alu instid0(VALU_DEP_3) | instskip(NEXT) | instid1(VALU_DEP_3)
	v_lshl_add_u32 v78, v78, 10, 0x2000
	v_lshlrev_b32_e32 v74, 7, v74
	s_delay_alu instid0(VALU_DEP_3) | instskip(NEXT) | instid1(VALU_DEP_3)
	v_and_b32_e32 v1, 0x8000, v1
	v_and_b32_e32 v78, 0xfc00, v78
	s_delay_alu instid0(VALU_DEP_1)
	v_or3_b32 v74, v1, v78, v74
.LBB299_481:                            ;   in Loop: Header=BB299_11 Depth=1
	s_wait_alu 0xfffe
	s_or_b32 exec_lo, exec_lo, s35
.LBB299_482:                            ;   in Loop: Header=BB299_11 Depth=1
	s_wait_alu 0xfffe
	s_or_b32 exec_lo, exec_lo, s34
.LBB299_483:                            ;   in Loop: Header=BB299_11 Depth=1
	s_wait_alu 0xfffe
	s_or_b32 exec_lo, exec_lo, s4
	v_dual_mov_b32 v78, 0 :: v_dual_mov_b32 v79, 0
	s_mov_b32 s4, exec_lo
	v_cmpx_lt_u32_e32 0xffffff, v7
	s_cbranch_execz .LBB299_491
; %bb.484:                              ;   in Loop: Header=BB299_11 Depth=1
	v_lshrrev_b32_e32 v1, 24, v7
	v_bfrev_b32_e32 v79, 1
	s_mov_b32 s34, exec_lo
	s_delay_alu instid0(VALU_DEP_2)
	v_cmpx_ne_u32_e32 0x80, v1
	s_cbranch_execz .LBB299_490
; %bb.485:                              ;   in Loop: Header=BB299_11 Depth=1
	v_and_b32_e32 v81, 0x7f, v1
	v_mov_b32_e32 v79, 0x7c010000
	s_mov_b32 s35, exec_lo
	s_delay_alu instid0(VALU_DEP_2)
	v_cmpx_ne_u32_e32 0x7f, v81
	s_cbranch_execz .LBB299_489
; %bb.486:                              ;   in Loop: Header=BB299_11 Depth=1
	v_and_b32_e32 v79, 7, v1
	v_lshrrev_b32_e32 v80, 3, v81
	s_mov_b32 s36, exec_lo
	v_cmpx_gt_u32_e32 8, v81
; %bb.487:                              ;   in Loop: Header=BB299_11 Depth=1
	s_delay_alu instid0(VALU_DEP_3) | instskip(NEXT) | instid1(VALU_DEP_1)
	v_clz_i32_u32_e32 v79, v79
	v_min_u32_e32 v81, 32, v79
	s_delay_alu instid0(VALU_DEP_1) | instskip(NEXT) | instid1(VALU_DEP_1)
	v_subrev_nc_u32_e32 v79, 28, v81
	v_lshlrev_b64_e32 v[79:80], v79, v[1:2]
	v_sub_nc_u32_e32 v80, 29, v81
	s_delay_alu instid0(VALU_DEP_2)
	v_and_b32_e32 v79, 7, v79
; %bb.488:                              ;   in Loop: Header=BB299_11 Depth=1
	s_or_b32 exec_lo, exec_lo, s36
	v_lshlrev_b32_e32 v1, 8, v1
	s_delay_alu instid0(VALU_DEP_3) | instskip(NEXT) | instid1(VALU_DEP_3)
	v_lshl_add_u32 v80, v80, 10, 0x2000
	v_lshlrev_b32_e32 v79, 23, v79
	s_delay_alu instid0(VALU_DEP_2) | instskip(NEXT) | instid1(VALU_DEP_1)
	v_and_or_b32 v1, 0x8000, v1, v80
	v_lshl_or_b32 v79, v1, 16, v79
.LBB299_489:                            ;   in Loop: Header=BB299_11 Depth=1
	s_wait_alu 0xfffe
	s_or_b32 exec_lo, exec_lo, s35
.LBB299_490:                            ;   in Loop: Header=BB299_11 Depth=1
	s_wait_alu 0xfffe
	s_or_b32 exec_lo, exec_lo, s34
.LBB299_491:                            ;   in Loop: Header=BB299_11 Depth=1
	s_wait_alu 0xfffe
	s_or_b32 exec_lo, exec_lo, s4
	v_dual_mov_b32 v1, v8 :: v_dual_and_b32 v80, 0xff, v8
	s_mov_b32 s4, exec_lo
	s_delay_alu instid0(VALU_DEP_1)
	v_cmpx_ne_u16_e32 0, v80
	s_cbranch_execz .LBB299_499
; %bb.492:                              ;   in Loop: Header=BB299_11 Depth=1
	v_mov_b32_e32 v78, 0x8000
	s_mov_b32 s34, exec_lo
	v_cmpx_ne_u16_e32 0x80, v80
	s_cbranch_execz .LBB299_498
; %bb.493:                              ;   in Loop: Header=BB299_11 Depth=1
	v_and_b32_e32 v81, 0x7f, v8
	v_mov_b32_e32 v78, 0x7c01
	s_mov_b32 s35, exec_lo
	s_delay_alu instid0(VALU_DEP_2)
	v_cmpx_ne_u32_e32 0x7f, v81
	s_cbranch_execz .LBB299_497
; %bb.494:                              ;   in Loop: Header=BB299_11 Depth=1
	v_and_b32_e32 v78, 7, v8
	v_lshrrev_b32_e32 v80, 3, v81
	s_mov_b32 s36, exec_lo
	v_cmpx_gt_u32_e32 8, v81
; %bb.495:                              ;   in Loop: Header=BB299_11 Depth=1
	s_delay_alu instid0(VALU_DEP_3) | instskip(NEXT) | instid1(VALU_DEP_1)
	v_clz_i32_u32_e32 v78, v78
	v_min_u32_e32 v78, 32, v78
	s_delay_alu instid0(VALU_DEP_1) | instskip(NEXT) | instid1(VALU_DEP_1)
	v_subrev_nc_u32_e32 v80, 28, v78
	v_lshlrev_b64_e32 v[81:82], v80, v[1:2]
	v_sub_nc_u32_e32 v80, 29, v78
	s_delay_alu instid0(VALU_DEP_2)
	v_and_b32_e32 v78, 7, v81
; %bb.496:                              ;   in Loop: Header=BB299_11 Depth=1
	s_or_b32 exec_lo, exec_lo, s36
	v_lshlrev_b32_e32 v81, 8, v8
	s_delay_alu instid0(VALU_DEP_3) | instskip(NEXT) | instid1(VALU_DEP_3)
	v_lshl_add_u32 v80, v80, 10, 0x2000
	v_lshlrev_b32_e32 v78, 7, v78
	s_delay_alu instid0(VALU_DEP_3) | instskip(NEXT) | instid1(VALU_DEP_3)
	v_and_b32_e32 v81, 0x8000, v81
	v_and_b32_e32 v80, 0xfc00, v80
	s_delay_alu instid0(VALU_DEP_1)
	v_or3_b32 v78, v81, v80, v78
.LBB299_497:                            ;   in Loop: Header=BB299_11 Depth=1
	s_wait_alu 0xfffe
	s_or_b32 exec_lo, exec_lo, s35
.LBB299_498:                            ;   in Loop: Header=BB299_11 Depth=1
	s_wait_alu 0xfffe
	s_or_b32 exec_lo, exec_lo, s34
.LBB299_499:                            ;   in Loop: Header=BB299_11 Depth=1
	s_wait_alu 0xfffe
	s_or_b32 exec_lo, exec_lo, s4
	v_lshrrev_b16 v1, 8, v1
	v_dual_mov_b32 v81, 0 :: v_dual_mov_b32 v80, 0
	s_mov_b32 s4, exec_lo
	s_delay_alu instid0(VALU_DEP_2)
	v_cmpx_ne_u16_e32 0, v1
	s_cbranch_execz .LBB299_507
; %bb.500:                              ;   in Loop: Header=BB299_11 Depth=1
	v_bfrev_b32_e32 v80, 1
	s_mov_b32 s34, exec_lo
	v_cmpx_ne_u16_e32 0x80, v1
	s_cbranch_execz .LBB299_506
; %bb.501:                              ;   in Loop: Header=BB299_11 Depth=1
	v_and_b32_e32 v82, 0xffff, v1
	v_mov_b32_e32 v80, 0x7c010000
	s_mov_b32 s35, exec_lo
	s_delay_alu instid0(VALU_DEP_2) | instskip(NEXT) | instid1(VALU_DEP_1)
	v_and_b32_e32 v84, 0x7f, v82
	v_cmpx_ne_u32_e32 0x7f, v84
	s_cbranch_execz .LBB299_505
; %bb.502:                              ;   in Loop: Header=BB299_11 Depth=1
	v_and_b32_e32 v80, 7, v82
	v_lshrrev_b32_e32 v83, 3, v84
	s_mov_b32 s36, exec_lo
	v_cmpx_gt_u32_e32 8, v84
; %bb.503:                              ;   in Loop: Header=BB299_11 Depth=1
	s_delay_alu instid0(VALU_DEP_3) | instskip(NEXT) | instid1(VALU_DEP_1)
	v_clz_i32_u32_e32 v80, v80
	v_min_u32_e32 v80, 32, v80
	s_delay_alu instid0(VALU_DEP_1) | instskip(NEXT) | instid1(VALU_DEP_1)
	v_subrev_nc_u32_e32 v83, 28, v80
	v_lshlrev_b64_e32 v[84:85], v83, v[1:2]
	v_sub_nc_u32_e32 v83, 29, v80
	s_delay_alu instid0(VALU_DEP_2)
	v_and_b32_e32 v80, 7, v84
; %bb.504:                              ;   in Loop: Header=BB299_11 Depth=1
	s_or_b32 exec_lo, exec_lo, s36
	v_lshlrev_b32_e32 v1, 8, v82
	s_delay_alu instid0(VALU_DEP_3) | instskip(NEXT) | instid1(VALU_DEP_3)
	v_lshl_add_u32 v82, v83, 10, 0x2000
	v_lshlrev_b32_e32 v80, 23, v80
	s_delay_alu instid0(VALU_DEP_2) | instskip(NEXT) | instid1(VALU_DEP_1)
	v_and_or_b32 v1, 0x8000, v1, v82
	v_lshl_or_b32 v80, v1, 16, v80
.LBB299_505:                            ;   in Loop: Header=BB299_11 Depth=1
	s_wait_alu 0xfffe
	s_or_b32 exec_lo, exec_lo, s35
.LBB299_506:                            ;   in Loop: Header=BB299_11 Depth=1
	s_wait_alu 0xfffe
	s_or_b32 exec_lo, exec_lo, s34
.LBB299_507:                            ;   in Loop: Header=BB299_11 Depth=1
	s_wait_alu 0xfffe
	s_or_b32 exec_lo, exec_lo, s4
	v_lshrrev_b32_e32 v1, 16, v8
	s_mov_b32 s4, exec_lo
	s_delay_alu instid0(VALU_DEP_1) | instskip(NEXT) | instid1(VALU_DEP_1)
	v_and_b32_e32 v82, 0xff, v1
	v_cmpx_ne_u16_e32 0, v82
	s_cbranch_execz .LBB299_515
; %bb.508:                              ;   in Loop: Header=BB299_11 Depth=1
	v_mov_b32_e32 v81, 0x8000
	s_mov_b32 s34, exec_lo
	v_cmpx_ne_u16_e32 0x80, v82
	s_cbranch_execz .LBB299_514
; %bb.509:                              ;   in Loop: Header=BB299_11 Depth=1
	v_bfe_u32 v83, v8, 16, 7
	v_mov_b32_e32 v81, 0x7c01
	s_mov_b32 s35, exec_lo
	s_delay_alu instid0(VALU_DEP_2)
	v_cmpx_ne_u32_e32 0x7f, v83
	s_cbranch_execz .LBB299_513
; %bb.510:                              ;   in Loop: Header=BB299_11 Depth=1
	v_and_b32_e32 v81, 7, v1
	v_lshrrev_b32_e32 v82, 3, v83
	s_mov_b32 s36, exec_lo
	v_cmpx_gt_u32_e32 8, v83
; %bb.511:                              ;   in Loop: Header=BB299_11 Depth=1
	s_delay_alu instid0(VALU_DEP_3) | instskip(NEXT) | instid1(VALU_DEP_1)
	v_clz_i32_u32_e32 v81, v81
	v_min_u32_e32 v83, 32, v81
	s_delay_alu instid0(VALU_DEP_1) | instskip(NEXT) | instid1(VALU_DEP_1)
	v_subrev_nc_u32_e32 v81, 28, v83
	v_lshlrev_b64_e32 v[81:82], v81, v[1:2]
	v_sub_nc_u32_e32 v82, 29, v83
	s_delay_alu instid0(VALU_DEP_2)
	v_and_b32_e32 v81, 7, v81
; %bb.512:                              ;   in Loop: Header=BB299_11 Depth=1
	s_or_b32 exec_lo, exec_lo, s36
	v_lshlrev_b32_e32 v1, 8, v1
	s_delay_alu instid0(VALU_DEP_3) | instskip(NEXT) | instid1(VALU_DEP_3)
	v_lshl_add_u32 v82, v82, 10, 0x2000
	v_lshlrev_b32_e32 v81, 7, v81
	s_delay_alu instid0(VALU_DEP_3) | instskip(NEXT) | instid1(VALU_DEP_3)
	v_and_b32_e32 v1, 0x8000, v1
	v_and_b32_e32 v82, 0xfc00, v82
	s_delay_alu instid0(VALU_DEP_1)
	v_or3_b32 v81, v1, v82, v81
.LBB299_513:                            ;   in Loop: Header=BB299_11 Depth=1
	s_wait_alu 0xfffe
	s_or_b32 exec_lo, exec_lo, s35
.LBB299_514:                            ;   in Loop: Header=BB299_11 Depth=1
	s_wait_alu 0xfffe
	s_or_b32 exec_lo, exec_lo, s34
.LBB299_515:                            ;   in Loop: Header=BB299_11 Depth=1
	s_wait_alu 0xfffe
	s_or_b32 exec_lo, exec_lo, s4
	v_cmp_lt_u64_e64 s3, s[6:7], v[7:8]
	v_mov_b32_e32 v7, 0
	s_and_saveexec_b32 s4, s3
	s_cbranch_execz .LBB299_10
; %bb.516:                              ;   in Loop: Header=BB299_11 Depth=1
	v_lshrrev_b32_e32 v1, 24, v8
	v_bfrev_b32_e32 v7, 1
	s_mov_b32 s34, exec_lo
	s_delay_alu instid0(VALU_DEP_2)
	v_cmpx_ne_u32_e32 0x80, v1
	s_cbranch_execz .LBB299_9
; %bb.517:                              ;   in Loop: Header=BB299_11 Depth=1
	v_and_b32_e32 v82, 0x7f, v1
	v_mov_b32_e32 v7, 0x7c010000
	s_mov_b32 s35, exec_lo
	s_delay_alu instid0(VALU_DEP_2)
	v_cmpx_ne_u32_e32 0x7f, v82
	s_cbranch_execz .LBB299_8
; %bb.518:                              ;   in Loop: Header=BB299_11 Depth=1
	v_and_b32_e32 v7, 7, v1
	v_lshrrev_b32_e32 v8, 3, v82
	s_mov_b32 s36, exec_lo
	v_cmpx_gt_u32_e32 8, v82
	s_cbranch_execz .LBB299_7
; %bb.519:                              ;   in Loop: Header=BB299_11 Depth=1
	v_clz_i32_u32_e32 v7, v7
	s_delay_alu instid0(VALU_DEP_1) | instskip(NEXT) | instid1(VALU_DEP_1)
	v_min_u32_e32 v82, 32, v7
	v_subrev_nc_u32_e32 v7, 28, v82
	s_delay_alu instid0(VALU_DEP_1) | instskip(SKIP_1) | instid1(VALU_DEP_2)
	v_lshlrev_b64_e32 v[7:8], v7, v[1:2]
	v_sub_nc_u32_e32 v8, 29, v82
	v_and_b32_e32 v7, 7, v7
	s_branch .LBB299_7
.LBB299_520:
	s_or_b32 exec_lo, exec_lo, s33
.LBB299_521:
	s_delay_alu instid0(SALU_CYCLE_1)
	s_or_b32 exec_lo, exec_lo, s25
	v_mbcnt_lo_u32_b32 v1, -1, 0
	s_load_b128 s[4:7], s[0:1], 0x0
	s_wait_kmcnt 0x0
	s_clause 0x1
	s_load_b64 s[8:9], s[0:1], 0x10
	s_load_b64 s[24:25], s[0:1], 0x28
	v_max_num_f32_e32 v5, v16, v16
	v_xor_b32_e32 v2, 16, v1
	v_xor_b32_e32 v4, 8, v1
	s_delay_alu instid0(VALU_DEP_2) | instskip(SKIP_2) | instid1(VALU_DEP_3)
	v_cmp_gt_i32_e32 vcc_lo, 32, v2
	s_wait_alu 0xfffd
	v_cndmask_b32_e32 v2, v1, v2, vcc_lo
	v_cmp_gt_i32_e32 vcc_lo, 32, v4
	s_delay_alu instid0(VALU_DEP_2)
	v_lshlrev_b32_e32 v2, 2, v2
	s_wait_alu 0xfffd
	v_cndmask_b32_e32 v4, v1, v4, vcc_lo
	ds_bpermute_b32 v3, v2, v16
	s_wait_dscnt 0x0
	v_dual_max_num_f32 v6, v3, v3 :: v_dual_lshlrev_b32 v3, 2, v4
	s_delay_alu instid0(VALU_DEP_1)
	v_max_num_f32_e32 v4, v5, v6
	v_xor_b32_e32 v6, 4, v1
	ds_bpermute_b32 v5, v3, v4
	v_cmp_gt_i32_e32 vcc_lo, 32, v6
	s_wait_alu 0xfffd
	v_cndmask_b32_e32 v6, v1, v6, vcc_lo
	s_wait_dscnt 0x0
	v_max_num_f32_e32 v7, v5, v5
	s_delay_alu instid0(VALU_DEP_1)
	v_dual_max_num_f32 v4, v4, v7 :: v_dual_lshlrev_b32 v5, 2, v6
	v_xor_b32_e32 v7, 2, v1
	ds_bpermute_b32 v6, v5, v4
	v_cmp_gt_i32_e32 vcc_lo, 32, v7
	s_wait_dscnt 0x0
	s_wait_alu 0xfffd
	v_dual_cndmask_b32 v7, v1, v7 :: v_dual_max_num_f32 v6, v6, v6
	s_delay_alu instid0(VALU_DEP_1) | instskip(SKIP_1) | instid1(VALU_DEP_1)
	v_lshlrev_b32_e32 v17, 2, v7
	v_xor_b32_e32 v7, 1, v1
	v_cmp_gt_i32_e32 vcc_lo, 32, v7
	s_wait_alu 0xfffd
	v_dual_max_num_f32 v4, v4, v6 :: v_dual_cndmask_b32 v7, v1, v7
	ds_bpermute_b32 v6, v17, v4
	v_cmp_eq_u32_e32 vcc_lo, 0, v12
	v_lshlrev_b32_e32 v16, 2, v7
	s_wait_dscnt 0x0
	v_max_num_f32_e32 v6, v6, v6
	s_delay_alu instid0(VALU_DEP_1)
	v_dual_max_num_f32 v1, v4, v6 :: v_dual_lshlrev_b32 v6, 2, v11
	ds_bpermute_b32 v4, v16, v1
	s_and_saveexec_b32 s0, vcc_lo
	s_cbranch_execz .LBB299_523
; %bb.522:
	s_wait_dscnt 0x0
	v_dual_max_num_f32 v4, v4, v4 :: v_dual_max_num_f32 v1, v1, v1
	s_delay_alu instid0(VALU_DEP_1)
	v_max_num_f32_e32 v1, v1, v4
	ds_store_b32 v6, v1 offset:128
.LBB299_523:
	s_or_b32 exec_lo, exec_lo, s0
	v_cmp_gt_u32_e64 s0, 4, v12
	v_mov_b32_e32 v1, 0xff7fffff
	s_wait_loadcnt_dscnt 0x0
	s_barrier_signal -1
	s_barrier_wait -1
	global_inv scope:SCOPE_SE
	s_and_saveexec_b32 s1, s0
; %bb.524:
	ds_load_b32 v1, v15 offset:128
; %bb.525:
	s_or_b32 exec_lo, exec_lo, s1
	s_wait_dscnt 0x0
	ds_bpermute_b32 v4, v17, v1
	v_max_num_f32_e32 v1, v1, v1
	s_sub_co_i32 s1, s17, s30
	v_mov_b32_e32 v7, 0
	s_lshl_b32 s1, s1, 5
	s_delay_alu instid0(SALU_CYCLE_1) | instskip(NEXT) | instid1(SALU_CYCLE_1)
	s_add_co_i32 s1, s1, s28
	s_min_i32 s1, s1, s27
	s_delay_alu instid0(SALU_CYCLE_1) | instskip(SKIP_4) | instid1(VALU_DEP_1)
	s_sub_co_i32 s15, s1, s28
	s_wait_alu 0xfffe
	v_cmp_gt_i32_e64 s1, s15, v0
	s_wait_dscnt 0x0
	v_max_num_f32_e32 v4, v4, v4
	v_max_num_f32_e32 v1, v1, v4
	ds_bpermute_b32 v4, v16, v1
	s_wait_dscnt 0x0
	v_max_num_f32_e32 v4, v4, v4
	s_delay_alu instid0(VALU_DEP_1)
	v_max_num_f32_e32 v1, v1, v4
	v_lshl_add_u32 v4, v0, 2, 0xa0
	ds_bpermute_b32 v1, v7, v1
	s_and_saveexec_b32 s30, s1
	s_cbranch_execz .LBB299_529
; %bb.526:
	v_lshl_add_u32 v8, v0, 2, 0xa0
	v_mov_b32_e32 v7, 0
	v_mov_b32_e32 v9, v0
	s_mov_b32 s31, 0
.LBB299_527:                            ; =>This Inner Loop Header: Depth=1
	ds_load_b32 v10, v8
	v_add_nc_u32_e32 v9, 0x80, v9
	s_delay_alu instid0(VALU_DEP_1) | instskip(SKIP_4) | instid1(VALU_DEP_1)
	v_cmp_le_i32_e64 s3, s15, v9
	s_wait_alu 0xfffe
	s_or_b32 s31, s3, s31
	s_wait_dscnt 0x0
	v_sub_f32_e32 v10, v10, v1
	v_mul_f32_e32 v10, 0x3fb8aa3b, v10
	s_delay_alu instid0(VALU_DEP_1)
	v_exp_f32_e32 v10, v10
	ds_store_b32 v8, v10
	v_dual_add_f32 v7, v7, v10 :: v_dual_add_nc_u32 v8, 0x200, v8
	s_wait_alu 0xfffe
	s_and_not1_b32 exec_lo, exec_lo, s31
	s_cbranch_execnz .LBB299_527
; %bb.528:
	s_or_b32 exec_lo, exec_lo, s31
.LBB299_529:
	s_wait_alu 0xfffe
	s_or_b32 exec_lo, exec_lo, s30
	ds_bpermute_b32 v2, v2, v7
	s_wait_dscnt 0x0
	v_add_f32_e32 v2, v7, v2
	ds_bpermute_b32 v3, v3, v2
	s_wait_dscnt 0x0
	v_add_f32_e32 v2, v2, v3
	ds_bpermute_b32 v3, v5, v2
	s_wait_dscnt 0x0
	v_add_f32_e32 v2, v2, v3
	ds_bpermute_b32 v3, v17, v2
	s_wait_dscnt 0x0
	v_add_f32_e32 v2, v2, v3
	ds_bpermute_b32 v3, v16, v2
	s_wait_dscnt 0x0
	v_add_f32_e32 v2, v2, v3
	s_and_saveexec_b32 s3, vcc_lo
; %bb.530:
	ds_store_b32 v6, v2 offset:144
; %bb.531:
	s_wait_alu 0xfffe
	s_or_b32 exec_lo, exec_lo, s3
	s_wait_loadcnt_dscnt 0x0
	s_barrier_signal -1
	s_barrier_wait -1
	global_inv scope:SCOPE_SE
	s_and_saveexec_b32 s3, s0
; %bb.532:
	ds_load_b32 v2, v15 offset:144
; %bb.533:
	s_wait_alu 0xfffe
	s_or_b32 exec_lo, exec_lo, s3
	s_wait_dscnt 0x0
	ds_bpermute_b32 v3, v17, v2
	s_wait_dscnt 0x0
	v_add_f32_e32 v2, v2, v3
	ds_bpermute_b32 v3, v16, v2
	s_wait_dscnt 0x0
	v_dual_add_f32 v2, v2, v3 :: v_dual_mov_b32 v3, 0
	ds_bpermute_b32 v2, v3, v2
	s_and_saveexec_b32 s0, s1
	s_cbranch_execz .LBB299_536
; %bb.534:
	s_wait_dscnt 0x0
	v_add_f32_e32 v3, 0x358637bd, v2
	s_mov_b32 s1, 0
	s_delay_alu instid0(VALU_DEP_1) | instskip(SKIP_1) | instid1(VALU_DEP_2)
	v_div_scale_f32 v5, null, v3, v3, 1.0
	v_div_scale_f32 v8, vcc_lo, 1.0, v3, 1.0
	v_rcp_f32_e32 v6, v5
	s_delay_alu instid0(TRANS32_DEP_1) | instskip(NEXT) | instid1(VALU_DEP_1)
	v_fma_f32 v7, -v5, v6, 1.0
	v_fmac_f32_e32 v6, v7, v6
	s_delay_alu instid0(VALU_DEP_1) | instskip(NEXT) | instid1(VALU_DEP_1)
	v_mul_f32_e32 v7, v8, v6
	v_fma_f32 v9, -v5, v7, v8
	s_delay_alu instid0(VALU_DEP_1) | instskip(NEXT) | instid1(VALU_DEP_1)
	v_fmac_f32_e32 v7, v9, v6
	v_fma_f32 v5, -v5, v7, v8
	s_wait_alu 0xfffd
	s_delay_alu instid0(VALU_DEP_1) | instskip(NEXT) | instid1(VALU_DEP_1)
	v_div_fmas_f32 v5, v5, v6, v7
	v_div_fixup_f32 v3, v5, v3, 1.0
	v_mov_b32_e32 v5, v0
.LBB299_535:                            ; =>This Inner Loop Header: Depth=1
	ds_load_b32 v6, v4
	s_wait_dscnt 0x0
	v_dual_mul_f32 v6, v3, v6 :: v_dual_add_nc_u32 v5, 0x80, v5
	s_delay_alu instid0(VALU_DEP_1) | instskip(SKIP_3) | instid1(SALU_CYCLE_1)
	v_cmp_le_i32_e32 vcc_lo, s15, v5
	ds_store_b32 v4, v6
	v_add_nc_u32_e32 v4, 0x200, v4
	s_or_b32 s1, vcc_lo, s1
	s_and_not1_b32 exec_lo, exec_lo, s1
	s_cbranch_execnz .LBB299_535
.LBB299_536:
	s_or_b32 exec_lo, exec_lo, s0
	s_mul_i32 s0, s12, s22
	s_wait_loadcnt_dscnt 0x0
	s_mul_i32 s22, s0, s23
	s_mov_b32 s0, exec_lo
	s_barrier_signal -1
	s_barrier_wait -1
	global_inv scope:SCOPE_SE
	v_cmpx_eq_u32_e32 0, v0
	s_cbranch_execz .LBB299_538
; %bb.537:
	s_ashr_i32 s23, s22, 31
	s_mul_i32 s30, s12, ttmp9
	s_lshl_b32 s1, s26, 2
	s_lshl_b64 s[34:35], s[22:23], 2
	s_wait_alu 0xfffe
	s_ashr_i32 s31, s30, 31
	v_mov_b32_e32 v3, s1
	s_add_nc_u64 s[6:7], s[6:7], s[34:35]
	s_wait_alu 0xfffe
	s_lshl_b64 s[30:31], s[30:31], 2
	s_add_nc_u64 s[4:5], s[4:5], s[34:35]
	s_wait_alu 0xfffe
	s_add_nc_u64 s[6:7], s[6:7], s[30:31]
	s_add_nc_u64 s[4:5], s[4:5], s[30:31]
	s_clause 0x1
	global_store_b32 v3, v1, s[6:7]
	global_store_b32 v3, v2, s[4:5]
.LBB299_538:
	s_or_b32 exec_lo, exec_lo, s0
	v_dual_mov_b32 v23, 0 :: v_dual_mov_b32 v24, 0
	v_dual_mov_b32 v22, 0 :: v_dual_and_b32 v15, 3, v0
	v_dual_mov_b32 v25, 0 :: v_dual_mov_b32 v20, 0
	v_dual_mov_b32 v21, 0 :: v_dual_mov_b32 v18, 0
	v_mov_b32_e32 v19, 0
	s_and_saveexec_b32 s1, s2
	s_cbranch_execz .LBB299_1070
; %bb.539:
	v_dual_mov_b32 v2, 0 :: v_dual_lshlrev_b32 v1, 3, v0
	v_dual_mov_b32 v18, 0 :: v_dual_lshlrev_b32 v3, 5, v15
	s_ashr_i32 s15, s14, 31
	s_delay_alu instid0(VALU_DEP_2)
	v_dual_mov_b32 v20, 0 :: v_dual_and_b32 v5, 24, v1
	v_dual_mov_b32 v22, 0 :: v_dual_and_b32 v1, 0xf8, v1
	s_wait_kmcnt 0x0
	s_wait_alu 0xfffe
	s_add_nc_u64 s[6:7], s[24:25], s[14:15]
	v_lshl_or_b32 v7, v11, 7, v3
	v_lshl_add_u32 v6, v11, 5, s28
	s_wait_alu 0xfffe
	v_add_co_u32 v3, s0, s6, v1
	s_wait_alu 0xf1ff
	v_add_co_ci_u32_e64 v4, null, s7, 0, s0
	s_lshl_b64 s[6:7], s[20:21], 2
	v_add3_u32 v26, v6, v5, 7
	s_wait_alu 0xfffe
	s_add_nc_u64 s[6:7], s[18:19], s[6:7]
	v_dual_mov_b32 v24, 0 :: v_dual_add_nc_u32 v27, 0xa0, v7
	s_wait_alu 0xfffe
	v_add_co_u32 v5, s0, s6, v14
	s_wait_alu 0xf1ff
	v_add_co_ci_u32_e64 v6, null, s7, 0, s0
	v_mov_b32_e32 v19, 0
	v_mov_b32_e32 v21, 0
	;; [unrolled: 1-line block ×4, first 2 shown]
	s_mov_b32 s2, -1
	s_mov_b32 s4, s13
	s_mov_b32 s3, 0xffffff
	s_add_co_i32 s29, s29, -1
	s_mov_b32 s5, 0
	s_branch .LBB299_541
.LBB299_540:                            ;   in Loop: Header=BB299_541 Depth=1
	s_wait_alu 0xfffe
	s_or_b32 exec_lo, exec_lo, s0
	v_dual_add_f32 v9, v9, v10 :: v_dual_add_f32 v10, v48, v49
	v_add_f32_e32 v14, v46, v47
	v_add_co_u32 v5, s0, v5, 16
	s_delay_alu instid0(VALU_DEP_3) | instskip(NEXT) | instid1(VALU_DEP_3)
	v_add_f32_e32 v19, v19, v9
	v_dual_add_f32 v28, v44, v45 :: v_dual_add_f32 v21, v21, v14
	;;#ASMSTART
	v_pk_mul_f16 v9, v38, v50;

	;;#ASMEND
	;;#ASMSTART
	v_pk_mul_f16 v1, v36, v1;

	;;#ASMEND
	;; [unrolled: 4-line block ×4, first 2 shown]
	;;#ASMSTART
	v_pk_add_f16 v1, v9, v1;

	;;#ASMEND
	;;#ASMSTART
	v_pk_add_f16 v1, v1, v8;

	;;#ASMEND
	;; [unrolled: 4-line block ×3, first 2 shown]
	v_dual_add_f32 v20, v20, v10 :: v_dual_and_b32 v9, 0xffff, v1
	v_dual_add_f32 v8, v37, v39 :: v_dual_add_nc_u32 v13, 4, v13
	v_lshrrev_b32_e32 v10, 16, v1
	;;#ASMSTART
	v_cvt_f32_f16 v9, v9;
	;;#ASMEND
	v_dual_add_f32 v22, v22, v28 :: v_dual_add_f32 v7, v40, v41
	v_dual_add_f32 v1, v42, v43 :: v_dual_add_nc_u32 v26, 0x80, v26
	;;#ASMSTART
	v_cvt_f32_f16 v10, v10;
	;;#ASMEND
	v_add_f32_e32 v9, v9, v10
	v_cmp_le_i32_e32 vcc_lo, s17, v13
	s_delay_alu instid0(VALU_DEP_3) | instskip(NEXT) | instid1(VALU_DEP_3)
	v_dual_add_f32 v24, v24, v1 :: v_dual_add_f32 v25, v25, v7
	v_dual_add_f32 v23, v23, v8 :: v_dual_add_f32 v18, v18, v9
	v_add_nc_u32_e32 v27, 0x200, v27
	s_wait_alu 0xf1ff
	v_add_co_ci_u32_e64 v6, null, 0, v6, s0
	s_or_b32 s5, vcc_lo, s5
	s_wait_alu 0xfffe
	s_and_not1_b32 exec_lo, exec_lo, s5
	s_cbranch_execz .LBB299_1069
.LBB299_541:                            ; =>This Inner Loop Header: Depth=1
	global_load_b32 v1, v[5:6], off
	ds_load_2addr_b64 v[28:31], v27 offset1:1
	ds_load_2addr_b64 v[40:43], v27 offset0:2 offset1:3
	s_mov_b32 s0, exec_lo
	s_wait_dscnt 0x1
	;;#ASMSTART
	v_cvt_f16_f32 v34, v28;

	;;#ASMEND
	;;#ASMSTART
	v_cvt_f16_f32 v35, v29;

	;;#ASMEND
	;; [unrolled: 4-line block ×4, first 2 shown]
	s_wait_dscnt 0x0
	;;#ASMSTART
	v_cvt_f16_f32 v40, v40;

	;;#ASMEND
	;;#ASMSTART
	v_cvt_f16_f32 v37, v41;

	;;#ASMEND
	;; [unrolled: 4-line block ×4, first 2 shown]
	v_mov_b32_e32 v29, 0
	s_wait_loadcnt 0x0
	s_wait_alu 0xfffe
	v_mad_co_i64_i32 v[7:8], null, v1, s4, v[3:4]
	global_load_b64 v[9:10], v[7:8], off
	global_load_b32 v28, v2, s[10:11]
	s_wait_loadcnt 0x1
	v_and_b32_e32 v1, 0xff, v9
	s_delay_alu instid0(VALU_DEP_1)
	v_cmpx_ne_u16_e32 0, v1
	s_cbranch_execz .LBB299_549
; %bb.542:                              ;   in Loop: Header=BB299_541 Depth=1
	v_mov_b32_e32 v29, 0x8000
	s_mov_b32 s6, exec_lo
	v_cmpx_ne_u16_e32 0x80, v1
	s_cbranch_execz .LBB299_548
; %bb.543:                              ;   in Loop: Header=BB299_541 Depth=1
	v_and_b32_e32 v30, 0x7f, v9
	v_mov_b32_e32 v29, 0x7c01
	s_mov_b32 s7, exec_lo
	s_delay_alu instid0(VALU_DEP_2)
	v_cmpx_ne_u32_e32 0x7f, v30
	s_cbranch_execz .LBB299_547
; %bb.544:                              ;   in Loop: Header=BB299_541 Depth=1
	v_and_b32_e32 v1, 7, v9
	v_lshrrev_b32_e32 v14, 3, v30
	s_mov_b32 s13, exec_lo
	v_cmpx_gt_u32_e32 8, v30
; %bb.545:                              ;   in Loop: Header=BB299_541 Depth=1
	s_delay_alu instid0(VALU_DEP_3) | instskip(NEXT) | instid1(VALU_DEP_1)
	v_clz_i32_u32_e32 v1, v1
	v_min_u32_e32 v1, 32, v1
	s_delay_alu instid0(VALU_DEP_1) | instskip(NEXT) | instid1(VALU_DEP_1)
	v_subrev_nc_u32_e32 v14, 28, v1
	v_lshlrev_b64_e32 v[29:30], v14, v[9:10]
	v_sub_nc_u32_e32 v14, 29, v1
	s_delay_alu instid0(VALU_DEP_2)
	v_and_b32_e32 v1, 7, v29
; %bb.546:                              ;   in Loop: Header=BB299_541 Depth=1
	s_or_b32 exec_lo, exec_lo, s13
	v_lshlrev_b32_e32 v29, 8, v9
	s_delay_alu instid0(VALU_DEP_3) | instskip(NEXT) | instid1(VALU_DEP_3)
	v_lshl_add_u32 v14, v14, 10, 0x2000
	v_lshlrev_b32_e32 v1, 7, v1
	s_delay_alu instid0(VALU_DEP_3) | instskip(NEXT) | instid1(VALU_DEP_3)
	v_and_b32_e32 v29, 0x8000, v29
	v_and_b32_e32 v14, 0xfc00, v14
	s_delay_alu instid0(VALU_DEP_1)
	v_or3_b32 v29, v29, v14, v1
.LBB299_547:                            ;   in Loop: Header=BB299_541 Depth=1
	s_wait_alu 0xfffe
	s_or_b32 exec_lo, exec_lo, s7
.LBB299_548:                            ;   in Loop: Header=BB299_541 Depth=1
	s_wait_alu 0xfffe
	s_or_b32 exec_lo, exec_lo, s6
.LBB299_549:                            ;   in Loop: Header=BB299_541 Depth=1
	s_delay_alu instid0(SALU_CYCLE_1) | instskip(SKIP_4) | instid1(VALU_DEP_3)
	s_or_b32 exec_lo, exec_lo, s0
	v_lshrrev_b16 v1, 8, v9
	v_mov_b32_e32 v14, 0
	v_mov_b32_e32 v30, 0
	s_mov_b32 s0, exec_lo
	v_cmpx_ne_u16_e32 0, v1
	s_cbranch_execz .LBB299_557
; %bb.550:                              ;   in Loop: Header=BB299_541 Depth=1
	v_bfrev_b32_e32 v30, 1
	s_mov_b32 s6, exec_lo
	v_cmpx_ne_u16_e32 0x80, v1
	s_cbranch_execz .LBB299_556
; %bb.551:                              ;   in Loop: Header=BB299_541 Depth=1
	v_and_b32_e32 v31, 0xffff, v1
	v_mov_b32_e32 v30, 0x7c010000
	s_mov_b32 s7, exec_lo
	s_delay_alu instid0(VALU_DEP_2) | instskip(NEXT) | instid1(VALU_DEP_1)
	v_and_b32_e32 v33, 0x7f, v31
	v_cmpx_ne_u32_e32 0x7f, v33
	s_cbranch_execz .LBB299_555
; %bb.552:                              ;   in Loop: Header=BB299_541 Depth=1
	v_and_b32_e32 v30, 7, v31
	v_lshrrev_b32_e32 v32, 3, v33
	s_mov_b32 s13, exec_lo
	v_cmpx_gt_u32_e32 8, v33
; %bb.553:                              ;   in Loop: Header=BB299_541 Depth=1
	s_delay_alu instid0(VALU_DEP_3) | instskip(NEXT) | instid1(VALU_DEP_1)
	v_clz_i32_u32_e32 v30, v30
	v_min_u32_e32 v30, 32, v30
	s_delay_alu instid0(VALU_DEP_1) | instskip(NEXT) | instid1(VALU_DEP_1)
	v_subrev_nc_u32_e32 v32, 28, v30
	v_lshlrev_b64_e32 v[42:43], v32, v[1:2]
	v_sub_nc_u32_e32 v32, 29, v30
	s_delay_alu instid0(VALU_DEP_2)
	v_and_b32_e32 v30, 7, v42
; %bb.554:                              ;   in Loop: Header=BB299_541 Depth=1
	s_or_b32 exec_lo, exec_lo, s13
	v_lshlrev_b32_e32 v1, 8, v31
	s_delay_alu instid0(VALU_DEP_3) | instskip(NEXT) | instid1(VALU_DEP_3)
	v_lshl_add_u32 v31, v32, 10, 0x2000
	v_lshlrev_b32_e32 v30, 23, v30
	s_delay_alu instid0(VALU_DEP_2) | instskip(NEXT) | instid1(VALU_DEP_1)
	v_and_or_b32 v1, 0x8000, v1, v31
	v_lshl_or_b32 v30, v1, 16, v30
.LBB299_555:                            ;   in Loop: Header=BB299_541 Depth=1
	s_wait_alu 0xfffe
	s_or_b32 exec_lo, exec_lo, s7
.LBB299_556:                            ;   in Loop: Header=BB299_541 Depth=1
	s_wait_alu 0xfffe
	s_or_b32 exec_lo, exec_lo, s6
.LBB299_557:                            ;   in Loop: Header=BB299_541 Depth=1
	s_wait_alu 0xfffe
	s_or_b32 exec_lo, exec_lo, s0
	v_lshrrev_b32_e32 v1, 16, v9
	s_mov_b32 s0, exec_lo
	s_delay_alu instid0(VALU_DEP_1) | instskip(NEXT) | instid1(VALU_DEP_1)
	v_and_b32_e32 v31, 0xff, v1
	v_cmpx_ne_u16_e32 0, v31
	s_cbranch_execz .LBB299_565
; %bb.558:                              ;   in Loop: Header=BB299_541 Depth=1
	v_mov_b32_e32 v14, 0x8000
	s_mov_b32 s6, exec_lo
	v_cmpx_ne_u16_e32 0x80, v31
	s_cbranch_execz .LBB299_564
; %bb.559:                              ;   in Loop: Header=BB299_541 Depth=1
	v_bfe_u32 v32, v9, 16, 7
	v_mov_b32_e32 v14, 0x7c01
	s_mov_b32 s7, exec_lo
	s_delay_alu instid0(VALU_DEP_2)
	v_cmpx_ne_u32_e32 0x7f, v32
	s_cbranch_execz .LBB299_563
; %bb.560:                              ;   in Loop: Header=BB299_541 Depth=1
	v_and_b32_e32 v14, 7, v1
	v_lshrrev_b32_e32 v31, 3, v32
	s_mov_b32 s13, exec_lo
	v_cmpx_gt_u32_e32 8, v32
; %bb.561:                              ;   in Loop: Header=BB299_541 Depth=1
	s_delay_alu instid0(VALU_DEP_3) | instskip(NEXT) | instid1(VALU_DEP_1)
	v_clz_i32_u32_e32 v14, v14
	v_min_u32_e32 v14, 32, v14
	s_delay_alu instid0(VALU_DEP_1) | instskip(NEXT) | instid1(VALU_DEP_1)
	v_subrev_nc_u32_e32 v31, 28, v14
	v_lshlrev_b64_e32 v[32:33], v31, v[1:2]
	v_sub_nc_u32_e32 v31, 29, v14
	s_delay_alu instid0(VALU_DEP_2)
	v_and_b32_e32 v14, 7, v32
; %bb.562:                              ;   in Loop: Header=BB299_541 Depth=1
	s_or_b32 exec_lo, exec_lo, s13
	v_lshlrev_b32_e32 v1, 8, v1
	s_delay_alu instid0(VALU_DEP_3) | instskip(NEXT) | instid1(VALU_DEP_3)
	v_lshl_add_u32 v31, v31, 10, 0x2000
	v_lshlrev_b32_e32 v14, 7, v14
	s_delay_alu instid0(VALU_DEP_3) | instskip(NEXT) | instid1(VALU_DEP_3)
	v_and_b32_e32 v1, 0x8000, v1
	v_and_b32_e32 v31, 0xfc00, v31
	s_delay_alu instid0(VALU_DEP_1)
	v_or3_b32 v14, v1, v31, v14
.LBB299_563:                            ;   in Loop: Header=BB299_541 Depth=1
	s_wait_alu 0xfffe
	s_or_b32 exec_lo, exec_lo, s7
.LBB299_564:                            ;   in Loop: Header=BB299_541 Depth=1
	s_wait_alu 0xfffe
	s_or_b32 exec_lo, exec_lo, s6
.LBB299_565:                            ;   in Loop: Header=BB299_541 Depth=1
	s_wait_alu 0xfffe
	s_or_b32 exec_lo, exec_lo, s0
	v_dual_mov_b32 v31, 0 :: v_dual_mov_b32 v32, 0
	s_mov_b32 s0, exec_lo
	v_cmpx_lt_u32_e32 0xffffff, v9
	s_cbranch_execz .LBB299_573
; %bb.566:                              ;   in Loop: Header=BB299_541 Depth=1
	v_lshrrev_b32_e32 v1, 24, v9
	v_bfrev_b32_e32 v32, 1
	s_mov_b32 s6, exec_lo
	s_delay_alu instid0(VALU_DEP_2)
	v_cmpx_ne_u32_e32 0x80, v1
	s_cbranch_execz .LBB299_572
; %bb.567:                              ;   in Loop: Header=BB299_541 Depth=1
	v_and_b32_e32 v42, 0x7f, v1
	v_mov_b32_e32 v32, 0x7c010000
	s_mov_b32 s7, exec_lo
	s_delay_alu instid0(VALU_DEP_2)
	v_cmpx_ne_u32_e32 0x7f, v42
	s_cbranch_execz .LBB299_571
; %bb.568:                              ;   in Loop: Header=BB299_541 Depth=1
	v_and_b32_e32 v32, 7, v1
	v_lshrrev_b32_e32 v33, 3, v42
	s_mov_b32 s13, exec_lo
	v_cmpx_gt_u32_e32 8, v42
; %bb.569:                              ;   in Loop: Header=BB299_541 Depth=1
	s_delay_alu instid0(VALU_DEP_3) | instskip(NEXT) | instid1(VALU_DEP_1)
	v_clz_i32_u32_e32 v32, v32
	v_min_u32_e32 v42, 32, v32
	s_delay_alu instid0(VALU_DEP_1) | instskip(NEXT) | instid1(VALU_DEP_1)
	v_subrev_nc_u32_e32 v32, 28, v42
	v_lshlrev_b64_e32 v[32:33], v32, v[1:2]
	v_sub_nc_u32_e32 v33, 29, v42
	s_delay_alu instid0(VALU_DEP_2)
	v_and_b32_e32 v32, 7, v32
; %bb.570:                              ;   in Loop: Header=BB299_541 Depth=1
	s_or_b32 exec_lo, exec_lo, s13
	v_lshlrev_b32_e32 v1, 8, v1
	s_delay_alu instid0(VALU_DEP_3) | instskip(NEXT) | instid1(VALU_DEP_3)
	v_lshl_add_u32 v33, v33, 10, 0x2000
	v_lshlrev_b32_e32 v32, 23, v32
	s_delay_alu instid0(VALU_DEP_2) | instskip(NEXT) | instid1(VALU_DEP_1)
	v_and_or_b32 v1, 0x8000, v1, v33
	v_lshl_or_b32 v32, v1, 16, v32
.LBB299_571:                            ;   in Loop: Header=BB299_541 Depth=1
	s_wait_alu 0xfffe
	s_or_b32 exec_lo, exec_lo, s7
.LBB299_572:                            ;   in Loop: Header=BB299_541 Depth=1
	s_wait_alu 0xfffe
	s_or_b32 exec_lo, exec_lo, s6
.LBB299_573:                            ;   in Loop: Header=BB299_541 Depth=1
	s_wait_alu 0xfffe
	s_or_b32 exec_lo, exec_lo, s0
	v_and_b32_e32 v33, 0xff, v10
	v_mov_b32_e32 v1, v10
	s_mov_b32 s0, exec_lo
	s_delay_alu instid0(VALU_DEP_2)
	v_cmpx_ne_u16_e32 0, v33
	s_cbranch_execz .LBB299_581
; %bb.574:                              ;   in Loop: Header=BB299_541 Depth=1
	v_mov_b32_e32 v31, 0x8000
	s_mov_b32 s6, exec_lo
	v_cmpx_ne_u16_e32 0x80, v33
	s_cbranch_execz .LBB299_580
; %bb.575:                              ;   in Loop: Header=BB299_541 Depth=1
	v_and_b32_e32 v42, 0x7f, v10
	v_mov_b32_e32 v31, 0x7c01
	s_mov_b32 s7, exec_lo
	s_delay_alu instid0(VALU_DEP_2)
	v_cmpx_ne_u32_e32 0x7f, v42
	s_cbranch_execz .LBB299_579
; %bb.576:                              ;   in Loop: Header=BB299_541 Depth=1
	v_and_b32_e32 v31, 7, v10
	v_lshrrev_b32_e32 v33, 3, v42
	s_mov_b32 s13, exec_lo
	v_cmpx_gt_u32_e32 8, v42
; %bb.577:                              ;   in Loop: Header=BB299_541 Depth=1
	s_delay_alu instid0(VALU_DEP_3) | instskip(NEXT) | instid1(VALU_DEP_1)
	v_clz_i32_u32_e32 v31, v31
	v_min_u32_e32 v31, 32, v31
	s_delay_alu instid0(VALU_DEP_1) | instskip(NEXT) | instid1(VALU_DEP_1)
	v_subrev_nc_u32_e32 v33, 28, v31
	v_lshlrev_b64_e32 v[42:43], v33, v[1:2]
	v_sub_nc_u32_e32 v33, 29, v31
	s_delay_alu instid0(VALU_DEP_2)
	v_and_b32_e32 v31, 7, v42
; %bb.578:                              ;   in Loop: Header=BB299_541 Depth=1
	s_or_b32 exec_lo, exec_lo, s13
	v_lshlrev_b32_e32 v42, 8, v10
	s_delay_alu instid0(VALU_DEP_3) | instskip(NEXT) | instid1(VALU_DEP_3)
	v_lshl_add_u32 v33, v33, 10, 0x2000
	v_lshlrev_b32_e32 v31, 7, v31
	s_delay_alu instid0(VALU_DEP_3) | instskip(NEXT) | instid1(VALU_DEP_3)
	v_and_b32_e32 v42, 0x8000, v42
	v_and_b32_e32 v33, 0xfc00, v33
	s_delay_alu instid0(VALU_DEP_1)
	v_or3_b32 v31, v42, v33, v31
.LBB299_579:                            ;   in Loop: Header=BB299_541 Depth=1
	s_wait_alu 0xfffe
	s_or_b32 exec_lo, exec_lo, s7
.LBB299_580:                            ;   in Loop: Header=BB299_541 Depth=1
	s_wait_alu 0xfffe
	s_or_b32 exec_lo, exec_lo, s6
.LBB299_581:                            ;   in Loop: Header=BB299_541 Depth=1
	s_wait_alu 0xfffe
	s_or_b32 exec_lo, exec_lo, s0
	v_lshrrev_b16 v1, 8, v1
	v_dual_mov_b32 v42, 0 :: v_dual_mov_b32 v33, 0
	s_mov_b32 s0, exec_lo
	s_delay_alu instid0(VALU_DEP_2)
	v_cmpx_ne_u16_e32 0, v1
	s_cbranch_execz .LBB299_589
; %bb.582:                              ;   in Loop: Header=BB299_541 Depth=1
	v_bfrev_b32_e32 v33, 1
	s_mov_b32 s6, exec_lo
	v_cmpx_ne_u16_e32 0x80, v1
	s_cbranch_execz .LBB299_588
; %bb.583:                              ;   in Loop: Header=BB299_541 Depth=1
	v_and_b32_e32 v43, 0xffff, v1
	v_mov_b32_e32 v33, 0x7c010000
	s_mov_b32 s7, exec_lo
	s_delay_alu instid0(VALU_DEP_2) | instskip(NEXT) | instid1(VALU_DEP_1)
	v_and_b32_e32 v45, 0x7f, v43
	v_cmpx_ne_u32_e32 0x7f, v45
	s_cbranch_execz .LBB299_587
; %bb.584:                              ;   in Loop: Header=BB299_541 Depth=1
	v_and_b32_e32 v33, 7, v43
	v_lshrrev_b32_e32 v44, 3, v45
	s_mov_b32 s13, exec_lo
	v_cmpx_gt_u32_e32 8, v45
; %bb.585:                              ;   in Loop: Header=BB299_541 Depth=1
	s_delay_alu instid0(VALU_DEP_3) | instskip(NEXT) | instid1(VALU_DEP_1)
	v_clz_i32_u32_e32 v33, v33
	v_min_u32_e32 v33, 32, v33
	s_delay_alu instid0(VALU_DEP_1) | instskip(NEXT) | instid1(VALU_DEP_1)
	v_subrev_nc_u32_e32 v44, 28, v33
	v_lshlrev_b64_e32 v[45:46], v44, v[1:2]
	v_sub_nc_u32_e32 v44, 29, v33
	s_delay_alu instid0(VALU_DEP_2)
	v_and_b32_e32 v33, 7, v45
; %bb.586:                              ;   in Loop: Header=BB299_541 Depth=1
	s_or_b32 exec_lo, exec_lo, s13
	v_lshlrev_b32_e32 v1, 8, v43
	s_delay_alu instid0(VALU_DEP_3) | instskip(NEXT) | instid1(VALU_DEP_3)
	v_lshl_add_u32 v43, v44, 10, 0x2000
	v_lshlrev_b32_e32 v33, 23, v33
	s_delay_alu instid0(VALU_DEP_2) | instskip(NEXT) | instid1(VALU_DEP_1)
	v_and_or_b32 v1, 0x8000, v1, v43
	v_lshl_or_b32 v33, v1, 16, v33
.LBB299_587:                            ;   in Loop: Header=BB299_541 Depth=1
	s_wait_alu 0xfffe
	s_or_b32 exec_lo, exec_lo, s7
.LBB299_588:                            ;   in Loop: Header=BB299_541 Depth=1
	s_wait_alu 0xfffe
	s_or_b32 exec_lo, exec_lo, s6
.LBB299_589:                            ;   in Loop: Header=BB299_541 Depth=1
	s_wait_alu 0xfffe
	s_or_b32 exec_lo, exec_lo, s0
	v_lshrrev_b32_e32 v1, 16, v10
	s_mov_b32 s0, exec_lo
	s_delay_alu instid0(VALU_DEP_1) | instskip(NEXT) | instid1(VALU_DEP_1)
	v_and_b32_e32 v43, 0xff, v1
	v_cmpx_ne_u16_e32 0, v43
	s_cbranch_execz .LBB299_597
; %bb.590:                              ;   in Loop: Header=BB299_541 Depth=1
	v_mov_b32_e32 v42, 0x8000
	s_mov_b32 s6, exec_lo
	v_cmpx_ne_u16_e32 0x80, v43
	s_cbranch_execz .LBB299_596
; %bb.591:                              ;   in Loop: Header=BB299_541 Depth=1
	v_bfe_u32 v44, v10, 16, 7
	v_mov_b32_e32 v42, 0x7c01
	s_mov_b32 s7, exec_lo
	s_delay_alu instid0(VALU_DEP_2)
	v_cmpx_ne_u32_e32 0x7f, v44
	s_cbranch_execz .LBB299_595
; %bb.592:                              ;   in Loop: Header=BB299_541 Depth=1
	v_and_b32_e32 v42, 7, v1
	v_lshrrev_b32_e32 v43, 3, v44
	s_mov_b32 s13, exec_lo
	v_cmpx_gt_u32_e32 8, v44
; %bb.593:                              ;   in Loop: Header=BB299_541 Depth=1
	s_delay_alu instid0(VALU_DEP_3) | instskip(NEXT) | instid1(VALU_DEP_1)
	v_clz_i32_u32_e32 v42, v42
	v_min_u32_e32 v44, 32, v42
	s_delay_alu instid0(VALU_DEP_1) | instskip(NEXT) | instid1(VALU_DEP_1)
	v_subrev_nc_u32_e32 v42, 28, v44
	v_lshlrev_b64_e32 v[42:43], v42, v[1:2]
	v_sub_nc_u32_e32 v43, 29, v44
	s_delay_alu instid0(VALU_DEP_2)
	v_and_b32_e32 v42, 7, v42
; %bb.594:                              ;   in Loop: Header=BB299_541 Depth=1
	s_or_b32 exec_lo, exec_lo, s13
	v_lshlrev_b32_e32 v1, 8, v1
	s_delay_alu instid0(VALU_DEP_3) | instskip(NEXT) | instid1(VALU_DEP_3)
	v_lshl_add_u32 v43, v43, 10, 0x2000
	v_lshlrev_b32_e32 v42, 7, v42
	s_delay_alu instid0(VALU_DEP_3) | instskip(NEXT) | instid1(VALU_DEP_3)
	v_and_b32_e32 v1, 0x8000, v1
	v_and_b32_e32 v43, 0xfc00, v43
	s_delay_alu instid0(VALU_DEP_1)
	v_or3_b32 v42, v1, v43, v42
.LBB299_595:                            ;   in Loop: Header=BB299_541 Depth=1
	s_wait_alu 0xfffe
	s_or_b32 exec_lo, exec_lo, s7
.LBB299_596:                            ;   in Loop: Header=BB299_541 Depth=1
	s_wait_alu 0xfffe
	s_or_b32 exec_lo, exec_lo, s6
.LBB299_597:                            ;   in Loop: Header=BB299_541 Depth=1
	s_wait_alu 0xfffe
	s_or_b32 exec_lo, exec_lo, s0
	v_cmp_lt_u64_e32 vcc_lo, s[2:3], v[9:10]
	v_mov_b32_e32 v9, 0
	s_and_saveexec_b32 s0, vcc_lo
	s_cbranch_execz .LBB299_605
; %bb.598:                              ;   in Loop: Header=BB299_541 Depth=1
	v_lshrrev_b32_e32 v1, 24, v10
	v_bfrev_b32_e32 v9, 1
	s_mov_b32 s6, exec_lo
	s_delay_alu instid0(VALU_DEP_2)
	v_cmpx_ne_u32_e32 0x80, v1
	s_cbranch_execz .LBB299_604
; %bb.599:                              ;   in Loop: Header=BB299_541 Depth=1
	v_and_b32_e32 v43, 0x7f, v1
	v_mov_b32_e32 v9, 0x7c010000
	s_mov_b32 s7, exec_lo
	s_delay_alu instid0(VALU_DEP_2)
	v_cmpx_ne_u32_e32 0x7f, v43
	s_cbranch_execz .LBB299_603
; %bb.600:                              ;   in Loop: Header=BB299_541 Depth=1
	v_and_b32_e32 v9, 7, v1
	v_lshrrev_b32_e32 v10, 3, v43
	s_mov_b32 s13, exec_lo
	v_cmpx_gt_u32_e32 8, v43
; %bb.601:                              ;   in Loop: Header=BB299_541 Depth=1
	s_delay_alu instid0(VALU_DEP_3) | instskip(NEXT) | instid1(VALU_DEP_1)
	v_clz_i32_u32_e32 v9, v9
	v_min_u32_e32 v43, 32, v9
	s_delay_alu instid0(VALU_DEP_1) | instskip(NEXT) | instid1(VALU_DEP_1)
	v_subrev_nc_u32_e32 v9, 28, v43
	v_lshlrev_b64_e32 v[9:10], v9, v[1:2]
	v_sub_nc_u32_e32 v10, 29, v43
	s_delay_alu instid0(VALU_DEP_2)
	v_and_b32_e32 v9, 7, v9
; %bb.602:                              ;   in Loop: Header=BB299_541 Depth=1
	s_or_b32 exec_lo, exec_lo, s13
	v_lshlrev_b32_e32 v1, 8, v1
	s_delay_alu instid0(VALU_DEP_3) | instskip(NEXT) | instid1(VALU_DEP_3)
	v_lshl_add_u32 v10, v10, 10, 0x2000
	v_lshlrev_b32_e32 v9, 23, v9
	s_delay_alu instid0(VALU_DEP_2) | instskip(NEXT) | instid1(VALU_DEP_1)
	v_and_or_b32 v1, 0x8000, v1, v10
	v_lshl_or_b32 v9, v1, 16, v9
.LBB299_603:                            ;   in Loop: Header=BB299_541 Depth=1
	s_wait_alu 0xfffe
	s_or_b32 exec_lo, exec_lo, s7
.LBB299_604:                            ;   in Loop: Header=BB299_541 Depth=1
	s_wait_alu 0xfffe
	s_or_b32 exec_lo, exec_lo, s6
.LBB299_605:                            ;   in Loop: Header=BB299_541 Depth=1
	s_wait_alu 0xfffe
	s_or_b32 exec_lo, exec_lo, s0
	v_or_b32_e32 v1, v32, v14
	s_wait_loadcnt 0x0
	v_fma_mixlo_f16 v10, v28, v32, 0 op_sel:[0,1,0] op_sel_hi:[0,1,0]
	v_or_b32_e32 v29, v30, v29
	v_fma_mixlo_f16 v30, v28, v30, 0 op_sel:[0,1,0] op_sel_hi:[0,1,0]
	v_or_b32_e32 v31, v33, v31
	v_fma_mixlo_f16 v1, v28, v1, 0 op_sel_hi:[0,1,0]
	v_or_b32_e32 v32, v9, v42
	v_fma_mixlo_f16 v9, v28, v9, 0 op_sel:[0,1,0] op_sel_hi:[0,1,0]
	v_lshlrev_b32_e32 v48, 16, v30
	v_fma_mixlo_f16 v30, v28, v31, 0 op_sel_hi:[0,1,0]
	v_and_b32_e32 v45, 0xffff, v1
	v_fma_mixlo_f16 v1, v28, v29, 0 op_sel_hi:[0,1,0]
	v_fma_mixlo_f16 v29, v28, v33, 0 op_sel:[0,1,0] op_sel_hi:[0,1,0]
	v_fma_mixlo_f16 v28, v28, v32, 0 op_sel_hi:[0,1,0]
	v_lshlrev_b32_e32 v10, 16, v10
	v_and_b32_e32 v49, 0xffff, v30
	v_and_b32_e32 v50, 0xffff, v1
	v_lshlrev_b32_e32 v46, 16, v29
	v_lshlrev_b32_e32 v43, 16, v9
	v_and_b32_e32 v47, 0xffff, v28
	v_add_nc_u32_e32 v14, -7, v26
	v_cmp_eq_u32_e32 vcc_lo, s29, v13
	v_or_b32_e32 v1, v10, v45
	v_or_b32_e32 v9, v48, v50
	;; [unrolled: 1-line block ×4, first 2 shown]
	v_add_nc_u32_e32 v33, -6, v26
	v_add_nc_u32_e32 v32, -5, v26
	;; [unrolled: 1-line block ×6, first 2 shown]
	s_and_saveexec_b32 s6, vcc_lo
	s_cbranch_execz .LBB299_607
; %bb.606:                              ;   in Loop: Header=BB299_541 Depth=1
	v_cmp_gt_i32_e64 s0, s27, v14
	s_wait_alu 0xf1ff
	s_delay_alu instid0(VALU_DEP_1) | instskip(SKIP_2) | instid1(VALU_DEP_1)
	v_cndmask_b32_e64 v1, 0, v50, s0
	v_cmp_gt_i32_e64 s0, s27, v33
	s_wait_alu 0xf1ff
	v_cndmask_b32_e64 v9, 0, v48, s0
	v_cmp_gt_i32_e64 s0, s27, v32
	s_delay_alu instid0(VALU_DEP_2) | instskip(SKIP_1) | instid1(VALU_DEP_2)
	v_or_b32_e32 v9, v9, v1
	s_wait_alu 0xf1ff
	v_cndmask_b32_e64 v42, 0, v45, s0
	v_cmp_gt_i32_e64 s0, s27, v31
	s_wait_alu 0xf1ff
	s_delay_alu instid0(VALU_DEP_1) | instskip(SKIP_1) | instid1(VALU_DEP_2)
	v_cndmask_b32_e64 v10, 0, v10, s0
	v_cmp_gt_i32_e64 s0, s27, v30
	v_or_b32_e32 v1, v10, v42
	s_wait_alu 0xf1ff
	s_delay_alu instid0(VALU_DEP_2) | instskip(SKIP_2) | instid1(VALU_DEP_1)
	v_cndmask_b32_e64 v44, 0, v49, s0
	v_cmp_gt_i32_e64 s0, s27, v29
	s_wait_alu 0xf1ff
	v_cndmask_b32_e64 v45, 0, v46, s0
	v_cmp_gt_i32_e64 s0, s27, v28
	s_delay_alu instid0(VALU_DEP_2) | instskip(SKIP_1) | instid1(VALU_DEP_2)
	v_or_b32_e32 v42, v45, v44
	s_wait_alu 0xf1ff
	v_cndmask_b32_e64 v46, 0, v47, s0
	v_cmp_gt_i32_e64 s0, s27, v26
	s_wait_alu 0xf1ff
	s_delay_alu instid0(VALU_DEP_1) | instskip(NEXT) | instid1(VALU_DEP_1)
	v_cndmask_b32_e64 v43, 0, v43, s0
	v_or_b32_e32 v44, v43, v46
.LBB299_607:                            ;   in Loop: Header=BB299_541 Depth=1
	s_wait_alu 0xfffe
	s_or_b32 exec_lo, exec_lo, s6
	v_and_b32_e32 v10, 0xffff, v34
	v_and_b32_e32 v34, 0xffff, v38
	;; [unrolled: 1-line block ×4, first 2 shown]
	s_mov_b32 s6, exec_lo
	s_delay_alu instid0(VALU_DEP_3) | instskip(NEXT) | instid1(VALU_DEP_3)
	v_lshl_or_b32 v36, v36, 16, v34
	v_lshl_or_b32 v34, v39, 16, v41
	v_mov_b32_e32 v41, 0
	v_lshl_or_b32 v38, v35, 16, v10
	;;#ASMSTART
	v_pk_mul_f16 v9, v38, v9;

	;;#ASMEND
	;;#ASMSTART
	v_pk_mul_f16 v1, v36, v1;

	;;#ASMEND
	v_lshl_or_b32 v35, v37, 16, v40
	;;#ASMSTART
	v_pk_mul_f16 v10, v35, v42;

	;;#ASMEND
	;;#ASMSTART
	v_pk_mul_f16 v37, v34, v44;

	;;#ASMEND
	;;#ASMSTART
	v_pk_add_f16 v1, v9, v1;

	;;#ASMEND
	;;#ASMSTART
	v_pk_add_f16 v1, v1, v10;
	;; [unrolled: 4-line block ×3, first 2 shown]

	;;#ASMEND
	v_and_b32_e32 v9, 0xffff, v1
	v_lshrrev_b32_e32 v1, 16, v1
	;;#ASMSTART
	v_cvt_f32_f16 v37, v9;
	;;#ASMEND
	;;#ASMSTART
	v_cvt_f32_f16 v39, v1;
	;;#ASMEND
	global_load_b64 v[9:10], v[7:8], off offset:256
	global_load_b32 v40, v41, s[10:11]
	s_wait_loadcnt 0x1
	v_dual_mov_b32 v42, 0 :: v_dual_and_b32 v1, 0xff, v9
	s_delay_alu instid0(VALU_DEP_1)
	v_cmpx_ne_u16_e32 0, v1
	s_cbranch_execz .LBB299_615
; %bb.608:                              ;   in Loop: Header=BB299_541 Depth=1
	v_mov_b32_e32 v42, 0x8000
	s_mov_b32 s7, exec_lo
	v_cmpx_ne_u16_e32 0x80, v1
	s_cbranch_execz .LBB299_614
; %bb.609:                              ;   in Loop: Header=BB299_541 Depth=1
	v_and_b32_e32 v43, 0x7f, v9
	v_mov_b32_e32 v42, 0x7c01
	s_mov_b32 s13, exec_lo
	s_delay_alu instid0(VALU_DEP_2)
	v_cmpx_ne_u32_e32 0x7f, v43
	s_cbranch_execz .LBB299_613
; %bb.610:                              ;   in Loop: Header=BB299_541 Depth=1
	v_and_b32_e32 v1, 7, v9
	v_lshrrev_b32_e32 v42, 3, v43
	s_mov_b32 s14, exec_lo
	v_cmpx_gt_u32_e32 8, v43
; %bb.611:                              ;   in Loop: Header=BB299_541 Depth=1
	s_delay_alu instid0(VALU_DEP_3) | instskip(NEXT) | instid1(VALU_DEP_1)
	v_clz_i32_u32_e32 v1, v1
	v_min_u32_e32 v1, 32, v1
	s_delay_alu instid0(VALU_DEP_1) | instskip(NEXT) | instid1(VALU_DEP_1)
	v_subrev_nc_u32_e32 v42, 28, v1
	v_lshlrev_b64_e32 v[43:44], v42, v[9:10]
	v_sub_nc_u32_e32 v42, 29, v1
	s_delay_alu instid0(VALU_DEP_2)
	v_and_b32_e32 v1, 7, v43
; %bb.612:                              ;   in Loop: Header=BB299_541 Depth=1
	s_wait_alu 0xfffe
	s_or_b32 exec_lo, exec_lo, s14
	v_lshlrev_b32_e32 v43, 8, v9
	v_lshl_add_u32 v42, v42, 10, 0x2000
	v_lshlrev_b32_e32 v1, 7, v1
	s_delay_alu instid0(VALU_DEP_3) | instskip(NEXT) | instid1(VALU_DEP_3)
	v_and_b32_e32 v43, 0x8000, v43
	v_and_b32_e32 v42, 0xfc00, v42
	s_delay_alu instid0(VALU_DEP_1)
	v_or3_b32 v42, v43, v42, v1
.LBB299_613:                            ;   in Loop: Header=BB299_541 Depth=1
	s_or_b32 exec_lo, exec_lo, s13
.LBB299_614:                            ;   in Loop: Header=BB299_541 Depth=1
	s_wait_alu 0xfffe
	s_or_b32 exec_lo, exec_lo, s7
.LBB299_615:                            ;   in Loop: Header=BB299_541 Depth=1
	s_wait_alu 0xfffe
	s_or_b32 exec_lo, exec_lo, s6
	v_lshrrev_b16 v1, 8, v9
	s_mov_b32 s6, exec_lo
	s_delay_alu instid0(VALU_DEP_1)
	v_cmpx_ne_u16_e32 0, v1
	s_cbranch_execz .LBB299_623
; %bb.616:                              ;   in Loop: Header=BB299_541 Depth=1
	v_bfrev_b32_e32 v41, 1
	s_mov_b32 s7, exec_lo
	v_cmpx_ne_u16_e32 0x80, v1
	s_cbranch_execz .LBB299_622
; %bb.617:                              ;   in Loop: Header=BB299_541 Depth=1
	v_and_b32_e32 v43, 0xffff, v1
	v_mov_b32_e32 v41, 0x7c010000
	s_mov_b32 s13, exec_lo
	s_delay_alu instid0(VALU_DEP_2) | instskip(NEXT) | instid1(VALU_DEP_1)
	v_and_b32_e32 v45, 0x7f, v43
	v_cmpx_ne_u32_e32 0x7f, v45
	s_cbranch_execz .LBB299_621
; %bb.618:                              ;   in Loop: Header=BB299_541 Depth=1
	v_and_b32_e32 v41, 7, v43
	v_lshrrev_b32_e32 v44, 3, v45
	s_mov_b32 s14, exec_lo
	v_cmpx_gt_u32_e32 8, v45
; %bb.619:                              ;   in Loop: Header=BB299_541 Depth=1
	s_delay_alu instid0(VALU_DEP_3) | instskip(NEXT) | instid1(VALU_DEP_1)
	v_clz_i32_u32_e32 v41, v41
	v_min_u32_e32 v41, 32, v41
	s_delay_alu instid0(VALU_DEP_1) | instskip(NEXT) | instid1(VALU_DEP_1)
	v_subrev_nc_u32_e32 v44, 28, v41
	v_lshlrev_b64_e32 v[45:46], v44, v[1:2]
	v_sub_nc_u32_e32 v44, 29, v41
	s_delay_alu instid0(VALU_DEP_2)
	v_and_b32_e32 v41, 7, v45
; %bb.620:                              ;   in Loop: Header=BB299_541 Depth=1
	s_wait_alu 0xfffe
	s_or_b32 exec_lo, exec_lo, s14
	v_lshlrev_b32_e32 v1, 8, v43
	v_lshl_add_u32 v43, v44, 10, 0x2000
	v_lshlrev_b32_e32 v41, 23, v41
	s_delay_alu instid0(VALU_DEP_2) | instskip(NEXT) | instid1(VALU_DEP_1)
	v_and_or_b32 v1, 0x8000, v1, v43
	v_lshl_or_b32 v41, v1, 16, v41
.LBB299_621:                            ;   in Loop: Header=BB299_541 Depth=1
	s_or_b32 exec_lo, exec_lo, s13
.LBB299_622:                            ;   in Loop: Header=BB299_541 Depth=1
	s_wait_alu 0xfffe
	s_or_b32 exec_lo, exec_lo, s7
.LBB299_623:                            ;   in Loop: Header=BB299_541 Depth=1
	s_wait_alu 0xfffe
	s_or_b32 exec_lo, exec_lo, s6
	v_lshrrev_b32_e32 v1, 16, v9
	v_mov_b32_e32 v43, 0
	s_mov_b32 s6, exec_lo
	s_delay_alu instid0(VALU_DEP_2) | instskip(NEXT) | instid1(VALU_DEP_1)
	v_dual_mov_b32 v44, 0 :: v_dual_and_b32 v45, 0xff, v1
	v_cmpx_ne_u16_e32 0, v45
	s_cbranch_execz .LBB299_631
; %bb.624:                              ;   in Loop: Header=BB299_541 Depth=1
	v_mov_b32_e32 v44, 0x8000
	s_mov_b32 s7, exec_lo
	v_cmpx_ne_u16_e32 0x80, v45
	s_cbranch_execz .LBB299_630
; %bb.625:                              ;   in Loop: Header=BB299_541 Depth=1
	v_bfe_u32 v46, v9, 16, 7
	v_mov_b32_e32 v44, 0x7c01
	s_mov_b32 s13, exec_lo
	s_delay_alu instid0(VALU_DEP_2)
	v_cmpx_ne_u32_e32 0x7f, v46
	s_cbranch_execz .LBB299_629
; %bb.626:                              ;   in Loop: Header=BB299_541 Depth=1
	v_and_b32_e32 v44, 7, v1
	v_lshrrev_b32_e32 v45, 3, v46
	s_mov_b32 s14, exec_lo
	v_cmpx_gt_u32_e32 8, v46
; %bb.627:                              ;   in Loop: Header=BB299_541 Depth=1
	s_delay_alu instid0(VALU_DEP_3) | instskip(NEXT) | instid1(VALU_DEP_1)
	v_clz_i32_u32_e32 v44, v44
	v_min_u32_e32 v46, 32, v44
	s_delay_alu instid0(VALU_DEP_1) | instskip(NEXT) | instid1(VALU_DEP_1)
	v_subrev_nc_u32_e32 v44, 28, v46
	v_lshlrev_b64_e32 v[44:45], v44, v[1:2]
	v_sub_nc_u32_e32 v45, 29, v46
	s_delay_alu instid0(VALU_DEP_2)
	v_and_b32_e32 v44, 7, v44
; %bb.628:                              ;   in Loop: Header=BB299_541 Depth=1
	s_wait_alu 0xfffe
	s_or_b32 exec_lo, exec_lo, s14
	v_lshlrev_b32_e32 v1, 8, v1
	v_lshl_add_u32 v45, v45, 10, 0x2000
	v_lshlrev_b32_e32 v44, 7, v44
	s_delay_alu instid0(VALU_DEP_3) | instskip(NEXT) | instid1(VALU_DEP_3)
	v_and_b32_e32 v1, 0x8000, v1
	v_and_b32_e32 v45, 0xfc00, v45
	s_delay_alu instid0(VALU_DEP_1)
	v_or3_b32 v44, v1, v45, v44
.LBB299_629:                            ;   in Loop: Header=BB299_541 Depth=1
	s_or_b32 exec_lo, exec_lo, s13
.LBB299_630:                            ;   in Loop: Header=BB299_541 Depth=1
	s_wait_alu 0xfffe
	s_or_b32 exec_lo, exec_lo, s7
.LBB299_631:                            ;   in Loop: Header=BB299_541 Depth=1
	s_wait_alu 0xfffe
	s_or_b32 exec_lo, exec_lo, s6
	s_delay_alu instid0(SALU_CYCLE_1)
	s_mov_b32 s6, exec_lo
	v_cmpx_lt_u32_e32 0xffffff, v9
	s_cbranch_execz .LBB299_639
; %bb.632:                              ;   in Loop: Header=BB299_541 Depth=1
	v_lshrrev_b32_e32 v1, 24, v9
	v_bfrev_b32_e32 v43, 1
	s_mov_b32 s7, exec_lo
	s_delay_alu instid0(VALU_DEP_2)
	v_cmpx_ne_u32_e32 0x80, v1
	s_cbranch_execz .LBB299_638
; %bb.633:                              ;   in Loop: Header=BB299_541 Depth=1
	v_and_b32_e32 v46, 0x7f, v1
	v_mov_b32_e32 v43, 0x7c010000
	s_mov_b32 s13, exec_lo
	s_delay_alu instid0(VALU_DEP_2)
	v_cmpx_ne_u32_e32 0x7f, v46
	s_cbranch_execz .LBB299_637
; %bb.634:                              ;   in Loop: Header=BB299_541 Depth=1
	v_and_b32_e32 v43, 7, v1
	v_lshrrev_b32_e32 v45, 3, v46
	s_mov_b32 s14, exec_lo
	v_cmpx_gt_u32_e32 8, v46
; %bb.635:                              ;   in Loop: Header=BB299_541 Depth=1
	s_delay_alu instid0(VALU_DEP_3) | instskip(NEXT) | instid1(VALU_DEP_1)
	v_clz_i32_u32_e32 v43, v43
	v_min_u32_e32 v43, 32, v43
	s_delay_alu instid0(VALU_DEP_1) | instskip(NEXT) | instid1(VALU_DEP_1)
	v_subrev_nc_u32_e32 v45, 28, v43
	v_lshlrev_b64_e32 v[46:47], v45, v[1:2]
	v_sub_nc_u32_e32 v45, 29, v43
	s_delay_alu instid0(VALU_DEP_2)
	v_and_b32_e32 v43, 7, v46
; %bb.636:                              ;   in Loop: Header=BB299_541 Depth=1
	s_wait_alu 0xfffe
	s_or_b32 exec_lo, exec_lo, s14
	v_lshlrev_b32_e32 v1, 8, v1
	v_lshl_add_u32 v45, v45, 10, 0x2000
	v_lshlrev_b32_e32 v43, 23, v43
	s_delay_alu instid0(VALU_DEP_2) | instskip(NEXT) | instid1(VALU_DEP_1)
	v_and_or_b32 v1, 0x8000, v1, v45
	v_lshl_or_b32 v43, v1, 16, v43
.LBB299_637:                            ;   in Loop: Header=BB299_541 Depth=1
	s_or_b32 exec_lo, exec_lo, s13
.LBB299_638:                            ;   in Loop: Header=BB299_541 Depth=1
	s_wait_alu 0xfffe
	s_or_b32 exec_lo, exec_lo, s7
.LBB299_639:                            ;   in Loop: Header=BB299_541 Depth=1
	s_wait_alu 0xfffe
	s_or_b32 exec_lo, exec_lo, s6
	v_dual_mov_b32 v46, 0 :: v_dual_and_b32 v47, 0xff, v10
	v_mov_b32_e32 v1, v10
	v_mov_b32_e32 v45, 0
	s_mov_b32 s6, exec_lo
	s_delay_alu instid0(VALU_DEP_3)
	v_cmpx_ne_u16_e32 0, v47
	s_cbranch_execz .LBB299_647
; %bb.640:                              ;   in Loop: Header=BB299_541 Depth=1
	v_mov_b32_e32 v46, 0x8000
	s_mov_b32 s7, exec_lo
	v_cmpx_ne_u16_e32 0x80, v47
	s_cbranch_execz .LBB299_646
; %bb.641:                              ;   in Loop: Header=BB299_541 Depth=1
	v_and_b32_e32 v48, 0x7f, v10
	v_mov_b32_e32 v46, 0x7c01
	s_mov_b32 s13, exec_lo
	s_delay_alu instid0(VALU_DEP_2)
	v_cmpx_ne_u32_e32 0x7f, v48
	s_cbranch_execz .LBB299_645
; %bb.642:                              ;   in Loop: Header=BB299_541 Depth=1
	v_and_b32_e32 v46, 7, v10
	v_lshrrev_b32_e32 v47, 3, v48
	s_mov_b32 s14, exec_lo
	v_cmpx_gt_u32_e32 8, v48
; %bb.643:                              ;   in Loop: Header=BB299_541 Depth=1
	s_delay_alu instid0(VALU_DEP_3) | instskip(NEXT) | instid1(VALU_DEP_1)
	v_clz_i32_u32_e32 v46, v46
	v_min_u32_e32 v48, 32, v46
	s_delay_alu instid0(VALU_DEP_1) | instskip(NEXT) | instid1(VALU_DEP_1)
	v_subrev_nc_u32_e32 v46, 28, v48
	v_lshlrev_b64_e32 v[46:47], v46, v[1:2]
	v_sub_nc_u32_e32 v47, 29, v48
	s_delay_alu instid0(VALU_DEP_2)
	v_and_b32_e32 v46, 7, v46
; %bb.644:                              ;   in Loop: Header=BB299_541 Depth=1
	s_wait_alu 0xfffe
	s_or_b32 exec_lo, exec_lo, s14
	v_lshlrev_b32_e32 v48, 8, v10
	v_lshl_add_u32 v47, v47, 10, 0x2000
	v_lshlrev_b32_e32 v46, 7, v46
	s_delay_alu instid0(VALU_DEP_3) | instskip(NEXT) | instid1(VALU_DEP_3)
	v_and_b32_e32 v48, 0x8000, v48
	v_and_b32_e32 v47, 0xfc00, v47
	s_delay_alu instid0(VALU_DEP_1)
	v_or3_b32 v46, v48, v47, v46
.LBB299_645:                            ;   in Loop: Header=BB299_541 Depth=1
	s_or_b32 exec_lo, exec_lo, s13
.LBB299_646:                            ;   in Loop: Header=BB299_541 Depth=1
	s_wait_alu 0xfffe
	s_or_b32 exec_lo, exec_lo, s7
.LBB299_647:                            ;   in Loop: Header=BB299_541 Depth=1
	s_wait_alu 0xfffe
	s_or_b32 exec_lo, exec_lo, s6
	v_lshrrev_b16 v1, 8, v1
	v_mov_b32_e32 v47, 0
	s_mov_b32 s6, exec_lo
	s_delay_alu instid0(VALU_DEP_2)
	v_cmpx_ne_u16_e32 0, v1
	s_cbranch_execz .LBB299_655
; %bb.648:                              ;   in Loop: Header=BB299_541 Depth=1
	v_bfrev_b32_e32 v47, 1
	s_mov_b32 s7, exec_lo
	v_cmpx_ne_u16_e32 0x80, v1
	s_cbranch_execz .LBB299_654
; %bb.649:                              ;   in Loop: Header=BB299_541 Depth=1
	v_and_b32_e32 v48, 0xffff, v1
	v_mov_b32_e32 v47, 0x7c010000
	s_mov_b32 s13, exec_lo
	s_delay_alu instid0(VALU_DEP_2) | instskip(NEXT) | instid1(VALU_DEP_1)
	v_and_b32_e32 v50, 0x7f, v48
	v_cmpx_ne_u32_e32 0x7f, v50
	s_cbranch_execz .LBB299_653
; %bb.650:                              ;   in Loop: Header=BB299_541 Depth=1
	v_and_b32_e32 v47, 7, v48
	v_lshrrev_b32_e32 v49, 3, v50
	s_mov_b32 s14, exec_lo
	v_cmpx_gt_u32_e32 8, v50
; %bb.651:                              ;   in Loop: Header=BB299_541 Depth=1
	s_delay_alu instid0(VALU_DEP_3) | instskip(NEXT) | instid1(VALU_DEP_1)
	v_clz_i32_u32_e32 v47, v47
	v_min_u32_e32 v47, 32, v47
	s_delay_alu instid0(VALU_DEP_1) | instskip(NEXT) | instid1(VALU_DEP_1)
	v_subrev_nc_u32_e32 v49, 28, v47
	v_lshlrev_b64_e32 v[50:51], v49, v[1:2]
	v_sub_nc_u32_e32 v49, 29, v47
	s_delay_alu instid0(VALU_DEP_2)
	v_and_b32_e32 v47, 7, v50
; %bb.652:                              ;   in Loop: Header=BB299_541 Depth=1
	s_wait_alu 0xfffe
	s_or_b32 exec_lo, exec_lo, s14
	v_lshlrev_b32_e32 v1, 8, v48
	v_lshl_add_u32 v48, v49, 10, 0x2000
	v_lshlrev_b32_e32 v47, 23, v47
	s_delay_alu instid0(VALU_DEP_2) | instskip(NEXT) | instid1(VALU_DEP_1)
	v_and_or_b32 v1, 0x8000, v1, v48
	v_lshl_or_b32 v47, v1, 16, v47
.LBB299_653:                            ;   in Loop: Header=BB299_541 Depth=1
	s_or_b32 exec_lo, exec_lo, s13
.LBB299_654:                            ;   in Loop: Header=BB299_541 Depth=1
	s_wait_alu 0xfffe
	s_or_b32 exec_lo, exec_lo, s7
.LBB299_655:                            ;   in Loop: Header=BB299_541 Depth=1
	s_wait_alu 0xfffe
	s_or_b32 exec_lo, exec_lo, s6
	v_lshrrev_b32_e32 v1, 16, v10
	s_mov_b32 s6, exec_lo
	s_delay_alu instid0(VALU_DEP_1) | instskip(NEXT) | instid1(VALU_DEP_1)
	v_and_b32_e32 v48, 0xff, v1
	v_cmpx_ne_u16_e32 0, v48
	s_cbranch_execz .LBB299_663
; %bb.656:                              ;   in Loop: Header=BB299_541 Depth=1
	v_mov_b32_e32 v45, 0x8000
	s_mov_b32 s7, exec_lo
	v_cmpx_ne_u16_e32 0x80, v48
	s_cbranch_execz .LBB299_662
; %bb.657:                              ;   in Loop: Header=BB299_541 Depth=1
	v_bfe_u32 v49, v10, 16, 7
	v_mov_b32_e32 v45, 0x7c01
	s_mov_b32 s13, exec_lo
	s_delay_alu instid0(VALU_DEP_2)
	v_cmpx_ne_u32_e32 0x7f, v49
	s_cbranch_execz .LBB299_661
; %bb.658:                              ;   in Loop: Header=BB299_541 Depth=1
	v_and_b32_e32 v45, 7, v1
	v_lshrrev_b32_e32 v48, 3, v49
	s_mov_b32 s14, exec_lo
	v_cmpx_gt_u32_e32 8, v49
; %bb.659:                              ;   in Loop: Header=BB299_541 Depth=1
	s_delay_alu instid0(VALU_DEP_3) | instskip(NEXT) | instid1(VALU_DEP_1)
	v_clz_i32_u32_e32 v45, v45
	v_min_u32_e32 v45, 32, v45
	s_delay_alu instid0(VALU_DEP_1) | instskip(NEXT) | instid1(VALU_DEP_1)
	v_subrev_nc_u32_e32 v48, 28, v45
	v_lshlrev_b64_e32 v[49:50], v48, v[1:2]
	v_sub_nc_u32_e32 v48, 29, v45
	s_delay_alu instid0(VALU_DEP_2)
	v_and_b32_e32 v45, 7, v49
; %bb.660:                              ;   in Loop: Header=BB299_541 Depth=1
	s_wait_alu 0xfffe
	s_or_b32 exec_lo, exec_lo, s14
	v_lshlrev_b32_e32 v1, 8, v1
	v_lshl_add_u32 v48, v48, 10, 0x2000
	v_lshlrev_b32_e32 v45, 7, v45
	s_delay_alu instid0(VALU_DEP_3) | instskip(NEXT) | instid1(VALU_DEP_3)
	v_and_b32_e32 v1, 0x8000, v1
	v_and_b32_e32 v48, 0xfc00, v48
	s_delay_alu instid0(VALU_DEP_1)
	v_or3_b32 v45, v1, v48, v45
.LBB299_661:                            ;   in Loop: Header=BB299_541 Depth=1
	s_or_b32 exec_lo, exec_lo, s13
.LBB299_662:                            ;   in Loop: Header=BB299_541 Depth=1
	s_wait_alu 0xfffe
	s_or_b32 exec_lo, exec_lo, s7
.LBB299_663:                            ;   in Loop: Header=BB299_541 Depth=1
	s_wait_alu 0xfffe
	s_or_b32 exec_lo, exec_lo, s6
	v_cmp_lt_u64_e64 s0, s[2:3], v[9:10]
	v_mov_b32_e32 v9, 0
	s_and_saveexec_b32 s6, s0
	s_cbranch_execz .LBB299_671
; %bb.664:                              ;   in Loop: Header=BB299_541 Depth=1
	v_lshrrev_b32_e32 v1, 24, v10
	v_bfrev_b32_e32 v9, 1
	s_mov_b32 s7, exec_lo
	s_delay_alu instid0(VALU_DEP_2)
	v_cmpx_ne_u32_e32 0x80, v1
	s_cbranch_execz .LBB299_670
; %bb.665:                              ;   in Loop: Header=BB299_541 Depth=1
	v_and_b32_e32 v48, 0x7f, v1
	v_mov_b32_e32 v9, 0x7c010000
	s_mov_b32 s13, exec_lo
	s_delay_alu instid0(VALU_DEP_2)
	v_cmpx_ne_u32_e32 0x7f, v48
	s_cbranch_execz .LBB299_669
; %bb.666:                              ;   in Loop: Header=BB299_541 Depth=1
	v_and_b32_e32 v9, 7, v1
	v_lshrrev_b32_e32 v10, 3, v48
	s_mov_b32 s14, exec_lo
	v_cmpx_gt_u32_e32 8, v48
; %bb.667:                              ;   in Loop: Header=BB299_541 Depth=1
	s_delay_alu instid0(VALU_DEP_3) | instskip(NEXT) | instid1(VALU_DEP_1)
	v_clz_i32_u32_e32 v9, v9
	v_min_u32_e32 v48, 32, v9
	s_delay_alu instid0(VALU_DEP_1) | instskip(NEXT) | instid1(VALU_DEP_1)
	v_subrev_nc_u32_e32 v9, 28, v48
	v_lshlrev_b64_e32 v[9:10], v9, v[1:2]
	v_sub_nc_u32_e32 v10, 29, v48
	s_delay_alu instid0(VALU_DEP_2)
	v_and_b32_e32 v9, 7, v9
; %bb.668:                              ;   in Loop: Header=BB299_541 Depth=1
	s_wait_alu 0xfffe
	s_or_b32 exec_lo, exec_lo, s14
	v_lshlrev_b32_e32 v1, 8, v1
	v_lshl_add_u32 v10, v10, 10, 0x2000
	v_lshlrev_b32_e32 v9, 23, v9
	s_delay_alu instid0(VALU_DEP_2) | instskip(NEXT) | instid1(VALU_DEP_1)
	v_and_or_b32 v1, 0x8000, v1, v10
	v_lshl_or_b32 v9, v1, 16, v9
.LBB299_669:                            ;   in Loop: Header=BB299_541 Depth=1
	s_or_b32 exec_lo, exec_lo, s13
.LBB299_670:                            ;   in Loop: Header=BB299_541 Depth=1
	s_wait_alu 0xfffe
	s_or_b32 exec_lo, exec_lo, s7
.LBB299_671:                            ;   in Loop: Header=BB299_541 Depth=1
	s_wait_alu 0xfffe
	s_or_b32 exec_lo, exec_lo, s6
	v_or_b32_e32 v1, v43, v44
	s_wait_loadcnt 0x0
	v_fma_mixlo_f16 v10, v40, v43, 0 op_sel:[0,1,0] op_sel_hi:[0,1,0]
	v_or_b32_e32 v43, v41, v42
	v_fma_mixlo_f16 v41, v40, v41, 0 op_sel:[0,1,0] op_sel_hi:[0,1,0]
	v_or_b32_e32 v44, v47, v46
	v_or_b32_e32 v45, v9, v45
	v_fma_mixlo_f16 v46, v40, v1, 0 op_sel_hi:[0,1,0]
	v_fma_mixlo_f16 v9, v40, v9, 0 op_sel:[0,1,0] op_sel_hi:[0,1,0]
	v_lshlrev_b32_e32 v42, 16, v41
	v_fma_mixlo_f16 v41, v40, v43, 0 op_sel_hi:[0,1,0]
	v_fma_mixlo_f16 v43, v40, v47, 0 op_sel:[0,1,0] op_sel_hi:[0,1,0]
	v_fma_mixlo_f16 v44, v40, v44, 0 op_sel_hi:[0,1,0]
	v_fma_mixlo_f16 v45, v40, v45, 0 op_sel_hi:[0,1,0]
	v_lshlrev_b32_e32 v1, 16, v10
	v_and_b32_e32 v10, 0xffff, v46
	v_and_b32_e32 v48, 0xffff, v41
	v_lshlrev_b32_e32 v40, 16, v43
	v_and_b32_e32 v44, 0xffff, v44
	v_lshlrev_b32_e32 v9, 16, v9
	v_and_b32_e32 v41, 0xffff, v45
	v_or_b32_e32 v43, v1, v10
	v_or_b32_e32 v47, v42, v48
	;; [unrolled: 1-line block ×3, first 2 shown]
	s_delay_alu instid0(VALU_DEP_4)
	v_or_b32_e32 v45, v9, v41
	s_and_saveexec_b32 s6, vcc_lo
	s_cbranch_execz .LBB299_673
; %bb.672:                              ;   in Loop: Header=BB299_541 Depth=1
	v_cmp_gt_i32_e64 s0, s27, v14
	s_wait_alu 0xf1ff
	s_delay_alu instid0(VALU_DEP_1) | instskip(SKIP_2) | instid1(VALU_DEP_1)
	v_cndmask_b32_e64 v43, 0, v48, s0
	v_cmp_gt_i32_e64 s0, s27, v33
	s_wait_alu 0xf1ff
	v_cndmask_b32_e64 v42, 0, v42, s0
	v_cmp_gt_i32_e64 s0, s27, v32
	s_delay_alu instid0(VALU_DEP_2) | instskip(SKIP_1) | instid1(VALU_DEP_2)
	v_or_b32_e32 v47, v42, v43
	s_wait_alu 0xf1ff
	v_cndmask_b32_e64 v10, 0, v10, s0
	v_cmp_gt_i32_e64 s0, s27, v31
	s_wait_alu 0xf1ff
	s_delay_alu instid0(VALU_DEP_1) | instskip(SKIP_1) | instid1(VALU_DEP_2)
	v_cndmask_b32_e64 v1, 0, v1, s0
	v_cmp_gt_i32_e64 s0, s27, v30
	v_or_b32_e32 v43, v1, v10
	s_wait_alu 0xf1ff
	s_delay_alu instid0(VALU_DEP_2) | instskip(SKIP_2) | instid1(VALU_DEP_1)
	v_cndmask_b32_e64 v44, 0, v44, s0
	v_cmp_gt_i32_e64 s0, s27, v29
	s_wait_alu 0xf1ff
	v_cndmask_b32_e64 v40, 0, v40, s0
	v_cmp_gt_i32_e64 s0, s27, v28
	s_delay_alu instid0(VALU_DEP_2) | instskip(SKIP_1) | instid1(VALU_DEP_2)
	v_or_b32_e32 v46, v40, v44
	s_wait_alu 0xf1ff
	v_cndmask_b32_e64 v41, 0, v41, s0
	v_cmp_gt_i32_e64 s0, s27, v26
	s_wait_alu 0xf1ff
	s_delay_alu instid0(VALU_DEP_1) | instskip(NEXT) | instid1(VALU_DEP_1)
	v_cndmask_b32_e64 v9, 0, v9, s0
	v_or_b32_e32 v45, v9, v41
.LBB299_673:                            ;   in Loop: Header=BB299_541 Depth=1
	s_wait_alu 0xfffe
	s_or_b32 exec_lo, exec_lo, s6
	;;#ASMSTART
	v_pk_mul_f16 v1, v38, v47;

	;;#ASMEND
	;;#ASMSTART
	v_pk_mul_f16 v9, v36, v43;

	;;#ASMEND
	;; [unrolled: 4-line block ×4, first 2 shown]
	;;#ASMSTART
	v_pk_add_f16 v1, v1, v9;

	;;#ASMEND
	;;#ASMSTART
	v_pk_add_f16 v1, v1, v10;

	;;#ASMEND
	;; [unrolled: 4-line block ×3, first 2 shown]
	v_dual_mov_b32 v44, 0 :: v_dual_and_b32 v9, 0xffff, v1
	v_lshrrev_b32_e32 v1, 16, v1
	;;#ASMSTART
	v_cvt_f32_f16 v40, v9;
	;;#ASMEND
	;;#ASMSTART
	v_cvt_f32_f16 v41, v1;
	;;#ASMEND
	global_load_b64 v[9:10], v[7:8], off offset:512
	v_mov_b32_e32 v43, 0
	s_mov_b32 s6, exec_lo
	global_load_b32 v42, v43, s[10:11]
	s_wait_loadcnt 0x1
	v_and_b32_e32 v1, 0xff, v9
	s_delay_alu instid0(VALU_DEP_1)
	v_cmpx_ne_u16_e32 0, v1
	s_cbranch_execz .LBB299_681
; %bb.674:                              ;   in Loop: Header=BB299_541 Depth=1
	v_mov_b32_e32 v44, 0x8000
	s_mov_b32 s7, exec_lo
	v_cmpx_ne_u16_e32 0x80, v1
	s_cbranch_execz .LBB299_680
; %bb.675:                              ;   in Loop: Header=BB299_541 Depth=1
	v_and_b32_e32 v45, 0x7f, v9
	v_mov_b32_e32 v44, 0x7c01
	s_mov_b32 s13, exec_lo
	s_delay_alu instid0(VALU_DEP_2)
	v_cmpx_ne_u32_e32 0x7f, v45
	s_cbranch_execz .LBB299_679
; %bb.676:                              ;   in Loop: Header=BB299_541 Depth=1
	v_and_b32_e32 v1, 7, v9
	v_lshrrev_b32_e32 v44, 3, v45
	s_mov_b32 s14, exec_lo
	v_cmpx_gt_u32_e32 8, v45
; %bb.677:                              ;   in Loop: Header=BB299_541 Depth=1
	s_delay_alu instid0(VALU_DEP_3) | instskip(NEXT) | instid1(VALU_DEP_1)
	v_clz_i32_u32_e32 v1, v1
	v_min_u32_e32 v1, 32, v1
	s_delay_alu instid0(VALU_DEP_1) | instskip(NEXT) | instid1(VALU_DEP_1)
	v_subrev_nc_u32_e32 v44, 28, v1
	v_lshlrev_b64_e32 v[45:46], v44, v[9:10]
	v_sub_nc_u32_e32 v44, 29, v1
	s_delay_alu instid0(VALU_DEP_2)
	v_and_b32_e32 v1, 7, v45
; %bb.678:                              ;   in Loop: Header=BB299_541 Depth=1
	s_wait_alu 0xfffe
	s_or_b32 exec_lo, exec_lo, s14
	v_lshlrev_b32_e32 v45, 8, v9
	v_lshl_add_u32 v44, v44, 10, 0x2000
	v_lshlrev_b32_e32 v1, 7, v1
	s_delay_alu instid0(VALU_DEP_3) | instskip(NEXT) | instid1(VALU_DEP_3)
	v_and_b32_e32 v45, 0x8000, v45
	v_and_b32_e32 v44, 0xfc00, v44
	s_delay_alu instid0(VALU_DEP_1)
	v_or3_b32 v44, v45, v44, v1
.LBB299_679:                            ;   in Loop: Header=BB299_541 Depth=1
	s_or_b32 exec_lo, exec_lo, s13
.LBB299_680:                            ;   in Loop: Header=BB299_541 Depth=1
	s_wait_alu 0xfffe
	s_or_b32 exec_lo, exec_lo, s7
.LBB299_681:                            ;   in Loop: Header=BB299_541 Depth=1
	s_wait_alu 0xfffe
	s_or_b32 exec_lo, exec_lo, s6
	v_lshrrev_b16 v1, 8, v9
	s_mov_b32 s6, exec_lo
	s_delay_alu instid0(VALU_DEP_1)
	v_cmpx_ne_u16_e32 0, v1
	s_cbranch_execz .LBB299_689
; %bb.682:                              ;   in Loop: Header=BB299_541 Depth=1
	v_bfrev_b32_e32 v43, 1
	s_mov_b32 s7, exec_lo
	v_cmpx_ne_u16_e32 0x80, v1
	s_cbranch_execz .LBB299_688
; %bb.683:                              ;   in Loop: Header=BB299_541 Depth=1
	v_and_b32_e32 v45, 0xffff, v1
	v_mov_b32_e32 v43, 0x7c010000
	s_mov_b32 s13, exec_lo
	s_delay_alu instid0(VALU_DEP_2) | instskip(NEXT) | instid1(VALU_DEP_1)
	v_and_b32_e32 v47, 0x7f, v45
	v_cmpx_ne_u32_e32 0x7f, v47
	s_cbranch_execz .LBB299_687
; %bb.684:                              ;   in Loop: Header=BB299_541 Depth=1
	v_and_b32_e32 v43, 7, v45
	v_lshrrev_b32_e32 v46, 3, v47
	s_mov_b32 s14, exec_lo
	v_cmpx_gt_u32_e32 8, v47
; %bb.685:                              ;   in Loop: Header=BB299_541 Depth=1
	s_delay_alu instid0(VALU_DEP_3) | instskip(NEXT) | instid1(VALU_DEP_1)
	v_clz_i32_u32_e32 v43, v43
	v_min_u32_e32 v43, 32, v43
	s_delay_alu instid0(VALU_DEP_1) | instskip(NEXT) | instid1(VALU_DEP_1)
	v_subrev_nc_u32_e32 v46, 28, v43
	v_lshlrev_b64_e32 v[47:48], v46, v[1:2]
	v_sub_nc_u32_e32 v46, 29, v43
	s_delay_alu instid0(VALU_DEP_2)
	v_and_b32_e32 v43, 7, v47
; %bb.686:                              ;   in Loop: Header=BB299_541 Depth=1
	s_wait_alu 0xfffe
	s_or_b32 exec_lo, exec_lo, s14
	v_lshlrev_b32_e32 v1, 8, v45
	v_lshl_add_u32 v45, v46, 10, 0x2000
	v_lshlrev_b32_e32 v43, 23, v43
	s_delay_alu instid0(VALU_DEP_2) | instskip(NEXT) | instid1(VALU_DEP_1)
	v_and_or_b32 v1, 0x8000, v1, v45
	v_lshl_or_b32 v43, v1, 16, v43
.LBB299_687:                            ;   in Loop: Header=BB299_541 Depth=1
	s_or_b32 exec_lo, exec_lo, s13
.LBB299_688:                            ;   in Loop: Header=BB299_541 Depth=1
	s_wait_alu 0xfffe
	s_or_b32 exec_lo, exec_lo, s7
.LBB299_689:                            ;   in Loop: Header=BB299_541 Depth=1
	s_wait_alu 0xfffe
	s_or_b32 exec_lo, exec_lo, s6
	v_lshrrev_b32_e32 v1, 16, v9
	v_mov_b32_e32 v45, 0
	s_mov_b32 s6, exec_lo
	s_delay_alu instid0(VALU_DEP_2) | instskip(NEXT) | instid1(VALU_DEP_1)
	v_dual_mov_b32 v46, 0 :: v_dual_and_b32 v47, 0xff, v1
	v_cmpx_ne_u16_e32 0, v47
	s_cbranch_execz .LBB299_697
; %bb.690:                              ;   in Loop: Header=BB299_541 Depth=1
	v_mov_b32_e32 v46, 0x8000
	s_mov_b32 s7, exec_lo
	v_cmpx_ne_u16_e32 0x80, v47
	s_cbranch_execz .LBB299_696
; %bb.691:                              ;   in Loop: Header=BB299_541 Depth=1
	v_bfe_u32 v48, v9, 16, 7
	v_mov_b32_e32 v46, 0x7c01
	s_mov_b32 s13, exec_lo
	s_delay_alu instid0(VALU_DEP_2)
	v_cmpx_ne_u32_e32 0x7f, v48
	s_cbranch_execz .LBB299_695
; %bb.692:                              ;   in Loop: Header=BB299_541 Depth=1
	v_and_b32_e32 v46, 7, v1
	v_lshrrev_b32_e32 v47, 3, v48
	s_mov_b32 s14, exec_lo
	v_cmpx_gt_u32_e32 8, v48
; %bb.693:                              ;   in Loop: Header=BB299_541 Depth=1
	s_delay_alu instid0(VALU_DEP_3) | instskip(NEXT) | instid1(VALU_DEP_1)
	v_clz_i32_u32_e32 v46, v46
	v_min_u32_e32 v48, 32, v46
	s_delay_alu instid0(VALU_DEP_1) | instskip(NEXT) | instid1(VALU_DEP_1)
	v_subrev_nc_u32_e32 v46, 28, v48
	v_lshlrev_b64_e32 v[46:47], v46, v[1:2]
	v_sub_nc_u32_e32 v47, 29, v48
	s_delay_alu instid0(VALU_DEP_2)
	v_and_b32_e32 v46, 7, v46
; %bb.694:                              ;   in Loop: Header=BB299_541 Depth=1
	s_wait_alu 0xfffe
	s_or_b32 exec_lo, exec_lo, s14
	v_lshlrev_b32_e32 v1, 8, v1
	v_lshl_add_u32 v47, v47, 10, 0x2000
	v_lshlrev_b32_e32 v46, 7, v46
	s_delay_alu instid0(VALU_DEP_3) | instskip(NEXT) | instid1(VALU_DEP_3)
	v_and_b32_e32 v1, 0x8000, v1
	v_and_b32_e32 v47, 0xfc00, v47
	s_delay_alu instid0(VALU_DEP_1)
	v_or3_b32 v46, v1, v47, v46
.LBB299_695:                            ;   in Loop: Header=BB299_541 Depth=1
	s_or_b32 exec_lo, exec_lo, s13
.LBB299_696:                            ;   in Loop: Header=BB299_541 Depth=1
	s_wait_alu 0xfffe
	s_or_b32 exec_lo, exec_lo, s7
.LBB299_697:                            ;   in Loop: Header=BB299_541 Depth=1
	s_wait_alu 0xfffe
	s_or_b32 exec_lo, exec_lo, s6
	s_delay_alu instid0(SALU_CYCLE_1)
	s_mov_b32 s6, exec_lo
	v_cmpx_lt_u32_e32 0xffffff, v9
	s_cbranch_execz .LBB299_705
; %bb.698:                              ;   in Loop: Header=BB299_541 Depth=1
	v_lshrrev_b32_e32 v1, 24, v9
	v_bfrev_b32_e32 v45, 1
	s_mov_b32 s7, exec_lo
	s_delay_alu instid0(VALU_DEP_2)
	v_cmpx_ne_u32_e32 0x80, v1
	s_cbranch_execz .LBB299_704
; %bb.699:                              ;   in Loop: Header=BB299_541 Depth=1
	v_and_b32_e32 v48, 0x7f, v1
	v_mov_b32_e32 v45, 0x7c010000
	s_mov_b32 s13, exec_lo
	s_delay_alu instid0(VALU_DEP_2)
	v_cmpx_ne_u32_e32 0x7f, v48
	s_cbranch_execz .LBB299_703
; %bb.700:                              ;   in Loop: Header=BB299_541 Depth=1
	v_and_b32_e32 v45, 7, v1
	v_lshrrev_b32_e32 v47, 3, v48
	s_mov_b32 s14, exec_lo
	v_cmpx_gt_u32_e32 8, v48
; %bb.701:                              ;   in Loop: Header=BB299_541 Depth=1
	s_delay_alu instid0(VALU_DEP_3) | instskip(NEXT) | instid1(VALU_DEP_1)
	v_clz_i32_u32_e32 v45, v45
	v_min_u32_e32 v45, 32, v45
	s_delay_alu instid0(VALU_DEP_1) | instskip(NEXT) | instid1(VALU_DEP_1)
	v_subrev_nc_u32_e32 v47, 28, v45
	v_lshlrev_b64_e32 v[48:49], v47, v[1:2]
	v_sub_nc_u32_e32 v47, 29, v45
	s_delay_alu instid0(VALU_DEP_2)
	v_and_b32_e32 v45, 7, v48
; %bb.702:                              ;   in Loop: Header=BB299_541 Depth=1
	s_wait_alu 0xfffe
	s_or_b32 exec_lo, exec_lo, s14
	v_lshlrev_b32_e32 v1, 8, v1
	v_lshl_add_u32 v47, v47, 10, 0x2000
	v_lshlrev_b32_e32 v45, 23, v45
	s_delay_alu instid0(VALU_DEP_2) | instskip(NEXT) | instid1(VALU_DEP_1)
	v_and_or_b32 v1, 0x8000, v1, v47
	v_lshl_or_b32 v45, v1, 16, v45
.LBB299_703:                            ;   in Loop: Header=BB299_541 Depth=1
	s_or_b32 exec_lo, exec_lo, s13
.LBB299_704:                            ;   in Loop: Header=BB299_541 Depth=1
	s_wait_alu 0xfffe
	s_or_b32 exec_lo, exec_lo, s7
.LBB299_705:                            ;   in Loop: Header=BB299_541 Depth=1
	s_wait_alu 0xfffe
	s_or_b32 exec_lo, exec_lo, s6
	v_dual_mov_b32 v48, 0 :: v_dual_and_b32 v49, 0xff, v10
	v_mov_b32_e32 v1, v10
	v_mov_b32_e32 v47, 0
	s_mov_b32 s6, exec_lo
	s_delay_alu instid0(VALU_DEP_3)
	v_cmpx_ne_u16_e32 0, v49
	s_cbranch_execz .LBB299_713
; %bb.706:                              ;   in Loop: Header=BB299_541 Depth=1
	v_mov_b32_e32 v48, 0x8000
	s_mov_b32 s7, exec_lo
	v_cmpx_ne_u16_e32 0x80, v49
	s_cbranch_execz .LBB299_712
; %bb.707:                              ;   in Loop: Header=BB299_541 Depth=1
	v_and_b32_e32 v50, 0x7f, v10
	v_mov_b32_e32 v48, 0x7c01
	s_mov_b32 s13, exec_lo
	s_delay_alu instid0(VALU_DEP_2)
	v_cmpx_ne_u32_e32 0x7f, v50
	s_cbranch_execz .LBB299_711
; %bb.708:                              ;   in Loop: Header=BB299_541 Depth=1
	v_and_b32_e32 v48, 7, v10
	v_lshrrev_b32_e32 v49, 3, v50
	s_mov_b32 s14, exec_lo
	v_cmpx_gt_u32_e32 8, v50
; %bb.709:                              ;   in Loop: Header=BB299_541 Depth=1
	s_delay_alu instid0(VALU_DEP_3) | instskip(NEXT) | instid1(VALU_DEP_1)
	v_clz_i32_u32_e32 v48, v48
	v_min_u32_e32 v50, 32, v48
	s_delay_alu instid0(VALU_DEP_1) | instskip(NEXT) | instid1(VALU_DEP_1)
	v_subrev_nc_u32_e32 v48, 28, v50
	v_lshlrev_b64_e32 v[48:49], v48, v[1:2]
	v_sub_nc_u32_e32 v49, 29, v50
	s_delay_alu instid0(VALU_DEP_2)
	v_and_b32_e32 v48, 7, v48
; %bb.710:                              ;   in Loop: Header=BB299_541 Depth=1
	s_wait_alu 0xfffe
	s_or_b32 exec_lo, exec_lo, s14
	v_lshlrev_b32_e32 v50, 8, v10
	v_lshl_add_u32 v49, v49, 10, 0x2000
	v_lshlrev_b32_e32 v48, 7, v48
	s_delay_alu instid0(VALU_DEP_3) | instskip(NEXT) | instid1(VALU_DEP_3)
	v_and_b32_e32 v50, 0x8000, v50
	v_and_b32_e32 v49, 0xfc00, v49
	s_delay_alu instid0(VALU_DEP_1)
	v_or3_b32 v48, v50, v49, v48
.LBB299_711:                            ;   in Loop: Header=BB299_541 Depth=1
	s_or_b32 exec_lo, exec_lo, s13
.LBB299_712:                            ;   in Loop: Header=BB299_541 Depth=1
	s_wait_alu 0xfffe
	s_or_b32 exec_lo, exec_lo, s7
.LBB299_713:                            ;   in Loop: Header=BB299_541 Depth=1
	s_wait_alu 0xfffe
	s_or_b32 exec_lo, exec_lo, s6
	v_lshrrev_b16 v1, 8, v1
	v_mov_b32_e32 v49, 0
	s_mov_b32 s6, exec_lo
	s_delay_alu instid0(VALU_DEP_2)
	v_cmpx_ne_u16_e32 0, v1
	s_cbranch_execz .LBB299_721
; %bb.714:                              ;   in Loop: Header=BB299_541 Depth=1
	v_bfrev_b32_e32 v49, 1
	s_mov_b32 s7, exec_lo
	v_cmpx_ne_u16_e32 0x80, v1
	s_cbranch_execz .LBB299_720
; %bb.715:                              ;   in Loop: Header=BB299_541 Depth=1
	v_and_b32_e32 v50, 0xffff, v1
	v_mov_b32_e32 v49, 0x7c010000
	s_mov_b32 s13, exec_lo
	s_delay_alu instid0(VALU_DEP_2) | instskip(NEXT) | instid1(VALU_DEP_1)
	v_and_b32_e32 v52, 0x7f, v50
	v_cmpx_ne_u32_e32 0x7f, v52
	s_cbranch_execz .LBB299_719
; %bb.716:                              ;   in Loop: Header=BB299_541 Depth=1
	v_and_b32_e32 v49, 7, v50
	v_lshrrev_b32_e32 v51, 3, v52
	s_mov_b32 s14, exec_lo
	v_cmpx_gt_u32_e32 8, v52
; %bb.717:                              ;   in Loop: Header=BB299_541 Depth=1
	s_delay_alu instid0(VALU_DEP_3) | instskip(NEXT) | instid1(VALU_DEP_1)
	v_clz_i32_u32_e32 v49, v49
	v_min_u32_e32 v49, 32, v49
	s_delay_alu instid0(VALU_DEP_1) | instskip(NEXT) | instid1(VALU_DEP_1)
	v_subrev_nc_u32_e32 v51, 28, v49
	v_lshlrev_b64_e32 v[52:53], v51, v[1:2]
	v_sub_nc_u32_e32 v51, 29, v49
	s_delay_alu instid0(VALU_DEP_2)
	v_and_b32_e32 v49, 7, v52
; %bb.718:                              ;   in Loop: Header=BB299_541 Depth=1
	s_wait_alu 0xfffe
	s_or_b32 exec_lo, exec_lo, s14
	v_lshlrev_b32_e32 v1, 8, v50
	v_lshl_add_u32 v50, v51, 10, 0x2000
	v_lshlrev_b32_e32 v49, 23, v49
	s_delay_alu instid0(VALU_DEP_2) | instskip(NEXT) | instid1(VALU_DEP_1)
	v_and_or_b32 v1, 0x8000, v1, v50
	v_lshl_or_b32 v49, v1, 16, v49
.LBB299_719:                            ;   in Loop: Header=BB299_541 Depth=1
	s_or_b32 exec_lo, exec_lo, s13
.LBB299_720:                            ;   in Loop: Header=BB299_541 Depth=1
	s_wait_alu 0xfffe
	s_or_b32 exec_lo, exec_lo, s7
.LBB299_721:                            ;   in Loop: Header=BB299_541 Depth=1
	s_wait_alu 0xfffe
	s_or_b32 exec_lo, exec_lo, s6
	v_lshrrev_b32_e32 v1, 16, v10
	s_mov_b32 s6, exec_lo
	s_delay_alu instid0(VALU_DEP_1) | instskip(NEXT) | instid1(VALU_DEP_1)
	v_and_b32_e32 v50, 0xff, v1
	v_cmpx_ne_u16_e32 0, v50
	s_cbranch_execz .LBB299_729
; %bb.722:                              ;   in Loop: Header=BB299_541 Depth=1
	v_mov_b32_e32 v47, 0x8000
	s_mov_b32 s7, exec_lo
	v_cmpx_ne_u16_e32 0x80, v50
	s_cbranch_execz .LBB299_728
; %bb.723:                              ;   in Loop: Header=BB299_541 Depth=1
	v_bfe_u32 v51, v10, 16, 7
	v_mov_b32_e32 v47, 0x7c01
	s_mov_b32 s13, exec_lo
	s_delay_alu instid0(VALU_DEP_2)
	v_cmpx_ne_u32_e32 0x7f, v51
	s_cbranch_execz .LBB299_727
; %bb.724:                              ;   in Loop: Header=BB299_541 Depth=1
	v_and_b32_e32 v47, 7, v1
	v_lshrrev_b32_e32 v50, 3, v51
	s_mov_b32 s14, exec_lo
	v_cmpx_gt_u32_e32 8, v51
; %bb.725:                              ;   in Loop: Header=BB299_541 Depth=1
	s_delay_alu instid0(VALU_DEP_3) | instskip(NEXT) | instid1(VALU_DEP_1)
	v_clz_i32_u32_e32 v47, v47
	v_min_u32_e32 v47, 32, v47
	s_delay_alu instid0(VALU_DEP_1) | instskip(NEXT) | instid1(VALU_DEP_1)
	v_subrev_nc_u32_e32 v50, 28, v47
	v_lshlrev_b64_e32 v[51:52], v50, v[1:2]
	v_sub_nc_u32_e32 v50, 29, v47
	s_delay_alu instid0(VALU_DEP_2)
	v_and_b32_e32 v47, 7, v51
; %bb.726:                              ;   in Loop: Header=BB299_541 Depth=1
	s_wait_alu 0xfffe
	s_or_b32 exec_lo, exec_lo, s14
	v_lshlrev_b32_e32 v1, 8, v1
	v_lshl_add_u32 v50, v50, 10, 0x2000
	v_lshlrev_b32_e32 v47, 7, v47
	s_delay_alu instid0(VALU_DEP_3) | instskip(NEXT) | instid1(VALU_DEP_3)
	v_and_b32_e32 v1, 0x8000, v1
	v_and_b32_e32 v50, 0xfc00, v50
	s_delay_alu instid0(VALU_DEP_1)
	v_or3_b32 v47, v1, v50, v47
.LBB299_727:                            ;   in Loop: Header=BB299_541 Depth=1
	s_or_b32 exec_lo, exec_lo, s13
.LBB299_728:                            ;   in Loop: Header=BB299_541 Depth=1
	s_wait_alu 0xfffe
	s_or_b32 exec_lo, exec_lo, s7
.LBB299_729:                            ;   in Loop: Header=BB299_541 Depth=1
	s_wait_alu 0xfffe
	s_or_b32 exec_lo, exec_lo, s6
	v_cmp_lt_u64_e64 s0, s[2:3], v[9:10]
	v_mov_b32_e32 v9, 0
	s_and_saveexec_b32 s6, s0
	s_cbranch_execz .LBB299_737
; %bb.730:                              ;   in Loop: Header=BB299_541 Depth=1
	v_lshrrev_b32_e32 v1, 24, v10
	v_bfrev_b32_e32 v9, 1
	s_mov_b32 s7, exec_lo
	s_delay_alu instid0(VALU_DEP_2)
	v_cmpx_ne_u32_e32 0x80, v1
	s_cbranch_execz .LBB299_736
; %bb.731:                              ;   in Loop: Header=BB299_541 Depth=1
	v_and_b32_e32 v50, 0x7f, v1
	v_mov_b32_e32 v9, 0x7c010000
	s_mov_b32 s13, exec_lo
	s_delay_alu instid0(VALU_DEP_2)
	v_cmpx_ne_u32_e32 0x7f, v50
	s_cbranch_execz .LBB299_735
; %bb.732:                              ;   in Loop: Header=BB299_541 Depth=1
	v_and_b32_e32 v9, 7, v1
	v_lshrrev_b32_e32 v10, 3, v50
	s_mov_b32 s14, exec_lo
	v_cmpx_gt_u32_e32 8, v50
; %bb.733:                              ;   in Loop: Header=BB299_541 Depth=1
	s_delay_alu instid0(VALU_DEP_3) | instskip(NEXT) | instid1(VALU_DEP_1)
	v_clz_i32_u32_e32 v9, v9
	v_min_u32_e32 v50, 32, v9
	s_delay_alu instid0(VALU_DEP_1) | instskip(NEXT) | instid1(VALU_DEP_1)
	v_subrev_nc_u32_e32 v9, 28, v50
	v_lshlrev_b64_e32 v[9:10], v9, v[1:2]
	v_sub_nc_u32_e32 v10, 29, v50
	s_delay_alu instid0(VALU_DEP_2)
	v_and_b32_e32 v9, 7, v9
; %bb.734:                              ;   in Loop: Header=BB299_541 Depth=1
	s_wait_alu 0xfffe
	s_or_b32 exec_lo, exec_lo, s14
	v_lshlrev_b32_e32 v1, 8, v1
	v_lshl_add_u32 v10, v10, 10, 0x2000
	v_lshlrev_b32_e32 v9, 23, v9
	s_delay_alu instid0(VALU_DEP_2) | instskip(NEXT) | instid1(VALU_DEP_1)
	v_and_or_b32 v1, 0x8000, v1, v10
	v_lshl_or_b32 v9, v1, 16, v9
.LBB299_735:                            ;   in Loop: Header=BB299_541 Depth=1
	s_or_b32 exec_lo, exec_lo, s13
.LBB299_736:                            ;   in Loop: Header=BB299_541 Depth=1
	s_wait_alu 0xfffe
	s_or_b32 exec_lo, exec_lo, s7
.LBB299_737:                            ;   in Loop: Header=BB299_541 Depth=1
	s_wait_alu 0xfffe
	s_or_b32 exec_lo, exec_lo, s6
	v_or_b32_e32 v1, v45, v46
	s_wait_loadcnt 0x0
	v_fma_mixlo_f16 v10, v42, v45, 0 op_sel:[0,1,0] op_sel_hi:[0,1,0]
	v_or_b32_e32 v45, v43, v44
	v_fma_mixlo_f16 v43, v42, v43, 0 op_sel:[0,1,0] op_sel_hi:[0,1,0]
	v_or_b32_e32 v46, v49, v48
	v_or_b32_e32 v47, v9, v47
	v_fma_mixlo_f16 v48, v42, v1, 0 op_sel_hi:[0,1,0]
	v_fma_mixlo_f16 v9, v42, v9, 0 op_sel:[0,1,0] op_sel_hi:[0,1,0]
	v_lshlrev_b32_e32 v44, 16, v43
	v_fma_mixlo_f16 v43, v42, v45, 0 op_sel_hi:[0,1,0]
	v_fma_mixlo_f16 v45, v42, v49, 0 op_sel:[0,1,0] op_sel_hi:[0,1,0]
	v_fma_mixlo_f16 v46, v42, v46, 0 op_sel_hi:[0,1,0]
	v_fma_mixlo_f16 v47, v42, v47, 0 op_sel_hi:[0,1,0]
	v_lshlrev_b32_e32 v1, 16, v10
	v_and_b32_e32 v10, 0xffff, v48
	v_and_b32_e32 v50, 0xffff, v43
	v_lshlrev_b32_e32 v42, 16, v45
	v_and_b32_e32 v46, 0xffff, v46
	v_lshlrev_b32_e32 v9, 16, v9
	v_and_b32_e32 v43, 0xffff, v47
	v_or_b32_e32 v45, v1, v10
	v_or_b32_e32 v49, v44, v50
	;; [unrolled: 1-line block ×3, first 2 shown]
	s_delay_alu instid0(VALU_DEP_4)
	v_or_b32_e32 v47, v9, v43
	s_and_saveexec_b32 s6, vcc_lo
	s_cbranch_execz .LBB299_739
; %bb.738:                              ;   in Loop: Header=BB299_541 Depth=1
	v_cmp_gt_i32_e64 s0, s27, v14
	s_wait_alu 0xf1ff
	s_delay_alu instid0(VALU_DEP_1) | instskip(SKIP_2) | instid1(VALU_DEP_1)
	v_cndmask_b32_e64 v45, 0, v50, s0
	v_cmp_gt_i32_e64 s0, s27, v33
	s_wait_alu 0xf1ff
	v_cndmask_b32_e64 v44, 0, v44, s0
	v_cmp_gt_i32_e64 s0, s27, v32
	s_delay_alu instid0(VALU_DEP_2) | instskip(SKIP_1) | instid1(VALU_DEP_2)
	v_or_b32_e32 v49, v44, v45
	s_wait_alu 0xf1ff
	v_cndmask_b32_e64 v10, 0, v10, s0
	v_cmp_gt_i32_e64 s0, s27, v31
	s_wait_alu 0xf1ff
	s_delay_alu instid0(VALU_DEP_1) | instskip(SKIP_1) | instid1(VALU_DEP_2)
	v_cndmask_b32_e64 v1, 0, v1, s0
	v_cmp_gt_i32_e64 s0, s27, v30
	v_or_b32_e32 v45, v1, v10
	s_wait_alu 0xf1ff
	s_delay_alu instid0(VALU_DEP_2) | instskip(SKIP_2) | instid1(VALU_DEP_1)
	v_cndmask_b32_e64 v46, 0, v46, s0
	v_cmp_gt_i32_e64 s0, s27, v29
	s_wait_alu 0xf1ff
	v_cndmask_b32_e64 v42, 0, v42, s0
	v_cmp_gt_i32_e64 s0, s27, v28
	s_delay_alu instid0(VALU_DEP_2) | instskip(SKIP_1) | instid1(VALU_DEP_2)
	v_or_b32_e32 v48, v42, v46
	s_wait_alu 0xf1ff
	v_cndmask_b32_e64 v43, 0, v43, s0
	v_cmp_gt_i32_e64 s0, s27, v26
	s_wait_alu 0xf1ff
	s_delay_alu instid0(VALU_DEP_1) | instskip(NEXT) | instid1(VALU_DEP_1)
	v_cndmask_b32_e64 v9, 0, v9, s0
	v_or_b32_e32 v47, v9, v43
.LBB299_739:                            ;   in Loop: Header=BB299_541 Depth=1
	s_wait_alu 0xfffe
	s_or_b32 exec_lo, exec_lo, s6
	;;#ASMSTART
	v_pk_mul_f16 v1, v38, v49;

	;;#ASMEND
	;;#ASMSTART
	v_pk_mul_f16 v9, v36, v45;

	;;#ASMEND
	;; [unrolled: 4-line block ×4, first 2 shown]
	;;#ASMSTART
	v_pk_add_f16 v1, v1, v9;

	;;#ASMEND
	;;#ASMSTART
	v_pk_add_f16 v1, v1, v10;

	;;#ASMEND
	;; [unrolled: 4-line block ×3, first 2 shown]
	v_dual_mov_b32 v46, 0 :: v_dual_and_b32 v9, 0xffff, v1
	v_lshrrev_b32_e32 v1, 16, v1
	;;#ASMSTART
	v_cvt_f32_f16 v42, v9;
	;;#ASMEND
	;;#ASMSTART
	v_cvt_f32_f16 v43, v1;
	;;#ASMEND
	global_load_b64 v[9:10], v[7:8], off offset:768
	v_mov_b32_e32 v45, 0
	s_mov_b32 s6, exec_lo
	global_load_b32 v44, v45, s[10:11]
	s_wait_loadcnt 0x1
	v_and_b32_e32 v1, 0xff, v9
	s_delay_alu instid0(VALU_DEP_1)
	v_cmpx_ne_u16_e32 0, v1
	s_cbranch_execz .LBB299_747
; %bb.740:                              ;   in Loop: Header=BB299_541 Depth=1
	v_mov_b32_e32 v46, 0x8000
	s_mov_b32 s7, exec_lo
	v_cmpx_ne_u16_e32 0x80, v1
	s_cbranch_execz .LBB299_746
; %bb.741:                              ;   in Loop: Header=BB299_541 Depth=1
	v_and_b32_e32 v47, 0x7f, v9
	v_mov_b32_e32 v46, 0x7c01
	s_mov_b32 s13, exec_lo
	s_delay_alu instid0(VALU_DEP_2)
	v_cmpx_ne_u32_e32 0x7f, v47
	s_cbranch_execz .LBB299_745
; %bb.742:                              ;   in Loop: Header=BB299_541 Depth=1
	v_and_b32_e32 v1, 7, v9
	v_lshrrev_b32_e32 v46, 3, v47
	s_mov_b32 s14, exec_lo
	v_cmpx_gt_u32_e32 8, v47
; %bb.743:                              ;   in Loop: Header=BB299_541 Depth=1
	s_delay_alu instid0(VALU_DEP_3) | instskip(NEXT) | instid1(VALU_DEP_1)
	v_clz_i32_u32_e32 v1, v1
	v_min_u32_e32 v1, 32, v1
	s_delay_alu instid0(VALU_DEP_1) | instskip(NEXT) | instid1(VALU_DEP_1)
	v_subrev_nc_u32_e32 v46, 28, v1
	v_lshlrev_b64_e32 v[47:48], v46, v[9:10]
	v_sub_nc_u32_e32 v46, 29, v1
	s_delay_alu instid0(VALU_DEP_2)
	v_and_b32_e32 v1, 7, v47
; %bb.744:                              ;   in Loop: Header=BB299_541 Depth=1
	s_wait_alu 0xfffe
	s_or_b32 exec_lo, exec_lo, s14
	v_lshlrev_b32_e32 v47, 8, v9
	v_lshl_add_u32 v46, v46, 10, 0x2000
	v_lshlrev_b32_e32 v1, 7, v1
	s_delay_alu instid0(VALU_DEP_3) | instskip(NEXT) | instid1(VALU_DEP_3)
	v_and_b32_e32 v47, 0x8000, v47
	v_and_b32_e32 v46, 0xfc00, v46
	s_delay_alu instid0(VALU_DEP_1)
	v_or3_b32 v46, v47, v46, v1
.LBB299_745:                            ;   in Loop: Header=BB299_541 Depth=1
	s_or_b32 exec_lo, exec_lo, s13
.LBB299_746:                            ;   in Loop: Header=BB299_541 Depth=1
	s_wait_alu 0xfffe
	s_or_b32 exec_lo, exec_lo, s7
.LBB299_747:                            ;   in Loop: Header=BB299_541 Depth=1
	s_wait_alu 0xfffe
	s_or_b32 exec_lo, exec_lo, s6
	v_lshrrev_b16 v1, 8, v9
	s_mov_b32 s6, exec_lo
	s_delay_alu instid0(VALU_DEP_1)
	v_cmpx_ne_u16_e32 0, v1
	s_cbranch_execz .LBB299_755
; %bb.748:                              ;   in Loop: Header=BB299_541 Depth=1
	v_bfrev_b32_e32 v45, 1
	s_mov_b32 s7, exec_lo
	v_cmpx_ne_u16_e32 0x80, v1
	s_cbranch_execz .LBB299_754
; %bb.749:                              ;   in Loop: Header=BB299_541 Depth=1
	v_and_b32_e32 v47, 0xffff, v1
	v_mov_b32_e32 v45, 0x7c010000
	s_mov_b32 s13, exec_lo
	s_delay_alu instid0(VALU_DEP_2) | instskip(NEXT) | instid1(VALU_DEP_1)
	v_and_b32_e32 v49, 0x7f, v47
	v_cmpx_ne_u32_e32 0x7f, v49
	s_cbranch_execz .LBB299_753
; %bb.750:                              ;   in Loop: Header=BB299_541 Depth=1
	v_and_b32_e32 v45, 7, v47
	v_lshrrev_b32_e32 v48, 3, v49
	s_mov_b32 s14, exec_lo
	v_cmpx_gt_u32_e32 8, v49
; %bb.751:                              ;   in Loop: Header=BB299_541 Depth=1
	s_delay_alu instid0(VALU_DEP_3) | instskip(NEXT) | instid1(VALU_DEP_1)
	v_clz_i32_u32_e32 v45, v45
	v_min_u32_e32 v45, 32, v45
	s_delay_alu instid0(VALU_DEP_1) | instskip(NEXT) | instid1(VALU_DEP_1)
	v_subrev_nc_u32_e32 v48, 28, v45
	v_lshlrev_b64_e32 v[49:50], v48, v[1:2]
	v_sub_nc_u32_e32 v48, 29, v45
	s_delay_alu instid0(VALU_DEP_2)
	v_and_b32_e32 v45, 7, v49
; %bb.752:                              ;   in Loop: Header=BB299_541 Depth=1
	s_wait_alu 0xfffe
	s_or_b32 exec_lo, exec_lo, s14
	v_lshlrev_b32_e32 v1, 8, v47
	v_lshl_add_u32 v47, v48, 10, 0x2000
	v_lshlrev_b32_e32 v45, 23, v45
	s_delay_alu instid0(VALU_DEP_2) | instskip(NEXT) | instid1(VALU_DEP_1)
	v_and_or_b32 v1, 0x8000, v1, v47
	v_lshl_or_b32 v45, v1, 16, v45
.LBB299_753:                            ;   in Loop: Header=BB299_541 Depth=1
	s_or_b32 exec_lo, exec_lo, s13
.LBB299_754:                            ;   in Loop: Header=BB299_541 Depth=1
	s_wait_alu 0xfffe
	s_or_b32 exec_lo, exec_lo, s7
.LBB299_755:                            ;   in Loop: Header=BB299_541 Depth=1
	s_wait_alu 0xfffe
	s_or_b32 exec_lo, exec_lo, s6
	v_lshrrev_b32_e32 v1, 16, v9
	v_mov_b32_e32 v47, 0
	s_mov_b32 s6, exec_lo
	s_delay_alu instid0(VALU_DEP_2) | instskip(NEXT) | instid1(VALU_DEP_1)
	v_dual_mov_b32 v48, 0 :: v_dual_and_b32 v49, 0xff, v1
	v_cmpx_ne_u16_e32 0, v49
	s_cbranch_execz .LBB299_763
; %bb.756:                              ;   in Loop: Header=BB299_541 Depth=1
	v_mov_b32_e32 v48, 0x8000
	s_mov_b32 s7, exec_lo
	v_cmpx_ne_u16_e32 0x80, v49
	s_cbranch_execz .LBB299_762
; %bb.757:                              ;   in Loop: Header=BB299_541 Depth=1
	v_bfe_u32 v50, v9, 16, 7
	v_mov_b32_e32 v48, 0x7c01
	s_mov_b32 s13, exec_lo
	s_delay_alu instid0(VALU_DEP_2)
	v_cmpx_ne_u32_e32 0x7f, v50
	s_cbranch_execz .LBB299_761
; %bb.758:                              ;   in Loop: Header=BB299_541 Depth=1
	v_and_b32_e32 v48, 7, v1
	v_lshrrev_b32_e32 v49, 3, v50
	s_mov_b32 s14, exec_lo
	v_cmpx_gt_u32_e32 8, v50
; %bb.759:                              ;   in Loop: Header=BB299_541 Depth=1
	s_delay_alu instid0(VALU_DEP_3) | instskip(NEXT) | instid1(VALU_DEP_1)
	v_clz_i32_u32_e32 v48, v48
	v_min_u32_e32 v50, 32, v48
	s_delay_alu instid0(VALU_DEP_1) | instskip(NEXT) | instid1(VALU_DEP_1)
	v_subrev_nc_u32_e32 v48, 28, v50
	v_lshlrev_b64_e32 v[48:49], v48, v[1:2]
	v_sub_nc_u32_e32 v49, 29, v50
	s_delay_alu instid0(VALU_DEP_2)
	v_and_b32_e32 v48, 7, v48
; %bb.760:                              ;   in Loop: Header=BB299_541 Depth=1
	s_wait_alu 0xfffe
	s_or_b32 exec_lo, exec_lo, s14
	v_lshlrev_b32_e32 v1, 8, v1
	v_lshl_add_u32 v49, v49, 10, 0x2000
	v_lshlrev_b32_e32 v48, 7, v48
	s_delay_alu instid0(VALU_DEP_3) | instskip(NEXT) | instid1(VALU_DEP_3)
	v_and_b32_e32 v1, 0x8000, v1
	v_and_b32_e32 v49, 0xfc00, v49
	s_delay_alu instid0(VALU_DEP_1)
	v_or3_b32 v48, v1, v49, v48
.LBB299_761:                            ;   in Loop: Header=BB299_541 Depth=1
	s_or_b32 exec_lo, exec_lo, s13
.LBB299_762:                            ;   in Loop: Header=BB299_541 Depth=1
	s_wait_alu 0xfffe
	s_or_b32 exec_lo, exec_lo, s7
.LBB299_763:                            ;   in Loop: Header=BB299_541 Depth=1
	s_wait_alu 0xfffe
	s_or_b32 exec_lo, exec_lo, s6
	s_delay_alu instid0(SALU_CYCLE_1)
	s_mov_b32 s6, exec_lo
	v_cmpx_lt_u32_e32 0xffffff, v9
	s_cbranch_execz .LBB299_771
; %bb.764:                              ;   in Loop: Header=BB299_541 Depth=1
	v_lshrrev_b32_e32 v1, 24, v9
	v_bfrev_b32_e32 v47, 1
	s_mov_b32 s7, exec_lo
	s_delay_alu instid0(VALU_DEP_2)
	v_cmpx_ne_u32_e32 0x80, v1
	s_cbranch_execz .LBB299_770
; %bb.765:                              ;   in Loop: Header=BB299_541 Depth=1
	v_and_b32_e32 v50, 0x7f, v1
	v_mov_b32_e32 v47, 0x7c010000
	s_mov_b32 s13, exec_lo
	s_delay_alu instid0(VALU_DEP_2)
	v_cmpx_ne_u32_e32 0x7f, v50
	s_cbranch_execz .LBB299_769
; %bb.766:                              ;   in Loop: Header=BB299_541 Depth=1
	v_and_b32_e32 v47, 7, v1
	v_lshrrev_b32_e32 v49, 3, v50
	s_mov_b32 s14, exec_lo
	v_cmpx_gt_u32_e32 8, v50
; %bb.767:                              ;   in Loop: Header=BB299_541 Depth=1
	s_delay_alu instid0(VALU_DEP_3) | instskip(NEXT) | instid1(VALU_DEP_1)
	v_clz_i32_u32_e32 v47, v47
	v_min_u32_e32 v47, 32, v47
	s_delay_alu instid0(VALU_DEP_1) | instskip(NEXT) | instid1(VALU_DEP_1)
	v_subrev_nc_u32_e32 v49, 28, v47
	v_lshlrev_b64_e32 v[50:51], v49, v[1:2]
	v_sub_nc_u32_e32 v49, 29, v47
	s_delay_alu instid0(VALU_DEP_2)
	v_and_b32_e32 v47, 7, v50
; %bb.768:                              ;   in Loop: Header=BB299_541 Depth=1
	s_wait_alu 0xfffe
	s_or_b32 exec_lo, exec_lo, s14
	v_lshlrev_b32_e32 v1, 8, v1
	v_lshl_add_u32 v49, v49, 10, 0x2000
	v_lshlrev_b32_e32 v47, 23, v47
	s_delay_alu instid0(VALU_DEP_2) | instskip(NEXT) | instid1(VALU_DEP_1)
	v_and_or_b32 v1, 0x8000, v1, v49
	v_lshl_or_b32 v47, v1, 16, v47
.LBB299_769:                            ;   in Loop: Header=BB299_541 Depth=1
	s_or_b32 exec_lo, exec_lo, s13
.LBB299_770:                            ;   in Loop: Header=BB299_541 Depth=1
	s_wait_alu 0xfffe
	s_or_b32 exec_lo, exec_lo, s7
.LBB299_771:                            ;   in Loop: Header=BB299_541 Depth=1
	s_wait_alu 0xfffe
	s_or_b32 exec_lo, exec_lo, s6
	v_dual_mov_b32 v50, 0 :: v_dual_and_b32 v51, 0xff, v10
	v_mov_b32_e32 v1, v10
	v_mov_b32_e32 v49, 0
	s_mov_b32 s6, exec_lo
	s_delay_alu instid0(VALU_DEP_3)
	v_cmpx_ne_u16_e32 0, v51
	s_cbranch_execz .LBB299_779
; %bb.772:                              ;   in Loop: Header=BB299_541 Depth=1
	v_mov_b32_e32 v50, 0x8000
	s_mov_b32 s7, exec_lo
	v_cmpx_ne_u16_e32 0x80, v51
	s_cbranch_execz .LBB299_778
; %bb.773:                              ;   in Loop: Header=BB299_541 Depth=1
	v_and_b32_e32 v52, 0x7f, v10
	v_mov_b32_e32 v50, 0x7c01
	s_mov_b32 s13, exec_lo
	s_delay_alu instid0(VALU_DEP_2)
	v_cmpx_ne_u32_e32 0x7f, v52
	s_cbranch_execz .LBB299_777
; %bb.774:                              ;   in Loop: Header=BB299_541 Depth=1
	v_and_b32_e32 v50, 7, v10
	v_lshrrev_b32_e32 v51, 3, v52
	s_mov_b32 s14, exec_lo
	v_cmpx_gt_u32_e32 8, v52
; %bb.775:                              ;   in Loop: Header=BB299_541 Depth=1
	s_delay_alu instid0(VALU_DEP_3) | instskip(NEXT) | instid1(VALU_DEP_1)
	v_clz_i32_u32_e32 v50, v50
	v_min_u32_e32 v52, 32, v50
	s_delay_alu instid0(VALU_DEP_1) | instskip(NEXT) | instid1(VALU_DEP_1)
	v_subrev_nc_u32_e32 v50, 28, v52
	v_lshlrev_b64_e32 v[50:51], v50, v[1:2]
	v_sub_nc_u32_e32 v51, 29, v52
	s_delay_alu instid0(VALU_DEP_2)
	v_and_b32_e32 v50, 7, v50
; %bb.776:                              ;   in Loop: Header=BB299_541 Depth=1
	s_wait_alu 0xfffe
	s_or_b32 exec_lo, exec_lo, s14
	v_lshlrev_b32_e32 v52, 8, v10
	v_lshl_add_u32 v51, v51, 10, 0x2000
	v_lshlrev_b32_e32 v50, 7, v50
	s_delay_alu instid0(VALU_DEP_3) | instskip(NEXT) | instid1(VALU_DEP_3)
	v_and_b32_e32 v52, 0x8000, v52
	v_and_b32_e32 v51, 0xfc00, v51
	s_delay_alu instid0(VALU_DEP_1)
	v_or3_b32 v50, v52, v51, v50
.LBB299_777:                            ;   in Loop: Header=BB299_541 Depth=1
	s_or_b32 exec_lo, exec_lo, s13
.LBB299_778:                            ;   in Loop: Header=BB299_541 Depth=1
	s_wait_alu 0xfffe
	s_or_b32 exec_lo, exec_lo, s7
.LBB299_779:                            ;   in Loop: Header=BB299_541 Depth=1
	s_wait_alu 0xfffe
	s_or_b32 exec_lo, exec_lo, s6
	v_lshrrev_b16 v1, 8, v1
	v_mov_b32_e32 v51, 0
	s_mov_b32 s6, exec_lo
	s_delay_alu instid0(VALU_DEP_2)
	v_cmpx_ne_u16_e32 0, v1
	s_cbranch_execz .LBB299_787
; %bb.780:                              ;   in Loop: Header=BB299_541 Depth=1
	v_bfrev_b32_e32 v51, 1
	s_mov_b32 s7, exec_lo
	v_cmpx_ne_u16_e32 0x80, v1
	s_cbranch_execz .LBB299_786
; %bb.781:                              ;   in Loop: Header=BB299_541 Depth=1
	v_and_b32_e32 v52, 0xffff, v1
	v_mov_b32_e32 v51, 0x7c010000
	s_mov_b32 s13, exec_lo
	s_delay_alu instid0(VALU_DEP_2) | instskip(NEXT) | instid1(VALU_DEP_1)
	v_and_b32_e32 v54, 0x7f, v52
	v_cmpx_ne_u32_e32 0x7f, v54
	s_cbranch_execz .LBB299_785
; %bb.782:                              ;   in Loop: Header=BB299_541 Depth=1
	v_and_b32_e32 v51, 7, v52
	v_lshrrev_b32_e32 v53, 3, v54
	s_mov_b32 s14, exec_lo
	v_cmpx_gt_u32_e32 8, v54
; %bb.783:                              ;   in Loop: Header=BB299_541 Depth=1
	s_delay_alu instid0(VALU_DEP_3) | instskip(NEXT) | instid1(VALU_DEP_1)
	v_clz_i32_u32_e32 v51, v51
	v_min_u32_e32 v51, 32, v51
	s_delay_alu instid0(VALU_DEP_1) | instskip(NEXT) | instid1(VALU_DEP_1)
	v_subrev_nc_u32_e32 v53, 28, v51
	v_lshlrev_b64_e32 v[54:55], v53, v[1:2]
	v_sub_nc_u32_e32 v53, 29, v51
	s_delay_alu instid0(VALU_DEP_2)
	v_and_b32_e32 v51, 7, v54
; %bb.784:                              ;   in Loop: Header=BB299_541 Depth=1
	s_wait_alu 0xfffe
	s_or_b32 exec_lo, exec_lo, s14
	v_lshlrev_b32_e32 v1, 8, v52
	v_lshl_add_u32 v52, v53, 10, 0x2000
	v_lshlrev_b32_e32 v51, 23, v51
	s_delay_alu instid0(VALU_DEP_2) | instskip(NEXT) | instid1(VALU_DEP_1)
	v_and_or_b32 v1, 0x8000, v1, v52
	v_lshl_or_b32 v51, v1, 16, v51
.LBB299_785:                            ;   in Loop: Header=BB299_541 Depth=1
	s_or_b32 exec_lo, exec_lo, s13
.LBB299_786:                            ;   in Loop: Header=BB299_541 Depth=1
	s_wait_alu 0xfffe
	s_or_b32 exec_lo, exec_lo, s7
.LBB299_787:                            ;   in Loop: Header=BB299_541 Depth=1
	s_wait_alu 0xfffe
	s_or_b32 exec_lo, exec_lo, s6
	v_lshrrev_b32_e32 v1, 16, v10
	s_mov_b32 s6, exec_lo
	s_delay_alu instid0(VALU_DEP_1) | instskip(NEXT) | instid1(VALU_DEP_1)
	v_and_b32_e32 v52, 0xff, v1
	v_cmpx_ne_u16_e32 0, v52
	s_cbranch_execz .LBB299_795
; %bb.788:                              ;   in Loop: Header=BB299_541 Depth=1
	v_mov_b32_e32 v49, 0x8000
	s_mov_b32 s7, exec_lo
	v_cmpx_ne_u16_e32 0x80, v52
	s_cbranch_execz .LBB299_794
; %bb.789:                              ;   in Loop: Header=BB299_541 Depth=1
	v_bfe_u32 v53, v10, 16, 7
	v_mov_b32_e32 v49, 0x7c01
	s_mov_b32 s13, exec_lo
	s_delay_alu instid0(VALU_DEP_2)
	v_cmpx_ne_u32_e32 0x7f, v53
	s_cbranch_execz .LBB299_793
; %bb.790:                              ;   in Loop: Header=BB299_541 Depth=1
	v_and_b32_e32 v49, 7, v1
	v_lshrrev_b32_e32 v52, 3, v53
	s_mov_b32 s14, exec_lo
	v_cmpx_gt_u32_e32 8, v53
; %bb.791:                              ;   in Loop: Header=BB299_541 Depth=1
	s_delay_alu instid0(VALU_DEP_3) | instskip(NEXT) | instid1(VALU_DEP_1)
	v_clz_i32_u32_e32 v49, v49
	v_min_u32_e32 v49, 32, v49
	s_delay_alu instid0(VALU_DEP_1) | instskip(NEXT) | instid1(VALU_DEP_1)
	v_subrev_nc_u32_e32 v52, 28, v49
	v_lshlrev_b64_e32 v[53:54], v52, v[1:2]
	v_sub_nc_u32_e32 v52, 29, v49
	s_delay_alu instid0(VALU_DEP_2)
	v_and_b32_e32 v49, 7, v53
; %bb.792:                              ;   in Loop: Header=BB299_541 Depth=1
	s_wait_alu 0xfffe
	s_or_b32 exec_lo, exec_lo, s14
	v_lshlrev_b32_e32 v1, 8, v1
	v_lshl_add_u32 v52, v52, 10, 0x2000
	v_lshlrev_b32_e32 v49, 7, v49
	s_delay_alu instid0(VALU_DEP_3) | instskip(NEXT) | instid1(VALU_DEP_3)
	v_and_b32_e32 v1, 0x8000, v1
	v_and_b32_e32 v52, 0xfc00, v52
	s_delay_alu instid0(VALU_DEP_1)
	v_or3_b32 v49, v1, v52, v49
.LBB299_793:                            ;   in Loop: Header=BB299_541 Depth=1
	s_or_b32 exec_lo, exec_lo, s13
.LBB299_794:                            ;   in Loop: Header=BB299_541 Depth=1
	s_wait_alu 0xfffe
	s_or_b32 exec_lo, exec_lo, s7
.LBB299_795:                            ;   in Loop: Header=BB299_541 Depth=1
	s_wait_alu 0xfffe
	s_or_b32 exec_lo, exec_lo, s6
	v_cmp_lt_u64_e64 s0, s[2:3], v[9:10]
	v_mov_b32_e32 v9, 0
	s_and_saveexec_b32 s6, s0
	s_cbranch_execz .LBB299_803
; %bb.796:                              ;   in Loop: Header=BB299_541 Depth=1
	v_lshrrev_b32_e32 v1, 24, v10
	v_bfrev_b32_e32 v9, 1
	s_mov_b32 s7, exec_lo
	s_delay_alu instid0(VALU_DEP_2)
	v_cmpx_ne_u32_e32 0x80, v1
	s_cbranch_execz .LBB299_802
; %bb.797:                              ;   in Loop: Header=BB299_541 Depth=1
	v_and_b32_e32 v52, 0x7f, v1
	v_mov_b32_e32 v9, 0x7c010000
	s_mov_b32 s13, exec_lo
	s_delay_alu instid0(VALU_DEP_2)
	v_cmpx_ne_u32_e32 0x7f, v52
	s_cbranch_execz .LBB299_801
; %bb.798:                              ;   in Loop: Header=BB299_541 Depth=1
	v_and_b32_e32 v9, 7, v1
	v_lshrrev_b32_e32 v10, 3, v52
	s_mov_b32 s14, exec_lo
	v_cmpx_gt_u32_e32 8, v52
; %bb.799:                              ;   in Loop: Header=BB299_541 Depth=1
	s_delay_alu instid0(VALU_DEP_3) | instskip(NEXT) | instid1(VALU_DEP_1)
	v_clz_i32_u32_e32 v9, v9
	v_min_u32_e32 v52, 32, v9
	s_delay_alu instid0(VALU_DEP_1) | instskip(NEXT) | instid1(VALU_DEP_1)
	v_subrev_nc_u32_e32 v9, 28, v52
	v_lshlrev_b64_e32 v[9:10], v9, v[1:2]
	v_sub_nc_u32_e32 v10, 29, v52
	s_delay_alu instid0(VALU_DEP_2)
	v_and_b32_e32 v9, 7, v9
; %bb.800:                              ;   in Loop: Header=BB299_541 Depth=1
	s_wait_alu 0xfffe
	s_or_b32 exec_lo, exec_lo, s14
	v_lshlrev_b32_e32 v1, 8, v1
	v_lshl_add_u32 v10, v10, 10, 0x2000
	v_lshlrev_b32_e32 v9, 23, v9
	s_delay_alu instid0(VALU_DEP_2) | instskip(NEXT) | instid1(VALU_DEP_1)
	v_and_or_b32 v1, 0x8000, v1, v10
	v_lshl_or_b32 v9, v1, 16, v9
.LBB299_801:                            ;   in Loop: Header=BB299_541 Depth=1
	s_or_b32 exec_lo, exec_lo, s13
.LBB299_802:                            ;   in Loop: Header=BB299_541 Depth=1
	s_wait_alu 0xfffe
	s_or_b32 exec_lo, exec_lo, s7
.LBB299_803:                            ;   in Loop: Header=BB299_541 Depth=1
	s_wait_alu 0xfffe
	s_or_b32 exec_lo, exec_lo, s6
	v_or_b32_e32 v1, v47, v48
	s_wait_loadcnt 0x0
	v_fma_mixlo_f16 v10, v44, v47, 0 op_sel:[0,1,0] op_sel_hi:[0,1,0]
	v_or_b32_e32 v47, v45, v46
	v_fma_mixlo_f16 v45, v44, v45, 0 op_sel:[0,1,0] op_sel_hi:[0,1,0]
	v_or_b32_e32 v48, v51, v50
	v_or_b32_e32 v49, v9, v49
	v_fma_mixlo_f16 v50, v44, v1, 0 op_sel_hi:[0,1,0]
	v_fma_mixlo_f16 v9, v44, v9, 0 op_sel:[0,1,0] op_sel_hi:[0,1,0]
	v_lshlrev_b32_e32 v46, 16, v45
	v_fma_mixlo_f16 v45, v44, v47, 0 op_sel_hi:[0,1,0]
	v_fma_mixlo_f16 v47, v44, v51, 0 op_sel:[0,1,0] op_sel_hi:[0,1,0]
	v_fma_mixlo_f16 v48, v44, v48, 0 op_sel_hi:[0,1,0]
	v_fma_mixlo_f16 v49, v44, v49, 0 op_sel_hi:[0,1,0]
	v_lshlrev_b32_e32 v1, 16, v10
	v_and_b32_e32 v10, 0xffff, v50
	v_and_b32_e32 v52, 0xffff, v45
	v_lshlrev_b32_e32 v44, 16, v47
	v_and_b32_e32 v48, 0xffff, v48
	v_lshlrev_b32_e32 v9, 16, v9
	v_and_b32_e32 v45, 0xffff, v49
	v_or_b32_e32 v47, v1, v10
	v_or_b32_e32 v51, v46, v52
	;; [unrolled: 1-line block ×3, first 2 shown]
	s_delay_alu instid0(VALU_DEP_4)
	v_or_b32_e32 v49, v9, v45
	s_and_saveexec_b32 s6, vcc_lo
	s_cbranch_execz .LBB299_805
; %bb.804:                              ;   in Loop: Header=BB299_541 Depth=1
	v_cmp_gt_i32_e64 s0, s27, v14
	s_wait_alu 0xf1ff
	s_delay_alu instid0(VALU_DEP_1) | instskip(SKIP_2) | instid1(VALU_DEP_1)
	v_cndmask_b32_e64 v47, 0, v52, s0
	v_cmp_gt_i32_e64 s0, s27, v33
	s_wait_alu 0xf1ff
	v_cndmask_b32_e64 v46, 0, v46, s0
	v_cmp_gt_i32_e64 s0, s27, v32
	s_delay_alu instid0(VALU_DEP_2) | instskip(SKIP_1) | instid1(VALU_DEP_2)
	v_or_b32_e32 v51, v46, v47
	s_wait_alu 0xf1ff
	v_cndmask_b32_e64 v10, 0, v10, s0
	v_cmp_gt_i32_e64 s0, s27, v31
	s_wait_alu 0xf1ff
	s_delay_alu instid0(VALU_DEP_1) | instskip(SKIP_1) | instid1(VALU_DEP_2)
	v_cndmask_b32_e64 v1, 0, v1, s0
	v_cmp_gt_i32_e64 s0, s27, v30
	v_or_b32_e32 v47, v1, v10
	s_wait_alu 0xf1ff
	s_delay_alu instid0(VALU_DEP_2) | instskip(SKIP_2) | instid1(VALU_DEP_1)
	v_cndmask_b32_e64 v48, 0, v48, s0
	v_cmp_gt_i32_e64 s0, s27, v29
	s_wait_alu 0xf1ff
	v_cndmask_b32_e64 v44, 0, v44, s0
	v_cmp_gt_i32_e64 s0, s27, v28
	s_delay_alu instid0(VALU_DEP_2) | instskip(SKIP_1) | instid1(VALU_DEP_2)
	v_or_b32_e32 v50, v44, v48
	s_wait_alu 0xf1ff
	v_cndmask_b32_e64 v45, 0, v45, s0
	v_cmp_gt_i32_e64 s0, s27, v26
	s_wait_alu 0xf1ff
	s_delay_alu instid0(VALU_DEP_1) | instskip(NEXT) | instid1(VALU_DEP_1)
	v_cndmask_b32_e64 v9, 0, v9, s0
	v_or_b32_e32 v49, v9, v45
.LBB299_805:                            ;   in Loop: Header=BB299_541 Depth=1
	s_wait_alu 0xfffe
	s_or_b32 exec_lo, exec_lo, s6
	;;#ASMSTART
	v_pk_mul_f16 v1, v38, v51;

	;;#ASMEND
	;;#ASMSTART
	v_pk_mul_f16 v9, v36, v47;

	;;#ASMEND
	;; [unrolled: 4-line block ×4, first 2 shown]
	;;#ASMSTART
	v_pk_add_f16 v1, v1, v9;

	;;#ASMEND
	;;#ASMSTART
	v_pk_add_f16 v1, v1, v10;

	;;#ASMEND
	;; [unrolled: 4-line block ×3, first 2 shown]
	v_dual_mov_b32 v48, 0 :: v_dual_and_b32 v9, 0xffff, v1
	v_lshrrev_b32_e32 v1, 16, v1
	;;#ASMSTART
	v_cvt_f32_f16 v44, v9;
	;;#ASMEND
	;;#ASMSTART
	v_cvt_f32_f16 v45, v1;
	;;#ASMEND
	global_load_b64 v[9:10], v[7:8], off offset:1024
	v_mov_b32_e32 v47, 0
	s_mov_b32 s6, exec_lo
	global_load_b32 v46, v47, s[10:11]
	s_wait_loadcnt 0x1
	v_and_b32_e32 v1, 0xff, v9
	s_delay_alu instid0(VALU_DEP_1)
	v_cmpx_ne_u16_e32 0, v1
	s_cbranch_execz .LBB299_813
; %bb.806:                              ;   in Loop: Header=BB299_541 Depth=1
	v_mov_b32_e32 v48, 0x8000
	s_mov_b32 s7, exec_lo
	v_cmpx_ne_u16_e32 0x80, v1
	s_cbranch_execz .LBB299_812
; %bb.807:                              ;   in Loop: Header=BB299_541 Depth=1
	v_and_b32_e32 v49, 0x7f, v9
	v_mov_b32_e32 v48, 0x7c01
	s_mov_b32 s13, exec_lo
	s_delay_alu instid0(VALU_DEP_2)
	v_cmpx_ne_u32_e32 0x7f, v49
	s_cbranch_execz .LBB299_811
; %bb.808:                              ;   in Loop: Header=BB299_541 Depth=1
	v_and_b32_e32 v1, 7, v9
	v_lshrrev_b32_e32 v48, 3, v49
	s_mov_b32 s14, exec_lo
	v_cmpx_gt_u32_e32 8, v49
; %bb.809:                              ;   in Loop: Header=BB299_541 Depth=1
	s_delay_alu instid0(VALU_DEP_3) | instskip(NEXT) | instid1(VALU_DEP_1)
	v_clz_i32_u32_e32 v1, v1
	v_min_u32_e32 v1, 32, v1
	s_delay_alu instid0(VALU_DEP_1) | instskip(NEXT) | instid1(VALU_DEP_1)
	v_subrev_nc_u32_e32 v48, 28, v1
	v_lshlrev_b64_e32 v[49:50], v48, v[9:10]
	v_sub_nc_u32_e32 v48, 29, v1
	s_delay_alu instid0(VALU_DEP_2)
	v_and_b32_e32 v1, 7, v49
; %bb.810:                              ;   in Loop: Header=BB299_541 Depth=1
	s_wait_alu 0xfffe
	s_or_b32 exec_lo, exec_lo, s14
	v_lshlrev_b32_e32 v49, 8, v9
	v_lshl_add_u32 v48, v48, 10, 0x2000
	v_lshlrev_b32_e32 v1, 7, v1
	s_delay_alu instid0(VALU_DEP_3) | instskip(NEXT) | instid1(VALU_DEP_3)
	v_and_b32_e32 v49, 0x8000, v49
	v_and_b32_e32 v48, 0xfc00, v48
	s_delay_alu instid0(VALU_DEP_1)
	v_or3_b32 v48, v49, v48, v1
.LBB299_811:                            ;   in Loop: Header=BB299_541 Depth=1
	s_or_b32 exec_lo, exec_lo, s13
.LBB299_812:                            ;   in Loop: Header=BB299_541 Depth=1
	s_wait_alu 0xfffe
	s_or_b32 exec_lo, exec_lo, s7
.LBB299_813:                            ;   in Loop: Header=BB299_541 Depth=1
	s_wait_alu 0xfffe
	s_or_b32 exec_lo, exec_lo, s6
	v_lshrrev_b16 v1, 8, v9
	s_mov_b32 s6, exec_lo
	s_delay_alu instid0(VALU_DEP_1)
	v_cmpx_ne_u16_e32 0, v1
	s_cbranch_execz .LBB299_821
; %bb.814:                              ;   in Loop: Header=BB299_541 Depth=1
	v_bfrev_b32_e32 v47, 1
	s_mov_b32 s7, exec_lo
	v_cmpx_ne_u16_e32 0x80, v1
	s_cbranch_execz .LBB299_820
; %bb.815:                              ;   in Loop: Header=BB299_541 Depth=1
	v_and_b32_e32 v49, 0xffff, v1
	v_mov_b32_e32 v47, 0x7c010000
	s_mov_b32 s13, exec_lo
	s_delay_alu instid0(VALU_DEP_2) | instskip(NEXT) | instid1(VALU_DEP_1)
	v_and_b32_e32 v51, 0x7f, v49
	v_cmpx_ne_u32_e32 0x7f, v51
	s_cbranch_execz .LBB299_819
; %bb.816:                              ;   in Loop: Header=BB299_541 Depth=1
	v_and_b32_e32 v47, 7, v49
	v_lshrrev_b32_e32 v50, 3, v51
	s_mov_b32 s14, exec_lo
	v_cmpx_gt_u32_e32 8, v51
; %bb.817:                              ;   in Loop: Header=BB299_541 Depth=1
	s_delay_alu instid0(VALU_DEP_3) | instskip(NEXT) | instid1(VALU_DEP_1)
	v_clz_i32_u32_e32 v47, v47
	v_min_u32_e32 v47, 32, v47
	s_delay_alu instid0(VALU_DEP_1) | instskip(NEXT) | instid1(VALU_DEP_1)
	v_subrev_nc_u32_e32 v50, 28, v47
	v_lshlrev_b64_e32 v[51:52], v50, v[1:2]
	v_sub_nc_u32_e32 v50, 29, v47
	s_delay_alu instid0(VALU_DEP_2)
	v_and_b32_e32 v47, 7, v51
; %bb.818:                              ;   in Loop: Header=BB299_541 Depth=1
	s_wait_alu 0xfffe
	s_or_b32 exec_lo, exec_lo, s14
	v_lshlrev_b32_e32 v1, 8, v49
	v_lshl_add_u32 v49, v50, 10, 0x2000
	v_lshlrev_b32_e32 v47, 23, v47
	s_delay_alu instid0(VALU_DEP_2) | instskip(NEXT) | instid1(VALU_DEP_1)
	v_and_or_b32 v1, 0x8000, v1, v49
	v_lshl_or_b32 v47, v1, 16, v47
.LBB299_819:                            ;   in Loop: Header=BB299_541 Depth=1
	s_or_b32 exec_lo, exec_lo, s13
.LBB299_820:                            ;   in Loop: Header=BB299_541 Depth=1
	s_wait_alu 0xfffe
	s_or_b32 exec_lo, exec_lo, s7
.LBB299_821:                            ;   in Loop: Header=BB299_541 Depth=1
	s_wait_alu 0xfffe
	s_or_b32 exec_lo, exec_lo, s6
	v_lshrrev_b32_e32 v1, 16, v9
	v_mov_b32_e32 v49, 0
	s_mov_b32 s6, exec_lo
	s_delay_alu instid0(VALU_DEP_2) | instskip(NEXT) | instid1(VALU_DEP_1)
	v_dual_mov_b32 v50, 0 :: v_dual_and_b32 v51, 0xff, v1
	v_cmpx_ne_u16_e32 0, v51
	s_cbranch_execz .LBB299_829
; %bb.822:                              ;   in Loop: Header=BB299_541 Depth=1
	v_mov_b32_e32 v50, 0x8000
	s_mov_b32 s7, exec_lo
	v_cmpx_ne_u16_e32 0x80, v51
	s_cbranch_execz .LBB299_828
; %bb.823:                              ;   in Loop: Header=BB299_541 Depth=1
	v_bfe_u32 v52, v9, 16, 7
	v_mov_b32_e32 v50, 0x7c01
	s_mov_b32 s13, exec_lo
	s_delay_alu instid0(VALU_DEP_2)
	v_cmpx_ne_u32_e32 0x7f, v52
	s_cbranch_execz .LBB299_827
; %bb.824:                              ;   in Loop: Header=BB299_541 Depth=1
	v_and_b32_e32 v50, 7, v1
	v_lshrrev_b32_e32 v51, 3, v52
	s_mov_b32 s14, exec_lo
	v_cmpx_gt_u32_e32 8, v52
; %bb.825:                              ;   in Loop: Header=BB299_541 Depth=1
	s_delay_alu instid0(VALU_DEP_3) | instskip(NEXT) | instid1(VALU_DEP_1)
	v_clz_i32_u32_e32 v50, v50
	v_min_u32_e32 v52, 32, v50
	s_delay_alu instid0(VALU_DEP_1) | instskip(NEXT) | instid1(VALU_DEP_1)
	v_subrev_nc_u32_e32 v50, 28, v52
	v_lshlrev_b64_e32 v[50:51], v50, v[1:2]
	v_sub_nc_u32_e32 v51, 29, v52
	s_delay_alu instid0(VALU_DEP_2)
	v_and_b32_e32 v50, 7, v50
; %bb.826:                              ;   in Loop: Header=BB299_541 Depth=1
	s_wait_alu 0xfffe
	s_or_b32 exec_lo, exec_lo, s14
	v_lshlrev_b32_e32 v1, 8, v1
	v_lshl_add_u32 v51, v51, 10, 0x2000
	v_lshlrev_b32_e32 v50, 7, v50
	s_delay_alu instid0(VALU_DEP_3) | instskip(NEXT) | instid1(VALU_DEP_3)
	v_and_b32_e32 v1, 0x8000, v1
	v_and_b32_e32 v51, 0xfc00, v51
	s_delay_alu instid0(VALU_DEP_1)
	v_or3_b32 v50, v1, v51, v50
.LBB299_827:                            ;   in Loop: Header=BB299_541 Depth=1
	s_or_b32 exec_lo, exec_lo, s13
.LBB299_828:                            ;   in Loop: Header=BB299_541 Depth=1
	s_wait_alu 0xfffe
	s_or_b32 exec_lo, exec_lo, s7
.LBB299_829:                            ;   in Loop: Header=BB299_541 Depth=1
	s_wait_alu 0xfffe
	s_or_b32 exec_lo, exec_lo, s6
	s_delay_alu instid0(SALU_CYCLE_1)
	s_mov_b32 s6, exec_lo
	v_cmpx_lt_u32_e32 0xffffff, v9
	s_cbranch_execz .LBB299_837
; %bb.830:                              ;   in Loop: Header=BB299_541 Depth=1
	v_lshrrev_b32_e32 v1, 24, v9
	v_bfrev_b32_e32 v49, 1
	s_mov_b32 s7, exec_lo
	s_delay_alu instid0(VALU_DEP_2)
	v_cmpx_ne_u32_e32 0x80, v1
	s_cbranch_execz .LBB299_836
; %bb.831:                              ;   in Loop: Header=BB299_541 Depth=1
	v_and_b32_e32 v52, 0x7f, v1
	v_mov_b32_e32 v49, 0x7c010000
	s_mov_b32 s13, exec_lo
	s_delay_alu instid0(VALU_DEP_2)
	v_cmpx_ne_u32_e32 0x7f, v52
	s_cbranch_execz .LBB299_835
; %bb.832:                              ;   in Loop: Header=BB299_541 Depth=1
	v_and_b32_e32 v49, 7, v1
	v_lshrrev_b32_e32 v51, 3, v52
	s_mov_b32 s14, exec_lo
	v_cmpx_gt_u32_e32 8, v52
; %bb.833:                              ;   in Loop: Header=BB299_541 Depth=1
	s_delay_alu instid0(VALU_DEP_3) | instskip(NEXT) | instid1(VALU_DEP_1)
	v_clz_i32_u32_e32 v49, v49
	v_min_u32_e32 v49, 32, v49
	s_delay_alu instid0(VALU_DEP_1) | instskip(NEXT) | instid1(VALU_DEP_1)
	v_subrev_nc_u32_e32 v51, 28, v49
	v_lshlrev_b64_e32 v[52:53], v51, v[1:2]
	v_sub_nc_u32_e32 v51, 29, v49
	s_delay_alu instid0(VALU_DEP_2)
	v_and_b32_e32 v49, 7, v52
; %bb.834:                              ;   in Loop: Header=BB299_541 Depth=1
	s_wait_alu 0xfffe
	s_or_b32 exec_lo, exec_lo, s14
	v_lshlrev_b32_e32 v1, 8, v1
	v_lshl_add_u32 v51, v51, 10, 0x2000
	v_lshlrev_b32_e32 v49, 23, v49
	s_delay_alu instid0(VALU_DEP_2) | instskip(NEXT) | instid1(VALU_DEP_1)
	v_and_or_b32 v1, 0x8000, v1, v51
	v_lshl_or_b32 v49, v1, 16, v49
.LBB299_835:                            ;   in Loop: Header=BB299_541 Depth=1
	s_or_b32 exec_lo, exec_lo, s13
.LBB299_836:                            ;   in Loop: Header=BB299_541 Depth=1
	s_wait_alu 0xfffe
	s_or_b32 exec_lo, exec_lo, s7
.LBB299_837:                            ;   in Loop: Header=BB299_541 Depth=1
	s_wait_alu 0xfffe
	s_or_b32 exec_lo, exec_lo, s6
	v_dual_mov_b32 v52, 0 :: v_dual_and_b32 v53, 0xff, v10
	v_mov_b32_e32 v1, v10
	v_mov_b32_e32 v51, 0
	s_mov_b32 s6, exec_lo
	s_delay_alu instid0(VALU_DEP_3)
	v_cmpx_ne_u16_e32 0, v53
	s_cbranch_execz .LBB299_845
; %bb.838:                              ;   in Loop: Header=BB299_541 Depth=1
	v_mov_b32_e32 v52, 0x8000
	s_mov_b32 s7, exec_lo
	v_cmpx_ne_u16_e32 0x80, v53
	s_cbranch_execz .LBB299_844
; %bb.839:                              ;   in Loop: Header=BB299_541 Depth=1
	v_and_b32_e32 v54, 0x7f, v10
	v_mov_b32_e32 v52, 0x7c01
	s_mov_b32 s13, exec_lo
	s_delay_alu instid0(VALU_DEP_2)
	v_cmpx_ne_u32_e32 0x7f, v54
	s_cbranch_execz .LBB299_843
; %bb.840:                              ;   in Loop: Header=BB299_541 Depth=1
	v_and_b32_e32 v52, 7, v10
	v_lshrrev_b32_e32 v53, 3, v54
	s_mov_b32 s14, exec_lo
	v_cmpx_gt_u32_e32 8, v54
; %bb.841:                              ;   in Loop: Header=BB299_541 Depth=1
	s_delay_alu instid0(VALU_DEP_3) | instskip(NEXT) | instid1(VALU_DEP_1)
	v_clz_i32_u32_e32 v52, v52
	v_min_u32_e32 v54, 32, v52
	s_delay_alu instid0(VALU_DEP_1) | instskip(NEXT) | instid1(VALU_DEP_1)
	v_subrev_nc_u32_e32 v52, 28, v54
	v_lshlrev_b64_e32 v[52:53], v52, v[1:2]
	v_sub_nc_u32_e32 v53, 29, v54
	s_delay_alu instid0(VALU_DEP_2)
	v_and_b32_e32 v52, 7, v52
; %bb.842:                              ;   in Loop: Header=BB299_541 Depth=1
	s_wait_alu 0xfffe
	s_or_b32 exec_lo, exec_lo, s14
	v_lshlrev_b32_e32 v54, 8, v10
	v_lshl_add_u32 v53, v53, 10, 0x2000
	v_lshlrev_b32_e32 v52, 7, v52
	s_delay_alu instid0(VALU_DEP_3) | instskip(NEXT) | instid1(VALU_DEP_3)
	v_and_b32_e32 v54, 0x8000, v54
	v_and_b32_e32 v53, 0xfc00, v53
	s_delay_alu instid0(VALU_DEP_1)
	v_or3_b32 v52, v54, v53, v52
.LBB299_843:                            ;   in Loop: Header=BB299_541 Depth=1
	s_or_b32 exec_lo, exec_lo, s13
.LBB299_844:                            ;   in Loop: Header=BB299_541 Depth=1
	s_wait_alu 0xfffe
	s_or_b32 exec_lo, exec_lo, s7
.LBB299_845:                            ;   in Loop: Header=BB299_541 Depth=1
	s_wait_alu 0xfffe
	s_or_b32 exec_lo, exec_lo, s6
	v_lshrrev_b16 v1, 8, v1
	v_mov_b32_e32 v53, 0
	s_mov_b32 s6, exec_lo
	s_delay_alu instid0(VALU_DEP_2)
	v_cmpx_ne_u16_e32 0, v1
	s_cbranch_execz .LBB299_853
; %bb.846:                              ;   in Loop: Header=BB299_541 Depth=1
	v_bfrev_b32_e32 v53, 1
	s_mov_b32 s7, exec_lo
	v_cmpx_ne_u16_e32 0x80, v1
	s_cbranch_execz .LBB299_852
; %bb.847:                              ;   in Loop: Header=BB299_541 Depth=1
	v_and_b32_e32 v54, 0xffff, v1
	v_mov_b32_e32 v53, 0x7c010000
	s_mov_b32 s13, exec_lo
	s_delay_alu instid0(VALU_DEP_2) | instskip(NEXT) | instid1(VALU_DEP_1)
	v_and_b32_e32 v56, 0x7f, v54
	v_cmpx_ne_u32_e32 0x7f, v56
	s_cbranch_execz .LBB299_851
; %bb.848:                              ;   in Loop: Header=BB299_541 Depth=1
	v_and_b32_e32 v53, 7, v54
	v_lshrrev_b32_e32 v55, 3, v56
	s_mov_b32 s14, exec_lo
	v_cmpx_gt_u32_e32 8, v56
; %bb.849:                              ;   in Loop: Header=BB299_541 Depth=1
	s_delay_alu instid0(VALU_DEP_3) | instskip(NEXT) | instid1(VALU_DEP_1)
	v_clz_i32_u32_e32 v53, v53
	v_min_u32_e32 v53, 32, v53
	s_delay_alu instid0(VALU_DEP_1) | instskip(NEXT) | instid1(VALU_DEP_1)
	v_subrev_nc_u32_e32 v55, 28, v53
	v_lshlrev_b64_e32 v[56:57], v55, v[1:2]
	v_sub_nc_u32_e32 v55, 29, v53
	s_delay_alu instid0(VALU_DEP_2)
	v_and_b32_e32 v53, 7, v56
; %bb.850:                              ;   in Loop: Header=BB299_541 Depth=1
	s_wait_alu 0xfffe
	s_or_b32 exec_lo, exec_lo, s14
	v_lshlrev_b32_e32 v1, 8, v54
	v_lshl_add_u32 v54, v55, 10, 0x2000
	v_lshlrev_b32_e32 v53, 23, v53
	s_delay_alu instid0(VALU_DEP_2) | instskip(NEXT) | instid1(VALU_DEP_1)
	v_and_or_b32 v1, 0x8000, v1, v54
	v_lshl_or_b32 v53, v1, 16, v53
.LBB299_851:                            ;   in Loop: Header=BB299_541 Depth=1
	s_or_b32 exec_lo, exec_lo, s13
.LBB299_852:                            ;   in Loop: Header=BB299_541 Depth=1
	s_wait_alu 0xfffe
	s_or_b32 exec_lo, exec_lo, s7
.LBB299_853:                            ;   in Loop: Header=BB299_541 Depth=1
	s_wait_alu 0xfffe
	s_or_b32 exec_lo, exec_lo, s6
	v_lshrrev_b32_e32 v1, 16, v10
	s_mov_b32 s6, exec_lo
	s_delay_alu instid0(VALU_DEP_1) | instskip(NEXT) | instid1(VALU_DEP_1)
	v_and_b32_e32 v54, 0xff, v1
	v_cmpx_ne_u16_e32 0, v54
	s_cbranch_execz .LBB299_861
; %bb.854:                              ;   in Loop: Header=BB299_541 Depth=1
	v_mov_b32_e32 v51, 0x8000
	s_mov_b32 s7, exec_lo
	v_cmpx_ne_u16_e32 0x80, v54
	s_cbranch_execz .LBB299_860
; %bb.855:                              ;   in Loop: Header=BB299_541 Depth=1
	v_bfe_u32 v55, v10, 16, 7
	v_mov_b32_e32 v51, 0x7c01
	s_mov_b32 s13, exec_lo
	s_delay_alu instid0(VALU_DEP_2)
	v_cmpx_ne_u32_e32 0x7f, v55
	s_cbranch_execz .LBB299_859
; %bb.856:                              ;   in Loop: Header=BB299_541 Depth=1
	v_and_b32_e32 v51, 7, v1
	v_lshrrev_b32_e32 v54, 3, v55
	s_mov_b32 s14, exec_lo
	v_cmpx_gt_u32_e32 8, v55
; %bb.857:                              ;   in Loop: Header=BB299_541 Depth=1
	s_delay_alu instid0(VALU_DEP_3) | instskip(NEXT) | instid1(VALU_DEP_1)
	v_clz_i32_u32_e32 v51, v51
	v_min_u32_e32 v51, 32, v51
	s_delay_alu instid0(VALU_DEP_1) | instskip(NEXT) | instid1(VALU_DEP_1)
	v_subrev_nc_u32_e32 v54, 28, v51
	v_lshlrev_b64_e32 v[55:56], v54, v[1:2]
	v_sub_nc_u32_e32 v54, 29, v51
	s_delay_alu instid0(VALU_DEP_2)
	v_and_b32_e32 v51, 7, v55
; %bb.858:                              ;   in Loop: Header=BB299_541 Depth=1
	s_wait_alu 0xfffe
	s_or_b32 exec_lo, exec_lo, s14
	v_lshlrev_b32_e32 v1, 8, v1
	v_lshl_add_u32 v54, v54, 10, 0x2000
	v_lshlrev_b32_e32 v51, 7, v51
	s_delay_alu instid0(VALU_DEP_3) | instskip(NEXT) | instid1(VALU_DEP_3)
	v_and_b32_e32 v1, 0x8000, v1
	v_and_b32_e32 v54, 0xfc00, v54
	s_delay_alu instid0(VALU_DEP_1)
	v_or3_b32 v51, v1, v54, v51
.LBB299_859:                            ;   in Loop: Header=BB299_541 Depth=1
	s_or_b32 exec_lo, exec_lo, s13
.LBB299_860:                            ;   in Loop: Header=BB299_541 Depth=1
	s_wait_alu 0xfffe
	s_or_b32 exec_lo, exec_lo, s7
.LBB299_861:                            ;   in Loop: Header=BB299_541 Depth=1
	s_wait_alu 0xfffe
	s_or_b32 exec_lo, exec_lo, s6
	v_cmp_lt_u64_e64 s0, s[2:3], v[9:10]
	v_mov_b32_e32 v9, 0
	s_and_saveexec_b32 s6, s0
	s_cbranch_execz .LBB299_869
; %bb.862:                              ;   in Loop: Header=BB299_541 Depth=1
	v_lshrrev_b32_e32 v1, 24, v10
	v_bfrev_b32_e32 v9, 1
	s_mov_b32 s7, exec_lo
	s_delay_alu instid0(VALU_DEP_2)
	v_cmpx_ne_u32_e32 0x80, v1
	s_cbranch_execz .LBB299_868
; %bb.863:                              ;   in Loop: Header=BB299_541 Depth=1
	v_and_b32_e32 v54, 0x7f, v1
	v_mov_b32_e32 v9, 0x7c010000
	s_mov_b32 s13, exec_lo
	s_delay_alu instid0(VALU_DEP_2)
	v_cmpx_ne_u32_e32 0x7f, v54
	s_cbranch_execz .LBB299_867
; %bb.864:                              ;   in Loop: Header=BB299_541 Depth=1
	v_and_b32_e32 v9, 7, v1
	v_lshrrev_b32_e32 v10, 3, v54
	s_mov_b32 s14, exec_lo
	v_cmpx_gt_u32_e32 8, v54
; %bb.865:                              ;   in Loop: Header=BB299_541 Depth=1
	s_delay_alu instid0(VALU_DEP_3) | instskip(NEXT) | instid1(VALU_DEP_1)
	v_clz_i32_u32_e32 v9, v9
	v_min_u32_e32 v54, 32, v9
	s_delay_alu instid0(VALU_DEP_1) | instskip(NEXT) | instid1(VALU_DEP_1)
	v_subrev_nc_u32_e32 v9, 28, v54
	v_lshlrev_b64_e32 v[9:10], v9, v[1:2]
	v_sub_nc_u32_e32 v10, 29, v54
	s_delay_alu instid0(VALU_DEP_2)
	v_and_b32_e32 v9, 7, v9
; %bb.866:                              ;   in Loop: Header=BB299_541 Depth=1
	s_wait_alu 0xfffe
	s_or_b32 exec_lo, exec_lo, s14
	v_lshlrev_b32_e32 v1, 8, v1
	v_lshl_add_u32 v10, v10, 10, 0x2000
	v_lshlrev_b32_e32 v9, 23, v9
	s_delay_alu instid0(VALU_DEP_2) | instskip(NEXT) | instid1(VALU_DEP_1)
	v_and_or_b32 v1, 0x8000, v1, v10
	v_lshl_or_b32 v9, v1, 16, v9
.LBB299_867:                            ;   in Loop: Header=BB299_541 Depth=1
	s_or_b32 exec_lo, exec_lo, s13
.LBB299_868:                            ;   in Loop: Header=BB299_541 Depth=1
	s_wait_alu 0xfffe
	s_or_b32 exec_lo, exec_lo, s7
.LBB299_869:                            ;   in Loop: Header=BB299_541 Depth=1
	s_wait_alu 0xfffe
	s_or_b32 exec_lo, exec_lo, s6
	v_or_b32_e32 v1, v49, v50
	s_wait_loadcnt 0x0
	v_fma_mixlo_f16 v10, v46, v49, 0 op_sel:[0,1,0] op_sel_hi:[0,1,0]
	v_or_b32_e32 v49, v47, v48
	v_fma_mixlo_f16 v47, v46, v47, 0 op_sel:[0,1,0] op_sel_hi:[0,1,0]
	v_or_b32_e32 v50, v53, v52
	v_or_b32_e32 v51, v9, v51
	v_fma_mixlo_f16 v52, v46, v1, 0 op_sel_hi:[0,1,0]
	v_fma_mixlo_f16 v9, v46, v9, 0 op_sel:[0,1,0] op_sel_hi:[0,1,0]
	v_lshlrev_b32_e32 v48, 16, v47
	v_fma_mixlo_f16 v47, v46, v49, 0 op_sel_hi:[0,1,0]
	v_fma_mixlo_f16 v49, v46, v53, 0 op_sel:[0,1,0] op_sel_hi:[0,1,0]
	v_fma_mixlo_f16 v50, v46, v50, 0 op_sel_hi:[0,1,0]
	v_fma_mixlo_f16 v51, v46, v51, 0 op_sel_hi:[0,1,0]
	v_lshlrev_b32_e32 v1, 16, v10
	v_and_b32_e32 v10, 0xffff, v52
	v_and_b32_e32 v54, 0xffff, v47
	v_lshlrev_b32_e32 v46, 16, v49
	v_and_b32_e32 v50, 0xffff, v50
	v_lshlrev_b32_e32 v9, 16, v9
	v_and_b32_e32 v47, 0xffff, v51
	v_or_b32_e32 v49, v1, v10
	v_or_b32_e32 v53, v48, v54
	;; [unrolled: 1-line block ×3, first 2 shown]
	s_delay_alu instid0(VALU_DEP_4)
	v_or_b32_e32 v51, v9, v47
	s_and_saveexec_b32 s6, vcc_lo
	s_cbranch_execz .LBB299_871
; %bb.870:                              ;   in Loop: Header=BB299_541 Depth=1
	v_cmp_gt_i32_e64 s0, s27, v14
	s_wait_alu 0xf1ff
	s_delay_alu instid0(VALU_DEP_1) | instskip(SKIP_2) | instid1(VALU_DEP_1)
	v_cndmask_b32_e64 v49, 0, v54, s0
	v_cmp_gt_i32_e64 s0, s27, v33
	s_wait_alu 0xf1ff
	v_cndmask_b32_e64 v48, 0, v48, s0
	v_cmp_gt_i32_e64 s0, s27, v32
	s_delay_alu instid0(VALU_DEP_2) | instskip(SKIP_1) | instid1(VALU_DEP_2)
	v_or_b32_e32 v53, v48, v49
	s_wait_alu 0xf1ff
	v_cndmask_b32_e64 v10, 0, v10, s0
	v_cmp_gt_i32_e64 s0, s27, v31
	s_wait_alu 0xf1ff
	s_delay_alu instid0(VALU_DEP_1) | instskip(SKIP_1) | instid1(VALU_DEP_2)
	v_cndmask_b32_e64 v1, 0, v1, s0
	v_cmp_gt_i32_e64 s0, s27, v30
	v_or_b32_e32 v49, v1, v10
	s_wait_alu 0xf1ff
	s_delay_alu instid0(VALU_DEP_2) | instskip(SKIP_2) | instid1(VALU_DEP_1)
	v_cndmask_b32_e64 v50, 0, v50, s0
	v_cmp_gt_i32_e64 s0, s27, v29
	s_wait_alu 0xf1ff
	v_cndmask_b32_e64 v46, 0, v46, s0
	v_cmp_gt_i32_e64 s0, s27, v28
	s_delay_alu instid0(VALU_DEP_2) | instskip(SKIP_1) | instid1(VALU_DEP_2)
	v_or_b32_e32 v52, v46, v50
	s_wait_alu 0xf1ff
	v_cndmask_b32_e64 v47, 0, v47, s0
	v_cmp_gt_i32_e64 s0, s27, v26
	s_wait_alu 0xf1ff
	s_delay_alu instid0(VALU_DEP_1) | instskip(NEXT) | instid1(VALU_DEP_1)
	v_cndmask_b32_e64 v9, 0, v9, s0
	v_or_b32_e32 v51, v9, v47
.LBB299_871:                            ;   in Loop: Header=BB299_541 Depth=1
	s_wait_alu 0xfffe
	s_or_b32 exec_lo, exec_lo, s6
	;;#ASMSTART
	v_pk_mul_f16 v1, v38, v53;

	;;#ASMEND
	;;#ASMSTART
	v_pk_mul_f16 v9, v36, v49;

	;;#ASMEND
	;; [unrolled: 4-line block ×4, first 2 shown]
	;;#ASMSTART
	v_pk_add_f16 v1, v1, v9;

	;;#ASMEND
	;;#ASMSTART
	v_pk_add_f16 v1, v1, v10;

	;;#ASMEND
	;; [unrolled: 4-line block ×3, first 2 shown]
	v_dual_mov_b32 v50, 0 :: v_dual_and_b32 v9, 0xffff, v1
	v_lshrrev_b32_e32 v1, 16, v1
	;;#ASMSTART
	v_cvt_f32_f16 v46, v9;
	;;#ASMEND
	;;#ASMSTART
	v_cvt_f32_f16 v47, v1;
	;;#ASMEND
	global_load_b64 v[9:10], v[7:8], off offset:1280
	v_mov_b32_e32 v49, 0
	s_mov_b32 s6, exec_lo
	global_load_b32 v48, v49, s[10:11]
	s_wait_loadcnt 0x1
	v_and_b32_e32 v1, 0xff, v9
	s_delay_alu instid0(VALU_DEP_1)
	v_cmpx_ne_u16_e32 0, v1
	s_cbranch_execz .LBB299_879
; %bb.872:                              ;   in Loop: Header=BB299_541 Depth=1
	v_mov_b32_e32 v50, 0x8000
	s_mov_b32 s7, exec_lo
	v_cmpx_ne_u16_e32 0x80, v1
	s_cbranch_execz .LBB299_878
; %bb.873:                              ;   in Loop: Header=BB299_541 Depth=1
	v_and_b32_e32 v51, 0x7f, v9
	v_mov_b32_e32 v50, 0x7c01
	s_mov_b32 s13, exec_lo
	s_delay_alu instid0(VALU_DEP_2)
	v_cmpx_ne_u32_e32 0x7f, v51
	s_cbranch_execz .LBB299_877
; %bb.874:                              ;   in Loop: Header=BB299_541 Depth=1
	v_and_b32_e32 v1, 7, v9
	v_lshrrev_b32_e32 v50, 3, v51
	s_mov_b32 s14, exec_lo
	v_cmpx_gt_u32_e32 8, v51
; %bb.875:                              ;   in Loop: Header=BB299_541 Depth=1
	s_delay_alu instid0(VALU_DEP_3) | instskip(NEXT) | instid1(VALU_DEP_1)
	v_clz_i32_u32_e32 v1, v1
	v_min_u32_e32 v1, 32, v1
	s_delay_alu instid0(VALU_DEP_1) | instskip(NEXT) | instid1(VALU_DEP_1)
	v_subrev_nc_u32_e32 v50, 28, v1
	v_lshlrev_b64_e32 v[51:52], v50, v[9:10]
	v_sub_nc_u32_e32 v50, 29, v1
	s_delay_alu instid0(VALU_DEP_2)
	v_and_b32_e32 v1, 7, v51
; %bb.876:                              ;   in Loop: Header=BB299_541 Depth=1
	s_wait_alu 0xfffe
	s_or_b32 exec_lo, exec_lo, s14
	v_lshlrev_b32_e32 v51, 8, v9
	v_lshl_add_u32 v50, v50, 10, 0x2000
	v_lshlrev_b32_e32 v1, 7, v1
	s_delay_alu instid0(VALU_DEP_3) | instskip(NEXT) | instid1(VALU_DEP_3)
	v_and_b32_e32 v51, 0x8000, v51
	v_and_b32_e32 v50, 0xfc00, v50
	s_delay_alu instid0(VALU_DEP_1)
	v_or3_b32 v50, v51, v50, v1
.LBB299_877:                            ;   in Loop: Header=BB299_541 Depth=1
	s_or_b32 exec_lo, exec_lo, s13
.LBB299_878:                            ;   in Loop: Header=BB299_541 Depth=1
	s_wait_alu 0xfffe
	s_or_b32 exec_lo, exec_lo, s7
.LBB299_879:                            ;   in Loop: Header=BB299_541 Depth=1
	s_wait_alu 0xfffe
	s_or_b32 exec_lo, exec_lo, s6
	v_lshrrev_b16 v1, 8, v9
	s_mov_b32 s6, exec_lo
	s_delay_alu instid0(VALU_DEP_1)
	v_cmpx_ne_u16_e32 0, v1
	s_cbranch_execz .LBB299_887
; %bb.880:                              ;   in Loop: Header=BB299_541 Depth=1
	v_bfrev_b32_e32 v49, 1
	s_mov_b32 s7, exec_lo
	v_cmpx_ne_u16_e32 0x80, v1
	s_cbranch_execz .LBB299_886
; %bb.881:                              ;   in Loop: Header=BB299_541 Depth=1
	v_and_b32_e32 v51, 0xffff, v1
	v_mov_b32_e32 v49, 0x7c010000
	s_mov_b32 s13, exec_lo
	s_delay_alu instid0(VALU_DEP_2) | instskip(NEXT) | instid1(VALU_DEP_1)
	v_and_b32_e32 v53, 0x7f, v51
	v_cmpx_ne_u32_e32 0x7f, v53
	s_cbranch_execz .LBB299_885
; %bb.882:                              ;   in Loop: Header=BB299_541 Depth=1
	v_and_b32_e32 v49, 7, v51
	v_lshrrev_b32_e32 v52, 3, v53
	s_mov_b32 s14, exec_lo
	v_cmpx_gt_u32_e32 8, v53
; %bb.883:                              ;   in Loop: Header=BB299_541 Depth=1
	s_delay_alu instid0(VALU_DEP_3) | instskip(NEXT) | instid1(VALU_DEP_1)
	v_clz_i32_u32_e32 v49, v49
	v_min_u32_e32 v49, 32, v49
	s_delay_alu instid0(VALU_DEP_1) | instskip(NEXT) | instid1(VALU_DEP_1)
	v_subrev_nc_u32_e32 v52, 28, v49
	v_lshlrev_b64_e32 v[53:54], v52, v[1:2]
	v_sub_nc_u32_e32 v52, 29, v49
	s_delay_alu instid0(VALU_DEP_2)
	v_and_b32_e32 v49, 7, v53
; %bb.884:                              ;   in Loop: Header=BB299_541 Depth=1
	s_wait_alu 0xfffe
	s_or_b32 exec_lo, exec_lo, s14
	v_lshlrev_b32_e32 v1, 8, v51
	v_lshl_add_u32 v51, v52, 10, 0x2000
	v_lshlrev_b32_e32 v49, 23, v49
	s_delay_alu instid0(VALU_DEP_2) | instskip(NEXT) | instid1(VALU_DEP_1)
	v_and_or_b32 v1, 0x8000, v1, v51
	v_lshl_or_b32 v49, v1, 16, v49
.LBB299_885:                            ;   in Loop: Header=BB299_541 Depth=1
	s_or_b32 exec_lo, exec_lo, s13
.LBB299_886:                            ;   in Loop: Header=BB299_541 Depth=1
	s_wait_alu 0xfffe
	s_or_b32 exec_lo, exec_lo, s7
.LBB299_887:                            ;   in Loop: Header=BB299_541 Depth=1
	s_wait_alu 0xfffe
	s_or_b32 exec_lo, exec_lo, s6
	v_lshrrev_b32_e32 v1, 16, v9
	v_mov_b32_e32 v51, 0
	s_mov_b32 s6, exec_lo
	s_delay_alu instid0(VALU_DEP_2) | instskip(NEXT) | instid1(VALU_DEP_1)
	v_dual_mov_b32 v52, 0 :: v_dual_and_b32 v53, 0xff, v1
	v_cmpx_ne_u16_e32 0, v53
	s_cbranch_execz .LBB299_895
; %bb.888:                              ;   in Loop: Header=BB299_541 Depth=1
	v_mov_b32_e32 v52, 0x8000
	s_mov_b32 s7, exec_lo
	v_cmpx_ne_u16_e32 0x80, v53
	s_cbranch_execz .LBB299_894
; %bb.889:                              ;   in Loop: Header=BB299_541 Depth=1
	v_bfe_u32 v54, v9, 16, 7
	v_mov_b32_e32 v52, 0x7c01
	s_mov_b32 s13, exec_lo
	s_delay_alu instid0(VALU_DEP_2)
	v_cmpx_ne_u32_e32 0x7f, v54
	s_cbranch_execz .LBB299_893
; %bb.890:                              ;   in Loop: Header=BB299_541 Depth=1
	v_and_b32_e32 v52, 7, v1
	v_lshrrev_b32_e32 v53, 3, v54
	s_mov_b32 s14, exec_lo
	v_cmpx_gt_u32_e32 8, v54
; %bb.891:                              ;   in Loop: Header=BB299_541 Depth=1
	s_delay_alu instid0(VALU_DEP_3) | instskip(NEXT) | instid1(VALU_DEP_1)
	v_clz_i32_u32_e32 v52, v52
	v_min_u32_e32 v54, 32, v52
	s_delay_alu instid0(VALU_DEP_1) | instskip(NEXT) | instid1(VALU_DEP_1)
	v_subrev_nc_u32_e32 v52, 28, v54
	v_lshlrev_b64_e32 v[52:53], v52, v[1:2]
	v_sub_nc_u32_e32 v53, 29, v54
	s_delay_alu instid0(VALU_DEP_2)
	v_and_b32_e32 v52, 7, v52
; %bb.892:                              ;   in Loop: Header=BB299_541 Depth=1
	s_wait_alu 0xfffe
	s_or_b32 exec_lo, exec_lo, s14
	v_lshlrev_b32_e32 v1, 8, v1
	v_lshl_add_u32 v53, v53, 10, 0x2000
	v_lshlrev_b32_e32 v52, 7, v52
	s_delay_alu instid0(VALU_DEP_3) | instskip(NEXT) | instid1(VALU_DEP_3)
	v_and_b32_e32 v1, 0x8000, v1
	v_and_b32_e32 v53, 0xfc00, v53
	s_delay_alu instid0(VALU_DEP_1)
	v_or3_b32 v52, v1, v53, v52
.LBB299_893:                            ;   in Loop: Header=BB299_541 Depth=1
	s_or_b32 exec_lo, exec_lo, s13
.LBB299_894:                            ;   in Loop: Header=BB299_541 Depth=1
	s_wait_alu 0xfffe
	s_or_b32 exec_lo, exec_lo, s7
.LBB299_895:                            ;   in Loop: Header=BB299_541 Depth=1
	s_wait_alu 0xfffe
	s_or_b32 exec_lo, exec_lo, s6
	s_delay_alu instid0(SALU_CYCLE_1)
	s_mov_b32 s6, exec_lo
	v_cmpx_lt_u32_e32 0xffffff, v9
	s_cbranch_execz .LBB299_903
; %bb.896:                              ;   in Loop: Header=BB299_541 Depth=1
	v_lshrrev_b32_e32 v1, 24, v9
	v_bfrev_b32_e32 v51, 1
	s_mov_b32 s7, exec_lo
	s_delay_alu instid0(VALU_DEP_2)
	v_cmpx_ne_u32_e32 0x80, v1
	s_cbranch_execz .LBB299_902
; %bb.897:                              ;   in Loop: Header=BB299_541 Depth=1
	v_and_b32_e32 v54, 0x7f, v1
	v_mov_b32_e32 v51, 0x7c010000
	s_mov_b32 s13, exec_lo
	s_delay_alu instid0(VALU_DEP_2)
	v_cmpx_ne_u32_e32 0x7f, v54
	s_cbranch_execz .LBB299_901
; %bb.898:                              ;   in Loop: Header=BB299_541 Depth=1
	v_and_b32_e32 v51, 7, v1
	v_lshrrev_b32_e32 v53, 3, v54
	s_mov_b32 s14, exec_lo
	v_cmpx_gt_u32_e32 8, v54
; %bb.899:                              ;   in Loop: Header=BB299_541 Depth=1
	s_delay_alu instid0(VALU_DEP_3) | instskip(NEXT) | instid1(VALU_DEP_1)
	v_clz_i32_u32_e32 v51, v51
	v_min_u32_e32 v51, 32, v51
	s_delay_alu instid0(VALU_DEP_1) | instskip(NEXT) | instid1(VALU_DEP_1)
	v_subrev_nc_u32_e32 v53, 28, v51
	v_lshlrev_b64_e32 v[54:55], v53, v[1:2]
	v_sub_nc_u32_e32 v53, 29, v51
	s_delay_alu instid0(VALU_DEP_2)
	v_and_b32_e32 v51, 7, v54
; %bb.900:                              ;   in Loop: Header=BB299_541 Depth=1
	s_wait_alu 0xfffe
	s_or_b32 exec_lo, exec_lo, s14
	v_lshlrev_b32_e32 v1, 8, v1
	v_lshl_add_u32 v53, v53, 10, 0x2000
	v_lshlrev_b32_e32 v51, 23, v51
	s_delay_alu instid0(VALU_DEP_2) | instskip(NEXT) | instid1(VALU_DEP_1)
	v_and_or_b32 v1, 0x8000, v1, v53
	v_lshl_or_b32 v51, v1, 16, v51
.LBB299_901:                            ;   in Loop: Header=BB299_541 Depth=1
	s_or_b32 exec_lo, exec_lo, s13
.LBB299_902:                            ;   in Loop: Header=BB299_541 Depth=1
	s_wait_alu 0xfffe
	s_or_b32 exec_lo, exec_lo, s7
.LBB299_903:                            ;   in Loop: Header=BB299_541 Depth=1
	s_wait_alu 0xfffe
	s_or_b32 exec_lo, exec_lo, s6
	v_dual_mov_b32 v54, 0 :: v_dual_and_b32 v55, 0xff, v10
	v_mov_b32_e32 v1, v10
	v_mov_b32_e32 v53, 0
	s_mov_b32 s6, exec_lo
	s_delay_alu instid0(VALU_DEP_3)
	v_cmpx_ne_u16_e32 0, v55
	s_cbranch_execz .LBB299_911
; %bb.904:                              ;   in Loop: Header=BB299_541 Depth=1
	v_mov_b32_e32 v54, 0x8000
	s_mov_b32 s7, exec_lo
	v_cmpx_ne_u16_e32 0x80, v55
	s_cbranch_execz .LBB299_910
; %bb.905:                              ;   in Loop: Header=BB299_541 Depth=1
	v_and_b32_e32 v56, 0x7f, v10
	v_mov_b32_e32 v54, 0x7c01
	s_mov_b32 s13, exec_lo
	s_delay_alu instid0(VALU_DEP_2)
	v_cmpx_ne_u32_e32 0x7f, v56
	s_cbranch_execz .LBB299_909
; %bb.906:                              ;   in Loop: Header=BB299_541 Depth=1
	v_and_b32_e32 v54, 7, v10
	v_lshrrev_b32_e32 v55, 3, v56
	s_mov_b32 s14, exec_lo
	v_cmpx_gt_u32_e32 8, v56
; %bb.907:                              ;   in Loop: Header=BB299_541 Depth=1
	s_delay_alu instid0(VALU_DEP_3) | instskip(NEXT) | instid1(VALU_DEP_1)
	v_clz_i32_u32_e32 v54, v54
	v_min_u32_e32 v56, 32, v54
	s_delay_alu instid0(VALU_DEP_1) | instskip(NEXT) | instid1(VALU_DEP_1)
	v_subrev_nc_u32_e32 v54, 28, v56
	v_lshlrev_b64_e32 v[54:55], v54, v[1:2]
	v_sub_nc_u32_e32 v55, 29, v56
	s_delay_alu instid0(VALU_DEP_2)
	v_and_b32_e32 v54, 7, v54
; %bb.908:                              ;   in Loop: Header=BB299_541 Depth=1
	s_wait_alu 0xfffe
	s_or_b32 exec_lo, exec_lo, s14
	v_lshlrev_b32_e32 v56, 8, v10
	v_lshl_add_u32 v55, v55, 10, 0x2000
	v_lshlrev_b32_e32 v54, 7, v54
	s_delay_alu instid0(VALU_DEP_3) | instskip(NEXT) | instid1(VALU_DEP_3)
	v_and_b32_e32 v56, 0x8000, v56
	v_and_b32_e32 v55, 0xfc00, v55
	s_delay_alu instid0(VALU_DEP_1)
	v_or3_b32 v54, v56, v55, v54
.LBB299_909:                            ;   in Loop: Header=BB299_541 Depth=1
	s_or_b32 exec_lo, exec_lo, s13
.LBB299_910:                            ;   in Loop: Header=BB299_541 Depth=1
	s_wait_alu 0xfffe
	s_or_b32 exec_lo, exec_lo, s7
.LBB299_911:                            ;   in Loop: Header=BB299_541 Depth=1
	s_wait_alu 0xfffe
	s_or_b32 exec_lo, exec_lo, s6
	v_lshrrev_b16 v1, 8, v1
	v_mov_b32_e32 v55, 0
	s_mov_b32 s6, exec_lo
	s_delay_alu instid0(VALU_DEP_2)
	v_cmpx_ne_u16_e32 0, v1
	s_cbranch_execz .LBB299_919
; %bb.912:                              ;   in Loop: Header=BB299_541 Depth=1
	v_bfrev_b32_e32 v55, 1
	s_mov_b32 s7, exec_lo
	v_cmpx_ne_u16_e32 0x80, v1
	s_cbranch_execz .LBB299_918
; %bb.913:                              ;   in Loop: Header=BB299_541 Depth=1
	v_and_b32_e32 v56, 0xffff, v1
	v_mov_b32_e32 v55, 0x7c010000
	s_mov_b32 s13, exec_lo
	s_delay_alu instid0(VALU_DEP_2) | instskip(NEXT) | instid1(VALU_DEP_1)
	v_and_b32_e32 v58, 0x7f, v56
	v_cmpx_ne_u32_e32 0x7f, v58
	s_cbranch_execz .LBB299_917
; %bb.914:                              ;   in Loop: Header=BB299_541 Depth=1
	v_and_b32_e32 v55, 7, v56
	v_lshrrev_b32_e32 v57, 3, v58
	s_mov_b32 s14, exec_lo
	v_cmpx_gt_u32_e32 8, v58
; %bb.915:                              ;   in Loop: Header=BB299_541 Depth=1
	s_delay_alu instid0(VALU_DEP_3) | instskip(NEXT) | instid1(VALU_DEP_1)
	v_clz_i32_u32_e32 v55, v55
	v_min_u32_e32 v55, 32, v55
	s_delay_alu instid0(VALU_DEP_1) | instskip(NEXT) | instid1(VALU_DEP_1)
	v_subrev_nc_u32_e32 v57, 28, v55
	v_lshlrev_b64_e32 v[58:59], v57, v[1:2]
	v_sub_nc_u32_e32 v57, 29, v55
	s_delay_alu instid0(VALU_DEP_2)
	v_and_b32_e32 v55, 7, v58
; %bb.916:                              ;   in Loop: Header=BB299_541 Depth=1
	s_wait_alu 0xfffe
	s_or_b32 exec_lo, exec_lo, s14
	v_lshlrev_b32_e32 v1, 8, v56
	v_lshl_add_u32 v56, v57, 10, 0x2000
	v_lshlrev_b32_e32 v55, 23, v55
	s_delay_alu instid0(VALU_DEP_2) | instskip(NEXT) | instid1(VALU_DEP_1)
	v_and_or_b32 v1, 0x8000, v1, v56
	v_lshl_or_b32 v55, v1, 16, v55
.LBB299_917:                            ;   in Loop: Header=BB299_541 Depth=1
	s_or_b32 exec_lo, exec_lo, s13
.LBB299_918:                            ;   in Loop: Header=BB299_541 Depth=1
	s_wait_alu 0xfffe
	s_or_b32 exec_lo, exec_lo, s7
.LBB299_919:                            ;   in Loop: Header=BB299_541 Depth=1
	s_wait_alu 0xfffe
	s_or_b32 exec_lo, exec_lo, s6
	v_lshrrev_b32_e32 v1, 16, v10
	s_mov_b32 s6, exec_lo
	s_delay_alu instid0(VALU_DEP_1) | instskip(NEXT) | instid1(VALU_DEP_1)
	v_and_b32_e32 v56, 0xff, v1
	v_cmpx_ne_u16_e32 0, v56
	s_cbranch_execz .LBB299_927
; %bb.920:                              ;   in Loop: Header=BB299_541 Depth=1
	v_mov_b32_e32 v53, 0x8000
	s_mov_b32 s7, exec_lo
	v_cmpx_ne_u16_e32 0x80, v56
	s_cbranch_execz .LBB299_926
; %bb.921:                              ;   in Loop: Header=BB299_541 Depth=1
	v_bfe_u32 v57, v10, 16, 7
	v_mov_b32_e32 v53, 0x7c01
	s_mov_b32 s13, exec_lo
	s_delay_alu instid0(VALU_DEP_2)
	v_cmpx_ne_u32_e32 0x7f, v57
	s_cbranch_execz .LBB299_925
; %bb.922:                              ;   in Loop: Header=BB299_541 Depth=1
	v_and_b32_e32 v53, 7, v1
	v_lshrrev_b32_e32 v56, 3, v57
	s_mov_b32 s14, exec_lo
	v_cmpx_gt_u32_e32 8, v57
; %bb.923:                              ;   in Loop: Header=BB299_541 Depth=1
	s_delay_alu instid0(VALU_DEP_3) | instskip(NEXT) | instid1(VALU_DEP_1)
	v_clz_i32_u32_e32 v53, v53
	v_min_u32_e32 v53, 32, v53
	s_delay_alu instid0(VALU_DEP_1) | instskip(NEXT) | instid1(VALU_DEP_1)
	v_subrev_nc_u32_e32 v56, 28, v53
	v_lshlrev_b64_e32 v[57:58], v56, v[1:2]
	v_sub_nc_u32_e32 v56, 29, v53
	s_delay_alu instid0(VALU_DEP_2)
	v_and_b32_e32 v53, 7, v57
; %bb.924:                              ;   in Loop: Header=BB299_541 Depth=1
	s_wait_alu 0xfffe
	s_or_b32 exec_lo, exec_lo, s14
	v_lshlrev_b32_e32 v1, 8, v1
	v_lshl_add_u32 v56, v56, 10, 0x2000
	v_lshlrev_b32_e32 v53, 7, v53
	s_delay_alu instid0(VALU_DEP_3) | instskip(NEXT) | instid1(VALU_DEP_3)
	v_and_b32_e32 v1, 0x8000, v1
	v_and_b32_e32 v56, 0xfc00, v56
	s_delay_alu instid0(VALU_DEP_1)
	v_or3_b32 v53, v1, v56, v53
.LBB299_925:                            ;   in Loop: Header=BB299_541 Depth=1
	s_or_b32 exec_lo, exec_lo, s13
.LBB299_926:                            ;   in Loop: Header=BB299_541 Depth=1
	s_wait_alu 0xfffe
	s_or_b32 exec_lo, exec_lo, s7
.LBB299_927:                            ;   in Loop: Header=BB299_541 Depth=1
	s_wait_alu 0xfffe
	s_or_b32 exec_lo, exec_lo, s6
	v_cmp_lt_u64_e64 s0, s[2:3], v[9:10]
	v_mov_b32_e32 v9, 0
	s_and_saveexec_b32 s6, s0
	s_cbranch_execz .LBB299_935
; %bb.928:                              ;   in Loop: Header=BB299_541 Depth=1
	v_lshrrev_b32_e32 v1, 24, v10
	v_bfrev_b32_e32 v9, 1
	s_mov_b32 s7, exec_lo
	s_delay_alu instid0(VALU_DEP_2)
	v_cmpx_ne_u32_e32 0x80, v1
	s_cbranch_execz .LBB299_934
; %bb.929:                              ;   in Loop: Header=BB299_541 Depth=1
	v_and_b32_e32 v56, 0x7f, v1
	v_mov_b32_e32 v9, 0x7c010000
	s_mov_b32 s13, exec_lo
	s_delay_alu instid0(VALU_DEP_2)
	v_cmpx_ne_u32_e32 0x7f, v56
	s_cbranch_execz .LBB299_933
; %bb.930:                              ;   in Loop: Header=BB299_541 Depth=1
	v_and_b32_e32 v9, 7, v1
	v_lshrrev_b32_e32 v10, 3, v56
	s_mov_b32 s14, exec_lo
	v_cmpx_gt_u32_e32 8, v56
; %bb.931:                              ;   in Loop: Header=BB299_541 Depth=1
	s_delay_alu instid0(VALU_DEP_3) | instskip(NEXT) | instid1(VALU_DEP_1)
	v_clz_i32_u32_e32 v9, v9
	v_min_u32_e32 v56, 32, v9
	s_delay_alu instid0(VALU_DEP_1) | instskip(NEXT) | instid1(VALU_DEP_1)
	v_subrev_nc_u32_e32 v9, 28, v56
	v_lshlrev_b64_e32 v[9:10], v9, v[1:2]
	v_sub_nc_u32_e32 v10, 29, v56
	s_delay_alu instid0(VALU_DEP_2)
	v_and_b32_e32 v9, 7, v9
; %bb.932:                              ;   in Loop: Header=BB299_541 Depth=1
	s_wait_alu 0xfffe
	s_or_b32 exec_lo, exec_lo, s14
	v_lshlrev_b32_e32 v1, 8, v1
	v_lshl_add_u32 v10, v10, 10, 0x2000
	v_lshlrev_b32_e32 v9, 23, v9
	s_delay_alu instid0(VALU_DEP_2) | instskip(NEXT) | instid1(VALU_DEP_1)
	v_and_or_b32 v1, 0x8000, v1, v10
	v_lshl_or_b32 v9, v1, 16, v9
.LBB299_933:                            ;   in Loop: Header=BB299_541 Depth=1
	s_or_b32 exec_lo, exec_lo, s13
.LBB299_934:                            ;   in Loop: Header=BB299_541 Depth=1
	s_wait_alu 0xfffe
	s_or_b32 exec_lo, exec_lo, s7
.LBB299_935:                            ;   in Loop: Header=BB299_541 Depth=1
	s_wait_alu 0xfffe
	s_or_b32 exec_lo, exec_lo, s6
	v_or_b32_e32 v1, v51, v52
	s_wait_loadcnt 0x0
	v_fma_mixlo_f16 v10, v48, v51, 0 op_sel:[0,1,0] op_sel_hi:[0,1,0]
	v_or_b32_e32 v51, v49, v50
	v_fma_mixlo_f16 v49, v48, v49, 0 op_sel:[0,1,0] op_sel_hi:[0,1,0]
	v_or_b32_e32 v52, v55, v54
	v_or_b32_e32 v53, v9, v53
	v_fma_mixlo_f16 v54, v48, v1, 0 op_sel_hi:[0,1,0]
	v_fma_mixlo_f16 v9, v48, v9, 0 op_sel:[0,1,0] op_sel_hi:[0,1,0]
	v_lshlrev_b32_e32 v50, 16, v49
	v_fma_mixlo_f16 v49, v48, v51, 0 op_sel_hi:[0,1,0]
	v_fma_mixlo_f16 v51, v48, v55, 0 op_sel:[0,1,0] op_sel_hi:[0,1,0]
	v_fma_mixlo_f16 v52, v48, v52, 0 op_sel_hi:[0,1,0]
	v_fma_mixlo_f16 v53, v48, v53, 0 op_sel_hi:[0,1,0]
	v_lshlrev_b32_e32 v1, 16, v10
	v_and_b32_e32 v10, 0xffff, v54
	v_and_b32_e32 v56, 0xffff, v49
	v_lshlrev_b32_e32 v48, 16, v51
	v_and_b32_e32 v52, 0xffff, v52
	v_lshlrev_b32_e32 v9, 16, v9
	v_and_b32_e32 v49, 0xffff, v53
	v_or_b32_e32 v51, v1, v10
	v_or_b32_e32 v55, v50, v56
	;; [unrolled: 1-line block ×3, first 2 shown]
	s_delay_alu instid0(VALU_DEP_4)
	v_or_b32_e32 v53, v9, v49
	s_and_saveexec_b32 s6, vcc_lo
	s_cbranch_execz .LBB299_937
; %bb.936:                              ;   in Loop: Header=BB299_541 Depth=1
	v_cmp_gt_i32_e64 s0, s27, v14
	s_wait_alu 0xf1ff
	s_delay_alu instid0(VALU_DEP_1) | instskip(SKIP_2) | instid1(VALU_DEP_1)
	v_cndmask_b32_e64 v51, 0, v56, s0
	v_cmp_gt_i32_e64 s0, s27, v33
	s_wait_alu 0xf1ff
	v_cndmask_b32_e64 v50, 0, v50, s0
	v_cmp_gt_i32_e64 s0, s27, v32
	s_delay_alu instid0(VALU_DEP_2) | instskip(SKIP_1) | instid1(VALU_DEP_2)
	v_or_b32_e32 v55, v50, v51
	s_wait_alu 0xf1ff
	v_cndmask_b32_e64 v10, 0, v10, s0
	v_cmp_gt_i32_e64 s0, s27, v31
	s_wait_alu 0xf1ff
	s_delay_alu instid0(VALU_DEP_1) | instskip(SKIP_1) | instid1(VALU_DEP_2)
	v_cndmask_b32_e64 v1, 0, v1, s0
	v_cmp_gt_i32_e64 s0, s27, v30
	v_or_b32_e32 v51, v1, v10
	s_wait_alu 0xf1ff
	s_delay_alu instid0(VALU_DEP_2) | instskip(SKIP_2) | instid1(VALU_DEP_1)
	v_cndmask_b32_e64 v52, 0, v52, s0
	v_cmp_gt_i32_e64 s0, s27, v29
	s_wait_alu 0xf1ff
	v_cndmask_b32_e64 v48, 0, v48, s0
	v_cmp_gt_i32_e64 s0, s27, v28
	s_delay_alu instid0(VALU_DEP_2) | instskip(SKIP_1) | instid1(VALU_DEP_2)
	v_or_b32_e32 v54, v48, v52
	s_wait_alu 0xf1ff
	v_cndmask_b32_e64 v49, 0, v49, s0
	v_cmp_gt_i32_e64 s0, s27, v26
	s_wait_alu 0xf1ff
	s_delay_alu instid0(VALU_DEP_1) | instskip(NEXT) | instid1(VALU_DEP_1)
	v_cndmask_b32_e64 v9, 0, v9, s0
	v_or_b32_e32 v53, v9, v49
.LBB299_937:                            ;   in Loop: Header=BB299_541 Depth=1
	s_wait_alu 0xfffe
	s_or_b32 exec_lo, exec_lo, s6
	;;#ASMSTART
	v_pk_mul_f16 v1, v38, v55;

	;;#ASMEND
	;;#ASMSTART
	v_pk_mul_f16 v9, v36, v51;

	;;#ASMEND
	;; [unrolled: 4-line block ×4, first 2 shown]
	;;#ASMSTART
	v_pk_add_f16 v1, v1, v9;

	;;#ASMEND
	;;#ASMSTART
	v_pk_add_f16 v1, v1, v10;

	;;#ASMEND
	;; [unrolled: 4-line block ×3, first 2 shown]
	v_dual_mov_b32 v52, 0 :: v_dual_and_b32 v9, 0xffff, v1
	v_lshrrev_b32_e32 v1, 16, v1
	;;#ASMSTART
	v_cvt_f32_f16 v48, v9;
	;;#ASMEND
	;;#ASMSTART
	v_cvt_f32_f16 v49, v1;
	;;#ASMEND
	global_load_b64 v[9:10], v[7:8], off offset:1536
	v_mov_b32_e32 v51, 0
	s_mov_b32 s6, exec_lo
	global_load_b32 v50, v51, s[10:11]
	s_wait_loadcnt 0x1
	v_and_b32_e32 v1, 0xff, v9
	s_delay_alu instid0(VALU_DEP_1)
	v_cmpx_ne_u16_e32 0, v1
	s_cbranch_execz .LBB299_945
; %bb.938:                              ;   in Loop: Header=BB299_541 Depth=1
	v_mov_b32_e32 v52, 0x8000
	s_mov_b32 s7, exec_lo
	v_cmpx_ne_u16_e32 0x80, v1
	s_cbranch_execz .LBB299_944
; %bb.939:                              ;   in Loop: Header=BB299_541 Depth=1
	v_and_b32_e32 v53, 0x7f, v9
	v_mov_b32_e32 v52, 0x7c01
	s_mov_b32 s13, exec_lo
	s_delay_alu instid0(VALU_DEP_2)
	v_cmpx_ne_u32_e32 0x7f, v53
	s_cbranch_execz .LBB299_943
; %bb.940:                              ;   in Loop: Header=BB299_541 Depth=1
	v_and_b32_e32 v1, 7, v9
	v_lshrrev_b32_e32 v52, 3, v53
	s_mov_b32 s14, exec_lo
	v_cmpx_gt_u32_e32 8, v53
; %bb.941:                              ;   in Loop: Header=BB299_541 Depth=1
	s_delay_alu instid0(VALU_DEP_3) | instskip(NEXT) | instid1(VALU_DEP_1)
	v_clz_i32_u32_e32 v1, v1
	v_min_u32_e32 v1, 32, v1
	s_delay_alu instid0(VALU_DEP_1) | instskip(NEXT) | instid1(VALU_DEP_1)
	v_subrev_nc_u32_e32 v52, 28, v1
	v_lshlrev_b64_e32 v[53:54], v52, v[9:10]
	v_sub_nc_u32_e32 v52, 29, v1
	s_delay_alu instid0(VALU_DEP_2)
	v_and_b32_e32 v1, 7, v53
; %bb.942:                              ;   in Loop: Header=BB299_541 Depth=1
	s_wait_alu 0xfffe
	s_or_b32 exec_lo, exec_lo, s14
	v_lshlrev_b32_e32 v53, 8, v9
	v_lshl_add_u32 v52, v52, 10, 0x2000
	v_lshlrev_b32_e32 v1, 7, v1
	s_delay_alu instid0(VALU_DEP_3) | instskip(NEXT) | instid1(VALU_DEP_3)
	v_and_b32_e32 v53, 0x8000, v53
	v_and_b32_e32 v52, 0xfc00, v52
	s_delay_alu instid0(VALU_DEP_1)
	v_or3_b32 v52, v53, v52, v1
.LBB299_943:                            ;   in Loop: Header=BB299_541 Depth=1
	s_or_b32 exec_lo, exec_lo, s13
.LBB299_944:                            ;   in Loop: Header=BB299_541 Depth=1
	s_wait_alu 0xfffe
	s_or_b32 exec_lo, exec_lo, s7
.LBB299_945:                            ;   in Loop: Header=BB299_541 Depth=1
	s_wait_alu 0xfffe
	s_or_b32 exec_lo, exec_lo, s6
	v_lshrrev_b16 v1, 8, v9
	s_mov_b32 s6, exec_lo
	s_delay_alu instid0(VALU_DEP_1)
	v_cmpx_ne_u16_e32 0, v1
	s_cbranch_execz .LBB299_953
; %bb.946:                              ;   in Loop: Header=BB299_541 Depth=1
	v_bfrev_b32_e32 v51, 1
	s_mov_b32 s7, exec_lo
	v_cmpx_ne_u16_e32 0x80, v1
	s_cbranch_execz .LBB299_952
; %bb.947:                              ;   in Loop: Header=BB299_541 Depth=1
	v_and_b32_e32 v53, 0xffff, v1
	v_mov_b32_e32 v51, 0x7c010000
	s_mov_b32 s13, exec_lo
	s_delay_alu instid0(VALU_DEP_2) | instskip(NEXT) | instid1(VALU_DEP_1)
	v_and_b32_e32 v55, 0x7f, v53
	v_cmpx_ne_u32_e32 0x7f, v55
	s_cbranch_execz .LBB299_951
; %bb.948:                              ;   in Loop: Header=BB299_541 Depth=1
	v_and_b32_e32 v51, 7, v53
	v_lshrrev_b32_e32 v54, 3, v55
	s_mov_b32 s14, exec_lo
	v_cmpx_gt_u32_e32 8, v55
; %bb.949:                              ;   in Loop: Header=BB299_541 Depth=1
	s_delay_alu instid0(VALU_DEP_3) | instskip(NEXT) | instid1(VALU_DEP_1)
	v_clz_i32_u32_e32 v51, v51
	v_min_u32_e32 v51, 32, v51
	s_delay_alu instid0(VALU_DEP_1) | instskip(NEXT) | instid1(VALU_DEP_1)
	v_subrev_nc_u32_e32 v54, 28, v51
	v_lshlrev_b64_e32 v[55:56], v54, v[1:2]
	v_sub_nc_u32_e32 v54, 29, v51
	s_delay_alu instid0(VALU_DEP_2)
	v_and_b32_e32 v51, 7, v55
; %bb.950:                              ;   in Loop: Header=BB299_541 Depth=1
	s_wait_alu 0xfffe
	s_or_b32 exec_lo, exec_lo, s14
	v_lshlrev_b32_e32 v1, 8, v53
	v_lshl_add_u32 v53, v54, 10, 0x2000
	v_lshlrev_b32_e32 v51, 23, v51
	s_delay_alu instid0(VALU_DEP_2) | instskip(NEXT) | instid1(VALU_DEP_1)
	v_and_or_b32 v1, 0x8000, v1, v53
	v_lshl_or_b32 v51, v1, 16, v51
.LBB299_951:                            ;   in Loop: Header=BB299_541 Depth=1
	s_or_b32 exec_lo, exec_lo, s13
.LBB299_952:                            ;   in Loop: Header=BB299_541 Depth=1
	s_wait_alu 0xfffe
	s_or_b32 exec_lo, exec_lo, s7
.LBB299_953:                            ;   in Loop: Header=BB299_541 Depth=1
	s_wait_alu 0xfffe
	s_or_b32 exec_lo, exec_lo, s6
	v_lshrrev_b32_e32 v1, 16, v9
	v_mov_b32_e32 v53, 0
	s_mov_b32 s6, exec_lo
	s_delay_alu instid0(VALU_DEP_2) | instskip(NEXT) | instid1(VALU_DEP_1)
	v_dual_mov_b32 v54, 0 :: v_dual_and_b32 v55, 0xff, v1
	v_cmpx_ne_u16_e32 0, v55
	s_cbranch_execz .LBB299_961
; %bb.954:                              ;   in Loop: Header=BB299_541 Depth=1
	v_mov_b32_e32 v54, 0x8000
	s_mov_b32 s7, exec_lo
	v_cmpx_ne_u16_e32 0x80, v55
	s_cbranch_execz .LBB299_960
; %bb.955:                              ;   in Loop: Header=BB299_541 Depth=1
	v_bfe_u32 v56, v9, 16, 7
	v_mov_b32_e32 v54, 0x7c01
	s_mov_b32 s13, exec_lo
	s_delay_alu instid0(VALU_DEP_2)
	v_cmpx_ne_u32_e32 0x7f, v56
	s_cbranch_execz .LBB299_959
; %bb.956:                              ;   in Loop: Header=BB299_541 Depth=1
	v_and_b32_e32 v54, 7, v1
	v_lshrrev_b32_e32 v55, 3, v56
	s_mov_b32 s14, exec_lo
	v_cmpx_gt_u32_e32 8, v56
; %bb.957:                              ;   in Loop: Header=BB299_541 Depth=1
	s_delay_alu instid0(VALU_DEP_3) | instskip(NEXT) | instid1(VALU_DEP_1)
	v_clz_i32_u32_e32 v54, v54
	v_min_u32_e32 v56, 32, v54
	s_delay_alu instid0(VALU_DEP_1) | instskip(NEXT) | instid1(VALU_DEP_1)
	v_subrev_nc_u32_e32 v54, 28, v56
	v_lshlrev_b64_e32 v[54:55], v54, v[1:2]
	v_sub_nc_u32_e32 v55, 29, v56
	s_delay_alu instid0(VALU_DEP_2)
	v_and_b32_e32 v54, 7, v54
; %bb.958:                              ;   in Loop: Header=BB299_541 Depth=1
	s_wait_alu 0xfffe
	s_or_b32 exec_lo, exec_lo, s14
	v_lshlrev_b32_e32 v1, 8, v1
	v_lshl_add_u32 v55, v55, 10, 0x2000
	v_lshlrev_b32_e32 v54, 7, v54
	s_delay_alu instid0(VALU_DEP_3) | instskip(NEXT) | instid1(VALU_DEP_3)
	v_and_b32_e32 v1, 0x8000, v1
	v_and_b32_e32 v55, 0xfc00, v55
	s_delay_alu instid0(VALU_DEP_1)
	v_or3_b32 v54, v1, v55, v54
.LBB299_959:                            ;   in Loop: Header=BB299_541 Depth=1
	s_or_b32 exec_lo, exec_lo, s13
.LBB299_960:                            ;   in Loop: Header=BB299_541 Depth=1
	s_wait_alu 0xfffe
	s_or_b32 exec_lo, exec_lo, s7
.LBB299_961:                            ;   in Loop: Header=BB299_541 Depth=1
	s_wait_alu 0xfffe
	s_or_b32 exec_lo, exec_lo, s6
	s_delay_alu instid0(SALU_CYCLE_1)
	s_mov_b32 s6, exec_lo
	v_cmpx_lt_u32_e32 0xffffff, v9
	s_cbranch_execz .LBB299_969
; %bb.962:                              ;   in Loop: Header=BB299_541 Depth=1
	v_lshrrev_b32_e32 v1, 24, v9
	v_bfrev_b32_e32 v53, 1
	s_mov_b32 s7, exec_lo
	s_delay_alu instid0(VALU_DEP_2)
	v_cmpx_ne_u32_e32 0x80, v1
	s_cbranch_execz .LBB299_968
; %bb.963:                              ;   in Loop: Header=BB299_541 Depth=1
	v_and_b32_e32 v56, 0x7f, v1
	v_mov_b32_e32 v53, 0x7c010000
	s_mov_b32 s13, exec_lo
	s_delay_alu instid0(VALU_DEP_2)
	v_cmpx_ne_u32_e32 0x7f, v56
	s_cbranch_execz .LBB299_967
; %bb.964:                              ;   in Loop: Header=BB299_541 Depth=1
	v_and_b32_e32 v53, 7, v1
	v_lshrrev_b32_e32 v55, 3, v56
	s_mov_b32 s14, exec_lo
	v_cmpx_gt_u32_e32 8, v56
; %bb.965:                              ;   in Loop: Header=BB299_541 Depth=1
	s_delay_alu instid0(VALU_DEP_3) | instskip(NEXT) | instid1(VALU_DEP_1)
	v_clz_i32_u32_e32 v53, v53
	v_min_u32_e32 v53, 32, v53
	s_delay_alu instid0(VALU_DEP_1) | instskip(NEXT) | instid1(VALU_DEP_1)
	v_subrev_nc_u32_e32 v55, 28, v53
	v_lshlrev_b64_e32 v[56:57], v55, v[1:2]
	v_sub_nc_u32_e32 v55, 29, v53
	s_delay_alu instid0(VALU_DEP_2)
	v_and_b32_e32 v53, 7, v56
; %bb.966:                              ;   in Loop: Header=BB299_541 Depth=1
	s_wait_alu 0xfffe
	s_or_b32 exec_lo, exec_lo, s14
	v_lshlrev_b32_e32 v1, 8, v1
	v_lshl_add_u32 v55, v55, 10, 0x2000
	v_lshlrev_b32_e32 v53, 23, v53
	s_delay_alu instid0(VALU_DEP_2) | instskip(NEXT) | instid1(VALU_DEP_1)
	v_and_or_b32 v1, 0x8000, v1, v55
	v_lshl_or_b32 v53, v1, 16, v53
.LBB299_967:                            ;   in Loop: Header=BB299_541 Depth=1
	s_or_b32 exec_lo, exec_lo, s13
.LBB299_968:                            ;   in Loop: Header=BB299_541 Depth=1
	s_wait_alu 0xfffe
	s_or_b32 exec_lo, exec_lo, s7
.LBB299_969:                            ;   in Loop: Header=BB299_541 Depth=1
	s_wait_alu 0xfffe
	s_or_b32 exec_lo, exec_lo, s6
	v_dual_mov_b32 v56, 0 :: v_dual_and_b32 v57, 0xff, v10
	v_mov_b32_e32 v1, v10
	v_mov_b32_e32 v55, 0
	s_mov_b32 s6, exec_lo
	s_delay_alu instid0(VALU_DEP_3)
	v_cmpx_ne_u16_e32 0, v57
	s_cbranch_execz .LBB299_977
; %bb.970:                              ;   in Loop: Header=BB299_541 Depth=1
	v_mov_b32_e32 v56, 0x8000
	s_mov_b32 s7, exec_lo
	v_cmpx_ne_u16_e32 0x80, v57
	s_cbranch_execz .LBB299_976
; %bb.971:                              ;   in Loop: Header=BB299_541 Depth=1
	v_and_b32_e32 v58, 0x7f, v10
	v_mov_b32_e32 v56, 0x7c01
	s_mov_b32 s13, exec_lo
	s_delay_alu instid0(VALU_DEP_2)
	v_cmpx_ne_u32_e32 0x7f, v58
	s_cbranch_execz .LBB299_975
; %bb.972:                              ;   in Loop: Header=BB299_541 Depth=1
	v_and_b32_e32 v56, 7, v10
	v_lshrrev_b32_e32 v57, 3, v58
	s_mov_b32 s14, exec_lo
	v_cmpx_gt_u32_e32 8, v58
; %bb.973:                              ;   in Loop: Header=BB299_541 Depth=1
	s_delay_alu instid0(VALU_DEP_3) | instskip(NEXT) | instid1(VALU_DEP_1)
	v_clz_i32_u32_e32 v56, v56
	v_min_u32_e32 v58, 32, v56
	s_delay_alu instid0(VALU_DEP_1) | instskip(NEXT) | instid1(VALU_DEP_1)
	v_subrev_nc_u32_e32 v56, 28, v58
	v_lshlrev_b64_e32 v[56:57], v56, v[1:2]
	v_sub_nc_u32_e32 v57, 29, v58
	s_delay_alu instid0(VALU_DEP_2)
	v_and_b32_e32 v56, 7, v56
; %bb.974:                              ;   in Loop: Header=BB299_541 Depth=1
	s_wait_alu 0xfffe
	s_or_b32 exec_lo, exec_lo, s14
	v_lshlrev_b32_e32 v58, 8, v10
	v_lshl_add_u32 v57, v57, 10, 0x2000
	v_lshlrev_b32_e32 v56, 7, v56
	s_delay_alu instid0(VALU_DEP_3) | instskip(NEXT) | instid1(VALU_DEP_3)
	v_and_b32_e32 v58, 0x8000, v58
	v_and_b32_e32 v57, 0xfc00, v57
	s_delay_alu instid0(VALU_DEP_1)
	v_or3_b32 v56, v58, v57, v56
.LBB299_975:                            ;   in Loop: Header=BB299_541 Depth=1
	s_or_b32 exec_lo, exec_lo, s13
.LBB299_976:                            ;   in Loop: Header=BB299_541 Depth=1
	s_wait_alu 0xfffe
	s_or_b32 exec_lo, exec_lo, s7
.LBB299_977:                            ;   in Loop: Header=BB299_541 Depth=1
	s_wait_alu 0xfffe
	s_or_b32 exec_lo, exec_lo, s6
	v_lshrrev_b16 v1, 8, v1
	v_mov_b32_e32 v57, 0
	s_mov_b32 s6, exec_lo
	s_delay_alu instid0(VALU_DEP_2)
	v_cmpx_ne_u16_e32 0, v1
	s_cbranch_execz .LBB299_985
; %bb.978:                              ;   in Loop: Header=BB299_541 Depth=1
	v_bfrev_b32_e32 v57, 1
	s_mov_b32 s7, exec_lo
	v_cmpx_ne_u16_e32 0x80, v1
	s_cbranch_execz .LBB299_984
; %bb.979:                              ;   in Loop: Header=BB299_541 Depth=1
	v_and_b32_e32 v58, 0xffff, v1
	v_mov_b32_e32 v57, 0x7c010000
	s_mov_b32 s13, exec_lo
	s_delay_alu instid0(VALU_DEP_2) | instskip(NEXT) | instid1(VALU_DEP_1)
	v_and_b32_e32 v60, 0x7f, v58
	v_cmpx_ne_u32_e32 0x7f, v60
	s_cbranch_execz .LBB299_983
; %bb.980:                              ;   in Loop: Header=BB299_541 Depth=1
	v_and_b32_e32 v57, 7, v58
	v_lshrrev_b32_e32 v59, 3, v60
	s_mov_b32 s14, exec_lo
	v_cmpx_gt_u32_e32 8, v60
; %bb.981:                              ;   in Loop: Header=BB299_541 Depth=1
	s_delay_alu instid0(VALU_DEP_3) | instskip(NEXT) | instid1(VALU_DEP_1)
	v_clz_i32_u32_e32 v57, v57
	v_min_u32_e32 v57, 32, v57
	s_delay_alu instid0(VALU_DEP_1) | instskip(NEXT) | instid1(VALU_DEP_1)
	v_subrev_nc_u32_e32 v59, 28, v57
	v_lshlrev_b64_e32 v[60:61], v59, v[1:2]
	v_sub_nc_u32_e32 v59, 29, v57
	s_delay_alu instid0(VALU_DEP_2)
	v_and_b32_e32 v57, 7, v60
; %bb.982:                              ;   in Loop: Header=BB299_541 Depth=1
	s_wait_alu 0xfffe
	s_or_b32 exec_lo, exec_lo, s14
	v_lshlrev_b32_e32 v1, 8, v58
	v_lshl_add_u32 v58, v59, 10, 0x2000
	v_lshlrev_b32_e32 v57, 23, v57
	s_delay_alu instid0(VALU_DEP_2) | instskip(NEXT) | instid1(VALU_DEP_1)
	v_and_or_b32 v1, 0x8000, v1, v58
	v_lshl_or_b32 v57, v1, 16, v57
.LBB299_983:                            ;   in Loop: Header=BB299_541 Depth=1
	s_or_b32 exec_lo, exec_lo, s13
.LBB299_984:                            ;   in Loop: Header=BB299_541 Depth=1
	s_wait_alu 0xfffe
	s_or_b32 exec_lo, exec_lo, s7
.LBB299_985:                            ;   in Loop: Header=BB299_541 Depth=1
	s_wait_alu 0xfffe
	s_or_b32 exec_lo, exec_lo, s6
	v_lshrrev_b32_e32 v1, 16, v10
	s_mov_b32 s6, exec_lo
	s_delay_alu instid0(VALU_DEP_1) | instskip(NEXT) | instid1(VALU_DEP_1)
	v_and_b32_e32 v58, 0xff, v1
	v_cmpx_ne_u16_e32 0, v58
	s_cbranch_execz .LBB299_993
; %bb.986:                              ;   in Loop: Header=BB299_541 Depth=1
	v_mov_b32_e32 v55, 0x8000
	s_mov_b32 s7, exec_lo
	v_cmpx_ne_u16_e32 0x80, v58
	s_cbranch_execz .LBB299_992
; %bb.987:                              ;   in Loop: Header=BB299_541 Depth=1
	v_bfe_u32 v59, v10, 16, 7
	v_mov_b32_e32 v55, 0x7c01
	s_mov_b32 s13, exec_lo
	s_delay_alu instid0(VALU_DEP_2)
	v_cmpx_ne_u32_e32 0x7f, v59
	s_cbranch_execz .LBB299_991
; %bb.988:                              ;   in Loop: Header=BB299_541 Depth=1
	v_and_b32_e32 v55, 7, v1
	v_lshrrev_b32_e32 v58, 3, v59
	s_mov_b32 s14, exec_lo
	v_cmpx_gt_u32_e32 8, v59
; %bb.989:                              ;   in Loop: Header=BB299_541 Depth=1
	s_delay_alu instid0(VALU_DEP_3) | instskip(NEXT) | instid1(VALU_DEP_1)
	v_clz_i32_u32_e32 v55, v55
	v_min_u32_e32 v55, 32, v55
	s_delay_alu instid0(VALU_DEP_1) | instskip(NEXT) | instid1(VALU_DEP_1)
	v_subrev_nc_u32_e32 v58, 28, v55
	v_lshlrev_b64_e32 v[59:60], v58, v[1:2]
	v_sub_nc_u32_e32 v58, 29, v55
	s_delay_alu instid0(VALU_DEP_2)
	v_and_b32_e32 v55, 7, v59
; %bb.990:                              ;   in Loop: Header=BB299_541 Depth=1
	s_wait_alu 0xfffe
	s_or_b32 exec_lo, exec_lo, s14
	v_lshlrev_b32_e32 v1, 8, v1
	v_lshl_add_u32 v58, v58, 10, 0x2000
	v_lshlrev_b32_e32 v55, 7, v55
	s_delay_alu instid0(VALU_DEP_3) | instskip(NEXT) | instid1(VALU_DEP_3)
	v_and_b32_e32 v1, 0x8000, v1
	v_and_b32_e32 v58, 0xfc00, v58
	s_delay_alu instid0(VALU_DEP_1)
	v_or3_b32 v55, v1, v58, v55
.LBB299_991:                            ;   in Loop: Header=BB299_541 Depth=1
	s_or_b32 exec_lo, exec_lo, s13
.LBB299_992:                            ;   in Loop: Header=BB299_541 Depth=1
	s_wait_alu 0xfffe
	s_or_b32 exec_lo, exec_lo, s7
.LBB299_993:                            ;   in Loop: Header=BB299_541 Depth=1
	s_wait_alu 0xfffe
	s_or_b32 exec_lo, exec_lo, s6
	v_cmp_lt_u64_e64 s0, s[2:3], v[9:10]
	v_mov_b32_e32 v9, 0
	s_and_saveexec_b32 s6, s0
	s_cbranch_execz .LBB299_1001
; %bb.994:                              ;   in Loop: Header=BB299_541 Depth=1
	v_lshrrev_b32_e32 v1, 24, v10
	v_bfrev_b32_e32 v9, 1
	s_mov_b32 s7, exec_lo
	s_delay_alu instid0(VALU_DEP_2)
	v_cmpx_ne_u32_e32 0x80, v1
	s_cbranch_execz .LBB299_1000
; %bb.995:                              ;   in Loop: Header=BB299_541 Depth=1
	v_and_b32_e32 v58, 0x7f, v1
	v_mov_b32_e32 v9, 0x7c010000
	s_mov_b32 s13, exec_lo
	s_delay_alu instid0(VALU_DEP_2)
	v_cmpx_ne_u32_e32 0x7f, v58
	s_cbranch_execz .LBB299_999
; %bb.996:                              ;   in Loop: Header=BB299_541 Depth=1
	v_and_b32_e32 v9, 7, v1
	v_lshrrev_b32_e32 v10, 3, v58
	s_mov_b32 s14, exec_lo
	v_cmpx_gt_u32_e32 8, v58
; %bb.997:                              ;   in Loop: Header=BB299_541 Depth=1
	s_delay_alu instid0(VALU_DEP_3) | instskip(NEXT) | instid1(VALU_DEP_1)
	v_clz_i32_u32_e32 v9, v9
	v_min_u32_e32 v58, 32, v9
	s_delay_alu instid0(VALU_DEP_1) | instskip(NEXT) | instid1(VALU_DEP_1)
	v_subrev_nc_u32_e32 v9, 28, v58
	v_lshlrev_b64_e32 v[9:10], v9, v[1:2]
	v_sub_nc_u32_e32 v10, 29, v58
	s_delay_alu instid0(VALU_DEP_2)
	v_and_b32_e32 v9, 7, v9
; %bb.998:                              ;   in Loop: Header=BB299_541 Depth=1
	s_wait_alu 0xfffe
	s_or_b32 exec_lo, exec_lo, s14
	v_lshlrev_b32_e32 v1, 8, v1
	v_lshl_add_u32 v10, v10, 10, 0x2000
	v_lshlrev_b32_e32 v9, 23, v9
	s_delay_alu instid0(VALU_DEP_2) | instskip(NEXT) | instid1(VALU_DEP_1)
	v_and_or_b32 v1, 0x8000, v1, v10
	v_lshl_or_b32 v9, v1, 16, v9
.LBB299_999:                            ;   in Loop: Header=BB299_541 Depth=1
	s_or_b32 exec_lo, exec_lo, s13
.LBB299_1000:                           ;   in Loop: Header=BB299_541 Depth=1
	s_wait_alu 0xfffe
	s_or_b32 exec_lo, exec_lo, s7
.LBB299_1001:                           ;   in Loop: Header=BB299_541 Depth=1
	s_wait_alu 0xfffe
	s_or_b32 exec_lo, exec_lo, s6
	v_or_b32_e32 v1, v53, v54
	s_wait_loadcnt 0x0
	v_fma_mixlo_f16 v10, v50, v53, 0 op_sel:[0,1,0] op_sel_hi:[0,1,0]
	v_or_b32_e32 v53, v51, v52
	v_fma_mixlo_f16 v51, v50, v51, 0 op_sel:[0,1,0] op_sel_hi:[0,1,0]
	v_or_b32_e32 v54, v57, v56
	v_or_b32_e32 v55, v9, v55
	v_fma_mixlo_f16 v56, v50, v1, 0 op_sel_hi:[0,1,0]
	v_fma_mixlo_f16 v9, v50, v9, 0 op_sel:[0,1,0] op_sel_hi:[0,1,0]
	v_lshlrev_b32_e32 v52, 16, v51
	v_fma_mixlo_f16 v51, v50, v53, 0 op_sel_hi:[0,1,0]
	v_fma_mixlo_f16 v53, v50, v57, 0 op_sel:[0,1,0] op_sel_hi:[0,1,0]
	v_fma_mixlo_f16 v54, v50, v54, 0 op_sel_hi:[0,1,0]
	v_fma_mixlo_f16 v55, v50, v55, 0 op_sel_hi:[0,1,0]
	v_lshlrev_b32_e32 v1, 16, v10
	v_and_b32_e32 v10, 0xffff, v56
	v_and_b32_e32 v58, 0xffff, v51
	v_lshlrev_b32_e32 v50, 16, v53
	v_and_b32_e32 v54, 0xffff, v54
	v_lshlrev_b32_e32 v9, 16, v9
	v_and_b32_e32 v51, 0xffff, v55
	v_or_b32_e32 v53, v1, v10
	v_or_b32_e32 v57, v52, v58
	v_or_b32_e32 v56, v50, v54
	s_delay_alu instid0(VALU_DEP_4)
	v_or_b32_e32 v55, v9, v51
	s_and_saveexec_b32 s6, vcc_lo
	s_cbranch_execz .LBB299_1003
; %bb.1002:                             ;   in Loop: Header=BB299_541 Depth=1
	v_cmp_gt_i32_e64 s0, s27, v14
	s_wait_alu 0xf1ff
	s_delay_alu instid0(VALU_DEP_1) | instskip(SKIP_2) | instid1(VALU_DEP_1)
	v_cndmask_b32_e64 v53, 0, v58, s0
	v_cmp_gt_i32_e64 s0, s27, v33
	s_wait_alu 0xf1ff
	v_cndmask_b32_e64 v52, 0, v52, s0
	v_cmp_gt_i32_e64 s0, s27, v32
	s_delay_alu instid0(VALU_DEP_2) | instskip(SKIP_1) | instid1(VALU_DEP_2)
	v_or_b32_e32 v57, v52, v53
	s_wait_alu 0xf1ff
	v_cndmask_b32_e64 v10, 0, v10, s0
	v_cmp_gt_i32_e64 s0, s27, v31
	s_wait_alu 0xf1ff
	s_delay_alu instid0(VALU_DEP_1) | instskip(SKIP_1) | instid1(VALU_DEP_2)
	v_cndmask_b32_e64 v1, 0, v1, s0
	v_cmp_gt_i32_e64 s0, s27, v30
	v_or_b32_e32 v53, v1, v10
	s_wait_alu 0xf1ff
	s_delay_alu instid0(VALU_DEP_2) | instskip(SKIP_2) | instid1(VALU_DEP_1)
	v_cndmask_b32_e64 v54, 0, v54, s0
	v_cmp_gt_i32_e64 s0, s27, v29
	s_wait_alu 0xf1ff
	v_cndmask_b32_e64 v50, 0, v50, s0
	v_cmp_gt_i32_e64 s0, s27, v28
	s_delay_alu instid0(VALU_DEP_2) | instskip(SKIP_1) | instid1(VALU_DEP_2)
	v_or_b32_e32 v56, v50, v54
	s_wait_alu 0xf1ff
	v_cndmask_b32_e64 v51, 0, v51, s0
	v_cmp_gt_i32_e64 s0, s27, v26
	s_wait_alu 0xf1ff
	s_delay_alu instid0(VALU_DEP_1) | instskip(NEXT) | instid1(VALU_DEP_1)
	v_cndmask_b32_e64 v9, 0, v9, s0
	v_or_b32_e32 v55, v9, v51
.LBB299_1003:                           ;   in Loop: Header=BB299_541 Depth=1
	s_wait_alu 0xfffe
	s_or_b32 exec_lo, exec_lo, s6
	;;#ASMSTART
	v_pk_mul_f16 v1, v38, v57;

	;;#ASMEND
	;;#ASMSTART
	v_pk_mul_f16 v9, v36, v53;

	;;#ASMEND
	;; [unrolled: 4-line block ×4, first 2 shown]
	;;#ASMSTART
	v_pk_add_f16 v1, v1, v9;

	;;#ASMEND
	;;#ASMSTART
	v_pk_add_f16 v1, v1, v10;

	;;#ASMEND
	;; [unrolled: 4-line block ×3, first 2 shown]
	v_dual_mov_b32 v52, 0 :: v_dual_and_b32 v9, 0xffff, v1
	v_lshrrev_b32_e32 v1, 16, v1
	;;#ASMSTART
	v_cvt_f32_f16 v9, v9;
	;;#ASMEND
	;;#ASMSTART
	v_cvt_f32_f16 v10, v1;
	;;#ASMEND
	global_load_b64 v[7:8], v[7:8], off offset:1792
	v_mov_b32_e32 v51, 0
	s_mov_b32 s6, exec_lo
	global_load_b32 v50, v51, s[10:11]
	s_wait_loadcnt 0x1
	v_and_b32_e32 v1, 0xff, v7
	s_delay_alu instid0(VALU_DEP_1)
	v_cmpx_ne_u16_e32 0, v1
	s_cbranch_execz .LBB299_1011
; %bb.1004:                             ;   in Loop: Header=BB299_541 Depth=1
	v_mov_b32_e32 v52, 0x8000
	s_mov_b32 s7, exec_lo
	v_cmpx_ne_u16_e32 0x80, v1
	s_cbranch_execz .LBB299_1010
; %bb.1005:                             ;   in Loop: Header=BB299_541 Depth=1
	v_and_b32_e32 v53, 0x7f, v7
	v_mov_b32_e32 v52, 0x7c01
	s_mov_b32 s13, exec_lo
	s_delay_alu instid0(VALU_DEP_2)
	v_cmpx_ne_u32_e32 0x7f, v53
	s_cbranch_execz .LBB299_1009
; %bb.1006:                             ;   in Loop: Header=BB299_541 Depth=1
	v_and_b32_e32 v1, 7, v7
	v_lshrrev_b32_e32 v52, 3, v53
	s_mov_b32 s14, exec_lo
	v_cmpx_gt_u32_e32 8, v53
; %bb.1007:                             ;   in Loop: Header=BB299_541 Depth=1
	s_delay_alu instid0(VALU_DEP_3) | instskip(NEXT) | instid1(VALU_DEP_1)
	v_clz_i32_u32_e32 v1, v1
	v_min_u32_e32 v1, 32, v1
	s_delay_alu instid0(VALU_DEP_1) | instskip(NEXT) | instid1(VALU_DEP_1)
	v_subrev_nc_u32_e32 v52, 28, v1
	v_lshlrev_b64_e32 v[53:54], v52, v[7:8]
	v_sub_nc_u32_e32 v52, 29, v1
	s_delay_alu instid0(VALU_DEP_2)
	v_and_b32_e32 v1, 7, v53
; %bb.1008:                             ;   in Loop: Header=BB299_541 Depth=1
	s_wait_alu 0xfffe
	s_or_b32 exec_lo, exec_lo, s14
	v_lshlrev_b32_e32 v53, 8, v7
	v_lshl_add_u32 v52, v52, 10, 0x2000
	v_lshlrev_b32_e32 v1, 7, v1
	s_delay_alu instid0(VALU_DEP_3) | instskip(NEXT) | instid1(VALU_DEP_3)
	v_and_b32_e32 v53, 0x8000, v53
	v_and_b32_e32 v52, 0xfc00, v52
	s_delay_alu instid0(VALU_DEP_1)
	v_or3_b32 v52, v53, v52, v1
.LBB299_1009:                           ;   in Loop: Header=BB299_541 Depth=1
	s_or_b32 exec_lo, exec_lo, s13
.LBB299_1010:                           ;   in Loop: Header=BB299_541 Depth=1
	s_wait_alu 0xfffe
	s_or_b32 exec_lo, exec_lo, s7
.LBB299_1011:                           ;   in Loop: Header=BB299_541 Depth=1
	s_wait_alu 0xfffe
	s_or_b32 exec_lo, exec_lo, s6
	v_lshrrev_b16 v1, 8, v7
	s_mov_b32 s6, exec_lo
	s_delay_alu instid0(VALU_DEP_1)
	v_cmpx_ne_u16_e32 0, v1
	s_cbranch_execz .LBB299_1019
; %bb.1012:                             ;   in Loop: Header=BB299_541 Depth=1
	v_bfrev_b32_e32 v51, 1
	s_mov_b32 s7, exec_lo
	v_cmpx_ne_u16_e32 0x80, v1
	s_cbranch_execz .LBB299_1018
; %bb.1013:                             ;   in Loop: Header=BB299_541 Depth=1
	v_and_b32_e32 v53, 0xffff, v1
	v_mov_b32_e32 v51, 0x7c010000
	s_mov_b32 s13, exec_lo
	s_delay_alu instid0(VALU_DEP_2) | instskip(NEXT) | instid1(VALU_DEP_1)
	v_and_b32_e32 v55, 0x7f, v53
	v_cmpx_ne_u32_e32 0x7f, v55
	s_cbranch_execz .LBB299_1017
; %bb.1014:                             ;   in Loop: Header=BB299_541 Depth=1
	v_and_b32_e32 v51, 7, v53
	v_lshrrev_b32_e32 v54, 3, v55
	s_mov_b32 s14, exec_lo
	v_cmpx_gt_u32_e32 8, v55
; %bb.1015:                             ;   in Loop: Header=BB299_541 Depth=1
	s_delay_alu instid0(VALU_DEP_3) | instskip(NEXT) | instid1(VALU_DEP_1)
	v_clz_i32_u32_e32 v51, v51
	v_min_u32_e32 v51, 32, v51
	s_delay_alu instid0(VALU_DEP_1) | instskip(NEXT) | instid1(VALU_DEP_1)
	v_subrev_nc_u32_e32 v54, 28, v51
	v_lshlrev_b64_e32 v[55:56], v54, v[1:2]
	v_sub_nc_u32_e32 v54, 29, v51
	s_delay_alu instid0(VALU_DEP_2)
	v_and_b32_e32 v51, 7, v55
; %bb.1016:                             ;   in Loop: Header=BB299_541 Depth=1
	s_wait_alu 0xfffe
	s_or_b32 exec_lo, exec_lo, s14
	v_lshlrev_b32_e32 v1, 8, v53
	v_lshl_add_u32 v53, v54, 10, 0x2000
	v_lshlrev_b32_e32 v51, 23, v51
	s_delay_alu instid0(VALU_DEP_2) | instskip(NEXT) | instid1(VALU_DEP_1)
	v_and_or_b32 v1, 0x8000, v1, v53
	v_lshl_or_b32 v51, v1, 16, v51
.LBB299_1017:                           ;   in Loop: Header=BB299_541 Depth=1
	s_or_b32 exec_lo, exec_lo, s13
.LBB299_1018:                           ;   in Loop: Header=BB299_541 Depth=1
	s_wait_alu 0xfffe
	s_or_b32 exec_lo, exec_lo, s7
.LBB299_1019:                           ;   in Loop: Header=BB299_541 Depth=1
	s_wait_alu 0xfffe
	s_or_b32 exec_lo, exec_lo, s6
	v_lshrrev_b32_e32 v1, 16, v7
	v_mov_b32_e32 v53, 0
	s_mov_b32 s6, exec_lo
	s_delay_alu instid0(VALU_DEP_2) | instskip(NEXT) | instid1(VALU_DEP_1)
	v_dual_mov_b32 v54, 0 :: v_dual_and_b32 v55, 0xff, v1
	v_cmpx_ne_u16_e32 0, v55
	s_cbranch_execz .LBB299_1027
; %bb.1020:                             ;   in Loop: Header=BB299_541 Depth=1
	v_mov_b32_e32 v54, 0x8000
	s_mov_b32 s7, exec_lo
	v_cmpx_ne_u16_e32 0x80, v55
	s_cbranch_execz .LBB299_1026
; %bb.1021:                             ;   in Loop: Header=BB299_541 Depth=1
	v_bfe_u32 v56, v7, 16, 7
	v_mov_b32_e32 v54, 0x7c01
	s_mov_b32 s13, exec_lo
	s_delay_alu instid0(VALU_DEP_2)
	v_cmpx_ne_u32_e32 0x7f, v56
	s_cbranch_execz .LBB299_1025
; %bb.1022:                             ;   in Loop: Header=BB299_541 Depth=1
	v_and_b32_e32 v54, 7, v1
	v_lshrrev_b32_e32 v55, 3, v56
	s_mov_b32 s14, exec_lo
	v_cmpx_gt_u32_e32 8, v56
; %bb.1023:                             ;   in Loop: Header=BB299_541 Depth=1
	s_delay_alu instid0(VALU_DEP_3) | instskip(NEXT) | instid1(VALU_DEP_1)
	v_clz_i32_u32_e32 v54, v54
	v_min_u32_e32 v56, 32, v54
	s_delay_alu instid0(VALU_DEP_1) | instskip(NEXT) | instid1(VALU_DEP_1)
	v_subrev_nc_u32_e32 v54, 28, v56
	v_lshlrev_b64_e32 v[54:55], v54, v[1:2]
	v_sub_nc_u32_e32 v55, 29, v56
	s_delay_alu instid0(VALU_DEP_2)
	v_and_b32_e32 v54, 7, v54
; %bb.1024:                             ;   in Loop: Header=BB299_541 Depth=1
	s_wait_alu 0xfffe
	s_or_b32 exec_lo, exec_lo, s14
	v_lshlrev_b32_e32 v1, 8, v1
	v_lshl_add_u32 v55, v55, 10, 0x2000
	v_lshlrev_b32_e32 v54, 7, v54
	s_delay_alu instid0(VALU_DEP_3) | instskip(NEXT) | instid1(VALU_DEP_3)
	v_and_b32_e32 v1, 0x8000, v1
	v_and_b32_e32 v55, 0xfc00, v55
	s_delay_alu instid0(VALU_DEP_1)
	v_or3_b32 v54, v1, v55, v54
.LBB299_1025:                           ;   in Loop: Header=BB299_541 Depth=1
	s_or_b32 exec_lo, exec_lo, s13
.LBB299_1026:                           ;   in Loop: Header=BB299_541 Depth=1
	s_wait_alu 0xfffe
	s_or_b32 exec_lo, exec_lo, s7
.LBB299_1027:                           ;   in Loop: Header=BB299_541 Depth=1
	s_wait_alu 0xfffe
	s_or_b32 exec_lo, exec_lo, s6
	s_delay_alu instid0(SALU_CYCLE_1)
	s_mov_b32 s6, exec_lo
	v_cmpx_lt_u32_e32 0xffffff, v7
	s_cbranch_execz .LBB299_1035
; %bb.1028:                             ;   in Loop: Header=BB299_541 Depth=1
	v_lshrrev_b32_e32 v1, 24, v7
	v_bfrev_b32_e32 v53, 1
	s_mov_b32 s7, exec_lo
	s_delay_alu instid0(VALU_DEP_2)
	v_cmpx_ne_u32_e32 0x80, v1
	s_cbranch_execz .LBB299_1034
; %bb.1029:                             ;   in Loop: Header=BB299_541 Depth=1
	v_and_b32_e32 v56, 0x7f, v1
	v_mov_b32_e32 v53, 0x7c010000
	s_mov_b32 s13, exec_lo
	s_delay_alu instid0(VALU_DEP_2)
	v_cmpx_ne_u32_e32 0x7f, v56
	s_cbranch_execz .LBB299_1033
; %bb.1030:                             ;   in Loop: Header=BB299_541 Depth=1
	v_and_b32_e32 v53, 7, v1
	v_lshrrev_b32_e32 v55, 3, v56
	s_mov_b32 s14, exec_lo
	v_cmpx_gt_u32_e32 8, v56
; %bb.1031:                             ;   in Loop: Header=BB299_541 Depth=1
	s_delay_alu instid0(VALU_DEP_3) | instskip(NEXT) | instid1(VALU_DEP_1)
	v_clz_i32_u32_e32 v53, v53
	v_min_u32_e32 v53, 32, v53
	s_delay_alu instid0(VALU_DEP_1) | instskip(NEXT) | instid1(VALU_DEP_1)
	v_subrev_nc_u32_e32 v55, 28, v53
	v_lshlrev_b64_e32 v[56:57], v55, v[1:2]
	v_sub_nc_u32_e32 v55, 29, v53
	s_delay_alu instid0(VALU_DEP_2)
	v_and_b32_e32 v53, 7, v56
; %bb.1032:                             ;   in Loop: Header=BB299_541 Depth=1
	s_wait_alu 0xfffe
	s_or_b32 exec_lo, exec_lo, s14
	v_lshlrev_b32_e32 v1, 8, v1
	v_lshl_add_u32 v55, v55, 10, 0x2000
	v_lshlrev_b32_e32 v53, 23, v53
	s_delay_alu instid0(VALU_DEP_2) | instskip(NEXT) | instid1(VALU_DEP_1)
	v_and_or_b32 v1, 0x8000, v1, v55
	v_lshl_or_b32 v53, v1, 16, v53
.LBB299_1033:                           ;   in Loop: Header=BB299_541 Depth=1
	s_or_b32 exec_lo, exec_lo, s13
.LBB299_1034:                           ;   in Loop: Header=BB299_541 Depth=1
	s_wait_alu 0xfffe
	s_or_b32 exec_lo, exec_lo, s7
.LBB299_1035:                           ;   in Loop: Header=BB299_541 Depth=1
	s_wait_alu 0xfffe
	s_or_b32 exec_lo, exec_lo, s6
	v_dual_mov_b32 v56, 0 :: v_dual_and_b32 v57, 0xff, v8
	v_mov_b32_e32 v1, v8
	v_mov_b32_e32 v55, 0
	s_mov_b32 s6, exec_lo
	s_delay_alu instid0(VALU_DEP_3)
	v_cmpx_ne_u16_e32 0, v57
	s_cbranch_execz .LBB299_1043
; %bb.1036:                             ;   in Loop: Header=BB299_541 Depth=1
	v_mov_b32_e32 v56, 0x8000
	s_mov_b32 s7, exec_lo
	v_cmpx_ne_u16_e32 0x80, v57
	s_cbranch_execz .LBB299_1042
; %bb.1037:                             ;   in Loop: Header=BB299_541 Depth=1
	v_and_b32_e32 v58, 0x7f, v8
	v_mov_b32_e32 v56, 0x7c01
	s_mov_b32 s13, exec_lo
	s_delay_alu instid0(VALU_DEP_2)
	v_cmpx_ne_u32_e32 0x7f, v58
	s_cbranch_execz .LBB299_1041
; %bb.1038:                             ;   in Loop: Header=BB299_541 Depth=1
	v_and_b32_e32 v56, 7, v8
	v_lshrrev_b32_e32 v57, 3, v58
	s_mov_b32 s14, exec_lo
	v_cmpx_gt_u32_e32 8, v58
; %bb.1039:                             ;   in Loop: Header=BB299_541 Depth=1
	s_delay_alu instid0(VALU_DEP_3) | instskip(NEXT) | instid1(VALU_DEP_1)
	v_clz_i32_u32_e32 v56, v56
	v_min_u32_e32 v58, 32, v56
	s_delay_alu instid0(VALU_DEP_1) | instskip(NEXT) | instid1(VALU_DEP_1)
	v_subrev_nc_u32_e32 v56, 28, v58
	v_lshlrev_b64_e32 v[56:57], v56, v[1:2]
	v_sub_nc_u32_e32 v57, 29, v58
	s_delay_alu instid0(VALU_DEP_2)
	v_and_b32_e32 v56, 7, v56
; %bb.1040:                             ;   in Loop: Header=BB299_541 Depth=1
	s_wait_alu 0xfffe
	s_or_b32 exec_lo, exec_lo, s14
	v_lshlrev_b32_e32 v58, 8, v8
	v_lshl_add_u32 v57, v57, 10, 0x2000
	v_lshlrev_b32_e32 v56, 7, v56
	s_delay_alu instid0(VALU_DEP_3) | instskip(NEXT) | instid1(VALU_DEP_3)
	v_and_b32_e32 v58, 0x8000, v58
	v_and_b32_e32 v57, 0xfc00, v57
	s_delay_alu instid0(VALU_DEP_1)
	v_or3_b32 v56, v58, v57, v56
.LBB299_1041:                           ;   in Loop: Header=BB299_541 Depth=1
	s_or_b32 exec_lo, exec_lo, s13
.LBB299_1042:                           ;   in Loop: Header=BB299_541 Depth=1
	s_wait_alu 0xfffe
	s_or_b32 exec_lo, exec_lo, s7
.LBB299_1043:                           ;   in Loop: Header=BB299_541 Depth=1
	s_wait_alu 0xfffe
	s_or_b32 exec_lo, exec_lo, s6
	v_lshrrev_b16 v1, 8, v1
	v_mov_b32_e32 v57, 0
	s_mov_b32 s6, exec_lo
	s_delay_alu instid0(VALU_DEP_2)
	v_cmpx_ne_u16_e32 0, v1
	s_cbranch_execz .LBB299_1051
; %bb.1044:                             ;   in Loop: Header=BB299_541 Depth=1
	v_bfrev_b32_e32 v57, 1
	s_mov_b32 s7, exec_lo
	v_cmpx_ne_u16_e32 0x80, v1
	s_cbranch_execz .LBB299_1050
; %bb.1045:                             ;   in Loop: Header=BB299_541 Depth=1
	v_and_b32_e32 v58, 0xffff, v1
	v_mov_b32_e32 v57, 0x7c010000
	s_mov_b32 s13, exec_lo
	s_delay_alu instid0(VALU_DEP_2) | instskip(NEXT) | instid1(VALU_DEP_1)
	v_and_b32_e32 v60, 0x7f, v58
	v_cmpx_ne_u32_e32 0x7f, v60
	s_cbranch_execz .LBB299_1049
; %bb.1046:                             ;   in Loop: Header=BB299_541 Depth=1
	v_and_b32_e32 v57, 7, v58
	v_lshrrev_b32_e32 v59, 3, v60
	s_mov_b32 s14, exec_lo
	v_cmpx_gt_u32_e32 8, v60
; %bb.1047:                             ;   in Loop: Header=BB299_541 Depth=1
	s_delay_alu instid0(VALU_DEP_3) | instskip(NEXT) | instid1(VALU_DEP_1)
	v_clz_i32_u32_e32 v57, v57
	v_min_u32_e32 v57, 32, v57
	s_delay_alu instid0(VALU_DEP_1) | instskip(NEXT) | instid1(VALU_DEP_1)
	v_subrev_nc_u32_e32 v59, 28, v57
	v_lshlrev_b64_e32 v[60:61], v59, v[1:2]
	v_sub_nc_u32_e32 v59, 29, v57
	s_delay_alu instid0(VALU_DEP_2)
	v_and_b32_e32 v57, 7, v60
; %bb.1048:                             ;   in Loop: Header=BB299_541 Depth=1
	s_wait_alu 0xfffe
	s_or_b32 exec_lo, exec_lo, s14
	v_lshlrev_b32_e32 v1, 8, v58
	v_lshl_add_u32 v58, v59, 10, 0x2000
	v_lshlrev_b32_e32 v57, 23, v57
	s_delay_alu instid0(VALU_DEP_2) | instskip(NEXT) | instid1(VALU_DEP_1)
	v_and_or_b32 v1, 0x8000, v1, v58
	v_lshl_or_b32 v57, v1, 16, v57
.LBB299_1049:                           ;   in Loop: Header=BB299_541 Depth=1
	s_or_b32 exec_lo, exec_lo, s13
.LBB299_1050:                           ;   in Loop: Header=BB299_541 Depth=1
	s_wait_alu 0xfffe
	s_or_b32 exec_lo, exec_lo, s7
.LBB299_1051:                           ;   in Loop: Header=BB299_541 Depth=1
	s_wait_alu 0xfffe
	s_or_b32 exec_lo, exec_lo, s6
	v_lshrrev_b32_e32 v1, 16, v8
	s_mov_b32 s6, exec_lo
	s_delay_alu instid0(VALU_DEP_1) | instskip(NEXT) | instid1(VALU_DEP_1)
	v_and_b32_e32 v58, 0xff, v1
	v_cmpx_ne_u16_e32 0, v58
	s_cbranch_execz .LBB299_1059
; %bb.1052:                             ;   in Loop: Header=BB299_541 Depth=1
	v_mov_b32_e32 v55, 0x8000
	s_mov_b32 s7, exec_lo
	v_cmpx_ne_u16_e32 0x80, v58
	s_cbranch_execz .LBB299_1058
; %bb.1053:                             ;   in Loop: Header=BB299_541 Depth=1
	v_bfe_u32 v59, v8, 16, 7
	v_mov_b32_e32 v55, 0x7c01
	s_mov_b32 s13, exec_lo
	s_delay_alu instid0(VALU_DEP_2)
	v_cmpx_ne_u32_e32 0x7f, v59
	s_cbranch_execz .LBB299_1057
; %bb.1054:                             ;   in Loop: Header=BB299_541 Depth=1
	v_and_b32_e32 v55, 7, v1
	v_lshrrev_b32_e32 v58, 3, v59
	s_mov_b32 s14, exec_lo
	v_cmpx_gt_u32_e32 8, v59
; %bb.1055:                             ;   in Loop: Header=BB299_541 Depth=1
	s_delay_alu instid0(VALU_DEP_3) | instskip(NEXT) | instid1(VALU_DEP_1)
	v_clz_i32_u32_e32 v55, v55
	v_min_u32_e32 v55, 32, v55
	s_delay_alu instid0(VALU_DEP_1) | instskip(NEXT) | instid1(VALU_DEP_1)
	v_subrev_nc_u32_e32 v58, 28, v55
	v_lshlrev_b64_e32 v[59:60], v58, v[1:2]
	v_sub_nc_u32_e32 v58, 29, v55
	s_delay_alu instid0(VALU_DEP_2)
	v_and_b32_e32 v55, 7, v59
; %bb.1056:                             ;   in Loop: Header=BB299_541 Depth=1
	s_wait_alu 0xfffe
	s_or_b32 exec_lo, exec_lo, s14
	v_lshlrev_b32_e32 v1, 8, v1
	v_lshl_add_u32 v58, v58, 10, 0x2000
	v_lshlrev_b32_e32 v55, 7, v55
	s_delay_alu instid0(VALU_DEP_3) | instskip(NEXT) | instid1(VALU_DEP_3)
	v_and_b32_e32 v1, 0x8000, v1
	v_and_b32_e32 v58, 0xfc00, v58
	s_delay_alu instid0(VALU_DEP_1)
	v_or3_b32 v55, v1, v58, v55
.LBB299_1057:                           ;   in Loop: Header=BB299_541 Depth=1
	s_or_b32 exec_lo, exec_lo, s13
.LBB299_1058:                           ;   in Loop: Header=BB299_541 Depth=1
	s_wait_alu 0xfffe
	s_or_b32 exec_lo, exec_lo, s7
.LBB299_1059:                           ;   in Loop: Header=BB299_541 Depth=1
	s_wait_alu 0xfffe
	s_or_b32 exec_lo, exec_lo, s6
	v_cmp_lt_u64_e64 s0, s[2:3], v[7:8]
	v_mov_b32_e32 v7, 0
	s_and_saveexec_b32 s6, s0
	s_cbranch_execz .LBB299_1067
; %bb.1060:                             ;   in Loop: Header=BB299_541 Depth=1
	v_lshrrev_b32_e32 v1, 24, v8
	v_bfrev_b32_e32 v7, 1
	s_mov_b32 s7, exec_lo
	s_delay_alu instid0(VALU_DEP_2)
	v_cmpx_ne_u32_e32 0x80, v1
	s_cbranch_execz .LBB299_1066
; %bb.1061:                             ;   in Loop: Header=BB299_541 Depth=1
	v_and_b32_e32 v58, 0x7f, v1
	v_mov_b32_e32 v7, 0x7c010000
	s_mov_b32 s13, exec_lo
	s_delay_alu instid0(VALU_DEP_2)
	v_cmpx_ne_u32_e32 0x7f, v58
	s_cbranch_execz .LBB299_1065
; %bb.1062:                             ;   in Loop: Header=BB299_541 Depth=1
	v_and_b32_e32 v7, 7, v1
	v_lshrrev_b32_e32 v8, 3, v58
	s_mov_b32 s14, exec_lo
	v_cmpx_gt_u32_e32 8, v58
; %bb.1063:                             ;   in Loop: Header=BB299_541 Depth=1
	s_delay_alu instid0(VALU_DEP_3) | instskip(NEXT) | instid1(VALU_DEP_1)
	v_clz_i32_u32_e32 v7, v7
	v_min_u32_e32 v58, 32, v7
	s_delay_alu instid0(VALU_DEP_1) | instskip(NEXT) | instid1(VALU_DEP_1)
	v_subrev_nc_u32_e32 v7, 28, v58
	v_lshlrev_b64_e32 v[7:8], v7, v[1:2]
	v_sub_nc_u32_e32 v8, 29, v58
	s_delay_alu instid0(VALU_DEP_2)
	v_and_b32_e32 v7, 7, v7
; %bb.1064:                             ;   in Loop: Header=BB299_541 Depth=1
	s_wait_alu 0xfffe
	s_or_b32 exec_lo, exec_lo, s14
	v_lshlrev_b32_e32 v1, 8, v1
	v_lshl_add_u32 v8, v8, 10, 0x2000
	v_lshlrev_b32_e32 v7, 23, v7
	s_delay_alu instid0(VALU_DEP_2) | instskip(NEXT) | instid1(VALU_DEP_1)
	v_and_or_b32 v1, 0x8000, v1, v8
	v_lshl_or_b32 v7, v1, 16, v7
.LBB299_1065:                           ;   in Loop: Header=BB299_541 Depth=1
	s_or_b32 exec_lo, exec_lo, s13
.LBB299_1066:                           ;   in Loop: Header=BB299_541 Depth=1
	s_wait_alu 0xfffe
	s_or_b32 exec_lo, exec_lo, s7
.LBB299_1067:                           ;   in Loop: Header=BB299_541 Depth=1
	s_wait_alu 0xfffe
	s_or_b32 exec_lo, exec_lo, s6
	v_or_b32_e32 v1, v53, v54
	s_wait_loadcnt 0x0
	v_fma_mixlo_f16 v8, v50, v53, 0 op_sel:[0,1,0] op_sel_hi:[0,1,0]
	v_or_b32_e32 v52, v51, v52
	v_fma_mixlo_f16 v53, v50, v51, 0 op_sel:[0,1,0] op_sel_hi:[0,1,0]
	v_or_b32_e32 v54, v57, v56
	v_fma_mixlo_f16 v1, v50, v1, 0 op_sel_hi:[0,1,0]
	v_or_b32_e32 v55, v7, v55
	v_lshlrev_b32_e32 v51, 16, v8
	v_lshlrev_b32_e32 v56, 16, v53
	v_fma_mixlo_f16 v8, v50, v52, 0 op_sel_hi:[0,1,0]
	v_and_b32_e32 v53, 0xffff, v1
	v_fma_mixlo_f16 v1, v50, v57, 0 op_sel:[0,1,0] op_sel_hi:[0,1,0]
	v_fma_mixlo_f16 v52, v50, v54, 0 op_sel_hi:[0,1,0]
	v_fma_mixlo_f16 v7, v50, v7, 0 op_sel:[0,1,0] op_sel_hi:[0,1,0]
	v_fma_mixlo_f16 v50, v50, v55, 0 op_sel_hi:[0,1,0]
	v_and_b32_e32 v58, 0xffff, v8
	v_lshlrev_b32_e32 v54, 16, v1
	v_and_b32_e32 v57, 0xffff, v52
	v_lshlrev_b32_e32 v52, 16, v7
	v_and_b32_e32 v55, 0xffff, v50
	v_or_b32_e32 v1, v51, v53
	v_or_b32_e32 v50, v56, v58
	;; [unrolled: 1-line block ×3, first 2 shown]
	s_delay_alu instid0(VALU_DEP_4)
	v_or_b32_e32 v7, v52, v55
	s_and_saveexec_b32 s0, vcc_lo
	s_cbranch_execz .LBB299_540
; %bb.1068:                             ;   in Loop: Header=BB299_541 Depth=1
	v_cmp_gt_i32_e32 vcc_lo, s27, v14
	s_wait_alu 0xfffd
	v_cndmask_b32_e32 v1, 0, v58, vcc_lo
	v_cmp_gt_i32_e32 vcc_lo, s27, v33
	s_wait_alu 0xfffd
	v_cndmask_b32_e32 v7, 0, v56, vcc_lo
	;; [unrolled: 3-line block ×4, first 2 shown]
	v_cmp_gt_i32_e32 vcc_lo, s27, v30
	v_or_b32_e32 v50, v7, v1
	s_delay_alu instid0(VALU_DEP_3)
	v_or_b32_e32 v1, v14, v8
	s_wait_alu 0xfffd
	v_cndmask_b32_e32 v30, 0, v57, vcc_lo
	v_cmp_gt_i32_e32 vcc_lo, s27, v29
	s_wait_alu 0xfffd
	v_cndmask_b32_e32 v29, 0, v54, vcc_lo
	v_cmp_gt_i32_e32 vcc_lo, s27, v28
	s_delay_alu instid0(VALU_DEP_2)
	v_or_b32_e32 v8, v29, v30
	s_wait_alu 0xfffd
	v_cndmask_b32_e32 v28, 0, v55, vcc_lo
	v_cmp_gt_i32_e32 vcc_lo, s27, v26
	s_wait_alu 0xfffd
	v_cndmask_b32_e32 v31, 0, v52, vcc_lo
	s_delay_alu instid0(VALU_DEP_1)
	v_or_b32_e32 v7, v31, v28
	s_branch .LBB299_540
.LBB299_1069:
	s_or_b32 exec_lo, exec_lo, s5
.LBB299_1070:
	s_wait_alu 0xfffe
	s_or_b32 exec_lo, exec_lo, s1
	ds_bpermute_b32 v1, v17, v23
	ds_bpermute_b32 v2, v17, v25
	;; [unrolled: 1-line block ×8, first 2 shown]
	v_lshrrev_b32_e32 v9, 2, v12
	s_mov_b32 s0, exec_lo
	s_wait_storecnt 0x0
	s_wait_loadcnt_dscnt 0x0
	s_barrier_signal -1
	s_barrier_wait -1
	global_inv scope:SCOPE_SE
	v_dual_add_f32 v1, v23, v1 :: v_dual_add_f32 v2, v25, v2
	v_dual_add_f32 v3, v24, v3 :: v_dual_add_f32 v4, v22, v4
	v_dual_add_f32 v13, v21, v5 :: v_dual_add_f32 v14, v20, v6
	v_dual_add_f32 v17, v19, v7 :: v_dual_add_f32 v18, v18, v8
	ds_bpermute_b32 v5, v16, v1
	ds_bpermute_b32 v6, v16, v2
	ds_bpermute_b32 v19, v16, v3
	ds_bpermute_b32 v20, v16, v4
	ds_bpermute_b32 v21, v16, v13
	ds_bpermute_b32 v22, v16, v14
	ds_bpermute_b32 v23, v16, v17
	ds_bpermute_b32 v16, v16, v18
	v_and_b32_e32 v7, 28, v12
	v_lshlrev_b32_e32 v11, 8, v11
	v_and_b32_e32 v12, 0x3c3, v0
	s_wait_dscnt 0x7
	v_add_f32_e32 v8, v1, v5
	s_wait_dscnt 0x6
	v_dual_add_f32 v7, v2, v6 :: v_dual_add_nc_u32 v10, 0xa0, v7
	s_wait_dscnt 0x4
	v_dual_add_f32 v6, v3, v19 :: v_dual_add_f32 v5, v4, v20
	s_wait_dscnt 0x2
	v_dual_add_f32 v4, v13, v21 :: v_dual_add_f32 v3, v14, v22
	;; [unrolled: 2-line block ×3, first 2 shown]
	v_cmpx_eq_u32_e32 64, v12
	s_cbranch_execz .LBB299_1072
; %bb.1071:
	v_add_nc_u32_e32 v12, v10, v11
	s_delay_alu instid0(VALU_DEP_1)
	v_add_nc_u32_e32 v13, 0xfffffe00, v12
	v_add_nc_u32_e32 v14, 0xfffffe20, v12
	;; [unrolled: 1-line block ×8, first 2 shown]
	ds_store_b32 v13, v8
	ds_store_b32 v14, v7
	ds_store_b32 v16, v6
	ds_store_b32 v17, v5
	ds_store_b32 v18, v4
	ds_store_b32 v19, v3
	ds_store_b32 v20, v2
	ds_store_b32 v12, v1
.LBB299_1072:
	s_wait_alu 0xfffe
	s_or_b32 exec_lo, exec_lo, s0
	v_lshlrev_b32_e32 v9, 2, v9
	s_mov_b32 s1, exec_lo
	v_cmp_eq_u32_e32 vcc_lo, 0, v15
	s_wait_loadcnt_dscnt 0x0
	s_barrier_signal -1
	v_add3_u32 v9, 0xa0, v11, v9
	s_barrier_wait -1
	global_inv scope:SCOPE_SE
	v_cmpx_gt_u32_e32 64, v0
	s_cbranch_execz .LBB299_1083
; %bb.1073:
	s_and_saveexec_b32 s0, vcc_lo
	s_cbranch_execnz .LBB299_1099
; %bb.1074:
	s_wait_alu 0xfffe
	s_or_b32 exec_lo, exec_lo, s0
	s_and_saveexec_b32 s0, vcc_lo
	s_cbranch_execnz .LBB299_1100
.LBB299_1075:
	s_wait_alu 0xfffe
	s_or_b32 exec_lo, exec_lo, s0
	s_and_saveexec_b32 s0, vcc_lo
	s_cbranch_execnz .LBB299_1101
.LBB299_1076:
	s_wait_alu 0xfffe
	s_or_b32 exec_lo, exec_lo, s0
	s_and_saveexec_b32 s0, vcc_lo
	s_cbranch_execnz .LBB299_1102
.LBB299_1077:
	s_wait_alu 0xfffe
	s_or_b32 exec_lo, exec_lo, s0
	s_and_saveexec_b32 s0, vcc_lo
	s_cbranch_execnz .LBB299_1103
.LBB299_1078:
	s_wait_alu 0xfffe
	s_or_b32 exec_lo, exec_lo, s0
	s_and_saveexec_b32 s0, vcc_lo
	s_cbranch_execnz .LBB299_1104
.LBB299_1079:
	s_wait_alu 0xfffe
	s_or_b32 exec_lo, exec_lo, s0
	s_and_saveexec_b32 s0, vcc_lo
	s_cbranch_execnz .LBB299_1105
.LBB299_1080:
	s_wait_alu 0xfffe
	s_or_b32 exec_lo, exec_lo, s0
	s_and_saveexec_b32 s0, vcc_lo
	s_cbranch_execz .LBB299_1082
.LBB299_1081:
	ds_load_b32 v11, v9 offset:224
	s_wait_dscnt 0x0
	v_add_f32_e32 v1, v1, v11
.LBB299_1082:
	s_wait_alu 0xfffe
	s_or_b32 exec_lo, exec_lo, s0
.LBB299_1083:
	s_wait_alu 0xfffe
	s_or_b32 exec_lo, exec_lo, s1
	v_and_b32_e32 v11, 0x3e3, v0
	s_mov_b32 s1, exec_lo
	s_wait_loadcnt 0x0
	s_barrier_signal -1
	s_barrier_wait -1
	global_inv scope:SCOPE_SE
	v_cmpx_eq_u32_e32 32, v11
	s_cbranch_execz .LBB299_1085
; %bb.1084:
	ds_store_2addr_b32 v10, v8, v7 offset1:8
	ds_store_2addr_b32 v10, v6, v5 offset0:16 offset1:24
	ds_store_2addr_b32 v10, v4, v3 offset0:32 offset1:40
	;; [unrolled: 1-line block ×3, first 2 shown]
.LBB299_1085:
	s_wait_alu 0xfffe
	s_or_b32 exec_lo, exec_lo, s1
	s_delay_alu instid0(SALU_CYCLE_1)
	s_mov_b32 s1, exec_lo
	s_wait_loadcnt_dscnt 0x0
	s_barrier_signal -1
	s_barrier_wait -1
	global_inv scope:SCOPE_SE
	v_cmpx_gt_u32_e32 32, v0
	s_cbranch_execz .LBB299_1096
; %bb.1086:
	s_and_saveexec_b32 s0, vcc_lo
	s_cbranch_execnz .LBB299_1106
; %bb.1087:
	s_wait_alu 0xfffe
	s_or_b32 exec_lo, exec_lo, s0
	s_and_saveexec_b32 s0, vcc_lo
	s_cbranch_execnz .LBB299_1107
.LBB299_1088:
	s_wait_alu 0xfffe
	s_or_b32 exec_lo, exec_lo, s0
	s_and_saveexec_b32 s0, vcc_lo
	s_cbranch_execnz .LBB299_1108
.LBB299_1089:
	s_wait_alu 0xfffe
	s_or_b32 exec_lo, exec_lo, s0
	s_and_saveexec_b32 s0, vcc_lo
	s_cbranch_execnz .LBB299_1109
.LBB299_1090:
	s_wait_alu 0xfffe
	s_or_b32 exec_lo, exec_lo, s0
	s_and_saveexec_b32 s0, vcc_lo
	s_cbranch_execnz .LBB299_1110
.LBB299_1091:
	s_wait_alu 0xfffe
	s_or_b32 exec_lo, exec_lo, s0
	s_and_saveexec_b32 s0, vcc_lo
	s_cbranch_execnz .LBB299_1111
.LBB299_1092:
	s_wait_alu 0xfffe
	s_or_b32 exec_lo, exec_lo, s0
	s_and_saveexec_b32 s0, vcc_lo
	s_cbranch_execnz .LBB299_1112
.LBB299_1093:
	s_wait_alu 0xfffe
	s_or_b32 exec_lo, exec_lo, s0
	s_and_saveexec_b32 s0, vcc_lo
	s_cbranch_execz .LBB299_1095
.LBB299_1094:
	ds_load_b32 v9, v9 offset:224
	s_wait_dscnt 0x0
	v_add_f32_e32 v1, v1, v9
.LBB299_1095:
	s_wait_alu 0xfffe
	s_or_b32 exec_lo, exec_lo, s0
.LBB299_1096:
	s_wait_alu 0xfffe
	s_or_b32 exec_lo, exec_lo, s1
	s_mov_b32 s1, 0
	s_wait_loadcnt 0x0
	s_barrier_signal -1
	s_barrier_wait -1
	global_inv scope:SCOPE_SE
	s_mov_b32 s0, exec_lo
	v_cmpx_eq_u32_e32 0, v11
	s_cbranch_execz .LBB299_1098
; %bb.1097:
	s_lshl_b32 s2, s22, 6
	s_mul_i32 s4, s12, s16
	s_wait_alu 0xfffe
	s_ashr_i32 s3, s2, 31
	s_ashr_i32 s5, s4, 31
	s_wait_alu 0xfffe
	s_lshl_b64 s[2:3], s[2:3], 1
	s_lshl_b64 s[4:5], s[4:5], 1
	s_wait_kmcnt 0x0
	s_wait_alu 0xfffe
	s_add_nc_u64 s[2:3], s[8:9], s[2:3]
	v_lshrrev_b32_e32 v0, 1, v0
	s_lshl_b32 s0, s26, 7
	s_wait_alu 0xfffe
	s_add_nc_u64 s[2:3], s[2:3], s[4:5]
	;;#ASMSTART
	v_cvt_f16_f32 v8, v8;

	;;#ASMEND
	s_wait_alu 0xfffe
	s_add_nc_u64 s[0:1], s[2:3], s[0:1]
	global_store_b16 v0, v8, s[0:1]
	;;#ASMSTART
	v_cvt_f16_f32 v7, v7;

	;;#ASMEND
	global_store_b16 v0, v7, s[0:1] offset:16
	;;#ASMSTART
	v_cvt_f16_f32 v6, v6;

	;;#ASMEND
	global_store_b16 v0, v6, s[0:1] offset:32
	;; [unrolled: 5-line block ×7, first 2 shown]
.LBB299_1098:
	s_nop 0
	s_sendmsg sendmsg(MSG_DEALLOC_VGPRS)
	s_endpgm
.LBB299_1099:
	ds_load_b32 v11, v9
	s_wait_dscnt 0x0
	v_add_f32_e32 v8, v8, v11
	s_wait_alu 0xfffe
	s_or_b32 exec_lo, exec_lo, s0
	s_and_saveexec_b32 s0, vcc_lo
	s_cbranch_execz .LBB299_1075
.LBB299_1100:
	ds_load_b32 v11, v9 offset:32
	s_wait_dscnt 0x0
	v_add_f32_e32 v7, v7, v11
	s_wait_alu 0xfffe
	s_or_b32 exec_lo, exec_lo, s0
	s_and_saveexec_b32 s0, vcc_lo
	s_cbranch_execz .LBB299_1076
.LBB299_1101:
	ds_load_b32 v11, v9 offset:64
	s_wait_dscnt 0x0
	v_add_f32_e32 v6, v6, v11
	s_wait_alu 0xfffe
	s_or_b32 exec_lo, exec_lo, s0
	s_and_saveexec_b32 s0, vcc_lo
	s_cbranch_execz .LBB299_1077
.LBB299_1102:
	ds_load_b32 v11, v9 offset:96
	s_wait_dscnt 0x0
	v_add_f32_e32 v5, v5, v11
	s_wait_alu 0xfffe
	s_or_b32 exec_lo, exec_lo, s0
	s_and_saveexec_b32 s0, vcc_lo
	s_cbranch_execz .LBB299_1078
.LBB299_1103:
	ds_load_b32 v11, v9 offset:128
	s_wait_dscnt 0x0
	v_add_f32_e32 v4, v4, v11
	s_wait_alu 0xfffe
	s_or_b32 exec_lo, exec_lo, s0
	s_and_saveexec_b32 s0, vcc_lo
	s_cbranch_execz .LBB299_1079
.LBB299_1104:
	ds_load_b32 v11, v9 offset:160
	s_wait_dscnt 0x0
	v_add_f32_e32 v3, v3, v11
	s_wait_alu 0xfffe
	s_or_b32 exec_lo, exec_lo, s0
	s_and_saveexec_b32 s0, vcc_lo
	s_cbranch_execz .LBB299_1080
.LBB299_1105:
	ds_load_b32 v11, v9 offset:192
	s_wait_dscnt 0x0
	v_add_f32_e32 v2, v2, v11
	s_wait_alu 0xfffe
	s_or_b32 exec_lo, exec_lo, s0
	s_and_saveexec_b32 s0, vcc_lo
	s_cbranch_execnz .LBB299_1081
	s_branch .LBB299_1082
.LBB299_1106:
	ds_load_b32 v10, v9
	s_wait_dscnt 0x0
	v_add_f32_e32 v8, v8, v10
	s_wait_alu 0xfffe
	s_or_b32 exec_lo, exec_lo, s0
	s_and_saveexec_b32 s0, vcc_lo
	s_cbranch_execz .LBB299_1088
.LBB299_1107:
	ds_load_b32 v10, v9 offset:32
	s_wait_dscnt 0x0
	v_add_f32_e32 v7, v7, v10
	s_wait_alu 0xfffe
	s_or_b32 exec_lo, exec_lo, s0
	s_and_saveexec_b32 s0, vcc_lo
	s_cbranch_execz .LBB299_1089
.LBB299_1108:
	ds_load_b32 v10, v9 offset:64
	s_wait_dscnt 0x0
	v_add_f32_e32 v6, v6, v10
	s_wait_alu 0xfffe
	s_or_b32 exec_lo, exec_lo, s0
	s_and_saveexec_b32 s0, vcc_lo
	s_cbranch_execz .LBB299_1090
.LBB299_1109:
	ds_load_b32 v10, v9 offset:96
	s_wait_dscnt 0x0
	v_add_f32_e32 v5, v5, v10
	s_wait_alu 0xfffe
	s_or_b32 exec_lo, exec_lo, s0
	s_and_saveexec_b32 s0, vcc_lo
	s_cbranch_execz .LBB299_1091
.LBB299_1110:
	ds_load_b32 v10, v9 offset:128
	s_wait_dscnt 0x0
	v_add_f32_e32 v4, v4, v10
	s_wait_alu 0xfffe
	s_or_b32 exec_lo, exec_lo, s0
	s_and_saveexec_b32 s0, vcc_lo
	s_cbranch_execz .LBB299_1092
.LBB299_1111:
	ds_load_b32 v10, v9 offset:160
	s_wait_dscnt 0x0
	v_add_f32_e32 v3, v3, v10
	s_wait_alu 0xfffe
	s_or_b32 exec_lo, exec_lo, s0
	s_and_saveexec_b32 s0, vcc_lo
	s_cbranch_execz .LBB299_1093
.LBB299_1112:
	ds_load_b32 v10, v9 offset:192
	s_wait_dscnt 0x0
	v_add_f32_e32 v2, v2, v10
	s_wait_alu 0xfffe
	s_or_b32 exec_lo, exec_lo, s0
	s_and_saveexec_b32 s0, vcc_lo
	s_cbranch_execnz .LBB299_1094
	s_branch .LBB299_1095
	.section	.rodata,"a",@progbits
	.p2align	6, 0x0
	.amdhsa_kernel _ZN4vllm25paged_attention_v2_kernelIthLi64ELi32ELi128ELNS_18Fp8KVCacheDataTypeE1ELb0ELi512EEEvPfS2_PT_PKS3_PKT0_S9_ifPKiSB_iPKfiiiSD_SD_iiiii
		.amdhsa_group_segment_fixed_size 160
		.amdhsa_private_segment_fixed_size 0
		.amdhsa_kernarg_size 400
		.amdhsa_user_sgpr_count 2
		.amdhsa_user_sgpr_dispatch_ptr 0
		.amdhsa_user_sgpr_queue_ptr 0
		.amdhsa_user_sgpr_kernarg_segment_ptr 1
		.amdhsa_user_sgpr_dispatch_id 0
		.amdhsa_user_sgpr_private_segment_size 0
		.amdhsa_wavefront_size32 1
		.amdhsa_uses_dynamic_stack 0
		.amdhsa_enable_private_segment 0
		.amdhsa_system_sgpr_workgroup_id_x 1
		.amdhsa_system_sgpr_workgroup_id_y 1
		.amdhsa_system_sgpr_workgroup_id_z 1
		.amdhsa_system_sgpr_workgroup_info 0
		.amdhsa_system_vgpr_workitem_id 0
		.amdhsa_next_free_vgpr 112
		.amdhsa_next_free_sgpr 37
		.amdhsa_reserve_vcc 1
		.amdhsa_float_round_mode_32 0
		.amdhsa_float_round_mode_16_64 0
		.amdhsa_float_denorm_mode_32 3
		.amdhsa_float_denorm_mode_16_64 3
		.amdhsa_fp16_overflow 0
		.amdhsa_workgroup_processor_mode 1
		.amdhsa_memory_ordered 1
		.amdhsa_forward_progress 1
		.amdhsa_inst_pref_size 255
		.amdhsa_round_robin_scheduling 0
		.amdhsa_exception_fp_ieee_invalid_op 0
		.amdhsa_exception_fp_denorm_src 0
		.amdhsa_exception_fp_ieee_div_zero 0
		.amdhsa_exception_fp_ieee_overflow 0
		.amdhsa_exception_fp_ieee_underflow 0
		.amdhsa_exception_fp_ieee_inexact 0
		.amdhsa_exception_int_div_zero 0
	.end_amdhsa_kernel
	.section	.text._ZN4vllm25paged_attention_v2_kernelIthLi64ELi32ELi128ELNS_18Fp8KVCacheDataTypeE1ELb0ELi512EEEvPfS2_PT_PKS3_PKT0_S9_ifPKiSB_iPKfiiiSD_SD_iiiii,"axG",@progbits,_ZN4vllm25paged_attention_v2_kernelIthLi64ELi32ELi128ELNS_18Fp8KVCacheDataTypeE1ELb0ELi512EEEvPfS2_PT_PKS3_PKT0_S9_ifPKiSB_iPKfiiiSD_SD_iiiii,comdat
.Lfunc_end299:
	.size	_ZN4vllm25paged_attention_v2_kernelIthLi64ELi32ELi128ELNS_18Fp8KVCacheDataTypeE1ELb0ELi512EEEvPfS2_PT_PKS3_PKT0_S9_ifPKiSB_iPKfiiiSD_SD_iiiii, .Lfunc_end299-_ZN4vllm25paged_attention_v2_kernelIthLi64ELi32ELi128ELNS_18Fp8KVCacheDataTypeE1ELb0ELi512EEEvPfS2_PT_PKS3_PKT0_S9_ifPKiSB_iPKfiiiSD_SD_iiiii
                                        ; -- End function
	.set _ZN4vllm25paged_attention_v2_kernelIthLi64ELi32ELi128ELNS_18Fp8KVCacheDataTypeE1ELb0ELi512EEEvPfS2_PT_PKS3_PKT0_S9_ifPKiSB_iPKfiiiSD_SD_iiiii.num_vgpr, 112
	.set _ZN4vllm25paged_attention_v2_kernelIthLi64ELi32ELi128ELNS_18Fp8KVCacheDataTypeE1ELb0ELi512EEEvPfS2_PT_PKS3_PKT0_S9_ifPKiSB_iPKfiiiSD_SD_iiiii.num_agpr, 0
	.set _ZN4vllm25paged_attention_v2_kernelIthLi64ELi32ELi128ELNS_18Fp8KVCacheDataTypeE1ELb0ELi512EEEvPfS2_PT_PKS3_PKT0_S9_ifPKiSB_iPKfiiiSD_SD_iiiii.numbered_sgpr, 37
	.set _ZN4vllm25paged_attention_v2_kernelIthLi64ELi32ELi128ELNS_18Fp8KVCacheDataTypeE1ELb0ELi512EEEvPfS2_PT_PKS3_PKT0_S9_ifPKiSB_iPKfiiiSD_SD_iiiii.num_named_barrier, 0
	.set _ZN4vllm25paged_attention_v2_kernelIthLi64ELi32ELi128ELNS_18Fp8KVCacheDataTypeE1ELb0ELi512EEEvPfS2_PT_PKS3_PKT0_S9_ifPKiSB_iPKfiiiSD_SD_iiiii.private_seg_size, 0
	.set _ZN4vllm25paged_attention_v2_kernelIthLi64ELi32ELi128ELNS_18Fp8KVCacheDataTypeE1ELb0ELi512EEEvPfS2_PT_PKS3_PKT0_S9_ifPKiSB_iPKfiiiSD_SD_iiiii.uses_vcc, 1
	.set _ZN4vllm25paged_attention_v2_kernelIthLi64ELi32ELi128ELNS_18Fp8KVCacheDataTypeE1ELb0ELi512EEEvPfS2_PT_PKS3_PKT0_S9_ifPKiSB_iPKfiiiSD_SD_iiiii.uses_flat_scratch, 0
	.set _ZN4vllm25paged_attention_v2_kernelIthLi64ELi32ELi128ELNS_18Fp8KVCacheDataTypeE1ELb0ELi512EEEvPfS2_PT_PKS3_PKT0_S9_ifPKiSB_iPKfiiiSD_SD_iiiii.has_dyn_sized_stack, 0
	.set _ZN4vllm25paged_attention_v2_kernelIthLi64ELi32ELi128ELNS_18Fp8KVCacheDataTypeE1ELb0ELi512EEEvPfS2_PT_PKS3_PKT0_S9_ifPKiSB_iPKfiiiSD_SD_iiiii.has_recursion, 0
	.set _ZN4vllm25paged_attention_v2_kernelIthLi64ELi32ELi128ELNS_18Fp8KVCacheDataTypeE1ELb0ELi512EEEvPfS2_PT_PKS3_PKT0_S9_ifPKiSB_iPKfiiiSD_SD_iiiii.has_indirect_call, 0
	.section	.AMDGPU.csdata,"",@progbits
; Kernel info:
; codeLenInByte = 37684
; TotalNumSgprs: 39
; NumVgprs: 112
; ScratchSize: 0
; MemoryBound: 0
; FloatMode: 240
; IeeeMode: 1
; LDSByteSize: 160 bytes/workgroup (compile time only)
; SGPRBlocks: 0
; VGPRBlocks: 13
; NumSGPRsForWavesPerEU: 39
; NumVGPRsForWavesPerEU: 112
; Occupancy: 12
; WaveLimiterHint : 1
; COMPUTE_PGM_RSRC2:SCRATCH_EN: 0
; COMPUTE_PGM_RSRC2:USER_SGPR: 2
; COMPUTE_PGM_RSRC2:TRAP_HANDLER: 0
; COMPUTE_PGM_RSRC2:TGID_X_EN: 1
; COMPUTE_PGM_RSRC2:TGID_Y_EN: 1
; COMPUTE_PGM_RSRC2:TGID_Z_EN: 1
; COMPUTE_PGM_RSRC2:TIDIG_COMP_CNT: 0
	.section	.text._ZN4vllm25paged_attention_v2_kernelIthLi80ELi32ELi128ELNS_18Fp8KVCacheDataTypeE1ELb0ELi512EEEvPfS2_PT_PKS3_PKT0_S9_ifPKiSB_iPKfiiiSD_SD_iiiii,"axG",@progbits,_ZN4vllm25paged_attention_v2_kernelIthLi80ELi32ELi128ELNS_18Fp8KVCacheDataTypeE1ELb0ELi512EEEvPfS2_PT_PKS3_PKT0_S9_ifPKiSB_iPKfiiiSD_SD_iiiii,comdat
	.protected	_ZN4vllm25paged_attention_v2_kernelIthLi80ELi32ELi128ELNS_18Fp8KVCacheDataTypeE1ELb0ELi512EEEvPfS2_PT_PKS3_PKT0_S9_ifPKiSB_iPKfiiiSD_SD_iiiii ; -- Begin function _ZN4vllm25paged_attention_v2_kernelIthLi80ELi32ELi128ELNS_18Fp8KVCacheDataTypeE1ELb0ELi512EEEvPfS2_PT_PKS3_PKT0_S9_ifPKiSB_iPKfiiiSD_SD_iiiii
	.globl	_ZN4vllm25paged_attention_v2_kernelIthLi80ELi32ELi128ELNS_18Fp8KVCacheDataTypeE1ELb0ELi512EEEvPfS2_PT_PKS3_PKT0_S9_ifPKiSB_iPKfiiiSD_SD_iiiii
	.p2align	8
	.type	_ZN4vllm25paged_attention_v2_kernelIthLi80ELi32ELi128ELNS_18Fp8KVCacheDataTypeE1ELb0ELi512EEEvPfS2_PT_PKS3_PKT0_S9_ifPKiSB_iPKfiiiSD_SD_iiiii,@function
_ZN4vllm25paged_attention_v2_kernelIthLi80ELi32ELi128ELNS_18Fp8KVCacheDataTypeE1ELb0ELi512EEEvPfS2_PT_PKS3_PKT0_S9_ifPKiSB_iPKfiiiSD_SD_iiiii: ; @_ZN4vllm25paged_attention_v2_kernelIthLi80ELi32ELi128ELNS_18Fp8KVCacheDataTypeE1ELb0ELi512EEEvPfS2_PT_PKS3_PKT0_S9_ifPKiSB_iPKfiiiSD_SD_iiiii
; %bb.0:
	s_load_b64 s[2:3], s[0:1], 0x40
	s_and_b32 s22, ttmp7, 0xffff
	s_lshr_b32 s26, ttmp7, 16
	s_lshl_b32 s4, s22, 2
	s_lshl_b32 s28, s26, 9
	s_wait_kmcnt 0x0
	s_load_b32 s27, s[2:3], s4 offset:0x0
	s_wait_kmcnt 0x0
	s_cmp_ge_i32 s28, s27
	s_cbranch_scc1 .LBB300_1362
; %bb.1:
	s_clause 0x1
	s_load_b32 s23, s[0:1], 0x90
	s_load_b64 s[4:5], s[0:1], 0x30
	s_wait_kmcnt 0x0
	s_abs_i32 s7, s23
	s_abs_i32 s2, s4
	s_xor_b32 s4, s23, s4
	s_cvt_f32_u32 s3, s2
	s_sub_co_i32 s6, 0, s2
	s_ashr_i32 s4, s4, 31
	s_delay_alu instid0(SALU_CYCLE_1) | instskip(NEXT) | instid1(TRANS32_DEP_1)
	v_rcp_iflag_f32_e32 v1, s3
	v_readfirstlane_b32 s3, v1
	s_mul_f32 s3, s3, 0x4f7ffffe
	s_wait_alu 0xfffe
	s_delay_alu instid0(SALU_CYCLE_2) | instskip(SKIP_1) | instid1(SALU_CYCLE_2)
	s_cvt_u32_f32 s3, s3
	s_wait_alu 0xfffe
	s_mul_i32 s6, s6, s3
	s_delay_alu instid0(SALU_CYCLE_1) | instskip(NEXT) | instid1(SALU_CYCLE_1)
	s_mul_hi_u32 s6, s3, s6
	s_add_co_i32 s3, s3, s6
	s_wait_alu 0xfffe
	s_mul_hi_u32 s3, s7, s3
	s_wait_alu 0xfffe
	s_mul_i32 s6, s3, s2
	s_delay_alu instid0(SALU_CYCLE_1)
	s_sub_co_i32 s6, s7, s6
	s_add_co_i32 s7, s3, 1
	s_sub_co_i32 s8, s6, s2
	s_cmp_ge_u32 s6, s2
	s_cselect_b32 s3, s7, s3
	s_cselect_b32 s6, s8, s6
	s_wait_alu 0xfffe
	s_add_co_i32 s7, s3, 1
	s_cmp_ge_u32 s6, s2
	s_load_b64 s[8:9], s[0:1], 0x50
	s_cselect_b32 s2, s7, s3
	s_mov_b32 s3, 0
	s_wait_alu 0xfffe
	s_xor_b32 s2, s2, s4
	s_mov_b32 s24, s3
	s_wait_alu 0xfffe
	s_sub_co_i32 s10, s2, s4
	s_delay_alu instid0(SALU_CYCLE_1) | instskip(NEXT) | instid1(SALU_CYCLE_1)
	s_abs_i32 s4, s10
	s_cvt_f32_u32 s2, s4
	s_wait_alu 0xfffe
	s_delay_alu instid0(SALU_CYCLE_2) | instskip(NEXT) | instid1(TRANS32_DEP_1)
	v_rcp_iflag_f32_e32 v1, s2
	v_readfirstlane_b32 s2, v1
	s_mul_f32 s2, s2, 0x4f7ffffe
	s_wait_alu 0xfffe
	s_delay_alu instid0(SALU_CYCLE_2) | instskip(SKIP_2) | instid1(SALU_CYCLE_1)
	s_cvt_u32_f32 s6, s2
	s_sub_co_i32 s2, 0, s4
	s_wait_alu 0xfffe
	s_mul_i32 s2, s2, s6
	s_wait_alu 0xfffe
	s_mul_hi_u32 s7, s6, s2
	s_abs_i32 s2, ttmp9
	s_add_co_i32 s6, s6, s7
	s_mov_b32 s7, s3
	s_wait_kmcnt 0x0
	s_cmp_eq_u64 s[8:9], 0
	s_cbranch_scc1 .LBB300_3
; %bb.2:
	s_mov_b32 s12, ttmp9
	s_ashr_i32 s13, ttmp9, 31
	s_delay_alu instid0(SALU_CYCLE_1) | instskip(NEXT) | instid1(SALU_CYCLE_1)
	s_lshl_b64 s[12:13], s[12:13], 2
	s_add_nc_u64 s[8:9], s[8:9], s[12:13]
	s_load_b32 s24, s[8:9], 0x0
.LBB300_3:
	s_load_b96 s[12:14], s[0:1], 0x58
	s_mul_u64 s[6:7], s[2:3], s[6:7]
	s_ashr_i32 s3, ttmp9, 31
	s_ashr_i32 s6, s10, 31
	s_mul_i32 s16, ttmp9, 0x50
	s_mov_b32 s8, exec_lo
	v_cmpx_gt_u32_e32 10, v0
	s_cbranch_execz .LBB300_5
; %bb.4:
	s_load_b64 s[10:11], s[0:1], 0x18
	s_wait_kmcnt 0x0
	s_mul_i32 s18, s12, s22
	s_ashr_i32 s17, s16, 31
	s_ashr_i32 s19, s18, 31
	v_lshlrev_b32_e32 v5, 4, v0
	s_lshl_b64 s[18:19], s[18:19], 1
	s_delay_alu instid0(SALU_CYCLE_1) | instskip(SKIP_1) | instid1(SALU_CYCLE_1)
	s_add_nc_u64 s[10:11], s[10:11], s[18:19]
	s_lshl_b64 s[18:19], s[16:17], 1
	s_add_nc_u64 s[10:11], s[10:11], s[18:19]
	global_load_b128 v[1:4], v5, s[10:11]
	s_wait_loadcnt 0x0
	ds_store_b128 v5, v[1:4]
.LBB300_5:
	s_or_b32 exec_lo, exec_lo, s8
	s_add_co_i32 s8, s27, 31
	s_lshl_b32 s30, s26, 4
	s_ashr_i32 s9, s8, 31
	s_wait_alu 0xfffe
	s_xor_b32 s3, s3, s6
	s_lshr_b32 s9, s9, 27
	s_add_co_i32 s6, s30, 16
	s_add_co_i32 s8, s8, s9
	v_lshrrev_b32_e32 v11, 5, v0
	s_ashr_i32 s29, s8, 5
	s_mul_i32 s8, s7, s4
	s_min_i32 s17, s6, s29
	s_sub_co_i32 s2, s2, s8
	s_clause 0x1
	s_load_b64 s[18:19], s[0:1], 0x38
	s_load_b32 s6, s[0:1], 0x48
	s_add_co_i32 s8, s7, 1
	s_sub_co_i32 s9, s2, s4
	s_cmp_ge_u32 s2, s4
	v_and_b32_e32 v12, 31, v0
	s_cselect_b32 s7, s8, s7
	s_cselect_b32 s2, s9, s2
	s_wait_kmcnt 0x0
	s_clause 0x1
	s_load_b32 s12, s[0:1], 0x98
	s_load_b128 s[8:11], s[0:1], 0x68
	s_add_co_i32 s15, s7, 1
	s_cmp_ge_u32 s2, s4
	v_dual_mov_b32 v16, 0xff7fffff :: v_dual_add_nc_u32 v13, s30, v11
	s_cselect_b32 s2, s15, s7
	v_lshlrev_b32_e32 v15, 2, v12
	s_wait_alu 0xfffe
	s_xor_b32 s2, s2, s3
	v_lshlrev_b32_e32 v14, 2, v13
	s_wait_alu 0xfffe
	s_sub_co_i32 s3, s2, s3
	v_cmp_gt_i32_e64 s2, s17, v13
	s_wait_alu 0xfffe
	s_mul_i32 s14, s3, s14
	s_wait_dscnt 0x0
	s_mul_i32 s20, s6, s22
	s_barrier_signal -1
	s_ashr_i32 s21, s20, 31
	s_barrier_wait -1
	global_inv scope:SCOPE_SE
	s_and_saveexec_b32 s25, s2
	s_cbranch_execz .LBB300_649
; %bb.6:
	s_load_b64 s[6:7], s[0:1], 0x20
	s_ashr_i32 s15, s14, 31
	s_cmp_neq_f32 s24, 0
	v_dual_mov_b32 v16, 0xff7fffff :: v_dual_lshlrev_b32 v3, 5, v11
	v_dual_mov_b32 v2, 0 :: v_dual_lshlrev_b32 v1, 4, v12
	s_cselect_b32 vcc_lo, -1, 0
	s_lshl_b64 s[34:35], s[20:21], 2
	v_lshl_or_b32 v4, v11, 7, v15
	s_add_nc_u64 s[34:35], s[18:19], s[34:35]
	v_add3_u32 v17, s28, v3, v12
	v_add_co_u32 v3, s3, s34, v14
	s_delay_alu instid0(VALU_DEP_3)
	v_dual_mov_b32 v19, v13 :: v_dual_add_nc_u32 v18, 0xc0, v4
	s_wait_alu 0xf1ff
	v_add_co_ci_u32_e64 v4, null, s35, 0, s3
	s_mov_b32 s31, s13
	s_mov_b32 s33, 0
	s_wait_kmcnt 0x0
	s_add_nc_u64 s[6:7], s[6:7], s[14:15]
	s_sub_co_i32 s15, 1, s27
	v_add_co_u32 v5, s3, s6, v1
	s_wait_alu 0xf1ff
	v_add_co_ci_u32_e64 v6, null, s7, 0, s3
	s_mov_b32 s6, -1
	s_mov_b32 s7, 0xffffff
	s_branch .LBB300_11
.LBB300_7:                              ;   in Loop: Header=BB300_11 Depth=1
	s_or_b32 exec_lo, exec_lo, s36
	v_lshlrev_b32_e32 v1, 8, v1
	v_lshl_add_u32 v8, v8, 10, 0x2000
	v_lshlrev_b32_e32 v7, 23, v7
	s_delay_alu instid0(VALU_DEP_2) | instskip(NEXT) | instid1(VALU_DEP_1)
	v_and_or_b32 v1, 0x8000, v1, v8
	v_lshl_or_b32 v7, v1, 16, v7
.LBB300_8:                              ;   in Loop: Header=BB300_11 Depth=1
	s_wait_alu 0xfffe
	s_or_b32 exec_lo, exec_lo, s35
.LBB300_9:                              ;   in Loop: Header=BB300_11 Depth=1
	s_wait_alu 0xfffe
	s_or_b32 exec_lo, exec_lo, s34
.LBB300_10:                             ;   in Loop: Header=BB300_11 Depth=1
	s_wait_alu 0xfffe
	s_or_b32 exec_lo, exec_lo, s4
	ds_load_b128 v[98:101], v2
	v_or_b32_e32 v21, v22, v21
	v_or_b32_e32 v1, v25, v23
	v_or_b32_e32 v23, v27, v24
	v_fma_mixlo_f16 v8, v20, v25, 0 op_sel:[0,1,0] op_sel_hi:[0,1,0]
	v_or_b32_e32 v25, v29, v26
	v_fma_mixlo_f16 v22, v20, v22, 0 op_sel:[0,1,0] op_sel_hi:[0,1,0]
	v_fma_mixlo_f16 v21, v20, v21, 0 op_sel_hi:[0,1,0]
	v_fma_mixlo_f16 v1, v20, v1, 0 op_sel_hi:[0,1,0]
	;; [unrolled: 1-line block ×3, first 2 shown]
	v_fma_mixlo_f16 v24, v20, v27, 0 op_sel:[0,1,0] op_sel_hi:[0,1,0]
	v_fma_mixlo_f16 v26, v20, v29, 0 op_sel:[0,1,0] op_sel_hi:[0,1,0]
	v_fma_mixlo_f16 v25, v20, v25, 0 op_sel_hi:[0,1,0]
	v_and_b32_e32 v22, 0xffff, v22
	v_and_b32_e32 v21, 0xffff, v21
	;; [unrolled: 1-line block ×5, first 2 shown]
	v_or_b32_e32 v50, v53, v50
	v_or_b32_e32 v56, v59, v56
	s_wait_dscnt 0x0
	v_and_b32_e32 v27, 0xffff, v98
	v_lshrrev_b32_e32 v29, 16, v98
	;;#ASMSTART
	v_cvt_f32_f16 v123, v27;
	;;#ASMEND
	;;#ASMSTART
	v_cvt_f32_f16 v124, v29;
	;;#ASMEND
	;; [unrolled: 3-line block ×4, first 2 shown]
	v_and_b32_e32 v21, 0xffff, v100
	v_lshrrev_b32_e32 v22, 16, v100
	v_lshrrev_b32_e32 v98, 16, v99
	v_and_b32_e32 v99, 0xffff, v99
	;;#ASMSTART
	v_cvt_f32_f16 v111, v99;
	;;#ASMEND
	;;#ASMSTART
	v_cvt_f32_f16 v112, v98;
	;;#ASMEND
	;; [unrolled: 3-line block ×7, first 2 shown]
	v_and_b32_e32 v1, 0xffff, v24
	v_lshrrev_b32_e32 v21, 16, v101
	v_and_b32_e32 v22, 0xffff, v25
	;;#ASMSTART
	v_cvt_f32_f16 v108, v1;
	;;#ASMEND
	v_and_b32_e32 v23, 0xffff, v26
	v_and_b32_e32 v8, 0xffff, v101
	;;#ASMSTART
	v_cvt_f32_f16 v98, v8;
	;;#ASMEND
	;;#ASMSTART
	v_cvt_f32_f16 v99, v21;
	;;#ASMEND
	;; [unrolled: 3-line block ×4, first 2 shown]
	ds_load_b128 v[21:24], v2 offset:16
	v_or_b32_e32 v1, v33, v31
	v_or_b32_e32 v25, v30, v28
	;; [unrolled: 1-line block ×4, first 2 shown]
	v_fma_mixlo_f16 v26, v20, v30, 0 op_sel:[0,1,0] op_sel_hi:[0,1,0]
	v_fma_mixlo_f16 v1, v20, v1, 0 op_sel_hi:[0,1,0]
	v_fma_mixlo_f16 v25, v20, v25, 0 op_sel_hi:[0,1,0]
	v_fma_mixlo_f16 v31, v20, v34, 0 op_sel:[0,1,0] op_sel_hi:[0,1,0]
	v_fma_mixlo_f16 v8, v20, v33, 0 op_sel:[0,1,0] op_sel_hi:[0,1,0]
	v_fma_mixlo_f16 v27, v20, v27, 0 op_sel_hi:[0,1,0]
	v_fma_mixlo_f16 v32, v20, v37, 0 op_sel:[0,1,0] op_sel_hi:[0,1,0]
	v_fma_mixlo_f16 v28, v20, v28, 0 op_sel_hi:[0,1,0]
	v_and_b32_e32 v1, 0xffff, v1
	v_and_b32_e32 v25, 0xffff, v25
	;; [unrolled: 1-line block ×4, first 2 shown]
	v_fma_mixlo_f16 v35, v20, v38, 0 op_sel:[0,1,0] op_sel_hi:[0,1,0]
	v_fma_mixlo_f16 v37, v20, v42, 0 op_sel:[0,1,0] op_sel_hi:[0,1,0]
	;; [unrolled: 1-line block ×3, first 2 shown]
	s_wait_dscnt 0x0
	v_and_b32_e32 v30, 0xffff, v21
	v_lshrrev_b32_e32 v21, 16, v21
	;;#ASMSTART
	v_cvt_f32_f16 v33, v30;
	;;#ASMEND
	v_and_b32_e32 v30, 0xffff, v22
	v_lshrrev_b32_e32 v22, 16, v22
	;;#ASMSTART
	v_cvt_f32_f16 v127, v21;
	;;#ASMEND
	;;#ASMSTART
	v_cvt_f32_f16 v34, v25;
	;;#ASMEND
	;; [unrolled: 3-line block ×5, first 2 shown]
	v_and_b32_e32 v21, 0xffff, v23
	;;#ASMSTART
	v_cvt_f32_f16 v131, v1;
	;;#ASMEND
	v_and_b32_e32 v1, 0xffff, v31
	v_lshrrev_b32_e32 v22, 16, v23
	v_and_b32_e32 v23, 0xffff, v27
	;;#ASMSTART
	v_cvt_f32_f16 v132, v8;
	;;#ASMEND
	;;#ASMSTART
	v_cvt_f32_f16 v133, v21;
	;;#ASMEND
	;;#ASMSTART
	v_cvt_f32_f16 v30, v22;
	;;#ASMEND
	;;#ASMSTART
	v_cvt_f32_f16 v134, v23;
	;;#ASMEND
	v_lshrrev_b32_e32 v21, 16, v24
	;;#ASMSTART
	v_cvt_f32_f16 v135, v1;
	;;#ASMEND
	v_or_b32_e32 v1, v97, v91
	v_and_b32_e32 v23, 0xffff, v32
	v_and_b32_e32 v8, 0xffff, v24
	v_and_b32_e32 v22, 0xffff, v28
	;;#ASMSTART
	v_cvt_f32_f16 v136, v8;
	;;#ASMEND
	;;#ASMSTART
	v_cvt_f32_f16 v115, v21;
	;;#ASMEND
	;; [unrolled: 3-line block ×4, first 2 shown]
	ds_load_b128 v[23:26], v2 offset:32
	v_fma_mixlo_f16 v21, v20, v1, 0 op_sel_hi:[0,1,0]
	v_or_b32_e32 v1, v41, v39
	v_or_b32_e32 v31, v38, v36
	v_fma_mixlo_f16 v28, v20, v41, 0 op_sel:[0,1,0] op_sel_hi:[0,1,0]
	v_or_b32_e32 v36, v45, v43
	v_fma_mixlo_f16 v8, v20, v97, 0 op_sel:[0,1,0] op_sel_hi:[0,1,0]
	v_fma_mixlo_f16 v32, v20, v1, 0 op_sel_hi:[0,1,0]
	v_or_b32_e32 v1, v42, v40
	v_fma_mixlo_f16 v31, v20, v31, 0 op_sel_hi:[0,1,0]
	v_or_b32_e32 v27, v90, v85
	v_fma_mixlo_f16 v39, v20, v36, 0 op_sel_hi:[0,1,0]
	v_fma_mixlo_f16 v40, v20, v45, 0 op_sel:[0,1,0] op_sel_hi:[0,1,0]
	v_fma_mixlo_f16 v38, v20, v1, 0 op_sel_hi:[0,1,0]
	v_mul_f32_e32 v1, v33, v34
	v_and_b32_e32 v31, 0xffff, v31
	v_and_b32_e32 v33, 0xffff, v35
	v_or_b32_e32 v58, v61, v58
	v_fma_mixlo_f16 v61, v20, v61, 0 op_sel:[0,1,0] op_sel_hi:[0,1,0]
	v_fmac_f32_e32 v1, v123, v125
	s_wait_dscnt 0x0
	v_and_b32_e32 v41, 0xffff, v23
	v_lshrrev_b32_e32 v23, 16, v23
	;;#ASMSTART
	v_cvt_f32_f16 v117, v41;
	;;#ASMEND
	;;#ASMSTART
	v_cvt_f32_f16 v103, v23;
	;;#ASMEND
	v_and_b32_e32 v23, 0xffff, v32
	;;#ASMSTART
	v_cvt_f32_f16 v118, v31;
	;;#ASMEND
	;;#ASMSTART
	v_cvt_f32_f16 v104, v33;
	;;#ASMEND
	v_dual_fmac_f32 v1, v117, v118 :: v_dual_and_b32 v34, 0xffff, v24
	v_lshrrev_b32_e32 v24, 16, v24
	;;#ASMSTART
	v_cvt_f32_f16 v91, v34;
	;;#ASMEND
	;;#ASMSTART
	v_cvt_f32_f16 v97, v24;
	;;#ASMEND
	;; [unrolled: 3-line block ×3, first 2 shown]
	v_and_b32_e32 v23, 0xffff, v37
	v_and_b32_e32 v24, 0xffff, v28
	;; [unrolled: 1-line block ×3, first 2 shown]
	v_lshrrev_b32_e32 v25, 16, v25
	v_and_b32_e32 v31, 0xffff, v38
	;;#ASMSTART
	v_cvt_f32_f16 v106, v24;
	;;#ASMEND
	;;#ASMSTART
	v_cvt_f32_f16 v107, v28;
	;;#ASMEND
	;; [unrolled: 3-line block ×5, first 2 shown]
	v_or_b32_e32 v23, v49, v47
	v_and_b32_e32 v28, 0xffff, v40
	v_lshrrev_b32_e32 v25, 16, v26
	v_fma_mixlo_f16 v41, v20, v46, 0 op_sel:[0,1,0] op_sel_hi:[0,1,0]
	v_fma_mixlo_f16 v38, v20, v49, 0 op_sel:[0,1,0] op_sel_hi:[0,1,0]
	v_fma_mixlo_f16 v40, v20, v23, 0 op_sel_hi:[0,1,0]
	v_mul_f32_e32 v23, v127, v128
	v_fma_mixlo_f16 v49, v20, v55, 0 op_sel:[0,1,0] op_sel_hi:[0,1,0]
	v_or_b32_e32 v31, v96, v89
	v_and_b32_e32 v38, 0xffff, v38
	s_delay_alu instid0(VALU_DEP_4)
	v_dual_fmac_f32 v23, v124, v126 :: v_dual_and_b32 v40, 0xffff, v40
	v_and_b32_e32 v24, 0xffff, v26
	v_and_b32_e32 v49, 0xffff, v49
	v_or_b32_e32 v32, v94, v95
	v_or_b32_e32 v124, v84, v81
	v_dual_fmac_f32 v23, v103, v104 :: v_dual_and_b32 v26, 0xffff, v39
	;;#ASMSTART
	v_cvt_f32_f16 v33, v24;
	;;#ASMEND
	;;#ASMSTART
	v_cvt_f32_f16 v34, v25;
	;;#ASMEND
	;; [unrolled: 3-line block ×4, first 2 shown]
	ds_load_b128 v[119:122], v2 offset:48
	v_or_b32_e32 v24, v46, v44
	v_or_b32_e32 v25, v51, v48
	;; [unrolled: 1-line block ×3, first 2 shown]
	v_fma_mixlo_f16 v46, v20, v51, 0 op_sel:[0,1,0] op_sel_hi:[0,1,0]
	v_and_b32_e32 v44, 0xffff, v41
	v_fma_mixlo_f16 v42, v20, v24, 0 op_sel_hi:[0,1,0]
	v_mul_f32_e32 v24, v133, v134
	v_fma_mixlo_f16 v47, v20, v25, 0 op_sel_hi:[0,1,0]
	v_fma_mixlo_f16 v48, v20, v26, 0 op_sel_hi:[0,1,0]
	v_fma_mixlo_f16 v81, v20, v57, 0 op_sel:[0,1,0] op_sel_hi:[0,1,0]
	v_mul_f32_e32 v26, v129, v131
	v_dual_fmac_f32 v24, v29, v110 :: v_dual_mul_f32 v29, v136, v137
	v_and_b32_e32 v47, 0xffff, v47
	v_and_b32_e32 v48, 0xffff, v48
	v_mul_f32_e32 v25, v130, v132
	v_fma_mixlo_f16 v126, v20, v63, 0 op_sel:[0,1,0] op_sel_hi:[0,1,0]
	v_fmac_f32_e32 v29, v98, v100
	v_fma_mixlo_f16 v123, v20, v59, 0 op_sel:[0,1,0] op_sel_hi:[0,1,0]
	s_wait_dscnt 0x0
	v_and_b32_e32 v39, 0xffff, v119
	v_lshrrev_b32_e32 v43, 16, v119
	v_and_b32_e32 v45, 0xffff, v120
	v_lshrrev_b32_e32 v51, 16, v120
	;; [unrolled: 2-line block ×3, first 2 shown]
	v_dual_fmac_f32 v29, v33, v35 :: v_dual_and_b32 v42, 0xffff, v42
	v_fma_mixlo_f16 v22, v20, v90, 0 op_sel:[0,1,0] op_sel_hi:[0,1,0]
	;;#ASMSTART
	v_cvt_f32_f16 v39, v39;
	;;#ASMEND
	;;#ASMSTART
	v_cvt_f32_f16 v41, v43;
	;;#ASMEND
	;; [unrolled: 3-line block ×11, first 2 shown]
	v_lshrrev_b32_e32 v47, 16, v122
	v_and_b32_e32 v38, 0xffff, v46
	v_and_b32_e32 v40, 0xffff, v122
	;;#ASMSTART
	v_cvt_f32_f16 v95, v38;
	;;#ASMEND
	;;#ASMSTART
	v_cvt_f32_f16 v46, v40;
	;;#ASMEND
	;; [unrolled: 3-line block ×5, first 2 shown]
	ds_load_b128 v[119:122], v2 offset:64
	v_or_b32_e32 v40, v57, v54
	v_or_b32_e32 v57, v63, v60
	v_fma_mixlo_f16 v60, v20, v50, 0 op_sel_hi:[0,1,0]
	v_fma_mixlo_f16 v54, v20, v84, 0 op_sel:[0,1,0] op_sel_hi:[0,1,0]
	v_fma_mixlo_f16 v84, v20, v56, 0 op_sel_hi:[0,1,0]
	v_fma_mixlo_f16 v40, v20, v40, 0 op_sel_hi:[0,1,0]
	;; [unrolled: 1-line block ×3, first 2 shown]
	v_fmac_f32_e32 v23, v41, v44
	v_and_b32_e32 v57, 0xffff, v60
	v_fma_mixlo_f16 v38, v20, v31, 0 op_sel_hi:[0,1,0]
	v_fma_mixlo_f16 v31, v20, v94, 0 op_sel:[0,1,0] op_sel_hi:[0,1,0]
	v_dual_fmac_f32 v26, v111, v113 :: v_dual_fmac_f32 v25, v112, v114
	v_and_b32_e32 v59, 0xffff, v53
	v_and_b32_e32 v40, 0xffff, v40
	;; [unrolled: 1-line block ×6, first 2 shown]
	s_wait_dscnt 0x0
	v_and_b32_e32 v50, 0xffff, v119
	v_lshrrev_b32_e32 v56, 16, v119
	;;#ASMSTART
	v_cvt_f32_f16 v50, v50;
	;;#ASMEND
	v_and_b32_e32 v60, 0xffff, v120
	v_lshrrev_b32_e32 v63, 16, v120
	;;#ASMSTART
	v_cvt_f32_f16 v53, v56;
	;;#ASMEND
	;;#ASMSTART
	v_cvt_f32_f16 v56, v57;
	;;#ASMEND
	;; [unrolled: 3-line block ×3, first 2 shown]
	v_and_b32_e32 v94, 0xffff, v121
	v_and_b32_e32 v111, 0xffff, v122
	v_lshrrev_b32_e32 v112, 16, v122
	v_fmac_f32_e32 v23, v53, v57
	v_fma_mixlo_f16 v28, v20, v27, 0 op_sel_hi:[0,1,0]
	v_fma_mixlo_f16 v27, v20, v96, 0 op_sel:[0,1,0] op_sel_hi:[0,1,0]
	v_lshrrev_b32_e32 v96, 16, v121
	;;#ASMSTART
	v_cvt_f32_f16 v59, v60;
	;;#ASMEND
	;;#ASMSTART
	v_cvt_f32_f16 v60, v63;
	;;#ASMEND
	;; [unrolled: 3-line block ×7, first 2 shown]
	v_and_b32_e32 v40, 0xffff, v123
	;;#ASMSTART
	v_cvt_f32_f16 v110, v40;
	;;#ASMEND
	;;#ASMSTART
	v_cvt_f32_f16 v111, v111;
	;;#ASMEND
	;; [unrolled: 3-line block ×5, first 2 shown]
	ds_load_b128 v[120:123], v2 offset:80
	v_or_b32_e32 v40, v65, v62
	v_or_b32_e32 v125, v79, v80
	;; [unrolled: 1-line block ×3, first 2 shown]
	v_fma_mixlo_f16 v119, v20, v124, 0 op_sel_hi:[0,1,0]
	v_or_b32_e32 v124, v78, v77
	v_fma_mixlo_f16 v80, v20, v40, 0 op_sel_hi:[0,1,0]
	v_or_b32_e32 v40, v67, v64
	v_fma_mixlo_f16 v64, v20, v58, 0 op_sel_hi:[0,1,0]
	v_fma_mixlo_f16 v77, v20, v78, 0 op_sel:[0,1,0] op_sel_hi:[0,1,0]
	v_fma_mixlo_f16 v78, v20, v65, 0 op_sel:[0,1,0] op_sel_hi:[0,1,0]
	;; [unrolled: 1-line block ×3, first 2 shown]
	v_fma_mixlo_f16 v68, v20, v40, 0 op_sel_hi:[0,1,0]
	v_fma_mixlo_f16 v128, v20, v62, 0 op_sel_hi:[0,1,0]
	v_mul_f32_e32 v40, v115, v116
	v_fma_mixlo_f16 v115, v20, v70, 0 op_sel:[0,1,0] op_sel_hi:[0,1,0]
	v_mul_f32_e32 v30, v30, v135
	v_and_b32_e32 v64, 0xffff, v64
	v_and_b32_e32 v65, 0xffff, v61
	v_or_b32_e32 v126, v82, v83
	s_wait_dscnt 0x0
	v_and_b32_e32 v58, 0xffff, v120
	v_lshrrev_b32_e32 v62, 16, v120
	v_and_b32_e32 v67, 0xffff, v121
	v_lshrrev_b32_e32 v70, 16, v121
	;;#ASMSTART
	v_cvt_f32_f16 v58, v58;
	;;#ASMEND
	;;#ASMSTART
	v_cvt_f32_f16 v61, v62;
	;;#ASMEND
	;; [unrolled: 3-line block ×6, first 2 shown]
	v_and_b32_e32 v70, 0xffff, v80
	v_and_b32_e32 v78, 0xffff, v78
	v_and_b32_e32 v80, 0xffff, v122
	v_lshrrev_b32_e32 v83, 16, v122
	v_and_b32_e32 v98, 0xffff, v68
	v_fmac_f32_e32 v40, v99, v101
	;;#ASMSTART
	v_cvt_f32_f16 v68, v70;
	;;#ASMEND
	;;#ASMSTART
	v_cvt_f32_f16 v70, v78;
	;;#ASMEND
	;; [unrolled: 3-line block ×5, first 2 shown]
	v_and_b32_e32 v98, 0xffff, v127
	v_and_b32_e32 v99, 0xffff, v123
	v_lshrrev_b32_e32 v100, 16, v123
	v_and_b32_e32 v101, 0xffff, v128
	v_dual_fmac_f32 v30, v102, v108 :: v_dual_and_b32 v117, 0xffff, v115
	;;#ASMSTART
	v_cvt_f32_f16 v102, v98;
	;;#ASMEND
	;;#ASMSTART
	v_cvt_f32_f16 v108, v99;
	;;#ASMEND
	;; [unrolled: 3-line block ×5, first 2 shown]
	ds_load_b128 v[98:101], v2 offset:96
	v_or_b32_e32 v66, v69, v66
	v_or_b32_e32 v71, v73, v71
	;; [unrolled: 1-line block ×4, first 2 shown]
	v_fma_mixlo_f16 v69, v20, v69, 0 op_sel:[0,1,0] op_sel_hi:[0,1,0]
	v_fma_mixlo_f16 v66, v20, v66, 0 op_sel_hi:[0,1,0]
	v_fma_mixlo_f16 v73, v20, v73, 0 op_sel:[0,1,0] op_sel_hi:[0,1,0]
	v_fma_mixlo_f16 v71, v20, v71, 0 op_sel_hi:[0,1,0]
	v_fma_mixlo_f16 v72, v20, v72, 0 op_sel_hi:[0,1,0]
	;; [unrolled: 1-line block ×3, first 2 shown]
	v_fma_mixlo_f16 v76, v20, v76, 0 op_sel:[0,1,0] op_sel_hi:[0,1,0]
	v_fma_mixlo_f16 v74, v20, v74, 0 op_sel:[0,1,0] op_sel_hi:[0,1,0]
	v_fmac_f32_e32 v25, v97, v106
	v_and_b32_e32 v66, 0xffff, v66
	v_and_b32_e32 v69, 0xffff, v69
	v_fmac_f32_e32 v26, v91, v105
	v_and_b32_e32 v72, 0xffff, v72
	v_fmac_f32_e32 v24, v107, v109
	v_fma_mixlo_f16 v118, v20, v124, 0 op_sel_hi:[0,1,0]
	s_wait_dscnt 0x0
	v_and_b32_e32 v103, 0xffff, v98
	v_lshrrev_b32_e32 v97, 16, v98
	;;#ASMSTART
	v_cvt_f32_f16 v91, v103;
	;;#ASMEND
	v_and_b32_e32 v103, 0xffff, v99
	v_lshrrev_b32_e32 v104, 16, v99
	;;#ASMSTART
	v_cvt_f32_f16 v97, v97;
	;;#ASMEND
	;;#ASMSTART
	v_cvt_f32_f16 v98, v66;
	;;#ASMEND
	;; [unrolled: 3-line block ×3, first 2 shown]
	v_and_b32_e32 v66, 0xffff, v71
	v_and_b32_e32 v69, 0xffff, v73
	;; [unrolled: 1-line block ×3, first 2 shown]
	v_lshrrev_b32_e32 v73, 16, v100
	;;#ASMSTART
	v_cvt_f32_f16 v103, v103;
	;;#ASMEND
	;;#ASMSTART
	v_cvt_f32_f16 v104, v104;
	;;#ASMEND
	;; [unrolled: 3-line block ×7, first 2 shown]
	v_lshrrev_b32_e32 v71, 16, v101
	v_and_b32_e32 v72, 0xffff, v75
	v_and_b32_e32 v73, 0xffff, v76
	;; [unrolled: 1-line block ×4, first 2 shown]
	;;#ASMSTART
	v_cvt_f32_f16 v75, v66;
	;;#ASMEND
	;;#ASMSTART
	v_cvt_f32_f16 v76, v69;
	;;#ASMEND
	;; [unrolled: 3-line block ×5, first 2 shown]
	ds_load_b128 v[71:74], v2 offset:112
	v_add_nc_u32_e32 v122, s15, v17
	v_or_b32_e32 v86, v88, v86
	v_or_b32_e32 v9, v10, v9
	;; [unrolled: 1-line block ×4, first 2 shown]
	v_fma_mixlo_f16 v79, v20, v79, 0 op_sel:[0,1,0] op_sel_hi:[0,1,0]
	v_fma_mixlo_f16 v120, v20, v125, 0 op_sel_hi:[0,1,0]
	v_fma_mixlo_f16 v121, v20, v126, 0 op_sel_hi:[0,1,0]
	v_fma_mixlo_f16 v82, v20, v82, 0 op_sel:[0,1,0] op_sel_hi:[0,1,0]
	v_fmac_f32_e32 v30, v36, v85
	v_fma_mixlo_f16 v32, v20, v32, 0 op_sel_hi:[0,1,0]
	v_cvt_f32_i32_e32 v66, v122
	v_fma_mixlo_f16 v88, v20, v88, 0 op_sel:[0,1,0] op_sel_hi:[0,1,0]
	v_fma_mixlo_f16 v86, v20, v86, 0 op_sel_hi:[0,1,0]
	v_fma_mixlo_f16 v93, v20, v10, 0 op_sel:[0,1,0] op_sel_hi:[0,1,0]
	v_fma_mixlo_f16 v122, v20, v9, 0 op_sel_hi:[0,1,0]
	;; [unrolled: 2-line block ×3, first 2 shown]
	v_fma_mixlo_f16 v9, v20, v87, 0 op_sel_hi:[0,1,0]
	v_fma_mixlo_f16 v7, v20, v7, 0 op_sel:[0,1,0] op_sel_hi:[0,1,0]
	v_fmac_f32_e32 v40, v34, v37
	s_wait_dscnt 0x0
	v_and_b32_e32 v20, 0xffff, v71
	v_lshrrev_b32_e32 v33, 16, v71
	v_and_b32_e32 v34, 0xffff, v118
	v_and_b32_e32 v35, 0xffff, v77
	v_dual_fmac_f32 v1, v39, v43 :: v_dual_and_b32 v36, 0xffff, v72
	v_fmac_f32_e32 v25, v42, v51
	;;#ASMSTART
	v_cvt_f32_f16 v20, v20;
	;;#ASMEND
	v_lshrrev_b32_e32 v43, 16, v72
	;;#ASMSTART
	v_cvt_f32_f16 v37, v33;
	;;#ASMEND
	;;#ASMSTART
	v_cvt_f32_f16 v39, v34;
	;;#ASMEND
	;; [unrolled: 3-line block ×4, first 2 shown]
	v_and_b32_e32 v33, 0xffff, v119
	v_and_b32_e32 v34, 0xffff, v54
	;; [unrolled: 1-line block ×3, first 2 shown]
	v_lshrrev_b32_e32 v36, 16, v73
	v_fmac_f32_e32 v26, v45, v89
	v_fmac_f32_e32 v24, v52, v90
	;;#ASMSTART
	v_cvt_f32_f16 v43, v43;
	;;#ASMEND
	v_and_b32_e32 v54, 0xffff, v120
	;;#ASMSTART
	v_cvt_f32_f16 v44, v33;
	;;#ASMEND
	;;#ASMSTART
	v_cvt_f32_f16 v45, v34;
	;;#ASMEND
	;; [unrolled: 3-line block ×4, first 2 shown]
	v_and_b32_e32 v33, 0xffff, v79
	v_and_b32_e32 v34, 0xffff, v74
	v_lshrrev_b32_e32 v35, 16, v74
	v_and_b32_e32 v36, 0xffff, v121
	v_and_b32_e32 v74, 0xffff, v82
	v_fmac_f32_e32 v30, v55, v95
	;;#ASMSTART
	v_cvt_f32_f16 v54, v54;
	;;#ASMEND
	;;#ASMSTART
	v_cvt_f32_f16 v55, v33;
	;;#ASMEND
	;; [unrolled: 3-line block ×6, first 2 shown]
	ds_load_b128 v[33:36], v2 offset:128
	v_fmac_f32_e32 v1, v50, v56
	v_dual_fmac_f32 v29, v46, v48 :: v_dual_fmac_f32 v40, v47, v49
	v_and_b32_e32 v28, 0xffff, v28
	v_and_b32_e32 v47, 0xffff, v22
	;; [unrolled: 1-line block ×7, first 2 shown]
	v_dual_fmac_f32 v26, v59, v63 :: v_dual_fmac_f32 v25, v60, v81
	v_fmac_f32_e32 v1, v58, v62
	v_dual_fmac_f32 v23, v61, v64 :: v_dual_fmac_f32 v30, v94, v110
	s_delay_alu instid0(VALU_DEP_3) | instskip(NEXT) | instid1(VALU_DEP_3)
	v_dual_fmac_f32 v26, v65, v68 :: v_dual_fmac_f32 v25, v67, v70
	v_fmac_f32_e32 v1, v91, v98
	s_wait_dscnt 0x0
	s_delay_alu instid0(VALU_DEP_3)
	v_dual_fmac_f32 v23, v97, v99 :: v_dual_and_b32 v46, 0xffff, v33
	v_lshrrev_b32_e32 v33, 16, v33
	v_and_b32_e32 v48, 0xffff, v34
	v_lshrrev_b32_e32 v34, 16, v34
	;;#ASMSTART
	v_cvt_f32_f16 v46, v46;
	;;#ASMEND
	;;#ASMSTART
	v_cvt_f32_f16 v22, v33;
	;;#ASMEND
	;; [unrolled: 3-line block ×6, first 2 shown]
	v_and_b32_e32 v33, 0xffff, v8
	v_and_b32_e32 v34, 0xffff, v35
	v_lshrrev_b32_e32 v50, 16, v35
	;;#ASMSTART
	v_cvt_f32_f16 v8, v21;
	;;#ASMEND
	;;#ASMSTART
	v_cvt_f32_f16 v21, v33;
	;;#ASMEND
	;; [unrolled: 3-line block ×3, first 2 shown]
	v_and_b32_e32 v33, 0xffff, v36
	v_lshrrev_b32_e32 v34, 16, v36
	;;#ASMSTART
	v_cvt_f32_f16 v38, v50;
	;;#ASMEND
	;;#ASMSTART
	v_cvt_f32_f16 v50, v53;
	;;#ASMEND
	;;#ASMSTART
	v_cvt_f32_f16 v27, v27;
	;;#ASMEND
	;;#ASMSTART
	v_cvt_f32_f16 v36, v33;
	;;#ASMEND
	;;#ASMSTART
	v_cvt_f32_f16 v53, v34;
	;;#ASMEND
	;;#ASMSTART
	v_cvt_f32_f16 v56, v32;
	;;#ASMEND
	;;#ASMSTART
	v_cvt_f32_f16 v57, v31;
	;;#ASMEND
	ds_load_b128 v[31:34], v2 offset:144
	v_dual_fmac_f32 v26, v103, v100 :: v_dual_fmac_f32 v25, v104, v105
	v_fmac_f32_e32 v24, v84, v96
	v_fmac_f32_e32 v30, v80, v102
	;; [unrolled: 1-line block ×3, first 2 shown]
	s_delay_alu instid0(VALU_DEP_4) | instskip(NEXT) | instid1(VALU_DEP_4)
	v_dual_fmac_f32 v23, v37, v41 :: v_dual_fmac_f32 v26, v42, v44
	v_dual_fmac_f32 v25, v43, v45 :: v_dual_fmac_f32 v24, v78, v83
	s_delay_alu instid0(VALU_DEP_3) | instskip(NEXT) | instid1(VALU_DEP_3)
	v_dual_fmac_f32 v30, v107, v75 :: v_dual_fmac_f32 v1, v46, v28
	v_dual_fmac_f32 v23, v22, v47 :: v_dual_fmac_f32 v26, v48, v8
	s_delay_alu instid0(VALU_DEP_3)
	v_fmac_f32_e32 v25, v49, v21
	v_and_b32_e32 v21, 0xffff, v122
	v_and_b32_e32 v22, 0xffff, v93
	v_fmac_f32_e32 v29, v111, v113
	v_fmac_f32_e32 v24, v106, v109
	;; [unrolled: 1-line block ×3, first 2 shown]
	s_wait_dscnt 0x0
	v_and_b32_e32 v8, 0xffff, v31
	v_lshrrev_b32_e32 v20, 16, v31
	;;#ASMSTART
	v_cvt_f32_f16 v8, v8;
	;;#ASMEND
	;;#ASMSTART
	v_cvt_f32_f16 v20, v20;
	;;#ASMEND
	;; [unrolled: 3-line block ×4, first 2 shown]
	v_fmac_f32_e32 v1, v8, v21
	v_dual_fmac_f32 v23, v20, v22 :: v_dual_and_b32 v8, 0xffff, v32
	v_lshrrev_b32_e32 v21, 16, v32
	v_fmac_f32_e32 v40, v112, v114
	v_dual_fmac_f32 v29, v108, v116 :: v_dual_fmac_f32 v24, v51, v54
	v_dual_fmac_f32 v30, v38, v27 :: v_dual_and_b32 v27, 0xffff, v86
	;;#ASMSTART
	v_cvt_f32_f16 v8, v8;
	;;#ASMEND
	;;#ASMSTART
	v_cvt_f32_f16 v20, v21;
	;;#ASMEND
	;; [unrolled: 3-line block ×3, first 2 shown]
	v_dual_fmac_f32 v26, v8, v21 :: v_dual_add_f32 v1, v1, v23
	v_dual_fmac_f32 v40, v115, v117 :: v_dual_fmac_f32 v29, v76, v123
	v_fmac_f32_e32 v24, v35, v50
	v_and_b32_e32 v28, 0xffff, v88
	;;#ASMSTART
	v_cvt_f32_f16 v22, v28;
	;;#ASMEND
	v_fmac_f32_e32 v25, v20, v22
	v_dual_add_f32 v1, v1, v26 :: v_dual_and_b32 v8, 0xffff, v33
	v_lshrrev_b32_e32 v20, 16, v33
	v_dual_fmac_f32 v40, v101, v124 :: v_dual_fmac_f32 v29, v71, v73
	v_and_b32_e32 v21, 0xffff, v69
	v_and_b32_e32 v22, 0xffff, v10
	;;#ASMSTART
	v_cvt_f32_f16 v8, v8;
	;;#ASMEND
	;;#ASMSTART
	v_cvt_f32_f16 v10, v20;
	;;#ASMEND
	;; [unrolled: 3-line block ×3, first 2 shown]
	v_dual_fmac_f32 v24, v8, v20 :: v_dual_add_f32 v1, v25, v1
	v_fmac_f32_e32 v40, v72, v74
	v_fmac_f32_e32 v29, v36, v56
	;;#ASMSTART
	v_cvt_f32_f16 v21, v22;
	;;#ASMEND
	s_delay_alu instid0(VALU_DEP_3)
	v_dual_fmac_f32 v30, v10, v21 :: v_dual_add_f32 v1, v1, v24
	v_and_b32_e32 v8, 0xffff, v34
	v_fmac_f32_e32 v40, v53, v57
	v_lshrrev_b32_e32 v20, 16, v34
	v_and_b32_e32 v22, 0xffff, v9
	;;#ASMSTART
	v_cvt_f32_f16 v8, v8;
	;;#ASMEND
	;;#ASMSTART
	v_cvt_f32_f16 v9, v20;
	;;#ASMEND
	;; [unrolled: 3-line block ×3, first 2 shown]
	v_fmac_f32_e32 v29, v8, v10
	v_dual_add_f32 v1, v30, v1 :: v_dual_and_b32 v20, 0xffff, v7
	v_mul_f32_e32 v7, s24, v66
	;;#ASMSTART
	v_cvt_f32_f16 v8, v20;
	;;#ASMEND
	v_fmac_f32_e32 v40, v9, v8
	s_delay_alu instid0(VALU_DEP_3)
	v_add_f32_e32 v1, v1, v29
	v_cmp_gt_i32_e64 s3, s27, v17
	v_cndmask_b32_e32 v7, 0, v7, vcc_lo
	v_add_nc_u32_e32 v19, 4, v19
	v_add_co_u32 v3, s4, v3, 16
	v_add_f32_e32 v1, v40, v1
	v_add_nc_u32_e32 v17, 0x80, v17
	s_wait_alu 0xf1ff
	v_add_co_ci_u32_e64 v4, null, 0, v4, s4
	s_delay_alu instid0(VALU_DEP_3) | instskip(SKIP_1) | instid1(VALU_DEP_2)
	v_fmac_f32_e32 v7, s5, v1
	v_max_num_f32_e32 v1, v16, v16
	v_cndmask_b32_e64 v8, 0, v7, s3
	s_delay_alu instid0(VALU_DEP_2)
	v_max_num_f32_e32 v1, v1, v7
	ds_store_b32 v18, v8
	v_cndmask_b32_e64 v16, v16, v1, s3
	v_cmp_le_i32_e64 s3, s17, v19
	v_add_nc_u32_e32 v18, 0x200, v18
	s_or_b32 s33, s3, s33
	s_delay_alu instid0(SALU_CYCLE_1)
	s_and_not1_b32 exec_lo, exec_lo, s33
	s_cbranch_execz .LBB300_648
.LBB300_11:                             ; =>This Inner Loop Header: Depth=1
	global_load_b32 v1, v[3:4], off
	v_mov_b32_e32 v21, 0
	s_mov_b32 s4, exec_lo
	s_wait_loadcnt 0x0
	s_wait_alu 0xfffe
	v_mad_co_i64_i32 v[7:8], null, v1, s31, v[5:6]
	global_load_b64 v[9:10], v[7:8], off
	global_load_b32 v20, v2, s[8:9]
	s_wait_loadcnt 0x1
	v_and_b32_e32 v1, 0xff, v9
	s_delay_alu instid0(VALU_DEP_1)
	v_cmpx_ne_u16_e32 0, v1
	s_cbranch_execz .LBB300_19
; %bb.12:                               ;   in Loop: Header=BB300_11 Depth=1
	v_mov_b32_e32 v21, 0x8000
	s_mov_b32 s34, exec_lo
	v_cmpx_ne_u16_e32 0x80, v1
	s_cbranch_execz .LBB300_18
; %bb.13:                               ;   in Loop: Header=BB300_11 Depth=1
	v_and_b32_e32 v22, 0x7f, v9
	v_mov_b32_e32 v21, 0x7c01
	s_mov_b32 s35, exec_lo
	s_delay_alu instid0(VALU_DEP_2)
	v_cmpx_ne_u32_e32 0x7f, v22
	s_cbranch_execz .LBB300_17
; %bb.14:                               ;   in Loop: Header=BB300_11 Depth=1
	v_and_b32_e32 v1, 7, v9
	v_lshrrev_b32_e32 v21, 3, v22
	s_mov_b32 s36, exec_lo
	v_cmpx_gt_u32_e32 8, v22
; %bb.15:                               ;   in Loop: Header=BB300_11 Depth=1
	s_delay_alu instid0(VALU_DEP_3) | instskip(NEXT) | instid1(VALU_DEP_1)
	v_clz_i32_u32_e32 v1, v1
	v_min_u32_e32 v1, 32, v1
	s_delay_alu instid0(VALU_DEP_1) | instskip(NEXT) | instid1(VALU_DEP_1)
	v_subrev_nc_u32_e32 v21, 28, v1
	v_lshlrev_b64_e32 v[22:23], v21, v[9:10]
	v_sub_nc_u32_e32 v21, 29, v1
	s_delay_alu instid0(VALU_DEP_2)
	v_and_b32_e32 v1, 7, v22
; %bb.16:                               ;   in Loop: Header=BB300_11 Depth=1
	s_or_b32 exec_lo, exec_lo, s36
	v_lshlrev_b32_e32 v22, 8, v9
	s_delay_alu instid0(VALU_DEP_3) | instskip(NEXT) | instid1(VALU_DEP_3)
	v_lshl_add_u32 v21, v21, 10, 0x2000
	v_lshlrev_b32_e32 v1, 7, v1
	s_delay_alu instid0(VALU_DEP_3) | instskip(NEXT) | instid1(VALU_DEP_3)
	v_and_b32_e32 v22, 0x8000, v22
	v_and_b32_e32 v21, 0xfc00, v21
	s_delay_alu instid0(VALU_DEP_1)
	v_or3_b32 v21, v22, v21, v1
.LBB300_17:                             ;   in Loop: Header=BB300_11 Depth=1
	s_wait_alu 0xfffe
	s_or_b32 exec_lo, exec_lo, s35
.LBB300_18:                             ;   in Loop: Header=BB300_11 Depth=1
	s_wait_alu 0xfffe
	s_or_b32 exec_lo, exec_lo, s34
.LBB300_19:                             ;   in Loop: Header=BB300_11 Depth=1
	s_delay_alu instid0(SALU_CYCLE_1) | instskip(SKIP_3) | instid1(VALU_DEP_2)
	s_or_b32 exec_lo, exec_lo, s4
	v_lshrrev_b16 v1, 8, v9
	v_dual_mov_b32 v23, 0 :: v_dual_mov_b32 v22, 0
	s_mov_b32 s4, exec_lo
	v_cmpx_ne_u16_e32 0, v1
	s_cbranch_execz .LBB300_27
; %bb.20:                               ;   in Loop: Header=BB300_11 Depth=1
	v_bfrev_b32_e32 v22, 1
	s_mov_b32 s34, exec_lo
	v_cmpx_ne_u16_e32 0x80, v1
	s_cbranch_execz .LBB300_26
; %bb.21:                               ;   in Loop: Header=BB300_11 Depth=1
	v_and_b32_e32 v24, 0xffff, v1
	v_mov_b32_e32 v22, 0x7c010000
	s_mov_b32 s35, exec_lo
	s_delay_alu instid0(VALU_DEP_2) | instskip(NEXT) | instid1(VALU_DEP_1)
	v_and_b32_e32 v26, 0x7f, v24
	v_cmpx_ne_u32_e32 0x7f, v26
	s_cbranch_execz .LBB300_25
; %bb.22:                               ;   in Loop: Header=BB300_11 Depth=1
	v_and_b32_e32 v22, 7, v24
	v_lshrrev_b32_e32 v25, 3, v26
	s_mov_b32 s36, exec_lo
	v_cmpx_gt_u32_e32 8, v26
; %bb.23:                               ;   in Loop: Header=BB300_11 Depth=1
	s_delay_alu instid0(VALU_DEP_3) | instskip(NEXT) | instid1(VALU_DEP_1)
	v_clz_i32_u32_e32 v22, v22
	v_min_u32_e32 v22, 32, v22
	s_delay_alu instid0(VALU_DEP_1) | instskip(NEXT) | instid1(VALU_DEP_1)
	v_subrev_nc_u32_e32 v25, 28, v22
	v_lshlrev_b64_e32 v[26:27], v25, v[1:2]
	v_sub_nc_u32_e32 v25, 29, v22
	s_delay_alu instid0(VALU_DEP_2)
	v_and_b32_e32 v22, 7, v26
; %bb.24:                               ;   in Loop: Header=BB300_11 Depth=1
	s_or_b32 exec_lo, exec_lo, s36
	v_lshlrev_b32_e32 v1, 8, v24
	s_delay_alu instid0(VALU_DEP_3) | instskip(NEXT) | instid1(VALU_DEP_3)
	v_lshl_add_u32 v24, v25, 10, 0x2000
	v_lshlrev_b32_e32 v22, 23, v22
	s_delay_alu instid0(VALU_DEP_2) | instskip(NEXT) | instid1(VALU_DEP_1)
	v_and_or_b32 v1, 0x8000, v1, v24
	v_lshl_or_b32 v22, v1, 16, v22
.LBB300_25:                             ;   in Loop: Header=BB300_11 Depth=1
	s_wait_alu 0xfffe
	s_or_b32 exec_lo, exec_lo, s35
.LBB300_26:                             ;   in Loop: Header=BB300_11 Depth=1
	s_wait_alu 0xfffe
	s_or_b32 exec_lo, exec_lo, s34
.LBB300_27:                             ;   in Loop: Header=BB300_11 Depth=1
	s_wait_alu 0xfffe
	s_or_b32 exec_lo, exec_lo, s4
	v_lshrrev_b32_e32 v1, 16, v9
	s_mov_b32 s4, exec_lo
	s_delay_alu instid0(VALU_DEP_1) | instskip(NEXT) | instid1(VALU_DEP_1)
	v_and_b32_e32 v24, 0xff, v1
	v_cmpx_ne_u16_e32 0, v24
	s_cbranch_execz .LBB300_35
; %bb.28:                               ;   in Loop: Header=BB300_11 Depth=1
	v_mov_b32_e32 v23, 0x8000
	s_mov_b32 s34, exec_lo
	v_cmpx_ne_u16_e32 0x80, v24
	s_cbranch_execz .LBB300_34
; %bb.29:                               ;   in Loop: Header=BB300_11 Depth=1
	v_bfe_u32 v25, v9, 16, 7
	v_mov_b32_e32 v23, 0x7c01
	s_mov_b32 s35, exec_lo
	s_delay_alu instid0(VALU_DEP_2)
	v_cmpx_ne_u32_e32 0x7f, v25
	s_cbranch_execz .LBB300_33
; %bb.30:                               ;   in Loop: Header=BB300_11 Depth=1
	v_and_b32_e32 v23, 7, v1
	v_lshrrev_b32_e32 v24, 3, v25
	s_mov_b32 s36, exec_lo
	v_cmpx_gt_u32_e32 8, v25
; %bb.31:                               ;   in Loop: Header=BB300_11 Depth=1
	s_delay_alu instid0(VALU_DEP_3) | instskip(NEXT) | instid1(VALU_DEP_1)
	v_clz_i32_u32_e32 v23, v23
	v_min_u32_e32 v25, 32, v23
	s_delay_alu instid0(VALU_DEP_1) | instskip(NEXT) | instid1(VALU_DEP_1)
	v_subrev_nc_u32_e32 v23, 28, v25
	v_lshlrev_b64_e32 v[23:24], v23, v[1:2]
	v_sub_nc_u32_e32 v24, 29, v25
	s_delay_alu instid0(VALU_DEP_2)
	v_and_b32_e32 v23, 7, v23
; %bb.32:                               ;   in Loop: Header=BB300_11 Depth=1
	s_or_b32 exec_lo, exec_lo, s36
	v_lshlrev_b32_e32 v1, 8, v1
	s_delay_alu instid0(VALU_DEP_3) | instskip(NEXT) | instid1(VALU_DEP_3)
	v_lshl_add_u32 v24, v24, 10, 0x2000
	v_lshlrev_b32_e32 v23, 7, v23
	s_delay_alu instid0(VALU_DEP_3) | instskip(NEXT) | instid1(VALU_DEP_3)
	v_and_b32_e32 v1, 0x8000, v1
	v_and_b32_e32 v24, 0xfc00, v24
	s_delay_alu instid0(VALU_DEP_1)
	v_or3_b32 v23, v1, v24, v23
.LBB300_33:                             ;   in Loop: Header=BB300_11 Depth=1
	s_wait_alu 0xfffe
	s_or_b32 exec_lo, exec_lo, s35
.LBB300_34:                             ;   in Loop: Header=BB300_11 Depth=1
	s_wait_alu 0xfffe
	s_or_b32 exec_lo, exec_lo, s34
.LBB300_35:                             ;   in Loop: Header=BB300_11 Depth=1
	s_wait_alu 0xfffe
	s_or_b32 exec_lo, exec_lo, s4
	v_dual_mov_b32 v24, 0 :: v_dual_mov_b32 v25, 0
	s_mov_b32 s4, exec_lo
	v_cmpx_lt_u32_e32 0xffffff, v9
	s_cbranch_execz .LBB300_43
; %bb.36:                               ;   in Loop: Header=BB300_11 Depth=1
	v_lshrrev_b32_e32 v1, 24, v9
	v_bfrev_b32_e32 v25, 1
	s_mov_b32 s34, exec_lo
	s_delay_alu instid0(VALU_DEP_2)
	v_cmpx_ne_u32_e32 0x80, v1
	s_cbranch_execz .LBB300_42
; %bb.37:                               ;   in Loop: Header=BB300_11 Depth=1
	v_and_b32_e32 v27, 0x7f, v1
	v_mov_b32_e32 v25, 0x7c010000
	s_mov_b32 s35, exec_lo
	s_delay_alu instid0(VALU_DEP_2)
	v_cmpx_ne_u32_e32 0x7f, v27
	s_cbranch_execz .LBB300_41
; %bb.38:                               ;   in Loop: Header=BB300_11 Depth=1
	v_and_b32_e32 v25, 7, v1
	v_lshrrev_b32_e32 v26, 3, v27
	s_mov_b32 s36, exec_lo
	v_cmpx_gt_u32_e32 8, v27
; %bb.39:                               ;   in Loop: Header=BB300_11 Depth=1
	s_delay_alu instid0(VALU_DEP_3) | instskip(NEXT) | instid1(VALU_DEP_1)
	v_clz_i32_u32_e32 v25, v25
	v_min_u32_e32 v27, 32, v25
	s_delay_alu instid0(VALU_DEP_1) | instskip(NEXT) | instid1(VALU_DEP_1)
	v_subrev_nc_u32_e32 v25, 28, v27
	v_lshlrev_b64_e32 v[25:26], v25, v[1:2]
	v_sub_nc_u32_e32 v26, 29, v27
	s_delay_alu instid0(VALU_DEP_2)
	v_and_b32_e32 v25, 7, v25
; %bb.40:                               ;   in Loop: Header=BB300_11 Depth=1
	s_or_b32 exec_lo, exec_lo, s36
	v_lshlrev_b32_e32 v1, 8, v1
	s_delay_alu instid0(VALU_DEP_3) | instskip(NEXT) | instid1(VALU_DEP_3)
	v_lshl_add_u32 v26, v26, 10, 0x2000
	v_lshlrev_b32_e32 v25, 23, v25
	s_delay_alu instid0(VALU_DEP_2) | instskip(NEXT) | instid1(VALU_DEP_1)
	v_and_or_b32 v1, 0x8000, v1, v26
	v_lshl_or_b32 v25, v1, 16, v25
.LBB300_41:                             ;   in Loop: Header=BB300_11 Depth=1
	s_wait_alu 0xfffe
	s_or_b32 exec_lo, exec_lo, s35
.LBB300_42:                             ;   in Loop: Header=BB300_11 Depth=1
	s_wait_alu 0xfffe
	s_or_b32 exec_lo, exec_lo, s34
.LBB300_43:                             ;   in Loop: Header=BB300_11 Depth=1
	s_wait_alu 0xfffe
	s_or_b32 exec_lo, exec_lo, s4
	v_dual_mov_b32 v1, v10 :: v_dual_and_b32 v26, 0xff, v10
	s_mov_b32 s4, exec_lo
	s_delay_alu instid0(VALU_DEP_1)
	v_cmpx_ne_u16_e32 0, v26
	s_cbranch_execz .LBB300_51
; %bb.44:                               ;   in Loop: Header=BB300_11 Depth=1
	v_mov_b32_e32 v24, 0x8000
	s_mov_b32 s34, exec_lo
	v_cmpx_ne_u16_e32 0x80, v26
	s_cbranch_execz .LBB300_50
; %bb.45:                               ;   in Loop: Header=BB300_11 Depth=1
	v_and_b32_e32 v27, 0x7f, v10
	v_mov_b32_e32 v24, 0x7c01
	s_mov_b32 s35, exec_lo
	s_delay_alu instid0(VALU_DEP_2)
	v_cmpx_ne_u32_e32 0x7f, v27
	s_cbranch_execz .LBB300_49
; %bb.46:                               ;   in Loop: Header=BB300_11 Depth=1
	v_and_b32_e32 v24, 7, v10
	v_lshrrev_b32_e32 v26, 3, v27
	s_mov_b32 s36, exec_lo
	v_cmpx_gt_u32_e32 8, v27
; %bb.47:                               ;   in Loop: Header=BB300_11 Depth=1
	s_delay_alu instid0(VALU_DEP_3) | instskip(NEXT) | instid1(VALU_DEP_1)
	v_clz_i32_u32_e32 v24, v24
	v_min_u32_e32 v24, 32, v24
	s_delay_alu instid0(VALU_DEP_1) | instskip(NEXT) | instid1(VALU_DEP_1)
	v_subrev_nc_u32_e32 v26, 28, v24
	v_lshlrev_b64_e32 v[27:28], v26, v[1:2]
	v_sub_nc_u32_e32 v26, 29, v24
	s_delay_alu instid0(VALU_DEP_2)
	v_and_b32_e32 v24, 7, v27
; %bb.48:                               ;   in Loop: Header=BB300_11 Depth=1
	s_or_b32 exec_lo, exec_lo, s36
	v_lshlrev_b32_e32 v27, 8, v10
	s_delay_alu instid0(VALU_DEP_3) | instskip(NEXT) | instid1(VALU_DEP_3)
	v_lshl_add_u32 v26, v26, 10, 0x2000
	v_lshlrev_b32_e32 v24, 7, v24
	s_delay_alu instid0(VALU_DEP_3) | instskip(NEXT) | instid1(VALU_DEP_3)
	v_and_b32_e32 v27, 0x8000, v27
	v_and_b32_e32 v26, 0xfc00, v26
	s_delay_alu instid0(VALU_DEP_1)
	v_or3_b32 v24, v27, v26, v24
.LBB300_49:                             ;   in Loop: Header=BB300_11 Depth=1
	s_wait_alu 0xfffe
	s_or_b32 exec_lo, exec_lo, s35
.LBB300_50:                             ;   in Loop: Header=BB300_11 Depth=1
	s_wait_alu 0xfffe
	s_or_b32 exec_lo, exec_lo, s34
.LBB300_51:                             ;   in Loop: Header=BB300_11 Depth=1
	s_wait_alu 0xfffe
	s_or_b32 exec_lo, exec_lo, s4
	v_lshrrev_b16 v1, 8, v1
	v_dual_mov_b32 v26, 0 :: v_dual_mov_b32 v27, 0
	s_mov_b32 s4, exec_lo
	s_delay_alu instid0(VALU_DEP_2)
	v_cmpx_ne_u16_e32 0, v1
	s_cbranch_execz .LBB300_59
; %bb.52:                               ;   in Loop: Header=BB300_11 Depth=1
	v_bfrev_b32_e32 v27, 1
	s_mov_b32 s34, exec_lo
	v_cmpx_ne_u16_e32 0x80, v1
	s_cbranch_execz .LBB300_58
; %bb.53:                               ;   in Loop: Header=BB300_11 Depth=1
	v_and_b32_e32 v28, 0xffff, v1
	v_mov_b32_e32 v27, 0x7c010000
	s_mov_b32 s35, exec_lo
	s_delay_alu instid0(VALU_DEP_2) | instskip(NEXT) | instid1(VALU_DEP_1)
	v_and_b32_e32 v30, 0x7f, v28
	v_cmpx_ne_u32_e32 0x7f, v30
	s_cbranch_execz .LBB300_57
; %bb.54:                               ;   in Loop: Header=BB300_11 Depth=1
	v_and_b32_e32 v27, 7, v28
	v_lshrrev_b32_e32 v29, 3, v30
	s_mov_b32 s36, exec_lo
	v_cmpx_gt_u32_e32 8, v30
; %bb.55:                               ;   in Loop: Header=BB300_11 Depth=1
	s_delay_alu instid0(VALU_DEP_3) | instskip(NEXT) | instid1(VALU_DEP_1)
	v_clz_i32_u32_e32 v27, v27
	v_min_u32_e32 v27, 32, v27
	s_delay_alu instid0(VALU_DEP_1) | instskip(NEXT) | instid1(VALU_DEP_1)
	v_subrev_nc_u32_e32 v29, 28, v27
	v_lshlrev_b64_e32 v[30:31], v29, v[1:2]
	v_sub_nc_u32_e32 v29, 29, v27
	s_delay_alu instid0(VALU_DEP_2)
	v_and_b32_e32 v27, 7, v30
; %bb.56:                               ;   in Loop: Header=BB300_11 Depth=1
	s_or_b32 exec_lo, exec_lo, s36
	v_lshlrev_b32_e32 v1, 8, v28
	s_delay_alu instid0(VALU_DEP_3) | instskip(NEXT) | instid1(VALU_DEP_3)
	v_lshl_add_u32 v28, v29, 10, 0x2000
	v_lshlrev_b32_e32 v27, 23, v27
	s_delay_alu instid0(VALU_DEP_2) | instskip(NEXT) | instid1(VALU_DEP_1)
	v_and_or_b32 v1, 0x8000, v1, v28
	v_lshl_or_b32 v27, v1, 16, v27
.LBB300_57:                             ;   in Loop: Header=BB300_11 Depth=1
	s_wait_alu 0xfffe
	s_or_b32 exec_lo, exec_lo, s35
.LBB300_58:                             ;   in Loop: Header=BB300_11 Depth=1
	s_wait_alu 0xfffe
	s_or_b32 exec_lo, exec_lo, s34
.LBB300_59:                             ;   in Loop: Header=BB300_11 Depth=1
	s_wait_alu 0xfffe
	s_or_b32 exec_lo, exec_lo, s4
	v_lshrrev_b32_e32 v1, 16, v10
	s_mov_b32 s4, exec_lo
	s_delay_alu instid0(VALU_DEP_1) | instskip(NEXT) | instid1(VALU_DEP_1)
	v_and_b32_e32 v28, 0xff, v1
	v_cmpx_ne_u16_e32 0, v28
	s_cbranch_execz .LBB300_67
; %bb.60:                               ;   in Loop: Header=BB300_11 Depth=1
	v_mov_b32_e32 v26, 0x8000
	s_mov_b32 s34, exec_lo
	v_cmpx_ne_u16_e32 0x80, v28
	s_cbranch_execz .LBB300_66
; %bb.61:                               ;   in Loop: Header=BB300_11 Depth=1
	v_bfe_u32 v29, v10, 16, 7
	v_mov_b32_e32 v26, 0x7c01
	s_mov_b32 s35, exec_lo
	s_delay_alu instid0(VALU_DEP_2)
	v_cmpx_ne_u32_e32 0x7f, v29
	s_cbranch_execz .LBB300_65
; %bb.62:                               ;   in Loop: Header=BB300_11 Depth=1
	v_and_b32_e32 v26, 7, v1
	v_lshrrev_b32_e32 v28, 3, v29
	s_mov_b32 s36, exec_lo
	v_cmpx_gt_u32_e32 8, v29
; %bb.63:                               ;   in Loop: Header=BB300_11 Depth=1
	s_delay_alu instid0(VALU_DEP_3) | instskip(NEXT) | instid1(VALU_DEP_1)
	v_clz_i32_u32_e32 v26, v26
	v_min_u32_e32 v26, 32, v26
	s_delay_alu instid0(VALU_DEP_1) | instskip(NEXT) | instid1(VALU_DEP_1)
	v_subrev_nc_u32_e32 v28, 28, v26
	v_lshlrev_b64_e32 v[29:30], v28, v[1:2]
	v_sub_nc_u32_e32 v28, 29, v26
	s_delay_alu instid0(VALU_DEP_2)
	v_and_b32_e32 v26, 7, v29
; %bb.64:                               ;   in Loop: Header=BB300_11 Depth=1
	s_or_b32 exec_lo, exec_lo, s36
	v_lshlrev_b32_e32 v1, 8, v1
	s_delay_alu instid0(VALU_DEP_3) | instskip(NEXT) | instid1(VALU_DEP_3)
	v_lshl_add_u32 v28, v28, 10, 0x2000
	v_lshlrev_b32_e32 v26, 7, v26
	s_delay_alu instid0(VALU_DEP_3) | instskip(NEXT) | instid1(VALU_DEP_3)
	v_and_b32_e32 v1, 0x8000, v1
	v_and_b32_e32 v28, 0xfc00, v28
	s_delay_alu instid0(VALU_DEP_1)
	v_or3_b32 v26, v1, v28, v26
.LBB300_65:                             ;   in Loop: Header=BB300_11 Depth=1
	s_wait_alu 0xfffe
	s_or_b32 exec_lo, exec_lo, s35
.LBB300_66:                             ;   in Loop: Header=BB300_11 Depth=1
	s_wait_alu 0xfffe
	s_or_b32 exec_lo, exec_lo, s34
.LBB300_67:                             ;   in Loop: Header=BB300_11 Depth=1
	s_wait_alu 0xfffe
	s_or_b32 exec_lo, exec_lo, s4
	v_dual_mov_b32 v28, 0 :: v_dual_mov_b32 v29, 0
	s_mov_b32 s4, exec_lo
	v_cmpx_lt_u64_e64 s[6:7], v[9:10]
	s_cbranch_execz .LBB300_75
; %bb.68:                               ;   in Loop: Header=BB300_11 Depth=1
	v_lshrrev_b32_e32 v1, 24, v10
	v_bfrev_b32_e32 v29, 1
	s_mov_b32 s34, exec_lo
	s_delay_alu instid0(VALU_DEP_2)
	v_cmpx_ne_u32_e32 0x80, v1
	s_cbranch_execz .LBB300_74
; %bb.69:                               ;   in Loop: Header=BB300_11 Depth=1
	v_and_b32_e32 v30, 0x7f, v1
	v_mov_b32_e32 v29, 0x7c010000
	s_mov_b32 s35, exec_lo
	s_delay_alu instid0(VALU_DEP_2)
	v_cmpx_ne_u32_e32 0x7f, v30
	s_cbranch_execz .LBB300_73
; %bb.70:                               ;   in Loop: Header=BB300_11 Depth=1
	v_and_b32_e32 v9, 7, v1
	v_lshrrev_b32_e32 v10, 3, v30
	s_mov_b32 s36, exec_lo
	v_cmpx_gt_u32_e32 8, v30
; %bb.71:                               ;   in Loop: Header=BB300_11 Depth=1
	s_delay_alu instid0(VALU_DEP_3) | instskip(NEXT) | instid1(VALU_DEP_1)
	v_clz_i32_u32_e32 v9, v9
	v_min_u32_e32 v29, 32, v9
	s_delay_alu instid0(VALU_DEP_1) | instskip(NEXT) | instid1(VALU_DEP_1)
	v_subrev_nc_u32_e32 v9, 28, v29
	v_lshlrev_b64_e32 v[9:10], v9, v[1:2]
	v_sub_nc_u32_e32 v10, 29, v29
	s_delay_alu instid0(VALU_DEP_2)
	v_and_b32_e32 v9, 7, v9
; %bb.72:                               ;   in Loop: Header=BB300_11 Depth=1
	s_or_b32 exec_lo, exec_lo, s36
	v_lshlrev_b32_e32 v1, 8, v1
	s_delay_alu instid0(VALU_DEP_3) | instskip(NEXT) | instid1(VALU_DEP_3)
	v_lshl_add_u32 v10, v10, 10, 0x2000
	v_lshlrev_b32_e32 v9, 23, v9
	s_delay_alu instid0(VALU_DEP_2) | instskip(NEXT) | instid1(VALU_DEP_1)
	v_and_or_b32 v1, 0x8000, v1, v10
	v_lshl_or_b32 v29, v1, 16, v9
.LBB300_73:                             ;   in Loop: Header=BB300_11 Depth=1
	s_wait_alu 0xfffe
	s_or_b32 exec_lo, exec_lo, s35
.LBB300_74:                             ;   in Loop: Header=BB300_11 Depth=1
	s_wait_alu 0xfffe
	s_or_b32 exec_lo, exec_lo, s34
.LBB300_75:                             ;   in Loop: Header=BB300_11 Depth=1
	s_wait_alu 0xfffe
	s_or_b32 exec_lo, exec_lo, s4
	global_load_b64 v[9:10], v[7:8], off offset:8
	s_mov_b32 s4, exec_lo
	s_wait_loadcnt 0x0
	v_and_b32_e32 v1, 0xff, v9
	s_delay_alu instid0(VALU_DEP_1)
	v_cmpx_ne_u16_e32 0, v1
	s_cbranch_execz .LBB300_83
; %bb.76:                               ;   in Loop: Header=BB300_11 Depth=1
	v_mov_b32_e32 v28, 0x8000
	s_mov_b32 s34, exec_lo
	v_cmpx_ne_u16_e32 0x80, v1
	s_cbranch_execz .LBB300_82
; %bb.77:                               ;   in Loop: Header=BB300_11 Depth=1
	v_and_b32_e32 v30, 0x7f, v9
	v_mov_b32_e32 v28, 0x7c01
	s_mov_b32 s35, exec_lo
	s_delay_alu instid0(VALU_DEP_2)
	v_cmpx_ne_u32_e32 0x7f, v30
	s_cbranch_execz .LBB300_81
; %bb.78:                               ;   in Loop: Header=BB300_11 Depth=1
	v_and_b32_e32 v1, 7, v9
	v_lshrrev_b32_e32 v28, 3, v30
	s_mov_b32 s36, exec_lo
	v_cmpx_gt_u32_e32 8, v30
; %bb.79:                               ;   in Loop: Header=BB300_11 Depth=1
	s_delay_alu instid0(VALU_DEP_3) | instskip(NEXT) | instid1(VALU_DEP_1)
	v_clz_i32_u32_e32 v1, v1
	v_min_u32_e32 v1, 32, v1
	s_delay_alu instid0(VALU_DEP_1) | instskip(NEXT) | instid1(VALU_DEP_1)
	v_subrev_nc_u32_e32 v28, 28, v1
	v_lshlrev_b64_e32 v[30:31], v28, v[9:10]
	v_sub_nc_u32_e32 v28, 29, v1
	s_delay_alu instid0(VALU_DEP_2)
	v_and_b32_e32 v1, 7, v30
; %bb.80:                               ;   in Loop: Header=BB300_11 Depth=1
	s_or_b32 exec_lo, exec_lo, s36
	v_lshlrev_b32_e32 v30, 8, v9
	s_delay_alu instid0(VALU_DEP_3) | instskip(NEXT) | instid1(VALU_DEP_3)
	v_lshl_add_u32 v28, v28, 10, 0x2000
	v_lshlrev_b32_e32 v1, 7, v1
	s_delay_alu instid0(VALU_DEP_3) | instskip(NEXT) | instid1(VALU_DEP_3)
	v_and_b32_e32 v30, 0x8000, v30
	v_and_b32_e32 v28, 0xfc00, v28
	s_delay_alu instid0(VALU_DEP_1)
	v_or3_b32 v28, v30, v28, v1
.LBB300_81:                             ;   in Loop: Header=BB300_11 Depth=1
	s_wait_alu 0xfffe
	s_or_b32 exec_lo, exec_lo, s35
.LBB300_82:                             ;   in Loop: Header=BB300_11 Depth=1
	s_wait_alu 0xfffe
	s_or_b32 exec_lo, exec_lo, s34
.LBB300_83:                             ;   in Loop: Header=BB300_11 Depth=1
	s_wait_alu 0xfffe
	s_or_b32 exec_lo, exec_lo, s4
	v_lshrrev_b16 v1, 8, v9
	v_dual_mov_b32 v31, 0 :: v_dual_mov_b32 v30, 0
	s_mov_b32 s4, exec_lo
	s_delay_alu instid0(VALU_DEP_2)
	v_cmpx_ne_u16_e32 0, v1
	s_cbranch_execz .LBB300_91
; %bb.84:                               ;   in Loop: Header=BB300_11 Depth=1
	v_bfrev_b32_e32 v30, 1
	s_mov_b32 s34, exec_lo
	v_cmpx_ne_u16_e32 0x80, v1
	s_cbranch_execz .LBB300_90
; %bb.85:                               ;   in Loop: Header=BB300_11 Depth=1
	v_and_b32_e32 v32, 0xffff, v1
	v_mov_b32_e32 v30, 0x7c010000
	s_mov_b32 s35, exec_lo
	s_delay_alu instid0(VALU_DEP_2) | instskip(NEXT) | instid1(VALU_DEP_1)
	v_and_b32_e32 v34, 0x7f, v32
	v_cmpx_ne_u32_e32 0x7f, v34
	s_cbranch_execz .LBB300_89
; %bb.86:                               ;   in Loop: Header=BB300_11 Depth=1
	v_and_b32_e32 v30, 7, v32
	v_lshrrev_b32_e32 v33, 3, v34
	s_mov_b32 s36, exec_lo
	v_cmpx_gt_u32_e32 8, v34
; %bb.87:                               ;   in Loop: Header=BB300_11 Depth=1
	s_delay_alu instid0(VALU_DEP_3) | instskip(NEXT) | instid1(VALU_DEP_1)
	v_clz_i32_u32_e32 v30, v30
	v_min_u32_e32 v30, 32, v30
	s_delay_alu instid0(VALU_DEP_1) | instskip(NEXT) | instid1(VALU_DEP_1)
	v_subrev_nc_u32_e32 v33, 28, v30
	v_lshlrev_b64_e32 v[34:35], v33, v[1:2]
	v_sub_nc_u32_e32 v33, 29, v30
	s_delay_alu instid0(VALU_DEP_2)
	v_and_b32_e32 v30, 7, v34
; %bb.88:                               ;   in Loop: Header=BB300_11 Depth=1
	s_or_b32 exec_lo, exec_lo, s36
	v_lshlrev_b32_e32 v1, 8, v32
	s_delay_alu instid0(VALU_DEP_3) | instskip(NEXT) | instid1(VALU_DEP_3)
	v_lshl_add_u32 v32, v33, 10, 0x2000
	v_lshlrev_b32_e32 v30, 23, v30
	s_delay_alu instid0(VALU_DEP_2) | instskip(NEXT) | instid1(VALU_DEP_1)
	v_and_or_b32 v1, 0x8000, v1, v32
	v_lshl_or_b32 v30, v1, 16, v30
.LBB300_89:                             ;   in Loop: Header=BB300_11 Depth=1
	s_wait_alu 0xfffe
	s_or_b32 exec_lo, exec_lo, s35
.LBB300_90:                             ;   in Loop: Header=BB300_11 Depth=1
	s_wait_alu 0xfffe
	s_or_b32 exec_lo, exec_lo, s34
.LBB300_91:                             ;   in Loop: Header=BB300_11 Depth=1
	s_wait_alu 0xfffe
	s_or_b32 exec_lo, exec_lo, s4
	v_lshrrev_b32_e32 v1, 16, v9
	s_mov_b32 s4, exec_lo
	s_delay_alu instid0(VALU_DEP_1) | instskip(NEXT) | instid1(VALU_DEP_1)
	v_and_b32_e32 v32, 0xff, v1
	v_cmpx_ne_u16_e32 0, v32
	s_cbranch_execz .LBB300_99
; %bb.92:                               ;   in Loop: Header=BB300_11 Depth=1
	v_mov_b32_e32 v31, 0x8000
	s_mov_b32 s34, exec_lo
	v_cmpx_ne_u16_e32 0x80, v32
	s_cbranch_execz .LBB300_98
; %bb.93:                               ;   in Loop: Header=BB300_11 Depth=1
	v_bfe_u32 v33, v9, 16, 7
	v_mov_b32_e32 v31, 0x7c01
	s_mov_b32 s35, exec_lo
	s_delay_alu instid0(VALU_DEP_2)
	v_cmpx_ne_u32_e32 0x7f, v33
	s_cbranch_execz .LBB300_97
; %bb.94:                               ;   in Loop: Header=BB300_11 Depth=1
	v_and_b32_e32 v31, 7, v1
	v_lshrrev_b32_e32 v32, 3, v33
	s_mov_b32 s36, exec_lo
	v_cmpx_gt_u32_e32 8, v33
; %bb.95:                               ;   in Loop: Header=BB300_11 Depth=1
	s_delay_alu instid0(VALU_DEP_3) | instskip(NEXT) | instid1(VALU_DEP_1)
	v_clz_i32_u32_e32 v31, v31
	v_min_u32_e32 v33, 32, v31
	s_delay_alu instid0(VALU_DEP_1) | instskip(NEXT) | instid1(VALU_DEP_1)
	v_subrev_nc_u32_e32 v31, 28, v33
	v_lshlrev_b64_e32 v[31:32], v31, v[1:2]
	v_sub_nc_u32_e32 v32, 29, v33
	s_delay_alu instid0(VALU_DEP_2)
	v_and_b32_e32 v31, 7, v31
; %bb.96:                               ;   in Loop: Header=BB300_11 Depth=1
	s_or_b32 exec_lo, exec_lo, s36
	v_lshlrev_b32_e32 v1, 8, v1
	s_delay_alu instid0(VALU_DEP_3) | instskip(NEXT) | instid1(VALU_DEP_3)
	v_lshl_add_u32 v32, v32, 10, 0x2000
	v_lshlrev_b32_e32 v31, 7, v31
	s_delay_alu instid0(VALU_DEP_3) | instskip(NEXT) | instid1(VALU_DEP_3)
	v_and_b32_e32 v1, 0x8000, v1
	v_and_b32_e32 v32, 0xfc00, v32
	s_delay_alu instid0(VALU_DEP_1)
	v_or3_b32 v31, v1, v32, v31
.LBB300_97:                             ;   in Loop: Header=BB300_11 Depth=1
	s_wait_alu 0xfffe
	s_or_b32 exec_lo, exec_lo, s35
.LBB300_98:                             ;   in Loop: Header=BB300_11 Depth=1
	s_wait_alu 0xfffe
	s_or_b32 exec_lo, exec_lo, s34
.LBB300_99:                             ;   in Loop: Header=BB300_11 Depth=1
	s_wait_alu 0xfffe
	s_or_b32 exec_lo, exec_lo, s4
	v_dual_mov_b32 v32, 0 :: v_dual_mov_b32 v33, 0
	s_mov_b32 s4, exec_lo
	v_cmpx_lt_u32_e32 0xffffff, v9
	s_cbranch_execz .LBB300_107
; %bb.100:                              ;   in Loop: Header=BB300_11 Depth=1
	v_lshrrev_b32_e32 v1, 24, v9
	v_bfrev_b32_e32 v33, 1
	s_mov_b32 s34, exec_lo
	s_delay_alu instid0(VALU_DEP_2)
	v_cmpx_ne_u32_e32 0x80, v1
	s_cbranch_execz .LBB300_106
; %bb.101:                              ;   in Loop: Header=BB300_11 Depth=1
	v_and_b32_e32 v35, 0x7f, v1
	v_mov_b32_e32 v33, 0x7c010000
	s_mov_b32 s35, exec_lo
	s_delay_alu instid0(VALU_DEP_2)
	v_cmpx_ne_u32_e32 0x7f, v35
	s_cbranch_execz .LBB300_105
; %bb.102:                              ;   in Loop: Header=BB300_11 Depth=1
	v_and_b32_e32 v33, 7, v1
	v_lshrrev_b32_e32 v34, 3, v35
	s_mov_b32 s36, exec_lo
	v_cmpx_gt_u32_e32 8, v35
; %bb.103:                              ;   in Loop: Header=BB300_11 Depth=1
	s_delay_alu instid0(VALU_DEP_3) | instskip(NEXT) | instid1(VALU_DEP_1)
	v_clz_i32_u32_e32 v33, v33
	v_min_u32_e32 v35, 32, v33
	s_delay_alu instid0(VALU_DEP_1) | instskip(NEXT) | instid1(VALU_DEP_1)
	v_subrev_nc_u32_e32 v33, 28, v35
	v_lshlrev_b64_e32 v[33:34], v33, v[1:2]
	v_sub_nc_u32_e32 v34, 29, v35
	s_delay_alu instid0(VALU_DEP_2)
	v_and_b32_e32 v33, 7, v33
; %bb.104:                              ;   in Loop: Header=BB300_11 Depth=1
	s_or_b32 exec_lo, exec_lo, s36
	v_lshlrev_b32_e32 v1, 8, v1
	s_delay_alu instid0(VALU_DEP_3) | instskip(NEXT) | instid1(VALU_DEP_3)
	v_lshl_add_u32 v34, v34, 10, 0x2000
	v_lshlrev_b32_e32 v33, 23, v33
	s_delay_alu instid0(VALU_DEP_2) | instskip(NEXT) | instid1(VALU_DEP_1)
	v_and_or_b32 v1, 0x8000, v1, v34
	v_lshl_or_b32 v33, v1, 16, v33
.LBB300_105:                            ;   in Loop: Header=BB300_11 Depth=1
	s_wait_alu 0xfffe
	s_or_b32 exec_lo, exec_lo, s35
.LBB300_106:                            ;   in Loop: Header=BB300_11 Depth=1
	s_wait_alu 0xfffe
	s_or_b32 exec_lo, exec_lo, s34
.LBB300_107:                            ;   in Loop: Header=BB300_11 Depth=1
	s_wait_alu 0xfffe
	s_or_b32 exec_lo, exec_lo, s4
	v_dual_mov_b32 v1, v10 :: v_dual_and_b32 v34, 0xff, v10
	s_mov_b32 s4, exec_lo
	s_delay_alu instid0(VALU_DEP_1)
	v_cmpx_ne_u16_e32 0, v34
	s_cbranch_execz .LBB300_115
; %bb.108:                              ;   in Loop: Header=BB300_11 Depth=1
	v_mov_b32_e32 v32, 0x8000
	s_mov_b32 s34, exec_lo
	v_cmpx_ne_u16_e32 0x80, v34
	s_cbranch_execz .LBB300_114
; %bb.109:                              ;   in Loop: Header=BB300_11 Depth=1
	v_and_b32_e32 v35, 0x7f, v10
	v_mov_b32_e32 v32, 0x7c01
	s_mov_b32 s35, exec_lo
	s_delay_alu instid0(VALU_DEP_2)
	v_cmpx_ne_u32_e32 0x7f, v35
	s_cbranch_execz .LBB300_113
; %bb.110:                              ;   in Loop: Header=BB300_11 Depth=1
	v_and_b32_e32 v32, 7, v10
	v_lshrrev_b32_e32 v34, 3, v35
	s_mov_b32 s36, exec_lo
	v_cmpx_gt_u32_e32 8, v35
; %bb.111:                              ;   in Loop: Header=BB300_11 Depth=1
	s_delay_alu instid0(VALU_DEP_3) | instskip(NEXT) | instid1(VALU_DEP_1)
	v_clz_i32_u32_e32 v32, v32
	v_min_u32_e32 v32, 32, v32
	s_delay_alu instid0(VALU_DEP_1) | instskip(NEXT) | instid1(VALU_DEP_1)
	v_subrev_nc_u32_e32 v34, 28, v32
	v_lshlrev_b64_e32 v[35:36], v34, v[1:2]
	v_sub_nc_u32_e32 v34, 29, v32
	s_delay_alu instid0(VALU_DEP_2)
	v_and_b32_e32 v32, 7, v35
; %bb.112:                              ;   in Loop: Header=BB300_11 Depth=1
	s_or_b32 exec_lo, exec_lo, s36
	v_lshlrev_b32_e32 v35, 8, v10
	s_delay_alu instid0(VALU_DEP_3) | instskip(NEXT) | instid1(VALU_DEP_3)
	v_lshl_add_u32 v34, v34, 10, 0x2000
	v_lshlrev_b32_e32 v32, 7, v32
	s_delay_alu instid0(VALU_DEP_3) | instskip(NEXT) | instid1(VALU_DEP_3)
	v_and_b32_e32 v35, 0x8000, v35
	v_and_b32_e32 v34, 0xfc00, v34
	s_delay_alu instid0(VALU_DEP_1)
	v_or3_b32 v32, v35, v34, v32
.LBB300_113:                            ;   in Loop: Header=BB300_11 Depth=1
	s_wait_alu 0xfffe
	s_or_b32 exec_lo, exec_lo, s35
.LBB300_114:                            ;   in Loop: Header=BB300_11 Depth=1
	s_wait_alu 0xfffe
	s_or_b32 exec_lo, exec_lo, s34
.LBB300_115:                            ;   in Loop: Header=BB300_11 Depth=1
	s_wait_alu 0xfffe
	s_or_b32 exec_lo, exec_lo, s4
	v_lshrrev_b16 v1, 8, v1
	v_dual_mov_b32 v35, 0 :: v_dual_mov_b32 v34, 0
	s_mov_b32 s4, exec_lo
	s_delay_alu instid0(VALU_DEP_2)
	v_cmpx_ne_u16_e32 0, v1
	s_cbranch_execz .LBB300_123
; %bb.116:                              ;   in Loop: Header=BB300_11 Depth=1
	v_bfrev_b32_e32 v34, 1
	s_mov_b32 s34, exec_lo
	v_cmpx_ne_u16_e32 0x80, v1
	s_cbranch_execz .LBB300_122
; %bb.117:                              ;   in Loop: Header=BB300_11 Depth=1
	v_and_b32_e32 v36, 0xffff, v1
	v_mov_b32_e32 v34, 0x7c010000
	s_mov_b32 s35, exec_lo
	s_delay_alu instid0(VALU_DEP_2) | instskip(NEXT) | instid1(VALU_DEP_1)
	v_and_b32_e32 v38, 0x7f, v36
	v_cmpx_ne_u32_e32 0x7f, v38
	s_cbranch_execz .LBB300_121
; %bb.118:                              ;   in Loop: Header=BB300_11 Depth=1
	v_and_b32_e32 v34, 7, v36
	v_lshrrev_b32_e32 v37, 3, v38
	s_mov_b32 s36, exec_lo
	v_cmpx_gt_u32_e32 8, v38
; %bb.119:                              ;   in Loop: Header=BB300_11 Depth=1
	s_delay_alu instid0(VALU_DEP_3) | instskip(NEXT) | instid1(VALU_DEP_1)
	v_clz_i32_u32_e32 v34, v34
	v_min_u32_e32 v34, 32, v34
	s_delay_alu instid0(VALU_DEP_1) | instskip(NEXT) | instid1(VALU_DEP_1)
	v_subrev_nc_u32_e32 v37, 28, v34
	v_lshlrev_b64_e32 v[38:39], v37, v[1:2]
	v_sub_nc_u32_e32 v37, 29, v34
	s_delay_alu instid0(VALU_DEP_2)
	v_and_b32_e32 v34, 7, v38
; %bb.120:                              ;   in Loop: Header=BB300_11 Depth=1
	s_or_b32 exec_lo, exec_lo, s36
	v_lshlrev_b32_e32 v1, 8, v36
	s_delay_alu instid0(VALU_DEP_3) | instskip(NEXT) | instid1(VALU_DEP_3)
	v_lshl_add_u32 v36, v37, 10, 0x2000
	v_lshlrev_b32_e32 v34, 23, v34
	s_delay_alu instid0(VALU_DEP_2) | instskip(NEXT) | instid1(VALU_DEP_1)
	v_and_or_b32 v1, 0x8000, v1, v36
	v_lshl_or_b32 v34, v1, 16, v34
.LBB300_121:                            ;   in Loop: Header=BB300_11 Depth=1
	s_wait_alu 0xfffe
	s_or_b32 exec_lo, exec_lo, s35
.LBB300_122:                            ;   in Loop: Header=BB300_11 Depth=1
	s_wait_alu 0xfffe
	s_or_b32 exec_lo, exec_lo, s34
.LBB300_123:                            ;   in Loop: Header=BB300_11 Depth=1
	s_wait_alu 0xfffe
	s_or_b32 exec_lo, exec_lo, s4
	v_lshrrev_b32_e32 v1, 16, v10
	s_mov_b32 s4, exec_lo
	s_delay_alu instid0(VALU_DEP_1) | instskip(NEXT) | instid1(VALU_DEP_1)
	v_and_b32_e32 v36, 0xff, v1
	v_cmpx_ne_u16_e32 0, v36
	s_cbranch_execz .LBB300_131
; %bb.124:                              ;   in Loop: Header=BB300_11 Depth=1
	v_mov_b32_e32 v35, 0x8000
	s_mov_b32 s34, exec_lo
	v_cmpx_ne_u16_e32 0x80, v36
	s_cbranch_execz .LBB300_130
; %bb.125:                              ;   in Loop: Header=BB300_11 Depth=1
	v_bfe_u32 v37, v10, 16, 7
	v_mov_b32_e32 v35, 0x7c01
	s_mov_b32 s35, exec_lo
	s_delay_alu instid0(VALU_DEP_2)
	v_cmpx_ne_u32_e32 0x7f, v37
	s_cbranch_execz .LBB300_129
; %bb.126:                              ;   in Loop: Header=BB300_11 Depth=1
	v_and_b32_e32 v35, 7, v1
	v_lshrrev_b32_e32 v36, 3, v37
	s_mov_b32 s36, exec_lo
	v_cmpx_gt_u32_e32 8, v37
; %bb.127:                              ;   in Loop: Header=BB300_11 Depth=1
	s_delay_alu instid0(VALU_DEP_3) | instskip(NEXT) | instid1(VALU_DEP_1)
	v_clz_i32_u32_e32 v35, v35
	v_min_u32_e32 v37, 32, v35
	s_delay_alu instid0(VALU_DEP_1) | instskip(NEXT) | instid1(VALU_DEP_1)
	v_subrev_nc_u32_e32 v35, 28, v37
	v_lshlrev_b64_e32 v[35:36], v35, v[1:2]
	v_sub_nc_u32_e32 v36, 29, v37
	s_delay_alu instid0(VALU_DEP_2)
	v_and_b32_e32 v35, 7, v35
; %bb.128:                              ;   in Loop: Header=BB300_11 Depth=1
	s_or_b32 exec_lo, exec_lo, s36
	v_lshlrev_b32_e32 v1, 8, v1
	s_delay_alu instid0(VALU_DEP_3) | instskip(NEXT) | instid1(VALU_DEP_3)
	v_lshl_add_u32 v36, v36, 10, 0x2000
	v_lshlrev_b32_e32 v35, 7, v35
	s_delay_alu instid0(VALU_DEP_3) | instskip(NEXT) | instid1(VALU_DEP_3)
	v_and_b32_e32 v1, 0x8000, v1
	v_and_b32_e32 v36, 0xfc00, v36
	s_delay_alu instid0(VALU_DEP_1)
	v_or3_b32 v35, v1, v36, v35
.LBB300_129:                            ;   in Loop: Header=BB300_11 Depth=1
	s_wait_alu 0xfffe
	s_or_b32 exec_lo, exec_lo, s35
.LBB300_130:                            ;   in Loop: Header=BB300_11 Depth=1
	s_wait_alu 0xfffe
	s_or_b32 exec_lo, exec_lo, s34
.LBB300_131:                            ;   in Loop: Header=BB300_11 Depth=1
	s_wait_alu 0xfffe
	s_or_b32 exec_lo, exec_lo, s4
	v_dual_mov_b32 v36, 0 :: v_dual_mov_b32 v37, 0
	s_mov_b32 s4, exec_lo
	v_cmpx_lt_u64_e64 s[6:7], v[9:10]
	s_cbranch_execz .LBB300_139
; %bb.132:                              ;   in Loop: Header=BB300_11 Depth=1
	v_lshrrev_b32_e32 v1, 24, v10
	v_bfrev_b32_e32 v37, 1
	s_mov_b32 s34, exec_lo
	s_delay_alu instid0(VALU_DEP_2)
	v_cmpx_ne_u32_e32 0x80, v1
	s_cbranch_execz .LBB300_138
; %bb.133:                              ;   in Loop: Header=BB300_11 Depth=1
	v_and_b32_e32 v38, 0x7f, v1
	v_mov_b32_e32 v37, 0x7c010000
	s_mov_b32 s35, exec_lo
	s_delay_alu instid0(VALU_DEP_2)
	v_cmpx_ne_u32_e32 0x7f, v38
	s_cbranch_execz .LBB300_137
; %bb.134:                              ;   in Loop: Header=BB300_11 Depth=1
	v_and_b32_e32 v9, 7, v1
	v_lshrrev_b32_e32 v10, 3, v38
	s_mov_b32 s36, exec_lo
	v_cmpx_gt_u32_e32 8, v38
; %bb.135:                              ;   in Loop: Header=BB300_11 Depth=1
	s_delay_alu instid0(VALU_DEP_3) | instskip(NEXT) | instid1(VALU_DEP_1)
	v_clz_i32_u32_e32 v9, v9
	v_min_u32_e32 v37, 32, v9
	s_delay_alu instid0(VALU_DEP_1) | instskip(NEXT) | instid1(VALU_DEP_1)
	v_subrev_nc_u32_e32 v9, 28, v37
	v_lshlrev_b64_e32 v[9:10], v9, v[1:2]
	v_sub_nc_u32_e32 v10, 29, v37
	s_delay_alu instid0(VALU_DEP_2)
	v_and_b32_e32 v9, 7, v9
; %bb.136:                              ;   in Loop: Header=BB300_11 Depth=1
	s_or_b32 exec_lo, exec_lo, s36
	v_lshlrev_b32_e32 v1, 8, v1
	s_delay_alu instid0(VALU_DEP_3) | instskip(NEXT) | instid1(VALU_DEP_3)
	v_lshl_add_u32 v10, v10, 10, 0x2000
	v_lshlrev_b32_e32 v9, 23, v9
	s_delay_alu instid0(VALU_DEP_2) | instskip(NEXT) | instid1(VALU_DEP_1)
	v_and_or_b32 v1, 0x8000, v1, v10
	v_lshl_or_b32 v37, v1, 16, v9
.LBB300_137:                            ;   in Loop: Header=BB300_11 Depth=1
	s_wait_alu 0xfffe
	s_or_b32 exec_lo, exec_lo, s35
.LBB300_138:                            ;   in Loop: Header=BB300_11 Depth=1
	s_wait_alu 0xfffe
	s_or_b32 exec_lo, exec_lo, s34
.LBB300_139:                            ;   in Loop: Header=BB300_11 Depth=1
	s_wait_alu 0xfffe
	s_or_b32 exec_lo, exec_lo, s4
	global_load_b64 v[9:10], v[7:8], off offset:512
	s_mov_b32 s4, exec_lo
	s_wait_loadcnt 0x0
	v_and_b32_e32 v1, 0xff, v9
	s_delay_alu instid0(VALU_DEP_1)
	v_cmpx_ne_u16_e32 0, v1
	s_cbranch_execz .LBB300_147
; %bb.140:                              ;   in Loop: Header=BB300_11 Depth=1
	v_mov_b32_e32 v36, 0x8000
	s_mov_b32 s34, exec_lo
	v_cmpx_ne_u16_e32 0x80, v1
	s_cbranch_execz .LBB300_146
; %bb.141:                              ;   in Loop: Header=BB300_11 Depth=1
	v_and_b32_e32 v38, 0x7f, v9
	v_mov_b32_e32 v36, 0x7c01
	s_mov_b32 s35, exec_lo
	s_delay_alu instid0(VALU_DEP_2)
	v_cmpx_ne_u32_e32 0x7f, v38
	s_cbranch_execz .LBB300_145
; %bb.142:                              ;   in Loop: Header=BB300_11 Depth=1
	v_and_b32_e32 v1, 7, v9
	v_lshrrev_b32_e32 v36, 3, v38
	s_mov_b32 s36, exec_lo
	v_cmpx_gt_u32_e32 8, v38
; %bb.143:                              ;   in Loop: Header=BB300_11 Depth=1
	s_delay_alu instid0(VALU_DEP_3) | instskip(NEXT) | instid1(VALU_DEP_1)
	v_clz_i32_u32_e32 v1, v1
	v_min_u32_e32 v1, 32, v1
	s_delay_alu instid0(VALU_DEP_1) | instskip(NEXT) | instid1(VALU_DEP_1)
	v_subrev_nc_u32_e32 v36, 28, v1
	v_lshlrev_b64_e32 v[38:39], v36, v[9:10]
	v_sub_nc_u32_e32 v36, 29, v1
	s_delay_alu instid0(VALU_DEP_2)
	v_and_b32_e32 v1, 7, v38
; %bb.144:                              ;   in Loop: Header=BB300_11 Depth=1
	s_or_b32 exec_lo, exec_lo, s36
	v_lshlrev_b32_e32 v38, 8, v9
	s_delay_alu instid0(VALU_DEP_3) | instskip(NEXT) | instid1(VALU_DEP_3)
	v_lshl_add_u32 v36, v36, 10, 0x2000
	v_lshlrev_b32_e32 v1, 7, v1
	s_delay_alu instid0(VALU_DEP_3) | instskip(NEXT) | instid1(VALU_DEP_3)
	v_and_b32_e32 v38, 0x8000, v38
	v_and_b32_e32 v36, 0xfc00, v36
	s_delay_alu instid0(VALU_DEP_1)
	v_or3_b32 v36, v38, v36, v1
.LBB300_145:                            ;   in Loop: Header=BB300_11 Depth=1
	s_wait_alu 0xfffe
	s_or_b32 exec_lo, exec_lo, s35
.LBB300_146:                            ;   in Loop: Header=BB300_11 Depth=1
	s_wait_alu 0xfffe
	s_or_b32 exec_lo, exec_lo, s34
.LBB300_147:                            ;   in Loop: Header=BB300_11 Depth=1
	s_wait_alu 0xfffe
	s_or_b32 exec_lo, exec_lo, s4
	v_lshrrev_b16 v1, 8, v9
	v_dual_mov_b32 v39, 0 :: v_dual_mov_b32 v38, 0
	s_mov_b32 s4, exec_lo
	s_delay_alu instid0(VALU_DEP_2)
	v_cmpx_ne_u16_e32 0, v1
	s_cbranch_execz .LBB300_155
; %bb.148:                              ;   in Loop: Header=BB300_11 Depth=1
	v_bfrev_b32_e32 v38, 1
	s_mov_b32 s34, exec_lo
	v_cmpx_ne_u16_e32 0x80, v1
	s_cbranch_execz .LBB300_154
; %bb.149:                              ;   in Loop: Header=BB300_11 Depth=1
	v_and_b32_e32 v40, 0xffff, v1
	v_mov_b32_e32 v38, 0x7c010000
	s_mov_b32 s35, exec_lo
	s_delay_alu instid0(VALU_DEP_2) | instskip(NEXT) | instid1(VALU_DEP_1)
	v_and_b32_e32 v42, 0x7f, v40
	v_cmpx_ne_u32_e32 0x7f, v42
	s_cbranch_execz .LBB300_153
; %bb.150:                              ;   in Loop: Header=BB300_11 Depth=1
	v_and_b32_e32 v38, 7, v40
	v_lshrrev_b32_e32 v41, 3, v42
	s_mov_b32 s36, exec_lo
	v_cmpx_gt_u32_e32 8, v42
; %bb.151:                              ;   in Loop: Header=BB300_11 Depth=1
	s_delay_alu instid0(VALU_DEP_3) | instskip(NEXT) | instid1(VALU_DEP_1)
	v_clz_i32_u32_e32 v38, v38
	v_min_u32_e32 v38, 32, v38
	s_delay_alu instid0(VALU_DEP_1) | instskip(NEXT) | instid1(VALU_DEP_1)
	v_subrev_nc_u32_e32 v41, 28, v38
	v_lshlrev_b64_e32 v[42:43], v41, v[1:2]
	v_sub_nc_u32_e32 v41, 29, v38
	s_delay_alu instid0(VALU_DEP_2)
	v_and_b32_e32 v38, 7, v42
; %bb.152:                              ;   in Loop: Header=BB300_11 Depth=1
	s_or_b32 exec_lo, exec_lo, s36
	v_lshlrev_b32_e32 v1, 8, v40
	s_delay_alu instid0(VALU_DEP_3) | instskip(NEXT) | instid1(VALU_DEP_3)
	v_lshl_add_u32 v40, v41, 10, 0x2000
	v_lshlrev_b32_e32 v38, 23, v38
	s_delay_alu instid0(VALU_DEP_2) | instskip(NEXT) | instid1(VALU_DEP_1)
	v_and_or_b32 v1, 0x8000, v1, v40
	v_lshl_or_b32 v38, v1, 16, v38
.LBB300_153:                            ;   in Loop: Header=BB300_11 Depth=1
	s_wait_alu 0xfffe
	s_or_b32 exec_lo, exec_lo, s35
.LBB300_154:                            ;   in Loop: Header=BB300_11 Depth=1
	s_wait_alu 0xfffe
	s_or_b32 exec_lo, exec_lo, s34
.LBB300_155:                            ;   in Loop: Header=BB300_11 Depth=1
	s_wait_alu 0xfffe
	s_or_b32 exec_lo, exec_lo, s4
	v_lshrrev_b32_e32 v1, 16, v9
	s_mov_b32 s4, exec_lo
	s_delay_alu instid0(VALU_DEP_1) | instskip(NEXT) | instid1(VALU_DEP_1)
	v_and_b32_e32 v40, 0xff, v1
	v_cmpx_ne_u16_e32 0, v40
	s_cbranch_execz .LBB300_163
; %bb.156:                              ;   in Loop: Header=BB300_11 Depth=1
	v_mov_b32_e32 v39, 0x8000
	s_mov_b32 s34, exec_lo
	v_cmpx_ne_u16_e32 0x80, v40
	s_cbranch_execz .LBB300_162
; %bb.157:                              ;   in Loop: Header=BB300_11 Depth=1
	v_bfe_u32 v41, v9, 16, 7
	v_mov_b32_e32 v39, 0x7c01
	s_mov_b32 s35, exec_lo
	s_delay_alu instid0(VALU_DEP_2)
	v_cmpx_ne_u32_e32 0x7f, v41
	s_cbranch_execz .LBB300_161
; %bb.158:                              ;   in Loop: Header=BB300_11 Depth=1
	v_and_b32_e32 v39, 7, v1
	v_lshrrev_b32_e32 v40, 3, v41
	s_mov_b32 s36, exec_lo
	v_cmpx_gt_u32_e32 8, v41
; %bb.159:                              ;   in Loop: Header=BB300_11 Depth=1
	s_delay_alu instid0(VALU_DEP_3) | instskip(NEXT) | instid1(VALU_DEP_1)
	v_clz_i32_u32_e32 v39, v39
	v_min_u32_e32 v41, 32, v39
	s_delay_alu instid0(VALU_DEP_1) | instskip(NEXT) | instid1(VALU_DEP_1)
	v_subrev_nc_u32_e32 v39, 28, v41
	v_lshlrev_b64_e32 v[39:40], v39, v[1:2]
	v_sub_nc_u32_e32 v40, 29, v41
	s_delay_alu instid0(VALU_DEP_2)
	v_and_b32_e32 v39, 7, v39
; %bb.160:                              ;   in Loop: Header=BB300_11 Depth=1
	s_or_b32 exec_lo, exec_lo, s36
	v_lshlrev_b32_e32 v1, 8, v1
	s_delay_alu instid0(VALU_DEP_3) | instskip(NEXT) | instid1(VALU_DEP_3)
	v_lshl_add_u32 v40, v40, 10, 0x2000
	v_lshlrev_b32_e32 v39, 7, v39
	s_delay_alu instid0(VALU_DEP_3) | instskip(NEXT) | instid1(VALU_DEP_3)
	v_and_b32_e32 v1, 0x8000, v1
	v_and_b32_e32 v40, 0xfc00, v40
	s_delay_alu instid0(VALU_DEP_1)
	v_or3_b32 v39, v1, v40, v39
.LBB300_161:                            ;   in Loop: Header=BB300_11 Depth=1
	s_wait_alu 0xfffe
	s_or_b32 exec_lo, exec_lo, s35
.LBB300_162:                            ;   in Loop: Header=BB300_11 Depth=1
	s_wait_alu 0xfffe
	s_or_b32 exec_lo, exec_lo, s34
.LBB300_163:                            ;   in Loop: Header=BB300_11 Depth=1
	s_wait_alu 0xfffe
	s_or_b32 exec_lo, exec_lo, s4
	v_dual_mov_b32 v40, 0 :: v_dual_mov_b32 v41, 0
	s_mov_b32 s4, exec_lo
	v_cmpx_lt_u32_e32 0xffffff, v9
	s_cbranch_execz .LBB300_171
; %bb.164:                              ;   in Loop: Header=BB300_11 Depth=1
	v_lshrrev_b32_e32 v1, 24, v9
	v_bfrev_b32_e32 v41, 1
	s_mov_b32 s34, exec_lo
	s_delay_alu instid0(VALU_DEP_2)
	v_cmpx_ne_u32_e32 0x80, v1
	s_cbranch_execz .LBB300_170
; %bb.165:                              ;   in Loop: Header=BB300_11 Depth=1
	v_and_b32_e32 v43, 0x7f, v1
	v_mov_b32_e32 v41, 0x7c010000
	s_mov_b32 s35, exec_lo
	s_delay_alu instid0(VALU_DEP_2)
	v_cmpx_ne_u32_e32 0x7f, v43
	s_cbranch_execz .LBB300_169
; %bb.166:                              ;   in Loop: Header=BB300_11 Depth=1
	v_and_b32_e32 v41, 7, v1
	v_lshrrev_b32_e32 v42, 3, v43
	s_mov_b32 s36, exec_lo
	v_cmpx_gt_u32_e32 8, v43
; %bb.167:                              ;   in Loop: Header=BB300_11 Depth=1
	s_delay_alu instid0(VALU_DEP_3) | instskip(NEXT) | instid1(VALU_DEP_1)
	v_clz_i32_u32_e32 v41, v41
	v_min_u32_e32 v43, 32, v41
	s_delay_alu instid0(VALU_DEP_1) | instskip(NEXT) | instid1(VALU_DEP_1)
	v_subrev_nc_u32_e32 v41, 28, v43
	v_lshlrev_b64_e32 v[41:42], v41, v[1:2]
	v_sub_nc_u32_e32 v42, 29, v43
	s_delay_alu instid0(VALU_DEP_2)
	v_and_b32_e32 v41, 7, v41
; %bb.168:                              ;   in Loop: Header=BB300_11 Depth=1
	s_or_b32 exec_lo, exec_lo, s36
	v_lshlrev_b32_e32 v1, 8, v1
	s_delay_alu instid0(VALU_DEP_3) | instskip(NEXT) | instid1(VALU_DEP_3)
	v_lshl_add_u32 v42, v42, 10, 0x2000
	v_lshlrev_b32_e32 v41, 23, v41
	s_delay_alu instid0(VALU_DEP_2) | instskip(NEXT) | instid1(VALU_DEP_1)
	v_and_or_b32 v1, 0x8000, v1, v42
	v_lshl_or_b32 v41, v1, 16, v41
.LBB300_169:                            ;   in Loop: Header=BB300_11 Depth=1
	s_wait_alu 0xfffe
	s_or_b32 exec_lo, exec_lo, s35
.LBB300_170:                            ;   in Loop: Header=BB300_11 Depth=1
	s_wait_alu 0xfffe
	s_or_b32 exec_lo, exec_lo, s34
.LBB300_171:                            ;   in Loop: Header=BB300_11 Depth=1
	s_wait_alu 0xfffe
	s_or_b32 exec_lo, exec_lo, s4
	v_dual_mov_b32 v1, v10 :: v_dual_and_b32 v42, 0xff, v10
	s_mov_b32 s4, exec_lo
	s_delay_alu instid0(VALU_DEP_1)
	v_cmpx_ne_u16_e32 0, v42
	s_cbranch_execz .LBB300_179
; %bb.172:                              ;   in Loop: Header=BB300_11 Depth=1
	v_mov_b32_e32 v40, 0x8000
	s_mov_b32 s34, exec_lo
	v_cmpx_ne_u16_e32 0x80, v42
	s_cbranch_execz .LBB300_178
; %bb.173:                              ;   in Loop: Header=BB300_11 Depth=1
	v_and_b32_e32 v43, 0x7f, v10
	v_mov_b32_e32 v40, 0x7c01
	s_mov_b32 s35, exec_lo
	s_delay_alu instid0(VALU_DEP_2)
	v_cmpx_ne_u32_e32 0x7f, v43
	s_cbranch_execz .LBB300_177
; %bb.174:                              ;   in Loop: Header=BB300_11 Depth=1
	v_and_b32_e32 v40, 7, v10
	v_lshrrev_b32_e32 v42, 3, v43
	s_mov_b32 s36, exec_lo
	v_cmpx_gt_u32_e32 8, v43
; %bb.175:                              ;   in Loop: Header=BB300_11 Depth=1
	s_delay_alu instid0(VALU_DEP_3) | instskip(NEXT) | instid1(VALU_DEP_1)
	v_clz_i32_u32_e32 v40, v40
	v_min_u32_e32 v40, 32, v40
	s_delay_alu instid0(VALU_DEP_1) | instskip(NEXT) | instid1(VALU_DEP_1)
	v_subrev_nc_u32_e32 v42, 28, v40
	v_lshlrev_b64_e32 v[43:44], v42, v[1:2]
	v_sub_nc_u32_e32 v42, 29, v40
	s_delay_alu instid0(VALU_DEP_2)
	v_and_b32_e32 v40, 7, v43
; %bb.176:                              ;   in Loop: Header=BB300_11 Depth=1
	s_or_b32 exec_lo, exec_lo, s36
	v_lshlrev_b32_e32 v43, 8, v10
	s_delay_alu instid0(VALU_DEP_3) | instskip(NEXT) | instid1(VALU_DEP_3)
	v_lshl_add_u32 v42, v42, 10, 0x2000
	v_lshlrev_b32_e32 v40, 7, v40
	s_delay_alu instid0(VALU_DEP_3) | instskip(NEXT) | instid1(VALU_DEP_3)
	v_and_b32_e32 v43, 0x8000, v43
	v_and_b32_e32 v42, 0xfc00, v42
	s_delay_alu instid0(VALU_DEP_1)
	v_or3_b32 v40, v43, v42, v40
.LBB300_177:                            ;   in Loop: Header=BB300_11 Depth=1
	s_wait_alu 0xfffe
	s_or_b32 exec_lo, exec_lo, s35
.LBB300_178:                            ;   in Loop: Header=BB300_11 Depth=1
	s_wait_alu 0xfffe
	s_or_b32 exec_lo, exec_lo, s34
.LBB300_179:                            ;   in Loop: Header=BB300_11 Depth=1
	s_wait_alu 0xfffe
	s_or_b32 exec_lo, exec_lo, s4
	v_lshrrev_b16 v1, 8, v1
	v_dual_mov_b32 v43, 0 :: v_dual_mov_b32 v42, 0
	s_mov_b32 s4, exec_lo
	s_delay_alu instid0(VALU_DEP_2)
	v_cmpx_ne_u16_e32 0, v1
	s_cbranch_execz .LBB300_187
; %bb.180:                              ;   in Loop: Header=BB300_11 Depth=1
	v_bfrev_b32_e32 v42, 1
	s_mov_b32 s34, exec_lo
	v_cmpx_ne_u16_e32 0x80, v1
	s_cbranch_execz .LBB300_186
; %bb.181:                              ;   in Loop: Header=BB300_11 Depth=1
	v_and_b32_e32 v44, 0xffff, v1
	v_mov_b32_e32 v42, 0x7c010000
	s_mov_b32 s35, exec_lo
	s_delay_alu instid0(VALU_DEP_2) | instskip(NEXT) | instid1(VALU_DEP_1)
	v_and_b32_e32 v46, 0x7f, v44
	v_cmpx_ne_u32_e32 0x7f, v46
	s_cbranch_execz .LBB300_185
; %bb.182:                              ;   in Loop: Header=BB300_11 Depth=1
	v_and_b32_e32 v42, 7, v44
	v_lshrrev_b32_e32 v45, 3, v46
	s_mov_b32 s36, exec_lo
	v_cmpx_gt_u32_e32 8, v46
; %bb.183:                              ;   in Loop: Header=BB300_11 Depth=1
	s_delay_alu instid0(VALU_DEP_3) | instskip(NEXT) | instid1(VALU_DEP_1)
	v_clz_i32_u32_e32 v42, v42
	v_min_u32_e32 v42, 32, v42
	s_delay_alu instid0(VALU_DEP_1) | instskip(NEXT) | instid1(VALU_DEP_1)
	v_subrev_nc_u32_e32 v45, 28, v42
	v_lshlrev_b64_e32 v[46:47], v45, v[1:2]
	v_sub_nc_u32_e32 v45, 29, v42
	s_delay_alu instid0(VALU_DEP_2)
	v_and_b32_e32 v42, 7, v46
; %bb.184:                              ;   in Loop: Header=BB300_11 Depth=1
	s_or_b32 exec_lo, exec_lo, s36
	v_lshlrev_b32_e32 v1, 8, v44
	s_delay_alu instid0(VALU_DEP_3) | instskip(NEXT) | instid1(VALU_DEP_3)
	v_lshl_add_u32 v44, v45, 10, 0x2000
	v_lshlrev_b32_e32 v42, 23, v42
	s_delay_alu instid0(VALU_DEP_2) | instskip(NEXT) | instid1(VALU_DEP_1)
	v_and_or_b32 v1, 0x8000, v1, v44
	v_lshl_or_b32 v42, v1, 16, v42
.LBB300_185:                            ;   in Loop: Header=BB300_11 Depth=1
	s_wait_alu 0xfffe
	s_or_b32 exec_lo, exec_lo, s35
.LBB300_186:                            ;   in Loop: Header=BB300_11 Depth=1
	s_wait_alu 0xfffe
	s_or_b32 exec_lo, exec_lo, s34
.LBB300_187:                            ;   in Loop: Header=BB300_11 Depth=1
	s_wait_alu 0xfffe
	s_or_b32 exec_lo, exec_lo, s4
	v_lshrrev_b32_e32 v1, 16, v10
	s_mov_b32 s4, exec_lo
	s_delay_alu instid0(VALU_DEP_1) | instskip(NEXT) | instid1(VALU_DEP_1)
	v_and_b32_e32 v44, 0xff, v1
	v_cmpx_ne_u16_e32 0, v44
	s_cbranch_execz .LBB300_195
; %bb.188:                              ;   in Loop: Header=BB300_11 Depth=1
	v_mov_b32_e32 v43, 0x8000
	s_mov_b32 s34, exec_lo
	v_cmpx_ne_u16_e32 0x80, v44
	s_cbranch_execz .LBB300_194
; %bb.189:                              ;   in Loop: Header=BB300_11 Depth=1
	v_bfe_u32 v45, v10, 16, 7
	v_mov_b32_e32 v43, 0x7c01
	s_mov_b32 s35, exec_lo
	s_delay_alu instid0(VALU_DEP_2)
	v_cmpx_ne_u32_e32 0x7f, v45
	s_cbranch_execz .LBB300_193
; %bb.190:                              ;   in Loop: Header=BB300_11 Depth=1
	v_and_b32_e32 v43, 7, v1
	v_lshrrev_b32_e32 v44, 3, v45
	s_mov_b32 s36, exec_lo
	v_cmpx_gt_u32_e32 8, v45
; %bb.191:                              ;   in Loop: Header=BB300_11 Depth=1
	s_delay_alu instid0(VALU_DEP_3) | instskip(NEXT) | instid1(VALU_DEP_1)
	v_clz_i32_u32_e32 v43, v43
	v_min_u32_e32 v45, 32, v43
	s_delay_alu instid0(VALU_DEP_1) | instskip(NEXT) | instid1(VALU_DEP_1)
	v_subrev_nc_u32_e32 v43, 28, v45
	v_lshlrev_b64_e32 v[43:44], v43, v[1:2]
	v_sub_nc_u32_e32 v44, 29, v45
	s_delay_alu instid0(VALU_DEP_2)
	v_and_b32_e32 v43, 7, v43
; %bb.192:                              ;   in Loop: Header=BB300_11 Depth=1
	s_or_b32 exec_lo, exec_lo, s36
	v_lshlrev_b32_e32 v1, 8, v1
	s_delay_alu instid0(VALU_DEP_3) | instskip(NEXT) | instid1(VALU_DEP_3)
	v_lshl_add_u32 v44, v44, 10, 0x2000
	v_lshlrev_b32_e32 v43, 7, v43
	s_delay_alu instid0(VALU_DEP_3) | instskip(NEXT) | instid1(VALU_DEP_3)
	v_and_b32_e32 v1, 0x8000, v1
	v_and_b32_e32 v44, 0xfc00, v44
	s_delay_alu instid0(VALU_DEP_1)
	v_or3_b32 v43, v1, v44, v43
.LBB300_193:                            ;   in Loop: Header=BB300_11 Depth=1
	s_wait_alu 0xfffe
	s_or_b32 exec_lo, exec_lo, s35
.LBB300_194:                            ;   in Loop: Header=BB300_11 Depth=1
	s_wait_alu 0xfffe
	s_or_b32 exec_lo, exec_lo, s34
.LBB300_195:                            ;   in Loop: Header=BB300_11 Depth=1
	s_wait_alu 0xfffe
	s_or_b32 exec_lo, exec_lo, s4
	v_dual_mov_b32 v44, 0 :: v_dual_mov_b32 v45, 0
	s_mov_b32 s4, exec_lo
	v_cmpx_lt_u64_e64 s[6:7], v[9:10]
	s_cbranch_execz .LBB300_203
; %bb.196:                              ;   in Loop: Header=BB300_11 Depth=1
	v_lshrrev_b32_e32 v1, 24, v10
	v_bfrev_b32_e32 v45, 1
	s_mov_b32 s34, exec_lo
	s_delay_alu instid0(VALU_DEP_2)
	v_cmpx_ne_u32_e32 0x80, v1
	s_cbranch_execz .LBB300_202
; %bb.197:                              ;   in Loop: Header=BB300_11 Depth=1
	v_and_b32_e32 v46, 0x7f, v1
	v_mov_b32_e32 v45, 0x7c010000
	s_mov_b32 s35, exec_lo
	s_delay_alu instid0(VALU_DEP_2)
	v_cmpx_ne_u32_e32 0x7f, v46
	s_cbranch_execz .LBB300_201
; %bb.198:                              ;   in Loop: Header=BB300_11 Depth=1
	v_and_b32_e32 v9, 7, v1
	v_lshrrev_b32_e32 v10, 3, v46
	s_mov_b32 s36, exec_lo
	v_cmpx_gt_u32_e32 8, v46
; %bb.199:                              ;   in Loop: Header=BB300_11 Depth=1
	s_delay_alu instid0(VALU_DEP_3) | instskip(NEXT) | instid1(VALU_DEP_1)
	v_clz_i32_u32_e32 v9, v9
	v_min_u32_e32 v45, 32, v9
	s_delay_alu instid0(VALU_DEP_1) | instskip(NEXT) | instid1(VALU_DEP_1)
	v_subrev_nc_u32_e32 v9, 28, v45
	v_lshlrev_b64_e32 v[9:10], v9, v[1:2]
	v_sub_nc_u32_e32 v10, 29, v45
	s_delay_alu instid0(VALU_DEP_2)
	v_and_b32_e32 v9, 7, v9
; %bb.200:                              ;   in Loop: Header=BB300_11 Depth=1
	s_or_b32 exec_lo, exec_lo, s36
	v_lshlrev_b32_e32 v1, 8, v1
	s_delay_alu instid0(VALU_DEP_3) | instskip(NEXT) | instid1(VALU_DEP_3)
	v_lshl_add_u32 v10, v10, 10, 0x2000
	v_lshlrev_b32_e32 v9, 23, v9
	s_delay_alu instid0(VALU_DEP_2) | instskip(NEXT) | instid1(VALU_DEP_1)
	v_and_or_b32 v1, 0x8000, v1, v10
	v_lshl_or_b32 v45, v1, 16, v9
.LBB300_201:                            ;   in Loop: Header=BB300_11 Depth=1
	s_wait_alu 0xfffe
	s_or_b32 exec_lo, exec_lo, s35
.LBB300_202:                            ;   in Loop: Header=BB300_11 Depth=1
	s_wait_alu 0xfffe
	s_or_b32 exec_lo, exec_lo, s34
.LBB300_203:                            ;   in Loop: Header=BB300_11 Depth=1
	s_wait_alu 0xfffe
	s_or_b32 exec_lo, exec_lo, s4
	global_load_b64 v[9:10], v[7:8], off offset:520
	s_mov_b32 s4, exec_lo
	s_wait_loadcnt 0x0
	v_and_b32_e32 v1, 0xff, v9
	s_delay_alu instid0(VALU_DEP_1)
	v_cmpx_ne_u16_e32 0, v1
	s_cbranch_execz .LBB300_211
; %bb.204:                              ;   in Loop: Header=BB300_11 Depth=1
	v_mov_b32_e32 v44, 0x8000
	s_mov_b32 s34, exec_lo
	v_cmpx_ne_u16_e32 0x80, v1
	s_cbranch_execz .LBB300_210
; %bb.205:                              ;   in Loop: Header=BB300_11 Depth=1
	v_and_b32_e32 v46, 0x7f, v9
	v_mov_b32_e32 v44, 0x7c01
	s_mov_b32 s35, exec_lo
	s_delay_alu instid0(VALU_DEP_2)
	v_cmpx_ne_u32_e32 0x7f, v46
	s_cbranch_execz .LBB300_209
; %bb.206:                              ;   in Loop: Header=BB300_11 Depth=1
	v_and_b32_e32 v1, 7, v9
	v_lshrrev_b32_e32 v44, 3, v46
	s_mov_b32 s36, exec_lo
	v_cmpx_gt_u32_e32 8, v46
; %bb.207:                              ;   in Loop: Header=BB300_11 Depth=1
	s_delay_alu instid0(VALU_DEP_3) | instskip(NEXT) | instid1(VALU_DEP_1)
	v_clz_i32_u32_e32 v1, v1
	v_min_u32_e32 v1, 32, v1
	s_delay_alu instid0(VALU_DEP_1) | instskip(NEXT) | instid1(VALU_DEP_1)
	v_subrev_nc_u32_e32 v44, 28, v1
	v_lshlrev_b64_e32 v[46:47], v44, v[9:10]
	v_sub_nc_u32_e32 v44, 29, v1
	s_delay_alu instid0(VALU_DEP_2)
	v_and_b32_e32 v1, 7, v46
; %bb.208:                              ;   in Loop: Header=BB300_11 Depth=1
	s_or_b32 exec_lo, exec_lo, s36
	v_lshlrev_b32_e32 v46, 8, v9
	s_delay_alu instid0(VALU_DEP_3) | instskip(NEXT) | instid1(VALU_DEP_3)
	v_lshl_add_u32 v44, v44, 10, 0x2000
	v_lshlrev_b32_e32 v1, 7, v1
	s_delay_alu instid0(VALU_DEP_3) | instskip(NEXT) | instid1(VALU_DEP_3)
	v_and_b32_e32 v46, 0x8000, v46
	v_and_b32_e32 v44, 0xfc00, v44
	s_delay_alu instid0(VALU_DEP_1)
	v_or3_b32 v44, v46, v44, v1
.LBB300_209:                            ;   in Loop: Header=BB300_11 Depth=1
	s_wait_alu 0xfffe
	s_or_b32 exec_lo, exec_lo, s35
.LBB300_210:                            ;   in Loop: Header=BB300_11 Depth=1
	s_wait_alu 0xfffe
	s_or_b32 exec_lo, exec_lo, s34
.LBB300_211:                            ;   in Loop: Header=BB300_11 Depth=1
	s_wait_alu 0xfffe
	s_or_b32 exec_lo, exec_lo, s4
	v_lshrrev_b16 v1, 8, v9
	v_dual_mov_b32 v47, 0 :: v_dual_mov_b32 v46, 0
	s_mov_b32 s4, exec_lo
	s_delay_alu instid0(VALU_DEP_2)
	v_cmpx_ne_u16_e32 0, v1
	s_cbranch_execz .LBB300_219
; %bb.212:                              ;   in Loop: Header=BB300_11 Depth=1
	v_bfrev_b32_e32 v46, 1
	s_mov_b32 s34, exec_lo
	v_cmpx_ne_u16_e32 0x80, v1
	s_cbranch_execz .LBB300_218
; %bb.213:                              ;   in Loop: Header=BB300_11 Depth=1
	v_and_b32_e32 v48, 0xffff, v1
	v_mov_b32_e32 v46, 0x7c010000
	s_mov_b32 s35, exec_lo
	s_delay_alu instid0(VALU_DEP_2) | instskip(NEXT) | instid1(VALU_DEP_1)
	v_and_b32_e32 v50, 0x7f, v48
	v_cmpx_ne_u32_e32 0x7f, v50
	s_cbranch_execz .LBB300_217
; %bb.214:                              ;   in Loop: Header=BB300_11 Depth=1
	v_and_b32_e32 v46, 7, v48
	v_lshrrev_b32_e32 v49, 3, v50
	s_mov_b32 s36, exec_lo
	v_cmpx_gt_u32_e32 8, v50
; %bb.215:                              ;   in Loop: Header=BB300_11 Depth=1
	s_delay_alu instid0(VALU_DEP_3) | instskip(NEXT) | instid1(VALU_DEP_1)
	v_clz_i32_u32_e32 v46, v46
	v_min_u32_e32 v46, 32, v46
	s_delay_alu instid0(VALU_DEP_1) | instskip(NEXT) | instid1(VALU_DEP_1)
	v_subrev_nc_u32_e32 v49, 28, v46
	v_lshlrev_b64_e32 v[50:51], v49, v[1:2]
	v_sub_nc_u32_e32 v49, 29, v46
	s_delay_alu instid0(VALU_DEP_2)
	v_and_b32_e32 v46, 7, v50
; %bb.216:                              ;   in Loop: Header=BB300_11 Depth=1
	s_or_b32 exec_lo, exec_lo, s36
	v_lshlrev_b32_e32 v1, 8, v48
	s_delay_alu instid0(VALU_DEP_3) | instskip(NEXT) | instid1(VALU_DEP_3)
	v_lshl_add_u32 v48, v49, 10, 0x2000
	v_lshlrev_b32_e32 v46, 23, v46
	s_delay_alu instid0(VALU_DEP_2) | instskip(NEXT) | instid1(VALU_DEP_1)
	v_and_or_b32 v1, 0x8000, v1, v48
	v_lshl_or_b32 v46, v1, 16, v46
.LBB300_217:                            ;   in Loop: Header=BB300_11 Depth=1
	s_wait_alu 0xfffe
	s_or_b32 exec_lo, exec_lo, s35
.LBB300_218:                            ;   in Loop: Header=BB300_11 Depth=1
	s_wait_alu 0xfffe
	s_or_b32 exec_lo, exec_lo, s34
.LBB300_219:                            ;   in Loop: Header=BB300_11 Depth=1
	s_wait_alu 0xfffe
	s_or_b32 exec_lo, exec_lo, s4
	v_lshrrev_b32_e32 v1, 16, v9
	s_mov_b32 s4, exec_lo
	s_delay_alu instid0(VALU_DEP_1) | instskip(NEXT) | instid1(VALU_DEP_1)
	v_and_b32_e32 v48, 0xff, v1
	v_cmpx_ne_u16_e32 0, v48
	s_cbranch_execz .LBB300_227
; %bb.220:                              ;   in Loop: Header=BB300_11 Depth=1
	v_mov_b32_e32 v47, 0x8000
	s_mov_b32 s34, exec_lo
	v_cmpx_ne_u16_e32 0x80, v48
	s_cbranch_execz .LBB300_226
; %bb.221:                              ;   in Loop: Header=BB300_11 Depth=1
	v_bfe_u32 v49, v9, 16, 7
	v_mov_b32_e32 v47, 0x7c01
	s_mov_b32 s35, exec_lo
	s_delay_alu instid0(VALU_DEP_2)
	v_cmpx_ne_u32_e32 0x7f, v49
	s_cbranch_execz .LBB300_225
; %bb.222:                              ;   in Loop: Header=BB300_11 Depth=1
	v_and_b32_e32 v47, 7, v1
	v_lshrrev_b32_e32 v48, 3, v49
	s_mov_b32 s36, exec_lo
	v_cmpx_gt_u32_e32 8, v49
; %bb.223:                              ;   in Loop: Header=BB300_11 Depth=1
	s_delay_alu instid0(VALU_DEP_3) | instskip(NEXT) | instid1(VALU_DEP_1)
	v_clz_i32_u32_e32 v47, v47
	v_min_u32_e32 v49, 32, v47
	s_delay_alu instid0(VALU_DEP_1) | instskip(NEXT) | instid1(VALU_DEP_1)
	v_subrev_nc_u32_e32 v47, 28, v49
	v_lshlrev_b64_e32 v[47:48], v47, v[1:2]
	v_sub_nc_u32_e32 v48, 29, v49
	s_delay_alu instid0(VALU_DEP_2)
	v_and_b32_e32 v47, 7, v47
; %bb.224:                              ;   in Loop: Header=BB300_11 Depth=1
	s_or_b32 exec_lo, exec_lo, s36
	v_lshlrev_b32_e32 v1, 8, v1
	s_delay_alu instid0(VALU_DEP_3) | instskip(NEXT) | instid1(VALU_DEP_3)
	v_lshl_add_u32 v48, v48, 10, 0x2000
	v_lshlrev_b32_e32 v47, 7, v47
	s_delay_alu instid0(VALU_DEP_3) | instskip(NEXT) | instid1(VALU_DEP_3)
	v_and_b32_e32 v1, 0x8000, v1
	v_and_b32_e32 v48, 0xfc00, v48
	s_delay_alu instid0(VALU_DEP_1)
	v_or3_b32 v47, v1, v48, v47
.LBB300_225:                            ;   in Loop: Header=BB300_11 Depth=1
	s_wait_alu 0xfffe
	s_or_b32 exec_lo, exec_lo, s35
.LBB300_226:                            ;   in Loop: Header=BB300_11 Depth=1
	s_wait_alu 0xfffe
	s_or_b32 exec_lo, exec_lo, s34
.LBB300_227:                            ;   in Loop: Header=BB300_11 Depth=1
	s_wait_alu 0xfffe
	s_or_b32 exec_lo, exec_lo, s4
	v_dual_mov_b32 v48, 0 :: v_dual_mov_b32 v49, 0
	s_mov_b32 s4, exec_lo
	v_cmpx_lt_u32_e32 0xffffff, v9
	s_cbranch_execz .LBB300_235
; %bb.228:                              ;   in Loop: Header=BB300_11 Depth=1
	v_lshrrev_b32_e32 v1, 24, v9
	v_bfrev_b32_e32 v49, 1
	s_mov_b32 s34, exec_lo
	s_delay_alu instid0(VALU_DEP_2)
	v_cmpx_ne_u32_e32 0x80, v1
	s_cbranch_execz .LBB300_234
; %bb.229:                              ;   in Loop: Header=BB300_11 Depth=1
	v_and_b32_e32 v51, 0x7f, v1
	v_mov_b32_e32 v49, 0x7c010000
	s_mov_b32 s35, exec_lo
	s_delay_alu instid0(VALU_DEP_2)
	v_cmpx_ne_u32_e32 0x7f, v51
	s_cbranch_execz .LBB300_233
; %bb.230:                              ;   in Loop: Header=BB300_11 Depth=1
	v_and_b32_e32 v49, 7, v1
	v_lshrrev_b32_e32 v50, 3, v51
	s_mov_b32 s36, exec_lo
	v_cmpx_gt_u32_e32 8, v51
; %bb.231:                              ;   in Loop: Header=BB300_11 Depth=1
	s_delay_alu instid0(VALU_DEP_3) | instskip(NEXT) | instid1(VALU_DEP_1)
	v_clz_i32_u32_e32 v49, v49
	v_min_u32_e32 v51, 32, v49
	s_delay_alu instid0(VALU_DEP_1) | instskip(NEXT) | instid1(VALU_DEP_1)
	v_subrev_nc_u32_e32 v49, 28, v51
	v_lshlrev_b64_e32 v[49:50], v49, v[1:2]
	v_sub_nc_u32_e32 v50, 29, v51
	s_delay_alu instid0(VALU_DEP_2)
	v_and_b32_e32 v49, 7, v49
; %bb.232:                              ;   in Loop: Header=BB300_11 Depth=1
	s_or_b32 exec_lo, exec_lo, s36
	v_lshlrev_b32_e32 v1, 8, v1
	s_delay_alu instid0(VALU_DEP_3) | instskip(NEXT) | instid1(VALU_DEP_3)
	v_lshl_add_u32 v50, v50, 10, 0x2000
	v_lshlrev_b32_e32 v49, 23, v49
	s_delay_alu instid0(VALU_DEP_2) | instskip(NEXT) | instid1(VALU_DEP_1)
	v_and_or_b32 v1, 0x8000, v1, v50
	v_lshl_or_b32 v49, v1, 16, v49
.LBB300_233:                            ;   in Loop: Header=BB300_11 Depth=1
	s_wait_alu 0xfffe
	s_or_b32 exec_lo, exec_lo, s35
.LBB300_234:                            ;   in Loop: Header=BB300_11 Depth=1
	s_wait_alu 0xfffe
	s_or_b32 exec_lo, exec_lo, s34
.LBB300_235:                            ;   in Loop: Header=BB300_11 Depth=1
	s_wait_alu 0xfffe
	s_or_b32 exec_lo, exec_lo, s4
	v_dual_mov_b32 v1, v10 :: v_dual_and_b32 v50, 0xff, v10
	s_mov_b32 s4, exec_lo
	s_delay_alu instid0(VALU_DEP_1)
	v_cmpx_ne_u16_e32 0, v50
	s_cbranch_execz .LBB300_243
; %bb.236:                              ;   in Loop: Header=BB300_11 Depth=1
	v_mov_b32_e32 v48, 0x8000
	s_mov_b32 s34, exec_lo
	v_cmpx_ne_u16_e32 0x80, v50
	s_cbranch_execz .LBB300_242
; %bb.237:                              ;   in Loop: Header=BB300_11 Depth=1
	v_and_b32_e32 v51, 0x7f, v10
	v_mov_b32_e32 v48, 0x7c01
	s_mov_b32 s35, exec_lo
	s_delay_alu instid0(VALU_DEP_2)
	v_cmpx_ne_u32_e32 0x7f, v51
	s_cbranch_execz .LBB300_241
; %bb.238:                              ;   in Loop: Header=BB300_11 Depth=1
	v_and_b32_e32 v48, 7, v10
	v_lshrrev_b32_e32 v50, 3, v51
	s_mov_b32 s36, exec_lo
	v_cmpx_gt_u32_e32 8, v51
; %bb.239:                              ;   in Loop: Header=BB300_11 Depth=1
	s_delay_alu instid0(VALU_DEP_3) | instskip(NEXT) | instid1(VALU_DEP_1)
	v_clz_i32_u32_e32 v48, v48
	v_min_u32_e32 v48, 32, v48
	s_delay_alu instid0(VALU_DEP_1) | instskip(NEXT) | instid1(VALU_DEP_1)
	v_subrev_nc_u32_e32 v50, 28, v48
	v_lshlrev_b64_e32 v[51:52], v50, v[1:2]
	v_sub_nc_u32_e32 v50, 29, v48
	s_delay_alu instid0(VALU_DEP_2)
	v_and_b32_e32 v48, 7, v51
; %bb.240:                              ;   in Loop: Header=BB300_11 Depth=1
	s_or_b32 exec_lo, exec_lo, s36
	v_lshlrev_b32_e32 v51, 8, v10
	s_delay_alu instid0(VALU_DEP_3) | instskip(NEXT) | instid1(VALU_DEP_3)
	v_lshl_add_u32 v50, v50, 10, 0x2000
	v_lshlrev_b32_e32 v48, 7, v48
	s_delay_alu instid0(VALU_DEP_3) | instskip(NEXT) | instid1(VALU_DEP_3)
	v_and_b32_e32 v51, 0x8000, v51
	v_and_b32_e32 v50, 0xfc00, v50
	s_delay_alu instid0(VALU_DEP_1)
	v_or3_b32 v48, v51, v50, v48
.LBB300_241:                            ;   in Loop: Header=BB300_11 Depth=1
	s_wait_alu 0xfffe
	s_or_b32 exec_lo, exec_lo, s35
.LBB300_242:                            ;   in Loop: Header=BB300_11 Depth=1
	s_wait_alu 0xfffe
	s_or_b32 exec_lo, exec_lo, s34
.LBB300_243:                            ;   in Loop: Header=BB300_11 Depth=1
	s_wait_alu 0xfffe
	s_or_b32 exec_lo, exec_lo, s4
	v_lshrrev_b16 v1, 8, v1
	v_dual_mov_b32 v52, 0 :: v_dual_mov_b32 v51, 0
	s_mov_b32 s4, exec_lo
	s_delay_alu instid0(VALU_DEP_2)
	v_cmpx_ne_u16_e32 0, v1
	s_cbranch_execz .LBB300_251
; %bb.244:                              ;   in Loop: Header=BB300_11 Depth=1
	v_bfrev_b32_e32 v51, 1
	s_mov_b32 s34, exec_lo
	v_cmpx_ne_u16_e32 0x80, v1
	s_cbranch_execz .LBB300_250
; %bb.245:                              ;   in Loop: Header=BB300_11 Depth=1
	v_and_b32_e32 v50, 0xffff, v1
	v_mov_b32_e32 v51, 0x7c010000
	s_mov_b32 s35, exec_lo
	s_delay_alu instid0(VALU_DEP_2) | instskip(NEXT) | instid1(VALU_DEP_1)
	v_and_b32_e32 v54, 0x7f, v50
	v_cmpx_ne_u32_e32 0x7f, v54
	s_cbranch_execz .LBB300_249
; %bb.246:                              ;   in Loop: Header=BB300_11 Depth=1
	v_and_b32_e32 v51, 7, v50
	v_lshrrev_b32_e32 v53, 3, v54
	s_mov_b32 s36, exec_lo
	v_cmpx_gt_u32_e32 8, v54
; %bb.247:                              ;   in Loop: Header=BB300_11 Depth=1
	s_delay_alu instid0(VALU_DEP_3) | instskip(NEXT) | instid1(VALU_DEP_1)
	v_clz_i32_u32_e32 v51, v51
	v_min_u32_e32 v51, 32, v51
	s_delay_alu instid0(VALU_DEP_1) | instskip(NEXT) | instid1(VALU_DEP_1)
	v_subrev_nc_u32_e32 v53, 28, v51
	v_lshlrev_b64_e32 v[54:55], v53, v[1:2]
	v_sub_nc_u32_e32 v53, 29, v51
	s_delay_alu instid0(VALU_DEP_2)
	v_and_b32_e32 v51, 7, v54
; %bb.248:                              ;   in Loop: Header=BB300_11 Depth=1
	s_or_b32 exec_lo, exec_lo, s36
	v_lshlrev_b32_e32 v1, 8, v50
	s_delay_alu instid0(VALU_DEP_3) | instskip(NEXT) | instid1(VALU_DEP_1)
	v_lshl_add_u32 v50, v53, 10, 0x2000
	v_and_or_b32 v1, 0x8000, v1, v50
	v_lshlrev_b32_e32 v50, 23, v51
	s_delay_alu instid0(VALU_DEP_1)
	v_lshl_or_b32 v51, v1, 16, v50
.LBB300_249:                            ;   in Loop: Header=BB300_11 Depth=1
	s_wait_alu 0xfffe
	s_or_b32 exec_lo, exec_lo, s35
.LBB300_250:                            ;   in Loop: Header=BB300_11 Depth=1
	s_wait_alu 0xfffe
	s_or_b32 exec_lo, exec_lo, s34
.LBB300_251:                            ;   in Loop: Header=BB300_11 Depth=1
	s_wait_alu 0xfffe
	s_or_b32 exec_lo, exec_lo, s4
	v_lshrrev_b32_e32 v1, 16, v10
	s_mov_b32 s4, exec_lo
	s_delay_alu instid0(VALU_DEP_1) | instskip(NEXT) | instid1(VALU_DEP_1)
	v_and_b32_e32 v50, 0xff, v1
	v_cmpx_ne_u16_e32 0, v50
	s_cbranch_execz .LBB300_259
; %bb.252:                              ;   in Loop: Header=BB300_11 Depth=1
	v_mov_b32_e32 v52, 0x8000
	s_mov_b32 s34, exec_lo
	v_cmpx_ne_u16_e32 0x80, v50
	s_cbranch_execz .LBB300_258
; %bb.253:                              ;   in Loop: Header=BB300_11 Depth=1
	v_bfe_u32 v53, v10, 16, 7
	v_mov_b32_e32 v52, 0x7c01
	s_mov_b32 s35, exec_lo
	s_delay_alu instid0(VALU_DEP_2)
	v_cmpx_ne_u32_e32 0x7f, v53
	s_cbranch_execz .LBB300_257
; %bb.254:                              ;   in Loop: Header=BB300_11 Depth=1
	v_and_b32_e32 v50, 7, v1
	v_lshrrev_b32_e32 v52, 3, v53
	s_mov_b32 s36, exec_lo
	v_cmpx_gt_u32_e32 8, v53
; %bb.255:                              ;   in Loop: Header=BB300_11 Depth=1
	s_delay_alu instid0(VALU_DEP_3) | instskip(NEXT) | instid1(VALU_DEP_1)
	v_clz_i32_u32_e32 v50, v50
	v_min_u32_e32 v50, 32, v50
	s_delay_alu instid0(VALU_DEP_1) | instskip(NEXT) | instid1(VALU_DEP_1)
	v_subrev_nc_u32_e32 v52, 28, v50
	v_lshlrev_b64_e32 v[53:54], v52, v[1:2]
	v_sub_nc_u32_e32 v52, 29, v50
	s_delay_alu instid0(VALU_DEP_2)
	v_and_b32_e32 v50, 7, v53
; %bb.256:                              ;   in Loop: Header=BB300_11 Depth=1
	s_or_b32 exec_lo, exec_lo, s36
	v_lshlrev_b32_e32 v1, 8, v1
	s_delay_alu instid0(VALU_DEP_3) | instskip(NEXT) | instid1(VALU_DEP_3)
	v_lshl_add_u32 v52, v52, 10, 0x2000
	v_lshlrev_b32_e32 v50, 7, v50
	s_delay_alu instid0(VALU_DEP_3) | instskip(NEXT) | instid1(VALU_DEP_3)
	v_and_b32_e32 v1, 0x8000, v1
	v_and_b32_e32 v52, 0xfc00, v52
	s_delay_alu instid0(VALU_DEP_1)
	v_or3_b32 v52, v1, v52, v50
.LBB300_257:                            ;   in Loop: Header=BB300_11 Depth=1
	s_wait_alu 0xfffe
	s_or_b32 exec_lo, exec_lo, s35
.LBB300_258:                            ;   in Loop: Header=BB300_11 Depth=1
	s_wait_alu 0xfffe
	s_or_b32 exec_lo, exec_lo, s34
.LBB300_259:                            ;   in Loop: Header=BB300_11 Depth=1
	s_wait_alu 0xfffe
	s_or_b32 exec_lo, exec_lo, s4
	v_dual_mov_b32 v50, 0 :: v_dual_mov_b32 v55, 0
	s_mov_b32 s4, exec_lo
	v_cmpx_lt_u64_e64 s[6:7], v[9:10]
	s_cbranch_execz .LBB300_267
; %bb.260:                              ;   in Loop: Header=BB300_11 Depth=1
	v_lshrrev_b32_e32 v1, 24, v10
	v_bfrev_b32_e32 v55, 1
	s_mov_b32 s34, exec_lo
	s_delay_alu instid0(VALU_DEP_2)
	v_cmpx_ne_u32_e32 0x80, v1
	s_cbranch_execz .LBB300_266
; %bb.261:                              ;   in Loop: Header=BB300_11 Depth=1
	v_and_b32_e32 v53, 0x7f, v1
	v_mov_b32_e32 v55, 0x7c010000
	s_mov_b32 s35, exec_lo
	s_delay_alu instid0(VALU_DEP_2)
	v_cmpx_ne_u32_e32 0x7f, v53
	s_cbranch_execz .LBB300_265
; %bb.262:                              ;   in Loop: Header=BB300_11 Depth=1
	v_and_b32_e32 v9, 7, v1
	v_lshrrev_b32_e32 v10, 3, v53
	s_mov_b32 s36, exec_lo
	v_cmpx_gt_u32_e32 8, v53
; %bb.263:                              ;   in Loop: Header=BB300_11 Depth=1
	s_delay_alu instid0(VALU_DEP_3) | instskip(NEXT) | instid1(VALU_DEP_1)
	v_clz_i32_u32_e32 v9, v9
	v_min_u32_e32 v53, 32, v9
	s_delay_alu instid0(VALU_DEP_1) | instskip(NEXT) | instid1(VALU_DEP_1)
	v_subrev_nc_u32_e32 v9, 28, v53
	v_lshlrev_b64_e32 v[9:10], v9, v[1:2]
	v_sub_nc_u32_e32 v10, 29, v53
	s_delay_alu instid0(VALU_DEP_2)
	v_and_b32_e32 v9, 7, v9
; %bb.264:                              ;   in Loop: Header=BB300_11 Depth=1
	s_or_b32 exec_lo, exec_lo, s36
	v_lshlrev_b32_e32 v1, 8, v1
	s_delay_alu instid0(VALU_DEP_3) | instskip(NEXT) | instid1(VALU_DEP_3)
	v_lshl_add_u32 v10, v10, 10, 0x2000
	v_lshlrev_b32_e32 v9, 23, v9
	s_delay_alu instid0(VALU_DEP_2) | instskip(NEXT) | instid1(VALU_DEP_1)
	v_and_or_b32 v1, 0x8000, v1, v10
	v_lshl_or_b32 v55, v1, 16, v9
.LBB300_265:                            ;   in Loop: Header=BB300_11 Depth=1
	s_wait_alu 0xfffe
	s_or_b32 exec_lo, exec_lo, s35
.LBB300_266:                            ;   in Loop: Header=BB300_11 Depth=1
	s_wait_alu 0xfffe
	s_or_b32 exec_lo, exec_lo, s34
.LBB300_267:                            ;   in Loop: Header=BB300_11 Depth=1
	s_wait_alu 0xfffe
	s_or_b32 exec_lo, exec_lo, s4
	global_load_b64 v[9:10], v[7:8], off offset:1024
	s_mov_b32 s4, exec_lo
	s_wait_loadcnt 0x0
	v_and_b32_e32 v1, 0xff, v9
	s_delay_alu instid0(VALU_DEP_1)
	v_cmpx_ne_u16_e32 0, v1
	s_cbranch_execz .LBB300_275
; %bb.268:                              ;   in Loop: Header=BB300_11 Depth=1
	v_mov_b32_e32 v50, 0x8000
	s_mov_b32 s34, exec_lo
	v_cmpx_ne_u16_e32 0x80, v1
	s_cbranch_execz .LBB300_274
; %bb.269:                              ;   in Loop: Header=BB300_11 Depth=1
	v_and_b32_e32 v53, 0x7f, v9
	v_mov_b32_e32 v50, 0x7c01
	s_mov_b32 s35, exec_lo
	s_delay_alu instid0(VALU_DEP_2)
	v_cmpx_ne_u32_e32 0x7f, v53
	s_cbranch_execz .LBB300_273
; %bb.270:                              ;   in Loop: Header=BB300_11 Depth=1
	v_and_b32_e32 v1, 7, v9
	v_lshrrev_b32_e32 v50, 3, v53
	s_mov_b32 s36, exec_lo
	v_cmpx_gt_u32_e32 8, v53
; %bb.271:                              ;   in Loop: Header=BB300_11 Depth=1
	s_delay_alu instid0(VALU_DEP_3) | instskip(NEXT) | instid1(VALU_DEP_1)
	v_clz_i32_u32_e32 v1, v1
	v_min_u32_e32 v1, 32, v1
	s_delay_alu instid0(VALU_DEP_1) | instskip(NEXT) | instid1(VALU_DEP_1)
	v_subrev_nc_u32_e32 v50, 28, v1
	v_lshlrev_b64_e32 v[53:54], v50, v[9:10]
	v_sub_nc_u32_e32 v50, 29, v1
	s_delay_alu instid0(VALU_DEP_2)
	v_and_b32_e32 v1, 7, v53
; %bb.272:                              ;   in Loop: Header=BB300_11 Depth=1
	s_or_b32 exec_lo, exec_lo, s36
	v_lshlrev_b32_e32 v53, 8, v9
	s_delay_alu instid0(VALU_DEP_3) | instskip(NEXT) | instid1(VALU_DEP_3)
	v_lshl_add_u32 v50, v50, 10, 0x2000
	v_lshlrev_b32_e32 v1, 7, v1
	s_delay_alu instid0(VALU_DEP_3) | instskip(NEXT) | instid1(VALU_DEP_3)
	v_and_b32_e32 v53, 0x8000, v53
	v_and_b32_e32 v50, 0xfc00, v50
	s_delay_alu instid0(VALU_DEP_1)
	v_or3_b32 v50, v53, v50, v1
.LBB300_273:                            ;   in Loop: Header=BB300_11 Depth=1
	s_wait_alu 0xfffe
	s_or_b32 exec_lo, exec_lo, s35
.LBB300_274:                            ;   in Loop: Header=BB300_11 Depth=1
	s_wait_alu 0xfffe
	s_or_b32 exec_lo, exec_lo, s34
.LBB300_275:                            ;   in Loop: Header=BB300_11 Depth=1
	s_wait_alu 0xfffe
	s_or_b32 exec_lo, exec_lo, s4
	v_lshrrev_b16 v1, 8, v9
	v_dual_mov_b32 v54, 0 :: v_dual_mov_b32 v53, 0
	s_mov_b32 s4, exec_lo
	s_delay_alu instid0(VALU_DEP_2)
	v_cmpx_ne_u16_e32 0, v1
	s_cbranch_execz .LBB300_283
; %bb.276:                              ;   in Loop: Header=BB300_11 Depth=1
	v_bfrev_b32_e32 v53, 1
	s_mov_b32 s34, exec_lo
	v_cmpx_ne_u16_e32 0x80, v1
	s_cbranch_execz .LBB300_282
; %bb.277:                              ;   in Loop: Header=BB300_11 Depth=1
	v_and_b32_e32 v56, 0xffff, v1
	v_mov_b32_e32 v53, 0x7c010000
	s_mov_b32 s35, exec_lo
	s_delay_alu instid0(VALU_DEP_2) | instskip(NEXT) | instid1(VALU_DEP_1)
	v_and_b32_e32 v58, 0x7f, v56
	v_cmpx_ne_u32_e32 0x7f, v58
	s_cbranch_execz .LBB300_281
; %bb.278:                              ;   in Loop: Header=BB300_11 Depth=1
	v_and_b32_e32 v53, 7, v56
	v_lshrrev_b32_e32 v57, 3, v58
	s_mov_b32 s36, exec_lo
	v_cmpx_gt_u32_e32 8, v58
; %bb.279:                              ;   in Loop: Header=BB300_11 Depth=1
	s_delay_alu instid0(VALU_DEP_3) | instskip(NEXT) | instid1(VALU_DEP_1)
	v_clz_i32_u32_e32 v53, v53
	v_min_u32_e32 v53, 32, v53
	s_delay_alu instid0(VALU_DEP_1) | instskip(NEXT) | instid1(VALU_DEP_1)
	v_subrev_nc_u32_e32 v57, 28, v53
	v_lshlrev_b64_e32 v[58:59], v57, v[1:2]
	v_sub_nc_u32_e32 v57, 29, v53
	s_delay_alu instid0(VALU_DEP_2)
	v_and_b32_e32 v53, 7, v58
; %bb.280:                              ;   in Loop: Header=BB300_11 Depth=1
	s_or_b32 exec_lo, exec_lo, s36
	v_lshlrev_b32_e32 v1, 8, v56
	s_delay_alu instid0(VALU_DEP_3) | instskip(NEXT) | instid1(VALU_DEP_3)
	v_lshl_add_u32 v56, v57, 10, 0x2000
	v_lshlrev_b32_e32 v53, 23, v53
	s_delay_alu instid0(VALU_DEP_2) | instskip(NEXT) | instid1(VALU_DEP_1)
	v_and_or_b32 v1, 0x8000, v1, v56
	v_lshl_or_b32 v53, v1, 16, v53
.LBB300_281:                            ;   in Loop: Header=BB300_11 Depth=1
	s_wait_alu 0xfffe
	s_or_b32 exec_lo, exec_lo, s35
.LBB300_282:                            ;   in Loop: Header=BB300_11 Depth=1
	s_wait_alu 0xfffe
	s_or_b32 exec_lo, exec_lo, s34
.LBB300_283:                            ;   in Loop: Header=BB300_11 Depth=1
	s_wait_alu 0xfffe
	s_or_b32 exec_lo, exec_lo, s4
	v_lshrrev_b32_e32 v1, 16, v9
	s_mov_b32 s4, exec_lo
	s_delay_alu instid0(VALU_DEP_1) | instskip(NEXT) | instid1(VALU_DEP_1)
	v_and_b32_e32 v56, 0xff, v1
	v_cmpx_ne_u16_e32 0, v56
	s_cbranch_execz .LBB300_291
; %bb.284:                              ;   in Loop: Header=BB300_11 Depth=1
	v_mov_b32_e32 v54, 0x8000
	s_mov_b32 s34, exec_lo
	v_cmpx_ne_u16_e32 0x80, v56
	s_cbranch_execz .LBB300_290
; %bb.285:                              ;   in Loop: Header=BB300_11 Depth=1
	v_bfe_u32 v57, v9, 16, 7
	v_mov_b32_e32 v54, 0x7c01
	s_mov_b32 s35, exec_lo
	s_delay_alu instid0(VALU_DEP_2)
	v_cmpx_ne_u32_e32 0x7f, v57
	s_cbranch_execz .LBB300_289
; %bb.286:                              ;   in Loop: Header=BB300_11 Depth=1
	v_and_b32_e32 v54, 7, v1
	v_lshrrev_b32_e32 v56, 3, v57
	s_mov_b32 s36, exec_lo
	v_cmpx_gt_u32_e32 8, v57
; %bb.287:                              ;   in Loop: Header=BB300_11 Depth=1
	s_delay_alu instid0(VALU_DEP_3) | instskip(NEXT) | instid1(VALU_DEP_1)
	v_clz_i32_u32_e32 v54, v54
	v_min_u32_e32 v54, 32, v54
	s_delay_alu instid0(VALU_DEP_1) | instskip(NEXT) | instid1(VALU_DEP_1)
	v_subrev_nc_u32_e32 v56, 28, v54
	v_lshlrev_b64_e32 v[57:58], v56, v[1:2]
	v_sub_nc_u32_e32 v56, 29, v54
	s_delay_alu instid0(VALU_DEP_2)
	v_and_b32_e32 v54, 7, v57
; %bb.288:                              ;   in Loop: Header=BB300_11 Depth=1
	s_or_b32 exec_lo, exec_lo, s36
	v_lshlrev_b32_e32 v1, 8, v1
	s_delay_alu instid0(VALU_DEP_3) | instskip(NEXT) | instid1(VALU_DEP_3)
	v_lshl_add_u32 v56, v56, 10, 0x2000
	v_lshlrev_b32_e32 v54, 7, v54
	s_delay_alu instid0(VALU_DEP_3) | instskip(NEXT) | instid1(VALU_DEP_3)
	v_and_b32_e32 v1, 0x8000, v1
	v_and_b32_e32 v56, 0xfc00, v56
	s_delay_alu instid0(VALU_DEP_1)
	v_or3_b32 v54, v1, v56, v54
.LBB300_289:                            ;   in Loop: Header=BB300_11 Depth=1
	s_wait_alu 0xfffe
	s_or_b32 exec_lo, exec_lo, s35
.LBB300_290:                            ;   in Loop: Header=BB300_11 Depth=1
	s_wait_alu 0xfffe
	s_or_b32 exec_lo, exec_lo, s34
.LBB300_291:                            ;   in Loop: Header=BB300_11 Depth=1
	s_wait_alu 0xfffe
	s_or_b32 exec_lo, exec_lo, s4
	v_dual_mov_b32 v56, 0 :: v_dual_mov_b32 v57, 0
	s_mov_b32 s4, exec_lo
	v_cmpx_lt_u32_e32 0xffffff, v9
	s_cbranch_execz .LBB300_299
; %bb.292:                              ;   in Loop: Header=BB300_11 Depth=1
	v_lshrrev_b32_e32 v1, 24, v9
	v_bfrev_b32_e32 v57, 1
	s_mov_b32 s34, exec_lo
	s_delay_alu instid0(VALU_DEP_2)
	v_cmpx_ne_u32_e32 0x80, v1
	s_cbranch_execz .LBB300_298
; %bb.293:                              ;   in Loop: Header=BB300_11 Depth=1
	v_and_b32_e32 v59, 0x7f, v1
	v_mov_b32_e32 v57, 0x7c010000
	s_mov_b32 s35, exec_lo
	s_delay_alu instid0(VALU_DEP_2)
	v_cmpx_ne_u32_e32 0x7f, v59
	s_cbranch_execz .LBB300_297
; %bb.294:                              ;   in Loop: Header=BB300_11 Depth=1
	v_and_b32_e32 v57, 7, v1
	v_lshrrev_b32_e32 v58, 3, v59
	s_mov_b32 s36, exec_lo
	v_cmpx_gt_u32_e32 8, v59
; %bb.295:                              ;   in Loop: Header=BB300_11 Depth=1
	s_delay_alu instid0(VALU_DEP_3) | instskip(NEXT) | instid1(VALU_DEP_1)
	v_clz_i32_u32_e32 v57, v57
	v_min_u32_e32 v59, 32, v57
	s_delay_alu instid0(VALU_DEP_1) | instskip(NEXT) | instid1(VALU_DEP_1)
	v_subrev_nc_u32_e32 v57, 28, v59
	v_lshlrev_b64_e32 v[57:58], v57, v[1:2]
	v_sub_nc_u32_e32 v58, 29, v59
	s_delay_alu instid0(VALU_DEP_2)
	v_and_b32_e32 v57, 7, v57
; %bb.296:                              ;   in Loop: Header=BB300_11 Depth=1
	s_or_b32 exec_lo, exec_lo, s36
	v_lshlrev_b32_e32 v1, 8, v1
	s_delay_alu instid0(VALU_DEP_3) | instskip(NEXT) | instid1(VALU_DEP_3)
	v_lshl_add_u32 v58, v58, 10, 0x2000
	v_lshlrev_b32_e32 v57, 23, v57
	s_delay_alu instid0(VALU_DEP_2) | instskip(NEXT) | instid1(VALU_DEP_1)
	v_and_or_b32 v1, 0x8000, v1, v58
	v_lshl_or_b32 v57, v1, 16, v57
.LBB300_297:                            ;   in Loop: Header=BB300_11 Depth=1
	s_wait_alu 0xfffe
	s_or_b32 exec_lo, exec_lo, s35
.LBB300_298:                            ;   in Loop: Header=BB300_11 Depth=1
	s_wait_alu 0xfffe
	s_or_b32 exec_lo, exec_lo, s34
.LBB300_299:                            ;   in Loop: Header=BB300_11 Depth=1
	s_wait_alu 0xfffe
	s_or_b32 exec_lo, exec_lo, s4
	v_dual_mov_b32 v1, v10 :: v_dual_and_b32 v58, 0xff, v10
	s_mov_b32 s4, exec_lo
	s_delay_alu instid0(VALU_DEP_1)
	v_cmpx_ne_u16_e32 0, v58
	s_cbranch_execz .LBB300_307
; %bb.300:                              ;   in Loop: Header=BB300_11 Depth=1
	v_mov_b32_e32 v56, 0x8000
	s_mov_b32 s34, exec_lo
	v_cmpx_ne_u16_e32 0x80, v58
	s_cbranch_execz .LBB300_306
; %bb.301:                              ;   in Loop: Header=BB300_11 Depth=1
	v_and_b32_e32 v59, 0x7f, v10
	v_mov_b32_e32 v56, 0x7c01
	s_mov_b32 s35, exec_lo
	s_delay_alu instid0(VALU_DEP_2)
	v_cmpx_ne_u32_e32 0x7f, v59
	s_cbranch_execz .LBB300_305
; %bb.302:                              ;   in Loop: Header=BB300_11 Depth=1
	v_and_b32_e32 v56, 7, v10
	v_lshrrev_b32_e32 v58, 3, v59
	s_mov_b32 s36, exec_lo
	v_cmpx_gt_u32_e32 8, v59
; %bb.303:                              ;   in Loop: Header=BB300_11 Depth=1
	s_delay_alu instid0(VALU_DEP_3) | instskip(NEXT) | instid1(VALU_DEP_1)
	v_clz_i32_u32_e32 v56, v56
	v_min_u32_e32 v56, 32, v56
	s_delay_alu instid0(VALU_DEP_1) | instskip(NEXT) | instid1(VALU_DEP_1)
	v_subrev_nc_u32_e32 v58, 28, v56
	v_lshlrev_b64_e32 v[59:60], v58, v[1:2]
	v_sub_nc_u32_e32 v58, 29, v56
	s_delay_alu instid0(VALU_DEP_2)
	v_and_b32_e32 v56, 7, v59
; %bb.304:                              ;   in Loop: Header=BB300_11 Depth=1
	s_or_b32 exec_lo, exec_lo, s36
	v_lshlrev_b32_e32 v59, 8, v10
	s_delay_alu instid0(VALU_DEP_3) | instskip(NEXT) | instid1(VALU_DEP_3)
	v_lshl_add_u32 v58, v58, 10, 0x2000
	v_lshlrev_b32_e32 v56, 7, v56
	s_delay_alu instid0(VALU_DEP_3) | instskip(NEXT) | instid1(VALU_DEP_3)
	v_and_b32_e32 v59, 0x8000, v59
	v_and_b32_e32 v58, 0xfc00, v58
	s_delay_alu instid0(VALU_DEP_1)
	v_or3_b32 v56, v59, v58, v56
.LBB300_305:                            ;   in Loop: Header=BB300_11 Depth=1
	s_wait_alu 0xfffe
	s_or_b32 exec_lo, exec_lo, s35
.LBB300_306:                            ;   in Loop: Header=BB300_11 Depth=1
	s_wait_alu 0xfffe
	s_or_b32 exec_lo, exec_lo, s34
.LBB300_307:                            ;   in Loop: Header=BB300_11 Depth=1
	s_wait_alu 0xfffe
	s_or_b32 exec_lo, exec_lo, s4
	v_lshrrev_b16 v1, 8, v1
	v_dual_mov_b32 v60, 0 :: v_dual_mov_b32 v59, 0
	s_mov_b32 s4, exec_lo
	s_delay_alu instid0(VALU_DEP_2)
	v_cmpx_ne_u16_e32 0, v1
	s_cbranch_execz .LBB300_315
; %bb.308:                              ;   in Loop: Header=BB300_11 Depth=1
	v_bfrev_b32_e32 v59, 1
	s_mov_b32 s34, exec_lo
	v_cmpx_ne_u16_e32 0x80, v1
	s_cbranch_execz .LBB300_314
; %bb.309:                              ;   in Loop: Header=BB300_11 Depth=1
	v_and_b32_e32 v58, 0xffff, v1
	v_mov_b32_e32 v59, 0x7c010000
	s_mov_b32 s35, exec_lo
	s_delay_alu instid0(VALU_DEP_2) | instskip(NEXT) | instid1(VALU_DEP_1)
	v_and_b32_e32 v62, 0x7f, v58
	v_cmpx_ne_u32_e32 0x7f, v62
	s_cbranch_execz .LBB300_313
; %bb.310:                              ;   in Loop: Header=BB300_11 Depth=1
	v_and_b32_e32 v59, 7, v58
	v_lshrrev_b32_e32 v61, 3, v62
	s_mov_b32 s36, exec_lo
	v_cmpx_gt_u32_e32 8, v62
; %bb.311:                              ;   in Loop: Header=BB300_11 Depth=1
	s_delay_alu instid0(VALU_DEP_3) | instskip(NEXT) | instid1(VALU_DEP_1)
	v_clz_i32_u32_e32 v59, v59
	v_min_u32_e32 v59, 32, v59
	s_delay_alu instid0(VALU_DEP_1) | instskip(NEXT) | instid1(VALU_DEP_1)
	v_subrev_nc_u32_e32 v61, 28, v59
	v_lshlrev_b64_e32 v[62:63], v61, v[1:2]
	v_sub_nc_u32_e32 v61, 29, v59
	s_delay_alu instid0(VALU_DEP_2)
	v_and_b32_e32 v59, 7, v62
; %bb.312:                              ;   in Loop: Header=BB300_11 Depth=1
	s_or_b32 exec_lo, exec_lo, s36
	v_lshlrev_b32_e32 v1, 8, v58
	s_delay_alu instid0(VALU_DEP_3) | instskip(NEXT) | instid1(VALU_DEP_1)
	v_lshl_add_u32 v58, v61, 10, 0x2000
	v_and_or_b32 v1, 0x8000, v1, v58
	v_lshlrev_b32_e32 v58, 23, v59
	s_delay_alu instid0(VALU_DEP_1)
	v_lshl_or_b32 v59, v1, 16, v58
.LBB300_313:                            ;   in Loop: Header=BB300_11 Depth=1
	s_wait_alu 0xfffe
	s_or_b32 exec_lo, exec_lo, s35
.LBB300_314:                            ;   in Loop: Header=BB300_11 Depth=1
	s_wait_alu 0xfffe
	s_or_b32 exec_lo, exec_lo, s34
.LBB300_315:                            ;   in Loop: Header=BB300_11 Depth=1
	s_wait_alu 0xfffe
	s_or_b32 exec_lo, exec_lo, s4
	v_lshrrev_b32_e32 v1, 16, v10
	s_mov_b32 s4, exec_lo
	s_delay_alu instid0(VALU_DEP_1) | instskip(NEXT) | instid1(VALU_DEP_1)
	v_and_b32_e32 v58, 0xff, v1
	v_cmpx_ne_u16_e32 0, v58
	s_cbranch_execz .LBB300_323
; %bb.316:                              ;   in Loop: Header=BB300_11 Depth=1
	v_mov_b32_e32 v60, 0x8000
	s_mov_b32 s34, exec_lo
	v_cmpx_ne_u16_e32 0x80, v58
	s_cbranch_execz .LBB300_322
; %bb.317:                              ;   in Loop: Header=BB300_11 Depth=1
	v_bfe_u32 v61, v10, 16, 7
	v_mov_b32_e32 v60, 0x7c01
	s_mov_b32 s35, exec_lo
	s_delay_alu instid0(VALU_DEP_2)
	v_cmpx_ne_u32_e32 0x7f, v61
	s_cbranch_execz .LBB300_321
; %bb.318:                              ;   in Loop: Header=BB300_11 Depth=1
	v_and_b32_e32 v58, 7, v1
	v_lshrrev_b32_e32 v60, 3, v61
	s_mov_b32 s36, exec_lo
	v_cmpx_gt_u32_e32 8, v61
; %bb.319:                              ;   in Loop: Header=BB300_11 Depth=1
	s_delay_alu instid0(VALU_DEP_3) | instskip(NEXT) | instid1(VALU_DEP_1)
	v_clz_i32_u32_e32 v58, v58
	v_min_u32_e32 v58, 32, v58
	s_delay_alu instid0(VALU_DEP_1) | instskip(NEXT) | instid1(VALU_DEP_1)
	v_subrev_nc_u32_e32 v60, 28, v58
	v_lshlrev_b64_e32 v[61:62], v60, v[1:2]
	v_sub_nc_u32_e32 v60, 29, v58
	s_delay_alu instid0(VALU_DEP_2)
	v_and_b32_e32 v58, 7, v61
; %bb.320:                              ;   in Loop: Header=BB300_11 Depth=1
	s_or_b32 exec_lo, exec_lo, s36
	v_lshlrev_b32_e32 v1, 8, v1
	s_delay_alu instid0(VALU_DEP_3) | instskip(NEXT) | instid1(VALU_DEP_3)
	v_lshl_add_u32 v60, v60, 10, 0x2000
	v_lshlrev_b32_e32 v58, 7, v58
	s_delay_alu instid0(VALU_DEP_3) | instskip(NEXT) | instid1(VALU_DEP_3)
	v_and_b32_e32 v1, 0x8000, v1
	v_and_b32_e32 v60, 0xfc00, v60
	s_delay_alu instid0(VALU_DEP_1)
	v_or3_b32 v60, v1, v60, v58
.LBB300_321:                            ;   in Loop: Header=BB300_11 Depth=1
	s_wait_alu 0xfffe
	s_or_b32 exec_lo, exec_lo, s35
.LBB300_322:                            ;   in Loop: Header=BB300_11 Depth=1
	s_wait_alu 0xfffe
	s_or_b32 exec_lo, exec_lo, s34
.LBB300_323:                            ;   in Loop: Header=BB300_11 Depth=1
	s_wait_alu 0xfffe
	s_or_b32 exec_lo, exec_lo, s4
	v_dual_mov_b32 v58, 0 :: v_dual_mov_b32 v63, 0
	s_mov_b32 s4, exec_lo
	v_cmpx_lt_u64_e64 s[6:7], v[9:10]
	s_cbranch_execz .LBB300_331
; %bb.324:                              ;   in Loop: Header=BB300_11 Depth=1
	v_lshrrev_b32_e32 v1, 24, v10
	v_bfrev_b32_e32 v63, 1
	s_mov_b32 s34, exec_lo
	s_delay_alu instid0(VALU_DEP_2)
	v_cmpx_ne_u32_e32 0x80, v1
	s_cbranch_execz .LBB300_330
; %bb.325:                              ;   in Loop: Header=BB300_11 Depth=1
	v_and_b32_e32 v61, 0x7f, v1
	v_mov_b32_e32 v63, 0x7c010000
	s_mov_b32 s35, exec_lo
	s_delay_alu instid0(VALU_DEP_2)
	v_cmpx_ne_u32_e32 0x7f, v61
	s_cbranch_execz .LBB300_329
; %bb.326:                              ;   in Loop: Header=BB300_11 Depth=1
	v_and_b32_e32 v9, 7, v1
	v_lshrrev_b32_e32 v10, 3, v61
	s_mov_b32 s36, exec_lo
	v_cmpx_gt_u32_e32 8, v61
; %bb.327:                              ;   in Loop: Header=BB300_11 Depth=1
	s_delay_alu instid0(VALU_DEP_3) | instskip(NEXT) | instid1(VALU_DEP_1)
	v_clz_i32_u32_e32 v9, v9
	v_min_u32_e32 v61, 32, v9
	s_delay_alu instid0(VALU_DEP_1) | instskip(NEXT) | instid1(VALU_DEP_1)
	v_subrev_nc_u32_e32 v9, 28, v61
	v_lshlrev_b64_e32 v[9:10], v9, v[1:2]
	v_sub_nc_u32_e32 v10, 29, v61
	s_delay_alu instid0(VALU_DEP_2)
	v_and_b32_e32 v9, 7, v9
; %bb.328:                              ;   in Loop: Header=BB300_11 Depth=1
	s_or_b32 exec_lo, exec_lo, s36
	v_lshlrev_b32_e32 v1, 8, v1
	s_delay_alu instid0(VALU_DEP_3) | instskip(NEXT) | instid1(VALU_DEP_3)
	v_lshl_add_u32 v10, v10, 10, 0x2000
	v_lshlrev_b32_e32 v9, 23, v9
	s_delay_alu instid0(VALU_DEP_2) | instskip(NEXT) | instid1(VALU_DEP_1)
	v_and_or_b32 v1, 0x8000, v1, v10
	v_lshl_or_b32 v63, v1, 16, v9
.LBB300_329:                            ;   in Loop: Header=BB300_11 Depth=1
	s_wait_alu 0xfffe
	s_or_b32 exec_lo, exec_lo, s35
.LBB300_330:                            ;   in Loop: Header=BB300_11 Depth=1
	s_wait_alu 0xfffe
	s_or_b32 exec_lo, exec_lo, s34
.LBB300_331:                            ;   in Loop: Header=BB300_11 Depth=1
	s_wait_alu 0xfffe
	s_or_b32 exec_lo, exec_lo, s4
	global_load_b64 v[9:10], v[7:8], off offset:1032
	s_mov_b32 s4, exec_lo
	s_wait_loadcnt 0x0
	v_and_b32_e32 v1, 0xff, v9
	s_delay_alu instid0(VALU_DEP_1)
	v_cmpx_ne_u16_e32 0, v1
	s_cbranch_execz .LBB300_339
; %bb.332:                              ;   in Loop: Header=BB300_11 Depth=1
	v_mov_b32_e32 v58, 0x8000
	s_mov_b32 s34, exec_lo
	v_cmpx_ne_u16_e32 0x80, v1
	s_cbranch_execz .LBB300_338
; %bb.333:                              ;   in Loop: Header=BB300_11 Depth=1
	v_and_b32_e32 v61, 0x7f, v9
	v_mov_b32_e32 v58, 0x7c01
	s_mov_b32 s35, exec_lo
	s_delay_alu instid0(VALU_DEP_2)
	v_cmpx_ne_u32_e32 0x7f, v61
	s_cbranch_execz .LBB300_337
; %bb.334:                              ;   in Loop: Header=BB300_11 Depth=1
	v_and_b32_e32 v1, 7, v9
	v_lshrrev_b32_e32 v58, 3, v61
	s_mov_b32 s36, exec_lo
	v_cmpx_gt_u32_e32 8, v61
; %bb.335:                              ;   in Loop: Header=BB300_11 Depth=1
	s_delay_alu instid0(VALU_DEP_3) | instskip(NEXT) | instid1(VALU_DEP_1)
	v_clz_i32_u32_e32 v1, v1
	v_min_u32_e32 v1, 32, v1
	s_delay_alu instid0(VALU_DEP_1) | instskip(NEXT) | instid1(VALU_DEP_1)
	v_subrev_nc_u32_e32 v58, 28, v1
	v_lshlrev_b64_e32 v[61:62], v58, v[9:10]
	v_sub_nc_u32_e32 v58, 29, v1
	s_delay_alu instid0(VALU_DEP_2)
	v_and_b32_e32 v1, 7, v61
; %bb.336:                              ;   in Loop: Header=BB300_11 Depth=1
	s_or_b32 exec_lo, exec_lo, s36
	v_lshlrev_b32_e32 v61, 8, v9
	s_delay_alu instid0(VALU_DEP_3) | instskip(NEXT) | instid1(VALU_DEP_3)
	v_lshl_add_u32 v58, v58, 10, 0x2000
	v_lshlrev_b32_e32 v1, 7, v1
	s_delay_alu instid0(VALU_DEP_3) | instskip(NEXT) | instid1(VALU_DEP_3)
	v_and_b32_e32 v61, 0x8000, v61
	v_and_b32_e32 v58, 0xfc00, v58
	s_delay_alu instid0(VALU_DEP_1)
	v_or3_b32 v58, v61, v58, v1
.LBB300_337:                            ;   in Loop: Header=BB300_11 Depth=1
	s_wait_alu 0xfffe
	s_or_b32 exec_lo, exec_lo, s35
.LBB300_338:                            ;   in Loop: Header=BB300_11 Depth=1
	s_wait_alu 0xfffe
	s_or_b32 exec_lo, exec_lo, s34
.LBB300_339:                            ;   in Loop: Header=BB300_11 Depth=1
	s_wait_alu 0xfffe
	s_or_b32 exec_lo, exec_lo, s4
	v_lshrrev_b16 v1, 8, v9
	v_dual_mov_b32 v62, 0 :: v_dual_mov_b32 v61, 0
	s_mov_b32 s4, exec_lo
	s_delay_alu instid0(VALU_DEP_2)
	v_cmpx_ne_u16_e32 0, v1
	s_cbranch_execz .LBB300_347
; %bb.340:                              ;   in Loop: Header=BB300_11 Depth=1
	v_bfrev_b32_e32 v61, 1
	s_mov_b32 s34, exec_lo
	v_cmpx_ne_u16_e32 0x80, v1
	s_cbranch_execz .LBB300_346
; %bb.341:                              ;   in Loop: Header=BB300_11 Depth=1
	v_and_b32_e32 v64, 0xffff, v1
	v_mov_b32_e32 v61, 0x7c010000
	s_mov_b32 s35, exec_lo
	s_delay_alu instid0(VALU_DEP_2) | instskip(NEXT) | instid1(VALU_DEP_1)
	v_and_b32_e32 v66, 0x7f, v64
	v_cmpx_ne_u32_e32 0x7f, v66
	s_cbranch_execz .LBB300_345
; %bb.342:                              ;   in Loop: Header=BB300_11 Depth=1
	v_and_b32_e32 v61, 7, v64
	v_lshrrev_b32_e32 v65, 3, v66
	s_mov_b32 s36, exec_lo
	v_cmpx_gt_u32_e32 8, v66
; %bb.343:                              ;   in Loop: Header=BB300_11 Depth=1
	s_delay_alu instid0(VALU_DEP_3) | instskip(NEXT) | instid1(VALU_DEP_1)
	v_clz_i32_u32_e32 v61, v61
	v_min_u32_e32 v61, 32, v61
	s_delay_alu instid0(VALU_DEP_1) | instskip(NEXT) | instid1(VALU_DEP_1)
	v_subrev_nc_u32_e32 v65, 28, v61
	v_lshlrev_b64_e32 v[66:67], v65, v[1:2]
	v_sub_nc_u32_e32 v65, 29, v61
	s_delay_alu instid0(VALU_DEP_2)
	v_and_b32_e32 v61, 7, v66
; %bb.344:                              ;   in Loop: Header=BB300_11 Depth=1
	s_or_b32 exec_lo, exec_lo, s36
	v_lshlrev_b32_e32 v1, 8, v64
	s_delay_alu instid0(VALU_DEP_3) | instskip(NEXT) | instid1(VALU_DEP_3)
	v_lshl_add_u32 v64, v65, 10, 0x2000
	v_lshlrev_b32_e32 v61, 23, v61
	s_delay_alu instid0(VALU_DEP_2) | instskip(NEXT) | instid1(VALU_DEP_1)
	v_and_or_b32 v1, 0x8000, v1, v64
	v_lshl_or_b32 v61, v1, 16, v61
.LBB300_345:                            ;   in Loop: Header=BB300_11 Depth=1
	s_wait_alu 0xfffe
	s_or_b32 exec_lo, exec_lo, s35
.LBB300_346:                            ;   in Loop: Header=BB300_11 Depth=1
	s_wait_alu 0xfffe
	s_or_b32 exec_lo, exec_lo, s34
.LBB300_347:                            ;   in Loop: Header=BB300_11 Depth=1
	s_wait_alu 0xfffe
	s_or_b32 exec_lo, exec_lo, s4
	v_lshrrev_b32_e32 v1, 16, v9
	s_mov_b32 s4, exec_lo
	s_delay_alu instid0(VALU_DEP_1) | instskip(NEXT) | instid1(VALU_DEP_1)
	v_and_b32_e32 v64, 0xff, v1
	v_cmpx_ne_u16_e32 0, v64
	s_cbranch_execz .LBB300_355
; %bb.348:                              ;   in Loop: Header=BB300_11 Depth=1
	v_mov_b32_e32 v62, 0x8000
	s_mov_b32 s34, exec_lo
	v_cmpx_ne_u16_e32 0x80, v64
	s_cbranch_execz .LBB300_354
; %bb.349:                              ;   in Loop: Header=BB300_11 Depth=1
	v_bfe_u32 v65, v9, 16, 7
	v_mov_b32_e32 v62, 0x7c01
	s_mov_b32 s35, exec_lo
	s_delay_alu instid0(VALU_DEP_2)
	v_cmpx_ne_u32_e32 0x7f, v65
	s_cbranch_execz .LBB300_353
; %bb.350:                              ;   in Loop: Header=BB300_11 Depth=1
	v_and_b32_e32 v62, 7, v1
	v_lshrrev_b32_e32 v64, 3, v65
	s_mov_b32 s36, exec_lo
	v_cmpx_gt_u32_e32 8, v65
; %bb.351:                              ;   in Loop: Header=BB300_11 Depth=1
	s_delay_alu instid0(VALU_DEP_3) | instskip(NEXT) | instid1(VALU_DEP_1)
	v_clz_i32_u32_e32 v62, v62
	v_min_u32_e32 v62, 32, v62
	s_delay_alu instid0(VALU_DEP_1) | instskip(NEXT) | instid1(VALU_DEP_1)
	v_subrev_nc_u32_e32 v64, 28, v62
	v_lshlrev_b64_e32 v[65:66], v64, v[1:2]
	v_sub_nc_u32_e32 v64, 29, v62
	s_delay_alu instid0(VALU_DEP_2)
	v_and_b32_e32 v62, 7, v65
; %bb.352:                              ;   in Loop: Header=BB300_11 Depth=1
	s_or_b32 exec_lo, exec_lo, s36
	v_lshlrev_b32_e32 v1, 8, v1
	s_delay_alu instid0(VALU_DEP_3) | instskip(NEXT) | instid1(VALU_DEP_3)
	v_lshl_add_u32 v64, v64, 10, 0x2000
	v_lshlrev_b32_e32 v62, 7, v62
	s_delay_alu instid0(VALU_DEP_3) | instskip(NEXT) | instid1(VALU_DEP_3)
	v_and_b32_e32 v1, 0x8000, v1
	v_and_b32_e32 v64, 0xfc00, v64
	s_delay_alu instid0(VALU_DEP_1)
	v_or3_b32 v62, v1, v64, v62
.LBB300_353:                            ;   in Loop: Header=BB300_11 Depth=1
	s_wait_alu 0xfffe
	s_or_b32 exec_lo, exec_lo, s35
.LBB300_354:                            ;   in Loop: Header=BB300_11 Depth=1
	s_wait_alu 0xfffe
	s_or_b32 exec_lo, exec_lo, s34
.LBB300_355:                            ;   in Loop: Header=BB300_11 Depth=1
	s_wait_alu 0xfffe
	s_or_b32 exec_lo, exec_lo, s4
	v_dual_mov_b32 v64, 0 :: v_dual_mov_b32 v65, 0
	s_mov_b32 s4, exec_lo
	v_cmpx_lt_u32_e32 0xffffff, v9
	s_cbranch_execz .LBB300_363
; %bb.356:                              ;   in Loop: Header=BB300_11 Depth=1
	v_lshrrev_b32_e32 v1, 24, v9
	v_bfrev_b32_e32 v65, 1
	s_mov_b32 s34, exec_lo
	s_delay_alu instid0(VALU_DEP_2)
	v_cmpx_ne_u32_e32 0x80, v1
	s_cbranch_execz .LBB300_362
; %bb.357:                              ;   in Loop: Header=BB300_11 Depth=1
	v_and_b32_e32 v67, 0x7f, v1
	v_mov_b32_e32 v65, 0x7c010000
	s_mov_b32 s35, exec_lo
	s_delay_alu instid0(VALU_DEP_2)
	v_cmpx_ne_u32_e32 0x7f, v67
	s_cbranch_execz .LBB300_361
; %bb.358:                              ;   in Loop: Header=BB300_11 Depth=1
	v_and_b32_e32 v65, 7, v1
	v_lshrrev_b32_e32 v66, 3, v67
	s_mov_b32 s36, exec_lo
	v_cmpx_gt_u32_e32 8, v67
; %bb.359:                              ;   in Loop: Header=BB300_11 Depth=1
	s_delay_alu instid0(VALU_DEP_3) | instskip(NEXT) | instid1(VALU_DEP_1)
	v_clz_i32_u32_e32 v65, v65
	v_min_u32_e32 v67, 32, v65
	s_delay_alu instid0(VALU_DEP_1) | instskip(NEXT) | instid1(VALU_DEP_1)
	v_subrev_nc_u32_e32 v65, 28, v67
	v_lshlrev_b64_e32 v[65:66], v65, v[1:2]
	v_sub_nc_u32_e32 v66, 29, v67
	s_delay_alu instid0(VALU_DEP_2)
	v_and_b32_e32 v65, 7, v65
; %bb.360:                              ;   in Loop: Header=BB300_11 Depth=1
	s_or_b32 exec_lo, exec_lo, s36
	v_lshlrev_b32_e32 v1, 8, v1
	s_delay_alu instid0(VALU_DEP_3) | instskip(NEXT) | instid1(VALU_DEP_3)
	v_lshl_add_u32 v66, v66, 10, 0x2000
	v_lshlrev_b32_e32 v65, 23, v65
	s_delay_alu instid0(VALU_DEP_2) | instskip(NEXT) | instid1(VALU_DEP_1)
	v_and_or_b32 v1, 0x8000, v1, v66
	v_lshl_or_b32 v65, v1, 16, v65
.LBB300_361:                            ;   in Loop: Header=BB300_11 Depth=1
	s_wait_alu 0xfffe
	s_or_b32 exec_lo, exec_lo, s35
.LBB300_362:                            ;   in Loop: Header=BB300_11 Depth=1
	s_wait_alu 0xfffe
	s_or_b32 exec_lo, exec_lo, s34
.LBB300_363:                            ;   in Loop: Header=BB300_11 Depth=1
	s_wait_alu 0xfffe
	s_or_b32 exec_lo, exec_lo, s4
	v_dual_mov_b32 v1, v10 :: v_dual_and_b32 v66, 0xff, v10
	s_mov_b32 s4, exec_lo
	s_delay_alu instid0(VALU_DEP_1)
	v_cmpx_ne_u16_e32 0, v66
	s_cbranch_execz .LBB300_371
; %bb.364:                              ;   in Loop: Header=BB300_11 Depth=1
	v_mov_b32_e32 v64, 0x8000
	s_mov_b32 s34, exec_lo
	v_cmpx_ne_u16_e32 0x80, v66
	s_cbranch_execz .LBB300_370
; %bb.365:                              ;   in Loop: Header=BB300_11 Depth=1
	v_and_b32_e32 v67, 0x7f, v10
	v_mov_b32_e32 v64, 0x7c01
	s_mov_b32 s35, exec_lo
	s_delay_alu instid0(VALU_DEP_2)
	v_cmpx_ne_u32_e32 0x7f, v67
	s_cbranch_execz .LBB300_369
; %bb.366:                              ;   in Loop: Header=BB300_11 Depth=1
	v_and_b32_e32 v64, 7, v10
	v_lshrrev_b32_e32 v66, 3, v67
	s_mov_b32 s36, exec_lo
	v_cmpx_gt_u32_e32 8, v67
; %bb.367:                              ;   in Loop: Header=BB300_11 Depth=1
	s_delay_alu instid0(VALU_DEP_3) | instskip(NEXT) | instid1(VALU_DEP_1)
	v_clz_i32_u32_e32 v64, v64
	v_min_u32_e32 v64, 32, v64
	s_delay_alu instid0(VALU_DEP_1) | instskip(NEXT) | instid1(VALU_DEP_1)
	v_subrev_nc_u32_e32 v66, 28, v64
	v_lshlrev_b64_e32 v[67:68], v66, v[1:2]
	v_sub_nc_u32_e32 v66, 29, v64
	s_delay_alu instid0(VALU_DEP_2)
	v_and_b32_e32 v64, 7, v67
; %bb.368:                              ;   in Loop: Header=BB300_11 Depth=1
	s_or_b32 exec_lo, exec_lo, s36
	v_lshlrev_b32_e32 v67, 8, v10
	s_delay_alu instid0(VALU_DEP_3) | instskip(NEXT) | instid1(VALU_DEP_3)
	v_lshl_add_u32 v66, v66, 10, 0x2000
	v_lshlrev_b32_e32 v64, 7, v64
	s_delay_alu instid0(VALU_DEP_3) | instskip(NEXT) | instid1(VALU_DEP_3)
	v_and_b32_e32 v67, 0x8000, v67
	v_and_b32_e32 v66, 0xfc00, v66
	s_delay_alu instid0(VALU_DEP_1)
	v_or3_b32 v64, v67, v66, v64
.LBB300_369:                            ;   in Loop: Header=BB300_11 Depth=1
	s_wait_alu 0xfffe
	s_or_b32 exec_lo, exec_lo, s35
.LBB300_370:                            ;   in Loop: Header=BB300_11 Depth=1
	s_wait_alu 0xfffe
	s_or_b32 exec_lo, exec_lo, s34
.LBB300_371:                            ;   in Loop: Header=BB300_11 Depth=1
	s_wait_alu 0xfffe
	s_or_b32 exec_lo, exec_lo, s4
	v_lshrrev_b16 v1, 8, v1
	v_dual_mov_b32 v68, 0 :: v_dual_mov_b32 v67, 0
	s_mov_b32 s4, exec_lo
	s_delay_alu instid0(VALU_DEP_2)
	v_cmpx_ne_u16_e32 0, v1
	s_cbranch_execz .LBB300_379
; %bb.372:                              ;   in Loop: Header=BB300_11 Depth=1
	v_bfrev_b32_e32 v67, 1
	s_mov_b32 s34, exec_lo
	v_cmpx_ne_u16_e32 0x80, v1
	s_cbranch_execz .LBB300_378
; %bb.373:                              ;   in Loop: Header=BB300_11 Depth=1
	v_and_b32_e32 v66, 0xffff, v1
	v_mov_b32_e32 v67, 0x7c010000
	s_mov_b32 s35, exec_lo
	s_delay_alu instid0(VALU_DEP_2) | instskip(NEXT) | instid1(VALU_DEP_1)
	v_and_b32_e32 v70, 0x7f, v66
	v_cmpx_ne_u32_e32 0x7f, v70
	s_cbranch_execz .LBB300_377
; %bb.374:                              ;   in Loop: Header=BB300_11 Depth=1
	v_and_b32_e32 v67, 7, v66
	v_lshrrev_b32_e32 v69, 3, v70
	s_mov_b32 s36, exec_lo
	v_cmpx_gt_u32_e32 8, v70
; %bb.375:                              ;   in Loop: Header=BB300_11 Depth=1
	s_delay_alu instid0(VALU_DEP_3) | instskip(NEXT) | instid1(VALU_DEP_1)
	v_clz_i32_u32_e32 v67, v67
	v_min_u32_e32 v67, 32, v67
	s_delay_alu instid0(VALU_DEP_1) | instskip(NEXT) | instid1(VALU_DEP_1)
	v_subrev_nc_u32_e32 v69, 28, v67
	v_lshlrev_b64_e32 v[70:71], v69, v[1:2]
	v_sub_nc_u32_e32 v69, 29, v67
	s_delay_alu instid0(VALU_DEP_2)
	v_and_b32_e32 v67, 7, v70
; %bb.376:                              ;   in Loop: Header=BB300_11 Depth=1
	s_or_b32 exec_lo, exec_lo, s36
	v_lshlrev_b32_e32 v1, 8, v66
	s_delay_alu instid0(VALU_DEP_3) | instskip(NEXT) | instid1(VALU_DEP_1)
	v_lshl_add_u32 v66, v69, 10, 0x2000
	v_and_or_b32 v1, 0x8000, v1, v66
	v_lshlrev_b32_e32 v66, 23, v67
	s_delay_alu instid0(VALU_DEP_1)
	v_lshl_or_b32 v67, v1, 16, v66
.LBB300_377:                            ;   in Loop: Header=BB300_11 Depth=1
	s_wait_alu 0xfffe
	s_or_b32 exec_lo, exec_lo, s35
.LBB300_378:                            ;   in Loop: Header=BB300_11 Depth=1
	s_wait_alu 0xfffe
	s_or_b32 exec_lo, exec_lo, s34
.LBB300_379:                            ;   in Loop: Header=BB300_11 Depth=1
	s_wait_alu 0xfffe
	s_or_b32 exec_lo, exec_lo, s4
	v_lshrrev_b32_e32 v1, 16, v10
	s_mov_b32 s4, exec_lo
	s_delay_alu instid0(VALU_DEP_1) | instskip(NEXT) | instid1(VALU_DEP_1)
	v_and_b32_e32 v66, 0xff, v1
	v_cmpx_ne_u16_e32 0, v66
	s_cbranch_execz .LBB300_387
; %bb.380:                              ;   in Loop: Header=BB300_11 Depth=1
	v_mov_b32_e32 v68, 0x8000
	s_mov_b32 s34, exec_lo
	v_cmpx_ne_u16_e32 0x80, v66
	s_cbranch_execz .LBB300_386
; %bb.381:                              ;   in Loop: Header=BB300_11 Depth=1
	v_bfe_u32 v69, v10, 16, 7
	v_mov_b32_e32 v68, 0x7c01
	s_mov_b32 s35, exec_lo
	s_delay_alu instid0(VALU_DEP_2)
	v_cmpx_ne_u32_e32 0x7f, v69
	s_cbranch_execz .LBB300_385
; %bb.382:                              ;   in Loop: Header=BB300_11 Depth=1
	v_and_b32_e32 v66, 7, v1
	v_lshrrev_b32_e32 v68, 3, v69
	s_mov_b32 s36, exec_lo
	v_cmpx_gt_u32_e32 8, v69
; %bb.383:                              ;   in Loop: Header=BB300_11 Depth=1
	s_delay_alu instid0(VALU_DEP_3) | instskip(NEXT) | instid1(VALU_DEP_1)
	v_clz_i32_u32_e32 v66, v66
	v_min_u32_e32 v66, 32, v66
	s_delay_alu instid0(VALU_DEP_1) | instskip(NEXT) | instid1(VALU_DEP_1)
	v_subrev_nc_u32_e32 v68, 28, v66
	v_lshlrev_b64_e32 v[69:70], v68, v[1:2]
	v_sub_nc_u32_e32 v68, 29, v66
	s_delay_alu instid0(VALU_DEP_2)
	v_and_b32_e32 v66, 7, v69
; %bb.384:                              ;   in Loop: Header=BB300_11 Depth=1
	s_or_b32 exec_lo, exec_lo, s36
	v_lshlrev_b32_e32 v1, 8, v1
	s_delay_alu instid0(VALU_DEP_3) | instskip(NEXT) | instid1(VALU_DEP_3)
	v_lshl_add_u32 v68, v68, 10, 0x2000
	v_lshlrev_b32_e32 v66, 7, v66
	s_delay_alu instid0(VALU_DEP_3) | instskip(NEXT) | instid1(VALU_DEP_3)
	v_and_b32_e32 v1, 0x8000, v1
	v_and_b32_e32 v68, 0xfc00, v68
	s_delay_alu instid0(VALU_DEP_1)
	v_or3_b32 v68, v1, v68, v66
.LBB300_385:                            ;   in Loop: Header=BB300_11 Depth=1
	s_wait_alu 0xfffe
	s_or_b32 exec_lo, exec_lo, s35
.LBB300_386:                            ;   in Loop: Header=BB300_11 Depth=1
	s_wait_alu 0xfffe
	s_or_b32 exec_lo, exec_lo, s34
.LBB300_387:                            ;   in Loop: Header=BB300_11 Depth=1
	s_wait_alu 0xfffe
	s_or_b32 exec_lo, exec_lo, s4
	v_mov_b32_e32 v66, 0
	v_mov_b32_e32 v70, 0
	s_mov_b32 s4, exec_lo
	v_cmpx_lt_u64_e64 s[6:7], v[9:10]
	s_cbranch_execz .LBB300_395
; %bb.388:                              ;   in Loop: Header=BB300_11 Depth=1
	v_lshrrev_b32_e32 v1, 24, v10
	v_bfrev_b32_e32 v70, 1
	s_mov_b32 s34, exec_lo
	s_delay_alu instid0(VALU_DEP_2)
	v_cmpx_ne_u32_e32 0x80, v1
	s_cbranch_execz .LBB300_394
; %bb.389:                              ;   in Loop: Header=BB300_11 Depth=1
	v_and_b32_e32 v69, 0x7f, v1
	v_mov_b32_e32 v70, 0x7c010000
	s_mov_b32 s35, exec_lo
	s_delay_alu instid0(VALU_DEP_2)
	v_cmpx_ne_u32_e32 0x7f, v69
	s_cbranch_execz .LBB300_393
; %bb.390:                              ;   in Loop: Header=BB300_11 Depth=1
	v_and_b32_e32 v9, 7, v1
	v_lshrrev_b32_e32 v10, 3, v69
	s_mov_b32 s36, exec_lo
	v_cmpx_gt_u32_e32 8, v69
; %bb.391:                              ;   in Loop: Header=BB300_11 Depth=1
	s_delay_alu instid0(VALU_DEP_3) | instskip(NEXT) | instid1(VALU_DEP_1)
	v_clz_i32_u32_e32 v9, v9
	v_min_u32_e32 v69, 32, v9
	s_delay_alu instid0(VALU_DEP_1) | instskip(NEXT) | instid1(VALU_DEP_1)
	v_subrev_nc_u32_e32 v9, 28, v69
	v_lshlrev_b64_e32 v[9:10], v9, v[1:2]
	v_sub_nc_u32_e32 v10, 29, v69
	s_delay_alu instid0(VALU_DEP_2)
	v_and_b32_e32 v9, 7, v9
; %bb.392:                              ;   in Loop: Header=BB300_11 Depth=1
	s_or_b32 exec_lo, exec_lo, s36
	v_lshlrev_b32_e32 v1, 8, v1
	s_delay_alu instid0(VALU_DEP_3) | instskip(NEXT) | instid1(VALU_DEP_3)
	v_lshl_add_u32 v10, v10, 10, 0x2000
	v_lshlrev_b32_e32 v9, 23, v9
	s_delay_alu instid0(VALU_DEP_2) | instskip(NEXT) | instid1(VALU_DEP_1)
	v_and_or_b32 v1, 0x8000, v1, v10
	v_lshl_or_b32 v70, v1, 16, v9
.LBB300_393:                            ;   in Loop: Header=BB300_11 Depth=1
	s_wait_alu 0xfffe
	s_or_b32 exec_lo, exec_lo, s35
.LBB300_394:                            ;   in Loop: Header=BB300_11 Depth=1
	s_wait_alu 0xfffe
	s_or_b32 exec_lo, exec_lo, s34
.LBB300_395:                            ;   in Loop: Header=BB300_11 Depth=1
	s_wait_alu 0xfffe
	s_or_b32 exec_lo, exec_lo, s4
	global_load_b64 v[9:10], v[7:8], off offset:1536
	s_mov_b32 s4, exec_lo
	s_wait_loadcnt 0x0
	v_and_b32_e32 v1, 0xff, v9
	s_delay_alu instid0(VALU_DEP_1)
	v_cmpx_ne_u16_e32 0, v1
	s_cbranch_execz .LBB300_403
; %bb.396:                              ;   in Loop: Header=BB300_11 Depth=1
	v_mov_b32_e32 v66, 0x8000
	s_mov_b32 s34, exec_lo
	v_cmpx_ne_u16_e32 0x80, v1
	s_cbranch_execz .LBB300_402
; %bb.397:                              ;   in Loop: Header=BB300_11 Depth=1
	v_and_b32_e32 v69, 0x7f, v9
	v_mov_b32_e32 v66, 0x7c01
	s_mov_b32 s35, exec_lo
	s_delay_alu instid0(VALU_DEP_2)
	v_cmpx_ne_u32_e32 0x7f, v69
	s_cbranch_execz .LBB300_401
; %bb.398:                              ;   in Loop: Header=BB300_11 Depth=1
	v_and_b32_e32 v1, 7, v9
	v_lshrrev_b32_e32 v66, 3, v69
	s_mov_b32 s36, exec_lo
	v_cmpx_gt_u32_e32 8, v69
; %bb.399:                              ;   in Loop: Header=BB300_11 Depth=1
	s_delay_alu instid0(VALU_DEP_3) | instskip(NEXT) | instid1(VALU_DEP_1)
	v_clz_i32_u32_e32 v1, v1
	v_min_u32_e32 v1, 32, v1
	s_delay_alu instid0(VALU_DEP_1) | instskip(NEXT) | instid1(VALU_DEP_1)
	v_subrev_nc_u32_e32 v66, 28, v1
	v_lshlrev_b64_e32 v[71:72], v66, v[9:10]
	v_sub_nc_u32_e32 v66, 29, v1
	s_delay_alu instid0(VALU_DEP_2)
	v_and_b32_e32 v1, 7, v71
; %bb.400:                              ;   in Loop: Header=BB300_11 Depth=1
	s_or_b32 exec_lo, exec_lo, s36
	v_lshlrev_b32_e32 v69, 8, v9
	s_delay_alu instid0(VALU_DEP_3) | instskip(NEXT) | instid1(VALU_DEP_3)
	v_lshl_add_u32 v66, v66, 10, 0x2000
	v_lshlrev_b32_e32 v1, 7, v1
	s_delay_alu instid0(VALU_DEP_3) | instskip(NEXT) | instid1(VALU_DEP_3)
	v_and_b32_e32 v69, 0x8000, v69
	v_and_b32_e32 v66, 0xfc00, v66
	s_delay_alu instid0(VALU_DEP_1)
	v_or3_b32 v66, v69, v66, v1
.LBB300_401:                            ;   in Loop: Header=BB300_11 Depth=1
	s_wait_alu 0xfffe
	s_or_b32 exec_lo, exec_lo, s35
.LBB300_402:                            ;   in Loop: Header=BB300_11 Depth=1
	s_wait_alu 0xfffe
	s_or_b32 exec_lo, exec_lo, s34
.LBB300_403:                            ;   in Loop: Header=BB300_11 Depth=1
	s_wait_alu 0xfffe
	s_or_b32 exec_lo, exec_lo, s4
	v_lshrrev_b16 v1, 8, v9
	v_mov_b32_e32 v71, 0
	v_mov_b32_e32 v69, 0
	s_mov_b32 s4, exec_lo
	s_delay_alu instid0(VALU_DEP_3)
	v_cmpx_ne_u16_e32 0, v1
	s_cbranch_execz .LBB300_411
; %bb.404:                              ;   in Loop: Header=BB300_11 Depth=1
	v_bfrev_b32_e32 v69, 1
	s_mov_b32 s34, exec_lo
	v_cmpx_ne_u16_e32 0x80, v1
	s_cbranch_execz .LBB300_410
; %bb.405:                              ;   in Loop: Header=BB300_11 Depth=1
	v_and_b32_e32 v72, 0xffff, v1
	v_mov_b32_e32 v69, 0x7c010000
	s_mov_b32 s35, exec_lo
	s_delay_alu instid0(VALU_DEP_2) | instskip(NEXT) | instid1(VALU_DEP_1)
	v_and_b32_e32 v74, 0x7f, v72
	v_cmpx_ne_u32_e32 0x7f, v74
	s_cbranch_execz .LBB300_409
; %bb.406:                              ;   in Loop: Header=BB300_11 Depth=1
	v_and_b32_e32 v69, 7, v72
	v_lshrrev_b32_e32 v73, 3, v74
	s_mov_b32 s36, exec_lo
	v_cmpx_gt_u32_e32 8, v74
; %bb.407:                              ;   in Loop: Header=BB300_11 Depth=1
	s_delay_alu instid0(VALU_DEP_3) | instskip(NEXT) | instid1(VALU_DEP_1)
	v_clz_i32_u32_e32 v69, v69
	v_min_u32_e32 v69, 32, v69
	s_delay_alu instid0(VALU_DEP_1) | instskip(NEXT) | instid1(VALU_DEP_1)
	v_subrev_nc_u32_e32 v73, 28, v69
	v_lshlrev_b64_e32 v[74:75], v73, v[1:2]
	v_sub_nc_u32_e32 v73, 29, v69
	s_delay_alu instid0(VALU_DEP_2)
	v_and_b32_e32 v69, 7, v74
; %bb.408:                              ;   in Loop: Header=BB300_11 Depth=1
	s_or_b32 exec_lo, exec_lo, s36
	v_lshlrev_b32_e32 v1, 8, v72
	s_delay_alu instid0(VALU_DEP_3) | instskip(NEXT) | instid1(VALU_DEP_3)
	v_lshl_add_u32 v72, v73, 10, 0x2000
	v_lshlrev_b32_e32 v69, 23, v69
	s_delay_alu instid0(VALU_DEP_2) | instskip(NEXT) | instid1(VALU_DEP_1)
	v_and_or_b32 v1, 0x8000, v1, v72
	v_lshl_or_b32 v69, v1, 16, v69
.LBB300_409:                            ;   in Loop: Header=BB300_11 Depth=1
	s_wait_alu 0xfffe
	s_or_b32 exec_lo, exec_lo, s35
.LBB300_410:                            ;   in Loop: Header=BB300_11 Depth=1
	s_wait_alu 0xfffe
	s_or_b32 exec_lo, exec_lo, s34
.LBB300_411:                            ;   in Loop: Header=BB300_11 Depth=1
	s_wait_alu 0xfffe
	s_or_b32 exec_lo, exec_lo, s4
	v_lshrrev_b32_e32 v1, 16, v9
	s_mov_b32 s4, exec_lo
	s_delay_alu instid0(VALU_DEP_1) | instskip(NEXT) | instid1(VALU_DEP_1)
	v_and_b32_e32 v72, 0xff, v1
	v_cmpx_ne_u16_e32 0, v72
	s_cbranch_execz .LBB300_419
; %bb.412:                              ;   in Loop: Header=BB300_11 Depth=1
	v_mov_b32_e32 v71, 0x8000
	s_mov_b32 s34, exec_lo
	v_cmpx_ne_u16_e32 0x80, v72
	s_cbranch_execz .LBB300_418
; %bb.413:                              ;   in Loop: Header=BB300_11 Depth=1
	v_bfe_u32 v73, v9, 16, 7
	v_mov_b32_e32 v71, 0x7c01
	s_mov_b32 s35, exec_lo
	s_delay_alu instid0(VALU_DEP_2)
	v_cmpx_ne_u32_e32 0x7f, v73
	s_cbranch_execz .LBB300_417
; %bb.414:                              ;   in Loop: Header=BB300_11 Depth=1
	v_and_b32_e32 v71, 7, v1
	v_lshrrev_b32_e32 v72, 3, v73
	s_mov_b32 s36, exec_lo
	v_cmpx_gt_u32_e32 8, v73
; %bb.415:                              ;   in Loop: Header=BB300_11 Depth=1
	s_delay_alu instid0(VALU_DEP_3) | instskip(NEXT) | instid1(VALU_DEP_1)
	v_clz_i32_u32_e32 v71, v71
	v_min_u32_e32 v73, 32, v71
	s_delay_alu instid0(VALU_DEP_1) | instskip(NEXT) | instid1(VALU_DEP_1)
	v_subrev_nc_u32_e32 v71, 28, v73
	v_lshlrev_b64_e32 v[71:72], v71, v[1:2]
	v_sub_nc_u32_e32 v72, 29, v73
	s_delay_alu instid0(VALU_DEP_2)
	v_and_b32_e32 v71, 7, v71
; %bb.416:                              ;   in Loop: Header=BB300_11 Depth=1
	s_or_b32 exec_lo, exec_lo, s36
	v_lshlrev_b32_e32 v1, 8, v1
	s_delay_alu instid0(VALU_DEP_3) | instskip(NEXT) | instid1(VALU_DEP_3)
	v_lshl_add_u32 v72, v72, 10, 0x2000
	v_lshlrev_b32_e32 v71, 7, v71
	s_delay_alu instid0(VALU_DEP_3) | instskip(NEXT) | instid1(VALU_DEP_3)
	v_and_b32_e32 v1, 0x8000, v1
	v_and_b32_e32 v72, 0xfc00, v72
	s_delay_alu instid0(VALU_DEP_1)
	v_or3_b32 v71, v1, v72, v71
.LBB300_417:                            ;   in Loop: Header=BB300_11 Depth=1
	s_wait_alu 0xfffe
	s_or_b32 exec_lo, exec_lo, s35
.LBB300_418:                            ;   in Loop: Header=BB300_11 Depth=1
	s_wait_alu 0xfffe
	s_or_b32 exec_lo, exec_lo, s34
.LBB300_419:                            ;   in Loop: Header=BB300_11 Depth=1
	s_wait_alu 0xfffe
	s_or_b32 exec_lo, exec_lo, s4
	v_dual_mov_b32 v72, 0 :: v_dual_mov_b32 v73, 0
	s_mov_b32 s4, exec_lo
	v_cmpx_lt_u32_e32 0xffffff, v9
	s_cbranch_execz .LBB300_427
; %bb.420:                              ;   in Loop: Header=BB300_11 Depth=1
	v_lshrrev_b32_e32 v1, 24, v9
	v_bfrev_b32_e32 v73, 1
	s_mov_b32 s34, exec_lo
	s_delay_alu instid0(VALU_DEP_2)
	v_cmpx_ne_u32_e32 0x80, v1
	s_cbranch_execz .LBB300_426
; %bb.421:                              ;   in Loop: Header=BB300_11 Depth=1
	v_and_b32_e32 v75, 0x7f, v1
	v_mov_b32_e32 v73, 0x7c010000
	s_mov_b32 s35, exec_lo
	s_delay_alu instid0(VALU_DEP_2)
	v_cmpx_ne_u32_e32 0x7f, v75
	s_cbranch_execz .LBB300_425
; %bb.422:                              ;   in Loop: Header=BB300_11 Depth=1
	v_and_b32_e32 v73, 7, v1
	v_lshrrev_b32_e32 v74, 3, v75
	s_mov_b32 s36, exec_lo
	v_cmpx_gt_u32_e32 8, v75
; %bb.423:                              ;   in Loop: Header=BB300_11 Depth=1
	s_delay_alu instid0(VALU_DEP_3) | instskip(NEXT) | instid1(VALU_DEP_1)
	v_clz_i32_u32_e32 v73, v73
	v_min_u32_e32 v75, 32, v73
	s_delay_alu instid0(VALU_DEP_1) | instskip(NEXT) | instid1(VALU_DEP_1)
	v_subrev_nc_u32_e32 v73, 28, v75
	v_lshlrev_b64_e32 v[73:74], v73, v[1:2]
	v_sub_nc_u32_e32 v74, 29, v75
	s_delay_alu instid0(VALU_DEP_2)
	v_and_b32_e32 v73, 7, v73
; %bb.424:                              ;   in Loop: Header=BB300_11 Depth=1
	s_or_b32 exec_lo, exec_lo, s36
	v_lshlrev_b32_e32 v1, 8, v1
	s_delay_alu instid0(VALU_DEP_3) | instskip(NEXT) | instid1(VALU_DEP_3)
	v_lshl_add_u32 v74, v74, 10, 0x2000
	v_lshlrev_b32_e32 v73, 23, v73
	s_delay_alu instid0(VALU_DEP_2) | instskip(NEXT) | instid1(VALU_DEP_1)
	v_and_or_b32 v1, 0x8000, v1, v74
	v_lshl_or_b32 v73, v1, 16, v73
.LBB300_425:                            ;   in Loop: Header=BB300_11 Depth=1
	s_wait_alu 0xfffe
	s_or_b32 exec_lo, exec_lo, s35
.LBB300_426:                            ;   in Loop: Header=BB300_11 Depth=1
	s_wait_alu 0xfffe
	s_or_b32 exec_lo, exec_lo, s34
.LBB300_427:                            ;   in Loop: Header=BB300_11 Depth=1
	s_wait_alu 0xfffe
	s_or_b32 exec_lo, exec_lo, s4
	v_dual_mov_b32 v1, v10 :: v_dual_and_b32 v74, 0xff, v10
	s_mov_b32 s4, exec_lo
	s_delay_alu instid0(VALU_DEP_1)
	v_cmpx_ne_u16_e32 0, v74
	s_cbranch_execz .LBB300_435
; %bb.428:                              ;   in Loop: Header=BB300_11 Depth=1
	v_mov_b32_e32 v72, 0x8000
	s_mov_b32 s34, exec_lo
	v_cmpx_ne_u16_e32 0x80, v74
	s_cbranch_execz .LBB300_434
; %bb.429:                              ;   in Loop: Header=BB300_11 Depth=1
	v_and_b32_e32 v75, 0x7f, v10
	v_mov_b32_e32 v72, 0x7c01
	s_mov_b32 s35, exec_lo
	s_delay_alu instid0(VALU_DEP_2)
	v_cmpx_ne_u32_e32 0x7f, v75
	s_cbranch_execz .LBB300_433
; %bb.430:                              ;   in Loop: Header=BB300_11 Depth=1
	v_and_b32_e32 v72, 7, v10
	v_lshrrev_b32_e32 v74, 3, v75
	s_mov_b32 s36, exec_lo
	v_cmpx_gt_u32_e32 8, v75
; %bb.431:                              ;   in Loop: Header=BB300_11 Depth=1
	s_delay_alu instid0(VALU_DEP_3) | instskip(NEXT) | instid1(VALU_DEP_1)
	v_clz_i32_u32_e32 v72, v72
	v_min_u32_e32 v72, 32, v72
	s_delay_alu instid0(VALU_DEP_1) | instskip(NEXT) | instid1(VALU_DEP_1)
	v_subrev_nc_u32_e32 v74, 28, v72
	v_lshlrev_b64_e32 v[75:76], v74, v[1:2]
	v_sub_nc_u32_e32 v74, 29, v72
	s_delay_alu instid0(VALU_DEP_2)
	v_and_b32_e32 v72, 7, v75
; %bb.432:                              ;   in Loop: Header=BB300_11 Depth=1
	s_or_b32 exec_lo, exec_lo, s36
	v_lshlrev_b32_e32 v75, 8, v10
	s_delay_alu instid0(VALU_DEP_3) | instskip(NEXT) | instid1(VALU_DEP_3)
	v_lshl_add_u32 v74, v74, 10, 0x2000
	v_lshlrev_b32_e32 v72, 7, v72
	s_delay_alu instid0(VALU_DEP_3) | instskip(NEXT) | instid1(VALU_DEP_3)
	v_and_b32_e32 v75, 0x8000, v75
	v_and_b32_e32 v74, 0xfc00, v74
	s_delay_alu instid0(VALU_DEP_1)
	v_or3_b32 v72, v75, v74, v72
.LBB300_433:                            ;   in Loop: Header=BB300_11 Depth=1
	s_wait_alu 0xfffe
	s_or_b32 exec_lo, exec_lo, s35
.LBB300_434:                            ;   in Loop: Header=BB300_11 Depth=1
	s_wait_alu 0xfffe
	s_or_b32 exec_lo, exec_lo, s34
.LBB300_435:                            ;   in Loop: Header=BB300_11 Depth=1
	s_wait_alu 0xfffe
	s_or_b32 exec_lo, exec_lo, s4
	v_lshrrev_b16 v1, 8, v1
	v_dual_mov_b32 v75, 0 :: v_dual_mov_b32 v74, 0
	s_mov_b32 s4, exec_lo
	s_delay_alu instid0(VALU_DEP_2)
	v_cmpx_ne_u16_e32 0, v1
	s_cbranch_execz .LBB300_443
; %bb.436:                              ;   in Loop: Header=BB300_11 Depth=1
	v_bfrev_b32_e32 v74, 1
	s_mov_b32 s34, exec_lo
	v_cmpx_ne_u16_e32 0x80, v1
	s_cbranch_execz .LBB300_442
; %bb.437:                              ;   in Loop: Header=BB300_11 Depth=1
	v_and_b32_e32 v76, 0xffff, v1
	v_mov_b32_e32 v74, 0x7c010000
	s_mov_b32 s35, exec_lo
	s_delay_alu instid0(VALU_DEP_2) | instskip(NEXT) | instid1(VALU_DEP_1)
	v_and_b32_e32 v78, 0x7f, v76
	v_cmpx_ne_u32_e32 0x7f, v78
	s_cbranch_execz .LBB300_441
; %bb.438:                              ;   in Loop: Header=BB300_11 Depth=1
	v_and_b32_e32 v74, 7, v76
	v_lshrrev_b32_e32 v77, 3, v78
	s_mov_b32 s36, exec_lo
	v_cmpx_gt_u32_e32 8, v78
; %bb.439:                              ;   in Loop: Header=BB300_11 Depth=1
	s_delay_alu instid0(VALU_DEP_3) | instskip(NEXT) | instid1(VALU_DEP_1)
	v_clz_i32_u32_e32 v74, v74
	v_min_u32_e32 v74, 32, v74
	s_delay_alu instid0(VALU_DEP_1) | instskip(NEXT) | instid1(VALU_DEP_1)
	v_subrev_nc_u32_e32 v77, 28, v74
	v_lshlrev_b64_e32 v[78:79], v77, v[1:2]
	v_sub_nc_u32_e32 v77, 29, v74
	s_delay_alu instid0(VALU_DEP_2)
	v_and_b32_e32 v74, 7, v78
; %bb.440:                              ;   in Loop: Header=BB300_11 Depth=1
	s_or_b32 exec_lo, exec_lo, s36
	v_lshlrev_b32_e32 v1, 8, v76
	s_delay_alu instid0(VALU_DEP_3) | instskip(NEXT) | instid1(VALU_DEP_3)
	v_lshl_add_u32 v76, v77, 10, 0x2000
	v_lshlrev_b32_e32 v74, 23, v74
	s_delay_alu instid0(VALU_DEP_2) | instskip(NEXT) | instid1(VALU_DEP_1)
	v_and_or_b32 v1, 0x8000, v1, v76
	v_lshl_or_b32 v74, v1, 16, v74
.LBB300_441:                            ;   in Loop: Header=BB300_11 Depth=1
	s_wait_alu 0xfffe
	s_or_b32 exec_lo, exec_lo, s35
.LBB300_442:                            ;   in Loop: Header=BB300_11 Depth=1
	s_wait_alu 0xfffe
	s_or_b32 exec_lo, exec_lo, s34
.LBB300_443:                            ;   in Loop: Header=BB300_11 Depth=1
	s_wait_alu 0xfffe
	s_or_b32 exec_lo, exec_lo, s4
	v_lshrrev_b32_e32 v1, 16, v10
	s_mov_b32 s4, exec_lo
	s_delay_alu instid0(VALU_DEP_1) | instskip(NEXT) | instid1(VALU_DEP_1)
	v_and_b32_e32 v76, 0xff, v1
	v_cmpx_ne_u16_e32 0, v76
	s_cbranch_execz .LBB300_451
; %bb.444:                              ;   in Loop: Header=BB300_11 Depth=1
	v_mov_b32_e32 v75, 0x8000
	s_mov_b32 s34, exec_lo
	v_cmpx_ne_u16_e32 0x80, v76
	s_cbranch_execz .LBB300_450
; %bb.445:                              ;   in Loop: Header=BB300_11 Depth=1
	v_bfe_u32 v77, v10, 16, 7
	v_mov_b32_e32 v75, 0x7c01
	s_mov_b32 s35, exec_lo
	s_delay_alu instid0(VALU_DEP_2)
	v_cmpx_ne_u32_e32 0x7f, v77
	s_cbranch_execz .LBB300_449
; %bb.446:                              ;   in Loop: Header=BB300_11 Depth=1
	v_and_b32_e32 v75, 7, v1
	v_lshrrev_b32_e32 v76, 3, v77
	s_mov_b32 s36, exec_lo
	v_cmpx_gt_u32_e32 8, v77
; %bb.447:                              ;   in Loop: Header=BB300_11 Depth=1
	s_delay_alu instid0(VALU_DEP_3) | instskip(NEXT) | instid1(VALU_DEP_1)
	v_clz_i32_u32_e32 v75, v75
	v_min_u32_e32 v77, 32, v75
	s_delay_alu instid0(VALU_DEP_1) | instskip(NEXT) | instid1(VALU_DEP_1)
	v_subrev_nc_u32_e32 v75, 28, v77
	v_lshlrev_b64_e32 v[75:76], v75, v[1:2]
	v_sub_nc_u32_e32 v76, 29, v77
	s_delay_alu instid0(VALU_DEP_2)
	v_and_b32_e32 v75, 7, v75
; %bb.448:                              ;   in Loop: Header=BB300_11 Depth=1
	s_or_b32 exec_lo, exec_lo, s36
	v_lshlrev_b32_e32 v1, 8, v1
	s_delay_alu instid0(VALU_DEP_3) | instskip(NEXT) | instid1(VALU_DEP_3)
	v_lshl_add_u32 v76, v76, 10, 0x2000
	v_lshlrev_b32_e32 v75, 7, v75
	s_delay_alu instid0(VALU_DEP_3) | instskip(NEXT) | instid1(VALU_DEP_3)
	v_and_b32_e32 v1, 0x8000, v1
	v_and_b32_e32 v76, 0xfc00, v76
	s_delay_alu instid0(VALU_DEP_1)
	v_or3_b32 v75, v1, v76, v75
.LBB300_449:                            ;   in Loop: Header=BB300_11 Depth=1
	s_wait_alu 0xfffe
	s_or_b32 exec_lo, exec_lo, s35
.LBB300_450:                            ;   in Loop: Header=BB300_11 Depth=1
	s_wait_alu 0xfffe
	s_or_b32 exec_lo, exec_lo, s34
.LBB300_451:                            ;   in Loop: Header=BB300_11 Depth=1
	s_wait_alu 0xfffe
	s_or_b32 exec_lo, exec_lo, s4
	v_dual_mov_b32 v77, 0 :: v_dual_mov_b32 v76, 0
	s_mov_b32 s4, exec_lo
	v_cmpx_lt_u64_e64 s[6:7], v[9:10]
	s_cbranch_execz .LBB300_459
; %bb.452:                              ;   in Loop: Header=BB300_11 Depth=1
	v_lshrrev_b32_e32 v1, 24, v10
	v_bfrev_b32_e32 v76, 1
	s_mov_b32 s34, exec_lo
	s_delay_alu instid0(VALU_DEP_2)
	v_cmpx_ne_u32_e32 0x80, v1
	s_cbranch_execz .LBB300_458
; %bb.453:                              ;   in Loop: Header=BB300_11 Depth=1
	v_and_b32_e32 v78, 0x7f, v1
	v_mov_b32_e32 v76, 0x7c010000
	s_mov_b32 s35, exec_lo
	s_delay_alu instid0(VALU_DEP_2)
	v_cmpx_ne_u32_e32 0x7f, v78
	s_cbranch_execz .LBB300_457
; %bb.454:                              ;   in Loop: Header=BB300_11 Depth=1
	v_and_b32_e32 v9, 7, v1
	v_lshrrev_b32_e32 v10, 3, v78
	s_mov_b32 s36, exec_lo
	v_cmpx_gt_u32_e32 8, v78
; %bb.455:                              ;   in Loop: Header=BB300_11 Depth=1
	s_delay_alu instid0(VALU_DEP_3) | instskip(NEXT) | instid1(VALU_DEP_1)
	v_clz_i32_u32_e32 v9, v9
	v_min_u32_e32 v76, 32, v9
	s_delay_alu instid0(VALU_DEP_1) | instskip(NEXT) | instid1(VALU_DEP_1)
	v_subrev_nc_u32_e32 v9, 28, v76
	v_lshlrev_b64_e32 v[9:10], v9, v[1:2]
	v_sub_nc_u32_e32 v10, 29, v76
	s_delay_alu instid0(VALU_DEP_2)
	v_and_b32_e32 v9, 7, v9
; %bb.456:                              ;   in Loop: Header=BB300_11 Depth=1
	s_or_b32 exec_lo, exec_lo, s36
	v_lshlrev_b32_e32 v1, 8, v1
	s_delay_alu instid0(VALU_DEP_3) | instskip(NEXT) | instid1(VALU_DEP_3)
	v_lshl_add_u32 v10, v10, 10, 0x2000
	v_lshlrev_b32_e32 v9, 23, v9
	s_delay_alu instid0(VALU_DEP_2) | instskip(NEXT) | instid1(VALU_DEP_1)
	v_and_or_b32 v1, 0x8000, v1, v10
	v_lshl_or_b32 v76, v1, 16, v9
.LBB300_457:                            ;   in Loop: Header=BB300_11 Depth=1
	s_wait_alu 0xfffe
	s_or_b32 exec_lo, exec_lo, s35
.LBB300_458:                            ;   in Loop: Header=BB300_11 Depth=1
	s_wait_alu 0xfffe
	s_or_b32 exec_lo, exec_lo, s34
.LBB300_459:                            ;   in Loop: Header=BB300_11 Depth=1
	s_wait_alu 0xfffe
	s_or_b32 exec_lo, exec_lo, s4
	global_load_b64 v[9:10], v[7:8], off offset:1544
	s_mov_b32 s4, exec_lo
	s_wait_loadcnt 0x0
	v_and_b32_e32 v1, 0xff, v9
	s_delay_alu instid0(VALU_DEP_1)
	v_cmpx_ne_u16_e32 0, v1
	s_cbranch_execz .LBB300_467
; %bb.460:                              ;   in Loop: Header=BB300_11 Depth=1
	v_mov_b32_e32 v77, 0x8000
	s_mov_b32 s34, exec_lo
	v_cmpx_ne_u16_e32 0x80, v1
	s_cbranch_execz .LBB300_466
; %bb.461:                              ;   in Loop: Header=BB300_11 Depth=1
	v_and_b32_e32 v78, 0x7f, v9
	v_mov_b32_e32 v77, 0x7c01
	s_mov_b32 s35, exec_lo
	s_delay_alu instid0(VALU_DEP_2)
	v_cmpx_ne_u32_e32 0x7f, v78
	s_cbranch_execz .LBB300_465
; %bb.462:                              ;   in Loop: Header=BB300_11 Depth=1
	v_and_b32_e32 v1, 7, v9
	v_lshrrev_b32_e32 v77, 3, v78
	s_mov_b32 s36, exec_lo
	v_cmpx_gt_u32_e32 8, v78
; %bb.463:                              ;   in Loop: Header=BB300_11 Depth=1
	s_delay_alu instid0(VALU_DEP_3) | instskip(NEXT) | instid1(VALU_DEP_1)
	v_clz_i32_u32_e32 v1, v1
	v_min_u32_e32 v1, 32, v1
	s_delay_alu instid0(VALU_DEP_1) | instskip(NEXT) | instid1(VALU_DEP_1)
	v_subrev_nc_u32_e32 v77, 28, v1
	v_lshlrev_b64_e32 v[78:79], v77, v[9:10]
	v_sub_nc_u32_e32 v77, 29, v1
	s_delay_alu instid0(VALU_DEP_2)
	v_and_b32_e32 v1, 7, v78
; %bb.464:                              ;   in Loop: Header=BB300_11 Depth=1
	s_or_b32 exec_lo, exec_lo, s36
	v_lshlrev_b32_e32 v78, 8, v9
	s_delay_alu instid0(VALU_DEP_3) | instskip(NEXT) | instid1(VALU_DEP_3)
	v_lshl_add_u32 v77, v77, 10, 0x2000
	v_lshlrev_b32_e32 v1, 7, v1
	s_delay_alu instid0(VALU_DEP_3) | instskip(NEXT) | instid1(VALU_DEP_3)
	v_and_b32_e32 v78, 0x8000, v78
	v_and_b32_e32 v77, 0xfc00, v77
	s_delay_alu instid0(VALU_DEP_1)
	v_or3_b32 v77, v78, v77, v1
.LBB300_465:                            ;   in Loop: Header=BB300_11 Depth=1
	s_wait_alu 0xfffe
	s_or_b32 exec_lo, exec_lo, s35
.LBB300_466:                            ;   in Loop: Header=BB300_11 Depth=1
	s_wait_alu 0xfffe
	s_or_b32 exec_lo, exec_lo, s34
.LBB300_467:                            ;   in Loop: Header=BB300_11 Depth=1
	s_wait_alu 0xfffe
	s_or_b32 exec_lo, exec_lo, s4
	v_lshrrev_b16 v1, 8, v9
	v_dual_mov_b32 v81, 0 :: v_dual_mov_b32 v78, 0
	s_mov_b32 s4, exec_lo
	s_delay_alu instid0(VALU_DEP_2)
	v_cmpx_ne_u16_e32 0, v1
	s_cbranch_execz .LBB300_475
; %bb.468:                              ;   in Loop: Header=BB300_11 Depth=1
	v_bfrev_b32_e32 v78, 1
	s_mov_b32 s34, exec_lo
	v_cmpx_ne_u16_e32 0x80, v1
	s_cbranch_execz .LBB300_474
; %bb.469:                              ;   in Loop: Header=BB300_11 Depth=1
	v_and_b32_e32 v79, 0xffff, v1
	v_mov_b32_e32 v78, 0x7c010000
	s_mov_b32 s35, exec_lo
	s_delay_alu instid0(VALU_DEP_2) | instskip(NEXT) | instid1(VALU_DEP_1)
	v_and_b32_e32 v82, 0x7f, v79
	v_cmpx_ne_u32_e32 0x7f, v82
	s_cbranch_execz .LBB300_473
; %bb.470:                              ;   in Loop: Header=BB300_11 Depth=1
	v_and_b32_e32 v78, 7, v79
	v_lshrrev_b32_e32 v80, 3, v82
	s_mov_b32 s36, exec_lo
	v_cmpx_gt_u32_e32 8, v82
; %bb.471:                              ;   in Loop: Header=BB300_11 Depth=1
	s_delay_alu instid0(VALU_DEP_3) | instskip(NEXT) | instid1(VALU_DEP_1)
	v_clz_i32_u32_e32 v78, v78
	v_min_u32_e32 v78, 32, v78
	s_delay_alu instid0(VALU_DEP_1) | instskip(NEXT) | instid1(VALU_DEP_1)
	v_subrev_nc_u32_e32 v80, 28, v78
	v_lshlrev_b64_e32 v[82:83], v80, v[1:2]
	v_sub_nc_u32_e32 v80, 29, v78
	s_delay_alu instid0(VALU_DEP_2)
	v_and_b32_e32 v78, 7, v82
; %bb.472:                              ;   in Loop: Header=BB300_11 Depth=1
	s_or_b32 exec_lo, exec_lo, s36
	v_lshlrev_b32_e32 v1, 8, v79
	s_delay_alu instid0(VALU_DEP_3) | instskip(NEXT) | instid1(VALU_DEP_3)
	v_lshl_add_u32 v79, v80, 10, 0x2000
	v_lshlrev_b32_e32 v78, 23, v78
	s_delay_alu instid0(VALU_DEP_2) | instskip(NEXT) | instid1(VALU_DEP_1)
	v_and_or_b32 v1, 0x8000, v1, v79
	v_lshl_or_b32 v78, v1, 16, v78
.LBB300_473:                            ;   in Loop: Header=BB300_11 Depth=1
	s_wait_alu 0xfffe
	s_or_b32 exec_lo, exec_lo, s35
.LBB300_474:                            ;   in Loop: Header=BB300_11 Depth=1
	s_wait_alu 0xfffe
	s_or_b32 exec_lo, exec_lo, s34
.LBB300_475:                            ;   in Loop: Header=BB300_11 Depth=1
	s_wait_alu 0xfffe
	s_or_b32 exec_lo, exec_lo, s4
	v_lshrrev_b32_e32 v1, 16, v9
	s_mov_b32 s4, exec_lo
	s_delay_alu instid0(VALU_DEP_1) | instskip(NEXT) | instid1(VALU_DEP_1)
	v_and_b32_e32 v79, 0xff, v1
	v_cmpx_ne_u16_e32 0, v79
	s_cbranch_execz .LBB300_483
; %bb.476:                              ;   in Loop: Header=BB300_11 Depth=1
	v_mov_b32_e32 v81, 0x8000
	s_mov_b32 s34, exec_lo
	v_cmpx_ne_u16_e32 0x80, v79
	s_cbranch_execz .LBB300_482
; %bb.477:                              ;   in Loop: Header=BB300_11 Depth=1
	v_bfe_u32 v82, v9, 16, 7
	v_mov_b32_e32 v81, 0x7c01
	s_mov_b32 s35, exec_lo
	s_delay_alu instid0(VALU_DEP_2)
	v_cmpx_ne_u32_e32 0x7f, v82
	s_cbranch_execz .LBB300_481
; %bb.478:                              ;   in Loop: Header=BB300_11 Depth=1
	v_and_b32_e32 v79, 7, v1
	v_lshrrev_b32_e32 v80, 3, v82
	s_mov_b32 s36, exec_lo
	v_cmpx_gt_u32_e32 8, v82
; %bb.479:                              ;   in Loop: Header=BB300_11 Depth=1
	s_delay_alu instid0(VALU_DEP_3) | instskip(NEXT) | instid1(VALU_DEP_1)
	v_clz_i32_u32_e32 v79, v79
	v_min_u32_e32 v81, 32, v79
	s_delay_alu instid0(VALU_DEP_1) | instskip(NEXT) | instid1(VALU_DEP_1)
	v_subrev_nc_u32_e32 v79, 28, v81
	v_lshlrev_b64_e32 v[79:80], v79, v[1:2]
	v_sub_nc_u32_e32 v80, 29, v81
	s_delay_alu instid0(VALU_DEP_2)
	v_and_b32_e32 v79, 7, v79
; %bb.480:                              ;   in Loop: Header=BB300_11 Depth=1
	s_or_b32 exec_lo, exec_lo, s36
	v_lshlrev_b32_e32 v1, 8, v1
	s_delay_alu instid0(VALU_DEP_3) | instskip(NEXT) | instid1(VALU_DEP_3)
	v_lshl_add_u32 v80, v80, 10, 0x2000
	v_lshlrev_b32_e32 v79, 7, v79
	s_delay_alu instid0(VALU_DEP_3) | instskip(NEXT) | instid1(VALU_DEP_3)
	v_and_b32_e32 v1, 0x8000, v1
	v_and_b32_e32 v80, 0xfc00, v80
	s_delay_alu instid0(VALU_DEP_1)
	v_or3_b32 v81, v1, v80, v79
.LBB300_481:                            ;   in Loop: Header=BB300_11 Depth=1
	s_wait_alu 0xfffe
	s_or_b32 exec_lo, exec_lo, s35
.LBB300_482:                            ;   in Loop: Header=BB300_11 Depth=1
	s_wait_alu 0xfffe
	s_or_b32 exec_lo, exec_lo, s34
.LBB300_483:                            ;   in Loop: Header=BB300_11 Depth=1
	s_wait_alu 0xfffe
	s_or_b32 exec_lo, exec_lo, s4
	v_mov_b32_e32 v80, 0
	v_mov_b32_e32 v84, 0
	s_mov_b32 s4, exec_lo
	v_cmpx_lt_u32_e32 0xffffff, v9
	s_cbranch_execz .LBB300_491
; %bb.484:                              ;   in Loop: Header=BB300_11 Depth=1
	v_lshrrev_b32_e32 v1, 24, v9
	v_bfrev_b32_e32 v84, 1
	s_mov_b32 s34, exec_lo
	s_delay_alu instid0(VALU_DEP_2)
	v_cmpx_ne_u32_e32 0x80, v1
	s_cbranch_execz .LBB300_490
; %bb.485:                              ;   in Loop: Header=BB300_11 Depth=1
	v_and_b32_e32 v83, 0x7f, v1
	v_mov_b32_e32 v84, 0x7c010000
	s_mov_b32 s35, exec_lo
	s_delay_alu instid0(VALU_DEP_2)
	v_cmpx_ne_u32_e32 0x7f, v83
	s_cbranch_execz .LBB300_489
; %bb.486:                              ;   in Loop: Header=BB300_11 Depth=1
	v_and_b32_e32 v79, 7, v1
	v_lshrrev_b32_e32 v82, 3, v83
	s_mov_b32 s36, exec_lo
	v_cmpx_gt_u32_e32 8, v83
; %bb.487:                              ;   in Loop: Header=BB300_11 Depth=1
	s_delay_alu instid0(VALU_DEP_3) | instskip(NEXT) | instid1(VALU_DEP_1)
	v_clz_i32_u32_e32 v79, v79
	v_min_u32_e32 v79, 32, v79
	s_delay_alu instid0(VALU_DEP_1) | instskip(NEXT) | instid1(VALU_DEP_1)
	v_subrev_nc_u32_e32 v82, 28, v79
	v_lshlrev_b64_e32 v[83:84], v82, v[1:2]
	v_sub_nc_u32_e32 v82, 29, v79
	s_delay_alu instid0(VALU_DEP_2)
	v_and_b32_e32 v79, 7, v83
; %bb.488:                              ;   in Loop: Header=BB300_11 Depth=1
	s_or_b32 exec_lo, exec_lo, s36
	v_lshlrev_b32_e32 v1, 8, v1
	s_delay_alu instid0(VALU_DEP_3) | instskip(NEXT) | instid1(VALU_DEP_3)
	v_lshl_add_u32 v82, v82, 10, 0x2000
	v_lshlrev_b32_e32 v79, 23, v79
	s_delay_alu instid0(VALU_DEP_2) | instskip(NEXT) | instid1(VALU_DEP_1)
	v_and_or_b32 v1, 0x8000, v1, v82
	v_lshl_or_b32 v84, v1, 16, v79
.LBB300_489:                            ;   in Loop: Header=BB300_11 Depth=1
	s_wait_alu 0xfffe
	s_or_b32 exec_lo, exec_lo, s35
.LBB300_490:                            ;   in Loop: Header=BB300_11 Depth=1
	s_wait_alu 0xfffe
	s_or_b32 exec_lo, exec_lo, s34
.LBB300_491:                            ;   in Loop: Header=BB300_11 Depth=1
	s_wait_alu 0xfffe
	s_or_b32 exec_lo, exec_lo, s4
	v_and_b32_e32 v79, 0xff, v10
	v_mov_b32_e32 v1, v10
	s_mov_b32 s4, exec_lo
	s_delay_alu instid0(VALU_DEP_2)
	v_cmpx_ne_u16_e32 0, v79
	s_cbranch_execz .LBB300_499
; %bb.492:                              ;   in Loop: Header=BB300_11 Depth=1
	v_mov_b32_e32 v80, 0x8000
	s_mov_b32 s34, exec_lo
	v_cmpx_ne_u16_e32 0x80, v79
	s_cbranch_execz .LBB300_498
; %bb.493:                              ;   in Loop: Header=BB300_11 Depth=1
	v_and_b32_e32 v82, 0x7f, v10
	v_mov_b32_e32 v80, 0x7c01
	s_mov_b32 s35, exec_lo
	s_delay_alu instid0(VALU_DEP_2)
	v_cmpx_ne_u32_e32 0x7f, v82
	s_cbranch_execz .LBB300_497
; %bb.494:                              ;   in Loop: Header=BB300_11 Depth=1
	v_and_b32_e32 v79, 7, v10
	v_lshrrev_b32_e32 v80, 3, v82
	s_mov_b32 s36, exec_lo
	v_cmpx_gt_u32_e32 8, v82
; %bb.495:                              ;   in Loop: Header=BB300_11 Depth=1
	s_delay_alu instid0(VALU_DEP_3) | instskip(NEXT) | instid1(VALU_DEP_1)
	v_clz_i32_u32_e32 v79, v79
	v_min_u32_e32 v82, 32, v79
	s_delay_alu instid0(VALU_DEP_1) | instskip(NEXT) | instid1(VALU_DEP_1)
	v_subrev_nc_u32_e32 v79, 28, v82
	v_lshlrev_b64_e32 v[79:80], v79, v[1:2]
	v_sub_nc_u32_e32 v80, 29, v82
	s_delay_alu instid0(VALU_DEP_2)
	v_and_b32_e32 v79, 7, v79
; %bb.496:                              ;   in Loop: Header=BB300_11 Depth=1
	s_or_b32 exec_lo, exec_lo, s36
	v_lshlrev_b32_e32 v82, 8, v10
	s_delay_alu instid0(VALU_DEP_3) | instskip(NEXT) | instid1(VALU_DEP_3)
	v_lshl_add_u32 v80, v80, 10, 0x2000
	v_lshlrev_b32_e32 v79, 7, v79
	s_delay_alu instid0(VALU_DEP_3) | instskip(NEXT) | instid1(VALU_DEP_3)
	v_and_b32_e32 v82, 0x8000, v82
	v_and_b32_e32 v80, 0xfc00, v80
	s_delay_alu instid0(VALU_DEP_1)
	v_or3_b32 v80, v82, v80, v79
.LBB300_497:                            ;   in Loop: Header=BB300_11 Depth=1
	s_wait_alu 0xfffe
	s_or_b32 exec_lo, exec_lo, s35
.LBB300_498:                            ;   in Loop: Header=BB300_11 Depth=1
	s_wait_alu 0xfffe
	s_or_b32 exec_lo, exec_lo, s34
.LBB300_499:                            ;   in Loop: Header=BB300_11 Depth=1
	s_wait_alu 0xfffe
	s_or_b32 exec_lo, exec_lo, s4
	v_lshrrev_b16 v1, 8, v1
	v_mov_b32_e32 v83, 0
	v_mov_b32_e32 v79, 0
	s_mov_b32 s4, exec_lo
	s_delay_alu instid0(VALU_DEP_3)
	v_cmpx_ne_u16_e32 0, v1
	s_cbranch_execz .LBB300_507
; %bb.500:                              ;   in Loop: Header=BB300_11 Depth=1
	v_bfrev_b32_e32 v79, 1
	s_mov_b32 s34, exec_lo
	v_cmpx_ne_u16_e32 0x80, v1
	s_cbranch_execz .LBB300_506
; %bb.501:                              ;   in Loop: Header=BB300_11 Depth=1
	v_and_b32_e32 v82, 0xffff, v1
	v_mov_b32_e32 v79, 0x7c010000
	s_mov_b32 s35, exec_lo
	s_delay_alu instid0(VALU_DEP_2) | instskip(NEXT) | instid1(VALU_DEP_1)
	v_and_b32_e32 v86, 0x7f, v82
	v_cmpx_ne_u32_e32 0x7f, v86
	s_cbranch_execz .LBB300_505
; %bb.502:                              ;   in Loop: Header=BB300_11 Depth=1
	v_and_b32_e32 v79, 7, v82
	v_lshrrev_b32_e32 v85, 3, v86
	s_mov_b32 s36, exec_lo
	v_cmpx_gt_u32_e32 8, v86
; %bb.503:                              ;   in Loop: Header=BB300_11 Depth=1
	s_delay_alu instid0(VALU_DEP_3) | instskip(NEXT) | instid1(VALU_DEP_1)
	v_clz_i32_u32_e32 v79, v79
	v_min_u32_e32 v79, 32, v79
	s_delay_alu instid0(VALU_DEP_1) | instskip(NEXT) | instid1(VALU_DEP_1)
	v_subrev_nc_u32_e32 v85, 28, v79
	v_lshlrev_b64_e32 v[86:87], v85, v[1:2]
	v_sub_nc_u32_e32 v85, 29, v79
	s_delay_alu instid0(VALU_DEP_2)
	v_and_b32_e32 v79, 7, v86
; %bb.504:                              ;   in Loop: Header=BB300_11 Depth=1
	s_or_b32 exec_lo, exec_lo, s36
	v_lshlrev_b32_e32 v1, 8, v82
	s_delay_alu instid0(VALU_DEP_3) | instskip(NEXT) | instid1(VALU_DEP_3)
	v_lshl_add_u32 v82, v85, 10, 0x2000
	v_lshlrev_b32_e32 v79, 23, v79
	s_delay_alu instid0(VALU_DEP_2) | instskip(NEXT) | instid1(VALU_DEP_1)
	v_and_or_b32 v1, 0x8000, v1, v82
	v_lshl_or_b32 v79, v1, 16, v79
.LBB300_505:                            ;   in Loop: Header=BB300_11 Depth=1
	s_wait_alu 0xfffe
	s_or_b32 exec_lo, exec_lo, s35
.LBB300_506:                            ;   in Loop: Header=BB300_11 Depth=1
	s_wait_alu 0xfffe
	s_or_b32 exec_lo, exec_lo, s34
.LBB300_507:                            ;   in Loop: Header=BB300_11 Depth=1
	s_wait_alu 0xfffe
	s_or_b32 exec_lo, exec_lo, s4
	v_lshrrev_b32_e32 v1, 16, v10
	s_mov_b32 s4, exec_lo
	s_delay_alu instid0(VALU_DEP_1) | instskip(NEXT) | instid1(VALU_DEP_1)
	v_and_b32_e32 v82, 0xff, v1
	v_cmpx_ne_u16_e32 0, v82
	s_cbranch_execz .LBB300_515
; %bb.508:                              ;   in Loop: Header=BB300_11 Depth=1
	v_mov_b32_e32 v83, 0x8000
	s_mov_b32 s34, exec_lo
	v_cmpx_ne_u16_e32 0x80, v82
	s_cbranch_execz .LBB300_514
; %bb.509:                              ;   in Loop: Header=BB300_11 Depth=1
	v_bfe_u32 v85, v10, 16, 7
	v_mov_b32_e32 v83, 0x7c01
	s_mov_b32 s35, exec_lo
	s_delay_alu instid0(VALU_DEP_2)
	v_cmpx_ne_u32_e32 0x7f, v85
	s_cbranch_execz .LBB300_513
; %bb.510:                              ;   in Loop: Header=BB300_11 Depth=1
	v_and_b32_e32 v82, 7, v1
	v_lshrrev_b32_e32 v83, 3, v85
	s_mov_b32 s36, exec_lo
	v_cmpx_gt_u32_e32 8, v85
; %bb.511:                              ;   in Loop: Header=BB300_11 Depth=1
	s_delay_alu instid0(VALU_DEP_3) | instskip(NEXT) | instid1(VALU_DEP_1)
	v_clz_i32_u32_e32 v82, v82
	v_min_u32_e32 v85, 32, v82
	s_delay_alu instid0(VALU_DEP_1) | instskip(NEXT) | instid1(VALU_DEP_1)
	v_subrev_nc_u32_e32 v82, 28, v85
	v_lshlrev_b64_e32 v[82:83], v82, v[1:2]
	v_sub_nc_u32_e32 v83, 29, v85
	s_delay_alu instid0(VALU_DEP_2)
	v_and_b32_e32 v82, 7, v82
; %bb.512:                              ;   in Loop: Header=BB300_11 Depth=1
	s_or_b32 exec_lo, exec_lo, s36
	v_lshlrev_b32_e32 v1, 8, v1
	s_delay_alu instid0(VALU_DEP_3) | instskip(NEXT) | instid1(VALU_DEP_3)
	v_lshl_add_u32 v83, v83, 10, 0x2000
	v_lshlrev_b32_e32 v82, 7, v82
	s_delay_alu instid0(VALU_DEP_3) | instskip(NEXT) | instid1(VALU_DEP_3)
	v_and_b32_e32 v1, 0x8000, v1
	v_and_b32_e32 v83, 0xfc00, v83
	s_delay_alu instid0(VALU_DEP_1)
	v_or3_b32 v83, v1, v83, v82
.LBB300_513:                            ;   in Loop: Header=BB300_11 Depth=1
	s_wait_alu 0xfffe
	s_or_b32 exec_lo, exec_lo, s35
.LBB300_514:                            ;   in Loop: Header=BB300_11 Depth=1
	s_wait_alu 0xfffe
	s_or_b32 exec_lo, exec_lo, s34
.LBB300_515:                            ;   in Loop: Header=BB300_11 Depth=1
	s_wait_alu 0xfffe
	s_or_b32 exec_lo, exec_lo, s4
	v_dual_mov_b32 v85, 0 :: v_dual_mov_b32 v82, 0
	s_mov_b32 s4, exec_lo
	v_cmpx_lt_u64_e64 s[6:7], v[9:10]
	s_cbranch_execz .LBB300_523
; %bb.516:                              ;   in Loop: Header=BB300_11 Depth=1
	v_lshrrev_b32_e32 v1, 24, v10
	v_bfrev_b32_e32 v82, 1
	s_mov_b32 s34, exec_lo
	s_delay_alu instid0(VALU_DEP_2)
	v_cmpx_ne_u32_e32 0x80, v1
	s_cbranch_execz .LBB300_522
; %bb.517:                              ;   in Loop: Header=BB300_11 Depth=1
	v_and_b32_e32 v86, 0x7f, v1
	v_mov_b32_e32 v82, 0x7c010000
	s_mov_b32 s35, exec_lo
	s_delay_alu instid0(VALU_DEP_2)
	v_cmpx_ne_u32_e32 0x7f, v86
	s_cbranch_execz .LBB300_521
; %bb.518:                              ;   in Loop: Header=BB300_11 Depth=1
	v_and_b32_e32 v9, 7, v1
	v_lshrrev_b32_e32 v10, 3, v86
	s_mov_b32 s36, exec_lo
	v_cmpx_gt_u32_e32 8, v86
; %bb.519:                              ;   in Loop: Header=BB300_11 Depth=1
	s_delay_alu instid0(VALU_DEP_3) | instskip(NEXT) | instid1(VALU_DEP_1)
	v_clz_i32_u32_e32 v9, v9
	v_min_u32_e32 v82, 32, v9
	s_delay_alu instid0(VALU_DEP_1) | instskip(NEXT) | instid1(VALU_DEP_1)
	v_subrev_nc_u32_e32 v9, 28, v82
	v_lshlrev_b64_e32 v[9:10], v9, v[1:2]
	v_sub_nc_u32_e32 v10, 29, v82
	s_delay_alu instid0(VALU_DEP_2)
	v_and_b32_e32 v9, 7, v9
; %bb.520:                              ;   in Loop: Header=BB300_11 Depth=1
	s_or_b32 exec_lo, exec_lo, s36
	v_lshlrev_b32_e32 v1, 8, v1
	s_delay_alu instid0(VALU_DEP_3) | instskip(NEXT) | instid1(VALU_DEP_3)
	v_lshl_add_u32 v10, v10, 10, 0x2000
	v_lshlrev_b32_e32 v9, 23, v9
	s_delay_alu instid0(VALU_DEP_2) | instskip(NEXT) | instid1(VALU_DEP_1)
	v_and_or_b32 v1, 0x8000, v1, v10
	v_lshl_or_b32 v82, v1, 16, v9
.LBB300_521:                            ;   in Loop: Header=BB300_11 Depth=1
	s_wait_alu 0xfffe
	s_or_b32 exec_lo, exec_lo, s35
.LBB300_522:                            ;   in Loop: Header=BB300_11 Depth=1
	s_wait_alu 0xfffe
	s_or_b32 exec_lo, exec_lo, s34
.LBB300_523:                            ;   in Loop: Header=BB300_11 Depth=1
	s_wait_alu 0xfffe
	s_or_b32 exec_lo, exec_lo, s4
	global_load_b64 v[9:10], v[7:8], off offset:2048
	s_mov_b32 s4, exec_lo
	s_wait_loadcnt 0x0
	v_and_b32_e32 v1, 0xff, v9
	s_delay_alu instid0(VALU_DEP_1)
	v_cmpx_ne_u16_e32 0, v1
	s_cbranch_execz .LBB300_531
; %bb.524:                              ;   in Loop: Header=BB300_11 Depth=1
	v_mov_b32_e32 v85, 0x8000
	s_mov_b32 s34, exec_lo
	v_cmpx_ne_u16_e32 0x80, v1
	s_cbranch_execz .LBB300_530
; %bb.525:                              ;   in Loop: Header=BB300_11 Depth=1
	v_and_b32_e32 v86, 0x7f, v9
	v_mov_b32_e32 v85, 0x7c01
	s_mov_b32 s35, exec_lo
	s_delay_alu instid0(VALU_DEP_2)
	v_cmpx_ne_u32_e32 0x7f, v86
	s_cbranch_execz .LBB300_529
; %bb.526:                              ;   in Loop: Header=BB300_11 Depth=1
	v_and_b32_e32 v1, 7, v9
	v_lshrrev_b32_e32 v85, 3, v86
	s_mov_b32 s36, exec_lo
	v_cmpx_gt_u32_e32 8, v86
; %bb.527:                              ;   in Loop: Header=BB300_11 Depth=1
	s_delay_alu instid0(VALU_DEP_3) | instskip(NEXT) | instid1(VALU_DEP_1)
	v_clz_i32_u32_e32 v1, v1
	v_min_u32_e32 v1, 32, v1
	s_delay_alu instid0(VALU_DEP_1) | instskip(NEXT) | instid1(VALU_DEP_1)
	v_subrev_nc_u32_e32 v85, 28, v1
	v_lshlrev_b64_e32 v[86:87], v85, v[9:10]
	v_sub_nc_u32_e32 v85, 29, v1
	s_delay_alu instid0(VALU_DEP_2)
	v_and_b32_e32 v1, 7, v86
; %bb.528:                              ;   in Loop: Header=BB300_11 Depth=1
	s_or_b32 exec_lo, exec_lo, s36
	v_lshlrev_b32_e32 v86, 8, v9
	s_delay_alu instid0(VALU_DEP_3) | instskip(NEXT) | instid1(VALU_DEP_3)
	v_lshl_add_u32 v85, v85, 10, 0x2000
	v_lshlrev_b32_e32 v1, 7, v1
	s_delay_alu instid0(VALU_DEP_3) | instskip(NEXT) | instid1(VALU_DEP_3)
	v_and_b32_e32 v86, 0x8000, v86
	v_and_b32_e32 v85, 0xfc00, v85
	s_delay_alu instid0(VALU_DEP_1)
	v_or3_b32 v85, v86, v85, v1
.LBB300_529:                            ;   in Loop: Header=BB300_11 Depth=1
	s_wait_alu 0xfffe
	s_or_b32 exec_lo, exec_lo, s35
.LBB300_530:                            ;   in Loop: Header=BB300_11 Depth=1
	s_wait_alu 0xfffe
	s_or_b32 exec_lo, exec_lo, s34
.LBB300_531:                            ;   in Loop: Header=BB300_11 Depth=1
	s_wait_alu 0xfffe
	s_or_b32 exec_lo, exec_lo, s4
	v_lshrrev_b16 v1, 8, v9
	v_dual_mov_b32 v91, 0 :: v_dual_mov_b32 v90, 0
	s_mov_b32 s4, exec_lo
	s_delay_alu instid0(VALU_DEP_2)
	v_cmpx_ne_u16_e32 0, v1
	s_cbranch_execz .LBB300_539
; %bb.532:                              ;   in Loop: Header=BB300_11 Depth=1
	v_bfrev_b32_e32 v90, 1
	s_mov_b32 s34, exec_lo
	v_cmpx_ne_u16_e32 0x80, v1
	s_cbranch_execz .LBB300_538
; %bb.533:                              ;   in Loop: Header=BB300_11 Depth=1
	v_and_b32_e32 v86, 0xffff, v1
	v_mov_b32_e32 v90, 0x7c010000
	s_mov_b32 s35, exec_lo
	s_delay_alu instid0(VALU_DEP_2) | instskip(NEXT) | instid1(VALU_DEP_1)
	v_and_b32_e32 v89, 0x7f, v86
	v_cmpx_ne_u32_e32 0x7f, v89
	s_cbranch_execz .LBB300_537
; %bb.534:                              ;   in Loop: Header=BB300_11 Depth=1
	v_and_b32_e32 v87, 7, v86
	v_lshrrev_b32_e32 v88, 3, v89
	s_mov_b32 s36, exec_lo
	v_cmpx_gt_u32_e32 8, v89
; %bb.535:                              ;   in Loop: Header=BB300_11 Depth=1
	s_delay_alu instid0(VALU_DEP_3) | instskip(NEXT) | instid1(VALU_DEP_1)
	v_clz_i32_u32_e32 v87, v87
	v_min_u32_e32 v89, 32, v87
	s_delay_alu instid0(VALU_DEP_1) | instskip(NEXT) | instid1(VALU_DEP_1)
	v_subrev_nc_u32_e32 v87, 28, v89
	v_lshlrev_b64_e32 v[87:88], v87, v[1:2]
	v_sub_nc_u32_e32 v88, 29, v89
	s_delay_alu instid0(VALU_DEP_2)
	v_and_b32_e32 v87, 7, v87
; %bb.536:                              ;   in Loop: Header=BB300_11 Depth=1
	s_or_b32 exec_lo, exec_lo, s36
	v_lshlrev_b32_e32 v1, 8, v86
	s_delay_alu instid0(VALU_DEP_3) | instskip(NEXT) | instid1(VALU_DEP_1)
	v_lshl_add_u32 v86, v88, 10, 0x2000
	v_and_or_b32 v1, 0x8000, v1, v86
	v_lshlrev_b32_e32 v86, 23, v87
	s_delay_alu instid0(VALU_DEP_1)
	v_lshl_or_b32 v90, v1, 16, v86
.LBB300_537:                            ;   in Loop: Header=BB300_11 Depth=1
	s_wait_alu 0xfffe
	s_or_b32 exec_lo, exec_lo, s35
.LBB300_538:                            ;   in Loop: Header=BB300_11 Depth=1
	s_wait_alu 0xfffe
	s_or_b32 exec_lo, exec_lo, s34
.LBB300_539:                            ;   in Loop: Header=BB300_11 Depth=1
	s_wait_alu 0xfffe
	s_or_b32 exec_lo, exec_lo, s4
	v_lshrrev_b32_e32 v1, 16, v9
	s_mov_b32 s4, exec_lo
	s_delay_alu instid0(VALU_DEP_1) | instskip(NEXT) | instid1(VALU_DEP_1)
	v_and_b32_e32 v86, 0xff, v1
	v_cmpx_ne_u16_e32 0, v86
	s_cbranch_execz .LBB300_547
; %bb.540:                              ;   in Loop: Header=BB300_11 Depth=1
	v_mov_b32_e32 v91, 0x8000
	s_mov_b32 s34, exec_lo
	v_cmpx_ne_u16_e32 0x80, v86
	s_cbranch_execz .LBB300_546
; %bb.541:                              ;   in Loop: Header=BB300_11 Depth=1
	v_bfe_u32 v88, v9, 16, 7
	v_mov_b32_e32 v91, 0x7c01
	s_mov_b32 s35, exec_lo
	s_delay_alu instid0(VALU_DEP_2)
	v_cmpx_ne_u32_e32 0x7f, v88
	s_cbranch_execz .LBB300_545
; %bb.542:                              ;   in Loop: Header=BB300_11 Depth=1
	v_and_b32_e32 v86, 7, v1
	v_lshrrev_b32_e32 v87, 3, v88
	s_mov_b32 s36, exec_lo
	v_cmpx_gt_u32_e32 8, v88
; %bb.543:                              ;   in Loop: Header=BB300_11 Depth=1
	s_delay_alu instid0(VALU_DEP_3) | instskip(NEXT) | instid1(VALU_DEP_1)
	v_clz_i32_u32_e32 v86, v86
	v_min_u32_e32 v88, 32, v86
	s_delay_alu instid0(VALU_DEP_1) | instskip(NEXT) | instid1(VALU_DEP_1)
	v_subrev_nc_u32_e32 v86, 28, v88
	v_lshlrev_b64_e32 v[86:87], v86, v[1:2]
	v_sub_nc_u32_e32 v87, 29, v88
	s_delay_alu instid0(VALU_DEP_2)
	v_and_b32_e32 v86, 7, v86
; %bb.544:                              ;   in Loop: Header=BB300_11 Depth=1
	s_or_b32 exec_lo, exec_lo, s36
	v_lshlrev_b32_e32 v1, 8, v1
	s_delay_alu instid0(VALU_DEP_3) | instskip(NEXT) | instid1(VALU_DEP_3)
	v_lshl_add_u32 v87, v87, 10, 0x2000
	v_lshlrev_b32_e32 v86, 7, v86
	s_delay_alu instid0(VALU_DEP_3) | instskip(NEXT) | instid1(VALU_DEP_3)
	v_and_b32_e32 v1, 0x8000, v1
	v_and_b32_e32 v87, 0xfc00, v87
	s_delay_alu instid0(VALU_DEP_1)
	v_or3_b32 v91, v1, v87, v86
.LBB300_545:                            ;   in Loop: Header=BB300_11 Depth=1
	s_wait_alu 0xfffe
	s_or_b32 exec_lo, exec_lo, s35
.LBB300_546:                            ;   in Loop: Header=BB300_11 Depth=1
	s_wait_alu 0xfffe
	s_or_b32 exec_lo, exec_lo, s34
.LBB300_547:                            ;   in Loop: Header=BB300_11 Depth=1
	s_wait_alu 0xfffe
	s_or_b32 exec_lo, exec_lo, s4
	v_mov_b32_e32 v89, 0
	v_mov_b32_e32 v97, 0
	s_mov_b32 s4, exec_lo
	v_cmpx_lt_u32_e32 0xffffff, v9
	s_cbranch_execz .LBB300_555
; %bb.548:                              ;   in Loop: Header=BB300_11 Depth=1
	v_lshrrev_b32_e32 v1, 24, v9
	v_bfrev_b32_e32 v97, 1
	s_mov_b32 s34, exec_lo
	s_delay_alu instid0(VALU_DEP_2)
	v_cmpx_ne_u32_e32 0x80, v1
	s_cbranch_execz .LBB300_554
; %bb.549:                              ;   in Loop: Header=BB300_11 Depth=1
	v_and_b32_e32 v88, 0x7f, v1
	v_mov_b32_e32 v97, 0x7c010000
	s_mov_b32 s35, exec_lo
	s_delay_alu instid0(VALU_DEP_2)
	v_cmpx_ne_u32_e32 0x7f, v88
	s_cbranch_execz .LBB300_553
; %bb.550:                              ;   in Loop: Header=BB300_11 Depth=1
	v_and_b32_e32 v86, 7, v1
	v_lshrrev_b32_e32 v87, 3, v88
	s_mov_b32 s36, exec_lo
	v_cmpx_gt_u32_e32 8, v88
; %bb.551:                              ;   in Loop: Header=BB300_11 Depth=1
	s_delay_alu instid0(VALU_DEP_3) | instskip(NEXT) | instid1(VALU_DEP_1)
	v_clz_i32_u32_e32 v86, v86
	v_min_u32_e32 v88, 32, v86
	s_delay_alu instid0(VALU_DEP_1) | instskip(NEXT) | instid1(VALU_DEP_1)
	v_subrev_nc_u32_e32 v86, 28, v88
	v_lshlrev_b64_e32 v[86:87], v86, v[1:2]
	v_sub_nc_u32_e32 v87, 29, v88
	s_delay_alu instid0(VALU_DEP_2)
	v_and_b32_e32 v86, 7, v86
; %bb.552:                              ;   in Loop: Header=BB300_11 Depth=1
	s_or_b32 exec_lo, exec_lo, s36
	v_lshlrev_b32_e32 v1, 8, v1
	s_delay_alu instid0(VALU_DEP_3) | instskip(NEXT) | instid1(VALU_DEP_3)
	v_lshl_add_u32 v87, v87, 10, 0x2000
	v_lshlrev_b32_e32 v86, 23, v86
	s_delay_alu instid0(VALU_DEP_2) | instskip(NEXT) | instid1(VALU_DEP_1)
	v_and_or_b32 v1, 0x8000, v1, v87
	v_lshl_or_b32 v97, v1, 16, v86
.LBB300_553:                            ;   in Loop: Header=BB300_11 Depth=1
	s_wait_alu 0xfffe
	s_or_b32 exec_lo, exec_lo, s35
.LBB300_554:                            ;   in Loop: Header=BB300_11 Depth=1
	s_wait_alu 0xfffe
	s_or_b32 exec_lo, exec_lo, s34
.LBB300_555:                            ;   in Loop: Header=BB300_11 Depth=1
	s_wait_alu 0xfffe
	s_or_b32 exec_lo, exec_lo, s4
	v_dual_mov_b32 v1, v10 :: v_dual_and_b32 v86, 0xff, v10
	s_mov_b32 s4, exec_lo
	s_delay_alu instid0(VALU_DEP_1)
	v_cmpx_ne_u16_e32 0, v86
	s_cbranch_execz .LBB300_563
; %bb.556:                              ;   in Loop: Header=BB300_11 Depth=1
	v_mov_b32_e32 v89, 0x8000
	s_mov_b32 s34, exec_lo
	v_cmpx_ne_u16_e32 0x80, v86
	s_cbranch_execz .LBB300_562
; %bb.557:                              ;   in Loop: Header=BB300_11 Depth=1
	v_and_b32_e32 v88, 0x7f, v10
	v_mov_b32_e32 v89, 0x7c01
	s_mov_b32 s35, exec_lo
	s_delay_alu instid0(VALU_DEP_2)
	v_cmpx_ne_u32_e32 0x7f, v88
	s_cbranch_execz .LBB300_561
; %bb.558:                              ;   in Loop: Header=BB300_11 Depth=1
	v_and_b32_e32 v86, 7, v10
	v_lshrrev_b32_e32 v87, 3, v88
	s_mov_b32 s36, exec_lo
	v_cmpx_gt_u32_e32 8, v88
; %bb.559:                              ;   in Loop: Header=BB300_11 Depth=1
	s_delay_alu instid0(VALU_DEP_3) | instskip(NEXT) | instid1(VALU_DEP_1)
	v_clz_i32_u32_e32 v86, v86
	v_min_u32_e32 v88, 32, v86
	s_delay_alu instid0(VALU_DEP_1) | instskip(NEXT) | instid1(VALU_DEP_1)
	v_subrev_nc_u32_e32 v86, 28, v88
	v_lshlrev_b64_e32 v[86:87], v86, v[1:2]
	v_sub_nc_u32_e32 v87, 29, v88
	s_delay_alu instid0(VALU_DEP_2)
	v_and_b32_e32 v86, 7, v86
; %bb.560:                              ;   in Loop: Header=BB300_11 Depth=1
	s_or_b32 exec_lo, exec_lo, s36
	v_lshlrev_b32_e32 v88, 8, v10
	s_delay_alu instid0(VALU_DEP_3) | instskip(NEXT) | instid1(VALU_DEP_3)
	v_lshl_add_u32 v87, v87, 10, 0x2000
	v_lshlrev_b32_e32 v86, 7, v86
	s_delay_alu instid0(VALU_DEP_3) | instskip(NEXT) | instid1(VALU_DEP_3)
	v_and_b32_e32 v88, 0x8000, v88
	v_and_b32_e32 v87, 0xfc00, v87
	s_delay_alu instid0(VALU_DEP_1)
	v_or3_b32 v89, v88, v87, v86
.LBB300_561:                            ;   in Loop: Header=BB300_11 Depth=1
	s_wait_alu 0xfffe
	s_or_b32 exec_lo, exec_lo, s35
.LBB300_562:                            ;   in Loop: Header=BB300_11 Depth=1
	s_wait_alu 0xfffe
	s_or_b32 exec_lo, exec_lo, s34
.LBB300_563:                            ;   in Loop: Header=BB300_11 Depth=1
	s_wait_alu 0xfffe
	s_or_b32 exec_lo, exec_lo, s4
	v_lshrrev_b16 v1, 8, v1
	v_dual_mov_b32 v95, 0 :: v_dual_mov_b32 v96, 0
	s_mov_b32 s4, exec_lo
	s_delay_alu instid0(VALU_DEP_2)
	v_cmpx_ne_u16_e32 0, v1
	s_cbranch_execz .LBB300_571
; %bb.564:                              ;   in Loop: Header=BB300_11 Depth=1
	v_bfrev_b32_e32 v96, 1
	s_mov_b32 s34, exec_lo
	v_cmpx_ne_u16_e32 0x80, v1
	s_cbranch_execz .LBB300_570
; %bb.565:                              ;   in Loop: Header=BB300_11 Depth=1
	v_and_b32_e32 v86, 0xffff, v1
	v_mov_b32_e32 v96, 0x7c010000
	s_mov_b32 s35, exec_lo
	s_delay_alu instid0(VALU_DEP_2) | instskip(NEXT) | instid1(VALU_DEP_1)
	v_and_b32_e32 v92, 0x7f, v86
	v_cmpx_ne_u32_e32 0x7f, v92
	s_cbranch_execz .LBB300_569
; %bb.566:                              ;   in Loop: Header=BB300_11 Depth=1
	v_and_b32_e32 v87, 7, v86
	v_lshrrev_b32_e32 v88, 3, v92
	s_mov_b32 s36, exec_lo
	v_cmpx_gt_u32_e32 8, v92
; %bb.567:                              ;   in Loop: Header=BB300_11 Depth=1
	s_delay_alu instid0(VALU_DEP_3) | instskip(NEXT) | instid1(VALU_DEP_1)
	v_clz_i32_u32_e32 v87, v87
	v_min_u32_e32 v92, 32, v87
	s_delay_alu instid0(VALU_DEP_1) | instskip(NEXT) | instid1(VALU_DEP_1)
	v_subrev_nc_u32_e32 v87, 28, v92
	v_lshlrev_b64_e32 v[87:88], v87, v[1:2]
	v_sub_nc_u32_e32 v88, 29, v92
	s_delay_alu instid0(VALU_DEP_2)
	v_and_b32_e32 v87, 7, v87
; %bb.568:                              ;   in Loop: Header=BB300_11 Depth=1
	s_or_b32 exec_lo, exec_lo, s36
	v_lshlrev_b32_e32 v1, 8, v86
	s_delay_alu instid0(VALU_DEP_3) | instskip(NEXT) | instid1(VALU_DEP_1)
	v_lshl_add_u32 v86, v88, 10, 0x2000
	v_and_or_b32 v1, 0x8000, v1, v86
	v_lshlrev_b32_e32 v86, 23, v87
	s_delay_alu instid0(VALU_DEP_1)
	v_lshl_or_b32 v96, v1, 16, v86
.LBB300_569:                            ;   in Loop: Header=BB300_11 Depth=1
	s_wait_alu 0xfffe
	s_or_b32 exec_lo, exec_lo, s35
.LBB300_570:                            ;   in Loop: Header=BB300_11 Depth=1
	s_wait_alu 0xfffe
	s_or_b32 exec_lo, exec_lo, s34
.LBB300_571:                            ;   in Loop: Header=BB300_11 Depth=1
	s_wait_alu 0xfffe
	s_or_b32 exec_lo, exec_lo, s4
	v_lshrrev_b32_e32 v1, 16, v10
	s_mov_b32 s4, exec_lo
	s_delay_alu instid0(VALU_DEP_1) | instskip(NEXT) | instid1(VALU_DEP_1)
	v_and_b32_e32 v86, 0xff, v1
	v_cmpx_ne_u16_e32 0, v86
	s_cbranch_execz .LBB300_579
; %bb.572:                              ;   in Loop: Header=BB300_11 Depth=1
	v_mov_b32_e32 v95, 0x8000
	s_mov_b32 s34, exec_lo
	v_cmpx_ne_u16_e32 0x80, v86
	s_cbranch_execz .LBB300_578
; %bb.573:                              ;   in Loop: Header=BB300_11 Depth=1
	v_bfe_u32 v88, v10, 16, 7
	v_mov_b32_e32 v95, 0x7c01
	s_mov_b32 s35, exec_lo
	s_delay_alu instid0(VALU_DEP_2)
	v_cmpx_ne_u32_e32 0x7f, v88
	s_cbranch_execz .LBB300_577
; %bb.574:                              ;   in Loop: Header=BB300_11 Depth=1
	v_and_b32_e32 v86, 7, v1
	v_lshrrev_b32_e32 v87, 3, v88
	s_mov_b32 s36, exec_lo
	v_cmpx_gt_u32_e32 8, v88
; %bb.575:                              ;   in Loop: Header=BB300_11 Depth=1
	s_delay_alu instid0(VALU_DEP_3) | instskip(NEXT) | instid1(VALU_DEP_1)
	v_clz_i32_u32_e32 v86, v86
	v_min_u32_e32 v88, 32, v86
	s_delay_alu instid0(VALU_DEP_1) | instskip(NEXT) | instid1(VALU_DEP_1)
	v_subrev_nc_u32_e32 v86, 28, v88
	v_lshlrev_b64_e32 v[86:87], v86, v[1:2]
	v_sub_nc_u32_e32 v87, 29, v88
	s_delay_alu instid0(VALU_DEP_2)
	v_and_b32_e32 v86, 7, v86
; %bb.576:                              ;   in Loop: Header=BB300_11 Depth=1
	s_or_b32 exec_lo, exec_lo, s36
	v_lshlrev_b32_e32 v1, 8, v1
	s_delay_alu instid0(VALU_DEP_3) | instskip(NEXT) | instid1(VALU_DEP_3)
	v_lshl_add_u32 v87, v87, 10, 0x2000
	v_lshlrev_b32_e32 v86, 7, v86
	s_delay_alu instid0(VALU_DEP_3) | instskip(NEXT) | instid1(VALU_DEP_3)
	v_and_b32_e32 v1, 0x8000, v1
	v_and_b32_e32 v87, 0xfc00, v87
	s_delay_alu instid0(VALU_DEP_1)
	v_or3_b32 v95, v1, v87, v86
.LBB300_577:                            ;   in Loop: Header=BB300_11 Depth=1
	s_wait_alu 0xfffe
	s_or_b32 exec_lo, exec_lo, s35
.LBB300_578:                            ;   in Loop: Header=BB300_11 Depth=1
	s_wait_alu 0xfffe
	s_or_b32 exec_lo, exec_lo, s34
.LBB300_579:                            ;   in Loop: Header=BB300_11 Depth=1
	s_wait_alu 0xfffe
	s_or_b32 exec_lo, exec_lo, s4
	v_cmp_lt_u64_e64 s3, s[6:7], v[9:10]
	v_dual_mov_b32 v9, 0 :: v_dual_mov_b32 v94, 0
	s_and_saveexec_b32 s4, s3
	s_cbranch_execz .LBB300_587
; %bb.580:                              ;   in Loop: Header=BB300_11 Depth=1
	v_lshrrev_b32_e32 v1, 24, v10
	v_bfrev_b32_e32 v94, 1
	s_mov_b32 s34, exec_lo
	s_delay_alu instid0(VALU_DEP_2)
	v_cmpx_ne_u32_e32 0x80, v1
	s_cbranch_execz .LBB300_586
; %bb.581:                              ;   in Loop: Header=BB300_11 Depth=1
	v_and_b32_e32 v87, 0x7f, v1
	v_mov_b32_e32 v94, 0x7c010000
	s_mov_b32 s35, exec_lo
	s_delay_alu instid0(VALU_DEP_2)
	v_cmpx_ne_u32_e32 0x7f, v87
	s_cbranch_execz .LBB300_585
; %bb.582:                              ;   in Loop: Header=BB300_11 Depth=1
	v_and_b32_e32 v10, 7, v1
	v_lshrrev_b32_e32 v86, 3, v87
	s_mov_b32 s36, exec_lo
	v_cmpx_gt_u32_e32 8, v87
; %bb.583:                              ;   in Loop: Header=BB300_11 Depth=1
	s_delay_alu instid0(VALU_DEP_3) | instskip(NEXT) | instid1(VALU_DEP_1)
	v_clz_i32_u32_e32 v10, v10
	v_min_u32_e32 v10, 32, v10
	s_delay_alu instid0(VALU_DEP_1) | instskip(NEXT) | instid1(VALU_DEP_1)
	v_subrev_nc_u32_e32 v86, 28, v10
	v_lshlrev_b64_e32 v[87:88], v86, v[1:2]
	v_sub_nc_u32_e32 v86, 29, v10
	s_delay_alu instid0(VALU_DEP_2)
	v_and_b32_e32 v10, 7, v87
; %bb.584:                              ;   in Loop: Header=BB300_11 Depth=1
	s_or_b32 exec_lo, exec_lo, s36
	v_lshlrev_b32_e32 v1, 8, v1
	s_delay_alu instid0(VALU_DEP_3) | instskip(NEXT) | instid1(VALU_DEP_3)
	v_lshl_add_u32 v86, v86, 10, 0x2000
	v_lshlrev_b32_e32 v10, 23, v10
	s_delay_alu instid0(VALU_DEP_2) | instskip(NEXT) | instid1(VALU_DEP_1)
	v_and_or_b32 v1, 0x8000, v1, v86
	v_lshl_or_b32 v94, v1, 16, v10
.LBB300_585:                            ;   in Loop: Header=BB300_11 Depth=1
	s_wait_alu 0xfffe
	s_or_b32 exec_lo, exec_lo, s35
.LBB300_586:                            ;   in Loop: Header=BB300_11 Depth=1
	s_wait_alu 0xfffe
	s_or_b32 exec_lo, exec_lo, s34
.LBB300_587:                            ;   in Loop: Header=BB300_11 Depth=1
	s_wait_alu 0xfffe
	s_or_b32 exec_lo, exec_lo, s4
	global_load_b64 v[7:8], v[7:8], off offset:2056
	s_mov_b32 s4, exec_lo
	s_wait_loadcnt 0x0
	v_and_b32_e32 v1, 0xff, v7
	s_delay_alu instid0(VALU_DEP_1)
	v_cmpx_ne_u16_e32 0, v1
	s_cbranch_execz .LBB300_595
; %bb.588:                              ;   in Loop: Header=BB300_11 Depth=1
	v_mov_b32_e32 v9, 0x8000
	s_mov_b32 s34, exec_lo
	v_cmpx_ne_u16_e32 0x80, v1
	s_cbranch_execz .LBB300_594
; %bb.589:                              ;   in Loop: Header=BB300_11 Depth=1
	v_and_b32_e32 v10, 0x7f, v7
	v_mov_b32_e32 v9, 0x7c01
	s_mov_b32 s35, exec_lo
	s_delay_alu instid0(VALU_DEP_2)
	v_cmpx_ne_u32_e32 0x7f, v10
	s_cbranch_execz .LBB300_593
; %bb.590:                              ;   in Loop: Header=BB300_11 Depth=1
	v_and_b32_e32 v1, 7, v7
	v_lshrrev_b32_e32 v9, 3, v10
	s_mov_b32 s36, exec_lo
	v_cmpx_gt_u32_e32 8, v10
; %bb.591:                              ;   in Loop: Header=BB300_11 Depth=1
	s_delay_alu instid0(VALU_DEP_3) | instskip(NEXT) | instid1(VALU_DEP_1)
	v_clz_i32_u32_e32 v1, v1
	v_min_u32_e32 v1, 32, v1
	s_delay_alu instid0(VALU_DEP_1) | instskip(NEXT) | instid1(VALU_DEP_1)
	v_subrev_nc_u32_e32 v9, 28, v1
	v_lshlrev_b64_e32 v[86:87], v9, v[7:8]
	v_sub_nc_u32_e32 v9, 29, v1
	s_delay_alu instid0(VALU_DEP_2)
	v_and_b32_e32 v1, 7, v86
; %bb.592:                              ;   in Loop: Header=BB300_11 Depth=1
	s_or_b32 exec_lo, exec_lo, s36
	v_lshlrev_b32_e32 v10, 8, v7
	s_delay_alu instid0(VALU_DEP_3) | instskip(NEXT) | instid1(VALU_DEP_3)
	v_lshl_add_u32 v9, v9, 10, 0x2000
	v_lshlrev_b32_e32 v1, 7, v1
	s_delay_alu instid0(VALU_DEP_3) | instskip(NEXT) | instid1(VALU_DEP_3)
	v_and_b32_e32 v10, 0x8000, v10
	v_and_b32_e32 v9, 0xfc00, v9
	s_delay_alu instid0(VALU_DEP_1)
	v_or3_b32 v9, v10, v9, v1
.LBB300_593:                            ;   in Loop: Header=BB300_11 Depth=1
	s_wait_alu 0xfffe
	s_or_b32 exec_lo, exec_lo, s35
.LBB300_594:                            ;   in Loop: Header=BB300_11 Depth=1
	s_wait_alu 0xfffe
	s_or_b32 exec_lo, exec_lo, s34
.LBB300_595:                            ;   in Loop: Header=BB300_11 Depth=1
	s_wait_alu 0xfffe
	s_or_b32 exec_lo, exec_lo, s4
	v_lshrrev_b16 v1, 8, v7
	v_mov_b32_e32 v86, 0
	v_mov_b32_e32 v10, 0
	s_mov_b32 s4, exec_lo
	s_delay_alu instid0(VALU_DEP_3)
	v_cmpx_ne_u16_e32 0, v1
	s_cbranch_execz .LBB300_603
; %bb.596:                              ;   in Loop: Header=BB300_11 Depth=1
	v_bfrev_b32_e32 v10, 1
	s_mov_b32 s34, exec_lo
	v_cmpx_ne_u16_e32 0x80, v1
	s_cbranch_execz .LBB300_602
; %bb.597:                              ;   in Loop: Header=BB300_11 Depth=1
	v_and_b32_e32 v87, 0xffff, v1
	v_mov_b32_e32 v10, 0x7c010000
	s_mov_b32 s35, exec_lo
	s_delay_alu instid0(VALU_DEP_2) | instskip(NEXT) | instid1(VALU_DEP_1)
	v_and_b32_e32 v92, 0x7f, v87
	v_cmpx_ne_u32_e32 0x7f, v92
	s_cbranch_execz .LBB300_601
; %bb.598:                              ;   in Loop: Header=BB300_11 Depth=1
	v_and_b32_e32 v10, 7, v87
	v_lshrrev_b32_e32 v88, 3, v92
	s_mov_b32 s36, exec_lo
	v_cmpx_gt_u32_e32 8, v92
; %bb.599:                              ;   in Loop: Header=BB300_11 Depth=1
	s_delay_alu instid0(VALU_DEP_3) | instskip(NEXT) | instid1(VALU_DEP_1)
	v_clz_i32_u32_e32 v10, v10
	v_min_u32_e32 v10, 32, v10
	s_delay_alu instid0(VALU_DEP_1) | instskip(NEXT) | instid1(VALU_DEP_1)
	v_subrev_nc_u32_e32 v88, 28, v10
	v_lshlrev_b64_e32 v[92:93], v88, v[1:2]
	v_sub_nc_u32_e32 v88, 29, v10
	s_delay_alu instid0(VALU_DEP_2)
	v_and_b32_e32 v10, 7, v92
; %bb.600:                              ;   in Loop: Header=BB300_11 Depth=1
	s_or_b32 exec_lo, exec_lo, s36
	v_lshlrev_b32_e32 v1, 8, v87
	s_delay_alu instid0(VALU_DEP_3) | instskip(NEXT) | instid1(VALU_DEP_3)
	v_lshl_add_u32 v87, v88, 10, 0x2000
	v_lshlrev_b32_e32 v10, 23, v10
	s_delay_alu instid0(VALU_DEP_2) | instskip(NEXT) | instid1(VALU_DEP_1)
	v_and_or_b32 v1, 0x8000, v1, v87
	v_lshl_or_b32 v10, v1, 16, v10
.LBB300_601:                            ;   in Loop: Header=BB300_11 Depth=1
	s_wait_alu 0xfffe
	s_or_b32 exec_lo, exec_lo, s35
.LBB300_602:                            ;   in Loop: Header=BB300_11 Depth=1
	s_wait_alu 0xfffe
	s_or_b32 exec_lo, exec_lo, s34
.LBB300_603:                            ;   in Loop: Header=BB300_11 Depth=1
	s_wait_alu 0xfffe
	s_or_b32 exec_lo, exec_lo, s4
	v_lshrrev_b32_e32 v1, 16, v7
	s_mov_b32 s4, exec_lo
	s_delay_alu instid0(VALU_DEP_1) | instskip(NEXT) | instid1(VALU_DEP_1)
	v_and_b32_e32 v87, 0xff, v1
	v_cmpx_ne_u16_e32 0, v87
	s_cbranch_execz .LBB300_611
; %bb.604:                              ;   in Loop: Header=BB300_11 Depth=1
	v_mov_b32_e32 v86, 0x8000
	s_mov_b32 s34, exec_lo
	v_cmpx_ne_u16_e32 0x80, v87
	s_cbranch_execz .LBB300_610
; %bb.605:                              ;   in Loop: Header=BB300_11 Depth=1
	v_bfe_u32 v88, v7, 16, 7
	v_mov_b32_e32 v86, 0x7c01
	s_mov_b32 s35, exec_lo
	s_delay_alu instid0(VALU_DEP_2)
	v_cmpx_ne_u32_e32 0x7f, v88
	s_cbranch_execz .LBB300_609
; %bb.606:                              ;   in Loop: Header=BB300_11 Depth=1
	v_and_b32_e32 v86, 7, v1
	v_lshrrev_b32_e32 v87, 3, v88
	s_mov_b32 s36, exec_lo
	v_cmpx_gt_u32_e32 8, v88
; %bb.607:                              ;   in Loop: Header=BB300_11 Depth=1
	s_delay_alu instid0(VALU_DEP_3) | instskip(NEXT) | instid1(VALU_DEP_1)
	v_clz_i32_u32_e32 v86, v86
	v_min_u32_e32 v88, 32, v86
	s_delay_alu instid0(VALU_DEP_1) | instskip(NEXT) | instid1(VALU_DEP_1)
	v_subrev_nc_u32_e32 v86, 28, v88
	v_lshlrev_b64_e32 v[86:87], v86, v[1:2]
	v_sub_nc_u32_e32 v87, 29, v88
	s_delay_alu instid0(VALU_DEP_2)
	v_and_b32_e32 v86, 7, v86
; %bb.608:                              ;   in Loop: Header=BB300_11 Depth=1
	s_or_b32 exec_lo, exec_lo, s36
	v_lshlrev_b32_e32 v1, 8, v1
	s_delay_alu instid0(VALU_DEP_3) | instskip(NEXT) | instid1(VALU_DEP_3)
	v_lshl_add_u32 v87, v87, 10, 0x2000
	v_lshlrev_b32_e32 v86, 7, v86
	s_delay_alu instid0(VALU_DEP_3) | instskip(NEXT) | instid1(VALU_DEP_3)
	v_and_b32_e32 v1, 0x8000, v1
	v_and_b32_e32 v87, 0xfc00, v87
	s_delay_alu instid0(VALU_DEP_1)
	v_or3_b32 v86, v1, v87, v86
.LBB300_609:                            ;   in Loop: Header=BB300_11 Depth=1
	s_wait_alu 0xfffe
	s_or_b32 exec_lo, exec_lo, s35
.LBB300_610:                            ;   in Loop: Header=BB300_11 Depth=1
	s_wait_alu 0xfffe
	s_or_b32 exec_lo, exec_lo, s34
.LBB300_611:                            ;   in Loop: Header=BB300_11 Depth=1
	s_wait_alu 0xfffe
	s_or_b32 exec_lo, exec_lo, s4
	v_dual_mov_b32 v87, 0 :: v_dual_mov_b32 v88, 0
	s_mov_b32 s4, exec_lo
	v_cmpx_lt_u32_e32 0xffffff, v7
	s_cbranch_execz .LBB300_619
; %bb.612:                              ;   in Loop: Header=BB300_11 Depth=1
	v_lshrrev_b32_e32 v1, 24, v7
	v_bfrev_b32_e32 v88, 1
	s_mov_b32 s34, exec_lo
	s_delay_alu instid0(VALU_DEP_2)
	v_cmpx_ne_u32_e32 0x80, v1
	s_cbranch_execz .LBB300_618
; %bb.613:                              ;   in Loop: Header=BB300_11 Depth=1
	v_and_b32_e32 v93, 0x7f, v1
	v_mov_b32_e32 v88, 0x7c010000
	s_mov_b32 s35, exec_lo
	s_delay_alu instid0(VALU_DEP_2)
	v_cmpx_ne_u32_e32 0x7f, v93
	s_cbranch_execz .LBB300_617
; %bb.614:                              ;   in Loop: Header=BB300_11 Depth=1
	v_and_b32_e32 v88, 7, v1
	v_lshrrev_b32_e32 v92, 3, v93
	s_mov_b32 s36, exec_lo
	v_cmpx_gt_u32_e32 8, v93
; %bb.615:                              ;   in Loop: Header=BB300_11 Depth=1
	s_delay_alu instid0(VALU_DEP_3) | instskip(NEXT) | instid1(VALU_DEP_1)
	v_clz_i32_u32_e32 v88, v88
	v_min_u32_e32 v88, 32, v88
	s_delay_alu instid0(VALU_DEP_1) | instskip(NEXT) | instid1(VALU_DEP_1)
	v_subrev_nc_u32_e32 v92, 28, v88
	v_lshlrev_b64_e32 v[98:99], v92, v[1:2]
	v_sub_nc_u32_e32 v92, 29, v88
	s_delay_alu instid0(VALU_DEP_2)
	v_and_b32_e32 v88, 7, v98
; %bb.616:                              ;   in Loop: Header=BB300_11 Depth=1
	s_or_b32 exec_lo, exec_lo, s36
	v_lshlrev_b32_e32 v1, 8, v1
	s_delay_alu instid0(VALU_DEP_3) | instskip(NEXT) | instid1(VALU_DEP_3)
	v_lshl_add_u32 v92, v92, 10, 0x2000
	v_lshlrev_b32_e32 v88, 23, v88
	s_delay_alu instid0(VALU_DEP_2) | instskip(NEXT) | instid1(VALU_DEP_1)
	v_and_or_b32 v1, 0x8000, v1, v92
	v_lshl_or_b32 v88, v1, 16, v88
.LBB300_617:                            ;   in Loop: Header=BB300_11 Depth=1
	s_wait_alu 0xfffe
	s_or_b32 exec_lo, exec_lo, s35
.LBB300_618:                            ;   in Loop: Header=BB300_11 Depth=1
	s_wait_alu 0xfffe
	s_or_b32 exec_lo, exec_lo, s34
.LBB300_619:                            ;   in Loop: Header=BB300_11 Depth=1
	s_wait_alu 0xfffe
	s_or_b32 exec_lo, exec_lo, s4
	v_dual_mov_b32 v1, v8 :: v_dual_and_b32 v92, 0xff, v8
	s_mov_b32 s4, exec_lo
	s_delay_alu instid0(VALU_DEP_1)
	v_cmpx_ne_u16_e32 0, v92
	s_cbranch_execz .LBB300_627
; %bb.620:                              ;   in Loop: Header=BB300_11 Depth=1
	v_mov_b32_e32 v87, 0x8000
	s_mov_b32 s34, exec_lo
	v_cmpx_ne_u16_e32 0x80, v92
	s_cbranch_execz .LBB300_626
; %bb.621:                              ;   in Loop: Header=BB300_11 Depth=1
	v_and_b32_e32 v93, 0x7f, v8
	v_mov_b32_e32 v87, 0x7c01
	s_mov_b32 s35, exec_lo
	s_delay_alu instid0(VALU_DEP_2)
	v_cmpx_ne_u32_e32 0x7f, v93
	s_cbranch_execz .LBB300_625
; %bb.622:                              ;   in Loop: Header=BB300_11 Depth=1
	v_and_b32_e32 v87, 7, v8
	v_lshrrev_b32_e32 v92, 3, v93
	s_mov_b32 s36, exec_lo
	v_cmpx_gt_u32_e32 8, v93
; %bb.623:                              ;   in Loop: Header=BB300_11 Depth=1
	s_delay_alu instid0(VALU_DEP_3) | instskip(NEXT) | instid1(VALU_DEP_1)
	v_clz_i32_u32_e32 v87, v87
	v_min_u32_e32 v87, 32, v87
	s_delay_alu instid0(VALU_DEP_1) | instskip(NEXT) | instid1(VALU_DEP_1)
	v_subrev_nc_u32_e32 v92, 28, v87
	v_lshlrev_b64_e32 v[98:99], v92, v[1:2]
	v_sub_nc_u32_e32 v92, 29, v87
	s_delay_alu instid0(VALU_DEP_2)
	v_and_b32_e32 v87, 7, v98
; %bb.624:                              ;   in Loop: Header=BB300_11 Depth=1
	s_or_b32 exec_lo, exec_lo, s36
	v_lshlrev_b32_e32 v93, 8, v8
	s_delay_alu instid0(VALU_DEP_3) | instskip(NEXT) | instid1(VALU_DEP_3)
	v_lshl_add_u32 v92, v92, 10, 0x2000
	v_lshlrev_b32_e32 v87, 7, v87
	s_delay_alu instid0(VALU_DEP_3) | instskip(NEXT) | instid1(VALU_DEP_3)
	v_and_b32_e32 v93, 0x8000, v93
	v_and_b32_e32 v92, 0xfc00, v92
	s_delay_alu instid0(VALU_DEP_1)
	v_or3_b32 v87, v93, v92, v87
.LBB300_625:                            ;   in Loop: Header=BB300_11 Depth=1
	s_wait_alu 0xfffe
	s_or_b32 exec_lo, exec_lo, s35
.LBB300_626:                            ;   in Loop: Header=BB300_11 Depth=1
	s_wait_alu 0xfffe
	s_or_b32 exec_lo, exec_lo, s34
.LBB300_627:                            ;   in Loop: Header=BB300_11 Depth=1
	s_wait_alu 0xfffe
	s_or_b32 exec_lo, exec_lo, s4
	v_lshrrev_b16 v1, 8, v1
	v_dual_mov_b32 v93, 0 :: v_dual_mov_b32 v92, 0
	s_mov_b32 s4, exec_lo
	s_delay_alu instid0(VALU_DEP_2)
	v_cmpx_ne_u16_e32 0, v1
	s_cbranch_execz .LBB300_635
; %bb.628:                              ;   in Loop: Header=BB300_11 Depth=1
	v_bfrev_b32_e32 v92, 1
	s_mov_b32 s34, exec_lo
	v_cmpx_ne_u16_e32 0x80, v1
	s_cbranch_execz .LBB300_634
; %bb.629:                              ;   in Loop: Header=BB300_11 Depth=1
	v_and_b32_e32 v98, 0xffff, v1
	v_mov_b32_e32 v92, 0x7c010000
	s_mov_b32 s35, exec_lo
	s_delay_alu instid0(VALU_DEP_2) | instskip(NEXT) | instid1(VALU_DEP_1)
	v_and_b32_e32 v100, 0x7f, v98
	v_cmpx_ne_u32_e32 0x7f, v100
	s_cbranch_execz .LBB300_633
; %bb.630:                              ;   in Loop: Header=BB300_11 Depth=1
	v_and_b32_e32 v92, 7, v98
	v_lshrrev_b32_e32 v99, 3, v100
	s_mov_b32 s36, exec_lo
	v_cmpx_gt_u32_e32 8, v100
; %bb.631:                              ;   in Loop: Header=BB300_11 Depth=1
	s_delay_alu instid0(VALU_DEP_3) | instskip(NEXT) | instid1(VALU_DEP_1)
	v_clz_i32_u32_e32 v92, v92
	v_min_u32_e32 v92, 32, v92
	s_delay_alu instid0(VALU_DEP_1) | instskip(NEXT) | instid1(VALU_DEP_1)
	v_subrev_nc_u32_e32 v99, 28, v92
	v_lshlrev_b64_e32 v[100:101], v99, v[1:2]
	v_sub_nc_u32_e32 v99, 29, v92
	s_delay_alu instid0(VALU_DEP_2)
	v_and_b32_e32 v92, 7, v100
; %bb.632:                              ;   in Loop: Header=BB300_11 Depth=1
	s_or_b32 exec_lo, exec_lo, s36
	v_lshlrev_b32_e32 v1, 8, v98
	s_delay_alu instid0(VALU_DEP_3) | instskip(NEXT) | instid1(VALU_DEP_3)
	v_lshl_add_u32 v98, v99, 10, 0x2000
	v_lshlrev_b32_e32 v92, 23, v92
	s_delay_alu instid0(VALU_DEP_2) | instskip(NEXT) | instid1(VALU_DEP_1)
	v_and_or_b32 v1, 0x8000, v1, v98
	v_lshl_or_b32 v92, v1, 16, v92
.LBB300_633:                            ;   in Loop: Header=BB300_11 Depth=1
	s_wait_alu 0xfffe
	s_or_b32 exec_lo, exec_lo, s35
.LBB300_634:                            ;   in Loop: Header=BB300_11 Depth=1
	s_wait_alu 0xfffe
	s_or_b32 exec_lo, exec_lo, s34
.LBB300_635:                            ;   in Loop: Header=BB300_11 Depth=1
	s_wait_alu 0xfffe
	s_or_b32 exec_lo, exec_lo, s4
	v_lshrrev_b32_e32 v1, 16, v8
	s_mov_b32 s4, exec_lo
	s_delay_alu instid0(VALU_DEP_1) | instskip(NEXT) | instid1(VALU_DEP_1)
	v_and_b32_e32 v98, 0xff, v1
	v_cmpx_ne_u16_e32 0, v98
	s_cbranch_execz .LBB300_643
; %bb.636:                              ;   in Loop: Header=BB300_11 Depth=1
	v_mov_b32_e32 v93, 0x8000
	s_mov_b32 s34, exec_lo
	v_cmpx_ne_u16_e32 0x80, v98
	s_cbranch_execz .LBB300_642
; %bb.637:                              ;   in Loop: Header=BB300_11 Depth=1
	v_bfe_u32 v99, v8, 16, 7
	v_mov_b32_e32 v93, 0x7c01
	s_mov_b32 s35, exec_lo
	s_delay_alu instid0(VALU_DEP_2)
	v_cmpx_ne_u32_e32 0x7f, v99
	s_cbranch_execz .LBB300_641
; %bb.638:                              ;   in Loop: Header=BB300_11 Depth=1
	v_and_b32_e32 v93, 7, v1
	v_lshrrev_b32_e32 v98, 3, v99
	s_mov_b32 s36, exec_lo
	v_cmpx_gt_u32_e32 8, v99
; %bb.639:                              ;   in Loop: Header=BB300_11 Depth=1
	s_delay_alu instid0(VALU_DEP_3) | instskip(NEXT) | instid1(VALU_DEP_1)
	v_clz_i32_u32_e32 v93, v93
	v_min_u32_e32 v93, 32, v93
	s_delay_alu instid0(VALU_DEP_1) | instskip(NEXT) | instid1(VALU_DEP_1)
	v_subrev_nc_u32_e32 v98, 28, v93
	v_lshlrev_b64_e32 v[99:100], v98, v[1:2]
	v_sub_nc_u32_e32 v98, 29, v93
	s_delay_alu instid0(VALU_DEP_2)
	v_and_b32_e32 v93, 7, v99
; %bb.640:                              ;   in Loop: Header=BB300_11 Depth=1
	s_or_b32 exec_lo, exec_lo, s36
	v_lshlrev_b32_e32 v1, 8, v1
	s_delay_alu instid0(VALU_DEP_3) | instskip(NEXT) | instid1(VALU_DEP_3)
	v_lshl_add_u32 v98, v98, 10, 0x2000
	v_lshlrev_b32_e32 v93, 7, v93
	s_delay_alu instid0(VALU_DEP_3) | instskip(NEXT) | instid1(VALU_DEP_3)
	v_and_b32_e32 v1, 0x8000, v1
	v_and_b32_e32 v98, 0xfc00, v98
	s_delay_alu instid0(VALU_DEP_1)
	v_or3_b32 v93, v1, v98, v93
.LBB300_641:                            ;   in Loop: Header=BB300_11 Depth=1
	s_wait_alu 0xfffe
	s_or_b32 exec_lo, exec_lo, s35
.LBB300_642:                            ;   in Loop: Header=BB300_11 Depth=1
	s_wait_alu 0xfffe
	s_or_b32 exec_lo, exec_lo, s34
.LBB300_643:                            ;   in Loop: Header=BB300_11 Depth=1
	s_wait_alu 0xfffe
	s_or_b32 exec_lo, exec_lo, s4
	v_cmp_lt_u64_e64 s3, s[6:7], v[7:8]
	v_mov_b32_e32 v7, 0
	s_and_saveexec_b32 s4, s3
	s_cbranch_execz .LBB300_10
; %bb.644:                              ;   in Loop: Header=BB300_11 Depth=1
	v_lshrrev_b32_e32 v1, 24, v8
	v_bfrev_b32_e32 v7, 1
	s_mov_b32 s34, exec_lo
	s_delay_alu instid0(VALU_DEP_2)
	v_cmpx_ne_u32_e32 0x80, v1
	s_cbranch_execz .LBB300_9
; %bb.645:                              ;   in Loop: Header=BB300_11 Depth=1
	v_and_b32_e32 v98, 0x7f, v1
	v_mov_b32_e32 v7, 0x7c010000
	s_mov_b32 s35, exec_lo
	s_delay_alu instid0(VALU_DEP_2)
	v_cmpx_ne_u32_e32 0x7f, v98
	s_cbranch_execz .LBB300_8
; %bb.646:                              ;   in Loop: Header=BB300_11 Depth=1
	v_and_b32_e32 v7, 7, v1
	v_lshrrev_b32_e32 v8, 3, v98
	s_mov_b32 s36, exec_lo
	v_cmpx_gt_u32_e32 8, v98
	s_cbranch_execz .LBB300_7
; %bb.647:                              ;   in Loop: Header=BB300_11 Depth=1
	v_clz_i32_u32_e32 v7, v7
	s_delay_alu instid0(VALU_DEP_1) | instskip(NEXT) | instid1(VALU_DEP_1)
	v_min_u32_e32 v98, 32, v7
	v_subrev_nc_u32_e32 v7, 28, v98
	s_delay_alu instid0(VALU_DEP_1) | instskip(SKIP_1) | instid1(VALU_DEP_2)
	v_lshlrev_b64_e32 v[7:8], v7, v[1:2]
	v_sub_nc_u32_e32 v8, 29, v98
	v_and_b32_e32 v7, 7, v7
	s_branch .LBB300_7
.LBB300_648:
	s_or_b32 exec_lo, exec_lo, s33
.LBB300_649:
	s_delay_alu instid0(SALU_CYCLE_1)
	s_or_b32 exec_lo, exec_lo, s25
	v_mbcnt_lo_u32_b32 v1, -1, 0
	s_load_b128 s[4:7], s[0:1], 0x0
	s_wait_kmcnt 0x0
	s_clause 0x1
	s_load_b64 s[8:9], s[0:1], 0x10
	s_load_b64 s[24:25], s[0:1], 0x28
	v_max_num_f32_e32 v5, v16, v16
	v_xor_b32_e32 v2, 16, v1
	v_xor_b32_e32 v4, 8, v1
	s_delay_alu instid0(VALU_DEP_2) | instskip(SKIP_2) | instid1(VALU_DEP_3)
	v_cmp_gt_i32_e32 vcc_lo, 32, v2
	s_wait_alu 0xfffd
	v_cndmask_b32_e32 v2, v1, v2, vcc_lo
	v_cmp_gt_i32_e32 vcc_lo, 32, v4
	s_delay_alu instid0(VALU_DEP_2)
	v_lshlrev_b32_e32 v2, 2, v2
	s_wait_alu 0xfffd
	v_cndmask_b32_e32 v4, v1, v4, vcc_lo
	ds_bpermute_b32 v3, v2, v16
	s_wait_dscnt 0x0
	v_dual_max_num_f32 v6, v3, v3 :: v_dual_lshlrev_b32 v3, 2, v4
	s_delay_alu instid0(VALU_DEP_1)
	v_max_num_f32_e32 v4, v5, v6
	v_xor_b32_e32 v6, 4, v1
	ds_bpermute_b32 v5, v3, v4
	v_cmp_gt_i32_e32 vcc_lo, 32, v6
	s_wait_alu 0xfffd
	v_cndmask_b32_e32 v6, v1, v6, vcc_lo
	s_wait_dscnt 0x0
	v_max_num_f32_e32 v7, v5, v5
	s_delay_alu instid0(VALU_DEP_1)
	v_dual_max_num_f32 v4, v4, v7 :: v_dual_lshlrev_b32 v5, 2, v6
	v_xor_b32_e32 v7, 2, v1
	ds_bpermute_b32 v6, v5, v4
	v_cmp_gt_i32_e32 vcc_lo, 32, v7
	s_wait_dscnt 0x0
	s_wait_alu 0xfffd
	v_dual_cndmask_b32 v7, v1, v7 :: v_dual_max_num_f32 v6, v6, v6
	s_delay_alu instid0(VALU_DEP_1) | instskip(SKIP_1) | instid1(VALU_DEP_1)
	v_lshlrev_b32_e32 v17, 2, v7
	v_xor_b32_e32 v7, 1, v1
	v_cmp_gt_i32_e32 vcc_lo, 32, v7
	s_wait_alu 0xfffd
	v_dual_max_num_f32 v4, v4, v6 :: v_dual_cndmask_b32 v7, v1, v7
	ds_bpermute_b32 v6, v17, v4
	v_cmp_eq_u32_e32 vcc_lo, 0, v12
	v_lshlrev_b32_e32 v16, 2, v7
	s_wait_dscnt 0x0
	v_max_num_f32_e32 v6, v6, v6
	s_delay_alu instid0(VALU_DEP_1)
	v_dual_max_num_f32 v1, v4, v6 :: v_dual_lshlrev_b32 v6, 2, v11
	ds_bpermute_b32 v4, v16, v1
	s_and_saveexec_b32 s0, vcc_lo
	s_cbranch_execz .LBB300_651
; %bb.650:
	s_wait_dscnt 0x0
	v_dual_max_num_f32 v4, v4, v4 :: v_dual_max_num_f32 v1, v1, v1
	s_delay_alu instid0(VALU_DEP_1)
	v_max_num_f32_e32 v1, v1, v4
	ds_store_b32 v6, v1 offset:160
.LBB300_651:
	s_or_b32 exec_lo, exec_lo, s0
	v_cmp_gt_u32_e64 s0, 4, v12
	v_mov_b32_e32 v1, 0xff7fffff
	s_wait_loadcnt_dscnt 0x0
	s_barrier_signal -1
	s_barrier_wait -1
	global_inv scope:SCOPE_SE
	s_and_saveexec_b32 s1, s0
; %bb.652:
	ds_load_b32 v1, v15 offset:160
; %bb.653:
	s_or_b32 exec_lo, exec_lo, s1
	s_wait_dscnt 0x0
	ds_bpermute_b32 v4, v17, v1
	v_max_num_f32_e32 v1, v1, v1
	s_sub_co_i32 s1, s17, s30
	v_mov_b32_e32 v7, 0
	s_lshl_b32 s1, s1, 5
	s_delay_alu instid0(SALU_CYCLE_1) | instskip(NEXT) | instid1(SALU_CYCLE_1)
	s_add_co_i32 s1, s1, s28
	s_min_i32 s1, s1, s27
	s_delay_alu instid0(SALU_CYCLE_1) | instskip(SKIP_4) | instid1(VALU_DEP_1)
	s_sub_co_i32 s15, s1, s28
	s_wait_alu 0xfffe
	v_cmp_gt_i32_e64 s1, s15, v0
	s_wait_dscnt 0x0
	v_max_num_f32_e32 v4, v4, v4
	v_max_num_f32_e32 v1, v1, v4
	ds_bpermute_b32 v4, v16, v1
	s_wait_dscnt 0x0
	v_max_num_f32_e32 v4, v4, v4
	s_delay_alu instid0(VALU_DEP_1)
	v_max_num_f32_e32 v1, v1, v4
	v_lshl_add_u32 v4, v0, 2, 0xc0
	ds_bpermute_b32 v1, v7, v1
	s_and_saveexec_b32 s30, s1
	s_cbranch_execz .LBB300_657
; %bb.654:
	v_lshl_add_u32 v8, v0, 2, 0xc0
	v_mov_b32_e32 v7, 0
	v_mov_b32_e32 v9, v0
	s_mov_b32 s31, 0
.LBB300_655:                            ; =>This Inner Loop Header: Depth=1
	ds_load_b32 v10, v8
	v_add_nc_u32_e32 v9, 0x80, v9
	s_delay_alu instid0(VALU_DEP_1) | instskip(SKIP_4) | instid1(VALU_DEP_1)
	v_cmp_le_i32_e64 s3, s15, v9
	s_wait_alu 0xfffe
	s_or_b32 s31, s3, s31
	s_wait_dscnt 0x0
	v_sub_f32_e32 v10, v10, v1
	v_mul_f32_e32 v10, 0x3fb8aa3b, v10
	s_delay_alu instid0(VALU_DEP_1)
	v_exp_f32_e32 v10, v10
	ds_store_b32 v8, v10
	v_dual_add_f32 v7, v7, v10 :: v_dual_add_nc_u32 v8, 0x200, v8
	s_wait_alu 0xfffe
	s_and_not1_b32 exec_lo, exec_lo, s31
	s_cbranch_execnz .LBB300_655
; %bb.656:
	s_or_b32 exec_lo, exec_lo, s31
.LBB300_657:
	s_wait_alu 0xfffe
	s_or_b32 exec_lo, exec_lo, s30
	ds_bpermute_b32 v2, v2, v7
	s_wait_dscnt 0x0
	v_add_f32_e32 v2, v7, v2
	ds_bpermute_b32 v3, v3, v2
	s_wait_dscnt 0x0
	v_add_f32_e32 v2, v2, v3
	;; [unrolled: 3-line block ×5, first 2 shown]
	s_and_saveexec_b32 s3, vcc_lo
; %bb.658:
	ds_store_b32 v6, v2 offset:176
; %bb.659:
	s_wait_alu 0xfffe
	s_or_b32 exec_lo, exec_lo, s3
	s_wait_loadcnt_dscnt 0x0
	s_barrier_signal -1
	s_barrier_wait -1
	global_inv scope:SCOPE_SE
	s_and_saveexec_b32 s3, s0
; %bb.660:
	ds_load_b32 v2, v15 offset:176
; %bb.661:
	s_wait_alu 0xfffe
	s_or_b32 exec_lo, exec_lo, s3
	s_wait_dscnt 0x0
	ds_bpermute_b32 v3, v17, v2
	s_wait_dscnt 0x0
	v_add_f32_e32 v2, v2, v3
	ds_bpermute_b32 v3, v16, v2
	s_wait_dscnt 0x0
	v_dual_add_f32 v2, v2, v3 :: v_dual_mov_b32 v3, 0
	ds_bpermute_b32 v2, v3, v2
	s_and_saveexec_b32 s0, s1
	s_cbranch_execz .LBB300_664
; %bb.662:
	s_wait_dscnt 0x0
	v_add_f32_e32 v3, 0x358637bd, v2
	s_mov_b32 s1, 0
	s_delay_alu instid0(VALU_DEP_1) | instskip(SKIP_1) | instid1(VALU_DEP_2)
	v_div_scale_f32 v5, null, v3, v3, 1.0
	v_div_scale_f32 v8, vcc_lo, 1.0, v3, 1.0
	v_rcp_f32_e32 v6, v5
	s_delay_alu instid0(TRANS32_DEP_1) | instskip(NEXT) | instid1(VALU_DEP_1)
	v_fma_f32 v7, -v5, v6, 1.0
	v_fmac_f32_e32 v6, v7, v6
	s_delay_alu instid0(VALU_DEP_1) | instskip(NEXT) | instid1(VALU_DEP_1)
	v_mul_f32_e32 v7, v8, v6
	v_fma_f32 v9, -v5, v7, v8
	s_delay_alu instid0(VALU_DEP_1) | instskip(NEXT) | instid1(VALU_DEP_1)
	v_fmac_f32_e32 v7, v9, v6
	v_fma_f32 v5, -v5, v7, v8
	s_wait_alu 0xfffd
	s_delay_alu instid0(VALU_DEP_1) | instskip(NEXT) | instid1(VALU_DEP_1)
	v_div_fmas_f32 v5, v5, v6, v7
	v_div_fixup_f32 v3, v5, v3, 1.0
	v_mov_b32_e32 v5, v0
.LBB300_663:                            ; =>This Inner Loop Header: Depth=1
	ds_load_b32 v6, v4
	s_wait_dscnt 0x0
	v_dual_mul_f32 v6, v3, v6 :: v_dual_add_nc_u32 v5, 0x80, v5
	s_delay_alu instid0(VALU_DEP_1) | instskip(SKIP_3) | instid1(SALU_CYCLE_1)
	v_cmp_le_i32_e32 vcc_lo, s15, v5
	ds_store_b32 v4, v6
	v_add_nc_u32_e32 v4, 0x200, v4
	s_or_b32 s1, vcc_lo, s1
	s_and_not1_b32 exec_lo, exec_lo, s1
	s_cbranch_execnz .LBB300_663
.LBB300_664:
	s_or_b32 exec_lo, exec_lo, s0
	s_mul_i32 s0, s12, s22
	s_wait_loadcnt_dscnt 0x0
	s_mul_i32 s22, s0, s23
	s_mov_b32 s0, exec_lo
	s_barrier_signal -1
	s_barrier_wait -1
	global_inv scope:SCOPE_SE
	v_cmpx_eq_u32_e32 0, v0
	s_cbranch_execz .LBB300_666
; %bb.665:
	s_ashr_i32 s23, s22, 31
	s_mul_i32 s30, s12, ttmp9
	s_lshl_b32 s1, s26, 2
	s_lshl_b64 s[34:35], s[22:23], 2
	s_wait_alu 0xfffe
	s_ashr_i32 s31, s30, 31
	v_mov_b32_e32 v3, s1
	s_add_nc_u64 s[6:7], s[6:7], s[34:35]
	s_wait_alu 0xfffe
	s_lshl_b64 s[30:31], s[30:31], 2
	s_add_nc_u64 s[4:5], s[4:5], s[34:35]
	s_wait_alu 0xfffe
	s_add_nc_u64 s[6:7], s[6:7], s[30:31]
	s_add_nc_u64 s[4:5], s[4:5], s[30:31]
	s_clause 0x1
	global_store_b32 v3, v1, s[6:7]
	global_store_b32 v3, v2, s[4:5]
.LBB300_666:
	s_or_b32 exec_lo, exec_lo, s0
	v_dual_mov_b32 v25, 0 :: v_dual_mov_b32 v26, 0
	v_dual_mov_b32 v24, 0 :: v_dual_and_b32 v15, 3, v0
	v_dual_mov_b32 v27, 0 :: v_dual_mov_b32 v22, 0
	v_dual_mov_b32 v23, 0 :: v_dual_mov_b32 v20, 0
	;; [unrolled: 1-line block ×3, first 2 shown]
	v_mov_b32_e32 v19, 0
	s_and_saveexec_b32 s1, s2
	s_cbranch_execz .LBB300_1330
; %bb.667:
	v_dual_mov_b32 v2, 0 :: v_dual_lshlrev_b32 v1, 3, v0
	v_dual_mov_b32 v18, 0 :: v_dual_lshlrev_b32 v3, 5, v15
	s_ashr_i32 s15, s14, 31
	s_delay_alu instid0(VALU_DEP_2)
	v_dual_mov_b32 v20, 0 :: v_dual_and_b32 v5, 24, v1
	v_dual_mov_b32 v22, 0 :: v_dual_and_b32 v1, 0xf8, v1
	s_wait_kmcnt 0x0
	s_wait_alu 0xfffe
	s_add_nc_u64 s[6:7], s[24:25], s[14:15]
	v_lshl_or_b32 v7, v11, 7, v3
	v_lshl_add_u32 v6, v11, 5, s28
	s_wait_alu 0xfffe
	v_add_co_u32 v3, s0, s6, v1
	s_wait_alu 0xf1ff
	v_add_co_ci_u32_e64 v4, null, s7, 0, s0
	s_lshl_b64 s[6:7], s[20:21], 2
	v_add3_u32 v28, v6, v5, 7
	s_wait_alu 0xfffe
	s_add_nc_u64 s[6:7], s[18:19], s[6:7]
	v_dual_mov_b32 v24, 0 :: v_dual_add_nc_u32 v29, 0xc0, v7
	s_wait_alu 0xfffe
	v_add_co_u32 v5, s0, s6, v14
	s_wait_alu 0xf1ff
	v_add_co_ci_u32_e64 v6, null, s7, 0, s0
	v_dual_mov_b32 v19, 0 :: v_dual_mov_b32 v26, 0
	v_mov_b32_e32 v21, 0
	v_mov_b32_e32 v23, 0
	;; [unrolled: 1-line block ×4, first 2 shown]
	s_mov_b32 s2, -1
	s_mov_b32 s4, s13
	s_mov_b32 s3, 0xffffff
	s_add_co_i32 s29, s29, -1
	s_mov_b32 s5, 0
	s_branch .LBB300_669
.LBB300_668:                            ;   in Loop: Header=BB300_669 Depth=1
	s_wait_alu 0xfffe
	s_or_b32 exec_lo, exec_lo, s0
	v_dual_add_f32 v9, v9, v10 :: v_dual_add_f32 v10, v54, v55
	v_add_f32_e32 v14, v52, v53
	v_dual_add_f32 v30, v50, v51 :: v_dual_add_nc_u32 v13, 4, v13
	v_add_f32_e32 v31, v48, v49
	s_delay_alu instid0(VALU_DEP_4) | instskip(SKIP_4) | instid1(VALU_DEP_4)
	v_dual_add_f32 v19, v19, v9 :: v_dual_add_f32 v20, v20, v10
	v_add_f32_e32 v9, v46, v47
	v_add_f32_e32 v21, v21, v14
	v_cmp_le_i32_e32 vcc_lo, s17, v13
	v_add_co_u32 v5, s0, v5, 16
	v_add_f32_e32 v24, v24, v9
	;;#ASMSTART
	v_pk_mul_f16 v9, v40, v56;

	;;#ASMEND
	;;#ASMSTART
	v_pk_mul_f16 v1, v37, v1;

	;;#ASMEND
	;; [unrolled: 4-line block ×4, first 2 shown]
	;;#ASMSTART
	v_pk_add_f16 v1, v9, v1;

	;;#ASMEND
	;;#ASMSTART
	v_pk_add_f16 v1, v1, v8;

	;;#ASMEND
	;; [unrolled: 4-line block ×3, first 2 shown]
	v_and_b32_e32 v9, 0xffff, v1
	v_lshrrev_b32_e32 v10, 16, v1
	;;#ASMSTART
	v_cvt_f32_f16 v9, v9;
	;;#ASMEND
	v_dual_add_f32 v1, v44, v45 :: v_dual_add_nc_u32 v28, 0x80, v28
	v_dual_add_f32 v7, v42, v43 :: v_dual_add_f32 v8, v39, v41
	;;#ASMSTART
	v_cvt_f32_f16 v10, v10;
	;;#ASMEND
	s_delay_alu instid0(VALU_DEP_2) | instskip(SKIP_1) | instid1(VALU_DEP_2)
	v_dual_add_f32 v9, v9, v10 :: v_dual_add_f32 v26, v26, v1
	v_dual_add_f32 v22, v22, v30 :: v_dual_add_f32 v23, v23, v31
	;; [unrolled: 1-line block ×3, first 2 shown]
	v_add_f32_e32 v25, v25, v8
	v_add_nc_u32_e32 v29, 0x200, v29
	s_wait_alu 0xf1ff
	v_add_co_ci_u32_e64 v6, null, 0, v6, s0
	s_or_b32 s5, vcc_lo, s5
	s_wait_alu 0xfffe
	s_and_not1_b32 exec_lo, exec_lo, s5
	s_cbranch_execz .LBB300_1329
.LBB300_669:                            ; =>This Inner Loop Header: Depth=1
	global_load_b32 v1, v[5:6], off
	ds_load_2addr_b64 v[30:33], v29 offset1:1
	ds_load_2addr_b64 v[42:45], v29 offset0:2 offset1:3
	s_mov_b32 s0, exec_lo
	s_wait_dscnt 0x1
	;;#ASMSTART
	v_cvt_f16_f32 v34, v30;

	;;#ASMEND
	;;#ASMSTART
	v_cvt_f16_f32 v36, v31;

	;;#ASMEND
	;; [unrolled: 4-line block ×4, first 2 shown]
	s_wait_dscnt 0x0
	;;#ASMSTART
	v_cvt_f16_f32 v42, v42;

	;;#ASMEND
	;;#ASMSTART
	v_cvt_f16_f32 v39, v43;

	;;#ASMEND
	;; [unrolled: 4-line block ×4, first 2 shown]
	v_mov_b32_e32 v31, 0
	s_wait_loadcnt 0x0
	s_wait_alu 0xfffe
	v_mad_co_i64_i32 v[7:8], null, v1, s4, v[3:4]
	global_load_b64 v[9:10], v[7:8], off
	global_load_b32 v30, v2, s[10:11]
	s_wait_loadcnt 0x1
	v_and_b32_e32 v1, 0xff, v9
	s_delay_alu instid0(VALU_DEP_1)
	v_cmpx_ne_u16_e32 0, v1
	s_cbranch_execz .LBB300_677
; %bb.670:                              ;   in Loop: Header=BB300_669 Depth=1
	v_mov_b32_e32 v31, 0x8000
	s_mov_b32 s6, exec_lo
	v_cmpx_ne_u16_e32 0x80, v1
	s_cbranch_execz .LBB300_676
; %bb.671:                              ;   in Loop: Header=BB300_669 Depth=1
	v_and_b32_e32 v32, 0x7f, v9
	v_mov_b32_e32 v31, 0x7c01
	s_mov_b32 s7, exec_lo
	s_delay_alu instid0(VALU_DEP_2)
	v_cmpx_ne_u32_e32 0x7f, v32
	s_cbranch_execz .LBB300_675
; %bb.672:                              ;   in Loop: Header=BB300_669 Depth=1
	v_and_b32_e32 v1, 7, v9
	v_lshrrev_b32_e32 v14, 3, v32
	s_mov_b32 s13, exec_lo
	v_cmpx_gt_u32_e32 8, v32
; %bb.673:                              ;   in Loop: Header=BB300_669 Depth=1
	s_delay_alu instid0(VALU_DEP_3) | instskip(NEXT) | instid1(VALU_DEP_1)
	v_clz_i32_u32_e32 v1, v1
	v_min_u32_e32 v1, 32, v1
	s_delay_alu instid0(VALU_DEP_1) | instskip(NEXT) | instid1(VALU_DEP_1)
	v_subrev_nc_u32_e32 v14, 28, v1
	v_lshlrev_b64_e32 v[31:32], v14, v[9:10]
	v_sub_nc_u32_e32 v14, 29, v1
	s_delay_alu instid0(VALU_DEP_2)
	v_and_b32_e32 v1, 7, v31
; %bb.674:                              ;   in Loop: Header=BB300_669 Depth=1
	s_or_b32 exec_lo, exec_lo, s13
	v_lshlrev_b32_e32 v31, 8, v9
	s_delay_alu instid0(VALU_DEP_3) | instskip(NEXT) | instid1(VALU_DEP_3)
	v_lshl_add_u32 v14, v14, 10, 0x2000
	v_lshlrev_b32_e32 v1, 7, v1
	s_delay_alu instid0(VALU_DEP_3) | instskip(NEXT) | instid1(VALU_DEP_3)
	v_and_b32_e32 v31, 0x8000, v31
	v_and_b32_e32 v14, 0xfc00, v14
	s_delay_alu instid0(VALU_DEP_1)
	v_or3_b32 v31, v31, v14, v1
.LBB300_675:                            ;   in Loop: Header=BB300_669 Depth=1
	s_wait_alu 0xfffe
	s_or_b32 exec_lo, exec_lo, s7
.LBB300_676:                            ;   in Loop: Header=BB300_669 Depth=1
	s_wait_alu 0xfffe
	s_or_b32 exec_lo, exec_lo, s6
.LBB300_677:                            ;   in Loop: Header=BB300_669 Depth=1
	s_delay_alu instid0(SALU_CYCLE_1) | instskip(SKIP_4) | instid1(VALU_DEP_3)
	s_or_b32 exec_lo, exec_lo, s0
	v_lshrrev_b16 v1, 8, v9
	v_mov_b32_e32 v14, 0
	v_mov_b32_e32 v32, 0
	s_mov_b32 s0, exec_lo
	v_cmpx_ne_u16_e32 0, v1
	s_cbranch_execz .LBB300_685
; %bb.678:                              ;   in Loop: Header=BB300_669 Depth=1
	v_bfrev_b32_e32 v32, 1
	s_mov_b32 s6, exec_lo
	v_cmpx_ne_u16_e32 0x80, v1
	s_cbranch_execz .LBB300_684
; %bb.679:                              ;   in Loop: Header=BB300_669 Depth=1
	v_and_b32_e32 v33, 0xffff, v1
	v_mov_b32_e32 v32, 0x7c010000
	s_mov_b32 s7, exec_lo
	s_delay_alu instid0(VALU_DEP_2) | instskip(NEXT) | instid1(VALU_DEP_1)
	v_and_b32_e32 v38, 0x7f, v33
	v_cmpx_ne_u32_e32 0x7f, v38
	s_cbranch_execz .LBB300_683
; %bb.680:                              ;   in Loop: Header=BB300_669 Depth=1
	v_and_b32_e32 v32, 7, v33
	v_lshrrev_b32_e32 v35, 3, v38
	s_mov_b32 s13, exec_lo
	v_cmpx_gt_u32_e32 8, v38
; %bb.681:                              ;   in Loop: Header=BB300_669 Depth=1
	s_delay_alu instid0(VALU_DEP_3) | instskip(NEXT) | instid1(VALU_DEP_1)
	v_clz_i32_u32_e32 v32, v32
	v_min_u32_e32 v32, 32, v32
	s_delay_alu instid0(VALU_DEP_1) | instskip(NEXT) | instid1(VALU_DEP_1)
	v_subrev_nc_u32_e32 v35, 28, v32
	v_lshlrev_b64_e32 v[44:45], v35, v[1:2]
	v_sub_nc_u32_e32 v35, 29, v32
	s_delay_alu instid0(VALU_DEP_2)
	v_and_b32_e32 v32, 7, v44
; %bb.682:                              ;   in Loop: Header=BB300_669 Depth=1
	s_or_b32 exec_lo, exec_lo, s13
	v_lshlrev_b32_e32 v1, 8, v33
	s_delay_alu instid0(VALU_DEP_3) | instskip(NEXT) | instid1(VALU_DEP_3)
	v_lshl_add_u32 v33, v35, 10, 0x2000
	v_lshlrev_b32_e32 v32, 23, v32
	s_delay_alu instid0(VALU_DEP_2) | instskip(NEXT) | instid1(VALU_DEP_1)
	v_and_or_b32 v1, 0x8000, v1, v33
	v_lshl_or_b32 v32, v1, 16, v32
.LBB300_683:                            ;   in Loop: Header=BB300_669 Depth=1
	s_wait_alu 0xfffe
	s_or_b32 exec_lo, exec_lo, s7
.LBB300_684:                            ;   in Loop: Header=BB300_669 Depth=1
	s_wait_alu 0xfffe
	s_or_b32 exec_lo, exec_lo, s6
.LBB300_685:                            ;   in Loop: Header=BB300_669 Depth=1
	s_wait_alu 0xfffe
	s_or_b32 exec_lo, exec_lo, s0
	v_lshrrev_b32_e32 v1, 16, v9
	s_mov_b32 s0, exec_lo
	s_delay_alu instid0(VALU_DEP_1) | instskip(NEXT) | instid1(VALU_DEP_1)
	v_and_b32_e32 v33, 0xff, v1
	v_cmpx_ne_u16_e32 0, v33
	s_cbranch_execz .LBB300_693
; %bb.686:                              ;   in Loop: Header=BB300_669 Depth=1
	v_mov_b32_e32 v14, 0x8000
	s_mov_b32 s6, exec_lo
	v_cmpx_ne_u16_e32 0x80, v33
	s_cbranch_execz .LBB300_692
; %bb.687:                              ;   in Loop: Header=BB300_669 Depth=1
	v_bfe_u32 v35, v9, 16, 7
	v_mov_b32_e32 v14, 0x7c01
	s_mov_b32 s7, exec_lo
	s_delay_alu instid0(VALU_DEP_2)
	v_cmpx_ne_u32_e32 0x7f, v35
	s_cbranch_execz .LBB300_691
; %bb.688:                              ;   in Loop: Header=BB300_669 Depth=1
	v_and_b32_e32 v14, 7, v1
	v_lshrrev_b32_e32 v33, 3, v35
	s_mov_b32 s13, exec_lo
	v_cmpx_gt_u32_e32 8, v35
; %bb.689:                              ;   in Loop: Header=BB300_669 Depth=1
	s_delay_alu instid0(VALU_DEP_3) | instskip(NEXT) | instid1(VALU_DEP_1)
	v_clz_i32_u32_e32 v14, v14
	v_min_u32_e32 v14, 32, v14
	s_delay_alu instid0(VALU_DEP_1) | instskip(NEXT) | instid1(VALU_DEP_1)
	v_subrev_nc_u32_e32 v33, 28, v14
	v_lshlrev_b64_e32 v[44:45], v33, v[1:2]
	v_sub_nc_u32_e32 v33, 29, v14
	s_delay_alu instid0(VALU_DEP_2)
	v_and_b32_e32 v14, 7, v44
; %bb.690:                              ;   in Loop: Header=BB300_669 Depth=1
	s_or_b32 exec_lo, exec_lo, s13
	v_lshlrev_b32_e32 v1, 8, v1
	s_delay_alu instid0(VALU_DEP_3) | instskip(NEXT) | instid1(VALU_DEP_3)
	v_lshl_add_u32 v33, v33, 10, 0x2000
	v_lshlrev_b32_e32 v14, 7, v14
	s_delay_alu instid0(VALU_DEP_3) | instskip(NEXT) | instid1(VALU_DEP_3)
	v_and_b32_e32 v1, 0x8000, v1
	v_and_b32_e32 v33, 0xfc00, v33
	s_delay_alu instid0(VALU_DEP_1)
	v_or3_b32 v14, v1, v33, v14
.LBB300_691:                            ;   in Loop: Header=BB300_669 Depth=1
	s_wait_alu 0xfffe
	s_or_b32 exec_lo, exec_lo, s7
.LBB300_692:                            ;   in Loop: Header=BB300_669 Depth=1
	s_wait_alu 0xfffe
	s_or_b32 exec_lo, exec_lo, s6
.LBB300_693:                            ;   in Loop: Header=BB300_669 Depth=1
	s_wait_alu 0xfffe
	s_or_b32 exec_lo, exec_lo, s0
	v_mov_b32_e32 v33, 0
	v_mov_b32_e32 v35, 0
	s_mov_b32 s0, exec_lo
	v_cmpx_lt_u32_e32 0xffffff, v9
	s_cbranch_execz .LBB300_701
; %bb.694:                              ;   in Loop: Header=BB300_669 Depth=1
	v_lshrrev_b32_e32 v1, 24, v9
	v_bfrev_b32_e32 v35, 1
	s_mov_b32 s6, exec_lo
	s_delay_alu instid0(VALU_DEP_2)
	v_cmpx_ne_u32_e32 0x80, v1
	s_cbranch_execz .LBB300_700
; %bb.695:                              ;   in Loop: Header=BB300_669 Depth=1
	v_and_b32_e32 v44, 0x7f, v1
	v_mov_b32_e32 v35, 0x7c010000
	s_mov_b32 s7, exec_lo
	s_delay_alu instid0(VALU_DEP_2)
	v_cmpx_ne_u32_e32 0x7f, v44
	s_cbranch_execz .LBB300_699
; %bb.696:                              ;   in Loop: Header=BB300_669 Depth=1
	v_and_b32_e32 v35, 7, v1
	v_lshrrev_b32_e32 v38, 3, v44
	s_mov_b32 s13, exec_lo
	v_cmpx_gt_u32_e32 8, v44
; %bb.697:                              ;   in Loop: Header=BB300_669 Depth=1
	s_delay_alu instid0(VALU_DEP_3) | instskip(NEXT) | instid1(VALU_DEP_1)
	v_clz_i32_u32_e32 v35, v35
	v_min_u32_e32 v35, 32, v35
	s_delay_alu instid0(VALU_DEP_1) | instskip(NEXT) | instid1(VALU_DEP_1)
	v_subrev_nc_u32_e32 v38, 28, v35
	v_lshlrev_b64_e32 v[44:45], v38, v[1:2]
	v_sub_nc_u32_e32 v38, 29, v35
	s_delay_alu instid0(VALU_DEP_2)
	v_and_b32_e32 v35, 7, v44
; %bb.698:                              ;   in Loop: Header=BB300_669 Depth=1
	s_or_b32 exec_lo, exec_lo, s13
	v_lshlrev_b32_e32 v1, 8, v1
	s_delay_alu instid0(VALU_DEP_3) | instskip(NEXT) | instid1(VALU_DEP_3)
	v_lshl_add_u32 v38, v38, 10, 0x2000
	v_lshlrev_b32_e32 v35, 23, v35
	s_delay_alu instid0(VALU_DEP_2) | instskip(NEXT) | instid1(VALU_DEP_1)
	v_and_or_b32 v1, 0x8000, v1, v38
	v_lshl_or_b32 v35, v1, 16, v35
.LBB300_699:                            ;   in Loop: Header=BB300_669 Depth=1
	s_wait_alu 0xfffe
	s_or_b32 exec_lo, exec_lo, s7
.LBB300_700:                            ;   in Loop: Header=BB300_669 Depth=1
	s_wait_alu 0xfffe
	s_or_b32 exec_lo, exec_lo, s6
.LBB300_701:                            ;   in Loop: Header=BB300_669 Depth=1
	s_wait_alu 0xfffe
	s_or_b32 exec_lo, exec_lo, s0
	v_dual_mov_b32 v1, v10 :: v_dual_and_b32 v38, 0xff, v10
	s_mov_b32 s0, exec_lo
	s_delay_alu instid0(VALU_DEP_1)
	v_cmpx_ne_u16_e32 0, v38
	s_cbranch_execz .LBB300_709
; %bb.702:                              ;   in Loop: Header=BB300_669 Depth=1
	v_mov_b32_e32 v33, 0x8000
	s_mov_b32 s6, exec_lo
	v_cmpx_ne_u16_e32 0x80, v38
	s_cbranch_execz .LBB300_708
; %bb.703:                              ;   in Loop: Header=BB300_669 Depth=1
	v_and_b32_e32 v44, 0x7f, v10
	v_mov_b32_e32 v33, 0x7c01
	s_mov_b32 s7, exec_lo
	s_delay_alu instid0(VALU_DEP_2)
	v_cmpx_ne_u32_e32 0x7f, v44
	s_cbranch_execz .LBB300_707
; %bb.704:                              ;   in Loop: Header=BB300_669 Depth=1
	v_and_b32_e32 v33, 7, v10
	v_lshrrev_b32_e32 v38, 3, v44
	s_mov_b32 s13, exec_lo
	v_cmpx_gt_u32_e32 8, v44
; %bb.705:                              ;   in Loop: Header=BB300_669 Depth=1
	s_delay_alu instid0(VALU_DEP_3) | instskip(NEXT) | instid1(VALU_DEP_1)
	v_clz_i32_u32_e32 v33, v33
	v_min_u32_e32 v33, 32, v33
	s_delay_alu instid0(VALU_DEP_1) | instskip(NEXT) | instid1(VALU_DEP_1)
	v_subrev_nc_u32_e32 v38, 28, v33
	v_lshlrev_b64_e32 v[44:45], v38, v[1:2]
	v_sub_nc_u32_e32 v38, 29, v33
	s_delay_alu instid0(VALU_DEP_2)
	v_and_b32_e32 v33, 7, v44
; %bb.706:                              ;   in Loop: Header=BB300_669 Depth=1
	s_or_b32 exec_lo, exec_lo, s13
	v_lshlrev_b32_e32 v44, 8, v10
	s_delay_alu instid0(VALU_DEP_3) | instskip(NEXT) | instid1(VALU_DEP_3)
	v_lshl_add_u32 v38, v38, 10, 0x2000
	v_lshlrev_b32_e32 v33, 7, v33
	s_delay_alu instid0(VALU_DEP_3) | instskip(NEXT) | instid1(VALU_DEP_3)
	v_and_b32_e32 v44, 0x8000, v44
	v_and_b32_e32 v38, 0xfc00, v38
	s_delay_alu instid0(VALU_DEP_1)
	v_or3_b32 v33, v44, v38, v33
.LBB300_707:                            ;   in Loop: Header=BB300_669 Depth=1
	s_wait_alu 0xfffe
	s_or_b32 exec_lo, exec_lo, s7
.LBB300_708:                            ;   in Loop: Header=BB300_669 Depth=1
	s_wait_alu 0xfffe
	s_or_b32 exec_lo, exec_lo, s6
.LBB300_709:                            ;   in Loop: Header=BB300_669 Depth=1
	s_wait_alu 0xfffe
	s_or_b32 exec_lo, exec_lo, s0
	v_lshrrev_b16 v1, 8, v1
	v_mov_b32_e32 v44, 0
	v_mov_b32_e32 v38, 0
	s_mov_b32 s0, exec_lo
	s_delay_alu instid0(VALU_DEP_3)
	v_cmpx_ne_u16_e32 0, v1
	s_cbranch_execz .LBB300_717
; %bb.710:                              ;   in Loop: Header=BB300_669 Depth=1
	v_bfrev_b32_e32 v38, 1
	s_mov_b32 s6, exec_lo
	v_cmpx_ne_u16_e32 0x80, v1
	s_cbranch_execz .LBB300_716
; %bb.711:                              ;   in Loop: Header=BB300_669 Depth=1
	v_and_b32_e32 v45, 0xffff, v1
	v_mov_b32_e32 v38, 0x7c010000
	s_mov_b32 s7, exec_lo
	s_delay_alu instid0(VALU_DEP_2) | instskip(NEXT) | instid1(VALU_DEP_1)
	v_and_b32_e32 v47, 0x7f, v45
	v_cmpx_ne_u32_e32 0x7f, v47
	s_cbranch_execz .LBB300_715
; %bb.712:                              ;   in Loop: Header=BB300_669 Depth=1
	v_and_b32_e32 v38, 7, v45
	v_lshrrev_b32_e32 v46, 3, v47
	s_mov_b32 s13, exec_lo
	v_cmpx_gt_u32_e32 8, v47
; %bb.713:                              ;   in Loop: Header=BB300_669 Depth=1
	s_delay_alu instid0(VALU_DEP_3) | instskip(NEXT) | instid1(VALU_DEP_1)
	v_clz_i32_u32_e32 v38, v38
	v_min_u32_e32 v38, 32, v38
	s_delay_alu instid0(VALU_DEP_1) | instskip(NEXT) | instid1(VALU_DEP_1)
	v_subrev_nc_u32_e32 v46, 28, v38
	v_lshlrev_b64_e32 v[47:48], v46, v[1:2]
	v_sub_nc_u32_e32 v46, 29, v38
	s_delay_alu instid0(VALU_DEP_2)
	v_and_b32_e32 v38, 7, v47
; %bb.714:                              ;   in Loop: Header=BB300_669 Depth=1
	s_or_b32 exec_lo, exec_lo, s13
	v_lshlrev_b32_e32 v1, 8, v45
	s_delay_alu instid0(VALU_DEP_3) | instskip(NEXT) | instid1(VALU_DEP_3)
	v_lshl_add_u32 v45, v46, 10, 0x2000
	v_lshlrev_b32_e32 v38, 23, v38
	s_delay_alu instid0(VALU_DEP_2) | instskip(NEXT) | instid1(VALU_DEP_1)
	v_and_or_b32 v1, 0x8000, v1, v45
	v_lshl_or_b32 v38, v1, 16, v38
.LBB300_715:                            ;   in Loop: Header=BB300_669 Depth=1
	s_wait_alu 0xfffe
	s_or_b32 exec_lo, exec_lo, s7
.LBB300_716:                            ;   in Loop: Header=BB300_669 Depth=1
	s_wait_alu 0xfffe
	s_or_b32 exec_lo, exec_lo, s6
.LBB300_717:                            ;   in Loop: Header=BB300_669 Depth=1
	s_wait_alu 0xfffe
	s_or_b32 exec_lo, exec_lo, s0
	v_lshrrev_b32_e32 v1, 16, v10
	s_mov_b32 s0, exec_lo
	s_delay_alu instid0(VALU_DEP_1) | instskip(NEXT) | instid1(VALU_DEP_1)
	v_and_b32_e32 v45, 0xff, v1
	v_cmpx_ne_u16_e32 0, v45
	s_cbranch_execz .LBB300_725
; %bb.718:                              ;   in Loop: Header=BB300_669 Depth=1
	v_mov_b32_e32 v44, 0x8000
	s_mov_b32 s6, exec_lo
	v_cmpx_ne_u16_e32 0x80, v45
	s_cbranch_execz .LBB300_724
; %bb.719:                              ;   in Loop: Header=BB300_669 Depth=1
	v_bfe_u32 v46, v10, 16, 7
	v_mov_b32_e32 v44, 0x7c01
	s_mov_b32 s7, exec_lo
	s_delay_alu instid0(VALU_DEP_2)
	v_cmpx_ne_u32_e32 0x7f, v46
	s_cbranch_execz .LBB300_723
; %bb.720:                              ;   in Loop: Header=BB300_669 Depth=1
	v_and_b32_e32 v44, 7, v1
	v_lshrrev_b32_e32 v45, 3, v46
	s_mov_b32 s13, exec_lo
	v_cmpx_gt_u32_e32 8, v46
; %bb.721:                              ;   in Loop: Header=BB300_669 Depth=1
	s_delay_alu instid0(VALU_DEP_3) | instskip(NEXT) | instid1(VALU_DEP_1)
	v_clz_i32_u32_e32 v44, v44
	v_min_u32_e32 v46, 32, v44
	s_delay_alu instid0(VALU_DEP_1) | instskip(NEXT) | instid1(VALU_DEP_1)
	v_subrev_nc_u32_e32 v44, 28, v46
	v_lshlrev_b64_e32 v[44:45], v44, v[1:2]
	v_sub_nc_u32_e32 v45, 29, v46
	s_delay_alu instid0(VALU_DEP_2)
	v_and_b32_e32 v44, 7, v44
; %bb.722:                              ;   in Loop: Header=BB300_669 Depth=1
	s_or_b32 exec_lo, exec_lo, s13
	v_lshlrev_b32_e32 v1, 8, v1
	s_delay_alu instid0(VALU_DEP_3) | instskip(NEXT) | instid1(VALU_DEP_3)
	v_lshl_add_u32 v45, v45, 10, 0x2000
	v_lshlrev_b32_e32 v44, 7, v44
	s_delay_alu instid0(VALU_DEP_3) | instskip(NEXT) | instid1(VALU_DEP_3)
	v_and_b32_e32 v1, 0x8000, v1
	v_and_b32_e32 v45, 0xfc00, v45
	s_delay_alu instid0(VALU_DEP_1)
	v_or3_b32 v44, v1, v45, v44
.LBB300_723:                            ;   in Loop: Header=BB300_669 Depth=1
	s_wait_alu 0xfffe
	s_or_b32 exec_lo, exec_lo, s7
.LBB300_724:                            ;   in Loop: Header=BB300_669 Depth=1
	s_wait_alu 0xfffe
	s_or_b32 exec_lo, exec_lo, s6
.LBB300_725:                            ;   in Loop: Header=BB300_669 Depth=1
	s_wait_alu 0xfffe
	s_or_b32 exec_lo, exec_lo, s0
	v_cmp_lt_u64_e32 vcc_lo, s[2:3], v[9:10]
	v_mov_b32_e32 v9, 0
	s_and_saveexec_b32 s0, vcc_lo
	s_cbranch_execz .LBB300_733
; %bb.726:                              ;   in Loop: Header=BB300_669 Depth=1
	v_lshrrev_b32_e32 v1, 24, v10
	v_bfrev_b32_e32 v9, 1
	s_mov_b32 s6, exec_lo
	s_delay_alu instid0(VALU_DEP_2)
	v_cmpx_ne_u32_e32 0x80, v1
	s_cbranch_execz .LBB300_732
; %bb.727:                              ;   in Loop: Header=BB300_669 Depth=1
	v_and_b32_e32 v45, 0x7f, v1
	v_mov_b32_e32 v9, 0x7c010000
	s_mov_b32 s7, exec_lo
	s_delay_alu instid0(VALU_DEP_2)
	v_cmpx_ne_u32_e32 0x7f, v45
	s_cbranch_execz .LBB300_731
; %bb.728:                              ;   in Loop: Header=BB300_669 Depth=1
	v_and_b32_e32 v9, 7, v1
	v_lshrrev_b32_e32 v10, 3, v45
	s_mov_b32 s13, exec_lo
	v_cmpx_gt_u32_e32 8, v45
; %bb.729:                              ;   in Loop: Header=BB300_669 Depth=1
	s_delay_alu instid0(VALU_DEP_3) | instskip(NEXT) | instid1(VALU_DEP_1)
	v_clz_i32_u32_e32 v9, v9
	v_min_u32_e32 v45, 32, v9
	s_delay_alu instid0(VALU_DEP_1) | instskip(NEXT) | instid1(VALU_DEP_1)
	v_subrev_nc_u32_e32 v9, 28, v45
	v_lshlrev_b64_e32 v[9:10], v9, v[1:2]
	v_sub_nc_u32_e32 v10, 29, v45
	s_delay_alu instid0(VALU_DEP_2)
	v_and_b32_e32 v9, 7, v9
; %bb.730:                              ;   in Loop: Header=BB300_669 Depth=1
	s_or_b32 exec_lo, exec_lo, s13
	v_lshlrev_b32_e32 v1, 8, v1
	s_delay_alu instid0(VALU_DEP_3) | instskip(NEXT) | instid1(VALU_DEP_3)
	v_lshl_add_u32 v10, v10, 10, 0x2000
	v_lshlrev_b32_e32 v9, 23, v9
	s_delay_alu instid0(VALU_DEP_2) | instskip(NEXT) | instid1(VALU_DEP_1)
	v_and_or_b32 v1, 0x8000, v1, v10
	v_lshl_or_b32 v9, v1, 16, v9
.LBB300_731:                            ;   in Loop: Header=BB300_669 Depth=1
	s_wait_alu 0xfffe
	s_or_b32 exec_lo, exec_lo, s7
.LBB300_732:                            ;   in Loop: Header=BB300_669 Depth=1
	s_wait_alu 0xfffe
	s_or_b32 exec_lo, exec_lo, s6
.LBB300_733:                            ;   in Loop: Header=BB300_669 Depth=1
	s_wait_alu 0xfffe
	s_or_b32 exec_lo, exec_lo, s0
	v_or_b32_e32 v1, v35, v14
	s_wait_loadcnt 0x0
	v_fma_mixlo_f16 v10, v30, v35, 0 op_sel:[0,1,0] op_sel_hi:[0,1,0]
	v_or_b32_e32 v31, v32, v31
	v_fma_mixlo_f16 v32, v30, v32, 0 op_sel:[0,1,0] op_sel_hi:[0,1,0]
	v_or_b32_e32 v33, v38, v33
	v_fma_mixlo_f16 v1, v30, v1, 0 op_sel_hi:[0,1,0]
	v_or_b32_e32 v35, v9, v44
	v_fma_mixlo_f16 v9, v30, v9, 0 op_sel:[0,1,0] op_sel_hi:[0,1,0]
	v_lshlrev_b32_e32 v50, 16, v32
	v_fma_mixlo_f16 v32, v30, v33, 0 op_sel_hi:[0,1,0]
	v_and_b32_e32 v47, 0xffff, v1
	v_fma_mixlo_f16 v1, v30, v31, 0 op_sel_hi:[0,1,0]
	v_fma_mixlo_f16 v31, v30, v38, 0 op_sel:[0,1,0] op_sel_hi:[0,1,0]
	v_fma_mixlo_f16 v30, v30, v35, 0 op_sel_hi:[0,1,0]
	v_lshlrev_b32_e32 v10, 16, v10
	v_and_b32_e32 v51, 0xffff, v32
	v_and_b32_e32 v52, 0xffff, v1
	v_lshlrev_b32_e32 v48, 16, v31
	v_lshlrev_b32_e32 v45, 16, v9
	v_and_b32_e32 v49, 0xffff, v30
	v_add_nc_u32_e32 v14, -7, v28
	v_cmp_eq_u32_e32 vcc_lo, s29, v13
	v_or_b32_e32 v1, v10, v47
	v_or_b32_e32 v9, v50, v52
	;; [unrolled: 1-line block ×4, first 2 shown]
	v_add_nc_u32_e32 v38, -6, v28
	v_add_nc_u32_e32 v35, -5, v28
	;; [unrolled: 1-line block ×6, first 2 shown]
	s_and_saveexec_b32 s6, vcc_lo
	s_cbranch_execz .LBB300_735
; %bb.734:                              ;   in Loop: Header=BB300_669 Depth=1
	v_cmp_gt_i32_e64 s0, s27, v14
	s_wait_alu 0xf1ff
	s_delay_alu instid0(VALU_DEP_1) | instskip(SKIP_2) | instid1(VALU_DEP_1)
	v_cndmask_b32_e64 v1, 0, v52, s0
	v_cmp_gt_i32_e64 s0, s27, v38
	s_wait_alu 0xf1ff
	v_cndmask_b32_e64 v9, 0, v50, s0
	v_cmp_gt_i32_e64 s0, s27, v35
	s_delay_alu instid0(VALU_DEP_2) | instskip(SKIP_1) | instid1(VALU_DEP_2)
	v_or_b32_e32 v9, v9, v1
	s_wait_alu 0xf1ff
	v_cndmask_b32_e64 v44, 0, v47, s0
	v_cmp_gt_i32_e64 s0, s27, v33
	s_wait_alu 0xf1ff
	s_delay_alu instid0(VALU_DEP_1) | instskip(SKIP_1) | instid1(VALU_DEP_2)
	v_cndmask_b32_e64 v10, 0, v10, s0
	v_cmp_gt_i32_e64 s0, s27, v32
	v_or_b32_e32 v1, v10, v44
	s_wait_alu 0xf1ff
	s_delay_alu instid0(VALU_DEP_2) | instskip(SKIP_2) | instid1(VALU_DEP_1)
	v_cndmask_b32_e64 v46, 0, v51, s0
	v_cmp_gt_i32_e64 s0, s27, v31
	s_wait_alu 0xf1ff
	v_cndmask_b32_e64 v47, 0, v48, s0
	v_cmp_gt_i32_e64 s0, s27, v30
	s_delay_alu instid0(VALU_DEP_2) | instskip(SKIP_1) | instid1(VALU_DEP_2)
	v_or_b32_e32 v44, v47, v46
	s_wait_alu 0xf1ff
	v_cndmask_b32_e64 v48, 0, v49, s0
	v_cmp_gt_i32_e64 s0, s27, v28
	s_wait_alu 0xf1ff
	s_delay_alu instid0(VALU_DEP_1) | instskip(NEXT) | instid1(VALU_DEP_1)
	v_cndmask_b32_e64 v45, 0, v45, s0
	v_or_b32_e32 v46, v45, v48
.LBB300_735:                            ;   in Loop: Header=BB300_669 Depth=1
	s_wait_alu 0xfffe
	s_or_b32 exec_lo, exec_lo, s6
	v_and_b32_e32 v10, 0xffff, v34
	v_and_b32_e32 v34, 0xffff, v40
	;; [unrolled: 1-line block ×4, first 2 shown]
	s_mov_b32 s6, exec_lo
	s_delay_alu instid0(VALU_DEP_3) | instskip(NEXT) | instid1(VALU_DEP_3)
	v_lshl_or_b32 v37, v37, 16, v34
	v_lshl_or_b32 v34, v41, 16, v43
	v_mov_b32_e32 v43, 0
	v_lshl_or_b32 v40, v36, 16, v10
	;;#ASMSTART
	v_pk_mul_f16 v9, v40, v9;

	;;#ASMEND
	;;#ASMSTART
	v_pk_mul_f16 v1, v37, v1;

	;;#ASMEND
	v_lshl_or_b32 v36, v39, 16, v42
	;;#ASMSTART
	v_pk_mul_f16 v10, v36, v44;

	;;#ASMEND
	;;#ASMSTART
	v_pk_mul_f16 v39, v34, v46;

	;;#ASMEND
	;;#ASMSTART
	v_pk_add_f16 v1, v9, v1;

	;;#ASMEND
	;;#ASMSTART
	v_pk_add_f16 v1, v1, v10;
	;; [unrolled: 4-line block ×3, first 2 shown]

	;;#ASMEND
	v_and_b32_e32 v9, 0xffff, v1
	v_lshrrev_b32_e32 v1, 16, v1
	;;#ASMSTART
	v_cvt_f32_f16 v39, v9;
	;;#ASMEND
	;;#ASMSTART
	v_cvt_f32_f16 v41, v1;
	;;#ASMEND
	global_load_b64 v[9:10], v[7:8], off offset:256
	global_load_b32 v42, v43, s[10:11]
	s_wait_loadcnt 0x1
	v_dual_mov_b32 v44, 0 :: v_dual_and_b32 v1, 0xff, v9
	s_delay_alu instid0(VALU_DEP_1)
	v_cmpx_ne_u16_e32 0, v1
	s_cbranch_execz .LBB300_743
; %bb.736:                              ;   in Loop: Header=BB300_669 Depth=1
	v_mov_b32_e32 v44, 0x8000
	s_mov_b32 s7, exec_lo
	v_cmpx_ne_u16_e32 0x80, v1
	s_cbranch_execz .LBB300_742
; %bb.737:                              ;   in Loop: Header=BB300_669 Depth=1
	v_and_b32_e32 v45, 0x7f, v9
	v_mov_b32_e32 v44, 0x7c01
	s_mov_b32 s13, exec_lo
	s_delay_alu instid0(VALU_DEP_2)
	v_cmpx_ne_u32_e32 0x7f, v45
	s_cbranch_execz .LBB300_741
; %bb.738:                              ;   in Loop: Header=BB300_669 Depth=1
	v_and_b32_e32 v1, 7, v9
	v_lshrrev_b32_e32 v44, 3, v45
	s_mov_b32 s14, exec_lo
	v_cmpx_gt_u32_e32 8, v45
; %bb.739:                              ;   in Loop: Header=BB300_669 Depth=1
	s_delay_alu instid0(VALU_DEP_3) | instskip(NEXT) | instid1(VALU_DEP_1)
	v_clz_i32_u32_e32 v1, v1
	v_min_u32_e32 v1, 32, v1
	s_delay_alu instid0(VALU_DEP_1) | instskip(NEXT) | instid1(VALU_DEP_1)
	v_subrev_nc_u32_e32 v44, 28, v1
	v_lshlrev_b64_e32 v[45:46], v44, v[9:10]
	v_sub_nc_u32_e32 v44, 29, v1
	s_delay_alu instid0(VALU_DEP_2)
	v_and_b32_e32 v1, 7, v45
; %bb.740:                              ;   in Loop: Header=BB300_669 Depth=1
	s_wait_alu 0xfffe
	s_or_b32 exec_lo, exec_lo, s14
	v_lshlrev_b32_e32 v45, 8, v9
	v_lshl_add_u32 v44, v44, 10, 0x2000
	v_lshlrev_b32_e32 v1, 7, v1
	s_delay_alu instid0(VALU_DEP_3) | instskip(NEXT) | instid1(VALU_DEP_3)
	v_and_b32_e32 v45, 0x8000, v45
	v_and_b32_e32 v44, 0xfc00, v44
	s_delay_alu instid0(VALU_DEP_1)
	v_or3_b32 v44, v45, v44, v1
.LBB300_741:                            ;   in Loop: Header=BB300_669 Depth=1
	s_or_b32 exec_lo, exec_lo, s13
.LBB300_742:                            ;   in Loop: Header=BB300_669 Depth=1
	s_wait_alu 0xfffe
	s_or_b32 exec_lo, exec_lo, s7
.LBB300_743:                            ;   in Loop: Header=BB300_669 Depth=1
	s_wait_alu 0xfffe
	s_or_b32 exec_lo, exec_lo, s6
	v_lshrrev_b16 v1, 8, v9
	s_mov_b32 s6, exec_lo
	s_delay_alu instid0(VALU_DEP_1)
	v_cmpx_ne_u16_e32 0, v1
	s_cbranch_execz .LBB300_751
; %bb.744:                              ;   in Loop: Header=BB300_669 Depth=1
	v_bfrev_b32_e32 v43, 1
	s_mov_b32 s7, exec_lo
	v_cmpx_ne_u16_e32 0x80, v1
	s_cbranch_execz .LBB300_750
; %bb.745:                              ;   in Loop: Header=BB300_669 Depth=1
	v_and_b32_e32 v45, 0xffff, v1
	v_mov_b32_e32 v43, 0x7c010000
	s_mov_b32 s13, exec_lo
	s_delay_alu instid0(VALU_DEP_2) | instskip(NEXT) | instid1(VALU_DEP_1)
	v_and_b32_e32 v47, 0x7f, v45
	v_cmpx_ne_u32_e32 0x7f, v47
	s_cbranch_execz .LBB300_749
; %bb.746:                              ;   in Loop: Header=BB300_669 Depth=1
	v_and_b32_e32 v43, 7, v45
	v_lshrrev_b32_e32 v46, 3, v47
	s_mov_b32 s14, exec_lo
	v_cmpx_gt_u32_e32 8, v47
; %bb.747:                              ;   in Loop: Header=BB300_669 Depth=1
	s_delay_alu instid0(VALU_DEP_3) | instskip(NEXT) | instid1(VALU_DEP_1)
	v_clz_i32_u32_e32 v43, v43
	v_min_u32_e32 v43, 32, v43
	s_delay_alu instid0(VALU_DEP_1) | instskip(NEXT) | instid1(VALU_DEP_1)
	v_subrev_nc_u32_e32 v46, 28, v43
	v_lshlrev_b64_e32 v[47:48], v46, v[1:2]
	v_sub_nc_u32_e32 v46, 29, v43
	s_delay_alu instid0(VALU_DEP_2)
	v_and_b32_e32 v43, 7, v47
; %bb.748:                              ;   in Loop: Header=BB300_669 Depth=1
	s_wait_alu 0xfffe
	s_or_b32 exec_lo, exec_lo, s14
	v_lshlrev_b32_e32 v1, 8, v45
	v_lshl_add_u32 v45, v46, 10, 0x2000
	v_lshlrev_b32_e32 v43, 23, v43
	s_delay_alu instid0(VALU_DEP_2) | instskip(NEXT) | instid1(VALU_DEP_1)
	v_and_or_b32 v1, 0x8000, v1, v45
	v_lshl_or_b32 v43, v1, 16, v43
.LBB300_749:                            ;   in Loop: Header=BB300_669 Depth=1
	s_or_b32 exec_lo, exec_lo, s13
.LBB300_750:                            ;   in Loop: Header=BB300_669 Depth=1
	s_wait_alu 0xfffe
	s_or_b32 exec_lo, exec_lo, s7
.LBB300_751:                            ;   in Loop: Header=BB300_669 Depth=1
	s_wait_alu 0xfffe
	s_or_b32 exec_lo, exec_lo, s6
	v_lshrrev_b32_e32 v1, 16, v9
	v_mov_b32_e32 v45, 0
	s_mov_b32 s6, exec_lo
	s_delay_alu instid0(VALU_DEP_2) | instskip(NEXT) | instid1(VALU_DEP_1)
	v_dual_mov_b32 v46, 0 :: v_dual_and_b32 v47, 0xff, v1
	v_cmpx_ne_u16_e32 0, v47
	s_cbranch_execz .LBB300_759
; %bb.752:                              ;   in Loop: Header=BB300_669 Depth=1
	v_mov_b32_e32 v46, 0x8000
	s_mov_b32 s7, exec_lo
	v_cmpx_ne_u16_e32 0x80, v47
	s_cbranch_execz .LBB300_758
; %bb.753:                              ;   in Loop: Header=BB300_669 Depth=1
	v_bfe_u32 v48, v9, 16, 7
	v_mov_b32_e32 v46, 0x7c01
	s_mov_b32 s13, exec_lo
	s_delay_alu instid0(VALU_DEP_2)
	v_cmpx_ne_u32_e32 0x7f, v48
	s_cbranch_execz .LBB300_757
; %bb.754:                              ;   in Loop: Header=BB300_669 Depth=1
	v_and_b32_e32 v46, 7, v1
	v_lshrrev_b32_e32 v47, 3, v48
	s_mov_b32 s14, exec_lo
	v_cmpx_gt_u32_e32 8, v48
; %bb.755:                              ;   in Loop: Header=BB300_669 Depth=1
	s_delay_alu instid0(VALU_DEP_3) | instskip(NEXT) | instid1(VALU_DEP_1)
	v_clz_i32_u32_e32 v46, v46
	v_min_u32_e32 v48, 32, v46
	s_delay_alu instid0(VALU_DEP_1) | instskip(NEXT) | instid1(VALU_DEP_1)
	v_subrev_nc_u32_e32 v46, 28, v48
	v_lshlrev_b64_e32 v[46:47], v46, v[1:2]
	v_sub_nc_u32_e32 v47, 29, v48
	s_delay_alu instid0(VALU_DEP_2)
	v_and_b32_e32 v46, 7, v46
; %bb.756:                              ;   in Loop: Header=BB300_669 Depth=1
	s_wait_alu 0xfffe
	s_or_b32 exec_lo, exec_lo, s14
	v_lshlrev_b32_e32 v1, 8, v1
	v_lshl_add_u32 v47, v47, 10, 0x2000
	v_lshlrev_b32_e32 v46, 7, v46
	s_delay_alu instid0(VALU_DEP_3) | instskip(NEXT) | instid1(VALU_DEP_3)
	v_and_b32_e32 v1, 0x8000, v1
	v_and_b32_e32 v47, 0xfc00, v47
	s_delay_alu instid0(VALU_DEP_1)
	v_or3_b32 v46, v1, v47, v46
.LBB300_757:                            ;   in Loop: Header=BB300_669 Depth=1
	s_or_b32 exec_lo, exec_lo, s13
.LBB300_758:                            ;   in Loop: Header=BB300_669 Depth=1
	s_wait_alu 0xfffe
	s_or_b32 exec_lo, exec_lo, s7
.LBB300_759:                            ;   in Loop: Header=BB300_669 Depth=1
	s_wait_alu 0xfffe
	s_or_b32 exec_lo, exec_lo, s6
	s_delay_alu instid0(SALU_CYCLE_1)
	s_mov_b32 s6, exec_lo
	v_cmpx_lt_u32_e32 0xffffff, v9
	s_cbranch_execz .LBB300_767
; %bb.760:                              ;   in Loop: Header=BB300_669 Depth=1
	v_lshrrev_b32_e32 v1, 24, v9
	v_bfrev_b32_e32 v45, 1
	s_mov_b32 s7, exec_lo
	s_delay_alu instid0(VALU_DEP_2)
	v_cmpx_ne_u32_e32 0x80, v1
	s_cbranch_execz .LBB300_766
; %bb.761:                              ;   in Loop: Header=BB300_669 Depth=1
	v_and_b32_e32 v48, 0x7f, v1
	v_mov_b32_e32 v45, 0x7c010000
	s_mov_b32 s13, exec_lo
	s_delay_alu instid0(VALU_DEP_2)
	v_cmpx_ne_u32_e32 0x7f, v48
	s_cbranch_execz .LBB300_765
; %bb.762:                              ;   in Loop: Header=BB300_669 Depth=1
	v_and_b32_e32 v45, 7, v1
	v_lshrrev_b32_e32 v47, 3, v48
	s_mov_b32 s14, exec_lo
	v_cmpx_gt_u32_e32 8, v48
; %bb.763:                              ;   in Loop: Header=BB300_669 Depth=1
	s_delay_alu instid0(VALU_DEP_3) | instskip(NEXT) | instid1(VALU_DEP_1)
	v_clz_i32_u32_e32 v45, v45
	v_min_u32_e32 v45, 32, v45
	s_delay_alu instid0(VALU_DEP_1) | instskip(NEXT) | instid1(VALU_DEP_1)
	v_subrev_nc_u32_e32 v47, 28, v45
	v_lshlrev_b64_e32 v[48:49], v47, v[1:2]
	v_sub_nc_u32_e32 v47, 29, v45
	s_delay_alu instid0(VALU_DEP_2)
	v_and_b32_e32 v45, 7, v48
; %bb.764:                              ;   in Loop: Header=BB300_669 Depth=1
	s_wait_alu 0xfffe
	s_or_b32 exec_lo, exec_lo, s14
	v_lshlrev_b32_e32 v1, 8, v1
	v_lshl_add_u32 v47, v47, 10, 0x2000
	v_lshlrev_b32_e32 v45, 23, v45
	s_delay_alu instid0(VALU_DEP_2) | instskip(NEXT) | instid1(VALU_DEP_1)
	v_and_or_b32 v1, 0x8000, v1, v47
	v_lshl_or_b32 v45, v1, 16, v45
.LBB300_765:                            ;   in Loop: Header=BB300_669 Depth=1
	s_or_b32 exec_lo, exec_lo, s13
.LBB300_766:                            ;   in Loop: Header=BB300_669 Depth=1
	s_wait_alu 0xfffe
	s_or_b32 exec_lo, exec_lo, s7
.LBB300_767:                            ;   in Loop: Header=BB300_669 Depth=1
	s_wait_alu 0xfffe
	s_or_b32 exec_lo, exec_lo, s6
	v_dual_mov_b32 v48, 0 :: v_dual_and_b32 v49, 0xff, v10
	v_mov_b32_e32 v1, v10
	v_mov_b32_e32 v47, 0
	s_mov_b32 s6, exec_lo
	s_delay_alu instid0(VALU_DEP_3)
	v_cmpx_ne_u16_e32 0, v49
	s_cbranch_execz .LBB300_775
; %bb.768:                              ;   in Loop: Header=BB300_669 Depth=1
	v_mov_b32_e32 v48, 0x8000
	s_mov_b32 s7, exec_lo
	v_cmpx_ne_u16_e32 0x80, v49
	s_cbranch_execz .LBB300_774
; %bb.769:                              ;   in Loop: Header=BB300_669 Depth=1
	v_and_b32_e32 v50, 0x7f, v10
	v_mov_b32_e32 v48, 0x7c01
	s_mov_b32 s13, exec_lo
	s_delay_alu instid0(VALU_DEP_2)
	v_cmpx_ne_u32_e32 0x7f, v50
	s_cbranch_execz .LBB300_773
; %bb.770:                              ;   in Loop: Header=BB300_669 Depth=1
	v_and_b32_e32 v48, 7, v10
	v_lshrrev_b32_e32 v49, 3, v50
	s_mov_b32 s14, exec_lo
	v_cmpx_gt_u32_e32 8, v50
; %bb.771:                              ;   in Loop: Header=BB300_669 Depth=1
	s_delay_alu instid0(VALU_DEP_3) | instskip(NEXT) | instid1(VALU_DEP_1)
	v_clz_i32_u32_e32 v48, v48
	v_min_u32_e32 v50, 32, v48
	s_delay_alu instid0(VALU_DEP_1) | instskip(NEXT) | instid1(VALU_DEP_1)
	v_subrev_nc_u32_e32 v48, 28, v50
	v_lshlrev_b64_e32 v[48:49], v48, v[1:2]
	v_sub_nc_u32_e32 v49, 29, v50
	s_delay_alu instid0(VALU_DEP_2)
	v_and_b32_e32 v48, 7, v48
; %bb.772:                              ;   in Loop: Header=BB300_669 Depth=1
	s_wait_alu 0xfffe
	s_or_b32 exec_lo, exec_lo, s14
	v_lshlrev_b32_e32 v50, 8, v10
	v_lshl_add_u32 v49, v49, 10, 0x2000
	v_lshlrev_b32_e32 v48, 7, v48
	s_delay_alu instid0(VALU_DEP_3) | instskip(NEXT) | instid1(VALU_DEP_3)
	v_and_b32_e32 v50, 0x8000, v50
	v_and_b32_e32 v49, 0xfc00, v49
	s_delay_alu instid0(VALU_DEP_1)
	v_or3_b32 v48, v50, v49, v48
.LBB300_773:                            ;   in Loop: Header=BB300_669 Depth=1
	s_or_b32 exec_lo, exec_lo, s13
.LBB300_774:                            ;   in Loop: Header=BB300_669 Depth=1
	s_wait_alu 0xfffe
	s_or_b32 exec_lo, exec_lo, s7
.LBB300_775:                            ;   in Loop: Header=BB300_669 Depth=1
	s_wait_alu 0xfffe
	s_or_b32 exec_lo, exec_lo, s6
	v_lshrrev_b16 v1, 8, v1
	v_mov_b32_e32 v49, 0
	s_mov_b32 s6, exec_lo
	s_delay_alu instid0(VALU_DEP_2)
	v_cmpx_ne_u16_e32 0, v1
	s_cbranch_execz .LBB300_783
; %bb.776:                              ;   in Loop: Header=BB300_669 Depth=1
	v_bfrev_b32_e32 v49, 1
	s_mov_b32 s7, exec_lo
	v_cmpx_ne_u16_e32 0x80, v1
	s_cbranch_execz .LBB300_782
; %bb.777:                              ;   in Loop: Header=BB300_669 Depth=1
	v_and_b32_e32 v50, 0xffff, v1
	v_mov_b32_e32 v49, 0x7c010000
	s_mov_b32 s13, exec_lo
	s_delay_alu instid0(VALU_DEP_2) | instskip(NEXT) | instid1(VALU_DEP_1)
	v_and_b32_e32 v52, 0x7f, v50
	v_cmpx_ne_u32_e32 0x7f, v52
	s_cbranch_execz .LBB300_781
; %bb.778:                              ;   in Loop: Header=BB300_669 Depth=1
	v_and_b32_e32 v49, 7, v50
	v_lshrrev_b32_e32 v51, 3, v52
	s_mov_b32 s14, exec_lo
	v_cmpx_gt_u32_e32 8, v52
; %bb.779:                              ;   in Loop: Header=BB300_669 Depth=1
	s_delay_alu instid0(VALU_DEP_3) | instskip(NEXT) | instid1(VALU_DEP_1)
	v_clz_i32_u32_e32 v49, v49
	v_min_u32_e32 v49, 32, v49
	s_delay_alu instid0(VALU_DEP_1) | instskip(NEXT) | instid1(VALU_DEP_1)
	v_subrev_nc_u32_e32 v51, 28, v49
	v_lshlrev_b64_e32 v[52:53], v51, v[1:2]
	v_sub_nc_u32_e32 v51, 29, v49
	s_delay_alu instid0(VALU_DEP_2)
	v_and_b32_e32 v49, 7, v52
; %bb.780:                              ;   in Loop: Header=BB300_669 Depth=1
	s_wait_alu 0xfffe
	s_or_b32 exec_lo, exec_lo, s14
	v_lshlrev_b32_e32 v1, 8, v50
	v_lshl_add_u32 v50, v51, 10, 0x2000
	v_lshlrev_b32_e32 v49, 23, v49
	s_delay_alu instid0(VALU_DEP_2) | instskip(NEXT) | instid1(VALU_DEP_1)
	v_and_or_b32 v1, 0x8000, v1, v50
	v_lshl_or_b32 v49, v1, 16, v49
.LBB300_781:                            ;   in Loop: Header=BB300_669 Depth=1
	s_or_b32 exec_lo, exec_lo, s13
.LBB300_782:                            ;   in Loop: Header=BB300_669 Depth=1
	s_wait_alu 0xfffe
	s_or_b32 exec_lo, exec_lo, s7
.LBB300_783:                            ;   in Loop: Header=BB300_669 Depth=1
	s_wait_alu 0xfffe
	s_or_b32 exec_lo, exec_lo, s6
	v_lshrrev_b32_e32 v1, 16, v10
	s_mov_b32 s6, exec_lo
	s_delay_alu instid0(VALU_DEP_1) | instskip(NEXT) | instid1(VALU_DEP_1)
	v_and_b32_e32 v50, 0xff, v1
	v_cmpx_ne_u16_e32 0, v50
	s_cbranch_execz .LBB300_791
; %bb.784:                              ;   in Loop: Header=BB300_669 Depth=1
	v_mov_b32_e32 v47, 0x8000
	s_mov_b32 s7, exec_lo
	v_cmpx_ne_u16_e32 0x80, v50
	s_cbranch_execz .LBB300_790
; %bb.785:                              ;   in Loop: Header=BB300_669 Depth=1
	v_bfe_u32 v51, v10, 16, 7
	v_mov_b32_e32 v47, 0x7c01
	s_mov_b32 s13, exec_lo
	s_delay_alu instid0(VALU_DEP_2)
	v_cmpx_ne_u32_e32 0x7f, v51
	s_cbranch_execz .LBB300_789
; %bb.786:                              ;   in Loop: Header=BB300_669 Depth=1
	v_and_b32_e32 v47, 7, v1
	v_lshrrev_b32_e32 v50, 3, v51
	s_mov_b32 s14, exec_lo
	v_cmpx_gt_u32_e32 8, v51
; %bb.787:                              ;   in Loop: Header=BB300_669 Depth=1
	s_delay_alu instid0(VALU_DEP_3) | instskip(NEXT) | instid1(VALU_DEP_1)
	v_clz_i32_u32_e32 v47, v47
	v_min_u32_e32 v47, 32, v47
	s_delay_alu instid0(VALU_DEP_1) | instskip(NEXT) | instid1(VALU_DEP_1)
	v_subrev_nc_u32_e32 v50, 28, v47
	v_lshlrev_b64_e32 v[51:52], v50, v[1:2]
	v_sub_nc_u32_e32 v50, 29, v47
	s_delay_alu instid0(VALU_DEP_2)
	v_and_b32_e32 v47, 7, v51
; %bb.788:                              ;   in Loop: Header=BB300_669 Depth=1
	s_wait_alu 0xfffe
	s_or_b32 exec_lo, exec_lo, s14
	v_lshlrev_b32_e32 v1, 8, v1
	v_lshl_add_u32 v50, v50, 10, 0x2000
	v_lshlrev_b32_e32 v47, 7, v47
	s_delay_alu instid0(VALU_DEP_3) | instskip(NEXT) | instid1(VALU_DEP_3)
	v_and_b32_e32 v1, 0x8000, v1
	v_and_b32_e32 v50, 0xfc00, v50
	s_delay_alu instid0(VALU_DEP_1)
	v_or3_b32 v47, v1, v50, v47
.LBB300_789:                            ;   in Loop: Header=BB300_669 Depth=1
	s_or_b32 exec_lo, exec_lo, s13
.LBB300_790:                            ;   in Loop: Header=BB300_669 Depth=1
	s_wait_alu 0xfffe
	s_or_b32 exec_lo, exec_lo, s7
.LBB300_791:                            ;   in Loop: Header=BB300_669 Depth=1
	s_wait_alu 0xfffe
	s_or_b32 exec_lo, exec_lo, s6
	v_cmp_lt_u64_e64 s0, s[2:3], v[9:10]
	v_mov_b32_e32 v9, 0
	s_and_saveexec_b32 s6, s0
	s_cbranch_execz .LBB300_799
; %bb.792:                              ;   in Loop: Header=BB300_669 Depth=1
	v_lshrrev_b32_e32 v1, 24, v10
	v_bfrev_b32_e32 v9, 1
	s_mov_b32 s7, exec_lo
	s_delay_alu instid0(VALU_DEP_2)
	v_cmpx_ne_u32_e32 0x80, v1
	s_cbranch_execz .LBB300_798
; %bb.793:                              ;   in Loop: Header=BB300_669 Depth=1
	v_and_b32_e32 v50, 0x7f, v1
	v_mov_b32_e32 v9, 0x7c010000
	s_mov_b32 s13, exec_lo
	s_delay_alu instid0(VALU_DEP_2)
	v_cmpx_ne_u32_e32 0x7f, v50
	s_cbranch_execz .LBB300_797
; %bb.794:                              ;   in Loop: Header=BB300_669 Depth=1
	v_and_b32_e32 v9, 7, v1
	v_lshrrev_b32_e32 v10, 3, v50
	s_mov_b32 s14, exec_lo
	v_cmpx_gt_u32_e32 8, v50
; %bb.795:                              ;   in Loop: Header=BB300_669 Depth=1
	s_delay_alu instid0(VALU_DEP_3) | instskip(NEXT) | instid1(VALU_DEP_1)
	v_clz_i32_u32_e32 v9, v9
	v_min_u32_e32 v50, 32, v9
	s_delay_alu instid0(VALU_DEP_1) | instskip(NEXT) | instid1(VALU_DEP_1)
	v_subrev_nc_u32_e32 v9, 28, v50
	v_lshlrev_b64_e32 v[9:10], v9, v[1:2]
	v_sub_nc_u32_e32 v10, 29, v50
	s_delay_alu instid0(VALU_DEP_2)
	v_and_b32_e32 v9, 7, v9
; %bb.796:                              ;   in Loop: Header=BB300_669 Depth=1
	s_wait_alu 0xfffe
	s_or_b32 exec_lo, exec_lo, s14
	v_lshlrev_b32_e32 v1, 8, v1
	v_lshl_add_u32 v10, v10, 10, 0x2000
	v_lshlrev_b32_e32 v9, 23, v9
	s_delay_alu instid0(VALU_DEP_2) | instskip(NEXT) | instid1(VALU_DEP_1)
	v_and_or_b32 v1, 0x8000, v1, v10
	v_lshl_or_b32 v9, v1, 16, v9
.LBB300_797:                            ;   in Loop: Header=BB300_669 Depth=1
	s_or_b32 exec_lo, exec_lo, s13
.LBB300_798:                            ;   in Loop: Header=BB300_669 Depth=1
	s_wait_alu 0xfffe
	s_or_b32 exec_lo, exec_lo, s7
.LBB300_799:                            ;   in Loop: Header=BB300_669 Depth=1
	s_wait_alu 0xfffe
	s_or_b32 exec_lo, exec_lo, s6
	v_or_b32_e32 v1, v45, v46
	s_wait_loadcnt 0x0
	v_fma_mixlo_f16 v10, v42, v45, 0 op_sel:[0,1,0] op_sel_hi:[0,1,0]
	v_or_b32_e32 v45, v43, v44
	v_fma_mixlo_f16 v43, v42, v43, 0 op_sel:[0,1,0] op_sel_hi:[0,1,0]
	v_or_b32_e32 v46, v49, v48
	v_or_b32_e32 v47, v9, v47
	v_fma_mixlo_f16 v48, v42, v1, 0 op_sel_hi:[0,1,0]
	v_fma_mixlo_f16 v9, v42, v9, 0 op_sel:[0,1,0] op_sel_hi:[0,1,0]
	v_lshlrev_b32_e32 v44, 16, v43
	v_fma_mixlo_f16 v43, v42, v45, 0 op_sel_hi:[0,1,0]
	v_fma_mixlo_f16 v45, v42, v49, 0 op_sel:[0,1,0] op_sel_hi:[0,1,0]
	v_fma_mixlo_f16 v46, v42, v46, 0 op_sel_hi:[0,1,0]
	v_fma_mixlo_f16 v47, v42, v47, 0 op_sel_hi:[0,1,0]
	v_lshlrev_b32_e32 v1, 16, v10
	v_and_b32_e32 v10, 0xffff, v48
	v_and_b32_e32 v50, 0xffff, v43
	v_lshlrev_b32_e32 v42, 16, v45
	v_and_b32_e32 v46, 0xffff, v46
	v_lshlrev_b32_e32 v9, 16, v9
	v_and_b32_e32 v43, 0xffff, v47
	v_or_b32_e32 v45, v1, v10
	v_or_b32_e32 v49, v44, v50
	;; [unrolled: 1-line block ×3, first 2 shown]
	s_delay_alu instid0(VALU_DEP_4)
	v_or_b32_e32 v47, v9, v43
	s_and_saveexec_b32 s6, vcc_lo
	s_cbranch_execz .LBB300_801
; %bb.800:                              ;   in Loop: Header=BB300_669 Depth=1
	v_cmp_gt_i32_e64 s0, s27, v14
	s_wait_alu 0xf1ff
	s_delay_alu instid0(VALU_DEP_1) | instskip(SKIP_2) | instid1(VALU_DEP_1)
	v_cndmask_b32_e64 v45, 0, v50, s0
	v_cmp_gt_i32_e64 s0, s27, v38
	s_wait_alu 0xf1ff
	v_cndmask_b32_e64 v44, 0, v44, s0
	v_cmp_gt_i32_e64 s0, s27, v35
	s_delay_alu instid0(VALU_DEP_2) | instskip(SKIP_1) | instid1(VALU_DEP_2)
	v_or_b32_e32 v49, v44, v45
	s_wait_alu 0xf1ff
	v_cndmask_b32_e64 v10, 0, v10, s0
	v_cmp_gt_i32_e64 s0, s27, v33
	s_wait_alu 0xf1ff
	s_delay_alu instid0(VALU_DEP_1) | instskip(SKIP_1) | instid1(VALU_DEP_2)
	v_cndmask_b32_e64 v1, 0, v1, s0
	v_cmp_gt_i32_e64 s0, s27, v32
	v_or_b32_e32 v45, v1, v10
	s_wait_alu 0xf1ff
	s_delay_alu instid0(VALU_DEP_2) | instskip(SKIP_2) | instid1(VALU_DEP_1)
	v_cndmask_b32_e64 v46, 0, v46, s0
	v_cmp_gt_i32_e64 s0, s27, v31
	s_wait_alu 0xf1ff
	v_cndmask_b32_e64 v42, 0, v42, s0
	v_cmp_gt_i32_e64 s0, s27, v30
	s_delay_alu instid0(VALU_DEP_2) | instskip(SKIP_1) | instid1(VALU_DEP_2)
	v_or_b32_e32 v48, v42, v46
	s_wait_alu 0xf1ff
	v_cndmask_b32_e64 v43, 0, v43, s0
	v_cmp_gt_i32_e64 s0, s27, v28
	s_wait_alu 0xf1ff
	s_delay_alu instid0(VALU_DEP_1) | instskip(NEXT) | instid1(VALU_DEP_1)
	v_cndmask_b32_e64 v9, 0, v9, s0
	v_or_b32_e32 v47, v9, v43
.LBB300_801:                            ;   in Loop: Header=BB300_669 Depth=1
	s_wait_alu 0xfffe
	s_or_b32 exec_lo, exec_lo, s6
	;;#ASMSTART
	v_pk_mul_f16 v1, v40, v49;

	;;#ASMEND
	;;#ASMSTART
	v_pk_mul_f16 v9, v37, v45;

	;;#ASMEND
	;; [unrolled: 4-line block ×4, first 2 shown]
	;;#ASMSTART
	v_pk_add_f16 v1, v1, v9;

	;;#ASMEND
	;;#ASMSTART
	v_pk_add_f16 v1, v1, v10;

	;;#ASMEND
	;; [unrolled: 4-line block ×3, first 2 shown]
	v_dual_mov_b32 v46, 0 :: v_dual_and_b32 v9, 0xffff, v1
	v_lshrrev_b32_e32 v1, 16, v1
	;;#ASMSTART
	v_cvt_f32_f16 v42, v9;
	;;#ASMEND
	;;#ASMSTART
	v_cvt_f32_f16 v43, v1;
	;;#ASMEND
	global_load_b64 v[9:10], v[7:8], off offset:512
	v_mov_b32_e32 v45, 0
	s_mov_b32 s6, exec_lo
	global_load_b32 v44, v45, s[10:11]
	s_wait_loadcnt 0x1
	v_and_b32_e32 v1, 0xff, v9
	s_delay_alu instid0(VALU_DEP_1)
	v_cmpx_ne_u16_e32 0, v1
	s_cbranch_execz .LBB300_809
; %bb.802:                              ;   in Loop: Header=BB300_669 Depth=1
	v_mov_b32_e32 v46, 0x8000
	s_mov_b32 s7, exec_lo
	v_cmpx_ne_u16_e32 0x80, v1
	s_cbranch_execz .LBB300_808
; %bb.803:                              ;   in Loop: Header=BB300_669 Depth=1
	v_and_b32_e32 v47, 0x7f, v9
	v_mov_b32_e32 v46, 0x7c01
	s_mov_b32 s13, exec_lo
	s_delay_alu instid0(VALU_DEP_2)
	v_cmpx_ne_u32_e32 0x7f, v47
	s_cbranch_execz .LBB300_807
; %bb.804:                              ;   in Loop: Header=BB300_669 Depth=1
	v_and_b32_e32 v1, 7, v9
	v_lshrrev_b32_e32 v46, 3, v47
	s_mov_b32 s14, exec_lo
	v_cmpx_gt_u32_e32 8, v47
; %bb.805:                              ;   in Loop: Header=BB300_669 Depth=1
	s_delay_alu instid0(VALU_DEP_3) | instskip(NEXT) | instid1(VALU_DEP_1)
	v_clz_i32_u32_e32 v1, v1
	v_min_u32_e32 v1, 32, v1
	s_delay_alu instid0(VALU_DEP_1) | instskip(NEXT) | instid1(VALU_DEP_1)
	v_subrev_nc_u32_e32 v46, 28, v1
	v_lshlrev_b64_e32 v[47:48], v46, v[9:10]
	v_sub_nc_u32_e32 v46, 29, v1
	s_delay_alu instid0(VALU_DEP_2)
	v_and_b32_e32 v1, 7, v47
; %bb.806:                              ;   in Loop: Header=BB300_669 Depth=1
	s_wait_alu 0xfffe
	s_or_b32 exec_lo, exec_lo, s14
	v_lshlrev_b32_e32 v47, 8, v9
	v_lshl_add_u32 v46, v46, 10, 0x2000
	v_lshlrev_b32_e32 v1, 7, v1
	s_delay_alu instid0(VALU_DEP_3) | instskip(NEXT) | instid1(VALU_DEP_3)
	v_and_b32_e32 v47, 0x8000, v47
	v_and_b32_e32 v46, 0xfc00, v46
	s_delay_alu instid0(VALU_DEP_1)
	v_or3_b32 v46, v47, v46, v1
.LBB300_807:                            ;   in Loop: Header=BB300_669 Depth=1
	s_or_b32 exec_lo, exec_lo, s13
.LBB300_808:                            ;   in Loop: Header=BB300_669 Depth=1
	s_wait_alu 0xfffe
	s_or_b32 exec_lo, exec_lo, s7
.LBB300_809:                            ;   in Loop: Header=BB300_669 Depth=1
	s_wait_alu 0xfffe
	s_or_b32 exec_lo, exec_lo, s6
	v_lshrrev_b16 v1, 8, v9
	s_mov_b32 s6, exec_lo
	s_delay_alu instid0(VALU_DEP_1)
	v_cmpx_ne_u16_e32 0, v1
	s_cbranch_execz .LBB300_817
; %bb.810:                              ;   in Loop: Header=BB300_669 Depth=1
	v_bfrev_b32_e32 v45, 1
	s_mov_b32 s7, exec_lo
	v_cmpx_ne_u16_e32 0x80, v1
	s_cbranch_execz .LBB300_816
; %bb.811:                              ;   in Loop: Header=BB300_669 Depth=1
	v_and_b32_e32 v47, 0xffff, v1
	v_mov_b32_e32 v45, 0x7c010000
	s_mov_b32 s13, exec_lo
	s_delay_alu instid0(VALU_DEP_2) | instskip(NEXT) | instid1(VALU_DEP_1)
	v_and_b32_e32 v49, 0x7f, v47
	v_cmpx_ne_u32_e32 0x7f, v49
	s_cbranch_execz .LBB300_815
; %bb.812:                              ;   in Loop: Header=BB300_669 Depth=1
	v_and_b32_e32 v45, 7, v47
	v_lshrrev_b32_e32 v48, 3, v49
	s_mov_b32 s14, exec_lo
	v_cmpx_gt_u32_e32 8, v49
; %bb.813:                              ;   in Loop: Header=BB300_669 Depth=1
	s_delay_alu instid0(VALU_DEP_3) | instskip(NEXT) | instid1(VALU_DEP_1)
	v_clz_i32_u32_e32 v45, v45
	v_min_u32_e32 v45, 32, v45
	s_delay_alu instid0(VALU_DEP_1) | instskip(NEXT) | instid1(VALU_DEP_1)
	v_subrev_nc_u32_e32 v48, 28, v45
	v_lshlrev_b64_e32 v[49:50], v48, v[1:2]
	v_sub_nc_u32_e32 v48, 29, v45
	s_delay_alu instid0(VALU_DEP_2)
	v_and_b32_e32 v45, 7, v49
; %bb.814:                              ;   in Loop: Header=BB300_669 Depth=1
	s_wait_alu 0xfffe
	s_or_b32 exec_lo, exec_lo, s14
	v_lshlrev_b32_e32 v1, 8, v47
	v_lshl_add_u32 v47, v48, 10, 0x2000
	v_lshlrev_b32_e32 v45, 23, v45
	s_delay_alu instid0(VALU_DEP_2) | instskip(NEXT) | instid1(VALU_DEP_1)
	v_and_or_b32 v1, 0x8000, v1, v47
	v_lshl_or_b32 v45, v1, 16, v45
.LBB300_815:                            ;   in Loop: Header=BB300_669 Depth=1
	s_or_b32 exec_lo, exec_lo, s13
.LBB300_816:                            ;   in Loop: Header=BB300_669 Depth=1
	s_wait_alu 0xfffe
	s_or_b32 exec_lo, exec_lo, s7
.LBB300_817:                            ;   in Loop: Header=BB300_669 Depth=1
	s_wait_alu 0xfffe
	s_or_b32 exec_lo, exec_lo, s6
	v_lshrrev_b32_e32 v1, 16, v9
	v_mov_b32_e32 v47, 0
	s_mov_b32 s6, exec_lo
	s_delay_alu instid0(VALU_DEP_2) | instskip(NEXT) | instid1(VALU_DEP_1)
	v_dual_mov_b32 v48, 0 :: v_dual_and_b32 v49, 0xff, v1
	v_cmpx_ne_u16_e32 0, v49
	s_cbranch_execz .LBB300_825
; %bb.818:                              ;   in Loop: Header=BB300_669 Depth=1
	v_mov_b32_e32 v48, 0x8000
	s_mov_b32 s7, exec_lo
	v_cmpx_ne_u16_e32 0x80, v49
	s_cbranch_execz .LBB300_824
; %bb.819:                              ;   in Loop: Header=BB300_669 Depth=1
	v_bfe_u32 v50, v9, 16, 7
	v_mov_b32_e32 v48, 0x7c01
	s_mov_b32 s13, exec_lo
	s_delay_alu instid0(VALU_DEP_2)
	v_cmpx_ne_u32_e32 0x7f, v50
	s_cbranch_execz .LBB300_823
; %bb.820:                              ;   in Loop: Header=BB300_669 Depth=1
	v_and_b32_e32 v48, 7, v1
	v_lshrrev_b32_e32 v49, 3, v50
	s_mov_b32 s14, exec_lo
	v_cmpx_gt_u32_e32 8, v50
; %bb.821:                              ;   in Loop: Header=BB300_669 Depth=1
	s_delay_alu instid0(VALU_DEP_3) | instskip(NEXT) | instid1(VALU_DEP_1)
	v_clz_i32_u32_e32 v48, v48
	v_min_u32_e32 v50, 32, v48
	s_delay_alu instid0(VALU_DEP_1) | instskip(NEXT) | instid1(VALU_DEP_1)
	v_subrev_nc_u32_e32 v48, 28, v50
	v_lshlrev_b64_e32 v[48:49], v48, v[1:2]
	v_sub_nc_u32_e32 v49, 29, v50
	s_delay_alu instid0(VALU_DEP_2)
	v_and_b32_e32 v48, 7, v48
; %bb.822:                              ;   in Loop: Header=BB300_669 Depth=1
	s_wait_alu 0xfffe
	s_or_b32 exec_lo, exec_lo, s14
	v_lshlrev_b32_e32 v1, 8, v1
	v_lshl_add_u32 v49, v49, 10, 0x2000
	v_lshlrev_b32_e32 v48, 7, v48
	s_delay_alu instid0(VALU_DEP_3) | instskip(NEXT) | instid1(VALU_DEP_3)
	v_and_b32_e32 v1, 0x8000, v1
	v_and_b32_e32 v49, 0xfc00, v49
	s_delay_alu instid0(VALU_DEP_1)
	v_or3_b32 v48, v1, v49, v48
.LBB300_823:                            ;   in Loop: Header=BB300_669 Depth=1
	s_or_b32 exec_lo, exec_lo, s13
.LBB300_824:                            ;   in Loop: Header=BB300_669 Depth=1
	s_wait_alu 0xfffe
	s_or_b32 exec_lo, exec_lo, s7
.LBB300_825:                            ;   in Loop: Header=BB300_669 Depth=1
	s_wait_alu 0xfffe
	s_or_b32 exec_lo, exec_lo, s6
	s_delay_alu instid0(SALU_CYCLE_1)
	s_mov_b32 s6, exec_lo
	v_cmpx_lt_u32_e32 0xffffff, v9
	s_cbranch_execz .LBB300_833
; %bb.826:                              ;   in Loop: Header=BB300_669 Depth=1
	v_lshrrev_b32_e32 v1, 24, v9
	v_bfrev_b32_e32 v47, 1
	s_mov_b32 s7, exec_lo
	s_delay_alu instid0(VALU_DEP_2)
	v_cmpx_ne_u32_e32 0x80, v1
	s_cbranch_execz .LBB300_832
; %bb.827:                              ;   in Loop: Header=BB300_669 Depth=1
	v_and_b32_e32 v50, 0x7f, v1
	v_mov_b32_e32 v47, 0x7c010000
	s_mov_b32 s13, exec_lo
	s_delay_alu instid0(VALU_DEP_2)
	v_cmpx_ne_u32_e32 0x7f, v50
	s_cbranch_execz .LBB300_831
; %bb.828:                              ;   in Loop: Header=BB300_669 Depth=1
	v_and_b32_e32 v47, 7, v1
	v_lshrrev_b32_e32 v49, 3, v50
	s_mov_b32 s14, exec_lo
	v_cmpx_gt_u32_e32 8, v50
; %bb.829:                              ;   in Loop: Header=BB300_669 Depth=1
	s_delay_alu instid0(VALU_DEP_3) | instskip(NEXT) | instid1(VALU_DEP_1)
	v_clz_i32_u32_e32 v47, v47
	v_min_u32_e32 v47, 32, v47
	s_delay_alu instid0(VALU_DEP_1) | instskip(NEXT) | instid1(VALU_DEP_1)
	v_subrev_nc_u32_e32 v49, 28, v47
	v_lshlrev_b64_e32 v[50:51], v49, v[1:2]
	v_sub_nc_u32_e32 v49, 29, v47
	s_delay_alu instid0(VALU_DEP_2)
	v_and_b32_e32 v47, 7, v50
; %bb.830:                              ;   in Loop: Header=BB300_669 Depth=1
	s_wait_alu 0xfffe
	s_or_b32 exec_lo, exec_lo, s14
	v_lshlrev_b32_e32 v1, 8, v1
	v_lshl_add_u32 v49, v49, 10, 0x2000
	v_lshlrev_b32_e32 v47, 23, v47
	s_delay_alu instid0(VALU_DEP_2) | instskip(NEXT) | instid1(VALU_DEP_1)
	v_and_or_b32 v1, 0x8000, v1, v49
	v_lshl_or_b32 v47, v1, 16, v47
.LBB300_831:                            ;   in Loop: Header=BB300_669 Depth=1
	s_or_b32 exec_lo, exec_lo, s13
.LBB300_832:                            ;   in Loop: Header=BB300_669 Depth=1
	s_wait_alu 0xfffe
	s_or_b32 exec_lo, exec_lo, s7
.LBB300_833:                            ;   in Loop: Header=BB300_669 Depth=1
	s_wait_alu 0xfffe
	s_or_b32 exec_lo, exec_lo, s6
	v_dual_mov_b32 v50, 0 :: v_dual_and_b32 v51, 0xff, v10
	v_mov_b32_e32 v1, v10
	v_mov_b32_e32 v49, 0
	s_mov_b32 s6, exec_lo
	s_delay_alu instid0(VALU_DEP_3)
	v_cmpx_ne_u16_e32 0, v51
	s_cbranch_execz .LBB300_841
; %bb.834:                              ;   in Loop: Header=BB300_669 Depth=1
	v_mov_b32_e32 v50, 0x8000
	s_mov_b32 s7, exec_lo
	v_cmpx_ne_u16_e32 0x80, v51
	s_cbranch_execz .LBB300_840
; %bb.835:                              ;   in Loop: Header=BB300_669 Depth=1
	v_and_b32_e32 v52, 0x7f, v10
	v_mov_b32_e32 v50, 0x7c01
	s_mov_b32 s13, exec_lo
	s_delay_alu instid0(VALU_DEP_2)
	v_cmpx_ne_u32_e32 0x7f, v52
	s_cbranch_execz .LBB300_839
; %bb.836:                              ;   in Loop: Header=BB300_669 Depth=1
	v_and_b32_e32 v50, 7, v10
	v_lshrrev_b32_e32 v51, 3, v52
	s_mov_b32 s14, exec_lo
	v_cmpx_gt_u32_e32 8, v52
; %bb.837:                              ;   in Loop: Header=BB300_669 Depth=1
	s_delay_alu instid0(VALU_DEP_3) | instskip(NEXT) | instid1(VALU_DEP_1)
	v_clz_i32_u32_e32 v50, v50
	v_min_u32_e32 v52, 32, v50
	s_delay_alu instid0(VALU_DEP_1) | instskip(NEXT) | instid1(VALU_DEP_1)
	v_subrev_nc_u32_e32 v50, 28, v52
	v_lshlrev_b64_e32 v[50:51], v50, v[1:2]
	v_sub_nc_u32_e32 v51, 29, v52
	s_delay_alu instid0(VALU_DEP_2)
	v_and_b32_e32 v50, 7, v50
; %bb.838:                              ;   in Loop: Header=BB300_669 Depth=1
	s_wait_alu 0xfffe
	s_or_b32 exec_lo, exec_lo, s14
	v_lshlrev_b32_e32 v52, 8, v10
	v_lshl_add_u32 v51, v51, 10, 0x2000
	v_lshlrev_b32_e32 v50, 7, v50
	s_delay_alu instid0(VALU_DEP_3) | instskip(NEXT) | instid1(VALU_DEP_3)
	v_and_b32_e32 v52, 0x8000, v52
	v_and_b32_e32 v51, 0xfc00, v51
	s_delay_alu instid0(VALU_DEP_1)
	v_or3_b32 v50, v52, v51, v50
.LBB300_839:                            ;   in Loop: Header=BB300_669 Depth=1
	s_or_b32 exec_lo, exec_lo, s13
.LBB300_840:                            ;   in Loop: Header=BB300_669 Depth=1
	s_wait_alu 0xfffe
	s_or_b32 exec_lo, exec_lo, s7
.LBB300_841:                            ;   in Loop: Header=BB300_669 Depth=1
	s_wait_alu 0xfffe
	s_or_b32 exec_lo, exec_lo, s6
	v_lshrrev_b16 v1, 8, v1
	v_mov_b32_e32 v51, 0
	s_mov_b32 s6, exec_lo
	s_delay_alu instid0(VALU_DEP_2)
	v_cmpx_ne_u16_e32 0, v1
	s_cbranch_execz .LBB300_849
; %bb.842:                              ;   in Loop: Header=BB300_669 Depth=1
	v_bfrev_b32_e32 v51, 1
	s_mov_b32 s7, exec_lo
	v_cmpx_ne_u16_e32 0x80, v1
	s_cbranch_execz .LBB300_848
; %bb.843:                              ;   in Loop: Header=BB300_669 Depth=1
	v_and_b32_e32 v52, 0xffff, v1
	v_mov_b32_e32 v51, 0x7c010000
	s_mov_b32 s13, exec_lo
	s_delay_alu instid0(VALU_DEP_2) | instskip(NEXT) | instid1(VALU_DEP_1)
	v_and_b32_e32 v54, 0x7f, v52
	v_cmpx_ne_u32_e32 0x7f, v54
	s_cbranch_execz .LBB300_847
; %bb.844:                              ;   in Loop: Header=BB300_669 Depth=1
	v_and_b32_e32 v51, 7, v52
	v_lshrrev_b32_e32 v53, 3, v54
	s_mov_b32 s14, exec_lo
	v_cmpx_gt_u32_e32 8, v54
; %bb.845:                              ;   in Loop: Header=BB300_669 Depth=1
	s_delay_alu instid0(VALU_DEP_3) | instskip(NEXT) | instid1(VALU_DEP_1)
	v_clz_i32_u32_e32 v51, v51
	v_min_u32_e32 v51, 32, v51
	s_delay_alu instid0(VALU_DEP_1) | instskip(NEXT) | instid1(VALU_DEP_1)
	v_subrev_nc_u32_e32 v53, 28, v51
	v_lshlrev_b64_e32 v[54:55], v53, v[1:2]
	v_sub_nc_u32_e32 v53, 29, v51
	s_delay_alu instid0(VALU_DEP_2)
	v_and_b32_e32 v51, 7, v54
; %bb.846:                              ;   in Loop: Header=BB300_669 Depth=1
	s_wait_alu 0xfffe
	s_or_b32 exec_lo, exec_lo, s14
	v_lshlrev_b32_e32 v1, 8, v52
	v_lshl_add_u32 v52, v53, 10, 0x2000
	v_lshlrev_b32_e32 v51, 23, v51
	s_delay_alu instid0(VALU_DEP_2) | instskip(NEXT) | instid1(VALU_DEP_1)
	v_and_or_b32 v1, 0x8000, v1, v52
	v_lshl_or_b32 v51, v1, 16, v51
.LBB300_847:                            ;   in Loop: Header=BB300_669 Depth=1
	s_or_b32 exec_lo, exec_lo, s13
.LBB300_848:                            ;   in Loop: Header=BB300_669 Depth=1
	s_wait_alu 0xfffe
	s_or_b32 exec_lo, exec_lo, s7
.LBB300_849:                            ;   in Loop: Header=BB300_669 Depth=1
	s_wait_alu 0xfffe
	s_or_b32 exec_lo, exec_lo, s6
	v_lshrrev_b32_e32 v1, 16, v10
	s_mov_b32 s6, exec_lo
	s_delay_alu instid0(VALU_DEP_1) | instskip(NEXT) | instid1(VALU_DEP_1)
	v_and_b32_e32 v52, 0xff, v1
	v_cmpx_ne_u16_e32 0, v52
	s_cbranch_execz .LBB300_857
; %bb.850:                              ;   in Loop: Header=BB300_669 Depth=1
	v_mov_b32_e32 v49, 0x8000
	s_mov_b32 s7, exec_lo
	v_cmpx_ne_u16_e32 0x80, v52
	s_cbranch_execz .LBB300_856
; %bb.851:                              ;   in Loop: Header=BB300_669 Depth=1
	v_bfe_u32 v53, v10, 16, 7
	v_mov_b32_e32 v49, 0x7c01
	s_mov_b32 s13, exec_lo
	s_delay_alu instid0(VALU_DEP_2)
	v_cmpx_ne_u32_e32 0x7f, v53
	s_cbranch_execz .LBB300_855
; %bb.852:                              ;   in Loop: Header=BB300_669 Depth=1
	v_and_b32_e32 v49, 7, v1
	v_lshrrev_b32_e32 v52, 3, v53
	s_mov_b32 s14, exec_lo
	v_cmpx_gt_u32_e32 8, v53
; %bb.853:                              ;   in Loop: Header=BB300_669 Depth=1
	s_delay_alu instid0(VALU_DEP_3) | instskip(NEXT) | instid1(VALU_DEP_1)
	v_clz_i32_u32_e32 v49, v49
	v_min_u32_e32 v49, 32, v49
	s_delay_alu instid0(VALU_DEP_1) | instskip(NEXT) | instid1(VALU_DEP_1)
	v_subrev_nc_u32_e32 v52, 28, v49
	v_lshlrev_b64_e32 v[53:54], v52, v[1:2]
	v_sub_nc_u32_e32 v52, 29, v49
	s_delay_alu instid0(VALU_DEP_2)
	v_and_b32_e32 v49, 7, v53
; %bb.854:                              ;   in Loop: Header=BB300_669 Depth=1
	s_wait_alu 0xfffe
	s_or_b32 exec_lo, exec_lo, s14
	v_lshlrev_b32_e32 v1, 8, v1
	v_lshl_add_u32 v52, v52, 10, 0x2000
	v_lshlrev_b32_e32 v49, 7, v49
	s_delay_alu instid0(VALU_DEP_3) | instskip(NEXT) | instid1(VALU_DEP_3)
	v_and_b32_e32 v1, 0x8000, v1
	v_and_b32_e32 v52, 0xfc00, v52
	s_delay_alu instid0(VALU_DEP_1)
	v_or3_b32 v49, v1, v52, v49
.LBB300_855:                            ;   in Loop: Header=BB300_669 Depth=1
	s_or_b32 exec_lo, exec_lo, s13
.LBB300_856:                            ;   in Loop: Header=BB300_669 Depth=1
	s_wait_alu 0xfffe
	s_or_b32 exec_lo, exec_lo, s7
.LBB300_857:                            ;   in Loop: Header=BB300_669 Depth=1
	s_wait_alu 0xfffe
	s_or_b32 exec_lo, exec_lo, s6
	v_cmp_lt_u64_e64 s0, s[2:3], v[9:10]
	v_mov_b32_e32 v9, 0
	s_and_saveexec_b32 s6, s0
	s_cbranch_execz .LBB300_865
; %bb.858:                              ;   in Loop: Header=BB300_669 Depth=1
	v_lshrrev_b32_e32 v1, 24, v10
	v_bfrev_b32_e32 v9, 1
	s_mov_b32 s7, exec_lo
	s_delay_alu instid0(VALU_DEP_2)
	v_cmpx_ne_u32_e32 0x80, v1
	s_cbranch_execz .LBB300_864
; %bb.859:                              ;   in Loop: Header=BB300_669 Depth=1
	v_and_b32_e32 v52, 0x7f, v1
	v_mov_b32_e32 v9, 0x7c010000
	s_mov_b32 s13, exec_lo
	s_delay_alu instid0(VALU_DEP_2)
	v_cmpx_ne_u32_e32 0x7f, v52
	s_cbranch_execz .LBB300_863
; %bb.860:                              ;   in Loop: Header=BB300_669 Depth=1
	v_and_b32_e32 v9, 7, v1
	v_lshrrev_b32_e32 v10, 3, v52
	s_mov_b32 s14, exec_lo
	v_cmpx_gt_u32_e32 8, v52
; %bb.861:                              ;   in Loop: Header=BB300_669 Depth=1
	s_delay_alu instid0(VALU_DEP_3) | instskip(NEXT) | instid1(VALU_DEP_1)
	v_clz_i32_u32_e32 v9, v9
	v_min_u32_e32 v52, 32, v9
	s_delay_alu instid0(VALU_DEP_1) | instskip(NEXT) | instid1(VALU_DEP_1)
	v_subrev_nc_u32_e32 v9, 28, v52
	v_lshlrev_b64_e32 v[9:10], v9, v[1:2]
	v_sub_nc_u32_e32 v10, 29, v52
	s_delay_alu instid0(VALU_DEP_2)
	v_and_b32_e32 v9, 7, v9
; %bb.862:                              ;   in Loop: Header=BB300_669 Depth=1
	s_wait_alu 0xfffe
	s_or_b32 exec_lo, exec_lo, s14
	v_lshlrev_b32_e32 v1, 8, v1
	v_lshl_add_u32 v10, v10, 10, 0x2000
	v_lshlrev_b32_e32 v9, 23, v9
	s_delay_alu instid0(VALU_DEP_2) | instskip(NEXT) | instid1(VALU_DEP_1)
	v_and_or_b32 v1, 0x8000, v1, v10
	v_lshl_or_b32 v9, v1, 16, v9
.LBB300_863:                            ;   in Loop: Header=BB300_669 Depth=1
	s_or_b32 exec_lo, exec_lo, s13
.LBB300_864:                            ;   in Loop: Header=BB300_669 Depth=1
	s_wait_alu 0xfffe
	s_or_b32 exec_lo, exec_lo, s7
.LBB300_865:                            ;   in Loop: Header=BB300_669 Depth=1
	s_wait_alu 0xfffe
	s_or_b32 exec_lo, exec_lo, s6
	v_or_b32_e32 v1, v47, v48
	s_wait_loadcnt 0x0
	v_fma_mixlo_f16 v10, v44, v47, 0 op_sel:[0,1,0] op_sel_hi:[0,1,0]
	v_or_b32_e32 v47, v45, v46
	v_fma_mixlo_f16 v45, v44, v45, 0 op_sel:[0,1,0] op_sel_hi:[0,1,0]
	v_or_b32_e32 v48, v51, v50
	v_or_b32_e32 v49, v9, v49
	v_fma_mixlo_f16 v50, v44, v1, 0 op_sel_hi:[0,1,0]
	v_fma_mixlo_f16 v9, v44, v9, 0 op_sel:[0,1,0] op_sel_hi:[0,1,0]
	v_lshlrev_b32_e32 v46, 16, v45
	v_fma_mixlo_f16 v45, v44, v47, 0 op_sel_hi:[0,1,0]
	v_fma_mixlo_f16 v47, v44, v51, 0 op_sel:[0,1,0] op_sel_hi:[0,1,0]
	v_fma_mixlo_f16 v48, v44, v48, 0 op_sel_hi:[0,1,0]
	v_fma_mixlo_f16 v49, v44, v49, 0 op_sel_hi:[0,1,0]
	v_lshlrev_b32_e32 v1, 16, v10
	v_and_b32_e32 v10, 0xffff, v50
	v_and_b32_e32 v52, 0xffff, v45
	v_lshlrev_b32_e32 v44, 16, v47
	v_and_b32_e32 v48, 0xffff, v48
	v_lshlrev_b32_e32 v9, 16, v9
	v_and_b32_e32 v45, 0xffff, v49
	v_or_b32_e32 v47, v1, v10
	v_or_b32_e32 v51, v46, v52
	;; [unrolled: 1-line block ×3, first 2 shown]
	s_delay_alu instid0(VALU_DEP_4)
	v_or_b32_e32 v49, v9, v45
	s_and_saveexec_b32 s6, vcc_lo
	s_cbranch_execz .LBB300_867
; %bb.866:                              ;   in Loop: Header=BB300_669 Depth=1
	v_cmp_gt_i32_e64 s0, s27, v14
	s_wait_alu 0xf1ff
	s_delay_alu instid0(VALU_DEP_1) | instskip(SKIP_2) | instid1(VALU_DEP_1)
	v_cndmask_b32_e64 v47, 0, v52, s0
	v_cmp_gt_i32_e64 s0, s27, v38
	s_wait_alu 0xf1ff
	v_cndmask_b32_e64 v46, 0, v46, s0
	v_cmp_gt_i32_e64 s0, s27, v35
	s_delay_alu instid0(VALU_DEP_2) | instskip(SKIP_1) | instid1(VALU_DEP_2)
	v_or_b32_e32 v51, v46, v47
	s_wait_alu 0xf1ff
	v_cndmask_b32_e64 v10, 0, v10, s0
	v_cmp_gt_i32_e64 s0, s27, v33
	s_wait_alu 0xf1ff
	s_delay_alu instid0(VALU_DEP_1) | instskip(SKIP_1) | instid1(VALU_DEP_2)
	v_cndmask_b32_e64 v1, 0, v1, s0
	v_cmp_gt_i32_e64 s0, s27, v32
	v_or_b32_e32 v47, v1, v10
	s_wait_alu 0xf1ff
	s_delay_alu instid0(VALU_DEP_2) | instskip(SKIP_2) | instid1(VALU_DEP_1)
	v_cndmask_b32_e64 v48, 0, v48, s0
	v_cmp_gt_i32_e64 s0, s27, v31
	s_wait_alu 0xf1ff
	v_cndmask_b32_e64 v44, 0, v44, s0
	v_cmp_gt_i32_e64 s0, s27, v30
	s_delay_alu instid0(VALU_DEP_2) | instskip(SKIP_1) | instid1(VALU_DEP_2)
	v_or_b32_e32 v50, v44, v48
	s_wait_alu 0xf1ff
	v_cndmask_b32_e64 v45, 0, v45, s0
	v_cmp_gt_i32_e64 s0, s27, v28
	s_wait_alu 0xf1ff
	s_delay_alu instid0(VALU_DEP_1) | instskip(NEXT) | instid1(VALU_DEP_1)
	v_cndmask_b32_e64 v9, 0, v9, s0
	v_or_b32_e32 v49, v9, v45
.LBB300_867:                            ;   in Loop: Header=BB300_669 Depth=1
	s_wait_alu 0xfffe
	s_or_b32 exec_lo, exec_lo, s6
	;;#ASMSTART
	v_pk_mul_f16 v1, v40, v51;

	;;#ASMEND
	;;#ASMSTART
	v_pk_mul_f16 v9, v37, v47;

	;;#ASMEND
	;; [unrolled: 4-line block ×4, first 2 shown]
	;;#ASMSTART
	v_pk_add_f16 v1, v1, v9;

	;;#ASMEND
	;;#ASMSTART
	v_pk_add_f16 v1, v1, v10;

	;;#ASMEND
	;; [unrolled: 4-line block ×3, first 2 shown]
	v_dual_mov_b32 v48, 0 :: v_dual_and_b32 v9, 0xffff, v1
	v_lshrrev_b32_e32 v1, 16, v1
	;;#ASMSTART
	v_cvt_f32_f16 v44, v9;
	;;#ASMEND
	;;#ASMSTART
	v_cvt_f32_f16 v45, v1;
	;;#ASMEND
	global_load_b64 v[9:10], v[7:8], off offset:768
	v_mov_b32_e32 v47, 0
	s_mov_b32 s6, exec_lo
	global_load_b32 v46, v47, s[10:11]
	s_wait_loadcnt 0x1
	v_and_b32_e32 v1, 0xff, v9
	s_delay_alu instid0(VALU_DEP_1)
	v_cmpx_ne_u16_e32 0, v1
	s_cbranch_execz .LBB300_875
; %bb.868:                              ;   in Loop: Header=BB300_669 Depth=1
	v_mov_b32_e32 v48, 0x8000
	s_mov_b32 s7, exec_lo
	v_cmpx_ne_u16_e32 0x80, v1
	s_cbranch_execz .LBB300_874
; %bb.869:                              ;   in Loop: Header=BB300_669 Depth=1
	v_and_b32_e32 v49, 0x7f, v9
	v_mov_b32_e32 v48, 0x7c01
	s_mov_b32 s13, exec_lo
	s_delay_alu instid0(VALU_DEP_2)
	v_cmpx_ne_u32_e32 0x7f, v49
	s_cbranch_execz .LBB300_873
; %bb.870:                              ;   in Loop: Header=BB300_669 Depth=1
	v_and_b32_e32 v1, 7, v9
	v_lshrrev_b32_e32 v48, 3, v49
	s_mov_b32 s14, exec_lo
	v_cmpx_gt_u32_e32 8, v49
; %bb.871:                              ;   in Loop: Header=BB300_669 Depth=1
	s_delay_alu instid0(VALU_DEP_3) | instskip(NEXT) | instid1(VALU_DEP_1)
	v_clz_i32_u32_e32 v1, v1
	v_min_u32_e32 v1, 32, v1
	s_delay_alu instid0(VALU_DEP_1) | instskip(NEXT) | instid1(VALU_DEP_1)
	v_subrev_nc_u32_e32 v48, 28, v1
	v_lshlrev_b64_e32 v[49:50], v48, v[9:10]
	v_sub_nc_u32_e32 v48, 29, v1
	s_delay_alu instid0(VALU_DEP_2)
	v_and_b32_e32 v1, 7, v49
; %bb.872:                              ;   in Loop: Header=BB300_669 Depth=1
	s_wait_alu 0xfffe
	s_or_b32 exec_lo, exec_lo, s14
	v_lshlrev_b32_e32 v49, 8, v9
	v_lshl_add_u32 v48, v48, 10, 0x2000
	v_lshlrev_b32_e32 v1, 7, v1
	s_delay_alu instid0(VALU_DEP_3) | instskip(NEXT) | instid1(VALU_DEP_3)
	v_and_b32_e32 v49, 0x8000, v49
	v_and_b32_e32 v48, 0xfc00, v48
	s_delay_alu instid0(VALU_DEP_1)
	v_or3_b32 v48, v49, v48, v1
.LBB300_873:                            ;   in Loop: Header=BB300_669 Depth=1
	s_or_b32 exec_lo, exec_lo, s13
.LBB300_874:                            ;   in Loop: Header=BB300_669 Depth=1
	s_wait_alu 0xfffe
	s_or_b32 exec_lo, exec_lo, s7
.LBB300_875:                            ;   in Loop: Header=BB300_669 Depth=1
	s_wait_alu 0xfffe
	s_or_b32 exec_lo, exec_lo, s6
	v_lshrrev_b16 v1, 8, v9
	s_mov_b32 s6, exec_lo
	s_delay_alu instid0(VALU_DEP_1)
	v_cmpx_ne_u16_e32 0, v1
	s_cbranch_execz .LBB300_883
; %bb.876:                              ;   in Loop: Header=BB300_669 Depth=1
	v_bfrev_b32_e32 v47, 1
	s_mov_b32 s7, exec_lo
	v_cmpx_ne_u16_e32 0x80, v1
	s_cbranch_execz .LBB300_882
; %bb.877:                              ;   in Loop: Header=BB300_669 Depth=1
	v_and_b32_e32 v49, 0xffff, v1
	v_mov_b32_e32 v47, 0x7c010000
	s_mov_b32 s13, exec_lo
	s_delay_alu instid0(VALU_DEP_2) | instskip(NEXT) | instid1(VALU_DEP_1)
	v_and_b32_e32 v51, 0x7f, v49
	v_cmpx_ne_u32_e32 0x7f, v51
	s_cbranch_execz .LBB300_881
; %bb.878:                              ;   in Loop: Header=BB300_669 Depth=1
	v_and_b32_e32 v47, 7, v49
	v_lshrrev_b32_e32 v50, 3, v51
	s_mov_b32 s14, exec_lo
	v_cmpx_gt_u32_e32 8, v51
; %bb.879:                              ;   in Loop: Header=BB300_669 Depth=1
	s_delay_alu instid0(VALU_DEP_3) | instskip(NEXT) | instid1(VALU_DEP_1)
	v_clz_i32_u32_e32 v47, v47
	v_min_u32_e32 v47, 32, v47
	s_delay_alu instid0(VALU_DEP_1) | instskip(NEXT) | instid1(VALU_DEP_1)
	v_subrev_nc_u32_e32 v50, 28, v47
	v_lshlrev_b64_e32 v[51:52], v50, v[1:2]
	v_sub_nc_u32_e32 v50, 29, v47
	s_delay_alu instid0(VALU_DEP_2)
	v_and_b32_e32 v47, 7, v51
; %bb.880:                              ;   in Loop: Header=BB300_669 Depth=1
	s_wait_alu 0xfffe
	s_or_b32 exec_lo, exec_lo, s14
	v_lshlrev_b32_e32 v1, 8, v49
	v_lshl_add_u32 v49, v50, 10, 0x2000
	v_lshlrev_b32_e32 v47, 23, v47
	s_delay_alu instid0(VALU_DEP_2) | instskip(NEXT) | instid1(VALU_DEP_1)
	v_and_or_b32 v1, 0x8000, v1, v49
	v_lshl_or_b32 v47, v1, 16, v47
.LBB300_881:                            ;   in Loop: Header=BB300_669 Depth=1
	s_or_b32 exec_lo, exec_lo, s13
.LBB300_882:                            ;   in Loop: Header=BB300_669 Depth=1
	s_wait_alu 0xfffe
	s_or_b32 exec_lo, exec_lo, s7
.LBB300_883:                            ;   in Loop: Header=BB300_669 Depth=1
	s_wait_alu 0xfffe
	s_or_b32 exec_lo, exec_lo, s6
	v_lshrrev_b32_e32 v1, 16, v9
	v_mov_b32_e32 v49, 0
	s_mov_b32 s6, exec_lo
	s_delay_alu instid0(VALU_DEP_2) | instskip(NEXT) | instid1(VALU_DEP_1)
	v_dual_mov_b32 v50, 0 :: v_dual_and_b32 v51, 0xff, v1
	v_cmpx_ne_u16_e32 0, v51
	s_cbranch_execz .LBB300_891
; %bb.884:                              ;   in Loop: Header=BB300_669 Depth=1
	v_mov_b32_e32 v50, 0x8000
	s_mov_b32 s7, exec_lo
	v_cmpx_ne_u16_e32 0x80, v51
	s_cbranch_execz .LBB300_890
; %bb.885:                              ;   in Loop: Header=BB300_669 Depth=1
	v_bfe_u32 v52, v9, 16, 7
	v_mov_b32_e32 v50, 0x7c01
	s_mov_b32 s13, exec_lo
	s_delay_alu instid0(VALU_DEP_2)
	v_cmpx_ne_u32_e32 0x7f, v52
	s_cbranch_execz .LBB300_889
; %bb.886:                              ;   in Loop: Header=BB300_669 Depth=1
	v_and_b32_e32 v50, 7, v1
	v_lshrrev_b32_e32 v51, 3, v52
	s_mov_b32 s14, exec_lo
	v_cmpx_gt_u32_e32 8, v52
; %bb.887:                              ;   in Loop: Header=BB300_669 Depth=1
	s_delay_alu instid0(VALU_DEP_3) | instskip(NEXT) | instid1(VALU_DEP_1)
	v_clz_i32_u32_e32 v50, v50
	v_min_u32_e32 v52, 32, v50
	s_delay_alu instid0(VALU_DEP_1) | instskip(NEXT) | instid1(VALU_DEP_1)
	v_subrev_nc_u32_e32 v50, 28, v52
	v_lshlrev_b64_e32 v[50:51], v50, v[1:2]
	v_sub_nc_u32_e32 v51, 29, v52
	s_delay_alu instid0(VALU_DEP_2)
	v_and_b32_e32 v50, 7, v50
; %bb.888:                              ;   in Loop: Header=BB300_669 Depth=1
	s_wait_alu 0xfffe
	s_or_b32 exec_lo, exec_lo, s14
	v_lshlrev_b32_e32 v1, 8, v1
	v_lshl_add_u32 v51, v51, 10, 0x2000
	v_lshlrev_b32_e32 v50, 7, v50
	s_delay_alu instid0(VALU_DEP_3) | instskip(NEXT) | instid1(VALU_DEP_3)
	v_and_b32_e32 v1, 0x8000, v1
	v_and_b32_e32 v51, 0xfc00, v51
	s_delay_alu instid0(VALU_DEP_1)
	v_or3_b32 v50, v1, v51, v50
.LBB300_889:                            ;   in Loop: Header=BB300_669 Depth=1
	s_or_b32 exec_lo, exec_lo, s13
.LBB300_890:                            ;   in Loop: Header=BB300_669 Depth=1
	s_wait_alu 0xfffe
	s_or_b32 exec_lo, exec_lo, s7
.LBB300_891:                            ;   in Loop: Header=BB300_669 Depth=1
	s_wait_alu 0xfffe
	s_or_b32 exec_lo, exec_lo, s6
	s_delay_alu instid0(SALU_CYCLE_1)
	s_mov_b32 s6, exec_lo
	v_cmpx_lt_u32_e32 0xffffff, v9
	s_cbranch_execz .LBB300_899
; %bb.892:                              ;   in Loop: Header=BB300_669 Depth=1
	v_lshrrev_b32_e32 v1, 24, v9
	v_bfrev_b32_e32 v49, 1
	s_mov_b32 s7, exec_lo
	s_delay_alu instid0(VALU_DEP_2)
	v_cmpx_ne_u32_e32 0x80, v1
	s_cbranch_execz .LBB300_898
; %bb.893:                              ;   in Loop: Header=BB300_669 Depth=1
	v_and_b32_e32 v52, 0x7f, v1
	v_mov_b32_e32 v49, 0x7c010000
	s_mov_b32 s13, exec_lo
	s_delay_alu instid0(VALU_DEP_2)
	v_cmpx_ne_u32_e32 0x7f, v52
	s_cbranch_execz .LBB300_897
; %bb.894:                              ;   in Loop: Header=BB300_669 Depth=1
	v_and_b32_e32 v49, 7, v1
	v_lshrrev_b32_e32 v51, 3, v52
	s_mov_b32 s14, exec_lo
	v_cmpx_gt_u32_e32 8, v52
; %bb.895:                              ;   in Loop: Header=BB300_669 Depth=1
	s_delay_alu instid0(VALU_DEP_3) | instskip(NEXT) | instid1(VALU_DEP_1)
	v_clz_i32_u32_e32 v49, v49
	v_min_u32_e32 v49, 32, v49
	s_delay_alu instid0(VALU_DEP_1) | instskip(NEXT) | instid1(VALU_DEP_1)
	v_subrev_nc_u32_e32 v51, 28, v49
	v_lshlrev_b64_e32 v[52:53], v51, v[1:2]
	v_sub_nc_u32_e32 v51, 29, v49
	s_delay_alu instid0(VALU_DEP_2)
	v_and_b32_e32 v49, 7, v52
; %bb.896:                              ;   in Loop: Header=BB300_669 Depth=1
	s_wait_alu 0xfffe
	s_or_b32 exec_lo, exec_lo, s14
	v_lshlrev_b32_e32 v1, 8, v1
	v_lshl_add_u32 v51, v51, 10, 0x2000
	v_lshlrev_b32_e32 v49, 23, v49
	s_delay_alu instid0(VALU_DEP_2) | instskip(NEXT) | instid1(VALU_DEP_1)
	v_and_or_b32 v1, 0x8000, v1, v51
	v_lshl_or_b32 v49, v1, 16, v49
.LBB300_897:                            ;   in Loop: Header=BB300_669 Depth=1
	s_or_b32 exec_lo, exec_lo, s13
.LBB300_898:                            ;   in Loop: Header=BB300_669 Depth=1
	s_wait_alu 0xfffe
	s_or_b32 exec_lo, exec_lo, s7
.LBB300_899:                            ;   in Loop: Header=BB300_669 Depth=1
	s_wait_alu 0xfffe
	s_or_b32 exec_lo, exec_lo, s6
	v_dual_mov_b32 v52, 0 :: v_dual_and_b32 v53, 0xff, v10
	v_mov_b32_e32 v1, v10
	v_mov_b32_e32 v51, 0
	s_mov_b32 s6, exec_lo
	s_delay_alu instid0(VALU_DEP_3)
	v_cmpx_ne_u16_e32 0, v53
	s_cbranch_execz .LBB300_907
; %bb.900:                              ;   in Loop: Header=BB300_669 Depth=1
	v_mov_b32_e32 v52, 0x8000
	s_mov_b32 s7, exec_lo
	v_cmpx_ne_u16_e32 0x80, v53
	s_cbranch_execz .LBB300_906
; %bb.901:                              ;   in Loop: Header=BB300_669 Depth=1
	v_and_b32_e32 v54, 0x7f, v10
	v_mov_b32_e32 v52, 0x7c01
	s_mov_b32 s13, exec_lo
	s_delay_alu instid0(VALU_DEP_2)
	v_cmpx_ne_u32_e32 0x7f, v54
	s_cbranch_execz .LBB300_905
; %bb.902:                              ;   in Loop: Header=BB300_669 Depth=1
	v_and_b32_e32 v52, 7, v10
	v_lshrrev_b32_e32 v53, 3, v54
	s_mov_b32 s14, exec_lo
	v_cmpx_gt_u32_e32 8, v54
; %bb.903:                              ;   in Loop: Header=BB300_669 Depth=1
	s_delay_alu instid0(VALU_DEP_3) | instskip(NEXT) | instid1(VALU_DEP_1)
	v_clz_i32_u32_e32 v52, v52
	v_min_u32_e32 v54, 32, v52
	s_delay_alu instid0(VALU_DEP_1) | instskip(NEXT) | instid1(VALU_DEP_1)
	v_subrev_nc_u32_e32 v52, 28, v54
	v_lshlrev_b64_e32 v[52:53], v52, v[1:2]
	v_sub_nc_u32_e32 v53, 29, v54
	s_delay_alu instid0(VALU_DEP_2)
	v_and_b32_e32 v52, 7, v52
; %bb.904:                              ;   in Loop: Header=BB300_669 Depth=1
	s_wait_alu 0xfffe
	s_or_b32 exec_lo, exec_lo, s14
	v_lshlrev_b32_e32 v54, 8, v10
	v_lshl_add_u32 v53, v53, 10, 0x2000
	v_lshlrev_b32_e32 v52, 7, v52
	s_delay_alu instid0(VALU_DEP_3) | instskip(NEXT) | instid1(VALU_DEP_3)
	v_and_b32_e32 v54, 0x8000, v54
	v_and_b32_e32 v53, 0xfc00, v53
	s_delay_alu instid0(VALU_DEP_1)
	v_or3_b32 v52, v54, v53, v52
.LBB300_905:                            ;   in Loop: Header=BB300_669 Depth=1
	s_or_b32 exec_lo, exec_lo, s13
.LBB300_906:                            ;   in Loop: Header=BB300_669 Depth=1
	s_wait_alu 0xfffe
	s_or_b32 exec_lo, exec_lo, s7
.LBB300_907:                            ;   in Loop: Header=BB300_669 Depth=1
	s_wait_alu 0xfffe
	s_or_b32 exec_lo, exec_lo, s6
	v_lshrrev_b16 v1, 8, v1
	v_mov_b32_e32 v53, 0
	s_mov_b32 s6, exec_lo
	s_delay_alu instid0(VALU_DEP_2)
	v_cmpx_ne_u16_e32 0, v1
	s_cbranch_execz .LBB300_915
; %bb.908:                              ;   in Loop: Header=BB300_669 Depth=1
	v_bfrev_b32_e32 v53, 1
	s_mov_b32 s7, exec_lo
	v_cmpx_ne_u16_e32 0x80, v1
	s_cbranch_execz .LBB300_914
; %bb.909:                              ;   in Loop: Header=BB300_669 Depth=1
	v_and_b32_e32 v54, 0xffff, v1
	v_mov_b32_e32 v53, 0x7c010000
	s_mov_b32 s13, exec_lo
	s_delay_alu instid0(VALU_DEP_2) | instskip(NEXT) | instid1(VALU_DEP_1)
	v_and_b32_e32 v56, 0x7f, v54
	v_cmpx_ne_u32_e32 0x7f, v56
	s_cbranch_execz .LBB300_913
; %bb.910:                              ;   in Loop: Header=BB300_669 Depth=1
	v_and_b32_e32 v53, 7, v54
	v_lshrrev_b32_e32 v55, 3, v56
	s_mov_b32 s14, exec_lo
	v_cmpx_gt_u32_e32 8, v56
; %bb.911:                              ;   in Loop: Header=BB300_669 Depth=1
	s_delay_alu instid0(VALU_DEP_3) | instskip(NEXT) | instid1(VALU_DEP_1)
	v_clz_i32_u32_e32 v53, v53
	v_min_u32_e32 v53, 32, v53
	s_delay_alu instid0(VALU_DEP_1) | instskip(NEXT) | instid1(VALU_DEP_1)
	v_subrev_nc_u32_e32 v55, 28, v53
	v_lshlrev_b64_e32 v[56:57], v55, v[1:2]
	v_sub_nc_u32_e32 v55, 29, v53
	s_delay_alu instid0(VALU_DEP_2)
	v_and_b32_e32 v53, 7, v56
; %bb.912:                              ;   in Loop: Header=BB300_669 Depth=1
	s_wait_alu 0xfffe
	s_or_b32 exec_lo, exec_lo, s14
	v_lshlrev_b32_e32 v1, 8, v54
	v_lshl_add_u32 v54, v55, 10, 0x2000
	v_lshlrev_b32_e32 v53, 23, v53
	s_delay_alu instid0(VALU_DEP_2) | instskip(NEXT) | instid1(VALU_DEP_1)
	v_and_or_b32 v1, 0x8000, v1, v54
	v_lshl_or_b32 v53, v1, 16, v53
.LBB300_913:                            ;   in Loop: Header=BB300_669 Depth=1
	s_or_b32 exec_lo, exec_lo, s13
.LBB300_914:                            ;   in Loop: Header=BB300_669 Depth=1
	s_wait_alu 0xfffe
	s_or_b32 exec_lo, exec_lo, s7
.LBB300_915:                            ;   in Loop: Header=BB300_669 Depth=1
	s_wait_alu 0xfffe
	s_or_b32 exec_lo, exec_lo, s6
	v_lshrrev_b32_e32 v1, 16, v10
	s_mov_b32 s6, exec_lo
	s_delay_alu instid0(VALU_DEP_1) | instskip(NEXT) | instid1(VALU_DEP_1)
	v_and_b32_e32 v54, 0xff, v1
	v_cmpx_ne_u16_e32 0, v54
	s_cbranch_execz .LBB300_923
; %bb.916:                              ;   in Loop: Header=BB300_669 Depth=1
	v_mov_b32_e32 v51, 0x8000
	s_mov_b32 s7, exec_lo
	v_cmpx_ne_u16_e32 0x80, v54
	s_cbranch_execz .LBB300_922
; %bb.917:                              ;   in Loop: Header=BB300_669 Depth=1
	v_bfe_u32 v55, v10, 16, 7
	v_mov_b32_e32 v51, 0x7c01
	s_mov_b32 s13, exec_lo
	s_delay_alu instid0(VALU_DEP_2)
	v_cmpx_ne_u32_e32 0x7f, v55
	s_cbranch_execz .LBB300_921
; %bb.918:                              ;   in Loop: Header=BB300_669 Depth=1
	v_and_b32_e32 v51, 7, v1
	v_lshrrev_b32_e32 v54, 3, v55
	s_mov_b32 s14, exec_lo
	v_cmpx_gt_u32_e32 8, v55
; %bb.919:                              ;   in Loop: Header=BB300_669 Depth=1
	s_delay_alu instid0(VALU_DEP_3) | instskip(NEXT) | instid1(VALU_DEP_1)
	v_clz_i32_u32_e32 v51, v51
	v_min_u32_e32 v51, 32, v51
	s_delay_alu instid0(VALU_DEP_1) | instskip(NEXT) | instid1(VALU_DEP_1)
	v_subrev_nc_u32_e32 v54, 28, v51
	v_lshlrev_b64_e32 v[55:56], v54, v[1:2]
	v_sub_nc_u32_e32 v54, 29, v51
	s_delay_alu instid0(VALU_DEP_2)
	v_and_b32_e32 v51, 7, v55
; %bb.920:                              ;   in Loop: Header=BB300_669 Depth=1
	s_wait_alu 0xfffe
	s_or_b32 exec_lo, exec_lo, s14
	v_lshlrev_b32_e32 v1, 8, v1
	v_lshl_add_u32 v54, v54, 10, 0x2000
	v_lshlrev_b32_e32 v51, 7, v51
	s_delay_alu instid0(VALU_DEP_3) | instskip(NEXT) | instid1(VALU_DEP_3)
	v_and_b32_e32 v1, 0x8000, v1
	v_and_b32_e32 v54, 0xfc00, v54
	s_delay_alu instid0(VALU_DEP_1)
	v_or3_b32 v51, v1, v54, v51
.LBB300_921:                            ;   in Loop: Header=BB300_669 Depth=1
	s_or_b32 exec_lo, exec_lo, s13
.LBB300_922:                            ;   in Loop: Header=BB300_669 Depth=1
	s_wait_alu 0xfffe
	s_or_b32 exec_lo, exec_lo, s7
.LBB300_923:                            ;   in Loop: Header=BB300_669 Depth=1
	s_wait_alu 0xfffe
	s_or_b32 exec_lo, exec_lo, s6
	v_cmp_lt_u64_e64 s0, s[2:3], v[9:10]
	v_mov_b32_e32 v9, 0
	s_and_saveexec_b32 s6, s0
	s_cbranch_execz .LBB300_931
; %bb.924:                              ;   in Loop: Header=BB300_669 Depth=1
	v_lshrrev_b32_e32 v1, 24, v10
	v_bfrev_b32_e32 v9, 1
	s_mov_b32 s7, exec_lo
	s_delay_alu instid0(VALU_DEP_2)
	v_cmpx_ne_u32_e32 0x80, v1
	s_cbranch_execz .LBB300_930
; %bb.925:                              ;   in Loop: Header=BB300_669 Depth=1
	v_and_b32_e32 v54, 0x7f, v1
	v_mov_b32_e32 v9, 0x7c010000
	s_mov_b32 s13, exec_lo
	s_delay_alu instid0(VALU_DEP_2)
	v_cmpx_ne_u32_e32 0x7f, v54
	s_cbranch_execz .LBB300_929
; %bb.926:                              ;   in Loop: Header=BB300_669 Depth=1
	v_and_b32_e32 v9, 7, v1
	v_lshrrev_b32_e32 v10, 3, v54
	s_mov_b32 s14, exec_lo
	v_cmpx_gt_u32_e32 8, v54
; %bb.927:                              ;   in Loop: Header=BB300_669 Depth=1
	s_delay_alu instid0(VALU_DEP_3) | instskip(NEXT) | instid1(VALU_DEP_1)
	v_clz_i32_u32_e32 v9, v9
	v_min_u32_e32 v54, 32, v9
	s_delay_alu instid0(VALU_DEP_1) | instskip(NEXT) | instid1(VALU_DEP_1)
	v_subrev_nc_u32_e32 v9, 28, v54
	v_lshlrev_b64_e32 v[9:10], v9, v[1:2]
	v_sub_nc_u32_e32 v10, 29, v54
	s_delay_alu instid0(VALU_DEP_2)
	v_and_b32_e32 v9, 7, v9
; %bb.928:                              ;   in Loop: Header=BB300_669 Depth=1
	s_wait_alu 0xfffe
	s_or_b32 exec_lo, exec_lo, s14
	v_lshlrev_b32_e32 v1, 8, v1
	v_lshl_add_u32 v10, v10, 10, 0x2000
	v_lshlrev_b32_e32 v9, 23, v9
	s_delay_alu instid0(VALU_DEP_2) | instskip(NEXT) | instid1(VALU_DEP_1)
	v_and_or_b32 v1, 0x8000, v1, v10
	v_lshl_or_b32 v9, v1, 16, v9
.LBB300_929:                            ;   in Loop: Header=BB300_669 Depth=1
	s_or_b32 exec_lo, exec_lo, s13
.LBB300_930:                            ;   in Loop: Header=BB300_669 Depth=1
	s_wait_alu 0xfffe
	s_or_b32 exec_lo, exec_lo, s7
.LBB300_931:                            ;   in Loop: Header=BB300_669 Depth=1
	s_wait_alu 0xfffe
	s_or_b32 exec_lo, exec_lo, s6
	v_or_b32_e32 v1, v49, v50
	s_wait_loadcnt 0x0
	v_fma_mixlo_f16 v10, v46, v49, 0 op_sel:[0,1,0] op_sel_hi:[0,1,0]
	v_or_b32_e32 v49, v47, v48
	v_fma_mixlo_f16 v47, v46, v47, 0 op_sel:[0,1,0] op_sel_hi:[0,1,0]
	v_or_b32_e32 v50, v53, v52
	v_or_b32_e32 v51, v9, v51
	v_fma_mixlo_f16 v52, v46, v1, 0 op_sel_hi:[0,1,0]
	v_fma_mixlo_f16 v9, v46, v9, 0 op_sel:[0,1,0] op_sel_hi:[0,1,0]
	v_lshlrev_b32_e32 v48, 16, v47
	v_fma_mixlo_f16 v47, v46, v49, 0 op_sel_hi:[0,1,0]
	v_fma_mixlo_f16 v49, v46, v53, 0 op_sel:[0,1,0] op_sel_hi:[0,1,0]
	v_fma_mixlo_f16 v50, v46, v50, 0 op_sel_hi:[0,1,0]
	v_fma_mixlo_f16 v51, v46, v51, 0 op_sel_hi:[0,1,0]
	v_lshlrev_b32_e32 v1, 16, v10
	v_and_b32_e32 v10, 0xffff, v52
	v_and_b32_e32 v54, 0xffff, v47
	v_lshlrev_b32_e32 v46, 16, v49
	v_and_b32_e32 v50, 0xffff, v50
	v_lshlrev_b32_e32 v9, 16, v9
	v_and_b32_e32 v47, 0xffff, v51
	v_or_b32_e32 v49, v1, v10
	v_or_b32_e32 v53, v48, v54
	;; [unrolled: 1-line block ×3, first 2 shown]
	s_delay_alu instid0(VALU_DEP_4)
	v_or_b32_e32 v51, v9, v47
	s_and_saveexec_b32 s6, vcc_lo
	s_cbranch_execz .LBB300_933
; %bb.932:                              ;   in Loop: Header=BB300_669 Depth=1
	v_cmp_gt_i32_e64 s0, s27, v14
	s_wait_alu 0xf1ff
	s_delay_alu instid0(VALU_DEP_1) | instskip(SKIP_2) | instid1(VALU_DEP_1)
	v_cndmask_b32_e64 v49, 0, v54, s0
	v_cmp_gt_i32_e64 s0, s27, v38
	s_wait_alu 0xf1ff
	v_cndmask_b32_e64 v48, 0, v48, s0
	v_cmp_gt_i32_e64 s0, s27, v35
	s_delay_alu instid0(VALU_DEP_2) | instskip(SKIP_1) | instid1(VALU_DEP_2)
	v_or_b32_e32 v53, v48, v49
	s_wait_alu 0xf1ff
	v_cndmask_b32_e64 v10, 0, v10, s0
	v_cmp_gt_i32_e64 s0, s27, v33
	s_wait_alu 0xf1ff
	s_delay_alu instid0(VALU_DEP_1) | instskip(SKIP_1) | instid1(VALU_DEP_2)
	v_cndmask_b32_e64 v1, 0, v1, s0
	v_cmp_gt_i32_e64 s0, s27, v32
	v_or_b32_e32 v49, v1, v10
	s_wait_alu 0xf1ff
	s_delay_alu instid0(VALU_DEP_2) | instskip(SKIP_2) | instid1(VALU_DEP_1)
	v_cndmask_b32_e64 v50, 0, v50, s0
	v_cmp_gt_i32_e64 s0, s27, v31
	s_wait_alu 0xf1ff
	v_cndmask_b32_e64 v46, 0, v46, s0
	v_cmp_gt_i32_e64 s0, s27, v30
	s_delay_alu instid0(VALU_DEP_2) | instskip(SKIP_1) | instid1(VALU_DEP_2)
	v_or_b32_e32 v52, v46, v50
	s_wait_alu 0xf1ff
	v_cndmask_b32_e64 v47, 0, v47, s0
	v_cmp_gt_i32_e64 s0, s27, v28
	s_wait_alu 0xf1ff
	s_delay_alu instid0(VALU_DEP_1) | instskip(NEXT) | instid1(VALU_DEP_1)
	v_cndmask_b32_e64 v9, 0, v9, s0
	v_or_b32_e32 v51, v9, v47
.LBB300_933:                            ;   in Loop: Header=BB300_669 Depth=1
	s_wait_alu 0xfffe
	s_or_b32 exec_lo, exec_lo, s6
	;;#ASMSTART
	v_pk_mul_f16 v1, v40, v53;

	;;#ASMEND
	;;#ASMSTART
	v_pk_mul_f16 v9, v37, v49;

	;;#ASMEND
	;; [unrolled: 4-line block ×4, first 2 shown]
	;;#ASMSTART
	v_pk_add_f16 v1, v1, v9;

	;;#ASMEND
	;;#ASMSTART
	v_pk_add_f16 v1, v1, v10;

	;;#ASMEND
	;; [unrolled: 4-line block ×3, first 2 shown]
	v_dual_mov_b32 v50, 0 :: v_dual_and_b32 v9, 0xffff, v1
	v_lshrrev_b32_e32 v1, 16, v1
	;;#ASMSTART
	v_cvt_f32_f16 v46, v9;
	;;#ASMEND
	;;#ASMSTART
	v_cvt_f32_f16 v47, v1;
	;;#ASMEND
	global_load_b64 v[9:10], v[7:8], off offset:1024
	v_mov_b32_e32 v49, 0
	s_mov_b32 s6, exec_lo
	global_load_b32 v48, v49, s[10:11]
	s_wait_loadcnt 0x1
	v_and_b32_e32 v1, 0xff, v9
	s_delay_alu instid0(VALU_DEP_1)
	v_cmpx_ne_u16_e32 0, v1
	s_cbranch_execz .LBB300_941
; %bb.934:                              ;   in Loop: Header=BB300_669 Depth=1
	v_mov_b32_e32 v50, 0x8000
	s_mov_b32 s7, exec_lo
	v_cmpx_ne_u16_e32 0x80, v1
	s_cbranch_execz .LBB300_940
; %bb.935:                              ;   in Loop: Header=BB300_669 Depth=1
	v_and_b32_e32 v51, 0x7f, v9
	v_mov_b32_e32 v50, 0x7c01
	s_mov_b32 s13, exec_lo
	s_delay_alu instid0(VALU_DEP_2)
	v_cmpx_ne_u32_e32 0x7f, v51
	s_cbranch_execz .LBB300_939
; %bb.936:                              ;   in Loop: Header=BB300_669 Depth=1
	v_and_b32_e32 v1, 7, v9
	v_lshrrev_b32_e32 v50, 3, v51
	s_mov_b32 s14, exec_lo
	v_cmpx_gt_u32_e32 8, v51
; %bb.937:                              ;   in Loop: Header=BB300_669 Depth=1
	s_delay_alu instid0(VALU_DEP_3) | instskip(NEXT) | instid1(VALU_DEP_1)
	v_clz_i32_u32_e32 v1, v1
	v_min_u32_e32 v1, 32, v1
	s_delay_alu instid0(VALU_DEP_1) | instskip(NEXT) | instid1(VALU_DEP_1)
	v_subrev_nc_u32_e32 v50, 28, v1
	v_lshlrev_b64_e32 v[51:52], v50, v[9:10]
	v_sub_nc_u32_e32 v50, 29, v1
	s_delay_alu instid0(VALU_DEP_2)
	v_and_b32_e32 v1, 7, v51
; %bb.938:                              ;   in Loop: Header=BB300_669 Depth=1
	s_wait_alu 0xfffe
	s_or_b32 exec_lo, exec_lo, s14
	v_lshlrev_b32_e32 v51, 8, v9
	v_lshl_add_u32 v50, v50, 10, 0x2000
	v_lshlrev_b32_e32 v1, 7, v1
	s_delay_alu instid0(VALU_DEP_3) | instskip(NEXT) | instid1(VALU_DEP_3)
	v_and_b32_e32 v51, 0x8000, v51
	v_and_b32_e32 v50, 0xfc00, v50
	s_delay_alu instid0(VALU_DEP_1)
	v_or3_b32 v50, v51, v50, v1
.LBB300_939:                            ;   in Loop: Header=BB300_669 Depth=1
	s_or_b32 exec_lo, exec_lo, s13
.LBB300_940:                            ;   in Loop: Header=BB300_669 Depth=1
	s_wait_alu 0xfffe
	s_or_b32 exec_lo, exec_lo, s7
.LBB300_941:                            ;   in Loop: Header=BB300_669 Depth=1
	s_wait_alu 0xfffe
	s_or_b32 exec_lo, exec_lo, s6
	v_lshrrev_b16 v1, 8, v9
	s_mov_b32 s6, exec_lo
	s_delay_alu instid0(VALU_DEP_1)
	v_cmpx_ne_u16_e32 0, v1
	s_cbranch_execz .LBB300_949
; %bb.942:                              ;   in Loop: Header=BB300_669 Depth=1
	v_bfrev_b32_e32 v49, 1
	s_mov_b32 s7, exec_lo
	v_cmpx_ne_u16_e32 0x80, v1
	s_cbranch_execz .LBB300_948
; %bb.943:                              ;   in Loop: Header=BB300_669 Depth=1
	v_and_b32_e32 v51, 0xffff, v1
	v_mov_b32_e32 v49, 0x7c010000
	s_mov_b32 s13, exec_lo
	s_delay_alu instid0(VALU_DEP_2) | instskip(NEXT) | instid1(VALU_DEP_1)
	v_and_b32_e32 v53, 0x7f, v51
	v_cmpx_ne_u32_e32 0x7f, v53
	s_cbranch_execz .LBB300_947
; %bb.944:                              ;   in Loop: Header=BB300_669 Depth=1
	v_and_b32_e32 v49, 7, v51
	v_lshrrev_b32_e32 v52, 3, v53
	s_mov_b32 s14, exec_lo
	v_cmpx_gt_u32_e32 8, v53
; %bb.945:                              ;   in Loop: Header=BB300_669 Depth=1
	s_delay_alu instid0(VALU_DEP_3) | instskip(NEXT) | instid1(VALU_DEP_1)
	v_clz_i32_u32_e32 v49, v49
	v_min_u32_e32 v49, 32, v49
	s_delay_alu instid0(VALU_DEP_1) | instskip(NEXT) | instid1(VALU_DEP_1)
	v_subrev_nc_u32_e32 v52, 28, v49
	v_lshlrev_b64_e32 v[53:54], v52, v[1:2]
	v_sub_nc_u32_e32 v52, 29, v49
	s_delay_alu instid0(VALU_DEP_2)
	v_and_b32_e32 v49, 7, v53
; %bb.946:                              ;   in Loop: Header=BB300_669 Depth=1
	s_wait_alu 0xfffe
	s_or_b32 exec_lo, exec_lo, s14
	v_lshlrev_b32_e32 v1, 8, v51
	v_lshl_add_u32 v51, v52, 10, 0x2000
	v_lshlrev_b32_e32 v49, 23, v49
	s_delay_alu instid0(VALU_DEP_2) | instskip(NEXT) | instid1(VALU_DEP_1)
	v_and_or_b32 v1, 0x8000, v1, v51
	v_lshl_or_b32 v49, v1, 16, v49
.LBB300_947:                            ;   in Loop: Header=BB300_669 Depth=1
	s_or_b32 exec_lo, exec_lo, s13
.LBB300_948:                            ;   in Loop: Header=BB300_669 Depth=1
	s_wait_alu 0xfffe
	s_or_b32 exec_lo, exec_lo, s7
.LBB300_949:                            ;   in Loop: Header=BB300_669 Depth=1
	s_wait_alu 0xfffe
	s_or_b32 exec_lo, exec_lo, s6
	v_lshrrev_b32_e32 v1, 16, v9
	v_mov_b32_e32 v51, 0
	s_mov_b32 s6, exec_lo
	s_delay_alu instid0(VALU_DEP_2) | instskip(NEXT) | instid1(VALU_DEP_1)
	v_dual_mov_b32 v52, 0 :: v_dual_and_b32 v53, 0xff, v1
	v_cmpx_ne_u16_e32 0, v53
	s_cbranch_execz .LBB300_957
; %bb.950:                              ;   in Loop: Header=BB300_669 Depth=1
	v_mov_b32_e32 v52, 0x8000
	s_mov_b32 s7, exec_lo
	v_cmpx_ne_u16_e32 0x80, v53
	s_cbranch_execz .LBB300_956
; %bb.951:                              ;   in Loop: Header=BB300_669 Depth=1
	v_bfe_u32 v54, v9, 16, 7
	v_mov_b32_e32 v52, 0x7c01
	s_mov_b32 s13, exec_lo
	s_delay_alu instid0(VALU_DEP_2)
	v_cmpx_ne_u32_e32 0x7f, v54
	s_cbranch_execz .LBB300_955
; %bb.952:                              ;   in Loop: Header=BB300_669 Depth=1
	v_and_b32_e32 v52, 7, v1
	v_lshrrev_b32_e32 v53, 3, v54
	s_mov_b32 s14, exec_lo
	v_cmpx_gt_u32_e32 8, v54
; %bb.953:                              ;   in Loop: Header=BB300_669 Depth=1
	s_delay_alu instid0(VALU_DEP_3) | instskip(NEXT) | instid1(VALU_DEP_1)
	v_clz_i32_u32_e32 v52, v52
	v_min_u32_e32 v54, 32, v52
	s_delay_alu instid0(VALU_DEP_1) | instskip(NEXT) | instid1(VALU_DEP_1)
	v_subrev_nc_u32_e32 v52, 28, v54
	v_lshlrev_b64_e32 v[52:53], v52, v[1:2]
	v_sub_nc_u32_e32 v53, 29, v54
	s_delay_alu instid0(VALU_DEP_2)
	v_and_b32_e32 v52, 7, v52
; %bb.954:                              ;   in Loop: Header=BB300_669 Depth=1
	s_wait_alu 0xfffe
	s_or_b32 exec_lo, exec_lo, s14
	v_lshlrev_b32_e32 v1, 8, v1
	v_lshl_add_u32 v53, v53, 10, 0x2000
	v_lshlrev_b32_e32 v52, 7, v52
	s_delay_alu instid0(VALU_DEP_3) | instskip(NEXT) | instid1(VALU_DEP_3)
	v_and_b32_e32 v1, 0x8000, v1
	v_and_b32_e32 v53, 0xfc00, v53
	s_delay_alu instid0(VALU_DEP_1)
	v_or3_b32 v52, v1, v53, v52
.LBB300_955:                            ;   in Loop: Header=BB300_669 Depth=1
	s_or_b32 exec_lo, exec_lo, s13
.LBB300_956:                            ;   in Loop: Header=BB300_669 Depth=1
	s_wait_alu 0xfffe
	s_or_b32 exec_lo, exec_lo, s7
.LBB300_957:                            ;   in Loop: Header=BB300_669 Depth=1
	s_wait_alu 0xfffe
	s_or_b32 exec_lo, exec_lo, s6
	s_delay_alu instid0(SALU_CYCLE_1)
	s_mov_b32 s6, exec_lo
	v_cmpx_lt_u32_e32 0xffffff, v9
	s_cbranch_execz .LBB300_965
; %bb.958:                              ;   in Loop: Header=BB300_669 Depth=1
	v_lshrrev_b32_e32 v1, 24, v9
	v_bfrev_b32_e32 v51, 1
	s_mov_b32 s7, exec_lo
	s_delay_alu instid0(VALU_DEP_2)
	v_cmpx_ne_u32_e32 0x80, v1
	s_cbranch_execz .LBB300_964
; %bb.959:                              ;   in Loop: Header=BB300_669 Depth=1
	v_and_b32_e32 v54, 0x7f, v1
	v_mov_b32_e32 v51, 0x7c010000
	s_mov_b32 s13, exec_lo
	s_delay_alu instid0(VALU_DEP_2)
	v_cmpx_ne_u32_e32 0x7f, v54
	s_cbranch_execz .LBB300_963
; %bb.960:                              ;   in Loop: Header=BB300_669 Depth=1
	v_and_b32_e32 v51, 7, v1
	v_lshrrev_b32_e32 v53, 3, v54
	s_mov_b32 s14, exec_lo
	v_cmpx_gt_u32_e32 8, v54
; %bb.961:                              ;   in Loop: Header=BB300_669 Depth=1
	s_delay_alu instid0(VALU_DEP_3) | instskip(NEXT) | instid1(VALU_DEP_1)
	v_clz_i32_u32_e32 v51, v51
	v_min_u32_e32 v51, 32, v51
	s_delay_alu instid0(VALU_DEP_1) | instskip(NEXT) | instid1(VALU_DEP_1)
	v_subrev_nc_u32_e32 v53, 28, v51
	v_lshlrev_b64_e32 v[54:55], v53, v[1:2]
	v_sub_nc_u32_e32 v53, 29, v51
	s_delay_alu instid0(VALU_DEP_2)
	v_and_b32_e32 v51, 7, v54
; %bb.962:                              ;   in Loop: Header=BB300_669 Depth=1
	s_wait_alu 0xfffe
	s_or_b32 exec_lo, exec_lo, s14
	v_lshlrev_b32_e32 v1, 8, v1
	v_lshl_add_u32 v53, v53, 10, 0x2000
	v_lshlrev_b32_e32 v51, 23, v51
	s_delay_alu instid0(VALU_DEP_2) | instskip(NEXT) | instid1(VALU_DEP_1)
	v_and_or_b32 v1, 0x8000, v1, v53
	v_lshl_or_b32 v51, v1, 16, v51
.LBB300_963:                            ;   in Loop: Header=BB300_669 Depth=1
	s_or_b32 exec_lo, exec_lo, s13
.LBB300_964:                            ;   in Loop: Header=BB300_669 Depth=1
	s_wait_alu 0xfffe
	s_or_b32 exec_lo, exec_lo, s7
.LBB300_965:                            ;   in Loop: Header=BB300_669 Depth=1
	s_wait_alu 0xfffe
	s_or_b32 exec_lo, exec_lo, s6
	v_dual_mov_b32 v54, 0 :: v_dual_and_b32 v55, 0xff, v10
	v_mov_b32_e32 v1, v10
	v_mov_b32_e32 v53, 0
	s_mov_b32 s6, exec_lo
	s_delay_alu instid0(VALU_DEP_3)
	v_cmpx_ne_u16_e32 0, v55
	s_cbranch_execz .LBB300_973
; %bb.966:                              ;   in Loop: Header=BB300_669 Depth=1
	v_mov_b32_e32 v54, 0x8000
	s_mov_b32 s7, exec_lo
	v_cmpx_ne_u16_e32 0x80, v55
	s_cbranch_execz .LBB300_972
; %bb.967:                              ;   in Loop: Header=BB300_669 Depth=1
	v_and_b32_e32 v56, 0x7f, v10
	v_mov_b32_e32 v54, 0x7c01
	s_mov_b32 s13, exec_lo
	s_delay_alu instid0(VALU_DEP_2)
	v_cmpx_ne_u32_e32 0x7f, v56
	s_cbranch_execz .LBB300_971
; %bb.968:                              ;   in Loop: Header=BB300_669 Depth=1
	v_and_b32_e32 v54, 7, v10
	v_lshrrev_b32_e32 v55, 3, v56
	s_mov_b32 s14, exec_lo
	v_cmpx_gt_u32_e32 8, v56
; %bb.969:                              ;   in Loop: Header=BB300_669 Depth=1
	s_delay_alu instid0(VALU_DEP_3) | instskip(NEXT) | instid1(VALU_DEP_1)
	v_clz_i32_u32_e32 v54, v54
	v_min_u32_e32 v56, 32, v54
	s_delay_alu instid0(VALU_DEP_1) | instskip(NEXT) | instid1(VALU_DEP_1)
	v_subrev_nc_u32_e32 v54, 28, v56
	v_lshlrev_b64_e32 v[54:55], v54, v[1:2]
	v_sub_nc_u32_e32 v55, 29, v56
	s_delay_alu instid0(VALU_DEP_2)
	v_and_b32_e32 v54, 7, v54
; %bb.970:                              ;   in Loop: Header=BB300_669 Depth=1
	s_wait_alu 0xfffe
	s_or_b32 exec_lo, exec_lo, s14
	v_lshlrev_b32_e32 v56, 8, v10
	v_lshl_add_u32 v55, v55, 10, 0x2000
	v_lshlrev_b32_e32 v54, 7, v54
	s_delay_alu instid0(VALU_DEP_3) | instskip(NEXT) | instid1(VALU_DEP_3)
	v_and_b32_e32 v56, 0x8000, v56
	v_and_b32_e32 v55, 0xfc00, v55
	s_delay_alu instid0(VALU_DEP_1)
	v_or3_b32 v54, v56, v55, v54
.LBB300_971:                            ;   in Loop: Header=BB300_669 Depth=1
	s_or_b32 exec_lo, exec_lo, s13
.LBB300_972:                            ;   in Loop: Header=BB300_669 Depth=1
	s_wait_alu 0xfffe
	s_or_b32 exec_lo, exec_lo, s7
.LBB300_973:                            ;   in Loop: Header=BB300_669 Depth=1
	s_wait_alu 0xfffe
	s_or_b32 exec_lo, exec_lo, s6
	v_lshrrev_b16 v1, 8, v1
	v_mov_b32_e32 v55, 0
	s_mov_b32 s6, exec_lo
	s_delay_alu instid0(VALU_DEP_2)
	v_cmpx_ne_u16_e32 0, v1
	s_cbranch_execz .LBB300_981
; %bb.974:                              ;   in Loop: Header=BB300_669 Depth=1
	v_bfrev_b32_e32 v55, 1
	s_mov_b32 s7, exec_lo
	v_cmpx_ne_u16_e32 0x80, v1
	s_cbranch_execz .LBB300_980
; %bb.975:                              ;   in Loop: Header=BB300_669 Depth=1
	v_and_b32_e32 v56, 0xffff, v1
	v_mov_b32_e32 v55, 0x7c010000
	s_mov_b32 s13, exec_lo
	s_delay_alu instid0(VALU_DEP_2) | instskip(NEXT) | instid1(VALU_DEP_1)
	v_and_b32_e32 v58, 0x7f, v56
	v_cmpx_ne_u32_e32 0x7f, v58
	s_cbranch_execz .LBB300_979
; %bb.976:                              ;   in Loop: Header=BB300_669 Depth=1
	v_and_b32_e32 v55, 7, v56
	v_lshrrev_b32_e32 v57, 3, v58
	s_mov_b32 s14, exec_lo
	v_cmpx_gt_u32_e32 8, v58
; %bb.977:                              ;   in Loop: Header=BB300_669 Depth=1
	s_delay_alu instid0(VALU_DEP_3) | instskip(NEXT) | instid1(VALU_DEP_1)
	v_clz_i32_u32_e32 v55, v55
	v_min_u32_e32 v55, 32, v55
	s_delay_alu instid0(VALU_DEP_1) | instskip(NEXT) | instid1(VALU_DEP_1)
	v_subrev_nc_u32_e32 v57, 28, v55
	v_lshlrev_b64_e32 v[58:59], v57, v[1:2]
	v_sub_nc_u32_e32 v57, 29, v55
	s_delay_alu instid0(VALU_DEP_2)
	v_and_b32_e32 v55, 7, v58
; %bb.978:                              ;   in Loop: Header=BB300_669 Depth=1
	s_wait_alu 0xfffe
	s_or_b32 exec_lo, exec_lo, s14
	v_lshlrev_b32_e32 v1, 8, v56
	v_lshl_add_u32 v56, v57, 10, 0x2000
	v_lshlrev_b32_e32 v55, 23, v55
	s_delay_alu instid0(VALU_DEP_2) | instskip(NEXT) | instid1(VALU_DEP_1)
	v_and_or_b32 v1, 0x8000, v1, v56
	v_lshl_or_b32 v55, v1, 16, v55
.LBB300_979:                            ;   in Loop: Header=BB300_669 Depth=1
	s_or_b32 exec_lo, exec_lo, s13
.LBB300_980:                            ;   in Loop: Header=BB300_669 Depth=1
	s_wait_alu 0xfffe
	s_or_b32 exec_lo, exec_lo, s7
.LBB300_981:                            ;   in Loop: Header=BB300_669 Depth=1
	s_wait_alu 0xfffe
	s_or_b32 exec_lo, exec_lo, s6
	v_lshrrev_b32_e32 v1, 16, v10
	s_mov_b32 s6, exec_lo
	s_delay_alu instid0(VALU_DEP_1) | instskip(NEXT) | instid1(VALU_DEP_1)
	v_and_b32_e32 v56, 0xff, v1
	v_cmpx_ne_u16_e32 0, v56
	s_cbranch_execz .LBB300_989
; %bb.982:                              ;   in Loop: Header=BB300_669 Depth=1
	v_mov_b32_e32 v53, 0x8000
	s_mov_b32 s7, exec_lo
	v_cmpx_ne_u16_e32 0x80, v56
	s_cbranch_execz .LBB300_988
; %bb.983:                              ;   in Loop: Header=BB300_669 Depth=1
	v_bfe_u32 v57, v10, 16, 7
	v_mov_b32_e32 v53, 0x7c01
	s_mov_b32 s13, exec_lo
	s_delay_alu instid0(VALU_DEP_2)
	v_cmpx_ne_u32_e32 0x7f, v57
	s_cbranch_execz .LBB300_987
; %bb.984:                              ;   in Loop: Header=BB300_669 Depth=1
	v_and_b32_e32 v53, 7, v1
	v_lshrrev_b32_e32 v56, 3, v57
	s_mov_b32 s14, exec_lo
	v_cmpx_gt_u32_e32 8, v57
; %bb.985:                              ;   in Loop: Header=BB300_669 Depth=1
	s_delay_alu instid0(VALU_DEP_3) | instskip(NEXT) | instid1(VALU_DEP_1)
	v_clz_i32_u32_e32 v53, v53
	v_min_u32_e32 v53, 32, v53
	s_delay_alu instid0(VALU_DEP_1) | instskip(NEXT) | instid1(VALU_DEP_1)
	v_subrev_nc_u32_e32 v56, 28, v53
	v_lshlrev_b64_e32 v[57:58], v56, v[1:2]
	v_sub_nc_u32_e32 v56, 29, v53
	s_delay_alu instid0(VALU_DEP_2)
	v_and_b32_e32 v53, 7, v57
; %bb.986:                              ;   in Loop: Header=BB300_669 Depth=1
	s_wait_alu 0xfffe
	s_or_b32 exec_lo, exec_lo, s14
	v_lshlrev_b32_e32 v1, 8, v1
	v_lshl_add_u32 v56, v56, 10, 0x2000
	v_lshlrev_b32_e32 v53, 7, v53
	s_delay_alu instid0(VALU_DEP_3) | instskip(NEXT) | instid1(VALU_DEP_3)
	v_and_b32_e32 v1, 0x8000, v1
	v_and_b32_e32 v56, 0xfc00, v56
	s_delay_alu instid0(VALU_DEP_1)
	v_or3_b32 v53, v1, v56, v53
.LBB300_987:                            ;   in Loop: Header=BB300_669 Depth=1
	s_or_b32 exec_lo, exec_lo, s13
.LBB300_988:                            ;   in Loop: Header=BB300_669 Depth=1
	s_wait_alu 0xfffe
	s_or_b32 exec_lo, exec_lo, s7
.LBB300_989:                            ;   in Loop: Header=BB300_669 Depth=1
	s_wait_alu 0xfffe
	s_or_b32 exec_lo, exec_lo, s6
	v_cmp_lt_u64_e64 s0, s[2:3], v[9:10]
	v_mov_b32_e32 v9, 0
	s_and_saveexec_b32 s6, s0
	s_cbranch_execz .LBB300_997
; %bb.990:                              ;   in Loop: Header=BB300_669 Depth=1
	v_lshrrev_b32_e32 v1, 24, v10
	v_bfrev_b32_e32 v9, 1
	s_mov_b32 s7, exec_lo
	s_delay_alu instid0(VALU_DEP_2)
	v_cmpx_ne_u32_e32 0x80, v1
	s_cbranch_execz .LBB300_996
; %bb.991:                              ;   in Loop: Header=BB300_669 Depth=1
	v_and_b32_e32 v56, 0x7f, v1
	v_mov_b32_e32 v9, 0x7c010000
	s_mov_b32 s13, exec_lo
	s_delay_alu instid0(VALU_DEP_2)
	v_cmpx_ne_u32_e32 0x7f, v56
	s_cbranch_execz .LBB300_995
; %bb.992:                              ;   in Loop: Header=BB300_669 Depth=1
	v_and_b32_e32 v9, 7, v1
	v_lshrrev_b32_e32 v10, 3, v56
	s_mov_b32 s14, exec_lo
	v_cmpx_gt_u32_e32 8, v56
; %bb.993:                              ;   in Loop: Header=BB300_669 Depth=1
	s_delay_alu instid0(VALU_DEP_3) | instskip(NEXT) | instid1(VALU_DEP_1)
	v_clz_i32_u32_e32 v9, v9
	v_min_u32_e32 v56, 32, v9
	s_delay_alu instid0(VALU_DEP_1) | instskip(NEXT) | instid1(VALU_DEP_1)
	v_subrev_nc_u32_e32 v9, 28, v56
	v_lshlrev_b64_e32 v[9:10], v9, v[1:2]
	v_sub_nc_u32_e32 v10, 29, v56
	s_delay_alu instid0(VALU_DEP_2)
	v_and_b32_e32 v9, 7, v9
; %bb.994:                              ;   in Loop: Header=BB300_669 Depth=1
	s_wait_alu 0xfffe
	s_or_b32 exec_lo, exec_lo, s14
	v_lshlrev_b32_e32 v1, 8, v1
	v_lshl_add_u32 v10, v10, 10, 0x2000
	v_lshlrev_b32_e32 v9, 23, v9
	s_delay_alu instid0(VALU_DEP_2) | instskip(NEXT) | instid1(VALU_DEP_1)
	v_and_or_b32 v1, 0x8000, v1, v10
	v_lshl_or_b32 v9, v1, 16, v9
.LBB300_995:                            ;   in Loop: Header=BB300_669 Depth=1
	s_or_b32 exec_lo, exec_lo, s13
.LBB300_996:                            ;   in Loop: Header=BB300_669 Depth=1
	s_wait_alu 0xfffe
	s_or_b32 exec_lo, exec_lo, s7
.LBB300_997:                            ;   in Loop: Header=BB300_669 Depth=1
	s_wait_alu 0xfffe
	s_or_b32 exec_lo, exec_lo, s6
	v_or_b32_e32 v1, v51, v52
	s_wait_loadcnt 0x0
	v_fma_mixlo_f16 v10, v48, v51, 0 op_sel:[0,1,0] op_sel_hi:[0,1,0]
	v_or_b32_e32 v51, v49, v50
	v_fma_mixlo_f16 v49, v48, v49, 0 op_sel:[0,1,0] op_sel_hi:[0,1,0]
	v_or_b32_e32 v52, v55, v54
	v_or_b32_e32 v53, v9, v53
	v_fma_mixlo_f16 v54, v48, v1, 0 op_sel_hi:[0,1,0]
	v_fma_mixlo_f16 v9, v48, v9, 0 op_sel:[0,1,0] op_sel_hi:[0,1,0]
	v_lshlrev_b32_e32 v50, 16, v49
	v_fma_mixlo_f16 v49, v48, v51, 0 op_sel_hi:[0,1,0]
	v_fma_mixlo_f16 v51, v48, v55, 0 op_sel:[0,1,0] op_sel_hi:[0,1,0]
	v_fma_mixlo_f16 v52, v48, v52, 0 op_sel_hi:[0,1,0]
	v_fma_mixlo_f16 v53, v48, v53, 0 op_sel_hi:[0,1,0]
	v_lshlrev_b32_e32 v1, 16, v10
	v_and_b32_e32 v10, 0xffff, v54
	v_and_b32_e32 v56, 0xffff, v49
	v_lshlrev_b32_e32 v48, 16, v51
	v_and_b32_e32 v52, 0xffff, v52
	v_lshlrev_b32_e32 v9, 16, v9
	v_and_b32_e32 v49, 0xffff, v53
	v_or_b32_e32 v51, v1, v10
	v_or_b32_e32 v55, v50, v56
	;; [unrolled: 1-line block ×3, first 2 shown]
	s_delay_alu instid0(VALU_DEP_4)
	v_or_b32_e32 v53, v9, v49
	s_and_saveexec_b32 s6, vcc_lo
	s_cbranch_execz .LBB300_999
; %bb.998:                              ;   in Loop: Header=BB300_669 Depth=1
	v_cmp_gt_i32_e64 s0, s27, v14
	s_wait_alu 0xf1ff
	s_delay_alu instid0(VALU_DEP_1) | instskip(SKIP_2) | instid1(VALU_DEP_1)
	v_cndmask_b32_e64 v51, 0, v56, s0
	v_cmp_gt_i32_e64 s0, s27, v38
	s_wait_alu 0xf1ff
	v_cndmask_b32_e64 v50, 0, v50, s0
	v_cmp_gt_i32_e64 s0, s27, v35
	s_delay_alu instid0(VALU_DEP_2) | instskip(SKIP_1) | instid1(VALU_DEP_2)
	v_or_b32_e32 v55, v50, v51
	s_wait_alu 0xf1ff
	v_cndmask_b32_e64 v10, 0, v10, s0
	v_cmp_gt_i32_e64 s0, s27, v33
	s_wait_alu 0xf1ff
	s_delay_alu instid0(VALU_DEP_1) | instskip(SKIP_1) | instid1(VALU_DEP_2)
	v_cndmask_b32_e64 v1, 0, v1, s0
	v_cmp_gt_i32_e64 s0, s27, v32
	v_or_b32_e32 v51, v1, v10
	s_wait_alu 0xf1ff
	s_delay_alu instid0(VALU_DEP_2) | instskip(SKIP_2) | instid1(VALU_DEP_1)
	v_cndmask_b32_e64 v52, 0, v52, s0
	v_cmp_gt_i32_e64 s0, s27, v31
	s_wait_alu 0xf1ff
	v_cndmask_b32_e64 v48, 0, v48, s0
	v_cmp_gt_i32_e64 s0, s27, v30
	s_delay_alu instid0(VALU_DEP_2) | instskip(SKIP_1) | instid1(VALU_DEP_2)
	v_or_b32_e32 v54, v48, v52
	s_wait_alu 0xf1ff
	v_cndmask_b32_e64 v49, 0, v49, s0
	v_cmp_gt_i32_e64 s0, s27, v28
	s_wait_alu 0xf1ff
	s_delay_alu instid0(VALU_DEP_1) | instskip(NEXT) | instid1(VALU_DEP_1)
	v_cndmask_b32_e64 v9, 0, v9, s0
	v_or_b32_e32 v53, v9, v49
.LBB300_999:                            ;   in Loop: Header=BB300_669 Depth=1
	s_wait_alu 0xfffe
	s_or_b32 exec_lo, exec_lo, s6
	;;#ASMSTART
	v_pk_mul_f16 v1, v40, v55;

	;;#ASMEND
	;;#ASMSTART
	v_pk_mul_f16 v9, v37, v51;

	;;#ASMEND
	;; [unrolled: 4-line block ×4, first 2 shown]
	;;#ASMSTART
	v_pk_add_f16 v1, v1, v9;

	;;#ASMEND
	;;#ASMSTART
	v_pk_add_f16 v1, v1, v10;

	;;#ASMEND
	;;#ASMSTART
	v_pk_add_f16 v1, v1, v48;

	;;#ASMEND
	v_dual_mov_b32 v52, 0 :: v_dual_and_b32 v9, 0xffff, v1
	v_lshrrev_b32_e32 v1, 16, v1
	;;#ASMSTART
	v_cvt_f32_f16 v48, v9;
	;;#ASMEND
	;;#ASMSTART
	v_cvt_f32_f16 v49, v1;
	;;#ASMEND
	global_load_b64 v[9:10], v[7:8], off offset:1280
	v_mov_b32_e32 v51, 0
	s_mov_b32 s6, exec_lo
	global_load_b32 v50, v51, s[10:11]
	s_wait_loadcnt 0x1
	v_and_b32_e32 v1, 0xff, v9
	s_delay_alu instid0(VALU_DEP_1)
	v_cmpx_ne_u16_e32 0, v1
	s_cbranch_execz .LBB300_1007
; %bb.1000:                             ;   in Loop: Header=BB300_669 Depth=1
	v_mov_b32_e32 v52, 0x8000
	s_mov_b32 s7, exec_lo
	v_cmpx_ne_u16_e32 0x80, v1
	s_cbranch_execz .LBB300_1006
; %bb.1001:                             ;   in Loop: Header=BB300_669 Depth=1
	v_and_b32_e32 v53, 0x7f, v9
	v_mov_b32_e32 v52, 0x7c01
	s_mov_b32 s13, exec_lo
	s_delay_alu instid0(VALU_DEP_2)
	v_cmpx_ne_u32_e32 0x7f, v53
	s_cbranch_execz .LBB300_1005
; %bb.1002:                             ;   in Loop: Header=BB300_669 Depth=1
	v_and_b32_e32 v1, 7, v9
	v_lshrrev_b32_e32 v52, 3, v53
	s_mov_b32 s14, exec_lo
	v_cmpx_gt_u32_e32 8, v53
; %bb.1003:                             ;   in Loop: Header=BB300_669 Depth=1
	s_delay_alu instid0(VALU_DEP_3) | instskip(NEXT) | instid1(VALU_DEP_1)
	v_clz_i32_u32_e32 v1, v1
	v_min_u32_e32 v1, 32, v1
	s_delay_alu instid0(VALU_DEP_1) | instskip(NEXT) | instid1(VALU_DEP_1)
	v_subrev_nc_u32_e32 v52, 28, v1
	v_lshlrev_b64_e32 v[53:54], v52, v[9:10]
	v_sub_nc_u32_e32 v52, 29, v1
	s_delay_alu instid0(VALU_DEP_2)
	v_and_b32_e32 v1, 7, v53
; %bb.1004:                             ;   in Loop: Header=BB300_669 Depth=1
	s_wait_alu 0xfffe
	s_or_b32 exec_lo, exec_lo, s14
	v_lshlrev_b32_e32 v53, 8, v9
	v_lshl_add_u32 v52, v52, 10, 0x2000
	v_lshlrev_b32_e32 v1, 7, v1
	s_delay_alu instid0(VALU_DEP_3) | instskip(NEXT) | instid1(VALU_DEP_3)
	v_and_b32_e32 v53, 0x8000, v53
	v_and_b32_e32 v52, 0xfc00, v52
	s_delay_alu instid0(VALU_DEP_1)
	v_or3_b32 v52, v53, v52, v1
.LBB300_1005:                           ;   in Loop: Header=BB300_669 Depth=1
	s_or_b32 exec_lo, exec_lo, s13
.LBB300_1006:                           ;   in Loop: Header=BB300_669 Depth=1
	s_wait_alu 0xfffe
	s_or_b32 exec_lo, exec_lo, s7
.LBB300_1007:                           ;   in Loop: Header=BB300_669 Depth=1
	s_wait_alu 0xfffe
	s_or_b32 exec_lo, exec_lo, s6
	v_lshrrev_b16 v1, 8, v9
	s_mov_b32 s6, exec_lo
	s_delay_alu instid0(VALU_DEP_1)
	v_cmpx_ne_u16_e32 0, v1
	s_cbranch_execz .LBB300_1015
; %bb.1008:                             ;   in Loop: Header=BB300_669 Depth=1
	v_bfrev_b32_e32 v51, 1
	s_mov_b32 s7, exec_lo
	v_cmpx_ne_u16_e32 0x80, v1
	s_cbranch_execz .LBB300_1014
; %bb.1009:                             ;   in Loop: Header=BB300_669 Depth=1
	v_and_b32_e32 v53, 0xffff, v1
	v_mov_b32_e32 v51, 0x7c010000
	s_mov_b32 s13, exec_lo
	s_delay_alu instid0(VALU_DEP_2) | instskip(NEXT) | instid1(VALU_DEP_1)
	v_and_b32_e32 v55, 0x7f, v53
	v_cmpx_ne_u32_e32 0x7f, v55
	s_cbranch_execz .LBB300_1013
; %bb.1010:                             ;   in Loop: Header=BB300_669 Depth=1
	v_and_b32_e32 v51, 7, v53
	v_lshrrev_b32_e32 v54, 3, v55
	s_mov_b32 s14, exec_lo
	v_cmpx_gt_u32_e32 8, v55
; %bb.1011:                             ;   in Loop: Header=BB300_669 Depth=1
	s_delay_alu instid0(VALU_DEP_3) | instskip(NEXT) | instid1(VALU_DEP_1)
	v_clz_i32_u32_e32 v51, v51
	v_min_u32_e32 v51, 32, v51
	s_delay_alu instid0(VALU_DEP_1) | instskip(NEXT) | instid1(VALU_DEP_1)
	v_subrev_nc_u32_e32 v54, 28, v51
	v_lshlrev_b64_e32 v[55:56], v54, v[1:2]
	v_sub_nc_u32_e32 v54, 29, v51
	s_delay_alu instid0(VALU_DEP_2)
	v_and_b32_e32 v51, 7, v55
; %bb.1012:                             ;   in Loop: Header=BB300_669 Depth=1
	s_wait_alu 0xfffe
	s_or_b32 exec_lo, exec_lo, s14
	v_lshlrev_b32_e32 v1, 8, v53
	v_lshl_add_u32 v53, v54, 10, 0x2000
	v_lshlrev_b32_e32 v51, 23, v51
	s_delay_alu instid0(VALU_DEP_2) | instskip(NEXT) | instid1(VALU_DEP_1)
	v_and_or_b32 v1, 0x8000, v1, v53
	v_lshl_or_b32 v51, v1, 16, v51
.LBB300_1013:                           ;   in Loop: Header=BB300_669 Depth=1
	s_or_b32 exec_lo, exec_lo, s13
.LBB300_1014:                           ;   in Loop: Header=BB300_669 Depth=1
	s_wait_alu 0xfffe
	s_or_b32 exec_lo, exec_lo, s7
.LBB300_1015:                           ;   in Loop: Header=BB300_669 Depth=1
	s_wait_alu 0xfffe
	s_or_b32 exec_lo, exec_lo, s6
	v_lshrrev_b32_e32 v1, 16, v9
	v_mov_b32_e32 v53, 0
	s_mov_b32 s6, exec_lo
	s_delay_alu instid0(VALU_DEP_2) | instskip(NEXT) | instid1(VALU_DEP_1)
	v_dual_mov_b32 v54, 0 :: v_dual_and_b32 v55, 0xff, v1
	v_cmpx_ne_u16_e32 0, v55
	s_cbranch_execz .LBB300_1023
; %bb.1016:                             ;   in Loop: Header=BB300_669 Depth=1
	v_mov_b32_e32 v54, 0x8000
	s_mov_b32 s7, exec_lo
	v_cmpx_ne_u16_e32 0x80, v55
	s_cbranch_execz .LBB300_1022
; %bb.1017:                             ;   in Loop: Header=BB300_669 Depth=1
	v_bfe_u32 v56, v9, 16, 7
	v_mov_b32_e32 v54, 0x7c01
	s_mov_b32 s13, exec_lo
	s_delay_alu instid0(VALU_DEP_2)
	v_cmpx_ne_u32_e32 0x7f, v56
	s_cbranch_execz .LBB300_1021
; %bb.1018:                             ;   in Loop: Header=BB300_669 Depth=1
	v_and_b32_e32 v54, 7, v1
	v_lshrrev_b32_e32 v55, 3, v56
	s_mov_b32 s14, exec_lo
	v_cmpx_gt_u32_e32 8, v56
; %bb.1019:                             ;   in Loop: Header=BB300_669 Depth=1
	s_delay_alu instid0(VALU_DEP_3) | instskip(NEXT) | instid1(VALU_DEP_1)
	v_clz_i32_u32_e32 v54, v54
	v_min_u32_e32 v56, 32, v54
	s_delay_alu instid0(VALU_DEP_1) | instskip(NEXT) | instid1(VALU_DEP_1)
	v_subrev_nc_u32_e32 v54, 28, v56
	v_lshlrev_b64_e32 v[54:55], v54, v[1:2]
	v_sub_nc_u32_e32 v55, 29, v56
	s_delay_alu instid0(VALU_DEP_2)
	v_and_b32_e32 v54, 7, v54
; %bb.1020:                             ;   in Loop: Header=BB300_669 Depth=1
	s_wait_alu 0xfffe
	s_or_b32 exec_lo, exec_lo, s14
	v_lshlrev_b32_e32 v1, 8, v1
	v_lshl_add_u32 v55, v55, 10, 0x2000
	v_lshlrev_b32_e32 v54, 7, v54
	s_delay_alu instid0(VALU_DEP_3) | instskip(NEXT) | instid1(VALU_DEP_3)
	v_and_b32_e32 v1, 0x8000, v1
	v_and_b32_e32 v55, 0xfc00, v55
	s_delay_alu instid0(VALU_DEP_1)
	v_or3_b32 v54, v1, v55, v54
.LBB300_1021:                           ;   in Loop: Header=BB300_669 Depth=1
	s_or_b32 exec_lo, exec_lo, s13
.LBB300_1022:                           ;   in Loop: Header=BB300_669 Depth=1
	s_wait_alu 0xfffe
	s_or_b32 exec_lo, exec_lo, s7
.LBB300_1023:                           ;   in Loop: Header=BB300_669 Depth=1
	s_wait_alu 0xfffe
	s_or_b32 exec_lo, exec_lo, s6
	s_delay_alu instid0(SALU_CYCLE_1)
	s_mov_b32 s6, exec_lo
	v_cmpx_lt_u32_e32 0xffffff, v9
	s_cbranch_execz .LBB300_1031
; %bb.1024:                             ;   in Loop: Header=BB300_669 Depth=1
	v_lshrrev_b32_e32 v1, 24, v9
	v_bfrev_b32_e32 v53, 1
	s_mov_b32 s7, exec_lo
	s_delay_alu instid0(VALU_DEP_2)
	v_cmpx_ne_u32_e32 0x80, v1
	s_cbranch_execz .LBB300_1030
; %bb.1025:                             ;   in Loop: Header=BB300_669 Depth=1
	v_and_b32_e32 v56, 0x7f, v1
	v_mov_b32_e32 v53, 0x7c010000
	s_mov_b32 s13, exec_lo
	s_delay_alu instid0(VALU_DEP_2)
	v_cmpx_ne_u32_e32 0x7f, v56
	s_cbranch_execz .LBB300_1029
; %bb.1026:                             ;   in Loop: Header=BB300_669 Depth=1
	v_and_b32_e32 v53, 7, v1
	v_lshrrev_b32_e32 v55, 3, v56
	s_mov_b32 s14, exec_lo
	v_cmpx_gt_u32_e32 8, v56
; %bb.1027:                             ;   in Loop: Header=BB300_669 Depth=1
	s_delay_alu instid0(VALU_DEP_3) | instskip(NEXT) | instid1(VALU_DEP_1)
	v_clz_i32_u32_e32 v53, v53
	v_min_u32_e32 v53, 32, v53
	s_delay_alu instid0(VALU_DEP_1) | instskip(NEXT) | instid1(VALU_DEP_1)
	v_subrev_nc_u32_e32 v55, 28, v53
	v_lshlrev_b64_e32 v[56:57], v55, v[1:2]
	v_sub_nc_u32_e32 v55, 29, v53
	s_delay_alu instid0(VALU_DEP_2)
	v_and_b32_e32 v53, 7, v56
; %bb.1028:                             ;   in Loop: Header=BB300_669 Depth=1
	s_wait_alu 0xfffe
	s_or_b32 exec_lo, exec_lo, s14
	v_lshlrev_b32_e32 v1, 8, v1
	v_lshl_add_u32 v55, v55, 10, 0x2000
	v_lshlrev_b32_e32 v53, 23, v53
	s_delay_alu instid0(VALU_DEP_2) | instskip(NEXT) | instid1(VALU_DEP_1)
	v_and_or_b32 v1, 0x8000, v1, v55
	v_lshl_or_b32 v53, v1, 16, v53
.LBB300_1029:                           ;   in Loop: Header=BB300_669 Depth=1
	s_or_b32 exec_lo, exec_lo, s13
.LBB300_1030:                           ;   in Loop: Header=BB300_669 Depth=1
	s_wait_alu 0xfffe
	s_or_b32 exec_lo, exec_lo, s7
.LBB300_1031:                           ;   in Loop: Header=BB300_669 Depth=1
	s_wait_alu 0xfffe
	s_or_b32 exec_lo, exec_lo, s6
	v_dual_mov_b32 v56, 0 :: v_dual_and_b32 v57, 0xff, v10
	v_mov_b32_e32 v1, v10
	v_mov_b32_e32 v55, 0
	s_mov_b32 s6, exec_lo
	s_delay_alu instid0(VALU_DEP_3)
	v_cmpx_ne_u16_e32 0, v57
	s_cbranch_execz .LBB300_1039
; %bb.1032:                             ;   in Loop: Header=BB300_669 Depth=1
	v_mov_b32_e32 v56, 0x8000
	s_mov_b32 s7, exec_lo
	v_cmpx_ne_u16_e32 0x80, v57
	s_cbranch_execz .LBB300_1038
; %bb.1033:                             ;   in Loop: Header=BB300_669 Depth=1
	v_and_b32_e32 v58, 0x7f, v10
	v_mov_b32_e32 v56, 0x7c01
	s_mov_b32 s13, exec_lo
	s_delay_alu instid0(VALU_DEP_2)
	v_cmpx_ne_u32_e32 0x7f, v58
	s_cbranch_execz .LBB300_1037
; %bb.1034:                             ;   in Loop: Header=BB300_669 Depth=1
	v_and_b32_e32 v56, 7, v10
	v_lshrrev_b32_e32 v57, 3, v58
	s_mov_b32 s14, exec_lo
	v_cmpx_gt_u32_e32 8, v58
; %bb.1035:                             ;   in Loop: Header=BB300_669 Depth=1
	s_delay_alu instid0(VALU_DEP_3) | instskip(NEXT) | instid1(VALU_DEP_1)
	v_clz_i32_u32_e32 v56, v56
	v_min_u32_e32 v58, 32, v56
	s_delay_alu instid0(VALU_DEP_1) | instskip(NEXT) | instid1(VALU_DEP_1)
	v_subrev_nc_u32_e32 v56, 28, v58
	v_lshlrev_b64_e32 v[56:57], v56, v[1:2]
	v_sub_nc_u32_e32 v57, 29, v58
	s_delay_alu instid0(VALU_DEP_2)
	v_and_b32_e32 v56, 7, v56
; %bb.1036:                             ;   in Loop: Header=BB300_669 Depth=1
	s_wait_alu 0xfffe
	s_or_b32 exec_lo, exec_lo, s14
	v_lshlrev_b32_e32 v58, 8, v10
	v_lshl_add_u32 v57, v57, 10, 0x2000
	v_lshlrev_b32_e32 v56, 7, v56
	s_delay_alu instid0(VALU_DEP_3) | instskip(NEXT) | instid1(VALU_DEP_3)
	v_and_b32_e32 v58, 0x8000, v58
	v_and_b32_e32 v57, 0xfc00, v57
	s_delay_alu instid0(VALU_DEP_1)
	v_or3_b32 v56, v58, v57, v56
.LBB300_1037:                           ;   in Loop: Header=BB300_669 Depth=1
	s_or_b32 exec_lo, exec_lo, s13
.LBB300_1038:                           ;   in Loop: Header=BB300_669 Depth=1
	s_wait_alu 0xfffe
	s_or_b32 exec_lo, exec_lo, s7
.LBB300_1039:                           ;   in Loop: Header=BB300_669 Depth=1
	s_wait_alu 0xfffe
	s_or_b32 exec_lo, exec_lo, s6
	v_lshrrev_b16 v1, 8, v1
	v_mov_b32_e32 v57, 0
	s_mov_b32 s6, exec_lo
	s_delay_alu instid0(VALU_DEP_2)
	v_cmpx_ne_u16_e32 0, v1
	s_cbranch_execz .LBB300_1047
; %bb.1040:                             ;   in Loop: Header=BB300_669 Depth=1
	v_bfrev_b32_e32 v57, 1
	s_mov_b32 s7, exec_lo
	v_cmpx_ne_u16_e32 0x80, v1
	s_cbranch_execz .LBB300_1046
; %bb.1041:                             ;   in Loop: Header=BB300_669 Depth=1
	v_and_b32_e32 v58, 0xffff, v1
	v_mov_b32_e32 v57, 0x7c010000
	s_mov_b32 s13, exec_lo
	s_delay_alu instid0(VALU_DEP_2) | instskip(NEXT) | instid1(VALU_DEP_1)
	v_and_b32_e32 v60, 0x7f, v58
	v_cmpx_ne_u32_e32 0x7f, v60
	s_cbranch_execz .LBB300_1045
; %bb.1042:                             ;   in Loop: Header=BB300_669 Depth=1
	v_and_b32_e32 v57, 7, v58
	v_lshrrev_b32_e32 v59, 3, v60
	s_mov_b32 s14, exec_lo
	v_cmpx_gt_u32_e32 8, v60
; %bb.1043:                             ;   in Loop: Header=BB300_669 Depth=1
	s_delay_alu instid0(VALU_DEP_3) | instskip(NEXT) | instid1(VALU_DEP_1)
	v_clz_i32_u32_e32 v57, v57
	v_min_u32_e32 v57, 32, v57
	s_delay_alu instid0(VALU_DEP_1) | instskip(NEXT) | instid1(VALU_DEP_1)
	v_subrev_nc_u32_e32 v59, 28, v57
	v_lshlrev_b64_e32 v[60:61], v59, v[1:2]
	v_sub_nc_u32_e32 v59, 29, v57
	s_delay_alu instid0(VALU_DEP_2)
	v_and_b32_e32 v57, 7, v60
; %bb.1044:                             ;   in Loop: Header=BB300_669 Depth=1
	s_wait_alu 0xfffe
	s_or_b32 exec_lo, exec_lo, s14
	v_lshlrev_b32_e32 v1, 8, v58
	v_lshl_add_u32 v58, v59, 10, 0x2000
	v_lshlrev_b32_e32 v57, 23, v57
	s_delay_alu instid0(VALU_DEP_2) | instskip(NEXT) | instid1(VALU_DEP_1)
	v_and_or_b32 v1, 0x8000, v1, v58
	v_lshl_or_b32 v57, v1, 16, v57
.LBB300_1045:                           ;   in Loop: Header=BB300_669 Depth=1
	s_or_b32 exec_lo, exec_lo, s13
.LBB300_1046:                           ;   in Loop: Header=BB300_669 Depth=1
	s_wait_alu 0xfffe
	s_or_b32 exec_lo, exec_lo, s7
.LBB300_1047:                           ;   in Loop: Header=BB300_669 Depth=1
	s_wait_alu 0xfffe
	s_or_b32 exec_lo, exec_lo, s6
	v_lshrrev_b32_e32 v1, 16, v10
	s_mov_b32 s6, exec_lo
	s_delay_alu instid0(VALU_DEP_1) | instskip(NEXT) | instid1(VALU_DEP_1)
	v_and_b32_e32 v58, 0xff, v1
	v_cmpx_ne_u16_e32 0, v58
	s_cbranch_execz .LBB300_1055
; %bb.1048:                             ;   in Loop: Header=BB300_669 Depth=1
	v_mov_b32_e32 v55, 0x8000
	s_mov_b32 s7, exec_lo
	v_cmpx_ne_u16_e32 0x80, v58
	s_cbranch_execz .LBB300_1054
; %bb.1049:                             ;   in Loop: Header=BB300_669 Depth=1
	v_bfe_u32 v59, v10, 16, 7
	v_mov_b32_e32 v55, 0x7c01
	s_mov_b32 s13, exec_lo
	s_delay_alu instid0(VALU_DEP_2)
	v_cmpx_ne_u32_e32 0x7f, v59
	s_cbranch_execz .LBB300_1053
; %bb.1050:                             ;   in Loop: Header=BB300_669 Depth=1
	v_and_b32_e32 v55, 7, v1
	v_lshrrev_b32_e32 v58, 3, v59
	s_mov_b32 s14, exec_lo
	v_cmpx_gt_u32_e32 8, v59
; %bb.1051:                             ;   in Loop: Header=BB300_669 Depth=1
	s_delay_alu instid0(VALU_DEP_3) | instskip(NEXT) | instid1(VALU_DEP_1)
	v_clz_i32_u32_e32 v55, v55
	v_min_u32_e32 v55, 32, v55
	s_delay_alu instid0(VALU_DEP_1) | instskip(NEXT) | instid1(VALU_DEP_1)
	v_subrev_nc_u32_e32 v58, 28, v55
	v_lshlrev_b64_e32 v[59:60], v58, v[1:2]
	v_sub_nc_u32_e32 v58, 29, v55
	s_delay_alu instid0(VALU_DEP_2)
	v_and_b32_e32 v55, 7, v59
; %bb.1052:                             ;   in Loop: Header=BB300_669 Depth=1
	s_wait_alu 0xfffe
	s_or_b32 exec_lo, exec_lo, s14
	v_lshlrev_b32_e32 v1, 8, v1
	v_lshl_add_u32 v58, v58, 10, 0x2000
	v_lshlrev_b32_e32 v55, 7, v55
	s_delay_alu instid0(VALU_DEP_3) | instskip(NEXT) | instid1(VALU_DEP_3)
	v_and_b32_e32 v1, 0x8000, v1
	v_and_b32_e32 v58, 0xfc00, v58
	s_delay_alu instid0(VALU_DEP_1)
	v_or3_b32 v55, v1, v58, v55
.LBB300_1053:                           ;   in Loop: Header=BB300_669 Depth=1
	s_or_b32 exec_lo, exec_lo, s13
.LBB300_1054:                           ;   in Loop: Header=BB300_669 Depth=1
	s_wait_alu 0xfffe
	s_or_b32 exec_lo, exec_lo, s7
.LBB300_1055:                           ;   in Loop: Header=BB300_669 Depth=1
	s_wait_alu 0xfffe
	s_or_b32 exec_lo, exec_lo, s6
	v_cmp_lt_u64_e64 s0, s[2:3], v[9:10]
	v_mov_b32_e32 v9, 0
	s_and_saveexec_b32 s6, s0
	s_cbranch_execz .LBB300_1063
; %bb.1056:                             ;   in Loop: Header=BB300_669 Depth=1
	v_lshrrev_b32_e32 v1, 24, v10
	v_bfrev_b32_e32 v9, 1
	s_mov_b32 s7, exec_lo
	s_delay_alu instid0(VALU_DEP_2)
	v_cmpx_ne_u32_e32 0x80, v1
	s_cbranch_execz .LBB300_1062
; %bb.1057:                             ;   in Loop: Header=BB300_669 Depth=1
	v_and_b32_e32 v58, 0x7f, v1
	v_mov_b32_e32 v9, 0x7c010000
	s_mov_b32 s13, exec_lo
	s_delay_alu instid0(VALU_DEP_2)
	v_cmpx_ne_u32_e32 0x7f, v58
	s_cbranch_execz .LBB300_1061
; %bb.1058:                             ;   in Loop: Header=BB300_669 Depth=1
	v_and_b32_e32 v9, 7, v1
	v_lshrrev_b32_e32 v10, 3, v58
	s_mov_b32 s14, exec_lo
	v_cmpx_gt_u32_e32 8, v58
; %bb.1059:                             ;   in Loop: Header=BB300_669 Depth=1
	s_delay_alu instid0(VALU_DEP_3) | instskip(NEXT) | instid1(VALU_DEP_1)
	v_clz_i32_u32_e32 v9, v9
	v_min_u32_e32 v58, 32, v9
	s_delay_alu instid0(VALU_DEP_1) | instskip(NEXT) | instid1(VALU_DEP_1)
	v_subrev_nc_u32_e32 v9, 28, v58
	v_lshlrev_b64_e32 v[9:10], v9, v[1:2]
	v_sub_nc_u32_e32 v10, 29, v58
	s_delay_alu instid0(VALU_DEP_2)
	v_and_b32_e32 v9, 7, v9
; %bb.1060:                             ;   in Loop: Header=BB300_669 Depth=1
	s_wait_alu 0xfffe
	s_or_b32 exec_lo, exec_lo, s14
	v_lshlrev_b32_e32 v1, 8, v1
	v_lshl_add_u32 v10, v10, 10, 0x2000
	v_lshlrev_b32_e32 v9, 23, v9
	s_delay_alu instid0(VALU_DEP_2) | instskip(NEXT) | instid1(VALU_DEP_1)
	v_and_or_b32 v1, 0x8000, v1, v10
	v_lshl_or_b32 v9, v1, 16, v9
.LBB300_1061:                           ;   in Loop: Header=BB300_669 Depth=1
	s_or_b32 exec_lo, exec_lo, s13
.LBB300_1062:                           ;   in Loop: Header=BB300_669 Depth=1
	s_wait_alu 0xfffe
	s_or_b32 exec_lo, exec_lo, s7
.LBB300_1063:                           ;   in Loop: Header=BB300_669 Depth=1
	s_wait_alu 0xfffe
	s_or_b32 exec_lo, exec_lo, s6
	v_or_b32_e32 v1, v53, v54
	s_wait_loadcnt 0x0
	v_fma_mixlo_f16 v10, v50, v53, 0 op_sel:[0,1,0] op_sel_hi:[0,1,0]
	v_or_b32_e32 v53, v51, v52
	v_fma_mixlo_f16 v51, v50, v51, 0 op_sel:[0,1,0] op_sel_hi:[0,1,0]
	v_or_b32_e32 v54, v57, v56
	v_or_b32_e32 v55, v9, v55
	v_fma_mixlo_f16 v56, v50, v1, 0 op_sel_hi:[0,1,0]
	v_fma_mixlo_f16 v9, v50, v9, 0 op_sel:[0,1,0] op_sel_hi:[0,1,0]
	v_lshlrev_b32_e32 v52, 16, v51
	v_fma_mixlo_f16 v51, v50, v53, 0 op_sel_hi:[0,1,0]
	v_fma_mixlo_f16 v53, v50, v57, 0 op_sel:[0,1,0] op_sel_hi:[0,1,0]
	v_fma_mixlo_f16 v54, v50, v54, 0 op_sel_hi:[0,1,0]
	v_fma_mixlo_f16 v55, v50, v55, 0 op_sel_hi:[0,1,0]
	v_lshlrev_b32_e32 v1, 16, v10
	v_and_b32_e32 v10, 0xffff, v56
	v_and_b32_e32 v58, 0xffff, v51
	v_lshlrev_b32_e32 v50, 16, v53
	v_and_b32_e32 v54, 0xffff, v54
	v_lshlrev_b32_e32 v9, 16, v9
	v_and_b32_e32 v51, 0xffff, v55
	v_or_b32_e32 v53, v1, v10
	v_or_b32_e32 v57, v52, v58
	;; [unrolled: 1-line block ×3, first 2 shown]
	s_delay_alu instid0(VALU_DEP_4)
	v_or_b32_e32 v55, v9, v51
	s_and_saveexec_b32 s6, vcc_lo
	s_cbranch_execz .LBB300_1065
; %bb.1064:                             ;   in Loop: Header=BB300_669 Depth=1
	v_cmp_gt_i32_e64 s0, s27, v14
	s_wait_alu 0xf1ff
	s_delay_alu instid0(VALU_DEP_1) | instskip(SKIP_2) | instid1(VALU_DEP_1)
	v_cndmask_b32_e64 v53, 0, v58, s0
	v_cmp_gt_i32_e64 s0, s27, v38
	s_wait_alu 0xf1ff
	v_cndmask_b32_e64 v52, 0, v52, s0
	v_cmp_gt_i32_e64 s0, s27, v35
	s_delay_alu instid0(VALU_DEP_2) | instskip(SKIP_1) | instid1(VALU_DEP_2)
	v_or_b32_e32 v57, v52, v53
	s_wait_alu 0xf1ff
	v_cndmask_b32_e64 v10, 0, v10, s0
	v_cmp_gt_i32_e64 s0, s27, v33
	s_wait_alu 0xf1ff
	s_delay_alu instid0(VALU_DEP_1) | instskip(SKIP_1) | instid1(VALU_DEP_2)
	v_cndmask_b32_e64 v1, 0, v1, s0
	v_cmp_gt_i32_e64 s0, s27, v32
	v_or_b32_e32 v53, v1, v10
	s_wait_alu 0xf1ff
	s_delay_alu instid0(VALU_DEP_2) | instskip(SKIP_2) | instid1(VALU_DEP_1)
	v_cndmask_b32_e64 v54, 0, v54, s0
	v_cmp_gt_i32_e64 s0, s27, v31
	s_wait_alu 0xf1ff
	v_cndmask_b32_e64 v50, 0, v50, s0
	v_cmp_gt_i32_e64 s0, s27, v30
	s_delay_alu instid0(VALU_DEP_2) | instskip(SKIP_1) | instid1(VALU_DEP_2)
	v_or_b32_e32 v56, v50, v54
	s_wait_alu 0xf1ff
	v_cndmask_b32_e64 v51, 0, v51, s0
	v_cmp_gt_i32_e64 s0, s27, v28
	s_wait_alu 0xf1ff
	s_delay_alu instid0(VALU_DEP_1) | instskip(NEXT) | instid1(VALU_DEP_1)
	v_cndmask_b32_e64 v9, 0, v9, s0
	v_or_b32_e32 v55, v9, v51
.LBB300_1065:                           ;   in Loop: Header=BB300_669 Depth=1
	s_wait_alu 0xfffe
	s_or_b32 exec_lo, exec_lo, s6
	;;#ASMSTART
	v_pk_mul_f16 v1, v40, v57;

	;;#ASMEND
	;;#ASMSTART
	v_pk_mul_f16 v9, v37, v53;

	;;#ASMEND
	;; [unrolled: 4-line block ×4, first 2 shown]
	;;#ASMSTART
	v_pk_add_f16 v1, v1, v9;

	;;#ASMEND
	;;#ASMSTART
	v_pk_add_f16 v1, v1, v10;

	;;#ASMEND
	;;#ASMSTART
	v_pk_add_f16 v1, v1, v50;

	;;#ASMEND
	v_dual_mov_b32 v54, 0 :: v_dual_and_b32 v9, 0xffff, v1
	v_lshrrev_b32_e32 v1, 16, v1
	;;#ASMSTART
	v_cvt_f32_f16 v50, v9;
	;;#ASMEND
	;;#ASMSTART
	v_cvt_f32_f16 v51, v1;
	;;#ASMEND
	global_load_b64 v[9:10], v[7:8], off offset:1536
	v_mov_b32_e32 v53, 0
	s_mov_b32 s6, exec_lo
	global_load_b32 v52, v53, s[10:11]
	s_wait_loadcnt 0x1
	v_and_b32_e32 v1, 0xff, v9
	s_delay_alu instid0(VALU_DEP_1)
	v_cmpx_ne_u16_e32 0, v1
	s_cbranch_execz .LBB300_1073
; %bb.1066:                             ;   in Loop: Header=BB300_669 Depth=1
	v_mov_b32_e32 v54, 0x8000
	s_mov_b32 s7, exec_lo
	v_cmpx_ne_u16_e32 0x80, v1
	s_cbranch_execz .LBB300_1072
; %bb.1067:                             ;   in Loop: Header=BB300_669 Depth=1
	v_and_b32_e32 v55, 0x7f, v9
	v_mov_b32_e32 v54, 0x7c01
	s_mov_b32 s13, exec_lo
	s_delay_alu instid0(VALU_DEP_2)
	v_cmpx_ne_u32_e32 0x7f, v55
	s_cbranch_execz .LBB300_1071
; %bb.1068:                             ;   in Loop: Header=BB300_669 Depth=1
	v_and_b32_e32 v1, 7, v9
	v_lshrrev_b32_e32 v54, 3, v55
	s_mov_b32 s14, exec_lo
	v_cmpx_gt_u32_e32 8, v55
; %bb.1069:                             ;   in Loop: Header=BB300_669 Depth=1
	s_delay_alu instid0(VALU_DEP_3) | instskip(NEXT) | instid1(VALU_DEP_1)
	v_clz_i32_u32_e32 v1, v1
	v_min_u32_e32 v1, 32, v1
	s_delay_alu instid0(VALU_DEP_1) | instskip(NEXT) | instid1(VALU_DEP_1)
	v_subrev_nc_u32_e32 v54, 28, v1
	v_lshlrev_b64_e32 v[55:56], v54, v[9:10]
	v_sub_nc_u32_e32 v54, 29, v1
	s_delay_alu instid0(VALU_DEP_2)
	v_and_b32_e32 v1, 7, v55
; %bb.1070:                             ;   in Loop: Header=BB300_669 Depth=1
	s_wait_alu 0xfffe
	s_or_b32 exec_lo, exec_lo, s14
	v_lshlrev_b32_e32 v55, 8, v9
	v_lshl_add_u32 v54, v54, 10, 0x2000
	v_lshlrev_b32_e32 v1, 7, v1
	s_delay_alu instid0(VALU_DEP_3) | instskip(NEXT) | instid1(VALU_DEP_3)
	v_and_b32_e32 v55, 0x8000, v55
	v_and_b32_e32 v54, 0xfc00, v54
	s_delay_alu instid0(VALU_DEP_1)
	v_or3_b32 v54, v55, v54, v1
.LBB300_1071:                           ;   in Loop: Header=BB300_669 Depth=1
	s_or_b32 exec_lo, exec_lo, s13
.LBB300_1072:                           ;   in Loop: Header=BB300_669 Depth=1
	s_wait_alu 0xfffe
	s_or_b32 exec_lo, exec_lo, s7
.LBB300_1073:                           ;   in Loop: Header=BB300_669 Depth=1
	s_wait_alu 0xfffe
	s_or_b32 exec_lo, exec_lo, s6
	v_lshrrev_b16 v1, 8, v9
	s_mov_b32 s6, exec_lo
	s_delay_alu instid0(VALU_DEP_1)
	v_cmpx_ne_u16_e32 0, v1
	s_cbranch_execz .LBB300_1081
; %bb.1074:                             ;   in Loop: Header=BB300_669 Depth=1
	v_bfrev_b32_e32 v53, 1
	s_mov_b32 s7, exec_lo
	v_cmpx_ne_u16_e32 0x80, v1
	s_cbranch_execz .LBB300_1080
; %bb.1075:                             ;   in Loop: Header=BB300_669 Depth=1
	v_and_b32_e32 v55, 0xffff, v1
	v_mov_b32_e32 v53, 0x7c010000
	s_mov_b32 s13, exec_lo
	s_delay_alu instid0(VALU_DEP_2) | instskip(NEXT) | instid1(VALU_DEP_1)
	v_and_b32_e32 v57, 0x7f, v55
	v_cmpx_ne_u32_e32 0x7f, v57
	s_cbranch_execz .LBB300_1079
; %bb.1076:                             ;   in Loop: Header=BB300_669 Depth=1
	v_and_b32_e32 v53, 7, v55
	v_lshrrev_b32_e32 v56, 3, v57
	s_mov_b32 s14, exec_lo
	v_cmpx_gt_u32_e32 8, v57
; %bb.1077:                             ;   in Loop: Header=BB300_669 Depth=1
	s_delay_alu instid0(VALU_DEP_3) | instskip(NEXT) | instid1(VALU_DEP_1)
	v_clz_i32_u32_e32 v53, v53
	v_min_u32_e32 v53, 32, v53
	s_delay_alu instid0(VALU_DEP_1) | instskip(NEXT) | instid1(VALU_DEP_1)
	v_subrev_nc_u32_e32 v56, 28, v53
	v_lshlrev_b64_e32 v[57:58], v56, v[1:2]
	v_sub_nc_u32_e32 v56, 29, v53
	s_delay_alu instid0(VALU_DEP_2)
	v_and_b32_e32 v53, 7, v57
; %bb.1078:                             ;   in Loop: Header=BB300_669 Depth=1
	s_wait_alu 0xfffe
	s_or_b32 exec_lo, exec_lo, s14
	v_lshlrev_b32_e32 v1, 8, v55
	v_lshl_add_u32 v55, v56, 10, 0x2000
	v_lshlrev_b32_e32 v53, 23, v53
	s_delay_alu instid0(VALU_DEP_2) | instskip(NEXT) | instid1(VALU_DEP_1)
	v_and_or_b32 v1, 0x8000, v1, v55
	v_lshl_or_b32 v53, v1, 16, v53
.LBB300_1079:                           ;   in Loop: Header=BB300_669 Depth=1
	s_or_b32 exec_lo, exec_lo, s13
.LBB300_1080:                           ;   in Loop: Header=BB300_669 Depth=1
	s_wait_alu 0xfffe
	s_or_b32 exec_lo, exec_lo, s7
.LBB300_1081:                           ;   in Loop: Header=BB300_669 Depth=1
	s_wait_alu 0xfffe
	s_or_b32 exec_lo, exec_lo, s6
	v_lshrrev_b32_e32 v1, 16, v9
	v_mov_b32_e32 v55, 0
	s_mov_b32 s6, exec_lo
	s_delay_alu instid0(VALU_DEP_2) | instskip(NEXT) | instid1(VALU_DEP_1)
	v_dual_mov_b32 v56, 0 :: v_dual_and_b32 v57, 0xff, v1
	v_cmpx_ne_u16_e32 0, v57
	s_cbranch_execz .LBB300_1089
; %bb.1082:                             ;   in Loop: Header=BB300_669 Depth=1
	v_mov_b32_e32 v56, 0x8000
	s_mov_b32 s7, exec_lo
	v_cmpx_ne_u16_e32 0x80, v57
	s_cbranch_execz .LBB300_1088
; %bb.1083:                             ;   in Loop: Header=BB300_669 Depth=1
	v_bfe_u32 v58, v9, 16, 7
	v_mov_b32_e32 v56, 0x7c01
	s_mov_b32 s13, exec_lo
	s_delay_alu instid0(VALU_DEP_2)
	v_cmpx_ne_u32_e32 0x7f, v58
	s_cbranch_execz .LBB300_1087
; %bb.1084:                             ;   in Loop: Header=BB300_669 Depth=1
	v_and_b32_e32 v56, 7, v1
	v_lshrrev_b32_e32 v57, 3, v58
	s_mov_b32 s14, exec_lo
	v_cmpx_gt_u32_e32 8, v58
; %bb.1085:                             ;   in Loop: Header=BB300_669 Depth=1
	s_delay_alu instid0(VALU_DEP_3) | instskip(NEXT) | instid1(VALU_DEP_1)
	v_clz_i32_u32_e32 v56, v56
	v_min_u32_e32 v58, 32, v56
	s_delay_alu instid0(VALU_DEP_1) | instskip(NEXT) | instid1(VALU_DEP_1)
	v_subrev_nc_u32_e32 v56, 28, v58
	v_lshlrev_b64_e32 v[56:57], v56, v[1:2]
	v_sub_nc_u32_e32 v57, 29, v58
	s_delay_alu instid0(VALU_DEP_2)
	v_and_b32_e32 v56, 7, v56
; %bb.1086:                             ;   in Loop: Header=BB300_669 Depth=1
	s_wait_alu 0xfffe
	s_or_b32 exec_lo, exec_lo, s14
	v_lshlrev_b32_e32 v1, 8, v1
	v_lshl_add_u32 v57, v57, 10, 0x2000
	v_lshlrev_b32_e32 v56, 7, v56
	s_delay_alu instid0(VALU_DEP_3) | instskip(NEXT) | instid1(VALU_DEP_3)
	v_and_b32_e32 v1, 0x8000, v1
	v_and_b32_e32 v57, 0xfc00, v57
	s_delay_alu instid0(VALU_DEP_1)
	v_or3_b32 v56, v1, v57, v56
.LBB300_1087:                           ;   in Loop: Header=BB300_669 Depth=1
	s_or_b32 exec_lo, exec_lo, s13
.LBB300_1088:                           ;   in Loop: Header=BB300_669 Depth=1
	s_wait_alu 0xfffe
	s_or_b32 exec_lo, exec_lo, s7
.LBB300_1089:                           ;   in Loop: Header=BB300_669 Depth=1
	s_wait_alu 0xfffe
	s_or_b32 exec_lo, exec_lo, s6
	s_delay_alu instid0(SALU_CYCLE_1)
	s_mov_b32 s6, exec_lo
	v_cmpx_lt_u32_e32 0xffffff, v9
	s_cbranch_execz .LBB300_1097
; %bb.1090:                             ;   in Loop: Header=BB300_669 Depth=1
	v_lshrrev_b32_e32 v1, 24, v9
	v_bfrev_b32_e32 v55, 1
	s_mov_b32 s7, exec_lo
	s_delay_alu instid0(VALU_DEP_2)
	v_cmpx_ne_u32_e32 0x80, v1
	s_cbranch_execz .LBB300_1096
; %bb.1091:                             ;   in Loop: Header=BB300_669 Depth=1
	v_and_b32_e32 v58, 0x7f, v1
	v_mov_b32_e32 v55, 0x7c010000
	s_mov_b32 s13, exec_lo
	s_delay_alu instid0(VALU_DEP_2)
	v_cmpx_ne_u32_e32 0x7f, v58
	s_cbranch_execz .LBB300_1095
; %bb.1092:                             ;   in Loop: Header=BB300_669 Depth=1
	v_and_b32_e32 v55, 7, v1
	v_lshrrev_b32_e32 v57, 3, v58
	s_mov_b32 s14, exec_lo
	v_cmpx_gt_u32_e32 8, v58
; %bb.1093:                             ;   in Loop: Header=BB300_669 Depth=1
	s_delay_alu instid0(VALU_DEP_3) | instskip(NEXT) | instid1(VALU_DEP_1)
	v_clz_i32_u32_e32 v55, v55
	v_min_u32_e32 v55, 32, v55
	s_delay_alu instid0(VALU_DEP_1) | instskip(NEXT) | instid1(VALU_DEP_1)
	v_subrev_nc_u32_e32 v57, 28, v55
	v_lshlrev_b64_e32 v[58:59], v57, v[1:2]
	v_sub_nc_u32_e32 v57, 29, v55
	s_delay_alu instid0(VALU_DEP_2)
	v_and_b32_e32 v55, 7, v58
; %bb.1094:                             ;   in Loop: Header=BB300_669 Depth=1
	s_wait_alu 0xfffe
	s_or_b32 exec_lo, exec_lo, s14
	v_lshlrev_b32_e32 v1, 8, v1
	v_lshl_add_u32 v57, v57, 10, 0x2000
	v_lshlrev_b32_e32 v55, 23, v55
	s_delay_alu instid0(VALU_DEP_2) | instskip(NEXT) | instid1(VALU_DEP_1)
	v_and_or_b32 v1, 0x8000, v1, v57
	v_lshl_or_b32 v55, v1, 16, v55
.LBB300_1095:                           ;   in Loop: Header=BB300_669 Depth=1
	s_or_b32 exec_lo, exec_lo, s13
.LBB300_1096:                           ;   in Loop: Header=BB300_669 Depth=1
	s_wait_alu 0xfffe
	s_or_b32 exec_lo, exec_lo, s7
.LBB300_1097:                           ;   in Loop: Header=BB300_669 Depth=1
	s_wait_alu 0xfffe
	s_or_b32 exec_lo, exec_lo, s6
	v_dual_mov_b32 v58, 0 :: v_dual_and_b32 v59, 0xff, v10
	v_mov_b32_e32 v1, v10
	v_mov_b32_e32 v57, 0
	s_mov_b32 s6, exec_lo
	s_delay_alu instid0(VALU_DEP_3)
	v_cmpx_ne_u16_e32 0, v59
	s_cbranch_execz .LBB300_1105
; %bb.1098:                             ;   in Loop: Header=BB300_669 Depth=1
	v_mov_b32_e32 v58, 0x8000
	s_mov_b32 s7, exec_lo
	v_cmpx_ne_u16_e32 0x80, v59
	s_cbranch_execz .LBB300_1104
; %bb.1099:                             ;   in Loop: Header=BB300_669 Depth=1
	v_and_b32_e32 v60, 0x7f, v10
	v_mov_b32_e32 v58, 0x7c01
	s_mov_b32 s13, exec_lo
	s_delay_alu instid0(VALU_DEP_2)
	v_cmpx_ne_u32_e32 0x7f, v60
	s_cbranch_execz .LBB300_1103
; %bb.1100:                             ;   in Loop: Header=BB300_669 Depth=1
	v_and_b32_e32 v58, 7, v10
	v_lshrrev_b32_e32 v59, 3, v60
	s_mov_b32 s14, exec_lo
	v_cmpx_gt_u32_e32 8, v60
; %bb.1101:                             ;   in Loop: Header=BB300_669 Depth=1
	s_delay_alu instid0(VALU_DEP_3) | instskip(NEXT) | instid1(VALU_DEP_1)
	v_clz_i32_u32_e32 v58, v58
	v_min_u32_e32 v60, 32, v58
	s_delay_alu instid0(VALU_DEP_1) | instskip(NEXT) | instid1(VALU_DEP_1)
	v_subrev_nc_u32_e32 v58, 28, v60
	v_lshlrev_b64_e32 v[58:59], v58, v[1:2]
	v_sub_nc_u32_e32 v59, 29, v60
	s_delay_alu instid0(VALU_DEP_2)
	v_and_b32_e32 v58, 7, v58
; %bb.1102:                             ;   in Loop: Header=BB300_669 Depth=1
	s_wait_alu 0xfffe
	s_or_b32 exec_lo, exec_lo, s14
	v_lshlrev_b32_e32 v60, 8, v10
	v_lshl_add_u32 v59, v59, 10, 0x2000
	v_lshlrev_b32_e32 v58, 7, v58
	s_delay_alu instid0(VALU_DEP_3) | instskip(NEXT) | instid1(VALU_DEP_3)
	v_and_b32_e32 v60, 0x8000, v60
	v_and_b32_e32 v59, 0xfc00, v59
	s_delay_alu instid0(VALU_DEP_1)
	v_or3_b32 v58, v60, v59, v58
.LBB300_1103:                           ;   in Loop: Header=BB300_669 Depth=1
	s_or_b32 exec_lo, exec_lo, s13
.LBB300_1104:                           ;   in Loop: Header=BB300_669 Depth=1
	s_wait_alu 0xfffe
	s_or_b32 exec_lo, exec_lo, s7
.LBB300_1105:                           ;   in Loop: Header=BB300_669 Depth=1
	s_wait_alu 0xfffe
	s_or_b32 exec_lo, exec_lo, s6
	v_lshrrev_b16 v1, 8, v1
	v_mov_b32_e32 v59, 0
	s_mov_b32 s6, exec_lo
	s_delay_alu instid0(VALU_DEP_2)
	v_cmpx_ne_u16_e32 0, v1
	s_cbranch_execz .LBB300_1113
; %bb.1106:                             ;   in Loop: Header=BB300_669 Depth=1
	v_bfrev_b32_e32 v59, 1
	s_mov_b32 s7, exec_lo
	v_cmpx_ne_u16_e32 0x80, v1
	s_cbranch_execz .LBB300_1112
; %bb.1107:                             ;   in Loop: Header=BB300_669 Depth=1
	v_and_b32_e32 v60, 0xffff, v1
	v_mov_b32_e32 v59, 0x7c010000
	s_mov_b32 s13, exec_lo
	s_delay_alu instid0(VALU_DEP_2) | instskip(NEXT) | instid1(VALU_DEP_1)
	v_and_b32_e32 v62, 0x7f, v60
	v_cmpx_ne_u32_e32 0x7f, v62
	s_cbranch_execz .LBB300_1111
; %bb.1108:                             ;   in Loop: Header=BB300_669 Depth=1
	v_and_b32_e32 v59, 7, v60
	v_lshrrev_b32_e32 v61, 3, v62
	s_mov_b32 s14, exec_lo
	v_cmpx_gt_u32_e32 8, v62
; %bb.1109:                             ;   in Loop: Header=BB300_669 Depth=1
	s_delay_alu instid0(VALU_DEP_3) | instskip(NEXT) | instid1(VALU_DEP_1)
	v_clz_i32_u32_e32 v59, v59
	v_min_u32_e32 v59, 32, v59
	s_delay_alu instid0(VALU_DEP_1) | instskip(NEXT) | instid1(VALU_DEP_1)
	v_subrev_nc_u32_e32 v61, 28, v59
	v_lshlrev_b64_e32 v[62:63], v61, v[1:2]
	v_sub_nc_u32_e32 v61, 29, v59
	s_delay_alu instid0(VALU_DEP_2)
	v_and_b32_e32 v59, 7, v62
; %bb.1110:                             ;   in Loop: Header=BB300_669 Depth=1
	s_wait_alu 0xfffe
	s_or_b32 exec_lo, exec_lo, s14
	v_lshlrev_b32_e32 v1, 8, v60
	v_lshl_add_u32 v60, v61, 10, 0x2000
	v_lshlrev_b32_e32 v59, 23, v59
	s_delay_alu instid0(VALU_DEP_2) | instskip(NEXT) | instid1(VALU_DEP_1)
	v_and_or_b32 v1, 0x8000, v1, v60
	v_lshl_or_b32 v59, v1, 16, v59
.LBB300_1111:                           ;   in Loop: Header=BB300_669 Depth=1
	s_or_b32 exec_lo, exec_lo, s13
.LBB300_1112:                           ;   in Loop: Header=BB300_669 Depth=1
	s_wait_alu 0xfffe
	s_or_b32 exec_lo, exec_lo, s7
.LBB300_1113:                           ;   in Loop: Header=BB300_669 Depth=1
	s_wait_alu 0xfffe
	s_or_b32 exec_lo, exec_lo, s6
	v_lshrrev_b32_e32 v1, 16, v10
	s_mov_b32 s6, exec_lo
	s_delay_alu instid0(VALU_DEP_1) | instskip(NEXT) | instid1(VALU_DEP_1)
	v_and_b32_e32 v60, 0xff, v1
	v_cmpx_ne_u16_e32 0, v60
	s_cbranch_execz .LBB300_1121
; %bb.1114:                             ;   in Loop: Header=BB300_669 Depth=1
	v_mov_b32_e32 v57, 0x8000
	s_mov_b32 s7, exec_lo
	v_cmpx_ne_u16_e32 0x80, v60
	s_cbranch_execz .LBB300_1120
; %bb.1115:                             ;   in Loop: Header=BB300_669 Depth=1
	v_bfe_u32 v61, v10, 16, 7
	v_mov_b32_e32 v57, 0x7c01
	s_mov_b32 s13, exec_lo
	s_delay_alu instid0(VALU_DEP_2)
	v_cmpx_ne_u32_e32 0x7f, v61
	s_cbranch_execz .LBB300_1119
; %bb.1116:                             ;   in Loop: Header=BB300_669 Depth=1
	v_and_b32_e32 v57, 7, v1
	v_lshrrev_b32_e32 v60, 3, v61
	s_mov_b32 s14, exec_lo
	v_cmpx_gt_u32_e32 8, v61
; %bb.1117:                             ;   in Loop: Header=BB300_669 Depth=1
	s_delay_alu instid0(VALU_DEP_3) | instskip(NEXT) | instid1(VALU_DEP_1)
	v_clz_i32_u32_e32 v57, v57
	v_min_u32_e32 v57, 32, v57
	s_delay_alu instid0(VALU_DEP_1) | instskip(NEXT) | instid1(VALU_DEP_1)
	v_subrev_nc_u32_e32 v60, 28, v57
	v_lshlrev_b64_e32 v[61:62], v60, v[1:2]
	v_sub_nc_u32_e32 v60, 29, v57
	s_delay_alu instid0(VALU_DEP_2)
	v_and_b32_e32 v57, 7, v61
; %bb.1118:                             ;   in Loop: Header=BB300_669 Depth=1
	s_wait_alu 0xfffe
	s_or_b32 exec_lo, exec_lo, s14
	v_lshlrev_b32_e32 v1, 8, v1
	v_lshl_add_u32 v60, v60, 10, 0x2000
	v_lshlrev_b32_e32 v57, 7, v57
	s_delay_alu instid0(VALU_DEP_3) | instskip(NEXT) | instid1(VALU_DEP_3)
	v_and_b32_e32 v1, 0x8000, v1
	v_and_b32_e32 v60, 0xfc00, v60
	s_delay_alu instid0(VALU_DEP_1)
	v_or3_b32 v57, v1, v60, v57
.LBB300_1119:                           ;   in Loop: Header=BB300_669 Depth=1
	s_or_b32 exec_lo, exec_lo, s13
.LBB300_1120:                           ;   in Loop: Header=BB300_669 Depth=1
	s_wait_alu 0xfffe
	s_or_b32 exec_lo, exec_lo, s7
.LBB300_1121:                           ;   in Loop: Header=BB300_669 Depth=1
	s_wait_alu 0xfffe
	s_or_b32 exec_lo, exec_lo, s6
	v_cmp_lt_u64_e64 s0, s[2:3], v[9:10]
	v_mov_b32_e32 v9, 0
	s_and_saveexec_b32 s6, s0
	s_cbranch_execz .LBB300_1129
; %bb.1122:                             ;   in Loop: Header=BB300_669 Depth=1
	v_lshrrev_b32_e32 v1, 24, v10
	v_bfrev_b32_e32 v9, 1
	s_mov_b32 s7, exec_lo
	s_delay_alu instid0(VALU_DEP_2)
	v_cmpx_ne_u32_e32 0x80, v1
	s_cbranch_execz .LBB300_1128
; %bb.1123:                             ;   in Loop: Header=BB300_669 Depth=1
	v_and_b32_e32 v60, 0x7f, v1
	v_mov_b32_e32 v9, 0x7c010000
	s_mov_b32 s13, exec_lo
	s_delay_alu instid0(VALU_DEP_2)
	v_cmpx_ne_u32_e32 0x7f, v60
	s_cbranch_execz .LBB300_1127
; %bb.1124:                             ;   in Loop: Header=BB300_669 Depth=1
	v_and_b32_e32 v9, 7, v1
	v_lshrrev_b32_e32 v10, 3, v60
	s_mov_b32 s14, exec_lo
	v_cmpx_gt_u32_e32 8, v60
; %bb.1125:                             ;   in Loop: Header=BB300_669 Depth=1
	s_delay_alu instid0(VALU_DEP_3) | instskip(NEXT) | instid1(VALU_DEP_1)
	v_clz_i32_u32_e32 v9, v9
	v_min_u32_e32 v60, 32, v9
	s_delay_alu instid0(VALU_DEP_1) | instskip(NEXT) | instid1(VALU_DEP_1)
	v_subrev_nc_u32_e32 v9, 28, v60
	v_lshlrev_b64_e32 v[9:10], v9, v[1:2]
	v_sub_nc_u32_e32 v10, 29, v60
	s_delay_alu instid0(VALU_DEP_2)
	v_and_b32_e32 v9, 7, v9
; %bb.1126:                             ;   in Loop: Header=BB300_669 Depth=1
	s_wait_alu 0xfffe
	s_or_b32 exec_lo, exec_lo, s14
	v_lshlrev_b32_e32 v1, 8, v1
	v_lshl_add_u32 v10, v10, 10, 0x2000
	v_lshlrev_b32_e32 v9, 23, v9
	s_delay_alu instid0(VALU_DEP_2) | instskip(NEXT) | instid1(VALU_DEP_1)
	v_and_or_b32 v1, 0x8000, v1, v10
	v_lshl_or_b32 v9, v1, 16, v9
.LBB300_1127:                           ;   in Loop: Header=BB300_669 Depth=1
	s_or_b32 exec_lo, exec_lo, s13
.LBB300_1128:                           ;   in Loop: Header=BB300_669 Depth=1
	s_wait_alu 0xfffe
	s_or_b32 exec_lo, exec_lo, s7
.LBB300_1129:                           ;   in Loop: Header=BB300_669 Depth=1
	s_wait_alu 0xfffe
	s_or_b32 exec_lo, exec_lo, s6
	v_or_b32_e32 v1, v55, v56
	s_wait_loadcnt 0x0
	v_fma_mixlo_f16 v10, v52, v55, 0 op_sel:[0,1,0] op_sel_hi:[0,1,0]
	v_or_b32_e32 v55, v53, v54
	v_fma_mixlo_f16 v53, v52, v53, 0 op_sel:[0,1,0] op_sel_hi:[0,1,0]
	v_or_b32_e32 v56, v59, v58
	v_or_b32_e32 v57, v9, v57
	v_fma_mixlo_f16 v58, v52, v1, 0 op_sel_hi:[0,1,0]
	v_fma_mixlo_f16 v9, v52, v9, 0 op_sel:[0,1,0] op_sel_hi:[0,1,0]
	v_lshlrev_b32_e32 v54, 16, v53
	v_fma_mixlo_f16 v53, v52, v55, 0 op_sel_hi:[0,1,0]
	v_fma_mixlo_f16 v55, v52, v59, 0 op_sel:[0,1,0] op_sel_hi:[0,1,0]
	v_fma_mixlo_f16 v56, v52, v56, 0 op_sel_hi:[0,1,0]
	v_fma_mixlo_f16 v57, v52, v57, 0 op_sel_hi:[0,1,0]
	v_lshlrev_b32_e32 v1, 16, v10
	v_and_b32_e32 v10, 0xffff, v58
	v_and_b32_e32 v60, 0xffff, v53
	v_lshlrev_b32_e32 v52, 16, v55
	v_and_b32_e32 v56, 0xffff, v56
	v_lshlrev_b32_e32 v9, 16, v9
	v_and_b32_e32 v53, 0xffff, v57
	v_or_b32_e32 v55, v1, v10
	v_or_b32_e32 v59, v54, v60
	;; [unrolled: 1-line block ×3, first 2 shown]
	s_delay_alu instid0(VALU_DEP_4)
	v_or_b32_e32 v57, v9, v53
	s_and_saveexec_b32 s6, vcc_lo
	s_cbranch_execz .LBB300_1131
; %bb.1130:                             ;   in Loop: Header=BB300_669 Depth=1
	v_cmp_gt_i32_e64 s0, s27, v14
	s_wait_alu 0xf1ff
	s_delay_alu instid0(VALU_DEP_1) | instskip(SKIP_2) | instid1(VALU_DEP_1)
	v_cndmask_b32_e64 v55, 0, v60, s0
	v_cmp_gt_i32_e64 s0, s27, v38
	s_wait_alu 0xf1ff
	v_cndmask_b32_e64 v54, 0, v54, s0
	v_cmp_gt_i32_e64 s0, s27, v35
	s_delay_alu instid0(VALU_DEP_2) | instskip(SKIP_1) | instid1(VALU_DEP_2)
	v_or_b32_e32 v59, v54, v55
	s_wait_alu 0xf1ff
	v_cndmask_b32_e64 v10, 0, v10, s0
	v_cmp_gt_i32_e64 s0, s27, v33
	s_wait_alu 0xf1ff
	s_delay_alu instid0(VALU_DEP_1) | instskip(SKIP_1) | instid1(VALU_DEP_2)
	v_cndmask_b32_e64 v1, 0, v1, s0
	v_cmp_gt_i32_e64 s0, s27, v32
	v_or_b32_e32 v55, v1, v10
	s_wait_alu 0xf1ff
	s_delay_alu instid0(VALU_DEP_2) | instskip(SKIP_2) | instid1(VALU_DEP_1)
	v_cndmask_b32_e64 v56, 0, v56, s0
	v_cmp_gt_i32_e64 s0, s27, v31
	s_wait_alu 0xf1ff
	v_cndmask_b32_e64 v52, 0, v52, s0
	v_cmp_gt_i32_e64 s0, s27, v30
	s_delay_alu instid0(VALU_DEP_2) | instskip(SKIP_1) | instid1(VALU_DEP_2)
	v_or_b32_e32 v58, v52, v56
	s_wait_alu 0xf1ff
	v_cndmask_b32_e64 v53, 0, v53, s0
	v_cmp_gt_i32_e64 s0, s27, v28
	s_wait_alu 0xf1ff
	s_delay_alu instid0(VALU_DEP_1) | instskip(NEXT) | instid1(VALU_DEP_1)
	v_cndmask_b32_e64 v9, 0, v9, s0
	v_or_b32_e32 v57, v9, v53
.LBB300_1131:                           ;   in Loop: Header=BB300_669 Depth=1
	s_wait_alu 0xfffe
	s_or_b32 exec_lo, exec_lo, s6
	;;#ASMSTART
	v_pk_mul_f16 v1, v40, v59;

	;;#ASMEND
	;;#ASMSTART
	v_pk_mul_f16 v9, v37, v55;

	;;#ASMEND
	;; [unrolled: 4-line block ×4, first 2 shown]
	;;#ASMSTART
	v_pk_add_f16 v1, v1, v9;

	;;#ASMEND
	;;#ASMSTART
	v_pk_add_f16 v1, v1, v10;

	;;#ASMEND
	;; [unrolled: 4-line block ×3, first 2 shown]
	v_dual_mov_b32 v56, 0 :: v_dual_and_b32 v9, 0xffff, v1
	v_lshrrev_b32_e32 v1, 16, v1
	;;#ASMSTART
	v_cvt_f32_f16 v52, v9;
	;;#ASMEND
	;;#ASMSTART
	v_cvt_f32_f16 v53, v1;
	;;#ASMEND
	global_load_b64 v[9:10], v[7:8], off offset:1792
	v_mov_b32_e32 v55, 0
	s_mov_b32 s6, exec_lo
	global_load_b32 v54, v55, s[10:11]
	s_wait_loadcnt 0x1
	v_and_b32_e32 v1, 0xff, v9
	s_delay_alu instid0(VALU_DEP_1)
	v_cmpx_ne_u16_e32 0, v1
	s_cbranch_execz .LBB300_1139
; %bb.1132:                             ;   in Loop: Header=BB300_669 Depth=1
	v_mov_b32_e32 v56, 0x8000
	s_mov_b32 s7, exec_lo
	v_cmpx_ne_u16_e32 0x80, v1
	s_cbranch_execz .LBB300_1138
; %bb.1133:                             ;   in Loop: Header=BB300_669 Depth=1
	v_and_b32_e32 v57, 0x7f, v9
	v_mov_b32_e32 v56, 0x7c01
	s_mov_b32 s13, exec_lo
	s_delay_alu instid0(VALU_DEP_2)
	v_cmpx_ne_u32_e32 0x7f, v57
	s_cbranch_execz .LBB300_1137
; %bb.1134:                             ;   in Loop: Header=BB300_669 Depth=1
	v_and_b32_e32 v1, 7, v9
	v_lshrrev_b32_e32 v56, 3, v57
	s_mov_b32 s14, exec_lo
	v_cmpx_gt_u32_e32 8, v57
; %bb.1135:                             ;   in Loop: Header=BB300_669 Depth=1
	s_delay_alu instid0(VALU_DEP_3) | instskip(NEXT) | instid1(VALU_DEP_1)
	v_clz_i32_u32_e32 v1, v1
	v_min_u32_e32 v1, 32, v1
	s_delay_alu instid0(VALU_DEP_1) | instskip(NEXT) | instid1(VALU_DEP_1)
	v_subrev_nc_u32_e32 v56, 28, v1
	v_lshlrev_b64_e32 v[57:58], v56, v[9:10]
	v_sub_nc_u32_e32 v56, 29, v1
	s_delay_alu instid0(VALU_DEP_2)
	v_and_b32_e32 v1, 7, v57
; %bb.1136:                             ;   in Loop: Header=BB300_669 Depth=1
	s_wait_alu 0xfffe
	s_or_b32 exec_lo, exec_lo, s14
	v_lshlrev_b32_e32 v57, 8, v9
	v_lshl_add_u32 v56, v56, 10, 0x2000
	v_lshlrev_b32_e32 v1, 7, v1
	s_delay_alu instid0(VALU_DEP_3) | instskip(NEXT) | instid1(VALU_DEP_3)
	v_and_b32_e32 v57, 0x8000, v57
	v_and_b32_e32 v56, 0xfc00, v56
	s_delay_alu instid0(VALU_DEP_1)
	v_or3_b32 v56, v57, v56, v1
.LBB300_1137:                           ;   in Loop: Header=BB300_669 Depth=1
	s_or_b32 exec_lo, exec_lo, s13
.LBB300_1138:                           ;   in Loop: Header=BB300_669 Depth=1
	s_wait_alu 0xfffe
	s_or_b32 exec_lo, exec_lo, s7
.LBB300_1139:                           ;   in Loop: Header=BB300_669 Depth=1
	s_wait_alu 0xfffe
	s_or_b32 exec_lo, exec_lo, s6
	v_lshrrev_b16 v1, 8, v9
	s_mov_b32 s6, exec_lo
	s_delay_alu instid0(VALU_DEP_1)
	v_cmpx_ne_u16_e32 0, v1
	s_cbranch_execz .LBB300_1147
; %bb.1140:                             ;   in Loop: Header=BB300_669 Depth=1
	v_bfrev_b32_e32 v55, 1
	s_mov_b32 s7, exec_lo
	v_cmpx_ne_u16_e32 0x80, v1
	s_cbranch_execz .LBB300_1146
; %bb.1141:                             ;   in Loop: Header=BB300_669 Depth=1
	v_and_b32_e32 v57, 0xffff, v1
	v_mov_b32_e32 v55, 0x7c010000
	s_mov_b32 s13, exec_lo
	s_delay_alu instid0(VALU_DEP_2) | instskip(NEXT) | instid1(VALU_DEP_1)
	v_and_b32_e32 v59, 0x7f, v57
	v_cmpx_ne_u32_e32 0x7f, v59
	s_cbranch_execz .LBB300_1145
; %bb.1142:                             ;   in Loop: Header=BB300_669 Depth=1
	v_and_b32_e32 v55, 7, v57
	v_lshrrev_b32_e32 v58, 3, v59
	s_mov_b32 s14, exec_lo
	v_cmpx_gt_u32_e32 8, v59
; %bb.1143:                             ;   in Loop: Header=BB300_669 Depth=1
	s_delay_alu instid0(VALU_DEP_3) | instskip(NEXT) | instid1(VALU_DEP_1)
	v_clz_i32_u32_e32 v55, v55
	v_min_u32_e32 v55, 32, v55
	s_delay_alu instid0(VALU_DEP_1) | instskip(NEXT) | instid1(VALU_DEP_1)
	v_subrev_nc_u32_e32 v58, 28, v55
	v_lshlrev_b64_e32 v[59:60], v58, v[1:2]
	v_sub_nc_u32_e32 v58, 29, v55
	s_delay_alu instid0(VALU_DEP_2)
	v_and_b32_e32 v55, 7, v59
; %bb.1144:                             ;   in Loop: Header=BB300_669 Depth=1
	s_wait_alu 0xfffe
	s_or_b32 exec_lo, exec_lo, s14
	v_lshlrev_b32_e32 v1, 8, v57
	v_lshl_add_u32 v57, v58, 10, 0x2000
	v_lshlrev_b32_e32 v55, 23, v55
	s_delay_alu instid0(VALU_DEP_2) | instskip(NEXT) | instid1(VALU_DEP_1)
	v_and_or_b32 v1, 0x8000, v1, v57
	v_lshl_or_b32 v55, v1, 16, v55
.LBB300_1145:                           ;   in Loop: Header=BB300_669 Depth=1
	s_or_b32 exec_lo, exec_lo, s13
.LBB300_1146:                           ;   in Loop: Header=BB300_669 Depth=1
	s_wait_alu 0xfffe
	s_or_b32 exec_lo, exec_lo, s7
.LBB300_1147:                           ;   in Loop: Header=BB300_669 Depth=1
	s_wait_alu 0xfffe
	s_or_b32 exec_lo, exec_lo, s6
	v_lshrrev_b32_e32 v1, 16, v9
	v_mov_b32_e32 v57, 0
	s_mov_b32 s6, exec_lo
	s_delay_alu instid0(VALU_DEP_2) | instskip(NEXT) | instid1(VALU_DEP_1)
	v_dual_mov_b32 v58, 0 :: v_dual_and_b32 v59, 0xff, v1
	v_cmpx_ne_u16_e32 0, v59
	s_cbranch_execz .LBB300_1155
; %bb.1148:                             ;   in Loop: Header=BB300_669 Depth=1
	v_mov_b32_e32 v58, 0x8000
	s_mov_b32 s7, exec_lo
	v_cmpx_ne_u16_e32 0x80, v59
	s_cbranch_execz .LBB300_1154
; %bb.1149:                             ;   in Loop: Header=BB300_669 Depth=1
	v_bfe_u32 v60, v9, 16, 7
	v_mov_b32_e32 v58, 0x7c01
	s_mov_b32 s13, exec_lo
	s_delay_alu instid0(VALU_DEP_2)
	v_cmpx_ne_u32_e32 0x7f, v60
	s_cbranch_execz .LBB300_1153
; %bb.1150:                             ;   in Loop: Header=BB300_669 Depth=1
	v_and_b32_e32 v58, 7, v1
	v_lshrrev_b32_e32 v59, 3, v60
	s_mov_b32 s14, exec_lo
	v_cmpx_gt_u32_e32 8, v60
; %bb.1151:                             ;   in Loop: Header=BB300_669 Depth=1
	s_delay_alu instid0(VALU_DEP_3) | instskip(NEXT) | instid1(VALU_DEP_1)
	v_clz_i32_u32_e32 v58, v58
	v_min_u32_e32 v60, 32, v58
	s_delay_alu instid0(VALU_DEP_1) | instskip(NEXT) | instid1(VALU_DEP_1)
	v_subrev_nc_u32_e32 v58, 28, v60
	v_lshlrev_b64_e32 v[58:59], v58, v[1:2]
	v_sub_nc_u32_e32 v59, 29, v60
	s_delay_alu instid0(VALU_DEP_2)
	v_and_b32_e32 v58, 7, v58
; %bb.1152:                             ;   in Loop: Header=BB300_669 Depth=1
	s_wait_alu 0xfffe
	s_or_b32 exec_lo, exec_lo, s14
	v_lshlrev_b32_e32 v1, 8, v1
	v_lshl_add_u32 v59, v59, 10, 0x2000
	v_lshlrev_b32_e32 v58, 7, v58
	s_delay_alu instid0(VALU_DEP_3) | instskip(NEXT) | instid1(VALU_DEP_3)
	v_and_b32_e32 v1, 0x8000, v1
	v_and_b32_e32 v59, 0xfc00, v59
	s_delay_alu instid0(VALU_DEP_1)
	v_or3_b32 v58, v1, v59, v58
.LBB300_1153:                           ;   in Loop: Header=BB300_669 Depth=1
	s_or_b32 exec_lo, exec_lo, s13
.LBB300_1154:                           ;   in Loop: Header=BB300_669 Depth=1
	s_wait_alu 0xfffe
	s_or_b32 exec_lo, exec_lo, s7
.LBB300_1155:                           ;   in Loop: Header=BB300_669 Depth=1
	s_wait_alu 0xfffe
	s_or_b32 exec_lo, exec_lo, s6
	s_delay_alu instid0(SALU_CYCLE_1)
	s_mov_b32 s6, exec_lo
	v_cmpx_lt_u32_e32 0xffffff, v9
	s_cbranch_execz .LBB300_1163
; %bb.1156:                             ;   in Loop: Header=BB300_669 Depth=1
	v_lshrrev_b32_e32 v1, 24, v9
	v_bfrev_b32_e32 v57, 1
	s_mov_b32 s7, exec_lo
	s_delay_alu instid0(VALU_DEP_2)
	v_cmpx_ne_u32_e32 0x80, v1
	s_cbranch_execz .LBB300_1162
; %bb.1157:                             ;   in Loop: Header=BB300_669 Depth=1
	v_and_b32_e32 v60, 0x7f, v1
	v_mov_b32_e32 v57, 0x7c010000
	s_mov_b32 s13, exec_lo
	s_delay_alu instid0(VALU_DEP_2)
	v_cmpx_ne_u32_e32 0x7f, v60
	s_cbranch_execz .LBB300_1161
; %bb.1158:                             ;   in Loop: Header=BB300_669 Depth=1
	v_and_b32_e32 v57, 7, v1
	v_lshrrev_b32_e32 v59, 3, v60
	s_mov_b32 s14, exec_lo
	v_cmpx_gt_u32_e32 8, v60
; %bb.1159:                             ;   in Loop: Header=BB300_669 Depth=1
	s_delay_alu instid0(VALU_DEP_3) | instskip(NEXT) | instid1(VALU_DEP_1)
	v_clz_i32_u32_e32 v57, v57
	v_min_u32_e32 v57, 32, v57
	s_delay_alu instid0(VALU_DEP_1) | instskip(NEXT) | instid1(VALU_DEP_1)
	v_subrev_nc_u32_e32 v59, 28, v57
	v_lshlrev_b64_e32 v[60:61], v59, v[1:2]
	v_sub_nc_u32_e32 v59, 29, v57
	s_delay_alu instid0(VALU_DEP_2)
	v_and_b32_e32 v57, 7, v60
; %bb.1160:                             ;   in Loop: Header=BB300_669 Depth=1
	s_wait_alu 0xfffe
	s_or_b32 exec_lo, exec_lo, s14
	v_lshlrev_b32_e32 v1, 8, v1
	v_lshl_add_u32 v59, v59, 10, 0x2000
	v_lshlrev_b32_e32 v57, 23, v57
	s_delay_alu instid0(VALU_DEP_2) | instskip(NEXT) | instid1(VALU_DEP_1)
	v_and_or_b32 v1, 0x8000, v1, v59
	v_lshl_or_b32 v57, v1, 16, v57
.LBB300_1161:                           ;   in Loop: Header=BB300_669 Depth=1
	s_or_b32 exec_lo, exec_lo, s13
.LBB300_1162:                           ;   in Loop: Header=BB300_669 Depth=1
	s_wait_alu 0xfffe
	s_or_b32 exec_lo, exec_lo, s7
.LBB300_1163:                           ;   in Loop: Header=BB300_669 Depth=1
	s_wait_alu 0xfffe
	s_or_b32 exec_lo, exec_lo, s6
	v_dual_mov_b32 v60, 0 :: v_dual_and_b32 v61, 0xff, v10
	v_mov_b32_e32 v1, v10
	v_mov_b32_e32 v59, 0
	s_mov_b32 s6, exec_lo
	s_delay_alu instid0(VALU_DEP_3)
	v_cmpx_ne_u16_e32 0, v61
	s_cbranch_execz .LBB300_1171
; %bb.1164:                             ;   in Loop: Header=BB300_669 Depth=1
	v_mov_b32_e32 v60, 0x8000
	s_mov_b32 s7, exec_lo
	v_cmpx_ne_u16_e32 0x80, v61
	s_cbranch_execz .LBB300_1170
; %bb.1165:                             ;   in Loop: Header=BB300_669 Depth=1
	v_and_b32_e32 v62, 0x7f, v10
	v_mov_b32_e32 v60, 0x7c01
	s_mov_b32 s13, exec_lo
	s_delay_alu instid0(VALU_DEP_2)
	v_cmpx_ne_u32_e32 0x7f, v62
	s_cbranch_execz .LBB300_1169
; %bb.1166:                             ;   in Loop: Header=BB300_669 Depth=1
	v_and_b32_e32 v60, 7, v10
	v_lshrrev_b32_e32 v61, 3, v62
	s_mov_b32 s14, exec_lo
	v_cmpx_gt_u32_e32 8, v62
; %bb.1167:                             ;   in Loop: Header=BB300_669 Depth=1
	s_delay_alu instid0(VALU_DEP_3) | instskip(NEXT) | instid1(VALU_DEP_1)
	v_clz_i32_u32_e32 v60, v60
	v_min_u32_e32 v62, 32, v60
	s_delay_alu instid0(VALU_DEP_1) | instskip(NEXT) | instid1(VALU_DEP_1)
	v_subrev_nc_u32_e32 v60, 28, v62
	v_lshlrev_b64_e32 v[60:61], v60, v[1:2]
	v_sub_nc_u32_e32 v61, 29, v62
	s_delay_alu instid0(VALU_DEP_2)
	v_and_b32_e32 v60, 7, v60
; %bb.1168:                             ;   in Loop: Header=BB300_669 Depth=1
	s_wait_alu 0xfffe
	s_or_b32 exec_lo, exec_lo, s14
	v_lshlrev_b32_e32 v62, 8, v10
	v_lshl_add_u32 v61, v61, 10, 0x2000
	v_lshlrev_b32_e32 v60, 7, v60
	s_delay_alu instid0(VALU_DEP_3) | instskip(NEXT) | instid1(VALU_DEP_3)
	v_and_b32_e32 v62, 0x8000, v62
	v_and_b32_e32 v61, 0xfc00, v61
	s_delay_alu instid0(VALU_DEP_1)
	v_or3_b32 v60, v62, v61, v60
.LBB300_1169:                           ;   in Loop: Header=BB300_669 Depth=1
	s_or_b32 exec_lo, exec_lo, s13
.LBB300_1170:                           ;   in Loop: Header=BB300_669 Depth=1
	s_wait_alu 0xfffe
	s_or_b32 exec_lo, exec_lo, s7
.LBB300_1171:                           ;   in Loop: Header=BB300_669 Depth=1
	s_wait_alu 0xfffe
	s_or_b32 exec_lo, exec_lo, s6
	v_lshrrev_b16 v1, 8, v1
	v_mov_b32_e32 v61, 0
	s_mov_b32 s6, exec_lo
	s_delay_alu instid0(VALU_DEP_2)
	v_cmpx_ne_u16_e32 0, v1
	s_cbranch_execz .LBB300_1179
; %bb.1172:                             ;   in Loop: Header=BB300_669 Depth=1
	v_bfrev_b32_e32 v61, 1
	s_mov_b32 s7, exec_lo
	v_cmpx_ne_u16_e32 0x80, v1
	s_cbranch_execz .LBB300_1178
; %bb.1173:                             ;   in Loop: Header=BB300_669 Depth=1
	v_and_b32_e32 v62, 0xffff, v1
	v_mov_b32_e32 v61, 0x7c010000
	s_mov_b32 s13, exec_lo
	s_delay_alu instid0(VALU_DEP_2) | instskip(NEXT) | instid1(VALU_DEP_1)
	v_and_b32_e32 v64, 0x7f, v62
	v_cmpx_ne_u32_e32 0x7f, v64
	s_cbranch_execz .LBB300_1177
; %bb.1174:                             ;   in Loop: Header=BB300_669 Depth=1
	v_and_b32_e32 v61, 7, v62
	v_lshrrev_b32_e32 v63, 3, v64
	s_mov_b32 s14, exec_lo
	v_cmpx_gt_u32_e32 8, v64
; %bb.1175:                             ;   in Loop: Header=BB300_669 Depth=1
	s_delay_alu instid0(VALU_DEP_3) | instskip(NEXT) | instid1(VALU_DEP_1)
	v_clz_i32_u32_e32 v61, v61
	v_min_u32_e32 v61, 32, v61
	s_delay_alu instid0(VALU_DEP_1) | instskip(NEXT) | instid1(VALU_DEP_1)
	v_subrev_nc_u32_e32 v63, 28, v61
	v_lshlrev_b64_e32 v[64:65], v63, v[1:2]
	v_sub_nc_u32_e32 v63, 29, v61
	s_delay_alu instid0(VALU_DEP_2)
	v_and_b32_e32 v61, 7, v64
; %bb.1176:                             ;   in Loop: Header=BB300_669 Depth=1
	s_wait_alu 0xfffe
	s_or_b32 exec_lo, exec_lo, s14
	v_lshlrev_b32_e32 v1, 8, v62
	v_lshl_add_u32 v62, v63, 10, 0x2000
	v_lshlrev_b32_e32 v61, 23, v61
	s_delay_alu instid0(VALU_DEP_2) | instskip(NEXT) | instid1(VALU_DEP_1)
	v_and_or_b32 v1, 0x8000, v1, v62
	v_lshl_or_b32 v61, v1, 16, v61
.LBB300_1177:                           ;   in Loop: Header=BB300_669 Depth=1
	s_or_b32 exec_lo, exec_lo, s13
.LBB300_1178:                           ;   in Loop: Header=BB300_669 Depth=1
	s_wait_alu 0xfffe
	s_or_b32 exec_lo, exec_lo, s7
.LBB300_1179:                           ;   in Loop: Header=BB300_669 Depth=1
	s_wait_alu 0xfffe
	s_or_b32 exec_lo, exec_lo, s6
	v_lshrrev_b32_e32 v1, 16, v10
	s_mov_b32 s6, exec_lo
	s_delay_alu instid0(VALU_DEP_1) | instskip(NEXT) | instid1(VALU_DEP_1)
	v_and_b32_e32 v62, 0xff, v1
	v_cmpx_ne_u16_e32 0, v62
	s_cbranch_execz .LBB300_1187
; %bb.1180:                             ;   in Loop: Header=BB300_669 Depth=1
	v_mov_b32_e32 v59, 0x8000
	s_mov_b32 s7, exec_lo
	v_cmpx_ne_u16_e32 0x80, v62
	s_cbranch_execz .LBB300_1186
; %bb.1181:                             ;   in Loop: Header=BB300_669 Depth=1
	v_bfe_u32 v63, v10, 16, 7
	v_mov_b32_e32 v59, 0x7c01
	s_mov_b32 s13, exec_lo
	s_delay_alu instid0(VALU_DEP_2)
	v_cmpx_ne_u32_e32 0x7f, v63
	s_cbranch_execz .LBB300_1185
; %bb.1182:                             ;   in Loop: Header=BB300_669 Depth=1
	v_and_b32_e32 v59, 7, v1
	v_lshrrev_b32_e32 v62, 3, v63
	s_mov_b32 s14, exec_lo
	v_cmpx_gt_u32_e32 8, v63
; %bb.1183:                             ;   in Loop: Header=BB300_669 Depth=1
	s_delay_alu instid0(VALU_DEP_3) | instskip(NEXT) | instid1(VALU_DEP_1)
	v_clz_i32_u32_e32 v59, v59
	v_min_u32_e32 v59, 32, v59
	s_delay_alu instid0(VALU_DEP_1) | instskip(NEXT) | instid1(VALU_DEP_1)
	v_subrev_nc_u32_e32 v62, 28, v59
	v_lshlrev_b64_e32 v[63:64], v62, v[1:2]
	v_sub_nc_u32_e32 v62, 29, v59
	s_delay_alu instid0(VALU_DEP_2)
	v_and_b32_e32 v59, 7, v63
; %bb.1184:                             ;   in Loop: Header=BB300_669 Depth=1
	s_wait_alu 0xfffe
	s_or_b32 exec_lo, exec_lo, s14
	v_lshlrev_b32_e32 v1, 8, v1
	v_lshl_add_u32 v62, v62, 10, 0x2000
	v_lshlrev_b32_e32 v59, 7, v59
	s_delay_alu instid0(VALU_DEP_3) | instskip(NEXT) | instid1(VALU_DEP_3)
	v_and_b32_e32 v1, 0x8000, v1
	v_and_b32_e32 v62, 0xfc00, v62
	s_delay_alu instid0(VALU_DEP_1)
	v_or3_b32 v59, v1, v62, v59
.LBB300_1185:                           ;   in Loop: Header=BB300_669 Depth=1
	s_or_b32 exec_lo, exec_lo, s13
.LBB300_1186:                           ;   in Loop: Header=BB300_669 Depth=1
	s_wait_alu 0xfffe
	s_or_b32 exec_lo, exec_lo, s7
.LBB300_1187:                           ;   in Loop: Header=BB300_669 Depth=1
	s_wait_alu 0xfffe
	s_or_b32 exec_lo, exec_lo, s6
	v_cmp_lt_u64_e64 s0, s[2:3], v[9:10]
	v_mov_b32_e32 v9, 0
	s_and_saveexec_b32 s6, s0
	s_cbranch_execz .LBB300_1195
; %bb.1188:                             ;   in Loop: Header=BB300_669 Depth=1
	v_lshrrev_b32_e32 v1, 24, v10
	v_bfrev_b32_e32 v9, 1
	s_mov_b32 s7, exec_lo
	s_delay_alu instid0(VALU_DEP_2)
	v_cmpx_ne_u32_e32 0x80, v1
	s_cbranch_execz .LBB300_1194
; %bb.1189:                             ;   in Loop: Header=BB300_669 Depth=1
	v_and_b32_e32 v62, 0x7f, v1
	v_mov_b32_e32 v9, 0x7c010000
	s_mov_b32 s13, exec_lo
	s_delay_alu instid0(VALU_DEP_2)
	v_cmpx_ne_u32_e32 0x7f, v62
	s_cbranch_execz .LBB300_1193
; %bb.1190:                             ;   in Loop: Header=BB300_669 Depth=1
	v_and_b32_e32 v9, 7, v1
	v_lshrrev_b32_e32 v10, 3, v62
	s_mov_b32 s14, exec_lo
	v_cmpx_gt_u32_e32 8, v62
; %bb.1191:                             ;   in Loop: Header=BB300_669 Depth=1
	s_delay_alu instid0(VALU_DEP_3) | instskip(NEXT) | instid1(VALU_DEP_1)
	v_clz_i32_u32_e32 v9, v9
	v_min_u32_e32 v62, 32, v9
	s_delay_alu instid0(VALU_DEP_1) | instskip(NEXT) | instid1(VALU_DEP_1)
	v_subrev_nc_u32_e32 v9, 28, v62
	v_lshlrev_b64_e32 v[9:10], v9, v[1:2]
	v_sub_nc_u32_e32 v10, 29, v62
	s_delay_alu instid0(VALU_DEP_2)
	v_and_b32_e32 v9, 7, v9
; %bb.1192:                             ;   in Loop: Header=BB300_669 Depth=1
	s_wait_alu 0xfffe
	s_or_b32 exec_lo, exec_lo, s14
	v_lshlrev_b32_e32 v1, 8, v1
	v_lshl_add_u32 v10, v10, 10, 0x2000
	v_lshlrev_b32_e32 v9, 23, v9
	s_delay_alu instid0(VALU_DEP_2) | instskip(NEXT) | instid1(VALU_DEP_1)
	v_and_or_b32 v1, 0x8000, v1, v10
	v_lshl_or_b32 v9, v1, 16, v9
.LBB300_1193:                           ;   in Loop: Header=BB300_669 Depth=1
	s_or_b32 exec_lo, exec_lo, s13
.LBB300_1194:                           ;   in Loop: Header=BB300_669 Depth=1
	s_wait_alu 0xfffe
	s_or_b32 exec_lo, exec_lo, s7
.LBB300_1195:                           ;   in Loop: Header=BB300_669 Depth=1
	s_wait_alu 0xfffe
	s_or_b32 exec_lo, exec_lo, s6
	v_or_b32_e32 v1, v57, v58
	s_wait_loadcnt 0x0
	v_fma_mixlo_f16 v10, v54, v57, 0 op_sel:[0,1,0] op_sel_hi:[0,1,0]
	v_or_b32_e32 v57, v55, v56
	v_fma_mixlo_f16 v55, v54, v55, 0 op_sel:[0,1,0] op_sel_hi:[0,1,0]
	v_or_b32_e32 v58, v61, v60
	v_or_b32_e32 v59, v9, v59
	v_fma_mixlo_f16 v60, v54, v1, 0 op_sel_hi:[0,1,0]
	v_fma_mixlo_f16 v9, v54, v9, 0 op_sel:[0,1,0] op_sel_hi:[0,1,0]
	v_lshlrev_b32_e32 v56, 16, v55
	v_fma_mixlo_f16 v55, v54, v57, 0 op_sel_hi:[0,1,0]
	v_fma_mixlo_f16 v57, v54, v61, 0 op_sel:[0,1,0] op_sel_hi:[0,1,0]
	v_fma_mixlo_f16 v58, v54, v58, 0 op_sel_hi:[0,1,0]
	v_fma_mixlo_f16 v59, v54, v59, 0 op_sel_hi:[0,1,0]
	v_lshlrev_b32_e32 v1, 16, v10
	v_and_b32_e32 v10, 0xffff, v60
	v_and_b32_e32 v62, 0xffff, v55
	v_lshlrev_b32_e32 v54, 16, v57
	v_and_b32_e32 v58, 0xffff, v58
	v_lshlrev_b32_e32 v9, 16, v9
	v_and_b32_e32 v55, 0xffff, v59
	v_or_b32_e32 v57, v1, v10
	v_or_b32_e32 v61, v56, v62
	;; [unrolled: 1-line block ×3, first 2 shown]
	s_delay_alu instid0(VALU_DEP_4)
	v_or_b32_e32 v59, v9, v55
	s_and_saveexec_b32 s6, vcc_lo
	s_cbranch_execz .LBB300_1197
; %bb.1196:                             ;   in Loop: Header=BB300_669 Depth=1
	v_cmp_gt_i32_e64 s0, s27, v14
	s_wait_alu 0xf1ff
	s_delay_alu instid0(VALU_DEP_1) | instskip(SKIP_2) | instid1(VALU_DEP_1)
	v_cndmask_b32_e64 v57, 0, v62, s0
	v_cmp_gt_i32_e64 s0, s27, v38
	s_wait_alu 0xf1ff
	v_cndmask_b32_e64 v56, 0, v56, s0
	v_cmp_gt_i32_e64 s0, s27, v35
	s_delay_alu instid0(VALU_DEP_2) | instskip(SKIP_1) | instid1(VALU_DEP_2)
	v_or_b32_e32 v61, v56, v57
	s_wait_alu 0xf1ff
	v_cndmask_b32_e64 v10, 0, v10, s0
	v_cmp_gt_i32_e64 s0, s27, v33
	s_wait_alu 0xf1ff
	s_delay_alu instid0(VALU_DEP_1) | instskip(SKIP_1) | instid1(VALU_DEP_2)
	v_cndmask_b32_e64 v1, 0, v1, s0
	v_cmp_gt_i32_e64 s0, s27, v32
	v_or_b32_e32 v57, v1, v10
	s_wait_alu 0xf1ff
	s_delay_alu instid0(VALU_DEP_2) | instskip(SKIP_2) | instid1(VALU_DEP_1)
	v_cndmask_b32_e64 v58, 0, v58, s0
	v_cmp_gt_i32_e64 s0, s27, v31
	s_wait_alu 0xf1ff
	v_cndmask_b32_e64 v54, 0, v54, s0
	v_cmp_gt_i32_e64 s0, s27, v30
	s_delay_alu instid0(VALU_DEP_2) | instskip(SKIP_1) | instid1(VALU_DEP_2)
	v_or_b32_e32 v60, v54, v58
	s_wait_alu 0xf1ff
	v_cndmask_b32_e64 v55, 0, v55, s0
	v_cmp_gt_i32_e64 s0, s27, v28
	s_wait_alu 0xf1ff
	s_delay_alu instid0(VALU_DEP_1) | instskip(NEXT) | instid1(VALU_DEP_1)
	v_cndmask_b32_e64 v9, 0, v9, s0
	v_or_b32_e32 v59, v9, v55
.LBB300_1197:                           ;   in Loop: Header=BB300_669 Depth=1
	s_wait_alu 0xfffe
	s_or_b32 exec_lo, exec_lo, s6
	;;#ASMSTART
	v_pk_mul_f16 v1, v40, v61;

	;;#ASMEND
	;;#ASMSTART
	v_pk_mul_f16 v9, v37, v57;

	;;#ASMEND
	;; [unrolled: 4-line block ×4, first 2 shown]
	;;#ASMSTART
	v_pk_add_f16 v1, v1, v9;

	;;#ASMEND
	;;#ASMSTART
	v_pk_add_f16 v1, v1, v10;

	;;#ASMEND
	;; [unrolled: 4-line block ×3, first 2 shown]
	v_dual_mov_b32 v58, 0 :: v_dual_and_b32 v9, 0xffff, v1
	v_lshrrev_b32_e32 v1, 16, v1
	;;#ASMSTART
	v_cvt_f32_f16 v54, v9;
	;;#ASMEND
	;;#ASMSTART
	v_cvt_f32_f16 v55, v1;
	;;#ASMEND
	global_load_b64 v[9:10], v[7:8], off offset:2048
	v_mov_b32_e32 v57, 0
	s_mov_b32 s6, exec_lo
	global_load_b32 v56, v57, s[10:11]
	s_wait_loadcnt 0x1
	v_and_b32_e32 v1, 0xff, v9
	s_delay_alu instid0(VALU_DEP_1)
	v_cmpx_ne_u16_e32 0, v1
	s_cbranch_execz .LBB300_1205
; %bb.1198:                             ;   in Loop: Header=BB300_669 Depth=1
	v_mov_b32_e32 v58, 0x8000
	s_mov_b32 s7, exec_lo
	v_cmpx_ne_u16_e32 0x80, v1
	s_cbranch_execz .LBB300_1204
; %bb.1199:                             ;   in Loop: Header=BB300_669 Depth=1
	v_and_b32_e32 v59, 0x7f, v9
	v_mov_b32_e32 v58, 0x7c01
	s_mov_b32 s13, exec_lo
	s_delay_alu instid0(VALU_DEP_2)
	v_cmpx_ne_u32_e32 0x7f, v59
	s_cbranch_execz .LBB300_1203
; %bb.1200:                             ;   in Loop: Header=BB300_669 Depth=1
	v_and_b32_e32 v1, 7, v9
	v_lshrrev_b32_e32 v58, 3, v59
	s_mov_b32 s14, exec_lo
	v_cmpx_gt_u32_e32 8, v59
; %bb.1201:                             ;   in Loop: Header=BB300_669 Depth=1
	s_delay_alu instid0(VALU_DEP_3) | instskip(NEXT) | instid1(VALU_DEP_1)
	v_clz_i32_u32_e32 v1, v1
	v_min_u32_e32 v1, 32, v1
	s_delay_alu instid0(VALU_DEP_1) | instskip(NEXT) | instid1(VALU_DEP_1)
	v_subrev_nc_u32_e32 v58, 28, v1
	v_lshlrev_b64_e32 v[59:60], v58, v[9:10]
	v_sub_nc_u32_e32 v58, 29, v1
	s_delay_alu instid0(VALU_DEP_2)
	v_and_b32_e32 v1, 7, v59
; %bb.1202:                             ;   in Loop: Header=BB300_669 Depth=1
	s_wait_alu 0xfffe
	s_or_b32 exec_lo, exec_lo, s14
	v_lshlrev_b32_e32 v59, 8, v9
	v_lshl_add_u32 v58, v58, 10, 0x2000
	v_lshlrev_b32_e32 v1, 7, v1
	s_delay_alu instid0(VALU_DEP_3) | instskip(NEXT) | instid1(VALU_DEP_3)
	v_and_b32_e32 v59, 0x8000, v59
	v_and_b32_e32 v58, 0xfc00, v58
	s_delay_alu instid0(VALU_DEP_1)
	v_or3_b32 v58, v59, v58, v1
.LBB300_1203:                           ;   in Loop: Header=BB300_669 Depth=1
	s_or_b32 exec_lo, exec_lo, s13
.LBB300_1204:                           ;   in Loop: Header=BB300_669 Depth=1
	s_wait_alu 0xfffe
	s_or_b32 exec_lo, exec_lo, s7
.LBB300_1205:                           ;   in Loop: Header=BB300_669 Depth=1
	s_wait_alu 0xfffe
	s_or_b32 exec_lo, exec_lo, s6
	v_lshrrev_b16 v1, 8, v9
	s_mov_b32 s6, exec_lo
	s_delay_alu instid0(VALU_DEP_1)
	v_cmpx_ne_u16_e32 0, v1
	s_cbranch_execz .LBB300_1213
; %bb.1206:                             ;   in Loop: Header=BB300_669 Depth=1
	v_bfrev_b32_e32 v57, 1
	s_mov_b32 s7, exec_lo
	v_cmpx_ne_u16_e32 0x80, v1
	s_cbranch_execz .LBB300_1212
; %bb.1207:                             ;   in Loop: Header=BB300_669 Depth=1
	v_and_b32_e32 v59, 0xffff, v1
	v_mov_b32_e32 v57, 0x7c010000
	s_mov_b32 s13, exec_lo
	s_delay_alu instid0(VALU_DEP_2) | instskip(NEXT) | instid1(VALU_DEP_1)
	v_and_b32_e32 v61, 0x7f, v59
	v_cmpx_ne_u32_e32 0x7f, v61
	s_cbranch_execz .LBB300_1211
; %bb.1208:                             ;   in Loop: Header=BB300_669 Depth=1
	v_and_b32_e32 v57, 7, v59
	v_lshrrev_b32_e32 v60, 3, v61
	s_mov_b32 s14, exec_lo
	v_cmpx_gt_u32_e32 8, v61
; %bb.1209:                             ;   in Loop: Header=BB300_669 Depth=1
	s_delay_alu instid0(VALU_DEP_3) | instskip(NEXT) | instid1(VALU_DEP_1)
	v_clz_i32_u32_e32 v57, v57
	v_min_u32_e32 v57, 32, v57
	s_delay_alu instid0(VALU_DEP_1) | instskip(NEXT) | instid1(VALU_DEP_1)
	v_subrev_nc_u32_e32 v60, 28, v57
	v_lshlrev_b64_e32 v[61:62], v60, v[1:2]
	v_sub_nc_u32_e32 v60, 29, v57
	s_delay_alu instid0(VALU_DEP_2)
	v_and_b32_e32 v57, 7, v61
; %bb.1210:                             ;   in Loop: Header=BB300_669 Depth=1
	s_wait_alu 0xfffe
	s_or_b32 exec_lo, exec_lo, s14
	v_lshlrev_b32_e32 v1, 8, v59
	v_lshl_add_u32 v59, v60, 10, 0x2000
	v_lshlrev_b32_e32 v57, 23, v57
	s_delay_alu instid0(VALU_DEP_2) | instskip(NEXT) | instid1(VALU_DEP_1)
	v_and_or_b32 v1, 0x8000, v1, v59
	v_lshl_or_b32 v57, v1, 16, v57
.LBB300_1211:                           ;   in Loop: Header=BB300_669 Depth=1
	s_or_b32 exec_lo, exec_lo, s13
.LBB300_1212:                           ;   in Loop: Header=BB300_669 Depth=1
	s_wait_alu 0xfffe
	s_or_b32 exec_lo, exec_lo, s7
.LBB300_1213:                           ;   in Loop: Header=BB300_669 Depth=1
	s_wait_alu 0xfffe
	s_or_b32 exec_lo, exec_lo, s6
	v_lshrrev_b32_e32 v1, 16, v9
	v_mov_b32_e32 v59, 0
	s_mov_b32 s6, exec_lo
	s_delay_alu instid0(VALU_DEP_2) | instskip(NEXT) | instid1(VALU_DEP_1)
	v_dual_mov_b32 v60, 0 :: v_dual_and_b32 v61, 0xff, v1
	v_cmpx_ne_u16_e32 0, v61
	s_cbranch_execz .LBB300_1221
; %bb.1214:                             ;   in Loop: Header=BB300_669 Depth=1
	v_mov_b32_e32 v60, 0x8000
	s_mov_b32 s7, exec_lo
	v_cmpx_ne_u16_e32 0x80, v61
	s_cbranch_execz .LBB300_1220
; %bb.1215:                             ;   in Loop: Header=BB300_669 Depth=1
	v_bfe_u32 v62, v9, 16, 7
	v_mov_b32_e32 v60, 0x7c01
	s_mov_b32 s13, exec_lo
	s_delay_alu instid0(VALU_DEP_2)
	v_cmpx_ne_u32_e32 0x7f, v62
	s_cbranch_execz .LBB300_1219
; %bb.1216:                             ;   in Loop: Header=BB300_669 Depth=1
	v_and_b32_e32 v60, 7, v1
	v_lshrrev_b32_e32 v61, 3, v62
	s_mov_b32 s14, exec_lo
	v_cmpx_gt_u32_e32 8, v62
; %bb.1217:                             ;   in Loop: Header=BB300_669 Depth=1
	s_delay_alu instid0(VALU_DEP_3) | instskip(NEXT) | instid1(VALU_DEP_1)
	v_clz_i32_u32_e32 v60, v60
	v_min_u32_e32 v62, 32, v60
	s_delay_alu instid0(VALU_DEP_1) | instskip(NEXT) | instid1(VALU_DEP_1)
	v_subrev_nc_u32_e32 v60, 28, v62
	v_lshlrev_b64_e32 v[60:61], v60, v[1:2]
	v_sub_nc_u32_e32 v61, 29, v62
	s_delay_alu instid0(VALU_DEP_2)
	v_and_b32_e32 v60, 7, v60
; %bb.1218:                             ;   in Loop: Header=BB300_669 Depth=1
	s_wait_alu 0xfffe
	s_or_b32 exec_lo, exec_lo, s14
	v_lshlrev_b32_e32 v1, 8, v1
	v_lshl_add_u32 v61, v61, 10, 0x2000
	v_lshlrev_b32_e32 v60, 7, v60
	s_delay_alu instid0(VALU_DEP_3) | instskip(NEXT) | instid1(VALU_DEP_3)
	v_and_b32_e32 v1, 0x8000, v1
	v_and_b32_e32 v61, 0xfc00, v61
	s_delay_alu instid0(VALU_DEP_1)
	v_or3_b32 v60, v1, v61, v60
.LBB300_1219:                           ;   in Loop: Header=BB300_669 Depth=1
	s_or_b32 exec_lo, exec_lo, s13
.LBB300_1220:                           ;   in Loop: Header=BB300_669 Depth=1
	s_wait_alu 0xfffe
	s_or_b32 exec_lo, exec_lo, s7
.LBB300_1221:                           ;   in Loop: Header=BB300_669 Depth=1
	s_wait_alu 0xfffe
	s_or_b32 exec_lo, exec_lo, s6
	s_delay_alu instid0(SALU_CYCLE_1)
	s_mov_b32 s6, exec_lo
	v_cmpx_lt_u32_e32 0xffffff, v9
	s_cbranch_execz .LBB300_1229
; %bb.1222:                             ;   in Loop: Header=BB300_669 Depth=1
	v_lshrrev_b32_e32 v1, 24, v9
	v_bfrev_b32_e32 v59, 1
	s_mov_b32 s7, exec_lo
	s_delay_alu instid0(VALU_DEP_2)
	v_cmpx_ne_u32_e32 0x80, v1
	s_cbranch_execz .LBB300_1228
; %bb.1223:                             ;   in Loop: Header=BB300_669 Depth=1
	v_and_b32_e32 v62, 0x7f, v1
	v_mov_b32_e32 v59, 0x7c010000
	s_mov_b32 s13, exec_lo
	s_delay_alu instid0(VALU_DEP_2)
	v_cmpx_ne_u32_e32 0x7f, v62
	s_cbranch_execz .LBB300_1227
; %bb.1224:                             ;   in Loop: Header=BB300_669 Depth=1
	v_and_b32_e32 v59, 7, v1
	v_lshrrev_b32_e32 v61, 3, v62
	s_mov_b32 s14, exec_lo
	v_cmpx_gt_u32_e32 8, v62
; %bb.1225:                             ;   in Loop: Header=BB300_669 Depth=1
	s_delay_alu instid0(VALU_DEP_3) | instskip(NEXT) | instid1(VALU_DEP_1)
	v_clz_i32_u32_e32 v59, v59
	v_min_u32_e32 v59, 32, v59
	s_delay_alu instid0(VALU_DEP_1) | instskip(NEXT) | instid1(VALU_DEP_1)
	v_subrev_nc_u32_e32 v61, 28, v59
	v_lshlrev_b64_e32 v[62:63], v61, v[1:2]
	v_sub_nc_u32_e32 v61, 29, v59
	s_delay_alu instid0(VALU_DEP_2)
	v_and_b32_e32 v59, 7, v62
; %bb.1226:                             ;   in Loop: Header=BB300_669 Depth=1
	s_wait_alu 0xfffe
	s_or_b32 exec_lo, exec_lo, s14
	v_lshlrev_b32_e32 v1, 8, v1
	v_lshl_add_u32 v61, v61, 10, 0x2000
	v_lshlrev_b32_e32 v59, 23, v59
	s_delay_alu instid0(VALU_DEP_2) | instskip(NEXT) | instid1(VALU_DEP_1)
	v_and_or_b32 v1, 0x8000, v1, v61
	v_lshl_or_b32 v59, v1, 16, v59
.LBB300_1227:                           ;   in Loop: Header=BB300_669 Depth=1
	s_or_b32 exec_lo, exec_lo, s13
.LBB300_1228:                           ;   in Loop: Header=BB300_669 Depth=1
	s_wait_alu 0xfffe
	s_or_b32 exec_lo, exec_lo, s7
.LBB300_1229:                           ;   in Loop: Header=BB300_669 Depth=1
	s_wait_alu 0xfffe
	s_or_b32 exec_lo, exec_lo, s6
	v_dual_mov_b32 v62, 0 :: v_dual_and_b32 v63, 0xff, v10
	v_mov_b32_e32 v1, v10
	v_mov_b32_e32 v61, 0
	s_mov_b32 s6, exec_lo
	s_delay_alu instid0(VALU_DEP_3)
	v_cmpx_ne_u16_e32 0, v63
	s_cbranch_execz .LBB300_1237
; %bb.1230:                             ;   in Loop: Header=BB300_669 Depth=1
	v_mov_b32_e32 v62, 0x8000
	s_mov_b32 s7, exec_lo
	v_cmpx_ne_u16_e32 0x80, v63
	s_cbranch_execz .LBB300_1236
; %bb.1231:                             ;   in Loop: Header=BB300_669 Depth=1
	v_and_b32_e32 v64, 0x7f, v10
	v_mov_b32_e32 v62, 0x7c01
	s_mov_b32 s13, exec_lo
	s_delay_alu instid0(VALU_DEP_2)
	v_cmpx_ne_u32_e32 0x7f, v64
	s_cbranch_execz .LBB300_1235
; %bb.1232:                             ;   in Loop: Header=BB300_669 Depth=1
	v_and_b32_e32 v62, 7, v10
	v_lshrrev_b32_e32 v63, 3, v64
	s_mov_b32 s14, exec_lo
	v_cmpx_gt_u32_e32 8, v64
; %bb.1233:                             ;   in Loop: Header=BB300_669 Depth=1
	s_delay_alu instid0(VALU_DEP_3) | instskip(NEXT) | instid1(VALU_DEP_1)
	v_clz_i32_u32_e32 v62, v62
	v_min_u32_e32 v64, 32, v62
	s_delay_alu instid0(VALU_DEP_1) | instskip(NEXT) | instid1(VALU_DEP_1)
	v_subrev_nc_u32_e32 v62, 28, v64
	v_lshlrev_b64_e32 v[62:63], v62, v[1:2]
	v_sub_nc_u32_e32 v63, 29, v64
	s_delay_alu instid0(VALU_DEP_2)
	v_and_b32_e32 v62, 7, v62
; %bb.1234:                             ;   in Loop: Header=BB300_669 Depth=1
	s_wait_alu 0xfffe
	s_or_b32 exec_lo, exec_lo, s14
	v_lshlrev_b32_e32 v64, 8, v10
	v_lshl_add_u32 v63, v63, 10, 0x2000
	v_lshlrev_b32_e32 v62, 7, v62
	s_delay_alu instid0(VALU_DEP_3) | instskip(NEXT) | instid1(VALU_DEP_3)
	v_and_b32_e32 v64, 0x8000, v64
	v_and_b32_e32 v63, 0xfc00, v63
	s_delay_alu instid0(VALU_DEP_1)
	v_or3_b32 v62, v64, v63, v62
.LBB300_1235:                           ;   in Loop: Header=BB300_669 Depth=1
	s_or_b32 exec_lo, exec_lo, s13
.LBB300_1236:                           ;   in Loop: Header=BB300_669 Depth=1
	s_wait_alu 0xfffe
	s_or_b32 exec_lo, exec_lo, s7
.LBB300_1237:                           ;   in Loop: Header=BB300_669 Depth=1
	s_wait_alu 0xfffe
	s_or_b32 exec_lo, exec_lo, s6
	v_lshrrev_b16 v1, 8, v1
	v_mov_b32_e32 v63, 0
	s_mov_b32 s6, exec_lo
	s_delay_alu instid0(VALU_DEP_2)
	v_cmpx_ne_u16_e32 0, v1
	s_cbranch_execz .LBB300_1245
; %bb.1238:                             ;   in Loop: Header=BB300_669 Depth=1
	v_bfrev_b32_e32 v63, 1
	s_mov_b32 s7, exec_lo
	v_cmpx_ne_u16_e32 0x80, v1
	s_cbranch_execz .LBB300_1244
; %bb.1239:                             ;   in Loop: Header=BB300_669 Depth=1
	v_and_b32_e32 v64, 0xffff, v1
	v_mov_b32_e32 v63, 0x7c010000
	s_mov_b32 s13, exec_lo
	s_delay_alu instid0(VALU_DEP_2) | instskip(NEXT) | instid1(VALU_DEP_1)
	v_and_b32_e32 v66, 0x7f, v64
	v_cmpx_ne_u32_e32 0x7f, v66
	s_cbranch_execz .LBB300_1243
; %bb.1240:                             ;   in Loop: Header=BB300_669 Depth=1
	v_and_b32_e32 v63, 7, v64
	v_lshrrev_b32_e32 v65, 3, v66
	s_mov_b32 s14, exec_lo
	v_cmpx_gt_u32_e32 8, v66
; %bb.1241:                             ;   in Loop: Header=BB300_669 Depth=1
	s_delay_alu instid0(VALU_DEP_3) | instskip(NEXT) | instid1(VALU_DEP_1)
	v_clz_i32_u32_e32 v63, v63
	v_min_u32_e32 v63, 32, v63
	s_delay_alu instid0(VALU_DEP_1) | instskip(NEXT) | instid1(VALU_DEP_1)
	v_subrev_nc_u32_e32 v65, 28, v63
	v_lshlrev_b64_e32 v[66:67], v65, v[1:2]
	v_sub_nc_u32_e32 v65, 29, v63
	s_delay_alu instid0(VALU_DEP_2)
	v_and_b32_e32 v63, 7, v66
; %bb.1242:                             ;   in Loop: Header=BB300_669 Depth=1
	s_wait_alu 0xfffe
	s_or_b32 exec_lo, exec_lo, s14
	v_lshlrev_b32_e32 v1, 8, v64
	v_lshl_add_u32 v64, v65, 10, 0x2000
	v_lshlrev_b32_e32 v63, 23, v63
	s_delay_alu instid0(VALU_DEP_2) | instskip(NEXT) | instid1(VALU_DEP_1)
	v_and_or_b32 v1, 0x8000, v1, v64
	v_lshl_or_b32 v63, v1, 16, v63
.LBB300_1243:                           ;   in Loop: Header=BB300_669 Depth=1
	s_or_b32 exec_lo, exec_lo, s13
.LBB300_1244:                           ;   in Loop: Header=BB300_669 Depth=1
	s_wait_alu 0xfffe
	s_or_b32 exec_lo, exec_lo, s7
.LBB300_1245:                           ;   in Loop: Header=BB300_669 Depth=1
	s_wait_alu 0xfffe
	s_or_b32 exec_lo, exec_lo, s6
	v_lshrrev_b32_e32 v1, 16, v10
	s_mov_b32 s6, exec_lo
	s_delay_alu instid0(VALU_DEP_1) | instskip(NEXT) | instid1(VALU_DEP_1)
	v_and_b32_e32 v64, 0xff, v1
	v_cmpx_ne_u16_e32 0, v64
	s_cbranch_execz .LBB300_1253
; %bb.1246:                             ;   in Loop: Header=BB300_669 Depth=1
	v_mov_b32_e32 v61, 0x8000
	s_mov_b32 s7, exec_lo
	v_cmpx_ne_u16_e32 0x80, v64
	s_cbranch_execz .LBB300_1252
; %bb.1247:                             ;   in Loop: Header=BB300_669 Depth=1
	v_bfe_u32 v65, v10, 16, 7
	v_mov_b32_e32 v61, 0x7c01
	s_mov_b32 s13, exec_lo
	s_delay_alu instid0(VALU_DEP_2)
	v_cmpx_ne_u32_e32 0x7f, v65
	s_cbranch_execz .LBB300_1251
; %bb.1248:                             ;   in Loop: Header=BB300_669 Depth=1
	v_and_b32_e32 v61, 7, v1
	v_lshrrev_b32_e32 v64, 3, v65
	s_mov_b32 s14, exec_lo
	v_cmpx_gt_u32_e32 8, v65
; %bb.1249:                             ;   in Loop: Header=BB300_669 Depth=1
	s_delay_alu instid0(VALU_DEP_3) | instskip(NEXT) | instid1(VALU_DEP_1)
	v_clz_i32_u32_e32 v61, v61
	v_min_u32_e32 v61, 32, v61
	s_delay_alu instid0(VALU_DEP_1) | instskip(NEXT) | instid1(VALU_DEP_1)
	v_subrev_nc_u32_e32 v64, 28, v61
	v_lshlrev_b64_e32 v[65:66], v64, v[1:2]
	v_sub_nc_u32_e32 v64, 29, v61
	s_delay_alu instid0(VALU_DEP_2)
	v_and_b32_e32 v61, 7, v65
; %bb.1250:                             ;   in Loop: Header=BB300_669 Depth=1
	s_wait_alu 0xfffe
	s_or_b32 exec_lo, exec_lo, s14
	v_lshlrev_b32_e32 v1, 8, v1
	v_lshl_add_u32 v64, v64, 10, 0x2000
	v_lshlrev_b32_e32 v61, 7, v61
	s_delay_alu instid0(VALU_DEP_3) | instskip(NEXT) | instid1(VALU_DEP_3)
	v_and_b32_e32 v1, 0x8000, v1
	v_and_b32_e32 v64, 0xfc00, v64
	s_delay_alu instid0(VALU_DEP_1)
	v_or3_b32 v61, v1, v64, v61
.LBB300_1251:                           ;   in Loop: Header=BB300_669 Depth=1
	s_or_b32 exec_lo, exec_lo, s13
.LBB300_1252:                           ;   in Loop: Header=BB300_669 Depth=1
	s_wait_alu 0xfffe
	s_or_b32 exec_lo, exec_lo, s7
.LBB300_1253:                           ;   in Loop: Header=BB300_669 Depth=1
	s_wait_alu 0xfffe
	s_or_b32 exec_lo, exec_lo, s6
	v_cmp_lt_u64_e64 s0, s[2:3], v[9:10]
	v_mov_b32_e32 v9, 0
	s_and_saveexec_b32 s6, s0
	s_cbranch_execz .LBB300_1261
; %bb.1254:                             ;   in Loop: Header=BB300_669 Depth=1
	v_lshrrev_b32_e32 v1, 24, v10
	v_bfrev_b32_e32 v9, 1
	s_mov_b32 s7, exec_lo
	s_delay_alu instid0(VALU_DEP_2)
	v_cmpx_ne_u32_e32 0x80, v1
	s_cbranch_execz .LBB300_1260
; %bb.1255:                             ;   in Loop: Header=BB300_669 Depth=1
	v_and_b32_e32 v64, 0x7f, v1
	v_mov_b32_e32 v9, 0x7c010000
	s_mov_b32 s13, exec_lo
	s_delay_alu instid0(VALU_DEP_2)
	v_cmpx_ne_u32_e32 0x7f, v64
	s_cbranch_execz .LBB300_1259
; %bb.1256:                             ;   in Loop: Header=BB300_669 Depth=1
	v_and_b32_e32 v9, 7, v1
	v_lshrrev_b32_e32 v10, 3, v64
	s_mov_b32 s14, exec_lo
	v_cmpx_gt_u32_e32 8, v64
; %bb.1257:                             ;   in Loop: Header=BB300_669 Depth=1
	s_delay_alu instid0(VALU_DEP_3) | instskip(NEXT) | instid1(VALU_DEP_1)
	v_clz_i32_u32_e32 v9, v9
	v_min_u32_e32 v64, 32, v9
	s_delay_alu instid0(VALU_DEP_1) | instskip(NEXT) | instid1(VALU_DEP_1)
	v_subrev_nc_u32_e32 v9, 28, v64
	v_lshlrev_b64_e32 v[9:10], v9, v[1:2]
	v_sub_nc_u32_e32 v10, 29, v64
	s_delay_alu instid0(VALU_DEP_2)
	v_and_b32_e32 v9, 7, v9
; %bb.1258:                             ;   in Loop: Header=BB300_669 Depth=1
	s_wait_alu 0xfffe
	s_or_b32 exec_lo, exec_lo, s14
	v_lshlrev_b32_e32 v1, 8, v1
	v_lshl_add_u32 v10, v10, 10, 0x2000
	v_lshlrev_b32_e32 v9, 23, v9
	s_delay_alu instid0(VALU_DEP_2) | instskip(NEXT) | instid1(VALU_DEP_1)
	v_and_or_b32 v1, 0x8000, v1, v10
	v_lshl_or_b32 v9, v1, 16, v9
.LBB300_1259:                           ;   in Loop: Header=BB300_669 Depth=1
	s_or_b32 exec_lo, exec_lo, s13
.LBB300_1260:                           ;   in Loop: Header=BB300_669 Depth=1
	s_wait_alu 0xfffe
	s_or_b32 exec_lo, exec_lo, s7
.LBB300_1261:                           ;   in Loop: Header=BB300_669 Depth=1
	s_wait_alu 0xfffe
	s_or_b32 exec_lo, exec_lo, s6
	v_or_b32_e32 v1, v59, v60
	s_wait_loadcnt 0x0
	v_fma_mixlo_f16 v10, v56, v59, 0 op_sel:[0,1,0] op_sel_hi:[0,1,0]
	v_or_b32_e32 v59, v57, v58
	v_fma_mixlo_f16 v57, v56, v57, 0 op_sel:[0,1,0] op_sel_hi:[0,1,0]
	v_or_b32_e32 v60, v63, v62
	v_or_b32_e32 v61, v9, v61
	v_fma_mixlo_f16 v62, v56, v1, 0 op_sel_hi:[0,1,0]
	v_fma_mixlo_f16 v9, v56, v9, 0 op_sel:[0,1,0] op_sel_hi:[0,1,0]
	v_lshlrev_b32_e32 v58, 16, v57
	v_fma_mixlo_f16 v57, v56, v59, 0 op_sel_hi:[0,1,0]
	v_fma_mixlo_f16 v59, v56, v63, 0 op_sel:[0,1,0] op_sel_hi:[0,1,0]
	v_fma_mixlo_f16 v60, v56, v60, 0 op_sel_hi:[0,1,0]
	v_fma_mixlo_f16 v61, v56, v61, 0 op_sel_hi:[0,1,0]
	v_lshlrev_b32_e32 v1, 16, v10
	v_and_b32_e32 v10, 0xffff, v62
	v_and_b32_e32 v64, 0xffff, v57
	v_lshlrev_b32_e32 v56, 16, v59
	v_and_b32_e32 v60, 0xffff, v60
	v_lshlrev_b32_e32 v9, 16, v9
	v_and_b32_e32 v57, 0xffff, v61
	v_or_b32_e32 v59, v1, v10
	v_or_b32_e32 v63, v58, v64
	v_or_b32_e32 v62, v56, v60
	s_delay_alu instid0(VALU_DEP_4)
	v_or_b32_e32 v61, v9, v57
	s_and_saveexec_b32 s6, vcc_lo
	s_cbranch_execz .LBB300_1263
; %bb.1262:                             ;   in Loop: Header=BB300_669 Depth=1
	v_cmp_gt_i32_e64 s0, s27, v14
	s_wait_alu 0xf1ff
	s_delay_alu instid0(VALU_DEP_1) | instskip(SKIP_2) | instid1(VALU_DEP_1)
	v_cndmask_b32_e64 v59, 0, v64, s0
	v_cmp_gt_i32_e64 s0, s27, v38
	s_wait_alu 0xf1ff
	v_cndmask_b32_e64 v58, 0, v58, s0
	v_cmp_gt_i32_e64 s0, s27, v35
	s_delay_alu instid0(VALU_DEP_2) | instskip(SKIP_1) | instid1(VALU_DEP_2)
	v_or_b32_e32 v63, v58, v59
	s_wait_alu 0xf1ff
	v_cndmask_b32_e64 v10, 0, v10, s0
	v_cmp_gt_i32_e64 s0, s27, v33
	s_wait_alu 0xf1ff
	s_delay_alu instid0(VALU_DEP_1) | instskip(SKIP_1) | instid1(VALU_DEP_2)
	v_cndmask_b32_e64 v1, 0, v1, s0
	v_cmp_gt_i32_e64 s0, s27, v32
	v_or_b32_e32 v59, v1, v10
	s_wait_alu 0xf1ff
	s_delay_alu instid0(VALU_DEP_2) | instskip(SKIP_2) | instid1(VALU_DEP_1)
	v_cndmask_b32_e64 v60, 0, v60, s0
	v_cmp_gt_i32_e64 s0, s27, v31
	s_wait_alu 0xf1ff
	v_cndmask_b32_e64 v56, 0, v56, s0
	v_cmp_gt_i32_e64 s0, s27, v30
	s_delay_alu instid0(VALU_DEP_2) | instskip(SKIP_1) | instid1(VALU_DEP_2)
	v_or_b32_e32 v62, v56, v60
	s_wait_alu 0xf1ff
	v_cndmask_b32_e64 v57, 0, v57, s0
	v_cmp_gt_i32_e64 s0, s27, v28
	s_wait_alu 0xf1ff
	s_delay_alu instid0(VALU_DEP_1) | instskip(NEXT) | instid1(VALU_DEP_1)
	v_cndmask_b32_e64 v9, 0, v9, s0
	v_or_b32_e32 v61, v9, v57
.LBB300_1263:                           ;   in Loop: Header=BB300_669 Depth=1
	s_wait_alu 0xfffe
	s_or_b32 exec_lo, exec_lo, s6
	;;#ASMSTART
	v_pk_mul_f16 v1, v40, v63;

	;;#ASMEND
	;;#ASMSTART
	v_pk_mul_f16 v9, v37, v59;

	;;#ASMEND
	;; [unrolled: 4-line block ×4, first 2 shown]
	;;#ASMSTART
	v_pk_add_f16 v1, v1, v9;

	;;#ASMEND
	;;#ASMSTART
	v_pk_add_f16 v1, v1, v10;

	;;#ASMEND
	;; [unrolled: 4-line block ×3, first 2 shown]
	v_dual_mov_b32 v58, 0 :: v_dual_and_b32 v9, 0xffff, v1
	v_lshrrev_b32_e32 v1, 16, v1
	;;#ASMSTART
	v_cvt_f32_f16 v9, v9;
	;;#ASMEND
	;;#ASMSTART
	v_cvt_f32_f16 v10, v1;
	;;#ASMEND
	global_load_b64 v[7:8], v[7:8], off offset:2304
	v_mov_b32_e32 v57, 0
	s_mov_b32 s6, exec_lo
	global_load_b32 v56, v57, s[10:11]
	s_wait_loadcnt 0x1
	v_and_b32_e32 v1, 0xff, v7
	s_delay_alu instid0(VALU_DEP_1)
	v_cmpx_ne_u16_e32 0, v1
	s_cbranch_execz .LBB300_1271
; %bb.1264:                             ;   in Loop: Header=BB300_669 Depth=1
	v_mov_b32_e32 v58, 0x8000
	s_mov_b32 s7, exec_lo
	v_cmpx_ne_u16_e32 0x80, v1
	s_cbranch_execz .LBB300_1270
; %bb.1265:                             ;   in Loop: Header=BB300_669 Depth=1
	v_and_b32_e32 v59, 0x7f, v7
	v_mov_b32_e32 v58, 0x7c01
	s_mov_b32 s13, exec_lo
	s_delay_alu instid0(VALU_DEP_2)
	v_cmpx_ne_u32_e32 0x7f, v59
	s_cbranch_execz .LBB300_1269
; %bb.1266:                             ;   in Loop: Header=BB300_669 Depth=1
	v_and_b32_e32 v1, 7, v7
	v_lshrrev_b32_e32 v58, 3, v59
	s_mov_b32 s14, exec_lo
	v_cmpx_gt_u32_e32 8, v59
; %bb.1267:                             ;   in Loop: Header=BB300_669 Depth=1
	s_delay_alu instid0(VALU_DEP_3) | instskip(NEXT) | instid1(VALU_DEP_1)
	v_clz_i32_u32_e32 v1, v1
	v_min_u32_e32 v1, 32, v1
	s_delay_alu instid0(VALU_DEP_1) | instskip(NEXT) | instid1(VALU_DEP_1)
	v_subrev_nc_u32_e32 v58, 28, v1
	v_lshlrev_b64_e32 v[59:60], v58, v[7:8]
	v_sub_nc_u32_e32 v58, 29, v1
	s_delay_alu instid0(VALU_DEP_2)
	v_and_b32_e32 v1, 7, v59
; %bb.1268:                             ;   in Loop: Header=BB300_669 Depth=1
	s_wait_alu 0xfffe
	s_or_b32 exec_lo, exec_lo, s14
	v_lshlrev_b32_e32 v59, 8, v7
	v_lshl_add_u32 v58, v58, 10, 0x2000
	v_lshlrev_b32_e32 v1, 7, v1
	s_delay_alu instid0(VALU_DEP_3) | instskip(NEXT) | instid1(VALU_DEP_3)
	v_and_b32_e32 v59, 0x8000, v59
	v_and_b32_e32 v58, 0xfc00, v58
	s_delay_alu instid0(VALU_DEP_1)
	v_or3_b32 v58, v59, v58, v1
.LBB300_1269:                           ;   in Loop: Header=BB300_669 Depth=1
	s_or_b32 exec_lo, exec_lo, s13
.LBB300_1270:                           ;   in Loop: Header=BB300_669 Depth=1
	s_wait_alu 0xfffe
	s_or_b32 exec_lo, exec_lo, s7
.LBB300_1271:                           ;   in Loop: Header=BB300_669 Depth=1
	s_wait_alu 0xfffe
	s_or_b32 exec_lo, exec_lo, s6
	v_lshrrev_b16 v1, 8, v7
	s_mov_b32 s6, exec_lo
	s_delay_alu instid0(VALU_DEP_1)
	v_cmpx_ne_u16_e32 0, v1
	s_cbranch_execz .LBB300_1279
; %bb.1272:                             ;   in Loop: Header=BB300_669 Depth=1
	v_bfrev_b32_e32 v57, 1
	s_mov_b32 s7, exec_lo
	v_cmpx_ne_u16_e32 0x80, v1
	s_cbranch_execz .LBB300_1278
; %bb.1273:                             ;   in Loop: Header=BB300_669 Depth=1
	v_and_b32_e32 v59, 0xffff, v1
	v_mov_b32_e32 v57, 0x7c010000
	s_mov_b32 s13, exec_lo
	s_delay_alu instid0(VALU_DEP_2) | instskip(NEXT) | instid1(VALU_DEP_1)
	v_and_b32_e32 v61, 0x7f, v59
	v_cmpx_ne_u32_e32 0x7f, v61
	s_cbranch_execz .LBB300_1277
; %bb.1274:                             ;   in Loop: Header=BB300_669 Depth=1
	v_and_b32_e32 v57, 7, v59
	v_lshrrev_b32_e32 v60, 3, v61
	s_mov_b32 s14, exec_lo
	v_cmpx_gt_u32_e32 8, v61
; %bb.1275:                             ;   in Loop: Header=BB300_669 Depth=1
	s_delay_alu instid0(VALU_DEP_3) | instskip(NEXT) | instid1(VALU_DEP_1)
	v_clz_i32_u32_e32 v57, v57
	v_min_u32_e32 v57, 32, v57
	s_delay_alu instid0(VALU_DEP_1) | instskip(NEXT) | instid1(VALU_DEP_1)
	v_subrev_nc_u32_e32 v60, 28, v57
	v_lshlrev_b64_e32 v[61:62], v60, v[1:2]
	v_sub_nc_u32_e32 v60, 29, v57
	s_delay_alu instid0(VALU_DEP_2)
	v_and_b32_e32 v57, 7, v61
; %bb.1276:                             ;   in Loop: Header=BB300_669 Depth=1
	s_wait_alu 0xfffe
	s_or_b32 exec_lo, exec_lo, s14
	v_lshlrev_b32_e32 v1, 8, v59
	v_lshl_add_u32 v59, v60, 10, 0x2000
	v_lshlrev_b32_e32 v57, 23, v57
	s_delay_alu instid0(VALU_DEP_2) | instskip(NEXT) | instid1(VALU_DEP_1)
	v_and_or_b32 v1, 0x8000, v1, v59
	v_lshl_or_b32 v57, v1, 16, v57
.LBB300_1277:                           ;   in Loop: Header=BB300_669 Depth=1
	s_or_b32 exec_lo, exec_lo, s13
.LBB300_1278:                           ;   in Loop: Header=BB300_669 Depth=1
	s_wait_alu 0xfffe
	s_or_b32 exec_lo, exec_lo, s7
.LBB300_1279:                           ;   in Loop: Header=BB300_669 Depth=1
	s_wait_alu 0xfffe
	s_or_b32 exec_lo, exec_lo, s6
	v_lshrrev_b32_e32 v1, 16, v7
	v_mov_b32_e32 v59, 0
	s_mov_b32 s6, exec_lo
	s_delay_alu instid0(VALU_DEP_2) | instskip(NEXT) | instid1(VALU_DEP_1)
	v_dual_mov_b32 v60, 0 :: v_dual_and_b32 v61, 0xff, v1
	v_cmpx_ne_u16_e32 0, v61
	s_cbranch_execz .LBB300_1287
; %bb.1280:                             ;   in Loop: Header=BB300_669 Depth=1
	v_mov_b32_e32 v60, 0x8000
	s_mov_b32 s7, exec_lo
	v_cmpx_ne_u16_e32 0x80, v61
	s_cbranch_execz .LBB300_1286
; %bb.1281:                             ;   in Loop: Header=BB300_669 Depth=1
	v_bfe_u32 v62, v7, 16, 7
	v_mov_b32_e32 v60, 0x7c01
	s_mov_b32 s13, exec_lo
	s_delay_alu instid0(VALU_DEP_2)
	v_cmpx_ne_u32_e32 0x7f, v62
	s_cbranch_execz .LBB300_1285
; %bb.1282:                             ;   in Loop: Header=BB300_669 Depth=1
	v_and_b32_e32 v60, 7, v1
	v_lshrrev_b32_e32 v61, 3, v62
	s_mov_b32 s14, exec_lo
	v_cmpx_gt_u32_e32 8, v62
; %bb.1283:                             ;   in Loop: Header=BB300_669 Depth=1
	s_delay_alu instid0(VALU_DEP_3) | instskip(NEXT) | instid1(VALU_DEP_1)
	v_clz_i32_u32_e32 v60, v60
	v_min_u32_e32 v62, 32, v60
	s_delay_alu instid0(VALU_DEP_1) | instskip(NEXT) | instid1(VALU_DEP_1)
	v_subrev_nc_u32_e32 v60, 28, v62
	v_lshlrev_b64_e32 v[60:61], v60, v[1:2]
	v_sub_nc_u32_e32 v61, 29, v62
	s_delay_alu instid0(VALU_DEP_2)
	v_and_b32_e32 v60, 7, v60
; %bb.1284:                             ;   in Loop: Header=BB300_669 Depth=1
	s_wait_alu 0xfffe
	s_or_b32 exec_lo, exec_lo, s14
	v_lshlrev_b32_e32 v1, 8, v1
	v_lshl_add_u32 v61, v61, 10, 0x2000
	v_lshlrev_b32_e32 v60, 7, v60
	s_delay_alu instid0(VALU_DEP_3) | instskip(NEXT) | instid1(VALU_DEP_3)
	v_and_b32_e32 v1, 0x8000, v1
	v_and_b32_e32 v61, 0xfc00, v61
	s_delay_alu instid0(VALU_DEP_1)
	v_or3_b32 v60, v1, v61, v60
.LBB300_1285:                           ;   in Loop: Header=BB300_669 Depth=1
	s_or_b32 exec_lo, exec_lo, s13
.LBB300_1286:                           ;   in Loop: Header=BB300_669 Depth=1
	s_wait_alu 0xfffe
	s_or_b32 exec_lo, exec_lo, s7
.LBB300_1287:                           ;   in Loop: Header=BB300_669 Depth=1
	s_wait_alu 0xfffe
	s_or_b32 exec_lo, exec_lo, s6
	s_delay_alu instid0(SALU_CYCLE_1)
	s_mov_b32 s6, exec_lo
	v_cmpx_lt_u32_e32 0xffffff, v7
	s_cbranch_execz .LBB300_1295
; %bb.1288:                             ;   in Loop: Header=BB300_669 Depth=1
	v_lshrrev_b32_e32 v1, 24, v7
	v_bfrev_b32_e32 v59, 1
	s_mov_b32 s7, exec_lo
	s_delay_alu instid0(VALU_DEP_2)
	v_cmpx_ne_u32_e32 0x80, v1
	s_cbranch_execz .LBB300_1294
; %bb.1289:                             ;   in Loop: Header=BB300_669 Depth=1
	v_and_b32_e32 v62, 0x7f, v1
	v_mov_b32_e32 v59, 0x7c010000
	s_mov_b32 s13, exec_lo
	s_delay_alu instid0(VALU_DEP_2)
	v_cmpx_ne_u32_e32 0x7f, v62
	s_cbranch_execz .LBB300_1293
; %bb.1290:                             ;   in Loop: Header=BB300_669 Depth=1
	v_and_b32_e32 v59, 7, v1
	v_lshrrev_b32_e32 v61, 3, v62
	s_mov_b32 s14, exec_lo
	v_cmpx_gt_u32_e32 8, v62
; %bb.1291:                             ;   in Loop: Header=BB300_669 Depth=1
	s_delay_alu instid0(VALU_DEP_3) | instskip(NEXT) | instid1(VALU_DEP_1)
	v_clz_i32_u32_e32 v59, v59
	v_min_u32_e32 v59, 32, v59
	s_delay_alu instid0(VALU_DEP_1) | instskip(NEXT) | instid1(VALU_DEP_1)
	v_subrev_nc_u32_e32 v61, 28, v59
	v_lshlrev_b64_e32 v[62:63], v61, v[1:2]
	v_sub_nc_u32_e32 v61, 29, v59
	s_delay_alu instid0(VALU_DEP_2)
	v_and_b32_e32 v59, 7, v62
; %bb.1292:                             ;   in Loop: Header=BB300_669 Depth=1
	s_wait_alu 0xfffe
	s_or_b32 exec_lo, exec_lo, s14
	v_lshlrev_b32_e32 v1, 8, v1
	v_lshl_add_u32 v61, v61, 10, 0x2000
	v_lshlrev_b32_e32 v59, 23, v59
	s_delay_alu instid0(VALU_DEP_2) | instskip(NEXT) | instid1(VALU_DEP_1)
	v_and_or_b32 v1, 0x8000, v1, v61
	v_lshl_or_b32 v59, v1, 16, v59
.LBB300_1293:                           ;   in Loop: Header=BB300_669 Depth=1
	s_or_b32 exec_lo, exec_lo, s13
.LBB300_1294:                           ;   in Loop: Header=BB300_669 Depth=1
	s_wait_alu 0xfffe
	s_or_b32 exec_lo, exec_lo, s7
.LBB300_1295:                           ;   in Loop: Header=BB300_669 Depth=1
	s_wait_alu 0xfffe
	s_or_b32 exec_lo, exec_lo, s6
	v_dual_mov_b32 v62, 0 :: v_dual_and_b32 v63, 0xff, v8
	v_mov_b32_e32 v1, v8
	v_mov_b32_e32 v61, 0
	s_mov_b32 s6, exec_lo
	s_delay_alu instid0(VALU_DEP_3)
	v_cmpx_ne_u16_e32 0, v63
	s_cbranch_execz .LBB300_1303
; %bb.1296:                             ;   in Loop: Header=BB300_669 Depth=1
	v_mov_b32_e32 v62, 0x8000
	s_mov_b32 s7, exec_lo
	v_cmpx_ne_u16_e32 0x80, v63
	s_cbranch_execz .LBB300_1302
; %bb.1297:                             ;   in Loop: Header=BB300_669 Depth=1
	v_and_b32_e32 v64, 0x7f, v8
	v_mov_b32_e32 v62, 0x7c01
	s_mov_b32 s13, exec_lo
	s_delay_alu instid0(VALU_DEP_2)
	v_cmpx_ne_u32_e32 0x7f, v64
	s_cbranch_execz .LBB300_1301
; %bb.1298:                             ;   in Loop: Header=BB300_669 Depth=1
	v_and_b32_e32 v62, 7, v8
	v_lshrrev_b32_e32 v63, 3, v64
	s_mov_b32 s14, exec_lo
	v_cmpx_gt_u32_e32 8, v64
; %bb.1299:                             ;   in Loop: Header=BB300_669 Depth=1
	s_delay_alu instid0(VALU_DEP_3) | instskip(NEXT) | instid1(VALU_DEP_1)
	v_clz_i32_u32_e32 v62, v62
	v_min_u32_e32 v64, 32, v62
	s_delay_alu instid0(VALU_DEP_1) | instskip(NEXT) | instid1(VALU_DEP_1)
	v_subrev_nc_u32_e32 v62, 28, v64
	v_lshlrev_b64_e32 v[62:63], v62, v[1:2]
	v_sub_nc_u32_e32 v63, 29, v64
	s_delay_alu instid0(VALU_DEP_2)
	v_and_b32_e32 v62, 7, v62
; %bb.1300:                             ;   in Loop: Header=BB300_669 Depth=1
	s_wait_alu 0xfffe
	s_or_b32 exec_lo, exec_lo, s14
	v_lshlrev_b32_e32 v64, 8, v8
	v_lshl_add_u32 v63, v63, 10, 0x2000
	v_lshlrev_b32_e32 v62, 7, v62
	s_delay_alu instid0(VALU_DEP_3) | instskip(NEXT) | instid1(VALU_DEP_3)
	v_and_b32_e32 v64, 0x8000, v64
	v_and_b32_e32 v63, 0xfc00, v63
	s_delay_alu instid0(VALU_DEP_1)
	v_or3_b32 v62, v64, v63, v62
.LBB300_1301:                           ;   in Loop: Header=BB300_669 Depth=1
	s_or_b32 exec_lo, exec_lo, s13
.LBB300_1302:                           ;   in Loop: Header=BB300_669 Depth=1
	s_wait_alu 0xfffe
	s_or_b32 exec_lo, exec_lo, s7
.LBB300_1303:                           ;   in Loop: Header=BB300_669 Depth=1
	s_wait_alu 0xfffe
	s_or_b32 exec_lo, exec_lo, s6
	v_lshrrev_b16 v1, 8, v1
	v_mov_b32_e32 v63, 0
	s_mov_b32 s6, exec_lo
	s_delay_alu instid0(VALU_DEP_2)
	v_cmpx_ne_u16_e32 0, v1
	s_cbranch_execz .LBB300_1311
; %bb.1304:                             ;   in Loop: Header=BB300_669 Depth=1
	v_bfrev_b32_e32 v63, 1
	s_mov_b32 s7, exec_lo
	v_cmpx_ne_u16_e32 0x80, v1
	s_cbranch_execz .LBB300_1310
; %bb.1305:                             ;   in Loop: Header=BB300_669 Depth=1
	v_and_b32_e32 v64, 0xffff, v1
	v_mov_b32_e32 v63, 0x7c010000
	s_mov_b32 s13, exec_lo
	s_delay_alu instid0(VALU_DEP_2) | instskip(NEXT) | instid1(VALU_DEP_1)
	v_and_b32_e32 v66, 0x7f, v64
	v_cmpx_ne_u32_e32 0x7f, v66
	s_cbranch_execz .LBB300_1309
; %bb.1306:                             ;   in Loop: Header=BB300_669 Depth=1
	v_and_b32_e32 v63, 7, v64
	v_lshrrev_b32_e32 v65, 3, v66
	s_mov_b32 s14, exec_lo
	v_cmpx_gt_u32_e32 8, v66
; %bb.1307:                             ;   in Loop: Header=BB300_669 Depth=1
	s_delay_alu instid0(VALU_DEP_3) | instskip(NEXT) | instid1(VALU_DEP_1)
	v_clz_i32_u32_e32 v63, v63
	v_min_u32_e32 v63, 32, v63
	s_delay_alu instid0(VALU_DEP_1) | instskip(NEXT) | instid1(VALU_DEP_1)
	v_subrev_nc_u32_e32 v65, 28, v63
	v_lshlrev_b64_e32 v[66:67], v65, v[1:2]
	v_sub_nc_u32_e32 v65, 29, v63
	s_delay_alu instid0(VALU_DEP_2)
	v_and_b32_e32 v63, 7, v66
; %bb.1308:                             ;   in Loop: Header=BB300_669 Depth=1
	s_wait_alu 0xfffe
	s_or_b32 exec_lo, exec_lo, s14
	v_lshlrev_b32_e32 v1, 8, v64
	v_lshl_add_u32 v64, v65, 10, 0x2000
	v_lshlrev_b32_e32 v63, 23, v63
	s_delay_alu instid0(VALU_DEP_2) | instskip(NEXT) | instid1(VALU_DEP_1)
	v_and_or_b32 v1, 0x8000, v1, v64
	v_lshl_or_b32 v63, v1, 16, v63
.LBB300_1309:                           ;   in Loop: Header=BB300_669 Depth=1
	s_or_b32 exec_lo, exec_lo, s13
.LBB300_1310:                           ;   in Loop: Header=BB300_669 Depth=1
	s_wait_alu 0xfffe
	s_or_b32 exec_lo, exec_lo, s7
.LBB300_1311:                           ;   in Loop: Header=BB300_669 Depth=1
	s_wait_alu 0xfffe
	s_or_b32 exec_lo, exec_lo, s6
	v_lshrrev_b32_e32 v1, 16, v8
	s_mov_b32 s6, exec_lo
	s_delay_alu instid0(VALU_DEP_1) | instskip(NEXT) | instid1(VALU_DEP_1)
	v_and_b32_e32 v64, 0xff, v1
	v_cmpx_ne_u16_e32 0, v64
	s_cbranch_execz .LBB300_1319
; %bb.1312:                             ;   in Loop: Header=BB300_669 Depth=1
	v_mov_b32_e32 v61, 0x8000
	s_mov_b32 s7, exec_lo
	v_cmpx_ne_u16_e32 0x80, v64
	s_cbranch_execz .LBB300_1318
; %bb.1313:                             ;   in Loop: Header=BB300_669 Depth=1
	v_bfe_u32 v65, v8, 16, 7
	v_mov_b32_e32 v61, 0x7c01
	s_mov_b32 s13, exec_lo
	s_delay_alu instid0(VALU_DEP_2)
	v_cmpx_ne_u32_e32 0x7f, v65
	s_cbranch_execz .LBB300_1317
; %bb.1314:                             ;   in Loop: Header=BB300_669 Depth=1
	v_and_b32_e32 v61, 7, v1
	v_lshrrev_b32_e32 v64, 3, v65
	s_mov_b32 s14, exec_lo
	v_cmpx_gt_u32_e32 8, v65
; %bb.1315:                             ;   in Loop: Header=BB300_669 Depth=1
	s_delay_alu instid0(VALU_DEP_3) | instskip(NEXT) | instid1(VALU_DEP_1)
	v_clz_i32_u32_e32 v61, v61
	v_min_u32_e32 v61, 32, v61
	s_delay_alu instid0(VALU_DEP_1) | instskip(NEXT) | instid1(VALU_DEP_1)
	v_subrev_nc_u32_e32 v64, 28, v61
	v_lshlrev_b64_e32 v[65:66], v64, v[1:2]
	v_sub_nc_u32_e32 v64, 29, v61
	s_delay_alu instid0(VALU_DEP_2)
	v_and_b32_e32 v61, 7, v65
; %bb.1316:                             ;   in Loop: Header=BB300_669 Depth=1
	s_wait_alu 0xfffe
	s_or_b32 exec_lo, exec_lo, s14
	v_lshlrev_b32_e32 v1, 8, v1
	v_lshl_add_u32 v64, v64, 10, 0x2000
	v_lshlrev_b32_e32 v61, 7, v61
	s_delay_alu instid0(VALU_DEP_3) | instskip(NEXT) | instid1(VALU_DEP_3)
	v_and_b32_e32 v1, 0x8000, v1
	v_and_b32_e32 v64, 0xfc00, v64
	s_delay_alu instid0(VALU_DEP_1)
	v_or3_b32 v61, v1, v64, v61
.LBB300_1317:                           ;   in Loop: Header=BB300_669 Depth=1
	s_or_b32 exec_lo, exec_lo, s13
.LBB300_1318:                           ;   in Loop: Header=BB300_669 Depth=1
	s_wait_alu 0xfffe
	s_or_b32 exec_lo, exec_lo, s7
.LBB300_1319:                           ;   in Loop: Header=BB300_669 Depth=1
	s_wait_alu 0xfffe
	s_or_b32 exec_lo, exec_lo, s6
	v_cmp_lt_u64_e64 s0, s[2:3], v[7:8]
	v_mov_b32_e32 v7, 0
	s_and_saveexec_b32 s6, s0
	s_cbranch_execz .LBB300_1327
; %bb.1320:                             ;   in Loop: Header=BB300_669 Depth=1
	v_lshrrev_b32_e32 v1, 24, v8
	v_bfrev_b32_e32 v7, 1
	s_mov_b32 s7, exec_lo
	s_delay_alu instid0(VALU_DEP_2)
	v_cmpx_ne_u32_e32 0x80, v1
	s_cbranch_execz .LBB300_1326
; %bb.1321:                             ;   in Loop: Header=BB300_669 Depth=1
	v_and_b32_e32 v64, 0x7f, v1
	v_mov_b32_e32 v7, 0x7c010000
	s_mov_b32 s13, exec_lo
	s_delay_alu instid0(VALU_DEP_2)
	v_cmpx_ne_u32_e32 0x7f, v64
	s_cbranch_execz .LBB300_1325
; %bb.1322:                             ;   in Loop: Header=BB300_669 Depth=1
	v_and_b32_e32 v7, 7, v1
	v_lshrrev_b32_e32 v8, 3, v64
	s_mov_b32 s14, exec_lo
	v_cmpx_gt_u32_e32 8, v64
; %bb.1323:                             ;   in Loop: Header=BB300_669 Depth=1
	s_delay_alu instid0(VALU_DEP_3) | instskip(NEXT) | instid1(VALU_DEP_1)
	v_clz_i32_u32_e32 v7, v7
	v_min_u32_e32 v64, 32, v7
	s_delay_alu instid0(VALU_DEP_1) | instskip(NEXT) | instid1(VALU_DEP_1)
	v_subrev_nc_u32_e32 v7, 28, v64
	v_lshlrev_b64_e32 v[7:8], v7, v[1:2]
	v_sub_nc_u32_e32 v8, 29, v64
	s_delay_alu instid0(VALU_DEP_2)
	v_and_b32_e32 v7, 7, v7
; %bb.1324:                             ;   in Loop: Header=BB300_669 Depth=1
	s_wait_alu 0xfffe
	s_or_b32 exec_lo, exec_lo, s14
	v_lshlrev_b32_e32 v1, 8, v1
	v_lshl_add_u32 v8, v8, 10, 0x2000
	v_lshlrev_b32_e32 v7, 23, v7
	s_delay_alu instid0(VALU_DEP_2) | instskip(NEXT) | instid1(VALU_DEP_1)
	v_and_or_b32 v1, 0x8000, v1, v8
	v_lshl_or_b32 v7, v1, 16, v7
.LBB300_1325:                           ;   in Loop: Header=BB300_669 Depth=1
	s_or_b32 exec_lo, exec_lo, s13
.LBB300_1326:                           ;   in Loop: Header=BB300_669 Depth=1
	s_wait_alu 0xfffe
	s_or_b32 exec_lo, exec_lo, s7
.LBB300_1327:                           ;   in Loop: Header=BB300_669 Depth=1
	s_wait_alu 0xfffe
	s_or_b32 exec_lo, exec_lo, s6
	v_or_b32_e32 v1, v59, v60
	s_wait_loadcnt 0x0
	v_fma_mixlo_f16 v8, v56, v59, 0 op_sel:[0,1,0] op_sel_hi:[0,1,0]
	v_or_b32_e32 v58, v57, v58
	v_fma_mixlo_f16 v59, v56, v57, 0 op_sel:[0,1,0] op_sel_hi:[0,1,0]
	v_or_b32_e32 v60, v63, v62
	v_fma_mixlo_f16 v1, v56, v1, 0 op_sel_hi:[0,1,0]
	v_or_b32_e32 v61, v7, v61
	v_lshlrev_b32_e32 v57, 16, v8
	v_lshlrev_b32_e32 v62, 16, v59
	v_fma_mixlo_f16 v8, v56, v58, 0 op_sel_hi:[0,1,0]
	v_and_b32_e32 v59, 0xffff, v1
	v_fma_mixlo_f16 v1, v56, v63, 0 op_sel:[0,1,0] op_sel_hi:[0,1,0]
	v_fma_mixlo_f16 v58, v56, v60, 0 op_sel_hi:[0,1,0]
	v_fma_mixlo_f16 v7, v56, v7, 0 op_sel:[0,1,0] op_sel_hi:[0,1,0]
	v_fma_mixlo_f16 v56, v56, v61, 0 op_sel_hi:[0,1,0]
	v_and_b32_e32 v64, 0xffff, v8
	v_lshlrev_b32_e32 v60, 16, v1
	v_and_b32_e32 v63, 0xffff, v58
	v_lshlrev_b32_e32 v58, 16, v7
	v_and_b32_e32 v61, 0xffff, v56
	v_or_b32_e32 v1, v57, v59
	v_or_b32_e32 v56, v62, v64
	;; [unrolled: 1-line block ×3, first 2 shown]
	s_delay_alu instid0(VALU_DEP_4)
	v_or_b32_e32 v7, v58, v61
	s_and_saveexec_b32 s0, vcc_lo
	s_cbranch_execz .LBB300_668
; %bb.1328:                             ;   in Loop: Header=BB300_669 Depth=1
	v_cmp_gt_i32_e32 vcc_lo, s27, v14
	s_wait_alu 0xfffd
	v_cndmask_b32_e32 v1, 0, v64, vcc_lo
	v_cmp_gt_i32_e32 vcc_lo, s27, v38
	s_wait_alu 0xfffd
	v_cndmask_b32_e32 v7, 0, v62, vcc_lo
	;; [unrolled: 3-line block ×4, first 2 shown]
	v_cmp_gt_i32_e32 vcc_lo, s27, v32
	v_or_b32_e32 v56, v7, v1
	s_delay_alu instid0(VALU_DEP_3)
	v_or_b32_e32 v1, v14, v8
	s_wait_alu 0xfffd
	v_cndmask_b32_e32 v32, 0, v63, vcc_lo
	v_cmp_gt_i32_e32 vcc_lo, s27, v31
	s_wait_alu 0xfffd
	v_cndmask_b32_e32 v31, 0, v60, vcc_lo
	v_cmp_gt_i32_e32 vcc_lo, s27, v30
	s_delay_alu instid0(VALU_DEP_2)
	v_or_b32_e32 v8, v31, v32
	s_wait_alu 0xfffd
	v_cndmask_b32_e32 v30, 0, v61, vcc_lo
	v_cmp_gt_i32_e32 vcc_lo, s27, v28
	s_wait_alu 0xfffd
	v_cndmask_b32_e32 v33, 0, v58, vcc_lo
	s_delay_alu instid0(VALU_DEP_1)
	v_or_b32_e32 v7, v33, v30
	s_branch .LBB300_668
.LBB300_1329:
	s_or_b32 exec_lo, exec_lo, s5
.LBB300_1330:
	s_wait_alu 0xfffe
	s_or_b32 exec_lo, exec_lo, s1
	ds_bpermute_b32 v1, v17, v25
	ds_bpermute_b32 v2, v17, v27
	;; [unrolled: 1-line block ×10, first 2 shown]
	v_lshrrev_b32_e32 v13, 2, v12
	v_mul_u32_u24_e32 v11, 0x140, v11
	s_mov_b32 s0, exec_lo
	s_wait_storecnt 0x0
	s_wait_loadcnt_dscnt 0x0
	s_barrier_signal -1
	s_barrier_wait -1
	global_inv scope:SCOPE_SE
	v_dual_add_f32 v1, v25, v1 :: v_dual_add_f32 v2, v27, v2
	v_dual_add_f32 v3, v26, v3 :: v_dual_add_f32 v4, v24, v4
	;; [unrolled: 1-line block ×5, first 2 shown]
	ds_bpermute_b32 v6, v16, v1
	ds_bpermute_b32 v7, v16, v2
	;; [unrolled: 1-line block ×10, first 2 shown]
	v_and_b32_e32 v9, 28, v12
	s_wait_dscnt 0x9
	v_dual_add_f32 v10, v1, v6 :: v_dual_and_b32 v27, 0x3c3, v0
	s_wait_dscnt 0x8
	s_delay_alu instid0(VALU_DEP_2)
	v_dual_add_f32 v9, v2, v7 :: v_dual_add_nc_u32 v12, 0xc0, v9
	s_wait_dscnt 0x6
	v_dual_add_f32 v8, v3, v8 :: v_dual_add_f32 v7, v4, v21
	s_wait_dscnt 0x4
	v_dual_add_f32 v6, v5, v22 :: v_dual_add_f32 v5, v14, v23
	;; [unrolled: 2-line block ×4, first 2 shown]
	v_cmpx_eq_u32_e32 64, v27
	s_cbranch_execz .LBB300_1332
; %bb.1331:
	v_add_nc_u32_e32 v14, v12, v11
	s_delay_alu instid0(VALU_DEP_1)
	v_add_nc_u32_e32 v16, 0xfffffd80, v14
	v_add_nc_u32_e32 v17, 0xfffffda0, v14
	;; [unrolled: 1-line block ×10, first 2 shown]
	ds_store_b32 v16, v10
	ds_store_b32 v17, v9
	;; [unrolled: 1-line block ×10, first 2 shown]
.LBB300_1332:
	s_wait_alu 0xfffe
	s_or_b32 exec_lo, exec_lo, s0
	v_lshlrev_b32_e32 v13, 2, v13
	s_mov_b32 s1, exec_lo
	v_cmp_eq_u32_e32 vcc_lo, 0, v15
	s_wait_loadcnt_dscnt 0x0
	s_barrier_signal -1
	v_add3_u32 v11, 0xc0, v11, v13
	s_barrier_wait -1
	global_inv scope:SCOPE_SE
	v_cmpx_gt_u32_e32 64, v0
	s_cbranch_execz .LBB300_1345
; %bb.1333:
	s_and_saveexec_b32 s0, vcc_lo
	s_cbranch_execnz .LBB300_1363
; %bb.1334:
	s_wait_alu 0xfffe
	s_or_b32 exec_lo, exec_lo, s0
	s_and_saveexec_b32 s0, vcc_lo
	s_cbranch_execnz .LBB300_1364
.LBB300_1335:
	s_wait_alu 0xfffe
	s_or_b32 exec_lo, exec_lo, s0
	s_and_saveexec_b32 s0, vcc_lo
	s_cbranch_execnz .LBB300_1365
.LBB300_1336:
	s_wait_alu 0xfffe
	s_or_b32 exec_lo, exec_lo, s0
	s_and_saveexec_b32 s0, vcc_lo
	s_cbranch_execnz .LBB300_1366
.LBB300_1337:
	s_wait_alu 0xfffe
	s_or_b32 exec_lo, exec_lo, s0
	s_and_saveexec_b32 s0, vcc_lo
	s_cbranch_execnz .LBB300_1367
.LBB300_1338:
	s_wait_alu 0xfffe
	s_or_b32 exec_lo, exec_lo, s0
	s_and_saveexec_b32 s0, vcc_lo
	s_cbranch_execnz .LBB300_1368
.LBB300_1339:
	s_wait_alu 0xfffe
	s_or_b32 exec_lo, exec_lo, s0
	s_and_saveexec_b32 s0, vcc_lo
	s_cbranch_execnz .LBB300_1369
.LBB300_1340:
	s_wait_alu 0xfffe
	s_or_b32 exec_lo, exec_lo, s0
	s_and_saveexec_b32 s0, vcc_lo
	s_cbranch_execnz .LBB300_1370
.LBB300_1341:
	s_wait_alu 0xfffe
	s_or_b32 exec_lo, exec_lo, s0
	s_and_saveexec_b32 s0, vcc_lo
	s_cbranch_execnz .LBB300_1371
.LBB300_1342:
	s_wait_alu 0xfffe
	s_or_b32 exec_lo, exec_lo, s0
	s_and_saveexec_b32 s0, vcc_lo
	s_cbranch_execz .LBB300_1344
.LBB300_1343:
	ds_load_b32 v13, v11 offset:288
	s_wait_dscnt 0x0
	v_add_f32_e32 v1, v1, v13
.LBB300_1344:
	s_wait_alu 0xfffe
	s_or_b32 exec_lo, exec_lo, s0
.LBB300_1345:
	s_wait_alu 0xfffe
	s_or_b32 exec_lo, exec_lo, s1
	v_and_b32_e32 v13, 0x3e3, v0
	s_mov_b32 s1, exec_lo
	s_wait_loadcnt 0x0
	s_barrier_signal -1
	s_barrier_wait -1
	global_inv scope:SCOPE_SE
	v_cmpx_eq_u32_e32 32, v13
	s_cbranch_execz .LBB300_1347
; %bb.1346:
	ds_store_2addr_b32 v12, v10, v9 offset1:8
	ds_store_2addr_b32 v12, v8, v7 offset0:16 offset1:24
	ds_store_2addr_b32 v12, v6, v5 offset0:32 offset1:40
	;; [unrolled: 1-line block ×4, first 2 shown]
.LBB300_1347:
	s_wait_alu 0xfffe
	s_or_b32 exec_lo, exec_lo, s1
	s_delay_alu instid0(SALU_CYCLE_1)
	s_mov_b32 s1, exec_lo
	s_wait_loadcnt_dscnt 0x0
	s_barrier_signal -1
	s_barrier_wait -1
	global_inv scope:SCOPE_SE
	v_cmpx_gt_u32_e32 32, v0
	s_cbranch_execz .LBB300_1360
; %bb.1348:
	s_and_saveexec_b32 s0, vcc_lo
	s_cbranch_execnz .LBB300_1372
; %bb.1349:
	s_wait_alu 0xfffe
	s_or_b32 exec_lo, exec_lo, s0
	s_and_saveexec_b32 s0, vcc_lo
	s_cbranch_execnz .LBB300_1373
.LBB300_1350:
	s_wait_alu 0xfffe
	s_or_b32 exec_lo, exec_lo, s0
	s_and_saveexec_b32 s0, vcc_lo
	s_cbranch_execnz .LBB300_1374
.LBB300_1351:
	s_wait_alu 0xfffe
	s_or_b32 exec_lo, exec_lo, s0
	s_and_saveexec_b32 s0, vcc_lo
	s_cbranch_execnz .LBB300_1375
.LBB300_1352:
	s_wait_alu 0xfffe
	s_or_b32 exec_lo, exec_lo, s0
	s_and_saveexec_b32 s0, vcc_lo
	s_cbranch_execnz .LBB300_1376
.LBB300_1353:
	s_wait_alu 0xfffe
	s_or_b32 exec_lo, exec_lo, s0
	s_and_saveexec_b32 s0, vcc_lo
	s_cbranch_execnz .LBB300_1377
.LBB300_1354:
	s_wait_alu 0xfffe
	s_or_b32 exec_lo, exec_lo, s0
	s_and_saveexec_b32 s0, vcc_lo
	s_cbranch_execnz .LBB300_1378
.LBB300_1355:
	s_wait_alu 0xfffe
	s_or_b32 exec_lo, exec_lo, s0
	s_and_saveexec_b32 s0, vcc_lo
	s_cbranch_execnz .LBB300_1379
.LBB300_1356:
	s_wait_alu 0xfffe
	s_or_b32 exec_lo, exec_lo, s0
	s_and_saveexec_b32 s0, vcc_lo
	s_cbranch_execnz .LBB300_1380
.LBB300_1357:
	s_wait_alu 0xfffe
	s_or_b32 exec_lo, exec_lo, s0
	s_and_saveexec_b32 s0, vcc_lo
	s_cbranch_execz .LBB300_1359
.LBB300_1358:
	ds_load_b32 v11, v11 offset:288
	s_wait_dscnt 0x0
	v_add_f32_e32 v1, v1, v11
.LBB300_1359:
	s_wait_alu 0xfffe
	s_or_b32 exec_lo, exec_lo, s0
.LBB300_1360:
	s_wait_alu 0xfffe
	s_or_b32 exec_lo, exec_lo, s1
	s_mov_b32 s1, 0
	s_wait_loadcnt 0x0
	s_barrier_signal -1
	s_barrier_wait -1
	global_inv scope:SCOPE_SE
	s_mov_b32 s0, exec_lo
	v_cmpx_eq_u32_e32 0, v13
	s_cbranch_execz .LBB300_1362
; %bb.1361:
	s_mul_i32 s2, s22, 0x50
	s_mul_i32 s4, s12, s16
	s_wait_alu 0xfffe
	s_ashr_i32 s3, s2, 31
	s_ashr_i32 s5, s4, 31
	s_wait_alu 0xfffe
	s_lshl_b64 s[2:3], s[2:3], 1
	s_lshl_b64 s[4:5], s[4:5], 1
	s_wait_kmcnt 0x0
	s_wait_alu 0xfffe
	s_add_nc_u64 s[2:3], s[8:9], s[2:3]
	v_lshrrev_b32_e32 v0, 1, v0
	s_mul_i32 s0, s26, 0xa0
	s_wait_alu 0xfffe
	s_add_nc_u64 s[2:3], s[2:3], s[4:5]
	;;#ASMSTART
	v_cvt_f16_f32 v10, v10;

	;;#ASMEND
	s_wait_alu 0xfffe
	s_add_nc_u64 s[0:1], s[2:3], s[0:1]
	global_store_b16 v0, v10, s[0:1]
	;;#ASMSTART
	v_cvt_f16_f32 v9, v9;

	;;#ASMEND
	global_store_b16 v0, v9, s[0:1] offset:16
	;;#ASMSTART
	v_cvt_f16_f32 v8, v8;

	;;#ASMEND
	global_store_b16 v0, v8, s[0:1] offset:32
	;;#ASMSTART
	v_cvt_f16_f32 v7, v7;

	;;#ASMEND
	global_store_b16 v0, v7, s[0:1] offset:48
	;;#ASMSTART
	v_cvt_f16_f32 v6, v6;

	;;#ASMEND
	global_store_b16 v0, v6, s[0:1] offset:64
	;;#ASMSTART
	v_cvt_f16_f32 v5, v5;

	;;#ASMEND
	global_store_b16 v0, v5, s[0:1] offset:80
	;;#ASMSTART
	v_cvt_f16_f32 v4, v4;

	;;#ASMEND
	global_store_b16 v0, v4, s[0:1] offset:96
	;;#ASMSTART
	v_cvt_f16_f32 v3, v3;

	;;#ASMEND
	global_store_b16 v0, v3, s[0:1] offset:112
	;;#ASMSTART
	v_cvt_f16_f32 v2, v2;

	;;#ASMEND
	global_store_b16 v0, v2, s[0:1] offset:128
	;;#ASMSTART
	v_cvt_f16_f32 v1, v1;

	;;#ASMEND
	global_store_b16 v0, v1, s[0:1] offset:144
.LBB300_1362:
	s_nop 0
	s_sendmsg sendmsg(MSG_DEALLOC_VGPRS)
	s_endpgm
.LBB300_1363:
	ds_load_b32 v13, v11
	s_wait_dscnt 0x0
	v_add_f32_e32 v10, v10, v13
	s_wait_alu 0xfffe
	s_or_b32 exec_lo, exec_lo, s0
	s_and_saveexec_b32 s0, vcc_lo
	s_cbranch_execz .LBB300_1335
.LBB300_1364:
	ds_load_b32 v13, v11 offset:32
	s_wait_dscnt 0x0
	v_add_f32_e32 v9, v9, v13
	s_wait_alu 0xfffe
	s_or_b32 exec_lo, exec_lo, s0
	s_and_saveexec_b32 s0, vcc_lo
	s_cbranch_execz .LBB300_1336
.LBB300_1365:
	ds_load_b32 v13, v11 offset:64
	s_wait_dscnt 0x0
	v_add_f32_e32 v8, v8, v13
	s_wait_alu 0xfffe
	s_or_b32 exec_lo, exec_lo, s0
	s_and_saveexec_b32 s0, vcc_lo
	s_cbranch_execz .LBB300_1337
.LBB300_1366:
	ds_load_b32 v13, v11 offset:96
	s_wait_dscnt 0x0
	v_add_f32_e32 v7, v7, v13
	s_wait_alu 0xfffe
	s_or_b32 exec_lo, exec_lo, s0
	s_and_saveexec_b32 s0, vcc_lo
	s_cbranch_execz .LBB300_1338
.LBB300_1367:
	ds_load_b32 v13, v11 offset:128
	s_wait_dscnt 0x0
	v_add_f32_e32 v6, v6, v13
	s_wait_alu 0xfffe
	s_or_b32 exec_lo, exec_lo, s0
	s_and_saveexec_b32 s0, vcc_lo
	s_cbranch_execz .LBB300_1339
.LBB300_1368:
	ds_load_b32 v13, v11 offset:160
	s_wait_dscnt 0x0
	v_add_f32_e32 v5, v5, v13
	s_wait_alu 0xfffe
	s_or_b32 exec_lo, exec_lo, s0
	s_and_saveexec_b32 s0, vcc_lo
	s_cbranch_execz .LBB300_1340
.LBB300_1369:
	ds_load_b32 v13, v11 offset:192
	s_wait_dscnt 0x0
	v_add_f32_e32 v4, v4, v13
	s_wait_alu 0xfffe
	s_or_b32 exec_lo, exec_lo, s0
	s_and_saveexec_b32 s0, vcc_lo
	s_cbranch_execz .LBB300_1341
.LBB300_1370:
	ds_load_b32 v13, v11 offset:224
	s_wait_dscnt 0x0
	v_add_f32_e32 v3, v3, v13
	s_wait_alu 0xfffe
	s_or_b32 exec_lo, exec_lo, s0
	s_and_saveexec_b32 s0, vcc_lo
	s_cbranch_execz .LBB300_1342
.LBB300_1371:
	ds_load_b32 v13, v11 offset:256
	s_wait_dscnt 0x0
	v_add_f32_e32 v2, v2, v13
	s_wait_alu 0xfffe
	s_or_b32 exec_lo, exec_lo, s0
	s_and_saveexec_b32 s0, vcc_lo
	s_cbranch_execnz .LBB300_1343
	s_branch .LBB300_1344
.LBB300_1372:
	ds_load_b32 v12, v11
	s_wait_dscnt 0x0
	v_add_f32_e32 v10, v10, v12
	s_wait_alu 0xfffe
	s_or_b32 exec_lo, exec_lo, s0
	s_and_saveexec_b32 s0, vcc_lo
	s_cbranch_execz .LBB300_1350
.LBB300_1373:
	ds_load_b32 v12, v11 offset:32
	s_wait_dscnt 0x0
	v_add_f32_e32 v9, v9, v12
	s_wait_alu 0xfffe
	s_or_b32 exec_lo, exec_lo, s0
	s_and_saveexec_b32 s0, vcc_lo
	s_cbranch_execz .LBB300_1351
.LBB300_1374:
	ds_load_b32 v12, v11 offset:64
	s_wait_dscnt 0x0
	v_add_f32_e32 v8, v8, v12
	s_wait_alu 0xfffe
	s_or_b32 exec_lo, exec_lo, s0
	s_and_saveexec_b32 s0, vcc_lo
	s_cbranch_execz .LBB300_1352
.LBB300_1375:
	ds_load_b32 v12, v11 offset:96
	s_wait_dscnt 0x0
	v_add_f32_e32 v7, v7, v12
	s_wait_alu 0xfffe
	s_or_b32 exec_lo, exec_lo, s0
	s_and_saveexec_b32 s0, vcc_lo
	s_cbranch_execz .LBB300_1353
.LBB300_1376:
	ds_load_b32 v12, v11 offset:128
	s_wait_dscnt 0x0
	v_add_f32_e32 v6, v6, v12
	s_wait_alu 0xfffe
	s_or_b32 exec_lo, exec_lo, s0
	s_and_saveexec_b32 s0, vcc_lo
	s_cbranch_execz .LBB300_1354
.LBB300_1377:
	ds_load_b32 v12, v11 offset:160
	s_wait_dscnt 0x0
	v_add_f32_e32 v5, v5, v12
	s_wait_alu 0xfffe
	s_or_b32 exec_lo, exec_lo, s0
	s_and_saveexec_b32 s0, vcc_lo
	s_cbranch_execz .LBB300_1355
.LBB300_1378:
	ds_load_b32 v12, v11 offset:192
	s_wait_dscnt 0x0
	v_add_f32_e32 v4, v4, v12
	s_wait_alu 0xfffe
	s_or_b32 exec_lo, exec_lo, s0
	s_and_saveexec_b32 s0, vcc_lo
	s_cbranch_execz .LBB300_1356
.LBB300_1379:
	ds_load_b32 v12, v11 offset:224
	s_wait_dscnt 0x0
	v_add_f32_e32 v3, v3, v12
	s_wait_alu 0xfffe
	s_or_b32 exec_lo, exec_lo, s0
	s_and_saveexec_b32 s0, vcc_lo
	s_cbranch_execz .LBB300_1357
.LBB300_1380:
	ds_load_b32 v12, v11 offset:256
	s_wait_dscnt 0x0
	v_add_f32_e32 v2, v2, v12
	s_wait_alu 0xfffe
	s_or_b32 exec_lo, exec_lo, s0
	s_and_saveexec_b32 s0, vcc_lo
	s_cbranch_execnz .LBB300_1358
	s_branch .LBB300_1359
	.section	.rodata,"a",@progbits
	.p2align	6, 0x0
	.amdhsa_kernel _ZN4vllm25paged_attention_v2_kernelIthLi80ELi32ELi128ELNS_18Fp8KVCacheDataTypeE1ELb0ELi512EEEvPfS2_PT_PKS3_PKT0_S9_ifPKiSB_iPKfiiiSD_SD_iiiii
		.amdhsa_group_segment_fixed_size 192
		.amdhsa_private_segment_fixed_size 0
		.amdhsa_kernarg_size 400
		.amdhsa_user_sgpr_count 2
		.amdhsa_user_sgpr_dispatch_ptr 0
		.amdhsa_user_sgpr_queue_ptr 0
		.amdhsa_user_sgpr_kernarg_segment_ptr 1
		.amdhsa_user_sgpr_dispatch_id 0
		.amdhsa_user_sgpr_private_segment_size 0
		.amdhsa_wavefront_size32 1
		.amdhsa_uses_dynamic_stack 0
		.amdhsa_enable_private_segment 0
		.amdhsa_system_sgpr_workgroup_id_x 1
		.amdhsa_system_sgpr_workgroup_id_y 1
		.amdhsa_system_sgpr_workgroup_id_z 1
		.amdhsa_system_sgpr_workgroup_info 0
		.amdhsa_system_vgpr_workitem_id 0
		.amdhsa_next_free_vgpr 138
		.amdhsa_next_free_sgpr 37
		.amdhsa_reserve_vcc 1
		.amdhsa_float_round_mode_32 0
		.amdhsa_float_round_mode_16_64 0
		.amdhsa_float_denorm_mode_32 3
		.amdhsa_float_denorm_mode_16_64 3
		.amdhsa_fp16_overflow 0
		.amdhsa_workgroup_processor_mode 1
		.amdhsa_memory_ordered 1
		.amdhsa_forward_progress 1
		.amdhsa_inst_pref_size 255
		.amdhsa_round_robin_scheduling 0
		.amdhsa_exception_fp_ieee_invalid_op 0
		.amdhsa_exception_fp_denorm_src 0
		.amdhsa_exception_fp_ieee_div_zero 0
		.amdhsa_exception_fp_ieee_overflow 0
		.amdhsa_exception_fp_ieee_underflow 0
		.amdhsa_exception_fp_ieee_inexact 0
		.amdhsa_exception_int_div_zero 0
	.end_amdhsa_kernel
	.section	.text._ZN4vllm25paged_attention_v2_kernelIthLi80ELi32ELi128ELNS_18Fp8KVCacheDataTypeE1ELb0ELi512EEEvPfS2_PT_PKS3_PKT0_S9_ifPKiSB_iPKfiiiSD_SD_iiiii,"axG",@progbits,_ZN4vllm25paged_attention_v2_kernelIthLi80ELi32ELi128ELNS_18Fp8KVCacheDataTypeE1ELb0ELi512EEEvPfS2_PT_PKS3_PKT0_S9_ifPKiSB_iPKfiiiSD_SD_iiiii,comdat
.Lfunc_end300:
	.size	_ZN4vllm25paged_attention_v2_kernelIthLi80ELi32ELi128ELNS_18Fp8KVCacheDataTypeE1ELb0ELi512EEEvPfS2_PT_PKS3_PKT0_S9_ifPKiSB_iPKfiiiSD_SD_iiiii, .Lfunc_end300-_ZN4vllm25paged_attention_v2_kernelIthLi80ELi32ELi128ELNS_18Fp8KVCacheDataTypeE1ELb0ELi512EEEvPfS2_PT_PKS3_PKT0_S9_ifPKiSB_iPKfiiiSD_SD_iiiii
                                        ; -- End function
	.set _ZN4vllm25paged_attention_v2_kernelIthLi80ELi32ELi128ELNS_18Fp8KVCacheDataTypeE1ELb0ELi512EEEvPfS2_PT_PKS3_PKT0_S9_ifPKiSB_iPKfiiiSD_SD_iiiii.num_vgpr, 138
	.set _ZN4vllm25paged_attention_v2_kernelIthLi80ELi32ELi128ELNS_18Fp8KVCacheDataTypeE1ELb0ELi512EEEvPfS2_PT_PKS3_PKT0_S9_ifPKiSB_iPKfiiiSD_SD_iiiii.num_agpr, 0
	.set _ZN4vllm25paged_attention_v2_kernelIthLi80ELi32ELi128ELNS_18Fp8KVCacheDataTypeE1ELb0ELi512EEEvPfS2_PT_PKS3_PKT0_S9_ifPKiSB_iPKfiiiSD_SD_iiiii.numbered_sgpr, 37
	.set _ZN4vllm25paged_attention_v2_kernelIthLi80ELi32ELi128ELNS_18Fp8KVCacheDataTypeE1ELb0ELi512EEEvPfS2_PT_PKS3_PKT0_S9_ifPKiSB_iPKfiiiSD_SD_iiiii.num_named_barrier, 0
	.set _ZN4vllm25paged_attention_v2_kernelIthLi80ELi32ELi128ELNS_18Fp8KVCacheDataTypeE1ELb0ELi512EEEvPfS2_PT_PKS3_PKT0_S9_ifPKiSB_iPKfiiiSD_SD_iiiii.private_seg_size, 0
	.set _ZN4vllm25paged_attention_v2_kernelIthLi80ELi32ELi128ELNS_18Fp8KVCacheDataTypeE1ELb0ELi512EEEvPfS2_PT_PKS3_PKT0_S9_ifPKiSB_iPKfiiiSD_SD_iiiii.uses_vcc, 1
	.set _ZN4vllm25paged_attention_v2_kernelIthLi80ELi32ELi128ELNS_18Fp8KVCacheDataTypeE1ELb0ELi512EEEvPfS2_PT_PKS3_PKT0_S9_ifPKiSB_iPKfiiiSD_SD_iiiii.uses_flat_scratch, 0
	.set _ZN4vllm25paged_attention_v2_kernelIthLi80ELi32ELi128ELNS_18Fp8KVCacheDataTypeE1ELb0ELi512EEEvPfS2_PT_PKS3_PKT0_S9_ifPKiSB_iPKfiiiSD_SD_iiiii.has_dyn_sized_stack, 0
	.set _ZN4vllm25paged_attention_v2_kernelIthLi80ELi32ELi128ELNS_18Fp8KVCacheDataTypeE1ELb0ELi512EEEvPfS2_PT_PKS3_PKT0_S9_ifPKiSB_iPKfiiiSD_SD_iiiii.has_recursion, 0
	.set _ZN4vllm25paged_attention_v2_kernelIthLi80ELi32ELi128ELNS_18Fp8KVCacheDataTypeE1ELb0ELi512EEEvPfS2_PT_PKS3_PKT0_S9_ifPKiSB_iPKfiiiSD_SD_iiiii.has_indirect_call, 0
	.section	.AMDGPU.csdata,"",@progbits
; Kernel info:
; codeLenInByte = 46400
; TotalNumSgprs: 39
; NumVgprs: 138
; ScratchSize: 0
; MemoryBound: 0
; FloatMode: 240
; IeeeMode: 1
; LDSByteSize: 192 bytes/workgroup (compile time only)
; SGPRBlocks: 0
; VGPRBlocks: 17
; NumSGPRsForWavesPerEU: 39
; NumVGPRsForWavesPerEU: 138
; Occupancy: 10
; WaveLimiterHint : 1
; COMPUTE_PGM_RSRC2:SCRATCH_EN: 0
; COMPUTE_PGM_RSRC2:USER_SGPR: 2
; COMPUTE_PGM_RSRC2:TRAP_HANDLER: 0
; COMPUTE_PGM_RSRC2:TGID_X_EN: 1
; COMPUTE_PGM_RSRC2:TGID_Y_EN: 1
; COMPUTE_PGM_RSRC2:TGID_Z_EN: 1
; COMPUTE_PGM_RSRC2:TIDIG_COMP_CNT: 0
	.text
	.p2align	2                               ; -- Begin function _ZN4vllm22paged_attention_kernelIthLi96ELi32ELi128ELNS_18Fp8KVCacheDataTypeE1ELb0ELi512EEEvPfS2_PT_PKS3_PKT0_S9_ifPKiSB_iPKfiiiSD_SD_iiiii
	.type	_ZN4vllm22paged_attention_kernelIthLi96ELi32ELi128ELNS_18Fp8KVCacheDataTypeE1ELb0ELi512EEEvPfS2_PT_PKS3_PKT0_S9_ifPKiSB_iPKfiiiSD_SD_iiiii,@function
_ZN4vllm22paged_attention_kernelIthLi96ELi32ELi128ELNS_18Fp8KVCacheDataTypeE1ELb0ELi512EEEvPfS2_PT_PKS3_PKT0_S9_ifPKiSB_iPKfiiiSD_SD_iiiii: ; @_ZN4vllm22paged_attention_kernelIthLi96ELi32ELi128ELNS_18Fp8KVCacheDataTypeE1ELb0ELi512EEEvPfS2_PT_PKS3_PKT0_S9_ifPKiSB_iPKfiiiSD_SD_iiiii
; %bb.0:
	s_wait_loadcnt_dscnt 0x0
	s_wait_expcnt 0x0
	s_wait_samplecnt 0x0
	s_wait_bvhcnt 0x0
	s_wait_kmcnt 0x0
	s_clause 0x1f
	scratch_store_b32 off, v40, s32 offset:252
	; meta instruction
	scratch_store_b32 off, v41, s32 offset:248
	; meta instruction
	;; [unrolled: 2-line block ×31, first 2 shown]
	scratch_store_b32 off, v95, s32 offset:128
	s_clause 0x1f
	scratch_store_b32 off, v104, s32 offset:124
	; meta instruction
	scratch_store_b32 off, v105, s32 offset:120
	; meta instruction
	;; [unrolled: 2-line block ×31, first 2 shown]
	scratch_store_b32 off, v159, s32
	s_and_b32 s13, ttmp7, 0xffff
	s_lshr_b32 s11, ttmp7, 16
	s_wait_alu 0xfffe
	s_lshl_b32 s0, s13, 2
	s_lshl_b32 s12, s11, 9
	s_wait_alu 0xfffe
	v_add_co_u32 v16, vcc_lo, v16, s0
	s_wait_alu 0xfffd
	v_add_co_ci_u32_e64 v17, null, 0, v17, vcc_lo
	s_mov_b32 s10, exec_lo
	flat_load_b32 v30, v[16:17]
	s_wait_loadcnt_dscnt 0x0
	v_cmpx_lt_i32_e64 s12, v30
	s_cbranch_execz .LBB301_1628
; %bb.1:
	v_mov_b32_e32 v39, 0
	v_sub_nc_u32_e32 v16, 0, v12
	s_clause 0x1
	s_load_u16 s0, s[8:9], 0x12
	s_load_b32 s1, s[8:9], 0x0
	s_mov_b32 s6, s15
	global_load_u16 v32, v39, s[8:9] offset:22
	v_max_i32_e32 v16, v12, v16
	s_delay_alu instid0(VALU_DEP_1) | instskip(SKIP_1) | instid1(VALU_DEP_2)
	v_cvt_f32_u32_e32 v17, v16
	v_sub_nc_u32_e32 v28, 0, v16
	v_rcp_iflag_f32_e32 v17, v17
	s_wait_kmcnt 0x0
	s_cmp_lg_u32 s0, 0
	s_cselect_b32 s0, -1, 0
	s_delay_alu instid0(TRANS32_DEP_1)
	v_mul_f32_e32 v17, 0x4f7ffffe, v17
	s_wait_alu 0xfffe
	s_cmp_lg_u32 s0, 0
	s_add_co_ci_u32 s14, s1, 0
	s_mov_b32 s1, exec_lo
	v_cvt_u32_f32_e32 v17, v17
	s_wait_alu 0xfffe
	s_abs_i32 s0, s14
	v_xor_b32_e32 v12, s14, v12
	s_delay_alu instid0(VALU_DEP_2) | instskip(NEXT) | instid1(VALU_DEP_2)
	v_mul_lo_u32 v28, v28, v17
	v_ashrrev_i32_e32 v12, 31, v12
	s_delay_alu instid0(VALU_DEP_2) | instskip(NEXT) | instid1(VALU_DEP_1)
	v_mul_hi_u32 v28, v17, v28
	v_add_nc_u32_e32 v17, v17, v28
	s_wait_alu 0xfffe
	s_delay_alu instid0(VALU_DEP_1) | instskip(NEXT) | instid1(VALU_DEP_1)
	v_mul_hi_u32 v17, s0, v17
	v_mul_lo_u32 v28, v17, v16
	v_add_nc_u32_e32 v29, 1, v17
	s_delay_alu instid0(VALU_DEP_2) | instskip(SKIP_1) | instid1(VALU_DEP_1)
	v_sub_nc_u32_e32 v28, s0, v28
	s_abs_i32 s0, ttmp9
	v_sub_nc_u32_e32 v33, v28, v16
	v_cmp_ge_u32_e32 vcc_lo, v28, v16
	s_wait_alu 0xfffd
	v_cndmask_b32_e32 v17, v17, v29, vcc_lo
	s_delay_alu instid0(VALU_DEP_3) | instskip(NEXT) | instid1(VALU_DEP_2)
	v_cndmask_b32_e32 v28, v28, v33, vcc_lo
	v_add_nc_u32_e32 v29, 1, v17
	s_delay_alu instid0(VALU_DEP_2) | instskip(SKIP_1) | instid1(VALU_DEP_2)
	v_cmp_ge_u32_e32 vcc_lo, v28, v16
	s_wait_alu 0xfffd
	v_cndmask_b32_e32 v16, v17, v29, vcc_lo
	s_delay_alu instid0(VALU_DEP_1) | instskip(NEXT) | instid1(VALU_DEP_1)
	v_xor_b32_e32 v16, v16, v12
	v_sub_nc_u32_e32 v29, v16, v12
	s_delay_alu instid0(VALU_DEP_1) | instskip(NEXT) | instid1(VALU_DEP_1)
	v_sub_nc_u32_e32 v12, 0, v29
	v_max_i32_e32 v28, v29, v12
	s_delay_alu instid0(VALU_DEP_1) | instskip(SKIP_1) | instid1(VALU_DEP_2)
	v_cvt_f32_u32_e32 v12, v28
	v_sub_nc_u32_e32 v16, 0, v28
	v_rcp_iflag_f32_e32 v12, v12
	s_delay_alu instid0(TRANS32_DEP_1) | instskip(NEXT) | instid1(VALU_DEP_1)
	v_mul_f32_e32 v12, 0x4f7ffffe, v12
	v_cvt_u32_f32_e32 v12, v12
	s_delay_alu instid0(VALU_DEP_1) | instskip(NEXT) | instid1(VALU_DEP_1)
	v_mul_lo_u32 v16, v16, v12
	v_mul_hi_u32 v16, v12, v16
	s_delay_alu instid0(VALU_DEP_1) | instskip(SKIP_1) | instid1(VALU_DEP_1)
	v_add_nc_u32_e32 v12, v12, v16
	s_wait_alu 0xfffe
	v_mad_co_u64_u32 v[16:17], null, s0, v12, 0
	s_wait_loadcnt 0x0
	v_readfirstlane_b32 s15, v32
	v_cmpx_ne_u64_e32 0, v[19:20]
	s_cbranch_execz .LBB301_3
; %bb.2:
	s_mov_b32 s2, ttmp9
	s_ashr_i32 s3, ttmp9, 31
	s_wait_alu 0xfffe
	s_lshl_b64 s[2:3], s[2:3], 2
	s_wait_alu 0xfffe
	v_add_co_u32 v19, vcc_lo, v19, s2
	s_wait_alu 0xfffd
	v_add_co_ci_u32_e64 v20, null, s3, v20, vcc_lo
	flat_load_b32 v39, v[19:20]
.LBB301_3:
	s_or_b32 exec_lo, exec_lo, s1
	v_and_b32_e32 v12, 0x3ff, v31
	v_ashrrev_i32_e32 v16, 31, v29
	s_ashr_i32 s1, ttmp9, 31
	s_mul_i32 s4, ttmp9, 0x60
	s_mov_b32 s2, exec_lo
	v_cmpx_gt_u32_e32 12, v12
	s_cbranch_execz .LBB301_5
; %bb.4:
	v_mul_lo_u32 v19, v21, s13
	s_wait_alu 0xfffe
	s_ashr_i32 s5, s4, 31
	v_lshlrev_b32_e32 v21, 4, v12
	s_wait_alu 0xfffe
	s_lshl_b64 s[16:17], s[4:5], 1
	s_delay_alu instid0(VALU_DEP_2) | instskip(NEXT) | instid1(VALU_DEP_1)
	v_ashrrev_i32_e32 v20, 31, v19
	v_lshlrev_b64_e32 v[19:20], 1, v[19:20]
	s_delay_alu instid0(VALU_DEP_1) | instskip(SKIP_1) | instid1(VALU_DEP_2)
	v_add_co_u32 v6, vcc_lo, v6, v19
	s_wait_alu 0xfffd
	v_add_co_ci_u32_e64 v7, null, v7, v20, vcc_lo
	s_wait_alu 0xfffe
	s_delay_alu instid0(VALU_DEP_2) | instskip(SKIP_1) | instid1(VALU_DEP_2)
	v_add_co_u32 v6, vcc_lo, v6, s16
	s_wait_alu 0xfffd
	v_add_co_ci_u32_e64 v7, null, s17, v7, vcc_lo
	s_delay_alu instid0(VALU_DEP_2) | instskip(SKIP_1) | instid1(VALU_DEP_2)
	v_add_co_u32 v6, vcc_lo, v6, v21
	s_wait_alu 0xfffd
	v_add_co_ci_u32_e64 v7, null, 0, v7, vcc_lo
	flat_load_b128 v[31:34], v[6:7]
	s_wait_loadcnt_dscnt 0x0
	ds_store_b128 v21, v[31:34]
.LBB301_5:
	s_wait_alu 0xfffe
	s_or_b32 exec_lo, exec_lo, s2
	v_mul_lo_u32 v6, v17, v28
	v_xor_b32_e32 v16, s1, v16
	s_load_b32 s5, s[8:9], 0x8
	v_lshrrev_b32_e32 v31, 5, v12
	s_lshl_b32 s3, s11, 4
	s_mov_b32 s16, exec_lo
	s_wait_storecnt 0x0
	s_wait_loadcnt_dscnt 0x0
	s_barrier_signal -1
	v_sub_nc_u32_e32 v6, s0, v6
	s_wait_alu 0xfffe
	s_add_co_i32 s0, s3, 16
	v_add_nc_u32_e32 v32, s3, v31
	s_barrier_wait -1
	global_inv scope:SCOPE_SE
	v_sub_nc_u32_e32 v19, v6, v28
	v_cmp_ge_u32_e32 vcc_lo, v6, v28
	v_add_nc_u32_e32 v7, 1, v17
	v_dual_mov_b32 v48, 0xff7fffff :: v_dual_lshlrev_b32 v35, 2, v32
	s_wait_alu 0xfffd
	v_cndmask_b32_e32 v6, v6, v19, vcc_lo
	s_delay_alu instid0(VALU_DEP_3) | instskip(SKIP_1) | instid1(VALU_DEP_3)
	v_cndmask_b32_e32 v7, v17, v7, vcc_lo
	v_add_nc_u32_e32 v17, 31, v30
	v_cmp_ge_u32_e32 vcc_lo, v6, v28
	s_delay_alu instid0(VALU_DEP_3) | instskip(NEXT) | instid1(VALU_DEP_3)
	v_add_nc_u32_e32 v19, 1, v7
	v_ashrrev_i32_e32 v20, 31, v17
	v_mul_lo_u32 v6, v18, s13
	s_wait_alu 0xfffd
	s_delay_alu instid0(VALU_DEP_3) | instskip(NEXT) | instid1(VALU_DEP_3)
	v_cndmask_b32_e32 v7, v7, v19, vcc_lo
	v_lshrrev_b32_e32 v19, 27, v20
	s_delay_alu instid0(VALU_DEP_2) | instskip(NEXT) | instid1(VALU_DEP_2)
	v_xor_b32_e32 v7, v7, v16
	v_add_nc_u32_e32 v17, v17, v19
	s_delay_alu instid0(VALU_DEP_2) | instskip(NEXT) | instid1(VALU_DEP_2)
	v_sub_nc_u32_e32 v16, v7, v16
	v_ashrrev_i32_e32 v34, 5, v17
	v_ashrrev_i32_e32 v7, 31, v6
	s_delay_alu instid0(VALU_DEP_3) | instskip(SKIP_1) | instid1(VALU_DEP_3)
	v_mul_lo_u32 v36, v16, v23
	s_wait_alu 0xfffe
	v_min_i32_e32 v33, s0, v34
	v_and_b32_e32 v23, 31, v12
	v_lshlrev_b64_e32 v[6:7], 2, v[6:7]
	s_delay_alu instid0(VALU_DEP_3) | instskip(NEXT) | instid1(VALU_DEP_3)
	v_cmp_ge_i32_e64 s0, v32, v33
	v_lshlrev_b32_e32 v38, 2, v23
	v_ashrrev_i32_e32 v37, 31, v36
	v_cmpx_lt_i32_e64 v32, v33
	s_cbranch_execz .LBB301_777
; %bb.6:
	s_getpc_b64 s[8:9]
	s_wait_alu 0xfffe
	s_sext_i32_i16 s9, s9
	s_add_co_u32 s8, s8, llvm.amdgcn.dynlds.offset.table@rel32@lo+12
	s_wait_alu 0xfffe
	s_add_co_ci_u32 s9, s9, llvm.amdgcn.dynlds.offset.table@rel32@hi+24
	s_ashr_i32 s7, s6, 31
	v_lshlrev_b32_e32 v16, 4, v23
	s_wait_alu 0xfffe
	s_lshl_b64 s[18:19], s[6:7], 2
	v_add_co_u32 v8, vcc_lo, v8, v36
	s_wait_alu 0xfffe
	s_add_nc_u64 s[8:9], s[8:9], s[18:19]
	s_wait_alu 0xfffd
	v_add_co_ci_u32_e64 v17, null, v9, v37, vcc_lo
	s_load_b32 s2, s[8:9], 0x0
	v_mov_b32_e32 v9, 0
	v_add_co_u32 v16, vcc_lo, v8, v16
	v_add_co_u32 v8, s1, v6, v35
	s_wait_alu 0xf1ff
	v_add_co_ci_u32_e64 v19, null, 0, v7, s1
	v_lshlrev_b32_e32 v20, 5, v31
	v_lshl_or_b32 v21, v31, 7, v38
	v_add_co_u32 v18, s1, v14, v8
	s_wait_alu 0xfffd
	v_add_co_ci_u32_e64 v17, null, 0, v17, vcc_lo
	s_wait_alu 0xf1ff
	v_add_co_ci_u32_e64 v19, null, v15, v19, s1
	v_sub_nc_u32_e32 v49, 1, v30
	v_add3_u32 v50, s12, v20, v23
	v_mov_b32_e32 v48, 0xff7fffff
	s_wait_kmcnt 0x0
	v_dual_mov_b32 v52, v32 :: v_dual_add_nc_u32 v51, s2, v21
	s_mov_b32 s8, -1
	s_mov_b32 s7, 0
	s_mov_b32 s9, 0xffffff
	v_cmp_neq_f32_e32 vcc_lo, 0, v39
	s_branch .LBB301_11
.LBB301_7:                              ;   in Loop: Header=BB301_11 Depth=1
	s_wait_alu 0xfffe
	s_or_b32 exec_lo, exec_lo, s19
	v_lshlrev_b32_e32 v8, 8, v8
	v_lshl_add_u32 v21, v21, 10, 0x2000
	v_lshlrev_b32_e32 v20, 23, v20
	s_delay_alu instid0(VALU_DEP_2) | instskip(NEXT) | instid1(VALU_DEP_1)
	v_and_or_b32 v8, 0x8000, v8, v21
	v_lshl_or_b32 v75, v8, 16, v20
.LBB301_8:                              ;   in Loop: Header=BB301_11 Depth=1
	s_wait_alu 0xfffe
	s_or_b32 exec_lo, exec_lo, s18
.LBB301_9:                              ;   in Loop: Header=BB301_11 Depth=1
	s_wait_alu 0xfffe
	s_or_b32 exec_lo, exec_lo, s17
.LBB301_10:                             ;   in Loop: Header=BB301_11 Depth=1
	s_wait_alu 0xfffe
	s_or_b32 exec_lo, exec_lo, s2
	ds_load_b128 v[92:95], v9
	v_or_b32_e32 v21, v55, v54
	v_or_b32_e32 v8, v66, v64
	v_fma_mixlo_f16 v54, v53, v55, 0 op_sel:[0,1,0] op_sel_hi:[0,1,0]
	v_or_b32_e32 v55, v68, v65
	v_or_b32_e32 v65, v70, v67
	v_fma_mixlo_f16 v21, v53, v21, 0 op_sel_hi:[0,1,0]
	v_fma_mixlo_f16 v20, v53, v66, 0 op_sel:[0,1,0] op_sel_hi:[0,1,0]
	v_fma_mixlo_f16 v8, v53, v8, 0 op_sel_hi:[0,1,0]
	v_fma_mixlo_f16 v66, v53, v55, 0 op_sel_hi:[0,1,0]
	v_fma_mixlo_f16 v64, v53, v68, 0 op_sel:[0,1,0] op_sel_hi:[0,1,0]
	v_fma_mixlo_f16 v67, v53, v70, 0 op_sel:[0,1,0] op_sel_hi:[0,1,0]
	v_fma_mixlo_f16 v68, v53, v65, 0 op_sel_hi:[0,1,0]
	v_and_b32_e32 v65, 0xffff, v54
	v_and_b32_e32 v21, 0xffff, v21
	;; [unrolled: 1-line block ×3, first 2 shown]
	v_or_b32_e32 v99, v102, v99
	v_or_b32_e32 v115, v118, v115
	;; [unrolled: 1-line block ×4, first 2 shown]
	s_wait_dscnt 0x0
	v_and_b32_e32 v54, 0xffff, v92
	v_lshrrev_b32_e32 v55, 16, v92
	v_and_b32_e32 v92, 0xffff, v93
	v_lshrrev_b32_e32 v70, 16, v93
	;;#ASMSTART
	v_cvt_f32_f16 v54, v54;
	;;#ASMEND
	;;#ASMSTART
	v_cvt_f32_f16 v109, v55;
	;;#ASMEND
	;; [unrolled: 3-line block ×3, first 2 shown]
	v_and_b32_e32 v8, 0xffff, v8
	;;#ASMSTART
	v_cvt_f32_f16 v110, v65;
	;;#ASMEND
	;;#ASMSTART
	v_cvt_f32_f16 v120, v92;
	;;#ASMEND
	;;#ASMSTART
	v_cvt_f32_f16 v65, v70;
	;;#ASMEND
	v_and_b32_e32 v21, 0xffff, v94
	;;#ASMSTART
	v_cvt_f32_f16 v140, v8;
	;;#ASMEND
	v_and_b32_e32 v92, 0xffff, v66
	v_lshrrev_b32_e32 v70, 16, v94
	;;#ASMSTART
	v_cvt_f32_f16 v66, v20;
	;;#ASMEND
	;;#ASMSTART
	v_cvt_f32_f16 v111, v21;
	;;#ASMEND
	;; [unrolled: 3-line block ×4, first 2 shown]
	v_and_b32_e32 v8, 0xffff, v64
	v_and_b32_e32 v20, 0xffff, v95
	v_lshrrev_b32_e32 v21, 16, v95
	v_and_b32_e32 v67, 0xffff, v67
	;;#ASMSTART
	v_cvt_f32_f16 v123, v8;
	;;#ASMEND
	;;#ASMSTART
	v_cvt_f32_f16 v124, v20;
	;;#ASMEND
	;; [unrolled: 3-line block ×3, first 2 shown]
	v_and_b32_e32 v64, 0xffff, v68
	;;#ASMSTART
	v_cvt_f32_f16 v136, v64;
	;;#ASMEND
	;;#ASMSTART
	v_cvt_f32_f16 v94, v67;
	;;#ASMEND
	ds_load_b128 v[152:155], v9 offset:16
	v_or_b32_e32 v21, v71, v69
	v_fma_mixlo_f16 v64, v53, v71, 0 op_sel:[0,1,0] op_sel_hi:[0,1,0]
	v_or_b32_e32 v8, v82, v80
	v_or_b32_e32 v67, v84, v81
	v_fma_mixlo_f16 v69, v53, v84, 0 op_sel:[0,1,0] op_sel_hi:[0,1,0]
	v_fma_mixlo_f16 v21, v53, v21, 0 op_sel_hi:[0,1,0]
	v_fma_mixlo_f16 v20, v53, v82, 0 op_sel:[0,1,0] op_sel_hi:[0,1,0]
	v_fma_mixlo_f16 v8, v53, v8, 0 op_sel_hi:[0,1,0]
	v_or_b32_e32 v68, v86, v85
	v_fma_mixlo_f16 v70, v53, v86, 0 op_sel:[0,1,0] op_sel_hi:[0,1,0]
	v_and_b32_e32 v21, 0xffff, v21
	v_fma_mixlo_f16 v67, v53, v67, 0 op_sel_hi:[0,1,0]
	v_fma_mixlo_f16 v115, v53, v115, 0 op_sel_hi:[0,1,0]
	;; [unrolled: 1-line block ×4, first 2 shown]
	v_or_b32_e32 v131, v134, v131
	v_or_b32_e32 v135, v146, v135
	v_and_b32_e32 v115, 0xffff, v115
	v_and_b32_e32 v68, 0xffff, v68
	s_wait_dscnt 0x0
	v_and_b32_e32 v71, 0xffff, v152
	v_lshrrev_b32_e32 v80, 16, v152
	;;#ASMSTART
	v_cvt_f32_f16 v84, v71;
	;;#ASMEND
	v_and_b32_e32 v71, 0xffff, v64
	;;#ASMSTART
	v_cvt_f32_f16 v64, v80;
	;;#ASMEND
	;;#ASMSTART
	v_cvt_f32_f16 v21, v21;
	;;#ASMEND
	v_mul_f32_e32 v21, v84, v21
	v_and_b32_e32 v81, 0xffff, v153
	v_lshrrev_b32_e32 v82, 16, v153
	;;#ASMSTART
	v_cvt_f32_f16 v85, v71;
	;;#ASMEND
	;;#ASMSTART
	v_cvt_f32_f16 v86, v81;
	;;#ASMEND
	;; [unrolled: 3-line block ×3, first 2 shown]
	v_dual_fmac_f32 v21, v54, v55 :: v_dual_and_b32 v8, 0xffff, v8
	;;#ASMSTART
	v_cvt_f32_f16 v158, v8;
	;;#ASMEND
	v_dual_mul_f32 v55, v86, v158 :: v_dual_mul_f32 v64, v64, v85
	v_lshrrev_b32_e32 v80, 16, v154
	v_and_b32_e32 v8, 0xffff, v69
	v_or_b32_e32 v82, v100, v97
	s_delay_alu instid0(VALU_DEP_4)
	v_fmac_f32_e32 v55, v120, v140
	v_and_b32_e32 v20, 0xffff, v20
	;;#ASMSTART
	v_cvt_f32_f16 v159, v20;
	;;#ASMEND
	v_mul_f32_e32 v54, v157, v159
	v_dual_fmac_f32 v64, v109, v110 :: v_dual_and_b32 v67, 0xffff, v67
	v_and_b32_e32 v20, 0xffff, v155
	v_fma_mixlo_f16 v82, v53, v82, 0 op_sel_hi:[0,1,0]
	s_delay_alu instid0(VALU_DEP_4)
	v_fmac_f32_e32 v54, v65, v66
	v_and_b32_e32 v71, 0xffff, v154
	;;#ASMSTART
	v_cvt_f32_f16 v141, v71;
	;;#ASMEND
	;;#ASMSTART
	v_cvt_f32_f16 v142, v80;
	;;#ASMEND
	;; [unrolled: 3-line block ×3, first 2 shown]
	v_mul_f32_e32 v66, v141, v143
	v_lshrrev_b32_e32 v67, 16, v155
	;;#ASMSTART
	v_cvt_f32_f16 v152, v8;
	;;#ASMEND
	v_or_b32_e32 v80, v87, v83
	v_or_b32_e32 v83, v112, v101
	v_dual_fmac_f32 v66, v111, v121 :: v_dual_and_b32 v69, 0xffff, v70
	;;#ASMSTART
	v_cvt_f32_f16 v70, v20;
	;;#ASMEND
	;;#ASMSTART
	v_cvt_f32_f16 v71, v67;
	;;#ASMEND
	;; [unrolled: 3-line block ×4, first 2 shown]
	ds_load_b128 v[153:156], v9 offset:32
	v_mul_f32_e32 v70, v70, v139
	v_or_b32_e32 v67, v98, v96
	v_fma_mixlo_f16 v80, v53, v80, 0 op_sel_hi:[0,1,0]
	v_fma_mixlo_f16 v68, v53, v98, 0 op_sel:[0,1,0] op_sel_hi:[0,1,0]
	v_fma_mixlo_f16 v83, v53, v83, 0 op_sel_hi:[0,1,0]
	v_fmac_f32_e32 v70, v124, v136
	v_fma_mixlo_f16 v81, v53, v87, 0 op_sel:[0,1,0] op_sel_hi:[0,1,0]
	v_fma_mixlo_f16 v67, v53, v67, 0 op_sel_hi:[0,1,0]
	v_fma_mixlo_f16 v96, v53, v112, 0 op_sel:[0,1,0] op_sel_hi:[0,1,0]
	v_fma_mixlo_f16 v87, v53, v100, 0 op_sel:[0,1,0] op_sel_hi:[0,1,0]
	v_and_b32_e32 v80, 0xffff, v80
	v_and_b32_e32 v81, 0xffff, v81
	;; [unrolled: 1-line block ×4, first 2 shown]
	v_or_b32_e32 v20, v91, v79
	v_fma_mixlo_f16 v8, v53, v91, 0 op_sel:[0,1,0] op_sel_hi:[0,1,0]
	v_or_b32_e32 v69, v76, v77
	v_dual_mul_f32 v71, v71, v138 :: v_dual_and_b32 v68, 0xffff, v68
	s_wait_dscnt 0x0
	v_and_b32_e32 v97, 0xffff, v153
	v_lshrrev_b32_e32 v98, 16, v153
	;;#ASMSTART
	v_cvt_f32_f16 v108, v97;
	;;#ASMEND
	v_and_b32_e32 v97, 0xffff, v154
	v_lshrrev_b32_e32 v100, 16, v154
	;;#ASMSTART
	v_cvt_f32_f16 v122, v98;
	;;#ASMEND
	;;#ASMSTART
	v_cvt_f32_f16 v125, v80;
	;;#ASMEND
	;; [unrolled: 3-line block ×5, first 2 shown]
	v_lshrrev_b32_e32 v81, 16, v155
	;;#ASMSTART
	v_cvt_f32_f16 v137, v67;
	;;#ASMEND
	v_dual_fmac_f32 v55, v127, v137 :: v_dual_and_b32 v80, 0xffff, v155
	;;#ASMSTART
	v_cvt_f32_f16 v95, v68;
	;;#ASMEND
	;;#ASMSTART
	v_cvt_f32_f16 v77, v80;
	;;#ASMEND
	;; [unrolled: 3-line block ×4, first 2 shown]
	v_lshrrev_b32_e32 v80, 16, v156
	v_and_b32_e32 v81, 0xffff, v83
	v_and_b32_e32 v82, 0xffff, v96
	;; [unrolled: 1-line block ×4, first 2 shown]
	;;#ASMSTART
	v_cvt_f32_f16 v104, v67;
	;;#ASMEND
	;;#ASMSTART
	v_cvt_f32_f16 v105, v68;
	;;#ASMEND
	;; [unrolled: 3-line block ×5, first 2 shown]
	ds_load_b128 v[80:83], v9 offset:48
	v_or_b32_e32 v87, v114, v103
	v_or_b32_e32 v101, v116, v113
	v_fma_mixlo_f16 v100, v53, v102, 0 op_sel:[0,1,0] op_sel_hi:[0,1,0]
	v_or_b32_e32 v102, v128, v117
	v_fma_mixlo_f16 v103, v53, v99, 0 op_sel_hi:[0,1,0]
	v_fma_mixlo_f16 v87, v53, v87, 0 op_sel_hi:[0,1,0]
	v_fmac_f32_e32 v71, v92, v94
	v_fma_mixlo_f16 v68, v53, v76, 0 op_sel:[0,1,0] op_sel_hi:[0,1,0]
	v_or_b32_e32 v76, v90, v78
	v_or_b32_e32 v78, v88, v89
	v_fma_mixlo_f16 v96, v53, v114, 0 op_sel:[0,1,0] op_sel_hi:[0,1,0]
	v_fma_mixlo_f16 v112, v53, v116, 0 op_sel:[0,1,0] op_sel_hi:[0,1,0]
	v_fma_mixlo_f16 v101, v53, v101, 0 op_sel_hi:[0,1,0]
	v_fma_mixlo_f16 v89, v53, v128, 0 op_sel:[0,1,0] op_sel_hi:[0,1,0]
	v_fma_mixlo_f16 v102, v53, v102, 0 op_sel_hi:[0,1,0]
	v_fmac_f32_e32 v66, v77, v91
	v_fmac_f32_e32 v71, v97, v98
	v_dual_fmac_f32 v70, v105, v106 :: v_dual_and_b32 v85, 0xffff, v100
	s_wait_dscnt 0x0
	v_and_b32_e32 v84, 0xffff, v80
	v_lshrrev_b32_e32 v80, 16, v80
	;;#ASMSTART
	v_cvt_f32_f16 v99, v84;
	;;#ASMEND
	v_and_b32_e32 v84, 0xffff, v103
	v_and_b32_e32 v86, 0xffff, v81
	v_lshrrev_b32_e32 v81, 16, v81
	;;#ASMSTART
	v_cvt_f32_f16 v113, v80;
	;;#ASMEND
	v_and_b32_e32 v80, 0xffff, v87
	;;#ASMSTART
	v_cvt_f32_f16 v114, v84;
	;;#ASMEND
	;;#ASMSTART
	v_cvt_f32_f16 v116, v85;
	;;#ASMEND
	;;#ASMSTART
	v_cvt_f32_f16 v117, v86;
	;;#ASMEND
	;;#ASMSTART
	v_cvt_f32_f16 v84, v81;
	;;#ASMEND
	v_and_b32_e32 v81, 0xffff, v96
	v_and_b32_e32 v86, 0xffff, v82
	v_lshrrev_b32_e32 v82, 16, v82
	v_and_b32_e32 v96, 0xffff, v101
	;;#ASMSTART
	v_cvt_f32_f16 v128, v80;
	;;#ASMEND
	v_and_b32_e32 v80, 0xffff, v112
	v_and_b32_e32 v112, 0xffff, v89
	;;#ASMSTART
	v_cvt_f32_f16 v85, v81;
	;;#ASMEND
	;;#ASMSTART
	v_cvt_f32_f16 v86, v86;
	;;#ASMEND
	;; [unrolled: 3-line block ×4, first 2 shown]
	v_lshrrev_b32_e32 v82, 16, v83
	;;#ASMSTART
	v_cvt_f32_f16 v100, v80;
	;;#ASMEND
	v_dual_fmac_f32 v66, v86, v96 :: v_dual_and_b32 v81, 0xffff, v83
	v_and_b32_e32 v83, 0xffff, v102
	;;#ASMSTART
	v_cvt_f32_f16 v101, v81;
	;;#ASMEND
	;;#ASMSTART
	v_cvt_f32_f16 v102, v82;
	;;#ASMEND
	;; [unrolled: 3-line block ×4, first 2 shown]
	ds_load_b128 v[153:156], v9 offset:64
	v_or_b32_e32 v157, v61, v59
	v_fma_mixlo_f16 v59, v53, v130, 0 op_sel:[0,1,0] op_sel_hi:[0,1,0]
	v_or_b32_e32 v130, v144, v133
	v_fma_mixlo_f16 v67, v53, v90, 0 op_sel:[0,1,0] op_sel_hi:[0,1,0]
	v_fma_mixlo_f16 v83, v53, v61, 0 op_sel:[0,1,0] op_sel_hi:[0,1,0]
	;; [unrolled: 1-line block ×3, first 2 shown]
	v_fma_mixlo_f16 v61, v53, v129, 0 op_sel_hi:[0,1,0]
	v_fma_mixlo_f16 v90, v53, v130, 0 op_sel_hi:[0,1,0]
	v_fma_mixlo_f16 v158, v53, v144, 0 op_sel:[0,1,0] op_sel_hi:[0,1,0]
	v_fma_mixlo_f16 v89, v53, v132, 0 op_sel:[0,1,0] op_sel_hi:[0,1,0]
	v_fma_mixlo_f16 v82, v53, v76, 0 op_sel_hi:[0,1,0]
	v_fma_mixlo_f16 v81, v53, v78, 0 op_sel_hi:[0,1,0]
	v_fma_mixlo_f16 v80, v53, v88, 0 op_sel:[0,1,0] op_sel_hi:[0,1,0]
	v_and_b32_e32 v132, 0xffff, v133
	v_and_b32_e32 v88, 0xffff, v61
	;; [unrolled: 1-line block ×3, first 2 shown]
	v_dual_mul_f32 v65, v142, v152 :: v_dual_and_b32 v120, 0xffff, v158
	v_or_b32_e32 v145, v148, v145
	s_wait_dscnt 0x0
	v_and_b32_e32 v118, 0xffff, v153
	v_lshrrev_b32_e32 v129, 16, v153
	;;#ASMSTART
	v_cvt_f32_f16 v118, v118;
	;;#ASMEND
	v_and_b32_e32 v133, 0xffff, v154
	v_lshrrev_b32_e32 v144, 16, v154
	;;#ASMSTART
	v_cvt_f32_f16 v129, v129;
	;;#ASMEND
	;;#ASMSTART
	v_cvt_f32_f16 v130, v115;
	;;#ASMEND
	v_and_b32_e32 v115, 0xffff, v119
	v_and_b32_e32 v119, 0xffff, v59
	;; [unrolled: 1-line block ×3, first 2 shown]
	v_lshrrev_b32_e32 v78, 16, v155
	v_lshrrev_b32_e32 v109, 16, v156
	;;#ASMSTART
	v_cvt_f32_f16 v132, v132;
	;;#ASMEND
	;;#ASMSTART
	v_cvt_f32_f16 v133, v133;
	;;#ASMEND
	;; [unrolled: 3-line block ×8, first 2 shown]
	v_and_b32_e32 v115, 0xffff, v89
	v_and_b32_e32 v119, 0xffff, v156
	;;#ASMSTART
	v_cvt_f32_f16 v89, v115;
	;;#ASMEND
	;;#ASMSTART
	v_cvt_f32_f16 v90, v119;
	;;#ASMEND
	;; [unrolled: 3-line block ×5, first 2 shown]
	ds_load_b128 v[140:143], v9 offset:80
	v_or_b32_e32 v149, v160, v149
	v_fma_mixlo_f16 v134, v53, v134, 0 op_sel:[0,1,0] op_sel_hi:[0,1,0]
	v_fma_mixlo_f16 v131, v53, v131, 0 op_sel_hi:[0,1,0]
	v_fma_mixlo_f16 v146, v53, v146, 0 op_sel:[0,1,0] op_sel_hi:[0,1,0]
	v_fma_mixlo_f16 v135, v53, v135, 0 op_sel_hi:[0,1,0]
	v_fma_mixlo_f16 v145, v53, v145, 0 op_sel_hi:[0,1,0]
	v_or_b32_e32 v152, v47, v46
	v_fma_mixlo_f16 v119, v53, v47, 0 op_sel:[0,1,0] op_sel_hi:[0,1,0]
	v_or_b32_e32 v47, v56, v57
	v_fma_mixlo_f16 v57, v53, v148, 0 op_sel:[0,1,0] op_sel_hi:[0,1,0]
	v_fma_mixlo_f16 v154, v53, v149, 0 op_sel_hi:[0,1,0]
	v_fma_mixlo_f16 v139, v53, v160, 0 op_sel:[0,1,0] op_sel_hi:[0,1,0]
	v_and_b32_e32 v131, 0xffff, v131
	v_and_b32_e32 v134, 0xffff, v134
	v_or_b32_e32 v153, v58, v60
	v_fmac_f32_e32 v65, v107, v123
	v_and_b32_e32 v145, 0xffff, v145
	v_or_b32_e32 v147, v150, v147
	v_fma_mixlo_f16 v111, v53, v152, 0 op_sel_hi:[0,1,0]
	s_wait_dscnt 0x0
	v_and_b32_e32 v148, 0xffff, v140
	v_lshrrev_b32_e32 v160, 16, v141
	v_lshrrev_b32_e32 v149, 16, v140
	;;#ASMSTART
	v_cvt_f32_f16 v60, v148;
	;;#ASMEND
	v_and_b32_e32 v148, 0xffff, v141
	;;#ASMSTART
	v_cvt_f32_f16 v121, v149;
	;;#ASMEND
	;;#ASMSTART
	v_cvt_f32_f16 v123, v131;
	;;#ASMEND
	;; [unrolled: 3-line block ×5, first 2 shown]
	v_and_b32_e32 v134, 0xffff, v135
	v_and_b32_e32 v135, 0xffff, v146
	;; [unrolled: 1-line block ×3, first 2 shown]
	v_lshrrev_b32_e32 v160, 16, v142
	;;#ASMSTART
	v_cvt_f32_f16 v138, v134;
	;;#ASMEND
	;;#ASMSTART
	v_cvt_f32_f16 v148, v135;
	;;#ASMEND
	;; [unrolled: 3-line block ×5, first 2 shown]
	v_and_b32_e32 v134, 0xffff, v57
	v_and_b32_e32 v135, 0xffff, v143
	v_lshrrev_b32_e32 v145, 16, v143
	v_and_b32_e32 v146, 0xffff, v154
	v_and_b32_e32 v57, 0xffff, v139
	;;#ASMSTART
	v_cvt_f32_f16 v107, v134;
	;;#ASMEND
	;;#ASMSTART
	v_cvt_f32_f16 v134, v135;
	;;#ASMEND
	;; [unrolled: 3-line block ×5, first 2 shown]
	ds_load_b128 v[139:142], v9 offset:96
	v_or_b32_e32 v143, v162, v151
	v_or_b32_e32 v152, v42, v44
	v_fma_mixlo_f16 v44, v53, v162, 0 op_sel:[0,1,0] op_sel_hi:[0,1,0]
	v_or_b32_e32 v161, v164, v161
	v_or_b32_e32 v162, v176, v165
	v_fma_mixlo_f16 v150, v53, v150, 0 op_sel:[0,1,0] op_sel_hi:[0,1,0]
	v_fma_mixlo_f16 v165, v53, v147, 0 op_sel_hi:[0,1,0]
	v_fma_mixlo_f16 v57, v53, v47, 0 op_sel_hi:[0,1,0]
	;; [unrolled: 1-line block ×3, first 2 shown]
	v_fma_mixlo_f16 v151, v53, v58, 0 op_sel:[0,1,0] op_sel_hi:[0,1,0]
	v_fma_mixlo_f16 v58, v53, v143, 0 op_sel_hi:[0,1,0]
	v_fma_mixlo_f16 v143, v53, v164, 0 op_sel:[0,1,0] op_sel_hi:[0,1,0]
	v_fma_mixlo_f16 v153, v53, v161, 0 op_sel_hi:[0,1,0]
	v_fma_mixlo_f16 v154, v53, v162, 0 op_sel_hi:[0,1,0]
	v_fma_mixlo_f16 v155, v53, v176, 0 op_sel:[0,1,0] op_sel_hi:[0,1,0]
	v_fmac_f32_e32 v54, v93, v95
	v_and_b32_e32 v162, 0xffff, v165
	v_dual_fmac_f32 v21, v108, v125 :: v_dual_and_b32 v164, 0xffff, v150
	s_wait_dscnt 0x0
	v_and_b32_e32 v147, 0xffff, v139
	v_lshrrev_b32_e32 v161, 16, v139
	v_and_b32_e32 v165, 0xffff, v140
	v_lshrrev_b32_e32 v176, 16, v140
	v_fmac_f32_e32 v64, v122, v126
	;;#ASMSTART
	v_cvt_f32_f16 v147, v147;
	;;#ASMEND
	;;#ASMSTART
	v_cvt_f32_f16 v150, v161;
	;;#ASMEND
	;; [unrolled: 3-line block ×6, first 2 shown]
	v_and_b32_e32 v176, 0xffff, v58
	v_and_b32_e32 v44, 0xffff, v44
	;; [unrolled: 1-line block ×3, first 2 shown]
	v_lshrrev_b32_e32 v92, 16, v141
	v_and_b32_e32 v94, 0xffff, v153
	v_and_b32_e32 v108, 0xffff, v143
	v_and_b32_e32 v122, 0xffff, v142
	v_lshrrev_b32_e32 v125, 16, v142
	v_and_b32_e32 v126, 0xffff, v154
	v_and_b32_e32 v127, 0xffff, v155
	;;#ASMSTART
	v_cvt_f32_f16 v176, v176;
	;;#ASMEND
	;;#ASMSTART
	v_cvt_f32_f16 v44, v44;
	;;#ASMEND
	;; [unrolled: 3-line block ×10, first 2 shown]
	ds_load_b128 v[139:142], v9 offset:112
	v_fmac_f32_e32 v54, v84, v85
	v_or_b32_e32 v163, v166, v163
	v_or_b32_e32 v167, v178, v167
	;; [unrolled: 1-line block ×4, first 2 shown]
	v_fmac_f32_e32 v54, v144, v61
	v_fma_mixlo_f16 v166, v53, v166, 0 op_sel:[0,1,0] op_sel_hi:[0,1,0]
	v_fma_mixlo_f16 v163, v53, v163, 0 op_sel_hi:[0,1,0]
	v_fma_mixlo_f16 v178, v53, v178, 0 op_sel:[0,1,0] op_sel_hi:[0,1,0]
	v_fma_mixlo_f16 v167, v53, v167, 0 op_sel_hi:[0,1,0]
	v_fmac_f32_e32 v54, v131, v148
	v_fma_mixlo_f16 v177, v53, v177, 0 op_sel_hi:[0,1,0]
	v_fma_mixlo_f16 v179, v53, v179, 0 op_sel:[0,1,0] op_sel_hi:[0,1,0]
	v_fma_mixlo_f16 v137, v53, v180, 0 op_sel_hi:[0,1,0]
	s_delay_alu instid0(VALU_DEP_4)
	v_dual_fmac_f32 v54, v165, v44 :: v_dual_and_b32 v163, 0xffff, v163
	v_fma_mixlo_f16 v115, v53, v157, 0 op_sel_hi:[0,1,0]
	v_fma_mixlo_f16 v157, v53, v181, 0 op_sel:[0,1,0] op_sel_hi:[0,1,0]
	v_and_b32_e32 v166, 0xffff, v166
	s_wait_dscnt 0x0
	v_and_b32_e32 v180, 0xffff, v139
	v_lshrrev_b32_e32 v181, 16, v139
	v_fma_mixlo_f16 v143, v53, v42, 0 op_sel:[0,1,0] op_sel_hi:[0,1,0]
	v_or_b32_e32 v153, v183, v182
	v_fma_mixlo_f16 v154, v53, v183, 0 op_sel:[0,1,0] op_sel_hi:[0,1,0]
	v_or_b32_e32 v155, v40, v41
	;;#ASMSTART
	v_cvt_f32_f16 v180, v180;
	;;#ASMEND
	v_and_b32_e32 v41, 0xffff, v140
	v_lshrrev_b32_e32 v42, 16, v140
	;;#ASMSTART
	v_cvt_f32_f16 v181, v181;
	;;#ASMEND
	;;#ASMSTART
	v_cvt_f32_f16 v182, v163;
	;;#ASMEND
	;; [unrolled: 3-line block ×3, first 2 shown]
	v_and_b32_e32 v163, 0xffff, v167
	v_and_b32_e32 v166, 0xffff, v178
	;; [unrolled: 1-line block ×3, first 2 shown]
	v_lshrrev_b32_e32 v178, 16, v141
	v_and_b32_e32 v177, 0xffff, v177
	v_or_b32_e32 v156, v43, v45
	v_fmac_f32_e32 v65, v79, v104
	;;#ASMSTART
	v_cvt_f32_f16 v41, v41;
	;;#ASMEND
	;;#ASMSTART
	v_cvt_f32_f16 v42, v42;
	;;#ASMEND
	;; [unrolled: 3-line block ×7, first 2 shown]
	v_and_b32_e32 v163, 0xffff, v179
	v_and_b32_e32 v166, 0xffff, v142
	v_lshrrev_b32_e32 v167, 16, v142
	v_and_b32_e32 v177, 0xffff, v137
	v_and_b32_e32 v178, 0xffff, v157
	;;#ASMSTART
	v_cvt_f32_f16 v95, v163;
	;;#ASMEND
	;;#ASMSTART
	v_cvt_f32_f16 v104, v166;
	;;#ASMEND
	;;#ASMSTART
	v_cvt_f32_f16 v105, v167;
	;;#ASMEND
	;;#ASMSTART
	v_cvt_f32_f16 v106, v177;
	;;#ASMEND
	;;#ASMSTART
	v_cvt_f32_f16 v137, v178;
	;;#ASMEND
	ds_load_b128 v[139:142], v9 offset:128
	v_fma_mixlo_f16 v153, v53, v153, 0 op_sel_hi:[0,1,0]
	v_fma_mixlo_f16 v152, v53, v152, 0 op_sel_hi:[0,1,0]
	v_fma_mixlo_f16 v157, v53, v40, 0 op_sel:[0,1,0] op_sel_hi:[0,1,0]
	v_fma_mixlo_f16 v155, v53, v155, 0 op_sel_hi:[0,1,0]
	v_or_b32_e32 v163, v72, v62
	v_or_b32_e32 v40, v75, v74
	v_fma_mixlo_f16 v156, v53, v156, 0 op_sel_hi:[0,1,0]
	v_fma_mixlo_f16 v158, v53, v43, 0 op_sel:[0,1,0] op_sel_hi:[0,1,0]
	v_or_b32_e32 v28, v29, v28
	v_dual_fmac_f32 v21, v99, v114 :: v_dual_fmac_f32 v64, v113, v116
	v_and_b32_e32 v99, 0xffff, v154
	v_fma_mixlo_f16 v167, v53, v72, 0 op_sel:[0,1,0] op_sel_hi:[0,1,0]
	v_fma_mixlo_f16 v177, v53, v163, 0 op_sel_hi:[0,1,0]
	v_or_b32_e32 v166, v73, v63
	v_fma_mixlo_f16 v178, v53, v29, 0 op_sel:[0,1,0] op_sel_hi:[0,1,0]
	v_fma_mixlo_f16 v163, v53, v73, 0 op_sel:[0,1,0] op_sel_hi:[0,1,0]
	v_fma_mixlo_f16 v29, v53, v40, 0 op_sel_hi:[0,1,0]
	v_fma_mixlo_f16 v179, v53, v28, 0 op_sel_hi:[0,1,0]
	s_wait_dscnt 0x0
	v_and_b32_e32 v97, 0xffff, v139
	v_lshrrev_b32_e32 v98, 16, v139
	;;#ASMSTART
	v_cvt_f32_f16 v43, v97;
	;;#ASMEND
	v_and_b32_e32 v97, 0xffff, v153
	v_and_b32_e32 v113, 0xffff, v140
	v_lshrrev_b32_e32 v114, 16, v140
	;;#ASMSTART
	v_cvt_f32_f16 v40, v98;
	;;#ASMEND
	;;#ASMSTART
	v_cvt_f32_f16 v73, v97;
	;;#ASMEND
	;; [unrolled: 3-line block ×5, first 2 shown]
	v_and_b32_e32 v97, 0xffff, v152
	v_and_b32_e32 v98, 0xffff, v143
	;; [unrolled: 1-line block ×3, first 2 shown]
	v_lshrrev_b32_e32 v113, 16, v141
	v_and_b32_e32 v114, 0xffff, v155
	v_fma_mixlo_f16 v28, v53, v75, 0 op_sel:[0,1,0] op_sel_hi:[0,1,0]
	v_fmac_f32_e32 v55, v117, v128
	;;#ASMSTART
	v_cvt_f32_f16 v74, v97;
	;;#ASMEND
	;;#ASMSTART
	v_cvt_f32_f16 v75, v98;
	;;#ASMEND
	;; [unrolled: 3-line block ×5, first 2 shown]
	v_and_b32_e32 v113, 0xffff, v157
	v_and_b32_e32 v114, 0xffff, v142
	v_lshrrev_b32_e32 v116, 16, v142
	v_and_b32_e32 v117, 0xffff, v156
	v_and_b32_e32 v128, 0xffff, v158
	;;#ASMSTART
	v_cvt_f32_f16 v113, v113;
	;;#ASMEND
	;;#ASMSTART
	v_cvt_f32_f16 v114, v114;
	;;#ASMEND
	;; [unrolled: 3-line block ×5, first 2 shown]
	ds_load_b128 v[139:142], v9 offset:144
	v_fma_mixlo_f16 v56, v53, v56, 0 op_sel:[0,1,0] op_sel_hi:[0,1,0]
	v_dual_fmac_f32 v65, v87, v100 :: v_dual_and_b32 v86, 0xffff, v119
	v_dual_fmac_f32 v70, v101, v103 :: v_dual_fmac_f32 v71, v102, v112
	v_and_b32_e32 v83, 0xffff, v83
	v_dual_fmac_f32 v21, v118, v130 :: v_dual_fmac_f32 v64, v129, v132
	v_and_b32_e32 v129, 0xffff, v57
	v_and_b32_e32 v144, 0xffff, v151
	v_fmac_f32_e32 v55, v133, v59
	v_fmac_f32_e32 v65, v78, v89
	v_dual_fmac_f32 v21, v60, v123 :: v_dual_fmac_f32 v64, v121, v124
	v_fma_mixlo_f16 v69, v53, v69, 0 op_sel_hi:[0,1,0]
	v_dual_fmac_f32 v70, v90, v110 :: v_dual_fmac_f32 v71, v109, v120
	v_fma_mixlo_f16 v20, v53, v20, 0 op_sel_hi:[0,1,0]
	v_fmac_f32_e32 v66, v76, v88
	s_wait_dscnt 0x0
	v_and_b32_e32 v84, 0xffff, v139
	v_lshrrev_b32_e32 v85, 16, v139
	;;#ASMSTART
	v_cvt_f32_f16 v87, v84;
	;;#ASMEND
	v_and_b32_e32 v84, 0xffff, v111
	v_and_b32_e32 v102, 0xffff, v140
	v_lshrrev_b32_e32 v103, 16, v140
	;;#ASMSTART
	v_cvt_f32_f16 v96, v85;
	;;#ASMEND
	;;#ASMSTART
	v_cvt_f32_f16 v100, v84;
	;;#ASMEND
	;; [unrolled: 3-line block ×3, first 2 shown]
	v_and_b32_e32 v84, 0xffff, v115
	v_and_b32_e32 v85, 0xffff, v141
	v_lshrrev_b32_e32 v86, 16, v141
	;;#ASMSTART
	v_cvt_f32_f16 v102, v102;
	;;#ASMEND
	;;#ASMSTART
	v_cvt_f32_f16 v103, v103;
	;;#ASMEND
	;; [unrolled: 3-line block ×6, first 2 shown]
	v_and_b32_e32 v83, 0xffff, v56
	v_and_b32_e32 v84, 0xffff, v142
	v_lshrrev_b32_e32 v85, 16, v142
	v_and_b32_e32 v86, 0xffff, v47
	;;#ASMSTART
	v_cvt_f32_f16 v129, v129;
	;;#ASMEND
	;;#ASMSTART
	v_cvt_f32_f16 v130, v83;
	;;#ASMEND
	;; [unrolled: 3-line block ×6, first 2 shown]
	ds_load_b128 v[83:86], v9 offset:160
	v_fmac_f32_e32 v55, v136, v138
	v_fmac_f32_e32 v65, v160, v107
	v_dual_fmac_f32 v21, v147, v161 :: v_dual_fmac_f32 v64, v150, v162
	v_dual_fmac_f32 v70, v134, v145 :: v_dual_fmac_f32 v71, v135, v146
	v_and_b32_e32 v69, 0xffff, v69
	v_and_b32_e32 v135, 0xffff, v68
	;; [unrolled: 1-line block ×7, first 2 shown]
	v_dual_fmac_f32 v66, v149, v46 :: v_dual_fmac_f32 v55, v164, v176
	v_fmac_f32_e32 v65, v92, v108
	v_dual_fmac_f32 v21, v180, v182 :: v_dual_fmac_f32 v64, v181, v183
	v_fmac_f32_e32 v54, v42, v77
	s_wait_dscnt 0x0
	v_and_b32_e32 v134, 0xffff, v83
	v_lshrrev_b32_e32 v83, 16, v83
	v_and_b32_e32 v145, 0xffff, v84
	v_lshrrev_b32_e32 v146, 16, v84
	;;#ASMSTART
	v_cvt_f32_f16 v134, v134;
	;;#ASMEND
	;;#ASMSTART
	v_cvt_f32_f16 v68, v83;
	;;#ASMEND
	;; [unrolled: 3-line block ×6, first 2 shown]
	v_and_b32_e32 v83, 0xffff, v8
	v_and_b32_e32 v146, 0xffff, v85
	v_lshrrev_b32_e32 v147, 16, v85
	;;#ASMSTART
	v_cvt_f32_f16 v8, v20;
	;;#ASMEND
	;;#ASMSTART
	v_cvt_f32_f16 v20, v83;
	;;#ASMEND
	;; [unrolled: 3-line block ×5, first 2 shown]
	v_and_b32_e32 v82, 0xffff, v86
	v_lshrrev_b32_e32 v83, 16, v86
	;;#ASMSTART
	v_cvt_f32_f16 v67, v67;
	;;#ASMEND
	;;#ASMSTART
	v_cvt_f32_f16 v86, v82;
	;;#ASMEND
	;; [unrolled: 3-line block ×5, first 2 shown]
	ds_load_b128 v[80:83], v9 offset:176
	v_fmac_f32_e32 v55, v41, v45
	v_fmac_f32_e32 v65, v91, v95
	v_dual_fmac_f32 v21, v43, v73 :: v_dual_fmac_f32 v64, v40, v62
	s_delay_alu instid0(VALU_DEP_3) | instskip(NEXT) | instid1(VALU_DEP_3)
	v_dual_fmac_f32 v54, v72, v75 :: v_dual_fmac_f32 v55, v63, v74
	v_fmac_f32_e32 v65, v98, v113
	s_delay_alu instid0(VALU_DEP_3) | instskip(NEXT) | instid1(VALU_DEP_3)
	v_dual_fmac_f32 v66, v58, v94 :: v_dual_fmac_f32 v21, v87, v100
	v_dual_fmac_f32 v64, v96, v101 :: v_dual_fmac_f32 v55, v102, v112
	s_delay_alu instid0(VALU_DEP_4) | instskip(NEXT) | instid1(VALU_DEP_4)
	v_fmac_f32_e32 v54, v103, v115
	v_fmac_f32_e32 v65, v119, v130
	s_delay_alu instid0(VALU_DEP_4) | instskip(NEXT) | instid1(VALU_DEP_4)
	v_fmac_f32_e32 v66, v79, v93
	v_dual_fmac_f32 v21, v134, v69 :: v_dual_fmac_f32 v64, v68, v84
	v_fmac_f32_e32 v55, v135, v8
	s_delay_alu instid0(VALU_DEP_4)
	v_dual_fmac_f32 v54, v145, v20 :: v_dual_fmac_f32 v65, v146, v67
	s_wait_dscnt 0x0
	v_and_b32_e32 v8, 0xffff, v80
	v_lshrrev_b32_e32 v20, 16, v80
	v_and_b32_e32 v67, 0xffff, v179
	v_and_b32_e32 v68, 0xffff, v178
	v_fmac_f32_e32 v70, v122, v126
	v_fmac_f32_e32 v66, v97, v99
	;;#ASMSTART
	v_cvt_f32_f16 v8, v8;
	;;#ASMEND
	;;#ASMSTART
	v_cvt_f32_f16 v20, v20;
	;;#ASMEND
	;;#ASMSTART
	v_cvt_f32_f16 v67, v67;
	;;#ASMEND
	;;#ASMSTART
	v_cvt_f32_f16 v68, v68;
	;;#ASMEND
	v_fmac_f32_e32 v21, v8, v67
	v_fmac_f32_e32 v64, v20, v68
	v_and_b32_e32 v8, 0xffff, v81
	v_lshrrev_b32_e32 v67, 16, v81
	;;#ASMSTART
	v_cvt_f32_f16 v8, v8;
	;;#ASMEND
	v_dual_fmac_f32 v71, v125, v127 :: v_dual_fmac_f32 v70, v104, v106
	v_fmac_f32_e32 v66, v118, v129
	v_and_b32_e32 v69, 0xffff, v177
	;;#ASMSTART
	v_cvt_f32_f16 v20, v67;
	;;#ASMEND
	;;#ASMSTART
	v_cvt_f32_f16 v67, v69;
	;;#ASMEND
	v_dual_fmac_f32 v55, v8, v67 :: v_dual_add_f32 v8, v21, v64
	v_fma_mixlo_f16 v166, v53, v166, 0 op_sel_hi:[0,1,0]
	v_fmac_f32_e32 v71, v105, v137
	v_fmac_f32_e32 v70, v114, v117
	v_fmac_f32_e32 v66, v85, v147
	v_and_b32_e32 v80, 0xffff, v167
	;;#ASMSTART
	v_cvt_f32_f16 v68, v80;
	;;#ASMEND
	v_fmac_f32_e32 v54, v20, v68
	v_add_f32_e32 v8, v8, v55
	v_dual_fmac_f32 v71, v116, v128 :: v_dual_and_b32 v20, 0xffff, v82
	v_fmac_f32_e32 v70, v131, v133
	v_lshrrev_b32_e32 v67, 16, v82
	v_and_b32_e32 v64, 0xffff, v166
	;;#ASMSTART
	v_cvt_f32_f16 v20, v20;
	;;#ASMEND
	;;#ASMSTART
	v_cvt_f32_f16 v21, v67;
	;;#ASMEND
	;;#ASMSTART
	v_cvt_f32_f16 v55, v64;
	;;#ASMEND
	v_fmac_f32_e32 v66, v20, v55
	v_dual_add_f32 v8, v54, v8 :: v_dual_add_nc_u32 v53, v49, v50
	v_dual_fmac_f32 v70, v86, v149 :: v_dual_fmac_f32 v71, v132, v144
	v_and_b32_e32 v68, 0xffff, v163
	;;#ASMSTART
	v_cvt_f32_f16 v64, v68;
	;;#ASMEND
	s_delay_alu instid0(VALU_DEP_3)
	v_dual_fmac_f32 v65, v21, v64 :: v_dual_add_f32 v8, v8, v66
	v_and_b32_e32 v20, 0xffff, v83
	v_and_b32_e32 v29, 0xffff, v29
	v_cvt_f32_i32_e32 v53, v53
	v_fmac_f32_e32 v71, v148, v150
	v_lshrrev_b32_e32 v54, 16, v83
	;;#ASMSTART
	v_cvt_f32_f16 v20, v20;
	;;#ASMEND
	;;#ASMSTART
	v_cvt_f32_f16 v21, v54;
	;;#ASMEND
	;; [unrolled: 3-line block ×3, first 2 shown]
	v_fmac_f32_e32 v70, v20, v29
	v_add_f32_e32 v8, v65, v8
	v_and_b32_e32 v28, 0xffff, v28
	v_mul_f32_e32 v20, v39, v53
	;;#ASMSTART
	v_cvt_f32_f16 v28, v28;
	;;#ASMEND
	s_delay_alu instid0(VALU_DEP_2)
	v_dual_fmac_f32 v71, v21, v28 :: v_dual_add_f32 v8, v8, v70
	v_cmp_lt_i32_e64 s1, v50, v30
	s_wait_alu 0xfffd
	v_cndmask_b32_e32 v20, 0, v20, vcc_lo
	v_add_nc_u32_e32 v52, 4, v52
	v_add_co_u32 v18, s2, v18, 16
	v_add_f32_e32 v8, v71, v8
	s_wait_alu 0xf1ff
	v_add_co_ci_u32_e64 v19, null, 0, v19, s2
	v_add_nc_u32_e32 v50, 0x80, v50
	s_delay_alu instid0(VALU_DEP_3) | instskip(SKIP_1) | instid1(VALU_DEP_2)
	v_fmac_f32_e32 v20, v13, v8
	v_max_num_f32_e32 v8, v48, v48
	v_cndmask_b32_e64 v21, 0, v20, s1
	s_delay_alu instid0(VALU_DEP_2)
	v_max_num_f32_e32 v8, v8, v20
	ds_store_b32 v51, v21
	v_cndmask_b32_e64 v48, v48, v8, s1
	v_cmp_ge_i32_e64 s1, v52, v33
	v_add_nc_u32_e32 v51, 0x200, v51
	s_or_b32 s7, s1, s7
	s_wait_alu 0xfffe
	s_and_not1_b32 exec_lo, exec_lo, s7
	s_cbranch_execz .LBB301_776
.LBB301_11:                             ; =>This Inner Loop Header: Depth=1
	flat_load_b32 v8, v[18:19]
	v_mov_b32_e32 v54, 0
	s_mov_b32 s2, exec_lo
	s_wait_loadcnt_dscnt 0x0
	v_mad_co_i64_i32 v[20:21], null, v8, v22, v[16:17]
	flat_load_b64 v[28:29], v[20:21]
	flat_load_b32 v53, v[24:25]
	s_wait_loadcnt_dscnt 0x101
	v_and_b32_e32 v8, 0xff, v28
	s_delay_alu instid0(VALU_DEP_1)
	v_cmpx_ne_u16_e32 0, v8
	s_cbranch_execz .LBB301_19
; %bb.12:                               ;   in Loop: Header=BB301_11 Depth=1
	v_mov_b32_e32 v54, 0x8000
	s_mov_b32 s17, exec_lo
	v_cmpx_ne_u16_e32 0x80, v8
	s_cbranch_execz .LBB301_18
; %bb.13:                               ;   in Loop: Header=BB301_11 Depth=1
	v_and_b32_e32 v55, 0x7f, v28
	v_mov_b32_e32 v54, 0x7c01
	s_mov_b32 s18, exec_lo
	s_delay_alu instid0(VALU_DEP_2)
	v_cmpx_ne_u32_e32 0x7f, v55
	s_cbranch_execz .LBB301_17
; %bb.14:                               ;   in Loop: Header=BB301_11 Depth=1
	v_and_b32_e32 v8, 7, v28
	v_lshrrev_b32_e32 v54, 3, v55
	s_mov_b32 s19, exec_lo
	v_cmpx_gt_u32_e32 8, v55
; %bb.15:                               ;   in Loop: Header=BB301_11 Depth=1
	s_delay_alu instid0(VALU_DEP_3) | instskip(NEXT) | instid1(VALU_DEP_1)
	v_clz_i32_u32_e32 v8, v8
	v_min_u32_e32 v8, 32, v8
	s_delay_alu instid0(VALU_DEP_1) | instskip(NEXT) | instid1(VALU_DEP_1)
	v_subrev_nc_u32_e32 v54, 28, v8
	v_lshlrev_b64_e32 v[64:65], v54, v[28:29]
	v_sub_nc_u32_e32 v54, 29, v8
	s_delay_alu instid0(VALU_DEP_2)
	v_and_b32_e32 v8, 7, v64
; %bb.16:                               ;   in Loop: Header=BB301_11 Depth=1
	s_wait_alu 0xfffe
	s_or_b32 exec_lo, exec_lo, s19
	v_lshlrev_b32_e32 v55, 8, v28
	v_lshl_add_u32 v54, v54, 10, 0x2000
	v_lshlrev_b32_e32 v8, 7, v8
	s_delay_alu instid0(VALU_DEP_3) | instskip(NEXT) | instid1(VALU_DEP_3)
	v_and_b32_e32 v55, 0x8000, v55
	v_and_b32_e32 v54, 0xfc00, v54
	s_delay_alu instid0(VALU_DEP_1)
	v_or3_b32 v54, v55, v54, v8
.LBB301_17:                             ;   in Loop: Header=BB301_11 Depth=1
	s_wait_alu 0xfffe
	s_or_b32 exec_lo, exec_lo, s18
.LBB301_18:                             ;   in Loop: Header=BB301_11 Depth=1
	s_wait_alu 0xfffe
	s_or_b32 exec_lo, exec_lo, s17
.LBB301_19:                             ;   in Loop: Header=BB301_11 Depth=1
	s_wait_alu 0xfffe
	s_or_b32 exec_lo, exec_lo, s2
	v_lshrrev_b16 v8, 8, v28
	v_dual_mov_b32 v64, 0 :: v_dual_mov_b32 v55, 0
	s_mov_b32 s2, exec_lo
	s_delay_alu instid0(VALU_DEP_2)
	v_cmpx_ne_u16_e32 0, v8
	s_cbranch_execz .LBB301_27
; %bb.20:                               ;   in Loop: Header=BB301_11 Depth=1
	v_bfrev_b32_e32 v55, 1
	s_mov_b32 s17, exec_lo
	v_cmpx_ne_u16_e32 0x80, v8
	s_cbranch_execz .LBB301_26
; %bb.21:                               ;   in Loop: Header=BB301_11 Depth=1
	v_and_b32_e32 v65, 0xffff, v8
	v_mov_b32_e32 v55, 0x7c010000
	s_mov_b32 s18, exec_lo
	s_delay_alu instid0(VALU_DEP_2) | instskip(NEXT) | instid1(VALU_DEP_1)
	v_and_b32_e32 v67, 0x7f, v65
	v_cmpx_ne_u32_e32 0x7f, v67
	s_cbranch_execz .LBB301_25
; %bb.22:                               ;   in Loop: Header=BB301_11 Depth=1
	v_and_b32_e32 v55, 7, v65
	v_lshrrev_b32_e32 v66, 3, v67
	s_mov_b32 s19, exec_lo
	v_cmpx_gt_u32_e32 8, v67
; %bb.23:                               ;   in Loop: Header=BB301_11 Depth=1
	s_delay_alu instid0(VALU_DEP_3) | instskip(NEXT) | instid1(VALU_DEP_1)
	v_clz_i32_u32_e32 v55, v55
	v_min_u32_e32 v55, 32, v55
	s_delay_alu instid0(VALU_DEP_1) | instskip(NEXT) | instid1(VALU_DEP_1)
	v_subrev_nc_u32_e32 v66, 28, v55
	v_lshlrev_b64_e32 v[67:68], v66, v[8:9]
	v_sub_nc_u32_e32 v66, 29, v55
	s_delay_alu instid0(VALU_DEP_2)
	v_and_b32_e32 v55, 7, v67
; %bb.24:                               ;   in Loop: Header=BB301_11 Depth=1
	s_wait_alu 0xfffe
	s_or_b32 exec_lo, exec_lo, s19
	v_lshlrev_b32_e32 v8, 8, v65
	v_lshl_add_u32 v65, v66, 10, 0x2000
	v_lshlrev_b32_e32 v55, 23, v55
	s_delay_alu instid0(VALU_DEP_2) | instskip(NEXT) | instid1(VALU_DEP_1)
	v_and_or_b32 v8, 0x8000, v8, v65
	v_lshl_or_b32 v55, v8, 16, v55
.LBB301_25:                             ;   in Loop: Header=BB301_11 Depth=1
	s_wait_alu 0xfffe
	s_or_b32 exec_lo, exec_lo, s18
.LBB301_26:                             ;   in Loop: Header=BB301_11 Depth=1
	s_wait_alu 0xfffe
	s_or_b32 exec_lo, exec_lo, s17
.LBB301_27:                             ;   in Loop: Header=BB301_11 Depth=1
	s_wait_alu 0xfffe
	s_or_b32 exec_lo, exec_lo, s2
	v_lshrrev_b32_e32 v8, 16, v28
	s_mov_b32 s2, exec_lo
	s_delay_alu instid0(VALU_DEP_1) | instskip(NEXT) | instid1(VALU_DEP_1)
	v_and_b32_e32 v65, 0xff, v8
	v_cmpx_ne_u16_e32 0, v65
	s_cbranch_execz .LBB301_35
; %bb.28:                               ;   in Loop: Header=BB301_11 Depth=1
	v_mov_b32_e32 v64, 0x8000
	s_mov_b32 s17, exec_lo
	v_cmpx_ne_u16_e32 0x80, v65
	s_cbranch_execz .LBB301_34
; %bb.29:                               ;   in Loop: Header=BB301_11 Depth=1
	v_bfe_u32 v66, v28, 16, 7
	v_mov_b32_e32 v64, 0x7c01
	s_mov_b32 s18, exec_lo
	s_delay_alu instid0(VALU_DEP_2)
	v_cmpx_ne_u32_e32 0x7f, v66
	s_cbranch_execz .LBB301_33
; %bb.30:                               ;   in Loop: Header=BB301_11 Depth=1
	v_and_b32_e32 v64, 7, v8
	v_lshrrev_b32_e32 v65, 3, v66
	s_mov_b32 s19, exec_lo
	v_cmpx_gt_u32_e32 8, v66
; %bb.31:                               ;   in Loop: Header=BB301_11 Depth=1
	s_delay_alu instid0(VALU_DEP_3) | instskip(NEXT) | instid1(VALU_DEP_1)
	v_clz_i32_u32_e32 v64, v64
	v_min_u32_e32 v66, 32, v64
	s_delay_alu instid0(VALU_DEP_1) | instskip(NEXT) | instid1(VALU_DEP_1)
	v_subrev_nc_u32_e32 v64, 28, v66
	v_lshlrev_b64_e32 v[64:65], v64, v[8:9]
	v_sub_nc_u32_e32 v65, 29, v66
	s_delay_alu instid0(VALU_DEP_2)
	v_and_b32_e32 v64, 7, v64
; %bb.32:                               ;   in Loop: Header=BB301_11 Depth=1
	s_wait_alu 0xfffe
	s_or_b32 exec_lo, exec_lo, s19
	v_lshlrev_b32_e32 v8, 8, v8
	v_lshl_add_u32 v65, v65, 10, 0x2000
	v_lshlrev_b32_e32 v64, 7, v64
	s_delay_alu instid0(VALU_DEP_3) | instskip(NEXT) | instid1(VALU_DEP_3)
	v_and_b32_e32 v8, 0x8000, v8
	v_and_b32_e32 v65, 0xfc00, v65
	s_delay_alu instid0(VALU_DEP_1)
	v_or3_b32 v64, v8, v65, v64
.LBB301_33:                             ;   in Loop: Header=BB301_11 Depth=1
	s_wait_alu 0xfffe
	s_or_b32 exec_lo, exec_lo, s18
.LBB301_34:                             ;   in Loop: Header=BB301_11 Depth=1
	s_wait_alu 0xfffe
	s_or_b32 exec_lo, exec_lo, s17
.LBB301_35:                             ;   in Loop: Header=BB301_11 Depth=1
	s_wait_alu 0xfffe
	s_or_b32 exec_lo, exec_lo, s2
	v_dual_mov_b32 v65, 0 :: v_dual_mov_b32 v66, 0
	s_mov_b32 s2, exec_lo
	v_cmpx_lt_u32_e32 0xffffff, v28
	s_cbranch_execz .LBB301_43
; %bb.36:                               ;   in Loop: Header=BB301_11 Depth=1
	v_lshrrev_b32_e32 v8, 24, v28
	v_bfrev_b32_e32 v66, 1
	s_mov_b32 s17, exec_lo
	s_delay_alu instid0(VALU_DEP_2)
	v_cmpx_ne_u32_e32 0x80, v8
	s_cbranch_execz .LBB301_42
; %bb.37:                               ;   in Loop: Header=BB301_11 Depth=1
	v_and_b32_e32 v68, 0x7f, v8
	v_mov_b32_e32 v66, 0x7c010000
	s_mov_b32 s18, exec_lo
	s_delay_alu instid0(VALU_DEP_2)
	v_cmpx_ne_u32_e32 0x7f, v68
	s_cbranch_execz .LBB301_41
; %bb.38:                               ;   in Loop: Header=BB301_11 Depth=1
	v_and_b32_e32 v66, 7, v8
	v_lshrrev_b32_e32 v67, 3, v68
	s_mov_b32 s19, exec_lo
	v_cmpx_gt_u32_e32 8, v68
; %bb.39:                               ;   in Loop: Header=BB301_11 Depth=1
	s_delay_alu instid0(VALU_DEP_3) | instskip(NEXT) | instid1(VALU_DEP_1)
	v_clz_i32_u32_e32 v66, v66
	v_min_u32_e32 v68, 32, v66
	s_delay_alu instid0(VALU_DEP_1) | instskip(NEXT) | instid1(VALU_DEP_1)
	v_subrev_nc_u32_e32 v66, 28, v68
	v_lshlrev_b64_e32 v[66:67], v66, v[8:9]
	v_sub_nc_u32_e32 v67, 29, v68
	s_delay_alu instid0(VALU_DEP_2)
	v_and_b32_e32 v66, 7, v66
; %bb.40:                               ;   in Loop: Header=BB301_11 Depth=1
	s_wait_alu 0xfffe
	s_or_b32 exec_lo, exec_lo, s19
	v_lshlrev_b32_e32 v8, 8, v8
	v_lshl_add_u32 v67, v67, 10, 0x2000
	v_lshlrev_b32_e32 v66, 23, v66
	s_delay_alu instid0(VALU_DEP_2) | instskip(NEXT) | instid1(VALU_DEP_1)
	v_and_or_b32 v8, 0x8000, v8, v67
	v_lshl_or_b32 v66, v8, 16, v66
.LBB301_41:                             ;   in Loop: Header=BB301_11 Depth=1
	s_wait_alu 0xfffe
	s_or_b32 exec_lo, exec_lo, s18
.LBB301_42:                             ;   in Loop: Header=BB301_11 Depth=1
	s_wait_alu 0xfffe
	s_or_b32 exec_lo, exec_lo, s17
.LBB301_43:                             ;   in Loop: Header=BB301_11 Depth=1
	s_wait_alu 0xfffe
	s_or_b32 exec_lo, exec_lo, s2
	v_dual_mov_b32 v8, v29 :: v_dual_and_b32 v67, 0xff, v29
	s_mov_b32 s2, exec_lo
	s_delay_alu instid0(VALU_DEP_1)
	v_cmpx_ne_u16_e32 0, v67
	s_cbranch_execz .LBB301_51
; %bb.44:                               ;   in Loop: Header=BB301_11 Depth=1
	v_mov_b32_e32 v65, 0x8000
	s_mov_b32 s17, exec_lo
	v_cmpx_ne_u16_e32 0x80, v67
	s_cbranch_execz .LBB301_50
; %bb.45:                               ;   in Loop: Header=BB301_11 Depth=1
	v_and_b32_e32 v68, 0x7f, v29
	v_mov_b32_e32 v65, 0x7c01
	s_mov_b32 s18, exec_lo
	s_delay_alu instid0(VALU_DEP_2)
	v_cmpx_ne_u32_e32 0x7f, v68
	s_cbranch_execz .LBB301_49
; %bb.46:                               ;   in Loop: Header=BB301_11 Depth=1
	v_and_b32_e32 v65, 7, v29
	v_lshrrev_b32_e32 v67, 3, v68
	s_mov_b32 s19, exec_lo
	v_cmpx_gt_u32_e32 8, v68
; %bb.47:                               ;   in Loop: Header=BB301_11 Depth=1
	s_delay_alu instid0(VALU_DEP_3) | instskip(NEXT) | instid1(VALU_DEP_1)
	v_clz_i32_u32_e32 v65, v65
	v_min_u32_e32 v65, 32, v65
	s_delay_alu instid0(VALU_DEP_1) | instskip(NEXT) | instid1(VALU_DEP_1)
	v_subrev_nc_u32_e32 v67, 28, v65
	v_lshlrev_b64_e32 v[68:69], v67, v[8:9]
	v_sub_nc_u32_e32 v67, 29, v65
	s_delay_alu instid0(VALU_DEP_2)
	v_and_b32_e32 v65, 7, v68
; %bb.48:                               ;   in Loop: Header=BB301_11 Depth=1
	s_wait_alu 0xfffe
	s_or_b32 exec_lo, exec_lo, s19
	v_lshlrev_b32_e32 v68, 8, v29
	v_lshl_add_u32 v67, v67, 10, 0x2000
	v_lshlrev_b32_e32 v65, 7, v65
	s_delay_alu instid0(VALU_DEP_3) | instskip(NEXT) | instid1(VALU_DEP_3)
	v_and_b32_e32 v68, 0x8000, v68
	v_and_b32_e32 v67, 0xfc00, v67
	s_delay_alu instid0(VALU_DEP_1)
	v_or3_b32 v65, v68, v67, v65
.LBB301_49:                             ;   in Loop: Header=BB301_11 Depth=1
	s_wait_alu 0xfffe
	s_or_b32 exec_lo, exec_lo, s18
.LBB301_50:                             ;   in Loop: Header=BB301_11 Depth=1
	s_wait_alu 0xfffe
	s_or_b32 exec_lo, exec_lo, s17
.LBB301_51:                             ;   in Loop: Header=BB301_11 Depth=1
	s_wait_alu 0xfffe
	s_or_b32 exec_lo, exec_lo, s2
	v_lshrrev_b16 v8, 8, v8
	v_dual_mov_b32 v67, 0 :: v_dual_mov_b32 v68, 0
	s_mov_b32 s2, exec_lo
	s_delay_alu instid0(VALU_DEP_2)
	v_cmpx_ne_u16_e32 0, v8
	s_cbranch_execz .LBB301_59
; %bb.52:                               ;   in Loop: Header=BB301_11 Depth=1
	v_bfrev_b32_e32 v68, 1
	s_mov_b32 s17, exec_lo
	v_cmpx_ne_u16_e32 0x80, v8
	s_cbranch_execz .LBB301_58
; %bb.53:                               ;   in Loop: Header=BB301_11 Depth=1
	v_and_b32_e32 v69, 0xffff, v8
	v_mov_b32_e32 v68, 0x7c010000
	s_mov_b32 s18, exec_lo
	s_delay_alu instid0(VALU_DEP_2) | instskip(NEXT) | instid1(VALU_DEP_1)
	v_and_b32_e32 v71, 0x7f, v69
	v_cmpx_ne_u32_e32 0x7f, v71
	s_cbranch_execz .LBB301_57
; %bb.54:                               ;   in Loop: Header=BB301_11 Depth=1
	v_and_b32_e32 v68, 7, v69
	v_lshrrev_b32_e32 v70, 3, v71
	s_mov_b32 s19, exec_lo
	v_cmpx_gt_u32_e32 8, v71
; %bb.55:                               ;   in Loop: Header=BB301_11 Depth=1
	s_delay_alu instid0(VALU_DEP_3) | instskip(NEXT) | instid1(VALU_DEP_1)
	v_clz_i32_u32_e32 v68, v68
	v_min_u32_e32 v68, 32, v68
	s_delay_alu instid0(VALU_DEP_1) | instskip(NEXT) | instid1(VALU_DEP_1)
	v_subrev_nc_u32_e32 v70, 28, v68
	v_lshlrev_b64_e32 v[80:81], v70, v[8:9]
	v_sub_nc_u32_e32 v70, 29, v68
	s_delay_alu instid0(VALU_DEP_2)
	v_and_b32_e32 v68, 7, v80
; %bb.56:                               ;   in Loop: Header=BB301_11 Depth=1
	s_wait_alu 0xfffe
	s_or_b32 exec_lo, exec_lo, s19
	v_lshlrev_b32_e32 v8, 8, v69
	v_lshl_add_u32 v69, v70, 10, 0x2000
	v_lshlrev_b32_e32 v68, 23, v68
	s_delay_alu instid0(VALU_DEP_2) | instskip(NEXT) | instid1(VALU_DEP_1)
	v_and_or_b32 v8, 0x8000, v8, v69
	v_lshl_or_b32 v68, v8, 16, v68
.LBB301_57:                             ;   in Loop: Header=BB301_11 Depth=1
	s_wait_alu 0xfffe
	s_or_b32 exec_lo, exec_lo, s18
.LBB301_58:                             ;   in Loop: Header=BB301_11 Depth=1
	s_wait_alu 0xfffe
	s_or_b32 exec_lo, exec_lo, s17
.LBB301_59:                             ;   in Loop: Header=BB301_11 Depth=1
	s_wait_alu 0xfffe
	s_or_b32 exec_lo, exec_lo, s2
	v_lshrrev_b32_e32 v8, 16, v29
	s_mov_b32 s2, exec_lo
	s_delay_alu instid0(VALU_DEP_1) | instskip(NEXT) | instid1(VALU_DEP_1)
	v_and_b32_e32 v69, 0xff, v8
	v_cmpx_ne_u16_e32 0, v69
	s_cbranch_execz .LBB301_67
; %bb.60:                               ;   in Loop: Header=BB301_11 Depth=1
	v_mov_b32_e32 v67, 0x8000
	s_mov_b32 s17, exec_lo
	v_cmpx_ne_u16_e32 0x80, v69
	s_cbranch_execz .LBB301_66
; %bb.61:                               ;   in Loop: Header=BB301_11 Depth=1
	v_bfe_u32 v70, v29, 16, 7
	v_mov_b32_e32 v67, 0x7c01
	s_mov_b32 s18, exec_lo
	s_delay_alu instid0(VALU_DEP_2)
	v_cmpx_ne_u32_e32 0x7f, v70
	s_cbranch_execz .LBB301_65
; %bb.62:                               ;   in Loop: Header=BB301_11 Depth=1
	v_and_b32_e32 v67, 7, v8
	v_lshrrev_b32_e32 v69, 3, v70
	s_mov_b32 s19, exec_lo
	v_cmpx_gt_u32_e32 8, v70
; %bb.63:                               ;   in Loop: Header=BB301_11 Depth=1
	s_delay_alu instid0(VALU_DEP_3) | instskip(NEXT) | instid1(VALU_DEP_1)
	v_clz_i32_u32_e32 v67, v67
	v_min_u32_e32 v67, 32, v67
	s_delay_alu instid0(VALU_DEP_1) | instskip(NEXT) | instid1(VALU_DEP_1)
	v_subrev_nc_u32_e32 v69, 28, v67
	v_lshlrev_b64_e32 v[70:71], v69, v[8:9]
	v_sub_nc_u32_e32 v69, 29, v67
	s_delay_alu instid0(VALU_DEP_2)
	v_and_b32_e32 v67, 7, v70
; %bb.64:                               ;   in Loop: Header=BB301_11 Depth=1
	s_wait_alu 0xfffe
	s_or_b32 exec_lo, exec_lo, s19
	v_lshlrev_b32_e32 v8, 8, v8
	v_lshl_add_u32 v69, v69, 10, 0x2000
	v_lshlrev_b32_e32 v67, 7, v67
	s_delay_alu instid0(VALU_DEP_3) | instskip(NEXT) | instid1(VALU_DEP_3)
	v_and_b32_e32 v8, 0x8000, v8
	v_and_b32_e32 v69, 0xfc00, v69
	s_delay_alu instid0(VALU_DEP_1)
	v_or3_b32 v67, v8, v69, v67
.LBB301_65:                             ;   in Loop: Header=BB301_11 Depth=1
	s_wait_alu 0xfffe
	s_or_b32 exec_lo, exec_lo, s18
.LBB301_66:                             ;   in Loop: Header=BB301_11 Depth=1
	s_wait_alu 0xfffe
	s_or_b32 exec_lo, exec_lo, s17
.LBB301_67:                             ;   in Loop: Header=BB301_11 Depth=1
	s_wait_alu 0xfffe
	s_or_b32 exec_lo, exec_lo, s2
	v_dual_mov_b32 v69, 0 :: v_dual_mov_b32 v70, 0
	s_mov_b32 s2, exec_lo
	v_cmpx_lt_u64_e64 s[8:9], v[28:29]
	s_cbranch_execz .LBB301_75
; %bb.68:                               ;   in Loop: Header=BB301_11 Depth=1
	v_lshrrev_b32_e32 v8, 24, v29
	v_bfrev_b32_e32 v70, 1
	s_mov_b32 s17, exec_lo
	s_delay_alu instid0(VALU_DEP_2)
	v_cmpx_ne_u32_e32 0x80, v8
	s_cbranch_execz .LBB301_74
; %bb.69:                               ;   in Loop: Header=BB301_11 Depth=1
	v_and_b32_e32 v71, 0x7f, v8
	v_mov_b32_e32 v70, 0x7c010000
	s_mov_b32 s18, exec_lo
	s_delay_alu instid0(VALU_DEP_2)
	v_cmpx_ne_u32_e32 0x7f, v71
	s_cbranch_execz .LBB301_73
; %bb.70:                               ;   in Loop: Header=BB301_11 Depth=1
	v_and_b32_e32 v28, 7, v8
	v_lshrrev_b32_e32 v29, 3, v71
	s_mov_b32 s19, exec_lo
	v_cmpx_gt_u32_e32 8, v71
; %bb.71:                               ;   in Loop: Header=BB301_11 Depth=1
	s_delay_alu instid0(VALU_DEP_3) | instskip(NEXT) | instid1(VALU_DEP_1)
	v_clz_i32_u32_e32 v28, v28
	v_min_u32_e32 v70, 32, v28
	s_delay_alu instid0(VALU_DEP_1) | instskip(NEXT) | instid1(VALU_DEP_1)
	v_subrev_nc_u32_e32 v28, 28, v70
	v_lshlrev_b64_e32 v[28:29], v28, v[8:9]
	v_sub_nc_u32_e32 v29, 29, v70
	s_delay_alu instid0(VALU_DEP_2)
	v_and_b32_e32 v28, 7, v28
; %bb.72:                               ;   in Loop: Header=BB301_11 Depth=1
	s_wait_alu 0xfffe
	s_or_b32 exec_lo, exec_lo, s19
	v_lshlrev_b32_e32 v8, 8, v8
	v_lshl_add_u32 v29, v29, 10, 0x2000
	v_lshlrev_b32_e32 v28, 23, v28
	s_delay_alu instid0(VALU_DEP_2) | instskip(NEXT) | instid1(VALU_DEP_1)
	v_and_or_b32 v8, 0x8000, v8, v29
	v_lshl_or_b32 v70, v8, 16, v28
.LBB301_73:                             ;   in Loop: Header=BB301_11 Depth=1
	s_wait_alu 0xfffe
	s_or_b32 exec_lo, exec_lo, s18
.LBB301_74:                             ;   in Loop: Header=BB301_11 Depth=1
	s_wait_alu 0xfffe
	s_or_b32 exec_lo, exec_lo, s17
.LBB301_75:                             ;   in Loop: Header=BB301_11 Depth=1
	s_wait_alu 0xfffe
	s_or_b32 exec_lo, exec_lo, s2
	flat_load_b64 v[28:29], v[20:21] offset:8
	s_mov_b32 s2, exec_lo
	s_wait_loadcnt_dscnt 0x0
	v_and_b32_e32 v8, 0xff, v28
	s_delay_alu instid0(VALU_DEP_1)
	v_cmpx_ne_u16_e32 0, v8
	s_cbranch_execz .LBB301_83
; %bb.76:                               ;   in Loop: Header=BB301_11 Depth=1
	v_mov_b32_e32 v69, 0x8000
	s_mov_b32 s17, exec_lo
	v_cmpx_ne_u16_e32 0x80, v8
	s_cbranch_execz .LBB301_82
; %bb.77:                               ;   in Loop: Header=BB301_11 Depth=1
	v_and_b32_e32 v71, 0x7f, v28
	v_mov_b32_e32 v69, 0x7c01
	s_mov_b32 s18, exec_lo
	s_delay_alu instid0(VALU_DEP_2)
	v_cmpx_ne_u32_e32 0x7f, v71
	s_cbranch_execz .LBB301_81
; %bb.78:                               ;   in Loop: Header=BB301_11 Depth=1
	v_and_b32_e32 v8, 7, v28
	v_lshrrev_b32_e32 v69, 3, v71
	s_mov_b32 s19, exec_lo
	v_cmpx_gt_u32_e32 8, v71
; %bb.79:                               ;   in Loop: Header=BB301_11 Depth=1
	s_delay_alu instid0(VALU_DEP_3) | instskip(NEXT) | instid1(VALU_DEP_1)
	v_clz_i32_u32_e32 v8, v8
	v_min_u32_e32 v8, 32, v8
	s_delay_alu instid0(VALU_DEP_1) | instskip(NEXT) | instid1(VALU_DEP_1)
	v_subrev_nc_u32_e32 v69, 28, v8
	v_lshlrev_b64_e32 v[80:81], v69, v[28:29]
	v_sub_nc_u32_e32 v69, 29, v8
	s_delay_alu instid0(VALU_DEP_2)
	v_and_b32_e32 v8, 7, v80
; %bb.80:                               ;   in Loop: Header=BB301_11 Depth=1
	s_wait_alu 0xfffe
	s_or_b32 exec_lo, exec_lo, s19
	v_lshlrev_b32_e32 v71, 8, v28
	v_lshl_add_u32 v69, v69, 10, 0x2000
	v_lshlrev_b32_e32 v8, 7, v8
	s_delay_alu instid0(VALU_DEP_3) | instskip(NEXT) | instid1(VALU_DEP_3)
	v_and_b32_e32 v71, 0x8000, v71
	v_and_b32_e32 v69, 0xfc00, v69
	s_delay_alu instid0(VALU_DEP_1)
	v_or3_b32 v69, v71, v69, v8
.LBB301_81:                             ;   in Loop: Header=BB301_11 Depth=1
	s_wait_alu 0xfffe
	s_or_b32 exec_lo, exec_lo, s18
.LBB301_82:                             ;   in Loop: Header=BB301_11 Depth=1
	s_wait_alu 0xfffe
	s_or_b32 exec_lo, exec_lo, s17
.LBB301_83:                             ;   in Loop: Header=BB301_11 Depth=1
	s_wait_alu 0xfffe
	s_or_b32 exec_lo, exec_lo, s2
	v_lshrrev_b16 v8, 8, v28
	v_dual_mov_b32 v80, 0 :: v_dual_mov_b32 v71, 0
	s_mov_b32 s2, exec_lo
	s_delay_alu instid0(VALU_DEP_2)
	v_cmpx_ne_u16_e32 0, v8
	s_cbranch_execz .LBB301_91
; %bb.84:                               ;   in Loop: Header=BB301_11 Depth=1
	v_bfrev_b32_e32 v71, 1
	s_mov_b32 s17, exec_lo
	v_cmpx_ne_u16_e32 0x80, v8
	s_cbranch_execz .LBB301_90
; %bb.85:                               ;   in Loop: Header=BB301_11 Depth=1
	v_and_b32_e32 v81, 0xffff, v8
	v_mov_b32_e32 v71, 0x7c010000
	s_mov_b32 s18, exec_lo
	s_delay_alu instid0(VALU_DEP_2) | instskip(NEXT) | instid1(VALU_DEP_1)
	v_and_b32_e32 v83, 0x7f, v81
	v_cmpx_ne_u32_e32 0x7f, v83
	s_cbranch_execz .LBB301_89
; %bb.86:                               ;   in Loop: Header=BB301_11 Depth=1
	v_and_b32_e32 v71, 7, v81
	v_lshrrev_b32_e32 v82, 3, v83
	s_mov_b32 s19, exec_lo
	v_cmpx_gt_u32_e32 8, v83
; %bb.87:                               ;   in Loop: Header=BB301_11 Depth=1
	s_delay_alu instid0(VALU_DEP_3) | instskip(NEXT) | instid1(VALU_DEP_1)
	v_clz_i32_u32_e32 v71, v71
	v_min_u32_e32 v71, 32, v71
	s_delay_alu instid0(VALU_DEP_1) | instskip(NEXT) | instid1(VALU_DEP_1)
	v_subrev_nc_u32_e32 v82, 28, v71
	v_lshlrev_b64_e32 v[83:84], v82, v[8:9]
	v_sub_nc_u32_e32 v82, 29, v71
	s_delay_alu instid0(VALU_DEP_2)
	v_and_b32_e32 v71, 7, v83
; %bb.88:                               ;   in Loop: Header=BB301_11 Depth=1
	s_wait_alu 0xfffe
	s_or_b32 exec_lo, exec_lo, s19
	v_lshlrev_b32_e32 v8, 8, v81
	v_lshl_add_u32 v81, v82, 10, 0x2000
	v_lshlrev_b32_e32 v71, 23, v71
	s_delay_alu instid0(VALU_DEP_2) | instskip(NEXT) | instid1(VALU_DEP_1)
	v_and_or_b32 v8, 0x8000, v8, v81
	v_lshl_or_b32 v71, v8, 16, v71
.LBB301_89:                             ;   in Loop: Header=BB301_11 Depth=1
	s_wait_alu 0xfffe
	s_or_b32 exec_lo, exec_lo, s18
.LBB301_90:                             ;   in Loop: Header=BB301_11 Depth=1
	s_wait_alu 0xfffe
	s_or_b32 exec_lo, exec_lo, s17
.LBB301_91:                             ;   in Loop: Header=BB301_11 Depth=1
	s_wait_alu 0xfffe
	s_or_b32 exec_lo, exec_lo, s2
	v_lshrrev_b32_e32 v8, 16, v28
	s_mov_b32 s2, exec_lo
	s_delay_alu instid0(VALU_DEP_1) | instskip(NEXT) | instid1(VALU_DEP_1)
	v_and_b32_e32 v81, 0xff, v8
	v_cmpx_ne_u16_e32 0, v81
	s_cbranch_execz .LBB301_99
; %bb.92:                               ;   in Loop: Header=BB301_11 Depth=1
	v_mov_b32_e32 v80, 0x8000
	s_mov_b32 s17, exec_lo
	v_cmpx_ne_u16_e32 0x80, v81
	s_cbranch_execz .LBB301_98
; %bb.93:                               ;   in Loop: Header=BB301_11 Depth=1
	v_bfe_u32 v82, v28, 16, 7
	v_mov_b32_e32 v80, 0x7c01
	s_mov_b32 s18, exec_lo
	s_delay_alu instid0(VALU_DEP_2)
	v_cmpx_ne_u32_e32 0x7f, v82
	s_cbranch_execz .LBB301_97
; %bb.94:                               ;   in Loop: Header=BB301_11 Depth=1
	v_and_b32_e32 v80, 7, v8
	v_lshrrev_b32_e32 v81, 3, v82
	s_mov_b32 s19, exec_lo
	v_cmpx_gt_u32_e32 8, v82
; %bb.95:                               ;   in Loop: Header=BB301_11 Depth=1
	s_delay_alu instid0(VALU_DEP_3) | instskip(NEXT) | instid1(VALU_DEP_1)
	v_clz_i32_u32_e32 v80, v80
	v_min_u32_e32 v82, 32, v80
	s_delay_alu instid0(VALU_DEP_1) | instskip(NEXT) | instid1(VALU_DEP_1)
	v_subrev_nc_u32_e32 v80, 28, v82
	v_lshlrev_b64_e32 v[80:81], v80, v[8:9]
	v_sub_nc_u32_e32 v81, 29, v82
	s_delay_alu instid0(VALU_DEP_2)
	v_and_b32_e32 v80, 7, v80
; %bb.96:                               ;   in Loop: Header=BB301_11 Depth=1
	s_wait_alu 0xfffe
	s_or_b32 exec_lo, exec_lo, s19
	v_lshlrev_b32_e32 v8, 8, v8
	v_lshl_add_u32 v81, v81, 10, 0x2000
	v_lshlrev_b32_e32 v80, 7, v80
	s_delay_alu instid0(VALU_DEP_3) | instskip(NEXT) | instid1(VALU_DEP_3)
	v_and_b32_e32 v8, 0x8000, v8
	v_and_b32_e32 v81, 0xfc00, v81
	s_delay_alu instid0(VALU_DEP_1)
	v_or3_b32 v80, v8, v81, v80
.LBB301_97:                             ;   in Loop: Header=BB301_11 Depth=1
	s_wait_alu 0xfffe
	s_or_b32 exec_lo, exec_lo, s18
.LBB301_98:                             ;   in Loop: Header=BB301_11 Depth=1
	s_wait_alu 0xfffe
	s_or_b32 exec_lo, exec_lo, s17
.LBB301_99:                             ;   in Loop: Header=BB301_11 Depth=1
	s_wait_alu 0xfffe
	s_or_b32 exec_lo, exec_lo, s2
	v_dual_mov_b32 v81, 0 :: v_dual_mov_b32 v82, 0
	s_mov_b32 s2, exec_lo
	v_cmpx_lt_u32_e32 0xffffff, v28
	s_cbranch_execz .LBB301_107
; %bb.100:                              ;   in Loop: Header=BB301_11 Depth=1
	v_lshrrev_b32_e32 v8, 24, v28
	v_bfrev_b32_e32 v82, 1
	s_mov_b32 s17, exec_lo
	s_delay_alu instid0(VALU_DEP_2)
	v_cmpx_ne_u32_e32 0x80, v8
	s_cbranch_execz .LBB301_106
; %bb.101:                              ;   in Loop: Header=BB301_11 Depth=1
	v_and_b32_e32 v84, 0x7f, v8
	v_mov_b32_e32 v82, 0x7c010000
	s_mov_b32 s18, exec_lo
	s_delay_alu instid0(VALU_DEP_2)
	v_cmpx_ne_u32_e32 0x7f, v84
	s_cbranch_execz .LBB301_105
; %bb.102:                              ;   in Loop: Header=BB301_11 Depth=1
	v_and_b32_e32 v82, 7, v8
	v_lshrrev_b32_e32 v83, 3, v84
	s_mov_b32 s19, exec_lo
	v_cmpx_gt_u32_e32 8, v84
; %bb.103:                              ;   in Loop: Header=BB301_11 Depth=1
	s_delay_alu instid0(VALU_DEP_3) | instskip(NEXT) | instid1(VALU_DEP_1)
	v_clz_i32_u32_e32 v82, v82
	v_min_u32_e32 v84, 32, v82
	s_delay_alu instid0(VALU_DEP_1) | instskip(NEXT) | instid1(VALU_DEP_1)
	v_subrev_nc_u32_e32 v82, 28, v84
	v_lshlrev_b64_e32 v[82:83], v82, v[8:9]
	v_sub_nc_u32_e32 v83, 29, v84
	s_delay_alu instid0(VALU_DEP_2)
	v_and_b32_e32 v82, 7, v82
; %bb.104:                              ;   in Loop: Header=BB301_11 Depth=1
	s_wait_alu 0xfffe
	s_or_b32 exec_lo, exec_lo, s19
	v_lshlrev_b32_e32 v8, 8, v8
	v_lshl_add_u32 v83, v83, 10, 0x2000
	v_lshlrev_b32_e32 v82, 23, v82
	s_delay_alu instid0(VALU_DEP_2) | instskip(NEXT) | instid1(VALU_DEP_1)
	v_and_or_b32 v8, 0x8000, v8, v83
	v_lshl_or_b32 v82, v8, 16, v82
.LBB301_105:                            ;   in Loop: Header=BB301_11 Depth=1
	s_wait_alu 0xfffe
	s_or_b32 exec_lo, exec_lo, s18
.LBB301_106:                            ;   in Loop: Header=BB301_11 Depth=1
	s_wait_alu 0xfffe
	s_or_b32 exec_lo, exec_lo, s17
.LBB301_107:                            ;   in Loop: Header=BB301_11 Depth=1
	s_wait_alu 0xfffe
	s_or_b32 exec_lo, exec_lo, s2
	v_dual_mov_b32 v8, v29 :: v_dual_and_b32 v83, 0xff, v29
	s_mov_b32 s2, exec_lo
	s_delay_alu instid0(VALU_DEP_1)
	v_cmpx_ne_u16_e32 0, v83
	s_cbranch_execz .LBB301_115
; %bb.108:                              ;   in Loop: Header=BB301_11 Depth=1
	v_mov_b32_e32 v81, 0x8000
	s_mov_b32 s17, exec_lo
	v_cmpx_ne_u16_e32 0x80, v83
	s_cbranch_execz .LBB301_114
; %bb.109:                              ;   in Loop: Header=BB301_11 Depth=1
	v_and_b32_e32 v84, 0x7f, v29
	v_mov_b32_e32 v81, 0x7c01
	s_mov_b32 s18, exec_lo
	s_delay_alu instid0(VALU_DEP_2)
	v_cmpx_ne_u32_e32 0x7f, v84
	s_cbranch_execz .LBB301_113
; %bb.110:                              ;   in Loop: Header=BB301_11 Depth=1
	v_and_b32_e32 v81, 7, v29
	v_lshrrev_b32_e32 v83, 3, v84
	s_mov_b32 s19, exec_lo
	v_cmpx_gt_u32_e32 8, v84
; %bb.111:                              ;   in Loop: Header=BB301_11 Depth=1
	s_delay_alu instid0(VALU_DEP_3) | instskip(NEXT) | instid1(VALU_DEP_1)
	v_clz_i32_u32_e32 v81, v81
	v_min_u32_e32 v81, 32, v81
	s_delay_alu instid0(VALU_DEP_1) | instskip(NEXT) | instid1(VALU_DEP_1)
	v_subrev_nc_u32_e32 v83, 28, v81
	v_lshlrev_b64_e32 v[84:85], v83, v[8:9]
	v_sub_nc_u32_e32 v83, 29, v81
	s_delay_alu instid0(VALU_DEP_2)
	v_and_b32_e32 v81, 7, v84
; %bb.112:                              ;   in Loop: Header=BB301_11 Depth=1
	s_wait_alu 0xfffe
	s_or_b32 exec_lo, exec_lo, s19
	v_lshlrev_b32_e32 v84, 8, v29
	v_lshl_add_u32 v83, v83, 10, 0x2000
	v_lshlrev_b32_e32 v81, 7, v81
	s_delay_alu instid0(VALU_DEP_3) | instskip(NEXT) | instid1(VALU_DEP_3)
	v_and_b32_e32 v84, 0x8000, v84
	v_and_b32_e32 v83, 0xfc00, v83
	s_delay_alu instid0(VALU_DEP_1)
	v_or3_b32 v81, v84, v83, v81
.LBB301_113:                            ;   in Loop: Header=BB301_11 Depth=1
	s_wait_alu 0xfffe
	s_or_b32 exec_lo, exec_lo, s18
.LBB301_114:                            ;   in Loop: Header=BB301_11 Depth=1
	s_wait_alu 0xfffe
	s_or_b32 exec_lo, exec_lo, s17
.LBB301_115:                            ;   in Loop: Header=BB301_11 Depth=1
	s_wait_alu 0xfffe
	s_or_b32 exec_lo, exec_lo, s2
	v_lshrrev_b16 v8, 8, v8
	v_dual_mov_b32 v85, 0 :: v_dual_mov_b32 v84, 0
	s_mov_b32 s2, exec_lo
	s_delay_alu instid0(VALU_DEP_2)
	v_cmpx_ne_u16_e32 0, v8
	s_cbranch_execz .LBB301_123
; %bb.116:                              ;   in Loop: Header=BB301_11 Depth=1
	v_bfrev_b32_e32 v84, 1
	s_mov_b32 s17, exec_lo
	v_cmpx_ne_u16_e32 0x80, v8
	s_cbranch_execz .LBB301_122
; %bb.117:                              ;   in Loop: Header=BB301_11 Depth=1
	v_and_b32_e32 v83, 0xffff, v8
	v_mov_b32_e32 v84, 0x7c010000
	s_mov_b32 s18, exec_lo
	s_delay_alu instid0(VALU_DEP_2) | instskip(NEXT) | instid1(VALU_DEP_1)
	v_and_b32_e32 v87, 0x7f, v83
	v_cmpx_ne_u32_e32 0x7f, v87
	s_cbranch_execz .LBB301_121
; %bb.118:                              ;   in Loop: Header=BB301_11 Depth=1
	v_and_b32_e32 v84, 7, v83
	v_lshrrev_b32_e32 v86, 3, v87
	s_mov_b32 s19, exec_lo
	v_cmpx_gt_u32_e32 8, v87
; %bb.119:                              ;   in Loop: Header=BB301_11 Depth=1
	s_delay_alu instid0(VALU_DEP_3) | instskip(NEXT) | instid1(VALU_DEP_1)
	v_clz_i32_u32_e32 v84, v84
	v_min_u32_e32 v84, 32, v84
	s_delay_alu instid0(VALU_DEP_1) | instskip(NEXT) | instid1(VALU_DEP_1)
	v_subrev_nc_u32_e32 v86, 28, v84
	v_lshlrev_b64_e32 v[96:97], v86, v[8:9]
	v_sub_nc_u32_e32 v86, 29, v84
	s_delay_alu instid0(VALU_DEP_2)
	v_and_b32_e32 v84, 7, v96
; %bb.120:                              ;   in Loop: Header=BB301_11 Depth=1
	s_wait_alu 0xfffe
	s_or_b32 exec_lo, exec_lo, s19
	v_lshlrev_b32_e32 v8, 8, v83
	v_lshl_add_u32 v83, v86, 10, 0x2000
	s_delay_alu instid0(VALU_DEP_1) | instskip(SKIP_1) | instid1(VALU_DEP_1)
	v_and_or_b32 v8, 0x8000, v8, v83
	v_lshlrev_b32_e32 v83, 23, v84
	v_lshl_or_b32 v84, v8, 16, v83
.LBB301_121:                            ;   in Loop: Header=BB301_11 Depth=1
	s_wait_alu 0xfffe
	s_or_b32 exec_lo, exec_lo, s18
.LBB301_122:                            ;   in Loop: Header=BB301_11 Depth=1
	s_wait_alu 0xfffe
	s_or_b32 exec_lo, exec_lo, s17
.LBB301_123:                            ;   in Loop: Header=BB301_11 Depth=1
	s_wait_alu 0xfffe
	s_or_b32 exec_lo, exec_lo, s2
	v_lshrrev_b32_e32 v8, 16, v29
	s_mov_b32 s2, exec_lo
	s_delay_alu instid0(VALU_DEP_1) | instskip(NEXT) | instid1(VALU_DEP_1)
	v_and_b32_e32 v83, 0xff, v8
	v_cmpx_ne_u16_e32 0, v83
	s_cbranch_execz .LBB301_131
; %bb.124:                              ;   in Loop: Header=BB301_11 Depth=1
	v_mov_b32_e32 v85, 0x8000
	s_mov_b32 s17, exec_lo
	v_cmpx_ne_u16_e32 0x80, v83
	s_cbranch_execz .LBB301_130
; %bb.125:                              ;   in Loop: Header=BB301_11 Depth=1
	v_bfe_u32 v86, v29, 16, 7
	v_mov_b32_e32 v85, 0x7c01
	s_mov_b32 s18, exec_lo
	s_delay_alu instid0(VALU_DEP_2)
	v_cmpx_ne_u32_e32 0x7f, v86
	s_cbranch_execz .LBB301_129
; %bb.126:                              ;   in Loop: Header=BB301_11 Depth=1
	v_and_b32_e32 v83, 7, v8
	v_lshrrev_b32_e32 v85, 3, v86
	s_mov_b32 s19, exec_lo
	v_cmpx_gt_u32_e32 8, v86
; %bb.127:                              ;   in Loop: Header=BB301_11 Depth=1
	s_delay_alu instid0(VALU_DEP_3) | instskip(NEXT) | instid1(VALU_DEP_1)
	v_clz_i32_u32_e32 v83, v83
	v_min_u32_e32 v83, 32, v83
	s_delay_alu instid0(VALU_DEP_1) | instskip(NEXT) | instid1(VALU_DEP_1)
	v_subrev_nc_u32_e32 v85, 28, v83
	v_lshlrev_b64_e32 v[86:87], v85, v[8:9]
	v_sub_nc_u32_e32 v85, 29, v83
	s_delay_alu instid0(VALU_DEP_2)
	v_and_b32_e32 v83, 7, v86
; %bb.128:                              ;   in Loop: Header=BB301_11 Depth=1
	s_wait_alu 0xfffe
	s_or_b32 exec_lo, exec_lo, s19
	v_lshlrev_b32_e32 v8, 8, v8
	v_lshl_add_u32 v85, v85, 10, 0x2000
	v_lshlrev_b32_e32 v83, 7, v83
	s_delay_alu instid0(VALU_DEP_3) | instskip(NEXT) | instid1(VALU_DEP_3)
	v_and_b32_e32 v8, 0x8000, v8
	v_and_b32_e32 v85, 0xfc00, v85
	s_delay_alu instid0(VALU_DEP_1)
	v_or3_b32 v85, v8, v85, v83
.LBB301_129:                            ;   in Loop: Header=BB301_11 Depth=1
	s_wait_alu 0xfffe
	s_or_b32 exec_lo, exec_lo, s18
.LBB301_130:                            ;   in Loop: Header=BB301_11 Depth=1
	s_wait_alu 0xfffe
	s_or_b32 exec_lo, exec_lo, s17
.LBB301_131:                            ;   in Loop: Header=BB301_11 Depth=1
	s_wait_alu 0xfffe
	s_or_b32 exec_lo, exec_lo, s2
	v_dual_mov_b32 v83, 0 :: v_dual_mov_b32 v86, 0
	s_mov_b32 s2, exec_lo
	v_cmpx_lt_u64_e64 s[8:9], v[28:29]
	s_cbranch_execz .LBB301_139
; %bb.132:                              ;   in Loop: Header=BB301_11 Depth=1
	v_lshrrev_b32_e32 v8, 24, v29
	v_bfrev_b32_e32 v86, 1
	s_mov_b32 s17, exec_lo
	s_delay_alu instid0(VALU_DEP_2)
	v_cmpx_ne_u32_e32 0x80, v8
	s_cbranch_execz .LBB301_138
; %bb.133:                              ;   in Loop: Header=BB301_11 Depth=1
	v_and_b32_e32 v87, 0x7f, v8
	v_mov_b32_e32 v86, 0x7c010000
	s_mov_b32 s18, exec_lo
	s_delay_alu instid0(VALU_DEP_2)
	v_cmpx_ne_u32_e32 0x7f, v87
	s_cbranch_execz .LBB301_137
; %bb.134:                              ;   in Loop: Header=BB301_11 Depth=1
	v_and_b32_e32 v28, 7, v8
	v_lshrrev_b32_e32 v29, 3, v87
	s_mov_b32 s19, exec_lo
	v_cmpx_gt_u32_e32 8, v87
; %bb.135:                              ;   in Loop: Header=BB301_11 Depth=1
	s_delay_alu instid0(VALU_DEP_3) | instskip(NEXT) | instid1(VALU_DEP_1)
	v_clz_i32_u32_e32 v28, v28
	v_min_u32_e32 v86, 32, v28
	s_delay_alu instid0(VALU_DEP_1) | instskip(NEXT) | instid1(VALU_DEP_1)
	v_subrev_nc_u32_e32 v28, 28, v86
	v_lshlrev_b64_e32 v[28:29], v28, v[8:9]
	v_sub_nc_u32_e32 v29, 29, v86
	s_delay_alu instid0(VALU_DEP_2)
	v_and_b32_e32 v28, 7, v28
; %bb.136:                              ;   in Loop: Header=BB301_11 Depth=1
	s_wait_alu 0xfffe
	s_or_b32 exec_lo, exec_lo, s19
	v_lshlrev_b32_e32 v8, 8, v8
	v_lshl_add_u32 v29, v29, 10, 0x2000
	v_lshlrev_b32_e32 v28, 23, v28
	s_delay_alu instid0(VALU_DEP_2) | instskip(NEXT) | instid1(VALU_DEP_1)
	v_and_or_b32 v8, 0x8000, v8, v29
	v_lshl_or_b32 v86, v8, 16, v28
.LBB301_137:                            ;   in Loop: Header=BB301_11 Depth=1
	s_wait_alu 0xfffe
	s_or_b32 exec_lo, exec_lo, s18
.LBB301_138:                            ;   in Loop: Header=BB301_11 Depth=1
	s_wait_alu 0xfffe
	s_or_b32 exec_lo, exec_lo, s17
.LBB301_139:                            ;   in Loop: Header=BB301_11 Depth=1
	s_wait_alu 0xfffe
	s_or_b32 exec_lo, exec_lo, s2
	flat_load_b64 v[28:29], v[20:21] offset:512
	s_mov_b32 s2, exec_lo
	s_wait_loadcnt_dscnt 0x0
	v_and_b32_e32 v8, 0xff, v28
	s_delay_alu instid0(VALU_DEP_1)
	v_cmpx_ne_u16_e32 0, v8
	s_cbranch_execz .LBB301_147
; %bb.140:                              ;   in Loop: Header=BB301_11 Depth=1
	v_mov_b32_e32 v83, 0x8000
	s_mov_b32 s17, exec_lo
	v_cmpx_ne_u16_e32 0x80, v8
	s_cbranch_execz .LBB301_146
; %bb.141:                              ;   in Loop: Header=BB301_11 Depth=1
	v_and_b32_e32 v87, 0x7f, v28
	v_mov_b32_e32 v83, 0x7c01
	s_mov_b32 s18, exec_lo
	s_delay_alu instid0(VALU_DEP_2)
	v_cmpx_ne_u32_e32 0x7f, v87
	s_cbranch_execz .LBB301_145
; %bb.142:                              ;   in Loop: Header=BB301_11 Depth=1
	v_and_b32_e32 v8, 7, v28
	v_lshrrev_b32_e32 v83, 3, v87
	s_mov_b32 s19, exec_lo
	v_cmpx_gt_u32_e32 8, v87
; %bb.143:                              ;   in Loop: Header=BB301_11 Depth=1
	s_delay_alu instid0(VALU_DEP_3) | instskip(NEXT) | instid1(VALU_DEP_1)
	v_clz_i32_u32_e32 v8, v8
	v_min_u32_e32 v8, 32, v8
	s_delay_alu instid0(VALU_DEP_1) | instskip(NEXT) | instid1(VALU_DEP_1)
	v_subrev_nc_u32_e32 v83, 28, v8
	v_lshlrev_b64_e32 v[96:97], v83, v[28:29]
	v_sub_nc_u32_e32 v83, 29, v8
	s_delay_alu instid0(VALU_DEP_2)
	v_and_b32_e32 v8, 7, v96
; %bb.144:                              ;   in Loop: Header=BB301_11 Depth=1
	s_wait_alu 0xfffe
	s_or_b32 exec_lo, exec_lo, s19
	v_lshlrev_b32_e32 v87, 8, v28
	v_lshl_add_u32 v83, v83, 10, 0x2000
	v_lshlrev_b32_e32 v8, 7, v8
	s_delay_alu instid0(VALU_DEP_3) | instskip(NEXT) | instid1(VALU_DEP_3)
	v_and_b32_e32 v87, 0x8000, v87
	v_and_b32_e32 v83, 0xfc00, v83
	s_delay_alu instid0(VALU_DEP_1)
	v_or3_b32 v83, v87, v83, v8
.LBB301_145:                            ;   in Loop: Header=BB301_11 Depth=1
	s_wait_alu 0xfffe
	s_or_b32 exec_lo, exec_lo, s18
.LBB301_146:                            ;   in Loop: Header=BB301_11 Depth=1
	s_wait_alu 0xfffe
	s_or_b32 exec_lo, exec_lo, s17
.LBB301_147:                            ;   in Loop: Header=BB301_11 Depth=1
	s_wait_alu 0xfffe
	s_or_b32 exec_lo, exec_lo, s2
	v_lshrrev_b16 v8, 8, v28
	v_dual_mov_b32 v96, 0 :: v_dual_mov_b32 v87, 0
	s_mov_b32 s2, exec_lo
	s_delay_alu instid0(VALU_DEP_2)
	v_cmpx_ne_u16_e32 0, v8
	s_cbranch_execz .LBB301_155
; %bb.148:                              ;   in Loop: Header=BB301_11 Depth=1
	v_bfrev_b32_e32 v87, 1
	s_mov_b32 s17, exec_lo
	v_cmpx_ne_u16_e32 0x80, v8
	s_cbranch_execz .LBB301_154
; %bb.149:                              ;   in Loop: Header=BB301_11 Depth=1
	v_and_b32_e32 v97, 0xffff, v8
	v_mov_b32_e32 v87, 0x7c010000
	s_mov_b32 s18, exec_lo
	s_delay_alu instid0(VALU_DEP_2) | instskip(NEXT) | instid1(VALU_DEP_1)
	v_and_b32_e32 v99, 0x7f, v97
	v_cmpx_ne_u32_e32 0x7f, v99
	s_cbranch_execz .LBB301_153
; %bb.150:                              ;   in Loop: Header=BB301_11 Depth=1
	v_and_b32_e32 v87, 7, v97
	v_lshrrev_b32_e32 v98, 3, v99
	s_mov_b32 s19, exec_lo
	v_cmpx_gt_u32_e32 8, v99
; %bb.151:                              ;   in Loop: Header=BB301_11 Depth=1
	s_delay_alu instid0(VALU_DEP_3) | instskip(NEXT) | instid1(VALU_DEP_1)
	v_clz_i32_u32_e32 v87, v87
	v_min_u32_e32 v87, 32, v87
	s_delay_alu instid0(VALU_DEP_1) | instskip(NEXT) | instid1(VALU_DEP_1)
	v_subrev_nc_u32_e32 v98, 28, v87
	v_lshlrev_b64_e32 v[99:100], v98, v[8:9]
	v_sub_nc_u32_e32 v98, 29, v87
	s_delay_alu instid0(VALU_DEP_2)
	v_and_b32_e32 v87, 7, v99
; %bb.152:                              ;   in Loop: Header=BB301_11 Depth=1
	s_wait_alu 0xfffe
	s_or_b32 exec_lo, exec_lo, s19
	v_lshlrev_b32_e32 v8, 8, v97
	v_lshl_add_u32 v97, v98, 10, 0x2000
	v_lshlrev_b32_e32 v87, 23, v87
	s_delay_alu instid0(VALU_DEP_2) | instskip(NEXT) | instid1(VALU_DEP_1)
	v_and_or_b32 v8, 0x8000, v8, v97
	v_lshl_or_b32 v87, v8, 16, v87
.LBB301_153:                            ;   in Loop: Header=BB301_11 Depth=1
	s_wait_alu 0xfffe
	s_or_b32 exec_lo, exec_lo, s18
.LBB301_154:                            ;   in Loop: Header=BB301_11 Depth=1
	s_wait_alu 0xfffe
	s_or_b32 exec_lo, exec_lo, s17
.LBB301_155:                            ;   in Loop: Header=BB301_11 Depth=1
	s_wait_alu 0xfffe
	s_or_b32 exec_lo, exec_lo, s2
	v_lshrrev_b32_e32 v8, 16, v28
	s_mov_b32 s2, exec_lo
	s_delay_alu instid0(VALU_DEP_1) | instskip(NEXT) | instid1(VALU_DEP_1)
	v_and_b32_e32 v97, 0xff, v8
	v_cmpx_ne_u16_e32 0, v97
	s_cbranch_execz .LBB301_163
; %bb.156:                              ;   in Loop: Header=BB301_11 Depth=1
	v_mov_b32_e32 v96, 0x8000
	s_mov_b32 s17, exec_lo
	v_cmpx_ne_u16_e32 0x80, v97
	s_cbranch_execz .LBB301_162
; %bb.157:                              ;   in Loop: Header=BB301_11 Depth=1
	v_bfe_u32 v98, v28, 16, 7
	v_mov_b32_e32 v96, 0x7c01
	s_mov_b32 s18, exec_lo
	s_delay_alu instid0(VALU_DEP_2)
	v_cmpx_ne_u32_e32 0x7f, v98
	s_cbranch_execz .LBB301_161
; %bb.158:                              ;   in Loop: Header=BB301_11 Depth=1
	v_and_b32_e32 v96, 7, v8
	v_lshrrev_b32_e32 v97, 3, v98
	s_mov_b32 s19, exec_lo
	v_cmpx_gt_u32_e32 8, v98
; %bb.159:                              ;   in Loop: Header=BB301_11 Depth=1
	s_delay_alu instid0(VALU_DEP_3) | instskip(NEXT) | instid1(VALU_DEP_1)
	v_clz_i32_u32_e32 v96, v96
	v_min_u32_e32 v98, 32, v96
	s_delay_alu instid0(VALU_DEP_1) | instskip(NEXT) | instid1(VALU_DEP_1)
	v_subrev_nc_u32_e32 v96, 28, v98
	v_lshlrev_b64_e32 v[96:97], v96, v[8:9]
	v_sub_nc_u32_e32 v97, 29, v98
	s_delay_alu instid0(VALU_DEP_2)
	v_and_b32_e32 v96, 7, v96
; %bb.160:                              ;   in Loop: Header=BB301_11 Depth=1
	s_wait_alu 0xfffe
	s_or_b32 exec_lo, exec_lo, s19
	v_lshlrev_b32_e32 v8, 8, v8
	v_lshl_add_u32 v97, v97, 10, 0x2000
	v_lshlrev_b32_e32 v96, 7, v96
	s_delay_alu instid0(VALU_DEP_3) | instskip(NEXT) | instid1(VALU_DEP_3)
	v_and_b32_e32 v8, 0x8000, v8
	v_and_b32_e32 v97, 0xfc00, v97
	s_delay_alu instid0(VALU_DEP_1)
	v_or3_b32 v96, v8, v97, v96
.LBB301_161:                            ;   in Loop: Header=BB301_11 Depth=1
	s_wait_alu 0xfffe
	s_or_b32 exec_lo, exec_lo, s18
.LBB301_162:                            ;   in Loop: Header=BB301_11 Depth=1
	s_wait_alu 0xfffe
	s_or_b32 exec_lo, exec_lo, s17
.LBB301_163:                            ;   in Loop: Header=BB301_11 Depth=1
	s_wait_alu 0xfffe
	s_or_b32 exec_lo, exec_lo, s2
	v_dual_mov_b32 v97, 0 :: v_dual_mov_b32 v98, 0
	s_mov_b32 s2, exec_lo
	v_cmpx_lt_u32_e32 0xffffff, v28
	s_cbranch_execz .LBB301_171
; %bb.164:                              ;   in Loop: Header=BB301_11 Depth=1
	v_lshrrev_b32_e32 v8, 24, v28
	v_bfrev_b32_e32 v98, 1
	s_mov_b32 s17, exec_lo
	s_delay_alu instid0(VALU_DEP_2)
	v_cmpx_ne_u32_e32 0x80, v8
	s_cbranch_execz .LBB301_170
; %bb.165:                              ;   in Loop: Header=BB301_11 Depth=1
	v_and_b32_e32 v100, 0x7f, v8
	v_mov_b32_e32 v98, 0x7c010000
	s_mov_b32 s18, exec_lo
	s_delay_alu instid0(VALU_DEP_2)
	v_cmpx_ne_u32_e32 0x7f, v100
	s_cbranch_execz .LBB301_169
; %bb.166:                              ;   in Loop: Header=BB301_11 Depth=1
	v_and_b32_e32 v98, 7, v8
	v_lshrrev_b32_e32 v99, 3, v100
	s_mov_b32 s19, exec_lo
	v_cmpx_gt_u32_e32 8, v100
; %bb.167:                              ;   in Loop: Header=BB301_11 Depth=1
	s_delay_alu instid0(VALU_DEP_3) | instskip(NEXT) | instid1(VALU_DEP_1)
	v_clz_i32_u32_e32 v98, v98
	v_min_u32_e32 v100, 32, v98
	s_delay_alu instid0(VALU_DEP_1) | instskip(NEXT) | instid1(VALU_DEP_1)
	v_subrev_nc_u32_e32 v98, 28, v100
	v_lshlrev_b64_e32 v[98:99], v98, v[8:9]
	v_sub_nc_u32_e32 v99, 29, v100
	s_delay_alu instid0(VALU_DEP_2)
	v_and_b32_e32 v98, 7, v98
; %bb.168:                              ;   in Loop: Header=BB301_11 Depth=1
	s_wait_alu 0xfffe
	s_or_b32 exec_lo, exec_lo, s19
	v_lshlrev_b32_e32 v8, 8, v8
	v_lshl_add_u32 v99, v99, 10, 0x2000
	v_lshlrev_b32_e32 v98, 23, v98
	s_delay_alu instid0(VALU_DEP_2) | instskip(NEXT) | instid1(VALU_DEP_1)
	v_and_or_b32 v8, 0x8000, v8, v99
	v_lshl_or_b32 v98, v8, 16, v98
.LBB301_169:                            ;   in Loop: Header=BB301_11 Depth=1
	s_wait_alu 0xfffe
	s_or_b32 exec_lo, exec_lo, s18
.LBB301_170:                            ;   in Loop: Header=BB301_11 Depth=1
	s_wait_alu 0xfffe
	s_or_b32 exec_lo, exec_lo, s17
.LBB301_171:                            ;   in Loop: Header=BB301_11 Depth=1
	s_wait_alu 0xfffe
	s_or_b32 exec_lo, exec_lo, s2
	v_dual_mov_b32 v8, v29 :: v_dual_and_b32 v99, 0xff, v29
	s_mov_b32 s2, exec_lo
	s_delay_alu instid0(VALU_DEP_1)
	v_cmpx_ne_u16_e32 0, v99
	s_cbranch_execz .LBB301_179
; %bb.172:                              ;   in Loop: Header=BB301_11 Depth=1
	v_mov_b32_e32 v97, 0x8000
	s_mov_b32 s17, exec_lo
	v_cmpx_ne_u16_e32 0x80, v99
	s_cbranch_execz .LBB301_178
; %bb.173:                              ;   in Loop: Header=BB301_11 Depth=1
	v_and_b32_e32 v100, 0x7f, v29
	v_mov_b32_e32 v97, 0x7c01
	s_mov_b32 s18, exec_lo
	s_delay_alu instid0(VALU_DEP_2)
	v_cmpx_ne_u32_e32 0x7f, v100
	s_cbranch_execz .LBB301_177
; %bb.174:                              ;   in Loop: Header=BB301_11 Depth=1
	v_and_b32_e32 v97, 7, v29
	v_lshrrev_b32_e32 v99, 3, v100
	s_mov_b32 s19, exec_lo
	v_cmpx_gt_u32_e32 8, v100
; %bb.175:                              ;   in Loop: Header=BB301_11 Depth=1
	s_delay_alu instid0(VALU_DEP_3) | instskip(NEXT) | instid1(VALU_DEP_1)
	v_clz_i32_u32_e32 v97, v97
	v_min_u32_e32 v97, 32, v97
	s_delay_alu instid0(VALU_DEP_1) | instskip(NEXT) | instid1(VALU_DEP_1)
	v_subrev_nc_u32_e32 v99, 28, v97
	v_lshlrev_b64_e32 v[100:101], v99, v[8:9]
	v_sub_nc_u32_e32 v99, 29, v97
	s_delay_alu instid0(VALU_DEP_2)
	v_and_b32_e32 v97, 7, v100
; %bb.176:                              ;   in Loop: Header=BB301_11 Depth=1
	s_wait_alu 0xfffe
	s_or_b32 exec_lo, exec_lo, s19
	v_lshlrev_b32_e32 v100, 8, v29
	v_lshl_add_u32 v99, v99, 10, 0x2000
	v_lshlrev_b32_e32 v97, 7, v97
	s_delay_alu instid0(VALU_DEP_3) | instskip(NEXT) | instid1(VALU_DEP_3)
	v_and_b32_e32 v100, 0x8000, v100
	v_and_b32_e32 v99, 0xfc00, v99
	s_delay_alu instid0(VALU_DEP_1)
	v_or3_b32 v97, v100, v99, v97
.LBB301_177:                            ;   in Loop: Header=BB301_11 Depth=1
	s_wait_alu 0xfffe
	s_or_b32 exec_lo, exec_lo, s18
.LBB301_178:                            ;   in Loop: Header=BB301_11 Depth=1
	s_wait_alu 0xfffe
	s_or_b32 exec_lo, exec_lo, s17
.LBB301_179:                            ;   in Loop: Header=BB301_11 Depth=1
	s_wait_alu 0xfffe
	s_or_b32 exec_lo, exec_lo, s2
	v_lshrrev_b16 v8, 8, v8
	v_dual_mov_b32 v101, 0 :: v_dual_mov_b32 v100, 0
	s_mov_b32 s2, exec_lo
	s_delay_alu instid0(VALU_DEP_2)
	v_cmpx_ne_u16_e32 0, v8
	s_cbranch_execz .LBB301_187
; %bb.180:                              ;   in Loop: Header=BB301_11 Depth=1
	v_bfrev_b32_e32 v100, 1
	s_mov_b32 s17, exec_lo
	v_cmpx_ne_u16_e32 0x80, v8
	s_cbranch_execz .LBB301_186
; %bb.181:                              ;   in Loop: Header=BB301_11 Depth=1
	v_and_b32_e32 v99, 0xffff, v8
	v_mov_b32_e32 v100, 0x7c010000
	s_mov_b32 s18, exec_lo
	s_delay_alu instid0(VALU_DEP_2) | instskip(NEXT) | instid1(VALU_DEP_1)
	v_and_b32_e32 v103, 0x7f, v99
	v_cmpx_ne_u32_e32 0x7f, v103
	s_cbranch_execz .LBB301_185
; %bb.182:                              ;   in Loop: Header=BB301_11 Depth=1
	v_and_b32_e32 v100, 7, v99
	v_lshrrev_b32_e32 v102, 3, v103
	s_mov_b32 s19, exec_lo
	v_cmpx_gt_u32_e32 8, v103
; %bb.183:                              ;   in Loop: Header=BB301_11 Depth=1
	s_delay_alu instid0(VALU_DEP_3) | instskip(NEXT) | instid1(VALU_DEP_1)
	v_clz_i32_u32_e32 v100, v100
	v_min_u32_e32 v100, 32, v100
	s_delay_alu instid0(VALU_DEP_1) | instskip(NEXT) | instid1(VALU_DEP_1)
	v_subrev_nc_u32_e32 v102, 28, v100
	v_lshlrev_b64_e32 v[112:113], v102, v[8:9]
	v_sub_nc_u32_e32 v102, 29, v100
	s_delay_alu instid0(VALU_DEP_2)
	v_and_b32_e32 v100, 7, v112
; %bb.184:                              ;   in Loop: Header=BB301_11 Depth=1
	s_wait_alu 0xfffe
	s_or_b32 exec_lo, exec_lo, s19
	v_lshlrev_b32_e32 v8, 8, v99
	v_lshl_add_u32 v99, v102, 10, 0x2000
	s_delay_alu instid0(VALU_DEP_1) | instskip(SKIP_1) | instid1(VALU_DEP_1)
	v_and_or_b32 v8, 0x8000, v8, v99
	v_lshlrev_b32_e32 v99, 23, v100
	v_lshl_or_b32 v100, v8, 16, v99
.LBB301_185:                            ;   in Loop: Header=BB301_11 Depth=1
	s_wait_alu 0xfffe
	s_or_b32 exec_lo, exec_lo, s18
.LBB301_186:                            ;   in Loop: Header=BB301_11 Depth=1
	s_wait_alu 0xfffe
	s_or_b32 exec_lo, exec_lo, s17
.LBB301_187:                            ;   in Loop: Header=BB301_11 Depth=1
	s_wait_alu 0xfffe
	s_or_b32 exec_lo, exec_lo, s2
	v_lshrrev_b32_e32 v8, 16, v29
	s_mov_b32 s2, exec_lo
	s_delay_alu instid0(VALU_DEP_1) | instskip(NEXT) | instid1(VALU_DEP_1)
	v_and_b32_e32 v99, 0xff, v8
	v_cmpx_ne_u16_e32 0, v99
	s_cbranch_execz .LBB301_195
; %bb.188:                              ;   in Loop: Header=BB301_11 Depth=1
	v_mov_b32_e32 v101, 0x8000
	s_mov_b32 s17, exec_lo
	v_cmpx_ne_u16_e32 0x80, v99
	s_cbranch_execz .LBB301_194
; %bb.189:                              ;   in Loop: Header=BB301_11 Depth=1
	v_bfe_u32 v102, v29, 16, 7
	v_mov_b32_e32 v101, 0x7c01
	s_mov_b32 s18, exec_lo
	s_delay_alu instid0(VALU_DEP_2)
	v_cmpx_ne_u32_e32 0x7f, v102
	s_cbranch_execz .LBB301_193
; %bb.190:                              ;   in Loop: Header=BB301_11 Depth=1
	v_and_b32_e32 v99, 7, v8
	v_lshrrev_b32_e32 v101, 3, v102
	s_mov_b32 s19, exec_lo
	v_cmpx_gt_u32_e32 8, v102
; %bb.191:                              ;   in Loop: Header=BB301_11 Depth=1
	s_delay_alu instid0(VALU_DEP_3) | instskip(NEXT) | instid1(VALU_DEP_1)
	v_clz_i32_u32_e32 v99, v99
	v_min_u32_e32 v99, 32, v99
	s_delay_alu instid0(VALU_DEP_1) | instskip(NEXT) | instid1(VALU_DEP_1)
	v_subrev_nc_u32_e32 v101, 28, v99
	v_lshlrev_b64_e32 v[102:103], v101, v[8:9]
	v_sub_nc_u32_e32 v101, 29, v99
	s_delay_alu instid0(VALU_DEP_2)
	v_and_b32_e32 v99, 7, v102
; %bb.192:                              ;   in Loop: Header=BB301_11 Depth=1
	s_wait_alu 0xfffe
	s_or_b32 exec_lo, exec_lo, s19
	v_lshlrev_b32_e32 v8, 8, v8
	v_lshl_add_u32 v101, v101, 10, 0x2000
	v_lshlrev_b32_e32 v99, 7, v99
	s_delay_alu instid0(VALU_DEP_3) | instskip(NEXT) | instid1(VALU_DEP_3)
	v_and_b32_e32 v8, 0x8000, v8
	v_and_b32_e32 v101, 0xfc00, v101
	s_delay_alu instid0(VALU_DEP_1)
	v_or3_b32 v101, v8, v101, v99
.LBB301_193:                            ;   in Loop: Header=BB301_11 Depth=1
	s_wait_alu 0xfffe
	s_or_b32 exec_lo, exec_lo, s18
.LBB301_194:                            ;   in Loop: Header=BB301_11 Depth=1
	s_wait_alu 0xfffe
	s_or_b32 exec_lo, exec_lo, s17
.LBB301_195:                            ;   in Loop: Header=BB301_11 Depth=1
	s_wait_alu 0xfffe
	s_or_b32 exec_lo, exec_lo, s2
	v_dual_mov_b32 v99, 0 :: v_dual_mov_b32 v112, 0
	s_mov_b32 s2, exec_lo
	v_cmpx_lt_u64_e64 s[8:9], v[28:29]
	s_cbranch_execz .LBB301_203
; %bb.196:                              ;   in Loop: Header=BB301_11 Depth=1
	v_lshrrev_b32_e32 v8, 24, v29
	v_bfrev_b32_e32 v112, 1
	s_mov_b32 s17, exec_lo
	s_delay_alu instid0(VALU_DEP_2)
	v_cmpx_ne_u32_e32 0x80, v8
	s_cbranch_execz .LBB301_202
; %bb.197:                              ;   in Loop: Header=BB301_11 Depth=1
	v_and_b32_e32 v102, 0x7f, v8
	v_mov_b32_e32 v112, 0x7c010000
	s_mov_b32 s18, exec_lo
	s_delay_alu instid0(VALU_DEP_2)
	v_cmpx_ne_u32_e32 0x7f, v102
	s_cbranch_execz .LBB301_201
; %bb.198:                              ;   in Loop: Header=BB301_11 Depth=1
	v_and_b32_e32 v28, 7, v8
	v_lshrrev_b32_e32 v29, 3, v102
	s_mov_b32 s19, exec_lo
	v_cmpx_gt_u32_e32 8, v102
; %bb.199:                              ;   in Loop: Header=BB301_11 Depth=1
	s_delay_alu instid0(VALU_DEP_3) | instskip(NEXT) | instid1(VALU_DEP_1)
	v_clz_i32_u32_e32 v28, v28
	v_min_u32_e32 v102, 32, v28
	s_delay_alu instid0(VALU_DEP_1) | instskip(NEXT) | instid1(VALU_DEP_1)
	v_subrev_nc_u32_e32 v28, 28, v102
	v_lshlrev_b64_e32 v[28:29], v28, v[8:9]
	v_sub_nc_u32_e32 v29, 29, v102
	s_delay_alu instid0(VALU_DEP_2)
	v_and_b32_e32 v28, 7, v28
; %bb.200:                              ;   in Loop: Header=BB301_11 Depth=1
	s_wait_alu 0xfffe
	s_or_b32 exec_lo, exec_lo, s19
	v_lshlrev_b32_e32 v8, 8, v8
	v_lshl_add_u32 v29, v29, 10, 0x2000
	v_lshlrev_b32_e32 v28, 23, v28
	s_delay_alu instid0(VALU_DEP_2) | instskip(NEXT) | instid1(VALU_DEP_1)
	v_and_or_b32 v8, 0x8000, v8, v29
	v_lshl_or_b32 v112, v8, 16, v28
.LBB301_201:                            ;   in Loop: Header=BB301_11 Depth=1
	s_wait_alu 0xfffe
	s_or_b32 exec_lo, exec_lo, s18
.LBB301_202:                            ;   in Loop: Header=BB301_11 Depth=1
	s_wait_alu 0xfffe
	s_or_b32 exec_lo, exec_lo, s17
.LBB301_203:                            ;   in Loop: Header=BB301_11 Depth=1
	s_wait_alu 0xfffe
	s_or_b32 exec_lo, exec_lo, s2
	flat_load_b64 v[28:29], v[20:21] offset:520
	s_mov_b32 s2, exec_lo
	s_wait_loadcnt_dscnt 0x0
	v_and_b32_e32 v8, 0xff, v28
	s_delay_alu instid0(VALU_DEP_1)
	v_cmpx_ne_u16_e32 0, v8
	s_cbranch_execz .LBB301_211
; %bb.204:                              ;   in Loop: Header=BB301_11 Depth=1
	v_mov_b32_e32 v99, 0x8000
	s_mov_b32 s17, exec_lo
	v_cmpx_ne_u16_e32 0x80, v8
	s_cbranch_execz .LBB301_210
; %bb.205:                              ;   in Loop: Header=BB301_11 Depth=1
	v_and_b32_e32 v102, 0x7f, v28
	v_mov_b32_e32 v99, 0x7c01
	s_mov_b32 s18, exec_lo
	s_delay_alu instid0(VALU_DEP_2)
	v_cmpx_ne_u32_e32 0x7f, v102
	s_cbranch_execz .LBB301_209
; %bb.206:                              ;   in Loop: Header=BB301_11 Depth=1
	v_and_b32_e32 v8, 7, v28
	v_lshrrev_b32_e32 v99, 3, v102
	s_mov_b32 s19, exec_lo
	v_cmpx_gt_u32_e32 8, v102
; %bb.207:                              ;   in Loop: Header=BB301_11 Depth=1
	s_delay_alu instid0(VALU_DEP_3) | instskip(NEXT) | instid1(VALU_DEP_1)
	v_clz_i32_u32_e32 v8, v8
	v_min_u32_e32 v8, 32, v8
	s_delay_alu instid0(VALU_DEP_1) | instskip(NEXT) | instid1(VALU_DEP_1)
	v_subrev_nc_u32_e32 v99, 28, v8
	v_lshlrev_b64_e32 v[102:103], v99, v[28:29]
	v_sub_nc_u32_e32 v99, 29, v8
	s_delay_alu instid0(VALU_DEP_2)
	v_and_b32_e32 v8, 7, v102
; %bb.208:                              ;   in Loop: Header=BB301_11 Depth=1
	s_wait_alu 0xfffe
	s_or_b32 exec_lo, exec_lo, s19
	v_lshlrev_b32_e32 v102, 8, v28
	v_lshl_add_u32 v99, v99, 10, 0x2000
	v_lshlrev_b32_e32 v8, 7, v8
	s_delay_alu instid0(VALU_DEP_3) | instskip(NEXT) | instid1(VALU_DEP_3)
	v_and_b32_e32 v102, 0x8000, v102
	v_and_b32_e32 v99, 0xfc00, v99
	s_delay_alu instid0(VALU_DEP_1)
	v_or3_b32 v99, v102, v99, v8
.LBB301_209:                            ;   in Loop: Header=BB301_11 Depth=1
	s_wait_alu 0xfffe
	s_or_b32 exec_lo, exec_lo, s18
.LBB301_210:                            ;   in Loop: Header=BB301_11 Depth=1
	s_wait_alu 0xfffe
	s_or_b32 exec_lo, exec_lo, s17
.LBB301_211:                            ;   in Loop: Header=BB301_11 Depth=1
	s_wait_alu 0xfffe
	s_or_b32 exec_lo, exec_lo, s2
	v_lshrrev_b16 v8, 8, v28
	v_dual_mov_b32 v103, 0 :: v_dual_mov_b32 v102, 0
	s_mov_b32 s2, exec_lo
	s_delay_alu instid0(VALU_DEP_2)
	v_cmpx_ne_u16_e32 0, v8
	s_cbranch_execz .LBB301_219
; %bb.212:                              ;   in Loop: Header=BB301_11 Depth=1
	v_bfrev_b32_e32 v102, 1
	s_mov_b32 s17, exec_lo
	v_cmpx_ne_u16_e32 0x80, v8
	s_cbranch_execz .LBB301_218
; %bb.213:                              ;   in Loop: Header=BB301_11 Depth=1
	v_and_b32_e32 v113, 0xffff, v8
	v_mov_b32_e32 v102, 0x7c010000
	s_mov_b32 s18, exec_lo
	s_delay_alu instid0(VALU_DEP_2) | instskip(NEXT) | instid1(VALU_DEP_1)
	v_and_b32_e32 v115, 0x7f, v113
	v_cmpx_ne_u32_e32 0x7f, v115
	s_cbranch_execz .LBB301_217
; %bb.214:                              ;   in Loop: Header=BB301_11 Depth=1
	v_and_b32_e32 v102, 7, v113
	v_lshrrev_b32_e32 v114, 3, v115
	s_mov_b32 s19, exec_lo
	v_cmpx_gt_u32_e32 8, v115
; %bb.215:                              ;   in Loop: Header=BB301_11 Depth=1
	s_delay_alu instid0(VALU_DEP_3) | instskip(NEXT) | instid1(VALU_DEP_1)
	v_clz_i32_u32_e32 v102, v102
	v_min_u32_e32 v102, 32, v102
	s_delay_alu instid0(VALU_DEP_1) | instskip(NEXT) | instid1(VALU_DEP_1)
	v_subrev_nc_u32_e32 v114, 28, v102
	v_lshlrev_b64_e32 v[115:116], v114, v[8:9]
	v_sub_nc_u32_e32 v114, 29, v102
	s_delay_alu instid0(VALU_DEP_2)
	v_and_b32_e32 v102, 7, v115
; %bb.216:                              ;   in Loop: Header=BB301_11 Depth=1
	s_wait_alu 0xfffe
	s_or_b32 exec_lo, exec_lo, s19
	v_lshlrev_b32_e32 v8, 8, v113
	v_lshl_add_u32 v113, v114, 10, 0x2000
	v_lshlrev_b32_e32 v102, 23, v102
	s_delay_alu instid0(VALU_DEP_2) | instskip(NEXT) | instid1(VALU_DEP_1)
	v_and_or_b32 v8, 0x8000, v8, v113
	v_lshl_or_b32 v102, v8, 16, v102
.LBB301_217:                            ;   in Loop: Header=BB301_11 Depth=1
	s_wait_alu 0xfffe
	s_or_b32 exec_lo, exec_lo, s18
.LBB301_218:                            ;   in Loop: Header=BB301_11 Depth=1
	s_wait_alu 0xfffe
	s_or_b32 exec_lo, exec_lo, s17
.LBB301_219:                            ;   in Loop: Header=BB301_11 Depth=1
	s_wait_alu 0xfffe
	s_or_b32 exec_lo, exec_lo, s2
	v_lshrrev_b32_e32 v8, 16, v28
	s_mov_b32 s2, exec_lo
	s_delay_alu instid0(VALU_DEP_1) | instskip(NEXT) | instid1(VALU_DEP_1)
	v_and_b32_e32 v113, 0xff, v8
	v_cmpx_ne_u16_e32 0, v113
	s_cbranch_execz .LBB301_227
; %bb.220:                              ;   in Loop: Header=BB301_11 Depth=1
	v_mov_b32_e32 v103, 0x8000
	s_mov_b32 s17, exec_lo
	v_cmpx_ne_u16_e32 0x80, v113
	s_cbranch_execz .LBB301_226
; %bb.221:                              ;   in Loop: Header=BB301_11 Depth=1
	v_bfe_u32 v114, v28, 16, 7
	v_mov_b32_e32 v103, 0x7c01
	s_mov_b32 s18, exec_lo
	s_delay_alu instid0(VALU_DEP_2)
	v_cmpx_ne_u32_e32 0x7f, v114
	s_cbranch_execz .LBB301_225
; %bb.222:                              ;   in Loop: Header=BB301_11 Depth=1
	v_and_b32_e32 v103, 7, v8
	v_lshrrev_b32_e32 v113, 3, v114
	s_mov_b32 s19, exec_lo
	v_cmpx_gt_u32_e32 8, v114
; %bb.223:                              ;   in Loop: Header=BB301_11 Depth=1
	s_delay_alu instid0(VALU_DEP_3) | instskip(NEXT) | instid1(VALU_DEP_1)
	v_clz_i32_u32_e32 v103, v103
	v_min_u32_e32 v103, 32, v103
	s_delay_alu instid0(VALU_DEP_1) | instskip(NEXT) | instid1(VALU_DEP_1)
	v_subrev_nc_u32_e32 v113, 28, v103
	v_lshlrev_b64_e32 v[114:115], v113, v[8:9]
	v_sub_nc_u32_e32 v113, 29, v103
	s_delay_alu instid0(VALU_DEP_2)
	v_and_b32_e32 v103, 7, v114
; %bb.224:                              ;   in Loop: Header=BB301_11 Depth=1
	s_wait_alu 0xfffe
	s_or_b32 exec_lo, exec_lo, s19
	v_lshlrev_b32_e32 v8, 8, v8
	v_lshl_add_u32 v113, v113, 10, 0x2000
	v_lshlrev_b32_e32 v103, 7, v103
	s_delay_alu instid0(VALU_DEP_3) | instskip(NEXT) | instid1(VALU_DEP_3)
	v_and_b32_e32 v8, 0x8000, v8
	v_and_b32_e32 v113, 0xfc00, v113
	s_delay_alu instid0(VALU_DEP_1)
	v_or3_b32 v103, v8, v113, v103
.LBB301_225:                            ;   in Loop: Header=BB301_11 Depth=1
	s_wait_alu 0xfffe
	s_or_b32 exec_lo, exec_lo, s18
.LBB301_226:                            ;   in Loop: Header=BB301_11 Depth=1
	s_wait_alu 0xfffe
	s_or_b32 exec_lo, exec_lo, s17
.LBB301_227:                            ;   in Loop: Header=BB301_11 Depth=1
	s_wait_alu 0xfffe
	s_or_b32 exec_lo, exec_lo, s2
	v_dual_mov_b32 v113, 0 :: v_dual_mov_b32 v114, 0
	s_mov_b32 s2, exec_lo
	v_cmpx_lt_u32_e32 0xffffff, v28
	s_cbranch_execz .LBB301_235
; %bb.228:                              ;   in Loop: Header=BB301_11 Depth=1
	v_lshrrev_b32_e32 v8, 24, v28
	v_bfrev_b32_e32 v114, 1
	s_mov_b32 s17, exec_lo
	s_delay_alu instid0(VALU_DEP_2)
	v_cmpx_ne_u32_e32 0x80, v8
	s_cbranch_execz .LBB301_234
; %bb.229:                              ;   in Loop: Header=BB301_11 Depth=1
	v_and_b32_e32 v116, 0x7f, v8
	v_mov_b32_e32 v114, 0x7c010000
	s_mov_b32 s18, exec_lo
	s_delay_alu instid0(VALU_DEP_2)
	v_cmpx_ne_u32_e32 0x7f, v116
	s_cbranch_execz .LBB301_233
; %bb.230:                              ;   in Loop: Header=BB301_11 Depth=1
	v_and_b32_e32 v114, 7, v8
	v_lshrrev_b32_e32 v115, 3, v116
	s_mov_b32 s19, exec_lo
	v_cmpx_gt_u32_e32 8, v116
; %bb.231:                              ;   in Loop: Header=BB301_11 Depth=1
	s_delay_alu instid0(VALU_DEP_3) | instskip(NEXT) | instid1(VALU_DEP_1)
	v_clz_i32_u32_e32 v114, v114
	v_min_u32_e32 v116, 32, v114
	s_delay_alu instid0(VALU_DEP_1) | instskip(NEXT) | instid1(VALU_DEP_1)
	v_subrev_nc_u32_e32 v114, 28, v116
	v_lshlrev_b64_e32 v[114:115], v114, v[8:9]
	v_sub_nc_u32_e32 v115, 29, v116
	s_delay_alu instid0(VALU_DEP_2)
	v_and_b32_e32 v114, 7, v114
; %bb.232:                              ;   in Loop: Header=BB301_11 Depth=1
	s_wait_alu 0xfffe
	s_or_b32 exec_lo, exec_lo, s19
	v_lshlrev_b32_e32 v8, 8, v8
	v_lshl_add_u32 v115, v115, 10, 0x2000
	v_lshlrev_b32_e32 v114, 23, v114
	s_delay_alu instid0(VALU_DEP_2) | instskip(NEXT) | instid1(VALU_DEP_1)
	v_and_or_b32 v8, 0x8000, v8, v115
	v_lshl_or_b32 v114, v8, 16, v114
.LBB301_233:                            ;   in Loop: Header=BB301_11 Depth=1
	s_wait_alu 0xfffe
	s_or_b32 exec_lo, exec_lo, s18
.LBB301_234:                            ;   in Loop: Header=BB301_11 Depth=1
	s_wait_alu 0xfffe
	s_or_b32 exec_lo, exec_lo, s17
.LBB301_235:                            ;   in Loop: Header=BB301_11 Depth=1
	s_wait_alu 0xfffe
	s_or_b32 exec_lo, exec_lo, s2
	v_dual_mov_b32 v8, v29 :: v_dual_and_b32 v115, 0xff, v29
	s_mov_b32 s2, exec_lo
	s_delay_alu instid0(VALU_DEP_1)
	v_cmpx_ne_u16_e32 0, v115
	s_cbranch_execz .LBB301_243
; %bb.236:                              ;   in Loop: Header=BB301_11 Depth=1
	v_mov_b32_e32 v113, 0x8000
	s_mov_b32 s17, exec_lo
	v_cmpx_ne_u16_e32 0x80, v115
	s_cbranch_execz .LBB301_242
; %bb.237:                              ;   in Loop: Header=BB301_11 Depth=1
	v_and_b32_e32 v116, 0x7f, v29
	v_mov_b32_e32 v113, 0x7c01
	s_mov_b32 s18, exec_lo
	s_delay_alu instid0(VALU_DEP_2)
	v_cmpx_ne_u32_e32 0x7f, v116
	s_cbranch_execz .LBB301_241
; %bb.238:                              ;   in Loop: Header=BB301_11 Depth=1
	v_and_b32_e32 v113, 7, v29
	v_lshrrev_b32_e32 v115, 3, v116
	s_mov_b32 s19, exec_lo
	v_cmpx_gt_u32_e32 8, v116
; %bb.239:                              ;   in Loop: Header=BB301_11 Depth=1
	s_delay_alu instid0(VALU_DEP_3) | instskip(NEXT) | instid1(VALU_DEP_1)
	v_clz_i32_u32_e32 v113, v113
	v_min_u32_e32 v113, 32, v113
	s_delay_alu instid0(VALU_DEP_1) | instskip(NEXT) | instid1(VALU_DEP_1)
	v_subrev_nc_u32_e32 v115, 28, v113
	v_lshlrev_b64_e32 v[116:117], v115, v[8:9]
	v_sub_nc_u32_e32 v115, 29, v113
	s_delay_alu instid0(VALU_DEP_2)
	v_and_b32_e32 v113, 7, v116
; %bb.240:                              ;   in Loop: Header=BB301_11 Depth=1
	s_wait_alu 0xfffe
	s_or_b32 exec_lo, exec_lo, s19
	v_lshlrev_b32_e32 v116, 8, v29
	v_lshl_add_u32 v115, v115, 10, 0x2000
	v_lshlrev_b32_e32 v113, 7, v113
	s_delay_alu instid0(VALU_DEP_3) | instskip(NEXT) | instid1(VALU_DEP_3)
	v_and_b32_e32 v116, 0x8000, v116
	v_and_b32_e32 v115, 0xfc00, v115
	s_delay_alu instid0(VALU_DEP_1)
	v_or3_b32 v113, v116, v115, v113
.LBB301_241:                            ;   in Loop: Header=BB301_11 Depth=1
	s_wait_alu 0xfffe
	s_or_b32 exec_lo, exec_lo, s18
.LBB301_242:                            ;   in Loop: Header=BB301_11 Depth=1
	s_wait_alu 0xfffe
	s_or_b32 exec_lo, exec_lo, s17
.LBB301_243:                            ;   in Loop: Header=BB301_11 Depth=1
	s_wait_alu 0xfffe
	s_or_b32 exec_lo, exec_lo, s2
	v_lshrrev_b16 v8, 8, v8
	v_dual_mov_b32 v117, 0 :: v_dual_mov_b32 v116, 0
	s_mov_b32 s2, exec_lo
	s_delay_alu instid0(VALU_DEP_2)
	v_cmpx_ne_u16_e32 0, v8
	s_cbranch_execz .LBB301_251
; %bb.244:                              ;   in Loop: Header=BB301_11 Depth=1
	v_bfrev_b32_e32 v116, 1
	s_mov_b32 s17, exec_lo
	v_cmpx_ne_u16_e32 0x80, v8
	s_cbranch_execz .LBB301_250
; %bb.245:                              ;   in Loop: Header=BB301_11 Depth=1
	v_and_b32_e32 v115, 0xffff, v8
	v_mov_b32_e32 v116, 0x7c010000
	s_mov_b32 s18, exec_lo
	s_delay_alu instid0(VALU_DEP_2) | instskip(NEXT) | instid1(VALU_DEP_1)
	v_and_b32_e32 v119, 0x7f, v115
	v_cmpx_ne_u32_e32 0x7f, v119
	s_cbranch_execz .LBB301_249
; %bb.246:                              ;   in Loop: Header=BB301_11 Depth=1
	v_and_b32_e32 v116, 7, v115
	v_lshrrev_b32_e32 v118, 3, v119
	s_mov_b32 s19, exec_lo
	v_cmpx_gt_u32_e32 8, v119
; %bb.247:                              ;   in Loop: Header=BB301_11 Depth=1
	s_delay_alu instid0(VALU_DEP_3) | instskip(NEXT) | instid1(VALU_DEP_1)
	v_clz_i32_u32_e32 v116, v116
	v_min_u32_e32 v116, 32, v116
	s_delay_alu instid0(VALU_DEP_1) | instskip(NEXT) | instid1(VALU_DEP_1)
	v_subrev_nc_u32_e32 v118, 28, v116
	v_lshlrev_b64_e32 v[128:129], v118, v[8:9]
	v_sub_nc_u32_e32 v118, 29, v116
	s_delay_alu instid0(VALU_DEP_2)
	v_and_b32_e32 v116, 7, v128
; %bb.248:                              ;   in Loop: Header=BB301_11 Depth=1
	s_wait_alu 0xfffe
	s_or_b32 exec_lo, exec_lo, s19
	v_lshlrev_b32_e32 v8, 8, v115
	v_lshl_add_u32 v115, v118, 10, 0x2000
	s_delay_alu instid0(VALU_DEP_1) | instskip(SKIP_1) | instid1(VALU_DEP_1)
	v_and_or_b32 v8, 0x8000, v8, v115
	v_lshlrev_b32_e32 v115, 23, v116
	v_lshl_or_b32 v116, v8, 16, v115
.LBB301_249:                            ;   in Loop: Header=BB301_11 Depth=1
	s_wait_alu 0xfffe
	s_or_b32 exec_lo, exec_lo, s18
.LBB301_250:                            ;   in Loop: Header=BB301_11 Depth=1
	s_wait_alu 0xfffe
	s_or_b32 exec_lo, exec_lo, s17
.LBB301_251:                            ;   in Loop: Header=BB301_11 Depth=1
	s_wait_alu 0xfffe
	s_or_b32 exec_lo, exec_lo, s2
	v_lshrrev_b32_e32 v8, 16, v29
	s_mov_b32 s2, exec_lo
	s_delay_alu instid0(VALU_DEP_1) | instskip(NEXT) | instid1(VALU_DEP_1)
	v_and_b32_e32 v115, 0xff, v8
	v_cmpx_ne_u16_e32 0, v115
	s_cbranch_execz .LBB301_259
; %bb.252:                              ;   in Loop: Header=BB301_11 Depth=1
	v_mov_b32_e32 v117, 0x8000
	s_mov_b32 s17, exec_lo
	v_cmpx_ne_u16_e32 0x80, v115
	s_cbranch_execz .LBB301_258
; %bb.253:                              ;   in Loop: Header=BB301_11 Depth=1
	v_bfe_u32 v118, v29, 16, 7
	v_mov_b32_e32 v117, 0x7c01
	s_mov_b32 s18, exec_lo
	s_delay_alu instid0(VALU_DEP_2)
	v_cmpx_ne_u32_e32 0x7f, v118
	s_cbranch_execz .LBB301_257
; %bb.254:                              ;   in Loop: Header=BB301_11 Depth=1
	v_and_b32_e32 v115, 7, v8
	v_lshrrev_b32_e32 v117, 3, v118
	s_mov_b32 s19, exec_lo
	v_cmpx_gt_u32_e32 8, v118
; %bb.255:                              ;   in Loop: Header=BB301_11 Depth=1
	s_delay_alu instid0(VALU_DEP_3) | instskip(NEXT) | instid1(VALU_DEP_1)
	v_clz_i32_u32_e32 v115, v115
	v_min_u32_e32 v115, 32, v115
	s_delay_alu instid0(VALU_DEP_1) | instskip(NEXT) | instid1(VALU_DEP_1)
	v_subrev_nc_u32_e32 v117, 28, v115
	v_lshlrev_b64_e32 v[118:119], v117, v[8:9]
	v_sub_nc_u32_e32 v117, 29, v115
	s_delay_alu instid0(VALU_DEP_2)
	v_and_b32_e32 v115, 7, v118
; %bb.256:                              ;   in Loop: Header=BB301_11 Depth=1
	s_wait_alu 0xfffe
	s_or_b32 exec_lo, exec_lo, s19
	v_lshlrev_b32_e32 v8, 8, v8
	v_lshl_add_u32 v117, v117, 10, 0x2000
	v_lshlrev_b32_e32 v115, 7, v115
	s_delay_alu instid0(VALU_DEP_3) | instskip(NEXT) | instid1(VALU_DEP_3)
	v_and_b32_e32 v8, 0x8000, v8
	v_and_b32_e32 v117, 0xfc00, v117
	s_delay_alu instid0(VALU_DEP_1)
	v_or3_b32 v117, v8, v117, v115
.LBB301_257:                            ;   in Loop: Header=BB301_11 Depth=1
	s_wait_alu 0xfffe
	s_or_b32 exec_lo, exec_lo, s18
.LBB301_258:                            ;   in Loop: Header=BB301_11 Depth=1
	s_wait_alu 0xfffe
	s_or_b32 exec_lo, exec_lo, s17
.LBB301_259:                            ;   in Loop: Header=BB301_11 Depth=1
	s_wait_alu 0xfffe
	s_or_b32 exec_lo, exec_lo, s2
	v_dual_mov_b32 v115, 0 :: v_dual_mov_b32 v128, 0
	s_mov_b32 s2, exec_lo
	v_cmpx_lt_u64_e64 s[8:9], v[28:29]
	s_cbranch_execz .LBB301_267
; %bb.260:                              ;   in Loop: Header=BB301_11 Depth=1
	v_lshrrev_b32_e32 v8, 24, v29
	v_bfrev_b32_e32 v128, 1
	s_mov_b32 s17, exec_lo
	s_delay_alu instid0(VALU_DEP_2)
	v_cmpx_ne_u32_e32 0x80, v8
	s_cbranch_execz .LBB301_266
; %bb.261:                              ;   in Loop: Header=BB301_11 Depth=1
	v_and_b32_e32 v118, 0x7f, v8
	v_mov_b32_e32 v128, 0x7c010000
	s_mov_b32 s18, exec_lo
	s_delay_alu instid0(VALU_DEP_2)
	v_cmpx_ne_u32_e32 0x7f, v118
	s_cbranch_execz .LBB301_265
; %bb.262:                              ;   in Loop: Header=BB301_11 Depth=1
	v_and_b32_e32 v28, 7, v8
	v_lshrrev_b32_e32 v29, 3, v118
	s_mov_b32 s19, exec_lo
	v_cmpx_gt_u32_e32 8, v118
; %bb.263:                              ;   in Loop: Header=BB301_11 Depth=1
	s_delay_alu instid0(VALU_DEP_3) | instskip(NEXT) | instid1(VALU_DEP_1)
	v_clz_i32_u32_e32 v28, v28
	v_min_u32_e32 v118, 32, v28
	s_delay_alu instid0(VALU_DEP_1) | instskip(NEXT) | instid1(VALU_DEP_1)
	v_subrev_nc_u32_e32 v28, 28, v118
	v_lshlrev_b64_e32 v[28:29], v28, v[8:9]
	v_sub_nc_u32_e32 v29, 29, v118
	s_delay_alu instid0(VALU_DEP_2)
	v_and_b32_e32 v28, 7, v28
; %bb.264:                              ;   in Loop: Header=BB301_11 Depth=1
	s_wait_alu 0xfffe
	s_or_b32 exec_lo, exec_lo, s19
	v_lshlrev_b32_e32 v8, 8, v8
	v_lshl_add_u32 v29, v29, 10, 0x2000
	v_lshlrev_b32_e32 v28, 23, v28
	s_delay_alu instid0(VALU_DEP_2) | instskip(NEXT) | instid1(VALU_DEP_1)
	v_and_or_b32 v8, 0x8000, v8, v29
	v_lshl_or_b32 v128, v8, 16, v28
.LBB301_265:                            ;   in Loop: Header=BB301_11 Depth=1
	s_wait_alu 0xfffe
	s_or_b32 exec_lo, exec_lo, s18
.LBB301_266:                            ;   in Loop: Header=BB301_11 Depth=1
	s_wait_alu 0xfffe
	s_or_b32 exec_lo, exec_lo, s17
.LBB301_267:                            ;   in Loop: Header=BB301_11 Depth=1
	s_wait_alu 0xfffe
	s_or_b32 exec_lo, exec_lo, s2
	flat_load_b64 v[28:29], v[20:21] offset:1024
	s_mov_b32 s2, exec_lo
	s_wait_loadcnt_dscnt 0x0
	v_and_b32_e32 v8, 0xff, v28
	s_delay_alu instid0(VALU_DEP_1)
	v_cmpx_ne_u16_e32 0, v8
	s_cbranch_execz .LBB301_275
; %bb.268:                              ;   in Loop: Header=BB301_11 Depth=1
	v_mov_b32_e32 v115, 0x8000
	s_mov_b32 s17, exec_lo
	v_cmpx_ne_u16_e32 0x80, v8
	s_cbranch_execz .LBB301_274
; %bb.269:                              ;   in Loop: Header=BB301_11 Depth=1
	v_and_b32_e32 v118, 0x7f, v28
	v_mov_b32_e32 v115, 0x7c01
	s_mov_b32 s18, exec_lo
	s_delay_alu instid0(VALU_DEP_2)
	v_cmpx_ne_u32_e32 0x7f, v118
	s_cbranch_execz .LBB301_273
; %bb.270:                              ;   in Loop: Header=BB301_11 Depth=1
	v_and_b32_e32 v8, 7, v28
	v_lshrrev_b32_e32 v115, 3, v118
	s_mov_b32 s19, exec_lo
	v_cmpx_gt_u32_e32 8, v118
; %bb.271:                              ;   in Loop: Header=BB301_11 Depth=1
	s_delay_alu instid0(VALU_DEP_3) | instskip(NEXT) | instid1(VALU_DEP_1)
	v_clz_i32_u32_e32 v8, v8
	v_min_u32_e32 v8, 32, v8
	s_delay_alu instid0(VALU_DEP_1) | instskip(NEXT) | instid1(VALU_DEP_1)
	v_subrev_nc_u32_e32 v115, 28, v8
	v_lshlrev_b64_e32 v[118:119], v115, v[28:29]
	v_sub_nc_u32_e32 v115, 29, v8
	s_delay_alu instid0(VALU_DEP_2)
	v_and_b32_e32 v8, 7, v118
; %bb.272:                              ;   in Loop: Header=BB301_11 Depth=1
	s_wait_alu 0xfffe
	s_or_b32 exec_lo, exec_lo, s19
	v_lshlrev_b32_e32 v118, 8, v28
	v_lshl_add_u32 v115, v115, 10, 0x2000
	v_lshlrev_b32_e32 v8, 7, v8
	s_delay_alu instid0(VALU_DEP_3) | instskip(NEXT) | instid1(VALU_DEP_3)
	v_and_b32_e32 v118, 0x8000, v118
	v_and_b32_e32 v115, 0xfc00, v115
	s_delay_alu instid0(VALU_DEP_1)
	v_or3_b32 v115, v118, v115, v8
.LBB301_273:                            ;   in Loop: Header=BB301_11 Depth=1
	s_wait_alu 0xfffe
	s_or_b32 exec_lo, exec_lo, s18
.LBB301_274:                            ;   in Loop: Header=BB301_11 Depth=1
	s_wait_alu 0xfffe
	s_or_b32 exec_lo, exec_lo, s17
.LBB301_275:                            ;   in Loop: Header=BB301_11 Depth=1
	s_wait_alu 0xfffe
	s_or_b32 exec_lo, exec_lo, s2
	v_lshrrev_b16 v8, 8, v28
	v_dual_mov_b32 v119, 0 :: v_dual_mov_b32 v118, 0
	s_mov_b32 s2, exec_lo
	s_delay_alu instid0(VALU_DEP_2)
	v_cmpx_ne_u16_e32 0, v8
	s_cbranch_execz .LBB301_283
; %bb.276:                              ;   in Loop: Header=BB301_11 Depth=1
	v_bfrev_b32_e32 v118, 1
	s_mov_b32 s17, exec_lo
	v_cmpx_ne_u16_e32 0x80, v8
	s_cbranch_execz .LBB301_282
; %bb.277:                              ;   in Loop: Header=BB301_11 Depth=1
	v_and_b32_e32 v129, 0xffff, v8
	v_mov_b32_e32 v118, 0x7c010000
	s_mov_b32 s18, exec_lo
	s_delay_alu instid0(VALU_DEP_2) | instskip(NEXT) | instid1(VALU_DEP_1)
	v_and_b32_e32 v131, 0x7f, v129
	v_cmpx_ne_u32_e32 0x7f, v131
	s_cbranch_execz .LBB301_281
; %bb.278:                              ;   in Loop: Header=BB301_11 Depth=1
	v_and_b32_e32 v118, 7, v129
	v_lshrrev_b32_e32 v130, 3, v131
	s_mov_b32 s19, exec_lo
	v_cmpx_gt_u32_e32 8, v131
; %bb.279:                              ;   in Loop: Header=BB301_11 Depth=1
	s_delay_alu instid0(VALU_DEP_3) | instskip(NEXT) | instid1(VALU_DEP_1)
	v_clz_i32_u32_e32 v118, v118
	v_min_u32_e32 v118, 32, v118
	s_delay_alu instid0(VALU_DEP_1) | instskip(NEXT) | instid1(VALU_DEP_1)
	v_subrev_nc_u32_e32 v130, 28, v118
	v_lshlrev_b64_e32 v[131:132], v130, v[8:9]
	v_sub_nc_u32_e32 v130, 29, v118
	s_delay_alu instid0(VALU_DEP_2)
	v_and_b32_e32 v118, 7, v131
; %bb.280:                              ;   in Loop: Header=BB301_11 Depth=1
	s_wait_alu 0xfffe
	s_or_b32 exec_lo, exec_lo, s19
	v_lshlrev_b32_e32 v8, 8, v129
	v_lshl_add_u32 v129, v130, 10, 0x2000
	v_lshlrev_b32_e32 v118, 23, v118
	s_delay_alu instid0(VALU_DEP_2) | instskip(NEXT) | instid1(VALU_DEP_1)
	v_and_or_b32 v8, 0x8000, v8, v129
	v_lshl_or_b32 v118, v8, 16, v118
.LBB301_281:                            ;   in Loop: Header=BB301_11 Depth=1
	s_wait_alu 0xfffe
	s_or_b32 exec_lo, exec_lo, s18
.LBB301_282:                            ;   in Loop: Header=BB301_11 Depth=1
	s_wait_alu 0xfffe
	s_or_b32 exec_lo, exec_lo, s17
.LBB301_283:                            ;   in Loop: Header=BB301_11 Depth=1
	s_wait_alu 0xfffe
	s_or_b32 exec_lo, exec_lo, s2
	v_lshrrev_b32_e32 v8, 16, v28
	s_mov_b32 s2, exec_lo
	s_delay_alu instid0(VALU_DEP_1) | instskip(NEXT) | instid1(VALU_DEP_1)
	v_and_b32_e32 v129, 0xff, v8
	v_cmpx_ne_u16_e64 0, v129
	s_cbranch_execz .LBB301_291
; %bb.284:                              ;   in Loop: Header=BB301_11 Depth=1
	v_mov_b32_e32 v119, 0x8000
	s_mov_b32 s17, exec_lo
	v_cmpx_ne_u16_e64 0x80, v129
	s_cbranch_execz .LBB301_290
; %bb.285:                              ;   in Loop: Header=BB301_11 Depth=1
	v_bfe_u32 v130, v28, 16, 7
	v_mov_b32_e32 v119, 0x7c01
	s_mov_b32 s18, exec_lo
	s_delay_alu instid0(VALU_DEP_2)
	v_cmpx_ne_u32_e32 0x7f, v130
	s_cbranch_execz .LBB301_289
; %bb.286:                              ;   in Loop: Header=BB301_11 Depth=1
	v_and_b32_e32 v119, 7, v8
	v_lshrrev_b32_e32 v129, 3, v130
	s_mov_b32 s19, exec_lo
	v_cmpx_gt_u32_e32 8, v130
; %bb.287:                              ;   in Loop: Header=BB301_11 Depth=1
	s_delay_alu instid0(VALU_DEP_3) | instskip(NEXT) | instid1(VALU_DEP_1)
	v_clz_i32_u32_e32 v119, v119
	v_min_u32_e32 v119, 32, v119
	s_delay_alu instid0(VALU_DEP_1) | instskip(NEXT) | instid1(VALU_DEP_1)
	v_subrev_nc_u32_e32 v129, 28, v119
	v_lshlrev_b64_e32 v[130:131], v129, v[8:9]
	v_sub_nc_u32_e32 v129, 29, v119
	s_delay_alu instid0(VALU_DEP_2)
	v_and_b32_e32 v119, 7, v130
; %bb.288:                              ;   in Loop: Header=BB301_11 Depth=1
	s_wait_alu 0xfffe
	s_or_b32 exec_lo, exec_lo, s19
	v_lshlrev_b32_e32 v8, 8, v8
	v_lshl_add_u32 v129, v129, 10, 0x2000
	v_lshlrev_b32_e32 v119, 7, v119
	s_delay_alu instid0(VALU_DEP_3) | instskip(NEXT) | instid1(VALU_DEP_3)
	v_and_b32_e32 v8, 0x8000, v8
	v_and_b32_e32 v129, 0xfc00, v129
	s_delay_alu instid0(VALU_DEP_1)
	v_or3_b32 v119, v8, v129, v119
.LBB301_289:                            ;   in Loop: Header=BB301_11 Depth=1
	s_wait_alu 0xfffe
	s_or_b32 exec_lo, exec_lo, s18
.LBB301_290:                            ;   in Loop: Header=BB301_11 Depth=1
	s_wait_alu 0xfffe
	s_or_b32 exec_lo, exec_lo, s17
.LBB301_291:                            ;   in Loop: Header=BB301_11 Depth=1
	s_wait_alu 0xfffe
	s_or_b32 exec_lo, exec_lo, s2
	v_dual_mov_b32 v129, 0 :: v_dual_mov_b32 v130, 0
	s_mov_b32 s2, exec_lo
	v_cmpx_lt_u32_e32 0xffffff, v28
	s_cbranch_execz .LBB301_299
; %bb.292:                              ;   in Loop: Header=BB301_11 Depth=1
	v_lshrrev_b32_e32 v8, 24, v28
	v_bfrev_b32_e32 v130, 1
	s_mov_b32 s17, exec_lo
	s_delay_alu instid0(VALU_DEP_2)
	v_cmpx_ne_u32_e32 0x80, v8
	s_cbranch_execz .LBB301_298
; %bb.293:                              ;   in Loop: Header=BB301_11 Depth=1
	v_and_b32_e32 v132, 0x7f, v8
	v_mov_b32_e32 v130, 0x7c010000
	s_mov_b32 s18, exec_lo
	s_delay_alu instid0(VALU_DEP_2)
	v_cmpx_ne_u32_e32 0x7f, v132
	s_cbranch_execz .LBB301_297
; %bb.294:                              ;   in Loop: Header=BB301_11 Depth=1
	v_and_b32_e32 v130, 7, v8
	v_lshrrev_b32_e32 v131, 3, v132
	s_mov_b32 s19, exec_lo
	v_cmpx_gt_u32_e32 8, v132
; %bb.295:                              ;   in Loop: Header=BB301_11 Depth=1
	s_delay_alu instid0(VALU_DEP_3) | instskip(NEXT) | instid1(VALU_DEP_1)
	v_clz_i32_u32_e32 v130, v130
	v_min_u32_e32 v132, 32, v130
	s_delay_alu instid0(VALU_DEP_1) | instskip(NEXT) | instid1(VALU_DEP_1)
	v_subrev_nc_u32_e32 v130, 28, v132
	v_lshlrev_b64_e32 v[130:131], v130, v[8:9]
	v_sub_nc_u32_e32 v131, 29, v132
	s_delay_alu instid0(VALU_DEP_2)
	v_and_b32_e32 v130, 7, v130
; %bb.296:                              ;   in Loop: Header=BB301_11 Depth=1
	s_wait_alu 0xfffe
	s_or_b32 exec_lo, exec_lo, s19
	v_lshlrev_b32_e32 v8, 8, v8
	v_lshl_add_u32 v131, v131, 10, 0x2000
	v_lshlrev_b32_e32 v130, 23, v130
	s_delay_alu instid0(VALU_DEP_2) | instskip(NEXT) | instid1(VALU_DEP_1)
	v_and_or_b32 v8, 0x8000, v8, v131
	v_lshl_or_b32 v130, v8, 16, v130
.LBB301_297:                            ;   in Loop: Header=BB301_11 Depth=1
	s_wait_alu 0xfffe
	s_or_b32 exec_lo, exec_lo, s18
.LBB301_298:                            ;   in Loop: Header=BB301_11 Depth=1
	s_wait_alu 0xfffe
	s_or_b32 exec_lo, exec_lo, s17
.LBB301_299:                            ;   in Loop: Header=BB301_11 Depth=1
	s_wait_alu 0xfffe
	s_or_b32 exec_lo, exec_lo, s2
	v_dual_mov_b32 v8, v29 :: v_dual_and_b32 v131, 0xff, v29
	s_mov_b32 s2, exec_lo
	s_delay_alu instid0(VALU_DEP_1)
	v_cmpx_ne_u16_e64 0, v131
	s_cbranch_execz .LBB301_307
; %bb.300:                              ;   in Loop: Header=BB301_11 Depth=1
	v_mov_b32_e32 v129, 0x8000
	s_mov_b32 s17, exec_lo
	v_cmpx_ne_u16_e64 0x80, v131
	s_cbranch_execz .LBB301_306
; %bb.301:                              ;   in Loop: Header=BB301_11 Depth=1
	v_and_b32_e32 v132, 0x7f, v29
	v_mov_b32_e32 v129, 0x7c01
	s_mov_b32 s18, exec_lo
	s_delay_alu instid0(VALU_DEP_2)
	v_cmpx_ne_u32_e32 0x7f, v132
	s_cbranch_execz .LBB301_305
; %bb.302:                              ;   in Loop: Header=BB301_11 Depth=1
	v_and_b32_e32 v129, 7, v29
	v_lshrrev_b32_e32 v131, 3, v132
	s_mov_b32 s19, exec_lo
	v_cmpx_gt_u32_e32 8, v132
; %bb.303:                              ;   in Loop: Header=BB301_11 Depth=1
	s_delay_alu instid0(VALU_DEP_3) | instskip(NEXT) | instid1(VALU_DEP_1)
	v_clz_i32_u32_e32 v129, v129
	v_min_u32_e32 v129, 32, v129
	s_delay_alu instid0(VALU_DEP_1) | instskip(NEXT) | instid1(VALU_DEP_1)
	v_subrev_nc_u32_e32 v131, 28, v129
	v_lshlrev_b64_e32 v[132:133], v131, v[8:9]
	v_sub_nc_u32_e32 v131, 29, v129
	s_delay_alu instid0(VALU_DEP_2)
	v_and_b32_e32 v129, 7, v132
; %bb.304:                              ;   in Loop: Header=BB301_11 Depth=1
	s_wait_alu 0xfffe
	s_or_b32 exec_lo, exec_lo, s19
	v_lshlrev_b32_e32 v132, 8, v29
	v_lshl_add_u32 v131, v131, 10, 0x2000
	v_lshlrev_b32_e32 v129, 7, v129
	s_delay_alu instid0(VALU_DEP_3) | instskip(NEXT) | instid1(VALU_DEP_3)
	v_and_b32_e32 v132, 0x8000, v132
	v_and_b32_e32 v131, 0xfc00, v131
	s_delay_alu instid0(VALU_DEP_1)
	v_or3_b32 v129, v132, v131, v129
.LBB301_305:                            ;   in Loop: Header=BB301_11 Depth=1
	s_wait_alu 0xfffe
	s_or_b32 exec_lo, exec_lo, s18
.LBB301_306:                            ;   in Loop: Header=BB301_11 Depth=1
	s_wait_alu 0xfffe
	s_or_b32 exec_lo, exec_lo, s17
.LBB301_307:                            ;   in Loop: Header=BB301_11 Depth=1
	s_wait_alu 0xfffe
	s_or_b32 exec_lo, exec_lo, s2
	v_lshrrev_b16 v8, 8, v8
	v_dual_mov_b32 v133, 0 :: v_dual_mov_b32 v132, 0
	s_mov_b32 s2, exec_lo
	s_delay_alu instid0(VALU_DEP_2)
	v_cmpx_ne_u16_e32 0, v8
	s_cbranch_execz .LBB301_315
; %bb.308:                              ;   in Loop: Header=BB301_11 Depth=1
	v_bfrev_b32_e32 v132, 1
	s_mov_b32 s17, exec_lo
	v_cmpx_ne_u16_e32 0x80, v8
	s_cbranch_execz .LBB301_314
; %bb.309:                              ;   in Loop: Header=BB301_11 Depth=1
	v_and_b32_e32 v131, 0xffff, v8
	v_mov_b32_e32 v132, 0x7c010000
	s_mov_b32 s18, exec_lo
	s_delay_alu instid0(VALU_DEP_2) | instskip(NEXT) | instid1(VALU_DEP_1)
	v_and_b32_e32 v135, 0x7f, v131
	v_cmpx_ne_u32_e32 0x7f, v135
	s_cbranch_execz .LBB301_313
; %bb.310:                              ;   in Loop: Header=BB301_11 Depth=1
	v_and_b32_e32 v132, 7, v131
	v_lshrrev_b32_e32 v134, 3, v135
	s_mov_b32 s19, exec_lo
	v_cmpx_gt_u32_e32 8, v135
; %bb.311:                              ;   in Loop: Header=BB301_11 Depth=1
	s_delay_alu instid0(VALU_DEP_3) | instskip(NEXT) | instid1(VALU_DEP_1)
	v_clz_i32_u32_e32 v132, v132
	v_min_u32_e32 v132, 32, v132
	s_delay_alu instid0(VALU_DEP_1) | instskip(NEXT) | instid1(VALU_DEP_1)
	v_subrev_nc_u32_e32 v134, 28, v132
	v_lshlrev_b64_e32 v[144:145], v134, v[8:9]
	v_sub_nc_u32_e32 v134, 29, v132
	s_delay_alu instid0(VALU_DEP_2)
	v_and_b32_e32 v132, 7, v144
; %bb.312:                              ;   in Loop: Header=BB301_11 Depth=1
	s_wait_alu 0xfffe
	s_or_b32 exec_lo, exec_lo, s19
	v_lshlrev_b32_e32 v8, 8, v131
	v_lshl_add_u32 v131, v134, 10, 0x2000
	s_delay_alu instid0(VALU_DEP_1) | instskip(SKIP_1) | instid1(VALU_DEP_1)
	v_and_or_b32 v8, 0x8000, v8, v131
	v_lshlrev_b32_e32 v131, 23, v132
	v_lshl_or_b32 v132, v8, 16, v131
.LBB301_313:                            ;   in Loop: Header=BB301_11 Depth=1
	s_wait_alu 0xfffe
	s_or_b32 exec_lo, exec_lo, s18
.LBB301_314:                            ;   in Loop: Header=BB301_11 Depth=1
	s_wait_alu 0xfffe
	s_or_b32 exec_lo, exec_lo, s17
.LBB301_315:                            ;   in Loop: Header=BB301_11 Depth=1
	s_wait_alu 0xfffe
	s_or_b32 exec_lo, exec_lo, s2
	v_lshrrev_b32_e32 v8, 16, v29
	s_mov_b32 s2, exec_lo
	s_delay_alu instid0(VALU_DEP_1) | instskip(NEXT) | instid1(VALU_DEP_1)
	v_and_b32_e32 v131, 0xff, v8
	v_cmpx_ne_u16_e64 0, v131
	s_cbranch_execz .LBB301_323
; %bb.316:                              ;   in Loop: Header=BB301_11 Depth=1
	v_mov_b32_e32 v133, 0x8000
	s_mov_b32 s17, exec_lo
	v_cmpx_ne_u16_e64 0x80, v131
	s_cbranch_execz .LBB301_322
; %bb.317:                              ;   in Loop: Header=BB301_11 Depth=1
	v_bfe_u32 v134, v29, 16, 7
	v_mov_b32_e32 v133, 0x7c01
	s_mov_b32 s18, exec_lo
	s_delay_alu instid0(VALU_DEP_2)
	v_cmpx_ne_u32_e32 0x7f, v134
	s_cbranch_execz .LBB301_321
; %bb.318:                              ;   in Loop: Header=BB301_11 Depth=1
	v_and_b32_e32 v131, 7, v8
	v_lshrrev_b32_e32 v133, 3, v134
	s_mov_b32 s19, exec_lo
	v_cmpx_gt_u32_e32 8, v134
; %bb.319:                              ;   in Loop: Header=BB301_11 Depth=1
	s_delay_alu instid0(VALU_DEP_3) | instskip(NEXT) | instid1(VALU_DEP_1)
	v_clz_i32_u32_e32 v131, v131
	v_min_u32_e32 v131, 32, v131
	s_delay_alu instid0(VALU_DEP_1) | instskip(NEXT) | instid1(VALU_DEP_1)
	v_subrev_nc_u32_e32 v133, 28, v131
	v_lshlrev_b64_e32 v[134:135], v133, v[8:9]
	v_sub_nc_u32_e32 v133, 29, v131
	s_delay_alu instid0(VALU_DEP_2)
	v_and_b32_e32 v131, 7, v134
; %bb.320:                              ;   in Loop: Header=BB301_11 Depth=1
	s_wait_alu 0xfffe
	s_or_b32 exec_lo, exec_lo, s19
	v_lshlrev_b32_e32 v8, 8, v8
	v_lshl_add_u32 v133, v133, 10, 0x2000
	v_lshlrev_b32_e32 v131, 7, v131
	s_delay_alu instid0(VALU_DEP_3) | instskip(NEXT) | instid1(VALU_DEP_3)
	v_and_b32_e32 v8, 0x8000, v8
	v_and_b32_e32 v133, 0xfc00, v133
	s_delay_alu instid0(VALU_DEP_1)
	v_or3_b32 v133, v8, v133, v131
.LBB301_321:                            ;   in Loop: Header=BB301_11 Depth=1
	s_wait_alu 0xfffe
	s_or_b32 exec_lo, exec_lo, s18
.LBB301_322:                            ;   in Loop: Header=BB301_11 Depth=1
	s_wait_alu 0xfffe
	s_or_b32 exec_lo, exec_lo, s17
.LBB301_323:                            ;   in Loop: Header=BB301_11 Depth=1
	s_wait_alu 0xfffe
	s_or_b32 exec_lo, exec_lo, s2
	v_dual_mov_b32 v131, 0 :: v_dual_mov_b32 v144, 0
	s_mov_b32 s2, exec_lo
	v_cmpx_lt_u64_e64 s[8:9], v[28:29]
	s_cbranch_execz .LBB301_331
; %bb.324:                              ;   in Loop: Header=BB301_11 Depth=1
	v_lshrrev_b32_e32 v8, 24, v29
	v_bfrev_b32_e32 v144, 1
	s_mov_b32 s17, exec_lo
	s_delay_alu instid0(VALU_DEP_2)
	v_cmpx_ne_u32_e32 0x80, v8
	s_cbranch_execz .LBB301_330
; %bb.325:                              ;   in Loop: Header=BB301_11 Depth=1
	v_and_b32_e32 v134, 0x7f, v8
	v_mov_b32_e32 v144, 0x7c010000
	s_mov_b32 s18, exec_lo
	s_delay_alu instid0(VALU_DEP_2)
	v_cmpx_ne_u32_e32 0x7f, v134
	s_cbranch_execz .LBB301_329
; %bb.326:                              ;   in Loop: Header=BB301_11 Depth=1
	v_and_b32_e32 v28, 7, v8
	v_lshrrev_b32_e32 v29, 3, v134
	s_mov_b32 s19, exec_lo
	v_cmpx_gt_u32_e32 8, v134
; %bb.327:                              ;   in Loop: Header=BB301_11 Depth=1
	s_delay_alu instid0(VALU_DEP_3) | instskip(NEXT) | instid1(VALU_DEP_1)
	v_clz_i32_u32_e32 v28, v28
	v_min_u32_e32 v134, 32, v28
	s_delay_alu instid0(VALU_DEP_1) | instskip(NEXT) | instid1(VALU_DEP_1)
	v_subrev_nc_u32_e32 v28, 28, v134
	v_lshlrev_b64_e32 v[28:29], v28, v[8:9]
	v_sub_nc_u32_e32 v29, 29, v134
	s_delay_alu instid0(VALU_DEP_2)
	v_and_b32_e32 v28, 7, v28
; %bb.328:                              ;   in Loop: Header=BB301_11 Depth=1
	s_wait_alu 0xfffe
	s_or_b32 exec_lo, exec_lo, s19
	v_lshlrev_b32_e32 v8, 8, v8
	v_lshl_add_u32 v29, v29, 10, 0x2000
	v_lshlrev_b32_e32 v28, 23, v28
	s_delay_alu instid0(VALU_DEP_2) | instskip(NEXT) | instid1(VALU_DEP_1)
	v_and_or_b32 v8, 0x8000, v8, v29
	v_lshl_or_b32 v144, v8, 16, v28
.LBB301_329:                            ;   in Loop: Header=BB301_11 Depth=1
	s_wait_alu 0xfffe
	s_or_b32 exec_lo, exec_lo, s18
.LBB301_330:                            ;   in Loop: Header=BB301_11 Depth=1
	s_wait_alu 0xfffe
	s_or_b32 exec_lo, exec_lo, s17
.LBB301_331:                            ;   in Loop: Header=BB301_11 Depth=1
	s_wait_alu 0xfffe
	s_or_b32 exec_lo, exec_lo, s2
	flat_load_b64 v[28:29], v[20:21] offset:1032
	s_mov_b32 s2, exec_lo
	s_wait_loadcnt_dscnt 0x0
	v_and_b32_e32 v8, 0xff, v28
	s_delay_alu instid0(VALU_DEP_1)
	v_cmpx_ne_u16_e32 0, v8
	s_cbranch_execz .LBB301_339
; %bb.332:                              ;   in Loop: Header=BB301_11 Depth=1
	v_mov_b32_e32 v131, 0x8000
	s_mov_b32 s17, exec_lo
	v_cmpx_ne_u16_e32 0x80, v8
	s_cbranch_execz .LBB301_338
; %bb.333:                              ;   in Loop: Header=BB301_11 Depth=1
	v_and_b32_e32 v134, 0x7f, v28
	v_mov_b32_e32 v131, 0x7c01
	s_mov_b32 s18, exec_lo
	s_delay_alu instid0(VALU_DEP_2)
	v_cmpx_ne_u32_e32 0x7f, v134
	s_cbranch_execz .LBB301_337
; %bb.334:                              ;   in Loop: Header=BB301_11 Depth=1
	v_and_b32_e32 v8, 7, v28
	v_lshrrev_b32_e32 v131, 3, v134
	s_mov_b32 s19, exec_lo
	v_cmpx_gt_u32_e32 8, v134
; %bb.335:                              ;   in Loop: Header=BB301_11 Depth=1
	s_delay_alu instid0(VALU_DEP_3) | instskip(NEXT) | instid1(VALU_DEP_1)
	v_clz_i32_u32_e32 v8, v8
	v_min_u32_e32 v8, 32, v8
	s_delay_alu instid0(VALU_DEP_1) | instskip(NEXT) | instid1(VALU_DEP_1)
	v_subrev_nc_u32_e32 v131, 28, v8
	v_lshlrev_b64_e32 v[134:135], v131, v[28:29]
	v_sub_nc_u32_e32 v131, 29, v8
	s_delay_alu instid0(VALU_DEP_2)
	v_and_b32_e32 v8, 7, v134
; %bb.336:                              ;   in Loop: Header=BB301_11 Depth=1
	s_wait_alu 0xfffe
	s_or_b32 exec_lo, exec_lo, s19
	v_lshlrev_b32_e32 v134, 8, v28
	v_lshl_add_u32 v131, v131, 10, 0x2000
	v_lshlrev_b32_e32 v8, 7, v8
	s_delay_alu instid0(VALU_DEP_3) | instskip(NEXT) | instid1(VALU_DEP_3)
	v_and_b32_e32 v134, 0x8000, v134
	v_and_b32_e32 v131, 0xfc00, v131
	s_delay_alu instid0(VALU_DEP_1)
	v_or3_b32 v131, v134, v131, v8
.LBB301_337:                            ;   in Loop: Header=BB301_11 Depth=1
	s_wait_alu 0xfffe
	s_or_b32 exec_lo, exec_lo, s18
.LBB301_338:                            ;   in Loop: Header=BB301_11 Depth=1
	s_wait_alu 0xfffe
	s_or_b32 exec_lo, exec_lo, s17
.LBB301_339:                            ;   in Loop: Header=BB301_11 Depth=1
	s_wait_alu 0xfffe
	s_or_b32 exec_lo, exec_lo, s2
	v_lshrrev_b16 v8, 8, v28
	v_dual_mov_b32 v135, 0 :: v_dual_mov_b32 v134, 0
	s_mov_b32 s2, exec_lo
	s_delay_alu instid0(VALU_DEP_2)
	v_cmpx_ne_u16_e32 0, v8
	s_cbranch_execz .LBB301_347
; %bb.340:                              ;   in Loop: Header=BB301_11 Depth=1
	v_bfrev_b32_e32 v134, 1
	s_mov_b32 s17, exec_lo
	v_cmpx_ne_u16_e32 0x80, v8
	s_cbranch_execz .LBB301_346
; %bb.341:                              ;   in Loop: Header=BB301_11 Depth=1
	v_and_b32_e32 v145, 0xffff, v8
	v_mov_b32_e32 v134, 0x7c010000
	s_mov_b32 s18, exec_lo
	s_delay_alu instid0(VALU_DEP_2) | instskip(NEXT) | instid1(VALU_DEP_1)
	v_and_b32_e32 v147, 0x7f, v145
	v_cmpx_ne_u32_e32 0x7f, v147
	s_cbranch_execz .LBB301_345
; %bb.342:                              ;   in Loop: Header=BB301_11 Depth=1
	v_and_b32_e32 v134, 7, v145
	v_lshrrev_b32_e32 v146, 3, v147
	s_mov_b32 s19, exec_lo
	v_cmpx_gt_u32_e32 8, v147
; %bb.343:                              ;   in Loop: Header=BB301_11 Depth=1
	s_delay_alu instid0(VALU_DEP_3) | instskip(NEXT) | instid1(VALU_DEP_1)
	v_clz_i32_u32_e32 v134, v134
	v_min_u32_e32 v134, 32, v134
	s_delay_alu instid0(VALU_DEP_1) | instskip(NEXT) | instid1(VALU_DEP_1)
	v_subrev_nc_u32_e32 v146, 28, v134
	v_lshlrev_b64_e32 v[147:148], v146, v[8:9]
	v_sub_nc_u32_e32 v146, 29, v134
	s_delay_alu instid0(VALU_DEP_2)
	v_and_b32_e32 v134, 7, v147
; %bb.344:                              ;   in Loop: Header=BB301_11 Depth=1
	s_wait_alu 0xfffe
	s_or_b32 exec_lo, exec_lo, s19
	v_lshlrev_b32_e32 v8, 8, v145
	v_lshl_add_u32 v145, v146, 10, 0x2000
	v_lshlrev_b32_e32 v134, 23, v134
	s_delay_alu instid0(VALU_DEP_2) | instskip(NEXT) | instid1(VALU_DEP_1)
	v_and_or_b32 v8, 0x8000, v8, v145
	v_lshl_or_b32 v134, v8, 16, v134
.LBB301_345:                            ;   in Loop: Header=BB301_11 Depth=1
	s_wait_alu 0xfffe
	s_or_b32 exec_lo, exec_lo, s18
.LBB301_346:                            ;   in Loop: Header=BB301_11 Depth=1
	s_wait_alu 0xfffe
	s_or_b32 exec_lo, exec_lo, s17
.LBB301_347:                            ;   in Loop: Header=BB301_11 Depth=1
	s_wait_alu 0xfffe
	s_or_b32 exec_lo, exec_lo, s2
	v_lshrrev_b32_e32 v8, 16, v28
	s_mov_b32 s2, exec_lo
	s_delay_alu instid0(VALU_DEP_1) | instskip(NEXT) | instid1(VALU_DEP_1)
	v_and_b32_e32 v145, 0xff, v8
	v_cmpx_ne_u16_e64 0, v145
	s_cbranch_execz .LBB301_355
; %bb.348:                              ;   in Loop: Header=BB301_11 Depth=1
	v_mov_b32_e32 v135, 0x8000
	s_mov_b32 s17, exec_lo
	v_cmpx_ne_u16_e64 0x80, v145
	s_cbranch_execz .LBB301_354
; %bb.349:                              ;   in Loop: Header=BB301_11 Depth=1
	v_bfe_u32 v146, v28, 16, 7
	v_mov_b32_e32 v135, 0x7c01
	s_mov_b32 s18, exec_lo
	s_delay_alu instid0(VALU_DEP_2)
	v_cmpx_ne_u32_e32 0x7f, v146
	s_cbranch_execz .LBB301_353
; %bb.350:                              ;   in Loop: Header=BB301_11 Depth=1
	v_and_b32_e32 v135, 7, v8
	v_lshrrev_b32_e32 v145, 3, v146
	s_mov_b32 s19, exec_lo
	v_cmpx_gt_u32_e32 8, v146
; %bb.351:                              ;   in Loop: Header=BB301_11 Depth=1
	s_delay_alu instid0(VALU_DEP_3) | instskip(NEXT) | instid1(VALU_DEP_1)
	v_clz_i32_u32_e32 v135, v135
	v_min_u32_e32 v135, 32, v135
	s_delay_alu instid0(VALU_DEP_1) | instskip(NEXT) | instid1(VALU_DEP_1)
	v_subrev_nc_u32_e32 v145, 28, v135
	v_lshlrev_b64_e32 v[146:147], v145, v[8:9]
	v_sub_nc_u32_e32 v145, 29, v135
	s_delay_alu instid0(VALU_DEP_2)
	v_and_b32_e32 v135, 7, v146
; %bb.352:                              ;   in Loop: Header=BB301_11 Depth=1
	s_wait_alu 0xfffe
	s_or_b32 exec_lo, exec_lo, s19
	v_lshlrev_b32_e32 v8, 8, v8
	v_lshl_add_u32 v145, v145, 10, 0x2000
	v_lshlrev_b32_e32 v135, 7, v135
	s_delay_alu instid0(VALU_DEP_3) | instskip(NEXT) | instid1(VALU_DEP_3)
	v_and_b32_e32 v8, 0x8000, v8
	v_and_b32_e32 v145, 0xfc00, v145
	s_delay_alu instid0(VALU_DEP_1)
	v_or3_b32 v135, v8, v145, v135
.LBB301_353:                            ;   in Loop: Header=BB301_11 Depth=1
	s_wait_alu 0xfffe
	s_or_b32 exec_lo, exec_lo, s18
.LBB301_354:                            ;   in Loop: Header=BB301_11 Depth=1
	s_wait_alu 0xfffe
	s_or_b32 exec_lo, exec_lo, s17
.LBB301_355:                            ;   in Loop: Header=BB301_11 Depth=1
	s_wait_alu 0xfffe
	s_or_b32 exec_lo, exec_lo, s2
	v_dual_mov_b32 v145, 0 :: v_dual_mov_b32 v146, 0
	s_mov_b32 s2, exec_lo
	v_cmpx_lt_u32_e32 0xffffff, v28
	s_cbranch_execz .LBB301_363
; %bb.356:                              ;   in Loop: Header=BB301_11 Depth=1
	v_lshrrev_b32_e32 v8, 24, v28
	v_bfrev_b32_e32 v146, 1
	s_mov_b32 s17, exec_lo
	s_delay_alu instid0(VALU_DEP_2)
	v_cmpx_ne_u32_e32 0x80, v8
	s_cbranch_execz .LBB301_362
; %bb.357:                              ;   in Loop: Header=BB301_11 Depth=1
	v_and_b32_e32 v148, 0x7f, v8
	v_mov_b32_e32 v146, 0x7c010000
	s_mov_b32 s18, exec_lo
	s_delay_alu instid0(VALU_DEP_2)
	v_cmpx_ne_u32_e32 0x7f, v148
	s_cbranch_execz .LBB301_361
; %bb.358:                              ;   in Loop: Header=BB301_11 Depth=1
	v_and_b32_e32 v146, 7, v8
	v_lshrrev_b32_e32 v147, 3, v148
	s_mov_b32 s19, exec_lo
	v_cmpx_gt_u32_e32 8, v148
; %bb.359:                              ;   in Loop: Header=BB301_11 Depth=1
	s_delay_alu instid0(VALU_DEP_3) | instskip(NEXT) | instid1(VALU_DEP_1)
	v_clz_i32_u32_e32 v146, v146
	v_min_u32_e32 v148, 32, v146
	s_delay_alu instid0(VALU_DEP_1) | instskip(NEXT) | instid1(VALU_DEP_1)
	v_subrev_nc_u32_e32 v146, 28, v148
	v_lshlrev_b64_e32 v[146:147], v146, v[8:9]
	v_sub_nc_u32_e32 v147, 29, v148
	s_delay_alu instid0(VALU_DEP_2)
	v_and_b32_e32 v146, 7, v146
; %bb.360:                              ;   in Loop: Header=BB301_11 Depth=1
	s_wait_alu 0xfffe
	s_or_b32 exec_lo, exec_lo, s19
	v_lshlrev_b32_e32 v8, 8, v8
	v_lshl_add_u32 v147, v147, 10, 0x2000
	v_lshlrev_b32_e32 v146, 23, v146
	s_delay_alu instid0(VALU_DEP_2) | instskip(NEXT) | instid1(VALU_DEP_1)
	v_and_or_b32 v8, 0x8000, v8, v147
	v_lshl_or_b32 v146, v8, 16, v146
.LBB301_361:                            ;   in Loop: Header=BB301_11 Depth=1
	s_wait_alu 0xfffe
	s_or_b32 exec_lo, exec_lo, s18
.LBB301_362:                            ;   in Loop: Header=BB301_11 Depth=1
	s_wait_alu 0xfffe
	s_or_b32 exec_lo, exec_lo, s17
.LBB301_363:                            ;   in Loop: Header=BB301_11 Depth=1
	s_wait_alu 0xfffe
	s_or_b32 exec_lo, exec_lo, s2
	v_dual_mov_b32 v8, v29 :: v_dual_and_b32 v147, 0xff, v29
	s_mov_b32 s2, exec_lo
	s_delay_alu instid0(VALU_DEP_1)
	v_cmpx_ne_u16_e64 0, v147
	s_cbranch_execz .LBB301_371
; %bb.364:                              ;   in Loop: Header=BB301_11 Depth=1
	v_mov_b32_e32 v145, 0x8000
	s_mov_b32 s17, exec_lo
	v_cmpx_ne_u16_e64 0x80, v147
	s_cbranch_execz .LBB301_370
; %bb.365:                              ;   in Loop: Header=BB301_11 Depth=1
	v_and_b32_e32 v148, 0x7f, v29
	v_mov_b32_e32 v145, 0x7c01
	s_mov_b32 s18, exec_lo
	s_delay_alu instid0(VALU_DEP_2)
	v_cmpx_ne_u32_e32 0x7f, v148
	s_cbranch_execz .LBB301_369
; %bb.366:                              ;   in Loop: Header=BB301_11 Depth=1
	v_and_b32_e32 v145, 7, v29
	v_lshrrev_b32_e32 v147, 3, v148
	s_mov_b32 s19, exec_lo
	v_cmpx_gt_u32_e32 8, v148
; %bb.367:                              ;   in Loop: Header=BB301_11 Depth=1
	s_delay_alu instid0(VALU_DEP_3) | instskip(NEXT) | instid1(VALU_DEP_1)
	v_clz_i32_u32_e32 v145, v145
	v_min_u32_e32 v145, 32, v145
	s_delay_alu instid0(VALU_DEP_1) | instskip(NEXT) | instid1(VALU_DEP_1)
	v_subrev_nc_u32_e32 v147, 28, v145
	v_lshlrev_b64_e32 v[148:149], v147, v[8:9]
	v_sub_nc_u32_e32 v147, 29, v145
	s_delay_alu instid0(VALU_DEP_2)
	v_and_b32_e32 v145, 7, v148
; %bb.368:                              ;   in Loop: Header=BB301_11 Depth=1
	s_wait_alu 0xfffe
	s_or_b32 exec_lo, exec_lo, s19
	v_lshlrev_b32_e32 v148, 8, v29
	v_lshl_add_u32 v147, v147, 10, 0x2000
	v_lshlrev_b32_e32 v145, 7, v145
	s_delay_alu instid0(VALU_DEP_3) | instskip(NEXT) | instid1(VALU_DEP_3)
	v_and_b32_e32 v148, 0x8000, v148
	v_and_b32_e32 v147, 0xfc00, v147
	s_delay_alu instid0(VALU_DEP_1)
	v_or3_b32 v145, v148, v147, v145
.LBB301_369:                            ;   in Loop: Header=BB301_11 Depth=1
	s_wait_alu 0xfffe
	s_or_b32 exec_lo, exec_lo, s18
.LBB301_370:                            ;   in Loop: Header=BB301_11 Depth=1
	s_wait_alu 0xfffe
	s_or_b32 exec_lo, exec_lo, s17
.LBB301_371:                            ;   in Loop: Header=BB301_11 Depth=1
	s_wait_alu 0xfffe
	s_or_b32 exec_lo, exec_lo, s2
	v_lshrrev_b16 v8, 8, v8
	v_dual_mov_b32 v149, 0 :: v_dual_mov_b32 v148, 0
	s_mov_b32 s2, exec_lo
	s_delay_alu instid0(VALU_DEP_2)
	v_cmpx_ne_u16_e32 0, v8
	s_cbranch_execz .LBB301_379
; %bb.372:                              ;   in Loop: Header=BB301_11 Depth=1
	v_bfrev_b32_e32 v148, 1
	s_mov_b32 s17, exec_lo
	v_cmpx_ne_u16_e32 0x80, v8
	s_cbranch_execz .LBB301_378
; %bb.373:                              ;   in Loop: Header=BB301_11 Depth=1
	v_and_b32_e32 v147, 0xffff, v8
	v_mov_b32_e32 v148, 0x7c010000
	s_mov_b32 s18, exec_lo
	s_delay_alu instid0(VALU_DEP_2) | instskip(NEXT) | instid1(VALU_DEP_1)
	v_and_b32_e32 v151, 0x7f, v147
	v_cmpx_ne_u32_e32 0x7f, v151
	s_cbranch_execz .LBB301_377
; %bb.374:                              ;   in Loop: Header=BB301_11 Depth=1
	v_and_b32_e32 v148, 7, v147
	v_lshrrev_b32_e32 v150, 3, v151
	s_mov_b32 s19, exec_lo
	v_cmpx_gt_u32_e32 8, v151
; %bb.375:                              ;   in Loop: Header=BB301_11 Depth=1
	s_delay_alu instid0(VALU_DEP_3) | instskip(NEXT) | instid1(VALU_DEP_1)
	v_clz_i32_u32_e32 v148, v148
	v_min_u32_e32 v148, 32, v148
	s_delay_alu instid0(VALU_DEP_1) | instskip(NEXT) | instid1(VALU_DEP_1)
	v_subrev_nc_u32_e32 v150, 28, v148
	v_lshlrev_b64_e32 v[160:161], v150, v[8:9]
	v_sub_nc_u32_e32 v150, 29, v148
	s_delay_alu instid0(VALU_DEP_2)
	v_and_b32_e32 v148, 7, v160
; %bb.376:                              ;   in Loop: Header=BB301_11 Depth=1
	s_wait_alu 0xfffe
	s_or_b32 exec_lo, exec_lo, s19
	v_lshlrev_b32_e32 v8, 8, v147
	v_lshl_add_u32 v147, v150, 10, 0x2000
	s_delay_alu instid0(VALU_DEP_1) | instskip(SKIP_1) | instid1(VALU_DEP_1)
	v_and_or_b32 v8, 0x8000, v8, v147
	v_lshlrev_b32_e32 v147, 23, v148
	v_lshl_or_b32 v148, v8, 16, v147
.LBB301_377:                            ;   in Loop: Header=BB301_11 Depth=1
	s_wait_alu 0xfffe
	s_or_b32 exec_lo, exec_lo, s18
.LBB301_378:                            ;   in Loop: Header=BB301_11 Depth=1
	s_wait_alu 0xfffe
	s_or_b32 exec_lo, exec_lo, s17
.LBB301_379:                            ;   in Loop: Header=BB301_11 Depth=1
	s_wait_alu 0xfffe
	s_or_b32 exec_lo, exec_lo, s2
	v_lshrrev_b32_e32 v8, 16, v29
	s_mov_b32 s2, exec_lo
	s_delay_alu instid0(VALU_DEP_1) | instskip(NEXT) | instid1(VALU_DEP_1)
	v_and_b32_e32 v147, 0xff, v8
	v_cmpx_ne_u16_e64 0, v147
	s_cbranch_execz .LBB301_387
; %bb.380:                              ;   in Loop: Header=BB301_11 Depth=1
	v_mov_b32_e32 v149, 0x8000
	s_mov_b32 s17, exec_lo
	v_cmpx_ne_u16_e64 0x80, v147
	s_cbranch_execz .LBB301_386
; %bb.381:                              ;   in Loop: Header=BB301_11 Depth=1
	v_bfe_u32 v150, v29, 16, 7
	v_mov_b32_e32 v149, 0x7c01
	s_mov_b32 s18, exec_lo
	s_delay_alu instid0(VALU_DEP_2)
	v_cmpx_ne_u32_e32 0x7f, v150
	s_cbranch_execz .LBB301_385
; %bb.382:                              ;   in Loop: Header=BB301_11 Depth=1
	v_and_b32_e32 v147, 7, v8
	v_lshrrev_b32_e32 v149, 3, v150
	s_mov_b32 s19, exec_lo
	v_cmpx_gt_u32_e32 8, v150
; %bb.383:                              ;   in Loop: Header=BB301_11 Depth=1
	s_delay_alu instid0(VALU_DEP_3) | instskip(NEXT) | instid1(VALU_DEP_1)
	v_clz_i32_u32_e32 v147, v147
	v_min_u32_e32 v147, 32, v147
	s_delay_alu instid0(VALU_DEP_1) | instskip(NEXT) | instid1(VALU_DEP_1)
	v_subrev_nc_u32_e32 v149, 28, v147
	v_lshlrev_b64_e32 v[150:151], v149, v[8:9]
	v_sub_nc_u32_e32 v149, 29, v147
	s_delay_alu instid0(VALU_DEP_2)
	v_and_b32_e32 v147, 7, v150
; %bb.384:                              ;   in Loop: Header=BB301_11 Depth=1
	s_wait_alu 0xfffe
	s_or_b32 exec_lo, exec_lo, s19
	v_lshlrev_b32_e32 v8, 8, v8
	v_lshl_add_u32 v149, v149, 10, 0x2000
	v_lshlrev_b32_e32 v147, 7, v147
	s_delay_alu instid0(VALU_DEP_3) | instskip(NEXT) | instid1(VALU_DEP_3)
	v_and_b32_e32 v8, 0x8000, v8
	v_and_b32_e32 v149, 0xfc00, v149
	s_delay_alu instid0(VALU_DEP_1)
	v_or3_b32 v149, v8, v149, v147
.LBB301_385:                            ;   in Loop: Header=BB301_11 Depth=1
	s_wait_alu 0xfffe
	s_or_b32 exec_lo, exec_lo, s18
.LBB301_386:                            ;   in Loop: Header=BB301_11 Depth=1
	s_wait_alu 0xfffe
	s_or_b32 exec_lo, exec_lo, s17
.LBB301_387:                            ;   in Loop: Header=BB301_11 Depth=1
	s_wait_alu 0xfffe
	s_or_b32 exec_lo, exec_lo, s2
	v_dual_mov_b32 v147, 0 :: v_dual_mov_b32 v160, 0
	s_mov_b32 s2, exec_lo
	v_cmpx_lt_u64_e64 s[8:9], v[28:29]
	s_cbranch_execz .LBB301_395
; %bb.388:                              ;   in Loop: Header=BB301_11 Depth=1
	v_lshrrev_b32_e32 v8, 24, v29
	v_bfrev_b32_e32 v160, 1
	s_mov_b32 s17, exec_lo
	s_delay_alu instid0(VALU_DEP_2)
	v_cmpx_ne_u32_e32 0x80, v8
	s_cbranch_execz .LBB301_394
; %bb.389:                              ;   in Loop: Header=BB301_11 Depth=1
	v_and_b32_e32 v150, 0x7f, v8
	v_mov_b32_e32 v160, 0x7c010000
	s_mov_b32 s18, exec_lo
	s_delay_alu instid0(VALU_DEP_2)
	v_cmpx_ne_u32_e32 0x7f, v150
	s_cbranch_execz .LBB301_393
; %bb.390:                              ;   in Loop: Header=BB301_11 Depth=1
	v_and_b32_e32 v28, 7, v8
	v_lshrrev_b32_e32 v29, 3, v150
	s_mov_b32 s19, exec_lo
	v_cmpx_gt_u32_e32 8, v150
; %bb.391:                              ;   in Loop: Header=BB301_11 Depth=1
	s_delay_alu instid0(VALU_DEP_3) | instskip(NEXT) | instid1(VALU_DEP_1)
	v_clz_i32_u32_e32 v28, v28
	v_min_u32_e32 v150, 32, v28
	s_delay_alu instid0(VALU_DEP_1) | instskip(NEXT) | instid1(VALU_DEP_1)
	v_subrev_nc_u32_e32 v28, 28, v150
	v_lshlrev_b64_e32 v[28:29], v28, v[8:9]
	v_sub_nc_u32_e32 v29, 29, v150
	s_delay_alu instid0(VALU_DEP_2)
	v_and_b32_e32 v28, 7, v28
; %bb.392:                              ;   in Loop: Header=BB301_11 Depth=1
	s_wait_alu 0xfffe
	s_or_b32 exec_lo, exec_lo, s19
	v_lshlrev_b32_e32 v8, 8, v8
	v_lshl_add_u32 v29, v29, 10, 0x2000
	v_lshlrev_b32_e32 v28, 23, v28
	s_delay_alu instid0(VALU_DEP_2) | instskip(NEXT) | instid1(VALU_DEP_1)
	v_and_or_b32 v8, 0x8000, v8, v29
	v_lshl_or_b32 v160, v8, 16, v28
.LBB301_393:                            ;   in Loop: Header=BB301_11 Depth=1
	s_wait_alu 0xfffe
	s_or_b32 exec_lo, exec_lo, s18
.LBB301_394:                            ;   in Loop: Header=BB301_11 Depth=1
	s_wait_alu 0xfffe
	s_or_b32 exec_lo, exec_lo, s17
.LBB301_395:                            ;   in Loop: Header=BB301_11 Depth=1
	s_wait_alu 0xfffe
	s_or_b32 exec_lo, exec_lo, s2
	flat_load_b64 v[28:29], v[20:21] offset:1536
	s_mov_b32 s2, exec_lo
	s_wait_loadcnt_dscnt 0x0
	v_and_b32_e32 v8, 0xff, v28
	s_delay_alu instid0(VALU_DEP_1)
	v_cmpx_ne_u16_e32 0, v8
	s_cbranch_execz .LBB301_403
; %bb.396:                              ;   in Loop: Header=BB301_11 Depth=1
	v_mov_b32_e32 v147, 0x8000
	s_mov_b32 s17, exec_lo
	v_cmpx_ne_u16_e32 0x80, v8
	s_cbranch_execz .LBB301_402
; %bb.397:                              ;   in Loop: Header=BB301_11 Depth=1
	v_and_b32_e32 v150, 0x7f, v28
	v_mov_b32_e32 v147, 0x7c01
	s_mov_b32 s18, exec_lo
	s_delay_alu instid0(VALU_DEP_2)
	v_cmpx_ne_u32_e32 0x7f, v150
	s_cbranch_execz .LBB301_401
; %bb.398:                              ;   in Loop: Header=BB301_11 Depth=1
	v_and_b32_e32 v8, 7, v28
	v_lshrrev_b32_e32 v147, 3, v150
	s_mov_b32 s19, exec_lo
	v_cmpx_gt_u32_e32 8, v150
; %bb.399:                              ;   in Loop: Header=BB301_11 Depth=1
	s_delay_alu instid0(VALU_DEP_3) | instskip(NEXT) | instid1(VALU_DEP_1)
	v_clz_i32_u32_e32 v8, v8
	v_min_u32_e32 v8, 32, v8
	s_delay_alu instid0(VALU_DEP_1) | instskip(NEXT) | instid1(VALU_DEP_1)
	v_subrev_nc_u32_e32 v147, 28, v8
	v_lshlrev_b64_e32 v[150:151], v147, v[28:29]
	v_sub_nc_u32_e32 v147, 29, v8
	s_delay_alu instid0(VALU_DEP_2)
	v_and_b32_e32 v8, 7, v150
; %bb.400:                              ;   in Loop: Header=BB301_11 Depth=1
	s_wait_alu 0xfffe
	s_or_b32 exec_lo, exec_lo, s19
	v_lshlrev_b32_e32 v150, 8, v28
	v_lshl_add_u32 v147, v147, 10, 0x2000
	v_lshlrev_b32_e32 v8, 7, v8
	s_delay_alu instid0(VALU_DEP_3) | instskip(NEXT) | instid1(VALU_DEP_3)
	v_and_b32_e32 v150, 0x8000, v150
	v_and_b32_e32 v147, 0xfc00, v147
	s_delay_alu instid0(VALU_DEP_1)
	v_or3_b32 v147, v150, v147, v8
.LBB301_401:                            ;   in Loop: Header=BB301_11 Depth=1
	s_wait_alu 0xfffe
	s_or_b32 exec_lo, exec_lo, s18
.LBB301_402:                            ;   in Loop: Header=BB301_11 Depth=1
	s_wait_alu 0xfffe
	s_or_b32 exec_lo, exec_lo, s17
.LBB301_403:                            ;   in Loop: Header=BB301_11 Depth=1
	s_wait_alu 0xfffe
	s_or_b32 exec_lo, exec_lo, s2
	v_lshrrev_b16 v8, 8, v28
	v_dual_mov_b32 v151, 0 :: v_dual_mov_b32 v150, 0
	s_mov_b32 s2, exec_lo
	s_delay_alu instid0(VALU_DEP_2)
	v_cmpx_ne_u16_e32 0, v8
	s_cbranch_execz .LBB301_411
; %bb.404:                              ;   in Loop: Header=BB301_11 Depth=1
	v_bfrev_b32_e32 v150, 1
	s_mov_b32 s17, exec_lo
	v_cmpx_ne_u16_e32 0x80, v8
	s_cbranch_execz .LBB301_410
; %bb.405:                              ;   in Loop: Header=BB301_11 Depth=1
	v_and_b32_e32 v161, 0xffff, v8
	v_mov_b32_e32 v150, 0x7c010000
	s_mov_b32 s18, exec_lo
	s_delay_alu instid0(VALU_DEP_2) | instskip(NEXT) | instid1(VALU_DEP_1)
	v_and_b32_e32 v163, 0x7f, v161
	v_cmpx_ne_u32_e32 0x7f, v163
	s_cbranch_execz .LBB301_409
; %bb.406:                              ;   in Loop: Header=BB301_11 Depth=1
	v_and_b32_e32 v150, 7, v161
	v_lshrrev_b32_e32 v162, 3, v163
	s_mov_b32 s19, exec_lo
	v_cmpx_gt_u32_e32 8, v163
; %bb.407:                              ;   in Loop: Header=BB301_11 Depth=1
	s_delay_alu instid0(VALU_DEP_3) | instskip(NEXT) | instid1(VALU_DEP_1)
	v_clz_i32_u32_e32 v150, v150
	v_min_u32_e32 v150, 32, v150
	s_delay_alu instid0(VALU_DEP_1) | instskip(NEXT) | instid1(VALU_DEP_1)
	v_subrev_nc_u32_e32 v162, 28, v150
	v_lshlrev_b64_e32 v[163:164], v162, v[8:9]
	v_sub_nc_u32_e32 v162, 29, v150
	s_delay_alu instid0(VALU_DEP_2)
	v_and_b32_e32 v150, 7, v163
; %bb.408:                              ;   in Loop: Header=BB301_11 Depth=1
	s_wait_alu 0xfffe
	s_or_b32 exec_lo, exec_lo, s19
	v_lshlrev_b32_e32 v8, 8, v161
	v_lshl_add_u32 v161, v162, 10, 0x2000
	v_lshlrev_b32_e32 v150, 23, v150
	s_delay_alu instid0(VALU_DEP_2) | instskip(NEXT) | instid1(VALU_DEP_1)
	v_and_or_b32 v8, 0x8000, v8, v161
	v_lshl_or_b32 v150, v8, 16, v150
.LBB301_409:                            ;   in Loop: Header=BB301_11 Depth=1
	s_wait_alu 0xfffe
	s_or_b32 exec_lo, exec_lo, s18
.LBB301_410:                            ;   in Loop: Header=BB301_11 Depth=1
	s_wait_alu 0xfffe
	s_or_b32 exec_lo, exec_lo, s17
.LBB301_411:                            ;   in Loop: Header=BB301_11 Depth=1
	s_wait_alu 0xfffe
	s_or_b32 exec_lo, exec_lo, s2
	v_lshrrev_b32_e32 v8, 16, v28
	s_mov_b32 s2, exec_lo
	s_delay_alu instid0(VALU_DEP_1) | instskip(NEXT) | instid1(VALU_DEP_1)
	v_and_b32_e32 v161, 0xff, v8
	v_cmpx_ne_u16_e64 0, v161
	s_cbranch_execz .LBB301_419
; %bb.412:                              ;   in Loop: Header=BB301_11 Depth=1
	v_mov_b32_e32 v151, 0x8000
	s_mov_b32 s17, exec_lo
	v_cmpx_ne_u16_e64 0x80, v161
	s_cbranch_execz .LBB301_418
; %bb.413:                              ;   in Loop: Header=BB301_11 Depth=1
	v_bfe_u32 v162, v28, 16, 7
	v_mov_b32_e32 v151, 0x7c01
	s_mov_b32 s18, exec_lo
	s_delay_alu instid0(VALU_DEP_2)
	v_cmpx_ne_u32_e32 0x7f, v162
	s_cbranch_execz .LBB301_417
; %bb.414:                              ;   in Loop: Header=BB301_11 Depth=1
	v_and_b32_e32 v151, 7, v8
	v_lshrrev_b32_e32 v161, 3, v162
	s_mov_b32 s19, exec_lo
	v_cmpx_gt_u32_e32 8, v162
; %bb.415:                              ;   in Loop: Header=BB301_11 Depth=1
	s_delay_alu instid0(VALU_DEP_3) | instskip(NEXT) | instid1(VALU_DEP_1)
	v_clz_i32_u32_e32 v151, v151
	v_min_u32_e32 v151, 32, v151
	s_delay_alu instid0(VALU_DEP_1) | instskip(NEXT) | instid1(VALU_DEP_1)
	v_subrev_nc_u32_e32 v161, 28, v151
	v_lshlrev_b64_e32 v[162:163], v161, v[8:9]
	v_sub_nc_u32_e32 v161, 29, v151
	s_delay_alu instid0(VALU_DEP_2)
	v_and_b32_e32 v151, 7, v162
; %bb.416:                              ;   in Loop: Header=BB301_11 Depth=1
	s_wait_alu 0xfffe
	s_or_b32 exec_lo, exec_lo, s19
	v_lshlrev_b32_e32 v8, 8, v8
	v_lshl_add_u32 v161, v161, 10, 0x2000
	v_lshlrev_b32_e32 v151, 7, v151
	s_delay_alu instid0(VALU_DEP_3) | instskip(NEXT) | instid1(VALU_DEP_3)
	v_and_b32_e32 v8, 0x8000, v8
	v_and_b32_e32 v161, 0xfc00, v161
	s_delay_alu instid0(VALU_DEP_1)
	v_or3_b32 v151, v8, v161, v151
.LBB301_417:                            ;   in Loop: Header=BB301_11 Depth=1
	s_wait_alu 0xfffe
	s_or_b32 exec_lo, exec_lo, s18
.LBB301_418:                            ;   in Loop: Header=BB301_11 Depth=1
	s_wait_alu 0xfffe
	s_or_b32 exec_lo, exec_lo, s17
.LBB301_419:                            ;   in Loop: Header=BB301_11 Depth=1
	s_wait_alu 0xfffe
	s_or_b32 exec_lo, exec_lo, s2
	v_dual_mov_b32 v161, 0 :: v_dual_mov_b32 v162, 0
	s_mov_b32 s2, exec_lo
	v_cmpx_lt_u32_e32 0xffffff, v28
	s_cbranch_execz .LBB301_427
; %bb.420:                              ;   in Loop: Header=BB301_11 Depth=1
	v_lshrrev_b32_e32 v8, 24, v28
	v_bfrev_b32_e32 v162, 1
	s_mov_b32 s17, exec_lo
	s_delay_alu instid0(VALU_DEP_2)
	v_cmpx_ne_u32_e32 0x80, v8
	s_cbranch_execz .LBB301_426
; %bb.421:                              ;   in Loop: Header=BB301_11 Depth=1
	v_and_b32_e32 v164, 0x7f, v8
	v_mov_b32_e32 v162, 0x7c010000
	s_mov_b32 s18, exec_lo
	s_delay_alu instid0(VALU_DEP_2)
	v_cmpx_ne_u32_e32 0x7f, v164
	s_cbranch_execz .LBB301_425
; %bb.422:                              ;   in Loop: Header=BB301_11 Depth=1
	v_and_b32_e32 v162, 7, v8
	v_lshrrev_b32_e32 v163, 3, v164
	s_mov_b32 s19, exec_lo
	v_cmpx_gt_u32_e32 8, v164
; %bb.423:                              ;   in Loop: Header=BB301_11 Depth=1
	s_delay_alu instid0(VALU_DEP_3) | instskip(NEXT) | instid1(VALU_DEP_1)
	v_clz_i32_u32_e32 v162, v162
	v_min_u32_e32 v164, 32, v162
	s_delay_alu instid0(VALU_DEP_1) | instskip(NEXT) | instid1(VALU_DEP_1)
	v_subrev_nc_u32_e32 v162, 28, v164
	v_lshlrev_b64_e32 v[162:163], v162, v[8:9]
	v_sub_nc_u32_e32 v163, 29, v164
	s_delay_alu instid0(VALU_DEP_2)
	v_and_b32_e32 v162, 7, v162
; %bb.424:                              ;   in Loop: Header=BB301_11 Depth=1
	s_wait_alu 0xfffe
	s_or_b32 exec_lo, exec_lo, s19
	v_lshlrev_b32_e32 v8, 8, v8
	v_lshl_add_u32 v163, v163, 10, 0x2000
	v_lshlrev_b32_e32 v162, 23, v162
	s_delay_alu instid0(VALU_DEP_2) | instskip(NEXT) | instid1(VALU_DEP_1)
	v_and_or_b32 v8, 0x8000, v8, v163
	v_lshl_or_b32 v162, v8, 16, v162
.LBB301_425:                            ;   in Loop: Header=BB301_11 Depth=1
	s_wait_alu 0xfffe
	s_or_b32 exec_lo, exec_lo, s18
.LBB301_426:                            ;   in Loop: Header=BB301_11 Depth=1
	s_wait_alu 0xfffe
	s_or_b32 exec_lo, exec_lo, s17
.LBB301_427:                            ;   in Loop: Header=BB301_11 Depth=1
	s_wait_alu 0xfffe
	s_or_b32 exec_lo, exec_lo, s2
	v_dual_mov_b32 v8, v29 :: v_dual_and_b32 v163, 0xff, v29
	s_mov_b32 s2, exec_lo
	s_delay_alu instid0(VALU_DEP_1)
	v_cmpx_ne_u16_e64 0, v163
	s_cbranch_execz .LBB301_435
; %bb.428:                              ;   in Loop: Header=BB301_11 Depth=1
	v_mov_b32_e32 v161, 0x8000
	s_mov_b32 s17, exec_lo
	v_cmpx_ne_u16_e64 0x80, v163
	s_cbranch_execz .LBB301_434
; %bb.429:                              ;   in Loop: Header=BB301_11 Depth=1
	v_and_b32_e32 v164, 0x7f, v29
	v_mov_b32_e32 v161, 0x7c01
	s_mov_b32 s18, exec_lo
	s_delay_alu instid0(VALU_DEP_2)
	v_cmpx_ne_u32_e32 0x7f, v164
	s_cbranch_execz .LBB301_433
; %bb.430:                              ;   in Loop: Header=BB301_11 Depth=1
	v_and_b32_e32 v161, 7, v29
	v_lshrrev_b32_e32 v163, 3, v164
	s_mov_b32 s19, exec_lo
	v_cmpx_gt_u32_e32 8, v164
; %bb.431:                              ;   in Loop: Header=BB301_11 Depth=1
	s_delay_alu instid0(VALU_DEP_3) | instskip(NEXT) | instid1(VALU_DEP_1)
	v_clz_i32_u32_e32 v161, v161
	v_min_u32_e32 v161, 32, v161
	s_delay_alu instid0(VALU_DEP_1) | instskip(NEXT) | instid1(VALU_DEP_1)
	v_subrev_nc_u32_e32 v163, 28, v161
	v_lshlrev_b64_e32 v[164:165], v163, v[8:9]
	v_sub_nc_u32_e32 v163, 29, v161
	s_delay_alu instid0(VALU_DEP_2)
	v_and_b32_e32 v161, 7, v164
; %bb.432:                              ;   in Loop: Header=BB301_11 Depth=1
	s_wait_alu 0xfffe
	s_or_b32 exec_lo, exec_lo, s19
	v_lshlrev_b32_e32 v164, 8, v29
	v_lshl_add_u32 v163, v163, 10, 0x2000
	v_lshlrev_b32_e32 v161, 7, v161
	s_delay_alu instid0(VALU_DEP_3) | instskip(NEXT) | instid1(VALU_DEP_3)
	v_and_b32_e32 v164, 0x8000, v164
	v_and_b32_e32 v163, 0xfc00, v163
	s_delay_alu instid0(VALU_DEP_1)
	v_or3_b32 v161, v164, v163, v161
.LBB301_433:                            ;   in Loop: Header=BB301_11 Depth=1
	s_wait_alu 0xfffe
	s_or_b32 exec_lo, exec_lo, s18
.LBB301_434:                            ;   in Loop: Header=BB301_11 Depth=1
	s_wait_alu 0xfffe
	s_or_b32 exec_lo, exec_lo, s17
.LBB301_435:                            ;   in Loop: Header=BB301_11 Depth=1
	s_wait_alu 0xfffe
	s_or_b32 exec_lo, exec_lo, s2
	v_lshrrev_b16 v8, 8, v8
	v_dual_mov_b32 v165, 0 :: v_dual_mov_b32 v164, 0
	s_mov_b32 s2, exec_lo
	s_delay_alu instid0(VALU_DEP_2)
	v_cmpx_ne_u16_e32 0, v8
	s_cbranch_execz .LBB301_443
; %bb.436:                              ;   in Loop: Header=BB301_11 Depth=1
	v_bfrev_b32_e32 v164, 1
	s_mov_b32 s17, exec_lo
	v_cmpx_ne_u16_e32 0x80, v8
	s_cbranch_execz .LBB301_442
; %bb.437:                              ;   in Loop: Header=BB301_11 Depth=1
	v_and_b32_e32 v163, 0xffff, v8
	v_mov_b32_e32 v164, 0x7c010000
	s_mov_b32 s18, exec_lo
	s_delay_alu instid0(VALU_DEP_2) | instskip(NEXT) | instid1(VALU_DEP_1)
	v_and_b32_e32 v167, 0x7f, v163
	v_cmpx_ne_u32_e32 0x7f, v167
	s_cbranch_execz .LBB301_441
; %bb.438:                              ;   in Loop: Header=BB301_11 Depth=1
	v_and_b32_e32 v164, 7, v163
	v_lshrrev_b32_e32 v166, 3, v167
	s_mov_b32 s19, exec_lo
	v_cmpx_gt_u32_e32 8, v167
; %bb.439:                              ;   in Loop: Header=BB301_11 Depth=1
	s_delay_alu instid0(VALU_DEP_3) | instskip(NEXT) | instid1(VALU_DEP_1)
	v_clz_i32_u32_e32 v164, v164
	v_min_u32_e32 v164, 32, v164
	s_delay_alu instid0(VALU_DEP_1) | instskip(NEXT) | instid1(VALU_DEP_1)
	v_subrev_nc_u32_e32 v166, 28, v164
	v_lshlrev_b64_e32 v[176:177], v166, v[8:9]
	v_sub_nc_u32_e32 v166, 29, v164
	s_delay_alu instid0(VALU_DEP_2)
	v_and_b32_e32 v164, 7, v176
; %bb.440:                              ;   in Loop: Header=BB301_11 Depth=1
	s_wait_alu 0xfffe
	s_or_b32 exec_lo, exec_lo, s19
	v_lshlrev_b32_e32 v8, 8, v163
	v_lshl_add_u32 v163, v166, 10, 0x2000
	s_delay_alu instid0(VALU_DEP_1) | instskip(SKIP_1) | instid1(VALU_DEP_1)
	v_and_or_b32 v8, 0x8000, v8, v163
	v_lshlrev_b32_e32 v163, 23, v164
	v_lshl_or_b32 v164, v8, 16, v163
.LBB301_441:                            ;   in Loop: Header=BB301_11 Depth=1
	s_wait_alu 0xfffe
	s_or_b32 exec_lo, exec_lo, s18
.LBB301_442:                            ;   in Loop: Header=BB301_11 Depth=1
	s_wait_alu 0xfffe
	s_or_b32 exec_lo, exec_lo, s17
.LBB301_443:                            ;   in Loop: Header=BB301_11 Depth=1
	s_wait_alu 0xfffe
	s_or_b32 exec_lo, exec_lo, s2
	v_lshrrev_b32_e32 v8, 16, v29
	s_mov_b32 s2, exec_lo
	s_delay_alu instid0(VALU_DEP_1) | instskip(NEXT) | instid1(VALU_DEP_1)
	v_and_b32_e32 v163, 0xff, v8
	v_cmpx_ne_u16_e64 0, v163
	s_cbranch_execz .LBB301_451
; %bb.444:                              ;   in Loop: Header=BB301_11 Depth=1
	v_mov_b32_e32 v165, 0x8000
	s_mov_b32 s17, exec_lo
	v_cmpx_ne_u16_e64 0x80, v163
	s_cbranch_execz .LBB301_450
; %bb.445:                              ;   in Loop: Header=BB301_11 Depth=1
	v_bfe_u32 v166, v29, 16, 7
	v_mov_b32_e32 v165, 0x7c01
	s_mov_b32 s18, exec_lo
	s_delay_alu instid0(VALU_DEP_2)
	v_cmpx_ne_u32_e32 0x7f, v166
	s_cbranch_execz .LBB301_449
; %bb.446:                              ;   in Loop: Header=BB301_11 Depth=1
	v_and_b32_e32 v163, 7, v8
	v_lshrrev_b32_e32 v165, 3, v166
	s_mov_b32 s19, exec_lo
	v_cmpx_gt_u32_e32 8, v166
; %bb.447:                              ;   in Loop: Header=BB301_11 Depth=1
	s_delay_alu instid0(VALU_DEP_3) | instskip(NEXT) | instid1(VALU_DEP_1)
	v_clz_i32_u32_e32 v163, v163
	v_min_u32_e32 v163, 32, v163
	s_delay_alu instid0(VALU_DEP_1) | instskip(NEXT) | instid1(VALU_DEP_1)
	v_subrev_nc_u32_e32 v165, 28, v163
	v_lshlrev_b64_e32 v[166:167], v165, v[8:9]
	v_sub_nc_u32_e32 v165, 29, v163
	s_delay_alu instid0(VALU_DEP_2)
	v_and_b32_e32 v163, 7, v166
; %bb.448:                              ;   in Loop: Header=BB301_11 Depth=1
	s_wait_alu 0xfffe
	s_or_b32 exec_lo, exec_lo, s19
	v_lshlrev_b32_e32 v8, 8, v8
	v_lshl_add_u32 v165, v165, 10, 0x2000
	v_lshlrev_b32_e32 v163, 7, v163
	s_delay_alu instid0(VALU_DEP_3) | instskip(NEXT) | instid1(VALU_DEP_3)
	v_and_b32_e32 v8, 0x8000, v8
	v_and_b32_e32 v165, 0xfc00, v165
	s_delay_alu instid0(VALU_DEP_1)
	v_or3_b32 v165, v8, v165, v163
.LBB301_449:                            ;   in Loop: Header=BB301_11 Depth=1
	s_wait_alu 0xfffe
	s_or_b32 exec_lo, exec_lo, s18
.LBB301_450:                            ;   in Loop: Header=BB301_11 Depth=1
	s_wait_alu 0xfffe
	s_or_b32 exec_lo, exec_lo, s17
.LBB301_451:                            ;   in Loop: Header=BB301_11 Depth=1
	s_wait_alu 0xfffe
	s_or_b32 exec_lo, exec_lo, s2
	v_dual_mov_b32 v163, 0 :: v_dual_mov_b32 v176, 0
	s_mov_b32 s2, exec_lo
	v_cmpx_lt_u64_e64 s[8:9], v[28:29]
	s_cbranch_execz .LBB301_459
; %bb.452:                              ;   in Loop: Header=BB301_11 Depth=1
	v_lshrrev_b32_e32 v8, 24, v29
	v_bfrev_b32_e32 v176, 1
	s_mov_b32 s17, exec_lo
	s_delay_alu instid0(VALU_DEP_2)
	v_cmpx_ne_u32_e32 0x80, v8
	s_cbranch_execz .LBB301_458
; %bb.453:                              ;   in Loop: Header=BB301_11 Depth=1
	v_and_b32_e32 v166, 0x7f, v8
	v_mov_b32_e32 v176, 0x7c010000
	s_mov_b32 s18, exec_lo
	s_delay_alu instid0(VALU_DEP_2)
	v_cmpx_ne_u32_e32 0x7f, v166
	s_cbranch_execz .LBB301_457
; %bb.454:                              ;   in Loop: Header=BB301_11 Depth=1
	v_and_b32_e32 v28, 7, v8
	v_lshrrev_b32_e32 v29, 3, v166
	s_mov_b32 s19, exec_lo
	v_cmpx_gt_u32_e32 8, v166
; %bb.455:                              ;   in Loop: Header=BB301_11 Depth=1
	s_delay_alu instid0(VALU_DEP_3) | instskip(NEXT) | instid1(VALU_DEP_1)
	v_clz_i32_u32_e32 v28, v28
	v_min_u32_e32 v166, 32, v28
	s_delay_alu instid0(VALU_DEP_1) | instskip(NEXT) | instid1(VALU_DEP_1)
	v_subrev_nc_u32_e32 v28, 28, v166
	v_lshlrev_b64_e32 v[28:29], v28, v[8:9]
	v_sub_nc_u32_e32 v29, 29, v166
	s_delay_alu instid0(VALU_DEP_2)
	v_and_b32_e32 v28, 7, v28
; %bb.456:                              ;   in Loop: Header=BB301_11 Depth=1
	s_wait_alu 0xfffe
	s_or_b32 exec_lo, exec_lo, s19
	v_lshlrev_b32_e32 v8, 8, v8
	v_lshl_add_u32 v29, v29, 10, 0x2000
	v_lshlrev_b32_e32 v28, 23, v28
	s_delay_alu instid0(VALU_DEP_2) | instskip(NEXT) | instid1(VALU_DEP_1)
	v_and_or_b32 v8, 0x8000, v8, v29
	v_lshl_or_b32 v176, v8, 16, v28
.LBB301_457:                            ;   in Loop: Header=BB301_11 Depth=1
	s_wait_alu 0xfffe
	s_or_b32 exec_lo, exec_lo, s18
.LBB301_458:                            ;   in Loop: Header=BB301_11 Depth=1
	s_wait_alu 0xfffe
	s_or_b32 exec_lo, exec_lo, s17
.LBB301_459:                            ;   in Loop: Header=BB301_11 Depth=1
	s_wait_alu 0xfffe
	s_or_b32 exec_lo, exec_lo, s2
	flat_load_b64 v[28:29], v[20:21] offset:1544
	s_mov_b32 s2, exec_lo
	s_wait_loadcnt_dscnt 0x0
	v_and_b32_e32 v8, 0xff, v28
	s_delay_alu instid0(VALU_DEP_1)
	v_cmpx_ne_u16_e32 0, v8
	s_cbranch_execz .LBB301_467
; %bb.460:                              ;   in Loop: Header=BB301_11 Depth=1
	v_mov_b32_e32 v163, 0x8000
	s_mov_b32 s17, exec_lo
	v_cmpx_ne_u16_e32 0x80, v8
	s_cbranch_execz .LBB301_466
; %bb.461:                              ;   in Loop: Header=BB301_11 Depth=1
	v_and_b32_e32 v166, 0x7f, v28
	v_mov_b32_e32 v163, 0x7c01
	s_mov_b32 s18, exec_lo
	s_delay_alu instid0(VALU_DEP_2)
	v_cmpx_ne_u32_e32 0x7f, v166
	s_cbranch_execz .LBB301_465
; %bb.462:                              ;   in Loop: Header=BB301_11 Depth=1
	v_and_b32_e32 v8, 7, v28
	v_lshrrev_b32_e32 v163, 3, v166
	s_mov_b32 s19, exec_lo
	v_cmpx_gt_u32_e32 8, v166
; %bb.463:                              ;   in Loop: Header=BB301_11 Depth=1
	s_delay_alu instid0(VALU_DEP_3) | instskip(NEXT) | instid1(VALU_DEP_1)
	v_clz_i32_u32_e32 v8, v8
	v_min_u32_e32 v8, 32, v8
	s_delay_alu instid0(VALU_DEP_1) | instskip(NEXT) | instid1(VALU_DEP_1)
	v_subrev_nc_u32_e32 v163, 28, v8
	v_lshlrev_b64_e32 v[166:167], v163, v[28:29]
	v_sub_nc_u32_e32 v163, 29, v8
	s_delay_alu instid0(VALU_DEP_2)
	v_and_b32_e32 v8, 7, v166
; %bb.464:                              ;   in Loop: Header=BB301_11 Depth=1
	s_wait_alu 0xfffe
	s_or_b32 exec_lo, exec_lo, s19
	v_lshlrev_b32_e32 v166, 8, v28
	v_lshl_add_u32 v163, v163, 10, 0x2000
	v_lshlrev_b32_e32 v8, 7, v8
	s_delay_alu instid0(VALU_DEP_3) | instskip(NEXT) | instid1(VALU_DEP_3)
	v_and_b32_e32 v166, 0x8000, v166
	v_and_b32_e32 v163, 0xfc00, v163
	s_delay_alu instid0(VALU_DEP_1)
	v_or3_b32 v163, v166, v163, v8
.LBB301_465:                            ;   in Loop: Header=BB301_11 Depth=1
	s_wait_alu 0xfffe
	s_or_b32 exec_lo, exec_lo, s18
.LBB301_466:                            ;   in Loop: Header=BB301_11 Depth=1
	s_wait_alu 0xfffe
	s_or_b32 exec_lo, exec_lo, s17
.LBB301_467:                            ;   in Loop: Header=BB301_11 Depth=1
	s_wait_alu 0xfffe
	s_or_b32 exec_lo, exec_lo, s2
	v_lshrrev_b16 v8, 8, v28
	v_dual_mov_b32 v167, 0 :: v_dual_mov_b32 v166, 0
	s_mov_b32 s2, exec_lo
	s_delay_alu instid0(VALU_DEP_2)
	v_cmpx_ne_u16_e32 0, v8
	s_cbranch_execz .LBB301_475
; %bb.468:                              ;   in Loop: Header=BB301_11 Depth=1
	v_bfrev_b32_e32 v166, 1
	s_mov_b32 s17, exec_lo
	v_cmpx_ne_u16_e32 0x80, v8
	s_cbranch_execz .LBB301_474
; %bb.469:                              ;   in Loop: Header=BB301_11 Depth=1
	v_and_b32_e32 v177, 0xffff, v8
	v_mov_b32_e32 v166, 0x7c010000
	s_mov_b32 s18, exec_lo
	s_delay_alu instid0(VALU_DEP_2) | instskip(NEXT) | instid1(VALU_DEP_1)
	v_and_b32_e32 v179, 0x7f, v177
	v_cmpx_ne_u32_e32 0x7f, v179
	s_cbranch_execz .LBB301_473
; %bb.470:                              ;   in Loop: Header=BB301_11 Depth=1
	v_and_b32_e32 v166, 7, v177
	v_lshrrev_b32_e32 v178, 3, v179
	s_mov_b32 s19, exec_lo
	v_cmpx_gt_u32_e32 8, v179
; %bb.471:                              ;   in Loop: Header=BB301_11 Depth=1
	s_delay_alu instid0(VALU_DEP_3) | instskip(NEXT) | instid1(VALU_DEP_1)
	v_clz_i32_u32_e32 v166, v166
	v_min_u32_e32 v166, 32, v166
	s_delay_alu instid0(VALU_DEP_1) | instskip(NEXT) | instid1(VALU_DEP_1)
	v_subrev_nc_u32_e32 v178, 28, v166
	v_lshlrev_b64_e32 v[179:180], v178, v[8:9]
	v_sub_nc_u32_e32 v178, 29, v166
	s_delay_alu instid0(VALU_DEP_2)
	v_and_b32_e32 v166, 7, v179
; %bb.472:                              ;   in Loop: Header=BB301_11 Depth=1
	s_wait_alu 0xfffe
	s_or_b32 exec_lo, exec_lo, s19
	v_lshlrev_b32_e32 v8, 8, v177
	v_lshl_add_u32 v177, v178, 10, 0x2000
	v_lshlrev_b32_e32 v166, 23, v166
	s_delay_alu instid0(VALU_DEP_2) | instskip(NEXT) | instid1(VALU_DEP_1)
	v_and_or_b32 v8, 0x8000, v8, v177
	v_lshl_or_b32 v166, v8, 16, v166
.LBB301_473:                            ;   in Loop: Header=BB301_11 Depth=1
	s_wait_alu 0xfffe
	s_or_b32 exec_lo, exec_lo, s18
.LBB301_474:                            ;   in Loop: Header=BB301_11 Depth=1
	s_wait_alu 0xfffe
	s_or_b32 exec_lo, exec_lo, s17
.LBB301_475:                            ;   in Loop: Header=BB301_11 Depth=1
	s_wait_alu 0xfffe
	s_or_b32 exec_lo, exec_lo, s2
	v_lshrrev_b32_e32 v8, 16, v28
	s_mov_b32 s2, exec_lo
	s_delay_alu instid0(VALU_DEP_1) | instskip(NEXT) | instid1(VALU_DEP_1)
	v_and_b32_e32 v177, 0xff, v8
	v_cmpx_ne_u16_e64 0, v177
	s_cbranch_execz .LBB301_483
; %bb.476:                              ;   in Loop: Header=BB301_11 Depth=1
	v_mov_b32_e32 v167, 0x8000
	s_mov_b32 s17, exec_lo
	v_cmpx_ne_u16_e64 0x80, v177
	s_cbranch_execz .LBB301_482
; %bb.477:                              ;   in Loop: Header=BB301_11 Depth=1
	v_bfe_u32 v178, v28, 16, 7
	v_mov_b32_e32 v167, 0x7c01
	s_mov_b32 s18, exec_lo
	s_delay_alu instid0(VALU_DEP_2)
	v_cmpx_ne_u32_e32 0x7f, v178
	s_cbranch_execz .LBB301_481
; %bb.478:                              ;   in Loop: Header=BB301_11 Depth=1
	v_and_b32_e32 v167, 7, v8
	v_lshrrev_b32_e32 v177, 3, v178
	s_mov_b32 s19, exec_lo
	v_cmpx_gt_u32_e32 8, v178
; %bb.479:                              ;   in Loop: Header=BB301_11 Depth=1
	s_delay_alu instid0(VALU_DEP_3) | instskip(NEXT) | instid1(VALU_DEP_1)
	v_clz_i32_u32_e32 v167, v167
	v_min_u32_e32 v167, 32, v167
	s_delay_alu instid0(VALU_DEP_1) | instskip(NEXT) | instid1(VALU_DEP_1)
	v_subrev_nc_u32_e32 v177, 28, v167
	v_lshlrev_b64_e32 v[178:179], v177, v[8:9]
	v_sub_nc_u32_e32 v177, 29, v167
	s_delay_alu instid0(VALU_DEP_2)
	v_and_b32_e32 v167, 7, v178
; %bb.480:                              ;   in Loop: Header=BB301_11 Depth=1
	s_wait_alu 0xfffe
	s_or_b32 exec_lo, exec_lo, s19
	v_lshlrev_b32_e32 v8, 8, v8
	v_lshl_add_u32 v177, v177, 10, 0x2000
	v_lshlrev_b32_e32 v167, 7, v167
	s_delay_alu instid0(VALU_DEP_3) | instskip(NEXT) | instid1(VALU_DEP_3)
	v_and_b32_e32 v8, 0x8000, v8
	v_and_b32_e32 v177, 0xfc00, v177
	s_delay_alu instid0(VALU_DEP_1)
	v_or3_b32 v167, v8, v177, v167
.LBB301_481:                            ;   in Loop: Header=BB301_11 Depth=1
	s_wait_alu 0xfffe
	s_or_b32 exec_lo, exec_lo, s18
.LBB301_482:                            ;   in Loop: Header=BB301_11 Depth=1
	s_wait_alu 0xfffe
	s_or_b32 exec_lo, exec_lo, s17
.LBB301_483:                            ;   in Loop: Header=BB301_11 Depth=1
	s_wait_alu 0xfffe
	s_or_b32 exec_lo, exec_lo, s2
	v_dual_mov_b32 v177, 0 :: v_dual_mov_b32 v178, 0
	s_mov_b32 s2, exec_lo
	v_cmpx_lt_u32_e32 0xffffff, v28
	s_cbranch_execz .LBB301_491
; %bb.484:                              ;   in Loop: Header=BB301_11 Depth=1
	v_lshrrev_b32_e32 v8, 24, v28
	v_bfrev_b32_e32 v178, 1
	s_mov_b32 s17, exec_lo
	s_delay_alu instid0(VALU_DEP_2)
	v_cmpx_ne_u32_e32 0x80, v8
	s_cbranch_execz .LBB301_490
; %bb.485:                              ;   in Loop: Header=BB301_11 Depth=1
	v_and_b32_e32 v180, 0x7f, v8
	v_mov_b32_e32 v178, 0x7c010000
	s_mov_b32 s18, exec_lo
	s_delay_alu instid0(VALU_DEP_2)
	v_cmpx_ne_u32_e32 0x7f, v180
	s_cbranch_execz .LBB301_489
; %bb.486:                              ;   in Loop: Header=BB301_11 Depth=1
	v_and_b32_e32 v178, 7, v8
	v_lshrrev_b32_e32 v179, 3, v180
	s_mov_b32 s19, exec_lo
	v_cmpx_gt_u32_e32 8, v180
; %bb.487:                              ;   in Loop: Header=BB301_11 Depth=1
	s_delay_alu instid0(VALU_DEP_3) | instskip(NEXT) | instid1(VALU_DEP_1)
	v_clz_i32_u32_e32 v178, v178
	v_min_u32_e32 v180, 32, v178
	s_delay_alu instid0(VALU_DEP_1) | instskip(NEXT) | instid1(VALU_DEP_1)
	v_subrev_nc_u32_e32 v178, 28, v180
	v_lshlrev_b64_e32 v[178:179], v178, v[8:9]
	v_sub_nc_u32_e32 v179, 29, v180
	s_delay_alu instid0(VALU_DEP_2)
	v_and_b32_e32 v178, 7, v178
; %bb.488:                              ;   in Loop: Header=BB301_11 Depth=1
	s_wait_alu 0xfffe
	s_or_b32 exec_lo, exec_lo, s19
	v_lshlrev_b32_e32 v8, 8, v8
	v_lshl_add_u32 v179, v179, 10, 0x2000
	v_lshlrev_b32_e32 v178, 23, v178
	s_delay_alu instid0(VALU_DEP_2) | instskip(NEXT) | instid1(VALU_DEP_1)
	v_and_or_b32 v8, 0x8000, v8, v179
	v_lshl_or_b32 v178, v8, 16, v178
.LBB301_489:                            ;   in Loop: Header=BB301_11 Depth=1
	s_wait_alu 0xfffe
	s_or_b32 exec_lo, exec_lo, s18
.LBB301_490:                            ;   in Loop: Header=BB301_11 Depth=1
	s_wait_alu 0xfffe
	s_or_b32 exec_lo, exec_lo, s17
.LBB301_491:                            ;   in Loop: Header=BB301_11 Depth=1
	s_wait_alu 0xfffe
	s_or_b32 exec_lo, exec_lo, s2
	v_dual_mov_b32 v8, v29 :: v_dual_and_b32 v179, 0xff, v29
	s_mov_b32 s2, exec_lo
	s_delay_alu instid0(VALU_DEP_1)
	v_cmpx_ne_u16_e64 0, v179
	s_cbranch_execz .LBB301_499
; %bb.492:                              ;   in Loop: Header=BB301_11 Depth=1
	v_mov_b32_e32 v177, 0x8000
	s_mov_b32 s17, exec_lo
	v_cmpx_ne_u16_e64 0x80, v179
	s_cbranch_execz .LBB301_498
; %bb.493:                              ;   in Loop: Header=BB301_11 Depth=1
	v_and_b32_e32 v180, 0x7f, v29
	v_mov_b32_e32 v177, 0x7c01
	s_mov_b32 s18, exec_lo
	s_delay_alu instid0(VALU_DEP_2)
	v_cmpx_ne_u32_e32 0x7f, v180
	s_cbranch_execz .LBB301_497
; %bb.494:                              ;   in Loop: Header=BB301_11 Depth=1
	v_and_b32_e32 v177, 7, v29
	v_lshrrev_b32_e32 v179, 3, v180
	s_mov_b32 s19, exec_lo
	v_cmpx_gt_u32_e32 8, v180
; %bb.495:                              ;   in Loop: Header=BB301_11 Depth=1
	s_delay_alu instid0(VALU_DEP_3) | instskip(NEXT) | instid1(VALU_DEP_1)
	v_clz_i32_u32_e32 v177, v177
	v_min_u32_e32 v177, 32, v177
	s_delay_alu instid0(VALU_DEP_1) | instskip(NEXT) | instid1(VALU_DEP_1)
	v_subrev_nc_u32_e32 v179, 28, v177
	v_lshlrev_b64_e32 v[180:181], v179, v[8:9]
	v_sub_nc_u32_e32 v179, 29, v177
	s_delay_alu instid0(VALU_DEP_2)
	v_and_b32_e32 v177, 7, v180
; %bb.496:                              ;   in Loop: Header=BB301_11 Depth=1
	s_wait_alu 0xfffe
	s_or_b32 exec_lo, exec_lo, s19
	v_lshlrev_b32_e32 v180, 8, v29
	v_lshl_add_u32 v179, v179, 10, 0x2000
	v_lshlrev_b32_e32 v177, 7, v177
	s_delay_alu instid0(VALU_DEP_3) | instskip(NEXT) | instid1(VALU_DEP_3)
	v_and_b32_e32 v180, 0x8000, v180
	v_and_b32_e32 v179, 0xfc00, v179
	s_delay_alu instid0(VALU_DEP_1)
	v_or3_b32 v177, v180, v179, v177
.LBB301_497:                            ;   in Loop: Header=BB301_11 Depth=1
	s_wait_alu 0xfffe
	s_or_b32 exec_lo, exec_lo, s18
.LBB301_498:                            ;   in Loop: Header=BB301_11 Depth=1
	s_wait_alu 0xfffe
	s_or_b32 exec_lo, exec_lo, s17
.LBB301_499:                            ;   in Loop: Header=BB301_11 Depth=1
	s_wait_alu 0xfffe
	s_or_b32 exec_lo, exec_lo, s2
	v_lshrrev_b16 v8, 8, v8
	v_dual_mov_b32 v180, 0 :: v_dual_mov_b32 v179, 0
	s_mov_b32 s2, exec_lo
	s_delay_alu instid0(VALU_DEP_2)
	v_cmpx_ne_u16_e32 0, v8
	s_cbranch_execz .LBB301_507
; %bb.500:                              ;   in Loop: Header=BB301_11 Depth=1
	v_bfrev_b32_e32 v179, 1
	s_mov_b32 s17, exec_lo
	v_cmpx_ne_u16_e32 0x80, v8
	s_cbranch_execz .LBB301_506
; %bb.501:                              ;   in Loop: Header=BB301_11 Depth=1
	v_and_b32_e32 v181, 0xffff, v8
	v_mov_b32_e32 v179, 0x7c010000
	s_mov_b32 s18, exec_lo
	s_delay_alu instid0(VALU_DEP_2) | instskip(NEXT) | instid1(VALU_DEP_1)
	v_and_b32_e32 v183, 0x7f, v181
	v_cmpx_ne_u32_e32 0x7f, v183
	s_cbranch_execz .LBB301_505
; %bb.502:                              ;   in Loop: Header=BB301_11 Depth=1
	v_and_b32_e32 v179, 7, v181
	v_lshrrev_b32_e32 v182, 3, v183
	s_mov_b32 s19, exec_lo
	v_cmpx_gt_u32_e32 8, v183
; %bb.503:                              ;   in Loop: Header=BB301_11 Depth=1
	s_delay_alu instid0(VALU_DEP_3) | instskip(NEXT) | instid1(VALU_DEP_1)
	v_clz_i32_u32_e32 v179, v179
	v_min_u32_e32 v179, 32, v179
	s_delay_alu instid0(VALU_DEP_1) | instskip(NEXT) | instid1(VALU_DEP_1)
	v_subrev_nc_u32_e32 v182, 28, v179
	v_lshlrev_b64_e32 v[40:41], v182, v[8:9]
	v_sub_nc_u32_e32 v182, 29, v179
	s_delay_alu instid0(VALU_DEP_2)
	v_and_b32_e32 v179, 7, v40
; %bb.504:                              ;   in Loop: Header=BB301_11 Depth=1
	s_wait_alu 0xfffe
	s_or_b32 exec_lo, exec_lo, s19
	v_lshlrev_b32_e32 v8, 8, v181
	v_lshl_add_u32 v181, v182, 10, 0x2000
	v_lshlrev_b32_e32 v179, 23, v179
	s_delay_alu instid0(VALU_DEP_2) | instskip(NEXT) | instid1(VALU_DEP_1)
	v_and_or_b32 v8, 0x8000, v8, v181
	v_lshl_or_b32 v179, v8, 16, v179
.LBB301_505:                            ;   in Loop: Header=BB301_11 Depth=1
	s_wait_alu 0xfffe
	s_or_b32 exec_lo, exec_lo, s18
.LBB301_506:                            ;   in Loop: Header=BB301_11 Depth=1
	s_wait_alu 0xfffe
	s_or_b32 exec_lo, exec_lo, s17
.LBB301_507:                            ;   in Loop: Header=BB301_11 Depth=1
	s_wait_alu 0xfffe
	s_or_b32 exec_lo, exec_lo, s2
	v_lshrrev_b32_e32 v8, 16, v29
	s_mov_b32 s2, exec_lo
	s_delay_alu instid0(VALU_DEP_1) | instskip(NEXT) | instid1(VALU_DEP_1)
	v_and_b32_e32 v181, 0xff, v8
	v_cmpx_ne_u16_e64 0, v181
	s_cbranch_execz .LBB301_515
; %bb.508:                              ;   in Loop: Header=BB301_11 Depth=1
	v_mov_b32_e32 v180, 0x8000
	s_mov_b32 s17, exec_lo
	v_cmpx_ne_u16_e64 0x80, v181
	s_cbranch_execz .LBB301_514
; %bb.509:                              ;   in Loop: Header=BB301_11 Depth=1
	v_bfe_u32 v182, v29, 16, 7
	v_mov_b32_e32 v180, 0x7c01
	s_mov_b32 s18, exec_lo
	s_delay_alu instid0(VALU_DEP_2)
	v_cmpx_ne_u32_e32 0x7f, v182
	s_cbranch_execz .LBB301_513
; %bb.510:                              ;   in Loop: Header=BB301_11 Depth=1
	v_and_b32_e32 v180, 7, v8
	v_lshrrev_b32_e32 v181, 3, v182
	s_mov_b32 s19, exec_lo
	v_cmpx_gt_u32_e32 8, v182
; %bb.511:                              ;   in Loop: Header=BB301_11 Depth=1
	s_delay_alu instid0(VALU_DEP_3) | instskip(NEXT) | instid1(VALU_DEP_1)
	v_clz_i32_u32_e32 v180, v180
	v_min_u32_e32 v182, 32, v180
	s_delay_alu instid0(VALU_DEP_1) | instskip(NEXT) | instid1(VALU_DEP_1)
	v_subrev_nc_u32_e32 v180, 28, v182
	v_lshlrev_b64_e32 v[180:181], v180, v[8:9]
	v_sub_nc_u32_e32 v181, 29, v182
	s_delay_alu instid0(VALU_DEP_2)
	v_and_b32_e32 v180, 7, v180
; %bb.512:                              ;   in Loop: Header=BB301_11 Depth=1
	s_wait_alu 0xfffe
	s_or_b32 exec_lo, exec_lo, s19
	v_lshlrev_b32_e32 v8, 8, v8
	v_lshl_add_u32 v181, v181, 10, 0x2000
	v_lshlrev_b32_e32 v180, 7, v180
	s_delay_alu instid0(VALU_DEP_3) | instskip(NEXT) | instid1(VALU_DEP_3)
	v_and_b32_e32 v8, 0x8000, v8
	v_and_b32_e32 v181, 0xfc00, v181
	s_delay_alu instid0(VALU_DEP_1)
	v_or3_b32 v180, v8, v181, v180
.LBB301_513:                            ;   in Loop: Header=BB301_11 Depth=1
	s_wait_alu 0xfffe
	s_or_b32 exec_lo, exec_lo, s18
.LBB301_514:                            ;   in Loop: Header=BB301_11 Depth=1
	s_wait_alu 0xfffe
	s_or_b32 exec_lo, exec_lo, s17
.LBB301_515:                            ;   in Loop: Header=BB301_11 Depth=1
	s_wait_alu 0xfffe
	s_or_b32 exec_lo, exec_lo, s2
	v_dual_mov_b32 v182, 0 :: v_dual_mov_b32 v181, 0
	s_mov_b32 s2, exec_lo
	v_cmpx_lt_u64_e64 s[8:9], v[28:29]
	s_cbranch_execz .LBB301_523
; %bb.516:                              ;   in Loop: Header=BB301_11 Depth=1
	v_lshrrev_b32_e32 v8, 24, v29
	v_bfrev_b32_e32 v181, 1
	s_mov_b32 s17, exec_lo
	s_delay_alu instid0(VALU_DEP_2)
	v_cmpx_ne_u32_e32 0x80, v8
	s_cbranch_execz .LBB301_522
; %bb.517:                              ;   in Loop: Header=BB301_11 Depth=1
	v_and_b32_e32 v183, 0x7f, v8
	v_mov_b32_e32 v181, 0x7c010000
	s_mov_b32 s18, exec_lo
	s_delay_alu instid0(VALU_DEP_2)
	v_cmpx_ne_u32_e32 0x7f, v183
	s_cbranch_execz .LBB301_521
; %bb.518:                              ;   in Loop: Header=BB301_11 Depth=1
	v_and_b32_e32 v28, 7, v8
	v_lshrrev_b32_e32 v29, 3, v183
	s_mov_b32 s19, exec_lo
	v_cmpx_gt_u32_e32 8, v183
; %bb.519:                              ;   in Loop: Header=BB301_11 Depth=1
	s_delay_alu instid0(VALU_DEP_3) | instskip(NEXT) | instid1(VALU_DEP_1)
	v_clz_i32_u32_e32 v28, v28
	v_min_u32_e32 v181, 32, v28
	s_delay_alu instid0(VALU_DEP_1) | instskip(NEXT) | instid1(VALU_DEP_1)
	v_subrev_nc_u32_e32 v28, 28, v181
	v_lshlrev_b64_e32 v[28:29], v28, v[8:9]
	v_sub_nc_u32_e32 v29, 29, v181
	s_delay_alu instid0(VALU_DEP_2)
	v_and_b32_e32 v28, 7, v28
; %bb.520:                              ;   in Loop: Header=BB301_11 Depth=1
	s_wait_alu 0xfffe
	s_or_b32 exec_lo, exec_lo, s19
	v_lshlrev_b32_e32 v8, 8, v8
	v_lshl_add_u32 v29, v29, 10, 0x2000
	v_lshlrev_b32_e32 v28, 23, v28
	s_delay_alu instid0(VALU_DEP_2) | instskip(NEXT) | instid1(VALU_DEP_1)
	v_and_or_b32 v8, 0x8000, v8, v29
	v_lshl_or_b32 v181, v8, 16, v28
.LBB301_521:                            ;   in Loop: Header=BB301_11 Depth=1
	s_wait_alu 0xfffe
	s_or_b32 exec_lo, exec_lo, s18
.LBB301_522:                            ;   in Loop: Header=BB301_11 Depth=1
	s_wait_alu 0xfffe
	s_or_b32 exec_lo, exec_lo, s17
.LBB301_523:                            ;   in Loop: Header=BB301_11 Depth=1
	s_wait_alu 0xfffe
	s_or_b32 exec_lo, exec_lo, s2
	flat_load_b64 v[28:29], v[20:21] offset:2048
	s_mov_b32 s2, exec_lo
	s_wait_loadcnt_dscnt 0x0
	v_and_b32_e32 v8, 0xff, v28
	s_delay_alu instid0(VALU_DEP_1)
	v_cmpx_ne_u16_e32 0, v8
	s_cbranch_execz .LBB301_531
; %bb.524:                              ;   in Loop: Header=BB301_11 Depth=1
	v_mov_b32_e32 v182, 0x8000
	s_mov_b32 s17, exec_lo
	v_cmpx_ne_u16_e32 0x80, v8
	s_cbranch_execz .LBB301_530
; %bb.525:                              ;   in Loop: Header=BB301_11 Depth=1
	v_and_b32_e32 v183, 0x7f, v28
	v_mov_b32_e32 v182, 0x7c01
	s_mov_b32 s18, exec_lo
	s_delay_alu instid0(VALU_DEP_2)
	v_cmpx_ne_u32_e32 0x7f, v183
	s_cbranch_execz .LBB301_529
; %bb.526:                              ;   in Loop: Header=BB301_11 Depth=1
	v_and_b32_e32 v8, 7, v28
	v_lshrrev_b32_e32 v182, 3, v183
	s_mov_b32 s19, exec_lo
	v_cmpx_gt_u32_e32 8, v183
; %bb.527:                              ;   in Loop: Header=BB301_11 Depth=1
	s_delay_alu instid0(VALU_DEP_3) | instskip(NEXT) | instid1(VALU_DEP_1)
	v_clz_i32_u32_e32 v8, v8
	v_min_u32_e32 v8, 32, v8
	s_delay_alu instid0(VALU_DEP_1) | instskip(NEXT) | instid1(VALU_DEP_1)
	v_subrev_nc_u32_e32 v182, 28, v8
	v_lshlrev_b64_e32 v[40:41], v182, v[28:29]
	v_sub_nc_u32_e32 v182, 29, v8
	s_delay_alu instid0(VALU_DEP_2)
	v_and_b32_e32 v8, 7, v40
; %bb.528:                              ;   in Loop: Header=BB301_11 Depth=1
	s_wait_alu 0xfffe
	s_or_b32 exec_lo, exec_lo, s19
	v_lshlrev_b32_e32 v183, 8, v28
	v_lshl_add_u32 v182, v182, 10, 0x2000
	v_lshlrev_b32_e32 v8, 7, v8
	s_delay_alu instid0(VALU_DEP_3) | instskip(NEXT) | instid1(VALU_DEP_3)
	v_and_b32_e32 v183, 0x8000, v183
	v_and_b32_e32 v182, 0xfc00, v182
	s_delay_alu instid0(VALU_DEP_1)
	v_or3_b32 v182, v183, v182, v8
.LBB301_529:                            ;   in Loop: Header=BB301_11 Depth=1
	s_wait_alu 0xfffe
	s_or_b32 exec_lo, exec_lo, s18
.LBB301_530:                            ;   in Loop: Header=BB301_11 Depth=1
	s_wait_alu 0xfffe
	s_or_b32 exec_lo, exec_lo, s17
.LBB301_531:                            ;   in Loop: Header=BB301_11 Depth=1
	s_wait_alu 0xfffe
	s_or_b32 exec_lo, exec_lo, s2
	v_lshrrev_b16 v8, 8, v28
	v_dual_mov_b32 v44, 0 :: v_dual_mov_b32 v183, 0
	s_mov_b32 s2, exec_lo
	s_delay_alu instid0(VALU_DEP_2)
	v_cmpx_ne_u16_e32 0, v8
	s_cbranch_execz .LBB301_539
; %bb.532:                              ;   in Loop: Header=BB301_11 Depth=1
	v_bfrev_b32_e32 v183, 1
	s_mov_b32 s17, exec_lo
	v_cmpx_ne_u16_e32 0x80, v8
	s_cbranch_execz .LBB301_538
; %bb.533:                              ;   in Loop: Header=BB301_11 Depth=1
	v_and_b32_e32 v40, 0xffff, v8
	v_mov_b32_e32 v183, 0x7c010000
	s_mov_b32 s18, exec_lo
	s_delay_alu instid0(VALU_DEP_2) | instskip(NEXT) | instid1(VALU_DEP_1)
	v_and_b32_e32 v42, 0x7f, v40
	v_cmpx_ne_u32_e32 0x7f, v42
	s_cbranch_execz .LBB301_537
; %bb.534:                              ;   in Loop: Header=BB301_11 Depth=1
	v_and_b32_e32 v183, 7, v40
	v_lshrrev_b32_e32 v41, 3, v42
	s_mov_b32 s19, exec_lo
	v_cmpx_gt_u32_e32 8, v42
; %bb.535:                              ;   in Loop: Header=BB301_11 Depth=1
	s_delay_alu instid0(VALU_DEP_3) | instskip(NEXT) | instid1(VALU_DEP_1)
	v_clz_i32_u32_e32 v183, v183
	v_min_u32_e32 v183, 32, v183
	s_delay_alu instid0(VALU_DEP_1) | instskip(NEXT) | instid1(VALU_DEP_1)
	v_subrev_nc_u32_e32 v41, 28, v183
	v_lshlrev_b64_e32 v[42:43], v41, v[8:9]
	v_sub_nc_u32_e32 v41, 29, v183
	s_delay_alu instid0(VALU_DEP_2)
	v_and_b32_e32 v183, 7, v42
; %bb.536:                              ;   in Loop: Header=BB301_11 Depth=1
	s_wait_alu 0xfffe
	s_or_b32 exec_lo, exec_lo, s19
	v_lshlrev_b32_e32 v8, 8, v40
	v_lshl_add_u32 v40, v41, 10, 0x2000
	v_lshlrev_b32_e32 v183, 23, v183
	s_delay_alu instid0(VALU_DEP_2) | instskip(NEXT) | instid1(VALU_DEP_1)
	v_and_or_b32 v8, 0x8000, v8, v40
	v_lshl_or_b32 v183, v8, 16, v183
.LBB301_537:                            ;   in Loop: Header=BB301_11 Depth=1
	s_wait_alu 0xfffe
	s_or_b32 exec_lo, exec_lo, s18
.LBB301_538:                            ;   in Loop: Header=BB301_11 Depth=1
	s_wait_alu 0xfffe
	s_or_b32 exec_lo, exec_lo, s17
.LBB301_539:                            ;   in Loop: Header=BB301_11 Depth=1
	s_wait_alu 0xfffe
	s_or_b32 exec_lo, exec_lo, s2
	v_lshrrev_b32_e32 v8, 16, v28
	s_mov_b32 s2, exec_lo
	s_delay_alu instid0(VALU_DEP_1) | instskip(NEXT) | instid1(VALU_DEP_1)
	v_and_b32_e32 v40, 0xff, v8
	v_cmpx_ne_u16_e32 0, v40
	s_cbranch_execz .LBB301_547
; %bb.540:                              ;   in Loop: Header=BB301_11 Depth=1
	v_mov_b32_e32 v44, 0x8000
	s_mov_b32 s17, exec_lo
	v_cmpx_ne_u16_e32 0x80, v40
	s_cbranch_execz .LBB301_546
; %bb.541:                              ;   in Loop: Header=BB301_11 Depth=1
	v_bfe_u32 v42, v28, 16, 7
	v_mov_b32_e32 v44, 0x7c01
	s_mov_b32 s18, exec_lo
	s_delay_alu instid0(VALU_DEP_2)
	v_cmpx_ne_u32_e32 0x7f, v42
	s_cbranch_execz .LBB301_545
; %bb.542:                              ;   in Loop: Header=BB301_11 Depth=1
	v_and_b32_e32 v40, 7, v8
	v_lshrrev_b32_e32 v41, 3, v42
	s_mov_b32 s19, exec_lo
	v_cmpx_gt_u32_e32 8, v42
; %bb.543:                              ;   in Loop: Header=BB301_11 Depth=1
	s_delay_alu instid0(VALU_DEP_3) | instskip(NEXT) | instid1(VALU_DEP_1)
	v_clz_i32_u32_e32 v40, v40
	v_min_u32_e32 v42, 32, v40
	s_delay_alu instid0(VALU_DEP_1) | instskip(NEXT) | instid1(VALU_DEP_1)
	v_subrev_nc_u32_e32 v40, 28, v42
	v_lshlrev_b64_e32 v[40:41], v40, v[8:9]
	v_sub_nc_u32_e32 v41, 29, v42
	s_delay_alu instid0(VALU_DEP_2)
	v_and_b32_e32 v40, 7, v40
; %bb.544:                              ;   in Loop: Header=BB301_11 Depth=1
	s_wait_alu 0xfffe
	s_or_b32 exec_lo, exec_lo, s19
	v_lshlrev_b32_e32 v8, 8, v8
	v_lshl_add_u32 v41, v41, 10, 0x2000
	v_lshlrev_b32_e32 v40, 7, v40
	s_delay_alu instid0(VALU_DEP_3) | instskip(NEXT) | instid1(VALU_DEP_3)
	v_and_b32_e32 v8, 0x8000, v8
	v_and_b32_e32 v41, 0xfc00, v41
	s_delay_alu instid0(VALU_DEP_1)
	v_or3_b32 v44, v8, v41, v40
.LBB301_545:                            ;   in Loop: Header=BB301_11 Depth=1
	s_wait_alu 0xfffe
	s_or_b32 exec_lo, exec_lo, s18
.LBB301_546:                            ;   in Loop: Header=BB301_11 Depth=1
	s_wait_alu 0xfffe
	s_or_b32 exec_lo, exec_lo, s17
.LBB301_547:                            ;   in Loop: Header=BB301_11 Depth=1
	s_wait_alu 0xfffe
	s_or_b32 exec_lo, exec_lo, s2
	v_dual_mov_b32 v41, 0 :: v_dual_mov_b32 v42, 0
	s_mov_b32 s2, exec_lo
	v_cmpx_lt_u32_e32 0xffffff, v28
	s_cbranch_execz .LBB301_555
; %bb.548:                              ;   in Loop: Header=BB301_11 Depth=1
	v_lshrrev_b32_e32 v8, 24, v28
	v_bfrev_b32_e32 v42, 1
	s_mov_b32 s17, exec_lo
	s_delay_alu instid0(VALU_DEP_2)
	v_cmpx_ne_u32_e32 0x80, v8
	s_cbranch_execz .LBB301_554
; %bb.549:                              ;   in Loop: Header=BB301_11 Depth=1
	v_and_b32_e32 v43, 0x7f, v8
	v_mov_b32_e32 v42, 0x7c010000
	s_mov_b32 s18, exec_lo
	s_delay_alu instid0(VALU_DEP_2)
	v_cmpx_ne_u32_e32 0x7f, v43
	s_cbranch_execz .LBB301_553
; %bb.550:                              ;   in Loop: Header=BB301_11 Depth=1
	v_and_b32_e32 v40, 7, v8
	v_lshrrev_b32_e32 v42, 3, v43
	s_mov_b32 s19, exec_lo
	v_cmpx_gt_u32_e32 8, v43
; %bb.551:                              ;   in Loop: Header=BB301_11 Depth=1
	s_delay_alu instid0(VALU_DEP_3) | instskip(NEXT) | instid1(VALU_DEP_1)
	v_clz_i32_u32_e32 v40, v40
	v_min_u32_e32 v40, 32, v40
	s_delay_alu instid0(VALU_DEP_1) | instskip(NEXT) | instid1(VALU_DEP_1)
	v_subrev_nc_u32_e32 v42, 28, v40
	v_lshlrev_b64_e32 v[45:46], v42, v[8:9]
	v_sub_nc_u32_e32 v42, 29, v40
	s_delay_alu instid0(VALU_DEP_2)
	v_and_b32_e32 v40, 7, v45
; %bb.552:                              ;   in Loop: Header=BB301_11 Depth=1
	s_wait_alu 0xfffe
	s_or_b32 exec_lo, exec_lo, s19
	v_lshlrev_b32_e32 v8, 8, v8
	v_lshl_add_u32 v42, v42, 10, 0x2000
	v_lshlrev_b32_e32 v40, 23, v40
	s_delay_alu instid0(VALU_DEP_2) | instskip(NEXT) | instid1(VALU_DEP_1)
	v_and_or_b32 v8, 0x8000, v8, v42
	v_lshl_or_b32 v42, v8, 16, v40
.LBB301_553:                            ;   in Loop: Header=BB301_11 Depth=1
	s_wait_alu 0xfffe
	s_or_b32 exec_lo, exec_lo, s18
.LBB301_554:                            ;   in Loop: Header=BB301_11 Depth=1
	s_wait_alu 0xfffe
	s_or_b32 exec_lo, exec_lo, s17
.LBB301_555:                            ;   in Loop: Header=BB301_11 Depth=1
	s_wait_alu 0xfffe
	s_or_b32 exec_lo, exec_lo, s2
	v_and_b32_e32 v40, 0xff, v29
	v_mov_b32_e32 v8, v29
	s_mov_b32 s2, exec_lo
	s_delay_alu instid0(VALU_DEP_2)
	v_cmpx_ne_u16_e32 0, v40
	s_cbranch_execz .LBB301_563
; %bb.556:                              ;   in Loop: Header=BB301_11 Depth=1
	v_mov_b32_e32 v41, 0x8000
	s_mov_b32 s17, exec_lo
	v_cmpx_ne_u16_e32 0x80, v40
	s_cbranch_execz .LBB301_562
; %bb.557:                              ;   in Loop: Header=BB301_11 Depth=1
	v_and_b32_e32 v43, 0x7f, v29
	v_mov_b32_e32 v41, 0x7c01
	s_mov_b32 s18, exec_lo
	s_delay_alu instid0(VALU_DEP_2)
	v_cmpx_ne_u32_e32 0x7f, v43
	s_cbranch_execz .LBB301_561
; %bb.558:                              ;   in Loop: Header=BB301_11 Depth=1
	v_and_b32_e32 v40, 7, v29
	v_lshrrev_b32_e32 v41, 3, v43
	s_mov_b32 s19, exec_lo
	v_cmpx_gt_u32_e32 8, v43
; %bb.559:                              ;   in Loop: Header=BB301_11 Depth=1
	s_delay_alu instid0(VALU_DEP_3) | instskip(NEXT) | instid1(VALU_DEP_1)
	v_clz_i32_u32_e32 v40, v40
	v_min_u32_e32 v43, 32, v40
	s_delay_alu instid0(VALU_DEP_1) | instskip(NEXT) | instid1(VALU_DEP_1)
	v_subrev_nc_u32_e32 v40, 28, v43
	v_lshlrev_b64_e32 v[40:41], v40, v[8:9]
	v_sub_nc_u32_e32 v41, 29, v43
	s_delay_alu instid0(VALU_DEP_2)
	v_and_b32_e32 v40, 7, v40
; %bb.560:                              ;   in Loop: Header=BB301_11 Depth=1
	s_wait_alu 0xfffe
	s_or_b32 exec_lo, exec_lo, s19
	v_lshlrev_b32_e32 v43, 8, v29
	v_lshl_add_u32 v41, v41, 10, 0x2000
	v_lshlrev_b32_e32 v40, 7, v40
	s_delay_alu instid0(VALU_DEP_3) | instskip(NEXT) | instid1(VALU_DEP_3)
	v_and_b32_e32 v43, 0x8000, v43
	v_and_b32_e32 v41, 0xfc00, v41
	s_delay_alu instid0(VALU_DEP_1)
	v_or3_b32 v41, v43, v41, v40
.LBB301_561:                            ;   in Loop: Header=BB301_11 Depth=1
	s_wait_alu 0xfffe
	s_or_b32 exec_lo, exec_lo, s18
.LBB301_562:                            ;   in Loop: Header=BB301_11 Depth=1
	s_wait_alu 0xfffe
	s_or_b32 exec_lo, exec_lo, s17
.LBB301_563:                            ;   in Loop: Header=BB301_11 Depth=1
	s_wait_alu 0xfffe
	s_or_b32 exec_lo, exec_lo, s2
	v_lshrrev_b16 v8, 8, v8
	v_dual_mov_b32 v45, 0 :: v_dual_mov_b32 v40, 0
	s_mov_b32 s2, exec_lo
	s_delay_alu instid0(VALU_DEP_2)
	v_cmpx_ne_u16_e32 0, v8
	s_cbranch_execz .LBB301_571
; %bb.564:                              ;   in Loop: Header=BB301_11 Depth=1
	v_bfrev_b32_e32 v40, 1
	s_mov_b32 s17, exec_lo
	v_cmpx_ne_u16_e32 0x80, v8
	s_cbranch_execz .LBB301_570
; %bb.565:                              ;   in Loop: Header=BB301_11 Depth=1
	v_and_b32_e32 v43, 0xffff, v8
	v_mov_b32_e32 v40, 0x7c010000
	s_mov_b32 s18, exec_lo
	s_delay_alu instid0(VALU_DEP_2) | instskip(NEXT) | instid1(VALU_DEP_1)
	v_and_b32_e32 v47, 0x7f, v43
	v_cmpx_ne_u32_e32 0x7f, v47
	s_cbranch_execz .LBB301_569
; %bb.566:                              ;   in Loop: Header=BB301_11 Depth=1
	v_and_b32_e32 v40, 7, v43
	v_lshrrev_b32_e32 v46, 3, v47
	s_mov_b32 s19, exec_lo
	v_cmpx_gt_u32_e32 8, v47
; %bb.567:                              ;   in Loop: Header=BB301_11 Depth=1
	s_delay_alu instid0(VALU_DEP_3) | instskip(NEXT) | instid1(VALU_DEP_1)
	v_clz_i32_u32_e32 v40, v40
	v_min_u32_e32 v40, 32, v40
	s_delay_alu instid0(VALU_DEP_1) | instskip(NEXT) | instid1(VALU_DEP_1)
	v_subrev_nc_u32_e32 v46, 28, v40
	v_lshlrev_b64_e32 v[56:57], v46, v[8:9]
	v_sub_nc_u32_e32 v46, 29, v40
	s_delay_alu instid0(VALU_DEP_2)
	v_and_b32_e32 v40, 7, v56
; %bb.568:                              ;   in Loop: Header=BB301_11 Depth=1
	s_wait_alu 0xfffe
	s_or_b32 exec_lo, exec_lo, s19
	v_lshlrev_b32_e32 v8, 8, v43
	v_lshl_add_u32 v43, v46, 10, 0x2000
	v_lshlrev_b32_e32 v40, 23, v40
	s_delay_alu instid0(VALU_DEP_2) | instskip(NEXT) | instid1(VALU_DEP_1)
	v_and_or_b32 v8, 0x8000, v8, v43
	v_lshl_or_b32 v40, v8, 16, v40
.LBB301_569:                            ;   in Loop: Header=BB301_11 Depth=1
	s_wait_alu 0xfffe
	s_or_b32 exec_lo, exec_lo, s18
.LBB301_570:                            ;   in Loop: Header=BB301_11 Depth=1
	s_wait_alu 0xfffe
	s_or_b32 exec_lo, exec_lo, s17
.LBB301_571:                            ;   in Loop: Header=BB301_11 Depth=1
	s_wait_alu 0xfffe
	s_or_b32 exec_lo, exec_lo, s2
	v_lshrrev_b32_e32 v8, 16, v29
	s_mov_b32 s2, exec_lo
	s_delay_alu instid0(VALU_DEP_1) | instskip(NEXT) | instid1(VALU_DEP_1)
	v_and_b32_e32 v43, 0xff, v8
	v_cmpx_ne_u16_e32 0, v43
	s_cbranch_execz .LBB301_579
; %bb.572:                              ;   in Loop: Header=BB301_11 Depth=1
	v_mov_b32_e32 v45, 0x8000
	s_mov_b32 s17, exec_lo
	v_cmpx_ne_u16_e32 0x80, v43
	s_cbranch_execz .LBB301_578
; %bb.573:                              ;   in Loop: Header=BB301_11 Depth=1
	v_bfe_u32 v46, v29, 16, 7
	v_mov_b32_e32 v45, 0x7c01
	s_mov_b32 s18, exec_lo
	s_delay_alu instid0(VALU_DEP_2)
	v_cmpx_ne_u32_e32 0x7f, v46
	s_cbranch_execz .LBB301_577
; %bb.574:                              ;   in Loop: Header=BB301_11 Depth=1
	v_and_b32_e32 v43, 7, v8
	v_lshrrev_b32_e32 v45, 3, v46
	s_mov_b32 s19, exec_lo
	v_cmpx_gt_u32_e32 8, v46
; %bb.575:                              ;   in Loop: Header=BB301_11 Depth=1
	s_delay_alu instid0(VALU_DEP_3) | instskip(NEXT) | instid1(VALU_DEP_1)
	v_clz_i32_u32_e32 v43, v43
	v_min_u32_e32 v43, 32, v43
	s_delay_alu instid0(VALU_DEP_1) | instskip(NEXT) | instid1(VALU_DEP_1)
	v_subrev_nc_u32_e32 v45, 28, v43
	v_lshlrev_b64_e32 v[46:47], v45, v[8:9]
	v_sub_nc_u32_e32 v45, 29, v43
	s_delay_alu instid0(VALU_DEP_2)
	v_and_b32_e32 v43, 7, v46
; %bb.576:                              ;   in Loop: Header=BB301_11 Depth=1
	s_wait_alu 0xfffe
	s_or_b32 exec_lo, exec_lo, s19
	v_lshlrev_b32_e32 v8, 8, v8
	v_lshl_add_u32 v45, v45, 10, 0x2000
	v_lshlrev_b32_e32 v43, 7, v43
	s_delay_alu instid0(VALU_DEP_3) | instskip(NEXT) | instid1(VALU_DEP_3)
	v_and_b32_e32 v8, 0x8000, v8
	v_and_b32_e32 v45, 0xfc00, v45
	s_delay_alu instid0(VALU_DEP_1)
	v_or3_b32 v45, v8, v45, v43
.LBB301_577:                            ;   in Loop: Header=BB301_11 Depth=1
	s_wait_alu 0xfffe
	s_or_b32 exec_lo, exec_lo, s18
.LBB301_578:                            ;   in Loop: Header=BB301_11 Depth=1
	s_wait_alu 0xfffe
	s_or_b32 exec_lo, exec_lo, s17
.LBB301_579:                            ;   in Loop: Header=BB301_11 Depth=1
	s_wait_alu 0xfffe
	s_or_b32 exec_lo, exec_lo, s2
	v_dual_mov_b32 v46, 0 :: v_dual_mov_b32 v43, 0
	s_mov_b32 s2, exec_lo
	v_cmpx_lt_u64_e64 s[8:9], v[28:29]
	s_cbranch_execz .LBB301_587
; %bb.580:                              ;   in Loop: Header=BB301_11 Depth=1
	v_lshrrev_b32_e32 v8, 24, v29
	v_bfrev_b32_e32 v43, 1
	s_mov_b32 s17, exec_lo
	s_delay_alu instid0(VALU_DEP_2)
	v_cmpx_ne_u32_e32 0x80, v8
	s_cbranch_execz .LBB301_586
; %bb.581:                              ;   in Loop: Header=BB301_11 Depth=1
	v_and_b32_e32 v47, 0x7f, v8
	v_mov_b32_e32 v43, 0x7c010000
	s_mov_b32 s18, exec_lo
	s_delay_alu instid0(VALU_DEP_2)
	v_cmpx_ne_u32_e32 0x7f, v47
	s_cbranch_execz .LBB301_585
; %bb.582:                              ;   in Loop: Header=BB301_11 Depth=1
	v_and_b32_e32 v28, 7, v8
	v_lshrrev_b32_e32 v29, 3, v47
	s_mov_b32 s19, exec_lo
	v_cmpx_gt_u32_e32 8, v47
; %bb.583:                              ;   in Loop: Header=BB301_11 Depth=1
	s_delay_alu instid0(VALU_DEP_3) | instskip(NEXT) | instid1(VALU_DEP_1)
	v_clz_i32_u32_e32 v28, v28
	v_min_u32_e32 v43, 32, v28
	s_delay_alu instid0(VALU_DEP_1) | instskip(NEXT) | instid1(VALU_DEP_1)
	v_subrev_nc_u32_e32 v28, 28, v43
	v_lshlrev_b64_e32 v[28:29], v28, v[8:9]
	v_sub_nc_u32_e32 v29, 29, v43
	s_delay_alu instid0(VALU_DEP_2)
	v_and_b32_e32 v28, 7, v28
; %bb.584:                              ;   in Loop: Header=BB301_11 Depth=1
	s_wait_alu 0xfffe
	s_or_b32 exec_lo, exec_lo, s19
	v_lshlrev_b32_e32 v8, 8, v8
	v_lshl_add_u32 v29, v29, 10, 0x2000
	v_lshlrev_b32_e32 v28, 23, v28
	s_delay_alu instid0(VALU_DEP_2) | instskip(NEXT) | instid1(VALU_DEP_1)
	v_and_or_b32 v8, 0x8000, v8, v29
	v_lshl_or_b32 v43, v8, 16, v28
.LBB301_585:                            ;   in Loop: Header=BB301_11 Depth=1
	s_wait_alu 0xfffe
	s_or_b32 exec_lo, exec_lo, s18
.LBB301_586:                            ;   in Loop: Header=BB301_11 Depth=1
	s_wait_alu 0xfffe
	s_or_b32 exec_lo, exec_lo, s17
.LBB301_587:                            ;   in Loop: Header=BB301_11 Depth=1
	s_wait_alu 0xfffe
	s_or_b32 exec_lo, exec_lo, s2
	flat_load_b64 v[28:29], v[20:21] offset:2056
	s_mov_b32 s2, exec_lo
	s_wait_loadcnt_dscnt 0x0
	v_and_b32_e32 v8, 0xff, v28
	s_delay_alu instid0(VALU_DEP_1)
	v_cmpx_ne_u16_e32 0, v8
	s_cbranch_execz .LBB301_595
; %bb.588:                              ;   in Loop: Header=BB301_11 Depth=1
	v_mov_b32_e32 v46, 0x8000
	s_mov_b32 s17, exec_lo
	v_cmpx_ne_u16_e32 0x80, v8
	s_cbranch_execz .LBB301_594
; %bb.589:                              ;   in Loop: Header=BB301_11 Depth=1
	v_and_b32_e32 v47, 0x7f, v28
	v_mov_b32_e32 v46, 0x7c01
	s_mov_b32 s18, exec_lo
	s_delay_alu instid0(VALU_DEP_2)
	v_cmpx_ne_u32_e32 0x7f, v47
	s_cbranch_execz .LBB301_593
; %bb.590:                              ;   in Loop: Header=BB301_11 Depth=1
	v_and_b32_e32 v8, 7, v28
	v_lshrrev_b32_e32 v46, 3, v47
	s_mov_b32 s19, exec_lo
	v_cmpx_gt_u32_e32 8, v47
; %bb.591:                              ;   in Loop: Header=BB301_11 Depth=1
	s_delay_alu instid0(VALU_DEP_3) | instskip(NEXT) | instid1(VALU_DEP_1)
	v_clz_i32_u32_e32 v8, v8
	v_min_u32_e32 v8, 32, v8
	s_delay_alu instid0(VALU_DEP_1) | instskip(NEXT) | instid1(VALU_DEP_1)
	v_subrev_nc_u32_e32 v46, 28, v8
	v_lshlrev_b64_e32 v[56:57], v46, v[28:29]
	v_sub_nc_u32_e32 v46, 29, v8
	s_delay_alu instid0(VALU_DEP_2)
	v_and_b32_e32 v8, 7, v56
; %bb.592:                              ;   in Loop: Header=BB301_11 Depth=1
	s_wait_alu 0xfffe
	s_or_b32 exec_lo, exec_lo, s19
	v_lshlrev_b32_e32 v47, 8, v28
	v_lshl_add_u32 v46, v46, 10, 0x2000
	v_lshlrev_b32_e32 v8, 7, v8
	s_delay_alu instid0(VALU_DEP_3) | instskip(NEXT) | instid1(VALU_DEP_3)
	v_and_b32_e32 v47, 0x8000, v47
	v_and_b32_e32 v46, 0xfc00, v46
	s_delay_alu instid0(VALU_DEP_1)
	v_or3_b32 v46, v47, v46, v8
.LBB301_593:                            ;   in Loop: Header=BB301_11 Depth=1
	s_wait_alu 0xfffe
	s_or_b32 exec_lo, exec_lo, s18
.LBB301_594:                            ;   in Loop: Header=BB301_11 Depth=1
	s_wait_alu 0xfffe
	s_or_b32 exec_lo, exec_lo, s17
.LBB301_595:                            ;   in Loop: Header=BB301_11 Depth=1
	s_wait_alu 0xfffe
	s_or_b32 exec_lo, exec_lo, s2
	v_lshrrev_b16 v8, 8, v28
	v_mov_b32_e32 v59, 0
	v_mov_b32_e32 v47, 0
	s_mov_b32 s2, exec_lo
	s_delay_alu instid0(VALU_DEP_3)
	v_cmpx_ne_u16_e32 0, v8
	s_cbranch_execz .LBB301_603
; %bb.596:                              ;   in Loop: Header=BB301_11 Depth=1
	v_bfrev_b32_e32 v47, 1
	s_mov_b32 s17, exec_lo
	v_cmpx_ne_u16_e32 0x80, v8
	s_cbranch_execz .LBB301_602
; %bb.597:                              ;   in Loop: Header=BB301_11 Depth=1
	v_and_b32_e32 v56, 0xffff, v8
	v_mov_b32_e32 v47, 0x7c010000
	s_mov_b32 s18, exec_lo
	s_delay_alu instid0(VALU_DEP_2) | instskip(NEXT) | instid1(VALU_DEP_1)
	v_and_b32_e32 v58, 0x7f, v56
	v_cmpx_ne_u32_e32 0x7f, v58
	s_cbranch_execz .LBB301_601
; %bb.598:                              ;   in Loop: Header=BB301_11 Depth=1
	v_and_b32_e32 v47, 7, v56
	v_lshrrev_b32_e32 v57, 3, v58
	s_mov_b32 s19, exec_lo
	v_cmpx_gt_u32_e32 8, v58
; %bb.599:                              ;   in Loop: Header=BB301_11 Depth=1
	s_delay_alu instid0(VALU_DEP_3) | instskip(NEXT) | instid1(VALU_DEP_1)
	v_clz_i32_u32_e32 v47, v47
	v_min_u32_e32 v47, 32, v47
	s_delay_alu instid0(VALU_DEP_1) | instskip(NEXT) | instid1(VALU_DEP_1)
	v_subrev_nc_u32_e32 v57, 28, v47
	v_lshlrev_b64_e32 v[60:61], v57, v[8:9]
	v_sub_nc_u32_e32 v57, 29, v47
	s_delay_alu instid0(VALU_DEP_2)
	v_and_b32_e32 v47, 7, v60
; %bb.600:                              ;   in Loop: Header=BB301_11 Depth=1
	s_wait_alu 0xfffe
	s_or_b32 exec_lo, exec_lo, s19
	v_lshlrev_b32_e32 v8, 8, v56
	v_lshl_add_u32 v56, v57, 10, 0x2000
	v_lshlrev_b32_e32 v47, 23, v47
	s_delay_alu instid0(VALU_DEP_2) | instskip(NEXT) | instid1(VALU_DEP_1)
	v_and_or_b32 v8, 0x8000, v8, v56
	v_lshl_or_b32 v47, v8, 16, v47
.LBB301_601:                            ;   in Loop: Header=BB301_11 Depth=1
	s_wait_alu 0xfffe
	s_or_b32 exec_lo, exec_lo, s18
.LBB301_602:                            ;   in Loop: Header=BB301_11 Depth=1
	s_wait_alu 0xfffe
	s_or_b32 exec_lo, exec_lo, s17
.LBB301_603:                            ;   in Loop: Header=BB301_11 Depth=1
	s_wait_alu 0xfffe
	s_or_b32 exec_lo, exec_lo, s2
	v_lshrrev_b32_e32 v8, 16, v28
	s_mov_b32 s2, exec_lo
	s_delay_alu instid0(VALU_DEP_1) | instskip(NEXT) | instid1(VALU_DEP_1)
	v_and_b32_e32 v56, 0xff, v8
	v_cmpx_ne_u16_e32 0, v56
	s_cbranch_execz .LBB301_611
; %bb.604:                              ;   in Loop: Header=BB301_11 Depth=1
	v_mov_b32_e32 v59, 0x8000
	s_mov_b32 s17, exec_lo
	v_cmpx_ne_u16_e32 0x80, v56
	s_cbranch_execz .LBB301_610
; %bb.605:                              ;   in Loop: Header=BB301_11 Depth=1
	v_bfe_u32 v58, v28, 16, 7
	v_mov_b32_e32 v59, 0x7c01
	s_mov_b32 s18, exec_lo
	s_delay_alu instid0(VALU_DEP_2)
	v_cmpx_ne_u32_e32 0x7f, v58
	s_cbranch_execz .LBB301_609
; %bb.606:                              ;   in Loop: Header=BB301_11 Depth=1
	v_and_b32_e32 v56, 7, v8
	v_lshrrev_b32_e32 v57, 3, v58
	s_mov_b32 s19, exec_lo
	v_cmpx_gt_u32_e32 8, v58
; %bb.607:                              ;   in Loop: Header=BB301_11 Depth=1
	s_delay_alu instid0(VALU_DEP_3) | instskip(NEXT) | instid1(VALU_DEP_1)
	v_clz_i32_u32_e32 v56, v56
	v_min_u32_e32 v58, 32, v56
	s_delay_alu instid0(VALU_DEP_1) | instskip(NEXT) | instid1(VALU_DEP_1)
	v_subrev_nc_u32_e32 v56, 28, v58
	v_lshlrev_b64_e32 v[56:57], v56, v[8:9]
	v_sub_nc_u32_e32 v57, 29, v58
	s_delay_alu instid0(VALU_DEP_2)
	v_and_b32_e32 v56, 7, v56
; %bb.608:                              ;   in Loop: Header=BB301_11 Depth=1
	s_wait_alu 0xfffe
	s_or_b32 exec_lo, exec_lo, s19
	v_lshlrev_b32_e32 v8, 8, v8
	v_lshl_add_u32 v57, v57, 10, 0x2000
	v_lshlrev_b32_e32 v56, 7, v56
	s_delay_alu instid0(VALU_DEP_3) | instskip(NEXT) | instid1(VALU_DEP_3)
	v_and_b32_e32 v8, 0x8000, v8
	v_and_b32_e32 v57, 0xfc00, v57
	s_delay_alu instid0(VALU_DEP_1)
	v_or3_b32 v59, v8, v57, v56
.LBB301_609:                            ;   in Loop: Header=BB301_11 Depth=1
	s_wait_alu 0xfffe
	s_or_b32 exec_lo, exec_lo, s18
.LBB301_610:                            ;   in Loop: Header=BB301_11 Depth=1
	s_wait_alu 0xfffe
	s_or_b32 exec_lo, exec_lo, s17
.LBB301_611:                            ;   in Loop: Header=BB301_11 Depth=1
	s_wait_alu 0xfffe
	s_or_b32 exec_lo, exec_lo, s2
	v_mov_b32_e32 v57, 0
	v_mov_b32_e32 v61, 0
	s_mov_b32 s2, exec_lo
	v_cmpx_lt_u32_e32 0xffffff, v28
	s_cbranch_execz .LBB301_619
; %bb.612:                              ;   in Loop: Header=BB301_11 Depth=1
	v_lshrrev_b32_e32 v8, 24, v28
	v_bfrev_b32_e32 v61, 1
	s_mov_b32 s17, exec_lo
	s_delay_alu instid0(VALU_DEP_2)
	v_cmpx_ne_u32_e32 0x80, v8
	s_cbranch_execz .LBB301_618
; %bb.613:                              ;   in Loop: Header=BB301_11 Depth=1
	v_and_b32_e32 v60, 0x7f, v8
	v_mov_b32_e32 v61, 0x7c010000
	s_mov_b32 s18, exec_lo
	s_delay_alu instid0(VALU_DEP_2)
	v_cmpx_ne_u32_e32 0x7f, v60
	s_cbranch_execz .LBB301_617
; %bb.614:                              ;   in Loop: Header=BB301_11 Depth=1
	v_and_b32_e32 v56, 7, v8
	v_lshrrev_b32_e32 v58, 3, v60
	s_mov_b32 s19, exec_lo
	v_cmpx_gt_u32_e32 8, v60
; %bb.615:                              ;   in Loop: Header=BB301_11 Depth=1
	s_delay_alu instid0(VALU_DEP_3) | instskip(NEXT) | instid1(VALU_DEP_1)
	v_clz_i32_u32_e32 v56, v56
	v_min_u32_e32 v56, 32, v56
	s_delay_alu instid0(VALU_DEP_1) | instskip(NEXT) | instid1(VALU_DEP_1)
	v_subrev_nc_u32_e32 v58, 28, v56
	v_lshlrev_b64_e32 v[60:61], v58, v[8:9]
	v_sub_nc_u32_e32 v58, 29, v56
	s_delay_alu instid0(VALU_DEP_2)
	v_and_b32_e32 v56, 7, v60
; %bb.616:                              ;   in Loop: Header=BB301_11 Depth=1
	s_wait_alu 0xfffe
	s_or_b32 exec_lo, exec_lo, s19
	v_lshlrev_b32_e32 v8, 8, v8
	v_lshl_add_u32 v58, v58, 10, 0x2000
	v_lshlrev_b32_e32 v56, 23, v56
	s_delay_alu instid0(VALU_DEP_2) | instskip(NEXT) | instid1(VALU_DEP_1)
	v_and_or_b32 v8, 0x8000, v8, v58
	v_lshl_or_b32 v61, v8, 16, v56
.LBB301_617:                            ;   in Loop: Header=BB301_11 Depth=1
	s_wait_alu 0xfffe
	s_or_b32 exec_lo, exec_lo, s18
.LBB301_618:                            ;   in Loop: Header=BB301_11 Depth=1
	s_wait_alu 0xfffe
	s_or_b32 exec_lo, exec_lo, s17
.LBB301_619:                            ;   in Loop: Header=BB301_11 Depth=1
	s_wait_alu 0xfffe
	s_or_b32 exec_lo, exec_lo, s2
	v_and_b32_e32 v56, 0xff, v29
	v_mov_b32_e32 v8, v29
	s_mov_b32 s2, exec_lo
	s_delay_alu instid0(VALU_DEP_2)
	v_cmpx_ne_u16_e32 0, v56
	s_cbranch_execz .LBB301_627
; %bb.620:                              ;   in Loop: Header=BB301_11 Depth=1
	v_mov_b32_e32 v57, 0x8000
	s_mov_b32 s17, exec_lo
	v_cmpx_ne_u16_e32 0x80, v56
	s_cbranch_execz .LBB301_626
; %bb.621:                              ;   in Loop: Header=BB301_11 Depth=1
	v_and_b32_e32 v58, 0x7f, v29
	v_mov_b32_e32 v57, 0x7c01
	s_mov_b32 s18, exec_lo
	s_delay_alu instid0(VALU_DEP_2)
	v_cmpx_ne_u32_e32 0x7f, v58
	s_cbranch_execz .LBB301_625
; %bb.622:                              ;   in Loop: Header=BB301_11 Depth=1
	v_and_b32_e32 v56, 7, v29
	v_lshrrev_b32_e32 v57, 3, v58
	s_mov_b32 s19, exec_lo
	v_cmpx_gt_u32_e32 8, v58
; %bb.623:                              ;   in Loop: Header=BB301_11 Depth=1
	s_delay_alu instid0(VALU_DEP_3) | instskip(NEXT) | instid1(VALU_DEP_1)
	v_clz_i32_u32_e32 v56, v56
	v_min_u32_e32 v58, 32, v56
	s_delay_alu instid0(VALU_DEP_1) | instskip(NEXT) | instid1(VALU_DEP_1)
	v_subrev_nc_u32_e32 v56, 28, v58
	v_lshlrev_b64_e32 v[56:57], v56, v[8:9]
	v_sub_nc_u32_e32 v57, 29, v58
	s_delay_alu instid0(VALU_DEP_2)
	v_and_b32_e32 v56, 7, v56
; %bb.624:                              ;   in Loop: Header=BB301_11 Depth=1
	s_wait_alu 0xfffe
	s_or_b32 exec_lo, exec_lo, s19
	v_lshlrev_b32_e32 v58, 8, v29
	v_lshl_add_u32 v57, v57, 10, 0x2000
	v_lshlrev_b32_e32 v56, 7, v56
	s_delay_alu instid0(VALU_DEP_3) | instskip(NEXT) | instid1(VALU_DEP_3)
	v_and_b32_e32 v58, 0x8000, v58
	v_and_b32_e32 v57, 0xfc00, v57
	s_delay_alu instid0(VALU_DEP_1)
	v_or3_b32 v57, v58, v57, v56
.LBB301_625:                            ;   in Loop: Header=BB301_11 Depth=1
	s_wait_alu 0xfffe
	s_or_b32 exec_lo, exec_lo, s18
.LBB301_626:                            ;   in Loop: Header=BB301_11 Depth=1
	s_wait_alu 0xfffe
	s_or_b32 exec_lo, exec_lo, s17
.LBB301_627:                            ;   in Loop: Header=BB301_11 Depth=1
	s_wait_alu 0xfffe
	s_or_b32 exec_lo, exec_lo, s2
	v_lshrrev_b16 v8, 8, v8
	v_mov_b32_e32 v60, 0
	v_mov_b32_e32 v56, 0
	s_mov_b32 s2, exec_lo
	s_delay_alu instid0(VALU_DEP_3)
	v_cmpx_ne_u16_e32 0, v8
	s_cbranch_execz .LBB301_635
; %bb.628:                              ;   in Loop: Header=BB301_11 Depth=1
	v_bfrev_b32_e32 v56, 1
	s_mov_b32 s17, exec_lo
	v_cmpx_ne_u16_e32 0x80, v8
	s_cbranch_execz .LBB301_634
; %bb.629:                              ;   in Loop: Header=BB301_11 Depth=1
	v_and_b32_e32 v58, 0xffff, v8
	v_mov_b32_e32 v56, 0x7c010000
	s_mov_b32 s18, exec_lo
	s_delay_alu instid0(VALU_DEP_2) | instskip(NEXT) | instid1(VALU_DEP_1)
	v_and_b32_e32 v63, 0x7f, v58
	v_cmpx_ne_u32_e32 0x7f, v63
	s_cbranch_execz .LBB301_633
; %bb.630:                              ;   in Loop: Header=BB301_11 Depth=1
	v_and_b32_e32 v56, 7, v58
	v_lshrrev_b32_e32 v62, 3, v63
	s_mov_b32 s19, exec_lo
	v_cmpx_gt_u32_e32 8, v63
; %bb.631:                              ;   in Loop: Header=BB301_11 Depth=1
	s_delay_alu instid0(VALU_DEP_3) | instskip(NEXT) | instid1(VALU_DEP_1)
	v_clz_i32_u32_e32 v56, v56
	v_min_u32_e32 v56, 32, v56
	s_delay_alu instid0(VALU_DEP_1) | instskip(NEXT) | instid1(VALU_DEP_1)
	v_subrev_nc_u32_e32 v62, 28, v56
	v_lshlrev_b64_e32 v[72:73], v62, v[8:9]
	v_sub_nc_u32_e32 v62, 29, v56
	s_delay_alu instid0(VALU_DEP_2)
	v_and_b32_e32 v56, 7, v72
; %bb.632:                              ;   in Loop: Header=BB301_11 Depth=1
	s_wait_alu 0xfffe
	s_or_b32 exec_lo, exec_lo, s19
	v_lshlrev_b32_e32 v8, 8, v58
	v_lshl_add_u32 v58, v62, 10, 0x2000
	v_lshlrev_b32_e32 v56, 23, v56
	s_delay_alu instid0(VALU_DEP_2) | instskip(NEXT) | instid1(VALU_DEP_1)
	v_and_or_b32 v8, 0x8000, v8, v58
	v_lshl_or_b32 v56, v8, 16, v56
.LBB301_633:                            ;   in Loop: Header=BB301_11 Depth=1
	s_wait_alu 0xfffe
	s_or_b32 exec_lo, exec_lo, s18
.LBB301_634:                            ;   in Loop: Header=BB301_11 Depth=1
	s_wait_alu 0xfffe
	s_or_b32 exec_lo, exec_lo, s17
.LBB301_635:                            ;   in Loop: Header=BB301_11 Depth=1
	s_wait_alu 0xfffe
	s_or_b32 exec_lo, exec_lo, s2
	v_lshrrev_b32_e32 v8, 16, v29
	s_mov_b32 s2, exec_lo
	s_delay_alu instid0(VALU_DEP_1) | instskip(NEXT) | instid1(VALU_DEP_1)
	v_and_b32_e32 v58, 0xff, v8
	v_cmpx_ne_u16_e32 0, v58
	s_cbranch_execz .LBB301_643
; %bb.636:                              ;   in Loop: Header=BB301_11 Depth=1
	v_mov_b32_e32 v60, 0x8000
	s_mov_b32 s17, exec_lo
	v_cmpx_ne_u16_e32 0x80, v58
	s_cbranch_execz .LBB301_642
; %bb.637:                              ;   in Loop: Header=BB301_11 Depth=1
	v_bfe_u32 v62, v29, 16, 7
	v_mov_b32_e32 v60, 0x7c01
	s_mov_b32 s18, exec_lo
	s_delay_alu instid0(VALU_DEP_2)
	v_cmpx_ne_u32_e32 0x7f, v62
	s_cbranch_execz .LBB301_641
; %bb.638:                              ;   in Loop: Header=BB301_11 Depth=1
	v_and_b32_e32 v58, 7, v8
	v_lshrrev_b32_e32 v60, 3, v62
	s_mov_b32 s19, exec_lo
	v_cmpx_gt_u32_e32 8, v62
; %bb.639:                              ;   in Loop: Header=BB301_11 Depth=1
	s_delay_alu instid0(VALU_DEP_3) | instskip(NEXT) | instid1(VALU_DEP_1)
	v_clz_i32_u32_e32 v58, v58
	v_min_u32_e32 v58, 32, v58
	s_delay_alu instid0(VALU_DEP_1) | instskip(NEXT) | instid1(VALU_DEP_1)
	v_subrev_nc_u32_e32 v60, 28, v58
	v_lshlrev_b64_e32 v[62:63], v60, v[8:9]
	v_sub_nc_u32_e32 v60, 29, v58
	s_delay_alu instid0(VALU_DEP_2)
	v_and_b32_e32 v58, 7, v62
; %bb.640:                              ;   in Loop: Header=BB301_11 Depth=1
	s_wait_alu 0xfffe
	s_or_b32 exec_lo, exec_lo, s19
	v_lshlrev_b32_e32 v8, 8, v8
	v_lshl_add_u32 v60, v60, 10, 0x2000
	v_lshlrev_b32_e32 v58, 7, v58
	s_delay_alu instid0(VALU_DEP_3) | instskip(NEXT) | instid1(VALU_DEP_3)
	v_and_b32_e32 v8, 0x8000, v8
	v_and_b32_e32 v60, 0xfc00, v60
	s_delay_alu instid0(VALU_DEP_1)
	v_or3_b32 v60, v8, v60, v58
.LBB301_641:                            ;   in Loop: Header=BB301_11 Depth=1
	s_wait_alu 0xfffe
	s_or_b32 exec_lo, exec_lo, s18
.LBB301_642:                            ;   in Loop: Header=BB301_11 Depth=1
	s_wait_alu 0xfffe
	s_or_b32 exec_lo, exec_lo, s17
.LBB301_643:                            ;   in Loop: Header=BB301_11 Depth=1
	s_wait_alu 0xfffe
	s_or_b32 exec_lo, exec_lo, s2
	v_dual_mov_b32 v77, 0 :: v_dual_mov_b32 v58, 0
	s_mov_b32 s2, exec_lo
	v_cmpx_lt_u64_e64 s[8:9], v[28:29]
	s_cbranch_execz .LBB301_651
; %bb.644:                              ;   in Loop: Header=BB301_11 Depth=1
	v_lshrrev_b32_e32 v8, 24, v29
	v_bfrev_b32_e32 v58, 1
	s_mov_b32 s17, exec_lo
	s_delay_alu instid0(VALU_DEP_2)
	v_cmpx_ne_u32_e32 0x80, v8
	s_cbranch_execz .LBB301_650
; %bb.645:                              ;   in Loop: Header=BB301_11 Depth=1
	v_and_b32_e32 v62, 0x7f, v8
	v_mov_b32_e32 v58, 0x7c010000
	s_mov_b32 s18, exec_lo
	s_delay_alu instid0(VALU_DEP_2)
	v_cmpx_ne_u32_e32 0x7f, v62
	s_cbranch_execz .LBB301_649
; %bb.646:                              ;   in Loop: Header=BB301_11 Depth=1
	v_and_b32_e32 v28, 7, v8
	v_lshrrev_b32_e32 v29, 3, v62
	s_mov_b32 s19, exec_lo
	v_cmpx_gt_u32_e32 8, v62
; %bb.647:                              ;   in Loop: Header=BB301_11 Depth=1
	s_delay_alu instid0(VALU_DEP_3) | instskip(NEXT) | instid1(VALU_DEP_1)
	v_clz_i32_u32_e32 v28, v28
	v_min_u32_e32 v58, 32, v28
	s_delay_alu instid0(VALU_DEP_1) | instskip(NEXT) | instid1(VALU_DEP_1)
	v_subrev_nc_u32_e32 v28, 28, v58
	v_lshlrev_b64_e32 v[28:29], v28, v[8:9]
	v_sub_nc_u32_e32 v29, 29, v58
	s_delay_alu instid0(VALU_DEP_2)
	v_and_b32_e32 v28, 7, v28
; %bb.648:                              ;   in Loop: Header=BB301_11 Depth=1
	s_wait_alu 0xfffe
	s_or_b32 exec_lo, exec_lo, s19
	v_lshlrev_b32_e32 v8, 8, v8
	v_lshl_add_u32 v29, v29, 10, 0x2000
	v_lshlrev_b32_e32 v28, 23, v28
	s_delay_alu instid0(VALU_DEP_2) | instskip(NEXT) | instid1(VALU_DEP_1)
	v_and_or_b32 v8, 0x8000, v8, v29
	v_lshl_or_b32 v58, v8, 16, v28
.LBB301_649:                            ;   in Loop: Header=BB301_11 Depth=1
	s_wait_alu 0xfffe
	s_or_b32 exec_lo, exec_lo, s18
.LBB301_650:                            ;   in Loop: Header=BB301_11 Depth=1
	s_wait_alu 0xfffe
	s_or_b32 exec_lo, exec_lo, s17
.LBB301_651:                            ;   in Loop: Header=BB301_11 Depth=1
	s_wait_alu 0xfffe
	s_or_b32 exec_lo, exec_lo, s2
	flat_load_b64 v[28:29], v[20:21] offset:2560
	s_mov_b32 s2, exec_lo
	s_wait_loadcnt_dscnt 0x0
	v_and_b32_e32 v8, 0xff, v28
	s_delay_alu instid0(VALU_DEP_1)
	v_cmpx_ne_u16_e32 0, v8
	s_cbranch_execz .LBB301_659
; %bb.652:                              ;   in Loop: Header=BB301_11 Depth=1
	v_mov_b32_e32 v77, 0x8000
	s_mov_b32 s17, exec_lo
	v_cmpx_ne_u16_e32 0x80, v8
	s_cbranch_execz .LBB301_658
; %bb.653:                              ;   in Loop: Header=BB301_11 Depth=1
	v_and_b32_e32 v63, 0x7f, v28
	v_mov_b32_e32 v77, 0x7c01
	s_mov_b32 s18, exec_lo
	s_delay_alu instid0(VALU_DEP_2)
	v_cmpx_ne_u32_e32 0x7f, v63
	s_cbranch_execz .LBB301_657
; %bb.654:                              ;   in Loop: Header=BB301_11 Depth=1
	v_and_b32_e32 v8, 7, v28
	v_lshrrev_b32_e32 v62, 3, v63
	s_mov_b32 s19, exec_lo
	v_cmpx_gt_u32_e32 8, v63
; %bb.655:                              ;   in Loop: Header=BB301_11 Depth=1
	s_delay_alu instid0(VALU_DEP_3) | instskip(NEXT) | instid1(VALU_DEP_1)
	v_clz_i32_u32_e32 v8, v8
	v_min_u32_e32 v8, 32, v8
	s_delay_alu instid0(VALU_DEP_1) | instskip(NEXT) | instid1(VALU_DEP_1)
	v_subrev_nc_u32_e32 v62, 28, v8
	v_lshlrev_b64_e32 v[72:73], v62, v[28:29]
	v_sub_nc_u32_e32 v62, 29, v8
	s_delay_alu instid0(VALU_DEP_2)
	v_and_b32_e32 v8, 7, v72
; %bb.656:                              ;   in Loop: Header=BB301_11 Depth=1
	s_wait_alu 0xfffe
	s_or_b32 exec_lo, exec_lo, s19
	v_lshlrev_b32_e32 v63, 8, v28
	v_lshl_add_u32 v62, v62, 10, 0x2000
	v_lshlrev_b32_e32 v8, 7, v8
	s_delay_alu instid0(VALU_DEP_3) | instskip(NEXT) | instid1(VALU_DEP_3)
	v_and_b32_e32 v63, 0x8000, v63
	v_and_b32_e32 v62, 0xfc00, v62
	s_delay_alu instid0(VALU_DEP_1)
	v_or3_b32 v77, v63, v62, v8
.LBB301_657:                            ;   in Loop: Header=BB301_11 Depth=1
	s_wait_alu 0xfffe
	s_or_b32 exec_lo, exec_lo, s18
.LBB301_658:                            ;   in Loop: Header=BB301_11 Depth=1
	s_wait_alu 0xfffe
	s_or_b32 exec_lo, exec_lo, s17
.LBB301_659:                            ;   in Loop: Header=BB301_11 Depth=1
	s_wait_alu 0xfffe
	s_or_b32 exec_lo, exec_lo, s2
	v_lshrrev_b16 v8, 8, v28
	v_dual_mov_b32 v79, 0 :: v_dual_mov_b32 v76, 0
	s_mov_b32 s2, exec_lo
	s_delay_alu instid0(VALU_DEP_2)
	v_cmpx_ne_u16_e32 0, v8
	s_cbranch_execz .LBB301_667
; %bb.660:                              ;   in Loop: Header=BB301_11 Depth=1
	v_bfrev_b32_e32 v76, 1
	s_mov_b32 s17, exec_lo
	v_cmpx_ne_u16_e32 0x80, v8
	s_cbranch_execz .LBB301_666
; %bb.661:                              ;   in Loop: Header=BB301_11 Depth=1
	v_and_b32_e32 v62, 0xffff, v8
	v_mov_b32_e32 v76, 0x7c010000
	s_mov_b32 s18, exec_lo
	s_delay_alu instid0(VALU_DEP_2) | instskip(NEXT) | instid1(VALU_DEP_1)
	v_and_b32_e32 v73, 0x7f, v62
	v_cmpx_ne_u32_e32 0x7f, v73
	s_cbranch_execz .LBB301_665
; %bb.662:                              ;   in Loop: Header=BB301_11 Depth=1
	v_and_b32_e32 v63, 7, v62
	v_lshrrev_b32_e32 v72, 3, v73
	s_mov_b32 s19, exec_lo
	v_cmpx_gt_u32_e32 8, v73
; %bb.663:                              ;   in Loop: Header=BB301_11 Depth=1
	s_delay_alu instid0(VALU_DEP_3) | instskip(NEXT) | instid1(VALU_DEP_1)
	v_clz_i32_u32_e32 v63, v63
	v_min_u32_e32 v63, 32, v63
	s_delay_alu instid0(VALU_DEP_1) | instskip(NEXT) | instid1(VALU_DEP_1)
	v_subrev_nc_u32_e32 v72, 28, v63
	v_lshlrev_b64_e32 v[73:74], v72, v[8:9]
	v_sub_nc_u32_e32 v72, 29, v63
	s_delay_alu instid0(VALU_DEP_2)
	v_and_b32_e32 v63, 7, v73
; %bb.664:                              ;   in Loop: Header=BB301_11 Depth=1
	s_wait_alu 0xfffe
	s_or_b32 exec_lo, exec_lo, s19
	v_lshlrev_b32_e32 v8, 8, v62
	v_lshl_add_u32 v62, v72, 10, 0x2000
	s_delay_alu instid0(VALU_DEP_1) | instskip(SKIP_1) | instid1(VALU_DEP_1)
	v_and_or_b32 v8, 0x8000, v8, v62
	v_lshlrev_b32_e32 v62, 23, v63
	v_lshl_or_b32 v76, v8, 16, v62
.LBB301_665:                            ;   in Loop: Header=BB301_11 Depth=1
	s_wait_alu 0xfffe
	s_or_b32 exec_lo, exec_lo, s18
.LBB301_666:                            ;   in Loop: Header=BB301_11 Depth=1
	s_wait_alu 0xfffe
	s_or_b32 exec_lo, exec_lo, s17
.LBB301_667:                            ;   in Loop: Header=BB301_11 Depth=1
	s_wait_alu 0xfffe
	s_or_b32 exec_lo, exec_lo, s2
	v_lshrrev_b32_e32 v8, 16, v28
	s_mov_b32 s2, exec_lo
	s_delay_alu instid0(VALU_DEP_1) | instskip(NEXT) | instid1(VALU_DEP_1)
	v_and_b32_e32 v62, 0xff, v8
	v_cmpx_ne_u16_e32 0, v62
	s_cbranch_execz .LBB301_675
; %bb.668:                              ;   in Loop: Header=BB301_11 Depth=1
	v_mov_b32_e32 v79, 0x8000
	s_mov_b32 s17, exec_lo
	v_cmpx_ne_u16_e32 0x80, v62
	s_cbranch_execz .LBB301_674
; %bb.669:                              ;   in Loop: Header=BB301_11 Depth=1
	v_bfe_u32 v72, v28, 16, 7
	v_mov_b32_e32 v79, 0x7c01
	s_mov_b32 s18, exec_lo
	s_delay_alu instid0(VALU_DEP_2)
	v_cmpx_ne_u32_e32 0x7f, v72
	s_cbranch_execz .LBB301_673
; %bb.670:                              ;   in Loop: Header=BB301_11 Depth=1
	v_and_b32_e32 v62, 7, v8
	v_lshrrev_b32_e32 v63, 3, v72
	s_mov_b32 s19, exec_lo
	v_cmpx_gt_u32_e32 8, v72
; %bb.671:                              ;   in Loop: Header=BB301_11 Depth=1
	s_delay_alu instid0(VALU_DEP_3) | instskip(NEXT) | instid1(VALU_DEP_1)
	v_clz_i32_u32_e32 v62, v62
	v_min_u32_e32 v72, 32, v62
	s_delay_alu instid0(VALU_DEP_1) | instskip(NEXT) | instid1(VALU_DEP_1)
	v_subrev_nc_u32_e32 v62, 28, v72
	v_lshlrev_b64_e32 v[62:63], v62, v[8:9]
	v_sub_nc_u32_e32 v63, 29, v72
	s_delay_alu instid0(VALU_DEP_2)
	v_and_b32_e32 v62, 7, v62
; %bb.672:                              ;   in Loop: Header=BB301_11 Depth=1
	s_wait_alu 0xfffe
	s_or_b32 exec_lo, exec_lo, s19
	v_lshlrev_b32_e32 v8, 8, v8
	v_lshl_add_u32 v63, v63, 10, 0x2000
	v_lshlrev_b32_e32 v62, 7, v62
	s_delay_alu instid0(VALU_DEP_3) | instskip(NEXT) | instid1(VALU_DEP_3)
	v_and_b32_e32 v8, 0x8000, v8
	v_and_b32_e32 v63, 0xfc00, v63
	s_delay_alu instid0(VALU_DEP_1)
	v_or3_b32 v79, v8, v63, v62
.LBB301_673:                            ;   in Loop: Header=BB301_11 Depth=1
	s_wait_alu 0xfffe
	s_or_b32 exec_lo, exec_lo, s18
.LBB301_674:                            ;   in Loop: Header=BB301_11 Depth=1
	s_wait_alu 0xfffe
	s_or_b32 exec_lo, exec_lo, s17
.LBB301_675:                            ;   in Loop: Header=BB301_11 Depth=1
	s_wait_alu 0xfffe
	s_or_b32 exec_lo, exec_lo, s2
	v_dual_mov_b32 v78, 0 :: v_dual_mov_b32 v91, 0
	s_mov_b32 s2, exec_lo
	v_cmpx_lt_u32_e32 0xffffff, v28
	s_cbranch_execz .LBB301_683
; %bb.676:                              ;   in Loop: Header=BB301_11 Depth=1
	v_lshrrev_b32_e32 v8, 24, v28
	v_bfrev_b32_e32 v91, 1
	s_mov_b32 s17, exec_lo
	s_delay_alu instid0(VALU_DEP_2)
	v_cmpx_ne_u32_e32 0x80, v8
	s_cbranch_execz .LBB301_682
; %bb.677:                              ;   in Loop: Header=BB301_11 Depth=1
	v_and_b32_e32 v72, 0x7f, v8
	v_mov_b32_e32 v91, 0x7c010000
	s_mov_b32 s18, exec_lo
	s_delay_alu instid0(VALU_DEP_2)
	v_cmpx_ne_u32_e32 0x7f, v72
	s_cbranch_execz .LBB301_681
; %bb.678:                              ;   in Loop: Header=BB301_11 Depth=1
	v_and_b32_e32 v62, 7, v8
	v_lshrrev_b32_e32 v63, 3, v72
	s_mov_b32 s19, exec_lo
	v_cmpx_gt_u32_e32 8, v72
; %bb.679:                              ;   in Loop: Header=BB301_11 Depth=1
	s_delay_alu instid0(VALU_DEP_3) | instskip(NEXT) | instid1(VALU_DEP_1)
	v_clz_i32_u32_e32 v62, v62
	v_min_u32_e32 v72, 32, v62
	s_delay_alu instid0(VALU_DEP_1) | instskip(NEXT) | instid1(VALU_DEP_1)
	v_subrev_nc_u32_e32 v62, 28, v72
	v_lshlrev_b64_e32 v[62:63], v62, v[8:9]
	v_sub_nc_u32_e32 v63, 29, v72
	s_delay_alu instid0(VALU_DEP_2)
	v_and_b32_e32 v62, 7, v62
; %bb.680:                              ;   in Loop: Header=BB301_11 Depth=1
	s_wait_alu 0xfffe
	s_or_b32 exec_lo, exec_lo, s19
	v_lshlrev_b32_e32 v8, 8, v8
	v_lshl_add_u32 v63, v63, 10, 0x2000
	v_lshlrev_b32_e32 v62, 23, v62
	s_delay_alu instid0(VALU_DEP_2) | instskip(NEXT) | instid1(VALU_DEP_1)
	v_and_or_b32 v8, 0x8000, v8, v63
	v_lshl_or_b32 v91, v8, 16, v62
.LBB301_681:                            ;   in Loop: Header=BB301_11 Depth=1
	s_wait_alu 0xfffe
	s_or_b32 exec_lo, exec_lo, s18
.LBB301_682:                            ;   in Loop: Header=BB301_11 Depth=1
	s_wait_alu 0xfffe
	s_or_b32 exec_lo, exec_lo, s17
.LBB301_683:                            ;   in Loop: Header=BB301_11 Depth=1
	s_wait_alu 0xfffe
	s_or_b32 exec_lo, exec_lo, s2
	v_and_b32_e32 v62, 0xff, v29
	v_mov_b32_e32 v8, v29
	s_mov_b32 s2, exec_lo
	s_delay_alu instid0(VALU_DEP_2)
	v_cmpx_ne_u16_e32 0, v62
	s_cbranch_execz .LBB301_691
; %bb.684:                              ;   in Loop: Header=BB301_11 Depth=1
	v_mov_b32_e32 v78, 0x8000
	s_mov_b32 s17, exec_lo
	v_cmpx_ne_u16_e32 0x80, v62
	s_cbranch_execz .LBB301_690
; %bb.685:                              ;   in Loop: Header=BB301_11 Depth=1
	v_and_b32_e32 v72, 0x7f, v29
	v_mov_b32_e32 v78, 0x7c01
	s_mov_b32 s18, exec_lo
	s_delay_alu instid0(VALU_DEP_2)
	v_cmpx_ne_u32_e32 0x7f, v72
	s_cbranch_execz .LBB301_689
; %bb.686:                              ;   in Loop: Header=BB301_11 Depth=1
	v_and_b32_e32 v62, 7, v29
	v_lshrrev_b32_e32 v63, 3, v72
	s_mov_b32 s19, exec_lo
	v_cmpx_gt_u32_e32 8, v72
; %bb.687:                              ;   in Loop: Header=BB301_11 Depth=1
	s_delay_alu instid0(VALU_DEP_3) | instskip(NEXT) | instid1(VALU_DEP_1)
	v_clz_i32_u32_e32 v62, v62
	v_min_u32_e32 v72, 32, v62
	s_delay_alu instid0(VALU_DEP_1) | instskip(NEXT) | instid1(VALU_DEP_1)
	v_subrev_nc_u32_e32 v62, 28, v72
	v_lshlrev_b64_e32 v[62:63], v62, v[8:9]
	v_sub_nc_u32_e32 v63, 29, v72
	s_delay_alu instid0(VALU_DEP_2)
	v_and_b32_e32 v62, 7, v62
; %bb.688:                              ;   in Loop: Header=BB301_11 Depth=1
	s_wait_alu 0xfffe
	s_or_b32 exec_lo, exec_lo, s19
	v_lshlrev_b32_e32 v72, 8, v29
	v_lshl_add_u32 v63, v63, 10, 0x2000
	v_lshlrev_b32_e32 v62, 7, v62
	s_delay_alu instid0(VALU_DEP_3) | instskip(NEXT) | instid1(VALU_DEP_3)
	v_and_b32_e32 v72, 0x8000, v72
	v_and_b32_e32 v63, 0xfc00, v63
	s_delay_alu instid0(VALU_DEP_1)
	v_or3_b32 v78, v72, v63, v62
.LBB301_689:                            ;   in Loop: Header=BB301_11 Depth=1
	s_wait_alu 0xfffe
	s_or_b32 exec_lo, exec_lo, s18
.LBB301_690:                            ;   in Loop: Header=BB301_11 Depth=1
	s_wait_alu 0xfffe
	s_or_b32 exec_lo, exec_lo, s17
.LBB301_691:                            ;   in Loop: Header=BB301_11 Depth=1
	s_wait_alu 0xfffe
	s_or_b32 exec_lo, exec_lo, s2
	v_lshrrev_b16 v8, 8, v8
	v_dual_mov_b32 v89, 0 :: v_dual_mov_b32 v90, 0
	s_mov_b32 s2, exec_lo
	s_delay_alu instid0(VALU_DEP_2)
	v_cmpx_ne_u16_e32 0, v8
	s_cbranch_execz .LBB301_699
; %bb.692:                              ;   in Loop: Header=BB301_11 Depth=1
	v_bfrev_b32_e32 v90, 1
	s_mov_b32 s17, exec_lo
	v_cmpx_ne_u16_e32 0x80, v8
	s_cbranch_execz .LBB301_698
; %bb.693:                              ;   in Loop: Header=BB301_11 Depth=1
	v_and_b32_e32 v62, 0xffff, v8
	v_mov_b32_e32 v90, 0x7c010000
	s_mov_b32 s18, exec_lo
	s_delay_alu instid0(VALU_DEP_2) | instskip(NEXT) | instid1(VALU_DEP_1)
	v_and_b32_e32 v73, 0x7f, v62
	v_cmpx_ne_u32_e32 0x7f, v73
	s_cbranch_execz .LBB301_697
; %bb.694:                              ;   in Loop: Header=BB301_11 Depth=1
	v_and_b32_e32 v63, 7, v62
	v_lshrrev_b32_e32 v72, 3, v73
	s_mov_b32 s19, exec_lo
	v_cmpx_gt_u32_e32 8, v73
; %bb.695:                              ;   in Loop: Header=BB301_11 Depth=1
	s_delay_alu instid0(VALU_DEP_3) | instskip(NEXT) | instid1(VALU_DEP_1)
	v_clz_i32_u32_e32 v63, v63
	v_min_u32_e32 v63, 32, v63
	s_delay_alu instid0(VALU_DEP_1) | instskip(NEXT) | instid1(VALU_DEP_1)
	v_subrev_nc_u32_e32 v72, 28, v63
	v_lshlrev_b64_e32 v[73:74], v72, v[8:9]
	v_sub_nc_u32_e32 v72, 29, v63
	s_delay_alu instid0(VALU_DEP_2)
	v_and_b32_e32 v63, 7, v73
; %bb.696:                              ;   in Loop: Header=BB301_11 Depth=1
	s_wait_alu 0xfffe
	s_or_b32 exec_lo, exec_lo, s19
	v_lshlrev_b32_e32 v8, 8, v62
	v_lshl_add_u32 v62, v72, 10, 0x2000
	s_delay_alu instid0(VALU_DEP_1) | instskip(SKIP_1) | instid1(VALU_DEP_1)
	v_and_or_b32 v8, 0x8000, v8, v62
	v_lshlrev_b32_e32 v62, 23, v63
	v_lshl_or_b32 v90, v8, 16, v62
.LBB301_697:                            ;   in Loop: Header=BB301_11 Depth=1
	s_wait_alu 0xfffe
	s_or_b32 exec_lo, exec_lo, s18
.LBB301_698:                            ;   in Loop: Header=BB301_11 Depth=1
	s_wait_alu 0xfffe
	s_or_b32 exec_lo, exec_lo, s17
.LBB301_699:                            ;   in Loop: Header=BB301_11 Depth=1
	s_wait_alu 0xfffe
	s_or_b32 exec_lo, exec_lo, s2
	v_lshrrev_b32_e32 v8, 16, v29
	s_mov_b32 s2, exec_lo
	s_delay_alu instid0(VALU_DEP_1) | instskip(NEXT) | instid1(VALU_DEP_1)
	v_and_b32_e32 v62, 0xff, v8
	v_cmpx_ne_u16_e32 0, v62
	s_cbranch_execz .LBB301_707
; %bb.700:                              ;   in Loop: Header=BB301_11 Depth=1
	v_mov_b32_e32 v89, 0x8000
	s_mov_b32 s17, exec_lo
	v_cmpx_ne_u16_e32 0x80, v62
	s_cbranch_execz .LBB301_706
; %bb.701:                              ;   in Loop: Header=BB301_11 Depth=1
	v_bfe_u32 v72, v29, 16, 7
	v_mov_b32_e32 v89, 0x7c01
	s_mov_b32 s18, exec_lo
	s_delay_alu instid0(VALU_DEP_2)
	v_cmpx_ne_u32_e32 0x7f, v72
	s_cbranch_execz .LBB301_705
; %bb.702:                              ;   in Loop: Header=BB301_11 Depth=1
	v_and_b32_e32 v62, 7, v8
	v_lshrrev_b32_e32 v63, 3, v72
	s_mov_b32 s19, exec_lo
	v_cmpx_gt_u32_e32 8, v72
; %bb.703:                              ;   in Loop: Header=BB301_11 Depth=1
	s_delay_alu instid0(VALU_DEP_3) | instskip(NEXT) | instid1(VALU_DEP_1)
	v_clz_i32_u32_e32 v62, v62
	v_min_u32_e32 v72, 32, v62
	s_delay_alu instid0(VALU_DEP_1) | instskip(NEXT) | instid1(VALU_DEP_1)
	v_subrev_nc_u32_e32 v62, 28, v72
	v_lshlrev_b64_e32 v[62:63], v62, v[8:9]
	v_sub_nc_u32_e32 v63, 29, v72
	s_delay_alu instid0(VALU_DEP_2)
	v_and_b32_e32 v62, 7, v62
; %bb.704:                              ;   in Loop: Header=BB301_11 Depth=1
	s_wait_alu 0xfffe
	s_or_b32 exec_lo, exec_lo, s19
	v_lshlrev_b32_e32 v8, 8, v8
	v_lshl_add_u32 v63, v63, 10, 0x2000
	v_lshlrev_b32_e32 v62, 7, v62
	s_delay_alu instid0(VALU_DEP_3) | instskip(NEXT) | instid1(VALU_DEP_3)
	v_and_b32_e32 v8, 0x8000, v8
	v_and_b32_e32 v63, 0xfc00, v63
	s_delay_alu instid0(VALU_DEP_1)
	v_or3_b32 v89, v8, v63, v62
.LBB301_705:                            ;   in Loop: Header=BB301_11 Depth=1
	s_wait_alu 0xfffe
	s_or_b32 exec_lo, exec_lo, s18
.LBB301_706:                            ;   in Loop: Header=BB301_11 Depth=1
	s_wait_alu 0xfffe
	s_or_b32 exec_lo, exec_lo, s17
.LBB301_707:                            ;   in Loop: Header=BB301_11 Depth=1
	s_wait_alu 0xfffe
	s_or_b32 exec_lo, exec_lo, s2
	v_cmp_lt_u64_e64 s1, s[8:9], v[28:29]
	v_mov_b32_e32 v28, 0
	v_mov_b32_e32 v88, 0
	s_and_saveexec_b32 s2, s1
	s_cbranch_execz .LBB301_715
; %bb.708:                              ;   in Loop: Header=BB301_11 Depth=1
	v_lshrrev_b32_e32 v8, 24, v29
	v_bfrev_b32_e32 v88, 1
	s_mov_b32 s17, exec_lo
	s_delay_alu instid0(VALU_DEP_2)
	v_cmpx_ne_u32_e32 0x80, v8
	s_cbranch_execz .LBB301_714
; %bb.709:                              ;   in Loop: Header=BB301_11 Depth=1
	v_and_b32_e32 v63, 0x7f, v8
	v_mov_b32_e32 v88, 0x7c010000
	s_mov_b32 s18, exec_lo
	s_delay_alu instid0(VALU_DEP_2)
	v_cmpx_ne_u32_e32 0x7f, v63
	s_cbranch_execz .LBB301_713
; %bb.710:                              ;   in Loop: Header=BB301_11 Depth=1
	v_and_b32_e32 v29, 7, v8
	v_lshrrev_b32_e32 v62, 3, v63
	s_mov_b32 s19, exec_lo
	v_cmpx_gt_u32_e32 8, v63
; %bb.711:                              ;   in Loop: Header=BB301_11 Depth=1
	s_delay_alu instid0(VALU_DEP_3) | instskip(NEXT) | instid1(VALU_DEP_1)
	v_clz_i32_u32_e32 v29, v29
	v_min_u32_e32 v29, 32, v29
	s_delay_alu instid0(VALU_DEP_1) | instskip(NEXT) | instid1(VALU_DEP_1)
	v_subrev_nc_u32_e32 v62, 28, v29
	v_lshlrev_b64_e32 v[72:73], v62, v[8:9]
	v_sub_nc_u32_e32 v62, 29, v29
	s_delay_alu instid0(VALU_DEP_2)
	v_and_b32_e32 v29, 7, v72
; %bb.712:                              ;   in Loop: Header=BB301_11 Depth=1
	s_wait_alu 0xfffe
	s_or_b32 exec_lo, exec_lo, s19
	v_lshlrev_b32_e32 v8, 8, v8
	v_lshl_add_u32 v62, v62, 10, 0x2000
	v_lshlrev_b32_e32 v29, 23, v29
	s_delay_alu instid0(VALU_DEP_2) | instskip(NEXT) | instid1(VALU_DEP_1)
	v_and_or_b32 v8, 0x8000, v8, v62
	v_lshl_or_b32 v88, v8, 16, v29
.LBB301_713:                            ;   in Loop: Header=BB301_11 Depth=1
	s_wait_alu 0xfffe
	s_or_b32 exec_lo, exec_lo, s18
.LBB301_714:                            ;   in Loop: Header=BB301_11 Depth=1
	s_wait_alu 0xfffe
	s_or_b32 exec_lo, exec_lo, s17
.LBB301_715:                            ;   in Loop: Header=BB301_11 Depth=1
	s_wait_alu 0xfffe
	s_or_b32 exec_lo, exec_lo, s2
	flat_load_b64 v[20:21], v[20:21] offset:2568
	s_mov_b32 s2, exec_lo
	s_wait_loadcnt_dscnt 0x0
	v_and_b32_e32 v8, 0xff, v20
	s_delay_alu instid0(VALU_DEP_1)
	v_cmpx_ne_u16_e32 0, v8
	s_cbranch_execz .LBB301_723
; %bb.716:                              ;   in Loop: Header=BB301_11 Depth=1
	v_mov_b32_e32 v28, 0x8000
	s_mov_b32 s17, exec_lo
	v_cmpx_ne_u16_e32 0x80, v8
	s_cbranch_execz .LBB301_722
; %bb.717:                              ;   in Loop: Header=BB301_11 Depth=1
	v_and_b32_e32 v29, 0x7f, v20
	v_mov_b32_e32 v28, 0x7c01
	s_mov_b32 s18, exec_lo
	s_delay_alu instid0(VALU_DEP_2)
	v_cmpx_ne_u32_e32 0x7f, v29
	s_cbranch_execz .LBB301_721
; %bb.718:                              ;   in Loop: Header=BB301_11 Depth=1
	v_and_b32_e32 v8, 7, v20
	v_lshrrev_b32_e32 v28, 3, v29
	s_mov_b32 s19, exec_lo
	v_cmpx_gt_u32_e32 8, v29
; %bb.719:                              ;   in Loop: Header=BB301_11 Depth=1
	s_delay_alu instid0(VALU_DEP_3) | instskip(NEXT) | instid1(VALU_DEP_1)
	v_clz_i32_u32_e32 v8, v8
	v_min_u32_e32 v8, 32, v8
	s_delay_alu instid0(VALU_DEP_1) | instskip(NEXT) | instid1(VALU_DEP_1)
	v_subrev_nc_u32_e32 v28, 28, v8
	v_lshlrev_b64_e32 v[62:63], v28, v[20:21]
	v_sub_nc_u32_e32 v28, 29, v8
	s_delay_alu instid0(VALU_DEP_2)
	v_and_b32_e32 v8, 7, v62
; %bb.720:                              ;   in Loop: Header=BB301_11 Depth=1
	s_wait_alu 0xfffe
	s_or_b32 exec_lo, exec_lo, s19
	v_lshlrev_b32_e32 v29, 8, v20
	v_lshl_add_u32 v28, v28, 10, 0x2000
	v_lshlrev_b32_e32 v8, 7, v8
	s_delay_alu instid0(VALU_DEP_3) | instskip(NEXT) | instid1(VALU_DEP_3)
	v_and_b32_e32 v29, 0x8000, v29
	v_and_b32_e32 v28, 0xfc00, v28
	s_delay_alu instid0(VALU_DEP_1)
	v_or3_b32 v28, v29, v28, v8
.LBB301_721:                            ;   in Loop: Header=BB301_11 Depth=1
	s_wait_alu 0xfffe
	s_or_b32 exec_lo, exec_lo, s18
.LBB301_722:                            ;   in Loop: Header=BB301_11 Depth=1
	s_wait_alu 0xfffe
	s_or_b32 exec_lo, exec_lo, s17
.LBB301_723:                            ;   in Loop: Header=BB301_11 Depth=1
	s_wait_alu 0xfffe
	s_or_b32 exec_lo, exec_lo, s2
	v_lshrrev_b16 v8, 8, v20
	v_dual_mov_b32 v62, 0 :: v_dual_mov_b32 v29, 0
	s_mov_b32 s2, exec_lo
	s_delay_alu instid0(VALU_DEP_2)
	v_cmpx_ne_u16_e32 0, v8
	s_cbranch_execz .LBB301_731
; %bb.724:                              ;   in Loop: Header=BB301_11 Depth=1
	v_bfrev_b32_e32 v29, 1
	s_mov_b32 s17, exec_lo
	v_cmpx_ne_u16_e32 0x80, v8
	s_cbranch_execz .LBB301_730
; %bb.725:                              ;   in Loop: Header=BB301_11 Depth=1
	v_and_b32_e32 v63, 0xffff, v8
	v_mov_b32_e32 v29, 0x7c010000
	s_mov_b32 s18, exec_lo
	s_delay_alu instid0(VALU_DEP_2) | instskip(NEXT) | instid1(VALU_DEP_1)
	v_and_b32_e32 v73, 0x7f, v63
	v_cmpx_ne_u32_e32 0x7f, v73
	s_cbranch_execz .LBB301_729
; %bb.726:                              ;   in Loop: Header=BB301_11 Depth=1
	v_and_b32_e32 v29, 7, v63
	v_lshrrev_b32_e32 v72, 3, v73
	s_mov_b32 s19, exec_lo
	v_cmpx_gt_u32_e32 8, v73
; %bb.727:                              ;   in Loop: Header=BB301_11 Depth=1
	s_delay_alu instid0(VALU_DEP_3) | instskip(NEXT) | instid1(VALU_DEP_1)
	v_clz_i32_u32_e32 v29, v29
	v_min_u32_e32 v29, 32, v29
	s_delay_alu instid0(VALU_DEP_1) | instskip(NEXT) | instid1(VALU_DEP_1)
	v_subrev_nc_u32_e32 v72, 28, v29
	v_lshlrev_b64_e32 v[73:74], v72, v[8:9]
	v_sub_nc_u32_e32 v72, 29, v29
	s_delay_alu instid0(VALU_DEP_2)
	v_and_b32_e32 v29, 7, v73
; %bb.728:                              ;   in Loop: Header=BB301_11 Depth=1
	s_wait_alu 0xfffe
	s_or_b32 exec_lo, exec_lo, s19
	v_lshlrev_b32_e32 v8, 8, v63
	v_lshl_add_u32 v63, v72, 10, 0x2000
	v_lshlrev_b32_e32 v29, 23, v29
	s_delay_alu instid0(VALU_DEP_2) | instskip(NEXT) | instid1(VALU_DEP_1)
	v_and_or_b32 v8, 0x8000, v8, v63
	v_lshl_or_b32 v29, v8, 16, v29
.LBB301_729:                            ;   in Loop: Header=BB301_11 Depth=1
	s_wait_alu 0xfffe
	s_or_b32 exec_lo, exec_lo, s18
.LBB301_730:                            ;   in Loop: Header=BB301_11 Depth=1
	s_wait_alu 0xfffe
	s_or_b32 exec_lo, exec_lo, s17
.LBB301_731:                            ;   in Loop: Header=BB301_11 Depth=1
	s_wait_alu 0xfffe
	s_or_b32 exec_lo, exec_lo, s2
	v_lshrrev_b32_e32 v8, 16, v20
	s_mov_b32 s2, exec_lo
	s_delay_alu instid0(VALU_DEP_1) | instskip(NEXT) | instid1(VALU_DEP_1)
	v_and_b32_e32 v63, 0xff, v8
	v_cmpx_ne_u16_e32 0, v63
	s_cbranch_execz .LBB301_739
; %bb.732:                              ;   in Loop: Header=BB301_11 Depth=1
	v_mov_b32_e32 v62, 0x8000
	s_mov_b32 s17, exec_lo
	v_cmpx_ne_u16_e32 0x80, v63
	s_cbranch_execz .LBB301_738
; %bb.733:                              ;   in Loop: Header=BB301_11 Depth=1
	v_bfe_u32 v72, v20, 16, 7
	v_mov_b32_e32 v62, 0x7c01
	s_mov_b32 s18, exec_lo
	s_delay_alu instid0(VALU_DEP_2)
	v_cmpx_ne_u32_e32 0x7f, v72
	s_cbranch_execz .LBB301_737
; %bb.734:                              ;   in Loop: Header=BB301_11 Depth=1
	v_and_b32_e32 v62, 7, v8
	v_lshrrev_b32_e32 v63, 3, v72
	s_mov_b32 s19, exec_lo
	v_cmpx_gt_u32_e32 8, v72
; %bb.735:                              ;   in Loop: Header=BB301_11 Depth=1
	s_delay_alu instid0(VALU_DEP_3) | instskip(NEXT) | instid1(VALU_DEP_1)
	v_clz_i32_u32_e32 v62, v62
	v_min_u32_e32 v72, 32, v62
	s_delay_alu instid0(VALU_DEP_1) | instskip(NEXT) | instid1(VALU_DEP_1)
	v_subrev_nc_u32_e32 v62, 28, v72
	v_lshlrev_b64_e32 v[62:63], v62, v[8:9]
	v_sub_nc_u32_e32 v63, 29, v72
	s_delay_alu instid0(VALU_DEP_2)
	v_and_b32_e32 v62, 7, v62
; %bb.736:                              ;   in Loop: Header=BB301_11 Depth=1
	s_wait_alu 0xfffe
	s_or_b32 exec_lo, exec_lo, s19
	v_lshlrev_b32_e32 v8, 8, v8
	v_lshl_add_u32 v63, v63, 10, 0x2000
	v_lshlrev_b32_e32 v62, 7, v62
	s_delay_alu instid0(VALU_DEP_3) | instskip(NEXT) | instid1(VALU_DEP_3)
	v_and_b32_e32 v8, 0x8000, v8
	v_and_b32_e32 v63, 0xfc00, v63
	s_delay_alu instid0(VALU_DEP_1)
	v_or3_b32 v62, v8, v63, v62
.LBB301_737:                            ;   in Loop: Header=BB301_11 Depth=1
	s_wait_alu 0xfffe
	s_or_b32 exec_lo, exec_lo, s18
.LBB301_738:                            ;   in Loop: Header=BB301_11 Depth=1
	s_wait_alu 0xfffe
	s_or_b32 exec_lo, exec_lo, s17
.LBB301_739:                            ;   in Loop: Header=BB301_11 Depth=1
	s_wait_alu 0xfffe
	s_or_b32 exec_lo, exec_lo, s2
	v_dual_mov_b32 v63, 0 :: v_dual_mov_b32 v72, 0
	s_mov_b32 s2, exec_lo
	v_cmpx_lt_u32_e32 0xffffff, v20
	s_cbranch_execz .LBB301_747
; %bb.740:                              ;   in Loop: Header=BB301_11 Depth=1
	v_lshrrev_b32_e32 v8, 24, v20
	v_bfrev_b32_e32 v72, 1
	s_mov_b32 s17, exec_lo
	s_delay_alu instid0(VALU_DEP_2)
	v_cmpx_ne_u32_e32 0x80, v8
	s_cbranch_execz .LBB301_746
; %bb.741:                              ;   in Loop: Header=BB301_11 Depth=1
	v_and_b32_e32 v74, 0x7f, v8
	v_mov_b32_e32 v72, 0x7c010000
	s_mov_b32 s18, exec_lo
	s_delay_alu instid0(VALU_DEP_2)
	v_cmpx_ne_u32_e32 0x7f, v74
	s_cbranch_execz .LBB301_745
; %bb.742:                              ;   in Loop: Header=BB301_11 Depth=1
	v_and_b32_e32 v72, 7, v8
	v_lshrrev_b32_e32 v73, 3, v74
	s_mov_b32 s19, exec_lo
	v_cmpx_gt_u32_e32 8, v74
; %bb.743:                              ;   in Loop: Header=BB301_11 Depth=1
	s_delay_alu instid0(VALU_DEP_3) | instskip(NEXT) | instid1(VALU_DEP_1)
	v_clz_i32_u32_e32 v72, v72
	v_min_u32_e32 v74, 32, v72
	s_delay_alu instid0(VALU_DEP_1) | instskip(NEXT) | instid1(VALU_DEP_1)
	v_subrev_nc_u32_e32 v72, 28, v74
	v_lshlrev_b64_e32 v[72:73], v72, v[8:9]
	v_sub_nc_u32_e32 v73, 29, v74
	s_delay_alu instid0(VALU_DEP_2)
	v_and_b32_e32 v72, 7, v72
; %bb.744:                              ;   in Loop: Header=BB301_11 Depth=1
	s_wait_alu 0xfffe
	s_or_b32 exec_lo, exec_lo, s19
	v_lshlrev_b32_e32 v8, 8, v8
	v_lshl_add_u32 v73, v73, 10, 0x2000
	v_lshlrev_b32_e32 v72, 23, v72
	s_delay_alu instid0(VALU_DEP_2) | instskip(NEXT) | instid1(VALU_DEP_1)
	v_and_or_b32 v8, 0x8000, v8, v73
	v_lshl_or_b32 v72, v8, 16, v72
.LBB301_745:                            ;   in Loop: Header=BB301_11 Depth=1
	s_wait_alu 0xfffe
	s_or_b32 exec_lo, exec_lo, s18
.LBB301_746:                            ;   in Loop: Header=BB301_11 Depth=1
	s_wait_alu 0xfffe
	s_or_b32 exec_lo, exec_lo, s17
.LBB301_747:                            ;   in Loop: Header=BB301_11 Depth=1
	s_wait_alu 0xfffe
	s_or_b32 exec_lo, exec_lo, s2
	v_dual_mov_b32 v8, v21 :: v_dual_and_b32 v73, 0xff, v21
	s_mov_b32 s2, exec_lo
	s_delay_alu instid0(VALU_DEP_1)
	v_cmpx_ne_u16_e32 0, v73
	s_cbranch_execz .LBB301_755
; %bb.748:                              ;   in Loop: Header=BB301_11 Depth=1
	v_mov_b32_e32 v63, 0x8000
	s_mov_b32 s17, exec_lo
	v_cmpx_ne_u16_e32 0x80, v73
	s_cbranch_execz .LBB301_754
; %bb.749:                              ;   in Loop: Header=BB301_11 Depth=1
	v_and_b32_e32 v74, 0x7f, v21
	v_mov_b32_e32 v63, 0x7c01
	s_mov_b32 s18, exec_lo
	s_delay_alu instid0(VALU_DEP_2)
	v_cmpx_ne_u32_e32 0x7f, v74
	s_cbranch_execz .LBB301_753
; %bb.750:                              ;   in Loop: Header=BB301_11 Depth=1
	v_and_b32_e32 v63, 7, v21
	v_lshrrev_b32_e32 v73, 3, v74
	s_mov_b32 s19, exec_lo
	v_cmpx_gt_u32_e32 8, v74
; %bb.751:                              ;   in Loop: Header=BB301_11 Depth=1
	s_delay_alu instid0(VALU_DEP_3) | instskip(NEXT) | instid1(VALU_DEP_1)
	v_clz_i32_u32_e32 v63, v63
	v_min_u32_e32 v63, 32, v63
	s_delay_alu instid0(VALU_DEP_1) | instskip(NEXT) | instid1(VALU_DEP_1)
	v_subrev_nc_u32_e32 v73, 28, v63
	v_lshlrev_b64_e32 v[74:75], v73, v[8:9]
	v_sub_nc_u32_e32 v73, 29, v63
	s_delay_alu instid0(VALU_DEP_2)
	v_and_b32_e32 v63, 7, v74
; %bb.752:                              ;   in Loop: Header=BB301_11 Depth=1
	s_wait_alu 0xfffe
	s_or_b32 exec_lo, exec_lo, s19
	v_lshlrev_b32_e32 v74, 8, v21
	v_lshl_add_u32 v73, v73, 10, 0x2000
	v_lshlrev_b32_e32 v63, 7, v63
	s_delay_alu instid0(VALU_DEP_3) | instskip(NEXT) | instid1(VALU_DEP_3)
	v_and_b32_e32 v74, 0x8000, v74
	v_and_b32_e32 v73, 0xfc00, v73
	s_delay_alu instid0(VALU_DEP_1)
	v_or3_b32 v63, v74, v73, v63
.LBB301_753:                            ;   in Loop: Header=BB301_11 Depth=1
	s_wait_alu 0xfffe
	s_or_b32 exec_lo, exec_lo, s18
.LBB301_754:                            ;   in Loop: Header=BB301_11 Depth=1
	s_wait_alu 0xfffe
	s_or_b32 exec_lo, exec_lo, s17
.LBB301_755:                            ;   in Loop: Header=BB301_11 Depth=1
	s_wait_alu 0xfffe
	s_or_b32 exec_lo, exec_lo, s2
	v_lshrrev_b16 v8, 8, v8
	v_dual_mov_b32 v74, 0 :: v_dual_mov_b32 v73, 0
	s_mov_b32 s2, exec_lo
	s_delay_alu instid0(VALU_DEP_2)
	v_cmpx_ne_u16_e32 0, v8
	s_cbranch_execz .LBB301_763
; %bb.756:                              ;   in Loop: Header=BB301_11 Depth=1
	v_bfrev_b32_e32 v73, 1
	s_mov_b32 s17, exec_lo
	v_cmpx_ne_u16_e32 0x80, v8
	s_cbranch_execz .LBB301_762
; %bb.757:                              ;   in Loop: Header=BB301_11 Depth=1
	v_and_b32_e32 v75, 0xffff, v8
	v_mov_b32_e32 v73, 0x7c010000
	s_mov_b32 s18, exec_lo
	s_delay_alu instid0(VALU_DEP_2) | instskip(NEXT) | instid1(VALU_DEP_1)
	v_and_b32_e32 v93, 0x7f, v75
	v_cmpx_ne_u32_e32 0x7f, v93
	s_cbranch_execz .LBB301_761
; %bb.758:                              ;   in Loop: Header=BB301_11 Depth=1
	v_and_b32_e32 v73, 7, v75
	v_lshrrev_b32_e32 v92, 3, v93
	s_mov_b32 s19, exec_lo
	v_cmpx_gt_u32_e32 8, v93
; %bb.759:                              ;   in Loop: Header=BB301_11 Depth=1
	s_delay_alu instid0(VALU_DEP_3) | instskip(NEXT) | instid1(VALU_DEP_1)
	v_clz_i32_u32_e32 v73, v73
	v_min_u32_e32 v73, 32, v73
	s_delay_alu instid0(VALU_DEP_1) | instskip(NEXT) | instid1(VALU_DEP_1)
	v_subrev_nc_u32_e32 v92, 28, v73
	v_lshlrev_b64_e32 v[93:94], v92, v[8:9]
	v_sub_nc_u32_e32 v92, 29, v73
	s_delay_alu instid0(VALU_DEP_2)
	v_and_b32_e32 v73, 7, v93
; %bb.760:                              ;   in Loop: Header=BB301_11 Depth=1
	s_wait_alu 0xfffe
	s_or_b32 exec_lo, exec_lo, s19
	v_lshlrev_b32_e32 v8, 8, v75
	v_lshl_add_u32 v75, v92, 10, 0x2000
	v_lshlrev_b32_e32 v73, 23, v73
	s_delay_alu instid0(VALU_DEP_2) | instskip(NEXT) | instid1(VALU_DEP_1)
	v_and_or_b32 v8, 0x8000, v8, v75
	v_lshl_or_b32 v73, v8, 16, v73
.LBB301_761:                            ;   in Loop: Header=BB301_11 Depth=1
	s_wait_alu 0xfffe
	s_or_b32 exec_lo, exec_lo, s18
.LBB301_762:                            ;   in Loop: Header=BB301_11 Depth=1
	s_wait_alu 0xfffe
	s_or_b32 exec_lo, exec_lo, s17
.LBB301_763:                            ;   in Loop: Header=BB301_11 Depth=1
	s_wait_alu 0xfffe
	s_or_b32 exec_lo, exec_lo, s2
	v_lshrrev_b32_e32 v8, 16, v21
	s_mov_b32 s2, exec_lo
	s_delay_alu instid0(VALU_DEP_1) | instskip(NEXT) | instid1(VALU_DEP_1)
	v_and_b32_e32 v75, 0xff, v8
	v_cmpx_ne_u16_e32 0, v75
	s_cbranch_execz .LBB301_771
; %bb.764:                              ;   in Loop: Header=BB301_11 Depth=1
	v_mov_b32_e32 v74, 0x8000
	s_mov_b32 s17, exec_lo
	v_cmpx_ne_u16_e32 0x80, v75
	s_cbranch_execz .LBB301_770
; %bb.765:                              ;   in Loop: Header=BB301_11 Depth=1
	v_bfe_u32 v92, v21, 16, 7
	v_mov_b32_e32 v74, 0x7c01
	s_mov_b32 s18, exec_lo
	s_delay_alu instid0(VALU_DEP_2)
	v_cmpx_ne_u32_e32 0x7f, v92
	s_cbranch_execz .LBB301_769
; %bb.766:                              ;   in Loop: Header=BB301_11 Depth=1
	v_and_b32_e32 v74, 7, v8
	v_lshrrev_b32_e32 v75, 3, v92
	s_mov_b32 s19, exec_lo
	v_cmpx_gt_u32_e32 8, v92
; %bb.767:                              ;   in Loop: Header=BB301_11 Depth=1
	s_delay_alu instid0(VALU_DEP_3) | instskip(NEXT) | instid1(VALU_DEP_1)
	v_clz_i32_u32_e32 v74, v74
	v_min_u32_e32 v92, 32, v74
	s_delay_alu instid0(VALU_DEP_1) | instskip(NEXT) | instid1(VALU_DEP_1)
	v_subrev_nc_u32_e32 v74, 28, v92
	v_lshlrev_b64_e32 v[74:75], v74, v[8:9]
	v_sub_nc_u32_e32 v75, 29, v92
	s_delay_alu instid0(VALU_DEP_2)
	v_and_b32_e32 v74, 7, v74
; %bb.768:                              ;   in Loop: Header=BB301_11 Depth=1
	s_wait_alu 0xfffe
	s_or_b32 exec_lo, exec_lo, s19
	v_lshlrev_b32_e32 v8, 8, v8
	v_lshl_add_u32 v75, v75, 10, 0x2000
	v_lshlrev_b32_e32 v74, 7, v74
	s_delay_alu instid0(VALU_DEP_3) | instskip(NEXT) | instid1(VALU_DEP_3)
	v_and_b32_e32 v8, 0x8000, v8
	v_and_b32_e32 v75, 0xfc00, v75
	s_delay_alu instid0(VALU_DEP_1)
	v_or3_b32 v74, v8, v75, v74
.LBB301_769:                            ;   in Loop: Header=BB301_11 Depth=1
	s_wait_alu 0xfffe
	s_or_b32 exec_lo, exec_lo, s18
.LBB301_770:                            ;   in Loop: Header=BB301_11 Depth=1
	s_wait_alu 0xfffe
	s_or_b32 exec_lo, exec_lo, s17
.LBB301_771:                            ;   in Loop: Header=BB301_11 Depth=1
	s_wait_alu 0xfffe
	s_or_b32 exec_lo, exec_lo, s2
	v_mov_b32_e32 v75, 0
	s_mov_b32 s2, exec_lo
	v_cmpx_lt_u64_e64 s[8:9], v[20:21]
	s_cbranch_execz .LBB301_10
; %bb.772:                              ;   in Loop: Header=BB301_11 Depth=1
	v_lshrrev_b32_e32 v8, 24, v21
	v_bfrev_b32_e32 v75, 1
	s_mov_b32 s17, exec_lo
	s_delay_alu instid0(VALU_DEP_2)
	v_cmpx_ne_u32_e32 0x80, v8
	s_cbranch_execz .LBB301_9
; %bb.773:                              ;   in Loop: Header=BB301_11 Depth=1
	v_and_b32_e32 v92, 0x7f, v8
	v_mov_b32_e32 v75, 0x7c010000
	s_mov_b32 s18, exec_lo
	s_delay_alu instid0(VALU_DEP_2)
	v_cmpx_ne_u32_e32 0x7f, v92
	s_cbranch_execz .LBB301_8
; %bb.774:                              ;   in Loop: Header=BB301_11 Depth=1
	v_and_b32_e32 v20, 7, v8
	v_lshrrev_b32_e32 v21, 3, v92
	s_mov_b32 s19, exec_lo
	v_cmpx_gt_u32_e32 8, v92
	s_cbranch_execz .LBB301_7
; %bb.775:                              ;   in Loop: Header=BB301_11 Depth=1
	v_clz_i32_u32_e32 v20, v20
	s_delay_alu instid0(VALU_DEP_1) | instskip(NEXT) | instid1(VALU_DEP_1)
	v_min_u32_e32 v75, 32, v20
	v_subrev_nc_u32_e32 v20, 28, v75
	s_delay_alu instid0(VALU_DEP_1) | instskip(SKIP_1) | instid1(VALU_DEP_2)
	v_lshlrev_b64_e32 v[20:21], v20, v[8:9]
	v_sub_nc_u32_e32 v21, 29, v75
	v_and_b32_e32 v20, 7, v20
	s_branch .LBB301_7
.LBB301_776:
	s_or_b32 exec_lo, exec_lo, s7
.LBB301_777:
	s_delay_alu instid0(SALU_CYCLE_1) | instskip(SKIP_2) | instid1(VALU_DEP_2)
	s_or_b32 exec_lo, exec_lo, s16
	v_mbcnt_lo_u32_b32 v8, -1, 0
	v_max_num_f32_e32 v16, v48, v48
	v_xor_b32_e32 v9, 16, v8
	v_xor_b32_e32 v13, 8, v8
	;; [unrolled: 1-line block ×3, first 2 shown]
	s_delay_alu instid0(VALU_DEP_3) | instskip(SKIP_3) | instid1(VALU_DEP_2)
	v_cmp_gt_i32_e32 vcc_lo, 32, v9
	s_wait_alu 0xfffd
	v_cndmask_b32_e32 v9, v8, v9, vcc_lo
	v_cmp_gt_i32_e32 vcc_lo, 32, v13
	v_lshlrev_b32_e32 v17, 2, v9
	s_wait_alu 0xfffd
	v_cndmask_b32_e32 v13, v8, v13, vcc_lo
	ds_bpermute_b32 v9, v17, v48
	v_lshlrev_b32_e32 v18, 2, v13
	s_wait_dscnt 0x0
	v_max_num_f32_e32 v9, v9, v9
	s_delay_alu instid0(VALU_DEP_1)
	v_max_num_f32_e32 v9, v16, v9
	v_xor_b32_e32 v16, 4, v8
	ds_bpermute_b32 v13, v18, v9
	v_cmp_gt_i32_e32 vcc_lo, 32, v16
	s_wait_alu 0xfffd
	v_cndmask_b32_e32 v16, v8, v16, vcc_lo
	s_delay_alu instid0(VALU_DEP_1) | instskip(SKIP_1) | instid1(VALU_DEP_1)
	v_lshlrev_b32_e32 v19, 2, v16
	v_xor_b32_e32 v16, 2, v8
	v_cmp_gt_i32_e32 vcc_lo, 32, v16
	s_wait_dscnt 0x0
	s_wait_alu 0xfffd
	v_dual_max_num_f32 v13, v13, v13 :: v_dual_cndmask_b32 v16, v8, v16
	v_cmp_gt_i32_e32 vcc_lo, 32, v20
	s_delay_alu instid0(VALU_DEP_2)
	v_dual_max_num_f32 v9, v9, v13 :: v_dual_lshlrev_b32 v16, 2, v16
	s_wait_alu 0xfffd
	v_cndmask_b32_e32 v20, v8, v20, vcc_lo
	v_cmp_eq_u32_e32 vcc_lo, 0, v23
	ds_bpermute_b32 v13, v19, v9
	s_wait_dscnt 0x0
	v_max_num_f32_e32 v13, v13, v13
	s_delay_alu instid0(VALU_DEP_1) | instskip(SKIP_3) | instid1(VALU_DEP_1)
	v_max_num_f32_e32 v9, v9, v13
	ds_bpermute_b32 v13, v16, v9
	s_wait_dscnt 0x0
	v_max_num_f32_e32 v13, v13, v13
	v_dual_max_num_f32 v8, v9, v13 :: v_dual_lshlrev_b32 v13, 2, v20
	v_lshlrev_b32_e32 v20, 2, v31
	ds_bpermute_b32 v9, v13, v8
	s_and_saveexec_b32 s1, vcc_lo
	s_cbranch_execz .LBB301_779
; %bb.778:
	s_wait_dscnt 0x0
	v_dual_max_num_f32 v9, v9, v9 :: v_dual_max_num_f32 v8, v8, v8
	s_delay_alu instid0(VALU_DEP_1)
	v_max_num_f32_e32 v8, v8, v9
	ds_store_b32 v20, v8 offset:192
.LBB301_779:
	s_wait_alu 0xfffe
	s_or_b32 exec_lo, exec_lo, s1
	v_cmp_gt_u32_e64 s1, 4, v23
	v_mov_b32_e32 v8, 0xff7fffff
	s_wait_loadcnt_dscnt 0x0
	s_barrier_signal -1
	s_barrier_wait -1
	global_inv scope:SCOPE_SE
	s_and_saveexec_b32 s2, s1
; %bb.780:
	ds_load_b32 v8, v38 offset:192
; %bb.781:
	s_wait_alu 0xfffe
	s_or_b32 exec_lo, exec_lo, s2
	s_wait_dscnt 0x0
	ds_bpermute_b32 v9, v16, v8
	v_max_num_f32_e32 v8, v8, v8
	v_subrev_nc_u32_e32 v24, s3, v33
	v_mov_b32_e32 v21, 0
	s_wait_dscnt 0x0
	v_max_num_f32_e32 v9, v9, v9
	s_delay_alu instid0(VALU_DEP_1) | instskip(SKIP_3) | instid1(VALU_DEP_1)
	v_max_num_f32_e32 v8, v8, v9
	ds_bpermute_b32 v9, v13, v8
	s_wait_dscnt 0x0
	v_max_num_f32_e32 v9, v9, v9
	v_max_num_f32_e32 v8, v8, v9
	v_lshl_add_u32 v9, v24, 5, s12
	ds_bpermute_b32 v8, v21, v8
	v_min_i32_e32 v9, v9, v30
	s_delay_alu instid0(VALU_DEP_1) | instskip(NEXT) | instid1(VALU_DEP_1)
	v_subrev_nc_u32_e32 v9, s12, v9
	v_cmp_lt_i32_e64 s2, v12, v9
	s_and_saveexec_b32 s8, s2
	s_cbranch_execz .LBB301_785
; %bb.782:
	s_getpc_b64 s[16:17]
	s_wait_alu 0xfffe
	s_sext_i32_i16 s17, s17
	s_add_co_u32 s16, s16, llvm.amdgcn.dynlds.offset.table@rel32@lo+12
	s_wait_alu 0xfffe
	s_add_co_ci_u32 s17, s17, llvm.amdgcn.dynlds.offset.table@rel32@hi+24
	s_ashr_i32 s7, s6, 31
	v_mov_b32_e32 v21, 0
	s_wait_alu 0xfffe
	s_lshl_b64 s[18:19], s[6:7], 2
	v_mov_b32_e32 v25, v12
	s_wait_alu 0xfffe
	s_add_nc_u64 s[16:17], s[16:17], s[18:19]
	s_mov_b32 s7, 0
	s_load_b32 s3, s[16:17], 0x0
	s_wait_kmcnt 0x0
	v_lshl_add_u32 v24, v12, 2, s3
.LBB301_783:                            ; =>This Inner Loop Header: Depth=1
	ds_load_b32 v28, v24
	v_add_nc_u32_e32 v25, 0x80, v25
	s_delay_alu instid0(VALU_DEP_1) | instskip(SKIP_3) | instid1(VALU_DEP_1)
	v_cmp_ge_i32_e64 s3, v25, v9
	s_or_b32 s7, s3, s7
	s_wait_dscnt 0x0
	v_sub_f32_e32 v28, v28, v8
	v_mul_f32_e32 v28, 0x3fb8aa3b, v28
	s_delay_alu instid0(VALU_DEP_1)
	v_exp_f32_e32 v28, v28
	ds_store_b32 v24, v28
	v_add_f32_e32 v21, v21, v28
	v_add_nc_u32_e32 v24, 0x200, v24
	s_wait_alu 0xfffe
	s_and_not1_b32 exec_lo, exec_lo, s7
	s_cbranch_execnz .LBB301_783
; %bb.784:
	s_or_b32 exec_lo, exec_lo, s7
.LBB301_785:
	s_wait_alu 0xfffe
	s_or_b32 exec_lo, exec_lo, s8
	ds_bpermute_b32 v17, v17, v21
	s_wait_dscnt 0x0
	v_add_f32_e32 v17, v21, v17
	ds_bpermute_b32 v18, v18, v17
	s_wait_dscnt 0x0
	v_add_f32_e32 v17, v17, v18
	;; [unrolled: 3-line block ×5, first 2 shown]
	s_and_saveexec_b32 s3, vcc_lo
; %bb.786:
	ds_store_b32 v20, v17 offset:208
; %bb.787:
	s_wait_alu 0xfffe
	s_or_b32 exec_lo, exec_lo, s3
	s_wait_loadcnt_dscnt 0x0
	s_barrier_signal -1
	s_barrier_wait -1
	global_inv scope:SCOPE_SE
	s_and_saveexec_b32 s3, s1
; %bb.788:
	ds_load_b32 v17, v38 offset:208
; %bb.789:
	s_wait_alu 0xfffe
	s_or_b32 exec_lo, exec_lo, s3
	s_wait_dscnt 0x0
	ds_bpermute_b32 v18, v16, v17
	s_wait_dscnt 0x0
	v_add_f32_e32 v17, v17, v18
	ds_bpermute_b32 v18, v13, v17
	s_wait_dscnt 0x0
	v_dual_add_f32 v17, v17, v18 :: v_dual_mov_b32 v18, 0
	ds_bpermute_b32 v17, v18, v17
	s_and_saveexec_b32 s1, s2
	s_cbranch_execz .LBB301_792
; %bb.790:
	s_wait_dscnt 0x0
	v_add_f32_e32 v19, 0x358637bd, v17
	s_ashr_i32 s7, s6, 31
	s_getpc_b64 s[2:3]
	s_wait_alu 0xfffe
	s_sext_i32_i16 s3, s3
	s_add_co_u32 s2, s2, llvm.amdgcn.dynlds.offset.table@rel32@lo+12
	s_wait_alu 0xfffe
	s_add_co_ci_u32 s3, s3, llvm.amdgcn.dynlds.offset.table@rel32@hi+24
	s_lshl_b64 s[8:9], s[6:7], 2
	s_wait_alu 0xfffe
	s_add_nc_u64 s[2:3], s[2:3], s[8:9]
	v_div_scale_f32 v18, null, v19, v19, 1.0
	s_load_b32 s2, s[2:3], 0x0
	v_rcp_f32_e32 v20, v18
	s_delay_alu instid0(TRANS32_DEP_1) | instskip(NEXT) | instid1(VALU_DEP_1)
	v_fma_f32 v21, -v18, v20, 1.0
	v_fmac_f32_e32 v20, v21, v20
	v_div_scale_f32 v24, vcc_lo, 1.0, v19, 1.0
	s_delay_alu instid0(VALU_DEP_1) | instskip(NEXT) | instid1(VALU_DEP_1)
	v_mul_f32_e32 v21, v24, v20
	v_fma_f32 v25, -v18, v21, v24
	s_delay_alu instid0(VALU_DEP_1) | instskip(NEXT) | instid1(VALU_DEP_1)
	v_fmac_f32_e32 v21, v25, v20
	v_fma_f32 v18, -v18, v21, v24
	s_wait_alu 0xfffd
	s_delay_alu instid0(VALU_DEP_1) | instskip(SKIP_3) | instid1(VALU_DEP_2)
	v_div_fmas_f32 v20, v18, v20, v21
	s_wait_kmcnt 0x0
	v_lshl_add_u32 v18, v12, 2, s2
	s_mov_b32 s2, 0
	v_div_fixup_f32 v19, v20, v19, 1.0
	v_mov_b32_e32 v20, v12
.LBB301_791:                            ; =>This Inner Loop Header: Depth=1
	ds_load_b32 v21, v18
	s_wait_dscnt 0x0
	v_dual_mul_f32 v21, v19, v21 :: v_dual_add_nc_u32 v20, 0x80, v20
	s_delay_alu instid0(VALU_DEP_1)
	v_cmp_ge_i32_e32 vcc_lo, v20, v9
	ds_store_b32 v18, v21
	v_add_nc_u32_e32 v18, 0x200, v18
	s_wait_alu 0xfffe
	s_or_b32 s2, vcc_lo, s2
	s_wait_alu 0xfffe
	s_and_not1_b32 exec_lo, exec_lo, s2
	s_cbranch_execnz .LBB301_791
.LBB301_792:
	s_wait_alu 0xfffe
	s_or_b32 exec_lo, exec_lo, s1
	s_and_b32 s1, 0xffff, s15
	s_wait_loadcnt_dscnt 0x0
	s_wait_alu 0xfffe
	s_cmp_lg_u32 s1, 0
	s_barrier_signal -1
	s_cselect_b32 s1, -1, 0
	s_barrier_wait -1
	s_wait_alu 0xfffe
	s_cmp_lg_u32 s1, 0
	global_inv scope:SCOPE_SE
	s_wait_kmcnt 0x0
	s_add_co_ci_u32 s1, s5, 0
	s_mov_b32 s5, exec_lo
	s_wait_alu 0xfffe
	s_mul_i32 s2, s1, s13
	s_wait_alu 0xfffe
	s_mul_i32 s2, s2, s14
	v_cmpx_eq_u32_e32 0, v12
	s_cbranch_execz .LBB301_794
; %bb.793:
	s_wait_alu 0xfffe
	s_ashr_i32 s3, s2, 31
	s_mul_i32 s8, s1, ttmp9
	s_wait_alu 0xfffe
	s_lshl_b64 s[14:15], s[2:3], 2
	s_ashr_i32 s9, s8, 31
	s_wait_alu 0xfffe
	v_add_co_u32 v2, vcc_lo, v2, s14
	s_wait_alu 0xfffd
	v_add_co_ci_u32_e64 v3, null, s15, v3, vcc_lo
	s_lshl_b64 s[8:9], s[8:9], 2
	s_lshl_b32 s3, s11, 2
	s_wait_alu 0xfffe
	v_add_co_u32 v2, vcc_lo, v2, s8
	s_wait_alu 0xfffd
	v_add_co_ci_u32_e64 v3, null, s9, v3, vcc_lo
	v_add_co_u32 v0, vcc_lo, v0, s14
	s_wait_alu 0xfffd
	v_add_co_ci_u32_e64 v1, null, s15, v1, vcc_lo
	s_delay_alu instid0(VALU_DEP_2) | instskip(SKIP_1) | instid1(VALU_DEP_2)
	v_add_co_u32 v9, vcc_lo, v0, s8
	s_wait_alu 0xfffd
	v_add_co_ci_u32_e64 v18, null, s9, v1, vcc_lo
	v_add_co_u32 v0, vcc_lo, v2, s3
	s_wait_alu 0xfffd
	v_add_co_ci_u32_e64 v1, null, 0, v3, vcc_lo
	;; [unrolled: 3-line block ×3, first 2 shown]
	flat_store_b32 v[0:1], v8
	flat_store_b32 v[2:3], v17
.LBB301_794:
	s_or_b32 exec_lo, exec_lo, s5
	s_and_saveexec_b32 s3, s0
	s_wait_alu 0xfffe
	s_xor_b32 s0, exec_lo, s3
; %bb.795:
	s_ashr_i32 s7, s6, 31
                                        ; implicit-def: $vgpr30
                                        ; implicit-def: $vgpr34
                                        ; implicit-def: $vgpr33
                                        ; implicit-def: $vgpr32
                                        ; implicit-def: $vgpr10
                                        ; implicit-def: $vgpr11
                                        ; implicit-def: $vgpr14
                                        ; implicit-def: $vgpr15
                                        ; implicit-def: $vgpr22
                                        ; implicit-def: $vgpr26_vgpr27
                                        ; implicit-def: $vgpr36
                                        ; implicit-def: $vgpr37
                                        ; implicit-def: $vgpr6_vgpr7
                                        ; implicit-def: $vgpr35
; %bb.796:
	s_wait_alu 0xfffe
	s_or_saveexec_b32 s3, s0
	v_dual_mov_b32 v0, s6 :: v_dual_and_b32 v17, 3, v12
	v_dual_mov_b32 v38, 0 :: v_dual_mov_b32 v1, s7
	v_dual_mov_b32 v49, 0 :: v_dual_mov_b32 v48, 0
	;; [unrolled: 1-line block ×6, first 2 shown]
	v_mov_b32_e32 v19, 0
	s_wait_alu 0xfffe
	s_xor_b32 exec_lo, exec_lo, s3
	s_cbranch_execz .LBB301_1592
; %bb.797:
	s_getpc_b64 s[8:9]
	s_wait_alu 0xfffe
	s_sext_i32_i16 s9, s9
	s_add_co_u32 s8, s8, llvm.amdgcn.dynlds.offset.table@rel32@lo+12
	s_wait_alu 0xfffe
	s_add_co_ci_u32 s9, s9, llvm.amdgcn.dynlds.offset.table@rel32@hi+24
	s_ashr_i32 s7, s6, 31
	v_dual_mov_b32 v1, 0 :: v_dual_lshlrev_b32 v0, 3, v12
	s_wait_alu 0xfffe
	s_lshl_b64 s[14:15], s[6:7], 2
	v_add_co_u32 v2, vcc_lo, v10, v36
	s_wait_alu 0xfffe
	s_add_nc_u64 s[8:9], s[8:9], s[14:15]
	v_dual_mov_b32 v19, 0 :: v_dual_and_b32 v8, 24, v0
	s_load_b32 s0, s[8:9], 0x0
	v_dual_mov_b32 v21, 0 :: v_dual_and_b32 v0, 0xf8, v0
	v_add_co_ci_u32_e64 v3, null, v11, v37, vcc_lo
	v_lshl_add_u32 v9, v31, 5, s12
	s_delay_alu instid0(VALU_DEP_3)
	v_add_co_u32 v2, vcc_lo, v2, v0
	v_dual_mov_b32 v29, 0 :: v_dual_lshlrev_b32 v0, 5, v17
	s_wait_alu 0xfffd
	v_add_co_ci_u32_e64 v3, null, 0, v3, vcc_lo
	v_add_co_u32 v6, vcc_lo, v6, v35
	s_wait_alu 0xfffd
	v_add_co_ci_u32_e64 v7, null, 0, v7, vcc_lo
	v_lshl_or_b32 v0, v31, 7, v0
	s_delay_alu instid0(VALU_DEP_3)
	v_add_co_u32 v6, vcc_lo, v14, v6
	v_dual_mov_b32 v25, 0 :: v_dual_add_nc_u32 v34, -1, v34
	s_wait_alu 0xfffd
	v_add_co_ci_u32_e64 v7, null, v15, v7, vcc_lo
	v_add3_u32 v14, v9, v8, 7
	s_wait_kmcnt 0x0
	v_dual_mov_b32 v18, 0 :: v_dual_add_nc_u32 v15, s0, v0
	v_dual_mov_b32 v20, 0 :: v_dual_mov_b32 v39, 0
	v_dual_mov_b32 v24, 0 :: v_dual_mov_b32 v49, 0
	v_mov_b32_e32 v28, 0
	v_mov_b32_e32 v48, 0
	;; [unrolled: 1-line block ×3, first 2 shown]
	s_mov_b32 s8, -1
	s_mov_b32 s9, 0xffffff
	s_mov_b32 s5, 0
	s_branch .LBB301_799
.LBB301_798:                            ;   in Loop: Header=BB301_799 Depth=1
	s_wait_alu 0xfffe
	s_or_b32 exec_lo, exec_lo, s0
	v_dual_add_f32 v10, v10, v11 :: v_dual_add_f32 v11, v100, v101
	v_add_f32_e32 v35, v98, v99
	v_add_f32_e32 v51, v80, v81
	v_add_co_u32 v6, s0, v6, 16
	s_delay_alu instid0(VALU_DEP_4) | instskip(NEXT) | instid1(VALU_DEP_4)
	v_dual_add_f32 v19, v19, v10 :: v_dual_add_f32 v20, v20, v11
	v_dual_add_f32 v10, v96, v97 :: v_dual_add_f32 v21, v21, v35
	;; [unrolled: 1-line block ×3, first 2 shown]
	s_wait_alu 0xf1ff
	v_add_co_ci_u32_e64 v7, null, 0, v7, s0
	s_delay_alu instid0(VALU_DEP_3)
	v_add_f32_e32 v24, v24, v10
	;;#ASMSTART
	v_pk_mul_f16 v10, v55, v102;

	;;#ASMEND
	;;#ASMSTART
	v_pk_mul_f16 v0, v52, v0;

	;;#ASMEND
	;; [unrolled: 4-line block ×4, first 2 shown]
	;;#ASMSTART
	v_pk_add_f16 v0, v10, v0;

	;;#ASMEND
	;;#ASMSTART
	v_pk_add_f16 v0, v0, v9;

	;;#ASMEND
	;; [unrolled: 4-line block ×3, first 2 shown]
	v_dual_add_f32 v11, v86, v87 :: v_dual_and_b32 v10, 0xffff, v0
	v_add_nc_u32_e32 v32, 4, v32
	;;#ASMSTART
	v_cvt_f32_f16 v10, v10;
	;;#ASMEND
	s_delay_alu instid0(VALU_DEP_2)
	v_dual_add_f32 v8, v68, v69 :: v_dual_add_f32 v25, v25, v11
	v_lshrrev_b32_e32 v11, 16, v0
	v_add_f32_e32 v0, v70, v71
	v_add_f32_e32 v39, v39, v51
	;; [unrolled: 1-line block ×3, first 2 shown]
	;;#ASMSTART
	v_cvt_f32_f16 v11, v11;
	;;#ASMEND
	v_dual_add_f32 v10, v10, v11 :: v_dual_add_f32 v49, v49, v8
	v_cmp_ge_i32_e32 vcc_lo, v32, v33
	v_dual_add_f32 v28, v28, v35 :: v_dual_add_f32 v29, v29, v36
	v_add_f32_e32 v48, v48, v0
	v_dual_add_f32 v38, v38, v9 :: v_dual_add_nc_u32 v15, 0x200, v15
	v_add_f32_e32 v18, v18, v10
	v_add_nc_u32_e32 v14, 0x80, v14
	s_or_b32 s5, vcc_lo, s5
	s_wait_alu 0xfffe
	s_and_not1_b32 exec_lo, exec_lo, s5
	s_cbranch_execz .LBB301_1591
.LBB301_799:                            ; =>This Inner Loop Header: Depth=1
	flat_load_b32 v0, v[6:7]
	ds_load_2addr_b64 v[50:53], v15 offset1:1
	ds_load_2addr_b64 v[64:67], v15 offset0:2 offset1:3
	s_mov_b32 s0, exec_lo
	s_wait_dscnt 0x1
	;;#ASMSTART
	v_cvt_f16_f32 v37, v50;

	;;#ASMEND
	;;#ASMSTART
	v_cvt_f16_f32 v50, v51;

	;;#ASMEND
	;; [unrolled: 4-line block ×4, first 2 shown]
	s_wait_dscnt 0x0
	;;#ASMSTART
	v_cvt_f16_f32 v68, v64;

	;;#ASMEND
	;;#ASMSTART
	v_cvt_f16_f32 v54, v65;

	;;#ASMEND
	;; [unrolled: 4-line block ×4, first 2 shown]
	v_mov_b32_e32 v51, 0
	s_wait_loadcnt 0x0
	v_mad_co_i64_i32 v[8:9], null, v0, v22, v[2:3]
	flat_load_b64 v[10:11], v[8:9]
	flat_load_b32 v36, v[26:27]
	s_wait_loadcnt_dscnt 0x101
	v_and_b32_e32 v0, 0xff, v10
	s_delay_alu instid0(VALU_DEP_1)
	v_cmpx_ne_u16_e32 0, v0
	s_cbranch_execz .LBB301_807
; %bb.800:                              ;   in Loop: Header=BB301_799 Depth=1
	v_mov_b32_e32 v51, 0x8000
	s_mov_b32 s12, exec_lo
	v_cmpx_ne_u16_e32 0x80, v0
	s_cbranch_execz .LBB301_806
; %bb.801:                              ;   in Loop: Header=BB301_799 Depth=1
	v_and_b32_e32 v53, 0x7f, v10
	v_mov_b32_e32 v51, 0x7c01
	s_mov_b32 s13, exec_lo
	s_delay_alu instid0(VALU_DEP_2)
	v_cmpx_ne_u32_e32 0x7f, v53
	s_cbranch_execz .LBB301_805
; %bb.802:                              ;   in Loop: Header=BB301_799 Depth=1
	v_and_b32_e32 v0, 7, v10
	v_lshrrev_b32_e32 v35, 3, v53
	s_mov_b32 s14, exec_lo
	v_cmpx_gt_u32_e32 8, v53
; %bb.803:                              ;   in Loop: Header=BB301_799 Depth=1
	s_delay_alu instid0(VALU_DEP_3) | instskip(NEXT) | instid1(VALU_DEP_1)
	v_clz_i32_u32_e32 v0, v0
	v_min_u32_e32 v0, 32, v0
	s_delay_alu instid0(VALU_DEP_1) | instskip(NEXT) | instid1(VALU_DEP_1)
	v_subrev_nc_u32_e32 v35, 28, v0
	v_lshlrev_b64_e32 v[66:67], v35, v[10:11]
	v_sub_nc_u32_e32 v35, 29, v0
	s_delay_alu instid0(VALU_DEP_2)
	v_and_b32_e32 v0, 7, v66
; %bb.804:                              ;   in Loop: Header=BB301_799 Depth=1
	s_wait_alu 0xfffe
	s_or_b32 exec_lo, exec_lo, s14
	v_lshlrev_b32_e32 v51, 8, v10
	v_lshl_add_u32 v35, v35, 10, 0x2000
	v_lshlrev_b32_e32 v0, 7, v0
	s_delay_alu instid0(VALU_DEP_3) | instskip(NEXT) | instid1(VALU_DEP_3)
	v_and_b32_e32 v51, 0x8000, v51
	v_and_b32_e32 v35, 0xfc00, v35
	s_delay_alu instid0(VALU_DEP_1)
	v_or3_b32 v51, v51, v35, v0
.LBB301_805:                            ;   in Loop: Header=BB301_799 Depth=1
	s_wait_alu 0xfffe
	s_or_b32 exec_lo, exec_lo, s13
.LBB301_806:                            ;   in Loop: Header=BB301_799 Depth=1
	s_wait_alu 0xfffe
	s_or_b32 exec_lo, exec_lo, s12
.LBB301_807:                            ;   in Loop: Header=BB301_799 Depth=1
	s_wait_alu 0xfffe
	s_or_b32 exec_lo, exec_lo, s0
	v_lshrrev_b16 v0, 8, v10
	v_mov_b32_e32 v35, 0
	v_mov_b32_e32 v53, 0
	s_mov_b32 s0, exec_lo
	s_delay_alu instid0(VALU_DEP_3)
	v_cmpx_ne_u16_e32 0, v0
	s_cbranch_execz .LBB301_815
; %bb.808:                              ;   in Loop: Header=BB301_799 Depth=1
	v_bfrev_b32_e32 v53, 1
	s_mov_b32 s12, exec_lo
	v_cmpx_ne_u16_e32 0x80, v0
	s_cbranch_execz .LBB301_814
; %bb.809:                              ;   in Loop: Header=BB301_799 Depth=1
	v_and_b32_e32 v64, 0xffff, v0
	v_mov_b32_e32 v53, 0x7c010000
	s_mov_b32 s13, exec_lo
	s_delay_alu instid0(VALU_DEP_2) | instskip(NEXT) | instid1(VALU_DEP_1)
	v_and_b32_e32 v67, 0x7f, v64
	v_cmpx_ne_u32_e32 0x7f, v67
	s_cbranch_execz .LBB301_813
; %bb.810:                              ;   in Loop: Header=BB301_799 Depth=1
	v_and_b32_e32 v53, 7, v64
	v_lshrrev_b32_e32 v66, 3, v67
	s_mov_b32 s14, exec_lo
	v_cmpx_gt_u32_e32 8, v67
; %bb.811:                              ;   in Loop: Header=BB301_799 Depth=1
	s_delay_alu instid0(VALU_DEP_3) | instskip(NEXT) | instid1(VALU_DEP_1)
	v_clz_i32_u32_e32 v53, v53
	v_min_u32_e32 v53, 32, v53
	s_delay_alu instid0(VALU_DEP_1) | instskip(NEXT) | instid1(VALU_DEP_1)
	v_subrev_nc_u32_e32 v66, 28, v53
	v_lshlrev_b64_e32 v[70:71], v66, v[0:1]
	v_sub_nc_u32_e32 v66, 29, v53
	s_delay_alu instid0(VALU_DEP_2)
	v_and_b32_e32 v53, 7, v70
; %bb.812:                              ;   in Loop: Header=BB301_799 Depth=1
	s_wait_alu 0xfffe
	s_or_b32 exec_lo, exec_lo, s14
	v_lshlrev_b32_e32 v0, 8, v64
	v_lshl_add_u32 v64, v66, 10, 0x2000
	v_lshlrev_b32_e32 v53, 23, v53
	s_delay_alu instid0(VALU_DEP_2) | instskip(NEXT) | instid1(VALU_DEP_1)
	v_and_or_b32 v0, 0x8000, v0, v64
	v_lshl_or_b32 v53, v0, 16, v53
.LBB301_813:                            ;   in Loop: Header=BB301_799 Depth=1
	s_wait_alu 0xfffe
	s_or_b32 exec_lo, exec_lo, s13
.LBB301_814:                            ;   in Loop: Header=BB301_799 Depth=1
	s_wait_alu 0xfffe
	s_or_b32 exec_lo, exec_lo, s12
.LBB301_815:                            ;   in Loop: Header=BB301_799 Depth=1
	s_wait_alu 0xfffe
	s_or_b32 exec_lo, exec_lo, s0
	v_lshrrev_b32_e32 v0, 16, v10
	s_mov_b32 s0, exec_lo
	s_delay_alu instid0(VALU_DEP_1) | instskip(NEXT) | instid1(VALU_DEP_1)
	v_and_b32_e32 v64, 0xff, v0
	v_cmpx_ne_u16_e32 0, v64
	s_cbranch_execz .LBB301_823
; %bb.816:                              ;   in Loop: Header=BB301_799 Depth=1
	v_mov_b32_e32 v35, 0x8000
	s_mov_b32 s12, exec_lo
	v_cmpx_ne_u16_e32 0x80, v64
	s_cbranch_execz .LBB301_822
; %bb.817:                              ;   in Loop: Header=BB301_799 Depth=1
	v_bfe_u32 v66, v10, 16, 7
	v_mov_b32_e32 v35, 0x7c01
	s_mov_b32 s13, exec_lo
	s_delay_alu instid0(VALU_DEP_2)
	v_cmpx_ne_u32_e32 0x7f, v66
	s_cbranch_execz .LBB301_821
; %bb.818:                              ;   in Loop: Header=BB301_799 Depth=1
	v_and_b32_e32 v35, 7, v0
	v_lshrrev_b32_e32 v64, 3, v66
	s_mov_b32 s14, exec_lo
	v_cmpx_gt_u32_e32 8, v66
; %bb.819:                              ;   in Loop: Header=BB301_799 Depth=1
	s_delay_alu instid0(VALU_DEP_3) | instskip(NEXT) | instid1(VALU_DEP_1)
	v_clz_i32_u32_e32 v35, v35
	v_min_u32_e32 v35, 32, v35
	s_delay_alu instid0(VALU_DEP_1) | instskip(NEXT) | instid1(VALU_DEP_1)
	v_subrev_nc_u32_e32 v64, 28, v35
	v_lshlrev_b64_e32 v[66:67], v64, v[0:1]
	v_sub_nc_u32_e32 v64, 29, v35
	s_delay_alu instid0(VALU_DEP_2)
	v_and_b32_e32 v35, 7, v66
; %bb.820:                              ;   in Loop: Header=BB301_799 Depth=1
	s_wait_alu 0xfffe
	s_or_b32 exec_lo, exec_lo, s14
	v_lshlrev_b32_e32 v0, 8, v0
	v_lshl_add_u32 v64, v64, 10, 0x2000
	v_lshlrev_b32_e32 v35, 7, v35
	s_delay_alu instid0(VALU_DEP_3) | instskip(NEXT) | instid1(VALU_DEP_3)
	v_and_b32_e32 v0, 0x8000, v0
	v_and_b32_e32 v64, 0xfc00, v64
	s_delay_alu instid0(VALU_DEP_1)
	v_or3_b32 v35, v0, v64, v35
.LBB301_821:                            ;   in Loop: Header=BB301_799 Depth=1
	s_wait_alu 0xfffe
	s_or_b32 exec_lo, exec_lo, s13
.LBB301_822:                            ;   in Loop: Header=BB301_799 Depth=1
	s_wait_alu 0xfffe
	s_or_b32 exec_lo, exec_lo, s12
.LBB301_823:                            ;   in Loop: Header=BB301_799 Depth=1
	s_wait_alu 0xfffe
	s_or_b32 exec_lo, exec_lo, s0
	v_mov_b32_e32 v64, 0
	v_mov_b32_e32 v66, 0
	s_mov_b32 s0, exec_lo
	v_cmpx_lt_u32_e32 0xffffff, v10
	s_cbranch_execz .LBB301_831
; %bb.824:                              ;   in Loop: Header=BB301_799 Depth=1
	v_lshrrev_b32_e32 v0, 24, v10
	v_bfrev_b32_e32 v66, 1
	s_mov_b32 s12, exec_lo
	s_delay_alu instid0(VALU_DEP_2)
	v_cmpx_ne_u32_e32 0x80, v0
	s_cbranch_execz .LBB301_830
; %bb.825:                              ;   in Loop: Header=BB301_799 Depth=1
	v_and_b32_e32 v70, 0x7f, v0
	v_mov_b32_e32 v66, 0x7c010000
	s_mov_b32 s13, exec_lo
	s_delay_alu instid0(VALU_DEP_2)
	v_cmpx_ne_u32_e32 0x7f, v70
	s_cbranch_execz .LBB301_829
; %bb.826:                              ;   in Loop: Header=BB301_799 Depth=1
	v_and_b32_e32 v66, 7, v0
	v_lshrrev_b32_e32 v67, 3, v70
	s_mov_b32 s14, exec_lo
	v_cmpx_gt_u32_e32 8, v70
; %bb.827:                              ;   in Loop: Header=BB301_799 Depth=1
	s_delay_alu instid0(VALU_DEP_3) | instskip(NEXT) | instid1(VALU_DEP_1)
	v_clz_i32_u32_e32 v66, v66
	v_min_u32_e32 v70, 32, v66
	s_delay_alu instid0(VALU_DEP_1) | instskip(NEXT) | instid1(VALU_DEP_1)
	v_subrev_nc_u32_e32 v66, 28, v70
	v_lshlrev_b64_e32 v[66:67], v66, v[0:1]
	v_sub_nc_u32_e32 v67, 29, v70
	s_delay_alu instid0(VALU_DEP_2)
	v_and_b32_e32 v66, 7, v66
; %bb.828:                              ;   in Loop: Header=BB301_799 Depth=1
	s_wait_alu 0xfffe
	s_or_b32 exec_lo, exec_lo, s14
	v_lshlrev_b32_e32 v0, 8, v0
	v_lshl_add_u32 v67, v67, 10, 0x2000
	v_lshlrev_b32_e32 v66, 23, v66
	s_delay_alu instid0(VALU_DEP_2) | instskip(NEXT) | instid1(VALU_DEP_1)
	v_and_or_b32 v0, 0x8000, v0, v67
	v_lshl_or_b32 v66, v0, 16, v66
.LBB301_829:                            ;   in Loop: Header=BB301_799 Depth=1
	s_wait_alu 0xfffe
	s_or_b32 exec_lo, exec_lo, s13
.LBB301_830:                            ;   in Loop: Header=BB301_799 Depth=1
	s_wait_alu 0xfffe
	s_or_b32 exec_lo, exec_lo, s12
.LBB301_831:                            ;   in Loop: Header=BB301_799 Depth=1
	s_wait_alu 0xfffe
	s_or_b32 exec_lo, exec_lo, s0
	v_dual_mov_b32 v0, v11 :: v_dual_and_b32 v67, 0xff, v11
	s_mov_b32 s0, exec_lo
	s_delay_alu instid0(VALU_DEP_1)
	v_cmpx_ne_u16_e32 0, v67
	s_cbranch_execz .LBB301_839
; %bb.832:                              ;   in Loop: Header=BB301_799 Depth=1
	v_mov_b32_e32 v64, 0x8000
	s_mov_b32 s12, exec_lo
	v_cmpx_ne_u16_e32 0x80, v67
	s_cbranch_execz .LBB301_838
; %bb.833:                              ;   in Loop: Header=BB301_799 Depth=1
	v_and_b32_e32 v70, 0x7f, v11
	v_mov_b32_e32 v64, 0x7c01
	s_mov_b32 s13, exec_lo
	s_delay_alu instid0(VALU_DEP_2)
	v_cmpx_ne_u32_e32 0x7f, v70
	s_cbranch_execz .LBB301_837
; %bb.834:                              ;   in Loop: Header=BB301_799 Depth=1
	v_and_b32_e32 v64, 7, v11
	v_lshrrev_b32_e32 v67, 3, v70
	s_mov_b32 s14, exec_lo
	v_cmpx_gt_u32_e32 8, v70
; %bb.835:                              ;   in Loop: Header=BB301_799 Depth=1
	s_delay_alu instid0(VALU_DEP_3) | instskip(NEXT) | instid1(VALU_DEP_1)
	v_clz_i32_u32_e32 v64, v64
	v_min_u32_e32 v64, 32, v64
	s_delay_alu instid0(VALU_DEP_1) | instskip(NEXT) | instid1(VALU_DEP_1)
	v_subrev_nc_u32_e32 v67, 28, v64
	v_lshlrev_b64_e32 v[70:71], v67, v[0:1]
	v_sub_nc_u32_e32 v67, 29, v64
	s_delay_alu instid0(VALU_DEP_2)
	v_and_b32_e32 v64, 7, v70
; %bb.836:                              ;   in Loop: Header=BB301_799 Depth=1
	s_wait_alu 0xfffe
	s_or_b32 exec_lo, exec_lo, s14
	v_lshlrev_b32_e32 v70, 8, v11
	v_lshl_add_u32 v67, v67, 10, 0x2000
	v_lshlrev_b32_e32 v64, 7, v64
	s_delay_alu instid0(VALU_DEP_3) | instskip(NEXT) | instid1(VALU_DEP_3)
	v_and_b32_e32 v70, 0x8000, v70
	v_and_b32_e32 v67, 0xfc00, v67
	s_delay_alu instid0(VALU_DEP_1)
	v_or3_b32 v64, v70, v67, v64
.LBB301_837:                            ;   in Loop: Header=BB301_799 Depth=1
	s_wait_alu 0xfffe
	s_or_b32 exec_lo, exec_lo, s13
.LBB301_838:                            ;   in Loop: Header=BB301_799 Depth=1
	s_wait_alu 0xfffe
	s_or_b32 exec_lo, exec_lo, s12
.LBB301_839:                            ;   in Loop: Header=BB301_799 Depth=1
	s_wait_alu 0xfffe
	s_or_b32 exec_lo, exec_lo, s0
	v_lshrrev_b16 v0, 8, v0
	v_dual_mov_b32 v70, 0 :: v_dual_mov_b32 v67, 0
	s_mov_b32 s0, exec_lo
	s_delay_alu instid0(VALU_DEP_2)
	v_cmpx_ne_u16_e32 0, v0
	s_cbranch_execz .LBB301_847
; %bb.840:                              ;   in Loop: Header=BB301_799 Depth=1
	v_bfrev_b32_e32 v67, 1
	s_mov_b32 s12, exec_lo
	v_cmpx_ne_u16_e32 0x80, v0
	s_cbranch_execz .LBB301_846
; %bb.841:                              ;   in Loop: Header=BB301_799 Depth=1
	v_and_b32_e32 v71, 0xffff, v0
	v_mov_b32_e32 v67, 0x7c010000
	s_mov_b32 s13, exec_lo
	s_delay_alu instid0(VALU_DEP_2) | instskip(NEXT) | instid1(VALU_DEP_1)
	v_and_b32_e32 v81, 0x7f, v71
	v_cmpx_ne_u32_e32 0x7f, v81
	s_cbranch_execz .LBB301_845
; %bb.842:                              ;   in Loop: Header=BB301_799 Depth=1
	v_and_b32_e32 v67, 7, v71
	v_lshrrev_b32_e32 v80, 3, v81
	s_mov_b32 s14, exec_lo
	v_cmpx_gt_u32_e32 8, v81
; %bb.843:                              ;   in Loop: Header=BB301_799 Depth=1
	s_delay_alu instid0(VALU_DEP_3) | instskip(NEXT) | instid1(VALU_DEP_1)
	v_clz_i32_u32_e32 v67, v67
	v_min_u32_e32 v67, 32, v67
	s_delay_alu instid0(VALU_DEP_1) | instskip(NEXT) | instid1(VALU_DEP_1)
	v_subrev_nc_u32_e32 v80, 28, v67
	v_lshlrev_b64_e32 v[81:82], v80, v[0:1]
	v_sub_nc_u32_e32 v80, 29, v67
	s_delay_alu instid0(VALU_DEP_2)
	v_and_b32_e32 v67, 7, v81
; %bb.844:                              ;   in Loop: Header=BB301_799 Depth=1
	s_wait_alu 0xfffe
	s_or_b32 exec_lo, exec_lo, s14
	v_lshlrev_b32_e32 v0, 8, v71
	v_lshl_add_u32 v71, v80, 10, 0x2000
	v_lshlrev_b32_e32 v67, 23, v67
	s_delay_alu instid0(VALU_DEP_2) | instskip(NEXT) | instid1(VALU_DEP_1)
	v_and_or_b32 v0, 0x8000, v0, v71
	v_lshl_or_b32 v67, v0, 16, v67
.LBB301_845:                            ;   in Loop: Header=BB301_799 Depth=1
	s_wait_alu 0xfffe
	s_or_b32 exec_lo, exec_lo, s13
.LBB301_846:                            ;   in Loop: Header=BB301_799 Depth=1
	s_wait_alu 0xfffe
	s_or_b32 exec_lo, exec_lo, s12
.LBB301_847:                            ;   in Loop: Header=BB301_799 Depth=1
	s_wait_alu 0xfffe
	s_or_b32 exec_lo, exec_lo, s0
	v_lshrrev_b32_e32 v0, 16, v11
	s_mov_b32 s0, exec_lo
	s_delay_alu instid0(VALU_DEP_1) | instskip(NEXT) | instid1(VALU_DEP_1)
	v_and_b32_e32 v71, 0xff, v0
	v_cmpx_ne_u16_e32 0, v71
	s_cbranch_execz .LBB301_855
; %bb.848:                              ;   in Loop: Header=BB301_799 Depth=1
	v_mov_b32_e32 v70, 0x8000
	s_mov_b32 s12, exec_lo
	v_cmpx_ne_u16_e32 0x80, v71
	s_cbranch_execz .LBB301_854
; %bb.849:                              ;   in Loop: Header=BB301_799 Depth=1
	v_bfe_u32 v80, v11, 16, 7
	v_mov_b32_e32 v70, 0x7c01
	s_mov_b32 s13, exec_lo
	s_delay_alu instid0(VALU_DEP_2)
	v_cmpx_ne_u32_e32 0x7f, v80
	s_cbranch_execz .LBB301_853
; %bb.850:                              ;   in Loop: Header=BB301_799 Depth=1
	v_and_b32_e32 v70, 7, v0
	v_lshrrev_b32_e32 v71, 3, v80
	s_mov_b32 s14, exec_lo
	v_cmpx_gt_u32_e32 8, v80
; %bb.851:                              ;   in Loop: Header=BB301_799 Depth=1
	s_delay_alu instid0(VALU_DEP_3) | instskip(NEXT) | instid1(VALU_DEP_1)
	v_clz_i32_u32_e32 v70, v70
	v_min_u32_e32 v80, 32, v70
	s_delay_alu instid0(VALU_DEP_1) | instskip(NEXT) | instid1(VALU_DEP_1)
	v_subrev_nc_u32_e32 v70, 28, v80
	v_lshlrev_b64_e32 v[70:71], v70, v[0:1]
	v_sub_nc_u32_e32 v71, 29, v80
	s_delay_alu instid0(VALU_DEP_2)
	v_and_b32_e32 v70, 7, v70
; %bb.852:                              ;   in Loop: Header=BB301_799 Depth=1
	s_wait_alu 0xfffe
	s_or_b32 exec_lo, exec_lo, s14
	v_lshlrev_b32_e32 v0, 8, v0
	v_lshl_add_u32 v71, v71, 10, 0x2000
	v_lshlrev_b32_e32 v70, 7, v70
	s_delay_alu instid0(VALU_DEP_3) | instskip(NEXT) | instid1(VALU_DEP_3)
	v_and_b32_e32 v0, 0x8000, v0
	v_and_b32_e32 v71, 0xfc00, v71
	s_delay_alu instid0(VALU_DEP_1)
	v_or3_b32 v70, v0, v71, v70
.LBB301_853:                            ;   in Loop: Header=BB301_799 Depth=1
	s_wait_alu 0xfffe
	s_or_b32 exec_lo, exec_lo, s13
.LBB301_854:                            ;   in Loop: Header=BB301_799 Depth=1
	s_wait_alu 0xfffe
	s_or_b32 exec_lo, exec_lo, s12
.LBB301_855:                            ;   in Loop: Header=BB301_799 Depth=1
	s_wait_alu 0xfffe
	s_or_b32 exec_lo, exec_lo, s0
	v_cmp_lt_u64_e32 vcc_lo, s[8:9], v[10:11]
	v_mov_b32_e32 v10, 0
	s_and_saveexec_b32 s0, vcc_lo
	s_cbranch_execz .LBB301_863
; %bb.856:                              ;   in Loop: Header=BB301_799 Depth=1
	v_lshrrev_b32_e32 v0, 24, v11
	v_bfrev_b32_e32 v10, 1
	s_mov_b32 s12, exec_lo
	s_delay_alu instid0(VALU_DEP_2)
	v_cmpx_ne_u32_e32 0x80, v0
	s_cbranch_execz .LBB301_862
; %bb.857:                              ;   in Loop: Header=BB301_799 Depth=1
	v_and_b32_e32 v71, 0x7f, v0
	v_mov_b32_e32 v10, 0x7c010000
	s_mov_b32 s13, exec_lo
	s_delay_alu instid0(VALU_DEP_2)
	v_cmpx_ne_u32_e32 0x7f, v71
	s_cbranch_execz .LBB301_861
; %bb.858:                              ;   in Loop: Header=BB301_799 Depth=1
	v_and_b32_e32 v10, 7, v0
	v_lshrrev_b32_e32 v11, 3, v71
	s_mov_b32 s14, exec_lo
	v_cmpx_gt_u32_e32 8, v71
; %bb.859:                              ;   in Loop: Header=BB301_799 Depth=1
	s_delay_alu instid0(VALU_DEP_3) | instskip(NEXT) | instid1(VALU_DEP_1)
	v_clz_i32_u32_e32 v10, v10
	v_min_u32_e32 v71, 32, v10
	s_delay_alu instid0(VALU_DEP_1) | instskip(NEXT) | instid1(VALU_DEP_1)
	v_subrev_nc_u32_e32 v10, 28, v71
	v_lshlrev_b64_e32 v[10:11], v10, v[0:1]
	v_sub_nc_u32_e32 v11, 29, v71
	s_delay_alu instid0(VALU_DEP_2)
	v_and_b32_e32 v10, 7, v10
; %bb.860:                              ;   in Loop: Header=BB301_799 Depth=1
	s_wait_alu 0xfffe
	s_or_b32 exec_lo, exec_lo, s14
	v_lshlrev_b32_e32 v0, 8, v0
	v_lshl_add_u32 v11, v11, 10, 0x2000
	v_lshlrev_b32_e32 v10, 23, v10
	s_delay_alu instid0(VALU_DEP_2) | instskip(NEXT) | instid1(VALU_DEP_1)
	v_and_or_b32 v0, 0x8000, v0, v11
	v_lshl_or_b32 v10, v0, 16, v10
.LBB301_861:                            ;   in Loop: Header=BB301_799 Depth=1
	s_wait_alu 0xfffe
	s_or_b32 exec_lo, exec_lo, s13
.LBB301_862:                            ;   in Loop: Header=BB301_799 Depth=1
	s_wait_alu 0xfffe
	s_or_b32 exec_lo, exec_lo, s12
.LBB301_863:                            ;   in Loop: Header=BB301_799 Depth=1
	s_wait_alu 0xfffe
	s_or_b32 exec_lo, exec_lo, s0
	v_or_b32_e32 v0, v66, v35
	s_wait_loadcnt_dscnt 0x0
	v_fma_mixlo_f16 v11, v36, v66, 0 op_sel:[0,1,0] op_sel_hi:[0,1,0]
	v_or_b32_e32 v51, v53, v51
	v_fma_mixlo_f16 v53, v36, v53, 0 op_sel:[0,1,0] op_sel_hi:[0,1,0]
	v_or_b32_e32 v64, v67, v64
	v_fma_mixlo_f16 v0, v36, v0, 0 op_sel_hi:[0,1,0]
	v_or_b32_e32 v66, v10, v70
	v_fma_mixlo_f16 v10, v36, v10, 0 op_sel:[0,1,0] op_sel_hi:[0,1,0]
	v_lshlrev_b32_e32 v84, 16, v53
	v_fma_mixlo_f16 v53, v36, v64, 0 op_sel_hi:[0,1,0]
	v_and_b32_e32 v81, 0xffff, v0
	v_fma_mixlo_f16 v0, v36, v51, 0 op_sel_hi:[0,1,0]
	v_fma_mixlo_f16 v51, v36, v67, 0 op_sel:[0,1,0] op_sel_hi:[0,1,0]
	v_fma_mixlo_f16 v36, v36, v66, 0 op_sel_hi:[0,1,0]
	v_lshlrev_b32_e32 v11, 16, v11
	v_and_b32_e32 v85, 0xffff, v53
	v_and_b32_e32 v86, 0xffff, v0
	v_lshlrev_b32_e32 v82, 16, v51
	v_lshlrev_b32_e32 v71, 16, v10
	v_and_b32_e32 v83, 0xffff, v36
	v_add_nc_u32_e32 v35, -7, v14
	v_cmp_eq_u32_e32 vcc_lo, v34, v32
	v_or_b32_e32 v0, v11, v81
	v_or_b32_e32 v10, v84, v86
	;; [unrolled: 1-line block ×4, first 2 shown]
	v_add_nc_u32_e32 v67, -6, v14
	v_add_nc_u32_e32 v66, -5, v14
	;; [unrolled: 1-line block ×6, first 2 shown]
	s_and_saveexec_b32 s12, vcc_lo
	s_cbranch_execz .LBB301_865
; %bb.864:                              ;   in Loop: Header=BB301_799 Depth=1
	v_cmp_lt_i32_e64 s0, v35, v30
	s_wait_alu 0xf1ff
	s_delay_alu instid0(VALU_DEP_1) | instskip(SKIP_2) | instid1(VALU_DEP_1)
	v_cndmask_b32_e64 v0, 0, v86, s0
	v_cmp_lt_i32_e64 s0, v67, v30
	s_wait_alu 0xf1ff
	v_cndmask_b32_e64 v10, 0, v84, s0
	v_cmp_lt_i32_e64 s0, v66, v30
	s_delay_alu instid0(VALU_DEP_2) | instskip(SKIP_1) | instid1(VALU_DEP_2)
	v_or_b32_e32 v10, v0, v10
	s_wait_alu 0xf1ff
	v_cndmask_b32_e64 v70, 0, v81, s0
	v_cmp_lt_i32_e64 s0, v64, v30
	s_wait_alu 0xf1ff
	s_delay_alu instid0(VALU_DEP_1) | instskip(SKIP_1) | instid1(VALU_DEP_2)
	v_cndmask_b32_e64 v11, 0, v11, s0
	v_cmp_lt_i32_e64 s0, v53, v30
	v_or_b32_e32 v0, v70, v11
	s_wait_alu 0xf1ff
	s_delay_alu instid0(VALU_DEP_2) | instskip(SKIP_2) | instid1(VALU_DEP_1)
	v_cndmask_b32_e64 v80, 0, v85, s0
	v_cmp_lt_i32_e64 s0, v51, v30
	s_wait_alu 0xf1ff
	v_cndmask_b32_e64 v81, 0, v82, s0
	v_cmp_lt_i32_e64 s0, v36, v30
	s_delay_alu instid0(VALU_DEP_2) | instskip(SKIP_1) | instid1(VALU_DEP_2)
	v_or_b32_e32 v70, v80, v81
	s_wait_alu 0xf1ff
	v_cndmask_b32_e64 v82, 0, v83, s0
	v_cmp_lt_i32_e64 s0, v14, v30
	s_wait_alu 0xf1ff
	s_delay_alu instid0(VALU_DEP_1) | instskip(NEXT) | instid1(VALU_DEP_1)
	v_cndmask_b32_e64 v71, 0, v71, s0
	v_or_b32_e32 v80, v82, v71
.LBB301_865:                            ;   in Loop: Header=BB301_799 Depth=1
	s_wait_alu 0xfffe
	s_or_b32 exec_lo, exec_lo, s12
	v_and_b32_e32 v11, 0xffff, v37
	v_and_b32_e32 v37, 0xffff, v55
	v_and_b32_e32 v68, 0xffff, v68
	v_and_b32_e32 v69, 0xffff, v69
	s_mov_b32 s12, exec_lo
	v_lshl_or_b32 v55, v50, 16, v11
	v_lshl_or_b32 v52, v52, 16, v37
	;;#ASMSTART
	v_pk_mul_f16 v10, v55, v10;

	;;#ASMEND
	;;#ASMSTART
	v_pk_mul_f16 v0, v52, v0;

	;;#ASMEND
	v_lshl_or_b32 v37, v65, 16, v69
	v_mov_b32_e32 v69, 0
	v_lshl_or_b32 v50, v54, 16, v68
	;;#ASMSTART
	v_pk_mul_f16 v11, v50, v70;

	;;#ASMEND
	;;#ASMSTART
	v_pk_mul_f16 v54, v37, v80;

	;;#ASMEND
	;;#ASMSTART
	v_pk_add_f16 v0, v10, v0;

	;;#ASMEND
	;;#ASMSTART
	v_pk_add_f16 v0, v0, v11;
	;; [unrolled: 4-line block ×3, first 2 shown]

	;;#ASMEND
	v_and_b32_e32 v10, 0xffff, v0
	v_lshrrev_b32_e32 v0, 16, v0
	;;#ASMSTART
	v_cvt_f32_f16 v54, v10;
	;;#ASMEND
	;;#ASMSTART
	v_cvt_f32_f16 v65, v0;
	;;#ASMEND
	flat_load_b64 v[10:11], v[8:9] offset:256
	flat_load_b32 v68, v[26:27]
	v_mov_b32_e32 v70, 0
	s_wait_loadcnt_dscnt 0x101
	v_and_b32_e32 v0, 0xff, v10
	s_delay_alu instid0(VALU_DEP_1)
	v_cmpx_ne_u16_e32 0, v0
	s_cbranch_execz .LBB301_873
; %bb.866:                              ;   in Loop: Header=BB301_799 Depth=1
	v_mov_b32_e32 v70, 0x8000
	s_mov_b32 s13, exec_lo
	v_cmpx_ne_u16_e32 0x80, v0
	s_cbranch_execz .LBB301_872
; %bb.867:                              ;   in Loop: Header=BB301_799 Depth=1
	v_and_b32_e32 v71, 0x7f, v10
	v_mov_b32_e32 v70, 0x7c01
	s_mov_b32 s14, exec_lo
	s_delay_alu instid0(VALU_DEP_2)
	v_cmpx_ne_u32_e32 0x7f, v71
	s_cbranch_execz .LBB301_871
; %bb.868:                              ;   in Loop: Header=BB301_799 Depth=1
	v_and_b32_e32 v0, 7, v10
	v_lshrrev_b32_e32 v70, 3, v71
	s_mov_b32 s15, exec_lo
	v_cmpx_gt_u32_e32 8, v71
; %bb.869:                              ;   in Loop: Header=BB301_799 Depth=1
	s_delay_alu instid0(VALU_DEP_3) | instskip(NEXT) | instid1(VALU_DEP_1)
	v_clz_i32_u32_e32 v0, v0
	v_min_u32_e32 v0, 32, v0
	s_delay_alu instid0(VALU_DEP_1) | instskip(NEXT) | instid1(VALU_DEP_1)
	v_subrev_nc_u32_e32 v70, 28, v0
	v_lshlrev_b64_e32 v[80:81], v70, v[10:11]
	v_sub_nc_u32_e32 v70, 29, v0
	s_delay_alu instid0(VALU_DEP_2)
	v_and_b32_e32 v0, 7, v80
; %bb.870:                              ;   in Loop: Header=BB301_799 Depth=1
	s_wait_alu 0xfffe
	s_or_b32 exec_lo, exec_lo, s15
	v_lshlrev_b32_e32 v71, 8, v10
	v_lshl_add_u32 v70, v70, 10, 0x2000
	v_lshlrev_b32_e32 v0, 7, v0
	s_delay_alu instid0(VALU_DEP_3) | instskip(NEXT) | instid1(VALU_DEP_3)
	v_and_b32_e32 v71, 0x8000, v71
	v_and_b32_e32 v70, 0xfc00, v70
	s_delay_alu instid0(VALU_DEP_1)
	v_or3_b32 v70, v71, v70, v0
.LBB301_871:                            ;   in Loop: Header=BB301_799 Depth=1
	s_wait_alu 0xfffe
	s_or_b32 exec_lo, exec_lo, s14
.LBB301_872:                            ;   in Loop: Header=BB301_799 Depth=1
	s_wait_alu 0xfffe
	s_or_b32 exec_lo, exec_lo, s13
.LBB301_873:                            ;   in Loop: Header=BB301_799 Depth=1
	s_wait_alu 0xfffe
	s_or_b32 exec_lo, exec_lo, s12
	v_lshrrev_b16 v0, 8, v10
	s_mov_b32 s12, exec_lo
	s_delay_alu instid0(VALU_DEP_1)
	v_cmpx_ne_u16_e32 0, v0
	s_cbranch_execz .LBB301_881
; %bb.874:                              ;   in Loop: Header=BB301_799 Depth=1
	v_bfrev_b32_e32 v69, 1
	s_mov_b32 s13, exec_lo
	v_cmpx_ne_u16_e32 0x80, v0
	s_cbranch_execz .LBB301_880
; %bb.875:                              ;   in Loop: Header=BB301_799 Depth=1
	v_and_b32_e32 v71, 0xffff, v0
	v_mov_b32_e32 v69, 0x7c010000
	s_mov_b32 s14, exec_lo
	s_delay_alu instid0(VALU_DEP_2) | instskip(NEXT) | instid1(VALU_DEP_1)
	v_and_b32_e32 v81, 0x7f, v71
	v_cmpx_ne_u32_e32 0x7f, v81
	s_cbranch_execz .LBB301_879
; %bb.876:                              ;   in Loop: Header=BB301_799 Depth=1
	v_and_b32_e32 v69, 7, v71
	v_lshrrev_b32_e32 v80, 3, v81
	s_mov_b32 s15, exec_lo
	v_cmpx_gt_u32_e32 8, v81
; %bb.877:                              ;   in Loop: Header=BB301_799 Depth=1
	s_delay_alu instid0(VALU_DEP_3) | instskip(NEXT) | instid1(VALU_DEP_1)
	v_clz_i32_u32_e32 v69, v69
	v_min_u32_e32 v69, 32, v69
	s_delay_alu instid0(VALU_DEP_1) | instskip(NEXT) | instid1(VALU_DEP_1)
	v_subrev_nc_u32_e32 v80, 28, v69
	v_lshlrev_b64_e32 v[81:82], v80, v[0:1]
	v_sub_nc_u32_e32 v80, 29, v69
	s_delay_alu instid0(VALU_DEP_2)
	v_and_b32_e32 v69, 7, v81
; %bb.878:                              ;   in Loop: Header=BB301_799 Depth=1
	s_wait_alu 0xfffe
	s_or_b32 exec_lo, exec_lo, s15
	v_lshlrev_b32_e32 v0, 8, v71
	v_lshl_add_u32 v71, v80, 10, 0x2000
	v_lshlrev_b32_e32 v69, 23, v69
	s_delay_alu instid0(VALU_DEP_2) | instskip(NEXT) | instid1(VALU_DEP_1)
	v_and_or_b32 v0, 0x8000, v0, v71
	v_lshl_or_b32 v69, v0, 16, v69
.LBB301_879:                            ;   in Loop: Header=BB301_799 Depth=1
	s_wait_alu 0xfffe
	s_or_b32 exec_lo, exec_lo, s14
.LBB301_880:                            ;   in Loop: Header=BB301_799 Depth=1
	s_wait_alu 0xfffe
	s_or_b32 exec_lo, exec_lo, s13
.LBB301_881:                            ;   in Loop: Header=BB301_799 Depth=1
	s_wait_alu 0xfffe
	s_or_b32 exec_lo, exec_lo, s12
	v_lshrrev_b32_e32 v0, 16, v10
	v_mov_b32_e32 v71, 0
	s_mov_b32 s12, exec_lo
	s_delay_alu instid0(VALU_DEP_2) | instskip(NEXT) | instid1(VALU_DEP_1)
	v_dual_mov_b32 v80, 0 :: v_dual_and_b32 v81, 0xff, v0
	v_cmpx_ne_u16_e32 0, v81
	s_cbranch_execz .LBB301_889
; %bb.882:                              ;   in Loop: Header=BB301_799 Depth=1
	v_mov_b32_e32 v80, 0x8000
	s_mov_b32 s13, exec_lo
	v_cmpx_ne_u16_e32 0x80, v81
	s_cbranch_execz .LBB301_888
; %bb.883:                              ;   in Loop: Header=BB301_799 Depth=1
	v_bfe_u32 v82, v10, 16, 7
	v_mov_b32_e32 v80, 0x7c01
	s_mov_b32 s14, exec_lo
	s_delay_alu instid0(VALU_DEP_2)
	v_cmpx_ne_u32_e32 0x7f, v82
	s_cbranch_execz .LBB301_887
; %bb.884:                              ;   in Loop: Header=BB301_799 Depth=1
	v_and_b32_e32 v80, 7, v0
	v_lshrrev_b32_e32 v81, 3, v82
	s_mov_b32 s15, exec_lo
	v_cmpx_gt_u32_e32 8, v82
; %bb.885:                              ;   in Loop: Header=BB301_799 Depth=1
	s_delay_alu instid0(VALU_DEP_3) | instskip(NEXT) | instid1(VALU_DEP_1)
	v_clz_i32_u32_e32 v80, v80
	v_min_u32_e32 v82, 32, v80
	s_delay_alu instid0(VALU_DEP_1) | instskip(NEXT) | instid1(VALU_DEP_1)
	v_subrev_nc_u32_e32 v80, 28, v82
	v_lshlrev_b64_e32 v[80:81], v80, v[0:1]
	v_sub_nc_u32_e32 v81, 29, v82
	s_delay_alu instid0(VALU_DEP_2)
	v_and_b32_e32 v80, 7, v80
; %bb.886:                              ;   in Loop: Header=BB301_799 Depth=1
	s_wait_alu 0xfffe
	s_or_b32 exec_lo, exec_lo, s15
	v_lshlrev_b32_e32 v0, 8, v0
	v_lshl_add_u32 v81, v81, 10, 0x2000
	v_lshlrev_b32_e32 v80, 7, v80
	s_delay_alu instid0(VALU_DEP_3) | instskip(NEXT) | instid1(VALU_DEP_3)
	v_and_b32_e32 v0, 0x8000, v0
	v_and_b32_e32 v81, 0xfc00, v81
	s_delay_alu instid0(VALU_DEP_1)
	v_or3_b32 v80, v0, v81, v80
.LBB301_887:                            ;   in Loop: Header=BB301_799 Depth=1
	s_wait_alu 0xfffe
	s_or_b32 exec_lo, exec_lo, s14
.LBB301_888:                            ;   in Loop: Header=BB301_799 Depth=1
	s_wait_alu 0xfffe
	s_or_b32 exec_lo, exec_lo, s13
.LBB301_889:                            ;   in Loop: Header=BB301_799 Depth=1
	s_wait_alu 0xfffe
	s_or_b32 exec_lo, exec_lo, s12
	s_delay_alu instid0(SALU_CYCLE_1)
	s_mov_b32 s12, exec_lo
	v_cmpx_lt_u32_e32 0xffffff, v10
	s_cbranch_execz .LBB301_897
; %bb.890:                              ;   in Loop: Header=BB301_799 Depth=1
	v_lshrrev_b32_e32 v0, 24, v10
	v_bfrev_b32_e32 v71, 1
	s_mov_b32 s13, exec_lo
	s_delay_alu instid0(VALU_DEP_2)
	v_cmpx_ne_u32_e32 0x80, v0
	s_cbranch_execz .LBB301_896
; %bb.891:                              ;   in Loop: Header=BB301_799 Depth=1
	v_and_b32_e32 v82, 0x7f, v0
	v_mov_b32_e32 v71, 0x7c010000
	s_mov_b32 s14, exec_lo
	s_delay_alu instid0(VALU_DEP_2)
	v_cmpx_ne_u32_e32 0x7f, v82
	s_cbranch_execz .LBB301_895
; %bb.892:                              ;   in Loop: Header=BB301_799 Depth=1
	v_and_b32_e32 v71, 7, v0
	v_lshrrev_b32_e32 v81, 3, v82
	s_mov_b32 s15, exec_lo
	v_cmpx_gt_u32_e32 8, v82
; %bb.893:                              ;   in Loop: Header=BB301_799 Depth=1
	s_delay_alu instid0(VALU_DEP_3) | instskip(NEXT) | instid1(VALU_DEP_1)
	v_clz_i32_u32_e32 v71, v71
	v_min_u32_e32 v71, 32, v71
	s_delay_alu instid0(VALU_DEP_1) | instskip(NEXT) | instid1(VALU_DEP_1)
	v_subrev_nc_u32_e32 v81, 28, v71
	v_lshlrev_b64_e32 v[82:83], v81, v[0:1]
	v_sub_nc_u32_e32 v81, 29, v71
	s_delay_alu instid0(VALU_DEP_2)
	v_and_b32_e32 v71, 7, v82
; %bb.894:                              ;   in Loop: Header=BB301_799 Depth=1
	s_wait_alu 0xfffe
	s_or_b32 exec_lo, exec_lo, s15
	v_lshlrev_b32_e32 v0, 8, v0
	v_lshl_add_u32 v81, v81, 10, 0x2000
	v_lshlrev_b32_e32 v71, 23, v71
	s_delay_alu instid0(VALU_DEP_2) | instskip(NEXT) | instid1(VALU_DEP_1)
	v_and_or_b32 v0, 0x8000, v0, v81
	v_lshl_or_b32 v71, v0, 16, v71
.LBB301_895:                            ;   in Loop: Header=BB301_799 Depth=1
	s_wait_alu 0xfffe
	s_or_b32 exec_lo, exec_lo, s14
.LBB301_896:                            ;   in Loop: Header=BB301_799 Depth=1
	s_wait_alu 0xfffe
	s_or_b32 exec_lo, exec_lo, s13
.LBB301_897:                            ;   in Loop: Header=BB301_799 Depth=1
	s_wait_alu 0xfffe
	s_or_b32 exec_lo, exec_lo, s12
	v_dual_mov_b32 v0, v11 :: v_dual_and_b32 v83, 0xff, v11
	v_dual_mov_b32 v81, 0 :: v_dual_mov_b32 v82, 0
	s_mov_b32 s12, exec_lo
	s_delay_alu instid0(VALU_DEP_2)
	v_cmpx_ne_u16_e32 0, v83
	s_cbranch_execz .LBB301_905
; %bb.898:                              ;   in Loop: Header=BB301_799 Depth=1
	v_mov_b32_e32 v82, 0x8000
	s_mov_b32 s13, exec_lo
	v_cmpx_ne_u16_e32 0x80, v83
	s_cbranch_execz .LBB301_904
; %bb.899:                              ;   in Loop: Header=BB301_799 Depth=1
	v_and_b32_e32 v84, 0x7f, v11
	v_mov_b32_e32 v82, 0x7c01
	s_mov_b32 s14, exec_lo
	s_delay_alu instid0(VALU_DEP_2)
	v_cmpx_ne_u32_e32 0x7f, v84
	s_cbranch_execz .LBB301_903
; %bb.900:                              ;   in Loop: Header=BB301_799 Depth=1
	v_and_b32_e32 v82, 7, v11
	v_lshrrev_b32_e32 v83, 3, v84
	s_mov_b32 s15, exec_lo
	v_cmpx_gt_u32_e32 8, v84
; %bb.901:                              ;   in Loop: Header=BB301_799 Depth=1
	s_delay_alu instid0(VALU_DEP_3) | instskip(NEXT) | instid1(VALU_DEP_1)
	v_clz_i32_u32_e32 v82, v82
	v_min_u32_e32 v84, 32, v82
	s_delay_alu instid0(VALU_DEP_1) | instskip(NEXT) | instid1(VALU_DEP_1)
	v_subrev_nc_u32_e32 v82, 28, v84
	v_lshlrev_b64_e32 v[82:83], v82, v[0:1]
	v_sub_nc_u32_e32 v83, 29, v84
	s_delay_alu instid0(VALU_DEP_2)
	v_and_b32_e32 v82, 7, v82
; %bb.902:                              ;   in Loop: Header=BB301_799 Depth=1
	s_wait_alu 0xfffe
	s_or_b32 exec_lo, exec_lo, s15
	v_lshlrev_b32_e32 v84, 8, v11
	v_lshl_add_u32 v83, v83, 10, 0x2000
	v_lshlrev_b32_e32 v82, 7, v82
	s_delay_alu instid0(VALU_DEP_3) | instskip(NEXT) | instid1(VALU_DEP_3)
	v_and_b32_e32 v84, 0x8000, v84
	v_and_b32_e32 v83, 0xfc00, v83
	s_delay_alu instid0(VALU_DEP_1)
	v_or3_b32 v82, v84, v83, v82
.LBB301_903:                            ;   in Loop: Header=BB301_799 Depth=1
	s_wait_alu 0xfffe
	s_or_b32 exec_lo, exec_lo, s14
.LBB301_904:                            ;   in Loop: Header=BB301_799 Depth=1
	s_wait_alu 0xfffe
	s_or_b32 exec_lo, exec_lo, s13
.LBB301_905:                            ;   in Loop: Header=BB301_799 Depth=1
	s_wait_alu 0xfffe
	s_or_b32 exec_lo, exec_lo, s12
	v_lshrrev_b16 v0, 8, v0
	v_mov_b32_e32 v83, 0
	s_mov_b32 s12, exec_lo
	s_delay_alu instid0(VALU_DEP_2)
	v_cmpx_ne_u16_e32 0, v0
	s_cbranch_execz .LBB301_913
; %bb.906:                              ;   in Loop: Header=BB301_799 Depth=1
	v_bfrev_b32_e32 v83, 1
	s_mov_b32 s13, exec_lo
	v_cmpx_ne_u16_e32 0x80, v0
	s_cbranch_execz .LBB301_912
; %bb.907:                              ;   in Loop: Header=BB301_799 Depth=1
	v_and_b32_e32 v84, 0xffff, v0
	v_mov_b32_e32 v83, 0x7c010000
	s_mov_b32 s14, exec_lo
	s_delay_alu instid0(VALU_DEP_2) | instskip(NEXT) | instid1(VALU_DEP_1)
	v_and_b32_e32 v86, 0x7f, v84
	v_cmpx_ne_u32_e32 0x7f, v86
	s_cbranch_execz .LBB301_911
; %bb.908:                              ;   in Loop: Header=BB301_799 Depth=1
	v_and_b32_e32 v83, 7, v84
	v_lshrrev_b32_e32 v85, 3, v86
	s_mov_b32 s15, exec_lo
	v_cmpx_gt_u32_e32 8, v86
; %bb.909:                              ;   in Loop: Header=BB301_799 Depth=1
	s_delay_alu instid0(VALU_DEP_3) | instskip(NEXT) | instid1(VALU_DEP_1)
	v_clz_i32_u32_e32 v83, v83
	v_min_u32_e32 v83, 32, v83
	s_delay_alu instid0(VALU_DEP_1) | instskip(NEXT) | instid1(VALU_DEP_1)
	v_subrev_nc_u32_e32 v85, 28, v83
	v_lshlrev_b64_e32 v[86:87], v85, v[0:1]
	v_sub_nc_u32_e32 v85, 29, v83
	s_delay_alu instid0(VALU_DEP_2)
	v_and_b32_e32 v83, 7, v86
; %bb.910:                              ;   in Loop: Header=BB301_799 Depth=1
	s_wait_alu 0xfffe
	s_or_b32 exec_lo, exec_lo, s15
	v_lshlrev_b32_e32 v0, 8, v84
	v_lshl_add_u32 v84, v85, 10, 0x2000
	v_lshlrev_b32_e32 v83, 23, v83
	s_delay_alu instid0(VALU_DEP_2) | instskip(NEXT) | instid1(VALU_DEP_1)
	v_and_or_b32 v0, 0x8000, v0, v84
	v_lshl_or_b32 v83, v0, 16, v83
.LBB301_911:                            ;   in Loop: Header=BB301_799 Depth=1
	s_wait_alu 0xfffe
	s_or_b32 exec_lo, exec_lo, s14
.LBB301_912:                            ;   in Loop: Header=BB301_799 Depth=1
	s_wait_alu 0xfffe
	s_or_b32 exec_lo, exec_lo, s13
.LBB301_913:                            ;   in Loop: Header=BB301_799 Depth=1
	s_wait_alu 0xfffe
	s_or_b32 exec_lo, exec_lo, s12
	v_lshrrev_b32_e32 v0, 16, v11
	s_mov_b32 s12, exec_lo
	s_delay_alu instid0(VALU_DEP_1) | instskip(NEXT) | instid1(VALU_DEP_1)
	v_and_b32_e32 v84, 0xff, v0
	v_cmpx_ne_u16_e32 0, v84
	s_cbranch_execz .LBB301_921
; %bb.914:                              ;   in Loop: Header=BB301_799 Depth=1
	v_mov_b32_e32 v81, 0x8000
	s_mov_b32 s13, exec_lo
	v_cmpx_ne_u16_e32 0x80, v84
	s_cbranch_execz .LBB301_920
; %bb.915:                              ;   in Loop: Header=BB301_799 Depth=1
	v_bfe_u32 v85, v11, 16, 7
	v_mov_b32_e32 v81, 0x7c01
	s_mov_b32 s14, exec_lo
	s_delay_alu instid0(VALU_DEP_2)
	v_cmpx_ne_u32_e32 0x7f, v85
	s_cbranch_execz .LBB301_919
; %bb.916:                              ;   in Loop: Header=BB301_799 Depth=1
	v_and_b32_e32 v81, 7, v0
	v_lshrrev_b32_e32 v84, 3, v85
	s_mov_b32 s15, exec_lo
	v_cmpx_gt_u32_e32 8, v85
; %bb.917:                              ;   in Loop: Header=BB301_799 Depth=1
	s_delay_alu instid0(VALU_DEP_3) | instskip(NEXT) | instid1(VALU_DEP_1)
	v_clz_i32_u32_e32 v81, v81
	v_min_u32_e32 v81, 32, v81
	s_delay_alu instid0(VALU_DEP_1) | instskip(NEXT) | instid1(VALU_DEP_1)
	v_subrev_nc_u32_e32 v84, 28, v81
	v_lshlrev_b64_e32 v[85:86], v84, v[0:1]
	v_sub_nc_u32_e32 v84, 29, v81
	s_delay_alu instid0(VALU_DEP_2)
	v_and_b32_e32 v81, 7, v85
; %bb.918:                              ;   in Loop: Header=BB301_799 Depth=1
	s_wait_alu 0xfffe
	s_or_b32 exec_lo, exec_lo, s15
	v_lshlrev_b32_e32 v0, 8, v0
	v_lshl_add_u32 v84, v84, 10, 0x2000
	v_lshlrev_b32_e32 v81, 7, v81
	s_delay_alu instid0(VALU_DEP_3) | instskip(NEXT) | instid1(VALU_DEP_3)
	v_and_b32_e32 v0, 0x8000, v0
	v_and_b32_e32 v84, 0xfc00, v84
	s_delay_alu instid0(VALU_DEP_1)
	v_or3_b32 v81, v0, v84, v81
.LBB301_919:                            ;   in Loop: Header=BB301_799 Depth=1
	s_wait_alu 0xfffe
	s_or_b32 exec_lo, exec_lo, s14
.LBB301_920:                            ;   in Loop: Header=BB301_799 Depth=1
	s_wait_alu 0xfffe
	s_or_b32 exec_lo, exec_lo, s13
.LBB301_921:                            ;   in Loop: Header=BB301_799 Depth=1
	s_wait_alu 0xfffe
	s_or_b32 exec_lo, exec_lo, s12
	v_cmp_lt_u64_e64 s0, s[8:9], v[10:11]
	v_mov_b32_e32 v10, 0
	s_and_saveexec_b32 s12, s0
	s_cbranch_execz .LBB301_929
; %bb.922:                              ;   in Loop: Header=BB301_799 Depth=1
	v_lshrrev_b32_e32 v0, 24, v11
	v_bfrev_b32_e32 v10, 1
	s_mov_b32 s13, exec_lo
	s_delay_alu instid0(VALU_DEP_2)
	v_cmpx_ne_u32_e32 0x80, v0
	s_cbranch_execz .LBB301_928
; %bb.923:                              ;   in Loop: Header=BB301_799 Depth=1
	v_and_b32_e32 v84, 0x7f, v0
	v_mov_b32_e32 v10, 0x7c010000
	s_mov_b32 s14, exec_lo
	s_delay_alu instid0(VALU_DEP_2)
	v_cmpx_ne_u32_e32 0x7f, v84
	s_cbranch_execz .LBB301_927
; %bb.924:                              ;   in Loop: Header=BB301_799 Depth=1
	v_and_b32_e32 v10, 7, v0
	v_lshrrev_b32_e32 v11, 3, v84
	s_mov_b32 s15, exec_lo
	v_cmpx_gt_u32_e32 8, v84
; %bb.925:                              ;   in Loop: Header=BB301_799 Depth=1
	s_delay_alu instid0(VALU_DEP_3) | instskip(NEXT) | instid1(VALU_DEP_1)
	v_clz_i32_u32_e32 v10, v10
	v_min_u32_e32 v84, 32, v10
	s_delay_alu instid0(VALU_DEP_1) | instskip(NEXT) | instid1(VALU_DEP_1)
	v_subrev_nc_u32_e32 v10, 28, v84
	v_lshlrev_b64_e32 v[10:11], v10, v[0:1]
	v_sub_nc_u32_e32 v11, 29, v84
	s_delay_alu instid0(VALU_DEP_2)
	v_and_b32_e32 v10, 7, v10
; %bb.926:                              ;   in Loop: Header=BB301_799 Depth=1
	s_wait_alu 0xfffe
	s_or_b32 exec_lo, exec_lo, s15
	v_lshlrev_b32_e32 v0, 8, v0
	v_lshl_add_u32 v11, v11, 10, 0x2000
	v_lshlrev_b32_e32 v10, 23, v10
	s_delay_alu instid0(VALU_DEP_2) | instskip(NEXT) | instid1(VALU_DEP_1)
	v_and_or_b32 v0, 0x8000, v0, v11
	v_lshl_or_b32 v10, v0, 16, v10
.LBB301_927:                            ;   in Loop: Header=BB301_799 Depth=1
	s_wait_alu 0xfffe
	s_or_b32 exec_lo, exec_lo, s14
.LBB301_928:                            ;   in Loop: Header=BB301_799 Depth=1
	s_wait_alu 0xfffe
	s_or_b32 exec_lo, exec_lo, s13
.LBB301_929:                            ;   in Loop: Header=BB301_799 Depth=1
	s_wait_alu 0xfffe
	s_or_b32 exec_lo, exec_lo, s12
	v_or_b32_e32 v0, v71, v80
	s_wait_loadcnt_dscnt 0x0
	v_fma_mixlo_f16 v11, v68, v71, 0 op_sel:[0,1,0] op_sel_hi:[0,1,0]
	v_or_b32_e32 v71, v69, v70
	v_fma_mixlo_f16 v69, v68, v69, 0 op_sel:[0,1,0] op_sel_hi:[0,1,0]
	v_or_b32_e32 v80, v83, v82
	v_or_b32_e32 v81, v10, v81
	v_fma_mixlo_f16 v82, v68, v0, 0 op_sel_hi:[0,1,0]
	v_fma_mixlo_f16 v10, v68, v10, 0 op_sel:[0,1,0] op_sel_hi:[0,1,0]
	v_lshlrev_b32_e32 v70, 16, v69
	v_fma_mixlo_f16 v69, v68, v71, 0 op_sel_hi:[0,1,0]
	v_fma_mixlo_f16 v71, v68, v83, 0 op_sel:[0,1,0] op_sel_hi:[0,1,0]
	v_fma_mixlo_f16 v80, v68, v80, 0 op_sel_hi:[0,1,0]
	v_fma_mixlo_f16 v81, v68, v81, 0 op_sel_hi:[0,1,0]
	v_lshlrev_b32_e32 v0, 16, v11
	v_and_b32_e32 v11, 0xffff, v82
	v_and_b32_e32 v84, 0xffff, v69
	v_lshlrev_b32_e32 v68, 16, v71
	v_and_b32_e32 v80, 0xffff, v80
	v_lshlrev_b32_e32 v10, 16, v10
	v_and_b32_e32 v69, 0xffff, v81
	v_or_b32_e32 v71, v0, v11
	v_or_b32_e32 v83, v70, v84
	;; [unrolled: 1-line block ×3, first 2 shown]
	s_delay_alu instid0(VALU_DEP_4)
	v_or_b32_e32 v81, v10, v69
	s_and_saveexec_b32 s12, vcc_lo
	s_cbranch_execz .LBB301_931
; %bb.930:                              ;   in Loop: Header=BB301_799 Depth=1
	v_cmp_lt_i32_e64 s0, v35, v30
	s_wait_alu 0xf1ff
	s_delay_alu instid0(VALU_DEP_1) | instskip(SKIP_2) | instid1(VALU_DEP_1)
	v_cndmask_b32_e64 v71, 0, v84, s0
	v_cmp_lt_i32_e64 s0, v67, v30
	s_wait_alu 0xf1ff
	v_cndmask_b32_e64 v70, 0, v70, s0
	v_cmp_lt_i32_e64 s0, v66, v30
	s_delay_alu instid0(VALU_DEP_2) | instskip(SKIP_1) | instid1(VALU_DEP_2)
	v_or_b32_e32 v83, v71, v70
	s_wait_alu 0xf1ff
	v_cndmask_b32_e64 v11, 0, v11, s0
	v_cmp_lt_i32_e64 s0, v64, v30
	s_wait_alu 0xf1ff
	s_delay_alu instid0(VALU_DEP_1) | instskip(SKIP_1) | instid1(VALU_DEP_2)
	v_cndmask_b32_e64 v0, 0, v0, s0
	v_cmp_lt_i32_e64 s0, v53, v30
	v_or_b32_e32 v71, v11, v0
	s_wait_alu 0xf1ff
	s_delay_alu instid0(VALU_DEP_2) | instskip(SKIP_2) | instid1(VALU_DEP_1)
	v_cndmask_b32_e64 v80, 0, v80, s0
	v_cmp_lt_i32_e64 s0, v51, v30
	s_wait_alu 0xf1ff
	v_cndmask_b32_e64 v68, 0, v68, s0
	v_cmp_lt_i32_e64 s0, v36, v30
	s_delay_alu instid0(VALU_DEP_2) | instskip(SKIP_1) | instid1(VALU_DEP_2)
	v_or_b32_e32 v82, v80, v68
	s_wait_alu 0xf1ff
	v_cndmask_b32_e64 v69, 0, v69, s0
	v_cmp_lt_i32_e64 s0, v14, v30
	s_wait_alu 0xf1ff
	s_delay_alu instid0(VALU_DEP_1) | instskip(NEXT) | instid1(VALU_DEP_1)
	v_cndmask_b32_e64 v10, 0, v10, s0
	v_or_b32_e32 v81, v69, v10
.LBB301_931:                            ;   in Loop: Header=BB301_799 Depth=1
	s_wait_alu 0xfffe
	s_or_b32 exec_lo, exec_lo, s12
	;;#ASMSTART
	v_pk_mul_f16 v0, v55, v83;

	;;#ASMEND
	;;#ASMSTART
	v_pk_mul_f16 v10, v52, v71;

	;;#ASMEND
	;; [unrolled: 4-line block ×4, first 2 shown]
	;;#ASMSTART
	v_pk_add_f16 v0, v0, v10;

	;;#ASMEND
	;;#ASMSTART
	v_pk_add_f16 v0, v0, v11;

	;;#ASMEND
	;; [unrolled: 4-line block ×3, first 2 shown]
	v_dual_mov_b32 v71, 0 :: v_dual_and_b32 v10, 0xffff, v0
	v_lshrrev_b32_e32 v0, 16, v0
	;;#ASMSTART
	v_cvt_f32_f16 v68, v10;
	;;#ASMEND
	;;#ASMSTART
	v_cvt_f32_f16 v69, v0;
	;;#ASMEND
	flat_load_b64 v[10:11], v[8:9] offset:512
	flat_load_b32 v70, v[26:27]
	v_mov_b32_e32 v80, 0
	s_mov_b32 s12, exec_lo
	s_wait_loadcnt_dscnt 0x101
	v_and_b32_e32 v0, 0xff, v10
	s_delay_alu instid0(VALU_DEP_1)
	v_cmpx_ne_u16_e32 0, v0
	s_cbranch_execz .LBB301_939
; %bb.932:                              ;   in Loop: Header=BB301_799 Depth=1
	v_mov_b32_e32 v80, 0x8000
	s_mov_b32 s13, exec_lo
	v_cmpx_ne_u16_e32 0x80, v0
	s_cbranch_execz .LBB301_938
; %bb.933:                              ;   in Loop: Header=BB301_799 Depth=1
	v_and_b32_e32 v81, 0x7f, v10
	v_mov_b32_e32 v80, 0x7c01
	s_mov_b32 s14, exec_lo
	s_delay_alu instid0(VALU_DEP_2)
	v_cmpx_ne_u32_e32 0x7f, v81
	s_cbranch_execz .LBB301_937
; %bb.934:                              ;   in Loop: Header=BB301_799 Depth=1
	v_and_b32_e32 v0, 7, v10
	v_lshrrev_b32_e32 v80, 3, v81
	s_mov_b32 s15, exec_lo
	v_cmpx_gt_u32_e32 8, v81
; %bb.935:                              ;   in Loop: Header=BB301_799 Depth=1
	s_delay_alu instid0(VALU_DEP_3) | instskip(NEXT) | instid1(VALU_DEP_1)
	v_clz_i32_u32_e32 v0, v0
	v_min_u32_e32 v0, 32, v0
	s_delay_alu instid0(VALU_DEP_1) | instskip(NEXT) | instid1(VALU_DEP_1)
	v_subrev_nc_u32_e32 v80, 28, v0
	v_lshlrev_b64_e32 v[81:82], v80, v[10:11]
	v_sub_nc_u32_e32 v80, 29, v0
	s_delay_alu instid0(VALU_DEP_2)
	v_and_b32_e32 v0, 7, v81
; %bb.936:                              ;   in Loop: Header=BB301_799 Depth=1
	s_wait_alu 0xfffe
	s_or_b32 exec_lo, exec_lo, s15
	v_lshlrev_b32_e32 v81, 8, v10
	v_lshl_add_u32 v80, v80, 10, 0x2000
	v_lshlrev_b32_e32 v0, 7, v0
	s_delay_alu instid0(VALU_DEP_3) | instskip(NEXT) | instid1(VALU_DEP_3)
	v_and_b32_e32 v81, 0x8000, v81
	v_and_b32_e32 v80, 0xfc00, v80
	s_delay_alu instid0(VALU_DEP_1)
	v_or3_b32 v80, v81, v80, v0
.LBB301_937:                            ;   in Loop: Header=BB301_799 Depth=1
	s_wait_alu 0xfffe
	s_or_b32 exec_lo, exec_lo, s14
.LBB301_938:                            ;   in Loop: Header=BB301_799 Depth=1
	s_wait_alu 0xfffe
	s_or_b32 exec_lo, exec_lo, s13
.LBB301_939:                            ;   in Loop: Header=BB301_799 Depth=1
	s_wait_alu 0xfffe
	s_or_b32 exec_lo, exec_lo, s12
	v_lshrrev_b16 v0, 8, v10
	s_mov_b32 s12, exec_lo
	s_delay_alu instid0(VALU_DEP_1)
	v_cmpx_ne_u16_e32 0, v0
	s_cbranch_execz .LBB301_947
; %bb.940:                              ;   in Loop: Header=BB301_799 Depth=1
	v_bfrev_b32_e32 v71, 1
	s_mov_b32 s13, exec_lo
	v_cmpx_ne_u16_e32 0x80, v0
	s_cbranch_execz .LBB301_946
; %bb.941:                              ;   in Loop: Header=BB301_799 Depth=1
	v_and_b32_e32 v81, 0xffff, v0
	v_mov_b32_e32 v71, 0x7c010000
	s_mov_b32 s14, exec_lo
	s_delay_alu instid0(VALU_DEP_2) | instskip(NEXT) | instid1(VALU_DEP_1)
	v_and_b32_e32 v83, 0x7f, v81
	v_cmpx_ne_u32_e32 0x7f, v83
	s_cbranch_execz .LBB301_945
; %bb.942:                              ;   in Loop: Header=BB301_799 Depth=1
	v_and_b32_e32 v71, 7, v81
	v_lshrrev_b32_e32 v82, 3, v83
	s_mov_b32 s15, exec_lo
	v_cmpx_gt_u32_e32 8, v83
; %bb.943:                              ;   in Loop: Header=BB301_799 Depth=1
	s_delay_alu instid0(VALU_DEP_3) | instskip(NEXT) | instid1(VALU_DEP_1)
	v_clz_i32_u32_e32 v71, v71
	v_min_u32_e32 v71, 32, v71
	s_delay_alu instid0(VALU_DEP_1) | instskip(NEXT) | instid1(VALU_DEP_1)
	v_subrev_nc_u32_e32 v82, 28, v71
	v_lshlrev_b64_e32 v[83:84], v82, v[0:1]
	v_sub_nc_u32_e32 v82, 29, v71
	s_delay_alu instid0(VALU_DEP_2)
	v_and_b32_e32 v71, 7, v83
; %bb.944:                              ;   in Loop: Header=BB301_799 Depth=1
	s_wait_alu 0xfffe
	s_or_b32 exec_lo, exec_lo, s15
	v_lshlrev_b32_e32 v0, 8, v81
	v_lshl_add_u32 v81, v82, 10, 0x2000
	v_lshlrev_b32_e32 v71, 23, v71
	s_delay_alu instid0(VALU_DEP_2) | instskip(NEXT) | instid1(VALU_DEP_1)
	v_and_or_b32 v0, 0x8000, v0, v81
	v_lshl_or_b32 v71, v0, 16, v71
.LBB301_945:                            ;   in Loop: Header=BB301_799 Depth=1
	s_wait_alu 0xfffe
	s_or_b32 exec_lo, exec_lo, s14
.LBB301_946:                            ;   in Loop: Header=BB301_799 Depth=1
	s_wait_alu 0xfffe
	s_or_b32 exec_lo, exec_lo, s13
.LBB301_947:                            ;   in Loop: Header=BB301_799 Depth=1
	s_wait_alu 0xfffe
	s_or_b32 exec_lo, exec_lo, s12
	v_lshrrev_b32_e32 v0, 16, v10
	v_mov_b32_e32 v81, 0
	s_mov_b32 s12, exec_lo
	s_delay_alu instid0(VALU_DEP_2) | instskip(NEXT) | instid1(VALU_DEP_1)
	v_dual_mov_b32 v82, 0 :: v_dual_and_b32 v83, 0xff, v0
	v_cmpx_ne_u16_e32 0, v83
	s_cbranch_execz .LBB301_955
; %bb.948:                              ;   in Loop: Header=BB301_799 Depth=1
	v_mov_b32_e32 v82, 0x8000
	s_mov_b32 s13, exec_lo
	v_cmpx_ne_u16_e32 0x80, v83
	s_cbranch_execz .LBB301_954
; %bb.949:                              ;   in Loop: Header=BB301_799 Depth=1
	v_bfe_u32 v84, v10, 16, 7
	v_mov_b32_e32 v82, 0x7c01
	s_mov_b32 s14, exec_lo
	s_delay_alu instid0(VALU_DEP_2)
	v_cmpx_ne_u32_e32 0x7f, v84
	s_cbranch_execz .LBB301_953
; %bb.950:                              ;   in Loop: Header=BB301_799 Depth=1
	v_and_b32_e32 v82, 7, v0
	v_lshrrev_b32_e32 v83, 3, v84
	s_mov_b32 s15, exec_lo
	v_cmpx_gt_u32_e32 8, v84
; %bb.951:                              ;   in Loop: Header=BB301_799 Depth=1
	s_delay_alu instid0(VALU_DEP_3) | instskip(NEXT) | instid1(VALU_DEP_1)
	v_clz_i32_u32_e32 v82, v82
	v_min_u32_e32 v84, 32, v82
	s_delay_alu instid0(VALU_DEP_1) | instskip(NEXT) | instid1(VALU_DEP_1)
	v_subrev_nc_u32_e32 v82, 28, v84
	v_lshlrev_b64_e32 v[82:83], v82, v[0:1]
	v_sub_nc_u32_e32 v83, 29, v84
	s_delay_alu instid0(VALU_DEP_2)
	v_and_b32_e32 v82, 7, v82
; %bb.952:                              ;   in Loop: Header=BB301_799 Depth=1
	s_wait_alu 0xfffe
	s_or_b32 exec_lo, exec_lo, s15
	v_lshlrev_b32_e32 v0, 8, v0
	v_lshl_add_u32 v83, v83, 10, 0x2000
	v_lshlrev_b32_e32 v82, 7, v82
	s_delay_alu instid0(VALU_DEP_3) | instskip(NEXT) | instid1(VALU_DEP_3)
	v_and_b32_e32 v0, 0x8000, v0
	v_and_b32_e32 v83, 0xfc00, v83
	s_delay_alu instid0(VALU_DEP_1)
	v_or3_b32 v82, v0, v83, v82
.LBB301_953:                            ;   in Loop: Header=BB301_799 Depth=1
	s_wait_alu 0xfffe
	s_or_b32 exec_lo, exec_lo, s14
.LBB301_954:                            ;   in Loop: Header=BB301_799 Depth=1
	s_wait_alu 0xfffe
	s_or_b32 exec_lo, exec_lo, s13
.LBB301_955:                            ;   in Loop: Header=BB301_799 Depth=1
	s_wait_alu 0xfffe
	s_or_b32 exec_lo, exec_lo, s12
	s_delay_alu instid0(SALU_CYCLE_1)
	s_mov_b32 s12, exec_lo
	v_cmpx_lt_u32_e32 0xffffff, v10
	s_cbranch_execz .LBB301_963
; %bb.956:                              ;   in Loop: Header=BB301_799 Depth=1
	v_lshrrev_b32_e32 v0, 24, v10
	v_bfrev_b32_e32 v81, 1
	s_mov_b32 s13, exec_lo
	s_delay_alu instid0(VALU_DEP_2)
	v_cmpx_ne_u32_e32 0x80, v0
	s_cbranch_execz .LBB301_962
; %bb.957:                              ;   in Loop: Header=BB301_799 Depth=1
	v_and_b32_e32 v84, 0x7f, v0
	v_mov_b32_e32 v81, 0x7c010000
	s_mov_b32 s14, exec_lo
	s_delay_alu instid0(VALU_DEP_2)
	v_cmpx_ne_u32_e32 0x7f, v84
	s_cbranch_execz .LBB301_961
; %bb.958:                              ;   in Loop: Header=BB301_799 Depth=1
	v_and_b32_e32 v81, 7, v0
	v_lshrrev_b32_e32 v83, 3, v84
	s_mov_b32 s15, exec_lo
	v_cmpx_gt_u32_e32 8, v84
; %bb.959:                              ;   in Loop: Header=BB301_799 Depth=1
	s_delay_alu instid0(VALU_DEP_3) | instskip(NEXT) | instid1(VALU_DEP_1)
	v_clz_i32_u32_e32 v81, v81
	v_min_u32_e32 v81, 32, v81
	s_delay_alu instid0(VALU_DEP_1) | instskip(NEXT) | instid1(VALU_DEP_1)
	v_subrev_nc_u32_e32 v83, 28, v81
	v_lshlrev_b64_e32 v[84:85], v83, v[0:1]
	v_sub_nc_u32_e32 v83, 29, v81
	s_delay_alu instid0(VALU_DEP_2)
	v_and_b32_e32 v81, 7, v84
; %bb.960:                              ;   in Loop: Header=BB301_799 Depth=1
	s_wait_alu 0xfffe
	s_or_b32 exec_lo, exec_lo, s15
	v_lshlrev_b32_e32 v0, 8, v0
	v_lshl_add_u32 v83, v83, 10, 0x2000
	v_lshlrev_b32_e32 v81, 23, v81
	s_delay_alu instid0(VALU_DEP_2) | instskip(NEXT) | instid1(VALU_DEP_1)
	v_and_or_b32 v0, 0x8000, v0, v83
	v_lshl_or_b32 v81, v0, 16, v81
.LBB301_961:                            ;   in Loop: Header=BB301_799 Depth=1
	s_wait_alu 0xfffe
	s_or_b32 exec_lo, exec_lo, s14
.LBB301_962:                            ;   in Loop: Header=BB301_799 Depth=1
	s_wait_alu 0xfffe
	s_or_b32 exec_lo, exec_lo, s13
.LBB301_963:                            ;   in Loop: Header=BB301_799 Depth=1
	s_wait_alu 0xfffe
	s_or_b32 exec_lo, exec_lo, s12
	v_dual_mov_b32 v0, v11 :: v_dual_and_b32 v85, 0xff, v11
	v_dual_mov_b32 v83, 0 :: v_dual_mov_b32 v84, 0
	s_mov_b32 s12, exec_lo
	s_delay_alu instid0(VALU_DEP_2)
	v_cmpx_ne_u16_e32 0, v85
	s_cbranch_execz .LBB301_971
; %bb.964:                              ;   in Loop: Header=BB301_799 Depth=1
	v_mov_b32_e32 v84, 0x8000
	s_mov_b32 s13, exec_lo
	v_cmpx_ne_u16_e32 0x80, v85
	s_cbranch_execz .LBB301_970
; %bb.965:                              ;   in Loop: Header=BB301_799 Depth=1
	v_and_b32_e32 v86, 0x7f, v11
	v_mov_b32_e32 v84, 0x7c01
	s_mov_b32 s14, exec_lo
	s_delay_alu instid0(VALU_DEP_2)
	v_cmpx_ne_u32_e32 0x7f, v86
	s_cbranch_execz .LBB301_969
; %bb.966:                              ;   in Loop: Header=BB301_799 Depth=1
	v_and_b32_e32 v84, 7, v11
	v_lshrrev_b32_e32 v85, 3, v86
	s_mov_b32 s15, exec_lo
	v_cmpx_gt_u32_e32 8, v86
; %bb.967:                              ;   in Loop: Header=BB301_799 Depth=1
	s_delay_alu instid0(VALU_DEP_3) | instskip(NEXT) | instid1(VALU_DEP_1)
	v_clz_i32_u32_e32 v84, v84
	v_min_u32_e32 v86, 32, v84
	s_delay_alu instid0(VALU_DEP_1) | instskip(NEXT) | instid1(VALU_DEP_1)
	v_subrev_nc_u32_e32 v84, 28, v86
	v_lshlrev_b64_e32 v[84:85], v84, v[0:1]
	v_sub_nc_u32_e32 v85, 29, v86
	s_delay_alu instid0(VALU_DEP_2)
	v_and_b32_e32 v84, 7, v84
; %bb.968:                              ;   in Loop: Header=BB301_799 Depth=1
	s_wait_alu 0xfffe
	s_or_b32 exec_lo, exec_lo, s15
	v_lshlrev_b32_e32 v86, 8, v11
	v_lshl_add_u32 v85, v85, 10, 0x2000
	v_lshlrev_b32_e32 v84, 7, v84
	s_delay_alu instid0(VALU_DEP_3) | instskip(NEXT) | instid1(VALU_DEP_3)
	v_and_b32_e32 v86, 0x8000, v86
	v_and_b32_e32 v85, 0xfc00, v85
	s_delay_alu instid0(VALU_DEP_1)
	v_or3_b32 v84, v86, v85, v84
.LBB301_969:                            ;   in Loop: Header=BB301_799 Depth=1
	s_wait_alu 0xfffe
	s_or_b32 exec_lo, exec_lo, s14
.LBB301_970:                            ;   in Loop: Header=BB301_799 Depth=1
	s_wait_alu 0xfffe
	s_or_b32 exec_lo, exec_lo, s13
.LBB301_971:                            ;   in Loop: Header=BB301_799 Depth=1
	s_wait_alu 0xfffe
	s_or_b32 exec_lo, exec_lo, s12
	v_lshrrev_b16 v0, 8, v0
	v_mov_b32_e32 v85, 0
	s_mov_b32 s12, exec_lo
	s_delay_alu instid0(VALU_DEP_2)
	v_cmpx_ne_u16_e32 0, v0
	s_cbranch_execz .LBB301_979
; %bb.972:                              ;   in Loop: Header=BB301_799 Depth=1
	v_bfrev_b32_e32 v85, 1
	s_mov_b32 s13, exec_lo
	v_cmpx_ne_u16_e32 0x80, v0
	s_cbranch_execz .LBB301_978
; %bb.973:                              ;   in Loop: Header=BB301_799 Depth=1
	v_and_b32_e32 v86, 0xffff, v0
	v_mov_b32_e32 v85, 0x7c010000
	s_mov_b32 s14, exec_lo
	s_delay_alu instid0(VALU_DEP_2) | instskip(NEXT) | instid1(VALU_DEP_1)
	v_and_b32_e32 v96, 0x7f, v86
	v_cmpx_ne_u32_e32 0x7f, v96
	s_cbranch_execz .LBB301_977
; %bb.974:                              ;   in Loop: Header=BB301_799 Depth=1
	v_and_b32_e32 v85, 7, v86
	v_lshrrev_b32_e32 v87, 3, v96
	s_mov_b32 s15, exec_lo
	v_cmpx_gt_u32_e32 8, v96
; %bb.975:                              ;   in Loop: Header=BB301_799 Depth=1
	s_delay_alu instid0(VALU_DEP_3) | instskip(NEXT) | instid1(VALU_DEP_1)
	v_clz_i32_u32_e32 v85, v85
	v_min_u32_e32 v85, 32, v85
	s_delay_alu instid0(VALU_DEP_1) | instskip(NEXT) | instid1(VALU_DEP_1)
	v_subrev_nc_u32_e32 v87, 28, v85
	v_lshlrev_b64_e32 v[96:97], v87, v[0:1]
	v_sub_nc_u32_e32 v87, 29, v85
	s_delay_alu instid0(VALU_DEP_2)
	v_and_b32_e32 v85, 7, v96
; %bb.976:                              ;   in Loop: Header=BB301_799 Depth=1
	s_wait_alu 0xfffe
	s_or_b32 exec_lo, exec_lo, s15
	v_lshlrev_b32_e32 v0, 8, v86
	v_lshl_add_u32 v86, v87, 10, 0x2000
	v_lshlrev_b32_e32 v85, 23, v85
	s_delay_alu instid0(VALU_DEP_2) | instskip(NEXT) | instid1(VALU_DEP_1)
	v_and_or_b32 v0, 0x8000, v0, v86
	v_lshl_or_b32 v85, v0, 16, v85
.LBB301_977:                            ;   in Loop: Header=BB301_799 Depth=1
	s_wait_alu 0xfffe
	s_or_b32 exec_lo, exec_lo, s14
.LBB301_978:                            ;   in Loop: Header=BB301_799 Depth=1
	s_wait_alu 0xfffe
	s_or_b32 exec_lo, exec_lo, s13
.LBB301_979:                            ;   in Loop: Header=BB301_799 Depth=1
	s_wait_alu 0xfffe
	s_or_b32 exec_lo, exec_lo, s12
	v_lshrrev_b32_e32 v0, 16, v11
	s_mov_b32 s12, exec_lo
	s_delay_alu instid0(VALU_DEP_1) | instskip(NEXT) | instid1(VALU_DEP_1)
	v_and_b32_e32 v86, 0xff, v0
	v_cmpx_ne_u16_e32 0, v86
	s_cbranch_execz .LBB301_987
; %bb.980:                              ;   in Loop: Header=BB301_799 Depth=1
	v_mov_b32_e32 v83, 0x8000
	s_mov_b32 s13, exec_lo
	v_cmpx_ne_u16_e32 0x80, v86
	s_cbranch_execz .LBB301_986
; %bb.981:                              ;   in Loop: Header=BB301_799 Depth=1
	v_bfe_u32 v87, v11, 16, 7
	v_mov_b32_e32 v83, 0x7c01
	s_mov_b32 s14, exec_lo
	s_delay_alu instid0(VALU_DEP_2)
	v_cmpx_ne_u32_e32 0x7f, v87
	s_cbranch_execz .LBB301_985
; %bb.982:                              ;   in Loop: Header=BB301_799 Depth=1
	v_and_b32_e32 v83, 7, v0
	v_lshrrev_b32_e32 v86, 3, v87
	s_mov_b32 s15, exec_lo
	v_cmpx_gt_u32_e32 8, v87
; %bb.983:                              ;   in Loop: Header=BB301_799 Depth=1
	s_delay_alu instid0(VALU_DEP_3) | instskip(NEXT) | instid1(VALU_DEP_1)
	v_clz_i32_u32_e32 v83, v83
	v_min_u32_e32 v83, 32, v83
	s_delay_alu instid0(VALU_DEP_1) | instskip(NEXT) | instid1(VALU_DEP_1)
	v_subrev_nc_u32_e32 v86, 28, v83
	v_lshlrev_b64_e32 v[96:97], v86, v[0:1]
	v_sub_nc_u32_e32 v86, 29, v83
	s_delay_alu instid0(VALU_DEP_2)
	v_and_b32_e32 v83, 7, v96
; %bb.984:                              ;   in Loop: Header=BB301_799 Depth=1
	s_wait_alu 0xfffe
	s_or_b32 exec_lo, exec_lo, s15
	v_lshlrev_b32_e32 v0, 8, v0
	v_lshl_add_u32 v86, v86, 10, 0x2000
	v_lshlrev_b32_e32 v83, 7, v83
	s_delay_alu instid0(VALU_DEP_3) | instskip(NEXT) | instid1(VALU_DEP_3)
	v_and_b32_e32 v0, 0x8000, v0
	v_and_b32_e32 v86, 0xfc00, v86
	s_delay_alu instid0(VALU_DEP_1)
	v_or3_b32 v83, v0, v86, v83
.LBB301_985:                            ;   in Loop: Header=BB301_799 Depth=1
	s_wait_alu 0xfffe
	s_or_b32 exec_lo, exec_lo, s14
.LBB301_986:                            ;   in Loop: Header=BB301_799 Depth=1
	s_wait_alu 0xfffe
	s_or_b32 exec_lo, exec_lo, s13
.LBB301_987:                            ;   in Loop: Header=BB301_799 Depth=1
	s_wait_alu 0xfffe
	s_or_b32 exec_lo, exec_lo, s12
	v_cmp_lt_u64_e64 s0, s[8:9], v[10:11]
	v_mov_b32_e32 v10, 0
	s_and_saveexec_b32 s12, s0
	s_cbranch_execz .LBB301_995
; %bb.988:                              ;   in Loop: Header=BB301_799 Depth=1
	v_lshrrev_b32_e32 v0, 24, v11
	v_bfrev_b32_e32 v10, 1
	s_mov_b32 s13, exec_lo
	s_delay_alu instid0(VALU_DEP_2)
	v_cmpx_ne_u32_e32 0x80, v0
	s_cbranch_execz .LBB301_994
; %bb.989:                              ;   in Loop: Header=BB301_799 Depth=1
	v_and_b32_e32 v86, 0x7f, v0
	v_mov_b32_e32 v10, 0x7c010000
	s_mov_b32 s14, exec_lo
	s_delay_alu instid0(VALU_DEP_2)
	v_cmpx_ne_u32_e32 0x7f, v86
	s_cbranch_execz .LBB301_993
; %bb.990:                              ;   in Loop: Header=BB301_799 Depth=1
	v_and_b32_e32 v10, 7, v0
	v_lshrrev_b32_e32 v11, 3, v86
	s_mov_b32 s15, exec_lo
	v_cmpx_gt_u32_e32 8, v86
; %bb.991:                              ;   in Loop: Header=BB301_799 Depth=1
	s_delay_alu instid0(VALU_DEP_3) | instskip(NEXT) | instid1(VALU_DEP_1)
	v_clz_i32_u32_e32 v10, v10
	v_min_u32_e32 v86, 32, v10
	s_delay_alu instid0(VALU_DEP_1) | instskip(NEXT) | instid1(VALU_DEP_1)
	v_subrev_nc_u32_e32 v10, 28, v86
	v_lshlrev_b64_e32 v[10:11], v10, v[0:1]
	v_sub_nc_u32_e32 v11, 29, v86
	s_delay_alu instid0(VALU_DEP_2)
	v_and_b32_e32 v10, 7, v10
; %bb.992:                              ;   in Loop: Header=BB301_799 Depth=1
	s_wait_alu 0xfffe
	s_or_b32 exec_lo, exec_lo, s15
	v_lshlrev_b32_e32 v0, 8, v0
	v_lshl_add_u32 v11, v11, 10, 0x2000
	v_lshlrev_b32_e32 v10, 23, v10
	s_delay_alu instid0(VALU_DEP_2) | instskip(NEXT) | instid1(VALU_DEP_1)
	v_and_or_b32 v0, 0x8000, v0, v11
	v_lshl_or_b32 v10, v0, 16, v10
.LBB301_993:                            ;   in Loop: Header=BB301_799 Depth=1
	s_wait_alu 0xfffe
	s_or_b32 exec_lo, exec_lo, s14
.LBB301_994:                            ;   in Loop: Header=BB301_799 Depth=1
	s_wait_alu 0xfffe
	s_or_b32 exec_lo, exec_lo, s13
.LBB301_995:                            ;   in Loop: Header=BB301_799 Depth=1
	s_wait_alu 0xfffe
	s_or_b32 exec_lo, exec_lo, s12
	v_or_b32_e32 v0, v81, v82
	s_wait_loadcnt_dscnt 0x0
	v_fma_mixlo_f16 v11, v70, v81, 0 op_sel:[0,1,0] op_sel_hi:[0,1,0]
	v_or_b32_e32 v81, v71, v80
	v_fma_mixlo_f16 v71, v70, v71, 0 op_sel:[0,1,0] op_sel_hi:[0,1,0]
	v_or_b32_e32 v82, v85, v84
	v_or_b32_e32 v83, v10, v83
	v_fma_mixlo_f16 v84, v70, v0, 0 op_sel_hi:[0,1,0]
	v_fma_mixlo_f16 v10, v70, v10, 0 op_sel:[0,1,0] op_sel_hi:[0,1,0]
	v_lshlrev_b32_e32 v80, 16, v71
	v_fma_mixlo_f16 v71, v70, v81, 0 op_sel_hi:[0,1,0]
	v_fma_mixlo_f16 v81, v70, v85, 0 op_sel:[0,1,0] op_sel_hi:[0,1,0]
	v_fma_mixlo_f16 v82, v70, v82, 0 op_sel_hi:[0,1,0]
	v_fma_mixlo_f16 v83, v70, v83, 0 op_sel_hi:[0,1,0]
	v_lshlrev_b32_e32 v0, 16, v11
	v_and_b32_e32 v11, 0xffff, v84
	v_and_b32_e32 v86, 0xffff, v71
	v_lshlrev_b32_e32 v70, 16, v81
	v_and_b32_e32 v82, 0xffff, v82
	v_lshlrev_b32_e32 v10, 16, v10
	v_and_b32_e32 v71, 0xffff, v83
	v_or_b32_e32 v81, v0, v11
	v_or_b32_e32 v85, v80, v86
	;; [unrolled: 1-line block ×3, first 2 shown]
	s_delay_alu instid0(VALU_DEP_4)
	v_or_b32_e32 v83, v10, v71
	s_and_saveexec_b32 s12, vcc_lo
	s_cbranch_execz .LBB301_997
; %bb.996:                              ;   in Loop: Header=BB301_799 Depth=1
	v_cmp_lt_i32_e64 s0, v35, v30
	s_wait_alu 0xf1ff
	s_delay_alu instid0(VALU_DEP_1) | instskip(SKIP_2) | instid1(VALU_DEP_1)
	v_cndmask_b32_e64 v81, 0, v86, s0
	v_cmp_lt_i32_e64 s0, v67, v30
	s_wait_alu 0xf1ff
	v_cndmask_b32_e64 v80, 0, v80, s0
	v_cmp_lt_i32_e64 s0, v66, v30
	s_delay_alu instid0(VALU_DEP_2) | instskip(SKIP_1) | instid1(VALU_DEP_2)
	v_or_b32_e32 v85, v81, v80
	s_wait_alu 0xf1ff
	v_cndmask_b32_e64 v11, 0, v11, s0
	v_cmp_lt_i32_e64 s0, v64, v30
	s_wait_alu 0xf1ff
	s_delay_alu instid0(VALU_DEP_1) | instskip(SKIP_1) | instid1(VALU_DEP_2)
	v_cndmask_b32_e64 v0, 0, v0, s0
	v_cmp_lt_i32_e64 s0, v53, v30
	v_or_b32_e32 v81, v11, v0
	s_wait_alu 0xf1ff
	s_delay_alu instid0(VALU_DEP_2) | instskip(SKIP_2) | instid1(VALU_DEP_1)
	v_cndmask_b32_e64 v82, 0, v82, s0
	v_cmp_lt_i32_e64 s0, v51, v30
	s_wait_alu 0xf1ff
	v_cndmask_b32_e64 v70, 0, v70, s0
	v_cmp_lt_i32_e64 s0, v36, v30
	s_delay_alu instid0(VALU_DEP_2) | instskip(SKIP_1) | instid1(VALU_DEP_2)
	v_or_b32_e32 v84, v82, v70
	s_wait_alu 0xf1ff
	v_cndmask_b32_e64 v71, 0, v71, s0
	v_cmp_lt_i32_e64 s0, v14, v30
	s_wait_alu 0xf1ff
	s_delay_alu instid0(VALU_DEP_1) | instskip(NEXT) | instid1(VALU_DEP_1)
	v_cndmask_b32_e64 v10, 0, v10, s0
	v_or_b32_e32 v83, v71, v10
.LBB301_997:                            ;   in Loop: Header=BB301_799 Depth=1
	s_wait_alu 0xfffe
	s_or_b32 exec_lo, exec_lo, s12
	;;#ASMSTART
	v_pk_mul_f16 v0, v55, v85;

	;;#ASMEND
	;;#ASMSTART
	v_pk_mul_f16 v10, v52, v81;

	;;#ASMEND
	;; [unrolled: 4-line block ×4, first 2 shown]
	;;#ASMSTART
	v_pk_add_f16 v0, v0, v10;

	;;#ASMEND
	;;#ASMSTART
	v_pk_add_f16 v0, v0, v11;

	;;#ASMEND
	;; [unrolled: 4-line block ×3, first 2 shown]
	v_dual_mov_b32 v81, 0 :: v_dual_and_b32 v10, 0xffff, v0
	v_lshrrev_b32_e32 v0, 16, v0
	;;#ASMSTART
	v_cvt_f32_f16 v70, v10;
	;;#ASMEND
	;;#ASMSTART
	v_cvt_f32_f16 v71, v0;
	;;#ASMEND
	flat_load_b64 v[10:11], v[8:9] offset:768
	flat_load_b32 v80, v[26:27]
	v_mov_b32_e32 v82, 0
	s_mov_b32 s12, exec_lo
	s_wait_loadcnt_dscnt 0x101
	v_and_b32_e32 v0, 0xff, v10
	s_delay_alu instid0(VALU_DEP_1)
	v_cmpx_ne_u16_e32 0, v0
	s_cbranch_execz .LBB301_1005
; %bb.998:                              ;   in Loop: Header=BB301_799 Depth=1
	v_mov_b32_e32 v82, 0x8000
	s_mov_b32 s13, exec_lo
	v_cmpx_ne_u16_e32 0x80, v0
	s_cbranch_execz .LBB301_1004
; %bb.999:                              ;   in Loop: Header=BB301_799 Depth=1
	v_and_b32_e32 v83, 0x7f, v10
	v_mov_b32_e32 v82, 0x7c01
	s_mov_b32 s14, exec_lo
	s_delay_alu instid0(VALU_DEP_2)
	v_cmpx_ne_u32_e32 0x7f, v83
	s_cbranch_execz .LBB301_1003
; %bb.1000:                             ;   in Loop: Header=BB301_799 Depth=1
	v_and_b32_e32 v0, 7, v10
	v_lshrrev_b32_e32 v82, 3, v83
	s_mov_b32 s15, exec_lo
	v_cmpx_gt_u32_e32 8, v83
; %bb.1001:                             ;   in Loop: Header=BB301_799 Depth=1
	s_delay_alu instid0(VALU_DEP_3) | instskip(NEXT) | instid1(VALU_DEP_1)
	v_clz_i32_u32_e32 v0, v0
	v_min_u32_e32 v0, 32, v0
	s_delay_alu instid0(VALU_DEP_1) | instskip(NEXT) | instid1(VALU_DEP_1)
	v_subrev_nc_u32_e32 v82, 28, v0
	v_lshlrev_b64_e32 v[83:84], v82, v[10:11]
	v_sub_nc_u32_e32 v82, 29, v0
	s_delay_alu instid0(VALU_DEP_2)
	v_and_b32_e32 v0, 7, v83
; %bb.1002:                             ;   in Loop: Header=BB301_799 Depth=1
	s_wait_alu 0xfffe
	s_or_b32 exec_lo, exec_lo, s15
	v_lshlrev_b32_e32 v83, 8, v10
	v_lshl_add_u32 v82, v82, 10, 0x2000
	v_lshlrev_b32_e32 v0, 7, v0
	s_delay_alu instid0(VALU_DEP_3) | instskip(NEXT) | instid1(VALU_DEP_3)
	v_and_b32_e32 v83, 0x8000, v83
	v_and_b32_e32 v82, 0xfc00, v82
	s_delay_alu instid0(VALU_DEP_1)
	v_or3_b32 v82, v83, v82, v0
.LBB301_1003:                           ;   in Loop: Header=BB301_799 Depth=1
	s_wait_alu 0xfffe
	s_or_b32 exec_lo, exec_lo, s14
.LBB301_1004:                           ;   in Loop: Header=BB301_799 Depth=1
	s_wait_alu 0xfffe
	s_or_b32 exec_lo, exec_lo, s13
.LBB301_1005:                           ;   in Loop: Header=BB301_799 Depth=1
	s_wait_alu 0xfffe
	s_or_b32 exec_lo, exec_lo, s12
	v_lshrrev_b16 v0, 8, v10
	s_mov_b32 s12, exec_lo
	s_delay_alu instid0(VALU_DEP_1)
	v_cmpx_ne_u16_e32 0, v0
	s_cbranch_execz .LBB301_1013
; %bb.1006:                             ;   in Loop: Header=BB301_799 Depth=1
	v_bfrev_b32_e32 v81, 1
	s_mov_b32 s13, exec_lo
	v_cmpx_ne_u16_e32 0x80, v0
	s_cbranch_execz .LBB301_1012
; %bb.1007:                             ;   in Loop: Header=BB301_799 Depth=1
	v_and_b32_e32 v83, 0xffff, v0
	v_mov_b32_e32 v81, 0x7c010000
	s_mov_b32 s14, exec_lo
	s_delay_alu instid0(VALU_DEP_2) | instskip(NEXT) | instid1(VALU_DEP_1)
	v_and_b32_e32 v85, 0x7f, v83
	v_cmpx_ne_u32_e32 0x7f, v85
	s_cbranch_execz .LBB301_1011
; %bb.1008:                             ;   in Loop: Header=BB301_799 Depth=1
	v_and_b32_e32 v81, 7, v83
	v_lshrrev_b32_e32 v84, 3, v85
	s_mov_b32 s15, exec_lo
	v_cmpx_gt_u32_e32 8, v85
; %bb.1009:                             ;   in Loop: Header=BB301_799 Depth=1
	s_delay_alu instid0(VALU_DEP_3) | instskip(NEXT) | instid1(VALU_DEP_1)
	v_clz_i32_u32_e32 v81, v81
	v_min_u32_e32 v81, 32, v81
	s_delay_alu instid0(VALU_DEP_1) | instskip(NEXT) | instid1(VALU_DEP_1)
	v_subrev_nc_u32_e32 v84, 28, v81
	v_lshlrev_b64_e32 v[85:86], v84, v[0:1]
	v_sub_nc_u32_e32 v84, 29, v81
	s_delay_alu instid0(VALU_DEP_2)
	v_and_b32_e32 v81, 7, v85
; %bb.1010:                             ;   in Loop: Header=BB301_799 Depth=1
	s_wait_alu 0xfffe
	s_or_b32 exec_lo, exec_lo, s15
	v_lshlrev_b32_e32 v0, 8, v83
	v_lshl_add_u32 v83, v84, 10, 0x2000
	v_lshlrev_b32_e32 v81, 23, v81
	s_delay_alu instid0(VALU_DEP_2) | instskip(NEXT) | instid1(VALU_DEP_1)
	v_and_or_b32 v0, 0x8000, v0, v83
	v_lshl_or_b32 v81, v0, 16, v81
.LBB301_1011:                           ;   in Loop: Header=BB301_799 Depth=1
	s_wait_alu 0xfffe
	s_or_b32 exec_lo, exec_lo, s14
.LBB301_1012:                           ;   in Loop: Header=BB301_799 Depth=1
	s_wait_alu 0xfffe
	s_or_b32 exec_lo, exec_lo, s13
.LBB301_1013:                           ;   in Loop: Header=BB301_799 Depth=1
	s_wait_alu 0xfffe
	s_or_b32 exec_lo, exec_lo, s12
	v_lshrrev_b32_e32 v0, 16, v10
	v_mov_b32_e32 v83, 0
	s_mov_b32 s12, exec_lo
	s_delay_alu instid0(VALU_DEP_2) | instskip(NEXT) | instid1(VALU_DEP_1)
	v_dual_mov_b32 v84, 0 :: v_dual_and_b32 v85, 0xff, v0
	v_cmpx_ne_u16_e32 0, v85
	s_cbranch_execz .LBB301_1021
; %bb.1014:                             ;   in Loop: Header=BB301_799 Depth=1
	v_mov_b32_e32 v84, 0x8000
	s_mov_b32 s13, exec_lo
	v_cmpx_ne_u16_e32 0x80, v85
	s_cbranch_execz .LBB301_1020
; %bb.1015:                             ;   in Loop: Header=BB301_799 Depth=1
	v_bfe_u32 v86, v10, 16, 7
	v_mov_b32_e32 v84, 0x7c01
	s_mov_b32 s14, exec_lo
	s_delay_alu instid0(VALU_DEP_2)
	v_cmpx_ne_u32_e32 0x7f, v86
	s_cbranch_execz .LBB301_1019
; %bb.1016:                             ;   in Loop: Header=BB301_799 Depth=1
	v_and_b32_e32 v84, 7, v0
	v_lshrrev_b32_e32 v85, 3, v86
	s_mov_b32 s15, exec_lo
	v_cmpx_gt_u32_e32 8, v86
; %bb.1017:                             ;   in Loop: Header=BB301_799 Depth=1
	s_delay_alu instid0(VALU_DEP_3) | instskip(NEXT) | instid1(VALU_DEP_1)
	v_clz_i32_u32_e32 v84, v84
	v_min_u32_e32 v86, 32, v84
	s_delay_alu instid0(VALU_DEP_1) | instskip(NEXT) | instid1(VALU_DEP_1)
	v_subrev_nc_u32_e32 v84, 28, v86
	v_lshlrev_b64_e32 v[84:85], v84, v[0:1]
	v_sub_nc_u32_e32 v85, 29, v86
	s_delay_alu instid0(VALU_DEP_2)
	v_and_b32_e32 v84, 7, v84
; %bb.1018:                             ;   in Loop: Header=BB301_799 Depth=1
	s_wait_alu 0xfffe
	s_or_b32 exec_lo, exec_lo, s15
	v_lshlrev_b32_e32 v0, 8, v0
	v_lshl_add_u32 v85, v85, 10, 0x2000
	v_lshlrev_b32_e32 v84, 7, v84
	s_delay_alu instid0(VALU_DEP_3) | instskip(NEXT) | instid1(VALU_DEP_3)
	v_and_b32_e32 v0, 0x8000, v0
	v_and_b32_e32 v85, 0xfc00, v85
	s_delay_alu instid0(VALU_DEP_1)
	v_or3_b32 v84, v0, v85, v84
.LBB301_1019:                           ;   in Loop: Header=BB301_799 Depth=1
	s_wait_alu 0xfffe
	s_or_b32 exec_lo, exec_lo, s14
.LBB301_1020:                           ;   in Loop: Header=BB301_799 Depth=1
	s_wait_alu 0xfffe
	s_or_b32 exec_lo, exec_lo, s13
.LBB301_1021:                           ;   in Loop: Header=BB301_799 Depth=1
	s_wait_alu 0xfffe
	s_or_b32 exec_lo, exec_lo, s12
	s_delay_alu instid0(SALU_CYCLE_1)
	s_mov_b32 s12, exec_lo
	v_cmpx_lt_u32_e32 0xffffff, v10
	s_cbranch_execz .LBB301_1029
; %bb.1022:                             ;   in Loop: Header=BB301_799 Depth=1
	v_lshrrev_b32_e32 v0, 24, v10
	v_bfrev_b32_e32 v83, 1
	s_mov_b32 s13, exec_lo
	s_delay_alu instid0(VALU_DEP_2)
	v_cmpx_ne_u32_e32 0x80, v0
	s_cbranch_execz .LBB301_1028
; %bb.1023:                             ;   in Loop: Header=BB301_799 Depth=1
	v_and_b32_e32 v86, 0x7f, v0
	v_mov_b32_e32 v83, 0x7c010000
	s_mov_b32 s14, exec_lo
	s_delay_alu instid0(VALU_DEP_2)
	v_cmpx_ne_u32_e32 0x7f, v86
	s_cbranch_execz .LBB301_1027
; %bb.1024:                             ;   in Loop: Header=BB301_799 Depth=1
	v_and_b32_e32 v83, 7, v0
	v_lshrrev_b32_e32 v85, 3, v86
	s_mov_b32 s15, exec_lo
	v_cmpx_gt_u32_e32 8, v86
; %bb.1025:                             ;   in Loop: Header=BB301_799 Depth=1
	s_delay_alu instid0(VALU_DEP_3) | instskip(NEXT) | instid1(VALU_DEP_1)
	v_clz_i32_u32_e32 v83, v83
	v_min_u32_e32 v83, 32, v83
	s_delay_alu instid0(VALU_DEP_1) | instskip(NEXT) | instid1(VALU_DEP_1)
	v_subrev_nc_u32_e32 v85, 28, v83
	v_lshlrev_b64_e32 v[86:87], v85, v[0:1]
	v_sub_nc_u32_e32 v85, 29, v83
	s_delay_alu instid0(VALU_DEP_2)
	v_and_b32_e32 v83, 7, v86
; %bb.1026:                             ;   in Loop: Header=BB301_799 Depth=1
	s_wait_alu 0xfffe
	s_or_b32 exec_lo, exec_lo, s15
	v_lshlrev_b32_e32 v0, 8, v0
	v_lshl_add_u32 v85, v85, 10, 0x2000
	v_lshlrev_b32_e32 v83, 23, v83
	s_delay_alu instid0(VALU_DEP_2) | instskip(NEXT) | instid1(VALU_DEP_1)
	v_and_or_b32 v0, 0x8000, v0, v85
	v_lshl_or_b32 v83, v0, 16, v83
.LBB301_1027:                           ;   in Loop: Header=BB301_799 Depth=1
	s_wait_alu 0xfffe
	s_or_b32 exec_lo, exec_lo, s14
.LBB301_1028:                           ;   in Loop: Header=BB301_799 Depth=1
	s_wait_alu 0xfffe
	s_or_b32 exec_lo, exec_lo, s13
.LBB301_1029:                           ;   in Loop: Header=BB301_799 Depth=1
	s_wait_alu 0xfffe
	s_or_b32 exec_lo, exec_lo, s12
	v_dual_mov_b32 v0, v11 :: v_dual_and_b32 v87, 0xff, v11
	v_dual_mov_b32 v85, 0 :: v_dual_mov_b32 v86, 0
	s_mov_b32 s12, exec_lo
	s_delay_alu instid0(VALU_DEP_2)
	v_cmpx_ne_u16_e32 0, v87
	s_cbranch_execz .LBB301_1037
; %bb.1030:                             ;   in Loop: Header=BB301_799 Depth=1
	v_mov_b32_e32 v86, 0x8000
	s_mov_b32 s13, exec_lo
	v_cmpx_ne_u16_e32 0x80, v87
	s_cbranch_execz .LBB301_1036
; %bb.1031:                             ;   in Loop: Header=BB301_799 Depth=1
	v_and_b32_e32 v96, 0x7f, v11
	v_mov_b32_e32 v86, 0x7c01
	s_mov_b32 s14, exec_lo
	s_delay_alu instid0(VALU_DEP_2)
	v_cmpx_ne_u32_e32 0x7f, v96
	s_cbranch_execz .LBB301_1035
; %bb.1032:                             ;   in Loop: Header=BB301_799 Depth=1
	v_and_b32_e32 v86, 7, v11
	v_lshrrev_b32_e32 v87, 3, v96
	s_mov_b32 s15, exec_lo
	v_cmpx_gt_u32_e32 8, v96
; %bb.1033:                             ;   in Loop: Header=BB301_799 Depth=1
	s_delay_alu instid0(VALU_DEP_3) | instskip(NEXT) | instid1(VALU_DEP_1)
	v_clz_i32_u32_e32 v86, v86
	v_min_u32_e32 v96, 32, v86
	s_delay_alu instid0(VALU_DEP_1) | instskip(NEXT) | instid1(VALU_DEP_1)
	v_subrev_nc_u32_e32 v86, 28, v96
	v_lshlrev_b64_e32 v[86:87], v86, v[0:1]
	v_sub_nc_u32_e32 v87, 29, v96
	s_delay_alu instid0(VALU_DEP_2)
	v_and_b32_e32 v86, 7, v86
; %bb.1034:                             ;   in Loop: Header=BB301_799 Depth=1
	s_wait_alu 0xfffe
	s_or_b32 exec_lo, exec_lo, s15
	v_lshlrev_b32_e32 v96, 8, v11
	v_lshl_add_u32 v87, v87, 10, 0x2000
	v_lshlrev_b32_e32 v86, 7, v86
	s_delay_alu instid0(VALU_DEP_3) | instskip(NEXT) | instid1(VALU_DEP_3)
	v_and_b32_e32 v96, 0x8000, v96
	v_and_b32_e32 v87, 0xfc00, v87
	s_delay_alu instid0(VALU_DEP_1)
	v_or3_b32 v86, v96, v87, v86
.LBB301_1035:                           ;   in Loop: Header=BB301_799 Depth=1
	s_wait_alu 0xfffe
	s_or_b32 exec_lo, exec_lo, s14
.LBB301_1036:                           ;   in Loop: Header=BB301_799 Depth=1
	s_wait_alu 0xfffe
	s_or_b32 exec_lo, exec_lo, s13
.LBB301_1037:                           ;   in Loop: Header=BB301_799 Depth=1
	s_wait_alu 0xfffe
	s_or_b32 exec_lo, exec_lo, s12
	v_lshrrev_b16 v0, 8, v0
	v_mov_b32_e32 v87, 0
	s_mov_b32 s12, exec_lo
	s_delay_alu instid0(VALU_DEP_2)
	v_cmpx_ne_u16_e32 0, v0
	s_cbranch_execz .LBB301_1045
; %bb.1038:                             ;   in Loop: Header=BB301_799 Depth=1
	v_bfrev_b32_e32 v87, 1
	s_mov_b32 s13, exec_lo
	v_cmpx_ne_u16_e32 0x80, v0
	s_cbranch_execz .LBB301_1044
; %bb.1039:                             ;   in Loop: Header=BB301_799 Depth=1
	v_and_b32_e32 v96, 0xffff, v0
	v_mov_b32_e32 v87, 0x7c010000
	s_mov_b32 s14, exec_lo
	s_delay_alu instid0(VALU_DEP_2) | instskip(NEXT) | instid1(VALU_DEP_1)
	v_and_b32_e32 v98, 0x7f, v96
	v_cmpx_ne_u32_e32 0x7f, v98
	s_cbranch_execz .LBB301_1043
; %bb.1040:                             ;   in Loop: Header=BB301_799 Depth=1
	v_and_b32_e32 v87, 7, v96
	v_lshrrev_b32_e32 v97, 3, v98
	s_mov_b32 s15, exec_lo
	v_cmpx_gt_u32_e32 8, v98
; %bb.1041:                             ;   in Loop: Header=BB301_799 Depth=1
	s_delay_alu instid0(VALU_DEP_3) | instskip(NEXT) | instid1(VALU_DEP_1)
	v_clz_i32_u32_e32 v87, v87
	v_min_u32_e32 v87, 32, v87
	s_delay_alu instid0(VALU_DEP_1) | instskip(NEXT) | instid1(VALU_DEP_1)
	v_subrev_nc_u32_e32 v97, 28, v87
	v_lshlrev_b64_e32 v[98:99], v97, v[0:1]
	v_sub_nc_u32_e32 v97, 29, v87
	s_delay_alu instid0(VALU_DEP_2)
	v_and_b32_e32 v87, 7, v98
; %bb.1042:                             ;   in Loop: Header=BB301_799 Depth=1
	s_wait_alu 0xfffe
	s_or_b32 exec_lo, exec_lo, s15
	v_lshlrev_b32_e32 v0, 8, v96
	v_lshl_add_u32 v96, v97, 10, 0x2000
	v_lshlrev_b32_e32 v87, 23, v87
	s_delay_alu instid0(VALU_DEP_2) | instskip(NEXT) | instid1(VALU_DEP_1)
	v_and_or_b32 v0, 0x8000, v0, v96
	v_lshl_or_b32 v87, v0, 16, v87
.LBB301_1043:                           ;   in Loop: Header=BB301_799 Depth=1
	s_wait_alu 0xfffe
	s_or_b32 exec_lo, exec_lo, s14
.LBB301_1044:                           ;   in Loop: Header=BB301_799 Depth=1
	s_wait_alu 0xfffe
	s_or_b32 exec_lo, exec_lo, s13
.LBB301_1045:                           ;   in Loop: Header=BB301_799 Depth=1
	s_wait_alu 0xfffe
	s_or_b32 exec_lo, exec_lo, s12
	v_lshrrev_b32_e32 v0, 16, v11
	s_mov_b32 s12, exec_lo
	s_delay_alu instid0(VALU_DEP_1) | instskip(NEXT) | instid1(VALU_DEP_1)
	v_and_b32_e32 v96, 0xff, v0
	v_cmpx_ne_u16_e32 0, v96
	s_cbranch_execz .LBB301_1053
; %bb.1046:                             ;   in Loop: Header=BB301_799 Depth=1
	v_mov_b32_e32 v85, 0x8000
	s_mov_b32 s13, exec_lo
	v_cmpx_ne_u16_e32 0x80, v96
	s_cbranch_execz .LBB301_1052
; %bb.1047:                             ;   in Loop: Header=BB301_799 Depth=1
	v_bfe_u32 v97, v11, 16, 7
	v_mov_b32_e32 v85, 0x7c01
	s_mov_b32 s14, exec_lo
	s_delay_alu instid0(VALU_DEP_2)
	v_cmpx_ne_u32_e32 0x7f, v97
	s_cbranch_execz .LBB301_1051
; %bb.1048:                             ;   in Loop: Header=BB301_799 Depth=1
	v_and_b32_e32 v85, 7, v0
	v_lshrrev_b32_e32 v96, 3, v97
	s_mov_b32 s15, exec_lo
	v_cmpx_gt_u32_e32 8, v97
; %bb.1049:                             ;   in Loop: Header=BB301_799 Depth=1
	s_delay_alu instid0(VALU_DEP_3) | instskip(NEXT) | instid1(VALU_DEP_1)
	v_clz_i32_u32_e32 v85, v85
	v_min_u32_e32 v85, 32, v85
	s_delay_alu instid0(VALU_DEP_1) | instskip(NEXT) | instid1(VALU_DEP_1)
	v_subrev_nc_u32_e32 v96, 28, v85
	v_lshlrev_b64_e32 v[97:98], v96, v[0:1]
	v_sub_nc_u32_e32 v96, 29, v85
	s_delay_alu instid0(VALU_DEP_2)
	v_and_b32_e32 v85, 7, v97
; %bb.1050:                             ;   in Loop: Header=BB301_799 Depth=1
	s_wait_alu 0xfffe
	s_or_b32 exec_lo, exec_lo, s15
	v_lshlrev_b32_e32 v0, 8, v0
	v_lshl_add_u32 v96, v96, 10, 0x2000
	v_lshlrev_b32_e32 v85, 7, v85
	s_delay_alu instid0(VALU_DEP_3) | instskip(NEXT) | instid1(VALU_DEP_3)
	v_and_b32_e32 v0, 0x8000, v0
	v_and_b32_e32 v96, 0xfc00, v96
	s_delay_alu instid0(VALU_DEP_1)
	v_or3_b32 v85, v0, v96, v85
.LBB301_1051:                           ;   in Loop: Header=BB301_799 Depth=1
	s_wait_alu 0xfffe
	s_or_b32 exec_lo, exec_lo, s14
.LBB301_1052:                           ;   in Loop: Header=BB301_799 Depth=1
	s_wait_alu 0xfffe
	s_or_b32 exec_lo, exec_lo, s13
.LBB301_1053:                           ;   in Loop: Header=BB301_799 Depth=1
	s_wait_alu 0xfffe
	s_or_b32 exec_lo, exec_lo, s12
	v_cmp_lt_u64_e64 s0, s[8:9], v[10:11]
	v_mov_b32_e32 v10, 0
	s_and_saveexec_b32 s12, s0
	s_cbranch_execz .LBB301_1061
; %bb.1054:                             ;   in Loop: Header=BB301_799 Depth=1
	v_lshrrev_b32_e32 v0, 24, v11
	v_bfrev_b32_e32 v10, 1
	s_mov_b32 s13, exec_lo
	s_delay_alu instid0(VALU_DEP_2)
	v_cmpx_ne_u32_e32 0x80, v0
	s_cbranch_execz .LBB301_1060
; %bb.1055:                             ;   in Loop: Header=BB301_799 Depth=1
	v_and_b32_e32 v96, 0x7f, v0
	v_mov_b32_e32 v10, 0x7c010000
	s_mov_b32 s14, exec_lo
	s_delay_alu instid0(VALU_DEP_2)
	v_cmpx_ne_u32_e32 0x7f, v96
	s_cbranch_execz .LBB301_1059
; %bb.1056:                             ;   in Loop: Header=BB301_799 Depth=1
	v_and_b32_e32 v10, 7, v0
	v_lshrrev_b32_e32 v11, 3, v96
	s_mov_b32 s15, exec_lo
	v_cmpx_gt_u32_e32 8, v96
; %bb.1057:                             ;   in Loop: Header=BB301_799 Depth=1
	s_delay_alu instid0(VALU_DEP_3) | instskip(NEXT) | instid1(VALU_DEP_1)
	v_clz_i32_u32_e32 v10, v10
	v_min_u32_e32 v96, 32, v10
	s_delay_alu instid0(VALU_DEP_1) | instskip(NEXT) | instid1(VALU_DEP_1)
	v_subrev_nc_u32_e32 v10, 28, v96
	v_lshlrev_b64_e32 v[10:11], v10, v[0:1]
	v_sub_nc_u32_e32 v11, 29, v96
	s_delay_alu instid0(VALU_DEP_2)
	v_and_b32_e32 v10, 7, v10
; %bb.1058:                             ;   in Loop: Header=BB301_799 Depth=1
	s_wait_alu 0xfffe
	s_or_b32 exec_lo, exec_lo, s15
	v_lshlrev_b32_e32 v0, 8, v0
	v_lshl_add_u32 v11, v11, 10, 0x2000
	v_lshlrev_b32_e32 v10, 23, v10
	s_delay_alu instid0(VALU_DEP_2) | instskip(NEXT) | instid1(VALU_DEP_1)
	v_and_or_b32 v0, 0x8000, v0, v11
	v_lshl_or_b32 v10, v0, 16, v10
.LBB301_1059:                           ;   in Loop: Header=BB301_799 Depth=1
	s_wait_alu 0xfffe
	s_or_b32 exec_lo, exec_lo, s14
.LBB301_1060:                           ;   in Loop: Header=BB301_799 Depth=1
	s_wait_alu 0xfffe
	s_or_b32 exec_lo, exec_lo, s13
.LBB301_1061:                           ;   in Loop: Header=BB301_799 Depth=1
	s_wait_alu 0xfffe
	s_or_b32 exec_lo, exec_lo, s12
	v_or_b32_e32 v0, v83, v84
	s_wait_loadcnt_dscnt 0x0
	v_fma_mixlo_f16 v11, v80, v83, 0 op_sel:[0,1,0] op_sel_hi:[0,1,0]
	v_or_b32_e32 v83, v81, v82
	v_fma_mixlo_f16 v81, v80, v81, 0 op_sel:[0,1,0] op_sel_hi:[0,1,0]
	v_or_b32_e32 v84, v87, v86
	v_or_b32_e32 v85, v10, v85
	v_fma_mixlo_f16 v86, v80, v0, 0 op_sel_hi:[0,1,0]
	v_fma_mixlo_f16 v10, v80, v10, 0 op_sel:[0,1,0] op_sel_hi:[0,1,0]
	v_lshlrev_b32_e32 v82, 16, v81
	v_fma_mixlo_f16 v81, v80, v83, 0 op_sel_hi:[0,1,0]
	v_fma_mixlo_f16 v83, v80, v87, 0 op_sel:[0,1,0] op_sel_hi:[0,1,0]
	v_fma_mixlo_f16 v84, v80, v84, 0 op_sel_hi:[0,1,0]
	v_fma_mixlo_f16 v85, v80, v85, 0 op_sel_hi:[0,1,0]
	v_lshlrev_b32_e32 v0, 16, v11
	v_and_b32_e32 v11, 0xffff, v86
	v_and_b32_e32 v96, 0xffff, v81
	v_lshlrev_b32_e32 v80, 16, v83
	v_and_b32_e32 v84, 0xffff, v84
	v_lshlrev_b32_e32 v10, 16, v10
	v_and_b32_e32 v81, 0xffff, v85
	v_or_b32_e32 v83, v0, v11
	v_or_b32_e32 v87, v82, v96
	;; [unrolled: 1-line block ×3, first 2 shown]
	s_delay_alu instid0(VALU_DEP_4)
	v_or_b32_e32 v85, v10, v81
	s_and_saveexec_b32 s12, vcc_lo
	s_cbranch_execz .LBB301_1063
; %bb.1062:                             ;   in Loop: Header=BB301_799 Depth=1
	v_cmp_lt_i32_e64 s0, v35, v30
	s_wait_alu 0xf1ff
	s_delay_alu instid0(VALU_DEP_1) | instskip(SKIP_2) | instid1(VALU_DEP_1)
	v_cndmask_b32_e64 v83, 0, v96, s0
	v_cmp_lt_i32_e64 s0, v67, v30
	s_wait_alu 0xf1ff
	v_cndmask_b32_e64 v82, 0, v82, s0
	v_cmp_lt_i32_e64 s0, v66, v30
	s_delay_alu instid0(VALU_DEP_2) | instskip(SKIP_1) | instid1(VALU_DEP_2)
	v_or_b32_e32 v87, v83, v82
	s_wait_alu 0xf1ff
	v_cndmask_b32_e64 v11, 0, v11, s0
	v_cmp_lt_i32_e64 s0, v64, v30
	s_wait_alu 0xf1ff
	s_delay_alu instid0(VALU_DEP_1) | instskip(SKIP_1) | instid1(VALU_DEP_2)
	v_cndmask_b32_e64 v0, 0, v0, s0
	v_cmp_lt_i32_e64 s0, v53, v30
	v_or_b32_e32 v83, v11, v0
	s_wait_alu 0xf1ff
	s_delay_alu instid0(VALU_DEP_2) | instskip(SKIP_2) | instid1(VALU_DEP_1)
	v_cndmask_b32_e64 v84, 0, v84, s0
	v_cmp_lt_i32_e64 s0, v51, v30
	s_wait_alu 0xf1ff
	v_cndmask_b32_e64 v80, 0, v80, s0
	v_cmp_lt_i32_e64 s0, v36, v30
	s_delay_alu instid0(VALU_DEP_2) | instskip(SKIP_1) | instid1(VALU_DEP_2)
	v_or_b32_e32 v86, v84, v80
	s_wait_alu 0xf1ff
	v_cndmask_b32_e64 v81, 0, v81, s0
	v_cmp_lt_i32_e64 s0, v14, v30
	s_wait_alu 0xf1ff
	s_delay_alu instid0(VALU_DEP_1) | instskip(NEXT) | instid1(VALU_DEP_1)
	v_cndmask_b32_e64 v10, 0, v10, s0
	v_or_b32_e32 v85, v81, v10
.LBB301_1063:                           ;   in Loop: Header=BB301_799 Depth=1
	s_wait_alu 0xfffe
	s_or_b32 exec_lo, exec_lo, s12
	;;#ASMSTART
	v_pk_mul_f16 v0, v55, v87;

	;;#ASMEND
	;;#ASMSTART
	v_pk_mul_f16 v10, v52, v83;

	;;#ASMEND
	;; [unrolled: 4-line block ×4, first 2 shown]
	;;#ASMSTART
	v_pk_add_f16 v0, v0, v10;

	;;#ASMEND
	;;#ASMSTART
	v_pk_add_f16 v0, v0, v11;

	;;#ASMEND
	;;#ASMSTART
	v_pk_add_f16 v0, v0, v80;

	;;#ASMEND
	v_dual_mov_b32 v83, 0 :: v_dual_and_b32 v10, 0xffff, v0
	v_lshrrev_b32_e32 v0, 16, v0
	;;#ASMSTART
	v_cvt_f32_f16 v80, v10;
	;;#ASMEND
	;;#ASMSTART
	v_cvt_f32_f16 v81, v0;
	;;#ASMEND
	flat_load_b64 v[10:11], v[8:9] offset:1024
	flat_load_b32 v82, v[26:27]
	v_mov_b32_e32 v84, 0
	s_mov_b32 s12, exec_lo
	s_wait_loadcnt_dscnt 0x101
	v_and_b32_e32 v0, 0xff, v10
	s_delay_alu instid0(VALU_DEP_1)
	v_cmpx_ne_u16_e32 0, v0
	s_cbranch_execz .LBB301_1071
; %bb.1064:                             ;   in Loop: Header=BB301_799 Depth=1
	v_mov_b32_e32 v84, 0x8000
	s_mov_b32 s13, exec_lo
	v_cmpx_ne_u16_e32 0x80, v0
	s_cbranch_execz .LBB301_1070
; %bb.1065:                             ;   in Loop: Header=BB301_799 Depth=1
	v_and_b32_e32 v85, 0x7f, v10
	v_mov_b32_e32 v84, 0x7c01
	s_mov_b32 s14, exec_lo
	s_delay_alu instid0(VALU_DEP_2)
	v_cmpx_ne_u32_e32 0x7f, v85
	s_cbranch_execz .LBB301_1069
; %bb.1066:                             ;   in Loop: Header=BB301_799 Depth=1
	v_and_b32_e32 v0, 7, v10
	v_lshrrev_b32_e32 v84, 3, v85
	s_mov_b32 s15, exec_lo
	v_cmpx_gt_u32_e32 8, v85
; %bb.1067:                             ;   in Loop: Header=BB301_799 Depth=1
	s_delay_alu instid0(VALU_DEP_3) | instskip(NEXT) | instid1(VALU_DEP_1)
	v_clz_i32_u32_e32 v0, v0
	v_min_u32_e32 v0, 32, v0
	s_delay_alu instid0(VALU_DEP_1) | instskip(NEXT) | instid1(VALU_DEP_1)
	v_subrev_nc_u32_e32 v84, 28, v0
	v_lshlrev_b64_e32 v[85:86], v84, v[10:11]
	v_sub_nc_u32_e32 v84, 29, v0
	s_delay_alu instid0(VALU_DEP_2)
	v_and_b32_e32 v0, 7, v85
; %bb.1068:                             ;   in Loop: Header=BB301_799 Depth=1
	s_wait_alu 0xfffe
	s_or_b32 exec_lo, exec_lo, s15
	v_lshlrev_b32_e32 v85, 8, v10
	v_lshl_add_u32 v84, v84, 10, 0x2000
	v_lshlrev_b32_e32 v0, 7, v0
	s_delay_alu instid0(VALU_DEP_3) | instskip(NEXT) | instid1(VALU_DEP_3)
	v_and_b32_e32 v85, 0x8000, v85
	v_and_b32_e32 v84, 0xfc00, v84
	s_delay_alu instid0(VALU_DEP_1)
	v_or3_b32 v84, v85, v84, v0
.LBB301_1069:                           ;   in Loop: Header=BB301_799 Depth=1
	s_wait_alu 0xfffe
	s_or_b32 exec_lo, exec_lo, s14
.LBB301_1070:                           ;   in Loop: Header=BB301_799 Depth=1
	s_wait_alu 0xfffe
	s_or_b32 exec_lo, exec_lo, s13
.LBB301_1071:                           ;   in Loop: Header=BB301_799 Depth=1
	s_wait_alu 0xfffe
	s_or_b32 exec_lo, exec_lo, s12
	v_lshrrev_b16 v0, 8, v10
	s_mov_b32 s12, exec_lo
	s_delay_alu instid0(VALU_DEP_1)
	v_cmpx_ne_u16_e32 0, v0
	s_cbranch_execz .LBB301_1079
; %bb.1072:                             ;   in Loop: Header=BB301_799 Depth=1
	v_bfrev_b32_e32 v83, 1
	s_mov_b32 s13, exec_lo
	v_cmpx_ne_u16_e32 0x80, v0
	s_cbranch_execz .LBB301_1078
; %bb.1073:                             ;   in Loop: Header=BB301_799 Depth=1
	v_and_b32_e32 v85, 0xffff, v0
	v_mov_b32_e32 v83, 0x7c010000
	s_mov_b32 s14, exec_lo
	s_delay_alu instid0(VALU_DEP_2) | instskip(NEXT) | instid1(VALU_DEP_1)
	v_and_b32_e32 v87, 0x7f, v85
	v_cmpx_ne_u32_e32 0x7f, v87
	s_cbranch_execz .LBB301_1077
; %bb.1074:                             ;   in Loop: Header=BB301_799 Depth=1
	v_and_b32_e32 v83, 7, v85
	v_lshrrev_b32_e32 v86, 3, v87
	s_mov_b32 s15, exec_lo
	v_cmpx_gt_u32_e32 8, v87
; %bb.1075:                             ;   in Loop: Header=BB301_799 Depth=1
	s_delay_alu instid0(VALU_DEP_3) | instskip(NEXT) | instid1(VALU_DEP_1)
	v_clz_i32_u32_e32 v83, v83
	v_min_u32_e32 v83, 32, v83
	s_delay_alu instid0(VALU_DEP_1) | instskip(NEXT) | instid1(VALU_DEP_1)
	v_subrev_nc_u32_e32 v86, 28, v83
	v_lshlrev_b64_e32 v[96:97], v86, v[0:1]
	v_sub_nc_u32_e32 v86, 29, v83
	s_delay_alu instid0(VALU_DEP_2)
	v_and_b32_e32 v83, 7, v96
; %bb.1076:                             ;   in Loop: Header=BB301_799 Depth=1
	s_wait_alu 0xfffe
	s_or_b32 exec_lo, exec_lo, s15
	v_lshlrev_b32_e32 v0, 8, v85
	v_lshl_add_u32 v85, v86, 10, 0x2000
	v_lshlrev_b32_e32 v83, 23, v83
	s_delay_alu instid0(VALU_DEP_2) | instskip(NEXT) | instid1(VALU_DEP_1)
	v_and_or_b32 v0, 0x8000, v0, v85
	v_lshl_or_b32 v83, v0, 16, v83
.LBB301_1077:                           ;   in Loop: Header=BB301_799 Depth=1
	s_wait_alu 0xfffe
	s_or_b32 exec_lo, exec_lo, s14
.LBB301_1078:                           ;   in Loop: Header=BB301_799 Depth=1
	s_wait_alu 0xfffe
	s_or_b32 exec_lo, exec_lo, s13
.LBB301_1079:                           ;   in Loop: Header=BB301_799 Depth=1
	s_wait_alu 0xfffe
	s_or_b32 exec_lo, exec_lo, s12
	v_lshrrev_b32_e32 v0, 16, v10
	v_mov_b32_e32 v85, 0
	s_mov_b32 s12, exec_lo
	s_delay_alu instid0(VALU_DEP_2) | instskip(NEXT) | instid1(VALU_DEP_1)
	v_dual_mov_b32 v86, 0 :: v_dual_and_b32 v87, 0xff, v0
	v_cmpx_ne_u16_e32 0, v87
	s_cbranch_execz .LBB301_1087
; %bb.1080:                             ;   in Loop: Header=BB301_799 Depth=1
	v_mov_b32_e32 v86, 0x8000
	s_mov_b32 s13, exec_lo
	v_cmpx_ne_u16_e32 0x80, v87
	s_cbranch_execz .LBB301_1086
; %bb.1081:                             ;   in Loop: Header=BB301_799 Depth=1
	v_bfe_u32 v96, v10, 16, 7
	v_mov_b32_e32 v86, 0x7c01
	s_mov_b32 s14, exec_lo
	s_delay_alu instid0(VALU_DEP_2)
	v_cmpx_ne_u32_e32 0x7f, v96
	s_cbranch_execz .LBB301_1085
; %bb.1082:                             ;   in Loop: Header=BB301_799 Depth=1
	v_and_b32_e32 v86, 7, v0
	v_lshrrev_b32_e32 v87, 3, v96
	s_mov_b32 s15, exec_lo
	v_cmpx_gt_u32_e32 8, v96
; %bb.1083:                             ;   in Loop: Header=BB301_799 Depth=1
	s_delay_alu instid0(VALU_DEP_3) | instskip(NEXT) | instid1(VALU_DEP_1)
	v_clz_i32_u32_e32 v86, v86
	v_min_u32_e32 v96, 32, v86
	s_delay_alu instid0(VALU_DEP_1) | instskip(NEXT) | instid1(VALU_DEP_1)
	v_subrev_nc_u32_e32 v86, 28, v96
	v_lshlrev_b64_e32 v[86:87], v86, v[0:1]
	v_sub_nc_u32_e32 v87, 29, v96
	s_delay_alu instid0(VALU_DEP_2)
	v_and_b32_e32 v86, 7, v86
; %bb.1084:                             ;   in Loop: Header=BB301_799 Depth=1
	s_wait_alu 0xfffe
	s_or_b32 exec_lo, exec_lo, s15
	v_lshlrev_b32_e32 v0, 8, v0
	v_lshl_add_u32 v87, v87, 10, 0x2000
	v_lshlrev_b32_e32 v86, 7, v86
	s_delay_alu instid0(VALU_DEP_3) | instskip(NEXT) | instid1(VALU_DEP_3)
	v_and_b32_e32 v0, 0x8000, v0
	v_and_b32_e32 v87, 0xfc00, v87
	s_delay_alu instid0(VALU_DEP_1)
	v_or3_b32 v86, v0, v87, v86
.LBB301_1085:                           ;   in Loop: Header=BB301_799 Depth=1
	s_wait_alu 0xfffe
	s_or_b32 exec_lo, exec_lo, s14
.LBB301_1086:                           ;   in Loop: Header=BB301_799 Depth=1
	s_wait_alu 0xfffe
	s_or_b32 exec_lo, exec_lo, s13
.LBB301_1087:                           ;   in Loop: Header=BB301_799 Depth=1
	s_wait_alu 0xfffe
	s_or_b32 exec_lo, exec_lo, s12
	s_delay_alu instid0(SALU_CYCLE_1)
	s_mov_b32 s12, exec_lo
	v_cmpx_lt_u32_e32 0xffffff, v10
	s_cbranch_execz .LBB301_1095
; %bb.1088:                             ;   in Loop: Header=BB301_799 Depth=1
	v_lshrrev_b32_e32 v0, 24, v10
	v_bfrev_b32_e32 v85, 1
	s_mov_b32 s13, exec_lo
	s_delay_alu instid0(VALU_DEP_2)
	v_cmpx_ne_u32_e32 0x80, v0
	s_cbranch_execz .LBB301_1094
; %bb.1089:                             ;   in Loop: Header=BB301_799 Depth=1
	v_and_b32_e32 v96, 0x7f, v0
	v_mov_b32_e32 v85, 0x7c010000
	s_mov_b32 s14, exec_lo
	s_delay_alu instid0(VALU_DEP_2)
	v_cmpx_ne_u32_e32 0x7f, v96
	s_cbranch_execz .LBB301_1093
; %bb.1090:                             ;   in Loop: Header=BB301_799 Depth=1
	v_and_b32_e32 v85, 7, v0
	v_lshrrev_b32_e32 v87, 3, v96
	s_mov_b32 s15, exec_lo
	v_cmpx_gt_u32_e32 8, v96
; %bb.1091:                             ;   in Loop: Header=BB301_799 Depth=1
	s_delay_alu instid0(VALU_DEP_3) | instskip(NEXT) | instid1(VALU_DEP_1)
	v_clz_i32_u32_e32 v85, v85
	v_min_u32_e32 v85, 32, v85
	s_delay_alu instid0(VALU_DEP_1) | instskip(NEXT) | instid1(VALU_DEP_1)
	v_subrev_nc_u32_e32 v87, 28, v85
	v_lshlrev_b64_e32 v[96:97], v87, v[0:1]
	v_sub_nc_u32_e32 v87, 29, v85
	s_delay_alu instid0(VALU_DEP_2)
	v_and_b32_e32 v85, 7, v96
; %bb.1092:                             ;   in Loop: Header=BB301_799 Depth=1
	s_wait_alu 0xfffe
	s_or_b32 exec_lo, exec_lo, s15
	v_lshlrev_b32_e32 v0, 8, v0
	v_lshl_add_u32 v87, v87, 10, 0x2000
	v_lshlrev_b32_e32 v85, 23, v85
	s_delay_alu instid0(VALU_DEP_2) | instskip(NEXT) | instid1(VALU_DEP_1)
	v_and_or_b32 v0, 0x8000, v0, v87
	v_lshl_or_b32 v85, v0, 16, v85
.LBB301_1093:                           ;   in Loop: Header=BB301_799 Depth=1
	s_wait_alu 0xfffe
	s_or_b32 exec_lo, exec_lo, s14
.LBB301_1094:                           ;   in Loop: Header=BB301_799 Depth=1
	s_wait_alu 0xfffe
	s_or_b32 exec_lo, exec_lo, s13
.LBB301_1095:                           ;   in Loop: Header=BB301_799 Depth=1
	s_wait_alu 0xfffe
	s_or_b32 exec_lo, exec_lo, s12
	v_dual_mov_b32 v0, v11 :: v_dual_and_b32 v97, 0xff, v11
	v_dual_mov_b32 v87, 0 :: v_dual_mov_b32 v96, 0
	s_mov_b32 s12, exec_lo
	s_delay_alu instid0(VALU_DEP_2)
	v_cmpx_ne_u16_e32 0, v97
	s_cbranch_execz .LBB301_1103
; %bb.1096:                             ;   in Loop: Header=BB301_799 Depth=1
	v_mov_b32_e32 v96, 0x8000
	s_mov_b32 s13, exec_lo
	v_cmpx_ne_u16_e32 0x80, v97
	s_cbranch_execz .LBB301_1102
; %bb.1097:                             ;   in Loop: Header=BB301_799 Depth=1
	v_and_b32_e32 v98, 0x7f, v11
	v_mov_b32_e32 v96, 0x7c01
	s_mov_b32 s14, exec_lo
	s_delay_alu instid0(VALU_DEP_2)
	v_cmpx_ne_u32_e32 0x7f, v98
	s_cbranch_execz .LBB301_1101
; %bb.1098:                             ;   in Loop: Header=BB301_799 Depth=1
	v_and_b32_e32 v96, 7, v11
	v_lshrrev_b32_e32 v97, 3, v98
	s_mov_b32 s15, exec_lo
	v_cmpx_gt_u32_e32 8, v98
; %bb.1099:                             ;   in Loop: Header=BB301_799 Depth=1
	s_delay_alu instid0(VALU_DEP_3) | instskip(NEXT) | instid1(VALU_DEP_1)
	v_clz_i32_u32_e32 v96, v96
	v_min_u32_e32 v98, 32, v96
	s_delay_alu instid0(VALU_DEP_1) | instskip(NEXT) | instid1(VALU_DEP_1)
	v_subrev_nc_u32_e32 v96, 28, v98
	v_lshlrev_b64_e32 v[96:97], v96, v[0:1]
	v_sub_nc_u32_e32 v97, 29, v98
	s_delay_alu instid0(VALU_DEP_2)
	v_and_b32_e32 v96, 7, v96
; %bb.1100:                             ;   in Loop: Header=BB301_799 Depth=1
	s_wait_alu 0xfffe
	s_or_b32 exec_lo, exec_lo, s15
	v_lshlrev_b32_e32 v98, 8, v11
	v_lshl_add_u32 v97, v97, 10, 0x2000
	v_lshlrev_b32_e32 v96, 7, v96
	s_delay_alu instid0(VALU_DEP_3) | instskip(NEXT) | instid1(VALU_DEP_3)
	v_and_b32_e32 v98, 0x8000, v98
	v_and_b32_e32 v97, 0xfc00, v97
	s_delay_alu instid0(VALU_DEP_1)
	v_or3_b32 v96, v98, v97, v96
.LBB301_1101:                           ;   in Loop: Header=BB301_799 Depth=1
	s_wait_alu 0xfffe
	s_or_b32 exec_lo, exec_lo, s14
.LBB301_1102:                           ;   in Loop: Header=BB301_799 Depth=1
	s_wait_alu 0xfffe
	s_or_b32 exec_lo, exec_lo, s13
.LBB301_1103:                           ;   in Loop: Header=BB301_799 Depth=1
	s_wait_alu 0xfffe
	s_or_b32 exec_lo, exec_lo, s12
	v_lshrrev_b16 v0, 8, v0
	v_mov_b32_e32 v97, 0
	s_mov_b32 s12, exec_lo
	s_delay_alu instid0(VALU_DEP_2)
	v_cmpx_ne_u16_e32 0, v0
	s_cbranch_execz .LBB301_1111
; %bb.1104:                             ;   in Loop: Header=BB301_799 Depth=1
	v_bfrev_b32_e32 v97, 1
	s_mov_b32 s13, exec_lo
	v_cmpx_ne_u16_e32 0x80, v0
	s_cbranch_execz .LBB301_1110
; %bb.1105:                             ;   in Loop: Header=BB301_799 Depth=1
	v_and_b32_e32 v98, 0xffff, v0
	v_mov_b32_e32 v97, 0x7c010000
	s_mov_b32 s14, exec_lo
	s_delay_alu instid0(VALU_DEP_2) | instskip(NEXT) | instid1(VALU_DEP_1)
	v_and_b32_e32 v100, 0x7f, v98
	v_cmpx_ne_u32_e32 0x7f, v100
	s_cbranch_execz .LBB301_1109
; %bb.1106:                             ;   in Loop: Header=BB301_799 Depth=1
	v_and_b32_e32 v97, 7, v98
	v_lshrrev_b32_e32 v99, 3, v100
	s_mov_b32 s15, exec_lo
	v_cmpx_gt_u32_e32 8, v100
; %bb.1107:                             ;   in Loop: Header=BB301_799 Depth=1
	s_delay_alu instid0(VALU_DEP_3) | instskip(NEXT) | instid1(VALU_DEP_1)
	v_clz_i32_u32_e32 v97, v97
	v_min_u32_e32 v97, 32, v97
	s_delay_alu instid0(VALU_DEP_1) | instskip(NEXT) | instid1(VALU_DEP_1)
	v_subrev_nc_u32_e32 v99, 28, v97
	v_lshlrev_b64_e32 v[100:101], v99, v[0:1]
	v_sub_nc_u32_e32 v99, 29, v97
	s_delay_alu instid0(VALU_DEP_2)
	v_and_b32_e32 v97, 7, v100
; %bb.1108:                             ;   in Loop: Header=BB301_799 Depth=1
	s_wait_alu 0xfffe
	s_or_b32 exec_lo, exec_lo, s15
	v_lshlrev_b32_e32 v0, 8, v98
	v_lshl_add_u32 v98, v99, 10, 0x2000
	v_lshlrev_b32_e32 v97, 23, v97
	s_delay_alu instid0(VALU_DEP_2) | instskip(NEXT) | instid1(VALU_DEP_1)
	v_and_or_b32 v0, 0x8000, v0, v98
	v_lshl_or_b32 v97, v0, 16, v97
.LBB301_1109:                           ;   in Loop: Header=BB301_799 Depth=1
	s_wait_alu 0xfffe
	s_or_b32 exec_lo, exec_lo, s14
.LBB301_1110:                           ;   in Loop: Header=BB301_799 Depth=1
	s_wait_alu 0xfffe
	s_or_b32 exec_lo, exec_lo, s13
.LBB301_1111:                           ;   in Loop: Header=BB301_799 Depth=1
	s_wait_alu 0xfffe
	s_or_b32 exec_lo, exec_lo, s12
	v_lshrrev_b32_e32 v0, 16, v11
	s_mov_b32 s12, exec_lo
	s_delay_alu instid0(VALU_DEP_1) | instskip(NEXT) | instid1(VALU_DEP_1)
	v_and_b32_e32 v98, 0xff, v0
	v_cmpx_ne_u16_e32 0, v98
	s_cbranch_execz .LBB301_1119
; %bb.1112:                             ;   in Loop: Header=BB301_799 Depth=1
	v_mov_b32_e32 v87, 0x8000
	s_mov_b32 s13, exec_lo
	v_cmpx_ne_u16_e32 0x80, v98
	s_cbranch_execz .LBB301_1118
; %bb.1113:                             ;   in Loop: Header=BB301_799 Depth=1
	v_bfe_u32 v99, v11, 16, 7
	v_mov_b32_e32 v87, 0x7c01
	s_mov_b32 s14, exec_lo
	s_delay_alu instid0(VALU_DEP_2)
	v_cmpx_ne_u32_e32 0x7f, v99
	s_cbranch_execz .LBB301_1117
; %bb.1114:                             ;   in Loop: Header=BB301_799 Depth=1
	v_and_b32_e32 v87, 7, v0
	v_lshrrev_b32_e32 v98, 3, v99
	s_mov_b32 s15, exec_lo
	v_cmpx_gt_u32_e32 8, v99
; %bb.1115:                             ;   in Loop: Header=BB301_799 Depth=1
	s_delay_alu instid0(VALU_DEP_3) | instskip(NEXT) | instid1(VALU_DEP_1)
	v_clz_i32_u32_e32 v87, v87
	v_min_u32_e32 v87, 32, v87
	s_delay_alu instid0(VALU_DEP_1) | instskip(NEXT) | instid1(VALU_DEP_1)
	v_subrev_nc_u32_e32 v98, 28, v87
	v_lshlrev_b64_e32 v[99:100], v98, v[0:1]
	v_sub_nc_u32_e32 v98, 29, v87
	s_delay_alu instid0(VALU_DEP_2)
	v_and_b32_e32 v87, 7, v99
; %bb.1116:                             ;   in Loop: Header=BB301_799 Depth=1
	s_wait_alu 0xfffe
	s_or_b32 exec_lo, exec_lo, s15
	v_lshlrev_b32_e32 v0, 8, v0
	v_lshl_add_u32 v98, v98, 10, 0x2000
	v_lshlrev_b32_e32 v87, 7, v87
	s_delay_alu instid0(VALU_DEP_3) | instskip(NEXT) | instid1(VALU_DEP_3)
	v_and_b32_e32 v0, 0x8000, v0
	v_and_b32_e32 v98, 0xfc00, v98
	s_delay_alu instid0(VALU_DEP_1)
	v_or3_b32 v87, v0, v98, v87
.LBB301_1117:                           ;   in Loop: Header=BB301_799 Depth=1
	s_wait_alu 0xfffe
	s_or_b32 exec_lo, exec_lo, s14
.LBB301_1118:                           ;   in Loop: Header=BB301_799 Depth=1
	s_wait_alu 0xfffe
	s_or_b32 exec_lo, exec_lo, s13
.LBB301_1119:                           ;   in Loop: Header=BB301_799 Depth=1
	s_wait_alu 0xfffe
	s_or_b32 exec_lo, exec_lo, s12
	v_cmp_lt_u64_e64 s0, s[8:9], v[10:11]
	v_mov_b32_e32 v10, 0
	s_and_saveexec_b32 s12, s0
	s_cbranch_execz .LBB301_1127
; %bb.1120:                             ;   in Loop: Header=BB301_799 Depth=1
	v_lshrrev_b32_e32 v0, 24, v11
	v_bfrev_b32_e32 v10, 1
	s_mov_b32 s13, exec_lo
	s_delay_alu instid0(VALU_DEP_2)
	v_cmpx_ne_u32_e32 0x80, v0
	s_cbranch_execz .LBB301_1126
; %bb.1121:                             ;   in Loop: Header=BB301_799 Depth=1
	v_and_b32_e32 v98, 0x7f, v0
	v_mov_b32_e32 v10, 0x7c010000
	s_mov_b32 s14, exec_lo
	s_delay_alu instid0(VALU_DEP_2)
	v_cmpx_ne_u32_e32 0x7f, v98
	s_cbranch_execz .LBB301_1125
; %bb.1122:                             ;   in Loop: Header=BB301_799 Depth=1
	v_and_b32_e32 v10, 7, v0
	v_lshrrev_b32_e32 v11, 3, v98
	s_mov_b32 s15, exec_lo
	v_cmpx_gt_u32_e32 8, v98
; %bb.1123:                             ;   in Loop: Header=BB301_799 Depth=1
	s_delay_alu instid0(VALU_DEP_3) | instskip(NEXT) | instid1(VALU_DEP_1)
	v_clz_i32_u32_e32 v10, v10
	v_min_u32_e32 v98, 32, v10
	s_delay_alu instid0(VALU_DEP_1) | instskip(NEXT) | instid1(VALU_DEP_1)
	v_subrev_nc_u32_e32 v10, 28, v98
	v_lshlrev_b64_e32 v[10:11], v10, v[0:1]
	v_sub_nc_u32_e32 v11, 29, v98
	s_delay_alu instid0(VALU_DEP_2)
	v_and_b32_e32 v10, 7, v10
; %bb.1124:                             ;   in Loop: Header=BB301_799 Depth=1
	s_wait_alu 0xfffe
	s_or_b32 exec_lo, exec_lo, s15
	v_lshlrev_b32_e32 v0, 8, v0
	v_lshl_add_u32 v11, v11, 10, 0x2000
	v_lshlrev_b32_e32 v10, 23, v10
	s_delay_alu instid0(VALU_DEP_2) | instskip(NEXT) | instid1(VALU_DEP_1)
	v_and_or_b32 v0, 0x8000, v0, v11
	v_lshl_or_b32 v10, v0, 16, v10
.LBB301_1125:                           ;   in Loop: Header=BB301_799 Depth=1
	s_wait_alu 0xfffe
	s_or_b32 exec_lo, exec_lo, s14
.LBB301_1126:                           ;   in Loop: Header=BB301_799 Depth=1
	s_wait_alu 0xfffe
	s_or_b32 exec_lo, exec_lo, s13
.LBB301_1127:                           ;   in Loop: Header=BB301_799 Depth=1
	s_wait_alu 0xfffe
	s_or_b32 exec_lo, exec_lo, s12
	v_or_b32_e32 v0, v85, v86
	s_wait_loadcnt_dscnt 0x0
	v_fma_mixlo_f16 v11, v82, v85, 0 op_sel:[0,1,0] op_sel_hi:[0,1,0]
	v_or_b32_e32 v85, v83, v84
	v_fma_mixlo_f16 v83, v82, v83, 0 op_sel:[0,1,0] op_sel_hi:[0,1,0]
	v_or_b32_e32 v86, v97, v96
	v_or_b32_e32 v87, v10, v87
	v_fma_mixlo_f16 v96, v82, v0, 0 op_sel_hi:[0,1,0]
	v_fma_mixlo_f16 v10, v82, v10, 0 op_sel:[0,1,0] op_sel_hi:[0,1,0]
	v_lshlrev_b32_e32 v84, 16, v83
	v_fma_mixlo_f16 v83, v82, v85, 0 op_sel_hi:[0,1,0]
	v_fma_mixlo_f16 v85, v82, v97, 0 op_sel:[0,1,0] op_sel_hi:[0,1,0]
	v_fma_mixlo_f16 v86, v82, v86, 0 op_sel_hi:[0,1,0]
	v_fma_mixlo_f16 v87, v82, v87, 0 op_sel_hi:[0,1,0]
	v_lshlrev_b32_e32 v0, 16, v11
	v_and_b32_e32 v11, 0xffff, v96
	v_and_b32_e32 v98, 0xffff, v83
	v_lshlrev_b32_e32 v82, 16, v85
	v_and_b32_e32 v86, 0xffff, v86
	v_lshlrev_b32_e32 v10, 16, v10
	v_and_b32_e32 v83, 0xffff, v87
	v_or_b32_e32 v85, v0, v11
	v_or_b32_e32 v97, v84, v98
	;; [unrolled: 1-line block ×3, first 2 shown]
	s_delay_alu instid0(VALU_DEP_4)
	v_or_b32_e32 v87, v10, v83
	s_and_saveexec_b32 s12, vcc_lo
	s_cbranch_execz .LBB301_1129
; %bb.1128:                             ;   in Loop: Header=BB301_799 Depth=1
	v_cmp_lt_i32_e64 s0, v35, v30
	s_wait_alu 0xf1ff
	s_delay_alu instid0(VALU_DEP_1) | instskip(SKIP_2) | instid1(VALU_DEP_1)
	v_cndmask_b32_e64 v85, 0, v98, s0
	v_cmp_lt_i32_e64 s0, v67, v30
	s_wait_alu 0xf1ff
	v_cndmask_b32_e64 v84, 0, v84, s0
	v_cmp_lt_i32_e64 s0, v66, v30
	s_delay_alu instid0(VALU_DEP_2) | instskip(SKIP_1) | instid1(VALU_DEP_2)
	v_or_b32_e32 v97, v85, v84
	s_wait_alu 0xf1ff
	v_cndmask_b32_e64 v11, 0, v11, s0
	v_cmp_lt_i32_e64 s0, v64, v30
	s_wait_alu 0xf1ff
	s_delay_alu instid0(VALU_DEP_1) | instskip(SKIP_1) | instid1(VALU_DEP_2)
	v_cndmask_b32_e64 v0, 0, v0, s0
	v_cmp_lt_i32_e64 s0, v53, v30
	v_or_b32_e32 v85, v11, v0
	s_wait_alu 0xf1ff
	s_delay_alu instid0(VALU_DEP_2) | instskip(SKIP_2) | instid1(VALU_DEP_1)
	v_cndmask_b32_e64 v86, 0, v86, s0
	v_cmp_lt_i32_e64 s0, v51, v30
	s_wait_alu 0xf1ff
	v_cndmask_b32_e64 v82, 0, v82, s0
	v_cmp_lt_i32_e64 s0, v36, v30
	s_delay_alu instid0(VALU_DEP_2) | instskip(SKIP_1) | instid1(VALU_DEP_2)
	v_or_b32_e32 v96, v86, v82
	s_wait_alu 0xf1ff
	v_cndmask_b32_e64 v83, 0, v83, s0
	v_cmp_lt_i32_e64 s0, v14, v30
	s_wait_alu 0xf1ff
	s_delay_alu instid0(VALU_DEP_1) | instskip(NEXT) | instid1(VALU_DEP_1)
	v_cndmask_b32_e64 v10, 0, v10, s0
	v_or_b32_e32 v87, v83, v10
.LBB301_1129:                           ;   in Loop: Header=BB301_799 Depth=1
	s_wait_alu 0xfffe
	s_or_b32 exec_lo, exec_lo, s12
	;;#ASMSTART
	v_pk_mul_f16 v0, v55, v97;

	;;#ASMEND
	;;#ASMSTART
	v_pk_mul_f16 v10, v52, v85;

	;;#ASMEND
	;; [unrolled: 4-line block ×4, first 2 shown]
	;;#ASMSTART
	v_pk_add_f16 v0, v0, v10;

	;;#ASMEND
	;;#ASMSTART
	v_pk_add_f16 v0, v0, v11;

	;;#ASMEND
	;; [unrolled: 4-line block ×3, first 2 shown]
	v_dual_mov_b32 v85, 0 :: v_dual_and_b32 v10, 0xffff, v0
	v_lshrrev_b32_e32 v0, 16, v0
	;;#ASMSTART
	v_cvt_f32_f16 v82, v10;
	;;#ASMEND
	;;#ASMSTART
	v_cvt_f32_f16 v83, v0;
	;;#ASMEND
	flat_load_b64 v[10:11], v[8:9] offset:1280
	flat_load_b32 v84, v[26:27]
	v_mov_b32_e32 v86, 0
	s_mov_b32 s12, exec_lo
	s_wait_loadcnt_dscnt 0x101
	v_and_b32_e32 v0, 0xff, v10
	s_delay_alu instid0(VALU_DEP_1)
	v_cmpx_ne_u16_e32 0, v0
	s_cbranch_execz .LBB301_1137
; %bb.1130:                             ;   in Loop: Header=BB301_799 Depth=1
	v_mov_b32_e32 v86, 0x8000
	s_mov_b32 s13, exec_lo
	v_cmpx_ne_u16_e32 0x80, v0
	s_cbranch_execz .LBB301_1136
; %bb.1131:                             ;   in Loop: Header=BB301_799 Depth=1
	v_and_b32_e32 v87, 0x7f, v10
	v_mov_b32_e32 v86, 0x7c01
	s_mov_b32 s14, exec_lo
	s_delay_alu instid0(VALU_DEP_2)
	v_cmpx_ne_u32_e32 0x7f, v87
	s_cbranch_execz .LBB301_1135
; %bb.1132:                             ;   in Loop: Header=BB301_799 Depth=1
	v_and_b32_e32 v0, 7, v10
	v_lshrrev_b32_e32 v86, 3, v87
	s_mov_b32 s15, exec_lo
	v_cmpx_gt_u32_e32 8, v87
; %bb.1133:                             ;   in Loop: Header=BB301_799 Depth=1
	s_delay_alu instid0(VALU_DEP_3) | instskip(NEXT) | instid1(VALU_DEP_1)
	v_clz_i32_u32_e32 v0, v0
	v_min_u32_e32 v0, 32, v0
	s_delay_alu instid0(VALU_DEP_1) | instskip(NEXT) | instid1(VALU_DEP_1)
	v_subrev_nc_u32_e32 v86, 28, v0
	v_lshlrev_b64_e32 v[96:97], v86, v[10:11]
	v_sub_nc_u32_e32 v86, 29, v0
	s_delay_alu instid0(VALU_DEP_2)
	v_and_b32_e32 v0, 7, v96
; %bb.1134:                             ;   in Loop: Header=BB301_799 Depth=1
	s_wait_alu 0xfffe
	s_or_b32 exec_lo, exec_lo, s15
	v_lshlrev_b32_e32 v87, 8, v10
	v_lshl_add_u32 v86, v86, 10, 0x2000
	v_lshlrev_b32_e32 v0, 7, v0
	s_delay_alu instid0(VALU_DEP_3) | instskip(NEXT) | instid1(VALU_DEP_3)
	v_and_b32_e32 v87, 0x8000, v87
	v_and_b32_e32 v86, 0xfc00, v86
	s_delay_alu instid0(VALU_DEP_1)
	v_or3_b32 v86, v87, v86, v0
.LBB301_1135:                           ;   in Loop: Header=BB301_799 Depth=1
	s_wait_alu 0xfffe
	s_or_b32 exec_lo, exec_lo, s14
.LBB301_1136:                           ;   in Loop: Header=BB301_799 Depth=1
	s_wait_alu 0xfffe
	s_or_b32 exec_lo, exec_lo, s13
.LBB301_1137:                           ;   in Loop: Header=BB301_799 Depth=1
	s_wait_alu 0xfffe
	s_or_b32 exec_lo, exec_lo, s12
	v_lshrrev_b16 v0, 8, v10
	s_mov_b32 s12, exec_lo
	s_delay_alu instid0(VALU_DEP_1)
	v_cmpx_ne_u16_e32 0, v0
	s_cbranch_execz .LBB301_1145
; %bb.1138:                             ;   in Loop: Header=BB301_799 Depth=1
	v_bfrev_b32_e32 v85, 1
	s_mov_b32 s13, exec_lo
	v_cmpx_ne_u16_e32 0x80, v0
	s_cbranch_execz .LBB301_1144
; %bb.1139:                             ;   in Loop: Header=BB301_799 Depth=1
	v_and_b32_e32 v87, 0xffff, v0
	v_mov_b32_e32 v85, 0x7c010000
	s_mov_b32 s14, exec_lo
	s_delay_alu instid0(VALU_DEP_2) | instskip(NEXT) | instid1(VALU_DEP_1)
	v_and_b32_e32 v97, 0x7f, v87
	v_cmpx_ne_u32_e32 0x7f, v97
	s_cbranch_execz .LBB301_1143
; %bb.1140:                             ;   in Loop: Header=BB301_799 Depth=1
	v_and_b32_e32 v85, 7, v87
	v_lshrrev_b32_e32 v96, 3, v97
	s_mov_b32 s15, exec_lo
	v_cmpx_gt_u32_e32 8, v97
; %bb.1141:                             ;   in Loop: Header=BB301_799 Depth=1
	s_delay_alu instid0(VALU_DEP_3) | instskip(NEXT) | instid1(VALU_DEP_1)
	v_clz_i32_u32_e32 v85, v85
	v_min_u32_e32 v85, 32, v85
	s_delay_alu instid0(VALU_DEP_1) | instskip(NEXT) | instid1(VALU_DEP_1)
	v_subrev_nc_u32_e32 v96, 28, v85
	v_lshlrev_b64_e32 v[97:98], v96, v[0:1]
	v_sub_nc_u32_e32 v96, 29, v85
	s_delay_alu instid0(VALU_DEP_2)
	v_and_b32_e32 v85, 7, v97
; %bb.1142:                             ;   in Loop: Header=BB301_799 Depth=1
	s_wait_alu 0xfffe
	s_or_b32 exec_lo, exec_lo, s15
	v_lshlrev_b32_e32 v0, 8, v87
	v_lshl_add_u32 v87, v96, 10, 0x2000
	v_lshlrev_b32_e32 v85, 23, v85
	s_delay_alu instid0(VALU_DEP_2) | instskip(NEXT) | instid1(VALU_DEP_1)
	v_and_or_b32 v0, 0x8000, v0, v87
	v_lshl_or_b32 v85, v0, 16, v85
.LBB301_1143:                           ;   in Loop: Header=BB301_799 Depth=1
	s_wait_alu 0xfffe
	s_or_b32 exec_lo, exec_lo, s14
.LBB301_1144:                           ;   in Loop: Header=BB301_799 Depth=1
	s_wait_alu 0xfffe
	s_or_b32 exec_lo, exec_lo, s13
.LBB301_1145:                           ;   in Loop: Header=BB301_799 Depth=1
	s_wait_alu 0xfffe
	s_or_b32 exec_lo, exec_lo, s12
	v_lshrrev_b32_e32 v0, 16, v10
	v_mov_b32_e32 v87, 0
	s_mov_b32 s12, exec_lo
	s_delay_alu instid0(VALU_DEP_2) | instskip(NEXT) | instid1(VALU_DEP_1)
	v_dual_mov_b32 v96, 0 :: v_dual_and_b32 v97, 0xff, v0
	v_cmpx_ne_u16_e32 0, v97
	s_cbranch_execz .LBB301_1153
; %bb.1146:                             ;   in Loop: Header=BB301_799 Depth=1
	v_mov_b32_e32 v96, 0x8000
	s_mov_b32 s13, exec_lo
	v_cmpx_ne_u16_e32 0x80, v97
	s_cbranch_execz .LBB301_1152
; %bb.1147:                             ;   in Loop: Header=BB301_799 Depth=1
	v_bfe_u32 v98, v10, 16, 7
	v_mov_b32_e32 v96, 0x7c01
	s_mov_b32 s14, exec_lo
	s_delay_alu instid0(VALU_DEP_2)
	v_cmpx_ne_u32_e32 0x7f, v98
	s_cbranch_execz .LBB301_1151
; %bb.1148:                             ;   in Loop: Header=BB301_799 Depth=1
	v_and_b32_e32 v96, 7, v0
	v_lshrrev_b32_e32 v97, 3, v98
	s_mov_b32 s15, exec_lo
	v_cmpx_gt_u32_e32 8, v98
; %bb.1149:                             ;   in Loop: Header=BB301_799 Depth=1
	s_delay_alu instid0(VALU_DEP_3) | instskip(NEXT) | instid1(VALU_DEP_1)
	v_clz_i32_u32_e32 v96, v96
	v_min_u32_e32 v98, 32, v96
	s_delay_alu instid0(VALU_DEP_1) | instskip(NEXT) | instid1(VALU_DEP_1)
	v_subrev_nc_u32_e32 v96, 28, v98
	v_lshlrev_b64_e32 v[96:97], v96, v[0:1]
	v_sub_nc_u32_e32 v97, 29, v98
	s_delay_alu instid0(VALU_DEP_2)
	v_and_b32_e32 v96, 7, v96
; %bb.1150:                             ;   in Loop: Header=BB301_799 Depth=1
	s_wait_alu 0xfffe
	s_or_b32 exec_lo, exec_lo, s15
	v_lshlrev_b32_e32 v0, 8, v0
	v_lshl_add_u32 v97, v97, 10, 0x2000
	v_lshlrev_b32_e32 v96, 7, v96
	s_delay_alu instid0(VALU_DEP_3) | instskip(NEXT) | instid1(VALU_DEP_3)
	v_and_b32_e32 v0, 0x8000, v0
	v_and_b32_e32 v97, 0xfc00, v97
	s_delay_alu instid0(VALU_DEP_1)
	v_or3_b32 v96, v0, v97, v96
.LBB301_1151:                           ;   in Loop: Header=BB301_799 Depth=1
	s_wait_alu 0xfffe
	s_or_b32 exec_lo, exec_lo, s14
.LBB301_1152:                           ;   in Loop: Header=BB301_799 Depth=1
	s_wait_alu 0xfffe
	s_or_b32 exec_lo, exec_lo, s13
.LBB301_1153:                           ;   in Loop: Header=BB301_799 Depth=1
	s_wait_alu 0xfffe
	s_or_b32 exec_lo, exec_lo, s12
	s_delay_alu instid0(SALU_CYCLE_1)
	s_mov_b32 s12, exec_lo
	v_cmpx_lt_u32_e32 0xffffff, v10
	s_cbranch_execz .LBB301_1161
; %bb.1154:                             ;   in Loop: Header=BB301_799 Depth=1
	v_lshrrev_b32_e32 v0, 24, v10
	v_bfrev_b32_e32 v87, 1
	s_mov_b32 s13, exec_lo
	s_delay_alu instid0(VALU_DEP_2)
	v_cmpx_ne_u32_e32 0x80, v0
	s_cbranch_execz .LBB301_1160
; %bb.1155:                             ;   in Loop: Header=BB301_799 Depth=1
	v_and_b32_e32 v98, 0x7f, v0
	v_mov_b32_e32 v87, 0x7c010000
	s_mov_b32 s14, exec_lo
	s_delay_alu instid0(VALU_DEP_2)
	v_cmpx_ne_u32_e32 0x7f, v98
	s_cbranch_execz .LBB301_1159
; %bb.1156:                             ;   in Loop: Header=BB301_799 Depth=1
	v_and_b32_e32 v87, 7, v0
	v_lshrrev_b32_e32 v97, 3, v98
	s_mov_b32 s15, exec_lo
	v_cmpx_gt_u32_e32 8, v98
; %bb.1157:                             ;   in Loop: Header=BB301_799 Depth=1
	s_delay_alu instid0(VALU_DEP_3) | instskip(NEXT) | instid1(VALU_DEP_1)
	v_clz_i32_u32_e32 v87, v87
	v_min_u32_e32 v87, 32, v87
	s_delay_alu instid0(VALU_DEP_1) | instskip(NEXT) | instid1(VALU_DEP_1)
	v_subrev_nc_u32_e32 v97, 28, v87
	v_lshlrev_b64_e32 v[98:99], v97, v[0:1]
	v_sub_nc_u32_e32 v97, 29, v87
	s_delay_alu instid0(VALU_DEP_2)
	v_and_b32_e32 v87, 7, v98
; %bb.1158:                             ;   in Loop: Header=BB301_799 Depth=1
	s_wait_alu 0xfffe
	s_or_b32 exec_lo, exec_lo, s15
	v_lshlrev_b32_e32 v0, 8, v0
	v_lshl_add_u32 v97, v97, 10, 0x2000
	v_lshlrev_b32_e32 v87, 23, v87
	s_delay_alu instid0(VALU_DEP_2) | instskip(NEXT) | instid1(VALU_DEP_1)
	v_and_or_b32 v0, 0x8000, v0, v97
	v_lshl_or_b32 v87, v0, 16, v87
.LBB301_1159:                           ;   in Loop: Header=BB301_799 Depth=1
	s_wait_alu 0xfffe
	s_or_b32 exec_lo, exec_lo, s14
.LBB301_1160:                           ;   in Loop: Header=BB301_799 Depth=1
	s_wait_alu 0xfffe
	s_or_b32 exec_lo, exec_lo, s13
.LBB301_1161:                           ;   in Loop: Header=BB301_799 Depth=1
	s_wait_alu 0xfffe
	s_or_b32 exec_lo, exec_lo, s12
	v_dual_mov_b32 v0, v11 :: v_dual_and_b32 v99, 0xff, v11
	v_dual_mov_b32 v97, 0 :: v_dual_mov_b32 v98, 0
	s_mov_b32 s12, exec_lo
	s_delay_alu instid0(VALU_DEP_2)
	v_cmpx_ne_u16_e32 0, v99
	s_cbranch_execz .LBB301_1169
; %bb.1162:                             ;   in Loop: Header=BB301_799 Depth=1
	v_mov_b32_e32 v98, 0x8000
	s_mov_b32 s13, exec_lo
	v_cmpx_ne_u16_e32 0x80, v99
	s_cbranch_execz .LBB301_1168
; %bb.1163:                             ;   in Loop: Header=BB301_799 Depth=1
	v_and_b32_e32 v100, 0x7f, v11
	v_mov_b32_e32 v98, 0x7c01
	s_mov_b32 s14, exec_lo
	s_delay_alu instid0(VALU_DEP_2)
	v_cmpx_ne_u32_e32 0x7f, v100
	s_cbranch_execz .LBB301_1167
; %bb.1164:                             ;   in Loop: Header=BB301_799 Depth=1
	v_and_b32_e32 v98, 7, v11
	v_lshrrev_b32_e32 v99, 3, v100
	s_mov_b32 s15, exec_lo
	v_cmpx_gt_u32_e32 8, v100
; %bb.1165:                             ;   in Loop: Header=BB301_799 Depth=1
	s_delay_alu instid0(VALU_DEP_3) | instskip(NEXT) | instid1(VALU_DEP_1)
	v_clz_i32_u32_e32 v98, v98
	v_min_u32_e32 v100, 32, v98
	s_delay_alu instid0(VALU_DEP_1) | instskip(NEXT) | instid1(VALU_DEP_1)
	v_subrev_nc_u32_e32 v98, 28, v100
	v_lshlrev_b64_e32 v[98:99], v98, v[0:1]
	v_sub_nc_u32_e32 v99, 29, v100
	s_delay_alu instid0(VALU_DEP_2)
	v_and_b32_e32 v98, 7, v98
; %bb.1166:                             ;   in Loop: Header=BB301_799 Depth=1
	s_wait_alu 0xfffe
	s_or_b32 exec_lo, exec_lo, s15
	v_lshlrev_b32_e32 v100, 8, v11
	v_lshl_add_u32 v99, v99, 10, 0x2000
	v_lshlrev_b32_e32 v98, 7, v98
	s_delay_alu instid0(VALU_DEP_3) | instskip(NEXT) | instid1(VALU_DEP_3)
	v_and_b32_e32 v100, 0x8000, v100
	v_and_b32_e32 v99, 0xfc00, v99
	s_delay_alu instid0(VALU_DEP_1)
	v_or3_b32 v98, v100, v99, v98
.LBB301_1167:                           ;   in Loop: Header=BB301_799 Depth=1
	s_wait_alu 0xfffe
	s_or_b32 exec_lo, exec_lo, s14
.LBB301_1168:                           ;   in Loop: Header=BB301_799 Depth=1
	s_wait_alu 0xfffe
	s_or_b32 exec_lo, exec_lo, s13
.LBB301_1169:                           ;   in Loop: Header=BB301_799 Depth=1
	s_wait_alu 0xfffe
	s_or_b32 exec_lo, exec_lo, s12
	v_lshrrev_b16 v0, 8, v0
	v_mov_b32_e32 v99, 0
	s_mov_b32 s12, exec_lo
	s_delay_alu instid0(VALU_DEP_2)
	v_cmpx_ne_u16_e32 0, v0
	s_cbranch_execz .LBB301_1177
; %bb.1170:                             ;   in Loop: Header=BB301_799 Depth=1
	v_bfrev_b32_e32 v99, 1
	s_mov_b32 s13, exec_lo
	v_cmpx_ne_u16_e32 0x80, v0
	s_cbranch_execz .LBB301_1176
; %bb.1171:                             ;   in Loop: Header=BB301_799 Depth=1
	v_and_b32_e32 v100, 0xffff, v0
	v_mov_b32_e32 v99, 0x7c010000
	s_mov_b32 s14, exec_lo
	s_delay_alu instid0(VALU_DEP_2) | instskip(NEXT) | instid1(VALU_DEP_1)
	v_and_b32_e32 v102, 0x7f, v100
	v_cmpx_ne_u32_e32 0x7f, v102
	s_cbranch_execz .LBB301_1175
; %bb.1172:                             ;   in Loop: Header=BB301_799 Depth=1
	v_and_b32_e32 v99, 7, v100
	v_lshrrev_b32_e32 v101, 3, v102
	s_mov_b32 s15, exec_lo
	v_cmpx_gt_u32_e32 8, v102
; %bb.1173:                             ;   in Loop: Header=BB301_799 Depth=1
	s_delay_alu instid0(VALU_DEP_3) | instskip(NEXT) | instid1(VALU_DEP_1)
	v_clz_i32_u32_e32 v99, v99
	v_min_u32_e32 v99, 32, v99
	s_delay_alu instid0(VALU_DEP_1) | instskip(NEXT) | instid1(VALU_DEP_1)
	v_subrev_nc_u32_e32 v101, 28, v99
	v_lshlrev_b64_e32 v[102:103], v101, v[0:1]
	v_sub_nc_u32_e32 v101, 29, v99
	s_delay_alu instid0(VALU_DEP_2)
	v_and_b32_e32 v99, 7, v102
; %bb.1174:                             ;   in Loop: Header=BB301_799 Depth=1
	s_wait_alu 0xfffe
	s_or_b32 exec_lo, exec_lo, s15
	v_lshlrev_b32_e32 v0, 8, v100
	v_lshl_add_u32 v100, v101, 10, 0x2000
	v_lshlrev_b32_e32 v99, 23, v99
	s_delay_alu instid0(VALU_DEP_2) | instskip(NEXT) | instid1(VALU_DEP_1)
	v_and_or_b32 v0, 0x8000, v0, v100
	v_lshl_or_b32 v99, v0, 16, v99
.LBB301_1175:                           ;   in Loop: Header=BB301_799 Depth=1
	s_wait_alu 0xfffe
	s_or_b32 exec_lo, exec_lo, s14
.LBB301_1176:                           ;   in Loop: Header=BB301_799 Depth=1
	s_wait_alu 0xfffe
	s_or_b32 exec_lo, exec_lo, s13
.LBB301_1177:                           ;   in Loop: Header=BB301_799 Depth=1
	s_wait_alu 0xfffe
	s_or_b32 exec_lo, exec_lo, s12
	v_lshrrev_b32_e32 v0, 16, v11
	s_mov_b32 s12, exec_lo
	s_delay_alu instid0(VALU_DEP_1) | instskip(NEXT) | instid1(VALU_DEP_1)
	v_and_b32_e32 v100, 0xff, v0
	v_cmpx_ne_u16_e32 0, v100
	s_cbranch_execz .LBB301_1185
; %bb.1178:                             ;   in Loop: Header=BB301_799 Depth=1
	v_mov_b32_e32 v97, 0x8000
	s_mov_b32 s13, exec_lo
	v_cmpx_ne_u16_e32 0x80, v100
	s_cbranch_execz .LBB301_1184
; %bb.1179:                             ;   in Loop: Header=BB301_799 Depth=1
	v_bfe_u32 v101, v11, 16, 7
	v_mov_b32_e32 v97, 0x7c01
	s_mov_b32 s14, exec_lo
	s_delay_alu instid0(VALU_DEP_2)
	v_cmpx_ne_u32_e32 0x7f, v101
	s_cbranch_execz .LBB301_1183
; %bb.1180:                             ;   in Loop: Header=BB301_799 Depth=1
	v_and_b32_e32 v97, 7, v0
	v_lshrrev_b32_e32 v100, 3, v101
	s_mov_b32 s15, exec_lo
	v_cmpx_gt_u32_e32 8, v101
; %bb.1181:                             ;   in Loop: Header=BB301_799 Depth=1
	s_delay_alu instid0(VALU_DEP_3) | instskip(NEXT) | instid1(VALU_DEP_1)
	v_clz_i32_u32_e32 v97, v97
	v_min_u32_e32 v97, 32, v97
	s_delay_alu instid0(VALU_DEP_1) | instskip(NEXT) | instid1(VALU_DEP_1)
	v_subrev_nc_u32_e32 v100, 28, v97
	v_lshlrev_b64_e32 v[101:102], v100, v[0:1]
	v_sub_nc_u32_e32 v100, 29, v97
	s_delay_alu instid0(VALU_DEP_2)
	v_and_b32_e32 v97, 7, v101
; %bb.1182:                             ;   in Loop: Header=BB301_799 Depth=1
	s_wait_alu 0xfffe
	s_or_b32 exec_lo, exec_lo, s15
	v_lshlrev_b32_e32 v0, 8, v0
	v_lshl_add_u32 v100, v100, 10, 0x2000
	v_lshlrev_b32_e32 v97, 7, v97
	s_delay_alu instid0(VALU_DEP_3) | instskip(NEXT) | instid1(VALU_DEP_3)
	v_and_b32_e32 v0, 0x8000, v0
	v_and_b32_e32 v100, 0xfc00, v100
	s_delay_alu instid0(VALU_DEP_1)
	v_or3_b32 v97, v0, v100, v97
.LBB301_1183:                           ;   in Loop: Header=BB301_799 Depth=1
	s_wait_alu 0xfffe
	s_or_b32 exec_lo, exec_lo, s14
.LBB301_1184:                           ;   in Loop: Header=BB301_799 Depth=1
	s_wait_alu 0xfffe
	s_or_b32 exec_lo, exec_lo, s13
.LBB301_1185:                           ;   in Loop: Header=BB301_799 Depth=1
	s_wait_alu 0xfffe
	s_or_b32 exec_lo, exec_lo, s12
	v_cmp_lt_u64_e64 s0, s[8:9], v[10:11]
	v_mov_b32_e32 v10, 0
	s_and_saveexec_b32 s12, s0
	s_cbranch_execz .LBB301_1193
; %bb.1186:                             ;   in Loop: Header=BB301_799 Depth=1
	v_lshrrev_b32_e32 v0, 24, v11
	v_bfrev_b32_e32 v10, 1
	s_mov_b32 s13, exec_lo
	s_delay_alu instid0(VALU_DEP_2)
	v_cmpx_ne_u32_e32 0x80, v0
	s_cbranch_execz .LBB301_1192
; %bb.1187:                             ;   in Loop: Header=BB301_799 Depth=1
	v_and_b32_e32 v100, 0x7f, v0
	v_mov_b32_e32 v10, 0x7c010000
	s_mov_b32 s14, exec_lo
	s_delay_alu instid0(VALU_DEP_2)
	v_cmpx_ne_u32_e32 0x7f, v100
	s_cbranch_execz .LBB301_1191
; %bb.1188:                             ;   in Loop: Header=BB301_799 Depth=1
	v_and_b32_e32 v10, 7, v0
	v_lshrrev_b32_e32 v11, 3, v100
	s_mov_b32 s15, exec_lo
	v_cmpx_gt_u32_e32 8, v100
; %bb.1189:                             ;   in Loop: Header=BB301_799 Depth=1
	s_delay_alu instid0(VALU_DEP_3) | instskip(NEXT) | instid1(VALU_DEP_1)
	v_clz_i32_u32_e32 v10, v10
	v_min_u32_e32 v100, 32, v10
	s_delay_alu instid0(VALU_DEP_1) | instskip(NEXT) | instid1(VALU_DEP_1)
	v_subrev_nc_u32_e32 v10, 28, v100
	v_lshlrev_b64_e32 v[10:11], v10, v[0:1]
	v_sub_nc_u32_e32 v11, 29, v100
	s_delay_alu instid0(VALU_DEP_2)
	v_and_b32_e32 v10, 7, v10
; %bb.1190:                             ;   in Loop: Header=BB301_799 Depth=1
	s_wait_alu 0xfffe
	s_or_b32 exec_lo, exec_lo, s15
	v_lshlrev_b32_e32 v0, 8, v0
	v_lshl_add_u32 v11, v11, 10, 0x2000
	v_lshlrev_b32_e32 v10, 23, v10
	s_delay_alu instid0(VALU_DEP_2) | instskip(NEXT) | instid1(VALU_DEP_1)
	v_and_or_b32 v0, 0x8000, v0, v11
	v_lshl_or_b32 v10, v0, 16, v10
.LBB301_1191:                           ;   in Loop: Header=BB301_799 Depth=1
	s_wait_alu 0xfffe
	s_or_b32 exec_lo, exec_lo, s14
.LBB301_1192:                           ;   in Loop: Header=BB301_799 Depth=1
	s_wait_alu 0xfffe
	s_or_b32 exec_lo, exec_lo, s13
.LBB301_1193:                           ;   in Loop: Header=BB301_799 Depth=1
	s_wait_alu 0xfffe
	s_or_b32 exec_lo, exec_lo, s12
	v_or_b32_e32 v0, v87, v96
	s_wait_loadcnt_dscnt 0x0
	v_fma_mixlo_f16 v11, v84, v87, 0 op_sel:[0,1,0] op_sel_hi:[0,1,0]
	v_or_b32_e32 v87, v85, v86
	v_fma_mixlo_f16 v85, v84, v85, 0 op_sel:[0,1,0] op_sel_hi:[0,1,0]
	v_or_b32_e32 v96, v99, v98
	v_or_b32_e32 v97, v10, v97
	v_fma_mixlo_f16 v98, v84, v0, 0 op_sel_hi:[0,1,0]
	v_fma_mixlo_f16 v10, v84, v10, 0 op_sel:[0,1,0] op_sel_hi:[0,1,0]
	v_lshlrev_b32_e32 v86, 16, v85
	v_fma_mixlo_f16 v85, v84, v87, 0 op_sel_hi:[0,1,0]
	v_fma_mixlo_f16 v87, v84, v99, 0 op_sel:[0,1,0] op_sel_hi:[0,1,0]
	v_fma_mixlo_f16 v96, v84, v96, 0 op_sel_hi:[0,1,0]
	v_fma_mixlo_f16 v97, v84, v97, 0 op_sel_hi:[0,1,0]
	v_lshlrev_b32_e32 v0, 16, v11
	v_and_b32_e32 v11, 0xffff, v98
	v_and_b32_e32 v100, 0xffff, v85
	v_lshlrev_b32_e32 v84, 16, v87
	v_and_b32_e32 v96, 0xffff, v96
	v_lshlrev_b32_e32 v10, 16, v10
	v_and_b32_e32 v85, 0xffff, v97
	v_or_b32_e32 v87, v0, v11
	v_or_b32_e32 v99, v86, v100
	;; [unrolled: 1-line block ×3, first 2 shown]
	s_delay_alu instid0(VALU_DEP_4)
	v_or_b32_e32 v97, v10, v85
	s_and_saveexec_b32 s12, vcc_lo
	s_cbranch_execz .LBB301_1195
; %bb.1194:                             ;   in Loop: Header=BB301_799 Depth=1
	v_cmp_lt_i32_e64 s0, v35, v30
	s_wait_alu 0xf1ff
	s_delay_alu instid0(VALU_DEP_1) | instskip(SKIP_2) | instid1(VALU_DEP_1)
	v_cndmask_b32_e64 v87, 0, v100, s0
	v_cmp_lt_i32_e64 s0, v67, v30
	s_wait_alu 0xf1ff
	v_cndmask_b32_e64 v86, 0, v86, s0
	v_cmp_lt_i32_e64 s0, v66, v30
	s_delay_alu instid0(VALU_DEP_2) | instskip(SKIP_1) | instid1(VALU_DEP_2)
	v_or_b32_e32 v99, v87, v86
	s_wait_alu 0xf1ff
	v_cndmask_b32_e64 v11, 0, v11, s0
	v_cmp_lt_i32_e64 s0, v64, v30
	s_wait_alu 0xf1ff
	s_delay_alu instid0(VALU_DEP_1) | instskip(SKIP_1) | instid1(VALU_DEP_2)
	v_cndmask_b32_e64 v0, 0, v0, s0
	v_cmp_lt_i32_e64 s0, v53, v30
	v_or_b32_e32 v87, v11, v0
	s_wait_alu 0xf1ff
	s_delay_alu instid0(VALU_DEP_2) | instskip(SKIP_2) | instid1(VALU_DEP_1)
	v_cndmask_b32_e64 v96, 0, v96, s0
	v_cmp_lt_i32_e64 s0, v51, v30
	s_wait_alu 0xf1ff
	v_cndmask_b32_e64 v84, 0, v84, s0
	v_cmp_lt_i32_e64 s0, v36, v30
	s_delay_alu instid0(VALU_DEP_2) | instskip(SKIP_1) | instid1(VALU_DEP_2)
	v_or_b32_e32 v98, v96, v84
	s_wait_alu 0xf1ff
	v_cndmask_b32_e64 v85, 0, v85, s0
	v_cmp_lt_i32_e64 s0, v14, v30
	s_wait_alu 0xf1ff
	s_delay_alu instid0(VALU_DEP_1) | instskip(NEXT) | instid1(VALU_DEP_1)
	v_cndmask_b32_e64 v10, 0, v10, s0
	v_or_b32_e32 v97, v85, v10
.LBB301_1195:                           ;   in Loop: Header=BB301_799 Depth=1
	s_wait_alu 0xfffe
	s_or_b32 exec_lo, exec_lo, s12
	;;#ASMSTART
	v_pk_mul_f16 v0, v55, v99;

	;;#ASMEND
	;;#ASMSTART
	v_pk_mul_f16 v10, v52, v87;

	;;#ASMEND
	;; [unrolled: 4-line block ×4, first 2 shown]
	;;#ASMSTART
	v_pk_add_f16 v0, v0, v10;

	;;#ASMEND
	;;#ASMSTART
	v_pk_add_f16 v0, v0, v11;

	;;#ASMEND
	;; [unrolled: 4-line block ×3, first 2 shown]
	v_dual_mov_b32 v87, 0 :: v_dual_and_b32 v10, 0xffff, v0
	v_lshrrev_b32_e32 v0, 16, v0
	;;#ASMSTART
	v_cvt_f32_f16 v84, v10;
	;;#ASMEND
	;;#ASMSTART
	v_cvt_f32_f16 v85, v0;
	;;#ASMEND
	flat_load_b64 v[10:11], v[8:9] offset:1536
	flat_load_b32 v86, v[26:27]
	v_mov_b32_e32 v96, 0
	s_mov_b32 s12, exec_lo
	s_wait_loadcnt_dscnt 0x101
	v_and_b32_e32 v0, 0xff, v10
	s_delay_alu instid0(VALU_DEP_1)
	v_cmpx_ne_u16_e32 0, v0
	s_cbranch_execz .LBB301_1203
; %bb.1196:                             ;   in Loop: Header=BB301_799 Depth=1
	v_mov_b32_e32 v96, 0x8000
	s_mov_b32 s13, exec_lo
	v_cmpx_ne_u16_e32 0x80, v0
	s_cbranch_execz .LBB301_1202
; %bb.1197:                             ;   in Loop: Header=BB301_799 Depth=1
	v_and_b32_e32 v97, 0x7f, v10
	v_mov_b32_e32 v96, 0x7c01
	s_mov_b32 s14, exec_lo
	s_delay_alu instid0(VALU_DEP_2)
	v_cmpx_ne_u32_e32 0x7f, v97
	s_cbranch_execz .LBB301_1201
; %bb.1198:                             ;   in Loop: Header=BB301_799 Depth=1
	v_and_b32_e32 v0, 7, v10
	v_lshrrev_b32_e32 v96, 3, v97
	s_mov_b32 s15, exec_lo
	v_cmpx_gt_u32_e32 8, v97
; %bb.1199:                             ;   in Loop: Header=BB301_799 Depth=1
	s_delay_alu instid0(VALU_DEP_3) | instskip(NEXT) | instid1(VALU_DEP_1)
	v_clz_i32_u32_e32 v0, v0
	v_min_u32_e32 v0, 32, v0
	s_delay_alu instid0(VALU_DEP_1) | instskip(NEXT) | instid1(VALU_DEP_1)
	v_subrev_nc_u32_e32 v96, 28, v0
	v_lshlrev_b64_e32 v[97:98], v96, v[10:11]
	v_sub_nc_u32_e32 v96, 29, v0
	s_delay_alu instid0(VALU_DEP_2)
	v_and_b32_e32 v0, 7, v97
; %bb.1200:                             ;   in Loop: Header=BB301_799 Depth=1
	s_wait_alu 0xfffe
	s_or_b32 exec_lo, exec_lo, s15
	v_lshlrev_b32_e32 v97, 8, v10
	v_lshl_add_u32 v96, v96, 10, 0x2000
	v_lshlrev_b32_e32 v0, 7, v0
	s_delay_alu instid0(VALU_DEP_3) | instskip(NEXT) | instid1(VALU_DEP_3)
	v_and_b32_e32 v97, 0x8000, v97
	v_and_b32_e32 v96, 0xfc00, v96
	s_delay_alu instid0(VALU_DEP_1)
	v_or3_b32 v96, v97, v96, v0
.LBB301_1201:                           ;   in Loop: Header=BB301_799 Depth=1
	s_wait_alu 0xfffe
	s_or_b32 exec_lo, exec_lo, s14
.LBB301_1202:                           ;   in Loop: Header=BB301_799 Depth=1
	s_wait_alu 0xfffe
	s_or_b32 exec_lo, exec_lo, s13
.LBB301_1203:                           ;   in Loop: Header=BB301_799 Depth=1
	s_wait_alu 0xfffe
	s_or_b32 exec_lo, exec_lo, s12
	v_lshrrev_b16 v0, 8, v10
	s_mov_b32 s12, exec_lo
	s_delay_alu instid0(VALU_DEP_1)
	v_cmpx_ne_u16_e32 0, v0
	s_cbranch_execz .LBB301_1211
; %bb.1204:                             ;   in Loop: Header=BB301_799 Depth=1
	v_bfrev_b32_e32 v87, 1
	s_mov_b32 s13, exec_lo
	v_cmpx_ne_u16_e32 0x80, v0
	s_cbranch_execz .LBB301_1210
; %bb.1205:                             ;   in Loop: Header=BB301_799 Depth=1
	v_and_b32_e32 v97, 0xffff, v0
	v_mov_b32_e32 v87, 0x7c010000
	s_mov_b32 s14, exec_lo
	s_delay_alu instid0(VALU_DEP_2) | instskip(NEXT) | instid1(VALU_DEP_1)
	v_and_b32_e32 v99, 0x7f, v97
	v_cmpx_ne_u32_e32 0x7f, v99
	s_cbranch_execz .LBB301_1209
; %bb.1206:                             ;   in Loop: Header=BB301_799 Depth=1
	v_and_b32_e32 v87, 7, v97
	v_lshrrev_b32_e32 v98, 3, v99
	s_mov_b32 s15, exec_lo
	v_cmpx_gt_u32_e32 8, v99
; %bb.1207:                             ;   in Loop: Header=BB301_799 Depth=1
	s_delay_alu instid0(VALU_DEP_3) | instskip(NEXT) | instid1(VALU_DEP_1)
	v_clz_i32_u32_e32 v87, v87
	v_min_u32_e32 v87, 32, v87
	s_delay_alu instid0(VALU_DEP_1) | instskip(NEXT) | instid1(VALU_DEP_1)
	v_subrev_nc_u32_e32 v98, 28, v87
	v_lshlrev_b64_e32 v[99:100], v98, v[0:1]
	v_sub_nc_u32_e32 v98, 29, v87
	s_delay_alu instid0(VALU_DEP_2)
	v_and_b32_e32 v87, 7, v99
; %bb.1208:                             ;   in Loop: Header=BB301_799 Depth=1
	s_wait_alu 0xfffe
	s_or_b32 exec_lo, exec_lo, s15
	v_lshlrev_b32_e32 v0, 8, v97
	v_lshl_add_u32 v97, v98, 10, 0x2000
	v_lshlrev_b32_e32 v87, 23, v87
	s_delay_alu instid0(VALU_DEP_2) | instskip(NEXT) | instid1(VALU_DEP_1)
	v_and_or_b32 v0, 0x8000, v0, v97
	v_lshl_or_b32 v87, v0, 16, v87
.LBB301_1209:                           ;   in Loop: Header=BB301_799 Depth=1
	s_wait_alu 0xfffe
	s_or_b32 exec_lo, exec_lo, s14
.LBB301_1210:                           ;   in Loop: Header=BB301_799 Depth=1
	s_wait_alu 0xfffe
	s_or_b32 exec_lo, exec_lo, s13
.LBB301_1211:                           ;   in Loop: Header=BB301_799 Depth=1
	s_wait_alu 0xfffe
	s_or_b32 exec_lo, exec_lo, s12
	v_lshrrev_b32_e32 v0, 16, v10
	v_mov_b32_e32 v97, 0
	s_mov_b32 s12, exec_lo
	s_delay_alu instid0(VALU_DEP_2) | instskip(NEXT) | instid1(VALU_DEP_1)
	v_dual_mov_b32 v98, 0 :: v_dual_and_b32 v99, 0xff, v0
	v_cmpx_ne_u16_e32 0, v99
	s_cbranch_execz .LBB301_1219
; %bb.1212:                             ;   in Loop: Header=BB301_799 Depth=1
	v_mov_b32_e32 v98, 0x8000
	s_mov_b32 s13, exec_lo
	v_cmpx_ne_u16_e32 0x80, v99
	s_cbranch_execz .LBB301_1218
; %bb.1213:                             ;   in Loop: Header=BB301_799 Depth=1
	v_bfe_u32 v100, v10, 16, 7
	v_mov_b32_e32 v98, 0x7c01
	s_mov_b32 s14, exec_lo
	s_delay_alu instid0(VALU_DEP_2)
	v_cmpx_ne_u32_e32 0x7f, v100
	s_cbranch_execz .LBB301_1217
; %bb.1214:                             ;   in Loop: Header=BB301_799 Depth=1
	v_and_b32_e32 v98, 7, v0
	v_lshrrev_b32_e32 v99, 3, v100
	s_mov_b32 s15, exec_lo
	v_cmpx_gt_u32_e32 8, v100
; %bb.1215:                             ;   in Loop: Header=BB301_799 Depth=1
	s_delay_alu instid0(VALU_DEP_3) | instskip(NEXT) | instid1(VALU_DEP_1)
	v_clz_i32_u32_e32 v98, v98
	v_min_u32_e32 v100, 32, v98
	s_delay_alu instid0(VALU_DEP_1) | instskip(NEXT) | instid1(VALU_DEP_1)
	v_subrev_nc_u32_e32 v98, 28, v100
	v_lshlrev_b64_e32 v[98:99], v98, v[0:1]
	v_sub_nc_u32_e32 v99, 29, v100
	s_delay_alu instid0(VALU_DEP_2)
	v_and_b32_e32 v98, 7, v98
; %bb.1216:                             ;   in Loop: Header=BB301_799 Depth=1
	s_wait_alu 0xfffe
	s_or_b32 exec_lo, exec_lo, s15
	v_lshlrev_b32_e32 v0, 8, v0
	v_lshl_add_u32 v99, v99, 10, 0x2000
	v_lshlrev_b32_e32 v98, 7, v98
	s_delay_alu instid0(VALU_DEP_3) | instskip(NEXT) | instid1(VALU_DEP_3)
	v_and_b32_e32 v0, 0x8000, v0
	v_and_b32_e32 v99, 0xfc00, v99
	s_delay_alu instid0(VALU_DEP_1)
	v_or3_b32 v98, v0, v99, v98
.LBB301_1217:                           ;   in Loop: Header=BB301_799 Depth=1
	s_wait_alu 0xfffe
	s_or_b32 exec_lo, exec_lo, s14
.LBB301_1218:                           ;   in Loop: Header=BB301_799 Depth=1
	s_wait_alu 0xfffe
	s_or_b32 exec_lo, exec_lo, s13
.LBB301_1219:                           ;   in Loop: Header=BB301_799 Depth=1
	s_wait_alu 0xfffe
	s_or_b32 exec_lo, exec_lo, s12
	s_delay_alu instid0(SALU_CYCLE_1)
	s_mov_b32 s12, exec_lo
	v_cmpx_lt_u32_e32 0xffffff, v10
	s_cbranch_execz .LBB301_1227
; %bb.1220:                             ;   in Loop: Header=BB301_799 Depth=1
	v_lshrrev_b32_e32 v0, 24, v10
	v_bfrev_b32_e32 v97, 1
	s_mov_b32 s13, exec_lo
	s_delay_alu instid0(VALU_DEP_2)
	v_cmpx_ne_u32_e32 0x80, v0
	s_cbranch_execz .LBB301_1226
; %bb.1221:                             ;   in Loop: Header=BB301_799 Depth=1
	v_and_b32_e32 v100, 0x7f, v0
	v_mov_b32_e32 v97, 0x7c010000
	s_mov_b32 s14, exec_lo
	s_delay_alu instid0(VALU_DEP_2)
	v_cmpx_ne_u32_e32 0x7f, v100
	s_cbranch_execz .LBB301_1225
; %bb.1222:                             ;   in Loop: Header=BB301_799 Depth=1
	v_and_b32_e32 v97, 7, v0
	v_lshrrev_b32_e32 v99, 3, v100
	s_mov_b32 s15, exec_lo
	v_cmpx_gt_u32_e32 8, v100
; %bb.1223:                             ;   in Loop: Header=BB301_799 Depth=1
	s_delay_alu instid0(VALU_DEP_3) | instskip(NEXT) | instid1(VALU_DEP_1)
	v_clz_i32_u32_e32 v97, v97
	v_min_u32_e32 v97, 32, v97
	s_delay_alu instid0(VALU_DEP_1) | instskip(NEXT) | instid1(VALU_DEP_1)
	v_subrev_nc_u32_e32 v99, 28, v97
	v_lshlrev_b64_e32 v[100:101], v99, v[0:1]
	v_sub_nc_u32_e32 v99, 29, v97
	s_delay_alu instid0(VALU_DEP_2)
	v_and_b32_e32 v97, 7, v100
; %bb.1224:                             ;   in Loop: Header=BB301_799 Depth=1
	s_wait_alu 0xfffe
	s_or_b32 exec_lo, exec_lo, s15
	v_lshlrev_b32_e32 v0, 8, v0
	v_lshl_add_u32 v99, v99, 10, 0x2000
	v_lshlrev_b32_e32 v97, 23, v97
	s_delay_alu instid0(VALU_DEP_2) | instskip(NEXT) | instid1(VALU_DEP_1)
	v_and_or_b32 v0, 0x8000, v0, v99
	v_lshl_or_b32 v97, v0, 16, v97
.LBB301_1225:                           ;   in Loop: Header=BB301_799 Depth=1
	s_wait_alu 0xfffe
	s_or_b32 exec_lo, exec_lo, s14
.LBB301_1226:                           ;   in Loop: Header=BB301_799 Depth=1
	s_wait_alu 0xfffe
	s_or_b32 exec_lo, exec_lo, s13
.LBB301_1227:                           ;   in Loop: Header=BB301_799 Depth=1
	s_wait_alu 0xfffe
	s_or_b32 exec_lo, exec_lo, s12
	v_dual_mov_b32 v0, v11 :: v_dual_and_b32 v101, 0xff, v11
	v_dual_mov_b32 v99, 0 :: v_dual_mov_b32 v100, 0
	s_mov_b32 s12, exec_lo
	s_delay_alu instid0(VALU_DEP_2)
	v_cmpx_ne_u16_e32 0, v101
	s_cbranch_execz .LBB301_1235
; %bb.1228:                             ;   in Loop: Header=BB301_799 Depth=1
	v_mov_b32_e32 v100, 0x8000
	s_mov_b32 s13, exec_lo
	v_cmpx_ne_u16_e32 0x80, v101
	s_cbranch_execz .LBB301_1234
; %bb.1229:                             ;   in Loop: Header=BB301_799 Depth=1
	v_and_b32_e32 v102, 0x7f, v11
	v_mov_b32_e32 v100, 0x7c01
	s_mov_b32 s14, exec_lo
	s_delay_alu instid0(VALU_DEP_2)
	v_cmpx_ne_u32_e32 0x7f, v102
	s_cbranch_execz .LBB301_1233
; %bb.1230:                             ;   in Loop: Header=BB301_799 Depth=1
	v_and_b32_e32 v100, 7, v11
	v_lshrrev_b32_e32 v101, 3, v102
	s_mov_b32 s15, exec_lo
	v_cmpx_gt_u32_e32 8, v102
; %bb.1231:                             ;   in Loop: Header=BB301_799 Depth=1
	s_delay_alu instid0(VALU_DEP_3) | instskip(NEXT) | instid1(VALU_DEP_1)
	v_clz_i32_u32_e32 v100, v100
	v_min_u32_e32 v102, 32, v100
	s_delay_alu instid0(VALU_DEP_1) | instskip(NEXT) | instid1(VALU_DEP_1)
	v_subrev_nc_u32_e32 v100, 28, v102
	v_lshlrev_b64_e32 v[100:101], v100, v[0:1]
	v_sub_nc_u32_e32 v101, 29, v102
	s_delay_alu instid0(VALU_DEP_2)
	v_and_b32_e32 v100, 7, v100
; %bb.1232:                             ;   in Loop: Header=BB301_799 Depth=1
	s_wait_alu 0xfffe
	s_or_b32 exec_lo, exec_lo, s15
	v_lshlrev_b32_e32 v102, 8, v11
	v_lshl_add_u32 v101, v101, 10, 0x2000
	v_lshlrev_b32_e32 v100, 7, v100
	s_delay_alu instid0(VALU_DEP_3) | instskip(NEXT) | instid1(VALU_DEP_3)
	v_and_b32_e32 v102, 0x8000, v102
	v_and_b32_e32 v101, 0xfc00, v101
	s_delay_alu instid0(VALU_DEP_1)
	v_or3_b32 v100, v102, v101, v100
.LBB301_1233:                           ;   in Loop: Header=BB301_799 Depth=1
	s_wait_alu 0xfffe
	s_or_b32 exec_lo, exec_lo, s14
.LBB301_1234:                           ;   in Loop: Header=BB301_799 Depth=1
	s_wait_alu 0xfffe
	s_or_b32 exec_lo, exec_lo, s13
.LBB301_1235:                           ;   in Loop: Header=BB301_799 Depth=1
	s_wait_alu 0xfffe
	s_or_b32 exec_lo, exec_lo, s12
	v_lshrrev_b16 v0, 8, v0
	v_mov_b32_e32 v101, 0
	s_mov_b32 s12, exec_lo
	s_delay_alu instid0(VALU_DEP_2)
	v_cmpx_ne_u16_e32 0, v0
	s_cbranch_execz .LBB301_1243
; %bb.1236:                             ;   in Loop: Header=BB301_799 Depth=1
	v_bfrev_b32_e32 v101, 1
	s_mov_b32 s13, exec_lo
	v_cmpx_ne_u16_e32 0x80, v0
	s_cbranch_execz .LBB301_1242
; %bb.1237:                             ;   in Loop: Header=BB301_799 Depth=1
	v_and_b32_e32 v102, 0xffff, v0
	v_mov_b32_e32 v101, 0x7c010000
	s_mov_b32 s14, exec_lo
	s_delay_alu instid0(VALU_DEP_2) | instskip(NEXT) | instid1(VALU_DEP_1)
	v_and_b32_e32 v112, 0x7f, v102
	v_cmpx_ne_u32_e32 0x7f, v112
	s_cbranch_execz .LBB301_1241
; %bb.1238:                             ;   in Loop: Header=BB301_799 Depth=1
	v_and_b32_e32 v101, 7, v102
	v_lshrrev_b32_e32 v103, 3, v112
	s_mov_b32 s15, exec_lo
	v_cmpx_gt_u32_e32 8, v112
; %bb.1239:                             ;   in Loop: Header=BB301_799 Depth=1
	s_delay_alu instid0(VALU_DEP_3) | instskip(NEXT) | instid1(VALU_DEP_1)
	v_clz_i32_u32_e32 v101, v101
	v_min_u32_e32 v101, 32, v101
	s_delay_alu instid0(VALU_DEP_1) | instskip(NEXT) | instid1(VALU_DEP_1)
	v_subrev_nc_u32_e32 v103, 28, v101
	v_lshlrev_b64_e32 v[112:113], v103, v[0:1]
	v_sub_nc_u32_e32 v103, 29, v101
	s_delay_alu instid0(VALU_DEP_2)
	v_and_b32_e32 v101, 7, v112
; %bb.1240:                             ;   in Loop: Header=BB301_799 Depth=1
	s_wait_alu 0xfffe
	s_or_b32 exec_lo, exec_lo, s15
	v_lshlrev_b32_e32 v0, 8, v102
	v_lshl_add_u32 v102, v103, 10, 0x2000
	v_lshlrev_b32_e32 v101, 23, v101
	s_delay_alu instid0(VALU_DEP_2) | instskip(NEXT) | instid1(VALU_DEP_1)
	v_and_or_b32 v0, 0x8000, v0, v102
	v_lshl_or_b32 v101, v0, 16, v101
.LBB301_1241:                           ;   in Loop: Header=BB301_799 Depth=1
	s_wait_alu 0xfffe
	s_or_b32 exec_lo, exec_lo, s14
.LBB301_1242:                           ;   in Loop: Header=BB301_799 Depth=1
	s_wait_alu 0xfffe
	s_or_b32 exec_lo, exec_lo, s13
.LBB301_1243:                           ;   in Loop: Header=BB301_799 Depth=1
	s_wait_alu 0xfffe
	s_or_b32 exec_lo, exec_lo, s12
	v_lshrrev_b32_e32 v0, 16, v11
	s_mov_b32 s12, exec_lo
	s_delay_alu instid0(VALU_DEP_1) | instskip(NEXT) | instid1(VALU_DEP_1)
	v_and_b32_e32 v102, 0xff, v0
	v_cmpx_ne_u16_e32 0, v102
	s_cbranch_execz .LBB301_1251
; %bb.1244:                             ;   in Loop: Header=BB301_799 Depth=1
	v_mov_b32_e32 v99, 0x8000
	s_mov_b32 s13, exec_lo
	v_cmpx_ne_u16_e32 0x80, v102
	s_cbranch_execz .LBB301_1250
; %bb.1245:                             ;   in Loop: Header=BB301_799 Depth=1
	v_bfe_u32 v103, v11, 16, 7
	v_mov_b32_e32 v99, 0x7c01
	s_mov_b32 s14, exec_lo
	s_delay_alu instid0(VALU_DEP_2)
	v_cmpx_ne_u32_e32 0x7f, v103
	s_cbranch_execz .LBB301_1249
; %bb.1246:                             ;   in Loop: Header=BB301_799 Depth=1
	v_and_b32_e32 v99, 7, v0
	v_lshrrev_b32_e32 v102, 3, v103
	s_mov_b32 s15, exec_lo
	v_cmpx_gt_u32_e32 8, v103
; %bb.1247:                             ;   in Loop: Header=BB301_799 Depth=1
	s_delay_alu instid0(VALU_DEP_3) | instskip(NEXT) | instid1(VALU_DEP_1)
	v_clz_i32_u32_e32 v99, v99
	v_min_u32_e32 v99, 32, v99
	s_delay_alu instid0(VALU_DEP_1) | instskip(NEXT) | instid1(VALU_DEP_1)
	v_subrev_nc_u32_e32 v102, 28, v99
	v_lshlrev_b64_e32 v[112:113], v102, v[0:1]
	v_sub_nc_u32_e32 v102, 29, v99
	s_delay_alu instid0(VALU_DEP_2)
	v_and_b32_e32 v99, 7, v112
; %bb.1248:                             ;   in Loop: Header=BB301_799 Depth=1
	s_wait_alu 0xfffe
	s_or_b32 exec_lo, exec_lo, s15
	v_lshlrev_b32_e32 v0, 8, v0
	v_lshl_add_u32 v102, v102, 10, 0x2000
	v_lshlrev_b32_e32 v99, 7, v99
	s_delay_alu instid0(VALU_DEP_3) | instskip(NEXT) | instid1(VALU_DEP_3)
	v_and_b32_e32 v0, 0x8000, v0
	v_and_b32_e32 v102, 0xfc00, v102
	s_delay_alu instid0(VALU_DEP_1)
	v_or3_b32 v99, v0, v102, v99
.LBB301_1249:                           ;   in Loop: Header=BB301_799 Depth=1
	s_wait_alu 0xfffe
	s_or_b32 exec_lo, exec_lo, s14
.LBB301_1250:                           ;   in Loop: Header=BB301_799 Depth=1
	s_wait_alu 0xfffe
	s_or_b32 exec_lo, exec_lo, s13
.LBB301_1251:                           ;   in Loop: Header=BB301_799 Depth=1
	s_wait_alu 0xfffe
	s_or_b32 exec_lo, exec_lo, s12
	v_cmp_lt_u64_e64 s0, s[8:9], v[10:11]
	v_mov_b32_e32 v10, 0
	s_and_saveexec_b32 s12, s0
	s_cbranch_execz .LBB301_1259
; %bb.1252:                             ;   in Loop: Header=BB301_799 Depth=1
	v_lshrrev_b32_e32 v0, 24, v11
	v_bfrev_b32_e32 v10, 1
	s_mov_b32 s13, exec_lo
	s_delay_alu instid0(VALU_DEP_2)
	v_cmpx_ne_u32_e32 0x80, v0
	s_cbranch_execz .LBB301_1258
; %bb.1253:                             ;   in Loop: Header=BB301_799 Depth=1
	v_and_b32_e32 v102, 0x7f, v0
	v_mov_b32_e32 v10, 0x7c010000
	s_mov_b32 s14, exec_lo
	s_delay_alu instid0(VALU_DEP_2)
	v_cmpx_ne_u32_e32 0x7f, v102
	s_cbranch_execz .LBB301_1257
; %bb.1254:                             ;   in Loop: Header=BB301_799 Depth=1
	v_and_b32_e32 v10, 7, v0
	v_lshrrev_b32_e32 v11, 3, v102
	s_mov_b32 s15, exec_lo
	v_cmpx_gt_u32_e32 8, v102
; %bb.1255:                             ;   in Loop: Header=BB301_799 Depth=1
	s_delay_alu instid0(VALU_DEP_3) | instskip(NEXT) | instid1(VALU_DEP_1)
	v_clz_i32_u32_e32 v10, v10
	v_min_u32_e32 v102, 32, v10
	s_delay_alu instid0(VALU_DEP_1) | instskip(NEXT) | instid1(VALU_DEP_1)
	v_subrev_nc_u32_e32 v10, 28, v102
	v_lshlrev_b64_e32 v[10:11], v10, v[0:1]
	v_sub_nc_u32_e32 v11, 29, v102
	s_delay_alu instid0(VALU_DEP_2)
	v_and_b32_e32 v10, 7, v10
; %bb.1256:                             ;   in Loop: Header=BB301_799 Depth=1
	s_wait_alu 0xfffe
	s_or_b32 exec_lo, exec_lo, s15
	v_lshlrev_b32_e32 v0, 8, v0
	v_lshl_add_u32 v11, v11, 10, 0x2000
	v_lshlrev_b32_e32 v10, 23, v10
	s_delay_alu instid0(VALU_DEP_2) | instskip(NEXT) | instid1(VALU_DEP_1)
	v_and_or_b32 v0, 0x8000, v0, v11
	v_lshl_or_b32 v10, v0, 16, v10
.LBB301_1257:                           ;   in Loop: Header=BB301_799 Depth=1
	s_wait_alu 0xfffe
	s_or_b32 exec_lo, exec_lo, s14
.LBB301_1258:                           ;   in Loop: Header=BB301_799 Depth=1
	s_wait_alu 0xfffe
	s_or_b32 exec_lo, exec_lo, s13
.LBB301_1259:                           ;   in Loop: Header=BB301_799 Depth=1
	s_wait_alu 0xfffe
	s_or_b32 exec_lo, exec_lo, s12
	v_or_b32_e32 v0, v97, v98
	s_wait_loadcnt_dscnt 0x0
	v_fma_mixlo_f16 v11, v86, v97, 0 op_sel:[0,1,0] op_sel_hi:[0,1,0]
	v_or_b32_e32 v97, v87, v96
	v_fma_mixlo_f16 v87, v86, v87, 0 op_sel:[0,1,0] op_sel_hi:[0,1,0]
	v_or_b32_e32 v98, v101, v100
	v_or_b32_e32 v99, v10, v99
	v_fma_mixlo_f16 v100, v86, v0, 0 op_sel_hi:[0,1,0]
	v_fma_mixlo_f16 v10, v86, v10, 0 op_sel:[0,1,0] op_sel_hi:[0,1,0]
	v_lshlrev_b32_e32 v96, 16, v87
	v_fma_mixlo_f16 v87, v86, v97, 0 op_sel_hi:[0,1,0]
	v_fma_mixlo_f16 v97, v86, v101, 0 op_sel:[0,1,0] op_sel_hi:[0,1,0]
	v_fma_mixlo_f16 v98, v86, v98, 0 op_sel_hi:[0,1,0]
	v_fma_mixlo_f16 v99, v86, v99, 0 op_sel_hi:[0,1,0]
	v_lshlrev_b32_e32 v0, 16, v11
	v_and_b32_e32 v11, 0xffff, v100
	v_and_b32_e32 v102, 0xffff, v87
	v_lshlrev_b32_e32 v86, 16, v97
	v_and_b32_e32 v98, 0xffff, v98
	v_lshlrev_b32_e32 v10, 16, v10
	v_and_b32_e32 v87, 0xffff, v99
	v_or_b32_e32 v97, v0, v11
	v_or_b32_e32 v101, v96, v102
	;; [unrolled: 1-line block ×3, first 2 shown]
	s_delay_alu instid0(VALU_DEP_4)
	v_or_b32_e32 v99, v10, v87
	s_and_saveexec_b32 s12, vcc_lo
	s_cbranch_execz .LBB301_1261
; %bb.1260:                             ;   in Loop: Header=BB301_799 Depth=1
	v_cmp_lt_i32_e64 s0, v35, v30
	s_wait_alu 0xf1ff
	s_delay_alu instid0(VALU_DEP_1) | instskip(SKIP_2) | instid1(VALU_DEP_1)
	v_cndmask_b32_e64 v97, 0, v102, s0
	v_cmp_lt_i32_e64 s0, v67, v30
	s_wait_alu 0xf1ff
	v_cndmask_b32_e64 v96, 0, v96, s0
	v_cmp_lt_i32_e64 s0, v66, v30
	s_delay_alu instid0(VALU_DEP_2) | instskip(SKIP_1) | instid1(VALU_DEP_2)
	v_or_b32_e32 v101, v97, v96
	s_wait_alu 0xf1ff
	v_cndmask_b32_e64 v11, 0, v11, s0
	v_cmp_lt_i32_e64 s0, v64, v30
	s_wait_alu 0xf1ff
	s_delay_alu instid0(VALU_DEP_1) | instskip(SKIP_1) | instid1(VALU_DEP_2)
	v_cndmask_b32_e64 v0, 0, v0, s0
	v_cmp_lt_i32_e64 s0, v53, v30
	v_or_b32_e32 v97, v11, v0
	s_wait_alu 0xf1ff
	s_delay_alu instid0(VALU_DEP_2) | instskip(SKIP_2) | instid1(VALU_DEP_1)
	v_cndmask_b32_e64 v98, 0, v98, s0
	v_cmp_lt_i32_e64 s0, v51, v30
	s_wait_alu 0xf1ff
	v_cndmask_b32_e64 v86, 0, v86, s0
	v_cmp_lt_i32_e64 s0, v36, v30
	s_delay_alu instid0(VALU_DEP_2) | instskip(SKIP_1) | instid1(VALU_DEP_2)
	v_or_b32_e32 v100, v98, v86
	s_wait_alu 0xf1ff
	v_cndmask_b32_e64 v87, 0, v87, s0
	v_cmp_lt_i32_e64 s0, v14, v30
	s_wait_alu 0xf1ff
	s_delay_alu instid0(VALU_DEP_1) | instskip(NEXT) | instid1(VALU_DEP_1)
	v_cndmask_b32_e64 v10, 0, v10, s0
	v_or_b32_e32 v99, v87, v10
.LBB301_1261:                           ;   in Loop: Header=BB301_799 Depth=1
	s_wait_alu 0xfffe
	s_or_b32 exec_lo, exec_lo, s12
	;;#ASMSTART
	v_pk_mul_f16 v0, v55, v101;

	;;#ASMEND
	;;#ASMSTART
	v_pk_mul_f16 v10, v52, v97;

	;;#ASMEND
	;; [unrolled: 4-line block ×4, first 2 shown]
	;;#ASMSTART
	v_pk_add_f16 v0, v0, v10;

	;;#ASMEND
	;;#ASMSTART
	v_pk_add_f16 v0, v0, v11;

	;;#ASMEND
	;; [unrolled: 4-line block ×3, first 2 shown]
	v_dual_mov_b32 v97, 0 :: v_dual_and_b32 v10, 0xffff, v0
	v_lshrrev_b32_e32 v0, 16, v0
	;;#ASMSTART
	v_cvt_f32_f16 v86, v10;
	;;#ASMEND
	;;#ASMSTART
	v_cvt_f32_f16 v87, v0;
	;;#ASMEND
	flat_load_b64 v[10:11], v[8:9] offset:1792
	flat_load_b32 v96, v[26:27]
	v_mov_b32_e32 v98, 0
	s_mov_b32 s12, exec_lo
	s_wait_loadcnt_dscnt 0x101
	v_and_b32_e32 v0, 0xff, v10
	s_delay_alu instid0(VALU_DEP_1)
	v_cmpx_ne_u16_e32 0, v0
	s_cbranch_execz .LBB301_1269
; %bb.1262:                             ;   in Loop: Header=BB301_799 Depth=1
	v_mov_b32_e32 v98, 0x8000
	s_mov_b32 s13, exec_lo
	v_cmpx_ne_u16_e32 0x80, v0
	s_cbranch_execz .LBB301_1268
; %bb.1263:                             ;   in Loop: Header=BB301_799 Depth=1
	v_and_b32_e32 v99, 0x7f, v10
	v_mov_b32_e32 v98, 0x7c01
	s_mov_b32 s14, exec_lo
	s_delay_alu instid0(VALU_DEP_2)
	v_cmpx_ne_u32_e32 0x7f, v99
	s_cbranch_execz .LBB301_1267
; %bb.1264:                             ;   in Loop: Header=BB301_799 Depth=1
	v_and_b32_e32 v0, 7, v10
	v_lshrrev_b32_e32 v98, 3, v99
	s_mov_b32 s15, exec_lo
	v_cmpx_gt_u32_e32 8, v99
; %bb.1265:                             ;   in Loop: Header=BB301_799 Depth=1
	s_delay_alu instid0(VALU_DEP_3) | instskip(NEXT) | instid1(VALU_DEP_1)
	v_clz_i32_u32_e32 v0, v0
	v_min_u32_e32 v0, 32, v0
	s_delay_alu instid0(VALU_DEP_1) | instskip(NEXT) | instid1(VALU_DEP_1)
	v_subrev_nc_u32_e32 v98, 28, v0
	v_lshlrev_b64_e32 v[99:100], v98, v[10:11]
	v_sub_nc_u32_e32 v98, 29, v0
	s_delay_alu instid0(VALU_DEP_2)
	v_and_b32_e32 v0, 7, v99
; %bb.1266:                             ;   in Loop: Header=BB301_799 Depth=1
	s_wait_alu 0xfffe
	s_or_b32 exec_lo, exec_lo, s15
	v_lshlrev_b32_e32 v99, 8, v10
	v_lshl_add_u32 v98, v98, 10, 0x2000
	v_lshlrev_b32_e32 v0, 7, v0
	s_delay_alu instid0(VALU_DEP_3) | instskip(NEXT) | instid1(VALU_DEP_3)
	v_and_b32_e32 v99, 0x8000, v99
	v_and_b32_e32 v98, 0xfc00, v98
	s_delay_alu instid0(VALU_DEP_1)
	v_or3_b32 v98, v99, v98, v0
.LBB301_1267:                           ;   in Loop: Header=BB301_799 Depth=1
	s_wait_alu 0xfffe
	s_or_b32 exec_lo, exec_lo, s14
.LBB301_1268:                           ;   in Loop: Header=BB301_799 Depth=1
	s_wait_alu 0xfffe
	s_or_b32 exec_lo, exec_lo, s13
.LBB301_1269:                           ;   in Loop: Header=BB301_799 Depth=1
	s_wait_alu 0xfffe
	s_or_b32 exec_lo, exec_lo, s12
	v_lshrrev_b16 v0, 8, v10
	s_mov_b32 s12, exec_lo
	s_delay_alu instid0(VALU_DEP_1)
	v_cmpx_ne_u16_e32 0, v0
	s_cbranch_execz .LBB301_1277
; %bb.1270:                             ;   in Loop: Header=BB301_799 Depth=1
	v_bfrev_b32_e32 v97, 1
	s_mov_b32 s13, exec_lo
	v_cmpx_ne_u16_e32 0x80, v0
	s_cbranch_execz .LBB301_1276
; %bb.1271:                             ;   in Loop: Header=BB301_799 Depth=1
	v_and_b32_e32 v99, 0xffff, v0
	v_mov_b32_e32 v97, 0x7c010000
	s_mov_b32 s14, exec_lo
	s_delay_alu instid0(VALU_DEP_2) | instskip(NEXT) | instid1(VALU_DEP_1)
	v_and_b32_e32 v101, 0x7f, v99
	v_cmpx_ne_u32_e32 0x7f, v101
	s_cbranch_execz .LBB301_1275
; %bb.1272:                             ;   in Loop: Header=BB301_799 Depth=1
	v_and_b32_e32 v97, 7, v99
	v_lshrrev_b32_e32 v100, 3, v101
	s_mov_b32 s15, exec_lo
	v_cmpx_gt_u32_e32 8, v101
; %bb.1273:                             ;   in Loop: Header=BB301_799 Depth=1
	s_delay_alu instid0(VALU_DEP_3) | instskip(NEXT) | instid1(VALU_DEP_1)
	v_clz_i32_u32_e32 v97, v97
	v_min_u32_e32 v97, 32, v97
	s_delay_alu instid0(VALU_DEP_1) | instskip(NEXT) | instid1(VALU_DEP_1)
	v_subrev_nc_u32_e32 v100, 28, v97
	v_lshlrev_b64_e32 v[101:102], v100, v[0:1]
	v_sub_nc_u32_e32 v100, 29, v97
	s_delay_alu instid0(VALU_DEP_2)
	v_and_b32_e32 v97, 7, v101
; %bb.1274:                             ;   in Loop: Header=BB301_799 Depth=1
	s_wait_alu 0xfffe
	s_or_b32 exec_lo, exec_lo, s15
	v_lshlrev_b32_e32 v0, 8, v99
	v_lshl_add_u32 v99, v100, 10, 0x2000
	v_lshlrev_b32_e32 v97, 23, v97
	s_delay_alu instid0(VALU_DEP_2) | instskip(NEXT) | instid1(VALU_DEP_1)
	v_and_or_b32 v0, 0x8000, v0, v99
	v_lshl_or_b32 v97, v0, 16, v97
.LBB301_1275:                           ;   in Loop: Header=BB301_799 Depth=1
	s_wait_alu 0xfffe
	s_or_b32 exec_lo, exec_lo, s14
.LBB301_1276:                           ;   in Loop: Header=BB301_799 Depth=1
	s_wait_alu 0xfffe
	s_or_b32 exec_lo, exec_lo, s13
.LBB301_1277:                           ;   in Loop: Header=BB301_799 Depth=1
	s_wait_alu 0xfffe
	s_or_b32 exec_lo, exec_lo, s12
	v_lshrrev_b32_e32 v0, 16, v10
	v_mov_b32_e32 v99, 0
	s_mov_b32 s12, exec_lo
	s_delay_alu instid0(VALU_DEP_2) | instskip(NEXT) | instid1(VALU_DEP_1)
	v_dual_mov_b32 v100, 0 :: v_dual_and_b32 v101, 0xff, v0
	v_cmpx_ne_u16_e32 0, v101
	s_cbranch_execz .LBB301_1285
; %bb.1278:                             ;   in Loop: Header=BB301_799 Depth=1
	v_mov_b32_e32 v100, 0x8000
	s_mov_b32 s13, exec_lo
	v_cmpx_ne_u16_e32 0x80, v101
	s_cbranch_execz .LBB301_1284
; %bb.1279:                             ;   in Loop: Header=BB301_799 Depth=1
	v_bfe_u32 v102, v10, 16, 7
	v_mov_b32_e32 v100, 0x7c01
	s_mov_b32 s14, exec_lo
	s_delay_alu instid0(VALU_DEP_2)
	v_cmpx_ne_u32_e32 0x7f, v102
	s_cbranch_execz .LBB301_1283
; %bb.1280:                             ;   in Loop: Header=BB301_799 Depth=1
	v_and_b32_e32 v100, 7, v0
	v_lshrrev_b32_e32 v101, 3, v102
	s_mov_b32 s15, exec_lo
	v_cmpx_gt_u32_e32 8, v102
; %bb.1281:                             ;   in Loop: Header=BB301_799 Depth=1
	s_delay_alu instid0(VALU_DEP_3) | instskip(NEXT) | instid1(VALU_DEP_1)
	v_clz_i32_u32_e32 v100, v100
	v_min_u32_e32 v102, 32, v100
	s_delay_alu instid0(VALU_DEP_1) | instskip(NEXT) | instid1(VALU_DEP_1)
	v_subrev_nc_u32_e32 v100, 28, v102
	v_lshlrev_b64_e32 v[100:101], v100, v[0:1]
	v_sub_nc_u32_e32 v101, 29, v102
	s_delay_alu instid0(VALU_DEP_2)
	v_and_b32_e32 v100, 7, v100
; %bb.1282:                             ;   in Loop: Header=BB301_799 Depth=1
	s_wait_alu 0xfffe
	s_or_b32 exec_lo, exec_lo, s15
	v_lshlrev_b32_e32 v0, 8, v0
	v_lshl_add_u32 v101, v101, 10, 0x2000
	v_lshlrev_b32_e32 v100, 7, v100
	s_delay_alu instid0(VALU_DEP_3) | instskip(NEXT) | instid1(VALU_DEP_3)
	v_and_b32_e32 v0, 0x8000, v0
	v_and_b32_e32 v101, 0xfc00, v101
	s_delay_alu instid0(VALU_DEP_1)
	v_or3_b32 v100, v0, v101, v100
.LBB301_1283:                           ;   in Loop: Header=BB301_799 Depth=1
	s_wait_alu 0xfffe
	s_or_b32 exec_lo, exec_lo, s14
.LBB301_1284:                           ;   in Loop: Header=BB301_799 Depth=1
	s_wait_alu 0xfffe
	s_or_b32 exec_lo, exec_lo, s13
.LBB301_1285:                           ;   in Loop: Header=BB301_799 Depth=1
	s_wait_alu 0xfffe
	s_or_b32 exec_lo, exec_lo, s12
	s_delay_alu instid0(SALU_CYCLE_1)
	s_mov_b32 s12, exec_lo
	v_cmpx_lt_u32_e32 0xffffff, v10
	s_cbranch_execz .LBB301_1293
; %bb.1286:                             ;   in Loop: Header=BB301_799 Depth=1
	v_lshrrev_b32_e32 v0, 24, v10
	v_bfrev_b32_e32 v99, 1
	s_mov_b32 s13, exec_lo
	s_delay_alu instid0(VALU_DEP_2)
	v_cmpx_ne_u32_e32 0x80, v0
	s_cbranch_execz .LBB301_1292
; %bb.1287:                             ;   in Loop: Header=BB301_799 Depth=1
	v_and_b32_e32 v102, 0x7f, v0
	v_mov_b32_e32 v99, 0x7c010000
	s_mov_b32 s14, exec_lo
	s_delay_alu instid0(VALU_DEP_2)
	v_cmpx_ne_u32_e32 0x7f, v102
	s_cbranch_execz .LBB301_1291
; %bb.1288:                             ;   in Loop: Header=BB301_799 Depth=1
	v_and_b32_e32 v99, 7, v0
	v_lshrrev_b32_e32 v101, 3, v102
	s_mov_b32 s15, exec_lo
	v_cmpx_gt_u32_e32 8, v102
; %bb.1289:                             ;   in Loop: Header=BB301_799 Depth=1
	s_delay_alu instid0(VALU_DEP_3) | instskip(NEXT) | instid1(VALU_DEP_1)
	v_clz_i32_u32_e32 v99, v99
	v_min_u32_e32 v99, 32, v99
	s_delay_alu instid0(VALU_DEP_1) | instskip(NEXT) | instid1(VALU_DEP_1)
	v_subrev_nc_u32_e32 v101, 28, v99
	v_lshlrev_b64_e32 v[102:103], v101, v[0:1]
	v_sub_nc_u32_e32 v101, 29, v99
	s_delay_alu instid0(VALU_DEP_2)
	v_and_b32_e32 v99, 7, v102
; %bb.1290:                             ;   in Loop: Header=BB301_799 Depth=1
	s_wait_alu 0xfffe
	s_or_b32 exec_lo, exec_lo, s15
	v_lshlrev_b32_e32 v0, 8, v0
	v_lshl_add_u32 v101, v101, 10, 0x2000
	v_lshlrev_b32_e32 v99, 23, v99
	s_delay_alu instid0(VALU_DEP_2) | instskip(NEXT) | instid1(VALU_DEP_1)
	v_and_or_b32 v0, 0x8000, v0, v101
	v_lshl_or_b32 v99, v0, 16, v99
.LBB301_1291:                           ;   in Loop: Header=BB301_799 Depth=1
	s_wait_alu 0xfffe
	s_or_b32 exec_lo, exec_lo, s14
.LBB301_1292:                           ;   in Loop: Header=BB301_799 Depth=1
	s_wait_alu 0xfffe
	s_or_b32 exec_lo, exec_lo, s13
.LBB301_1293:                           ;   in Loop: Header=BB301_799 Depth=1
	s_wait_alu 0xfffe
	s_or_b32 exec_lo, exec_lo, s12
	v_dual_mov_b32 v0, v11 :: v_dual_and_b32 v103, 0xff, v11
	v_dual_mov_b32 v101, 0 :: v_dual_mov_b32 v102, 0
	s_mov_b32 s12, exec_lo
	s_delay_alu instid0(VALU_DEP_2)
	v_cmpx_ne_u16_e32 0, v103
	s_cbranch_execz .LBB301_1301
; %bb.1294:                             ;   in Loop: Header=BB301_799 Depth=1
	v_mov_b32_e32 v102, 0x8000
	s_mov_b32 s13, exec_lo
	v_cmpx_ne_u16_e32 0x80, v103
	s_cbranch_execz .LBB301_1300
; %bb.1295:                             ;   in Loop: Header=BB301_799 Depth=1
	v_and_b32_e32 v112, 0x7f, v11
	v_mov_b32_e32 v102, 0x7c01
	s_mov_b32 s14, exec_lo
	s_delay_alu instid0(VALU_DEP_2)
	v_cmpx_ne_u32_e32 0x7f, v112
	s_cbranch_execz .LBB301_1299
; %bb.1296:                             ;   in Loop: Header=BB301_799 Depth=1
	v_and_b32_e32 v102, 7, v11
	v_lshrrev_b32_e32 v103, 3, v112
	s_mov_b32 s15, exec_lo
	v_cmpx_gt_u32_e32 8, v112
; %bb.1297:                             ;   in Loop: Header=BB301_799 Depth=1
	s_delay_alu instid0(VALU_DEP_3) | instskip(NEXT) | instid1(VALU_DEP_1)
	v_clz_i32_u32_e32 v102, v102
	v_min_u32_e32 v112, 32, v102
	s_delay_alu instid0(VALU_DEP_1) | instskip(NEXT) | instid1(VALU_DEP_1)
	v_subrev_nc_u32_e32 v102, 28, v112
	v_lshlrev_b64_e32 v[102:103], v102, v[0:1]
	v_sub_nc_u32_e32 v103, 29, v112
	s_delay_alu instid0(VALU_DEP_2)
	v_and_b32_e32 v102, 7, v102
; %bb.1298:                             ;   in Loop: Header=BB301_799 Depth=1
	s_wait_alu 0xfffe
	s_or_b32 exec_lo, exec_lo, s15
	v_lshlrev_b32_e32 v112, 8, v11
	v_lshl_add_u32 v103, v103, 10, 0x2000
	v_lshlrev_b32_e32 v102, 7, v102
	s_delay_alu instid0(VALU_DEP_3) | instskip(NEXT) | instid1(VALU_DEP_3)
	v_and_b32_e32 v112, 0x8000, v112
	v_and_b32_e32 v103, 0xfc00, v103
	s_delay_alu instid0(VALU_DEP_1)
	v_or3_b32 v102, v112, v103, v102
.LBB301_1299:                           ;   in Loop: Header=BB301_799 Depth=1
	s_wait_alu 0xfffe
	s_or_b32 exec_lo, exec_lo, s14
.LBB301_1300:                           ;   in Loop: Header=BB301_799 Depth=1
	s_wait_alu 0xfffe
	s_or_b32 exec_lo, exec_lo, s13
.LBB301_1301:                           ;   in Loop: Header=BB301_799 Depth=1
	s_wait_alu 0xfffe
	s_or_b32 exec_lo, exec_lo, s12
	v_lshrrev_b16 v0, 8, v0
	v_mov_b32_e32 v103, 0
	s_mov_b32 s12, exec_lo
	s_delay_alu instid0(VALU_DEP_2)
	v_cmpx_ne_u16_e32 0, v0
	s_cbranch_execz .LBB301_1309
; %bb.1302:                             ;   in Loop: Header=BB301_799 Depth=1
	v_bfrev_b32_e32 v103, 1
	s_mov_b32 s13, exec_lo
	v_cmpx_ne_u16_e32 0x80, v0
	s_cbranch_execz .LBB301_1308
; %bb.1303:                             ;   in Loop: Header=BB301_799 Depth=1
	v_and_b32_e32 v112, 0xffff, v0
	v_mov_b32_e32 v103, 0x7c010000
	s_mov_b32 s14, exec_lo
	s_delay_alu instid0(VALU_DEP_2) | instskip(NEXT) | instid1(VALU_DEP_1)
	v_and_b32_e32 v114, 0x7f, v112
	v_cmpx_ne_u32_e32 0x7f, v114
	s_cbranch_execz .LBB301_1307
; %bb.1304:                             ;   in Loop: Header=BB301_799 Depth=1
	v_and_b32_e32 v103, 7, v112
	v_lshrrev_b32_e32 v113, 3, v114
	s_mov_b32 s15, exec_lo
	v_cmpx_gt_u32_e32 8, v114
; %bb.1305:                             ;   in Loop: Header=BB301_799 Depth=1
	s_delay_alu instid0(VALU_DEP_3) | instskip(NEXT) | instid1(VALU_DEP_1)
	v_clz_i32_u32_e32 v103, v103
	v_min_u32_e32 v103, 32, v103
	s_delay_alu instid0(VALU_DEP_1) | instskip(NEXT) | instid1(VALU_DEP_1)
	v_subrev_nc_u32_e32 v113, 28, v103
	v_lshlrev_b64_e32 v[114:115], v113, v[0:1]
	v_sub_nc_u32_e32 v113, 29, v103
	s_delay_alu instid0(VALU_DEP_2)
	v_and_b32_e32 v103, 7, v114
; %bb.1306:                             ;   in Loop: Header=BB301_799 Depth=1
	s_wait_alu 0xfffe
	s_or_b32 exec_lo, exec_lo, s15
	v_lshlrev_b32_e32 v0, 8, v112
	v_lshl_add_u32 v112, v113, 10, 0x2000
	v_lshlrev_b32_e32 v103, 23, v103
	s_delay_alu instid0(VALU_DEP_2) | instskip(NEXT) | instid1(VALU_DEP_1)
	v_and_or_b32 v0, 0x8000, v0, v112
	v_lshl_or_b32 v103, v0, 16, v103
.LBB301_1307:                           ;   in Loop: Header=BB301_799 Depth=1
	s_wait_alu 0xfffe
	s_or_b32 exec_lo, exec_lo, s14
.LBB301_1308:                           ;   in Loop: Header=BB301_799 Depth=1
	s_wait_alu 0xfffe
	s_or_b32 exec_lo, exec_lo, s13
.LBB301_1309:                           ;   in Loop: Header=BB301_799 Depth=1
	s_wait_alu 0xfffe
	s_or_b32 exec_lo, exec_lo, s12
	v_lshrrev_b32_e32 v0, 16, v11
	s_mov_b32 s12, exec_lo
	s_delay_alu instid0(VALU_DEP_1) | instskip(NEXT) | instid1(VALU_DEP_1)
	v_and_b32_e32 v112, 0xff, v0
	v_cmpx_ne_u16_e32 0, v112
	s_cbranch_execz .LBB301_1317
; %bb.1310:                             ;   in Loop: Header=BB301_799 Depth=1
	v_mov_b32_e32 v101, 0x8000
	s_mov_b32 s13, exec_lo
	v_cmpx_ne_u16_e32 0x80, v112
	s_cbranch_execz .LBB301_1316
; %bb.1311:                             ;   in Loop: Header=BB301_799 Depth=1
	v_bfe_u32 v113, v11, 16, 7
	v_mov_b32_e32 v101, 0x7c01
	s_mov_b32 s14, exec_lo
	s_delay_alu instid0(VALU_DEP_2)
	v_cmpx_ne_u32_e32 0x7f, v113
	s_cbranch_execz .LBB301_1315
; %bb.1312:                             ;   in Loop: Header=BB301_799 Depth=1
	v_and_b32_e32 v101, 7, v0
	v_lshrrev_b32_e32 v112, 3, v113
	s_mov_b32 s15, exec_lo
	v_cmpx_gt_u32_e32 8, v113
; %bb.1313:                             ;   in Loop: Header=BB301_799 Depth=1
	s_delay_alu instid0(VALU_DEP_3) | instskip(NEXT) | instid1(VALU_DEP_1)
	v_clz_i32_u32_e32 v101, v101
	v_min_u32_e32 v101, 32, v101
	s_delay_alu instid0(VALU_DEP_1) | instskip(NEXT) | instid1(VALU_DEP_1)
	v_subrev_nc_u32_e32 v112, 28, v101
	v_lshlrev_b64_e32 v[113:114], v112, v[0:1]
	v_sub_nc_u32_e32 v112, 29, v101
	s_delay_alu instid0(VALU_DEP_2)
	v_and_b32_e32 v101, 7, v113
; %bb.1314:                             ;   in Loop: Header=BB301_799 Depth=1
	s_wait_alu 0xfffe
	s_or_b32 exec_lo, exec_lo, s15
	v_lshlrev_b32_e32 v0, 8, v0
	v_lshl_add_u32 v112, v112, 10, 0x2000
	v_lshlrev_b32_e32 v101, 7, v101
	s_delay_alu instid0(VALU_DEP_3) | instskip(NEXT) | instid1(VALU_DEP_3)
	v_and_b32_e32 v0, 0x8000, v0
	v_and_b32_e32 v112, 0xfc00, v112
	s_delay_alu instid0(VALU_DEP_1)
	v_or3_b32 v101, v0, v112, v101
.LBB301_1315:                           ;   in Loop: Header=BB301_799 Depth=1
	s_wait_alu 0xfffe
	s_or_b32 exec_lo, exec_lo, s14
.LBB301_1316:                           ;   in Loop: Header=BB301_799 Depth=1
	s_wait_alu 0xfffe
	s_or_b32 exec_lo, exec_lo, s13
.LBB301_1317:                           ;   in Loop: Header=BB301_799 Depth=1
	s_wait_alu 0xfffe
	s_or_b32 exec_lo, exec_lo, s12
	v_cmp_lt_u64_e64 s0, s[8:9], v[10:11]
	v_mov_b32_e32 v10, 0
	s_and_saveexec_b32 s12, s0
	s_cbranch_execz .LBB301_1325
; %bb.1318:                             ;   in Loop: Header=BB301_799 Depth=1
	v_lshrrev_b32_e32 v0, 24, v11
	v_bfrev_b32_e32 v10, 1
	s_mov_b32 s13, exec_lo
	s_delay_alu instid0(VALU_DEP_2)
	v_cmpx_ne_u32_e32 0x80, v0
	s_cbranch_execz .LBB301_1324
; %bb.1319:                             ;   in Loop: Header=BB301_799 Depth=1
	v_and_b32_e32 v112, 0x7f, v0
	v_mov_b32_e32 v10, 0x7c010000
	s_mov_b32 s14, exec_lo
	s_delay_alu instid0(VALU_DEP_2)
	v_cmpx_ne_u32_e32 0x7f, v112
	s_cbranch_execz .LBB301_1323
; %bb.1320:                             ;   in Loop: Header=BB301_799 Depth=1
	v_and_b32_e32 v10, 7, v0
	v_lshrrev_b32_e32 v11, 3, v112
	s_mov_b32 s15, exec_lo
	v_cmpx_gt_u32_e32 8, v112
; %bb.1321:                             ;   in Loop: Header=BB301_799 Depth=1
	s_delay_alu instid0(VALU_DEP_3) | instskip(NEXT) | instid1(VALU_DEP_1)
	v_clz_i32_u32_e32 v10, v10
	v_min_u32_e32 v112, 32, v10
	s_delay_alu instid0(VALU_DEP_1) | instskip(NEXT) | instid1(VALU_DEP_1)
	v_subrev_nc_u32_e32 v10, 28, v112
	v_lshlrev_b64_e32 v[10:11], v10, v[0:1]
	v_sub_nc_u32_e32 v11, 29, v112
	s_delay_alu instid0(VALU_DEP_2)
	v_and_b32_e32 v10, 7, v10
; %bb.1322:                             ;   in Loop: Header=BB301_799 Depth=1
	s_wait_alu 0xfffe
	s_or_b32 exec_lo, exec_lo, s15
	v_lshlrev_b32_e32 v0, 8, v0
	v_lshl_add_u32 v11, v11, 10, 0x2000
	v_lshlrev_b32_e32 v10, 23, v10
	s_delay_alu instid0(VALU_DEP_2) | instskip(NEXT) | instid1(VALU_DEP_1)
	v_and_or_b32 v0, 0x8000, v0, v11
	v_lshl_or_b32 v10, v0, 16, v10
.LBB301_1323:                           ;   in Loop: Header=BB301_799 Depth=1
	s_wait_alu 0xfffe
	s_or_b32 exec_lo, exec_lo, s14
.LBB301_1324:                           ;   in Loop: Header=BB301_799 Depth=1
	s_wait_alu 0xfffe
	s_or_b32 exec_lo, exec_lo, s13
.LBB301_1325:                           ;   in Loop: Header=BB301_799 Depth=1
	s_wait_alu 0xfffe
	s_or_b32 exec_lo, exec_lo, s12
	v_or_b32_e32 v0, v99, v100
	s_wait_loadcnt_dscnt 0x0
	v_fma_mixlo_f16 v11, v96, v99, 0 op_sel:[0,1,0] op_sel_hi:[0,1,0]
	v_or_b32_e32 v99, v97, v98
	v_fma_mixlo_f16 v97, v96, v97, 0 op_sel:[0,1,0] op_sel_hi:[0,1,0]
	v_or_b32_e32 v100, v103, v102
	v_or_b32_e32 v101, v10, v101
	v_fma_mixlo_f16 v102, v96, v0, 0 op_sel_hi:[0,1,0]
	v_fma_mixlo_f16 v10, v96, v10, 0 op_sel:[0,1,0] op_sel_hi:[0,1,0]
	v_lshlrev_b32_e32 v98, 16, v97
	v_fma_mixlo_f16 v97, v96, v99, 0 op_sel_hi:[0,1,0]
	v_fma_mixlo_f16 v99, v96, v103, 0 op_sel:[0,1,0] op_sel_hi:[0,1,0]
	v_fma_mixlo_f16 v100, v96, v100, 0 op_sel_hi:[0,1,0]
	v_fma_mixlo_f16 v101, v96, v101, 0 op_sel_hi:[0,1,0]
	v_lshlrev_b32_e32 v0, 16, v11
	v_and_b32_e32 v11, 0xffff, v102
	v_and_b32_e32 v112, 0xffff, v97
	v_lshlrev_b32_e32 v96, 16, v99
	v_and_b32_e32 v100, 0xffff, v100
	v_lshlrev_b32_e32 v10, 16, v10
	v_and_b32_e32 v97, 0xffff, v101
	v_or_b32_e32 v99, v0, v11
	v_or_b32_e32 v103, v98, v112
	;; [unrolled: 1-line block ×3, first 2 shown]
	s_delay_alu instid0(VALU_DEP_4)
	v_or_b32_e32 v101, v10, v97
	s_and_saveexec_b32 s12, vcc_lo
	s_cbranch_execz .LBB301_1327
; %bb.1326:                             ;   in Loop: Header=BB301_799 Depth=1
	v_cmp_lt_i32_e64 s0, v35, v30
	s_wait_alu 0xf1ff
	s_delay_alu instid0(VALU_DEP_1) | instskip(SKIP_2) | instid1(VALU_DEP_1)
	v_cndmask_b32_e64 v99, 0, v112, s0
	v_cmp_lt_i32_e64 s0, v67, v30
	s_wait_alu 0xf1ff
	v_cndmask_b32_e64 v98, 0, v98, s0
	v_cmp_lt_i32_e64 s0, v66, v30
	s_delay_alu instid0(VALU_DEP_2) | instskip(SKIP_1) | instid1(VALU_DEP_2)
	v_or_b32_e32 v103, v99, v98
	s_wait_alu 0xf1ff
	v_cndmask_b32_e64 v11, 0, v11, s0
	v_cmp_lt_i32_e64 s0, v64, v30
	s_wait_alu 0xf1ff
	s_delay_alu instid0(VALU_DEP_1) | instskip(SKIP_1) | instid1(VALU_DEP_2)
	v_cndmask_b32_e64 v0, 0, v0, s0
	v_cmp_lt_i32_e64 s0, v53, v30
	v_or_b32_e32 v99, v11, v0
	s_wait_alu 0xf1ff
	s_delay_alu instid0(VALU_DEP_2) | instskip(SKIP_2) | instid1(VALU_DEP_1)
	v_cndmask_b32_e64 v100, 0, v100, s0
	v_cmp_lt_i32_e64 s0, v51, v30
	s_wait_alu 0xf1ff
	v_cndmask_b32_e64 v96, 0, v96, s0
	v_cmp_lt_i32_e64 s0, v36, v30
	s_delay_alu instid0(VALU_DEP_2) | instskip(SKIP_1) | instid1(VALU_DEP_2)
	v_or_b32_e32 v102, v100, v96
	s_wait_alu 0xf1ff
	v_cndmask_b32_e64 v97, 0, v97, s0
	v_cmp_lt_i32_e64 s0, v14, v30
	s_wait_alu 0xf1ff
	s_delay_alu instid0(VALU_DEP_1) | instskip(NEXT) | instid1(VALU_DEP_1)
	v_cndmask_b32_e64 v10, 0, v10, s0
	v_or_b32_e32 v101, v97, v10
.LBB301_1327:                           ;   in Loop: Header=BB301_799 Depth=1
	s_wait_alu 0xfffe
	s_or_b32 exec_lo, exec_lo, s12
	;;#ASMSTART
	v_pk_mul_f16 v0, v55, v103;

	;;#ASMEND
	;;#ASMSTART
	v_pk_mul_f16 v10, v52, v99;

	;;#ASMEND
	;; [unrolled: 4-line block ×4, first 2 shown]
	;;#ASMSTART
	v_pk_add_f16 v0, v0, v10;

	;;#ASMEND
	;;#ASMSTART
	v_pk_add_f16 v0, v0, v11;

	;;#ASMEND
	;;#ASMSTART
	v_pk_add_f16 v0, v0, v96;

	;;#ASMEND
	v_dual_mov_b32 v99, 0 :: v_dual_and_b32 v10, 0xffff, v0
	v_lshrrev_b32_e32 v0, 16, v0
	;;#ASMSTART
	v_cvt_f32_f16 v96, v10;
	;;#ASMEND
	;;#ASMSTART
	v_cvt_f32_f16 v97, v0;
	;;#ASMEND
	flat_load_b64 v[10:11], v[8:9] offset:2048
	flat_load_b32 v98, v[26:27]
	v_mov_b32_e32 v100, 0
	s_mov_b32 s12, exec_lo
	s_wait_loadcnt_dscnt 0x101
	v_and_b32_e32 v0, 0xff, v10
	s_delay_alu instid0(VALU_DEP_1)
	v_cmpx_ne_u16_e32 0, v0
	s_cbranch_execz .LBB301_1335
; %bb.1328:                             ;   in Loop: Header=BB301_799 Depth=1
	v_mov_b32_e32 v100, 0x8000
	s_mov_b32 s13, exec_lo
	v_cmpx_ne_u16_e32 0x80, v0
	s_cbranch_execz .LBB301_1334
; %bb.1329:                             ;   in Loop: Header=BB301_799 Depth=1
	v_and_b32_e32 v101, 0x7f, v10
	v_mov_b32_e32 v100, 0x7c01
	s_mov_b32 s14, exec_lo
	s_delay_alu instid0(VALU_DEP_2)
	v_cmpx_ne_u32_e32 0x7f, v101
	s_cbranch_execz .LBB301_1333
; %bb.1330:                             ;   in Loop: Header=BB301_799 Depth=1
	v_and_b32_e32 v0, 7, v10
	v_lshrrev_b32_e32 v100, 3, v101
	s_mov_b32 s15, exec_lo
	v_cmpx_gt_u32_e32 8, v101
; %bb.1331:                             ;   in Loop: Header=BB301_799 Depth=1
	s_delay_alu instid0(VALU_DEP_3) | instskip(NEXT) | instid1(VALU_DEP_1)
	v_clz_i32_u32_e32 v0, v0
	v_min_u32_e32 v0, 32, v0
	s_delay_alu instid0(VALU_DEP_1) | instskip(NEXT) | instid1(VALU_DEP_1)
	v_subrev_nc_u32_e32 v100, 28, v0
	v_lshlrev_b64_e32 v[101:102], v100, v[10:11]
	v_sub_nc_u32_e32 v100, 29, v0
	s_delay_alu instid0(VALU_DEP_2)
	v_and_b32_e32 v0, 7, v101
; %bb.1332:                             ;   in Loop: Header=BB301_799 Depth=1
	s_wait_alu 0xfffe
	s_or_b32 exec_lo, exec_lo, s15
	v_lshlrev_b32_e32 v101, 8, v10
	v_lshl_add_u32 v100, v100, 10, 0x2000
	v_lshlrev_b32_e32 v0, 7, v0
	s_delay_alu instid0(VALU_DEP_3) | instskip(NEXT) | instid1(VALU_DEP_3)
	v_and_b32_e32 v101, 0x8000, v101
	v_and_b32_e32 v100, 0xfc00, v100
	s_delay_alu instid0(VALU_DEP_1)
	v_or3_b32 v100, v101, v100, v0
.LBB301_1333:                           ;   in Loop: Header=BB301_799 Depth=1
	s_wait_alu 0xfffe
	s_or_b32 exec_lo, exec_lo, s14
.LBB301_1334:                           ;   in Loop: Header=BB301_799 Depth=1
	s_wait_alu 0xfffe
	s_or_b32 exec_lo, exec_lo, s13
.LBB301_1335:                           ;   in Loop: Header=BB301_799 Depth=1
	s_wait_alu 0xfffe
	s_or_b32 exec_lo, exec_lo, s12
	v_lshrrev_b16 v0, 8, v10
	s_mov_b32 s12, exec_lo
	s_delay_alu instid0(VALU_DEP_1)
	v_cmpx_ne_u16_e32 0, v0
	s_cbranch_execz .LBB301_1343
; %bb.1336:                             ;   in Loop: Header=BB301_799 Depth=1
	v_bfrev_b32_e32 v99, 1
	s_mov_b32 s13, exec_lo
	v_cmpx_ne_u16_e32 0x80, v0
	s_cbranch_execz .LBB301_1342
; %bb.1337:                             ;   in Loop: Header=BB301_799 Depth=1
	v_and_b32_e32 v101, 0xffff, v0
	v_mov_b32_e32 v99, 0x7c010000
	s_mov_b32 s14, exec_lo
	s_delay_alu instid0(VALU_DEP_2) | instskip(NEXT) | instid1(VALU_DEP_1)
	v_and_b32_e32 v103, 0x7f, v101
	v_cmpx_ne_u32_e32 0x7f, v103
	s_cbranch_execz .LBB301_1341
; %bb.1338:                             ;   in Loop: Header=BB301_799 Depth=1
	v_and_b32_e32 v99, 7, v101
	v_lshrrev_b32_e32 v102, 3, v103
	s_mov_b32 s15, exec_lo
	v_cmpx_gt_u32_e32 8, v103
; %bb.1339:                             ;   in Loop: Header=BB301_799 Depth=1
	s_delay_alu instid0(VALU_DEP_3) | instskip(NEXT) | instid1(VALU_DEP_1)
	v_clz_i32_u32_e32 v99, v99
	v_min_u32_e32 v99, 32, v99
	s_delay_alu instid0(VALU_DEP_1) | instskip(NEXT) | instid1(VALU_DEP_1)
	v_subrev_nc_u32_e32 v102, 28, v99
	v_lshlrev_b64_e32 v[112:113], v102, v[0:1]
	v_sub_nc_u32_e32 v102, 29, v99
	s_delay_alu instid0(VALU_DEP_2)
	v_and_b32_e32 v99, 7, v112
; %bb.1340:                             ;   in Loop: Header=BB301_799 Depth=1
	s_wait_alu 0xfffe
	s_or_b32 exec_lo, exec_lo, s15
	v_lshlrev_b32_e32 v0, 8, v101
	v_lshl_add_u32 v101, v102, 10, 0x2000
	v_lshlrev_b32_e32 v99, 23, v99
	s_delay_alu instid0(VALU_DEP_2) | instskip(NEXT) | instid1(VALU_DEP_1)
	v_and_or_b32 v0, 0x8000, v0, v101
	v_lshl_or_b32 v99, v0, 16, v99
.LBB301_1341:                           ;   in Loop: Header=BB301_799 Depth=1
	s_wait_alu 0xfffe
	s_or_b32 exec_lo, exec_lo, s14
.LBB301_1342:                           ;   in Loop: Header=BB301_799 Depth=1
	s_wait_alu 0xfffe
	s_or_b32 exec_lo, exec_lo, s13
.LBB301_1343:                           ;   in Loop: Header=BB301_799 Depth=1
	s_wait_alu 0xfffe
	s_or_b32 exec_lo, exec_lo, s12
	v_lshrrev_b32_e32 v0, 16, v10
	v_mov_b32_e32 v101, 0
	s_mov_b32 s12, exec_lo
	s_delay_alu instid0(VALU_DEP_2) | instskip(NEXT) | instid1(VALU_DEP_1)
	v_dual_mov_b32 v102, 0 :: v_dual_and_b32 v103, 0xff, v0
	v_cmpx_ne_u16_e32 0, v103
	s_cbranch_execz .LBB301_1351
; %bb.1344:                             ;   in Loop: Header=BB301_799 Depth=1
	v_mov_b32_e32 v102, 0x8000
	s_mov_b32 s13, exec_lo
	v_cmpx_ne_u16_e32 0x80, v103
	s_cbranch_execz .LBB301_1350
; %bb.1345:                             ;   in Loop: Header=BB301_799 Depth=1
	v_bfe_u32 v112, v10, 16, 7
	v_mov_b32_e32 v102, 0x7c01
	s_mov_b32 s14, exec_lo
	s_delay_alu instid0(VALU_DEP_2)
	v_cmpx_ne_u32_e32 0x7f, v112
	s_cbranch_execz .LBB301_1349
; %bb.1346:                             ;   in Loop: Header=BB301_799 Depth=1
	v_and_b32_e32 v102, 7, v0
	v_lshrrev_b32_e32 v103, 3, v112
	s_mov_b32 s15, exec_lo
	v_cmpx_gt_u32_e32 8, v112
; %bb.1347:                             ;   in Loop: Header=BB301_799 Depth=1
	s_delay_alu instid0(VALU_DEP_3) | instskip(NEXT) | instid1(VALU_DEP_1)
	v_clz_i32_u32_e32 v102, v102
	v_min_u32_e32 v112, 32, v102
	s_delay_alu instid0(VALU_DEP_1) | instskip(NEXT) | instid1(VALU_DEP_1)
	v_subrev_nc_u32_e32 v102, 28, v112
	v_lshlrev_b64_e32 v[102:103], v102, v[0:1]
	v_sub_nc_u32_e32 v103, 29, v112
	s_delay_alu instid0(VALU_DEP_2)
	v_and_b32_e32 v102, 7, v102
; %bb.1348:                             ;   in Loop: Header=BB301_799 Depth=1
	s_wait_alu 0xfffe
	s_or_b32 exec_lo, exec_lo, s15
	v_lshlrev_b32_e32 v0, 8, v0
	v_lshl_add_u32 v103, v103, 10, 0x2000
	v_lshlrev_b32_e32 v102, 7, v102
	s_delay_alu instid0(VALU_DEP_3) | instskip(NEXT) | instid1(VALU_DEP_3)
	v_and_b32_e32 v0, 0x8000, v0
	v_and_b32_e32 v103, 0xfc00, v103
	s_delay_alu instid0(VALU_DEP_1)
	v_or3_b32 v102, v0, v103, v102
.LBB301_1349:                           ;   in Loop: Header=BB301_799 Depth=1
	s_wait_alu 0xfffe
	s_or_b32 exec_lo, exec_lo, s14
.LBB301_1350:                           ;   in Loop: Header=BB301_799 Depth=1
	s_wait_alu 0xfffe
	s_or_b32 exec_lo, exec_lo, s13
.LBB301_1351:                           ;   in Loop: Header=BB301_799 Depth=1
	s_wait_alu 0xfffe
	s_or_b32 exec_lo, exec_lo, s12
	s_delay_alu instid0(SALU_CYCLE_1)
	s_mov_b32 s12, exec_lo
	v_cmpx_lt_u32_e32 0xffffff, v10
	s_cbranch_execz .LBB301_1359
; %bb.1352:                             ;   in Loop: Header=BB301_799 Depth=1
	v_lshrrev_b32_e32 v0, 24, v10
	v_bfrev_b32_e32 v101, 1
	s_mov_b32 s13, exec_lo
	s_delay_alu instid0(VALU_DEP_2)
	v_cmpx_ne_u32_e32 0x80, v0
	s_cbranch_execz .LBB301_1358
; %bb.1353:                             ;   in Loop: Header=BB301_799 Depth=1
	v_and_b32_e32 v112, 0x7f, v0
	v_mov_b32_e32 v101, 0x7c010000
	s_mov_b32 s14, exec_lo
	s_delay_alu instid0(VALU_DEP_2)
	v_cmpx_ne_u32_e32 0x7f, v112
	s_cbranch_execz .LBB301_1357
; %bb.1354:                             ;   in Loop: Header=BB301_799 Depth=1
	v_and_b32_e32 v101, 7, v0
	v_lshrrev_b32_e32 v103, 3, v112
	s_mov_b32 s15, exec_lo
	v_cmpx_gt_u32_e32 8, v112
; %bb.1355:                             ;   in Loop: Header=BB301_799 Depth=1
	s_delay_alu instid0(VALU_DEP_3) | instskip(NEXT) | instid1(VALU_DEP_1)
	v_clz_i32_u32_e32 v101, v101
	v_min_u32_e32 v101, 32, v101
	s_delay_alu instid0(VALU_DEP_1) | instskip(NEXT) | instid1(VALU_DEP_1)
	v_subrev_nc_u32_e32 v103, 28, v101
	v_lshlrev_b64_e32 v[112:113], v103, v[0:1]
	v_sub_nc_u32_e32 v103, 29, v101
	s_delay_alu instid0(VALU_DEP_2)
	v_and_b32_e32 v101, 7, v112
; %bb.1356:                             ;   in Loop: Header=BB301_799 Depth=1
	s_wait_alu 0xfffe
	s_or_b32 exec_lo, exec_lo, s15
	v_lshlrev_b32_e32 v0, 8, v0
	v_lshl_add_u32 v103, v103, 10, 0x2000
	v_lshlrev_b32_e32 v101, 23, v101
	s_delay_alu instid0(VALU_DEP_2) | instskip(NEXT) | instid1(VALU_DEP_1)
	v_and_or_b32 v0, 0x8000, v0, v103
	v_lshl_or_b32 v101, v0, 16, v101
.LBB301_1357:                           ;   in Loop: Header=BB301_799 Depth=1
	s_wait_alu 0xfffe
	s_or_b32 exec_lo, exec_lo, s14
.LBB301_1358:                           ;   in Loop: Header=BB301_799 Depth=1
	s_wait_alu 0xfffe
	s_or_b32 exec_lo, exec_lo, s13
.LBB301_1359:                           ;   in Loop: Header=BB301_799 Depth=1
	s_wait_alu 0xfffe
	s_or_b32 exec_lo, exec_lo, s12
	v_dual_mov_b32 v0, v11 :: v_dual_and_b32 v113, 0xff, v11
	v_dual_mov_b32 v103, 0 :: v_dual_mov_b32 v112, 0
	s_mov_b32 s12, exec_lo
	s_delay_alu instid0(VALU_DEP_2)
	v_cmpx_ne_u16_e32 0, v113
	s_cbranch_execz .LBB301_1367
; %bb.1360:                             ;   in Loop: Header=BB301_799 Depth=1
	v_mov_b32_e32 v112, 0x8000
	s_mov_b32 s13, exec_lo
	v_cmpx_ne_u16_e32 0x80, v113
	s_cbranch_execz .LBB301_1366
; %bb.1361:                             ;   in Loop: Header=BB301_799 Depth=1
	v_and_b32_e32 v114, 0x7f, v11
	v_mov_b32_e32 v112, 0x7c01
	s_mov_b32 s14, exec_lo
	s_delay_alu instid0(VALU_DEP_2)
	v_cmpx_ne_u32_e32 0x7f, v114
	s_cbranch_execz .LBB301_1365
; %bb.1362:                             ;   in Loop: Header=BB301_799 Depth=1
	v_and_b32_e32 v112, 7, v11
	v_lshrrev_b32_e32 v113, 3, v114
	s_mov_b32 s15, exec_lo
	v_cmpx_gt_u32_e32 8, v114
; %bb.1363:                             ;   in Loop: Header=BB301_799 Depth=1
	s_delay_alu instid0(VALU_DEP_3) | instskip(NEXT) | instid1(VALU_DEP_1)
	v_clz_i32_u32_e32 v112, v112
	v_min_u32_e32 v114, 32, v112
	s_delay_alu instid0(VALU_DEP_1) | instskip(NEXT) | instid1(VALU_DEP_1)
	v_subrev_nc_u32_e32 v112, 28, v114
	v_lshlrev_b64_e32 v[112:113], v112, v[0:1]
	v_sub_nc_u32_e32 v113, 29, v114
	s_delay_alu instid0(VALU_DEP_2)
	v_and_b32_e32 v112, 7, v112
; %bb.1364:                             ;   in Loop: Header=BB301_799 Depth=1
	s_wait_alu 0xfffe
	s_or_b32 exec_lo, exec_lo, s15
	v_lshlrev_b32_e32 v114, 8, v11
	v_lshl_add_u32 v113, v113, 10, 0x2000
	v_lshlrev_b32_e32 v112, 7, v112
	s_delay_alu instid0(VALU_DEP_3) | instskip(NEXT) | instid1(VALU_DEP_3)
	v_and_b32_e32 v114, 0x8000, v114
	v_and_b32_e32 v113, 0xfc00, v113
	s_delay_alu instid0(VALU_DEP_1)
	v_or3_b32 v112, v114, v113, v112
.LBB301_1365:                           ;   in Loop: Header=BB301_799 Depth=1
	s_wait_alu 0xfffe
	s_or_b32 exec_lo, exec_lo, s14
.LBB301_1366:                           ;   in Loop: Header=BB301_799 Depth=1
	s_wait_alu 0xfffe
	s_or_b32 exec_lo, exec_lo, s13
.LBB301_1367:                           ;   in Loop: Header=BB301_799 Depth=1
	s_wait_alu 0xfffe
	s_or_b32 exec_lo, exec_lo, s12
	v_lshrrev_b16 v0, 8, v0
	v_mov_b32_e32 v113, 0
	s_mov_b32 s12, exec_lo
	s_delay_alu instid0(VALU_DEP_2)
	v_cmpx_ne_u16_e32 0, v0
	s_cbranch_execz .LBB301_1375
; %bb.1368:                             ;   in Loop: Header=BB301_799 Depth=1
	v_bfrev_b32_e32 v113, 1
	s_mov_b32 s13, exec_lo
	v_cmpx_ne_u16_e32 0x80, v0
	s_cbranch_execz .LBB301_1374
; %bb.1369:                             ;   in Loop: Header=BB301_799 Depth=1
	v_and_b32_e32 v114, 0xffff, v0
	v_mov_b32_e32 v113, 0x7c010000
	s_mov_b32 s14, exec_lo
	s_delay_alu instid0(VALU_DEP_2) | instskip(NEXT) | instid1(VALU_DEP_1)
	v_and_b32_e32 v116, 0x7f, v114
	v_cmpx_ne_u32_e32 0x7f, v116
	s_cbranch_execz .LBB301_1373
; %bb.1370:                             ;   in Loop: Header=BB301_799 Depth=1
	v_and_b32_e32 v113, 7, v114
	v_lshrrev_b32_e32 v115, 3, v116
	s_mov_b32 s15, exec_lo
	v_cmpx_gt_u32_e32 8, v116
; %bb.1371:                             ;   in Loop: Header=BB301_799 Depth=1
	s_delay_alu instid0(VALU_DEP_3) | instskip(NEXT) | instid1(VALU_DEP_1)
	v_clz_i32_u32_e32 v113, v113
	v_min_u32_e32 v113, 32, v113
	s_delay_alu instid0(VALU_DEP_1) | instskip(NEXT) | instid1(VALU_DEP_1)
	v_subrev_nc_u32_e32 v115, 28, v113
	v_lshlrev_b64_e32 v[116:117], v115, v[0:1]
	v_sub_nc_u32_e32 v115, 29, v113
	s_delay_alu instid0(VALU_DEP_2)
	v_and_b32_e32 v113, 7, v116
; %bb.1372:                             ;   in Loop: Header=BB301_799 Depth=1
	s_wait_alu 0xfffe
	s_or_b32 exec_lo, exec_lo, s15
	v_lshlrev_b32_e32 v0, 8, v114
	v_lshl_add_u32 v114, v115, 10, 0x2000
	v_lshlrev_b32_e32 v113, 23, v113
	s_delay_alu instid0(VALU_DEP_2) | instskip(NEXT) | instid1(VALU_DEP_1)
	v_and_or_b32 v0, 0x8000, v0, v114
	v_lshl_or_b32 v113, v0, 16, v113
.LBB301_1373:                           ;   in Loop: Header=BB301_799 Depth=1
	s_wait_alu 0xfffe
	s_or_b32 exec_lo, exec_lo, s14
.LBB301_1374:                           ;   in Loop: Header=BB301_799 Depth=1
	s_wait_alu 0xfffe
	s_or_b32 exec_lo, exec_lo, s13
.LBB301_1375:                           ;   in Loop: Header=BB301_799 Depth=1
	s_wait_alu 0xfffe
	s_or_b32 exec_lo, exec_lo, s12
	v_lshrrev_b32_e32 v0, 16, v11
	s_mov_b32 s12, exec_lo
	s_delay_alu instid0(VALU_DEP_1) | instskip(NEXT) | instid1(VALU_DEP_1)
	v_and_b32_e32 v114, 0xff, v0
	v_cmpx_ne_u16_e32 0, v114
	s_cbranch_execz .LBB301_1383
; %bb.1376:                             ;   in Loop: Header=BB301_799 Depth=1
	v_mov_b32_e32 v103, 0x8000
	s_mov_b32 s13, exec_lo
	v_cmpx_ne_u16_e32 0x80, v114
	s_cbranch_execz .LBB301_1382
; %bb.1377:                             ;   in Loop: Header=BB301_799 Depth=1
	v_bfe_u32 v115, v11, 16, 7
	v_mov_b32_e32 v103, 0x7c01
	s_mov_b32 s14, exec_lo
	s_delay_alu instid0(VALU_DEP_2)
	v_cmpx_ne_u32_e32 0x7f, v115
	s_cbranch_execz .LBB301_1381
; %bb.1378:                             ;   in Loop: Header=BB301_799 Depth=1
	v_and_b32_e32 v103, 7, v0
	v_lshrrev_b32_e32 v114, 3, v115
	s_mov_b32 s15, exec_lo
	v_cmpx_gt_u32_e32 8, v115
; %bb.1379:                             ;   in Loop: Header=BB301_799 Depth=1
	s_delay_alu instid0(VALU_DEP_3) | instskip(NEXT) | instid1(VALU_DEP_1)
	v_clz_i32_u32_e32 v103, v103
	v_min_u32_e32 v103, 32, v103
	s_delay_alu instid0(VALU_DEP_1) | instskip(NEXT) | instid1(VALU_DEP_1)
	v_subrev_nc_u32_e32 v114, 28, v103
	v_lshlrev_b64_e32 v[115:116], v114, v[0:1]
	v_sub_nc_u32_e32 v114, 29, v103
	s_delay_alu instid0(VALU_DEP_2)
	v_and_b32_e32 v103, 7, v115
; %bb.1380:                             ;   in Loop: Header=BB301_799 Depth=1
	s_wait_alu 0xfffe
	s_or_b32 exec_lo, exec_lo, s15
	v_lshlrev_b32_e32 v0, 8, v0
	v_lshl_add_u32 v114, v114, 10, 0x2000
	v_lshlrev_b32_e32 v103, 7, v103
	s_delay_alu instid0(VALU_DEP_3) | instskip(NEXT) | instid1(VALU_DEP_3)
	v_and_b32_e32 v0, 0x8000, v0
	v_and_b32_e32 v114, 0xfc00, v114
	s_delay_alu instid0(VALU_DEP_1)
	v_or3_b32 v103, v0, v114, v103
.LBB301_1381:                           ;   in Loop: Header=BB301_799 Depth=1
	s_wait_alu 0xfffe
	s_or_b32 exec_lo, exec_lo, s14
.LBB301_1382:                           ;   in Loop: Header=BB301_799 Depth=1
	s_wait_alu 0xfffe
	s_or_b32 exec_lo, exec_lo, s13
.LBB301_1383:                           ;   in Loop: Header=BB301_799 Depth=1
	s_wait_alu 0xfffe
	s_or_b32 exec_lo, exec_lo, s12
	v_cmp_lt_u64_e64 s0, s[8:9], v[10:11]
	v_mov_b32_e32 v10, 0
	s_and_saveexec_b32 s12, s0
	s_cbranch_execz .LBB301_1391
; %bb.1384:                             ;   in Loop: Header=BB301_799 Depth=1
	v_lshrrev_b32_e32 v0, 24, v11
	v_bfrev_b32_e32 v10, 1
	s_mov_b32 s13, exec_lo
	s_delay_alu instid0(VALU_DEP_2)
	v_cmpx_ne_u32_e32 0x80, v0
	s_cbranch_execz .LBB301_1390
; %bb.1385:                             ;   in Loop: Header=BB301_799 Depth=1
	v_and_b32_e32 v114, 0x7f, v0
	v_mov_b32_e32 v10, 0x7c010000
	s_mov_b32 s14, exec_lo
	s_delay_alu instid0(VALU_DEP_2)
	v_cmpx_ne_u32_e32 0x7f, v114
	s_cbranch_execz .LBB301_1389
; %bb.1386:                             ;   in Loop: Header=BB301_799 Depth=1
	v_and_b32_e32 v10, 7, v0
	v_lshrrev_b32_e32 v11, 3, v114
	s_mov_b32 s15, exec_lo
	v_cmpx_gt_u32_e32 8, v114
; %bb.1387:                             ;   in Loop: Header=BB301_799 Depth=1
	s_delay_alu instid0(VALU_DEP_3) | instskip(NEXT) | instid1(VALU_DEP_1)
	v_clz_i32_u32_e32 v10, v10
	v_min_u32_e32 v114, 32, v10
	s_delay_alu instid0(VALU_DEP_1) | instskip(NEXT) | instid1(VALU_DEP_1)
	v_subrev_nc_u32_e32 v10, 28, v114
	v_lshlrev_b64_e32 v[10:11], v10, v[0:1]
	v_sub_nc_u32_e32 v11, 29, v114
	s_delay_alu instid0(VALU_DEP_2)
	v_and_b32_e32 v10, 7, v10
; %bb.1388:                             ;   in Loop: Header=BB301_799 Depth=1
	s_wait_alu 0xfffe
	s_or_b32 exec_lo, exec_lo, s15
	v_lshlrev_b32_e32 v0, 8, v0
	v_lshl_add_u32 v11, v11, 10, 0x2000
	v_lshlrev_b32_e32 v10, 23, v10
	s_delay_alu instid0(VALU_DEP_2) | instskip(NEXT) | instid1(VALU_DEP_1)
	v_and_or_b32 v0, 0x8000, v0, v11
	v_lshl_or_b32 v10, v0, 16, v10
.LBB301_1389:                           ;   in Loop: Header=BB301_799 Depth=1
	s_wait_alu 0xfffe
	s_or_b32 exec_lo, exec_lo, s14
.LBB301_1390:                           ;   in Loop: Header=BB301_799 Depth=1
	s_wait_alu 0xfffe
	s_or_b32 exec_lo, exec_lo, s13
.LBB301_1391:                           ;   in Loop: Header=BB301_799 Depth=1
	s_wait_alu 0xfffe
	s_or_b32 exec_lo, exec_lo, s12
	v_or_b32_e32 v0, v101, v102
	s_wait_loadcnt_dscnt 0x0
	v_fma_mixlo_f16 v11, v98, v101, 0 op_sel:[0,1,0] op_sel_hi:[0,1,0]
	v_or_b32_e32 v101, v99, v100
	v_fma_mixlo_f16 v99, v98, v99, 0 op_sel:[0,1,0] op_sel_hi:[0,1,0]
	v_or_b32_e32 v102, v113, v112
	v_or_b32_e32 v103, v10, v103
	v_fma_mixlo_f16 v112, v98, v0, 0 op_sel_hi:[0,1,0]
	v_fma_mixlo_f16 v10, v98, v10, 0 op_sel:[0,1,0] op_sel_hi:[0,1,0]
	v_lshlrev_b32_e32 v100, 16, v99
	v_fma_mixlo_f16 v99, v98, v101, 0 op_sel_hi:[0,1,0]
	v_fma_mixlo_f16 v101, v98, v113, 0 op_sel:[0,1,0] op_sel_hi:[0,1,0]
	v_fma_mixlo_f16 v102, v98, v102, 0 op_sel_hi:[0,1,0]
	v_fma_mixlo_f16 v103, v98, v103, 0 op_sel_hi:[0,1,0]
	v_lshlrev_b32_e32 v0, 16, v11
	v_and_b32_e32 v11, 0xffff, v112
	v_and_b32_e32 v114, 0xffff, v99
	v_lshlrev_b32_e32 v98, 16, v101
	v_and_b32_e32 v102, 0xffff, v102
	v_lshlrev_b32_e32 v10, 16, v10
	v_and_b32_e32 v99, 0xffff, v103
	v_or_b32_e32 v101, v0, v11
	v_or_b32_e32 v113, v100, v114
	;; [unrolled: 1-line block ×3, first 2 shown]
	s_delay_alu instid0(VALU_DEP_4)
	v_or_b32_e32 v103, v10, v99
	s_and_saveexec_b32 s12, vcc_lo
	s_cbranch_execz .LBB301_1393
; %bb.1392:                             ;   in Loop: Header=BB301_799 Depth=1
	v_cmp_lt_i32_e64 s0, v35, v30
	s_wait_alu 0xf1ff
	s_delay_alu instid0(VALU_DEP_1) | instskip(SKIP_2) | instid1(VALU_DEP_1)
	v_cndmask_b32_e64 v101, 0, v114, s0
	v_cmp_lt_i32_e64 s0, v67, v30
	s_wait_alu 0xf1ff
	v_cndmask_b32_e64 v100, 0, v100, s0
	v_cmp_lt_i32_e64 s0, v66, v30
	s_delay_alu instid0(VALU_DEP_2) | instskip(SKIP_1) | instid1(VALU_DEP_2)
	v_or_b32_e32 v113, v101, v100
	s_wait_alu 0xf1ff
	v_cndmask_b32_e64 v11, 0, v11, s0
	v_cmp_lt_i32_e64 s0, v64, v30
	s_wait_alu 0xf1ff
	s_delay_alu instid0(VALU_DEP_1) | instskip(SKIP_1) | instid1(VALU_DEP_2)
	v_cndmask_b32_e64 v0, 0, v0, s0
	v_cmp_lt_i32_e64 s0, v53, v30
	v_or_b32_e32 v101, v11, v0
	s_wait_alu 0xf1ff
	s_delay_alu instid0(VALU_DEP_2) | instskip(SKIP_2) | instid1(VALU_DEP_1)
	v_cndmask_b32_e64 v102, 0, v102, s0
	v_cmp_lt_i32_e64 s0, v51, v30
	s_wait_alu 0xf1ff
	v_cndmask_b32_e64 v98, 0, v98, s0
	v_cmp_lt_i32_e64 s0, v36, v30
	s_delay_alu instid0(VALU_DEP_2) | instskip(SKIP_1) | instid1(VALU_DEP_2)
	v_or_b32_e32 v112, v102, v98
	s_wait_alu 0xf1ff
	v_cndmask_b32_e64 v99, 0, v99, s0
	v_cmp_lt_i32_e64 s0, v14, v30
	s_wait_alu 0xf1ff
	s_delay_alu instid0(VALU_DEP_1) | instskip(NEXT) | instid1(VALU_DEP_1)
	v_cndmask_b32_e64 v10, 0, v10, s0
	v_or_b32_e32 v103, v99, v10
.LBB301_1393:                           ;   in Loop: Header=BB301_799 Depth=1
	s_wait_alu 0xfffe
	s_or_b32 exec_lo, exec_lo, s12
	;;#ASMSTART
	v_pk_mul_f16 v0, v55, v113;

	;;#ASMEND
	;;#ASMSTART
	v_pk_mul_f16 v10, v52, v101;

	;;#ASMEND
	;; [unrolled: 4-line block ×4, first 2 shown]
	;;#ASMSTART
	v_pk_add_f16 v0, v0, v10;

	;;#ASMEND
	;;#ASMSTART
	v_pk_add_f16 v0, v0, v11;

	;;#ASMEND
	;; [unrolled: 4-line block ×3, first 2 shown]
	v_dual_mov_b32 v101, 0 :: v_dual_and_b32 v10, 0xffff, v0
	v_lshrrev_b32_e32 v0, 16, v0
	;;#ASMSTART
	v_cvt_f32_f16 v98, v10;
	;;#ASMEND
	;;#ASMSTART
	v_cvt_f32_f16 v99, v0;
	;;#ASMEND
	flat_load_b64 v[10:11], v[8:9] offset:2304
	flat_load_b32 v100, v[26:27]
	v_mov_b32_e32 v102, 0
	s_mov_b32 s12, exec_lo
	s_wait_loadcnt_dscnt 0x101
	v_and_b32_e32 v0, 0xff, v10
	s_delay_alu instid0(VALU_DEP_1)
	v_cmpx_ne_u16_e32 0, v0
	s_cbranch_execz .LBB301_1401
; %bb.1394:                             ;   in Loop: Header=BB301_799 Depth=1
	v_mov_b32_e32 v102, 0x8000
	s_mov_b32 s13, exec_lo
	v_cmpx_ne_u16_e32 0x80, v0
	s_cbranch_execz .LBB301_1400
; %bb.1395:                             ;   in Loop: Header=BB301_799 Depth=1
	v_and_b32_e32 v103, 0x7f, v10
	v_mov_b32_e32 v102, 0x7c01
	s_mov_b32 s14, exec_lo
	s_delay_alu instid0(VALU_DEP_2)
	v_cmpx_ne_u32_e32 0x7f, v103
	s_cbranch_execz .LBB301_1399
; %bb.1396:                             ;   in Loop: Header=BB301_799 Depth=1
	v_and_b32_e32 v0, 7, v10
	v_lshrrev_b32_e32 v102, 3, v103
	s_mov_b32 s15, exec_lo
	v_cmpx_gt_u32_e32 8, v103
; %bb.1397:                             ;   in Loop: Header=BB301_799 Depth=1
	s_delay_alu instid0(VALU_DEP_3) | instskip(NEXT) | instid1(VALU_DEP_1)
	v_clz_i32_u32_e32 v0, v0
	v_min_u32_e32 v0, 32, v0
	s_delay_alu instid0(VALU_DEP_1) | instskip(NEXT) | instid1(VALU_DEP_1)
	v_subrev_nc_u32_e32 v102, 28, v0
	v_lshlrev_b64_e32 v[112:113], v102, v[10:11]
	v_sub_nc_u32_e32 v102, 29, v0
	s_delay_alu instid0(VALU_DEP_2)
	v_and_b32_e32 v0, 7, v112
; %bb.1398:                             ;   in Loop: Header=BB301_799 Depth=1
	s_wait_alu 0xfffe
	s_or_b32 exec_lo, exec_lo, s15
	v_lshlrev_b32_e32 v103, 8, v10
	v_lshl_add_u32 v102, v102, 10, 0x2000
	v_lshlrev_b32_e32 v0, 7, v0
	s_delay_alu instid0(VALU_DEP_3) | instskip(NEXT) | instid1(VALU_DEP_3)
	v_and_b32_e32 v103, 0x8000, v103
	v_and_b32_e32 v102, 0xfc00, v102
	s_delay_alu instid0(VALU_DEP_1)
	v_or3_b32 v102, v103, v102, v0
.LBB301_1399:                           ;   in Loop: Header=BB301_799 Depth=1
	s_wait_alu 0xfffe
	s_or_b32 exec_lo, exec_lo, s14
.LBB301_1400:                           ;   in Loop: Header=BB301_799 Depth=1
	s_wait_alu 0xfffe
	s_or_b32 exec_lo, exec_lo, s13
.LBB301_1401:                           ;   in Loop: Header=BB301_799 Depth=1
	s_wait_alu 0xfffe
	s_or_b32 exec_lo, exec_lo, s12
	v_lshrrev_b16 v0, 8, v10
	s_mov_b32 s12, exec_lo
	s_delay_alu instid0(VALU_DEP_1)
	v_cmpx_ne_u16_e32 0, v0
	s_cbranch_execz .LBB301_1409
; %bb.1402:                             ;   in Loop: Header=BB301_799 Depth=1
	v_bfrev_b32_e32 v101, 1
	s_mov_b32 s13, exec_lo
	v_cmpx_ne_u16_e32 0x80, v0
	s_cbranch_execz .LBB301_1408
; %bb.1403:                             ;   in Loop: Header=BB301_799 Depth=1
	v_and_b32_e32 v103, 0xffff, v0
	v_mov_b32_e32 v101, 0x7c010000
	s_mov_b32 s14, exec_lo
	s_delay_alu instid0(VALU_DEP_2) | instskip(NEXT) | instid1(VALU_DEP_1)
	v_and_b32_e32 v113, 0x7f, v103
	v_cmpx_ne_u32_e32 0x7f, v113
	s_cbranch_execz .LBB301_1407
; %bb.1404:                             ;   in Loop: Header=BB301_799 Depth=1
	v_and_b32_e32 v101, 7, v103
	v_lshrrev_b32_e32 v112, 3, v113
	s_mov_b32 s15, exec_lo
	v_cmpx_gt_u32_e32 8, v113
; %bb.1405:                             ;   in Loop: Header=BB301_799 Depth=1
	s_delay_alu instid0(VALU_DEP_3) | instskip(NEXT) | instid1(VALU_DEP_1)
	v_clz_i32_u32_e32 v101, v101
	v_min_u32_e32 v101, 32, v101
	s_delay_alu instid0(VALU_DEP_1) | instskip(NEXT) | instid1(VALU_DEP_1)
	v_subrev_nc_u32_e32 v112, 28, v101
	v_lshlrev_b64_e32 v[113:114], v112, v[0:1]
	v_sub_nc_u32_e32 v112, 29, v101
	s_delay_alu instid0(VALU_DEP_2)
	v_and_b32_e32 v101, 7, v113
; %bb.1406:                             ;   in Loop: Header=BB301_799 Depth=1
	s_wait_alu 0xfffe
	s_or_b32 exec_lo, exec_lo, s15
	v_lshlrev_b32_e32 v0, 8, v103
	v_lshl_add_u32 v103, v112, 10, 0x2000
	v_lshlrev_b32_e32 v101, 23, v101
	s_delay_alu instid0(VALU_DEP_2) | instskip(NEXT) | instid1(VALU_DEP_1)
	v_and_or_b32 v0, 0x8000, v0, v103
	v_lshl_or_b32 v101, v0, 16, v101
.LBB301_1407:                           ;   in Loop: Header=BB301_799 Depth=1
	s_wait_alu 0xfffe
	s_or_b32 exec_lo, exec_lo, s14
.LBB301_1408:                           ;   in Loop: Header=BB301_799 Depth=1
	s_wait_alu 0xfffe
	s_or_b32 exec_lo, exec_lo, s13
.LBB301_1409:                           ;   in Loop: Header=BB301_799 Depth=1
	s_wait_alu 0xfffe
	s_or_b32 exec_lo, exec_lo, s12
	v_lshrrev_b32_e32 v0, 16, v10
	v_mov_b32_e32 v103, 0
	s_mov_b32 s12, exec_lo
	s_delay_alu instid0(VALU_DEP_2) | instskip(NEXT) | instid1(VALU_DEP_1)
	v_dual_mov_b32 v112, 0 :: v_dual_and_b32 v113, 0xff, v0
	v_cmpx_ne_u16_e32 0, v113
	s_cbranch_execz .LBB301_1417
; %bb.1410:                             ;   in Loop: Header=BB301_799 Depth=1
	v_mov_b32_e32 v112, 0x8000
	s_mov_b32 s13, exec_lo
	v_cmpx_ne_u16_e32 0x80, v113
	s_cbranch_execz .LBB301_1416
; %bb.1411:                             ;   in Loop: Header=BB301_799 Depth=1
	v_bfe_u32 v114, v10, 16, 7
	v_mov_b32_e32 v112, 0x7c01
	s_mov_b32 s14, exec_lo
	s_delay_alu instid0(VALU_DEP_2)
	v_cmpx_ne_u32_e32 0x7f, v114
	s_cbranch_execz .LBB301_1415
; %bb.1412:                             ;   in Loop: Header=BB301_799 Depth=1
	v_and_b32_e32 v112, 7, v0
	v_lshrrev_b32_e32 v113, 3, v114
	s_mov_b32 s15, exec_lo
	v_cmpx_gt_u32_e32 8, v114
; %bb.1413:                             ;   in Loop: Header=BB301_799 Depth=1
	s_delay_alu instid0(VALU_DEP_3) | instskip(NEXT) | instid1(VALU_DEP_1)
	v_clz_i32_u32_e32 v112, v112
	v_min_u32_e32 v114, 32, v112
	s_delay_alu instid0(VALU_DEP_1) | instskip(NEXT) | instid1(VALU_DEP_1)
	v_subrev_nc_u32_e32 v112, 28, v114
	v_lshlrev_b64_e32 v[112:113], v112, v[0:1]
	v_sub_nc_u32_e32 v113, 29, v114
	s_delay_alu instid0(VALU_DEP_2)
	v_and_b32_e32 v112, 7, v112
; %bb.1414:                             ;   in Loop: Header=BB301_799 Depth=1
	s_wait_alu 0xfffe
	s_or_b32 exec_lo, exec_lo, s15
	v_lshlrev_b32_e32 v0, 8, v0
	v_lshl_add_u32 v113, v113, 10, 0x2000
	v_lshlrev_b32_e32 v112, 7, v112
	s_delay_alu instid0(VALU_DEP_3) | instskip(NEXT) | instid1(VALU_DEP_3)
	v_and_b32_e32 v0, 0x8000, v0
	v_and_b32_e32 v113, 0xfc00, v113
	s_delay_alu instid0(VALU_DEP_1)
	v_or3_b32 v112, v0, v113, v112
.LBB301_1415:                           ;   in Loop: Header=BB301_799 Depth=1
	s_wait_alu 0xfffe
	s_or_b32 exec_lo, exec_lo, s14
.LBB301_1416:                           ;   in Loop: Header=BB301_799 Depth=1
	s_wait_alu 0xfffe
	s_or_b32 exec_lo, exec_lo, s13
.LBB301_1417:                           ;   in Loop: Header=BB301_799 Depth=1
	s_wait_alu 0xfffe
	s_or_b32 exec_lo, exec_lo, s12
	s_delay_alu instid0(SALU_CYCLE_1)
	s_mov_b32 s12, exec_lo
	v_cmpx_lt_u32_e32 0xffffff, v10
	s_cbranch_execz .LBB301_1425
; %bb.1418:                             ;   in Loop: Header=BB301_799 Depth=1
	v_lshrrev_b32_e32 v0, 24, v10
	v_bfrev_b32_e32 v103, 1
	s_mov_b32 s13, exec_lo
	s_delay_alu instid0(VALU_DEP_2)
	v_cmpx_ne_u32_e32 0x80, v0
	s_cbranch_execz .LBB301_1424
; %bb.1419:                             ;   in Loop: Header=BB301_799 Depth=1
	v_and_b32_e32 v114, 0x7f, v0
	v_mov_b32_e32 v103, 0x7c010000
	s_mov_b32 s14, exec_lo
	s_delay_alu instid0(VALU_DEP_2)
	v_cmpx_ne_u32_e32 0x7f, v114
	s_cbranch_execz .LBB301_1423
; %bb.1420:                             ;   in Loop: Header=BB301_799 Depth=1
	v_and_b32_e32 v103, 7, v0
	v_lshrrev_b32_e32 v113, 3, v114
	s_mov_b32 s15, exec_lo
	v_cmpx_gt_u32_e32 8, v114
; %bb.1421:                             ;   in Loop: Header=BB301_799 Depth=1
	s_delay_alu instid0(VALU_DEP_3) | instskip(NEXT) | instid1(VALU_DEP_1)
	v_clz_i32_u32_e32 v103, v103
	v_min_u32_e32 v103, 32, v103
	s_delay_alu instid0(VALU_DEP_1) | instskip(NEXT) | instid1(VALU_DEP_1)
	v_subrev_nc_u32_e32 v113, 28, v103
	v_lshlrev_b64_e32 v[114:115], v113, v[0:1]
	v_sub_nc_u32_e32 v113, 29, v103
	s_delay_alu instid0(VALU_DEP_2)
	v_and_b32_e32 v103, 7, v114
; %bb.1422:                             ;   in Loop: Header=BB301_799 Depth=1
	s_wait_alu 0xfffe
	s_or_b32 exec_lo, exec_lo, s15
	v_lshlrev_b32_e32 v0, 8, v0
	v_lshl_add_u32 v113, v113, 10, 0x2000
	v_lshlrev_b32_e32 v103, 23, v103
	s_delay_alu instid0(VALU_DEP_2) | instskip(NEXT) | instid1(VALU_DEP_1)
	v_and_or_b32 v0, 0x8000, v0, v113
	v_lshl_or_b32 v103, v0, 16, v103
.LBB301_1423:                           ;   in Loop: Header=BB301_799 Depth=1
	s_wait_alu 0xfffe
	s_or_b32 exec_lo, exec_lo, s14
.LBB301_1424:                           ;   in Loop: Header=BB301_799 Depth=1
	s_wait_alu 0xfffe
	s_or_b32 exec_lo, exec_lo, s13
.LBB301_1425:                           ;   in Loop: Header=BB301_799 Depth=1
	s_wait_alu 0xfffe
	s_or_b32 exec_lo, exec_lo, s12
	v_dual_mov_b32 v0, v11 :: v_dual_and_b32 v115, 0xff, v11
	v_dual_mov_b32 v113, 0 :: v_dual_mov_b32 v114, 0
	s_mov_b32 s12, exec_lo
	s_delay_alu instid0(VALU_DEP_2)
	v_cmpx_ne_u16_e32 0, v115
	s_cbranch_execz .LBB301_1433
; %bb.1426:                             ;   in Loop: Header=BB301_799 Depth=1
	v_mov_b32_e32 v114, 0x8000
	s_mov_b32 s13, exec_lo
	v_cmpx_ne_u16_e32 0x80, v115
	s_cbranch_execz .LBB301_1432
; %bb.1427:                             ;   in Loop: Header=BB301_799 Depth=1
	v_and_b32_e32 v116, 0x7f, v11
	v_mov_b32_e32 v114, 0x7c01
	s_mov_b32 s14, exec_lo
	s_delay_alu instid0(VALU_DEP_2)
	v_cmpx_ne_u32_e32 0x7f, v116
	s_cbranch_execz .LBB301_1431
; %bb.1428:                             ;   in Loop: Header=BB301_799 Depth=1
	v_and_b32_e32 v114, 7, v11
	v_lshrrev_b32_e32 v115, 3, v116
	s_mov_b32 s15, exec_lo
	v_cmpx_gt_u32_e32 8, v116
; %bb.1429:                             ;   in Loop: Header=BB301_799 Depth=1
	s_delay_alu instid0(VALU_DEP_3) | instskip(NEXT) | instid1(VALU_DEP_1)
	v_clz_i32_u32_e32 v114, v114
	v_min_u32_e32 v116, 32, v114
	s_delay_alu instid0(VALU_DEP_1) | instskip(NEXT) | instid1(VALU_DEP_1)
	v_subrev_nc_u32_e32 v114, 28, v116
	v_lshlrev_b64_e32 v[114:115], v114, v[0:1]
	v_sub_nc_u32_e32 v115, 29, v116
	s_delay_alu instid0(VALU_DEP_2)
	v_and_b32_e32 v114, 7, v114
; %bb.1430:                             ;   in Loop: Header=BB301_799 Depth=1
	s_wait_alu 0xfffe
	s_or_b32 exec_lo, exec_lo, s15
	v_lshlrev_b32_e32 v116, 8, v11
	v_lshl_add_u32 v115, v115, 10, 0x2000
	v_lshlrev_b32_e32 v114, 7, v114
	s_delay_alu instid0(VALU_DEP_3) | instskip(NEXT) | instid1(VALU_DEP_3)
	v_and_b32_e32 v116, 0x8000, v116
	v_and_b32_e32 v115, 0xfc00, v115
	s_delay_alu instid0(VALU_DEP_1)
	v_or3_b32 v114, v116, v115, v114
.LBB301_1431:                           ;   in Loop: Header=BB301_799 Depth=1
	s_wait_alu 0xfffe
	s_or_b32 exec_lo, exec_lo, s14
.LBB301_1432:                           ;   in Loop: Header=BB301_799 Depth=1
	s_wait_alu 0xfffe
	s_or_b32 exec_lo, exec_lo, s13
.LBB301_1433:                           ;   in Loop: Header=BB301_799 Depth=1
	s_wait_alu 0xfffe
	s_or_b32 exec_lo, exec_lo, s12
	v_lshrrev_b16 v0, 8, v0
	v_mov_b32_e32 v115, 0
	s_mov_b32 s12, exec_lo
	s_delay_alu instid0(VALU_DEP_2)
	v_cmpx_ne_u16_e32 0, v0
	s_cbranch_execz .LBB301_1441
; %bb.1434:                             ;   in Loop: Header=BB301_799 Depth=1
	v_bfrev_b32_e32 v115, 1
	s_mov_b32 s13, exec_lo
	v_cmpx_ne_u16_e32 0x80, v0
	s_cbranch_execz .LBB301_1440
; %bb.1435:                             ;   in Loop: Header=BB301_799 Depth=1
	v_and_b32_e32 v116, 0xffff, v0
	v_mov_b32_e32 v115, 0x7c010000
	s_mov_b32 s14, exec_lo
	s_delay_alu instid0(VALU_DEP_2) | instskip(NEXT) | instid1(VALU_DEP_1)
	v_and_b32_e32 v118, 0x7f, v116
	v_cmpx_ne_u32_e32 0x7f, v118
	s_cbranch_execz .LBB301_1439
; %bb.1436:                             ;   in Loop: Header=BB301_799 Depth=1
	v_and_b32_e32 v115, 7, v116
	v_lshrrev_b32_e32 v117, 3, v118
	s_mov_b32 s15, exec_lo
	v_cmpx_gt_u32_e32 8, v118
; %bb.1437:                             ;   in Loop: Header=BB301_799 Depth=1
	s_delay_alu instid0(VALU_DEP_3) | instskip(NEXT) | instid1(VALU_DEP_1)
	v_clz_i32_u32_e32 v115, v115
	v_min_u32_e32 v115, 32, v115
	s_delay_alu instid0(VALU_DEP_1) | instskip(NEXT) | instid1(VALU_DEP_1)
	v_subrev_nc_u32_e32 v117, 28, v115
	v_lshlrev_b64_e32 v[118:119], v117, v[0:1]
	v_sub_nc_u32_e32 v117, 29, v115
	s_delay_alu instid0(VALU_DEP_2)
	v_and_b32_e32 v115, 7, v118
; %bb.1438:                             ;   in Loop: Header=BB301_799 Depth=1
	s_wait_alu 0xfffe
	s_or_b32 exec_lo, exec_lo, s15
	v_lshlrev_b32_e32 v0, 8, v116
	v_lshl_add_u32 v116, v117, 10, 0x2000
	v_lshlrev_b32_e32 v115, 23, v115
	s_delay_alu instid0(VALU_DEP_2) | instskip(NEXT) | instid1(VALU_DEP_1)
	v_and_or_b32 v0, 0x8000, v0, v116
	v_lshl_or_b32 v115, v0, 16, v115
.LBB301_1439:                           ;   in Loop: Header=BB301_799 Depth=1
	s_wait_alu 0xfffe
	s_or_b32 exec_lo, exec_lo, s14
.LBB301_1440:                           ;   in Loop: Header=BB301_799 Depth=1
	s_wait_alu 0xfffe
	s_or_b32 exec_lo, exec_lo, s13
.LBB301_1441:                           ;   in Loop: Header=BB301_799 Depth=1
	s_wait_alu 0xfffe
	s_or_b32 exec_lo, exec_lo, s12
	v_lshrrev_b32_e32 v0, 16, v11
	s_mov_b32 s12, exec_lo
	s_delay_alu instid0(VALU_DEP_1) | instskip(NEXT) | instid1(VALU_DEP_1)
	v_and_b32_e32 v116, 0xff, v0
	v_cmpx_ne_u16_e32 0, v116
	s_cbranch_execz .LBB301_1449
; %bb.1442:                             ;   in Loop: Header=BB301_799 Depth=1
	v_mov_b32_e32 v113, 0x8000
	s_mov_b32 s13, exec_lo
	v_cmpx_ne_u16_e32 0x80, v116
	s_cbranch_execz .LBB301_1448
; %bb.1443:                             ;   in Loop: Header=BB301_799 Depth=1
	v_bfe_u32 v117, v11, 16, 7
	v_mov_b32_e32 v113, 0x7c01
	s_mov_b32 s14, exec_lo
	s_delay_alu instid0(VALU_DEP_2)
	v_cmpx_ne_u32_e32 0x7f, v117
	s_cbranch_execz .LBB301_1447
; %bb.1444:                             ;   in Loop: Header=BB301_799 Depth=1
	v_and_b32_e32 v113, 7, v0
	v_lshrrev_b32_e32 v116, 3, v117
	s_mov_b32 s15, exec_lo
	v_cmpx_gt_u32_e32 8, v117
; %bb.1445:                             ;   in Loop: Header=BB301_799 Depth=1
	s_delay_alu instid0(VALU_DEP_3) | instskip(NEXT) | instid1(VALU_DEP_1)
	v_clz_i32_u32_e32 v113, v113
	v_min_u32_e32 v113, 32, v113
	s_delay_alu instid0(VALU_DEP_1) | instskip(NEXT) | instid1(VALU_DEP_1)
	v_subrev_nc_u32_e32 v116, 28, v113
	v_lshlrev_b64_e32 v[117:118], v116, v[0:1]
	v_sub_nc_u32_e32 v116, 29, v113
	s_delay_alu instid0(VALU_DEP_2)
	v_and_b32_e32 v113, 7, v117
; %bb.1446:                             ;   in Loop: Header=BB301_799 Depth=1
	s_wait_alu 0xfffe
	s_or_b32 exec_lo, exec_lo, s15
	v_lshlrev_b32_e32 v0, 8, v0
	v_lshl_add_u32 v116, v116, 10, 0x2000
	v_lshlrev_b32_e32 v113, 7, v113
	s_delay_alu instid0(VALU_DEP_3) | instskip(NEXT) | instid1(VALU_DEP_3)
	v_and_b32_e32 v0, 0x8000, v0
	v_and_b32_e32 v116, 0xfc00, v116
	s_delay_alu instid0(VALU_DEP_1)
	v_or3_b32 v113, v0, v116, v113
.LBB301_1447:                           ;   in Loop: Header=BB301_799 Depth=1
	s_wait_alu 0xfffe
	s_or_b32 exec_lo, exec_lo, s14
.LBB301_1448:                           ;   in Loop: Header=BB301_799 Depth=1
	s_wait_alu 0xfffe
	s_or_b32 exec_lo, exec_lo, s13
.LBB301_1449:                           ;   in Loop: Header=BB301_799 Depth=1
	s_wait_alu 0xfffe
	s_or_b32 exec_lo, exec_lo, s12
	v_cmp_lt_u64_e64 s0, s[8:9], v[10:11]
	v_mov_b32_e32 v10, 0
	s_and_saveexec_b32 s12, s0
	s_cbranch_execz .LBB301_1457
; %bb.1450:                             ;   in Loop: Header=BB301_799 Depth=1
	v_lshrrev_b32_e32 v0, 24, v11
	v_bfrev_b32_e32 v10, 1
	s_mov_b32 s13, exec_lo
	s_delay_alu instid0(VALU_DEP_2)
	v_cmpx_ne_u32_e32 0x80, v0
	s_cbranch_execz .LBB301_1456
; %bb.1451:                             ;   in Loop: Header=BB301_799 Depth=1
	v_and_b32_e32 v116, 0x7f, v0
	v_mov_b32_e32 v10, 0x7c010000
	s_mov_b32 s14, exec_lo
	s_delay_alu instid0(VALU_DEP_2)
	v_cmpx_ne_u32_e32 0x7f, v116
	s_cbranch_execz .LBB301_1455
; %bb.1452:                             ;   in Loop: Header=BB301_799 Depth=1
	v_and_b32_e32 v10, 7, v0
	v_lshrrev_b32_e32 v11, 3, v116
	s_mov_b32 s15, exec_lo
	v_cmpx_gt_u32_e32 8, v116
; %bb.1453:                             ;   in Loop: Header=BB301_799 Depth=1
	s_delay_alu instid0(VALU_DEP_3) | instskip(NEXT) | instid1(VALU_DEP_1)
	v_clz_i32_u32_e32 v10, v10
	v_min_u32_e32 v116, 32, v10
	s_delay_alu instid0(VALU_DEP_1) | instskip(NEXT) | instid1(VALU_DEP_1)
	v_subrev_nc_u32_e32 v10, 28, v116
	v_lshlrev_b64_e32 v[10:11], v10, v[0:1]
	v_sub_nc_u32_e32 v11, 29, v116
	s_delay_alu instid0(VALU_DEP_2)
	v_and_b32_e32 v10, 7, v10
; %bb.1454:                             ;   in Loop: Header=BB301_799 Depth=1
	s_wait_alu 0xfffe
	s_or_b32 exec_lo, exec_lo, s15
	v_lshlrev_b32_e32 v0, 8, v0
	v_lshl_add_u32 v11, v11, 10, 0x2000
	v_lshlrev_b32_e32 v10, 23, v10
	s_delay_alu instid0(VALU_DEP_2) | instskip(NEXT) | instid1(VALU_DEP_1)
	v_and_or_b32 v0, 0x8000, v0, v11
	v_lshl_or_b32 v10, v0, 16, v10
.LBB301_1455:                           ;   in Loop: Header=BB301_799 Depth=1
	s_wait_alu 0xfffe
	s_or_b32 exec_lo, exec_lo, s14
.LBB301_1456:                           ;   in Loop: Header=BB301_799 Depth=1
	s_wait_alu 0xfffe
	s_or_b32 exec_lo, exec_lo, s13
.LBB301_1457:                           ;   in Loop: Header=BB301_799 Depth=1
	s_wait_alu 0xfffe
	s_or_b32 exec_lo, exec_lo, s12
	v_or_b32_e32 v0, v103, v112
	s_wait_loadcnt_dscnt 0x0
	v_fma_mixlo_f16 v11, v100, v103, 0 op_sel:[0,1,0] op_sel_hi:[0,1,0]
	v_or_b32_e32 v103, v101, v102
	v_fma_mixlo_f16 v101, v100, v101, 0 op_sel:[0,1,0] op_sel_hi:[0,1,0]
	v_or_b32_e32 v112, v115, v114
	v_or_b32_e32 v113, v10, v113
	v_fma_mixlo_f16 v114, v100, v0, 0 op_sel_hi:[0,1,0]
	v_fma_mixlo_f16 v10, v100, v10, 0 op_sel:[0,1,0] op_sel_hi:[0,1,0]
	v_lshlrev_b32_e32 v102, 16, v101
	v_fma_mixlo_f16 v101, v100, v103, 0 op_sel_hi:[0,1,0]
	v_fma_mixlo_f16 v103, v100, v115, 0 op_sel:[0,1,0] op_sel_hi:[0,1,0]
	v_fma_mixlo_f16 v112, v100, v112, 0 op_sel_hi:[0,1,0]
	v_fma_mixlo_f16 v113, v100, v113, 0 op_sel_hi:[0,1,0]
	v_lshlrev_b32_e32 v0, 16, v11
	v_and_b32_e32 v11, 0xffff, v114
	v_and_b32_e32 v116, 0xffff, v101
	v_lshlrev_b32_e32 v100, 16, v103
	v_and_b32_e32 v112, 0xffff, v112
	v_lshlrev_b32_e32 v10, 16, v10
	v_and_b32_e32 v101, 0xffff, v113
	v_or_b32_e32 v103, v0, v11
	v_or_b32_e32 v115, v102, v116
	;; [unrolled: 1-line block ×3, first 2 shown]
	s_delay_alu instid0(VALU_DEP_4)
	v_or_b32_e32 v113, v10, v101
	s_and_saveexec_b32 s12, vcc_lo
	s_cbranch_execz .LBB301_1459
; %bb.1458:                             ;   in Loop: Header=BB301_799 Depth=1
	v_cmp_lt_i32_e64 s0, v35, v30
	s_wait_alu 0xf1ff
	s_delay_alu instid0(VALU_DEP_1) | instskip(SKIP_2) | instid1(VALU_DEP_1)
	v_cndmask_b32_e64 v103, 0, v116, s0
	v_cmp_lt_i32_e64 s0, v67, v30
	s_wait_alu 0xf1ff
	v_cndmask_b32_e64 v102, 0, v102, s0
	v_cmp_lt_i32_e64 s0, v66, v30
	s_delay_alu instid0(VALU_DEP_2) | instskip(SKIP_1) | instid1(VALU_DEP_2)
	v_or_b32_e32 v115, v103, v102
	s_wait_alu 0xf1ff
	v_cndmask_b32_e64 v11, 0, v11, s0
	v_cmp_lt_i32_e64 s0, v64, v30
	s_wait_alu 0xf1ff
	s_delay_alu instid0(VALU_DEP_1) | instskip(SKIP_1) | instid1(VALU_DEP_2)
	v_cndmask_b32_e64 v0, 0, v0, s0
	v_cmp_lt_i32_e64 s0, v53, v30
	v_or_b32_e32 v103, v11, v0
	s_wait_alu 0xf1ff
	s_delay_alu instid0(VALU_DEP_2) | instskip(SKIP_2) | instid1(VALU_DEP_1)
	v_cndmask_b32_e64 v112, 0, v112, s0
	v_cmp_lt_i32_e64 s0, v51, v30
	s_wait_alu 0xf1ff
	v_cndmask_b32_e64 v100, 0, v100, s0
	v_cmp_lt_i32_e64 s0, v36, v30
	s_delay_alu instid0(VALU_DEP_2) | instskip(SKIP_1) | instid1(VALU_DEP_2)
	v_or_b32_e32 v114, v112, v100
	s_wait_alu 0xf1ff
	v_cndmask_b32_e64 v101, 0, v101, s0
	v_cmp_lt_i32_e64 s0, v14, v30
	s_wait_alu 0xf1ff
	s_delay_alu instid0(VALU_DEP_1) | instskip(NEXT) | instid1(VALU_DEP_1)
	v_cndmask_b32_e64 v10, 0, v10, s0
	v_or_b32_e32 v113, v101, v10
.LBB301_1459:                           ;   in Loop: Header=BB301_799 Depth=1
	s_wait_alu 0xfffe
	s_or_b32 exec_lo, exec_lo, s12
	;;#ASMSTART
	v_pk_mul_f16 v0, v55, v115;

	;;#ASMEND
	;;#ASMSTART
	v_pk_mul_f16 v10, v52, v103;

	;;#ASMEND
	;; [unrolled: 4-line block ×4, first 2 shown]
	;;#ASMSTART
	v_pk_add_f16 v0, v0, v10;

	;;#ASMEND
	;;#ASMSTART
	v_pk_add_f16 v0, v0, v11;

	;;#ASMEND
	;; [unrolled: 4-line block ×3, first 2 shown]
	v_dual_mov_b32 v103, 0 :: v_dual_and_b32 v10, 0xffff, v0
	v_lshrrev_b32_e32 v0, 16, v0
	;;#ASMSTART
	v_cvt_f32_f16 v100, v10;
	;;#ASMEND
	;;#ASMSTART
	v_cvt_f32_f16 v101, v0;
	;;#ASMEND
	flat_load_b64 v[10:11], v[8:9] offset:2560
	flat_load_b32 v102, v[26:27]
	v_mov_b32_e32 v112, 0
	s_mov_b32 s12, exec_lo
	s_wait_loadcnt_dscnt 0x101
	v_and_b32_e32 v0, 0xff, v10
	s_delay_alu instid0(VALU_DEP_1)
	v_cmpx_ne_u16_e32 0, v0
	s_cbranch_execz .LBB301_1467
; %bb.1460:                             ;   in Loop: Header=BB301_799 Depth=1
	v_mov_b32_e32 v112, 0x8000
	s_mov_b32 s13, exec_lo
	v_cmpx_ne_u16_e32 0x80, v0
	s_cbranch_execz .LBB301_1466
; %bb.1461:                             ;   in Loop: Header=BB301_799 Depth=1
	v_and_b32_e32 v113, 0x7f, v10
	v_mov_b32_e32 v112, 0x7c01
	s_mov_b32 s14, exec_lo
	s_delay_alu instid0(VALU_DEP_2)
	v_cmpx_ne_u32_e32 0x7f, v113
	s_cbranch_execz .LBB301_1465
; %bb.1462:                             ;   in Loop: Header=BB301_799 Depth=1
	v_and_b32_e32 v0, 7, v10
	v_lshrrev_b32_e32 v112, 3, v113
	s_mov_b32 s15, exec_lo
	v_cmpx_gt_u32_e32 8, v113
; %bb.1463:                             ;   in Loop: Header=BB301_799 Depth=1
	s_delay_alu instid0(VALU_DEP_3) | instskip(NEXT) | instid1(VALU_DEP_1)
	v_clz_i32_u32_e32 v0, v0
	v_min_u32_e32 v0, 32, v0
	s_delay_alu instid0(VALU_DEP_1) | instskip(NEXT) | instid1(VALU_DEP_1)
	v_subrev_nc_u32_e32 v112, 28, v0
	v_lshlrev_b64_e32 v[113:114], v112, v[10:11]
	v_sub_nc_u32_e32 v112, 29, v0
	s_delay_alu instid0(VALU_DEP_2)
	v_and_b32_e32 v0, 7, v113
; %bb.1464:                             ;   in Loop: Header=BB301_799 Depth=1
	s_wait_alu 0xfffe
	s_or_b32 exec_lo, exec_lo, s15
	v_lshlrev_b32_e32 v113, 8, v10
	v_lshl_add_u32 v112, v112, 10, 0x2000
	v_lshlrev_b32_e32 v0, 7, v0
	s_delay_alu instid0(VALU_DEP_3) | instskip(NEXT) | instid1(VALU_DEP_3)
	v_and_b32_e32 v113, 0x8000, v113
	v_and_b32_e32 v112, 0xfc00, v112
	s_delay_alu instid0(VALU_DEP_1)
	v_or3_b32 v112, v113, v112, v0
.LBB301_1465:                           ;   in Loop: Header=BB301_799 Depth=1
	s_wait_alu 0xfffe
	s_or_b32 exec_lo, exec_lo, s14
.LBB301_1466:                           ;   in Loop: Header=BB301_799 Depth=1
	s_wait_alu 0xfffe
	s_or_b32 exec_lo, exec_lo, s13
.LBB301_1467:                           ;   in Loop: Header=BB301_799 Depth=1
	s_wait_alu 0xfffe
	s_or_b32 exec_lo, exec_lo, s12
	v_lshrrev_b16 v0, 8, v10
	s_mov_b32 s12, exec_lo
	s_delay_alu instid0(VALU_DEP_1)
	v_cmpx_ne_u16_e32 0, v0
	s_cbranch_execz .LBB301_1475
; %bb.1468:                             ;   in Loop: Header=BB301_799 Depth=1
	v_bfrev_b32_e32 v103, 1
	s_mov_b32 s13, exec_lo
	v_cmpx_ne_u16_e32 0x80, v0
	s_cbranch_execz .LBB301_1474
; %bb.1469:                             ;   in Loop: Header=BB301_799 Depth=1
	v_and_b32_e32 v113, 0xffff, v0
	v_mov_b32_e32 v103, 0x7c010000
	s_mov_b32 s14, exec_lo
	s_delay_alu instid0(VALU_DEP_2) | instskip(NEXT) | instid1(VALU_DEP_1)
	v_and_b32_e32 v115, 0x7f, v113
	v_cmpx_ne_u32_e32 0x7f, v115
	s_cbranch_execz .LBB301_1473
; %bb.1470:                             ;   in Loop: Header=BB301_799 Depth=1
	v_and_b32_e32 v103, 7, v113
	v_lshrrev_b32_e32 v114, 3, v115
	s_mov_b32 s15, exec_lo
	v_cmpx_gt_u32_e32 8, v115
; %bb.1471:                             ;   in Loop: Header=BB301_799 Depth=1
	s_delay_alu instid0(VALU_DEP_3) | instskip(NEXT) | instid1(VALU_DEP_1)
	v_clz_i32_u32_e32 v103, v103
	v_min_u32_e32 v103, 32, v103
	s_delay_alu instid0(VALU_DEP_1) | instskip(NEXT) | instid1(VALU_DEP_1)
	v_subrev_nc_u32_e32 v114, 28, v103
	v_lshlrev_b64_e32 v[115:116], v114, v[0:1]
	v_sub_nc_u32_e32 v114, 29, v103
	s_delay_alu instid0(VALU_DEP_2)
	v_and_b32_e32 v103, 7, v115
; %bb.1472:                             ;   in Loop: Header=BB301_799 Depth=1
	s_wait_alu 0xfffe
	s_or_b32 exec_lo, exec_lo, s15
	v_lshlrev_b32_e32 v0, 8, v113
	v_lshl_add_u32 v113, v114, 10, 0x2000
	v_lshlrev_b32_e32 v103, 23, v103
	s_delay_alu instid0(VALU_DEP_2) | instskip(NEXT) | instid1(VALU_DEP_1)
	v_and_or_b32 v0, 0x8000, v0, v113
	v_lshl_or_b32 v103, v0, 16, v103
.LBB301_1473:                           ;   in Loop: Header=BB301_799 Depth=1
	s_wait_alu 0xfffe
	s_or_b32 exec_lo, exec_lo, s14
.LBB301_1474:                           ;   in Loop: Header=BB301_799 Depth=1
	s_wait_alu 0xfffe
	s_or_b32 exec_lo, exec_lo, s13
.LBB301_1475:                           ;   in Loop: Header=BB301_799 Depth=1
	s_wait_alu 0xfffe
	s_or_b32 exec_lo, exec_lo, s12
	v_lshrrev_b32_e32 v0, 16, v10
	v_mov_b32_e32 v113, 0
	s_mov_b32 s12, exec_lo
	s_delay_alu instid0(VALU_DEP_2) | instskip(NEXT) | instid1(VALU_DEP_1)
	v_dual_mov_b32 v114, 0 :: v_dual_and_b32 v115, 0xff, v0
	v_cmpx_ne_u16_e32 0, v115
	s_cbranch_execz .LBB301_1483
; %bb.1476:                             ;   in Loop: Header=BB301_799 Depth=1
	v_mov_b32_e32 v114, 0x8000
	s_mov_b32 s13, exec_lo
	v_cmpx_ne_u16_e32 0x80, v115
	s_cbranch_execz .LBB301_1482
; %bb.1477:                             ;   in Loop: Header=BB301_799 Depth=1
	v_bfe_u32 v116, v10, 16, 7
	v_mov_b32_e32 v114, 0x7c01
	s_mov_b32 s14, exec_lo
	s_delay_alu instid0(VALU_DEP_2)
	v_cmpx_ne_u32_e32 0x7f, v116
	s_cbranch_execz .LBB301_1481
; %bb.1478:                             ;   in Loop: Header=BB301_799 Depth=1
	v_and_b32_e32 v114, 7, v0
	v_lshrrev_b32_e32 v115, 3, v116
	s_mov_b32 s15, exec_lo
	v_cmpx_gt_u32_e32 8, v116
; %bb.1479:                             ;   in Loop: Header=BB301_799 Depth=1
	s_delay_alu instid0(VALU_DEP_3) | instskip(NEXT) | instid1(VALU_DEP_1)
	v_clz_i32_u32_e32 v114, v114
	v_min_u32_e32 v116, 32, v114
	s_delay_alu instid0(VALU_DEP_1) | instskip(NEXT) | instid1(VALU_DEP_1)
	v_subrev_nc_u32_e32 v114, 28, v116
	v_lshlrev_b64_e32 v[114:115], v114, v[0:1]
	v_sub_nc_u32_e32 v115, 29, v116
	s_delay_alu instid0(VALU_DEP_2)
	v_and_b32_e32 v114, 7, v114
; %bb.1480:                             ;   in Loop: Header=BB301_799 Depth=1
	s_wait_alu 0xfffe
	s_or_b32 exec_lo, exec_lo, s15
	v_lshlrev_b32_e32 v0, 8, v0
	v_lshl_add_u32 v115, v115, 10, 0x2000
	v_lshlrev_b32_e32 v114, 7, v114
	s_delay_alu instid0(VALU_DEP_3) | instskip(NEXT) | instid1(VALU_DEP_3)
	v_and_b32_e32 v0, 0x8000, v0
	v_and_b32_e32 v115, 0xfc00, v115
	s_delay_alu instid0(VALU_DEP_1)
	v_or3_b32 v114, v0, v115, v114
.LBB301_1481:                           ;   in Loop: Header=BB301_799 Depth=1
	s_wait_alu 0xfffe
	s_or_b32 exec_lo, exec_lo, s14
.LBB301_1482:                           ;   in Loop: Header=BB301_799 Depth=1
	s_wait_alu 0xfffe
	s_or_b32 exec_lo, exec_lo, s13
.LBB301_1483:                           ;   in Loop: Header=BB301_799 Depth=1
	s_wait_alu 0xfffe
	s_or_b32 exec_lo, exec_lo, s12
	s_delay_alu instid0(SALU_CYCLE_1)
	s_mov_b32 s12, exec_lo
	v_cmpx_lt_u32_e32 0xffffff, v10
	s_cbranch_execz .LBB301_1491
; %bb.1484:                             ;   in Loop: Header=BB301_799 Depth=1
	v_lshrrev_b32_e32 v0, 24, v10
	v_bfrev_b32_e32 v113, 1
	s_mov_b32 s13, exec_lo
	s_delay_alu instid0(VALU_DEP_2)
	v_cmpx_ne_u32_e32 0x80, v0
	s_cbranch_execz .LBB301_1490
; %bb.1485:                             ;   in Loop: Header=BB301_799 Depth=1
	v_and_b32_e32 v116, 0x7f, v0
	v_mov_b32_e32 v113, 0x7c010000
	s_mov_b32 s14, exec_lo
	s_delay_alu instid0(VALU_DEP_2)
	v_cmpx_ne_u32_e32 0x7f, v116
	s_cbranch_execz .LBB301_1489
; %bb.1486:                             ;   in Loop: Header=BB301_799 Depth=1
	v_and_b32_e32 v113, 7, v0
	v_lshrrev_b32_e32 v115, 3, v116
	s_mov_b32 s15, exec_lo
	v_cmpx_gt_u32_e32 8, v116
; %bb.1487:                             ;   in Loop: Header=BB301_799 Depth=1
	s_delay_alu instid0(VALU_DEP_3) | instskip(NEXT) | instid1(VALU_DEP_1)
	v_clz_i32_u32_e32 v113, v113
	v_min_u32_e32 v113, 32, v113
	s_delay_alu instid0(VALU_DEP_1) | instskip(NEXT) | instid1(VALU_DEP_1)
	v_subrev_nc_u32_e32 v115, 28, v113
	v_lshlrev_b64_e32 v[116:117], v115, v[0:1]
	v_sub_nc_u32_e32 v115, 29, v113
	s_delay_alu instid0(VALU_DEP_2)
	v_and_b32_e32 v113, 7, v116
; %bb.1488:                             ;   in Loop: Header=BB301_799 Depth=1
	s_wait_alu 0xfffe
	s_or_b32 exec_lo, exec_lo, s15
	v_lshlrev_b32_e32 v0, 8, v0
	v_lshl_add_u32 v115, v115, 10, 0x2000
	v_lshlrev_b32_e32 v113, 23, v113
	s_delay_alu instid0(VALU_DEP_2) | instskip(NEXT) | instid1(VALU_DEP_1)
	v_and_or_b32 v0, 0x8000, v0, v115
	v_lshl_or_b32 v113, v0, 16, v113
.LBB301_1489:                           ;   in Loop: Header=BB301_799 Depth=1
	s_wait_alu 0xfffe
	s_or_b32 exec_lo, exec_lo, s14
.LBB301_1490:                           ;   in Loop: Header=BB301_799 Depth=1
	s_wait_alu 0xfffe
	s_or_b32 exec_lo, exec_lo, s13
.LBB301_1491:                           ;   in Loop: Header=BB301_799 Depth=1
	s_wait_alu 0xfffe
	s_or_b32 exec_lo, exec_lo, s12
	v_dual_mov_b32 v0, v11 :: v_dual_and_b32 v117, 0xff, v11
	v_dual_mov_b32 v115, 0 :: v_dual_mov_b32 v116, 0
	s_mov_b32 s12, exec_lo
	s_delay_alu instid0(VALU_DEP_2)
	v_cmpx_ne_u16_e32 0, v117
	s_cbranch_execz .LBB301_1499
; %bb.1492:                             ;   in Loop: Header=BB301_799 Depth=1
	v_mov_b32_e32 v116, 0x8000
	s_mov_b32 s13, exec_lo
	v_cmpx_ne_u16_e32 0x80, v117
	s_cbranch_execz .LBB301_1498
; %bb.1493:                             ;   in Loop: Header=BB301_799 Depth=1
	v_and_b32_e32 v118, 0x7f, v11
	v_mov_b32_e32 v116, 0x7c01
	s_mov_b32 s14, exec_lo
	s_delay_alu instid0(VALU_DEP_2)
	v_cmpx_ne_u32_e32 0x7f, v118
	s_cbranch_execz .LBB301_1497
; %bb.1494:                             ;   in Loop: Header=BB301_799 Depth=1
	v_and_b32_e32 v116, 7, v11
	v_lshrrev_b32_e32 v117, 3, v118
	s_mov_b32 s15, exec_lo
	v_cmpx_gt_u32_e32 8, v118
; %bb.1495:                             ;   in Loop: Header=BB301_799 Depth=1
	s_delay_alu instid0(VALU_DEP_3) | instskip(NEXT) | instid1(VALU_DEP_1)
	v_clz_i32_u32_e32 v116, v116
	v_min_u32_e32 v118, 32, v116
	s_delay_alu instid0(VALU_DEP_1) | instskip(NEXT) | instid1(VALU_DEP_1)
	v_subrev_nc_u32_e32 v116, 28, v118
	v_lshlrev_b64_e32 v[116:117], v116, v[0:1]
	v_sub_nc_u32_e32 v117, 29, v118
	s_delay_alu instid0(VALU_DEP_2)
	v_and_b32_e32 v116, 7, v116
; %bb.1496:                             ;   in Loop: Header=BB301_799 Depth=1
	s_wait_alu 0xfffe
	s_or_b32 exec_lo, exec_lo, s15
	v_lshlrev_b32_e32 v118, 8, v11
	v_lshl_add_u32 v117, v117, 10, 0x2000
	v_lshlrev_b32_e32 v116, 7, v116
	s_delay_alu instid0(VALU_DEP_3) | instskip(NEXT) | instid1(VALU_DEP_3)
	v_and_b32_e32 v118, 0x8000, v118
	v_and_b32_e32 v117, 0xfc00, v117
	s_delay_alu instid0(VALU_DEP_1)
	v_or3_b32 v116, v118, v117, v116
.LBB301_1497:                           ;   in Loop: Header=BB301_799 Depth=1
	s_wait_alu 0xfffe
	s_or_b32 exec_lo, exec_lo, s14
.LBB301_1498:                           ;   in Loop: Header=BB301_799 Depth=1
	s_wait_alu 0xfffe
	s_or_b32 exec_lo, exec_lo, s13
.LBB301_1499:                           ;   in Loop: Header=BB301_799 Depth=1
	s_wait_alu 0xfffe
	s_or_b32 exec_lo, exec_lo, s12
	v_lshrrev_b16 v0, 8, v0
	v_mov_b32_e32 v117, 0
	s_mov_b32 s12, exec_lo
	s_delay_alu instid0(VALU_DEP_2)
	v_cmpx_ne_u16_e32 0, v0
	s_cbranch_execz .LBB301_1507
; %bb.1500:                             ;   in Loop: Header=BB301_799 Depth=1
	v_bfrev_b32_e32 v117, 1
	s_mov_b32 s13, exec_lo
	v_cmpx_ne_u16_e32 0x80, v0
	s_cbranch_execz .LBB301_1506
; %bb.1501:                             ;   in Loop: Header=BB301_799 Depth=1
	v_and_b32_e32 v118, 0xffff, v0
	v_mov_b32_e32 v117, 0x7c010000
	s_mov_b32 s14, exec_lo
	s_delay_alu instid0(VALU_DEP_2) | instskip(NEXT) | instid1(VALU_DEP_1)
	v_and_b32_e32 v128, 0x7f, v118
	v_cmpx_ne_u32_e32 0x7f, v128
	s_cbranch_execz .LBB301_1505
; %bb.1502:                             ;   in Loop: Header=BB301_799 Depth=1
	v_and_b32_e32 v117, 7, v118
	v_lshrrev_b32_e32 v119, 3, v128
	s_mov_b32 s15, exec_lo
	v_cmpx_gt_u32_e32 8, v128
; %bb.1503:                             ;   in Loop: Header=BB301_799 Depth=1
	s_delay_alu instid0(VALU_DEP_3) | instskip(NEXT) | instid1(VALU_DEP_1)
	v_clz_i32_u32_e32 v117, v117
	v_min_u32_e32 v117, 32, v117
	s_delay_alu instid0(VALU_DEP_1) | instskip(NEXT) | instid1(VALU_DEP_1)
	v_subrev_nc_u32_e32 v119, 28, v117
	v_lshlrev_b64_e32 v[128:129], v119, v[0:1]
	v_sub_nc_u32_e32 v119, 29, v117
	s_delay_alu instid0(VALU_DEP_2)
	v_and_b32_e32 v117, 7, v128
; %bb.1504:                             ;   in Loop: Header=BB301_799 Depth=1
	s_wait_alu 0xfffe
	s_or_b32 exec_lo, exec_lo, s15
	v_lshlrev_b32_e32 v0, 8, v118
	v_lshl_add_u32 v118, v119, 10, 0x2000
	v_lshlrev_b32_e32 v117, 23, v117
	s_delay_alu instid0(VALU_DEP_2) | instskip(NEXT) | instid1(VALU_DEP_1)
	v_and_or_b32 v0, 0x8000, v0, v118
	v_lshl_or_b32 v117, v0, 16, v117
.LBB301_1505:                           ;   in Loop: Header=BB301_799 Depth=1
	s_wait_alu 0xfffe
	s_or_b32 exec_lo, exec_lo, s14
.LBB301_1506:                           ;   in Loop: Header=BB301_799 Depth=1
	s_wait_alu 0xfffe
	s_or_b32 exec_lo, exec_lo, s13
.LBB301_1507:                           ;   in Loop: Header=BB301_799 Depth=1
	s_wait_alu 0xfffe
	s_or_b32 exec_lo, exec_lo, s12
	v_lshrrev_b32_e32 v0, 16, v11
	s_mov_b32 s12, exec_lo
	s_delay_alu instid0(VALU_DEP_1) | instskip(NEXT) | instid1(VALU_DEP_1)
	v_and_b32_e32 v118, 0xff, v0
	v_cmpx_ne_u16_e32 0, v118
	s_cbranch_execz .LBB301_1515
; %bb.1508:                             ;   in Loop: Header=BB301_799 Depth=1
	v_mov_b32_e32 v115, 0x8000
	s_mov_b32 s13, exec_lo
	v_cmpx_ne_u16_e32 0x80, v118
	s_cbranch_execz .LBB301_1514
; %bb.1509:                             ;   in Loop: Header=BB301_799 Depth=1
	v_bfe_u32 v119, v11, 16, 7
	v_mov_b32_e32 v115, 0x7c01
	s_mov_b32 s14, exec_lo
	s_delay_alu instid0(VALU_DEP_2)
	v_cmpx_ne_u32_e32 0x7f, v119
	s_cbranch_execz .LBB301_1513
; %bb.1510:                             ;   in Loop: Header=BB301_799 Depth=1
	v_and_b32_e32 v115, 7, v0
	v_lshrrev_b32_e32 v118, 3, v119
	s_mov_b32 s15, exec_lo
	v_cmpx_gt_u32_e32 8, v119
; %bb.1511:                             ;   in Loop: Header=BB301_799 Depth=1
	s_delay_alu instid0(VALU_DEP_3) | instskip(NEXT) | instid1(VALU_DEP_1)
	v_clz_i32_u32_e32 v115, v115
	v_min_u32_e32 v115, 32, v115
	s_delay_alu instid0(VALU_DEP_1) | instskip(NEXT) | instid1(VALU_DEP_1)
	v_subrev_nc_u32_e32 v118, 28, v115
	v_lshlrev_b64_e32 v[128:129], v118, v[0:1]
	v_sub_nc_u32_e32 v118, 29, v115
	s_delay_alu instid0(VALU_DEP_2)
	v_and_b32_e32 v115, 7, v128
; %bb.1512:                             ;   in Loop: Header=BB301_799 Depth=1
	s_wait_alu 0xfffe
	s_or_b32 exec_lo, exec_lo, s15
	v_lshlrev_b32_e32 v0, 8, v0
	v_lshl_add_u32 v118, v118, 10, 0x2000
	v_lshlrev_b32_e32 v115, 7, v115
	s_delay_alu instid0(VALU_DEP_3) | instskip(NEXT) | instid1(VALU_DEP_3)
	v_and_b32_e32 v0, 0x8000, v0
	v_and_b32_e32 v118, 0xfc00, v118
	s_delay_alu instid0(VALU_DEP_1)
	v_or3_b32 v115, v0, v118, v115
.LBB301_1513:                           ;   in Loop: Header=BB301_799 Depth=1
	s_wait_alu 0xfffe
	s_or_b32 exec_lo, exec_lo, s14
.LBB301_1514:                           ;   in Loop: Header=BB301_799 Depth=1
	s_wait_alu 0xfffe
	s_or_b32 exec_lo, exec_lo, s13
.LBB301_1515:                           ;   in Loop: Header=BB301_799 Depth=1
	s_wait_alu 0xfffe
	s_or_b32 exec_lo, exec_lo, s12
	v_cmp_lt_u64_e64 s0, s[8:9], v[10:11]
	v_mov_b32_e32 v10, 0
	s_and_saveexec_b32 s12, s0
	s_cbranch_execz .LBB301_1523
; %bb.1516:                             ;   in Loop: Header=BB301_799 Depth=1
	v_lshrrev_b32_e32 v0, 24, v11
	v_bfrev_b32_e32 v10, 1
	s_mov_b32 s13, exec_lo
	s_delay_alu instid0(VALU_DEP_2)
	v_cmpx_ne_u32_e32 0x80, v0
	s_cbranch_execz .LBB301_1522
; %bb.1517:                             ;   in Loop: Header=BB301_799 Depth=1
	v_and_b32_e32 v118, 0x7f, v0
	v_mov_b32_e32 v10, 0x7c010000
	s_mov_b32 s14, exec_lo
	s_delay_alu instid0(VALU_DEP_2)
	v_cmpx_ne_u32_e32 0x7f, v118
	s_cbranch_execz .LBB301_1521
; %bb.1518:                             ;   in Loop: Header=BB301_799 Depth=1
	v_and_b32_e32 v10, 7, v0
	v_lshrrev_b32_e32 v11, 3, v118
	s_mov_b32 s15, exec_lo
	v_cmpx_gt_u32_e32 8, v118
; %bb.1519:                             ;   in Loop: Header=BB301_799 Depth=1
	s_delay_alu instid0(VALU_DEP_3) | instskip(NEXT) | instid1(VALU_DEP_1)
	v_clz_i32_u32_e32 v10, v10
	v_min_u32_e32 v118, 32, v10
	s_delay_alu instid0(VALU_DEP_1) | instskip(NEXT) | instid1(VALU_DEP_1)
	v_subrev_nc_u32_e32 v10, 28, v118
	v_lshlrev_b64_e32 v[10:11], v10, v[0:1]
	v_sub_nc_u32_e32 v11, 29, v118
	s_delay_alu instid0(VALU_DEP_2)
	v_and_b32_e32 v10, 7, v10
; %bb.1520:                             ;   in Loop: Header=BB301_799 Depth=1
	s_wait_alu 0xfffe
	s_or_b32 exec_lo, exec_lo, s15
	v_lshlrev_b32_e32 v0, 8, v0
	v_lshl_add_u32 v11, v11, 10, 0x2000
	v_lshlrev_b32_e32 v10, 23, v10
	s_delay_alu instid0(VALU_DEP_2) | instskip(NEXT) | instid1(VALU_DEP_1)
	v_and_or_b32 v0, 0x8000, v0, v11
	v_lshl_or_b32 v10, v0, 16, v10
.LBB301_1521:                           ;   in Loop: Header=BB301_799 Depth=1
	s_wait_alu 0xfffe
	s_or_b32 exec_lo, exec_lo, s14
.LBB301_1522:                           ;   in Loop: Header=BB301_799 Depth=1
	s_wait_alu 0xfffe
	s_or_b32 exec_lo, exec_lo, s13
.LBB301_1523:                           ;   in Loop: Header=BB301_799 Depth=1
	s_wait_alu 0xfffe
	s_or_b32 exec_lo, exec_lo, s12
	v_or_b32_e32 v0, v113, v114
	s_wait_loadcnt_dscnt 0x0
	v_fma_mixlo_f16 v11, v102, v113, 0 op_sel:[0,1,0] op_sel_hi:[0,1,0]
	v_or_b32_e32 v113, v103, v112
	v_fma_mixlo_f16 v103, v102, v103, 0 op_sel:[0,1,0] op_sel_hi:[0,1,0]
	v_or_b32_e32 v114, v117, v116
	v_or_b32_e32 v115, v10, v115
	v_fma_mixlo_f16 v116, v102, v0, 0 op_sel_hi:[0,1,0]
	v_fma_mixlo_f16 v10, v102, v10, 0 op_sel:[0,1,0] op_sel_hi:[0,1,0]
	v_lshlrev_b32_e32 v112, 16, v103
	v_fma_mixlo_f16 v103, v102, v113, 0 op_sel_hi:[0,1,0]
	v_fma_mixlo_f16 v113, v102, v117, 0 op_sel:[0,1,0] op_sel_hi:[0,1,0]
	v_fma_mixlo_f16 v114, v102, v114, 0 op_sel_hi:[0,1,0]
	v_fma_mixlo_f16 v115, v102, v115, 0 op_sel_hi:[0,1,0]
	v_lshlrev_b32_e32 v0, 16, v11
	v_and_b32_e32 v11, 0xffff, v116
	v_and_b32_e32 v118, 0xffff, v103
	v_lshlrev_b32_e32 v102, 16, v113
	v_and_b32_e32 v114, 0xffff, v114
	v_lshlrev_b32_e32 v10, 16, v10
	v_and_b32_e32 v103, 0xffff, v115
	v_or_b32_e32 v113, v0, v11
	v_or_b32_e32 v117, v112, v118
	;; [unrolled: 1-line block ×3, first 2 shown]
	s_delay_alu instid0(VALU_DEP_4)
	v_or_b32_e32 v115, v10, v103
	s_and_saveexec_b32 s12, vcc_lo
	s_cbranch_execz .LBB301_1525
; %bb.1524:                             ;   in Loop: Header=BB301_799 Depth=1
	v_cmp_lt_i32_e64 s0, v35, v30
	s_wait_alu 0xf1ff
	s_delay_alu instid0(VALU_DEP_1) | instskip(SKIP_2) | instid1(VALU_DEP_1)
	v_cndmask_b32_e64 v113, 0, v118, s0
	v_cmp_lt_i32_e64 s0, v67, v30
	s_wait_alu 0xf1ff
	v_cndmask_b32_e64 v112, 0, v112, s0
	v_cmp_lt_i32_e64 s0, v66, v30
	s_delay_alu instid0(VALU_DEP_2) | instskip(SKIP_1) | instid1(VALU_DEP_2)
	v_or_b32_e32 v117, v113, v112
	s_wait_alu 0xf1ff
	v_cndmask_b32_e64 v11, 0, v11, s0
	v_cmp_lt_i32_e64 s0, v64, v30
	s_wait_alu 0xf1ff
	s_delay_alu instid0(VALU_DEP_1) | instskip(SKIP_1) | instid1(VALU_DEP_2)
	v_cndmask_b32_e64 v0, 0, v0, s0
	v_cmp_lt_i32_e64 s0, v53, v30
	v_or_b32_e32 v113, v11, v0
	s_wait_alu 0xf1ff
	s_delay_alu instid0(VALU_DEP_2) | instskip(SKIP_2) | instid1(VALU_DEP_1)
	v_cndmask_b32_e64 v114, 0, v114, s0
	v_cmp_lt_i32_e64 s0, v51, v30
	s_wait_alu 0xf1ff
	v_cndmask_b32_e64 v102, 0, v102, s0
	v_cmp_lt_i32_e64 s0, v36, v30
	s_delay_alu instid0(VALU_DEP_2) | instskip(SKIP_1) | instid1(VALU_DEP_2)
	v_or_b32_e32 v116, v114, v102
	s_wait_alu 0xf1ff
	v_cndmask_b32_e64 v103, 0, v103, s0
	v_cmp_lt_i32_e64 s0, v14, v30
	s_wait_alu 0xf1ff
	s_delay_alu instid0(VALU_DEP_1) | instskip(NEXT) | instid1(VALU_DEP_1)
	v_cndmask_b32_e64 v10, 0, v10, s0
	v_or_b32_e32 v115, v103, v10
.LBB301_1525:                           ;   in Loop: Header=BB301_799 Depth=1
	s_wait_alu 0xfffe
	s_or_b32 exec_lo, exec_lo, s12
	;;#ASMSTART
	v_pk_mul_f16 v0, v55, v117;

	;;#ASMEND
	;;#ASMSTART
	v_pk_mul_f16 v10, v52, v113;

	;;#ASMEND
	;; [unrolled: 4-line block ×4, first 2 shown]
	;;#ASMSTART
	v_pk_add_f16 v0, v0, v10;

	;;#ASMEND
	;;#ASMSTART
	v_pk_add_f16 v0, v0, v11;

	;;#ASMEND
	;; [unrolled: 4-line block ×3, first 2 shown]
	v_dual_mov_b32 v103, 0 :: v_dual_and_b32 v10, 0xffff, v0
	v_lshrrev_b32_e32 v0, 16, v0
	;;#ASMSTART
	v_cvt_f32_f16 v10, v10;
	;;#ASMEND
	;;#ASMSTART
	v_cvt_f32_f16 v11, v0;
	;;#ASMEND
	flat_load_b64 v[8:9], v[8:9] offset:2816
	flat_load_b32 v102, v[26:27]
	v_mov_b32_e32 v112, 0
	s_mov_b32 s12, exec_lo
	s_wait_loadcnt_dscnt 0x101
	v_and_b32_e32 v0, 0xff, v8
	s_delay_alu instid0(VALU_DEP_1)
	v_cmpx_ne_u16_e32 0, v0
	s_cbranch_execz .LBB301_1533
; %bb.1526:                             ;   in Loop: Header=BB301_799 Depth=1
	v_mov_b32_e32 v112, 0x8000
	s_mov_b32 s13, exec_lo
	v_cmpx_ne_u16_e32 0x80, v0
	s_cbranch_execz .LBB301_1532
; %bb.1527:                             ;   in Loop: Header=BB301_799 Depth=1
	v_and_b32_e32 v113, 0x7f, v8
	v_mov_b32_e32 v112, 0x7c01
	s_mov_b32 s14, exec_lo
	s_delay_alu instid0(VALU_DEP_2)
	v_cmpx_ne_u32_e32 0x7f, v113
	s_cbranch_execz .LBB301_1531
; %bb.1528:                             ;   in Loop: Header=BB301_799 Depth=1
	v_and_b32_e32 v0, 7, v8
	v_lshrrev_b32_e32 v112, 3, v113
	s_mov_b32 s15, exec_lo
	v_cmpx_gt_u32_e32 8, v113
; %bb.1529:                             ;   in Loop: Header=BB301_799 Depth=1
	s_delay_alu instid0(VALU_DEP_3) | instskip(NEXT) | instid1(VALU_DEP_1)
	v_clz_i32_u32_e32 v0, v0
	v_min_u32_e32 v0, 32, v0
	s_delay_alu instid0(VALU_DEP_1) | instskip(NEXT) | instid1(VALU_DEP_1)
	v_subrev_nc_u32_e32 v112, 28, v0
	v_lshlrev_b64_e32 v[113:114], v112, v[8:9]
	v_sub_nc_u32_e32 v112, 29, v0
	s_delay_alu instid0(VALU_DEP_2)
	v_and_b32_e32 v0, 7, v113
; %bb.1530:                             ;   in Loop: Header=BB301_799 Depth=1
	s_wait_alu 0xfffe
	s_or_b32 exec_lo, exec_lo, s15
	v_lshlrev_b32_e32 v113, 8, v8
	v_lshl_add_u32 v112, v112, 10, 0x2000
	v_lshlrev_b32_e32 v0, 7, v0
	s_delay_alu instid0(VALU_DEP_3) | instskip(NEXT) | instid1(VALU_DEP_3)
	v_and_b32_e32 v113, 0x8000, v113
	v_and_b32_e32 v112, 0xfc00, v112
	s_delay_alu instid0(VALU_DEP_1)
	v_or3_b32 v112, v113, v112, v0
.LBB301_1531:                           ;   in Loop: Header=BB301_799 Depth=1
	s_wait_alu 0xfffe
	s_or_b32 exec_lo, exec_lo, s14
.LBB301_1532:                           ;   in Loop: Header=BB301_799 Depth=1
	s_wait_alu 0xfffe
	s_or_b32 exec_lo, exec_lo, s13
.LBB301_1533:                           ;   in Loop: Header=BB301_799 Depth=1
	s_wait_alu 0xfffe
	s_or_b32 exec_lo, exec_lo, s12
	v_lshrrev_b16 v0, 8, v8
	s_mov_b32 s12, exec_lo
	s_delay_alu instid0(VALU_DEP_1)
	v_cmpx_ne_u16_e32 0, v0
	s_cbranch_execz .LBB301_1541
; %bb.1534:                             ;   in Loop: Header=BB301_799 Depth=1
	v_bfrev_b32_e32 v103, 1
	s_mov_b32 s13, exec_lo
	v_cmpx_ne_u16_e32 0x80, v0
	s_cbranch_execz .LBB301_1540
; %bb.1535:                             ;   in Loop: Header=BB301_799 Depth=1
	v_and_b32_e32 v113, 0xffff, v0
	v_mov_b32_e32 v103, 0x7c010000
	s_mov_b32 s14, exec_lo
	s_delay_alu instid0(VALU_DEP_2) | instskip(NEXT) | instid1(VALU_DEP_1)
	v_and_b32_e32 v115, 0x7f, v113
	v_cmpx_ne_u32_e32 0x7f, v115
	s_cbranch_execz .LBB301_1539
; %bb.1536:                             ;   in Loop: Header=BB301_799 Depth=1
	v_and_b32_e32 v103, 7, v113
	v_lshrrev_b32_e32 v114, 3, v115
	s_mov_b32 s15, exec_lo
	v_cmpx_gt_u32_e32 8, v115
; %bb.1537:                             ;   in Loop: Header=BB301_799 Depth=1
	s_delay_alu instid0(VALU_DEP_3) | instskip(NEXT) | instid1(VALU_DEP_1)
	v_clz_i32_u32_e32 v103, v103
	v_min_u32_e32 v103, 32, v103
	s_delay_alu instid0(VALU_DEP_1) | instskip(NEXT) | instid1(VALU_DEP_1)
	v_subrev_nc_u32_e32 v114, 28, v103
	v_lshlrev_b64_e32 v[115:116], v114, v[0:1]
	v_sub_nc_u32_e32 v114, 29, v103
	s_delay_alu instid0(VALU_DEP_2)
	v_and_b32_e32 v103, 7, v115
; %bb.1538:                             ;   in Loop: Header=BB301_799 Depth=1
	s_wait_alu 0xfffe
	s_or_b32 exec_lo, exec_lo, s15
	v_lshlrev_b32_e32 v0, 8, v113
	v_lshl_add_u32 v113, v114, 10, 0x2000
	v_lshlrev_b32_e32 v103, 23, v103
	s_delay_alu instid0(VALU_DEP_2) | instskip(NEXT) | instid1(VALU_DEP_1)
	v_and_or_b32 v0, 0x8000, v0, v113
	v_lshl_or_b32 v103, v0, 16, v103
.LBB301_1539:                           ;   in Loop: Header=BB301_799 Depth=1
	s_wait_alu 0xfffe
	s_or_b32 exec_lo, exec_lo, s14
.LBB301_1540:                           ;   in Loop: Header=BB301_799 Depth=1
	s_wait_alu 0xfffe
	s_or_b32 exec_lo, exec_lo, s13
.LBB301_1541:                           ;   in Loop: Header=BB301_799 Depth=1
	s_wait_alu 0xfffe
	s_or_b32 exec_lo, exec_lo, s12
	v_lshrrev_b32_e32 v0, 16, v8
	v_mov_b32_e32 v113, 0
	s_mov_b32 s12, exec_lo
	s_delay_alu instid0(VALU_DEP_2) | instskip(NEXT) | instid1(VALU_DEP_1)
	v_dual_mov_b32 v114, 0 :: v_dual_and_b32 v115, 0xff, v0
	v_cmpx_ne_u16_e32 0, v115
	s_cbranch_execz .LBB301_1549
; %bb.1542:                             ;   in Loop: Header=BB301_799 Depth=1
	v_mov_b32_e32 v114, 0x8000
	s_mov_b32 s13, exec_lo
	v_cmpx_ne_u16_e32 0x80, v115
	s_cbranch_execz .LBB301_1548
; %bb.1543:                             ;   in Loop: Header=BB301_799 Depth=1
	v_bfe_u32 v116, v8, 16, 7
	v_mov_b32_e32 v114, 0x7c01
	s_mov_b32 s14, exec_lo
	s_delay_alu instid0(VALU_DEP_2)
	v_cmpx_ne_u32_e32 0x7f, v116
	s_cbranch_execz .LBB301_1547
; %bb.1544:                             ;   in Loop: Header=BB301_799 Depth=1
	v_and_b32_e32 v114, 7, v0
	v_lshrrev_b32_e32 v115, 3, v116
	s_mov_b32 s15, exec_lo
	v_cmpx_gt_u32_e32 8, v116
; %bb.1545:                             ;   in Loop: Header=BB301_799 Depth=1
	s_delay_alu instid0(VALU_DEP_3) | instskip(NEXT) | instid1(VALU_DEP_1)
	v_clz_i32_u32_e32 v114, v114
	v_min_u32_e32 v116, 32, v114
	s_delay_alu instid0(VALU_DEP_1) | instskip(NEXT) | instid1(VALU_DEP_1)
	v_subrev_nc_u32_e32 v114, 28, v116
	v_lshlrev_b64_e32 v[114:115], v114, v[0:1]
	v_sub_nc_u32_e32 v115, 29, v116
	s_delay_alu instid0(VALU_DEP_2)
	v_and_b32_e32 v114, 7, v114
; %bb.1546:                             ;   in Loop: Header=BB301_799 Depth=1
	s_wait_alu 0xfffe
	s_or_b32 exec_lo, exec_lo, s15
	v_lshlrev_b32_e32 v0, 8, v0
	v_lshl_add_u32 v115, v115, 10, 0x2000
	v_lshlrev_b32_e32 v114, 7, v114
	s_delay_alu instid0(VALU_DEP_3) | instskip(NEXT) | instid1(VALU_DEP_3)
	v_and_b32_e32 v0, 0x8000, v0
	v_and_b32_e32 v115, 0xfc00, v115
	s_delay_alu instid0(VALU_DEP_1)
	v_or3_b32 v114, v0, v115, v114
.LBB301_1547:                           ;   in Loop: Header=BB301_799 Depth=1
	s_wait_alu 0xfffe
	s_or_b32 exec_lo, exec_lo, s14
.LBB301_1548:                           ;   in Loop: Header=BB301_799 Depth=1
	s_wait_alu 0xfffe
	s_or_b32 exec_lo, exec_lo, s13
.LBB301_1549:                           ;   in Loop: Header=BB301_799 Depth=1
	s_wait_alu 0xfffe
	s_or_b32 exec_lo, exec_lo, s12
	s_delay_alu instid0(SALU_CYCLE_1)
	s_mov_b32 s12, exec_lo
	v_cmpx_lt_u32_e32 0xffffff, v8
	s_cbranch_execz .LBB301_1557
; %bb.1550:                             ;   in Loop: Header=BB301_799 Depth=1
	v_lshrrev_b32_e32 v0, 24, v8
	v_bfrev_b32_e32 v113, 1
	s_mov_b32 s13, exec_lo
	s_delay_alu instid0(VALU_DEP_2)
	v_cmpx_ne_u32_e32 0x80, v0
	s_cbranch_execz .LBB301_1556
; %bb.1551:                             ;   in Loop: Header=BB301_799 Depth=1
	v_and_b32_e32 v116, 0x7f, v0
	v_mov_b32_e32 v113, 0x7c010000
	s_mov_b32 s14, exec_lo
	s_delay_alu instid0(VALU_DEP_2)
	v_cmpx_ne_u32_e32 0x7f, v116
	s_cbranch_execz .LBB301_1555
; %bb.1552:                             ;   in Loop: Header=BB301_799 Depth=1
	v_and_b32_e32 v113, 7, v0
	v_lshrrev_b32_e32 v115, 3, v116
	s_mov_b32 s15, exec_lo
	v_cmpx_gt_u32_e32 8, v116
; %bb.1553:                             ;   in Loop: Header=BB301_799 Depth=1
	s_delay_alu instid0(VALU_DEP_3) | instskip(NEXT) | instid1(VALU_DEP_1)
	v_clz_i32_u32_e32 v113, v113
	v_min_u32_e32 v113, 32, v113
	s_delay_alu instid0(VALU_DEP_1) | instskip(NEXT) | instid1(VALU_DEP_1)
	v_subrev_nc_u32_e32 v115, 28, v113
	v_lshlrev_b64_e32 v[116:117], v115, v[0:1]
	v_sub_nc_u32_e32 v115, 29, v113
	s_delay_alu instid0(VALU_DEP_2)
	v_and_b32_e32 v113, 7, v116
; %bb.1554:                             ;   in Loop: Header=BB301_799 Depth=1
	s_wait_alu 0xfffe
	s_or_b32 exec_lo, exec_lo, s15
	v_lshlrev_b32_e32 v0, 8, v0
	v_lshl_add_u32 v115, v115, 10, 0x2000
	v_lshlrev_b32_e32 v113, 23, v113
	s_delay_alu instid0(VALU_DEP_2) | instskip(NEXT) | instid1(VALU_DEP_1)
	v_and_or_b32 v0, 0x8000, v0, v115
	v_lshl_or_b32 v113, v0, 16, v113
.LBB301_1555:                           ;   in Loop: Header=BB301_799 Depth=1
	s_wait_alu 0xfffe
	s_or_b32 exec_lo, exec_lo, s14
.LBB301_1556:                           ;   in Loop: Header=BB301_799 Depth=1
	s_wait_alu 0xfffe
	s_or_b32 exec_lo, exec_lo, s13
.LBB301_1557:                           ;   in Loop: Header=BB301_799 Depth=1
	s_wait_alu 0xfffe
	s_or_b32 exec_lo, exec_lo, s12
	v_dual_mov_b32 v0, v9 :: v_dual_and_b32 v117, 0xff, v9
	v_dual_mov_b32 v115, 0 :: v_dual_mov_b32 v116, 0
	s_mov_b32 s12, exec_lo
	s_delay_alu instid0(VALU_DEP_2)
	v_cmpx_ne_u16_e32 0, v117
	s_cbranch_execz .LBB301_1565
; %bb.1558:                             ;   in Loop: Header=BB301_799 Depth=1
	v_mov_b32_e32 v116, 0x8000
	s_mov_b32 s13, exec_lo
	v_cmpx_ne_u16_e32 0x80, v117
	s_cbranch_execz .LBB301_1564
; %bb.1559:                             ;   in Loop: Header=BB301_799 Depth=1
	v_and_b32_e32 v118, 0x7f, v9
	v_mov_b32_e32 v116, 0x7c01
	s_mov_b32 s14, exec_lo
	s_delay_alu instid0(VALU_DEP_2)
	v_cmpx_ne_u32_e32 0x7f, v118
	s_cbranch_execz .LBB301_1563
; %bb.1560:                             ;   in Loop: Header=BB301_799 Depth=1
	v_and_b32_e32 v116, 7, v9
	v_lshrrev_b32_e32 v117, 3, v118
	s_mov_b32 s15, exec_lo
	v_cmpx_gt_u32_e32 8, v118
; %bb.1561:                             ;   in Loop: Header=BB301_799 Depth=1
	s_delay_alu instid0(VALU_DEP_3) | instskip(NEXT) | instid1(VALU_DEP_1)
	v_clz_i32_u32_e32 v116, v116
	v_min_u32_e32 v118, 32, v116
	s_delay_alu instid0(VALU_DEP_1) | instskip(NEXT) | instid1(VALU_DEP_1)
	v_subrev_nc_u32_e32 v116, 28, v118
	v_lshlrev_b64_e32 v[116:117], v116, v[0:1]
	v_sub_nc_u32_e32 v117, 29, v118
	s_delay_alu instid0(VALU_DEP_2)
	v_and_b32_e32 v116, 7, v116
; %bb.1562:                             ;   in Loop: Header=BB301_799 Depth=1
	s_wait_alu 0xfffe
	s_or_b32 exec_lo, exec_lo, s15
	v_lshlrev_b32_e32 v118, 8, v9
	v_lshl_add_u32 v117, v117, 10, 0x2000
	v_lshlrev_b32_e32 v116, 7, v116
	s_delay_alu instid0(VALU_DEP_3) | instskip(NEXT) | instid1(VALU_DEP_3)
	v_and_b32_e32 v118, 0x8000, v118
	v_and_b32_e32 v117, 0xfc00, v117
	s_delay_alu instid0(VALU_DEP_1)
	v_or3_b32 v116, v118, v117, v116
.LBB301_1563:                           ;   in Loop: Header=BB301_799 Depth=1
	s_wait_alu 0xfffe
	s_or_b32 exec_lo, exec_lo, s14
.LBB301_1564:                           ;   in Loop: Header=BB301_799 Depth=1
	s_wait_alu 0xfffe
	s_or_b32 exec_lo, exec_lo, s13
.LBB301_1565:                           ;   in Loop: Header=BB301_799 Depth=1
	s_wait_alu 0xfffe
	s_or_b32 exec_lo, exec_lo, s12
	v_lshrrev_b16 v0, 8, v0
	v_mov_b32_e32 v117, 0
	s_mov_b32 s12, exec_lo
	s_delay_alu instid0(VALU_DEP_2)
	v_cmpx_ne_u16_e32 0, v0
	s_cbranch_execz .LBB301_1573
; %bb.1566:                             ;   in Loop: Header=BB301_799 Depth=1
	v_bfrev_b32_e32 v117, 1
	s_mov_b32 s13, exec_lo
	v_cmpx_ne_u16_e32 0x80, v0
	s_cbranch_execz .LBB301_1572
; %bb.1567:                             ;   in Loop: Header=BB301_799 Depth=1
	v_and_b32_e32 v118, 0xffff, v0
	v_mov_b32_e32 v117, 0x7c010000
	s_mov_b32 s14, exec_lo
	s_delay_alu instid0(VALU_DEP_2) | instskip(NEXT) | instid1(VALU_DEP_1)
	v_and_b32_e32 v128, 0x7f, v118
	v_cmpx_ne_u32_e32 0x7f, v128
	s_cbranch_execz .LBB301_1571
; %bb.1568:                             ;   in Loop: Header=BB301_799 Depth=1
	v_and_b32_e32 v117, 7, v118
	v_lshrrev_b32_e32 v119, 3, v128
	s_mov_b32 s15, exec_lo
	v_cmpx_gt_u32_e32 8, v128
; %bb.1569:                             ;   in Loop: Header=BB301_799 Depth=1
	s_delay_alu instid0(VALU_DEP_3) | instskip(NEXT) | instid1(VALU_DEP_1)
	v_clz_i32_u32_e32 v117, v117
	v_min_u32_e32 v117, 32, v117
	s_delay_alu instid0(VALU_DEP_1) | instskip(NEXT) | instid1(VALU_DEP_1)
	v_subrev_nc_u32_e32 v119, 28, v117
	v_lshlrev_b64_e32 v[128:129], v119, v[0:1]
	v_sub_nc_u32_e32 v119, 29, v117
	s_delay_alu instid0(VALU_DEP_2)
	v_and_b32_e32 v117, 7, v128
; %bb.1570:                             ;   in Loop: Header=BB301_799 Depth=1
	s_wait_alu 0xfffe
	s_or_b32 exec_lo, exec_lo, s15
	v_lshlrev_b32_e32 v0, 8, v118
	v_lshl_add_u32 v118, v119, 10, 0x2000
	v_lshlrev_b32_e32 v117, 23, v117
	s_delay_alu instid0(VALU_DEP_2) | instskip(NEXT) | instid1(VALU_DEP_1)
	v_and_or_b32 v0, 0x8000, v0, v118
	v_lshl_or_b32 v117, v0, 16, v117
.LBB301_1571:                           ;   in Loop: Header=BB301_799 Depth=1
	s_wait_alu 0xfffe
	s_or_b32 exec_lo, exec_lo, s14
.LBB301_1572:                           ;   in Loop: Header=BB301_799 Depth=1
	s_wait_alu 0xfffe
	s_or_b32 exec_lo, exec_lo, s13
.LBB301_1573:                           ;   in Loop: Header=BB301_799 Depth=1
	s_wait_alu 0xfffe
	s_or_b32 exec_lo, exec_lo, s12
	v_lshrrev_b32_e32 v0, 16, v9
	s_mov_b32 s12, exec_lo
	s_delay_alu instid0(VALU_DEP_1) | instskip(NEXT) | instid1(VALU_DEP_1)
	v_and_b32_e32 v118, 0xff, v0
	v_cmpx_ne_u16_e32 0, v118
	s_cbranch_execz .LBB301_1581
; %bb.1574:                             ;   in Loop: Header=BB301_799 Depth=1
	v_mov_b32_e32 v115, 0x8000
	s_mov_b32 s13, exec_lo
	v_cmpx_ne_u16_e32 0x80, v118
	s_cbranch_execz .LBB301_1580
; %bb.1575:                             ;   in Loop: Header=BB301_799 Depth=1
	v_bfe_u32 v119, v9, 16, 7
	v_mov_b32_e32 v115, 0x7c01
	s_mov_b32 s14, exec_lo
	s_delay_alu instid0(VALU_DEP_2)
	v_cmpx_ne_u32_e32 0x7f, v119
	s_cbranch_execz .LBB301_1579
; %bb.1576:                             ;   in Loop: Header=BB301_799 Depth=1
	v_and_b32_e32 v115, 7, v0
	v_lshrrev_b32_e32 v118, 3, v119
	s_mov_b32 s15, exec_lo
	v_cmpx_gt_u32_e32 8, v119
; %bb.1577:                             ;   in Loop: Header=BB301_799 Depth=1
	s_delay_alu instid0(VALU_DEP_3) | instskip(NEXT) | instid1(VALU_DEP_1)
	v_clz_i32_u32_e32 v115, v115
	v_min_u32_e32 v115, 32, v115
	s_delay_alu instid0(VALU_DEP_1) | instskip(NEXT) | instid1(VALU_DEP_1)
	v_subrev_nc_u32_e32 v118, 28, v115
	v_lshlrev_b64_e32 v[128:129], v118, v[0:1]
	v_sub_nc_u32_e32 v118, 29, v115
	s_delay_alu instid0(VALU_DEP_2)
	v_and_b32_e32 v115, 7, v128
; %bb.1578:                             ;   in Loop: Header=BB301_799 Depth=1
	s_wait_alu 0xfffe
	s_or_b32 exec_lo, exec_lo, s15
	v_lshlrev_b32_e32 v0, 8, v0
	v_lshl_add_u32 v118, v118, 10, 0x2000
	v_lshlrev_b32_e32 v115, 7, v115
	s_delay_alu instid0(VALU_DEP_3) | instskip(NEXT) | instid1(VALU_DEP_3)
	v_and_b32_e32 v0, 0x8000, v0
	v_and_b32_e32 v118, 0xfc00, v118
	s_delay_alu instid0(VALU_DEP_1)
	v_or3_b32 v115, v0, v118, v115
.LBB301_1579:                           ;   in Loop: Header=BB301_799 Depth=1
	s_wait_alu 0xfffe
	s_or_b32 exec_lo, exec_lo, s14
.LBB301_1580:                           ;   in Loop: Header=BB301_799 Depth=1
	s_wait_alu 0xfffe
	s_or_b32 exec_lo, exec_lo, s13
.LBB301_1581:                           ;   in Loop: Header=BB301_799 Depth=1
	s_wait_alu 0xfffe
	s_or_b32 exec_lo, exec_lo, s12
	v_cmp_lt_u64_e64 s0, s[8:9], v[8:9]
	v_mov_b32_e32 v8, 0
	s_and_saveexec_b32 s12, s0
	s_cbranch_execz .LBB301_1589
; %bb.1582:                             ;   in Loop: Header=BB301_799 Depth=1
	v_lshrrev_b32_e32 v0, 24, v9
	v_bfrev_b32_e32 v8, 1
	s_mov_b32 s13, exec_lo
	s_delay_alu instid0(VALU_DEP_2)
	v_cmpx_ne_u32_e32 0x80, v0
	s_cbranch_execz .LBB301_1588
; %bb.1583:                             ;   in Loop: Header=BB301_799 Depth=1
	v_and_b32_e32 v118, 0x7f, v0
	v_mov_b32_e32 v8, 0x7c010000
	s_mov_b32 s14, exec_lo
	s_delay_alu instid0(VALU_DEP_2)
	v_cmpx_ne_u32_e32 0x7f, v118
	s_cbranch_execz .LBB301_1587
; %bb.1584:                             ;   in Loop: Header=BB301_799 Depth=1
	v_and_b32_e32 v8, 7, v0
	v_lshrrev_b32_e32 v9, 3, v118
	s_mov_b32 s15, exec_lo
	v_cmpx_gt_u32_e32 8, v118
; %bb.1585:                             ;   in Loop: Header=BB301_799 Depth=1
	s_delay_alu instid0(VALU_DEP_3) | instskip(NEXT) | instid1(VALU_DEP_1)
	v_clz_i32_u32_e32 v8, v8
	v_min_u32_e32 v118, 32, v8
	s_delay_alu instid0(VALU_DEP_1) | instskip(NEXT) | instid1(VALU_DEP_1)
	v_subrev_nc_u32_e32 v8, 28, v118
	v_lshlrev_b64_e32 v[8:9], v8, v[0:1]
	v_sub_nc_u32_e32 v9, 29, v118
	s_delay_alu instid0(VALU_DEP_2)
	v_and_b32_e32 v8, 7, v8
; %bb.1586:                             ;   in Loop: Header=BB301_799 Depth=1
	s_wait_alu 0xfffe
	s_or_b32 exec_lo, exec_lo, s15
	v_lshlrev_b32_e32 v0, 8, v0
	v_lshl_add_u32 v9, v9, 10, 0x2000
	v_lshlrev_b32_e32 v8, 23, v8
	s_delay_alu instid0(VALU_DEP_2) | instskip(NEXT) | instid1(VALU_DEP_1)
	v_and_or_b32 v0, 0x8000, v0, v9
	v_lshl_or_b32 v8, v0, 16, v8
.LBB301_1587:                           ;   in Loop: Header=BB301_799 Depth=1
	s_wait_alu 0xfffe
	s_or_b32 exec_lo, exec_lo, s14
.LBB301_1588:                           ;   in Loop: Header=BB301_799 Depth=1
	s_wait_alu 0xfffe
	s_or_b32 exec_lo, exec_lo, s13
.LBB301_1589:                           ;   in Loop: Header=BB301_799 Depth=1
	s_wait_alu 0xfffe
	s_or_b32 exec_lo, exec_lo, s12
	v_or_b32_e32 v0, v113, v114
	s_wait_loadcnt_dscnt 0x0
	v_fma_mixlo_f16 v9, v102, v113, 0 op_sel:[0,1,0] op_sel_hi:[0,1,0]
	v_or_b32_e32 v112, v103, v112
	v_fma_mixlo_f16 v113, v102, v103, 0 op_sel:[0,1,0] op_sel_hi:[0,1,0]
	v_or_b32_e32 v114, v117, v116
	v_fma_mixlo_f16 v0, v102, v0, 0 op_sel_hi:[0,1,0]
	v_or_b32_e32 v115, v8, v115
	v_lshlrev_b32_e32 v103, 16, v9
	v_lshlrev_b32_e32 v116, 16, v113
	v_fma_mixlo_f16 v9, v102, v112, 0 op_sel_hi:[0,1,0]
	v_and_b32_e32 v113, 0xffff, v0
	v_fma_mixlo_f16 v0, v102, v117, 0 op_sel:[0,1,0] op_sel_hi:[0,1,0]
	v_fma_mixlo_f16 v112, v102, v114, 0 op_sel_hi:[0,1,0]
	v_fma_mixlo_f16 v8, v102, v8, 0 op_sel:[0,1,0] op_sel_hi:[0,1,0]
	v_fma_mixlo_f16 v102, v102, v115, 0 op_sel_hi:[0,1,0]
	v_and_b32_e32 v118, 0xffff, v9
	v_lshlrev_b32_e32 v114, 16, v0
	v_and_b32_e32 v117, 0xffff, v112
	v_lshlrev_b32_e32 v112, 16, v8
	v_and_b32_e32 v115, 0xffff, v102
	v_or_b32_e32 v0, v103, v113
	v_or_b32_e32 v102, v116, v118
	;; [unrolled: 1-line block ×3, first 2 shown]
	s_delay_alu instid0(VALU_DEP_4)
	v_or_b32_e32 v8, v112, v115
	s_and_saveexec_b32 s0, vcc_lo
	s_cbranch_execz .LBB301_798
; %bb.1590:                             ;   in Loop: Header=BB301_799 Depth=1
	v_cmp_lt_i32_e32 vcc_lo, v35, v30
	s_wait_alu 0xfffd
	v_cndmask_b32_e32 v0, 0, v118, vcc_lo
	v_cmp_lt_i32_e32 vcc_lo, v67, v30
	s_wait_alu 0xfffd
	v_cndmask_b32_e32 v8, 0, v116, vcc_lo
	;; [unrolled: 3-line block ×4, first 2 shown]
	v_cmp_lt_i32_e32 vcc_lo, v53, v30
	v_or_b32_e32 v102, v0, v8
	s_delay_alu instid0(VALU_DEP_3)
	v_or_b32_e32 v0, v9, v35
	s_wait_alu 0xfffd
	v_cndmask_b32_e32 v53, 0, v117, vcc_lo
	v_cmp_lt_i32_e32 vcc_lo, v51, v30
	s_wait_alu 0xfffd
	v_cndmask_b32_e32 v51, 0, v114, vcc_lo
	v_cmp_lt_i32_e32 vcc_lo, v36, v30
	;; [unrolled: 3-line block ×3, first 2 shown]
	s_wait_alu 0xfffd
	v_cndmask_b32_e32 v64, 0, v112, vcc_lo
	v_or_b32_e32 v9, v53, v51
	s_delay_alu instid0(VALU_DEP_2)
	v_or_b32_e32 v8, v36, v64
	s_branch .LBB301_798
.LBB301_1591:
	s_or_b32 exec_lo, exec_lo, s5
	v_dual_mov_b32 v0, s6 :: v_dual_mov_b32 v1, s7
.LBB301_1592:
	s_or_b32 exec_lo, exec_lo, s3
	s_delay_alu instid0(VALU_DEP_1)
	v_lshlrev_b64_e32 v[0:1], 2, v[0:1]
	s_getpc_b64 s[6:7]
	s_wait_alu 0xfffe
	s_sext_i32_i16 s7, s7
	s_add_co_u32 s6, s6, llvm.amdgcn.dynlds.offset.table@rel32@lo+12
	s_wait_alu 0xfffe
	s_add_co_ci_u32 s7, s7, llvm.amdgcn.dynlds.offset.table@rel32@hi+24
	s_wait_storecnt 0x0
	s_wait_loadcnt_dscnt 0x0
	s_barrier_signal -1
	s_barrier_wait -1
	global_inv scope:SCOPE_SE
	v_add_co_u32 v0, vcc_lo, s6, v0
	s_wait_alu 0xfffc
	v_add_co_ci_u32_e64 v1, null, s7, v1, vcc_lo
	ds_bpermute_b32 v2, v16, v48
	ds_bpermute_b32 v3, v16, v39
	;; [unrolled: 1-line block ×3, first 2 shown]
	global_load_b32 v15, v[0:1], off
	ds_bpermute_b32 v0, v16, v38
	ds_bpermute_b32 v1, v16, v49
	;; [unrolled: 1-line block ×9, first 2 shown]
	s_mov_b32 s0, exec_lo
	s_wait_dscnt 0xa
	v_dual_add_f32 v2, v48, v2 :: v_dual_add_f32 v3, v39, v3
	s_wait_dscnt 0x9
	v_add_f32_e32 v6, v29, v6
	s_wait_dscnt 0x7
	v_dual_add_f32 v0, v38, v0 :: v_dual_add_f32 v1, v49, v1
	s_wait_dscnt 0x5
	v_dual_add_f32 v7, v28, v7 :: v_dual_add_f32 v22, v25, v8
	;; [unrolled: 2-line block ×4, first 2 shown]
	s_wait_dscnt 0x0
	v_add_f32_e32 v16, v18, v16
	ds_bpermute_b32 v8, v13, v0
	ds_bpermute_b32 v9, v13, v1
	;; [unrolled: 1-line block ×10, first 2 shown]
	v_lshrrev_b32_e32 v18, 2, v23
	v_and_b32_e32 v23, 28, v23
	ds_bpermute_b32 v35, v13, v16
	v_mul_u32_u24_e32 v19, 0x180, v31
	v_and_b32_e32 v31, 0x3c3, v12
	ds_bpermute_b32 v33, v13, v20
	s_wait_dscnt 0xa
	v_dual_add_f32 v14, v0, v8 :: v_dual_add_f32 v13, v1, v9
	s_wait_dscnt 0x9
	v_add_f32_e32 v11, v2, v10
	s_wait_dscnt 0x7
	v_dual_add_f32 v10, v3, v26 :: v_dual_add_f32 v9, v6, v27
	s_wait_dscnt 0x5
	v_dual_add_f32 v8, v7, v28 :: v_dual_add_f32 v7, v22, v29
	;; [unrolled: 2-line block ×4, first 2 shown]
	s_wait_dscnt 0x0
	v_add_f32_e32 v2, v20, v33
	s_wait_loadcnt 0x0
	v_add_nc_u32_e32 v16, v15, v23
	v_cmpx_eq_u32_e32 64, v31
	s_cbranch_execz .LBB301_1594
; %bb.1593:
	s_delay_alu instid0(VALU_DEP_2) | instskip(NEXT) | instid1(VALU_DEP_1)
	v_add_nc_u32_e32 v20, v16, v19
	v_add_nc_u32_e32 v21, 0xfffffd00, v20
	;; [unrolled: 1-line block ×13, first 2 shown]
	ds_store_b32 v21, v14
	ds_store_b32 v22, v13
	;; [unrolled: 1-line block ×12, first 2 shown]
.LBB301_1594:
	s_wait_alu 0xfffe
	s_or_b32 exec_lo, exec_lo, s0
	v_lshlrev_b32_e32 v18, 2, v18
	s_mov_b32 s3, exec_lo
	v_cmp_eq_u32_e32 vcc_lo, 0, v17
	s_wait_dscnt 0x0
	s_barrier_signal -1
	v_add3_u32 v15, v15, v19, v18
	s_barrier_wait -1
	global_inv scope:SCOPE_SE
	v_cmpx_gt_u32_e32 64, v12
	s_cbranch_execz .LBB301_1609
; %bb.1595:
	s_and_saveexec_b32 s0, vcc_lo
	s_cbranch_execnz .LBB301_1629
; %bb.1596:
	s_wait_alu 0xfffe
	s_or_b32 exec_lo, exec_lo, s0
	s_and_saveexec_b32 s0, vcc_lo
	s_cbranch_execnz .LBB301_1630
.LBB301_1597:
	s_wait_alu 0xfffe
	s_or_b32 exec_lo, exec_lo, s0
	s_and_saveexec_b32 s0, vcc_lo
	s_cbranch_execnz .LBB301_1631
.LBB301_1598:
	s_wait_alu 0xfffe
	s_or_b32 exec_lo, exec_lo, s0
	s_and_saveexec_b32 s0, vcc_lo
	s_cbranch_execnz .LBB301_1632
.LBB301_1599:
	s_wait_alu 0xfffe
	s_or_b32 exec_lo, exec_lo, s0
	s_and_saveexec_b32 s0, vcc_lo
	s_cbranch_execnz .LBB301_1633
.LBB301_1600:
	s_wait_alu 0xfffe
	s_or_b32 exec_lo, exec_lo, s0
	s_and_saveexec_b32 s0, vcc_lo
	s_cbranch_execnz .LBB301_1634
.LBB301_1601:
	s_wait_alu 0xfffe
	s_or_b32 exec_lo, exec_lo, s0
	s_and_saveexec_b32 s0, vcc_lo
	s_cbranch_execnz .LBB301_1635
.LBB301_1602:
	s_wait_alu 0xfffe
	s_or_b32 exec_lo, exec_lo, s0
	s_and_saveexec_b32 s0, vcc_lo
	s_cbranch_execnz .LBB301_1636
.LBB301_1603:
	s_wait_alu 0xfffe
	s_or_b32 exec_lo, exec_lo, s0
	s_and_saveexec_b32 s0, vcc_lo
	s_cbranch_execnz .LBB301_1637
.LBB301_1604:
	s_wait_alu 0xfffe
	s_or_b32 exec_lo, exec_lo, s0
	s_and_saveexec_b32 s0, vcc_lo
	s_cbranch_execnz .LBB301_1638
.LBB301_1605:
	s_wait_alu 0xfffe
	s_or_b32 exec_lo, exec_lo, s0
	s_and_saveexec_b32 s0, vcc_lo
	s_cbranch_execnz .LBB301_1639
.LBB301_1606:
	s_wait_alu 0xfffe
	s_or_b32 exec_lo, exec_lo, s0
	s_and_saveexec_b32 s0, vcc_lo
	s_cbranch_execz .LBB301_1608
.LBB301_1607:
	ds_load_b32 v17, v15 offset:352
	s_wait_dscnt 0x0
	v_add_f32_e32 v0, v17, v0
.LBB301_1608:
	s_wait_alu 0xfffe
	s_or_b32 exec_lo, exec_lo, s0
.LBB301_1609:
	s_wait_alu 0xfffe
	s_or_b32 exec_lo, exec_lo, s3
	v_and_b32_e32 v17, 0x3e3, v12
	s_mov_b32 s3, exec_lo
	s_wait_loadcnt 0x0
	s_barrier_signal -1
	s_barrier_wait -1
	global_inv scope:SCOPE_SE
	v_cmpx_eq_u32_e32 32, v17
	s_cbranch_execz .LBB301_1611
; %bb.1610:
	ds_store_2addr_b32 v16, v14, v13 offset1:8
	ds_store_2addr_b32 v16, v11, v10 offset0:16 offset1:24
	ds_store_2addr_b32 v16, v9, v8 offset0:32 offset1:40
	ds_store_2addr_b32 v16, v7, v6 offset0:48 offset1:56
	ds_store_2addr_b32 v16, v3, v2 offset0:64 offset1:72
	ds_store_2addr_b32 v16, v1, v0 offset0:80 offset1:88
.LBB301_1611:
	s_wait_alu 0xfffe
	s_or_b32 exec_lo, exec_lo, s3
	s_delay_alu instid0(SALU_CYCLE_1)
	s_mov_b32 s3, exec_lo
	s_wait_loadcnt_dscnt 0x0
	s_barrier_signal -1
	s_barrier_wait -1
	global_inv scope:SCOPE_SE
	v_cmpx_gt_u32_e32 32, v12
	s_cbranch_execz .LBB301_1626
; %bb.1612:
	s_and_saveexec_b32 s0, vcc_lo
	s_cbranch_execnz .LBB301_1640
; %bb.1613:
	s_wait_alu 0xfffe
	s_or_b32 exec_lo, exec_lo, s0
	s_and_saveexec_b32 s0, vcc_lo
	s_cbranch_execnz .LBB301_1641
.LBB301_1614:
	s_wait_alu 0xfffe
	s_or_b32 exec_lo, exec_lo, s0
	s_and_saveexec_b32 s0, vcc_lo
	s_cbranch_execnz .LBB301_1642
.LBB301_1615:
	s_wait_alu 0xfffe
	s_or_b32 exec_lo, exec_lo, s0
	s_and_saveexec_b32 s0, vcc_lo
	s_cbranch_execnz .LBB301_1643
.LBB301_1616:
	s_wait_alu 0xfffe
	s_or_b32 exec_lo, exec_lo, s0
	s_and_saveexec_b32 s0, vcc_lo
	s_cbranch_execnz .LBB301_1644
.LBB301_1617:
	s_wait_alu 0xfffe
	s_or_b32 exec_lo, exec_lo, s0
	s_and_saveexec_b32 s0, vcc_lo
	s_cbranch_execnz .LBB301_1645
.LBB301_1618:
	s_wait_alu 0xfffe
	s_or_b32 exec_lo, exec_lo, s0
	s_and_saveexec_b32 s0, vcc_lo
	s_cbranch_execnz .LBB301_1646
.LBB301_1619:
	s_wait_alu 0xfffe
	s_or_b32 exec_lo, exec_lo, s0
	s_and_saveexec_b32 s0, vcc_lo
	s_cbranch_execnz .LBB301_1647
.LBB301_1620:
	s_wait_alu 0xfffe
	s_or_b32 exec_lo, exec_lo, s0
	s_and_saveexec_b32 s0, vcc_lo
	s_cbranch_execnz .LBB301_1648
.LBB301_1621:
	s_wait_alu 0xfffe
	s_or_b32 exec_lo, exec_lo, s0
	s_and_saveexec_b32 s0, vcc_lo
	s_cbranch_execnz .LBB301_1649
.LBB301_1622:
	s_wait_alu 0xfffe
	s_or_b32 exec_lo, exec_lo, s0
	s_and_saveexec_b32 s0, vcc_lo
	s_cbranch_execnz .LBB301_1650
.LBB301_1623:
	s_wait_alu 0xfffe
	s_or_b32 exec_lo, exec_lo, s0
	s_and_saveexec_b32 s0, vcc_lo
	s_cbranch_execz .LBB301_1625
.LBB301_1624:
	ds_load_b32 v15, v15 offset:352
	s_wait_dscnt 0x0
	v_add_f32_e32 v0, v15, v0
.LBB301_1625:
	s_wait_alu 0xfffe
	s_or_b32 exec_lo, exec_lo, s0
.LBB301_1626:
	s_wait_alu 0xfffe
	s_or_b32 exec_lo, exec_lo, s3
	v_cmp_eq_u32_e32 vcc_lo, 0, v17
	s_wait_loadcnt 0x0
	s_barrier_signal -1
	s_barrier_wait -1
	global_inv scope:SCOPE_SE
	s_and_b32 exec_lo, exec_lo, vcc_lo
	s_cbranch_execz .LBB301_1628
; %bb.1627:
	s_mul_i32 s0, s2, 0x60
	s_mul_i32 s2, s4, s1
	s_wait_alu 0xfffe
	s_ashr_i32 s1, s0, 31
	s_ashr_i32 s3, s2, 31
	s_wait_alu 0xfffe
	s_lshl_b64 s[0:1], s[0:1], 1
	s_mulk_i32 s11, 0xc0
	s_wait_alu 0xfffe
	v_add_co_u32 v4, vcc_lo, v4, s0
	s_wait_alu 0xfffd
	v_add_co_ci_u32_e64 v5, null, s1, v5, vcc_lo
	s_lshl_b64 s[0:1], s[2:3], 1
	v_lshrrev_b32_e32 v12, 1, v12
	s_wait_alu 0xfffe
	v_add_co_u32 v4, vcc_lo, v4, s0
	s_wait_alu 0xfffd
	v_add_co_ci_u32_e64 v5, null, s1, v5, vcc_lo
	s_delay_alu instid0(VALU_DEP_2) | instskip(SKIP_1) | instid1(VALU_DEP_2)
	v_add_co_u32 v4, vcc_lo, v4, s11
	s_wait_alu 0xfffd
	v_add_co_ci_u32_e64 v5, null, 0, v5, vcc_lo
	s_delay_alu instid0(VALU_DEP_2) | instskip(SKIP_1) | instid1(VALU_DEP_2)
	v_add_co_u32 v4, vcc_lo, v4, v12
	s_wait_alu 0xfffd
	v_add_co_ci_u32_e64 v5, null, 0, v5, vcc_lo
	;;#ASMSTART
	v_cvt_f16_f32 v12, v14;

	;;#ASMEND
	flat_store_b16 v[4:5], v12
	;;#ASMSTART
	v_cvt_f16_f32 v12, v13;

	;;#ASMEND
	flat_store_b16 v[4:5], v12 offset:16
	;;#ASMSTART
	v_cvt_f16_f32 v11, v11;

	;;#ASMEND
	flat_store_b16 v[4:5], v11 offset:32
	;; [unrolled: 5-line block ×11, first 2 shown]
.LBB301_1628:
	s_wait_alu 0xfffe
	s_or_b32 exec_lo, exec_lo, s10
	s_clause 0x1f
	scratch_load_b32 v159, off, s32
	scratch_load_b32 v158, off, s32 offset:4
	scratch_load_b32 v157, off, s32 offset:8
	;; [unrolled: 1-line block ×31, first 2 shown]
	s_clause 0x1f
	scratch_load_b32 v95, off, s32 offset:128
	scratch_load_b32 v94, off, s32 offset:132
	;; [unrolled: 1-line block ×32, first 2 shown]
	s_wait_loadcnt_dscnt 0x0
	s_setpc_b64 s[30:31]
.LBB301_1629:
	ds_load_b32 v17, v15
	s_wait_dscnt 0x0
	v_add_f32_e32 v14, v17, v14
	s_wait_alu 0xfffe
	s_or_b32 exec_lo, exec_lo, s0
	s_and_saveexec_b32 s0, vcc_lo
	s_cbranch_execz .LBB301_1597
.LBB301_1630:
	ds_load_b32 v17, v15 offset:32
	s_wait_dscnt 0x0
	v_add_f32_e32 v13, v17, v13
	s_wait_alu 0xfffe
	s_or_b32 exec_lo, exec_lo, s0
	s_and_saveexec_b32 s0, vcc_lo
	s_cbranch_execz .LBB301_1598
.LBB301_1631:
	ds_load_b32 v17, v15 offset:64
	s_wait_dscnt 0x0
	v_add_f32_e32 v11, v17, v11
	s_wait_alu 0xfffe
	s_or_b32 exec_lo, exec_lo, s0
	s_and_saveexec_b32 s0, vcc_lo
	s_cbranch_execz .LBB301_1599
.LBB301_1632:
	ds_load_b32 v17, v15 offset:96
	s_wait_dscnt 0x0
	v_add_f32_e32 v10, v17, v10
	s_wait_alu 0xfffe
	s_or_b32 exec_lo, exec_lo, s0
	s_and_saveexec_b32 s0, vcc_lo
	s_cbranch_execz .LBB301_1600
.LBB301_1633:
	ds_load_b32 v17, v15 offset:128
	s_wait_dscnt 0x0
	v_add_f32_e32 v9, v17, v9
	s_wait_alu 0xfffe
	s_or_b32 exec_lo, exec_lo, s0
	s_and_saveexec_b32 s0, vcc_lo
	s_cbranch_execz .LBB301_1601
.LBB301_1634:
	ds_load_b32 v17, v15 offset:160
	s_wait_dscnt 0x0
	v_add_f32_e32 v8, v17, v8
	s_wait_alu 0xfffe
	s_or_b32 exec_lo, exec_lo, s0
	s_and_saveexec_b32 s0, vcc_lo
	s_cbranch_execz .LBB301_1602
.LBB301_1635:
	ds_load_b32 v17, v15 offset:192
	s_wait_dscnt 0x0
	v_add_f32_e32 v7, v17, v7
	s_wait_alu 0xfffe
	s_or_b32 exec_lo, exec_lo, s0
	s_and_saveexec_b32 s0, vcc_lo
	s_cbranch_execz .LBB301_1603
.LBB301_1636:
	ds_load_b32 v17, v15 offset:224
	s_wait_dscnt 0x0
	v_add_f32_e32 v6, v17, v6
	s_wait_alu 0xfffe
	s_or_b32 exec_lo, exec_lo, s0
	s_and_saveexec_b32 s0, vcc_lo
	s_cbranch_execz .LBB301_1604
.LBB301_1637:
	ds_load_b32 v17, v15 offset:256
	s_wait_dscnt 0x0
	v_add_f32_e32 v3, v17, v3
	s_wait_alu 0xfffe
	s_or_b32 exec_lo, exec_lo, s0
	s_and_saveexec_b32 s0, vcc_lo
	s_cbranch_execz .LBB301_1605
.LBB301_1638:
	ds_load_b32 v17, v15 offset:288
	s_wait_dscnt 0x0
	v_add_f32_e32 v2, v17, v2
	s_wait_alu 0xfffe
	s_or_b32 exec_lo, exec_lo, s0
	s_and_saveexec_b32 s0, vcc_lo
	s_cbranch_execz .LBB301_1606
.LBB301_1639:
	ds_load_b32 v17, v15 offset:320
	s_wait_dscnt 0x0
	v_add_f32_e32 v1, v17, v1
	s_wait_alu 0xfffe
	s_or_b32 exec_lo, exec_lo, s0
	s_and_saveexec_b32 s0, vcc_lo
	s_cbranch_execnz .LBB301_1607
	s_branch .LBB301_1608
.LBB301_1640:
	ds_load_b32 v16, v15
	s_wait_dscnt 0x0
	v_add_f32_e32 v14, v16, v14
	s_wait_alu 0xfffe
	s_or_b32 exec_lo, exec_lo, s0
	s_and_saveexec_b32 s0, vcc_lo
	s_cbranch_execz .LBB301_1614
.LBB301_1641:
	ds_load_b32 v16, v15 offset:32
	s_wait_dscnt 0x0
	v_add_f32_e32 v13, v16, v13
	s_wait_alu 0xfffe
	s_or_b32 exec_lo, exec_lo, s0
	s_and_saveexec_b32 s0, vcc_lo
	s_cbranch_execz .LBB301_1615
.LBB301_1642:
	ds_load_b32 v16, v15 offset:64
	s_wait_dscnt 0x0
	v_add_f32_e32 v11, v16, v11
	s_wait_alu 0xfffe
	s_or_b32 exec_lo, exec_lo, s0
	s_and_saveexec_b32 s0, vcc_lo
	s_cbranch_execz .LBB301_1616
.LBB301_1643:
	ds_load_b32 v16, v15 offset:96
	s_wait_dscnt 0x0
	v_add_f32_e32 v10, v16, v10
	s_wait_alu 0xfffe
	s_or_b32 exec_lo, exec_lo, s0
	s_and_saveexec_b32 s0, vcc_lo
	s_cbranch_execz .LBB301_1617
.LBB301_1644:
	ds_load_b32 v16, v15 offset:128
	s_wait_dscnt 0x0
	v_add_f32_e32 v9, v16, v9
	s_wait_alu 0xfffe
	s_or_b32 exec_lo, exec_lo, s0
	s_and_saveexec_b32 s0, vcc_lo
	s_cbranch_execz .LBB301_1618
.LBB301_1645:
	ds_load_b32 v16, v15 offset:160
	s_wait_dscnt 0x0
	v_add_f32_e32 v8, v16, v8
	s_wait_alu 0xfffe
	s_or_b32 exec_lo, exec_lo, s0
	s_and_saveexec_b32 s0, vcc_lo
	s_cbranch_execz .LBB301_1619
.LBB301_1646:
	ds_load_b32 v16, v15 offset:192
	s_wait_dscnt 0x0
	v_add_f32_e32 v7, v16, v7
	s_wait_alu 0xfffe
	s_or_b32 exec_lo, exec_lo, s0
	s_and_saveexec_b32 s0, vcc_lo
	s_cbranch_execz .LBB301_1620
.LBB301_1647:
	ds_load_b32 v16, v15 offset:224
	s_wait_dscnt 0x0
	v_add_f32_e32 v6, v16, v6
	s_wait_alu 0xfffe
	s_or_b32 exec_lo, exec_lo, s0
	s_and_saveexec_b32 s0, vcc_lo
	s_cbranch_execz .LBB301_1621
.LBB301_1648:
	ds_load_b32 v16, v15 offset:256
	s_wait_dscnt 0x0
	v_add_f32_e32 v3, v16, v3
	s_wait_alu 0xfffe
	s_or_b32 exec_lo, exec_lo, s0
	s_and_saveexec_b32 s0, vcc_lo
	s_cbranch_execz .LBB301_1622
.LBB301_1649:
	ds_load_b32 v16, v15 offset:288
	s_wait_dscnt 0x0
	v_add_f32_e32 v2, v16, v2
	s_wait_alu 0xfffe
	s_or_b32 exec_lo, exec_lo, s0
	s_and_saveexec_b32 s0, vcc_lo
	s_cbranch_execz .LBB301_1623
.LBB301_1650:
	ds_load_b32 v16, v15 offset:320
	s_wait_dscnt 0x0
	v_add_f32_e32 v1, v16, v1
	s_wait_alu 0xfffe
	s_or_b32 exec_lo, exec_lo, s0
	s_and_saveexec_b32 s0, vcc_lo
	s_cbranch_execnz .LBB301_1624
	s_branch .LBB301_1625
.Lfunc_end301:
	.size	_ZN4vllm22paged_attention_kernelIthLi96ELi32ELi128ELNS_18Fp8KVCacheDataTypeE1ELb0ELi512EEEvPfS2_PT_PKS3_PKT0_S9_ifPKiSB_iPKfiiiSD_SD_iiiii, .Lfunc_end301-_ZN4vllm22paged_attention_kernelIthLi96ELi32ELi128ELNS_18Fp8KVCacheDataTypeE1ELb0ELi512EEEvPfS2_PT_PKS3_PKT0_S9_ifPKiSB_iPKfiiiSD_SD_iiiii
                                        ; -- End function
	.set .L_ZN4vllm22paged_attention_kernelIthLi96ELi32ELi128ELNS_18Fp8KVCacheDataTypeE1ELb0ELi512EEEvPfS2_PT_PKS3_PKT0_S9_ifPKiSB_iPKfiiiSD_SD_iiiii.num_vgpr, 184
	.set .L_ZN4vllm22paged_attention_kernelIthLi96ELi32ELi128ELNS_18Fp8KVCacheDataTypeE1ELb0ELi512EEEvPfS2_PT_PKS3_PKT0_S9_ifPKiSB_iPKfiiiSD_SD_iiiii.num_agpr, 0
	.set .L_ZN4vllm22paged_attention_kernelIthLi96ELi32ELi128ELNS_18Fp8KVCacheDataTypeE1ELb0ELi512EEEvPfS2_PT_PKS3_PKT0_S9_ifPKiSB_iPKfiiiSD_SD_iiiii.numbered_sgpr, 33
	.set .L_ZN4vllm22paged_attention_kernelIthLi96ELi32ELi128ELNS_18Fp8KVCacheDataTypeE1ELb0ELi512EEEvPfS2_PT_PKS3_PKT0_S9_ifPKiSB_iPKfiiiSD_SD_iiiii.num_named_barrier, 0
	.set .L_ZN4vllm22paged_attention_kernelIthLi96ELi32ELi128ELNS_18Fp8KVCacheDataTypeE1ELb0ELi512EEEvPfS2_PT_PKS3_PKT0_S9_ifPKiSB_iPKfiiiSD_SD_iiiii.private_seg_size, 260
	.set .L_ZN4vllm22paged_attention_kernelIthLi96ELi32ELi128ELNS_18Fp8KVCacheDataTypeE1ELb0ELi512EEEvPfS2_PT_PKS3_PKT0_S9_ifPKiSB_iPKfiiiSD_SD_iiiii.uses_vcc, 1
	.set .L_ZN4vllm22paged_attention_kernelIthLi96ELi32ELi128ELNS_18Fp8KVCacheDataTypeE1ELb0ELi512EEEvPfS2_PT_PKS3_PKT0_S9_ifPKiSB_iPKfiiiSD_SD_iiiii.uses_flat_scratch, 1
	.set .L_ZN4vllm22paged_attention_kernelIthLi96ELi32ELi128ELNS_18Fp8KVCacheDataTypeE1ELb0ELi512EEEvPfS2_PT_PKS3_PKT0_S9_ifPKiSB_iPKfiiiSD_SD_iiiii.has_dyn_sized_stack, 0
	.set .L_ZN4vllm22paged_attention_kernelIthLi96ELi32ELi128ELNS_18Fp8KVCacheDataTypeE1ELb0ELi512EEEvPfS2_PT_PKS3_PKT0_S9_ifPKiSB_iPKfiiiSD_SD_iiiii.has_recursion, 0
	.set .L_ZN4vllm22paged_attention_kernelIthLi96ELi32ELi128ELNS_18Fp8KVCacheDataTypeE1ELb0ELi512EEEvPfS2_PT_PKS3_PKT0_S9_ifPKiSB_iPKfiiiSD_SD_iiiii.has_indirect_call, 0
	.section	.AMDGPU.csdata,"",@progbits
; Function info:
; codeLenInByte = 64284
; TotalNumSgprs: 35
; NumVgprs: 184
; ScratchSize: 260
; MemoryBound: 0
	.section	.text._ZN4vllm25paged_attention_v2_kernelIthLi96ELi32ELi128ELNS_18Fp8KVCacheDataTypeE1ELb0ELi512EEEvPfS2_PT_PKS3_PKT0_S9_ifPKiSB_iPKfiiiSD_SD_iiiii,"axG",@progbits,_ZN4vllm25paged_attention_v2_kernelIthLi96ELi32ELi128ELNS_18Fp8KVCacheDataTypeE1ELb0ELi512EEEvPfS2_PT_PKS3_PKT0_S9_ifPKiSB_iPKfiiiSD_SD_iiiii,comdat
	.protected	_ZN4vllm25paged_attention_v2_kernelIthLi96ELi32ELi128ELNS_18Fp8KVCacheDataTypeE1ELb0ELi512EEEvPfS2_PT_PKS3_PKT0_S9_ifPKiSB_iPKfiiiSD_SD_iiiii ; -- Begin function _ZN4vllm25paged_attention_v2_kernelIthLi96ELi32ELi128ELNS_18Fp8KVCacheDataTypeE1ELb0ELi512EEEvPfS2_PT_PKS3_PKT0_S9_ifPKiSB_iPKfiiiSD_SD_iiiii
	.globl	_ZN4vllm25paged_attention_v2_kernelIthLi96ELi32ELi128ELNS_18Fp8KVCacheDataTypeE1ELb0ELi512EEEvPfS2_PT_PKS3_PKT0_S9_ifPKiSB_iPKfiiiSD_SD_iiiii
	.p2align	8
	.type	_ZN4vllm25paged_attention_v2_kernelIthLi96ELi32ELi128ELNS_18Fp8KVCacheDataTypeE1ELb0ELi512EEEvPfS2_PT_PKS3_PKT0_S9_ifPKiSB_iPKfiiiSD_SD_iiiii,@function
_ZN4vllm25paged_attention_v2_kernelIthLi96ELi32ELi128ELNS_18Fp8KVCacheDataTypeE1ELb0ELi512EEEvPfS2_PT_PKS3_PKT0_S9_ifPKiSB_iPKfiiiSD_SD_iiiii: ; @_ZN4vllm25paged_attention_v2_kernelIthLi96ELi32ELi128ELNS_18Fp8KVCacheDataTypeE1ELb0ELi512EEEvPfS2_PT_PKS3_PKT0_S9_ifPKiSB_iPKfiiiSD_SD_iiiii
; %bb.0:
	s_clause 0x5
	s_load_b256 s[20:27], s[0:1], 0x0
	s_load_b256 s[12:19], s[0:1], 0x20
	s_load_b96 s[28:30], s[0:1], 0x40
	s_load_b64 s[10:11], s[0:1], 0x50
	s_load_b96 s[36:38], s[0:1], 0x58
	s_load_b128 s[4:7], s[0:1], 0x68
	v_mov_b32_e32 v31, v0
	s_getpc_b64 s[2:3]
	s_sext_i32_i16 s3, s3
	s_add_co_u32 s2, s2, _ZN4vllm22paged_attention_kernelIthLi96ELi32ELi128ELNS_18Fp8KVCacheDataTypeE1ELb0ELi512EEEvPfS2_PT_PKS3_PKT0_S9_ifPKiSB_iPKfiiiSD_SD_iiiii@rel32@lo+8
	s_add_co_ci_u32 s3, s3, _ZN4vllm22paged_attention_kernelIthLi96ELi32ELi128ELNS_18Fp8KVCacheDataTypeE1ELb0ELi512EEEvPfS2_PT_PKS3_PKT0_S9_ifPKiSB_iPKfiiiSD_SD_iiiii@rel32@hi+16
	s_add_nc_u64 s[8:9], s[0:1], 0x90
	s_mov_b32 s32, 0
	s_wait_kmcnt 0x0
	v_dual_mov_b32 v17, s29 :: v_dual_mov_b32 v18, s30
	v_dual_mov_b32 v0, s20 :: v_dual_mov_b32 v1, s21
	;; [unrolled: 1-line block ×14, first 2 shown]
	s_mov_b32 s15, 14
	s_wait_alu 0xfffe
	s_swappc_b64 s[30:31], s[2:3]
	s_endpgm
	.section	.rodata,"a",@progbits
	.p2align	6, 0x0
	.amdhsa_kernel _ZN4vllm25paged_attention_v2_kernelIthLi96ELi32ELi128ELNS_18Fp8KVCacheDataTypeE1ELb0ELi512EEEvPfS2_PT_PKS3_PKT0_S9_ifPKiSB_iPKfiiiSD_SD_iiiii
		.amdhsa_group_segment_fixed_size 224
		.amdhsa_private_segment_fixed_size 260
		.amdhsa_kernarg_size 400
		.amdhsa_user_sgpr_count 2
		.amdhsa_user_sgpr_dispatch_ptr 0
		.amdhsa_user_sgpr_queue_ptr 0
		.amdhsa_user_sgpr_kernarg_segment_ptr 1
		.amdhsa_user_sgpr_dispatch_id 0
		.amdhsa_user_sgpr_private_segment_size 0
		.amdhsa_wavefront_size32 1
		.amdhsa_uses_dynamic_stack 0
		.amdhsa_enable_private_segment 1
		.amdhsa_system_sgpr_workgroup_id_x 1
		.amdhsa_system_sgpr_workgroup_id_y 1
		.amdhsa_system_sgpr_workgroup_id_z 1
		.amdhsa_system_sgpr_workgroup_info 0
		.amdhsa_system_vgpr_workitem_id 0
		.amdhsa_next_free_vgpr 184
		.amdhsa_next_free_sgpr 39
		.amdhsa_reserve_vcc 1
		.amdhsa_float_round_mode_32 0
		.amdhsa_float_round_mode_16_64 0
		.amdhsa_float_denorm_mode_32 3
		.amdhsa_float_denorm_mode_16_64 3
		.amdhsa_fp16_overflow 0
		.amdhsa_workgroup_processor_mode 1
		.amdhsa_memory_ordered 1
		.amdhsa_forward_progress 1
		.amdhsa_inst_pref_size 2
		.amdhsa_round_robin_scheduling 0
		.amdhsa_exception_fp_ieee_invalid_op 0
		.amdhsa_exception_fp_denorm_src 0
		.amdhsa_exception_fp_ieee_div_zero 0
		.amdhsa_exception_fp_ieee_overflow 0
		.amdhsa_exception_fp_ieee_underflow 0
		.amdhsa_exception_fp_ieee_inexact 0
		.amdhsa_exception_int_div_zero 0
	.end_amdhsa_kernel
	.section	.text._ZN4vllm25paged_attention_v2_kernelIthLi96ELi32ELi128ELNS_18Fp8KVCacheDataTypeE1ELb0ELi512EEEvPfS2_PT_PKS3_PKT0_S9_ifPKiSB_iPKfiiiSD_SD_iiiii,"axG",@progbits,_ZN4vllm25paged_attention_v2_kernelIthLi96ELi32ELi128ELNS_18Fp8KVCacheDataTypeE1ELb0ELi512EEEvPfS2_PT_PKS3_PKT0_S9_ifPKiSB_iPKfiiiSD_SD_iiiii,comdat
.Lfunc_end302:
	.size	_ZN4vllm25paged_attention_v2_kernelIthLi96ELi32ELi128ELNS_18Fp8KVCacheDataTypeE1ELb0ELi512EEEvPfS2_PT_PKS3_PKT0_S9_ifPKiSB_iPKfiiiSD_SD_iiiii, .Lfunc_end302-_ZN4vllm25paged_attention_v2_kernelIthLi96ELi32ELi128ELNS_18Fp8KVCacheDataTypeE1ELb0ELi512EEEvPfS2_PT_PKS3_PKT0_S9_ifPKiSB_iPKfiiiSD_SD_iiiii
                                        ; -- End function
	.set _ZN4vllm25paged_attention_v2_kernelIthLi96ELi32ELi128ELNS_18Fp8KVCacheDataTypeE1ELb0ELi512EEEvPfS2_PT_PKS3_PKT0_S9_ifPKiSB_iPKfiiiSD_SD_iiiii.num_vgpr, max(32, .L_ZN4vllm22paged_attention_kernelIthLi96ELi32ELi128ELNS_18Fp8KVCacheDataTypeE1ELb0ELi512EEEvPfS2_PT_PKS3_PKT0_S9_ifPKiSB_iPKfiiiSD_SD_iiiii.num_vgpr)
	.set _ZN4vllm25paged_attention_v2_kernelIthLi96ELi32ELi128ELNS_18Fp8KVCacheDataTypeE1ELb0ELi512EEEvPfS2_PT_PKS3_PKT0_S9_ifPKiSB_iPKfiiiSD_SD_iiiii.num_agpr, max(0, .L_ZN4vllm22paged_attention_kernelIthLi96ELi32ELi128ELNS_18Fp8KVCacheDataTypeE1ELb0ELi512EEEvPfS2_PT_PKS3_PKT0_S9_ifPKiSB_iPKfiiiSD_SD_iiiii.num_agpr)
	.set _ZN4vllm25paged_attention_v2_kernelIthLi96ELi32ELi128ELNS_18Fp8KVCacheDataTypeE1ELb0ELi512EEEvPfS2_PT_PKS3_PKT0_S9_ifPKiSB_iPKfiiiSD_SD_iiiii.numbered_sgpr, max(39, .L_ZN4vllm22paged_attention_kernelIthLi96ELi32ELi128ELNS_18Fp8KVCacheDataTypeE1ELb0ELi512EEEvPfS2_PT_PKS3_PKT0_S9_ifPKiSB_iPKfiiiSD_SD_iiiii.numbered_sgpr)
	.set _ZN4vllm25paged_attention_v2_kernelIthLi96ELi32ELi128ELNS_18Fp8KVCacheDataTypeE1ELb0ELi512EEEvPfS2_PT_PKS3_PKT0_S9_ifPKiSB_iPKfiiiSD_SD_iiiii.num_named_barrier, max(0, .L_ZN4vllm22paged_attention_kernelIthLi96ELi32ELi128ELNS_18Fp8KVCacheDataTypeE1ELb0ELi512EEEvPfS2_PT_PKS3_PKT0_S9_ifPKiSB_iPKfiiiSD_SD_iiiii.num_named_barrier)
	.set _ZN4vllm25paged_attention_v2_kernelIthLi96ELi32ELi128ELNS_18Fp8KVCacheDataTypeE1ELb0ELi512EEEvPfS2_PT_PKS3_PKT0_S9_ifPKiSB_iPKfiiiSD_SD_iiiii.private_seg_size, 0+max(.L_ZN4vllm22paged_attention_kernelIthLi96ELi32ELi128ELNS_18Fp8KVCacheDataTypeE1ELb0ELi512EEEvPfS2_PT_PKS3_PKT0_S9_ifPKiSB_iPKfiiiSD_SD_iiiii.private_seg_size)
	.set _ZN4vllm25paged_attention_v2_kernelIthLi96ELi32ELi128ELNS_18Fp8KVCacheDataTypeE1ELb0ELi512EEEvPfS2_PT_PKS3_PKT0_S9_ifPKiSB_iPKfiiiSD_SD_iiiii.uses_vcc, or(1, .L_ZN4vllm22paged_attention_kernelIthLi96ELi32ELi128ELNS_18Fp8KVCacheDataTypeE1ELb0ELi512EEEvPfS2_PT_PKS3_PKT0_S9_ifPKiSB_iPKfiiiSD_SD_iiiii.uses_vcc)
	.set _ZN4vllm25paged_attention_v2_kernelIthLi96ELi32ELi128ELNS_18Fp8KVCacheDataTypeE1ELb0ELi512EEEvPfS2_PT_PKS3_PKT0_S9_ifPKiSB_iPKfiiiSD_SD_iiiii.uses_flat_scratch, or(0, .L_ZN4vllm22paged_attention_kernelIthLi96ELi32ELi128ELNS_18Fp8KVCacheDataTypeE1ELb0ELi512EEEvPfS2_PT_PKS3_PKT0_S9_ifPKiSB_iPKfiiiSD_SD_iiiii.uses_flat_scratch)
	.set _ZN4vllm25paged_attention_v2_kernelIthLi96ELi32ELi128ELNS_18Fp8KVCacheDataTypeE1ELb0ELi512EEEvPfS2_PT_PKS3_PKT0_S9_ifPKiSB_iPKfiiiSD_SD_iiiii.has_dyn_sized_stack, or(0, .L_ZN4vllm22paged_attention_kernelIthLi96ELi32ELi128ELNS_18Fp8KVCacheDataTypeE1ELb0ELi512EEEvPfS2_PT_PKS3_PKT0_S9_ifPKiSB_iPKfiiiSD_SD_iiiii.has_dyn_sized_stack)
	.set _ZN4vllm25paged_attention_v2_kernelIthLi96ELi32ELi128ELNS_18Fp8KVCacheDataTypeE1ELb0ELi512EEEvPfS2_PT_PKS3_PKT0_S9_ifPKiSB_iPKfiiiSD_SD_iiiii.has_recursion, or(0, .L_ZN4vllm22paged_attention_kernelIthLi96ELi32ELi128ELNS_18Fp8KVCacheDataTypeE1ELb0ELi512EEEvPfS2_PT_PKS3_PKT0_S9_ifPKiSB_iPKfiiiSD_SD_iiiii.has_recursion)
	.set _ZN4vllm25paged_attention_v2_kernelIthLi96ELi32ELi128ELNS_18Fp8KVCacheDataTypeE1ELb0ELi512EEEvPfS2_PT_PKS3_PKT0_S9_ifPKiSB_iPKfiiiSD_SD_iiiii.has_indirect_call, or(0, .L_ZN4vllm22paged_attention_kernelIthLi96ELi32ELi128ELNS_18Fp8KVCacheDataTypeE1ELb0ELi512EEEvPfS2_PT_PKS3_PKT0_S9_ifPKiSB_iPKfiiiSD_SD_iiiii.has_indirect_call)
	.section	.AMDGPU.csdata,"",@progbits
; Kernel info:
; codeLenInByte = 224
; TotalNumSgprs: 41
; NumVgprs: 184
; ScratchSize: 260
; MemoryBound: 0
; FloatMode: 240
; IeeeMode: 1
; LDSByteSize: 224 bytes/workgroup (compile time only)
; SGPRBlocks: 0
; VGPRBlocks: 22
; NumSGPRsForWavesPerEU: 41
; NumVGPRsForWavesPerEU: 184
; Occupancy: 8
; WaveLimiterHint : 1
; COMPUTE_PGM_RSRC2:SCRATCH_EN: 1
; COMPUTE_PGM_RSRC2:USER_SGPR: 2
; COMPUTE_PGM_RSRC2:TRAP_HANDLER: 0
; COMPUTE_PGM_RSRC2:TGID_X_EN: 1
; COMPUTE_PGM_RSRC2:TGID_Y_EN: 1
; COMPUTE_PGM_RSRC2:TGID_Z_EN: 1
; COMPUTE_PGM_RSRC2:TIDIG_COMP_CNT: 0
	.text
	.p2align	2                               ; -- Begin function _ZN4vllm22paged_attention_kernelIthLi112ELi32ELi128ELNS_18Fp8KVCacheDataTypeE1ELb0ELi512EEEvPfS2_PT_PKS3_PKT0_S9_ifPKiSB_iPKfiiiSD_SD_iiiii
	.type	_ZN4vllm22paged_attention_kernelIthLi112ELi32ELi128ELNS_18Fp8KVCacheDataTypeE1ELb0ELi512EEEvPfS2_PT_PKS3_PKT0_S9_ifPKiSB_iPKfiiiSD_SD_iiiii,@function
_ZN4vllm22paged_attention_kernelIthLi112ELi32ELi128ELNS_18Fp8KVCacheDataTypeE1ELb0ELi512EEEvPfS2_PT_PKS3_PKT0_S9_ifPKiSB_iPKfiiiSD_SD_iiiii: ; @_ZN4vllm22paged_attention_kernelIthLi112ELi32ELi128ELNS_18Fp8KVCacheDataTypeE1ELb0ELi512EEEvPfS2_PT_PKS3_PKT0_S9_ifPKiSB_iPKfiiiSD_SD_iiiii
; %bb.0:
	s_wait_loadcnt_dscnt 0x0
	s_wait_expcnt 0x0
	s_wait_samplecnt 0x0
	s_wait_bvhcnt 0x0
	s_wait_kmcnt 0x0
	s_clause 0x1f
	scratch_store_b32 off, v40, s32 offset:216
	; meta instruction
	scratch_store_b32 off, v41, s32 offset:212
	; meta instruction
	;; [unrolled: 2-line block ×31, first 2 shown]
	scratch_store_b32 off, v95, s32 offset:92
	s_clause 0x16
	scratch_store_b32 off, v104, s32 offset:88
	; meta instruction
	scratch_store_b32 off, v105, s32 offset:84
	; meta instruction
	scratch_store_b32 off, v106, s32 offset:80
	; meta instruction
	scratch_store_b32 off, v107, s32 offset:76
	; meta instruction
	scratch_store_b32 off, v108, s32 offset:72
	; meta instruction
	scratch_store_b32 off, v109, s32 offset:68
	; meta instruction
	scratch_store_b32 off, v110, s32 offset:64
	; meta instruction
	scratch_store_b32 off, v111, s32 offset:60
	; meta instruction
	scratch_store_b32 off, v120, s32 offset:56
	; meta instruction
	scratch_store_b32 off, v121, s32 offset:52
	; meta instruction
	scratch_store_b32 off, v122, s32 offset:48
	; meta instruction
	scratch_store_b32 off, v123, s32 offset:44
	; meta instruction
	scratch_store_b32 off, v124, s32 offset:40
	; meta instruction
	scratch_store_b32 off, v125, s32 offset:36
	; meta instruction
	scratch_store_b32 off, v126, s32 offset:32
	; meta instruction
	scratch_store_b32 off, v127, s32 offset:28
	; meta instruction
	scratch_store_b32 off, v136, s32 offset:24
	; meta instruction
	scratch_store_b32 off, v137, s32 offset:20
	; meta instruction
	scratch_store_b32 off, v138, s32 offset:16
	; meta instruction
	scratch_store_b32 off, v139, s32 offset:12
	; meta instruction
	scratch_store_b32 off, v140, s32 offset:8
	; meta instruction
	scratch_store_b32 off, v141, s32 offset:4
	; meta instruction
	scratch_store_b32 off, v142, s32
	s_and_b32 s13, ttmp7, 0xffff
	s_lshr_b32 s11, ttmp7, 16
	s_wait_alu 0xfffe
	s_lshl_b32 s0, s13, 2
	s_lshl_b32 s12, s11, 9
	s_wait_alu 0xfffe
	v_add_co_u32 v16, vcc_lo, v16, s0
	s_wait_alu 0xfffd
	v_add_co_ci_u32_e64 v17, null, 0, v17, vcc_lo
	s_mov_b32 s10, exec_lo
	flat_load_b32 v30, v[16:17]
	s_wait_loadcnt_dscnt 0x0
	v_cmpx_lt_i32_e64 s12, v30
	s_cbranch_execz .LBB303_1892
; %bb.1:
	v_mov_b32_e32 v39, 0
	v_sub_nc_u32_e32 v16, 0, v12
	s_clause 0x1
	s_load_u16 s0, s[8:9], 0x12
	s_load_b32 s1, s[8:9], 0x0
	s_mov_b32 s6, s15
	global_load_u16 v32, v39, s[8:9] offset:22
	v_max_i32_e32 v16, v12, v16
	s_delay_alu instid0(VALU_DEP_1) | instskip(SKIP_1) | instid1(VALU_DEP_2)
	v_cvt_f32_u32_e32 v17, v16
	v_sub_nc_u32_e32 v28, 0, v16
	v_rcp_iflag_f32_e32 v17, v17
	s_wait_kmcnt 0x0
	s_cmp_lg_u32 s0, 0
	s_cselect_b32 s0, -1, 0
	s_delay_alu instid0(TRANS32_DEP_1)
	v_mul_f32_e32 v17, 0x4f7ffffe, v17
	s_wait_alu 0xfffe
	s_cmp_lg_u32 s0, 0
	s_add_co_ci_u32 s14, s1, 0
	s_mov_b32 s1, exec_lo
	v_cvt_u32_f32_e32 v17, v17
	s_wait_alu 0xfffe
	s_abs_i32 s0, s14
	v_xor_b32_e32 v12, s14, v12
	s_delay_alu instid0(VALU_DEP_2) | instskip(NEXT) | instid1(VALU_DEP_2)
	v_mul_lo_u32 v28, v28, v17
	v_ashrrev_i32_e32 v12, 31, v12
	s_delay_alu instid0(VALU_DEP_2) | instskip(NEXT) | instid1(VALU_DEP_1)
	v_mul_hi_u32 v28, v17, v28
	v_add_nc_u32_e32 v17, v17, v28
	s_wait_alu 0xfffe
	s_delay_alu instid0(VALU_DEP_1) | instskip(NEXT) | instid1(VALU_DEP_1)
	v_mul_hi_u32 v17, s0, v17
	v_mul_lo_u32 v28, v17, v16
	v_add_nc_u32_e32 v29, 1, v17
	s_delay_alu instid0(VALU_DEP_2) | instskip(SKIP_1) | instid1(VALU_DEP_1)
	v_sub_nc_u32_e32 v28, s0, v28
	s_abs_i32 s0, ttmp9
	v_sub_nc_u32_e32 v33, v28, v16
	v_cmp_ge_u32_e32 vcc_lo, v28, v16
	s_wait_alu 0xfffd
	v_cndmask_b32_e32 v17, v17, v29, vcc_lo
	s_delay_alu instid0(VALU_DEP_3) | instskip(NEXT) | instid1(VALU_DEP_2)
	v_cndmask_b32_e32 v28, v28, v33, vcc_lo
	v_add_nc_u32_e32 v29, 1, v17
	s_delay_alu instid0(VALU_DEP_2) | instskip(SKIP_1) | instid1(VALU_DEP_2)
	v_cmp_ge_u32_e32 vcc_lo, v28, v16
	s_wait_alu 0xfffd
	v_cndmask_b32_e32 v16, v17, v29, vcc_lo
	s_delay_alu instid0(VALU_DEP_1) | instskip(NEXT) | instid1(VALU_DEP_1)
	v_xor_b32_e32 v16, v16, v12
	v_sub_nc_u32_e32 v29, v16, v12
	s_delay_alu instid0(VALU_DEP_1) | instskip(NEXT) | instid1(VALU_DEP_1)
	v_sub_nc_u32_e32 v12, 0, v29
	v_max_i32_e32 v28, v29, v12
	s_delay_alu instid0(VALU_DEP_1) | instskip(SKIP_1) | instid1(VALU_DEP_2)
	v_cvt_f32_u32_e32 v12, v28
	v_sub_nc_u32_e32 v16, 0, v28
	v_rcp_iflag_f32_e32 v12, v12
	s_delay_alu instid0(TRANS32_DEP_1) | instskip(NEXT) | instid1(VALU_DEP_1)
	v_mul_f32_e32 v12, 0x4f7ffffe, v12
	v_cvt_u32_f32_e32 v12, v12
	s_delay_alu instid0(VALU_DEP_1) | instskip(NEXT) | instid1(VALU_DEP_1)
	v_mul_lo_u32 v16, v16, v12
	v_mul_hi_u32 v16, v12, v16
	s_delay_alu instid0(VALU_DEP_1) | instskip(SKIP_1) | instid1(VALU_DEP_1)
	v_add_nc_u32_e32 v12, v12, v16
	s_wait_alu 0xfffe
	v_mad_co_u64_u32 v[16:17], null, s0, v12, 0
	s_wait_loadcnt 0x0
	v_readfirstlane_b32 s15, v32
	v_cmpx_ne_u64_e32 0, v[19:20]
	s_cbranch_execz .LBB303_3
; %bb.2:
	s_mov_b32 s2, ttmp9
	s_ashr_i32 s3, ttmp9, 31
	s_wait_alu 0xfffe
	s_lshl_b64 s[2:3], s[2:3], 2
	s_wait_alu 0xfffe
	v_add_co_u32 v19, vcc_lo, v19, s2
	s_wait_alu 0xfffd
	v_add_co_ci_u32_e64 v20, null, s3, v20, vcc_lo
	flat_load_b32 v39, v[19:20]
.LBB303_3:
	s_or_b32 exec_lo, exec_lo, s1
	v_and_b32_e32 v12, 0x3ff, v31
	v_ashrrev_i32_e32 v16, 31, v29
	s_ashr_i32 s1, ttmp9, 31
	s_mul_i32 s4, ttmp9, 0x70
	s_mov_b32 s2, exec_lo
	v_cmpx_gt_u32_e32 14, v12
	s_cbranch_execz .LBB303_5
; %bb.4:
	v_mul_lo_u32 v19, v21, s13
	s_wait_alu 0xfffe
	s_ashr_i32 s5, s4, 31
	v_lshlrev_b32_e32 v21, 4, v12
	s_wait_alu 0xfffe
	s_lshl_b64 s[16:17], s[4:5], 1
	s_delay_alu instid0(VALU_DEP_2) | instskip(NEXT) | instid1(VALU_DEP_1)
	v_ashrrev_i32_e32 v20, 31, v19
	v_lshlrev_b64_e32 v[19:20], 1, v[19:20]
	s_delay_alu instid0(VALU_DEP_1) | instskip(SKIP_1) | instid1(VALU_DEP_2)
	v_add_co_u32 v6, vcc_lo, v6, v19
	s_wait_alu 0xfffd
	v_add_co_ci_u32_e64 v7, null, v7, v20, vcc_lo
	s_wait_alu 0xfffe
	s_delay_alu instid0(VALU_DEP_2) | instskip(SKIP_1) | instid1(VALU_DEP_2)
	v_add_co_u32 v6, vcc_lo, v6, s16
	s_wait_alu 0xfffd
	v_add_co_ci_u32_e64 v7, null, s17, v7, vcc_lo
	s_delay_alu instid0(VALU_DEP_2) | instskip(SKIP_1) | instid1(VALU_DEP_2)
	v_add_co_u32 v6, vcc_lo, v6, v21
	s_wait_alu 0xfffd
	v_add_co_ci_u32_e64 v7, null, 0, v7, vcc_lo
	flat_load_b128 v[31:34], v[6:7]
	s_wait_loadcnt_dscnt 0x0
	ds_store_b128 v21, v[31:34]
.LBB303_5:
	s_wait_alu 0xfffe
	s_or_b32 exec_lo, exec_lo, s2
	v_mul_lo_u32 v6, v17, v28
	v_xor_b32_e32 v16, s1, v16
	s_load_b32 s5, s[8:9], 0x8
	v_lshrrev_b32_e32 v31, 5, v12
	s_lshl_b32 s8, s11, 4
	s_mov_b32 s9, exec_lo
	s_wait_storecnt 0x0
	s_wait_loadcnt_dscnt 0x0
	s_barrier_signal -1
	v_sub_nc_u32_e32 v6, s0, v6
	s_wait_alu 0xfffe
	s_add_co_i32 s0, s8, 16
	v_add_nc_u32_e32 v32, s8, v31
	s_barrier_wait -1
	global_inv scope:SCOPE_SE
	v_sub_nc_u32_e32 v19, v6, v28
	v_cmp_ge_u32_e32 vcc_lo, v6, v28
	v_add_nc_u32_e32 v7, 1, v17
	v_dual_mov_b32 v48, 0xff7fffff :: v_dual_lshlrev_b32 v35, 2, v32
	s_wait_alu 0xfffd
	v_cndmask_b32_e32 v6, v6, v19, vcc_lo
	s_delay_alu instid0(VALU_DEP_3) | instskip(SKIP_1) | instid1(VALU_DEP_3)
	v_cndmask_b32_e32 v7, v17, v7, vcc_lo
	v_add_nc_u32_e32 v17, 31, v30
	v_cmp_ge_u32_e32 vcc_lo, v6, v28
	s_delay_alu instid0(VALU_DEP_3) | instskip(NEXT) | instid1(VALU_DEP_3)
	v_add_nc_u32_e32 v19, 1, v7
	v_ashrrev_i32_e32 v20, 31, v17
	v_mul_lo_u32 v6, v18, s13
	s_wait_alu 0xfffd
	s_delay_alu instid0(VALU_DEP_3) | instskip(NEXT) | instid1(VALU_DEP_3)
	v_cndmask_b32_e32 v7, v7, v19, vcc_lo
	v_lshrrev_b32_e32 v19, 27, v20
	s_delay_alu instid0(VALU_DEP_2) | instskip(NEXT) | instid1(VALU_DEP_2)
	v_xor_b32_e32 v7, v7, v16
	v_add_nc_u32_e32 v17, v17, v19
	s_delay_alu instid0(VALU_DEP_2) | instskip(NEXT) | instid1(VALU_DEP_2)
	v_sub_nc_u32_e32 v16, v7, v16
	v_ashrrev_i32_e32 v34, 5, v17
	v_ashrrev_i32_e32 v7, 31, v6
	s_delay_alu instid0(VALU_DEP_3) | instskip(SKIP_1) | instid1(VALU_DEP_3)
	v_mul_lo_u32 v36, v16, v23
	s_wait_alu 0xfffe
	v_min_i32_e32 v33, s0, v34
	v_and_b32_e32 v23, 31, v12
	v_lshlrev_b64_e32 v[6:7], 2, v[6:7]
	s_delay_alu instid0(VALU_DEP_3) | instskip(NEXT) | instid1(VALU_DEP_3)
	v_cmp_ge_i32_e64 s0, v32, v33
	v_lshlrev_b32_e32 v38, 2, v23
	v_ashrrev_i32_e32 v37, 31, v36
	v_cmpx_lt_i32_e64 v32, v33
	s_cbranch_execz .LBB303_905
; %bb.6:
	s_getpc_b64 s[2:3]
	s_wait_alu 0xfffe
	s_sext_i32_i16 s3, s3
	s_add_co_u32 s2, s2, llvm.amdgcn.dynlds.offset.table@rel32@lo+12
	s_wait_alu 0xfffe
	s_add_co_ci_u32 s3, s3, llvm.amdgcn.dynlds.offset.table@rel32@hi+24
	s_ashr_i32 s7, s6, 31
	v_lshlrev_b32_e32 v16, 4, v23
	s_wait_alu 0xfffe
	s_lshl_b64 s[16:17], s[6:7], 2
	v_add_co_u32 v8, vcc_lo, v8, v36
	s_wait_alu 0xfffe
	s_add_nc_u64 s[2:3], s[2:3], s[16:17]
	s_wait_alu 0xfffd
	v_add_co_ci_u32_e64 v17, null, v9, v37, vcc_lo
	s_load_b32 s2, s[2:3], 0x0
	v_mov_b32_e32 v9, 0
	v_add_co_u32 v16, vcc_lo, v8, v16
	v_add_co_u32 v8, s1, v6, v35
	s_wait_alu 0xf1ff
	v_add_co_ci_u32_e64 v19, null, 0, v7, s1
	v_lshlrev_b32_e32 v20, 5, v31
	v_lshl_or_b32 v21, v31, 7, v38
	v_add_co_u32 v18, s1, v14, v8
	s_wait_alu 0xfffd
	v_add_co_ci_u32_e64 v17, null, 0, v17, vcc_lo
	s_wait_alu 0xf1ff
	v_add_co_ci_u32_e64 v19, null, v15, v19, s1
	v_sub_nc_u32_e32 v49, 1, v30
	v_add3_u32 v50, s12, v20, v23
	v_mov_b32_e32 v48, 0xff7fffff
	s_wait_kmcnt 0x0
	v_dual_mov_b32 v52, v32 :: v_dual_add_nc_u32 v51, s2, v21
	s_mov_b32 s2, -1
	s_mov_b32 s7, 0
	s_mov_b32 s3, 0xffffff
	v_cmp_neq_f32_e32 vcc_lo, 0, v39
	s_branch .LBB303_11
.LBB303_7:                              ;   in Loop: Header=BB303_11 Depth=1
	s_wait_alu 0xfffe
	s_or_b32 exec_lo, exec_lo, s19
	v_lshlrev_b32_e32 v8, 8, v8
	v_lshl_add_u32 v21, v21, 10, 0x2000
	v_lshlrev_b32_e32 v20, 23, v20
	s_delay_alu instid0(VALU_DEP_2) | instskip(NEXT) | instid1(VALU_DEP_1)
	v_and_or_b32 v8, 0x8000, v8, v21
	v_lshl_or_b32 v127, v8, 16, v20
.LBB303_8:                              ;   in Loop: Header=BB303_11 Depth=1
	s_wait_alu 0xfffe
	s_or_b32 exec_lo, exec_lo, s18
.LBB303_9:                              ;   in Loop: Header=BB303_11 Depth=1
	s_wait_alu 0xfffe
	s_or_b32 exec_lo, exec_lo, s17
.LBB303_10:                             ;   in Loop: Header=BB303_11 Depth=1
	s_wait_alu 0xfffe
	s_or_b32 exec_lo, exec_lo, s16
	v_or_b32_e32 v8, v62, v61
	v_fma_mixlo_f16 v61, v53, v62, 0 op_sel:[0,1,0] op_sel_hi:[0,1,0]
	v_fma_mixlo_f16 v63, v53, v60, 0 op_sel:[0,1,0] op_sel_hi:[0,1,0]
	ds_load_b128 v[136:139], v9
	v_or_b32_e32 v28, v29, v28
	v_fma_mixlo_f16 v62, v53, v8, 0 op_sel_hi:[0,1,0]
	v_or_b32_e32 v8, v60, v59
	v_fma_mixlo_f16 v59, v53, v92, 0 op_sel:[0,1,0] op_sel_hi:[0,1,0]
	v_fma_mixlo_f16 v124, v53, v55, 0 op_sel:[0,1,0] op_sel_hi:[0,1,0]
	;; [unrolled: 1-line block ×3, first 2 shown]
	v_cmp_lt_i32_e64 s1, v50, v30
	v_fma_mixlo_f16 v72, v53, v8, 0 op_sel_hi:[0,1,0]
	v_or_b32_e32 v8, v92, v88
	v_add_nc_u32_e32 v52, 4, v52
	v_and_b32_e32 v20, 0xffff, v20
	s_delay_alu instid0(VALU_DEP_3) | instskip(SKIP_3) | instid1(VALU_DEP_3)
	v_fma_mixlo_f16 v60, v53, v8, 0 op_sel_hi:[0,1,0]
	v_or_b32_e32 v8, v120, v90
	v_fma_mixlo_f16 v90, v53, v76, 0 op_sel:[0,1,0] op_sel_hi:[0,1,0]
	v_fma_mixlo_f16 v120, v53, v66, 0 op_sel:[0,1,0] op_sel_hi:[0,1,0]
	v_fma_mixlo_f16 v21, v53, v8, 0 op_sel_hi:[0,1,0]
	v_or_b32_e32 v8, v79, v77
	v_fma_mixlo_f16 v77, v53, v106, 0 op_sel:[0,1,0] op_sel_hi:[0,1,0]
	v_fma_mixlo_f16 v79, v53, v79, 0 op_sel:[0,1,0] op_sel_hi:[0,1,0]
	s_delay_alu instid0(VALU_DEP_4) | instskip(NEXT) | instid1(VALU_DEP_4)
	v_and_b32_e32 v21, 0xffff, v21
	v_fma_mixlo_f16 v88, v53, v8, 0 op_sel_hi:[0,1,0]
	v_or_b32_e32 v8, v76, v75
	v_fma_mixlo_f16 v75, v53, v107, 0 op_sel:[0,1,0] op_sel_hi:[0,1,0]
	s_delay_alu instid0(VALU_DEP_2) | instskip(SKIP_2) | instid1(VALU_DEP_2)
	v_fma_mixlo_f16 v92, v53, v8, 0 op_sel_hi:[0,1,0]
	v_or_b32_e32 v8, v106, v78
	v_fma_mixlo_f16 v106, v53, v93, 0 op_sel:[0,1,0] op_sel_hi:[0,1,0]
	v_fma_mixlo_f16 v78, v53, v8, 0 op_sel_hi:[0,1,0]
	v_or_b32_e32 v8, v107, v105
	s_delay_alu instid0(VALU_DEP_1) | instskip(SKIP_3) | instid1(VALU_DEP_3)
	v_fma_mixlo_f16 v76, v53, v8, 0 op_sel_hi:[0,1,0]
	v_or_b32_e32 v8, v104, v94
	v_fma_mixlo_f16 v94, v53, v109, 0 op_sel:[0,1,0] op_sel_hi:[0,1,0]
	v_fma_mixlo_f16 v104, v53, v104, 0 op_sel:[0,1,0] op_sel_hi:[0,1,0]
	v_fma_mixlo_f16 v105, v53, v8, 0 op_sel_hi:[0,1,0]
	v_or_b32_e32 v8, v93, v91
	v_fma_mixlo_f16 v91, v53, v110, 0 op_sel:[0,1,0] op_sel_hi:[0,1,0]
	s_delay_alu instid0(VALU_DEP_2) | instskip(SKIP_2) | instid1(VALU_DEP_2)
	v_fma_mixlo_f16 v107, v53, v8, 0 op_sel_hi:[0,1,0]
	v_or_b32_e32 v8, v109, v95
	v_fma_mixlo_f16 v109, v53, v47, 0 op_sel:[0,1,0] op_sel_hi:[0,1,0]
	v_fma_mixlo_f16 v95, v53, v8, 0 op_sel_hi:[0,1,0]
	v_or_b32_e32 v8, v110, v108
	s_delay_alu instid0(VALU_DEP_1) | instskip(SKIP_3) | instid1(VALU_DEP_3)
	v_fma_mixlo_f16 v93, v53, v8, 0 op_sel_hi:[0,1,0]
	v_or_b32_e32 v8, v58, v56
	v_fma_mixlo_f16 v56, v53, v74, 0 op_sel:[0,1,0] op_sel_hi:[0,1,0]
	v_fma_mixlo_f16 v58, v53, v58, 0 op_sel:[0,1,0] op_sel_hi:[0,1,0]
	;; [unrolled: 14-line block ×9, first 2 shown]
	v_fma_mixlo_f16 v115, v53, v8, 0 op_sel_hi:[0,1,0]
	v_or_b32_e32 v8, v87, v86
	v_fma_mixlo_f16 v86, v53, v101, 0 op_sel:[0,1,0] op_sel_hi:[0,1,0]
	v_and_b32_e32 v96, 0xffff, v96
	s_delay_alu instid0(VALU_DEP_3) | instskip(SKIP_1) | instid1(VALU_DEP_1)
	v_fma_mixlo_f16 v117, v53, v8, 0 op_sel_hi:[0,1,0]
	v_or_b32_e32 v8, v100, v97
	v_fma_mixlo_f16 v97, v53, v8, 0 op_sel_hi:[0,1,0]
	v_or_b32_e32 v8, v101, v99
	v_fma_mixlo_f16 v99, v53, v82, 0 op_sel:[0,1,0] op_sel_hi:[0,1,0]
	s_delay_alu instid0(VALU_DEP_2) | instskip(SKIP_1) | instid1(VALU_DEP_3)
	v_fma_mixlo_f16 v87, v53, v8, 0 op_sel_hi:[0,1,0]
	v_or_b32_e32 v8, v82, v80
	v_and_b32_e32 v99, 0xffff, v99
	s_delay_alu instid0(VALU_DEP_2) | instskip(SKIP_3) | instid1(VALU_DEP_3)
	v_fma_mixlo_f16 v100, v53, v8, 0 op_sel_hi:[0,1,0]
	v_or_b32_e32 v8, v71, v70
	v_fma_mixlo_f16 v70, v53, v71, 0 op_sel:[0,1,0] op_sel_hi:[0,1,0]
	v_fma_mixlo_f16 v71, v53, v84, 0 op_sel:[0,1,0] op_sel_hi:[0,1,0]
	v_fma_mixlo_f16 v101, v53, v8, 0 op_sel_hi:[0,1,0]
	v_or_b32_e32 v8, v84, v81
	v_fma_mixlo_f16 v81, v53, v85, 0 op_sel:[0,1,0] op_sel_hi:[0,1,0]
	v_fma_mixlo_f16 v84, v53, v68, 0 op_sel:[0,1,0] op_sel_hi:[0,1,0]
	v_and_b32_e32 v70, 0xffff, v70
	v_and_b32_e32 v101, 0xffff, v101
	v_fma_mixlo_f16 v80, v53, v8, 0 op_sel_hi:[0,1,0]
	v_or_b32_e32 v8, v85, v83
	v_and_b32_e32 v71, 0xffff, v71
	v_and_b32_e32 v81, 0xffff, v81
	s_delay_alu instid0(VALU_DEP_4) | instskip(NEXT) | instid1(VALU_DEP_4)
	v_and_b32_e32 v80, 0xffff, v80
	v_fma_mixlo_f16 v82, v53, v8, 0 op_sel_hi:[0,1,0]
	v_or_b32_e32 v8, v66, v64
	v_fma_mixlo_f16 v64, v53, v122, 0 op_sel:[0,1,0] op_sel_hi:[0,1,0]
	v_fma_mixlo_f16 v66, v53, v29, 0 op_sel:[0,1,0] op_sel_hi:[0,1,0]
	s_delay_alu instid0(VALU_DEP_3) | instskip(SKIP_2) | instid1(VALU_DEP_4)
	v_fma_mixlo_f16 v123, v53, v8, 0 op_sel_hi:[0,1,0]
	v_or_b32_e32 v8, v55, v54
	v_or_b32_e32 v54, v122, v111
	v_and_b32_e32 v66, 0xffff, v66
	v_and_b32_e32 v64, 0xffff, v64
	s_delay_alu instid0(VALU_DEP_4) | instskip(SKIP_4) | instid1(VALU_DEP_4)
	v_fma_mixlo_f16 v140, v53, v8, 0 op_sel_hi:[0,1,0]
	v_or_b32_e32 v8, v68, v65
	v_fma_mixlo_f16 v68, v53, v69, 0 op_sel:[0,1,0] op_sel_hi:[0,1,0]
	v_fma_mixlo_f16 v65, v53, v54, 0 op_sel_hi:[0,1,0]
	v_fma_mixlo_f16 v54, v53, v126, 0 op_sel:[0,1,0] op_sel_hi:[0,1,0]
	v_fma_mixlo_f16 v85, v53, v8, 0 op_sel_hi:[0,1,0]
	v_or_b32_e32 v8, v69, v67
	v_fma_mixlo_f16 v67, v53, v28, 0 op_sel_hi:[0,1,0]
	v_or_b32_e32 v28, v126, v121
	s_wait_dscnt 0x0
	v_and_b32_e32 v69, 0xffff, v136
	;;#ASMSTART
	v_cvt_f32_f16 v69, v69;
	;;#ASMEND
	v_fma_mixlo_f16 v83, v53, v8, 0 op_sel_hi:[0,1,0]
	v_and_b32_e32 v67, 0xffff, v67
	v_fma_mixlo_f16 v55, v53, v28, 0 op_sel_hi:[0,1,0]
	v_or_b32_e32 v28, v127, v125
	v_and_b32_e32 v54, 0xffff, v54
	v_and_b32_e32 v65, 0xffff, v65
	s_delay_alu instid0(VALU_DEP_4) | instskip(NEXT) | instid1(VALU_DEP_4)
	v_and_b32_e32 v55, 0xffff, v55
	v_fma_mixlo_f16 v29, v53, v28, 0 op_sel_hi:[0,1,0]
	v_fma_mixlo_f16 v28, v53, v127, 0 op_sel:[0,1,0] op_sel_hi:[0,1,0]
	v_lshrrev_b32_e32 v53, 16, v136
	;;#ASMSTART
	v_cvt_f32_f16 v111, v53;
	;;#ASMEND
	v_and_b32_e32 v53, 0xffff, v140
	;;#ASMSTART
	v_cvt_f32_f16 v125, v53;
	;;#ASMEND
	v_and_b32_e32 v53, 0xffff, v124
	;;#ASMSTART
	v_cvt_f32_f16 v124, v53;
	;;#ASMEND
	v_lshrrev_b32_e32 v53, 16, v137
	v_and_b32_e32 v121, 0xffff, v137
	;;#ASMSTART
	v_cvt_f32_f16 v126, v121;
	;;#ASMEND
	;;#ASMSTART
	v_cvt_f32_f16 v127, v53;
	;;#ASMEND
	v_and_b32_e32 v53, 0xffff, v123
	;;#ASMSTART
	v_cvt_f32_f16 v136, v53;
	;;#ASMEND
	v_and_b32_e32 v53, 0xffff, v120
	;;#ASMSTART
	v_cvt_f32_f16 v137, v53;
	;;#ASMEND
	v_lshrrev_b32_e32 v53, 16, v138
	v_and_b32_e32 v120, 0xffff, v138
	;;#ASMSTART
	v_cvt_f32_f16 v138, v120;
	;;#ASMEND
	;; [unrolled: 16-line block ×3, first 2 shown]
	;;#ASMSTART
	v_cvt_f32_f16 v141, v53;
	;;#ASMEND
	v_and_b32_e32 v53, 0xffff, v83
	;;#ASMSTART
	v_cvt_f32_f16 v83, v53;
	;;#ASMEND
	v_and_b32_e32 v53, 0xffff, v68
	;;#ASMSTART
	v_cvt_f32_f16 v142, v53;
	;;#ASMEND
	ds_load_b128 v[120:123], v9 offset:16
	v_and_b32_e32 v28, 0xffff, v28
	v_and_b32_e32 v29, 0xffff, v29
	s_wait_dscnt 0x0
	v_and_b32_e32 v53, 0xffff, v120
	v_lshrrev_b32_e32 v68, 16, v120
	;;#ASMSTART
	v_cvt_f32_f16 v53, v53;
	;;#ASMEND
	;;#ASMSTART
	v_cvt_f32_f16 v68, v68;
	;;#ASMEND
	;; [unrolled: 3-line block ×3, first 2 shown]
	v_mul_f32_e32 v53, v53, v101
	;;#ASMSTART
	v_cvt_f32_f16 v70, v70;
	;;#ASMEND
	v_mul_f32_e32 v68, v68, v70
	v_lshrrev_b32_e32 v70, 16, v121
	s_delay_alu instid0(VALU_DEP_3)
	v_fmac_f32_e32 v53, v69, v125
	v_and_b32_e32 v69, 0xffff, v121
	;;#ASMSTART
	v_cvt_f32_f16 v69, v69;
	;;#ASMEND
	;;#ASMSTART
	v_cvt_f32_f16 v101, v70;
	;;#ASMEND
	v_and_b32_e32 v70, 0xffff, v100
	;;#ASMSTART
	v_cvt_f32_f16 v70, v70;
	;;#ASMEND
	;;#ASMSTART
	v_cvt_f32_f16 v99, v99;
	;;#ASMEND
	s_delay_alu instid0(VALU_DEP_1)
	v_mul_f32_e32 v70, v69, v70
	v_mul_f32_e32 v69, v101, v99
	v_add_nc_u32_e32 v8, v49, v50
	v_lshrrev_b32_e32 v100, 16, v122
	v_and_b32_e32 v99, 0xffff, v122
	;;#ASMSTART
	v_cvt_f32_f16 v99, v99;
	;;#ASMEND
	v_fmac_f32_e32 v69, v127, v137
	v_cvt_f32_i32_e32 v8, v8
	;;#ASMSTART
	v_cvt_f32_f16 v100, v100;
	;;#ASMEND
	;;#ASMSTART
	v_cvt_f32_f16 v80, v80;
	;;#ASMEND
	;; [unrolled: 3-line block ×3, first 2 shown]
	v_mul_f32_e32 v80, v99, v80
	v_dual_mul_f32 v8, v39, v8 :: v_dual_mul_f32 v71, v100, v71
	v_and_b32_e32 v82, 0xffff, v82
	v_fmac_f32_e32 v68, v111, v124
	s_delay_alu instid0(VALU_DEP_4)
	v_fmac_f32_e32 v80, v138, v85
	s_wait_alu 0xfffd
	v_cndmask_b32_e32 v8, 0, v8, vcc_lo
	v_dual_fmac_f32 v71, v140, v84 :: v_dual_and_b32 v84, 0xffff, v123
	v_lshrrev_b32_e32 v85, 16, v123
	;;#ASMSTART
	v_cvt_f32_f16 v84, v84;
	;;#ASMEND
	;;#ASMSTART
	v_cvt_f32_f16 v85, v85;
	;;#ASMEND
	;; [unrolled: 3-line block ×4, first 2 shown]
	ds_load_b128 v[120:123], v9 offset:32
	v_dual_mul_f32 v82, v84, v82 :: v_dual_mul_f32 v81, v85, v81
	v_dual_fmac_f32 v70, v126, v136 :: v_dual_and_b32 v85, 0xffff, v117
	s_delay_alu instid0(VALU_DEP_2) | instskip(NEXT) | instid1(VALU_DEP_3)
	v_dual_fmac_f32 v82, v139, v83 :: v_dual_and_b32 v99, 0xffff, v116
	v_fmac_f32_e32 v81, v141, v142
	v_and_b32_e32 v98, 0xffff, v98
	v_add_nc_u32_e32 v50, 0x80, v50
	s_wait_dscnt 0x0
	v_lshrrev_b32_e32 v84, 16, v120
	v_and_b32_e32 v83, 0xffff, v120
	;;#ASMSTART
	v_cvt_f32_f16 v83, v83;
	;;#ASMEND
	;;#ASMSTART
	v_cvt_f32_f16 v84, v84;
	;;#ASMEND
	;;#ASMSTART
	v_cvt_f32_f16 v85, v85;
	;;#ASMEND
	;;#ASMSTART
	v_cvt_f32_f16 v99, v99;
	;;#ASMEND
	v_dual_fmac_f32 v53, v83, v85 :: v_dual_fmac_f32 v68, v84, v99
	v_lshrrev_b32_e32 v84, 16, v121
	v_and_b32_e32 v83, 0xffff, v121
	v_and_b32_e32 v85, 0xffff, v115
	;;#ASMSTART
	v_cvt_f32_f16 v83, v83;
	;;#ASMEND
	;;#ASMSTART
	v_cvt_f32_f16 v84, v84;
	;;#ASMEND
	;;#ASMSTART
	v_cvt_f32_f16 v85, v85;
	;;#ASMEND
	;;#ASMSTART
	v_cvt_f32_f16 v98, v98;
	;;#ASMEND
	v_dual_fmac_f32 v70, v83, v85 :: v_dual_fmac_f32 v69, v84, v98
	v_lshrrev_b32_e32 v84, 16, v122
	v_and_b32_e32 v83, 0xffff, v122
	;; [unrolled: 16-line block ×3, first 2 shown]
	v_and_b32_e32 v85, 0xffff, v87
	v_and_b32_e32 v86, 0xffff, v86
	;;#ASMSTART
	v_cvt_f32_f16 v83, v83;
	;;#ASMEND
	;;#ASMSTART
	v_cvt_f32_f16 v84, v84;
	;;#ASMEND
	;; [unrolled: 3-line block ×4, first 2 shown]
	v_dual_fmac_f32 v82, v83, v85 :: v_dual_fmac_f32 v81, v84, v86
	ds_load_b128 v[83:86], v9 offset:48
	v_and_b32_e32 v96, 0xffff, v133
	v_and_b32_e32 v97, 0xffff, v132
	s_wait_dscnt 0x0
	v_lshrrev_b32_e32 v87, 16, v83
	v_and_b32_e32 v83, 0xffff, v83
	;;#ASMSTART
	v_cvt_f32_f16 v83, v83;
	;;#ASMEND
	;;#ASMSTART
	v_cvt_f32_f16 v87, v87;
	;;#ASMEND
	;; [unrolled: 3-line block ×4, first 2 shown]
	v_fmac_f32_e32 v53, v83, v96
	v_fmac_f32_e32 v68, v87, v97
	v_lshrrev_b32_e32 v87, 16, v84
	v_and_b32_e32 v83, 0xffff, v84
	;;#ASMSTART
	v_cvt_f32_f16 v83, v83;
	;;#ASMEND
	;;#ASMSTART
	v_cvt_f32_f16 v84, v87;
	;;#ASMEND
	v_and_b32_e32 v87, 0xffff, v131
	v_and_b32_e32 v96, 0xffff, v114
	;;#ASMSTART
	v_cvt_f32_f16 v87, v87;
	;;#ASMEND
	;;#ASMSTART
	v_cvt_f32_f16 v96, v96;
	;;#ASMEND
	s_delay_alu instid0(VALU_DEP_1)
	v_dual_fmac_f32 v70, v83, v87 :: v_dual_fmac_f32 v69, v84, v96
	v_lshrrev_b32_e32 v84, 16, v85
	v_and_b32_e32 v83, 0xffff, v85
	v_and_b32_e32 v85, 0xffff, v113
	;;#ASMSTART
	v_cvt_f32_f16 v83, v83;
	;;#ASMEND
	;;#ASMSTART
	v_cvt_f32_f16 v84, v84;
	;;#ASMEND
	;; [unrolled: 3-line block ×3, first 2 shown]
	v_and_b32_e32 v87, 0xffff, v112
	;;#ASMSTART
	v_cvt_f32_f16 v87, v87;
	;;#ASMEND
	s_delay_alu instid0(VALU_DEP_1)
	v_dual_fmac_f32 v80, v83, v85 :: v_dual_fmac_f32 v71, v84, v87
	v_lshrrev_b32_e32 v84, 16, v86
	v_and_b32_e32 v83, 0xffff, v86
	v_and_b32_e32 v85, 0xffff, v103
	;; [unrolled: 1-line block ×3, first 2 shown]
	;;#ASMSTART
	v_cvt_f32_f16 v83, v83;
	;;#ASMEND
	;;#ASMSTART
	v_cvt_f32_f16 v84, v84;
	;;#ASMEND
	;; [unrolled: 3-line block ×4, first 2 shown]
	v_dual_fmac_f32 v82, v83, v85 :: v_dual_fmac_f32 v81, v84, v86
	v_and_b32_e32 v96, 0xffff, v149
	ds_load_b128 v[83:86], v9 offset:64
	v_and_b32_e32 v97, 0xffff, v148
	s_wait_dscnt 0x0
	v_lshrrev_b32_e32 v87, 16, v83
	v_and_b32_e32 v83, 0xffff, v83
	;;#ASMSTART
	v_cvt_f32_f16 v83, v83;
	;;#ASMEND
	;;#ASMSTART
	v_cvt_f32_f16 v87, v87;
	;;#ASMEND
	;; [unrolled: 3-line block ×4, first 2 shown]
	v_dual_fmac_f32 v53, v83, v96 :: v_dual_and_b32 v96, 0xffff, v130
	v_fmac_f32_e32 v68, v87, v97
	v_lshrrev_b32_e32 v87, 16, v84
	v_and_b32_e32 v83, 0xffff, v84
	;;#ASMSTART
	v_cvt_f32_f16 v83, v83;
	;;#ASMEND
	;;#ASMSTART
	v_cvt_f32_f16 v84, v87;
	;;#ASMEND
	v_and_b32_e32 v87, 0xffff, v147
	;;#ASMSTART
	v_cvt_f32_f16 v87, v87;
	;;#ASMEND
	;;#ASMSTART
	v_cvt_f32_f16 v96, v96;
	;;#ASMEND
	s_delay_alu instid0(VALU_DEP_1)
	v_dual_fmac_f32 v70, v83, v87 :: v_dual_fmac_f32 v69, v84, v96
	v_lshrrev_b32_e32 v84, 16, v85
	v_and_b32_e32 v83, 0xffff, v85
	v_and_b32_e32 v85, 0xffff, v129
	;;#ASMSTART
	v_cvt_f32_f16 v83, v83;
	;;#ASMEND
	;;#ASMSTART
	v_cvt_f32_f16 v84, v84;
	;;#ASMEND
	;;#ASMSTART
	v_cvt_f32_f16 v85, v85;
	;;#ASMEND
	v_and_b32_e32 v87, 0xffff, v128
	;;#ASMSTART
	v_cvt_f32_f16 v87, v87;
	;;#ASMEND
	s_delay_alu instid0(VALU_DEP_1)
	v_dual_fmac_f32 v80, v83, v85 :: v_dual_fmac_f32 v71, v84, v87
	v_and_b32_e32 v96, 0xffff, v165
	v_lshrrev_b32_e32 v84, 16, v86
	v_and_b32_e32 v83, 0xffff, v86
	v_and_b32_e32 v85, 0xffff, v119
	;; [unrolled: 1-line block ×3, first 2 shown]
	;;#ASMSTART
	v_cvt_f32_f16 v83, v83;
	;;#ASMEND
	;;#ASMSTART
	v_cvt_f32_f16 v84, v84;
	;;#ASMEND
	;; [unrolled: 3-line block ×4, first 2 shown]
	v_dual_fmac_f32 v82, v83, v85 :: v_dual_fmac_f32 v81, v84, v86
	ds_load_b128 v[83:86], v9 offset:80
	v_and_b32_e32 v97, 0xffff, v164
	s_wait_dscnt 0x0
	v_lshrrev_b32_e32 v87, 16, v83
	v_and_b32_e32 v83, 0xffff, v83
	;;#ASMSTART
	v_cvt_f32_f16 v83, v83;
	;;#ASMEND
	;;#ASMSTART
	v_cvt_f32_f16 v87, v87;
	;;#ASMEND
	;; [unrolled: 3-line block ×4, first 2 shown]
	v_dual_fmac_f32 v53, v83, v96 :: v_dual_and_b32 v96, 0xffff, v146
	v_fmac_f32_e32 v68, v87, v97
	v_lshrrev_b32_e32 v87, 16, v84
	v_and_b32_e32 v83, 0xffff, v84
	;;#ASMSTART
	v_cvt_f32_f16 v83, v83;
	;;#ASMEND
	;;#ASMSTART
	v_cvt_f32_f16 v84, v87;
	;;#ASMEND
	v_and_b32_e32 v87, 0xffff, v163
	;;#ASMSTART
	v_cvt_f32_f16 v87, v87;
	;;#ASMEND
	;;#ASMSTART
	v_cvt_f32_f16 v96, v96;
	;;#ASMEND
	s_delay_alu instid0(VALU_DEP_1)
	v_dual_fmac_f32 v70, v83, v87 :: v_dual_fmac_f32 v69, v84, v96
	v_lshrrev_b32_e32 v84, 16, v85
	v_and_b32_e32 v83, 0xffff, v85
	v_and_b32_e32 v85, 0xffff, v145
	;;#ASMSTART
	v_cvt_f32_f16 v83, v83;
	;;#ASMEND
	;;#ASMSTART
	v_cvt_f32_f16 v84, v84;
	;;#ASMEND
	;; [unrolled: 3-line block ×3, first 2 shown]
	v_and_b32_e32 v87, 0xffff, v144
	;;#ASMSTART
	v_cvt_f32_f16 v87, v87;
	;;#ASMEND
	s_delay_alu instid0(VALU_DEP_1)
	v_dual_fmac_f32 v80, v83, v85 :: v_dual_fmac_f32 v71, v84, v87
	v_lshrrev_b32_e32 v84, 16, v86
	v_and_b32_e32 v83, 0xffff, v86
	v_and_b32_e32 v85, 0xffff, v135
	;; [unrolled: 1-line block ×3, first 2 shown]
	;;#ASMSTART
	v_cvt_f32_f16 v83, v83;
	;;#ASMEND
	;;#ASMSTART
	v_cvt_f32_f16 v84, v84;
	;;#ASMEND
	;; [unrolled: 3-line block ×4, first 2 shown]
	v_fmac_f32_e32 v82, v83, v85
	v_dual_fmac_f32 v81, v84, v86 :: v_dual_and_b32 v96, 0xffff, v181
	ds_load_b128 v[83:86], v9 offset:96
	v_and_b32_e32 v97, 0xffff, v180
	s_wait_dscnt 0x0
	v_lshrrev_b32_e32 v87, 16, v83
	v_and_b32_e32 v83, 0xffff, v83
	;;#ASMSTART
	v_cvt_f32_f16 v83, v83;
	;;#ASMEND
	;;#ASMSTART
	v_cvt_f32_f16 v87, v87;
	;;#ASMEND
	;; [unrolled: 3-line block ×4, first 2 shown]
	v_fmac_f32_e32 v53, v83, v96
	v_fmac_f32_e32 v68, v87, v97
	v_lshrrev_b32_e32 v87, 16, v84
	v_and_b32_e32 v83, 0xffff, v84
	;;#ASMSTART
	v_cvt_f32_f16 v83, v83;
	;;#ASMEND
	;;#ASMSTART
	v_cvt_f32_f16 v84, v87;
	;;#ASMEND
	v_and_b32_e32 v87, 0xffff, v179
	v_and_b32_e32 v96, 0xffff, v162
	;;#ASMSTART
	v_cvt_f32_f16 v87, v87;
	;;#ASMEND
	;;#ASMSTART
	v_cvt_f32_f16 v96, v96;
	;;#ASMEND
	s_delay_alu instid0(VALU_DEP_1)
	v_dual_fmac_f32 v70, v83, v87 :: v_dual_fmac_f32 v69, v84, v96
	v_lshrrev_b32_e32 v84, 16, v85
	v_and_b32_e32 v83, 0xffff, v85
	v_and_b32_e32 v85, 0xffff, v161
	;;#ASMSTART
	v_cvt_f32_f16 v83, v83;
	;;#ASMEND
	;;#ASMSTART
	v_cvt_f32_f16 v84, v84;
	;;#ASMEND
	;; [unrolled: 3-line block ×3, first 2 shown]
	v_and_b32_e32 v87, 0xffff, v160
	;;#ASMSTART
	v_cvt_f32_f16 v87, v87;
	;;#ASMEND
	s_delay_alu instid0(VALU_DEP_1)
	v_dual_fmac_f32 v80, v83, v85 :: v_dual_fmac_f32 v71, v84, v87
	v_lshrrev_b32_e32 v84, 16, v86
	v_and_b32_e32 v83, 0xffff, v86
	v_and_b32_e32 v85, 0xffff, v151
	;; [unrolled: 1-line block ×3, first 2 shown]
	;;#ASMSTART
	v_cvt_f32_f16 v83, v83;
	;;#ASMEND
	;;#ASMSTART
	v_cvt_f32_f16 v84, v84;
	;;#ASMEND
	;; [unrolled: 3-line block ×4, first 2 shown]
	v_fmac_f32_e32 v82, v83, v85
	v_dual_fmac_f32 v81, v84, v86 :: v_dual_and_b32 v96, 0xffff, v45
	ds_load_b128 v[83:86], v9 offset:112
	v_and_b32_e32 v97, 0xffff, v44
	s_wait_dscnt 0x0
	v_lshrrev_b32_e32 v87, 16, v83
	v_and_b32_e32 v83, 0xffff, v83
	;;#ASMSTART
	v_cvt_f32_f16 v83, v83;
	;;#ASMEND
	;;#ASMSTART
	v_cvt_f32_f16 v87, v87;
	;;#ASMEND
	;; [unrolled: 3-line block ×4, first 2 shown]
	v_fmac_f32_e32 v53, v83, v96
	v_fmac_f32_e32 v68, v87, v97
	v_lshrrev_b32_e32 v87, 16, v84
	v_and_b32_e32 v83, 0xffff, v84
	;;#ASMSTART
	v_cvt_f32_f16 v83, v83;
	;;#ASMEND
	;;#ASMSTART
	v_cvt_f32_f16 v84, v87;
	;;#ASMEND
	v_and_b32_e32 v87, 0xffff, v43
	v_and_b32_e32 v96, 0xffff, v178
	;;#ASMSTART
	v_cvt_f32_f16 v87, v87;
	;;#ASMEND
	;;#ASMSTART
	v_cvt_f32_f16 v96, v96;
	;;#ASMEND
	s_delay_alu instid0(VALU_DEP_1)
	v_dual_fmac_f32 v70, v83, v87 :: v_dual_fmac_f32 v69, v84, v96
	v_lshrrev_b32_e32 v84, 16, v85
	v_and_b32_e32 v83, 0xffff, v85
	v_and_b32_e32 v85, 0xffff, v177
	;;#ASMSTART
	v_cvt_f32_f16 v83, v83;
	;;#ASMEND
	;;#ASMSTART
	v_cvt_f32_f16 v84, v84;
	;;#ASMEND
	;; [unrolled: 3-line block ×3, first 2 shown]
	v_and_b32_e32 v87, 0xffff, v176
	;;#ASMSTART
	v_cvt_f32_f16 v87, v87;
	;;#ASMEND
	s_delay_alu instid0(VALU_DEP_1)
	v_dual_fmac_f32 v80, v83, v85 :: v_dual_fmac_f32 v71, v84, v87
	v_lshrrev_b32_e32 v84, 16, v86
	v_and_b32_e32 v83, 0xffff, v86
	v_and_b32_e32 v85, 0xffff, v167
	;; [unrolled: 1-line block ×3, first 2 shown]
	;;#ASMSTART
	v_cvt_f32_f16 v83, v83;
	;;#ASMEND
	;;#ASMSTART
	v_cvt_f32_f16 v84, v84;
	;;#ASMEND
	;; [unrolled: 3-line block ×4, first 2 shown]
	v_fmac_f32_e32 v82, v83, v85
	v_dual_fmac_f32 v81, v84, v86 :: v_dual_and_b32 v96, 0xffff, v89
	ds_load_b128 v[83:86], v9 offset:128
	v_and_b32_e32 v97, 0xffff, v74
	s_wait_dscnt 0x0
	v_lshrrev_b32_e32 v87, 16, v83
	v_and_b32_e32 v83, 0xffff, v83
	;;#ASMSTART
	v_cvt_f32_f16 v83, v83;
	;;#ASMEND
	;;#ASMSTART
	v_cvt_f32_f16 v87, v87;
	;;#ASMEND
	;; [unrolled: 3-line block ×4, first 2 shown]
	v_fmac_f32_e32 v53, v83, v96
	v_fmac_f32_e32 v68, v87, v97
	v_lshrrev_b32_e32 v87, 16, v84
	v_and_b32_e32 v83, 0xffff, v84
	;;#ASMSTART
	v_cvt_f32_f16 v83, v83;
	;;#ASMEND
	;;#ASMSTART
	v_cvt_f32_f16 v84, v87;
	;;#ASMEND
	v_and_b32_e32 v87, 0xffff, v73
	v_and_b32_e32 v96, 0xffff, v42
	;;#ASMSTART
	v_cvt_f32_f16 v87, v87;
	;;#ASMEND
	;;#ASMSTART
	v_cvt_f32_f16 v96, v96;
	;;#ASMEND
	s_delay_alu instid0(VALU_DEP_1)
	v_dual_fmac_f32 v70, v83, v87 :: v_dual_fmac_f32 v69, v84, v96
	v_lshrrev_b32_e32 v84, 16, v85
	v_and_b32_e32 v83, 0xffff, v85
	v_and_b32_e32 v85, 0xffff, v41
	;;#ASMSTART
	v_cvt_f32_f16 v83, v83;
	;;#ASMEND
	;;#ASMSTART
	v_cvt_f32_f16 v84, v84;
	;;#ASMEND
	;; [unrolled: 3-line block ×3, first 2 shown]
	v_and_b32_e32 v87, 0xffff, v40
	;;#ASMSTART
	v_cvt_f32_f16 v87, v87;
	;;#ASMEND
	v_dual_fmac_f32 v80, v83, v85 :: v_dual_and_b32 v83, 0xffff, v86
	v_and_b32_e32 v85, 0xffff, v183
	s_delay_alu instid0(VALU_DEP_3)
	v_dual_fmac_f32 v71, v84, v87 :: v_dual_and_b32 v96, 0xffff, v110
	v_lshrrev_b32_e32 v84, 16, v86
	v_and_b32_e32 v86, 0xffff, v182
	;;#ASMSTART
	v_cvt_f32_f16 v83, v83;
	;;#ASMEND
	;;#ASMSTART
	v_cvt_f32_f16 v84, v84;
	;;#ASMEND
	;; [unrolled: 3-line block ×4, first 2 shown]
	v_dual_fmac_f32 v82, v83, v85 :: v_dual_fmac_f32 v81, v84, v86
	ds_load_b128 v[83:86], v9 offset:144
	v_and_b32_e32 v97, 0xffff, v109
	s_wait_dscnt 0x0
	v_lshrrev_b32_e32 v87, 16, v83
	v_and_b32_e32 v83, 0xffff, v83
	;;#ASMSTART
	v_cvt_f32_f16 v83, v83;
	;;#ASMEND
	;;#ASMSTART
	v_cvt_f32_f16 v87, v87;
	;;#ASMEND
	;; [unrolled: 3-line block ×4, first 2 shown]
	v_fmac_f32_e32 v53, v83, v96
	v_fmac_f32_e32 v68, v87, v97
	v_lshrrev_b32_e32 v87, 16, v84
	v_and_b32_e32 v83, 0xffff, v84
	;;#ASMSTART
	v_cvt_f32_f16 v83, v83;
	;;#ASMEND
	;;#ASMSTART
	v_cvt_f32_f16 v84, v87;
	;;#ASMEND
	v_and_b32_e32 v87, 0xffff, v108
	v_and_b32_e32 v96, 0xffff, v58
	;;#ASMSTART
	v_cvt_f32_f16 v87, v87;
	;;#ASMEND
	;;#ASMSTART
	v_cvt_f32_f16 v96, v96;
	;;#ASMEND
	s_delay_alu instid0(VALU_DEP_1)
	v_dual_fmac_f32 v70, v83, v87 :: v_dual_fmac_f32 v69, v84, v96
	v_lshrrev_b32_e32 v84, 16, v85
	v_and_b32_e32 v83, 0xffff, v85
	v_and_b32_e32 v85, 0xffff, v57
	;;#ASMSTART
	v_cvt_f32_f16 v83, v83;
	;;#ASMEND
	;;#ASMSTART
	v_cvt_f32_f16 v84, v84;
	;;#ASMEND
	;; [unrolled: 3-line block ×3, first 2 shown]
	v_and_b32_e32 v87, 0xffff, v56
	;;#ASMSTART
	v_cvt_f32_f16 v87, v87;
	;;#ASMEND
	s_delay_alu instid0(VALU_DEP_1)
	v_dual_fmac_f32 v80, v83, v85 :: v_dual_fmac_f32 v71, v84, v87
	v_lshrrev_b32_e32 v84, 16, v86
	v_and_b32_e32 v83, 0xffff, v86
	v_and_b32_e32 v85, 0xffff, v47
	;; [unrolled: 1-line block ×3, first 2 shown]
	;;#ASMSTART
	v_cvt_f32_f16 v83, v83;
	;;#ASMEND
	;;#ASMSTART
	v_cvt_f32_f16 v84, v84;
	;;#ASMEND
	;; [unrolled: 3-line block ×4, first 2 shown]
	v_dual_fmac_f32 v82, v83, v85 :: v_dual_fmac_f32 v81, v84, v86
	ds_load_b128 v[83:86], v9 offset:160
	v_and_b32_e32 v96, 0xffff, v107
	v_and_b32_e32 v97, 0xffff, v106
	s_wait_dscnt 0x0
	v_lshrrev_b32_e32 v87, 16, v83
	v_and_b32_e32 v83, 0xffff, v83
	;;#ASMSTART
	v_cvt_f32_f16 v83, v83;
	;;#ASMEND
	;;#ASMSTART
	v_cvt_f32_f16 v87, v87;
	;;#ASMEND
	;; [unrolled: 3-line block ×4, first 2 shown]
	v_fmac_f32_e32 v53, v83, v96
	v_fmac_f32_e32 v68, v87, v97
	v_lshrrev_b32_e32 v87, 16, v84
	v_and_b32_e32 v83, 0xffff, v84
	;;#ASMSTART
	v_cvt_f32_f16 v83, v83;
	;;#ASMEND
	;;#ASMSTART
	v_cvt_f32_f16 v84, v87;
	;;#ASMEND
	v_and_b32_e32 v87, 0xffff, v105
	v_and_b32_e32 v96, 0xffff, v104
	;;#ASMSTART
	v_cvt_f32_f16 v87, v87;
	;;#ASMEND
	;;#ASMSTART
	v_cvt_f32_f16 v96, v96;
	;;#ASMEND
	s_delay_alu instid0(VALU_DEP_1)
	v_dual_fmac_f32 v70, v83, v87 :: v_dual_fmac_f32 v69, v84, v96
	v_lshrrev_b32_e32 v84, 16, v85
	v_and_b32_e32 v83, 0xffff, v85
	v_and_b32_e32 v85, 0xffff, v95
	;;#ASMSTART
	v_cvt_f32_f16 v83, v83;
	;;#ASMEND
	;;#ASMSTART
	v_cvt_f32_f16 v84, v84;
	;;#ASMEND
	;; [unrolled: 3-line block ×3, first 2 shown]
	v_and_b32_e32 v87, 0xffff, v94
	;;#ASMSTART
	v_cvt_f32_f16 v87, v87;
	;;#ASMEND
	v_dual_fmac_f32 v80, v83, v85 :: v_dual_and_b32 v83, 0xffff, v86
	v_and_b32_e32 v85, 0xffff, v93
	s_delay_alu instid0(VALU_DEP_3)
	v_dual_fmac_f32 v71, v84, v87 :: v_dual_and_b32 v96, 0xffff, v92
	v_lshrrev_b32_e32 v84, 16, v86
	v_and_b32_e32 v86, 0xffff, v91
	;;#ASMSTART
	v_cvt_f32_f16 v83, v83;
	;;#ASMEND
	;;#ASMSTART
	v_cvt_f32_f16 v84, v84;
	;;#ASMEND
	;; [unrolled: 3-line block ×4, first 2 shown]
	v_dual_fmac_f32 v82, v83, v85 :: v_dual_fmac_f32 v81, v84, v86
	ds_load_b128 v[83:86], v9 offset:176
	v_and_b32_e32 v97, 0xffff, v90
	s_wait_dscnt 0x0
	v_lshrrev_b32_e32 v87, 16, v83
	v_and_b32_e32 v83, 0xffff, v83
	;;#ASMSTART
	v_cvt_f32_f16 v83, v83;
	;;#ASMEND
	;;#ASMSTART
	v_cvt_f32_f16 v87, v87;
	;;#ASMEND
	;; [unrolled: 3-line block ×4, first 2 shown]
	v_fmac_f32_e32 v53, v83, v96
	v_fmac_f32_e32 v68, v87, v97
	v_lshrrev_b32_e32 v87, 16, v84
	v_and_b32_e32 v83, 0xffff, v84
	;;#ASMSTART
	v_cvt_f32_f16 v83, v83;
	;;#ASMEND
	;;#ASMSTART
	v_cvt_f32_f16 v84, v87;
	;;#ASMEND
	v_and_b32_e32 v87, 0xffff, v88
	v_and_b32_e32 v96, 0xffff, v79
	;;#ASMSTART
	v_cvt_f32_f16 v87, v87;
	;;#ASMEND
	;;#ASMSTART
	v_cvt_f32_f16 v96, v96;
	;;#ASMEND
	s_delay_alu instid0(VALU_DEP_1)
	v_dual_fmac_f32 v70, v83, v87 :: v_dual_fmac_f32 v69, v84, v96
	v_lshrrev_b32_e32 v84, 16, v85
	v_and_b32_e32 v83, 0xffff, v85
	v_and_b32_e32 v85, 0xffff, v78
	;;#ASMSTART
	v_cvt_f32_f16 v83, v83;
	;;#ASMEND
	;;#ASMSTART
	v_cvt_f32_f16 v84, v84;
	;;#ASMEND
	;; [unrolled: 3-line block ×3, first 2 shown]
	v_and_b32_e32 v87, 0xffff, v77
	;;#ASMSTART
	v_cvt_f32_f16 v87, v87;
	;;#ASMEND
	s_delay_alu instid0(VALU_DEP_1)
	v_dual_fmac_f32 v80, v83, v85 :: v_dual_fmac_f32 v71, v84, v87
	v_lshrrev_b32_e32 v84, 16, v86
	v_and_b32_e32 v83, 0xffff, v86
	v_and_b32_e32 v85, 0xffff, v76
	;; [unrolled: 1-line block ×3, first 2 shown]
	;;#ASMSTART
	v_cvt_f32_f16 v83, v83;
	;;#ASMEND
	;;#ASMSTART
	v_cvt_f32_f16 v84, v84;
	;;#ASMEND
	;; [unrolled: 3-line block ×4, first 2 shown]
	v_dual_fmac_f32 v82, v83, v85 :: v_dual_fmac_f32 v81, v84, v86
	ds_load_b128 v[83:86], v9 offset:192
	v_and_b32_e32 v96, 0xffff, v72
	v_and_b32_e32 v97, 0xffff, v63
	s_wait_dscnt 0x0
	v_lshrrev_b32_e32 v87, 16, v83
	v_and_b32_e32 v83, 0xffff, v83
	;;#ASMSTART
	v_cvt_f32_f16 v83, v83;
	;;#ASMEND
	;;#ASMSTART
	v_cvt_f32_f16 v87, v87;
	;;#ASMEND
	;; [unrolled: 3-line block ×4, first 2 shown]
	v_fmac_f32_e32 v53, v83, v96
	v_fmac_f32_e32 v68, v87, v97
	v_lshrrev_b32_e32 v87, 16, v84
	v_and_b32_e32 v83, 0xffff, v84
	;;#ASMSTART
	v_cvt_f32_f16 v83, v83;
	;;#ASMEND
	;;#ASMSTART
	v_cvt_f32_f16 v84, v87;
	;;#ASMEND
	v_and_b32_e32 v87, 0xffff, v62
	v_and_b32_e32 v96, 0xffff, v61
	;;#ASMSTART
	v_cvt_f32_f16 v87, v87;
	;;#ASMEND
	;;#ASMSTART
	v_cvt_f32_f16 v96, v96;
	;;#ASMEND
	s_delay_alu instid0(VALU_DEP_1)
	v_dual_fmac_f32 v70, v83, v87 :: v_dual_fmac_f32 v69, v84, v96
	v_lshrrev_b32_e32 v84, 16, v85
	v_and_b32_e32 v83, 0xffff, v85
	;;#ASMSTART
	v_cvt_f32_f16 v83, v83;
	;;#ASMEND
	;;#ASMSTART
	v_cvt_f32_f16 v84, v84;
	;;#ASMEND
	v_and_b32_e32 v85, 0xffff, v60
	v_and_b32_e32 v87, 0xffff, v59
	;;#ASMSTART
	v_cvt_f32_f16 v85, v85;
	;;#ASMEND
	;;#ASMSTART
	v_cvt_f32_f16 v87, v87;
	;;#ASMEND
	s_delay_alu instid0(VALU_DEP_1)
	v_dual_fmac_f32 v80, v83, v85 :: v_dual_fmac_f32 v71, v84, v87
	v_lshrrev_b32_e32 v84, 16, v86
	v_and_b32_e32 v83, 0xffff, v86
	;;#ASMSTART
	v_cvt_f32_f16 v83, v83;
	;;#ASMEND
	;;#ASMSTART
	v_cvt_f32_f16 v84, v84;
	;;#ASMEND
	;; [unrolled: 3-line block ×4, first 2 shown]
	v_dual_fmac_f32 v82, v83, v21 :: v_dual_fmac_f32 v81, v84, v20
	ds_load_b128 v[83:86], v9 offset:208
	s_wait_dscnt 0x0
	v_and_b32_e32 v20, 0xffff, v83
	v_lshrrev_b32_e32 v21, 16, v83
	;;#ASMSTART
	v_cvt_f32_f16 v20, v20;
	;;#ASMEND
	;;#ASMSTART
	v_cvt_f32_f16 v21, v21;
	;;#ASMEND
	;; [unrolled: 3-line block ×3, first 2 shown]
	v_dual_fmac_f32 v53, v20, v67 :: v_dual_and_b32 v20, 0xffff, v84
	;;#ASMSTART
	v_cvt_f32_f16 v66, v66;
	;;#ASMEND
	v_fmac_f32_e32 v68, v21, v66
	v_lshrrev_b32_e32 v21, 16, v84
	;;#ASMSTART
	v_cvt_f32_f16 v20, v20;
	;;#ASMEND
	;;#ASMSTART
	v_cvt_f32_f16 v21, v21;
	;;#ASMEND
	;; [unrolled: 3-line block ×3, first 2 shown]
	v_fmac_f32_e32 v70, v20, v65
	v_and_b32_e32 v20, 0xffff, v85
	;;#ASMSTART
	v_cvt_f32_f16 v64, v64;
	;;#ASMEND
	v_fmac_f32_e32 v69, v21, v64
	v_lshrrev_b32_e32 v21, 16, v85
	;;#ASMSTART
	v_cvt_f32_f16 v20, v20;
	;;#ASMEND
	;;#ASMSTART
	v_cvt_f32_f16 v21, v21;
	;;#ASMEND
	;;#ASMSTART
	v_cvt_f32_f16 v55, v55;
	;;#ASMEND
	v_fmac_f32_e32 v80, v20, v55
	v_and_b32_e32 v20, 0xffff, v86
	;;#ASMSTART
	v_cvt_f32_f16 v54, v54;
	;;#ASMEND
	v_fmac_f32_e32 v71, v21, v54
	v_lshrrev_b32_e32 v21, 16, v86
	;;#ASMSTART
	v_cvt_f32_f16 v20, v20;
	;;#ASMEND
	;;#ASMSTART
	v_cvt_f32_f16 v21, v21;
	;;#ASMEND
	;; [unrolled: 3-line block ×3, first 2 shown]
	v_fmac_f32_e32 v82, v20, v29
	v_add_f32_e32 v20, v53, v68
	;;#ASMSTART
	v_cvt_f32_f16 v28, v28;
	;;#ASMEND
	s_delay_alu instid0(VALU_DEP_1) | instskip(NEXT) | instid1(VALU_DEP_1)
	v_dual_fmac_f32 v81, v21, v28 :: v_dual_add_f32 v20, v20, v70
	v_add_f32_e32 v20, v69, v20
	s_delay_alu instid0(VALU_DEP_1) | instskip(NEXT) | instid1(VALU_DEP_1)
	v_add_f32_e32 v20, v20, v80
	v_add_f32_e32 v20, v71, v20
	s_delay_alu instid0(VALU_DEP_1) | instskip(NEXT) | instid1(VALU_DEP_1)
	v_add_f32_e32 v20, v20, v82
	v_add_f32_e32 v20, v81, v20
	s_delay_alu instid0(VALU_DEP_1) | instskip(SKIP_1) | instid1(VALU_DEP_1)
	v_fmac_f32_e32 v8, v13, v20
	s_wait_alu 0xf1ff
	v_cndmask_b32_e64 v20, 0, v8, s1
	ds_store_b32 v51, v20
	v_dual_max_num_f32 v20, v48, v48 :: v_dual_add_nc_u32 v51, 0x200, v51
	s_delay_alu instid0(VALU_DEP_1) | instskip(NEXT) | instid1(VALU_DEP_1)
	v_max_num_f32_e32 v8, v20, v8
	v_cndmask_b32_e64 v48, v48, v8, s1
	v_add_co_u32 v18, s1, v18, 16
	s_wait_alu 0xf1ff
	v_add_co_ci_u32_e64 v19, null, 0, v19, s1
	v_cmp_ge_i32_e64 s1, v52, v33
	s_or_b32 s7, s1, s7
	s_wait_alu 0xfffe
	s_and_not1_b32 exec_lo, exec_lo, s7
	s_cbranch_execz .LBB303_904
.LBB303_11:                             ; =>This Inner Loop Header: Depth=1
	flat_load_b32 v8, v[18:19]
	v_mov_b32_e32 v54, 0
	s_mov_b32 s16, exec_lo
	s_wait_loadcnt_dscnt 0x0
	v_mad_co_i64_i32 v[20:21], null, v8, v22, v[16:17]
	flat_load_b64 v[28:29], v[20:21]
	flat_load_b32 v53, v[24:25]
	s_wait_loadcnt_dscnt 0x101
	v_and_b32_e32 v8, 0xff, v28
	s_delay_alu instid0(VALU_DEP_1)
	v_cmpx_ne_u16_e32 0, v8
	s_cbranch_execz .LBB303_19
; %bb.12:                               ;   in Loop: Header=BB303_11 Depth=1
	v_mov_b32_e32 v54, 0x8000
	s_mov_b32 s17, exec_lo
	v_cmpx_ne_u16_e32 0x80, v8
	s_cbranch_execz .LBB303_18
; %bb.13:                               ;   in Loop: Header=BB303_11 Depth=1
	v_and_b32_e32 v55, 0x7f, v28
	v_mov_b32_e32 v54, 0x7c01
	s_mov_b32 s18, exec_lo
	s_delay_alu instid0(VALU_DEP_2)
	v_cmpx_ne_u32_e32 0x7f, v55
	s_cbranch_execz .LBB303_17
; %bb.14:                               ;   in Loop: Header=BB303_11 Depth=1
	v_and_b32_e32 v8, 7, v28
	v_lshrrev_b32_e32 v54, 3, v55
	s_mov_b32 s19, exec_lo
	v_cmpx_gt_u32_e32 8, v55
; %bb.15:                               ;   in Loop: Header=BB303_11 Depth=1
	s_delay_alu instid0(VALU_DEP_3) | instskip(NEXT) | instid1(VALU_DEP_1)
	v_clz_i32_u32_e32 v8, v8
	v_min_u32_e32 v8, 32, v8
	s_delay_alu instid0(VALU_DEP_1) | instskip(NEXT) | instid1(VALU_DEP_1)
	v_subrev_nc_u32_e32 v54, 28, v8
	v_lshlrev_b64_e32 v[64:65], v54, v[28:29]
	v_sub_nc_u32_e32 v54, 29, v8
	s_delay_alu instid0(VALU_DEP_2)
	v_and_b32_e32 v8, 7, v64
; %bb.16:                               ;   in Loop: Header=BB303_11 Depth=1
	s_wait_alu 0xfffe
	s_or_b32 exec_lo, exec_lo, s19
	v_lshlrev_b32_e32 v55, 8, v28
	v_lshl_add_u32 v54, v54, 10, 0x2000
	v_lshlrev_b32_e32 v8, 7, v8
	s_delay_alu instid0(VALU_DEP_3) | instskip(NEXT) | instid1(VALU_DEP_3)
	v_and_b32_e32 v55, 0x8000, v55
	v_and_b32_e32 v54, 0xfc00, v54
	s_delay_alu instid0(VALU_DEP_1)
	v_or3_b32 v54, v55, v54, v8
.LBB303_17:                             ;   in Loop: Header=BB303_11 Depth=1
	s_wait_alu 0xfffe
	s_or_b32 exec_lo, exec_lo, s18
.LBB303_18:                             ;   in Loop: Header=BB303_11 Depth=1
	s_wait_alu 0xfffe
	s_or_b32 exec_lo, exec_lo, s17
.LBB303_19:                             ;   in Loop: Header=BB303_11 Depth=1
	s_wait_alu 0xfffe
	s_or_b32 exec_lo, exec_lo, s16
	v_lshrrev_b16 v8, 8, v28
	v_dual_mov_b32 v64, 0 :: v_dual_mov_b32 v55, 0
	s_mov_b32 s16, exec_lo
	s_delay_alu instid0(VALU_DEP_2)
	v_cmpx_ne_u16_e32 0, v8
	s_cbranch_execz .LBB303_27
; %bb.20:                               ;   in Loop: Header=BB303_11 Depth=1
	v_bfrev_b32_e32 v55, 1
	s_mov_b32 s17, exec_lo
	v_cmpx_ne_u16_e32 0x80, v8
	s_cbranch_execz .LBB303_26
; %bb.21:                               ;   in Loop: Header=BB303_11 Depth=1
	v_and_b32_e32 v65, 0xffff, v8
	v_mov_b32_e32 v55, 0x7c010000
	s_mov_b32 s18, exec_lo
	s_delay_alu instid0(VALU_DEP_2) | instskip(NEXT) | instid1(VALU_DEP_1)
	v_and_b32_e32 v67, 0x7f, v65
	v_cmpx_ne_u32_e32 0x7f, v67
	s_cbranch_execz .LBB303_25
; %bb.22:                               ;   in Loop: Header=BB303_11 Depth=1
	v_and_b32_e32 v55, 7, v65
	v_lshrrev_b32_e32 v66, 3, v67
	s_mov_b32 s19, exec_lo
	v_cmpx_gt_u32_e32 8, v67
; %bb.23:                               ;   in Loop: Header=BB303_11 Depth=1
	s_delay_alu instid0(VALU_DEP_3) | instskip(NEXT) | instid1(VALU_DEP_1)
	v_clz_i32_u32_e32 v55, v55
	v_min_u32_e32 v55, 32, v55
	s_delay_alu instid0(VALU_DEP_1) | instskip(NEXT) | instid1(VALU_DEP_1)
	v_subrev_nc_u32_e32 v66, 28, v55
	v_lshlrev_b64_e32 v[67:68], v66, v[8:9]
	v_sub_nc_u32_e32 v66, 29, v55
	s_delay_alu instid0(VALU_DEP_2)
	v_and_b32_e32 v55, 7, v67
; %bb.24:                               ;   in Loop: Header=BB303_11 Depth=1
	s_wait_alu 0xfffe
	s_or_b32 exec_lo, exec_lo, s19
	v_lshlrev_b32_e32 v8, 8, v65
	v_lshl_add_u32 v65, v66, 10, 0x2000
	v_lshlrev_b32_e32 v55, 23, v55
	s_delay_alu instid0(VALU_DEP_2) | instskip(NEXT) | instid1(VALU_DEP_1)
	v_and_or_b32 v8, 0x8000, v8, v65
	v_lshl_or_b32 v55, v8, 16, v55
.LBB303_25:                             ;   in Loop: Header=BB303_11 Depth=1
	s_wait_alu 0xfffe
	s_or_b32 exec_lo, exec_lo, s18
.LBB303_26:                             ;   in Loop: Header=BB303_11 Depth=1
	s_wait_alu 0xfffe
	s_or_b32 exec_lo, exec_lo, s17
.LBB303_27:                             ;   in Loop: Header=BB303_11 Depth=1
	s_wait_alu 0xfffe
	s_or_b32 exec_lo, exec_lo, s16
	v_lshrrev_b32_e32 v8, 16, v28
	s_mov_b32 s16, exec_lo
	s_delay_alu instid0(VALU_DEP_1) | instskip(NEXT) | instid1(VALU_DEP_1)
	v_and_b32_e32 v65, 0xff, v8
	v_cmpx_ne_u16_e32 0, v65
	s_cbranch_execz .LBB303_35
; %bb.28:                               ;   in Loop: Header=BB303_11 Depth=1
	v_mov_b32_e32 v64, 0x8000
	s_mov_b32 s17, exec_lo
	v_cmpx_ne_u16_e32 0x80, v65
	s_cbranch_execz .LBB303_34
; %bb.29:                               ;   in Loop: Header=BB303_11 Depth=1
	v_bfe_u32 v66, v28, 16, 7
	v_mov_b32_e32 v64, 0x7c01
	s_mov_b32 s18, exec_lo
	s_delay_alu instid0(VALU_DEP_2)
	v_cmpx_ne_u32_e32 0x7f, v66
	s_cbranch_execz .LBB303_33
; %bb.30:                               ;   in Loop: Header=BB303_11 Depth=1
	v_and_b32_e32 v64, 7, v8
	v_lshrrev_b32_e32 v65, 3, v66
	s_mov_b32 s19, exec_lo
	v_cmpx_gt_u32_e32 8, v66
; %bb.31:                               ;   in Loop: Header=BB303_11 Depth=1
	s_delay_alu instid0(VALU_DEP_3) | instskip(NEXT) | instid1(VALU_DEP_1)
	v_clz_i32_u32_e32 v64, v64
	v_min_u32_e32 v66, 32, v64
	s_delay_alu instid0(VALU_DEP_1) | instskip(NEXT) | instid1(VALU_DEP_1)
	v_subrev_nc_u32_e32 v64, 28, v66
	v_lshlrev_b64_e32 v[64:65], v64, v[8:9]
	v_sub_nc_u32_e32 v65, 29, v66
	s_delay_alu instid0(VALU_DEP_2)
	v_and_b32_e32 v64, 7, v64
; %bb.32:                               ;   in Loop: Header=BB303_11 Depth=1
	s_wait_alu 0xfffe
	s_or_b32 exec_lo, exec_lo, s19
	v_lshlrev_b32_e32 v8, 8, v8
	v_lshl_add_u32 v65, v65, 10, 0x2000
	v_lshlrev_b32_e32 v64, 7, v64
	s_delay_alu instid0(VALU_DEP_3) | instskip(NEXT) | instid1(VALU_DEP_3)
	v_and_b32_e32 v8, 0x8000, v8
	v_and_b32_e32 v65, 0xfc00, v65
	s_delay_alu instid0(VALU_DEP_1)
	v_or3_b32 v64, v8, v65, v64
.LBB303_33:                             ;   in Loop: Header=BB303_11 Depth=1
	s_wait_alu 0xfffe
	s_or_b32 exec_lo, exec_lo, s18
.LBB303_34:                             ;   in Loop: Header=BB303_11 Depth=1
	s_wait_alu 0xfffe
	s_or_b32 exec_lo, exec_lo, s17
.LBB303_35:                             ;   in Loop: Header=BB303_11 Depth=1
	s_wait_alu 0xfffe
	s_or_b32 exec_lo, exec_lo, s16
	v_dual_mov_b32 v65, 0 :: v_dual_mov_b32 v66, 0
	s_mov_b32 s16, exec_lo
	v_cmpx_lt_u32_e32 0xffffff, v28
	s_cbranch_execz .LBB303_43
; %bb.36:                               ;   in Loop: Header=BB303_11 Depth=1
	v_lshrrev_b32_e32 v8, 24, v28
	v_bfrev_b32_e32 v66, 1
	s_mov_b32 s17, exec_lo
	s_delay_alu instid0(VALU_DEP_2)
	v_cmpx_ne_u32_e32 0x80, v8
	s_cbranch_execz .LBB303_42
; %bb.37:                               ;   in Loop: Header=BB303_11 Depth=1
	v_and_b32_e32 v68, 0x7f, v8
	v_mov_b32_e32 v66, 0x7c010000
	s_mov_b32 s18, exec_lo
	s_delay_alu instid0(VALU_DEP_2)
	v_cmpx_ne_u32_e32 0x7f, v68
	s_cbranch_execz .LBB303_41
; %bb.38:                               ;   in Loop: Header=BB303_11 Depth=1
	v_and_b32_e32 v66, 7, v8
	v_lshrrev_b32_e32 v67, 3, v68
	s_mov_b32 s19, exec_lo
	v_cmpx_gt_u32_e32 8, v68
; %bb.39:                               ;   in Loop: Header=BB303_11 Depth=1
	s_delay_alu instid0(VALU_DEP_3) | instskip(NEXT) | instid1(VALU_DEP_1)
	v_clz_i32_u32_e32 v66, v66
	v_min_u32_e32 v68, 32, v66
	s_delay_alu instid0(VALU_DEP_1) | instskip(NEXT) | instid1(VALU_DEP_1)
	v_subrev_nc_u32_e32 v66, 28, v68
	v_lshlrev_b64_e32 v[66:67], v66, v[8:9]
	v_sub_nc_u32_e32 v67, 29, v68
	s_delay_alu instid0(VALU_DEP_2)
	v_and_b32_e32 v66, 7, v66
; %bb.40:                               ;   in Loop: Header=BB303_11 Depth=1
	s_wait_alu 0xfffe
	s_or_b32 exec_lo, exec_lo, s19
	v_lshlrev_b32_e32 v8, 8, v8
	v_lshl_add_u32 v67, v67, 10, 0x2000
	v_lshlrev_b32_e32 v66, 23, v66
	s_delay_alu instid0(VALU_DEP_2) | instskip(NEXT) | instid1(VALU_DEP_1)
	v_and_or_b32 v8, 0x8000, v8, v67
	v_lshl_or_b32 v66, v8, 16, v66
.LBB303_41:                             ;   in Loop: Header=BB303_11 Depth=1
	s_wait_alu 0xfffe
	s_or_b32 exec_lo, exec_lo, s18
.LBB303_42:                             ;   in Loop: Header=BB303_11 Depth=1
	s_wait_alu 0xfffe
	s_or_b32 exec_lo, exec_lo, s17
.LBB303_43:                             ;   in Loop: Header=BB303_11 Depth=1
	s_wait_alu 0xfffe
	s_or_b32 exec_lo, exec_lo, s16
	v_dual_mov_b32 v8, v29 :: v_dual_and_b32 v67, 0xff, v29
	s_mov_b32 s16, exec_lo
	s_delay_alu instid0(VALU_DEP_1)
	v_cmpx_ne_u16_e32 0, v67
	s_cbranch_execz .LBB303_51
; %bb.44:                               ;   in Loop: Header=BB303_11 Depth=1
	v_mov_b32_e32 v65, 0x8000
	s_mov_b32 s17, exec_lo
	v_cmpx_ne_u16_e32 0x80, v67
	s_cbranch_execz .LBB303_50
; %bb.45:                               ;   in Loop: Header=BB303_11 Depth=1
	v_and_b32_e32 v68, 0x7f, v29
	v_mov_b32_e32 v65, 0x7c01
	s_mov_b32 s18, exec_lo
	s_delay_alu instid0(VALU_DEP_2)
	v_cmpx_ne_u32_e32 0x7f, v68
	s_cbranch_execz .LBB303_49
; %bb.46:                               ;   in Loop: Header=BB303_11 Depth=1
	v_and_b32_e32 v65, 7, v29
	v_lshrrev_b32_e32 v67, 3, v68
	s_mov_b32 s19, exec_lo
	v_cmpx_gt_u32_e32 8, v68
; %bb.47:                               ;   in Loop: Header=BB303_11 Depth=1
	s_delay_alu instid0(VALU_DEP_3) | instskip(NEXT) | instid1(VALU_DEP_1)
	v_clz_i32_u32_e32 v65, v65
	v_min_u32_e32 v65, 32, v65
	s_delay_alu instid0(VALU_DEP_1) | instskip(NEXT) | instid1(VALU_DEP_1)
	v_subrev_nc_u32_e32 v67, 28, v65
	v_lshlrev_b64_e32 v[68:69], v67, v[8:9]
	v_sub_nc_u32_e32 v67, 29, v65
	s_delay_alu instid0(VALU_DEP_2)
	v_and_b32_e32 v65, 7, v68
; %bb.48:                               ;   in Loop: Header=BB303_11 Depth=1
	s_wait_alu 0xfffe
	s_or_b32 exec_lo, exec_lo, s19
	v_lshlrev_b32_e32 v68, 8, v29
	v_lshl_add_u32 v67, v67, 10, 0x2000
	v_lshlrev_b32_e32 v65, 7, v65
	s_delay_alu instid0(VALU_DEP_3) | instskip(NEXT) | instid1(VALU_DEP_3)
	v_and_b32_e32 v68, 0x8000, v68
	v_and_b32_e32 v67, 0xfc00, v67
	s_delay_alu instid0(VALU_DEP_1)
	v_or3_b32 v65, v68, v67, v65
.LBB303_49:                             ;   in Loop: Header=BB303_11 Depth=1
	s_wait_alu 0xfffe
	s_or_b32 exec_lo, exec_lo, s18
.LBB303_50:                             ;   in Loop: Header=BB303_11 Depth=1
	s_wait_alu 0xfffe
	s_or_b32 exec_lo, exec_lo, s17
.LBB303_51:                             ;   in Loop: Header=BB303_11 Depth=1
	s_wait_alu 0xfffe
	s_or_b32 exec_lo, exec_lo, s16
	v_lshrrev_b16 v8, 8, v8
	v_dual_mov_b32 v67, 0 :: v_dual_mov_b32 v68, 0
	s_mov_b32 s16, exec_lo
	s_delay_alu instid0(VALU_DEP_2)
	v_cmpx_ne_u16_e32 0, v8
	s_cbranch_execz .LBB303_59
; %bb.52:                               ;   in Loop: Header=BB303_11 Depth=1
	v_bfrev_b32_e32 v68, 1
	s_mov_b32 s17, exec_lo
	v_cmpx_ne_u16_e32 0x80, v8
	s_cbranch_execz .LBB303_58
; %bb.53:                               ;   in Loop: Header=BB303_11 Depth=1
	v_and_b32_e32 v69, 0xffff, v8
	v_mov_b32_e32 v68, 0x7c010000
	s_mov_b32 s18, exec_lo
	s_delay_alu instid0(VALU_DEP_2) | instskip(NEXT) | instid1(VALU_DEP_1)
	v_and_b32_e32 v71, 0x7f, v69
	v_cmpx_ne_u32_e32 0x7f, v71
	s_cbranch_execz .LBB303_57
; %bb.54:                               ;   in Loop: Header=BB303_11 Depth=1
	v_and_b32_e32 v68, 7, v69
	v_lshrrev_b32_e32 v70, 3, v71
	s_mov_b32 s19, exec_lo
	v_cmpx_gt_u32_e32 8, v71
; %bb.55:                               ;   in Loop: Header=BB303_11 Depth=1
	s_delay_alu instid0(VALU_DEP_3) | instskip(NEXT) | instid1(VALU_DEP_1)
	v_clz_i32_u32_e32 v68, v68
	v_min_u32_e32 v68, 32, v68
	s_delay_alu instid0(VALU_DEP_1) | instskip(NEXT) | instid1(VALU_DEP_1)
	v_subrev_nc_u32_e32 v70, 28, v68
	v_lshlrev_b64_e32 v[80:81], v70, v[8:9]
	v_sub_nc_u32_e32 v70, 29, v68
	s_delay_alu instid0(VALU_DEP_2)
	v_and_b32_e32 v68, 7, v80
; %bb.56:                               ;   in Loop: Header=BB303_11 Depth=1
	s_wait_alu 0xfffe
	s_or_b32 exec_lo, exec_lo, s19
	v_lshlrev_b32_e32 v8, 8, v69
	v_lshl_add_u32 v69, v70, 10, 0x2000
	v_lshlrev_b32_e32 v68, 23, v68
	s_delay_alu instid0(VALU_DEP_2) | instskip(NEXT) | instid1(VALU_DEP_1)
	v_and_or_b32 v8, 0x8000, v8, v69
	v_lshl_or_b32 v68, v8, 16, v68
.LBB303_57:                             ;   in Loop: Header=BB303_11 Depth=1
	s_wait_alu 0xfffe
	s_or_b32 exec_lo, exec_lo, s18
.LBB303_58:                             ;   in Loop: Header=BB303_11 Depth=1
	s_wait_alu 0xfffe
	s_or_b32 exec_lo, exec_lo, s17
.LBB303_59:                             ;   in Loop: Header=BB303_11 Depth=1
	s_wait_alu 0xfffe
	s_or_b32 exec_lo, exec_lo, s16
	v_lshrrev_b32_e32 v8, 16, v29
	s_mov_b32 s16, exec_lo
	s_delay_alu instid0(VALU_DEP_1) | instskip(NEXT) | instid1(VALU_DEP_1)
	v_and_b32_e32 v69, 0xff, v8
	v_cmpx_ne_u16_e32 0, v69
	s_cbranch_execz .LBB303_67
; %bb.60:                               ;   in Loop: Header=BB303_11 Depth=1
	v_mov_b32_e32 v67, 0x8000
	s_mov_b32 s17, exec_lo
	v_cmpx_ne_u16_e32 0x80, v69
	s_cbranch_execz .LBB303_66
; %bb.61:                               ;   in Loop: Header=BB303_11 Depth=1
	v_bfe_u32 v70, v29, 16, 7
	v_mov_b32_e32 v67, 0x7c01
	s_mov_b32 s18, exec_lo
	s_delay_alu instid0(VALU_DEP_2)
	v_cmpx_ne_u32_e32 0x7f, v70
	s_cbranch_execz .LBB303_65
; %bb.62:                               ;   in Loop: Header=BB303_11 Depth=1
	v_and_b32_e32 v67, 7, v8
	v_lshrrev_b32_e32 v69, 3, v70
	s_mov_b32 s19, exec_lo
	v_cmpx_gt_u32_e32 8, v70
; %bb.63:                               ;   in Loop: Header=BB303_11 Depth=1
	s_delay_alu instid0(VALU_DEP_3) | instskip(NEXT) | instid1(VALU_DEP_1)
	v_clz_i32_u32_e32 v67, v67
	v_min_u32_e32 v67, 32, v67
	s_delay_alu instid0(VALU_DEP_1) | instskip(NEXT) | instid1(VALU_DEP_1)
	v_subrev_nc_u32_e32 v69, 28, v67
	v_lshlrev_b64_e32 v[70:71], v69, v[8:9]
	v_sub_nc_u32_e32 v69, 29, v67
	s_delay_alu instid0(VALU_DEP_2)
	v_and_b32_e32 v67, 7, v70
; %bb.64:                               ;   in Loop: Header=BB303_11 Depth=1
	s_wait_alu 0xfffe
	s_or_b32 exec_lo, exec_lo, s19
	v_lshlrev_b32_e32 v8, 8, v8
	v_lshl_add_u32 v69, v69, 10, 0x2000
	v_lshlrev_b32_e32 v67, 7, v67
	s_delay_alu instid0(VALU_DEP_3) | instskip(NEXT) | instid1(VALU_DEP_3)
	v_and_b32_e32 v8, 0x8000, v8
	v_and_b32_e32 v69, 0xfc00, v69
	s_delay_alu instid0(VALU_DEP_1)
	v_or3_b32 v67, v8, v69, v67
.LBB303_65:                             ;   in Loop: Header=BB303_11 Depth=1
	s_wait_alu 0xfffe
	s_or_b32 exec_lo, exec_lo, s18
.LBB303_66:                             ;   in Loop: Header=BB303_11 Depth=1
	s_wait_alu 0xfffe
	s_or_b32 exec_lo, exec_lo, s17
.LBB303_67:                             ;   in Loop: Header=BB303_11 Depth=1
	s_wait_alu 0xfffe
	s_or_b32 exec_lo, exec_lo, s16
	v_dual_mov_b32 v70, 0 :: v_dual_mov_b32 v69, 0
	s_mov_b32 s16, exec_lo
	v_cmpx_lt_u64_e64 s[2:3], v[28:29]
	s_cbranch_execz .LBB303_75
; %bb.68:                               ;   in Loop: Header=BB303_11 Depth=1
	v_lshrrev_b32_e32 v8, 24, v29
	v_bfrev_b32_e32 v69, 1
	s_mov_b32 s17, exec_lo
	s_delay_alu instid0(VALU_DEP_2)
	v_cmpx_ne_u32_e32 0x80, v8
	s_cbranch_execz .LBB303_74
; %bb.69:                               ;   in Loop: Header=BB303_11 Depth=1
	v_and_b32_e32 v71, 0x7f, v8
	v_mov_b32_e32 v69, 0x7c010000
	s_mov_b32 s18, exec_lo
	s_delay_alu instid0(VALU_DEP_2)
	v_cmpx_ne_u32_e32 0x7f, v71
	s_cbranch_execz .LBB303_73
; %bb.70:                               ;   in Loop: Header=BB303_11 Depth=1
	v_and_b32_e32 v28, 7, v8
	v_lshrrev_b32_e32 v29, 3, v71
	s_mov_b32 s19, exec_lo
	v_cmpx_gt_u32_e32 8, v71
; %bb.71:                               ;   in Loop: Header=BB303_11 Depth=1
	s_delay_alu instid0(VALU_DEP_3) | instskip(NEXT) | instid1(VALU_DEP_1)
	v_clz_i32_u32_e32 v28, v28
	v_min_u32_e32 v69, 32, v28
	s_delay_alu instid0(VALU_DEP_1) | instskip(NEXT) | instid1(VALU_DEP_1)
	v_subrev_nc_u32_e32 v28, 28, v69
	v_lshlrev_b64_e32 v[28:29], v28, v[8:9]
	v_sub_nc_u32_e32 v29, 29, v69
	s_delay_alu instid0(VALU_DEP_2)
	v_and_b32_e32 v28, 7, v28
; %bb.72:                               ;   in Loop: Header=BB303_11 Depth=1
	s_wait_alu 0xfffe
	s_or_b32 exec_lo, exec_lo, s19
	v_lshlrev_b32_e32 v8, 8, v8
	v_lshl_add_u32 v29, v29, 10, 0x2000
	v_lshlrev_b32_e32 v28, 23, v28
	s_delay_alu instid0(VALU_DEP_2) | instskip(NEXT) | instid1(VALU_DEP_1)
	v_and_or_b32 v8, 0x8000, v8, v29
	v_lshl_or_b32 v69, v8, 16, v28
.LBB303_73:                             ;   in Loop: Header=BB303_11 Depth=1
	s_wait_alu 0xfffe
	s_or_b32 exec_lo, exec_lo, s18
.LBB303_74:                             ;   in Loop: Header=BB303_11 Depth=1
	s_wait_alu 0xfffe
	s_or_b32 exec_lo, exec_lo, s17
.LBB303_75:                             ;   in Loop: Header=BB303_11 Depth=1
	s_wait_alu 0xfffe
	s_or_b32 exec_lo, exec_lo, s16
	flat_load_b64 v[28:29], v[20:21] offset:8
	s_mov_b32 s16, exec_lo
	s_wait_loadcnt_dscnt 0x0
	v_and_b32_e32 v8, 0xff, v28
	s_delay_alu instid0(VALU_DEP_1)
	v_cmpx_ne_u16_e32 0, v8
	s_cbranch_execz .LBB303_83
; %bb.76:                               ;   in Loop: Header=BB303_11 Depth=1
	v_mov_b32_e32 v70, 0x8000
	s_mov_b32 s17, exec_lo
	v_cmpx_ne_u16_e32 0x80, v8
	s_cbranch_execz .LBB303_82
; %bb.77:                               ;   in Loop: Header=BB303_11 Depth=1
	v_and_b32_e32 v71, 0x7f, v28
	v_mov_b32_e32 v70, 0x7c01
	s_mov_b32 s18, exec_lo
	s_delay_alu instid0(VALU_DEP_2)
	v_cmpx_ne_u32_e32 0x7f, v71
	s_cbranch_execz .LBB303_81
; %bb.78:                               ;   in Loop: Header=BB303_11 Depth=1
	v_and_b32_e32 v8, 7, v28
	v_lshrrev_b32_e32 v70, 3, v71
	s_mov_b32 s19, exec_lo
	v_cmpx_gt_u32_e32 8, v71
; %bb.79:                               ;   in Loop: Header=BB303_11 Depth=1
	s_delay_alu instid0(VALU_DEP_3) | instskip(NEXT) | instid1(VALU_DEP_1)
	v_clz_i32_u32_e32 v8, v8
	v_min_u32_e32 v8, 32, v8
	s_delay_alu instid0(VALU_DEP_1) | instskip(NEXT) | instid1(VALU_DEP_1)
	v_subrev_nc_u32_e32 v70, 28, v8
	v_lshlrev_b64_e32 v[80:81], v70, v[28:29]
	v_sub_nc_u32_e32 v70, 29, v8
	s_delay_alu instid0(VALU_DEP_2)
	v_and_b32_e32 v8, 7, v80
; %bb.80:                               ;   in Loop: Header=BB303_11 Depth=1
	s_wait_alu 0xfffe
	s_or_b32 exec_lo, exec_lo, s19
	v_lshlrev_b32_e32 v71, 8, v28
	v_lshl_add_u32 v70, v70, 10, 0x2000
	v_lshlrev_b32_e32 v8, 7, v8
	s_delay_alu instid0(VALU_DEP_3) | instskip(NEXT) | instid1(VALU_DEP_3)
	v_and_b32_e32 v71, 0x8000, v71
	v_and_b32_e32 v70, 0xfc00, v70
	s_delay_alu instid0(VALU_DEP_1)
	v_or3_b32 v70, v71, v70, v8
.LBB303_81:                             ;   in Loop: Header=BB303_11 Depth=1
	s_wait_alu 0xfffe
	s_or_b32 exec_lo, exec_lo, s18
.LBB303_82:                             ;   in Loop: Header=BB303_11 Depth=1
	s_wait_alu 0xfffe
	s_or_b32 exec_lo, exec_lo, s17
.LBB303_83:                             ;   in Loop: Header=BB303_11 Depth=1
	s_wait_alu 0xfffe
	s_or_b32 exec_lo, exec_lo, s16
	v_lshrrev_b16 v8, 8, v28
	v_dual_mov_b32 v80, 0 :: v_dual_mov_b32 v71, 0
	s_mov_b32 s16, exec_lo
	s_delay_alu instid0(VALU_DEP_2)
	v_cmpx_ne_u16_e32 0, v8
	s_cbranch_execz .LBB303_91
; %bb.84:                               ;   in Loop: Header=BB303_11 Depth=1
	v_bfrev_b32_e32 v71, 1
	s_mov_b32 s17, exec_lo
	v_cmpx_ne_u16_e32 0x80, v8
	s_cbranch_execz .LBB303_90
; %bb.85:                               ;   in Loop: Header=BB303_11 Depth=1
	v_and_b32_e32 v81, 0xffff, v8
	v_mov_b32_e32 v71, 0x7c010000
	s_mov_b32 s18, exec_lo
	s_delay_alu instid0(VALU_DEP_2) | instskip(NEXT) | instid1(VALU_DEP_1)
	v_and_b32_e32 v83, 0x7f, v81
	v_cmpx_ne_u32_e32 0x7f, v83
	s_cbranch_execz .LBB303_89
; %bb.86:                               ;   in Loop: Header=BB303_11 Depth=1
	v_and_b32_e32 v71, 7, v81
	v_lshrrev_b32_e32 v82, 3, v83
	s_mov_b32 s19, exec_lo
	v_cmpx_gt_u32_e32 8, v83
; %bb.87:                               ;   in Loop: Header=BB303_11 Depth=1
	s_delay_alu instid0(VALU_DEP_3) | instskip(NEXT) | instid1(VALU_DEP_1)
	v_clz_i32_u32_e32 v71, v71
	v_min_u32_e32 v71, 32, v71
	s_delay_alu instid0(VALU_DEP_1) | instskip(NEXT) | instid1(VALU_DEP_1)
	v_subrev_nc_u32_e32 v82, 28, v71
	v_lshlrev_b64_e32 v[83:84], v82, v[8:9]
	v_sub_nc_u32_e32 v82, 29, v71
	s_delay_alu instid0(VALU_DEP_2)
	v_and_b32_e32 v71, 7, v83
; %bb.88:                               ;   in Loop: Header=BB303_11 Depth=1
	s_wait_alu 0xfffe
	s_or_b32 exec_lo, exec_lo, s19
	v_lshlrev_b32_e32 v8, 8, v81
	v_lshl_add_u32 v81, v82, 10, 0x2000
	v_lshlrev_b32_e32 v71, 23, v71
	s_delay_alu instid0(VALU_DEP_2) | instskip(NEXT) | instid1(VALU_DEP_1)
	v_and_or_b32 v8, 0x8000, v8, v81
	v_lshl_or_b32 v71, v8, 16, v71
.LBB303_89:                             ;   in Loop: Header=BB303_11 Depth=1
	s_wait_alu 0xfffe
	s_or_b32 exec_lo, exec_lo, s18
.LBB303_90:                             ;   in Loop: Header=BB303_11 Depth=1
	s_wait_alu 0xfffe
	s_or_b32 exec_lo, exec_lo, s17
.LBB303_91:                             ;   in Loop: Header=BB303_11 Depth=1
	s_wait_alu 0xfffe
	s_or_b32 exec_lo, exec_lo, s16
	v_lshrrev_b32_e32 v8, 16, v28
	s_mov_b32 s16, exec_lo
	s_delay_alu instid0(VALU_DEP_1) | instskip(NEXT) | instid1(VALU_DEP_1)
	v_and_b32_e32 v81, 0xff, v8
	v_cmpx_ne_u16_e32 0, v81
	s_cbranch_execz .LBB303_99
; %bb.92:                               ;   in Loop: Header=BB303_11 Depth=1
	v_mov_b32_e32 v80, 0x8000
	s_mov_b32 s17, exec_lo
	v_cmpx_ne_u16_e32 0x80, v81
	s_cbranch_execz .LBB303_98
; %bb.93:                               ;   in Loop: Header=BB303_11 Depth=1
	v_bfe_u32 v82, v28, 16, 7
	v_mov_b32_e32 v80, 0x7c01
	s_mov_b32 s18, exec_lo
	s_delay_alu instid0(VALU_DEP_2)
	v_cmpx_ne_u32_e32 0x7f, v82
	s_cbranch_execz .LBB303_97
; %bb.94:                               ;   in Loop: Header=BB303_11 Depth=1
	v_and_b32_e32 v80, 7, v8
	v_lshrrev_b32_e32 v81, 3, v82
	s_mov_b32 s19, exec_lo
	v_cmpx_gt_u32_e32 8, v82
; %bb.95:                               ;   in Loop: Header=BB303_11 Depth=1
	s_delay_alu instid0(VALU_DEP_3) | instskip(NEXT) | instid1(VALU_DEP_1)
	v_clz_i32_u32_e32 v80, v80
	v_min_u32_e32 v82, 32, v80
	s_delay_alu instid0(VALU_DEP_1) | instskip(NEXT) | instid1(VALU_DEP_1)
	v_subrev_nc_u32_e32 v80, 28, v82
	v_lshlrev_b64_e32 v[80:81], v80, v[8:9]
	v_sub_nc_u32_e32 v81, 29, v82
	s_delay_alu instid0(VALU_DEP_2)
	v_and_b32_e32 v80, 7, v80
; %bb.96:                               ;   in Loop: Header=BB303_11 Depth=1
	s_wait_alu 0xfffe
	s_or_b32 exec_lo, exec_lo, s19
	v_lshlrev_b32_e32 v8, 8, v8
	v_lshl_add_u32 v81, v81, 10, 0x2000
	v_lshlrev_b32_e32 v80, 7, v80
	s_delay_alu instid0(VALU_DEP_3) | instskip(NEXT) | instid1(VALU_DEP_3)
	v_and_b32_e32 v8, 0x8000, v8
	v_and_b32_e32 v81, 0xfc00, v81
	s_delay_alu instid0(VALU_DEP_1)
	v_or3_b32 v80, v8, v81, v80
.LBB303_97:                             ;   in Loop: Header=BB303_11 Depth=1
	s_wait_alu 0xfffe
	s_or_b32 exec_lo, exec_lo, s18
.LBB303_98:                             ;   in Loop: Header=BB303_11 Depth=1
	s_wait_alu 0xfffe
	s_or_b32 exec_lo, exec_lo, s17
.LBB303_99:                             ;   in Loop: Header=BB303_11 Depth=1
	s_wait_alu 0xfffe
	s_or_b32 exec_lo, exec_lo, s16
	v_dual_mov_b32 v81, 0 :: v_dual_mov_b32 v82, 0
	s_mov_b32 s16, exec_lo
	v_cmpx_lt_u32_e32 0xffffff, v28
	s_cbranch_execz .LBB303_107
; %bb.100:                              ;   in Loop: Header=BB303_11 Depth=1
	v_lshrrev_b32_e32 v8, 24, v28
	v_bfrev_b32_e32 v82, 1
	s_mov_b32 s17, exec_lo
	s_delay_alu instid0(VALU_DEP_2)
	v_cmpx_ne_u32_e32 0x80, v8
	s_cbranch_execz .LBB303_106
; %bb.101:                              ;   in Loop: Header=BB303_11 Depth=1
	v_and_b32_e32 v84, 0x7f, v8
	v_mov_b32_e32 v82, 0x7c010000
	s_mov_b32 s18, exec_lo
	s_delay_alu instid0(VALU_DEP_2)
	v_cmpx_ne_u32_e32 0x7f, v84
	s_cbranch_execz .LBB303_105
; %bb.102:                              ;   in Loop: Header=BB303_11 Depth=1
	v_and_b32_e32 v82, 7, v8
	v_lshrrev_b32_e32 v83, 3, v84
	s_mov_b32 s19, exec_lo
	v_cmpx_gt_u32_e32 8, v84
; %bb.103:                              ;   in Loop: Header=BB303_11 Depth=1
	s_delay_alu instid0(VALU_DEP_3) | instskip(NEXT) | instid1(VALU_DEP_1)
	v_clz_i32_u32_e32 v82, v82
	v_min_u32_e32 v84, 32, v82
	s_delay_alu instid0(VALU_DEP_1) | instskip(NEXT) | instid1(VALU_DEP_1)
	v_subrev_nc_u32_e32 v82, 28, v84
	v_lshlrev_b64_e32 v[82:83], v82, v[8:9]
	v_sub_nc_u32_e32 v83, 29, v84
	s_delay_alu instid0(VALU_DEP_2)
	v_and_b32_e32 v82, 7, v82
; %bb.104:                              ;   in Loop: Header=BB303_11 Depth=1
	s_wait_alu 0xfffe
	s_or_b32 exec_lo, exec_lo, s19
	v_lshlrev_b32_e32 v8, 8, v8
	v_lshl_add_u32 v83, v83, 10, 0x2000
	v_lshlrev_b32_e32 v82, 23, v82
	s_delay_alu instid0(VALU_DEP_2) | instskip(NEXT) | instid1(VALU_DEP_1)
	v_and_or_b32 v8, 0x8000, v8, v83
	v_lshl_or_b32 v82, v8, 16, v82
.LBB303_105:                            ;   in Loop: Header=BB303_11 Depth=1
	s_wait_alu 0xfffe
	s_or_b32 exec_lo, exec_lo, s18
.LBB303_106:                            ;   in Loop: Header=BB303_11 Depth=1
	s_wait_alu 0xfffe
	s_or_b32 exec_lo, exec_lo, s17
.LBB303_107:                            ;   in Loop: Header=BB303_11 Depth=1
	s_wait_alu 0xfffe
	s_or_b32 exec_lo, exec_lo, s16
	v_dual_mov_b32 v8, v29 :: v_dual_and_b32 v83, 0xff, v29
	s_mov_b32 s16, exec_lo
	s_delay_alu instid0(VALU_DEP_1)
	v_cmpx_ne_u16_e32 0, v83
	s_cbranch_execz .LBB303_115
; %bb.108:                              ;   in Loop: Header=BB303_11 Depth=1
	v_mov_b32_e32 v81, 0x8000
	s_mov_b32 s17, exec_lo
	v_cmpx_ne_u16_e32 0x80, v83
	s_cbranch_execz .LBB303_114
; %bb.109:                              ;   in Loop: Header=BB303_11 Depth=1
	v_and_b32_e32 v84, 0x7f, v29
	v_mov_b32_e32 v81, 0x7c01
	s_mov_b32 s18, exec_lo
	s_delay_alu instid0(VALU_DEP_2)
	v_cmpx_ne_u32_e32 0x7f, v84
	s_cbranch_execz .LBB303_113
; %bb.110:                              ;   in Loop: Header=BB303_11 Depth=1
	v_and_b32_e32 v81, 7, v29
	v_lshrrev_b32_e32 v83, 3, v84
	s_mov_b32 s19, exec_lo
	v_cmpx_gt_u32_e32 8, v84
; %bb.111:                              ;   in Loop: Header=BB303_11 Depth=1
	s_delay_alu instid0(VALU_DEP_3) | instskip(NEXT) | instid1(VALU_DEP_1)
	v_clz_i32_u32_e32 v81, v81
	v_min_u32_e32 v81, 32, v81
	s_delay_alu instid0(VALU_DEP_1) | instskip(NEXT) | instid1(VALU_DEP_1)
	v_subrev_nc_u32_e32 v83, 28, v81
	v_lshlrev_b64_e32 v[84:85], v83, v[8:9]
	v_sub_nc_u32_e32 v83, 29, v81
	s_delay_alu instid0(VALU_DEP_2)
	v_and_b32_e32 v81, 7, v84
; %bb.112:                              ;   in Loop: Header=BB303_11 Depth=1
	s_wait_alu 0xfffe
	s_or_b32 exec_lo, exec_lo, s19
	v_lshlrev_b32_e32 v84, 8, v29
	v_lshl_add_u32 v83, v83, 10, 0x2000
	v_lshlrev_b32_e32 v81, 7, v81
	s_delay_alu instid0(VALU_DEP_3) | instskip(NEXT) | instid1(VALU_DEP_3)
	v_and_b32_e32 v84, 0x8000, v84
	v_and_b32_e32 v83, 0xfc00, v83
	s_delay_alu instid0(VALU_DEP_1)
	v_or3_b32 v81, v84, v83, v81
.LBB303_113:                            ;   in Loop: Header=BB303_11 Depth=1
	s_wait_alu 0xfffe
	s_or_b32 exec_lo, exec_lo, s18
.LBB303_114:                            ;   in Loop: Header=BB303_11 Depth=1
	s_wait_alu 0xfffe
	s_or_b32 exec_lo, exec_lo, s17
.LBB303_115:                            ;   in Loop: Header=BB303_11 Depth=1
	s_wait_alu 0xfffe
	s_or_b32 exec_lo, exec_lo, s16
	v_lshrrev_b16 v8, 8, v8
	v_dual_mov_b32 v83, 0 :: v_dual_mov_b32 v84, 0
	s_mov_b32 s16, exec_lo
	s_delay_alu instid0(VALU_DEP_2)
	v_cmpx_ne_u16_e32 0, v8
	s_cbranch_execz .LBB303_123
; %bb.116:                              ;   in Loop: Header=BB303_11 Depth=1
	v_bfrev_b32_e32 v84, 1
	s_mov_b32 s17, exec_lo
	v_cmpx_ne_u16_e32 0x80, v8
	s_cbranch_execz .LBB303_122
; %bb.117:                              ;   in Loop: Header=BB303_11 Depth=1
	v_and_b32_e32 v85, 0xffff, v8
	v_mov_b32_e32 v84, 0x7c010000
	s_mov_b32 s18, exec_lo
	s_delay_alu instid0(VALU_DEP_2) | instskip(NEXT) | instid1(VALU_DEP_1)
	v_and_b32_e32 v87, 0x7f, v85
	v_cmpx_ne_u32_e32 0x7f, v87
	s_cbranch_execz .LBB303_121
; %bb.118:                              ;   in Loop: Header=BB303_11 Depth=1
	v_and_b32_e32 v84, 7, v85
	v_lshrrev_b32_e32 v86, 3, v87
	s_mov_b32 s19, exec_lo
	v_cmpx_gt_u32_e32 8, v87
; %bb.119:                              ;   in Loop: Header=BB303_11 Depth=1
	s_delay_alu instid0(VALU_DEP_3) | instskip(NEXT) | instid1(VALU_DEP_1)
	v_clz_i32_u32_e32 v84, v84
	v_min_u32_e32 v84, 32, v84
	s_delay_alu instid0(VALU_DEP_1) | instskip(NEXT) | instid1(VALU_DEP_1)
	v_subrev_nc_u32_e32 v86, 28, v84
	v_lshlrev_b64_e32 v[96:97], v86, v[8:9]
	v_sub_nc_u32_e32 v86, 29, v84
	s_delay_alu instid0(VALU_DEP_2)
	v_and_b32_e32 v84, 7, v96
; %bb.120:                              ;   in Loop: Header=BB303_11 Depth=1
	s_wait_alu 0xfffe
	s_or_b32 exec_lo, exec_lo, s19
	v_lshlrev_b32_e32 v8, 8, v85
	v_lshl_add_u32 v85, v86, 10, 0x2000
	v_lshlrev_b32_e32 v84, 23, v84
	s_delay_alu instid0(VALU_DEP_2) | instskip(NEXT) | instid1(VALU_DEP_1)
	v_and_or_b32 v8, 0x8000, v8, v85
	v_lshl_or_b32 v84, v8, 16, v84
.LBB303_121:                            ;   in Loop: Header=BB303_11 Depth=1
	s_wait_alu 0xfffe
	s_or_b32 exec_lo, exec_lo, s18
.LBB303_122:                            ;   in Loop: Header=BB303_11 Depth=1
	s_wait_alu 0xfffe
	s_or_b32 exec_lo, exec_lo, s17
.LBB303_123:                            ;   in Loop: Header=BB303_11 Depth=1
	s_wait_alu 0xfffe
	s_or_b32 exec_lo, exec_lo, s16
	v_lshrrev_b32_e32 v8, 16, v29
	s_mov_b32 s16, exec_lo
	s_delay_alu instid0(VALU_DEP_1) | instskip(NEXT) | instid1(VALU_DEP_1)
	v_and_b32_e32 v85, 0xff, v8
	v_cmpx_ne_u16_e32 0, v85
	s_cbranch_execz .LBB303_131
; %bb.124:                              ;   in Loop: Header=BB303_11 Depth=1
	v_mov_b32_e32 v83, 0x8000
	s_mov_b32 s17, exec_lo
	v_cmpx_ne_u16_e32 0x80, v85
	s_cbranch_execz .LBB303_130
; %bb.125:                              ;   in Loop: Header=BB303_11 Depth=1
	v_bfe_u32 v86, v29, 16, 7
	v_mov_b32_e32 v83, 0x7c01
	s_mov_b32 s18, exec_lo
	s_delay_alu instid0(VALU_DEP_2)
	v_cmpx_ne_u32_e32 0x7f, v86
	s_cbranch_execz .LBB303_129
; %bb.126:                              ;   in Loop: Header=BB303_11 Depth=1
	v_and_b32_e32 v83, 7, v8
	v_lshrrev_b32_e32 v85, 3, v86
	s_mov_b32 s19, exec_lo
	v_cmpx_gt_u32_e32 8, v86
; %bb.127:                              ;   in Loop: Header=BB303_11 Depth=1
	s_delay_alu instid0(VALU_DEP_3) | instskip(NEXT) | instid1(VALU_DEP_1)
	v_clz_i32_u32_e32 v83, v83
	v_min_u32_e32 v83, 32, v83
	s_delay_alu instid0(VALU_DEP_1) | instskip(NEXT) | instid1(VALU_DEP_1)
	v_subrev_nc_u32_e32 v85, 28, v83
	v_lshlrev_b64_e32 v[86:87], v85, v[8:9]
	v_sub_nc_u32_e32 v85, 29, v83
	s_delay_alu instid0(VALU_DEP_2)
	v_and_b32_e32 v83, 7, v86
; %bb.128:                              ;   in Loop: Header=BB303_11 Depth=1
	s_wait_alu 0xfffe
	s_or_b32 exec_lo, exec_lo, s19
	v_lshlrev_b32_e32 v8, 8, v8
	v_lshl_add_u32 v85, v85, 10, 0x2000
	v_lshlrev_b32_e32 v83, 7, v83
	s_delay_alu instid0(VALU_DEP_3) | instskip(NEXT) | instid1(VALU_DEP_3)
	v_and_b32_e32 v8, 0x8000, v8
	v_and_b32_e32 v85, 0xfc00, v85
	s_delay_alu instid0(VALU_DEP_1)
	v_or3_b32 v83, v8, v85, v83
.LBB303_129:                            ;   in Loop: Header=BB303_11 Depth=1
	s_wait_alu 0xfffe
	s_or_b32 exec_lo, exec_lo, s18
.LBB303_130:                            ;   in Loop: Header=BB303_11 Depth=1
	s_wait_alu 0xfffe
	s_or_b32 exec_lo, exec_lo, s17
.LBB303_131:                            ;   in Loop: Header=BB303_11 Depth=1
	s_wait_alu 0xfffe
	s_or_b32 exec_lo, exec_lo, s16
	v_dual_mov_b32 v86, 0 :: v_dual_mov_b32 v85, 0
	s_mov_b32 s16, exec_lo
	v_cmpx_lt_u64_e64 s[2:3], v[28:29]
	s_cbranch_execz .LBB303_139
; %bb.132:                              ;   in Loop: Header=BB303_11 Depth=1
	v_lshrrev_b32_e32 v8, 24, v29
	v_bfrev_b32_e32 v85, 1
	s_mov_b32 s17, exec_lo
	s_delay_alu instid0(VALU_DEP_2)
	v_cmpx_ne_u32_e32 0x80, v8
	s_cbranch_execz .LBB303_138
; %bb.133:                              ;   in Loop: Header=BB303_11 Depth=1
	v_and_b32_e32 v87, 0x7f, v8
	v_mov_b32_e32 v85, 0x7c010000
	s_mov_b32 s18, exec_lo
	s_delay_alu instid0(VALU_DEP_2)
	v_cmpx_ne_u32_e32 0x7f, v87
	s_cbranch_execz .LBB303_137
; %bb.134:                              ;   in Loop: Header=BB303_11 Depth=1
	v_and_b32_e32 v28, 7, v8
	v_lshrrev_b32_e32 v29, 3, v87
	s_mov_b32 s19, exec_lo
	v_cmpx_gt_u32_e32 8, v87
; %bb.135:                              ;   in Loop: Header=BB303_11 Depth=1
	s_delay_alu instid0(VALU_DEP_3) | instskip(NEXT) | instid1(VALU_DEP_1)
	v_clz_i32_u32_e32 v28, v28
	v_min_u32_e32 v85, 32, v28
	s_delay_alu instid0(VALU_DEP_1) | instskip(NEXT) | instid1(VALU_DEP_1)
	v_subrev_nc_u32_e32 v28, 28, v85
	v_lshlrev_b64_e32 v[28:29], v28, v[8:9]
	v_sub_nc_u32_e32 v29, 29, v85
	s_delay_alu instid0(VALU_DEP_2)
	v_and_b32_e32 v28, 7, v28
; %bb.136:                              ;   in Loop: Header=BB303_11 Depth=1
	s_wait_alu 0xfffe
	s_or_b32 exec_lo, exec_lo, s19
	v_lshlrev_b32_e32 v8, 8, v8
	v_lshl_add_u32 v29, v29, 10, 0x2000
	v_lshlrev_b32_e32 v28, 23, v28
	s_delay_alu instid0(VALU_DEP_2) | instskip(NEXT) | instid1(VALU_DEP_1)
	v_and_or_b32 v8, 0x8000, v8, v29
	v_lshl_or_b32 v85, v8, 16, v28
.LBB303_137:                            ;   in Loop: Header=BB303_11 Depth=1
	s_wait_alu 0xfffe
	s_or_b32 exec_lo, exec_lo, s18
.LBB303_138:                            ;   in Loop: Header=BB303_11 Depth=1
	s_wait_alu 0xfffe
	s_or_b32 exec_lo, exec_lo, s17
.LBB303_139:                            ;   in Loop: Header=BB303_11 Depth=1
	s_wait_alu 0xfffe
	s_or_b32 exec_lo, exec_lo, s16
	flat_load_b64 v[28:29], v[20:21] offset:512
	s_mov_b32 s16, exec_lo
	s_wait_loadcnt_dscnt 0x0
	v_and_b32_e32 v8, 0xff, v28
	s_delay_alu instid0(VALU_DEP_1)
	v_cmpx_ne_u16_e32 0, v8
	s_cbranch_execz .LBB303_147
; %bb.140:                              ;   in Loop: Header=BB303_11 Depth=1
	v_mov_b32_e32 v86, 0x8000
	s_mov_b32 s17, exec_lo
	v_cmpx_ne_u16_e32 0x80, v8
	s_cbranch_execz .LBB303_146
; %bb.141:                              ;   in Loop: Header=BB303_11 Depth=1
	v_and_b32_e32 v87, 0x7f, v28
	v_mov_b32_e32 v86, 0x7c01
	s_mov_b32 s18, exec_lo
	s_delay_alu instid0(VALU_DEP_2)
	v_cmpx_ne_u32_e32 0x7f, v87
	s_cbranch_execz .LBB303_145
; %bb.142:                              ;   in Loop: Header=BB303_11 Depth=1
	v_and_b32_e32 v8, 7, v28
	v_lshrrev_b32_e32 v86, 3, v87
	s_mov_b32 s19, exec_lo
	v_cmpx_gt_u32_e32 8, v87
; %bb.143:                              ;   in Loop: Header=BB303_11 Depth=1
	s_delay_alu instid0(VALU_DEP_3) | instskip(NEXT) | instid1(VALU_DEP_1)
	v_clz_i32_u32_e32 v8, v8
	v_min_u32_e32 v8, 32, v8
	s_delay_alu instid0(VALU_DEP_1) | instskip(NEXT) | instid1(VALU_DEP_1)
	v_subrev_nc_u32_e32 v86, 28, v8
	v_lshlrev_b64_e32 v[96:97], v86, v[28:29]
	v_sub_nc_u32_e32 v86, 29, v8
	s_delay_alu instid0(VALU_DEP_2)
	v_and_b32_e32 v8, 7, v96
; %bb.144:                              ;   in Loop: Header=BB303_11 Depth=1
	s_wait_alu 0xfffe
	s_or_b32 exec_lo, exec_lo, s19
	v_lshlrev_b32_e32 v87, 8, v28
	v_lshl_add_u32 v86, v86, 10, 0x2000
	v_lshlrev_b32_e32 v8, 7, v8
	s_delay_alu instid0(VALU_DEP_3) | instskip(NEXT) | instid1(VALU_DEP_3)
	v_and_b32_e32 v87, 0x8000, v87
	v_and_b32_e32 v86, 0xfc00, v86
	s_delay_alu instid0(VALU_DEP_1)
	v_or3_b32 v86, v87, v86, v8
.LBB303_145:                            ;   in Loop: Header=BB303_11 Depth=1
	s_wait_alu 0xfffe
	s_or_b32 exec_lo, exec_lo, s18
.LBB303_146:                            ;   in Loop: Header=BB303_11 Depth=1
	s_wait_alu 0xfffe
	s_or_b32 exec_lo, exec_lo, s17
.LBB303_147:                            ;   in Loop: Header=BB303_11 Depth=1
	s_wait_alu 0xfffe
	s_or_b32 exec_lo, exec_lo, s16
	v_lshrrev_b16 v8, 8, v28
	v_dual_mov_b32 v96, 0 :: v_dual_mov_b32 v87, 0
	s_mov_b32 s16, exec_lo
	s_delay_alu instid0(VALU_DEP_2)
	v_cmpx_ne_u16_e32 0, v8
	s_cbranch_execz .LBB303_155
; %bb.148:                              ;   in Loop: Header=BB303_11 Depth=1
	v_bfrev_b32_e32 v87, 1
	s_mov_b32 s17, exec_lo
	v_cmpx_ne_u16_e32 0x80, v8
	s_cbranch_execz .LBB303_154
; %bb.149:                              ;   in Loop: Header=BB303_11 Depth=1
	v_and_b32_e32 v97, 0xffff, v8
	v_mov_b32_e32 v87, 0x7c010000
	s_mov_b32 s18, exec_lo
	s_delay_alu instid0(VALU_DEP_2) | instskip(NEXT) | instid1(VALU_DEP_1)
	v_and_b32_e32 v99, 0x7f, v97
	v_cmpx_ne_u32_e32 0x7f, v99
	s_cbranch_execz .LBB303_153
; %bb.150:                              ;   in Loop: Header=BB303_11 Depth=1
	v_and_b32_e32 v87, 7, v97
	v_lshrrev_b32_e32 v98, 3, v99
	s_mov_b32 s19, exec_lo
	v_cmpx_gt_u32_e32 8, v99
; %bb.151:                              ;   in Loop: Header=BB303_11 Depth=1
	s_delay_alu instid0(VALU_DEP_3) | instskip(NEXT) | instid1(VALU_DEP_1)
	v_clz_i32_u32_e32 v87, v87
	v_min_u32_e32 v87, 32, v87
	s_delay_alu instid0(VALU_DEP_1) | instskip(NEXT) | instid1(VALU_DEP_1)
	v_subrev_nc_u32_e32 v98, 28, v87
	v_lshlrev_b64_e32 v[99:100], v98, v[8:9]
	v_sub_nc_u32_e32 v98, 29, v87
	s_delay_alu instid0(VALU_DEP_2)
	v_and_b32_e32 v87, 7, v99
; %bb.152:                              ;   in Loop: Header=BB303_11 Depth=1
	s_wait_alu 0xfffe
	s_or_b32 exec_lo, exec_lo, s19
	v_lshlrev_b32_e32 v8, 8, v97
	v_lshl_add_u32 v97, v98, 10, 0x2000
	v_lshlrev_b32_e32 v87, 23, v87
	s_delay_alu instid0(VALU_DEP_2) | instskip(NEXT) | instid1(VALU_DEP_1)
	v_and_or_b32 v8, 0x8000, v8, v97
	v_lshl_or_b32 v87, v8, 16, v87
.LBB303_153:                            ;   in Loop: Header=BB303_11 Depth=1
	s_wait_alu 0xfffe
	s_or_b32 exec_lo, exec_lo, s18
.LBB303_154:                            ;   in Loop: Header=BB303_11 Depth=1
	s_wait_alu 0xfffe
	s_or_b32 exec_lo, exec_lo, s17
.LBB303_155:                            ;   in Loop: Header=BB303_11 Depth=1
	s_wait_alu 0xfffe
	s_or_b32 exec_lo, exec_lo, s16
	v_lshrrev_b32_e32 v8, 16, v28
	s_mov_b32 s16, exec_lo
	s_delay_alu instid0(VALU_DEP_1) | instskip(NEXT) | instid1(VALU_DEP_1)
	v_and_b32_e32 v97, 0xff, v8
	v_cmpx_ne_u16_e32 0, v97
	s_cbranch_execz .LBB303_163
; %bb.156:                              ;   in Loop: Header=BB303_11 Depth=1
	v_mov_b32_e32 v96, 0x8000
	s_mov_b32 s17, exec_lo
	v_cmpx_ne_u16_e32 0x80, v97
	s_cbranch_execz .LBB303_162
; %bb.157:                              ;   in Loop: Header=BB303_11 Depth=1
	v_bfe_u32 v98, v28, 16, 7
	v_mov_b32_e32 v96, 0x7c01
	s_mov_b32 s18, exec_lo
	s_delay_alu instid0(VALU_DEP_2)
	v_cmpx_ne_u32_e32 0x7f, v98
	s_cbranch_execz .LBB303_161
; %bb.158:                              ;   in Loop: Header=BB303_11 Depth=1
	v_and_b32_e32 v96, 7, v8
	v_lshrrev_b32_e32 v97, 3, v98
	s_mov_b32 s19, exec_lo
	v_cmpx_gt_u32_e32 8, v98
; %bb.159:                              ;   in Loop: Header=BB303_11 Depth=1
	s_delay_alu instid0(VALU_DEP_3) | instskip(NEXT) | instid1(VALU_DEP_1)
	v_clz_i32_u32_e32 v96, v96
	v_min_u32_e32 v98, 32, v96
	s_delay_alu instid0(VALU_DEP_1) | instskip(NEXT) | instid1(VALU_DEP_1)
	v_subrev_nc_u32_e32 v96, 28, v98
	v_lshlrev_b64_e32 v[96:97], v96, v[8:9]
	v_sub_nc_u32_e32 v97, 29, v98
	s_delay_alu instid0(VALU_DEP_2)
	v_and_b32_e32 v96, 7, v96
; %bb.160:                              ;   in Loop: Header=BB303_11 Depth=1
	s_wait_alu 0xfffe
	s_or_b32 exec_lo, exec_lo, s19
	v_lshlrev_b32_e32 v8, 8, v8
	v_lshl_add_u32 v97, v97, 10, 0x2000
	v_lshlrev_b32_e32 v96, 7, v96
	s_delay_alu instid0(VALU_DEP_3) | instskip(NEXT) | instid1(VALU_DEP_3)
	v_and_b32_e32 v8, 0x8000, v8
	v_and_b32_e32 v97, 0xfc00, v97
	s_delay_alu instid0(VALU_DEP_1)
	v_or3_b32 v96, v8, v97, v96
.LBB303_161:                            ;   in Loop: Header=BB303_11 Depth=1
	s_wait_alu 0xfffe
	s_or_b32 exec_lo, exec_lo, s18
.LBB303_162:                            ;   in Loop: Header=BB303_11 Depth=1
	s_wait_alu 0xfffe
	s_or_b32 exec_lo, exec_lo, s17
.LBB303_163:                            ;   in Loop: Header=BB303_11 Depth=1
	s_wait_alu 0xfffe
	s_or_b32 exec_lo, exec_lo, s16
	v_dual_mov_b32 v97, 0 :: v_dual_mov_b32 v98, 0
	s_mov_b32 s16, exec_lo
	v_cmpx_lt_u32_e32 0xffffff, v28
	s_cbranch_execz .LBB303_171
; %bb.164:                              ;   in Loop: Header=BB303_11 Depth=1
	v_lshrrev_b32_e32 v8, 24, v28
	v_bfrev_b32_e32 v98, 1
	s_mov_b32 s17, exec_lo
	s_delay_alu instid0(VALU_DEP_2)
	v_cmpx_ne_u32_e32 0x80, v8
	s_cbranch_execz .LBB303_170
; %bb.165:                              ;   in Loop: Header=BB303_11 Depth=1
	v_and_b32_e32 v100, 0x7f, v8
	v_mov_b32_e32 v98, 0x7c010000
	s_mov_b32 s18, exec_lo
	s_delay_alu instid0(VALU_DEP_2)
	v_cmpx_ne_u32_e32 0x7f, v100
	s_cbranch_execz .LBB303_169
; %bb.166:                              ;   in Loop: Header=BB303_11 Depth=1
	v_and_b32_e32 v98, 7, v8
	v_lshrrev_b32_e32 v99, 3, v100
	s_mov_b32 s19, exec_lo
	v_cmpx_gt_u32_e32 8, v100
; %bb.167:                              ;   in Loop: Header=BB303_11 Depth=1
	s_delay_alu instid0(VALU_DEP_3) | instskip(NEXT) | instid1(VALU_DEP_1)
	v_clz_i32_u32_e32 v98, v98
	v_min_u32_e32 v100, 32, v98
	s_delay_alu instid0(VALU_DEP_1) | instskip(NEXT) | instid1(VALU_DEP_1)
	v_subrev_nc_u32_e32 v98, 28, v100
	v_lshlrev_b64_e32 v[98:99], v98, v[8:9]
	v_sub_nc_u32_e32 v99, 29, v100
	s_delay_alu instid0(VALU_DEP_2)
	v_and_b32_e32 v98, 7, v98
; %bb.168:                              ;   in Loop: Header=BB303_11 Depth=1
	s_wait_alu 0xfffe
	s_or_b32 exec_lo, exec_lo, s19
	v_lshlrev_b32_e32 v8, 8, v8
	v_lshl_add_u32 v99, v99, 10, 0x2000
	v_lshlrev_b32_e32 v98, 23, v98
	s_delay_alu instid0(VALU_DEP_2) | instskip(NEXT) | instid1(VALU_DEP_1)
	v_and_or_b32 v8, 0x8000, v8, v99
	v_lshl_or_b32 v98, v8, 16, v98
.LBB303_169:                            ;   in Loop: Header=BB303_11 Depth=1
	s_wait_alu 0xfffe
	s_or_b32 exec_lo, exec_lo, s18
.LBB303_170:                            ;   in Loop: Header=BB303_11 Depth=1
	s_wait_alu 0xfffe
	s_or_b32 exec_lo, exec_lo, s17
.LBB303_171:                            ;   in Loop: Header=BB303_11 Depth=1
	s_wait_alu 0xfffe
	s_or_b32 exec_lo, exec_lo, s16
	v_dual_mov_b32 v8, v29 :: v_dual_and_b32 v99, 0xff, v29
	s_mov_b32 s16, exec_lo
	s_delay_alu instid0(VALU_DEP_1)
	v_cmpx_ne_u16_e32 0, v99
	s_cbranch_execz .LBB303_179
; %bb.172:                              ;   in Loop: Header=BB303_11 Depth=1
	v_mov_b32_e32 v97, 0x8000
	s_mov_b32 s17, exec_lo
	v_cmpx_ne_u16_e32 0x80, v99
	s_cbranch_execz .LBB303_178
; %bb.173:                              ;   in Loop: Header=BB303_11 Depth=1
	v_and_b32_e32 v100, 0x7f, v29
	v_mov_b32_e32 v97, 0x7c01
	s_mov_b32 s18, exec_lo
	s_delay_alu instid0(VALU_DEP_2)
	v_cmpx_ne_u32_e32 0x7f, v100
	s_cbranch_execz .LBB303_177
; %bb.174:                              ;   in Loop: Header=BB303_11 Depth=1
	v_and_b32_e32 v97, 7, v29
	v_lshrrev_b32_e32 v99, 3, v100
	s_mov_b32 s19, exec_lo
	v_cmpx_gt_u32_e32 8, v100
; %bb.175:                              ;   in Loop: Header=BB303_11 Depth=1
	s_delay_alu instid0(VALU_DEP_3) | instskip(NEXT) | instid1(VALU_DEP_1)
	v_clz_i32_u32_e32 v97, v97
	v_min_u32_e32 v97, 32, v97
	s_delay_alu instid0(VALU_DEP_1) | instskip(NEXT) | instid1(VALU_DEP_1)
	v_subrev_nc_u32_e32 v99, 28, v97
	v_lshlrev_b64_e32 v[100:101], v99, v[8:9]
	v_sub_nc_u32_e32 v99, 29, v97
	s_delay_alu instid0(VALU_DEP_2)
	v_and_b32_e32 v97, 7, v100
; %bb.176:                              ;   in Loop: Header=BB303_11 Depth=1
	s_wait_alu 0xfffe
	s_or_b32 exec_lo, exec_lo, s19
	v_lshlrev_b32_e32 v100, 8, v29
	v_lshl_add_u32 v99, v99, 10, 0x2000
	v_lshlrev_b32_e32 v97, 7, v97
	s_delay_alu instid0(VALU_DEP_3) | instskip(NEXT) | instid1(VALU_DEP_3)
	v_and_b32_e32 v100, 0x8000, v100
	v_and_b32_e32 v99, 0xfc00, v99
	s_delay_alu instid0(VALU_DEP_1)
	v_or3_b32 v97, v100, v99, v97
.LBB303_177:                            ;   in Loop: Header=BB303_11 Depth=1
	s_wait_alu 0xfffe
	s_or_b32 exec_lo, exec_lo, s18
.LBB303_178:                            ;   in Loop: Header=BB303_11 Depth=1
	s_wait_alu 0xfffe
	s_or_b32 exec_lo, exec_lo, s17
.LBB303_179:                            ;   in Loop: Header=BB303_11 Depth=1
	s_wait_alu 0xfffe
	s_or_b32 exec_lo, exec_lo, s16
	v_lshrrev_b16 v8, 8, v8
	v_dual_mov_b32 v99, 0 :: v_dual_mov_b32 v100, 0
	s_mov_b32 s16, exec_lo
	s_delay_alu instid0(VALU_DEP_2)
	v_cmpx_ne_u16_e32 0, v8
	s_cbranch_execz .LBB303_187
; %bb.180:                              ;   in Loop: Header=BB303_11 Depth=1
	v_bfrev_b32_e32 v100, 1
	s_mov_b32 s17, exec_lo
	v_cmpx_ne_u16_e32 0x80, v8
	s_cbranch_execz .LBB303_186
; %bb.181:                              ;   in Loop: Header=BB303_11 Depth=1
	v_and_b32_e32 v101, 0xffff, v8
	v_mov_b32_e32 v100, 0x7c010000
	s_mov_b32 s18, exec_lo
	s_delay_alu instid0(VALU_DEP_2) | instskip(NEXT) | instid1(VALU_DEP_1)
	v_and_b32_e32 v103, 0x7f, v101
	v_cmpx_ne_u32_e32 0x7f, v103
	s_cbranch_execz .LBB303_185
; %bb.182:                              ;   in Loop: Header=BB303_11 Depth=1
	v_and_b32_e32 v100, 7, v101
	v_lshrrev_b32_e32 v102, 3, v103
	s_mov_b32 s19, exec_lo
	v_cmpx_gt_u32_e32 8, v103
; %bb.183:                              ;   in Loop: Header=BB303_11 Depth=1
	s_delay_alu instid0(VALU_DEP_3) | instskip(NEXT) | instid1(VALU_DEP_1)
	v_clz_i32_u32_e32 v100, v100
	v_min_u32_e32 v100, 32, v100
	s_delay_alu instid0(VALU_DEP_1) | instskip(NEXT) | instid1(VALU_DEP_1)
	v_subrev_nc_u32_e32 v102, 28, v100
	v_lshlrev_b64_e32 v[112:113], v102, v[8:9]
	v_sub_nc_u32_e32 v102, 29, v100
	s_delay_alu instid0(VALU_DEP_2)
	v_and_b32_e32 v100, 7, v112
; %bb.184:                              ;   in Loop: Header=BB303_11 Depth=1
	s_wait_alu 0xfffe
	s_or_b32 exec_lo, exec_lo, s19
	v_lshlrev_b32_e32 v8, 8, v101
	v_lshl_add_u32 v101, v102, 10, 0x2000
	v_lshlrev_b32_e32 v100, 23, v100
	s_delay_alu instid0(VALU_DEP_2) | instskip(NEXT) | instid1(VALU_DEP_1)
	v_and_or_b32 v8, 0x8000, v8, v101
	v_lshl_or_b32 v100, v8, 16, v100
.LBB303_185:                            ;   in Loop: Header=BB303_11 Depth=1
	s_wait_alu 0xfffe
	s_or_b32 exec_lo, exec_lo, s18
.LBB303_186:                            ;   in Loop: Header=BB303_11 Depth=1
	s_wait_alu 0xfffe
	s_or_b32 exec_lo, exec_lo, s17
.LBB303_187:                            ;   in Loop: Header=BB303_11 Depth=1
	s_wait_alu 0xfffe
	s_or_b32 exec_lo, exec_lo, s16
	v_lshrrev_b32_e32 v8, 16, v29
	s_mov_b32 s16, exec_lo
	s_delay_alu instid0(VALU_DEP_1) | instskip(NEXT) | instid1(VALU_DEP_1)
	v_and_b32_e32 v101, 0xff, v8
	v_cmpx_ne_u16_e32 0, v101
	s_cbranch_execz .LBB303_195
; %bb.188:                              ;   in Loop: Header=BB303_11 Depth=1
	v_mov_b32_e32 v99, 0x8000
	s_mov_b32 s17, exec_lo
	v_cmpx_ne_u16_e32 0x80, v101
	s_cbranch_execz .LBB303_194
; %bb.189:                              ;   in Loop: Header=BB303_11 Depth=1
	v_bfe_u32 v102, v29, 16, 7
	v_mov_b32_e32 v99, 0x7c01
	s_mov_b32 s18, exec_lo
	s_delay_alu instid0(VALU_DEP_2)
	v_cmpx_ne_u32_e32 0x7f, v102
	s_cbranch_execz .LBB303_193
; %bb.190:                              ;   in Loop: Header=BB303_11 Depth=1
	v_and_b32_e32 v99, 7, v8
	v_lshrrev_b32_e32 v101, 3, v102
	s_mov_b32 s19, exec_lo
	v_cmpx_gt_u32_e32 8, v102
; %bb.191:                              ;   in Loop: Header=BB303_11 Depth=1
	s_delay_alu instid0(VALU_DEP_3) | instskip(NEXT) | instid1(VALU_DEP_1)
	v_clz_i32_u32_e32 v99, v99
	v_min_u32_e32 v99, 32, v99
	s_delay_alu instid0(VALU_DEP_1) | instskip(NEXT) | instid1(VALU_DEP_1)
	v_subrev_nc_u32_e32 v101, 28, v99
	v_lshlrev_b64_e32 v[102:103], v101, v[8:9]
	v_sub_nc_u32_e32 v101, 29, v99
	s_delay_alu instid0(VALU_DEP_2)
	v_and_b32_e32 v99, 7, v102
; %bb.192:                              ;   in Loop: Header=BB303_11 Depth=1
	s_wait_alu 0xfffe
	s_or_b32 exec_lo, exec_lo, s19
	v_lshlrev_b32_e32 v8, 8, v8
	v_lshl_add_u32 v101, v101, 10, 0x2000
	v_lshlrev_b32_e32 v99, 7, v99
	s_delay_alu instid0(VALU_DEP_3) | instskip(NEXT) | instid1(VALU_DEP_3)
	v_and_b32_e32 v8, 0x8000, v8
	v_and_b32_e32 v101, 0xfc00, v101
	s_delay_alu instid0(VALU_DEP_1)
	v_or3_b32 v99, v8, v101, v99
.LBB303_193:                            ;   in Loop: Header=BB303_11 Depth=1
	s_wait_alu 0xfffe
	s_or_b32 exec_lo, exec_lo, s18
.LBB303_194:                            ;   in Loop: Header=BB303_11 Depth=1
	s_wait_alu 0xfffe
	s_or_b32 exec_lo, exec_lo, s17
.LBB303_195:                            ;   in Loop: Header=BB303_11 Depth=1
	s_wait_alu 0xfffe
	s_or_b32 exec_lo, exec_lo, s16
	v_dual_mov_b32 v102, 0 :: v_dual_mov_b32 v101, 0
	s_mov_b32 s16, exec_lo
	v_cmpx_lt_u64_e64 s[2:3], v[28:29]
	s_cbranch_execz .LBB303_203
; %bb.196:                              ;   in Loop: Header=BB303_11 Depth=1
	v_lshrrev_b32_e32 v8, 24, v29
	v_bfrev_b32_e32 v101, 1
	s_mov_b32 s17, exec_lo
	s_delay_alu instid0(VALU_DEP_2)
	v_cmpx_ne_u32_e32 0x80, v8
	s_cbranch_execz .LBB303_202
; %bb.197:                              ;   in Loop: Header=BB303_11 Depth=1
	v_and_b32_e32 v103, 0x7f, v8
	v_mov_b32_e32 v101, 0x7c010000
	s_mov_b32 s18, exec_lo
	s_delay_alu instid0(VALU_DEP_2)
	v_cmpx_ne_u32_e32 0x7f, v103
	s_cbranch_execz .LBB303_201
; %bb.198:                              ;   in Loop: Header=BB303_11 Depth=1
	v_and_b32_e32 v28, 7, v8
	v_lshrrev_b32_e32 v29, 3, v103
	s_mov_b32 s19, exec_lo
	v_cmpx_gt_u32_e32 8, v103
; %bb.199:                              ;   in Loop: Header=BB303_11 Depth=1
	s_delay_alu instid0(VALU_DEP_3) | instskip(NEXT) | instid1(VALU_DEP_1)
	v_clz_i32_u32_e32 v28, v28
	v_min_u32_e32 v101, 32, v28
	s_delay_alu instid0(VALU_DEP_1) | instskip(NEXT) | instid1(VALU_DEP_1)
	v_subrev_nc_u32_e32 v28, 28, v101
	v_lshlrev_b64_e32 v[28:29], v28, v[8:9]
	v_sub_nc_u32_e32 v29, 29, v101
	s_delay_alu instid0(VALU_DEP_2)
	v_and_b32_e32 v28, 7, v28
; %bb.200:                              ;   in Loop: Header=BB303_11 Depth=1
	s_wait_alu 0xfffe
	s_or_b32 exec_lo, exec_lo, s19
	v_lshlrev_b32_e32 v8, 8, v8
	v_lshl_add_u32 v29, v29, 10, 0x2000
	v_lshlrev_b32_e32 v28, 23, v28
	s_delay_alu instid0(VALU_DEP_2) | instskip(NEXT) | instid1(VALU_DEP_1)
	v_and_or_b32 v8, 0x8000, v8, v29
	v_lshl_or_b32 v101, v8, 16, v28
.LBB303_201:                            ;   in Loop: Header=BB303_11 Depth=1
	s_wait_alu 0xfffe
	s_or_b32 exec_lo, exec_lo, s18
.LBB303_202:                            ;   in Loop: Header=BB303_11 Depth=1
	s_wait_alu 0xfffe
	s_or_b32 exec_lo, exec_lo, s17
.LBB303_203:                            ;   in Loop: Header=BB303_11 Depth=1
	s_wait_alu 0xfffe
	s_or_b32 exec_lo, exec_lo, s16
	flat_load_b64 v[28:29], v[20:21] offset:520
	s_mov_b32 s16, exec_lo
	s_wait_loadcnt_dscnt 0x0
	v_and_b32_e32 v8, 0xff, v28
	s_delay_alu instid0(VALU_DEP_1)
	v_cmpx_ne_u16_e32 0, v8
	s_cbranch_execz .LBB303_211
; %bb.204:                              ;   in Loop: Header=BB303_11 Depth=1
	v_mov_b32_e32 v102, 0x8000
	s_mov_b32 s17, exec_lo
	v_cmpx_ne_u16_e32 0x80, v8
	s_cbranch_execz .LBB303_210
; %bb.205:                              ;   in Loop: Header=BB303_11 Depth=1
	v_and_b32_e32 v103, 0x7f, v28
	v_mov_b32_e32 v102, 0x7c01
	s_mov_b32 s18, exec_lo
	s_delay_alu instid0(VALU_DEP_2)
	v_cmpx_ne_u32_e32 0x7f, v103
	s_cbranch_execz .LBB303_209
; %bb.206:                              ;   in Loop: Header=BB303_11 Depth=1
	v_and_b32_e32 v8, 7, v28
	v_lshrrev_b32_e32 v102, 3, v103
	s_mov_b32 s19, exec_lo
	v_cmpx_gt_u32_e32 8, v103
; %bb.207:                              ;   in Loop: Header=BB303_11 Depth=1
	s_delay_alu instid0(VALU_DEP_3) | instskip(NEXT) | instid1(VALU_DEP_1)
	v_clz_i32_u32_e32 v8, v8
	v_min_u32_e32 v8, 32, v8
	s_delay_alu instid0(VALU_DEP_1) | instskip(NEXT) | instid1(VALU_DEP_1)
	v_subrev_nc_u32_e32 v102, 28, v8
	v_lshlrev_b64_e32 v[112:113], v102, v[28:29]
	v_sub_nc_u32_e32 v102, 29, v8
	s_delay_alu instid0(VALU_DEP_2)
	v_and_b32_e32 v8, 7, v112
; %bb.208:                              ;   in Loop: Header=BB303_11 Depth=1
	s_wait_alu 0xfffe
	s_or_b32 exec_lo, exec_lo, s19
	v_lshlrev_b32_e32 v103, 8, v28
	v_lshl_add_u32 v102, v102, 10, 0x2000
	v_lshlrev_b32_e32 v8, 7, v8
	s_delay_alu instid0(VALU_DEP_3) | instskip(NEXT) | instid1(VALU_DEP_3)
	v_and_b32_e32 v103, 0x8000, v103
	v_and_b32_e32 v102, 0xfc00, v102
	s_delay_alu instid0(VALU_DEP_1)
	v_or3_b32 v102, v103, v102, v8
.LBB303_209:                            ;   in Loop: Header=BB303_11 Depth=1
	s_wait_alu 0xfffe
	s_or_b32 exec_lo, exec_lo, s18
.LBB303_210:                            ;   in Loop: Header=BB303_11 Depth=1
	s_wait_alu 0xfffe
	s_or_b32 exec_lo, exec_lo, s17
.LBB303_211:                            ;   in Loop: Header=BB303_11 Depth=1
	s_wait_alu 0xfffe
	s_or_b32 exec_lo, exec_lo, s16
	v_lshrrev_b16 v8, 8, v28
	v_dual_mov_b32 v112, 0 :: v_dual_mov_b32 v103, 0
	s_mov_b32 s16, exec_lo
	s_delay_alu instid0(VALU_DEP_2)
	v_cmpx_ne_u16_e32 0, v8
	s_cbranch_execz .LBB303_219
; %bb.212:                              ;   in Loop: Header=BB303_11 Depth=1
	v_bfrev_b32_e32 v103, 1
	s_mov_b32 s17, exec_lo
	v_cmpx_ne_u16_e32 0x80, v8
	s_cbranch_execz .LBB303_218
; %bb.213:                              ;   in Loop: Header=BB303_11 Depth=1
	v_and_b32_e32 v113, 0xffff, v8
	v_mov_b32_e32 v103, 0x7c010000
	s_mov_b32 s18, exec_lo
	s_delay_alu instid0(VALU_DEP_2) | instskip(NEXT) | instid1(VALU_DEP_1)
	v_and_b32_e32 v115, 0x7f, v113
	v_cmpx_ne_u32_e32 0x7f, v115
	s_cbranch_execz .LBB303_217
; %bb.214:                              ;   in Loop: Header=BB303_11 Depth=1
	v_and_b32_e32 v103, 7, v113
	v_lshrrev_b32_e32 v114, 3, v115
	s_mov_b32 s19, exec_lo
	v_cmpx_gt_u32_e32 8, v115
; %bb.215:                              ;   in Loop: Header=BB303_11 Depth=1
	s_delay_alu instid0(VALU_DEP_3) | instskip(NEXT) | instid1(VALU_DEP_1)
	v_clz_i32_u32_e32 v103, v103
	v_min_u32_e32 v103, 32, v103
	s_delay_alu instid0(VALU_DEP_1) | instskip(NEXT) | instid1(VALU_DEP_1)
	v_subrev_nc_u32_e32 v114, 28, v103
	v_lshlrev_b64_e32 v[115:116], v114, v[8:9]
	v_sub_nc_u32_e32 v114, 29, v103
	s_delay_alu instid0(VALU_DEP_2)
	v_and_b32_e32 v103, 7, v115
; %bb.216:                              ;   in Loop: Header=BB303_11 Depth=1
	s_wait_alu 0xfffe
	s_or_b32 exec_lo, exec_lo, s19
	v_lshlrev_b32_e32 v8, 8, v113
	v_lshl_add_u32 v113, v114, 10, 0x2000
	v_lshlrev_b32_e32 v103, 23, v103
	s_delay_alu instid0(VALU_DEP_2) | instskip(NEXT) | instid1(VALU_DEP_1)
	v_and_or_b32 v8, 0x8000, v8, v113
	v_lshl_or_b32 v103, v8, 16, v103
.LBB303_217:                            ;   in Loop: Header=BB303_11 Depth=1
	s_wait_alu 0xfffe
	s_or_b32 exec_lo, exec_lo, s18
.LBB303_218:                            ;   in Loop: Header=BB303_11 Depth=1
	s_wait_alu 0xfffe
	s_or_b32 exec_lo, exec_lo, s17
.LBB303_219:                            ;   in Loop: Header=BB303_11 Depth=1
	s_wait_alu 0xfffe
	s_or_b32 exec_lo, exec_lo, s16
	v_lshrrev_b32_e32 v8, 16, v28
	s_mov_b32 s16, exec_lo
	s_delay_alu instid0(VALU_DEP_1) | instskip(NEXT) | instid1(VALU_DEP_1)
	v_and_b32_e32 v113, 0xff, v8
	v_cmpx_ne_u16_e32 0, v113
	s_cbranch_execz .LBB303_227
; %bb.220:                              ;   in Loop: Header=BB303_11 Depth=1
	v_mov_b32_e32 v112, 0x8000
	s_mov_b32 s17, exec_lo
	v_cmpx_ne_u16_e32 0x80, v113
	s_cbranch_execz .LBB303_226
; %bb.221:                              ;   in Loop: Header=BB303_11 Depth=1
	v_bfe_u32 v114, v28, 16, 7
	v_mov_b32_e32 v112, 0x7c01
	s_mov_b32 s18, exec_lo
	s_delay_alu instid0(VALU_DEP_2)
	v_cmpx_ne_u32_e32 0x7f, v114
	s_cbranch_execz .LBB303_225
; %bb.222:                              ;   in Loop: Header=BB303_11 Depth=1
	v_and_b32_e32 v112, 7, v8
	v_lshrrev_b32_e32 v113, 3, v114
	s_mov_b32 s19, exec_lo
	v_cmpx_gt_u32_e32 8, v114
; %bb.223:                              ;   in Loop: Header=BB303_11 Depth=1
	s_delay_alu instid0(VALU_DEP_3) | instskip(NEXT) | instid1(VALU_DEP_1)
	v_clz_i32_u32_e32 v112, v112
	v_min_u32_e32 v114, 32, v112
	s_delay_alu instid0(VALU_DEP_1) | instskip(NEXT) | instid1(VALU_DEP_1)
	v_subrev_nc_u32_e32 v112, 28, v114
	v_lshlrev_b64_e32 v[112:113], v112, v[8:9]
	v_sub_nc_u32_e32 v113, 29, v114
	s_delay_alu instid0(VALU_DEP_2)
	v_and_b32_e32 v112, 7, v112
; %bb.224:                              ;   in Loop: Header=BB303_11 Depth=1
	s_wait_alu 0xfffe
	s_or_b32 exec_lo, exec_lo, s19
	v_lshlrev_b32_e32 v8, 8, v8
	v_lshl_add_u32 v113, v113, 10, 0x2000
	v_lshlrev_b32_e32 v112, 7, v112
	s_delay_alu instid0(VALU_DEP_3) | instskip(NEXT) | instid1(VALU_DEP_3)
	v_and_b32_e32 v8, 0x8000, v8
	v_and_b32_e32 v113, 0xfc00, v113
	s_delay_alu instid0(VALU_DEP_1)
	v_or3_b32 v112, v8, v113, v112
.LBB303_225:                            ;   in Loop: Header=BB303_11 Depth=1
	s_wait_alu 0xfffe
	s_or_b32 exec_lo, exec_lo, s18
.LBB303_226:                            ;   in Loop: Header=BB303_11 Depth=1
	s_wait_alu 0xfffe
	s_or_b32 exec_lo, exec_lo, s17
.LBB303_227:                            ;   in Loop: Header=BB303_11 Depth=1
	s_wait_alu 0xfffe
	s_or_b32 exec_lo, exec_lo, s16
	v_dual_mov_b32 v113, 0 :: v_dual_mov_b32 v114, 0
	s_mov_b32 s16, exec_lo
	v_cmpx_lt_u32_e32 0xffffff, v28
	s_cbranch_execz .LBB303_235
; %bb.228:                              ;   in Loop: Header=BB303_11 Depth=1
	v_lshrrev_b32_e32 v8, 24, v28
	v_bfrev_b32_e32 v114, 1
	s_mov_b32 s17, exec_lo
	s_delay_alu instid0(VALU_DEP_2)
	v_cmpx_ne_u32_e32 0x80, v8
	s_cbranch_execz .LBB303_234
; %bb.229:                              ;   in Loop: Header=BB303_11 Depth=1
	v_and_b32_e32 v116, 0x7f, v8
	v_mov_b32_e32 v114, 0x7c010000
	s_mov_b32 s18, exec_lo
	s_delay_alu instid0(VALU_DEP_2)
	v_cmpx_ne_u32_e32 0x7f, v116
	s_cbranch_execz .LBB303_233
; %bb.230:                              ;   in Loop: Header=BB303_11 Depth=1
	v_and_b32_e32 v114, 7, v8
	v_lshrrev_b32_e32 v115, 3, v116
	s_mov_b32 s19, exec_lo
	v_cmpx_gt_u32_e32 8, v116
; %bb.231:                              ;   in Loop: Header=BB303_11 Depth=1
	s_delay_alu instid0(VALU_DEP_3) | instskip(NEXT) | instid1(VALU_DEP_1)
	v_clz_i32_u32_e32 v114, v114
	v_min_u32_e32 v116, 32, v114
	s_delay_alu instid0(VALU_DEP_1) | instskip(NEXT) | instid1(VALU_DEP_1)
	v_subrev_nc_u32_e32 v114, 28, v116
	v_lshlrev_b64_e32 v[114:115], v114, v[8:9]
	v_sub_nc_u32_e32 v115, 29, v116
	s_delay_alu instid0(VALU_DEP_2)
	v_and_b32_e32 v114, 7, v114
; %bb.232:                              ;   in Loop: Header=BB303_11 Depth=1
	s_wait_alu 0xfffe
	s_or_b32 exec_lo, exec_lo, s19
	v_lshlrev_b32_e32 v8, 8, v8
	v_lshl_add_u32 v115, v115, 10, 0x2000
	v_lshlrev_b32_e32 v114, 23, v114
	s_delay_alu instid0(VALU_DEP_2) | instskip(NEXT) | instid1(VALU_DEP_1)
	v_and_or_b32 v8, 0x8000, v8, v115
	v_lshl_or_b32 v114, v8, 16, v114
.LBB303_233:                            ;   in Loop: Header=BB303_11 Depth=1
	s_wait_alu 0xfffe
	s_or_b32 exec_lo, exec_lo, s18
.LBB303_234:                            ;   in Loop: Header=BB303_11 Depth=1
	s_wait_alu 0xfffe
	s_or_b32 exec_lo, exec_lo, s17
.LBB303_235:                            ;   in Loop: Header=BB303_11 Depth=1
	s_wait_alu 0xfffe
	s_or_b32 exec_lo, exec_lo, s16
	v_dual_mov_b32 v8, v29 :: v_dual_and_b32 v115, 0xff, v29
	s_mov_b32 s16, exec_lo
	s_delay_alu instid0(VALU_DEP_1)
	v_cmpx_ne_u16_e32 0, v115
	s_cbranch_execz .LBB303_243
; %bb.236:                              ;   in Loop: Header=BB303_11 Depth=1
	v_mov_b32_e32 v113, 0x8000
	s_mov_b32 s17, exec_lo
	v_cmpx_ne_u16_e32 0x80, v115
	s_cbranch_execz .LBB303_242
; %bb.237:                              ;   in Loop: Header=BB303_11 Depth=1
	v_and_b32_e32 v116, 0x7f, v29
	v_mov_b32_e32 v113, 0x7c01
	s_mov_b32 s18, exec_lo
	s_delay_alu instid0(VALU_DEP_2)
	v_cmpx_ne_u32_e32 0x7f, v116
	s_cbranch_execz .LBB303_241
; %bb.238:                              ;   in Loop: Header=BB303_11 Depth=1
	v_and_b32_e32 v113, 7, v29
	v_lshrrev_b32_e32 v115, 3, v116
	s_mov_b32 s19, exec_lo
	v_cmpx_gt_u32_e32 8, v116
; %bb.239:                              ;   in Loop: Header=BB303_11 Depth=1
	s_delay_alu instid0(VALU_DEP_3) | instskip(NEXT) | instid1(VALU_DEP_1)
	v_clz_i32_u32_e32 v113, v113
	v_min_u32_e32 v113, 32, v113
	s_delay_alu instid0(VALU_DEP_1) | instskip(NEXT) | instid1(VALU_DEP_1)
	v_subrev_nc_u32_e32 v115, 28, v113
	v_lshlrev_b64_e32 v[116:117], v115, v[8:9]
	v_sub_nc_u32_e32 v115, 29, v113
	s_delay_alu instid0(VALU_DEP_2)
	v_and_b32_e32 v113, 7, v116
; %bb.240:                              ;   in Loop: Header=BB303_11 Depth=1
	s_wait_alu 0xfffe
	s_or_b32 exec_lo, exec_lo, s19
	v_lshlrev_b32_e32 v116, 8, v29
	v_lshl_add_u32 v115, v115, 10, 0x2000
	v_lshlrev_b32_e32 v113, 7, v113
	s_delay_alu instid0(VALU_DEP_3) | instskip(NEXT) | instid1(VALU_DEP_3)
	v_and_b32_e32 v116, 0x8000, v116
	v_and_b32_e32 v115, 0xfc00, v115
	s_delay_alu instid0(VALU_DEP_1)
	v_or3_b32 v113, v116, v115, v113
.LBB303_241:                            ;   in Loop: Header=BB303_11 Depth=1
	s_wait_alu 0xfffe
	s_or_b32 exec_lo, exec_lo, s18
.LBB303_242:                            ;   in Loop: Header=BB303_11 Depth=1
	s_wait_alu 0xfffe
	s_or_b32 exec_lo, exec_lo, s17
.LBB303_243:                            ;   in Loop: Header=BB303_11 Depth=1
	s_wait_alu 0xfffe
	s_or_b32 exec_lo, exec_lo, s16
	v_lshrrev_b16 v8, 8, v8
	v_dual_mov_b32 v115, 0 :: v_dual_mov_b32 v116, 0
	s_mov_b32 s16, exec_lo
	s_delay_alu instid0(VALU_DEP_2)
	v_cmpx_ne_u16_e32 0, v8
	s_cbranch_execz .LBB303_251
; %bb.244:                              ;   in Loop: Header=BB303_11 Depth=1
	v_bfrev_b32_e32 v116, 1
	s_mov_b32 s17, exec_lo
	v_cmpx_ne_u16_e32 0x80, v8
	s_cbranch_execz .LBB303_250
; %bb.245:                              ;   in Loop: Header=BB303_11 Depth=1
	v_and_b32_e32 v117, 0xffff, v8
	v_mov_b32_e32 v116, 0x7c010000
	s_mov_b32 s18, exec_lo
	s_delay_alu instid0(VALU_DEP_2) | instskip(NEXT) | instid1(VALU_DEP_1)
	v_and_b32_e32 v119, 0x7f, v117
	v_cmpx_ne_u32_e32 0x7f, v119
	s_cbranch_execz .LBB303_249
; %bb.246:                              ;   in Loop: Header=BB303_11 Depth=1
	v_and_b32_e32 v116, 7, v117
	v_lshrrev_b32_e32 v118, 3, v119
	s_mov_b32 s19, exec_lo
	v_cmpx_gt_u32_e32 8, v119
; %bb.247:                              ;   in Loop: Header=BB303_11 Depth=1
	s_delay_alu instid0(VALU_DEP_3) | instskip(NEXT) | instid1(VALU_DEP_1)
	v_clz_i32_u32_e32 v116, v116
	v_min_u32_e32 v116, 32, v116
	s_delay_alu instid0(VALU_DEP_1) | instskip(NEXT) | instid1(VALU_DEP_1)
	v_subrev_nc_u32_e32 v118, 28, v116
	v_lshlrev_b64_e32 v[128:129], v118, v[8:9]
	v_sub_nc_u32_e32 v118, 29, v116
	s_delay_alu instid0(VALU_DEP_2)
	v_and_b32_e32 v116, 7, v128
; %bb.248:                              ;   in Loop: Header=BB303_11 Depth=1
	s_wait_alu 0xfffe
	s_or_b32 exec_lo, exec_lo, s19
	v_lshlrev_b32_e32 v8, 8, v117
	v_lshl_add_u32 v117, v118, 10, 0x2000
	v_lshlrev_b32_e32 v116, 23, v116
	s_delay_alu instid0(VALU_DEP_2) | instskip(NEXT) | instid1(VALU_DEP_1)
	v_and_or_b32 v8, 0x8000, v8, v117
	v_lshl_or_b32 v116, v8, 16, v116
.LBB303_249:                            ;   in Loop: Header=BB303_11 Depth=1
	s_wait_alu 0xfffe
	s_or_b32 exec_lo, exec_lo, s18
.LBB303_250:                            ;   in Loop: Header=BB303_11 Depth=1
	s_wait_alu 0xfffe
	s_or_b32 exec_lo, exec_lo, s17
.LBB303_251:                            ;   in Loop: Header=BB303_11 Depth=1
	s_wait_alu 0xfffe
	s_or_b32 exec_lo, exec_lo, s16
	v_lshrrev_b32_e32 v8, 16, v29
	s_mov_b32 s16, exec_lo
	s_delay_alu instid0(VALU_DEP_1) | instskip(NEXT) | instid1(VALU_DEP_1)
	v_and_b32_e32 v117, 0xff, v8
	v_cmpx_ne_u16_e32 0, v117
	s_cbranch_execz .LBB303_259
; %bb.252:                              ;   in Loop: Header=BB303_11 Depth=1
	v_mov_b32_e32 v115, 0x8000
	s_mov_b32 s17, exec_lo
	v_cmpx_ne_u16_e32 0x80, v117
	s_cbranch_execz .LBB303_258
; %bb.253:                              ;   in Loop: Header=BB303_11 Depth=1
	v_bfe_u32 v118, v29, 16, 7
	v_mov_b32_e32 v115, 0x7c01
	s_mov_b32 s18, exec_lo
	s_delay_alu instid0(VALU_DEP_2)
	v_cmpx_ne_u32_e32 0x7f, v118
	s_cbranch_execz .LBB303_257
; %bb.254:                              ;   in Loop: Header=BB303_11 Depth=1
	v_and_b32_e32 v115, 7, v8
	v_lshrrev_b32_e32 v117, 3, v118
	s_mov_b32 s19, exec_lo
	v_cmpx_gt_u32_e32 8, v118
; %bb.255:                              ;   in Loop: Header=BB303_11 Depth=1
	s_delay_alu instid0(VALU_DEP_3) | instskip(NEXT) | instid1(VALU_DEP_1)
	v_clz_i32_u32_e32 v115, v115
	v_min_u32_e32 v115, 32, v115
	s_delay_alu instid0(VALU_DEP_1) | instskip(NEXT) | instid1(VALU_DEP_1)
	v_subrev_nc_u32_e32 v117, 28, v115
	v_lshlrev_b64_e32 v[118:119], v117, v[8:9]
	v_sub_nc_u32_e32 v117, 29, v115
	s_delay_alu instid0(VALU_DEP_2)
	v_and_b32_e32 v115, 7, v118
; %bb.256:                              ;   in Loop: Header=BB303_11 Depth=1
	s_wait_alu 0xfffe
	s_or_b32 exec_lo, exec_lo, s19
	v_lshlrev_b32_e32 v8, 8, v8
	v_lshl_add_u32 v117, v117, 10, 0x2000
	v_lshlrev_b32_e32 v115, 7, v115
	s_delay_alu instid0(VALU_DEP_3) | instskip(NEXT) | instid1(VALU_DEP_3)
	v_and_b32_e32 v8, 0x8000, v8
	v_and_b32_e32 v117, 0xfc00, v117
	s_delay_alu instid0(VALU_DEP_1)
	v_or3_b32 v115, v8, v117, v115
.LBB303_257:                            ;   in Loop: Header=BB303_11 Depth=1
	s_wait_alu 0xfffe
	s_or_b32 exec_lo, exec_lo, s18
.LBB303_258:                            ;   in Loop: Header=BB303_11 Depth=1
	s_wait_alu 0xfffe
	s_or_b32 exec_lo, exec_lo, s17
.LBB303_259:                            ;   in Loop: Header=BB303_11 Depth=1
	s_wait_alu 0xfffe
	s_or_b32 exec_lo, exec_lo, s16
	v_dual_mov_b32 v118, 0 :: v_dual_mov_b32 v117, 0
	s_mov_b32 s16, exec_lo
	v_cmpx_lt_u64_e64 s[2:3], v[28:29]
	s_cbranch_execz .LBB303_267
; %bb.260:                              ;   in Loop: Header=BB303_11 Depth=1
	v_lshrrev_b32_e32 v8, 24, v29
	v_bfrev_b32_e32 v117, 1
	s_mov_b32 s17, exec_lo
	s_delay_alu instid0(VALU_DEP_2)
	v_cmpx_ne_u32_e32 0x80, v8
	s_cbranch_execz .LBB303_266
; %bb.261:                              ;   in Loop: Header=BB303_11 Depth=1
	v_and_b32_e32 v119, 0x7f, v8
	v_mov_b32_e32 v117, 0x7c010000
	s_mov_b32 s18, exec_lo
	s_delay_alu instid0(VALU_DEP_2)
	v_cmpx_ne_u32_e32 0x7f, v119
	s_cbranch_execz .LBB303_265
; %bb.262:                              ;   in Loop: Header=BB303_11 Depth=1
	v_and_b32_e32 v28, 7, v8
	v_lshrrev_b32_e32 v29, 3, v119
	s_mov_b32 s19, exec_lo
	v_cmpx_gt_u32_e32 8, v119
; %bb.263:                              ;   in Loop: Header=BB303_11 Depth=1
	s_delay_alu instid0(VALU_DEP_3) | instskip(NEXT) | instid1(VALU_DEP_1)
	v_clz_i32_u32_e32 v28, v28
	v_min_u32_e32 v117, 32, v28
	s_delay_alu instid0(VALU_DEP_1) | instskip(NEXT) | instid1(VALU_DEP_1)
	v_subrev_nc_u32_e32 v28, 28, v117
	v_lshlrev_b64_e32 v[28:29], v28, v[8:9]
	v_sub_nc_u32_e32 v29, 29, v117
	s_delay_alu instid0(VALU_DEP_2)
	v_and_b32_e32 v28, 7, v28
; %bb.264:                              ;   in Loop: Header=BB303_11 Depth=1
	s_wait_alu 0xfffe
	s_or_b32 exec_lo, exec_lo, s19
	v_lshlrev_b32_e32 v8, 8, v8
	v_lshl_add_u32 v29, v29, 10, 0x2000
	v_lshlrev_b32_e32 v28, 23, v28
	s_delay_alu instid0(VALU_DEP_2) | instskip(NEXT) | instid1(VALU_DEP_1)
	v_and_or_b32 v8, 0x8000, v8, v29
	v_lshl_or_b32 v117, v8, 16, v28
.LBB303_265:                            ;   in Loop: Header=BB303_11 Depth=1
	s_wait_alu 0xfffe
	s_or_b32 exec_lo, exec_lo, s18
.LBB303_266:                            ;   in Loop: Header=BB303_11 Depth=1
	s_wait_alu 0xfffe
	s_or_b32 exec_lo, exec_lo, s17
.LBB303_267:                            ;   in Loop: Header=BB303_11 Depth=1
	s_wait_alu 0xfffe
	s_or_b32 exec_lo, exec_lo, s16
	flat_load_b64 v[28:29], v[20:21] offset:1024
	s_mov_b32 s16, exec_lo
	s_wait_loadcnt_dscnt 0x0
	v_and_b32_e32 v8, 0xff, v28
	s_delay_alu instid0(VALU_DEP_1)
	v_cmpx_ne_u16_e32 0, v8
	s_cbranch_execz .LBB303_275
; %bb.268:                              ;   in Loop: Header=BB303_11 Depth=1
	v_mov_b32_e32 v118, 0x8000
	s_mov_b32 s17, exec_lo
	v_cmpx_ne_u16_e32 0x80, v8
	s_cbranch_execz .LBB303_274
; %bb.269:                              ;   in Loop: Header=BB303_11 Depth=1
	v_and_b32_e32 v119, 0x7f, v28
	v_mov_b32_e32 v118, 0x7c01
	s_mov_b32 s18, exec_lo
	s_delay_alu instid0(VALU_DEP_2)
	v_cmpx_ne_u32_e32 0x7f, v119
	s_cbranch_execz .LBB303_273
; %bb.270:                              ;   in Loop: Header=BB303_11 Depth=1
	v_and_b32_e32 v8, 7, v28
	v_lshrrev_b32_e32 v118, 3, v119
	s_mov_b32 s19, exec_lo
	v_cmpx_gt_u32_e32 8, v119
; %bb.271:                              ;   in Loop: Header=BB303_11 Depth=1
	s_delay_alu instid0(VALU_DEP_3) | instskip(NEXT) | instid1(VALU_DEP_1)
	v_clz_i32_u32_e32 v8, v8
	v_min_u32_e32 v8, 32, v8
	s_delay_alu instid0(VALU_DEP_1) | instskip(NEXT) | instid1(VALU_DEP_1)
	v_subrev_nc_u32_e32 v118, 28, v8
	v_lshlrev_b64_e32 v[128:129], v118, v[28:29]
	v_sub_nc_u32_e32 v118, 29, v8
	s_delay_alu instid0(VALU_DEP_2)
	v_and_b32_e32 v8, 7, v128
; %bb.272:                              ;   in Loop: Header=BB303_11 Depth=1
	s_wait_alu 0xfffe
	s_or_b32 exec_lo, exec_lo, s19
	v_lshlrev_b32_e32 v119, 8, v28
	v_lshl_add_u32 v118, v118, 10, 0x2000
	v_lshlrev_b32_e32 v8, 7, v8
	s_delay_alu instid0(VALU_DEP_3) | instskip(NEXT) | instid1(VALU_DEP_3)
	v_and_b32_e32 v119, 0x8000, v119
	v_and_b32_e32 v118, 0xfc00, v118
	s_delay_alu instid0(VALU_DEP_1)
	v_or3_b32 v118, v119, v118, v8
.LBB303_273:                            ;   in Loop: Header=BB303_11 Depth=1
	s_wait_alu 0xfffe
	s_or_b32 exec_lo, exec_lo, s18
.LBB303_274:                            ;   in Loop: Header=BB303_11 Depth=1
	s_wait_alu 0xfffe
	s_or_b32 exec_lo, exec_lo, s17
.LBB303_275:                            ;   in Loop: Header=BB303_11 Depth=1
	s_wait_alu 0xfffe
	s_or_b32 exec_lo, exec_lo, s16
	v_lshrrev_b16 v8, 8, v28
	v_dual_mov_b32 v128, 0 :: v_dual_mov_b32 v119, 0
	s_mov_b32 s16, exec_lo
	s_delay_alu instid0(VALU_DEP_2)
	v_cmpx_ne_u16_e32 0, v8
	s_cbranch_execz .LBB303_283
; %bb.276:                              ;   in Loop: Header=BB303_11 Depth=1
	v_bfrev_b32_e32 v119, 1
	s_mov_b32 s17, exec_lo
	v_cmpx_ne_u16_e32 0x80, v8
	s_cbranch_execz .LBB303_282
; %bb.277:                              ;   in Loop: Header=BB303_11 Depth=1
	v_and_b32_e32 v129, 0xffff, v8
	v_mov_b32_e32 v119, 0x7c010000
	s_mov_b32 s18, exec_lo
	s_delay_alu instid0(VALU_DEP_2) | instskip(NEXT) | instid1(VALU_DEP_1)
	v_and_b32_e32 v131, 0x7f, v129
	v_cmpx_ne_u32_e32 0x7f, v131
	s_cbranch_execz .LBB303_281
; %bb.278:                              ;   in Loop: Header=BB303_11 Depth=1
	v_and_b32_e32 v119, 7, v129
	v_lshrrev_b32_e32 v130, 3, v131
	s_mov_b32 s19, exec_lo
	v_cmpx_gt_u32_e32 8, v131
; %bb.279:                              ;   in Loop: Header=BB303_11 Depth=1
	s_delay_alu instid0(VALU_DEP_3) | instskip(NEXT) | instid1(VALU_DEP_1)
	v_clz_i32_u32_e32 v119, v119
	v_min_u32_e32 v119, 32, v119
	s_delay_alu instid0(VALU_DEP_1) | instskip(NEXT) | instid1(VALU_DEP_1)
	v_subrev_nc_u32_e32 v130, 28, v119
	v_lshlrev_b64_e32 v[131:132], v130, v[8:9]
	v_sub_nc_u32_e32 v130, 29, v119
	s_delay_alu instid0(VALU_DEP_2)
	v_and_b32_e32 v119, 7, v131
; %bb.280:                              ;   in Loop: Header=BB303_11 Depth=1
	s_wait_alu 0xfffe
	s_or_b32 exec_lo, exec_lo, s19
	v_lshlrev_b32_e32 v8, 8, v129
	v_lshl_add_u32 v129, v130, 10, 0x2000
	v_lshlrev_b32_e32 v119, 23, v119
	s_delay_alu instid0(VALU_DEP_2) | instskip(NEXT) | instid1(VALU_DEP_1)
	v_and_or_b32 v8, 0x8000, v8, v129
	v_lshl_or_b32 v119, v8, 16, v119
.LBB303_281:                            ;   in Loop: Header=BB303_11 Depth=1
	s_wait_alu 0xfffe
	s_or_b32 exec_lo, exec_lo, s18
.LBB303_282:                            ;   in Loop: Header=BB303_11 Depth=1
	s_wait_alu 0xfffe
	s_or_b32 exec_lo, exec_lo, s17
.LBB303_283:                            ;   in Loop: Header=BB303_11 Depth=1
	s_wait_alu 0xfffe
	s_or_b32 exec_lo, exec_lo, s16
	v_lshrrev_b32_e32 v8, 16, v28
	s_mov_b32 s16, exec_lo
	s_delay_alu instid0(VALU_DEP_1) | instskip(NEXT) | instid1(VALU_DEP_1)
	v_and_b32_e32 v129, 0xff, v8
	v_cmpx_ne_u16_e64 0, v129
	s_cbranch_execz .LBB303_291
; %bb.284:                              ;   in Loop: Header=BB303_11 Depth=1
	v_mov_b32_e32 v128, 0x8000
	s_mov_b32 s17, exec_lo
	v_cmpx_ne_u16_e64 0x80, v129
	s_cbranch_execz .LBB303_290
; %bb.285:                              ;   in Loop: Header=BB303_11 Depth=1
	v_bfe_u32 v130, v28, 16, 7
	v_mov_b32_e32 v128, 0x7c01
	s_mov_b32 s18, exec_lo
	s_delay_alu instid0(VALU_DEP_2)
	v_cmpx_ne_u32_e32 0x7f, v130
	s_cbranch_execz .LBB303_289
; %bb.286:                              ;   in Loop: Header=BB303_11 Depth=1
	v_and_b32_e32 v128, 7, v8
	v_lshrrev_b32_e32 v129, 3, v130
	s_mov_b32 s19, exec_lo
	v_cmpx_gt_u32_e32 8, v130
; %bb.287:                              ;   in Loop: Header=BB303_11 Depth=1
	s_delay_alu instid0(VALU_DEP_3) | instskip(NEXT) | instid1(VALU_DEP_1)
	v_clz_i32_u32_e32 v128, v128
	v_min_u32_e32 v130, 32, v128
	s_delay_alu instid0(VALU_DEP_1) | instskip(NEXT) | instid1(VALU_DEP_1)
	v_subrev_nc_u32_e32 v128, 28, v130
	v_lshlrev_b64_e32 v[128:129], v128, v[8:9]
	v_sub_nc_u32_e32 v129, 29, v130
	s_delay_alu instid0(VALU_DEP_2)
	v_and_b32_e32 v128, 7, v128
; %bb.288:                              ;   in Loop: Header=BB303_11 Depth=1
	s_wait_alu 0xfffe
	s_or_b32 exec_lo, exec_lo, s19
	v_lshlrev_b32_e32 v8, 8, v8
	v_lshl_add_u32 v129, v129, 10, 0x2000
	v_lshlrev_b32_e32 v128, 7, v128
	s_delay_alu instid0(VALU_DEP_3) | instskip(NEXT) | instid1(VALU_DEP_3)
	v_and_b32_e32 v8, 0x8000, v8
	v_and_b32_e32 v129, 0xfc00, v129
	s_delay_alu instid0(VALU_DEP_1)
	v_or3_b32 v128, v8, v129, v128
.LBB303_289:                            ;   in Loop: Header=BB303_11 Depth=1
	s_wait_alu 0xfffe
	s_or_b32 exec_lo, exec_lo, s18
.LBB303_290:                            ;   in Loop: Header=BB303_11 Depth=1
	s_wait_alu 0xfffe
	s_or_b32 exec_lo, exec_lo, s17
.LBB303_291:                            ;   in Loop: Header=BB303_11 Depth=1
	s_wait_alu 0xfffe
	s_or_b32 exec_lo, exec_lo, s16
	v_dual_mov_b32 v129, 0 :: v_dual_mov_b32 v130, 0
	s_mov_b32 s16, exec_lo
	v_cmpx_lt_u32_e32 0xffffff, v28
	s_cbranch_execz .LBB303_299
; %bb.292:                              ;   in Loop: Header=BB303_11 Depth=1
	v_lshrrev_b32_e32 v8, 24, v28
	v_bfrev_b32_e32 v130, 1
	s_mov_b32 s17, exec_lo
	s_delay_alu instid0(VALU_DEP_2)
	v_cmpx_ne_u32_e32 0x80, v8
	s_cbranch_execz .LBB303_298
; %bb.293:                              ;   in Loop: Header=BB303_11 Depth=1
	v_and_b32_e32 v132, 0x7f, v8
	v_mov_b32_e32 v130, 0x7c010000
	s_mov_b32 s18, exec_lo
	s_delay_alu instid0(VALU_DEP_2)
	v_cmpx_ne_u32_e32 0x7f, v132
	s_cbranch_execz .LBB303_297
; %bb.294:                              ;   in Loop: Header=BB303_11 Depth=1
	v_and_b32_e32 v130, 7, v8
	v_lshrrev_b32_e32 v131, 3, v132
	s_mov_b32 s19, exec_lo
	v_cmpx_gt_u32_e32 8, v132
; %bb.295:                              ;   in Loop: Header=BB303_11 Depth=1
	s_delay_alu instid0(VALU_DEP_3) | instskip(NEXT) | instid1(VALU_DEP_1)
	v_clz_i32_u32_e32 v130, v130
	v_min_u32_e32 v132, 32, v130
	s_delay_alu instid0(VALU_DEP_1) | instskip(NEXT) | instid1(VALU_DEP_1)
	v_subrev_nc_u32_e32 v130, 28, v132
	v_lshlrev_b64_e32 v[130:131], v130, v[8:9]
	v_sub_nc_u32_e32 v131, 29, v132
	s_delay_alu instid0(VALU_DEP_2)
	v_and_b32_e32 v130, 7, v130
; %bb.296:                              ;   in Loop: Header=BB303_11 Depth=1
	s_wait_alu 0xfffe
	s_or_b32 exec_lo, exec_lo, s19
	v_lshlrev_b32_e32 v8, 8, v8
	v_lshl_add_u32 v131, v131, 10, 0x2000
	v_lshlrev_b32_e32 v130, 23, v130
	s_delay_alu instid0(VALU_DEP_2) | instskip(NEXT) | instid1(VALU_DEP_1)
	v_and_or_b32 v8, 0x8000, v8, v131
	v_lshl_or_b32 v130, v8, 16, v130
.LBB303_297:                            ;   in Loop: Header=BB303_11 Depth=1
	s_wait_alu 0xfffe
	s_or_b32 exec_lo, exec_lo, s18
.LBB303_298:                            ;   in Loop: Header=BB303_11 Depth=1
	s_wait_alu 0xfffe
	s_or_b32 exec_lo, exec_lo, s17
.LBB303_299:                            ;   in Loop: Header=BB303_11 Depth=1
	s_wait_alu 0xfffe
	s_or_b32 exec_lo, exec_lo, s16
	v_dual_mov_b32 v8, v29 :: v_dual_and_b32 v131, 0xff, v29
	s_mov_b32 s16, exec_lo
	s_delay_alu instid0(VALU_DEP_1)
	v_cmpx_ne_u16_e64 0, v131
	s_cbranch_execz .LBB303_307
; %bb.300:                              ;   in Loop: Header=BB303_11 Depth=1
	v_mov_b32_e32 v129, 0x8000
	s_mov_b32 s17, exec_lo
	v_cmpx_ne_u16_e64 0x80, v131
	s_cbranch_execz .LBB303_306
; %bb.301:                              ;   in Loop: Header=BB303_11 Depth=1
	v_and_b32_e32 v132, 0x7f, v29
	v_mov_b32_e32 v129, 0x7c01
	s_mov_b32 s18, exec_lo
	s_delay_alu instid0(VALU_DEP_2)
	v_cmpx_ne_u32_e32 0x7f, v132
	s_cbranch_execz .LBB303_305
; %bb.302:                              ;   in Loop: Header=BB303_11 Depth=1
	v_and_b32_e32 v129, 7, v29
	v_lshrrev_b32_e32 v131, 3, v132
	s_mov_b32 s19, exec_lo
	v_cmpx_gt_u32_e32 8, v132
; %bb.303:                              ;   in Loop: Header=BB303_11 Depth=1
	s_delay_alu instid0(VALU_DEP_3) | instskip(NEXT) | instid1(VALU_DEP_1)
	v_clz_i32_u32_e32 v129, v129
	v_min_u32_e32 v129, 32, v129
	s_delay_alu instid0(VALU_DEP_1) | instskip(NEXT) | instid1(VALU_DEP_1)
	v_subrev_nc_u32_e32 v131, 28, v129
	v_lshlrev_b64_e32 v[132:133], v131, v[8:9]
	v_sub_nc_u32_e32 v131, 29, v129
	s_delay_alu instid0(VALU_DEP_2)
	v_and_b32_e32 v129, 7, v132
; %bb.304:                              ;   in Loop: Header=BB303_11 Depth=1
	s_wait_alu 0xfffe
	s_or_b32 exec_lo, exec_lo, s19
	v_lshlrev_b32_e32 v132, 8, v29
	v_lshl_add_u32 v131, v131, 10, 0x2000
	v_lshlrev_b32_e32 v129, 7, v129
	s_delay_alu instid0(VALU_DEP_3) | instskip(NEXT) | instid1(VALU_DEP_3)
	v_and_b32_e32 v132, 0x8000, v132
	v_and_b32_e32 v131, 0xfc00, v131
	s_delay_alu instid0(VALU_DEP_1)
	v_or3_b32 v129, v132, v131, v129
.LBB303_305:                            ;   in Loop: Header=BB303_11 Depth=1
	s_wait_alu 0xfffe
	s_or_b32 exec_lo, exec_lo, s18
.LBB303_306:                            ;   in Loop: Header=BB303_11 Depth=1
	s_wait_alu 0xfffe
	s_or_b32 exec_lo, exec_lo, s17
.LBB303_307:                            ;   in Loop: Header=BB303_11 Depth=1
	s_wait_alu 0xfffe
	s_or_b32 exec_lo, exec_lo, s16
	v_lshrrev_b16 v8, 8, v8
	v_dual_mov_b32 v131, 0 :: v_dual_mov_b32 v132, 0
	s_mov_b32 s16, exec_lo
	s_delay_alu instid0(VALU_DEP_2)
	v_cmpx_ne_u16_e32 0, v8
	s_cbranch_execz .LBB303_315
; %bb.308:                              ;   in Loop: Header=BB303_11 Depth=1
	v_bfrev_b32_e32 v132, 1
	s_mov_b32 s17, exec_lo
	v_cmpx_ne_u16_e32 0x80, v8
	s_cbranch_execz .LBB303_314
; %bb.309:                              ;   in Loop: Header=BB303_11 Depth=1
	v_and_b32_e32 v133, 0xffff, v8
	v_mov_b32_e32 v132, 0x7c010000
	s_mov_b32 s18, exec_lo
	s_delay_alu instid0(VALU_DEP_2) | instskip(NEXT) | instid1(VALU_DEP_1)
	v_and_b32_e32 v135, 0x7f, v133
	v_cmpx_ne_u32_e32 0x7f, v135
	s_cbranch_execz .LBB303_313
; %bb.310:                              ;   in Loop: Header=BB303_11 Depth=1
	v_and_b32_e32 v132, 7, v133
	v_lshrrev_b32_e32 v134, 3, v135
	s_mov_b32 s19, exec_lo
	v_cmpx_gt_u32_e32 8, v135
; %bb.311:                              ;   in Loop: Header=BB303_11 Depth=1
	s_delay_alu instid0(VALU_DEP_3) | instskip(NEXT) | instid1(VALU_DEP_1)
	v_clz_i32_u32_e32 v132, v132
	v_min_u32_e32 v132, 32, v132
	s_delay_alu instid0(VALU_DEP_1) | instskip(NEXT) | instid1(VALU_DEP_1)
	v_subrev_nc_u32_e32 v134, 28, v132
	v_lshlrev_b64_e32 v[144:145], v134, v[8:9]
	v_sub_nc_u32_e32 v134, 29, v132
	s_delay_alu instid0(VALU_DEP_2)
	v_and_b32_e32 v132, 7, v144
; %bb.312:                              ;   in Loop: Header=BB303_11 Depth=1
	s_wait_alu 0xfffe
	s_or_b32 exec_lo, exec_lo, s19
	v_lshlrev_b32_e32 v8, 8, v133
	v_lshl_add_u32 v133, v134, 10, 0x2000
	v_lshlrev_b32_e32 v132, 23, v132
	s_delay_alu instid0(VALU_DEP_2) | instskip(NEXT) | instid1(VALU_DEP_1)
	v_and_or_b32 v8, 0x8000, v8, v133
	v_lshl_or_b32 v132, v8, 16, v132
.LBB303_313:                            ;   in Loop: Header=BB303_11 Depth=1
	s_wait_alu 0xfffe
	s_or_b32 exec_lo, exec_lo, s18
.LBB303_314:                            ;   in Loop: Header=BB303_11 Depth=1
	s_wait_alu 0xfffe
	s_or_b32 exec_lo, exec_lo, s17
.LBB303_315:                            ;   in Loop: Header=BB303_11 Depth=1
	s_wait_alu 0xfffe
	s_or_b32 exec_lo, exec_lo, s16
	v_lshrrev_b32_e32 v8, 16, v29
	s_mov_b32 s16, exec_lo
	s_delay_alu instid0(VALU_DEP_1) | instskip(NEXT) | instid1(VALU_DEP_1)
	v_and_b32_e32 v133, 0xff, v8
	v_cmpx_ne_u16_e64 0, v133
	s_cbranch_execz .LBB303_323
; %bb.316:                              ;   in Loop: Header=BB303_11 Depth=1
	v_mov_b32_e32 v131, 0x8000
	s_mov_b32 s17, exec_lo
	v_cmpx_ne_u16_e64 0x80, v133
	s_cbranch_execz .LBB303_322
; %bb.317:                              ;   in Loop: Header=BB303_11 Depth=1
	v_bfe_u32 v134, v29, 16, 7
	v_mov_b32_e32 v131, 0x7c01
	s_mov_b32 s18, exec_lo
	s_delay_alu instid0(VALU_DEP_2)
	v_cmpx_ne_u32_e32 0x7f, v134
	s_cbranch_execz .LBB303_321
; %bb.318:                              ;   in Loop: Header=BB303_11 Depth=1
	v_and_b32_e32 v131, 7, v8
	v_lshrrev_b32_e32 v133, 3, v134
	s_mov_b32 s19, exec_lo
	v_cmpx_gt_u32_e32 8, v134
; %bb.319:                              ;   in Loop: Header=BB303_11 Depth=1
	s_delay_alu instid0(VALU_DEP_3) | instskip(NEXT) | instid1(VALU_DEP_1)
	v_clz_i32_u32_e32 v131, v131
	v_min_u32_e32 v131, 32, v131
	s_delay_alu instid0(VALU_DEP_1) | instskip(NEXT) | instid1(VALU_DEP_1)
	v_subrev_nc_u32_e32 v133, 28, v131
	v_lshlrev_b64_e32 v[134:135], v133, v[8:9]
	v_sub_nc_u32_e32 v133, 29, v131
	s_delay_alu instid0(VALU_DEP_2)
	v_and_b32_e32 v131, 7, v134
; %bb.320:                              ;   in Loop: Header=BB303_11 Depth=1
	s_wait_alu 0xfffe
	s_or_b32 exec_lo, exec_lo, s19
	v_lshlrev_b32_e32 v8, 8, v8
	v_lshl_add_u32 v133, v133, 10, 0x2000
	v_lshlrev_b32_e32 v131, 7, v131
	s_delay_alu instid0(VALU_DEP_3) | instskip(NEXT) | instid1(VALU_DEP_3)
	v_and_b32_e32 v8, 0x8000, v8
	v_and_b32_e32 v133, 0xfc00, v133
	s_delay_alu instid0(VALU_DEP_1)
	v_or3_b32 v131, v8, v133, v131
.LBB303_321:                            ;   in Loop: Header=BB303_11 Depth=1
	s_wait_alu 0xfffe
	s_or_b32 exec_lo, exec_lo, s18
.LBB303_322:                            ;   in Loop: Header=BB303_11 Depth=1
	s_wait_alu 0xfffe
	s_or_b32 exec_lo, exec_lo, s17
.LBB303_323:                            ;   in Loop: Header=BB303_11 Depth=1
	s_wait_alu 0xfffe
	s_or_b32 exec_lo, exec_lo, s16
	v_dual_mov_b32 v134, 0 :: v_dual_mov_b32 v133, 0
	s_mov_b32 s16, exec_lo
	v_cmpx_lt_u64_e64 s[2:3], v[28:29]
	s_cbranch_execz .LBB303_331
; %bb.324:                              ;   in Loop: Header=BB303_11 Depth=1
	v_lshrrev_b32_e32 v8, 24, v29
	v_bfrev_b32_e32 v133, 1
	s_mov_b32 s17, exec_lo
	s_delay_alu instid0(VALU_DEP_2)
	v_cmpx_ne_u32_e32 0x80, v8
	s_cbranch_execz .LBB303_330
; %bb.325:                              ;   in Loop: Header=BB303_11 Depth=1
	v_and_b32_e32 v135, 0x7f, v8
	v_mov_b32_e32 v133, 0x7c010000
	s_mov_b32 s18, exec_lo
	s_delay_alu instid0(VALU_DEP_2)
	v_cmpx_ne_u32_e32 0x7f, v135
	s_cbranch_execz .LBB303_329
; %bb.326:                              ;   in Loop: Header=BB303_11 Depth=1
	v_and_b32_e32 v28, 7, v8
	v_lshrrev_b32_e32 v29, 3, v135
	s_mov_b32 s19, exec_lo
	v_cmpx_gt_u32_e32 8, v135
; %bb.327:                              ;   in Loop: Header=BB303_11 Depth=1
	s_delay_alu instid0(VALU_DEP_3) | instskip(NEXT) | instid1(VALU_DEP_1)
	v_clz_i32_u32_e32 v28, v28
	v_min_u32_e32 v133, 32, v28
	s_delay_alu instid0(VALU_DEP_1) | instskip(NEXT) | instid1(VALU_DEP_1)
	v_subrev_nc_u32_e32 v28, 28, v133
	v_lshlrev_b64_e32 v[28:29], v28, v[8:9]
	v_sub_nc_u32_e32 v29, 29, v133
	s_delay_alu instid0(VALU_DEP_2)
	v_and_b32_e32 v28, 7, v28
; %bb.328:                              ;   in Loop: Header=BB303_11 Depth=1
	s_wait_alu 0xfffe
	s_or_b32 exec_lo, exec_lo, s19
	v_lshlrev_b32_e32 v8, 8, v8
	v_lshl_add_u32 v29, v29, 10, 0x2000
	v_lshlrev_b32_e32 v28, 23, v28
	s_delay_alu instid0(VALU_DEP_2) | instskip(NEXT) | instid1(VALU_DEP_1)
	v_and_or_b32 v8, 0x8000, v8, v29
	v_lshl_or_b32 v133, v8, 16, v28
.LBB303_329:                            ;   in Loop: Header=BB303_11 Depth=1
	s_wait_alu 0xfffe
	s_or_b32 exec_lo, exec_lo, s18
.LBB303_330:                            ;   in Loop: Header=BB303_11 Depth=1
	s_wait_alu 0xfffe
	s_or_b32 exec_lo, exec_lo, s17
.LBB303_331:                            ;   in Loop: Header=BB303_11 Depth=1
	s_wait_alu 0xfffe
	s_or_b32 exec_lo, exec_lo, s16
	flat_load_b64 v[28:29], v[20:21] offset:1032
	s_mov_b32 s16, exec_lo
	s_wait_loadcnt_dscnt 0x0
	v_and_b32_e32 v8, 0xff, v28
	s_delay_alu instid0(VALU_DEP_1)
	v_cmpx_ne_u16_e32 0, v8
	s_cbranch_execz .LBB303_339
; %bb.332:                              ;   in Loop: Header=BB303_11 Depth=1
	v_mov_b32_e32 v134, 0x8000
	s_mov_b32 s17, exec_lo
	v_cmpx_ne_u16_e32 0x80, v8
	s_cbranch_execz .LBB303_338
; %bb.333:                              ;   in Loop: Header=BB303_11 Depth=1
	v_and_b32_e32 v135, 0x7f, v28
	v_mov_b32_e32 v134, 0x7c01
	s_mov_b32 s18, exec_lo
	s_delay_alu instid0(VALU_DEP_2)
	v_cmpx_ne_u32_e32 0x7f, v135
	s_cbranch_execz .LBB303_337
; %bb.334:                              ;   in Loop: Header=BB303_11 Depth=1
	v_and_b32_e32 v8, 7, v28
	v_lshrrev_b32_e32 v134, 3, v135
	s_mov_b32 s19, exec_lo
	v_cmpx_gt_u32_e32 8, v135
; %bb.335:                              ;   in Loop: Header=BB303_11 Depth=1
	s_delay_alu instid0(VALU_DEP_3) | instskip(NEXT) | instid1(VALU_DEP_1)
	v_clz_i32_u32_e32 v8, v8
	v_min_u32_e32 v8, 32, v8
	s_delay_alu instid0(VALU_DEP_1) | instskip(NEXT) | instid1(VALU_DEP_1)
	v_subrev_nc_u32_e32 v134, 28, v8
	v_lshlrev_b64_e32 v[144:145], v134, v[28:29]
	v_sub_nc_u32_e32 v134, 29, v8
	s_delay_alu instid0(VALU_DEP_2)
	v_and_b32_e32 v8, 7, v144
; %bb.336:                              ;   in Loop: Header=BB303_11 Depth=1
	s_wait_alu 0xfffe
	s_or_b32 exec_lo, exec_lo, s19
	v_lshlrev_b32_e32 v135, 8, v28
	v_lshl_add_u32 v134, v134, 10, 0x2000
	v_lshlrev_b32_e32 v8, 7, v8
	s_delay_alu instid0(VALU_DEP_3) | instskip(NEXT) | instid1(VALU_DEP_3)
	v_and_b32_e32 v135, 0x8000, v135
	v_and_b32_e32 v134, 0xfc00, v134
	s_delay_alu instid0(VALU_DEP_1)
	v_or3_b32 v134, v135, v134, v8
.LBB303_337:                            ;   in Loop: Header=BB303_11 Depth=1
	s_wait_alu 0xfffe
	s_or_b32 exec_lo, exec_lo, s18
.LBB303_338:                            ;   in Loop: Header=BB303_11 Depth=1
	s_wait_alu 0xfffe
	s_or_b32 exec_lo, exec_lo, s17
.LBB303_339:                            ;   in Loop: Header=BB303_11 Depth=1
	s_wait_alu 0xfffe
	s_or_b32 exec_lo, exec_lo, s16
	v_lshrrev_b16 v8, 8, v28
	v_dual_mov_b32 v144, 0 :: v_dual_mov_b32 v135, 0
	s_mov_b32 s16, exec_lo
	s_delay_alu instid0(VALU_DEP_2)
	v_cmpx_ne_u16_e32 0, v8
	s_cbranch_execz .LBB303_347
; %bb.340:                              ;   in Loop: Header=BB303_11 Depth=1
	v_bfrev_b32_e32 v135, 1
	s_mov_b32 s17, exec_lo
	v_cmpx_ne_u16_e32 0x80, v8
	s_cbranch_execz .LBB303_346
; %bb.341:                              ;   in Loop: Header=BB303_11 Depth=1
	v_and_b32_e32 v145, 0xffff, v8
	v_mov_b32_e32 v135, 0x7c010000
	s_mov_b32 s18, exec_lo
	s_delay_alu instid0(VALU_DEP_2) | instskip(NEXT) | instid1(VALU_DEP_1)
	v_and_b32_e32 v147, 0x7f, v145
	v_cmpx_ne_u32_e32 0x7f, v147
	s_cbranch_execz .LBB303_345
; %bb.342:                              ;   in Loop: Header=BB303_11 Depth=1
	v_and_b32_e32 v135, 7, v145
	v_lshrrev_b32_e32 v146, 3, v147
	s_mov_b32 s19, exec_lo
	v_cmpx_gt_u32_e32 8, v147
; %bb.343:                              ;   in Loop: Header=BB303_11 Depth=1
	s_delay_alu instid0(VALU_DEP_3) | instskip(NEXT) | instid1(VALU_DEP_1)
	v_clz_i32_u32_e32 v135, v135
	v_min_u32_e32 v135, 32, v135
	s_delay_alu instid0(VALU_DEP_1) | instskip(NEXT) | instid1(VALU_DEP_1)
	v_subrev_nc_u32_e32 v146, 28, v135
	v_lshlrev_b64_e32 v[147:148], v146, v[8:9]
	v_sub_nc_u32_e32 v146, 29, v135
	s_delay_alu instid0(VALU_DEP_2)
	v_and_b32_e32 v135, 7, v147
; %bb.344:                              ;   in Loop: Header=BB303_11 Depth=1
	s_wait_alu 0xfffe
	s_or_b32 exec_lo, exec_lo, s19
	v_lshlrev_b32_e32 v8, 8, v145
	v_lshl_add_u32 v145, v146, 10, 0x2000
	v_lshlrev_b32_e32 v135, 23, v135
	s_delay_alu instid0(VALU_DEP_2) | instskip(NEXT) | instid1(VALU_DEP_1)
	v_and_or_b32 v8, 0x8000, v8, v145
	v_lshl_or_b32 v135, v8, 16, v135
.LBB303_345:                            ;   in Loop: Header=BB303_11 Depth=1
	s_wait_alu 0xfffe
	s_or_b32 exec_lo, exec_lo, s18
.LBB303_346:                            ;   in Loop: Header=BB303_11 Depth=1
	s_wait_alu 0xfffe
	s_or_b32 exec_lo, exec_lo, s17
.LBB303_347:                            ;   in Loop: Header=BB303_11 Depth=1
	s_wait_alu 0xfffe
	s_or_b32 exec_lo, exec_lo, s16
	v_lshrrev_b32_e32 v8, 16, v28
	s_mov_b32 s16, exec_lo
	s_delay_alu instid0(VALU_DEP_1) | instskip(NEXT) | instid1(VALU_DEP_1)
	v_and_b32_e32 v145, 0xff, v8
	v_cmpx_ne_u16_e64 0, v145
	s_cbranch_execz .LBB303_355
; %bb.348:                              ;   in Loop: Header=BB303_11 Depth=1
	v_mov_b32_e32 v144, 0x8000
	s_mov_b32 s17, exec_lo
	v_cmpx_ne_u16_e64 0x80, v145
	s_cbranch_execz .LBB303_354
; %bb.349:                              ;   in Loop: Header=BB303_11 Depth=1
	v_bfe_u32 v146, v28, 16, 7
	v_mov_b32_e32 v144, 0x7c01
	s_mov_b32 s18, exec_lo
	s_delay_alu instid0(VALU_DEP_2)
	v_cmpx_ne_u32_e32 0x7f, v146
	s_cbranch_execz .LBB303_353
; %bb.350:                              ;   in Loop: Header=BB303_11 Depth=1
	v_and_b32_e32 v144, 7, v8
	v_lshrrev_b32_e32 v145, 3, v146
	s_mov_b32 s19, exec_lo
	v_cmpx_gt_u32_e32 8, v146
; %bb.351:                              ;   in Loop: Header=BB303_11 Depth=1
	s_delay_alu instid0(VALU_DEP_3) | instskip(NEXT) | instid1(VALU_DEP_1)
	v_clz_i32_u32_e32 v144, v144
	v_min_u32_e32 v146, 32, v144
	s_delay_alu instid0(VALU_DEP_1) | instskip(NEXT) | instid1(VALU_DEP_1)
	v_subrev_nc_u32_e32 v144, 28, v146
	v_lshlrev_b64_e32 v[144:145], v144, v[8:9]
	v_sub_nc_u32_e32 v145, 29, v146
	s_delay_alu instid0(VALU_DEP_2)
	v_and_b32_e32 v144, 7, v144
; %bb.352:                              ;   in Loop: Header=BB303_11 Depth=1
	s_wait_alu 0xfffe
	s_or_b32 exec_lo, exec_lo, s19
	v_lshlrev_b32_e32 v8, 8, v8
	v_lshl_add_u32 v145, v145, 10, 0x2000
	v_lshlrev_b32_e32 v144, 7, v144
	s_delay_alu instid0(VALU_DEP_3) | instskip(NEXT) | instid1(VALU_DEP_3)
	v_and_b32_e32 v8, 0x8000, v8
	v_and_b32_e32 v145, 0xfc00, v145
	s_delay_alu instid0(VALU_DEP_1)
	v_or3_b32 v144, v8, v145, v144
.LBB303_353:                            ;   in Loop: Header=BB303_11 Depth=1
	s_wait_alu 0xfffe
	s_or_b32 exec_lo, exec_lo, s18
.LBB303_354:                            ;   in Loop: Header=BB303_11 Depth=1
	s_wait_alu 0xfffe
	s_or_b32 exec_lo, exec_lo, s17
.LBB303_355:                            ;   in Loop: Header=BB303_11 Depth=1
	s_wait_alu 0xfffe
	s_or_b32 exec_lo, exec_lo, s16
	v_dual_mov_b32 v145, 0 :: v_dual_mov_b32 v146, 0
	s_mov_b32 s16, exec_lo
	v_cmpx_lt_u32_e32 0xffffff, v28
	s_cbranch_execz .LBB303_363
; %bb.356:                              ;   in Loop: Header=BB303_11 Depth=1
	v_lshrrev_b32_e32 v8, 24, v28
	v_bfrev_b32_e32 v146, 1
	s_mov_b32 s17, exec_lo
	s_delay_alu instid0(VALU_DEP_2)
	v_cmpx_ne_u32_e32 0x80, v8
	s_cbranch_execz .LBB303_362
; %bb.357:                              ;   in Loop: Header=BB303_11 Depth=1
	v_and_b32_e32 v148, 0x7f, v8
	v_mov_b32_e32 v146, 0x7c010000
	s_mov_b32 s18, exec_lo
	s_delay_alu instid0(VALU_DEP_2)
	v_cmpx_ne_u32_e32 0x7f, v148
	s_cbranch_execz .LBB303_361
; %bb.358:                              ;   in Loop: Header=BB303_11 Depth=1
	v_and_b32_e32 v146, 7, v8
	v_lshrrev_b32_e32 v147, 3, v148
	s_mov_b32 s19, exec_lo
	v_cmpx_gt_u32_e32 8, v148
; %bb.359:                              ;   in Loop: Header=BB303_11 Depth=1
	s_delay_alu instid0(VALU_DEP_3) | instskip(NEXT) | instid1(VALU_DEP_1)
	v_clz_i32_u32_e32 v146, v146
	v_min_u32_e32 v148, 32, v146
	s_delay_alu instid0(VALU_DEP_1) | instskip(NEXT) | instid1(VALU_DEP_1)
	v_subrev_nc_u32_e32 v146, 28, v148
	v_lshlrev_b64_e32 v[146:147], v146, v[8:9]
	v_sub_nc_u32_e32 v147, 29, v148
	s_delay_alu instid0(VALU_DEP_2)
	v_and_b32_e32 v146, 7, v146
; %bb.360:                              ;   in Loop: Header=BB303_11 Depth=1
	s_wait_alu 0xfffe
	s_or_b32 exec_lo, exec_lo, s19
	v_lshlrev_b32_e32 v8, 8, v8
	v_lshl_add_u32 v147, v147, 10, 0x2000
	v_lshlrev_b32_e32 v146, 23, v146
	s_delay_alu instid0(VALU_DEP_2) | instskip(NEXT) | instid1(VALU_DEP_1)
	v_and_or_b32 v8, 0x8000, v8, v147
	v_lshl_or_b32 v146, v8, 16, v146
.LBB303_361:                            ;   in Loop: Header=BB303_11 Depth=1
	s_wait_alu 0xfffe
	s_or_b32 exec_lo, exec_lo, s18
.LBB303_362:                            ;   in Loop: Header=BB303_11 Depth=1
	s_wait_alu 0xfffe
	s_or_b32 exec_lo, exec_lo, s17
.LBB303_363:                            ;   in Loop: Header=BB303_11 Depth=1
	s_wait_alu 0xfffe
	s_or_b32 exec_lo, exec_lo, s16
	v_dual_mov_b32 v8, v29 :: v_dual_and_b32 v147, 0xff, v29
	s_mov_b32 s16, exec_lo
	s_delay_alu instid0(VALU_DEP_1)
	v_cmpx_ne_u16_e64 0, v147
	s_cbranch_execz .LBB303_371
; %bb.364:                              ;   in Loop: Header=BB303_11 Depth=1
	v_mov_b32_e32 v145, 0x8000
	s_mov_b32 s17, exec_lo
	v_cmpx_ne_u16_e64 0x80, v147
	s_cbranch_execz .LBB303_370
; %bb.365:                              ;   in Loop: Header=BB303_11 Depth=1
	v_and_b32_e32 v148, 0x7f, v29
	v_mov_b32_e32 v145, 0x7c01
	s_mov_b32 s18, exec_lo
	s_delay_alu instid0(VALU_DEP_2)
	v_cmpx_ne_u32_e32 0x7f, v148
	s_cbranch_execz .LBB303_369
; %bb.366:                              ;   in Loop: Header=BB303_11 Depth=1
	v_and_b32_e32 v145, 7, v29
	v_lshrrev_b32_e32 v147, 3, v148
	s_mov_b32 s19, exec_lo
	v_cmpx_gt_u32_e32 8, v148
; %bb.367:                              ;   in Loop: Header=BB303_11 Depth=1
	s_delay_alu instid0(VALU_DEP_3) | instskip(NEXT) | instid1(VALU_DEP_1)
	v_clz_i32_u32_e32 v145, v145
	v_min_u32_e32 v145, 32, v145
	s_delay_alu instid0(VALU_DEP_1) | instskip(NEXT) | instid1(VALU_DEP_1)
	v_subrev_nc_u32_e32 v147, 28, v145
	v_lshlrev_b64_e32 v[148:149], v147, v[8:9]
	v_sub_nc_u32_e32 v147, 29, v145
	s_delay_alu instid0(VALU_DEP_2)
	v_and_b32_e32 v145, 7, v148
; %bb.368:                              ;   in Loop: Header=BB303_11 Depth=1
	s_wait_alu 0xfffe
	s_or_b32 exec_lo, exec_lo, s19
	v_lshlrev_b32_e32 v148, 8, v29
	v_lshl_add_u32 v147, v147, 10, 0x2000
	v_lshlrev_b32_e32 v145, 7, v145
	s_delay_alu instid0(VALU_DEP_3) | instskip(NEXT) | instid1(VALU_DEP_3)
	v_and_b32_e32 v148, 0x8000, v148
	v_and_b32_e32 v147, 0xfc00, v147
	s_delay_alu instid0(VALU_DEP_1)
	v_or3_b32 v145, v148, v147, v145
.LBB303_369:                            ;   in Loop: Header=BB303_11 Depth=1
	s_wait_alu 0xfffe
	s_or_b32 exec_lo, exec_lo, s18
.LBB303_370:                            ;   in Loop: Header=BB303_11 Depth=1
	s_wait_alu 0xfffe
	s_or_b32 exec_lo, exec_lo, s17
.LBB303_371:                            ;   in Loop: Header=BB303_11 Depth=1
	s_wait_alu 0xfffe
	s_or_b32 exec_lo, exec_lo, s16
	v_lshrrev_b16 v8, 8, v8
	v_dual_mov_b32 v147, 0 :: v_dual_mov_b32 v148, 0
	s_mov_b32 s16, exec_lo
	s_delay_alu instid0(VALU_DEP_2)
	v_cmpx_ne_u16_e32 0, v8
	s_cbranch_execz .LBB303_379
; %bb.372:                              ;   in Loop: Header=BB303_11 Depth=1
	v_bfrev_b32_e32 v148, 1
	s_mov_b32 s17, exec_lo
	v_cmpx_ne_u16_e32 0x80, v8
	s_cbranch_execz .LBB303_378
; %bb.373:                              ;   in Loop: Header=BB303_11 Depth=1
	v_and_b32_e32 v149, 0xffff, v8
	v_mov_b32_e32 v148, 0x7c010000
	s_mov_b32 s18, exec_lo
	s_delay_alu instid0(VALU_DEP_2) | instskip(NEXT) | instid1(VALU_DEP_1)
	v_and_b32_e32 v151, 0x7f, v149
	v_cmpx_ne_u32_e32 0x7f, v151
	s_cbranch_execz .LBB303_377
; %bb.374:                              ;   in Loop: Header=BB303_11 Depth=1
	v_and_b32_e32 v148, 7, v149
	v_lshrrev_b32_e32 v150, 3, v151
	s_mov_b32 s19, exec_lo
	v_cmpx_gt_u32_e32 8, v151
; %bb.375:                              ;   in Loop: Header=BB303_11 Depth=1
	s_delay_alu instid0(VALU_DEP_3) | instskip(NEXT) | instid1(VALU_DEP_1)
	v_clz_i32_u32_e32 v148, v148
	v_min_u32_e32 v148, 32, v148
	s_delay_alu instid0(VALU_DEP_1) | instskip(NEXT) | instid1(VALU_DEP_1)
	v_subrev_nc_u32_e32 v150, 28, v148
	v_lshlrev_b64_e32 v[160:161], v150, v[8:9]
	v_sub_nc_u32_e32 v150, 29, v148
	s_delay_alu instid0(VALU_DEP_2)
	v_and_b32_e32 v148, 7, v160
; %bb.376:                              ;   in Loop: Header=BB303_11 Depth=1
	s_wait_alu 0xfffe
	s_or_b32 exec_lo, exec_lo, s19
	v_lshlrev_b32_e32 v8, 8, v149
	v_lshl_add_u32 v149, v150, 10, 0x2000
	v_lshlrev_b32_e32 v148, 23, v148
	s_delay_alu instid0(VALU_DEP_2) | instskip(NEXT) | instid1(VALU_DEP_1)
	v_and_or_b32 v8, 0x8000, v8, v149
	v_lshl_or_b32 v148, v8, 16, v148
.LBB303_377:                            ;   in Loop: Header=BB303_11 Depth=1
	s_wait_alu 0xfffe
	s_or_b32 exec_lo, exec_lo, s18
.LBB303_378:                            ;   in Loop: Header=BB303_11 Depth=1
	s_wait_alu 0xfffe
	s_or_b32 exec_lo, exec_lo, s17
.LBB303_379:                            ;   in Loop: Header=BB303_11 Depth=1
	s_wait_alu 0xfffe
	s_or_b32 exec_lo, exec_lo, s16
	v_lshrrev_b32_e32 v8, 16, v29
	s_mov_b32 s16, exec_lo
	s_delay_alu instid0(VALU_DEP_1) | instskip(NEXT) | instid1(VALU_DEP_1)
	v_and_b32_e32 v149, 0xff, v8
	v_cmpx_ne_u16_e64 0, v149
	s_cbranch_execz .LBB303_387
; %bb.380:                              ;   in Loop: Header=BB303_11 Depth=1
	v_mov_b32_e32 v147, 0x8000
	s_mov_b32 s17, exec_lo
	v_cmpx_ne_u16_e64 0x80, v149
	s_cbranch_execz .LBB303_386
; %bb.381:                              ;   in Loop: Header=BB303_11 Depth=1
	v_bfe_u32 v150, v29, 16, 7
	v_mov_b32_e32 v147, 0x7c01
	s_mov_b32 s18, exec_lo
	s_delay_alu instid0(VALU_DEP_2)
	v_cmpx_ne_u32_e32 0x7f, v150
	s_cbranch_execz .LBB303_385
; %bb.382:                              ;   in Loop: Header=BB303_11 Depth=1
	v_and_b32_e32 v147, 7, v8
	v_lshrrev_b32_e32 v149, 3, v150
	s_mov_b32 s19, exec_lo
	v_cmpx_gt_u32_e32 8, v150
; %bb.383:                              ;   in Loop: Header=BB303_11 Depth=1
	s_delay_alu instid0(VALU_DEP_3) | instskip(NEXT) | instid1(VALU_DEP_1)
	v_clz_i32_u32_e32 v147, v147
	v_min_u32_e32 v147, 32, v147
	s_delay_alu instid0(VALU_DEP_1) | instskip(NEXT) | instid1(VALU_DEP_1)
	v_subrev_nc_u32_e32 v149, 28, v147
	v_lshlrev_b64_e32 v[150:151], v149, v[8:9]
	v_sub_nc_u32_e32 v149, 29, v147
	s_delay_alu instid0(VALU_DEP_2)
	v_and_b32_e32 v147, 7, v150
; %bb.384:                              ;   in Loop: Header=BB303_11 Depth=1
	s_wait_alu 0xfffe
	s_or_b32 exec_lo, exec_lo, s19
	v_lshlrev_b32_e32 v8, 8, v8
	v_lshl_add_u32 v149, v149, 10, 0x2000
	v_lshlrev_b32_e32 v147, 7, v147
	s_delay_alu instid0(VALU_DEP_3) | instskip(NEXT) | instid1(VALU_DEP_3)
	v_and_b32_e32 v8, 0x8000, v8
	v_and_b32_e32 v149, 0xfc00, v149
	s_delay_alu instid0(VALU_DEP_1)
	v_or3_b32 v147, v8, v149, v147
.LBB303_385:                            ;   in Loop: Header=BB303_11 Depth=1
	s_wait_alu 0xfffe
	s_or_b32 exec_lo, exec_lo, s18
.LBB303_386:                            ;   in Loop: Header=BB303_11 Depth=1
	s_wait_alu 0xfffe
	s_or_b32 exec_lo, exec_lo, s17
.LBB303_387:                            ;   in Loop: Header=BB303_11 Depth=1
	s_wait_alu 0xfffe
	s_or_b32 exec_lo, exec_lo, s16
	v_dual_mov_b32 v150, 0 :: v_dual_mov_b32 v149, 0
	s_mov_b32 s16, exec_lo
	v_cmpx_lt_u64_e64 s[2:3], v[28:29]
	s_cbranch_execz .LBB303_395
; %bb.388:                              ;   in Loop: Header=BB303_11 Depth=1
	v_lshrrev_b32_e32 v8, 24, v29
	v_bfrev_b32_e32 v149, 1
	s_mov_b32 s17, exec_lo
	s_delay_alu instid0(VALU_DEP_2)
	v_cmpx_ne_u32_e32 0x80, v8
	s_cbranch_execz .LBB303_394
; %bb.389:                              ;   in Loop: Header=BB303_11 Depth=1
	v_and_b32_e32 v151, 0x7f, v8
	v_mov_b32_e32 v149, 0x7c010000
	s_mov_b32 s18, exec_lo
	s_delay_alu instid0(VALU_DEP_2)
	v_cmpx_ne_u32_e32 0x7f, v151
	s_cbranch_execz .LBB303_393
; %bb.390:                              ;   in Loop: Header=BB303_11 Depth=1
	v_and_b32_e32 v28, 7, v8
	v_lshrrev_b32_e32 v29, 3, v151
	s_mov_b32 s19, exec_lo
	v_cmpx_gt_u32_e32 8, v151
; %bb.391:                              ;   in Loop: Header=BB303_11 Depth=1
	s_delay_alu instid0(VALU_DEP_3) | instskip(NEXT) | instid1(VALU_DEP_1)
	v_clz_i32_u32_e32 v28, v28
	v_min_u32_e32 v149, 32, v28
	s_delay_alu instid0(VALU_DEP_1) | instskip(NEXT) | instid1(VALU_DEP_1)
	v_subrev_nc_u32_e32 v28, 28, v149
	v_lshlrev_b64_e32 v[28:29], v28, v[8:9]
	v_sub_nc_u32_e32 v29, 29, v149
	s_delay_alu instid0(VALU_DEP_2)
	v_and_b32_e32 v28, 7, v28
; %bb.392:                              ;   in Loop: Header=BB303_11 Depth=1
	s_wait_alu 0xfffe
	s_or_b32 exec_lo, exec_lo, s19
	v_lshlrev_b32_e32 v8, 8, v8
	v_lshl_add_u32 v29, v29, 10, 0x2000
	v_lshlrev_b32_e32 v28, 23, v28
	s_delay_alu instid0(VALU_DEP_2) | instskip(NEXT) | instid1(VALU_DEP_1)
	v_and_or_b32 v8, 0x8000, v8, v29
	v_lshl_or_b32 v149, v8, 16, v28
.LBB303_393:                            ;   in Loop: Header=BB303_11 Depth=1
	s_wait_alu 0xfffe
	s_or_b32 exec_lo, exec_lo, s18
.LBB303_394:                            ;   in Loop: Header=BB303_11 Depth=1
	s_wait_alu 0xfffe
	s_or_b32 exec_lo, exec_lo, s17
.LBB303_395:                            ;   in Loop: Header=BB303_11 Depth=1
	s_wait_alu 0xfffe
	s_or_b32 exec_lo, exec_lo, s16
	flat_load_b64 v[28:29], v[20:21] offset:1536
	s_mov_b32 s16, exec_lo
	s_wait_loadcnt_dscnt 0x0
	v_and_b32_e32 v8, 0xff, v28
	s_delay_alu instid0(VALU_DEP_1)
	v_cmpx_ne_u16_e32 0, v8
	s_cbranch_execz .LBB303_403
; %bb.396:                              ;   in Loop: Header=BB303_11 Depth=1
	v_mov_b32_e32 v150, 0x8000
	s_mov_b32 s17, exec_lo
	v_cmpx_ne_u16_e32 0x80, v8
	s_cbranch_execz .LBB303_402
; %bb.397:                              ;   in Loop: Header=BB303_11 Depth=1
	v_and_b32_e32 v151, 0x7f, v28
	v_mov_b32_e32 v150, 0x7c01
	s_mov_b32 s18, exec_lo
	s_delay_alu instid0(VALU_DEP_2)
	v_cmpx_ne_u32_e32 0x7f, v151
	s_cbranch_execz .LBB303_401
; %bb.398:                              ;   in Loop: Header=BB303_11 Depth=1
	v_and_b32_e32 v8, 7, v28
	v_lshrrev_b32_e32 v150, 3, v151
	s_mov_b32 s19, exec_lo
	v_cmpx_gt_u32_e32 8, v151
; %bb.399:                              ;   in Loop: Header=BB303_11 Depth=1
	s_delay_alu instid0(VALU_DEP_3) | instskip(NEXT) | instid1(VALU_DEP_1)
	v_clz_i32_u32_e32 v8, v8
	v_min_u32_e32 v8, 32, v8
	s_delay_alu instid0(VALU_DEP_1) | instskip(NEXT) | instid1(VALU_DEP_1)
	v_subrev_nc_u32_e32 v150, 28, v8
	v_lshlrev_b64_e32 v[160:161], v150, v[28:29]
	v_sub_nc_u32_e32 v150, 29, v8
	s_delay_alu instid0(VALU_DEP_2)
	v_and_b32_e32 v8, 7, v160
; %bb.400:                              ;   in Loop: Header=BB303_11 Depth=1
	s_wait_alu 0xfffe
	s_or_b32 exec_lo, exec_lo, s19
	v_lshlrev_b32_e32 v151, 8, v28
	v_lshl_add_u32 v150, v150, 10, 0x2000
	v_lshlrev_b32_e32 v8, 7, v8
	s_delay_alu instid0(VALU_DEP_3) | instskip(NEXT) | instid1(VALU_DEP_3)
	v_and_b32_e32 v151, 0x8000, v151
	v_and_b32_e32 v150, 0xfc00, v150
	s_delay_alu instid0(VALU_DEP_1)
	v_or3_b32 v150, v151, v150, v8
.LBB303_401:                            ;   in Loop: Header=BB303_11 Depth=1
	s_wait_alu 0xfffe
	s_or_b32 exec_lo, exec_lo, s18
.LBB303_402:                            ;   in Loop: Header=BB303_11 Depth=1
	s_wait_alu 0xfffe
	s_or_b32 exec_lo, exec_lo, s17
.LBB303_403:                            ;   in Loop: Header=BB303_11 Depth=1
	s_wait_alu 0xfffe
	s_or_b32 exec_lo, exec_lo, s16
	v_lshrrev_b16 v8, 8, v28
	v_dual_mov_b32 v160, 0 :: v_dual_mov_b32 v151, 0
	s_mov_b32 s16, exec_lo
	s_delay_alu instid0(VALU_DEP_2)
	v_cmpx_ne_u16_e32 0, v8
	s_cbranch_execz .LBB303_411
; %bb.404:                              ;   in Loop: Header=BB303_11 Depth=1
	v_bfrev_b32_e32 v151, 1
	s_mov_b32 s17, exec_lo
	v_cmpx_ne_u16_e32 0x80, v8
	s_cbranch_execz .LBB303_410
; %bb.405:                              ;   in Loop: Header=BB303_11 Depth=1
	v_and_b32_e32 v161, 0xffff, v8
	v_mov_b32_e32 v151, 0x7c010000
	s_mov_b32 s18, exec_lo
	s_delay_alu instid0(VALU_DEP_2) | instskip(NEXT) | instid1(VALU_DEP_1)
	v_and_b32_e32 v163, 0x7f, v161
	v_cmpx_ne_u32_e32 0x7f, v163
	s_cbranch_execz .LBB303_409
; %bb.406:                              ;   in Loop: Header=BB303_11 Depth=1
	v_and_b32_e32 v151, 7, v161
	v_lshrrev_b32_e32 v162, 3, v163
	s_mov_b32 s19, exec_lo
	v_cmpx_gt_u32_e32 8, v163
; %bb.407:                              ;   in Loop: Header=BB303_11 Depth=1
	s_delay_alu instid0(VALU_DEP_3) | instskip(NEXT) | instid1(VALU_DEP_1)
	v_clz_i32_u32_e32 v151, v151
	v_min_u32_e32 v151, 32, v151
	s_delay_alu instid0(VALU_DEP_1) | instskip(NEXT) | instid1(VALU_DEP_1)
	v_subrev_nc_u32_e32 v162, 28, v151
	v_lshlrev_b64_e32 v[163:164], v162, v[8:9]
	v_sub_nc_u32_e32 v162, 29, v151
	s_delay_alu instid0(VALU_DEP_2)
	v_and_b32_e32 v151, 7, v163
; %bb.408:                              ;   in Loop: Header=BB303_11 Depth=1
	s_wait_alu 0xfffe
	s_or_b32 exec_lo, exec_lo, s19
	v_lshlrev_b32_e32 v8, 8, v161
	v_lshl_add_u32 v161, v162, 10, 0x2000
	v_lshlrev_b32_e32 v151, 23, v151
	s_delay_alu instid0(VALU_DEP_2) | instskip(NEXT) | instid1(VALU_DEP_1)
	v_and_or_b32 v8, 0x8000, v8, v161
	v_lshl_or_b32 v151, v8, 16, v151
.LBB303_409:                            ;   in Loop: Header=BB303_11 Depth=1
	s_wait_alu 0xfffe
	s_or_b32 exec_lo, exec_lo, s18
.LBB303_410:                            ;   in Loop: Header=BB303_11 Depth=1
	s_wait_alu 0xfffe
	s_or_b32 exec_lo, exec_lo, s17
.LBB303_411:                            ;   in Loop: Header=BB303_11 Depth=1
	s_wait_alu 0xfffe
	s_or_b32 exec_lo, exec_lo, s16
	v_lshrrev_b32_e32 v8, 16, v28
	s_mov_b32 s16, exec_lo
	s_delay_alu instid0(VALU_DEP_1) | instskip(NEXT) | instid1(VALU_DEP_1)
	v_and_b32_e32 v161, 0xff, v8
	v_cmpx_ne_u16_e64 0, v161
	s_cbranch_execz .LBB303_419
; %bb.412:                              ;   in Loop: Header=BB303_11 Depth=1
	v_mov_b32_e32 v160, 0x8000
	s_mov_b32 s17, exec_lo
	v_cmpx_ne_u16_e64 0x80, v161
	s_cbranch_execz .LBB303_418
; %bb.413:                              ;   in Loop: Header=BB303_11 Depth=1
	v_bfe_u32 v162, v28, 16, 7
	v_mov_b32_e32 v160, 0x7c01
	s_mov_b32 s18, exec_lo
	s_delay_alu instid0(VALU_DEP_2)
	v_cmpx_ne_u32_e32 0x7f, v162
	s_cbranch_execz .LBB303_417
; %bb.414:                              ;   in Loop: Header=BB303_11 Depth=1
	v_and_b32_e32 v160, 7, v8
	v_lshrrev_b32_e32 v161, 3, v162
	s_mov_b32 s19, exec_lo
	v_cmpx_gt_u32_e32 8, v162
; %bb.415:                              ;   in Loop: Header=BB303_11 Depth=1
	s_delay_alu instid0(VALU_DEP_3) | instskip(NEXT) | instid1(VALU_DEP_1)
	v_clz_i32_u32_e32 v160, v160
	v_min_u32_e32 v162, 32, v160
	s_delay_alu instid0(VALU_DEP_1) | instskip(NEXT) | instid1(VALU_DEP_1)
	v_subrev_nc_u32_e32 v160, 28, v162
	v_lshlrev_b64_e32 v[160:161], v160, v[8:9]
	v_sub_nc_u32_e32 v161, 29, v162
	s_delay_alu instid0(VALU_DEP_2)
	v_and_b32_e32 v160, 7, v160
; %bb.416:                              ;   in Loop: Header=BB303_11 Depth=1
	s_wait_alu 0xfffe
	s_or_b32 exec_lo, exec_lo, s19
	v_lshlrev_b32_e32 v8, 8, v8
	v_lshl_add_u32 v161, v161, 10, 0x2000
	v_lshlrev_b32_e32 v160, 7, v160
	s_delay_alu instid0(VALU_DEP_3) | instskip(NEXT) | instid1(VALU_DEP_3)
	v_and_b32_e32 v8, 0x8000, v8
	v_and_b32_e32 v161, 0xfc00, v161
	s_delay_alu instid0(VALU_DEP_1)
	v_or3_b32 v160, v8, v161, v160
.LBB303_417:                            ;   in Loop: Header=BB303_11 Depth=1
	s_wait_alu 0xfffe
	s_or_b32 exec_lo, exec_lo, s18
.LBB303_418:                            ;   in Loop: Header=BB303_11 Depth=1
	s_wait_alu 0xfffe
	s_or_b32 exec_lo, exec_lo, s17
.LBB303_419:                            ;   in Loop: Header=BB303_11 Depth=1
	s_wait_alu 0xfffe
	s_or_b32 exec_lo, exec_lo, s16
	v_dual_mov_b32 v161, 0 :: v_dual_mov_b32 v162, 0
	s_mov_b32 s16, exec_lo
	v_cmpx_lt_u32_e32 0xffffff, v28
	s_cbranch_execz .LBB303_427
; %bb.420:                              ;   in Loop: Header=BB303_11 Depth=1
	v_lshrrev_b32_e32 v8, 24, v28
	v_bfrev_b32_e32 v162, 1
	s_mov_b32 s17, exec_lo
	s_delay_alu instid0(VALU_DEP_2)
	v_cmpx_ne_u32_e32 0x80, v8
	s_cbranch_execz .LBB303_426
; %bb.421:                              ;   in Loop: Header=BB303_11 Depth=1
	v_and_b32_e32 v164, 0x7f, v8
	v_mov_b32_e32 v162, 0x7c010000
	s_mov_b32 s18, exec_lo
	s_delay_alu instid0(VALU_DEP_2)
	v_cmpx_ne_u32_e32 0x7f, v164
	s_cbranch_execz .LBB303_425
; %bb.422:                              ;   in Loop: Header=BB303_11 Depth=1
	v_and_b32_e32 v162, 7, v8
	v_lshrrev_b32_e32 v163, 3, v164
	s_mov_b32 s19, exec_lo
	v_cmpx_gt_u32_e32 8, v164
; %bb.423:                              ;   in Loop: Header=BB303_11 Depth=1
	s_delay_alu instid0(VALU_DEP_3) | instskip(NEXT) | instid1(VALU_DEP_1)
	v_clz_i32_u32_e32 v162, v162
	v_min_u32_e32 v164, 32, v162
	s_delay_alu instid0(VALU_DEP_1) | instskip(NEXT) | instid1(VALU_DEP_1)
	v_subrev_nc_u32_e32 v162, 28, v164
	v_lshlrev_b64_e32 v[162:163], v162, v[8:9]
	v_sub_nc_u32_e32 v163, 29, v164
	s_delay_alu instid0(VALU_DEP_2)
	v_and_b32_e32 v162, 7, v162
; %bb.424:                              ;   in Loop: Header=BB303_11 Depth=1
	s_wait_alu 0xfffe
	s_or_b32 exec_lo, exec_lo, s19
	v_lshlrev_b32_e32 v8, 8, v8
	v_lshl_add_u32 v163, v163, 10, 0x2000
	v_lshlrev_b32_e32 v162, 23, v162
	s_delay_alu instid0(VALU_DEP_2) | instskip(NEXT) | instid1(VALU_DEP_1)
	v_and_or_b32 v8, 0x8000, v8, v163
	v_lshl_or_b32 v162, v8, 16, v162
.LBB303_425:                            ;   in Loop: Header=BB303_11 Depth=1
	s_wait_alu 0xfffe
	s_or_b32 exec_lo, exec_lo, s18
.LBB303_426:                            ;   in Loop: Header=BB303_11 Depth=1
	s_wait_alu 0xfffe
	s_or_b32 exec_lo, exec_lo, s17
.LBB303_427:                            ;   in Loop: Header=BB303_11 Depth=1
	s_wait_alu 0xfffe
	s_or_b32 exec_lo, exec_lo, s16
	v_dual_mov_b32 v8, v29 :: v_dual_and_b32 v163, 0xff, v29
	s_mov_b32 s16, exec_lo
	s_delay_alu instid0(VALU_DEP_1)
	v_cmpx_ne_u16_e64 0, v163
	s_cbranch_execz .LBB303_435
; %bb.428:                              ;   in Loop: Header=BB303_11 Depth=1
	v_mov_b32_e32 v161, 0x8000
	s_mov_b32 s17, exec_lo
	v_cmpx_ne_u16_e64 0x80, v163
	s_cbranch_execz .LBB303_434
; %bb.429:                              ;   in Loop: Header=BB303_11 Depth=1
	v_and_b32_e32 v164, 0x7f, v29
	v_mov_b32_e32 v161, 0x7c01
	s_mov_b32 s18, exec_lo
	s_delay_alu instid0(VALU_DEP_2)
	v_cmpx_ne_u32_e32 0x7f, v164
	s_cbranch_execz .LBB303_433
; %bb.430:                              ;   in Loop: Header=BB303_11 Depth=1
	v_and_b32_e32 v161, 7, v29
	v_lshrrev_b32_e32 v163, 3, v164
	s_mov_b32 s19, exec_lo
	v_cmpx_gt_u32_e32 8, v164
; %bb.431:                              ;   in Loop: Header=BB303_11 Depth=1
	s_delay_alu instid0(VALU_DEP_3) | instskip(NEXT) | instid1(VALU_DEP_1)
	v_clz_i32_u32_e32 v161, v161
	v_min_u32_e32 v161, 32, v161
	s_delay_alu instid0(VALU_DEP_1) | instskip(NEXT) | instid1(VALU_DEP_1)
	v_subrev_nc_u32_e32 v163, 28, v161
	v_lshlrev_b64_e32 v[164:165], v163, v[8:9]
	v_sub_nc_u32_e32 v163, 29, v161
	s_delay_alu instid0(VALU_DEP_2)
	v_and_b32_e32 v161, 7, v164
; %bb.432:                              ;   in Loop: Header=BB303_11 Depth=1
	s_wait_alu 0xfffe
	s_or_b32 exec_lo, exec_lo, s19
	v_lshlrev_b32_e32 v164, 8, v29
	v_lshl_add_u32 v163, v163, 10, 0x2000
	v_lshlrev_b32_e32 v161, 7, v161
	s_delay_alu instid0(VALU_DEP_3) | instskip(NEXT) | instid1(VALU_DEP_3)
	v_and_b32_e32 v164, 0x8000, v164
	v_and_b32_e32 v163, 0xfc00, v163
	s_delay_alu instid0(VALU_DEP_1)
	v_or3_b32 v161, v164, v163, v161
.LBB303_433:                            ;   in Loop: Header=BB303_11 Depth=1
	s_wait_alu 0xfffe
	s_or_b32 exec_lo, exec_lo, s18
.LBB303_434:                            ;   in Loop: Header=BB303_11 Depth=1
	s_wait_alu 0xfffe
	s_or_b32 exec_lo, exec_lo, s17
.LBB303_435:                            ;   in Loop: Header=BB303_11 Depth=1
	s_wait_alu 0xfffe
	s_or_b32 exec_lo, exec_lo, s16
	v_lshrrev_b16 v8, 8, v8
	v_dual_mov_b32 v163, 0 :: v_dual_mov_b32 v164, 0
	s_mov_b32 s16, exec_lo
	s_delay_alu instid0(VALU_DEP_2)
	v_cmpx_ne_u16_e32 0, v8
	s_cbranch_execz .LBB303_443
; %bb.436:                              ;   in Loop: Header=BB303_11 Depth=1
	v_bfrev_b32_e32 v164, 1
	s_mov_b32 s17, exec_lo
	v_cmpx_ne_u16_e32 0x80, v8
	s_cbranch_execz .LBB303_442
; %bb.437:                              ;   in Loop: Header=BB303_11 Depth=1
	v_and_b32_e32 v165, 0xffff, v8
	v_mov_b32_e32 v164, 0x7c010000
	s_mov_b32 s18, exec_lo
	s_delay_alu instid0(VALU_DEP_2) | instskip(NEXT) | instid1(VALU_DEP_1)
	v_and_b32_e32 v167, 0x7f, v165
	v_cmpx_ne_u32_e32 0x7f, v167
	s_cbranch_execz .LBB303_441
; %bb.438:                              ;   in Loop: Header=BB303_11 Depth=1
	v_and_b32_e32 v164, 7, v165
	v_lshrrev_b32_e32 v166, 3, v167
	s_mov_b32 s19, exec_lo
	v_cmpx_gt_u32_e32 8, v167
; %bb.439:                              ;   in Loop: Header=BB303_11 Depth=1
	s_delay_alu instid0(VALU_DEP_3) | instskip(NEXT) | instid1(VALU_DEP_1)
	v_clz_i32_u32_e32 v164, v164
	v_min_u32_e32 v164, 32, v164
	s_delay_alu instid0(VALU_DEP_1) | instskip(NEXT) | instid1(VALU_DEP_1)
	v_subrev_nc_u32_e32 v166, 28, v164
	v_lshlrev_b64_e32 v[176:177], v166, v[8:9]
	v_sub_nc_u32_e32 v166, 29, v164
	s_delay_alu instid0(VALU_DEP_2)
	v_and_b32_e32 v164, 7, v176
; %bb.440:                              ;   in Loop: Header=BB303_11 Depth=1
	s_wait_alu 0xfffe
	s_or_b32 exec_lo, exec_lo, s19
	v_lshlrev_b32_e32 v8, 8, v165
	v_lshl_add_u32 v165, v166, 10, 0x2000
	v_lshlrev_b32_e32 v164, 23, v164
	s_delay_alu instid0(VALU_DEP_2) | instskip(NEXT) | instid1(VALU_DEP_1)
	v_and_or_b32 v8, 0x8000, v8, v165
	v_lshl_or_b32 v164, v8, 16, v164
.LBB303_441:                            ;   in Loop: Header=BB303_11 Depth=1
	s_wait_alu 0xfffe
	s_or_b32 exec_lo, exec_lo, s18
.LBB303_442:                            ;   in Loop: Header=BB303_11 Depth=1
	s_wait_alu 0xfffe
	s_or_b32 exec_lo, exec_lo, s17
.LBB303_443:                            ;   in Loop: Header=BB303_11 Depth=1
	s_wait_alu 0xfffe
	s_or_b32 exec_lo, exec_lo, s16
	v_lshrrev_b32_e32 v8, 16, v29
	s_mov_b32 s16, exec_lo
	s_delay_alu instid0(VALU_DEP_1) | instskip(NEXT) | instid1(VALU_DEP_1)
	v_and_b32_e32 v165, 0xff, v8
	v_cmpx_ne_u16_e64 0, v165
	s_cbranch_execz .LBB303_451
; %bb.444:                              ;   in Loop: Header=BB303_11 Depth=1
	v_mov_b32_e32 v163, 0x8000
	s_mov_b32 s17, exec_lo
	v_cmpx_ne_u16_e64 0x80, v165
	s_cbranch_execz .LBB303_450
; %bb.445:                              ;   in Loop: Header=BB303_11 Depth=1
	v_bfe_u32 v166, v29, 16, 7
	v_mov_b32_e32 v163, 0x7c01
	s_mov_b32 s18, exec_lo
	s_delay_alu instid0(VALU_DEP_2)
	v_cmpx_ne_u32_e32 0x7f, v166
	s_cbranch_execz .LBB303_449
; %bb.446:                              ;   in Loop: Header=BB303_11 Depth=1
	v_and_b32_e32 v163, 7, v8
	v_lshrrev_b32_e32 v165, 3, v166
	s_mov_b32 s19, exec_lo
	v_cmpx_gt_u32_e32 8, v166
; %bb.447:                              ;   in Loop: Header=BB303_11 Depth=1
	s_delay_alu instid0(VALU_DEP_3) | instskip(NEXT) | instid1(VALU_DEP_1)
	v_clz_i32_u32_e32 v163, v163
	v_min_u32_e32 v163, 32, v163
	s_delay_alu instid0(VALU_DEP_1) | instskip(NEXT) | instid1(VALU_DEP_1)
	v_subrev_nc_u32_e32 v165, 28, v163
	v_lshlrev_b64_e32 v[166:167], v165, v[8:9]
	v_sub_nc_u32_e32 v165, 29, v163
	s_delay_alu instid0(VALU_DEP_2)
	v_and_b32_e32 v163, 7, v166
; %bb.448:                              ;   in Loop: Header=BB303_11 Depth=1
	s_wait_alu 0xfffe
	s_or_b32 exec_lo, exec_lo, s19
	v_lshlrev_b32_e32 v8, 8, v8
	v_lshl_add_u32 v165, v165, 10, 0x2000
	v_lshlrev_b32_e32 v163, 7, v163
	s_delay_alu instid0(VALU_DEP_3) | instskip(NEXT) | instid1(VALU_DEP_3)
	v_and_b32_e32 v8, 0x8000, v8
	v_and_b32_e32 v165, 0xfc00, v165
	s_delay_alu instid0(VALU_DEP_1)
	v_or3_b32 v163, v8, v165, v163
.LBB303_449:                            ;   in Loop: Header=BB303_11 Depth=1
	s_wait_alu 0xfffe
	s_or_b32 exec_lo, exec_lo, s18
.LBB303_450:                            ;   in Loop: Header=BB303_11 Depth=1
	s_wait_alu 0xfffe
	s_or_b32 exec_lo, exec_lo, s17
.LBB303_451:                            ;   in Loop: Header=BB303_11 Depth=1
	s_wait_alu 0xfffe
	s_or_b32 exec_lo, exec_lo, s16
	v_dual_mov_b32 v166, 0 :: v_dual_mov_b32 v165, 0
	s_mov_b32 s16, exec_lo
	v_cmpx_lt_u64_e64 s[2:3], v[28:29]
	s_cbranch_execz .LBB303_459
; %bb.452:                              ;   in Loop: Header=BB303_11 Depth=1
	v_lshrrev_b32_e32 v8, 24, v29
	v_bfrev_b32_e32 v165, 1
	s_mov_b32 s17, exec_lo
	s_delay_alu instid0(VALU_DEP_2)
	v_cmpx_ne_u32_e32 0x80, v8
	s_cbranch_execz .LBB303_458
; %bb.453:                              ;   in Loop: Header=BB303_11 Depth=1
	v_and_b32_e32 v167, 0x7f, v8
	v_mov_b32_e32 v165, 0x7c010000
	s_mov_b32 s18, exec_lo
	s_delay_alu instid0(VALU_DEP_2)
	v_cmpx_ne_u32_e32 0x7f, v167
	s_cbranch_execz .LBB303_457
; %bb.454:                              ;   in Loop: Header=BB303_11 Depth=1
	v_and_b32_e32 v28, 7, v8
	v_lshrrev_b32_e32 v29, 3, v167
	s_mov_b32 s19, exec_lo
	v_cmpx_gt_u32_e32 8, v167
; %bb.455:                              ;   in Loop: Header=BB303_11 Depth=1
	s_delay_alu instid0(VALU_DEP_3) | instskip(NEXT) | instid1(VALU_DEP_1)
	v_clz_i32_u32_e32 v28, v28
	v_min_u32_e32 v165, 32, v28
	s_delay_alu instid0(VALU_DEP_1) | instskip(NEXT) | instid1(VALU_DEP_1)
	v_subrev_nc_u32_e32 v28, 28, v165
	v_lshlrev_b64_e32 v[28:29], v28, v[8:9]
	v_sub_nc_u32_e32 v29, 29, v165
	s_delay_alu instid0(VALU_DEP_2)
	v_and_b32_e32 v28, 7, v28
; %bb.456:                              ;   in Loop: Header=BB303_11 Depth=1
	s_wait_alu 0xfffe
	s_or_b32 exec_lo, exec_lo, s19
	v_lshlrev_b32_e32 v8, 8, v8
	v_lshl_add_u32 v29, v29, 10, 0x2000
	v_lshlrev_b32_e32 v28, 23, v28
	s_delay_alu instid0(VALU_DEP_2) | instskip(NEXT) | instid1(VALU_DEP_1)
	v_and_or_b32 v8, 0x8000, v8, v29
	v_lshl_or_b32 v165, v8, 16, v28
.LBB303_457:                            ;   in Loop: Header=BB303_11 Depth=1
	s_wait_alu 0xfffe
	s_or_b32 exec_lo, exec_lo, s18
.LBB303_458:                            ;   in Loop: Header=BB303_11 Depth=1
	s_wait_alu 0xfffe
	s_or_b32 exec_lo, exec_lo, s17
.LBB303_459:                            ;   in Loop: Header=BB303_11 Depth=1
	s_wait_alu 0xfffe
	s_or_b32 exec_lo, exec_lo, s16
	flat_load_b64 v[28:29], v[20:21] offset:1544
	s_mov_b32 s16, exec_lo
	s_wait_loadcnt_dscnt 0x0
	v_and_b32_e32 v8, 0xff, v28
	s_delay_alu instid0(VALU_DEP_1)
	v_cmpx_ne_u16_e32 0, v8
	s_cbranch_execz .LBB303_467
; %bb.460:                              ;   in Loop: Header=BB303_11 Depth=1
	v_mov_b32_e32 v166, 0x8000
	s_mov_b32 s17, exec_lo
	v_cmpx_ne_u16_e32 0x80, v8
	s_cbranch_execz .LBB303_466
; %bb.461:                              ;   in Loop: Header=BB303_11 Depth=1
	v_and_b32_e32 v167, 0x7f, v28
	v_mov_b32_e32 v166, 0x7c01
	s_mov_b32 s18, exec_lo
	s_delay_alu instid0(VALU_DEP_2)
	v_cmpx_ne_u32_e32 0x7f, v167
	s_cbranch_execz .LBB303_465
; %bb.462:                              ;   in Loop: Header=BB303_11 Depth=1
	v_and_b32_e32 v8, 7, v28
	v_lshrrev_b32_e32 v166, 3, v167
	s_mov_b32 s19, exec_lo
	v_cmpx_gt_u32_e32 8, v167
; %bb.463:                              ;   in Loop: Header=BB303_11 Depth=1
	s_delay_alu instid0(VALU_DEP_3) | instskip(NEXT) | instid1(VALU_DEP_1)
	v_clz_i32_u32_e32 v8, v8
	v_min_u32_e32 v8, 32, v8
	s_delay_alu instid0(VALU_DEP_1) | instskip(NEXT) | instid1(VALU_DEP_1)
	v_subrev_nc_u32_e32 v166, 28, v8
	v_lshlrev_b64_e32 v[176:177], v166, v[28:29]
	v_sub_nc_u32_e32 v166, 29, v8
	s_delay_alu instid0(VALU_DEP_2)
	v_and_b32_e32 v8, 7, v176
; %bb.464:                              ;   in Loop: Header=BB303_11 Depth=1
	s_wait_alu 0xfffe
	s_or_b32 exec_lo, exec_lo, s19
	v_lshlrev_b32_e32 v167, 8, v28
	v_lshl_add_u32 v166, v166, 10, 0x2000
	v_lshlrev_b32_e32 v8, 7, v8
	s_delay_alu instid0(VALU_DEP_3) | instskip(NEXT) | instid1(VALU_DEP_3)
	v_and_b32_e32 v167, 0x8000, v167
	v_and_b32_e32 v166, 0xfc00, v166
	s_delay_alu instid0(VALU_DEP_1)
	v_or3_b32 v166, v167, v166, v8
.LBB303_465:                            ;   in Loop: Header=BB303_11 Depth=1
	s_wait_alu 0xfffe
	s_or_b32 exec_lo, exec_lo, s18
.LBB303_466:                            ;   in Loop: Header=BB303_11 Depth=1
	s_wait_alu 0xfffe
	s_or_b32 exec_lo, exec_lo, s17
.LBB303_467:                            ;   in Loop: Header=BB303_11 Depth=1
	s_wait_alu 0xfffe
	s_or_b32 exec_lo, exec_lo, s16
	v_lshrrev_b16 v8, 8, v28
	v_dual_mov_b32 v176, 0 :: v_dual_mov_b32 v167, 0
	s_mov_b32 s16, exec_lo
	s_delay_alu instid0(VALU_DEP_2)
	v_cmpx_ne_u16_e32 0, v8
	s_cbranch_execz .LBB303_475
; %bb.468:                              ;   in Loop: Header=BB303_11 Depth=1
	v_bfrev_b32_e32 v167, 1
	s_mov_b32 s17, exec_lo
	v_cmpx_ne_u16_e32 0x80, v8
	s_cbranch_execz .LBB303_474
; %bb.469:                              ;   in Loop: Header=BB303_11 Depth=1
	v_and_b32_e32 v177, 0xffff, v8
	v_mov_b32_e32 v167, 0x7c010000
	s_mov_b32 s18, exec_lo
	s_delay_alu instid0(VALU_DEP_2) | instskip(NEXT) | instid1(VALU_DEP_1)
	v_and_b32_e32 v179, 0x7f, v177
	v_cmpx_ne_u32_e32 0x7f, v179
	s_cbranch_execz .LBB303_473
; %bb.470:                              ;   in Loop: Header=BB303_11 Depth=1
	v_and_b32_e32 v167, 7, v177
	v_lshrrev_b32_e32 v178, 3, v179
	s_mov_b32 s19, exec_lo
	v_cmpx_gt_u32_e32 8, v179
; %bb.471:                              ;   in Loop: Header=BB303_11 Depth=1
	s_delay_alu instid0(VALU_DEP_3) | instskip(NEXT) | instid1(VALU_DEP_1)
	v_clz_i32_u32_e32 v167, v167
	v_min_u32_e32 v167, 32, v167
	s_delay_alu instid0(VALU_DEP_1) | instskip(NEXT) | instid1(VALU_DEP_1)
	v_subrev_nc_u32_e32 v178, 28, v167
	v_lshlrev_b64_e32 v[179:180], v178, v[8:9]
	v_sub_nc_u32_e32 v178, 29, v167
	s_delay_alu instid0(VALU_DEP_2)
	v_and_b32_e32 v167, 7, v179
; %bb.472:                              ;   in Loop: Header=BB303_11 Depth=1
	s_wait_alu 0xfffe
	s_or_b32 exec_lo, exec_lo, s19
	v_lshlrev_b32_e32 v8, 8, v177
	v_lshl_add_u32 v177, v178, 10, 0x2000
	v_lshlrev_b32_e32 v167, 23, v167
	s_delay_alu instid0(VALU_DEP_2) | instskip(NEXT) | instid1(VALU_DEP_1)
	v_and_or_b32 v8, 0x8000, v8, v177
	v_lshl_or_b32 v167, v8, 16, v167
.LBB303_473:                            ;   in Loop: Header=BB303_11 Depth=1
	s_wait_alu 0xfffe
	s_or_b32 exec_lo, exec_lo, s18
.LBB303_474:                            ;   in Loop: Header=BB303_11 Depth=1
	s_wait_alu 0xfffe
	s_or_b32 exec_lo, exec_lo, s17
.LBB303_475:                            ;   in Loop: Header=BB303_11 Depth=1
	s_wait_alu 0xfffe
	s_or_b32 exec_lo, exec_lo, s16
	v_lshrrev_b32_e32 v8, 16, v28
	s_mov_b32 s16, exec_lo
	s_delay_alu instid0(VALU_DEP_1) | instskip(NEXT) | instid1(VALU_DEP_1)
	v_and_b32_e32 v177, 0xff, v8
	v_cmpx_ne_u16_e64 0, v177
	s_cbranch_execz .LBB303_483
; %bb.476:                              ;   in Loop: Header=BB303_11 Depth=1
	v_mov_b32_e32 v176, 0x8000
	s_mov_b32 s17, exec_lo
	v_cmpx_ne_u16_e64 0x80, v177
	s_cbranch_execz .LBB303_482
; %bb.477:                              ;   in Loop: Header=BB303_11 Depth=1
	v_bfe_u32 v178, v28, 16, 7
	v_mov_b32_e32 v176, 0x7c01
	s_mov_b32 s18, exec_lo
	s_delay_alu instid0(VALU_DEP_2)
	v_cmpx_ne_u32_e32 0x7f, v178
	s_cbranch_execz .LBB303_481
; %bb.478:                              ;   in Loop: Header=BB303_11 Depth=1
	v_and_b32_e32 v176, 7, v8
	v_lshrrev_b32_e32 v177, 3, v178
	s_mov_b32 s19, exec_lo
	v_cmpx_gt_u32_e32 8, v178
; %bb.479:                              ;   in Loop: Header=BB303_11 Depth=1
	s_delay_alu instid0(VALU_DEP_3) | instskip(NEXT) | instid1(VALU_DEP_1)
	v_clz_i32_u32_e32 v176, v176
	v_min_u32_e32 v178, 32, v176
	s_delay_alu instid0(VALU_DEP_1) | instskip(NEXT) | instid1(VALU_DEP_1)
	v_subrev_nc_u32_e32 v176, 28, v178
	v_lshlrev_b64_e32 v[176:177], v176, v[8:9]
	v_sub_nc_u32_e32 v177, 29, v178
	s_delay_alu instid0(VALU_DEP_2)
	v_and_b32_e32 v176, 7, v176
; %bb.480:                              ;   in Loop: Header=BB303_11 Depth=1
	s_wait_alu 0xfffe
	s_or_b32 exec_lo, exec_lo, s19
	v_lshlrev_b32_e32 v8, 8, v8
	v_lshl_add_u32 v177, v177, 10, 0x2000
	v_lshlrev_b32_e32 v176, 7, v176
	s_delay_alu instid0(VALU_DEP_3) | instskip(NEXT) | instid1(VALU_DEP_3)
	v_and_b32_e32 v8, 0x8000, v8
	v_and_b32_e32 v177, 0xfc00, v177
	s_delay_alu instid0(VALU_DEP_1)
	v_or3_b32 v176, v8, v177, v176
.LBB303_481:                            ;   in Loop: Header=BB303_11 Depth=1
	s_wait_alu 0xfffe
	s_or_b32 exec_lo, exec_lo, s18
.LBB303_482:                            ;   in Loop: Header=BB303_11 Depth=1
	s_wait_alu 0xfffe
	s_or_b32 exec_lo, exec_lo, s17
.LBB303_483:                            ;   in Loop: Header=BB303_11 Depth=1
	s_wait_alu 0xfffe
	s_or_b32 exec_lo, exec_lo, s16
	v_dual_mov_b32 v177, 0 :: v_dual_mov_b32 v178, 0
	s_mov_b32 s16, exec_lo
	v_cmpx_lt_u32_e32 0xffffff, v28
	s_cbranch_execz .LBB303_491
; %bb.484:                              ;   in Loop: Header=BB303_11 Depth=1
	v_lshrrev_b32_e32 v8, 24, v28
	v_bfrev_b32_e32 v178, 1
	s_mov_b32 s17, exec_lo
	s_delay_alu instid0(VALU_DEP_2)
	v_cmpx_ne_u32_e32 0x80, v8
	s_cbranch_execz .LBB303_490
; %bb.485:                              ;   in Loop: Header=BB303_11 Depth=1
	v_and_b32_e32 v180, 0x7f, v8
	v_mov_b32_e32 v178, 0x7c010000
	s_mov_b32 s18, exec_lo
	s_delay_alu instid0(VALU_DEP_2)
	v_cmpx_ne_u32_e32 0x7f, v180
	s_cbranch_execz .LBB303_489
; %bb.486:                              ;   in Loop: Header=BB303_11 Depth=1
	v_and_b32_e32 v178, 7, v8
	v_lshrrev_b32_e32 v179, 3, v180
	s_mov_b32 s19, exec_lo
	v_cmpx_gt_u32_e32 8, v180
; %bb.487:                              ;   in Loop: Header=BB303_11 Depth=1
	s_delay_alu instid0(VALU_DEP_3) | instskip(NEXT) | instid1(VALU_DEP_1)
	v_clz_i32_u32_e32 v178, v178
	v_min_u32_e32 v180, 32, v178
	s_delay_alu instid0(VALU_DEP_1) | instskip(NEXT) | instid1(VALU_DEP_1)
	v_subrev_nc_u32_e32 v178, 28, v180
	v_lshlrev_b64_e32 v[178:179], v178, v[8:9]
	v_sub_nc_u32_e32 v179, 29, v180
	s_delay_alu instid0(VALU_DEP_2)
	v_and_b32_e32 v178, 7, v178
; %bb.488:                              ;   in Loop: Header=BB303_11 Depth=1
	s_wait_alu 0xfffe
	s_or_b32 exec_lo, exec_lo, s19
	v_lshlrev_b32_e32 v8, 8, v8
	v_lshl_add_u32 v179, v179, 10, 0x2000
	v_lshlrev_b32_e32 v178, 23, v178
	s_delay_alu instid0(VALU_DEP_2) | instskip(NEXT) | instid1(VALU_DEP_1)
	v_and_or_b32 v8, 0x8000, v8, v179
	v_lshl_or_b32 v178, v8, 16, v178
.LBB303_489:                            ;   in Loop: Header=BB303_11 Depth=1
	s_wait_alu 0xfffe
	s_or_b32 exec_lo, exec_lo, s18
.LBB303_490:                            ;   in Loop: Header=BB303_11 Depth=1
	s_wait_alu 0xfffe
	s_or_b32 exec_lo, exec_lo, s17
.LBB303_491:                            ;   in Loop: Header=BB303_11 Depth=1
	s_wait_alu 0xfffe
	s_or_b32 exec_lo, exec_lo, s16
	v_dual_mov_b32 v8, v29 :: v_dual_and_b32 v179, 0xff, v29
	s_mov_b32 s16, exec_lo
	s_delay_alu instid0(VALU_DEP_1)
	v_cmpx_ne_u16_e64 0, v179
	s_cbranch_execz .LBB303_499
; %bb.492:                              ;   in Loop: Header=BB303_11 Depth=1
	v_mov_b32_e32 v177, 0x8000
	s_mov_b32 s17, exec_lo
	v_cmpx_ne_u16_e64 0x80, v179
	s_cbranch_execz .LBB303_498
; %bb.493:                              ;   in Loop: Header=BB303_11 Depth=1
	v_and_b32_e32 v180, 0x7f, v29
	v_mov_b32_e32 v177, 0x7c01
	s_mov_b32 s18, exec_lo
	s_delay_alu instid0(VALU_DEP_2)
	v_cmpx_ne_u32_e32 0x7f, v180
	s_cbranch_execz .LBB303_497
; %bb.494:                              ;   in Loop: Header=BB303_11 Depth=1
	v_and_b32_e32 v177, 7, v29
	v_lshrrev_b32_e32 v179, 3, v180
	s_mov_b32 s19, exec_lo
	v_cmpx_gt_u32_e32 8, v180
; %bb.495:                              ;   in Loop: Header=BB303_11 Depth=1
	s_delay_alu instid0(VALU_DEP_3) | instskip(NEXT) | instid1(VALU_DEP_1)
	v_clz_i32_u32_e32 v177, v177
	v_min_u32_e32 v177, 32, v177
	s_delay_alu instid0(VALU_DEP_1) | instskip(NEXT) | instid1(VALU_DEP_1)
	v_subrev_nc_u32_e32 v179, 28, v177
	v_lshlrev_b64_e32 v[180:181], v179, v[8:9]
	v_sub_nc_u32_e32 v179, 29, v177
	s_delay_alu instid0(VALU_DEP_2)
	v_and_b32_e32 v177, 7, v180
; %bb.496:                              ;   in Loop: Header=BB303_11 Depth=1
	s_wait_alu 0xfffe
	s_or_b32 exec_lo, exec_lo, s19
	v_lshlrev_b32_e32 v180, 8, v29
	v_lshl_add_u32 v179, v179, 10, 0x2000
	v_lshlrev_b32_e32 v177, 7, v177
	s_delay_alu instid0(VALU_DEP_3) | instskip(NEXT) | instid1(VALU_DEP_3)
	v_and_b32_e32 v180, 0x8000, v180
	v_and_b32_e32 v179, 0xfc00, v179
	s_delay_alu instid0(VALU_DEP_1)
	v_or3_b32 v177, v180, v179, v177
.LBB303_497:                            ;   in Loop: Header=BB303_11 Depth=1
	s_wait_alu 0xfffe
	s_or_b32 exec_lo, exec_lo, s18
.LBB303_498:                            ;   in Loop: Header=BB303_11 Depth=1
	s_wait_alu 0xfffe
	s_or_b32 exec_lo, exec_lo, s17
.LBB303_499:                            ;   in Loop: Header=BB303_11 Depth=1
	s_wait_alu 0xfffe
	s_or_b32 exec_lo, exec_lo, s16
	v_lshrrev_b16 v8, 8, v8
	v_dual_mov_b32 v179, 0 :: v_dual_mov_b32 v180, 0
	s_mov_b32 s16, exec_lo
	s_delay_alu instid0(VALU_DEP_2)
	v_cmpx_ne_u16_e32 0, v8
	s_cbranch_execz .LBB303_507
; %bb.500:                              ;   in Loop: Header=BB303_11 Depth=1
	v_bfrev_b32_e32 v180, 1
	s_mov_b32 s17, exec_lo
	v_cmpx_ne_u16_e32 0x80, v8
	s_cbranch_execz .LBB303_506
; %bb.501:                              ;   in Loop: Header=BB303_11 Depth=1
	v_and_b32_e32 v181, 0xffff, v8
	v_mov_b32_e32 v180, 0x7c010000
	s_mov_b32 s18, exec_lo
	s_delay_alu instid0(VALU_DEP_2) | instskip(NEXT) | instid1(VALU_DEP_1)
	v_and_b32_e32 v183, 0x7f, v181
	v_cmpx_ne_u32_e32 0x7f, v183
	s_cbranch_execz .LBB303_505
; %bb.502:                              ;   in Loop: Header=BB303_11 Depth=1
	v_and_b32_e32 v180, 7, v181
	v_lshrrev_b32_e32 v182, 3, v183
	s_mov_b32 s19, exec_lo
	v_cmpx_gt_u32_e32 8, v183
; %bb.503:                              ;   in Loop: Header=BB303_11 Depth=1
	s_delay_alu instid0(VALU_DEP_3) | instskip(NEXT) | instid1(VALU_DEP_1)
	v_clz_i32_u32_e32 v180, v180
	v_min_u32_e32 v180, 32, v180
	s_delay_alu instid0(VALU_DEP_1) | instskip(NEXT) | instid1(VALU_DEP_1)
	v_subrev_nc_u32_e32 v182, 28, v180
	v_lshlrev_b64_e32 v[40:41], v182, v[8:9]
	v_sub_nc_u32_e32 v182, 29, v180
	s_delay_alu instid0(VALU_DEP_2)
	v_and_b32_e32 v180, 7, v40
; %bb.504:                              ;   in Loop: Header=BB303_11 Depth=1
	s_wait_alu 0xfffe
	s_or_b32 exec_lo, exec_lo, s19
	v_lshlrev_b32_e32 v8, 8, v181
	v_lshl_add_u32 v181, v182, 10, 0x2000
	v_lshlrev_b32_e32 v180, 23, v180
	s_delay_alu instid0(VALU_DEP_2) | instskip(NEXT) | instid1(VALU_DEP_1)
	v_and_or_b32 v8, 0x8000, v8, v181
	v_lshl_or_b32 v180, v8, 16, v180
.LBB303_505:                            ;   in Loop: Header=BB303_11 Depth=1
	s_wait_alu 0xfffe
	s_or_b32 exec_lo, exec_lo, s18
.LBB303_506:                            ;   in Loop: Header=BB303_11 Depth=1
	s_wait_alu 0xfffe
	s_or_b32 exec_lo, exec_lo, s17
.LBB303_507:                            ;   in Loop: Header=BB303_11 Depth=1
	s_wait_alu 0xfffe
	s_or_b32 exec_lo, exec_lo, s16
	v_lshrrev_b32_e32 v8, 16, v29
	s_mov_b32 s16, exec_lo
	s_delay_alu instid0(VALU_DEP_1) | instskip(NEXT) | instid1(VALU_DEP_1)
	v_and_b32_e32 v181, 0xff, v8
	v_cmpx_ne_u16_e64 0, v181
	s_cbranch_execz .LBB303_515
; %bb.508:                              ;   in Loop: Header=BB303_11 Depth=1
	v_mov_b32_e32 v179, 0x8000
	s_mov_b32 s17, exec_lo
	v_cmpx_ne_u16_e64 0x80, v181
	s_cbranch_execz .LBB303_514
; %bb.509:                              ;   in Loop: Header=BB303_11 Depth=1
	v_bfe_u32 v182, v29, 16, 7
	v_mov_b32_e32 v179, 0x7c01
	s_mov_b32 s18, exec_lo
	s_delay_alu instid0(VALU_DEP_2)
	v_cmpx_ne_u32_e32 0x7f, v182
	s_cbranch_execz .LBB303_513
; %bb.510:                              ;   in Loop: Header=BB303_11 Depth=1
	v_and_b32_e32 v179, 7, v8
	v_lshrrev_b32_e32 v181, 3, v182
	s_mov_b32 s19, exec_lo
	v_cmpx_gt_u32_e32 8, v182
; %bb.511:                              ;   in Loop: Header=BB303_11 Depth=1
	s_delay_alu instid0(VALU_DEP_3) | instskip(NEXT) | instid1(VALU_DEP_1)
	v_clz_i32_u32_e32 v179, v179
	v_min_u32_e32 v179, 32, v179
	s_delay_alu instid0(VALU_DEP_1) | instskip(NEXT) | instid1(VALU_DEP_1)
	v_subrev_nc_u32_e32 v181, 28, v179
	v_lshlrev_b64_e32 v[182:183], v181, v[8:9]
	v_sub_nc_u32_e32 v181, 29, v179
	s_delay_alu instid0(VALU_DEP_2)
	v_and_b32_e32 v179, 7, v182
; %bb.512:                              ;   in Loop: Header=BB303_11 Depth=1
	s_wait_alu 0xfffe
	s_or_b32 exec_lo, exec_lo, s19
	v_lshlrev_b32_e32 v8, 8, v8
	v_lshl_add_u32 v181, v181, 10, 0x2000
	v_lshlrev_b32_e32 v179, 7, v179
	s_delay_alu instid0(VALU_DEP_3) | instskip(NEXT) | instid1(VALU_DEP_3)
	v_and_b32_e32 v8, 0x8000, v8
	v_and_b32_e32 v181, 0xfc00, v181
	s_delay_alu instid0(VALU_DEP_1)
	v_or3_b32 v179, v8, v181, v179
.LBB303_513:                            ;   in Loop: Header=BB303_11 Depth=1
	s_wait_alu 0xfffe
	s_or_b32 exec_lo, exec_lo, s18
.LBB303_514:                            ;   in Loop: Header=BB303_11 Depth=1
	s_wait_alu 0xfffe
	s_or_b32 exec_lo, exec_lo, s17
.LBB303_515:                            ;   in Loop: Header=BB303_11 Depth=1
	s_wait_alu 0xfffe
	s_or_b32 exec_lo, exec_lo, s16
	v_dual_mov_b32 v182, 0 :: v_dual_mov_b32 v181, 0
	s_mov_b32 s16, exec_lo
	v_cmpx_lt_u64_e64 s[2:3], v[28:29]
	s_cbranch_execz .LBB303_523
; %bb.516:                              ;   in Loop: Header=BB303_11 Depth=1
	v_lshrrev_b32_e32 v8, 24, v29
	v_bfrev_b32_e32 v181, 1
	s_mov_b32 s17, exec_lo
	s_delay_alu instid0(VALU_DEP_2)
	v_cmpx_ne_u32_e32 0x80, v8
	s_cbranch_execz .LBB303_522
; %bb.517:                              ;   in Loop: Header=BB303_11 Depth=1
	v_and_b32_e32 v183, 0x7f, v8
	v_mov_b32_e32 v181, 0x7c010000
	s_mov_b32 s18, exec_lo
	s_delay_alu instid0(VALU_DEP_2)
	v_cmpx_ne_u32_e32 0x7f, v183
	s_cbranch_execz .LBB303_521
; %bb.518:                              ;   in Loop: Header=BB303_11 Depth=1
	v_and_b32_e32 v28, 7, v8
	v_lshrrev_b32_e32 v29, 3, v183
	s_mov_b32 s19, exec_lo
	v_cmpx_gt_u32_e32 8, v183
; %bb.519:                              ;   in Loop: Header=BB303_11 Depth=1
	s_delay_alu instid0(VALU_DEP_3) | instskip(NEXT) | instid1(VALU_DEP_1)
	v_clz_i32_u32_e32 v28, v28
	v_min_u32_e32 v181, 32, v28
	s_delay_alu instid0(VALU_DEP_1) | instskip(NEXT) | instid1(VALU_DEP_1)
	v_subrev_nc_u32_e32 v28, 28, v181
	v_lshlrev_b64_e32 v[28:29], v28, v[8:9]
	v_sub_nc_u32_e32 v29, 29, v181
	s_delay_alu instid0(VALU_DEP_2)
	v_and_b32_e32 v28, 7, v28
; %bb.520:                              ;   in Loop: Header=BB303_11 Depth=1
	s_wait_alu 0xfffe
	s_or_b32 exec_lo, exec_lo, s19
	v_lshlrev_b32_e32 v8, 8, v8
	v_lshl_add_u32 v29, v29, 10, 0x2000
	v_lshlrev_b32_e32 v28, 23, v28
	s_delay_alu instid0(VALU_DEP_2) | instskip(NEXT) | instid1(VALU_DEP_1)
	v_and_or_b32 v8, 0x8000, v8, v29
	v_lshl_or_b32 v181, v8, 16, v28
.LBB303_521:                            ;   in Loop: Header=BB303_11 Depth=1
	s_wait_alu 0xfffe
	s_or_b32 exec_lo, exec_lo, s18
.LBB303_522:                            ;   in Loop: Header=BB303_11 Depth=1
	s_wait_alu 0xfffe
	s_or_b32 exec_lo, exec_lo, s17
.LBB303_523:                            ;   in Loop: Header=BB303_11 Depth=1
	s_wait_alu 0xfffe
	s_or_b32 exec_lo, exec_lo, s16
	flat_load_b64 v[28:29], v[20:21] offset:2048
	s_mov_b32 s16, exec_lo
	s_wait_loadcnt_dscnt 0x0
	v_and_b32_e32 v8, 0xff, v28
	s_delay_alu instid0(VALU_DEP_1)
	v_cmpx_ne_u16_e32 0, v8
	s_cbranch_execz .LBB303_531
; %bb.524:                              ;   in Loop: Header=BB303_11 Depth=1
	v_mov_b32_e32 v182, 0x8000
	s_mov_b32 s17, exec_lo
	v_cmpx_ne_u16_e32 0x80, v8
	s_cbranch_execz .LBB303_530
; %bb.525:                              ;   in Loop: Header=BB303_11 Depth=1
	v_and_b32_e32 v183, 0x7f, v28
	v_mov_b32_e32 v182, 0x7c01
	s_mov_b32 s18, exec_lo
	s_delay_alu instid0(VALU_DEP_2)
	v_cmpx_ne_u32_e32 0x7f, v183
	s_cbranch_execz .LBB303_529
; %bb.526:                              ;   in Loop: Header=BB303_11 Depth=1
	v_and_b32_e32 v8, 7, v28
	v_lshrrev_b32_e32 v182, 3, v183
	s_mov_b32 s19, exec_lo
	v_cmpx_gt_u32_e32 8, v183
; %bb.527:                              ;   in Loop: Header=BB303_11 Depth=1
	s_delay_alu instid0(VALU_DEP_3) | instskip(NEXT) | instid1(VALU_DEP_1)
	v_clz_i32_u32_e32 v8, v8
	v_min_u32_e32 v8, 32, v8
	s_delay_alu instid0(VALU_DEP_1) | instskip(NEXT) | instid1(VALU_DEP_1)
	v_subrev_nc_u32_e32 v182, 28, v8
	v_lshlrev_b64_e32 v[40:41], v182, v[28:29]
	v_sub_nc_u32_e32 v182, 29, v8
	s_delay_alu instid0(VALU_DEP_2)
	v_and_b32_e32 v8, 7, v40
; %bb.528:                              ;   in Loop: Header=BB303_11 Depth=1
	s_wait_alu 0xfffe
	s_or_b32 exec_lo, exec_lo, s19
	v_lshlrev_b32_e32 v183, 8, v28
	v_lshl_add_u32 v182, v182, 10, 0x2000
	v_lshlrev_b32_e32 v8, 7, v8
	s_delay_alu instid0(VALU_DEP_3) | instskip(NEXT) | instid1(VALU_DEP_3)
	v_and_b32_e32 v183, 0x8000, v183
	v_and_b32_e32 v182, 0xfc00, v182
	s_delay_alu instid0(VALU_DEP_1)
	v_or3_b32 v182, v183, v182, v8
.LBB303_529:                            ;   in Loop: Header=BB303_11 Depth=1
	s_wait_alu 0xfffe
	s_or_b32 exec_lo, exec_lo, s18
.LBB303_530:                            ;   in Loop: Header=BB303_11 Depth=1
	s_wait_alu 0xfffe
	s_or_b32 exec_lo, exec_lo, s17
.LBB303_531:                            ;   in Loop: Header=BB303_11 Depth=1
	s_wait_alu 0xfffe
	s_or_b32 exec_lo, exec_lo, s16
	v_lshrrev_b16 v8, 8, v28
	v_dual_mov_b32 v40, 0 :: v_dual_mov_b32 v183, 0
	s_mov_b32 s16, exec_lo
	s_delay_alu instid0(VALU_DEP_2)
	v_cmpx_ne_u16_e32 0, v8
	s_cbranch_execz .LBB303_539
; %bb.532:                              ;   in Loop: Header=BB303_11 Depth=1
	v_bfrev_b32_e32 v183, 1
	s_mov_b32 s17, exec_lo
	v_cmpx_ne_u16_e32 0x80, v8
	s_cbranch_execz .LBB303_538
; %bb.533:                              ;   in Loop: Header=BB303_11 Depth=1
	v_and_b32_e32 v41, 0xffff, v8
	v_mov_b32_e32 v183, 0x7c010000
	s_mov_b32 s18, exec_lo
	s_delay_alu instid0(VALU_DEP_2) | instskip(NEXT) | instid1(VALU_DEP_1)
	v_and_b32_e32 v43, 0x7f, v41
	v_cmpx_ne_u32_e32 0x7f, v43
	s_cbranch_execz .LBB303_537
; %bb.534:                              ;   in Loop: Header=BB303_11 Depth=1
	v_and_b32_e32 v183, 7, v41
	v_lshrrev_b32_e32 v42, 3, v43
	s_mov_b32 s19, exec_lo
	v_cmpx_gt_u32_e32 8, v43
; %bb.535:                              ;   in Loop: Header=BB303_11 Depth=1
	s_delay_alu instid0(VALU_DEP_3) | instskip(NEXT) | instid1(VALU_DEP_1)
	v_clz_i32_u32_e32 v183, v183
	v_min_u32_e32 v183, 32, v183
	s_delay_alu instid0(VALU_DEP_1) | instskip(NEXT) | instid1(VALU_DEP_1)
	v_subrev_nc_u32_e32 v42, 28, v183
	v_lshlrev_b64_e32 v[43:44], v42, v[8:9]
	v_sub_nc_u32_e32 v42, 29, v183
	s_delay_alu instid0(VALU_DEP_2)
	v_and_b32_e32 v183, 7, v43
; %bb.536:                              ;   in Loop: Header=BB303_11 Depth=1
	s_wait_alu 0xfffe
	s_or_b32 exec_lo, exec_lo, s19
	v_lshlrev_b32_e32 v8, 8, v41
	v_lshl_add_u32 v41, v42, 10, 0x2000
	v_lshlrev_b32_e32 v183, 23, v183
	s_delay_alu instid0(VALU_DEP_2) | instskip(NEXT) | instid1(VALU_DEP_1)
	v_and_or_b32 v8, 0x8000, v8, v41
	v_lshl_or_b32 v183, v8, 16, v183
.LBB303_537:                            ;   in Loop: Header=BB303_11 Depth=1
	s_wait_alu 0xfffe
	s_or_b32 exec_lo, exec_lo, s18
.LBB303_538:                            ;   in Loop: Header=BB303_11 Depth=1
	s_wait_alu 0xfffe
	s_or_b32 exec_lo, exec_lo, s17
.LBB303_539:                            ;   in Loop: Header=BB303_11 Depth=1
	s_wait_alu 0xfffe
	s_or_b32 exec_lo, exec_lo, s16
	v_lshrrev_b32_e32 v8, 16, v28
	s_mov_b32 s16, exec_lo
	s_delay_alu instid0(VALU_DEP_1) | instskip(NEXT) | instid1(VALU_DEP_1)
	v_and_b32_e32 v41, 0xff, v8
	v_cmpx_ne_u16_e32 0, v41
	s_cbranch_execz .LBB303_547
; %bb.540:                              ;   in Loop: Header=BB303_11 Depth=1
	v_mov_b32_e32 v40, 0x8000
	s_mov_b32 s17, exec_lo
	v_cmpx_ne_u16_e32 0x80, v41
	s_cbranch_execz .LBB303_546
; %bb.541:                              ;   in Loop: Header=BB303_11 Depth=1
	v_bfe_u32 v42, v28, 16, 7
	v_mov_b32_e32 v40, 0x7c01
	s_mov_b32 s18, exec_lo
	s_delay_alu instid0(VALU_DEP_2)
	v_cmpx_ne_u32_e32 0x7f, v42
	s_cbranch_execz .LBB303_545
; %bb.542:                              ;   in Loop: Header=BB303_11 Depth=1
	v_and_b32_e32 v40, 7, v8
	v_lshrrev_b32_e32 v41, 3, v42
	s_mov_b32 s19, exec_lo
	v_cmpx_gt_u32_e32 8, v42
; %bb.543:                              ;   in Loop: Header=BB303_11 Depth=1
	s_delay_alu instid0(VALU_DEP_3) | instskip(NEXT) | instid1(VALU_DEP_1)
	v_clz_i32_u32_e32 v40, v40
	v_min_u32_e32 v42, 32, v40
	s_delay_alu instid0(VALU_DEP_1) | instskip(NEXT) | instid1(VALU_DEP_1)
	v_subrev_nc_u32_e32 v40, 28, v42
	v_lshlrev_b64_e32 v[40:41], v40, v[8:9]
	v_sub_nc_u32_e32 v41, 29, v42
	s_delay_alu instid0(VALU_DEP_2)
	v_and_b32_e32 v40, 7, v40
; %bb.544:                              ;   in Loop: Header=BB303_11 Depth=1
	s_wait_alu 0xfffe
	s_or_b32 exec_lo, exec_lo, s19
	v_lshlrev_b32_e32 v8, 8, v8
	v_lshl_add_u32 v41, v41, 10, 0x2000
	v_lshlrev_b32_e32 v40, 7, v40
	s_delay_alu instid0(VALU_DEP_3) | instskip(NEXT) | instid1(VALU_DEP_3)
	v_and_b32_e32 v8, 0x8000, v8
	v_and_b32_e32 v41, 0xfc00, v41
	s_delay_alu instid0(VALU_DEP_1)
	v_or3_b32 v40, v8, v41, v40
.LBB303_545:                            ;   in Loop: Header=BB303_11 Depth=1
	s_wait_alu 0xfffe
	s_or_b32 exec_lo, exec_lo, s18
.LBB303_546:                            ;   in Loop: Header=BB303_11 Depth=1
	s_wait_alu 0xfffe
	s_or_b32 exec_lo, exec_lo, s17
.LBB303_547:                            ;   in Loop: Header=BB303_11 Depth=1
	s_wait_alu 0xfffe
	s_or_b32 exec_lo, exec_lo, s16
	v_dual_mov_b32 v41, 0 :: v_dual_mov_b32 v42, 0
	s_mov_b32 s16, exec_lo
	v_cmpx_lt_u32_e32 0xffffff, v28
	s_cbranch_execz .LBB303_555
; %bb.548:                              ;   in Loop: Header=BB303_11 Depth=1
	v_lshrrev_b32_e32 v8, 24, v28
	v_bfrev_b32_e32 v42, 1
	s_mov_b32 s17, exec_lo
	s_delay_alu instid0(VALU_DEP_2)
	v_cmpx_ne_u32_e32 0x80, v8
	s_cbranch_execz .LBB303_554
; %bb.549:                              ;   in Loop: Header=BB303_11 Depth=1
	v_and_b32_e32 v44, 0x7f, v8
	v_mov_b32_e32 v42, 0x7c010000
	s_mov_b32 s18, exec_lo
	s_delay_alu instid0(VALU_DEP_2)
	v_cmpx_ne_u32_e32 0x7f, v44
	s_cbranch_execz .LBB303_553
; %bb.550:                              ;   in Loop: Header=BB303_11 Depth=1
	v_and_b32_e32 v42, 7, v8
	v_lshrrev_b32_e32 v43, 3, v44
	s_mov_b32 s19, exec_lo
	v_cmpx_gt_u32_e32 8, v44
; %bb.551:                              ;   in Loop: Header=BB303_11 Depth=1
	s_delay_alu instid0(VALU_DEP_3) | instskip(NEXT) | instid1(VALU_DEP_1)
	v_clz_i32_u32_e32 v42, v42
	v_min_u32_e32 v44, 32, v42
	s_delay_alu instid0(VALU_DEP_1) | instskip(NEXT) | instid1(VALU_DEP_1)
	v_subrev_nc_u32_e32 v42, 28, v44
	v_lshlrev_b64_e32 v[42:43], v42, v[8:9]
	v_sub_nc_u32_e32 v43, 29, v44
	s_delay_alu instid0(VALU_DEP_2)
	v_and_b32_e32 v42, 7, v42
; %bb.552:                              ;   in Loop: Header=BB303_11 Depth=1
	s_wait_alu 0xfffe
	s_or_b32 exec_lo, exec_lo, s19
	v_lshlrev_b32_e32 v8, 8, v8
	v_lshl_add_u32 v43, v43, 10, 0x2000
	v_lshlrev_b32_e32 v42, 23, v42
	s_delay_alu instid0(VALU_DEP_2) | instskip(NEXT) | instid1(VALU_DEP_1)
	v_and_or_b32 v8, 0x8000, v8, v43
	v_lshl_or_b32 v42, v8, 16, v42
.LBB303_553:                            ;   in Loop: Header=BB303_11 Depth=1
	s_wait_alu 0xfffe
	s_or_b32 exec_lo, exec_lo, s18
.LBB303_554:                            ;   in Loop: Header=BB303_11 Depth=1
	s_wait_alu 0xfffe
	s_or_b32 exec_lo, exec_lo, s17
.LBB303_555:                            ;   in Loop: Header=BB303_11 Depth=1
	s_wait_alu 0xfffe
	s_or_b32 exec_lo, exec_lo, s16
	v_dual_mov_b32 v8, v29 :: v_dual_and_b32 v43, 0xff, v29
	s_mov_b32 s16, exec_lo
	s_delay_alu instid0(VALU_DEP_1)
	v_cmpx_ne_u16_e32 0, v43
	s_cbranch_execz .LBB303_563
; %bb.556:                              ;   in Loop: Header=BB303_11 Depth=1
	v_mov_b32_e32 v41, 0x8000
	s_mov_b32 s17, exec_lo
	v_cmpx_ne_u16_e32 0x80, v43
	s_cbranch_execz .LBB303_562
; %bb.557:                              ;   in Loop: Header=BB303_11 Depth=1
	v_and_b32_e32 v44, 0x7f, v29
	v_mov_b32_e32 v41, 0x7c01
	s_mov_b32 s18, exec_lo
	s_delay_alu instid0(VALU_DEP_2)
	v_cmpx_ne_u32_e32 0x7f, v44
	s_cbranch_execz .LBB303_561
; %bb.558:                              ;   in Loop: Header=BB303_11 Depth=1
	v_and_b32_e32 v41, 7, v29
	v_lshrrev_b32_e32 v43, 3, v44
	s_mov_b32 s19, exec_lo
	v_cmpx_gt_u32_e32 8, v44
; %bb.559:                              ;   in Loop: Header=BB303_11 Depth=1
	s_delay_alu instid0(VALU_DEP_3) | instskip(NEXT) | instid1(VALU_DEP_1)
	v_clz_i32_u32_e32 v41, v41
	v_min_u32_e32 v41, 32, v41
	s_delay_alu instid0(VALU_DEP_1) | instskip(NEXT) | instid1(VALU_DEP_1)
	v_subrev_nc_u32_e32 v43, 28, v41
	v_lshlrev_b64_e32 v[44:45], v43, v[8:9]
	v_sub_nc_u32_e32 v43, 29, v41
	s_delay_alu instid0(VALU_DEP_2)
	v_and_b32_e32 v41, 7, v44
; %bb.560:                              ;   in Loop: Header=BB303_11 Depth=1
	s_wait_alu 0xfffe
	s_or_b32 exec_lo, exec_lo, s19
	v_lshlrev_b32_e32 v44, 8, v29
	v_lshl_add_u32 v43, v43, 10, 0x2000
	v_lshlrev_b32_e32 v41, 7, v41
	s_delay_alu instid0(VALU_DEP_3) | instskip(NEXT) | instid1(VALU_DEP_3)
	v_and_b32_e32 v44, 0x8000, v44
	v_and_b32_e32 v43, 0xfc00, v43
	s_delay_alu instid0(VALU_DEP_1)
	v_or3_b32 v41, v44, v43, v41
.LBB303_561:                            ;   in Loop: Header=BB303_11 Depth=1
	s_wait_alu 0xfffe
	s_or_b32 exec_lo, exec_lo, s18
.LBB303_562:                            ;   in Loop: Header=BB303_11 Depth=1
	s_wait_alu 0xfffe
	s_or_b32 exec_lo, exec_lo, s17
.LBB303_563:                            ;   in Loop: Header=BB303_11 Depth=1
	s_wait_alu 0xfffe
	s_or_b32 exec_lo, exec_lo, s16
	v_lshrrev_b16 v8, 8, v8
	v_dual_mov_b32 v43, 0 :: v_dual_mov_b32 v44, 0
	s_mov_b32 s16, exec_lo
	s_delay_alu instid0(VALU_DEP_2)
	v_cmpx_ne_u16_e32 0, v8
	s_cbranch_execz .LBB303_571
; %bb.564:                              ;   in Loop: Header=BB303_11 Depth=1
	v_bfrev_b32_e32 v44, 1
	s_mov_b32 s17, exec_lo
	v_cmpx_ne_u16_e32 0x80, v8
	s_cbranch_execz .LBB303_570
; %bb.565:                              ;   in Loop: Header=BB303_11 Depth=1
	v_and_b32_e32 v45, 0xffff, v8
	v_mov_b32_e32 v44, 0x7c010000
	s_mov_b32 s18, exec_lo
	s_delay_alu instid0(VALU_DEP_2) | instskip(NEXT) | instid1(VALU_DEP_1)
	v_and_b32_e32 v47, 0x7f, v45
	v_cmpx_ne_u32_e32 0x7f, v47
	s_cbranch_execz .LBB303_569
; %bb.566:                              ;   in Loop: Header=BB303_11 Depth=1
	v_and_b32_e32 v44, 7, v45
	v_lshrrev_b32_e32 v46, 3, v47
	s_mov_b32 s19, exec_lo
	v_cmpx_gt_u32_e32 8, v47
; %bb.567:                              ;   in Loop: Header=BB303_11 Depth=1
	s_delay_alu instid0(VALU_DEP_3) | instskip(NEXT) | instid1(VALU_DEP_1)
	v_clz_i32_u32_e32 v44, v44
	v_min_u32_e32 v44, 32, v44
	s_delay_alu instid0(VALU_DEP_1) | instskip(NEXT) | instid1(VALU_DEP_1)
	v_subrev_nc_u32_e32 v46, 28, v44
	v_lshlrev_b64_e32 v[56:57], v46, v[8:9]
	v_sub_nc_u32_e32 v46, 29, v44
	s_delay_alu instid0(VALU_DEP_2)
	v_and_b32_e32 v44, 7, v56
; %bb.568:                              ;   in Loop: Header=BB303_11 Depth=1
	s_wait_alu 0xfffe
	s_or_b32 exec_lo, exec_lo, s19
	v_lshlrev_b32_e32 v8, 8, v45
	v_lshl_add_u32 v45, v46, 10, 0x2000
	v_lshlrev_b32_e32 v44, 23, v44
	s_delay_alu instid0(VALU_DEP_2) | instskip(NEXT) | instid1(VALU_DEP_1)
	v_and_or_b32 v8, 0x8000, v8, v45
	v_lshl_or_b32 v44, v8, 16, v44
.LBB303_569:                            ;   in Loop: Header=BB303_11 Depth=1
	s_wait_alu 0xfffe
	s_or_b32 exec_lo, exec_lo, s18
.LBB303_570:                            ;   in Loop: Header=BB303_11 Depth=1
	s_wait_alu 0xfffe
	s_or_b32 exec_lo, exec_lo, s17
.LBB303_571:                            ;   in Loop: Header=BB303_11 Depth=1
	s_wait_alu 0xfffe
	s_or_b32 exec_lo, exec_lo, s16
	v_lshrrev_b32_e32 v8, 16, v29
	s_mov_b32 s16, exec_lo
	s_delay_alu instid0(VALU_DEP_1) | instskip(NEXT) | instid1(VALU_DEP_1)
	v_and_b32_e32 v45, 0xff, v8
	v_cmpx_ne_u16_e32 0, v45
	s_cbranch_execz .LBB303_579
; %bb.572:                              ;   in Loop: Header=BB303_11 Depth=1
	v_mov_b32_e32 v43, 0x8000
	s_mov_b32 s17, exec_lo
	v_cmpx_ne_u16_e32 0x80, v45
	s_cbranch_execz .LBB303_578
; %bb.573:                              ;   in Loop: Header=BB303_11 Depth=1
	v_bfe_u32 v46, v29, 16, 7
	v_mov_b32_e32 v43, 0x7c01
	s_mov_b32 s18, exec_lo
	s_delay_alu instid0(VALU_DEP_2)
	v_cmpx_ne_u32_e32 0x7f, v46
	s_cbranch_execz .LBB303_577
; %bb.574:                              ;   in Loop: Header=BB303_11 Depth=1
	v_and_b32_e32 v43, 7, v8
	v_lshrrev_b32_e32 v45, 3, v46
	s_mov_b32 s19, exec_lo
	v_cmpx_gt_u32_e32 8, v46
; %bb.575:                              ;   in Loop: Header=BB303_11 Depth=1
	s_delay_alu instid0(VALU_DEP_3) | instskip(NEXT) | instid1(VALU_DEP_1)
	v_clz_i32_u32_e32 v43, v43
	v_min_u32_e32 v43, 32, v43
	s_delay_alu instid0(VALU_DEP_1) | instskip(NEXT) | instid1(VALU_DEP_1)
	v_subrev_nc_u32_e32 v45, 28, v43
	v_lshlrev_b64_e32 v[46:47], v45, v[8:9]
	v_sub_nc_u32_e32 v45, 29, v43
	s_delay_alu instid0(VALU_DEP_2)
	v_and_b32_e32 v43, 7, v46
; %bb.576:                              ;   in Loop: Header=BB303_11 Depth=1
	s_wait_alu 0xfffe
	s_or_b32 exec_lo, exec_lo, s19
	v_lshlrev_b32_e32 v8, 8, v8
	v_lshl_add_u32 v45, v45, 10, 0x2000
	v_lshlrev_b32_e32 v43, 7, v43
	s_delay_alu instid0(VALU_DEP_3) | instskip(NEXT) | instid1(VALU_DEP_3)
	v_and_b32_e32 v8, 0x8000, v8
	v_and_b32_e32 v45, 0xfc00, v45
	s_delay_alu instid0(VALU_DEP_1)
	v_or3_b32 v43, v8, v45, v43
.LBB303_577:                            ;   in Loop: Header=BB303_11 Depth=1
	s_wait_alu 0xfffe
	s_or_b32 exec_lo, exec_lo, s18
.LBB303_578:                            ;   in Loop: Header=BB303_11 Depth=1
	s_wait_alu 0xfffe
	s_or_b32 exec_lo, exec_lo, s17
.LBB303_579:                            ;   in Loop: Header=BB303_11 Depth=1
	s_wait_alu 0xfffe
	s_or_b32 exec_lo, exec_lo, s16
	v_dual_mov_b32 v46, 0 :: v_dual_mov_b32 v45, 0
	s_mov_b32 s16, exec_lo
	v_cmpx_lt_u64_e64 s[2:3], v[28:29]
	s_cbranch_execz .LBB303_587
; %bb.580:                              ;   in Loop: Header=BB303_11 Depth=1
	v_lshrrev_b32_e32 v8, 24, v29
	v_bfrev_b32_e32 v45, 1
	s_mov_b32 s17, exec_lo
	s_delay_alu instid0(VALU_DEP_2)
	v_cmpx_ne_u32_e32 0x80, v8
	s_cbranch_execz .LBB303_586
; %bb.581:                              ;   in Loop: Header=BB303_11 Depth=1
	v_and_b32_e32 v47, 0x7f, v8
	v_mov_b32_e32 v45, 0x7c010000
	s_mov_b32 s18, exec_lo
	s_delay_alu instid0(VALU_DEP_2)
	v_cmpx_ne_u32_e32 0x7f, v47
	s_cbranch_execz .LBB303_585
; %bb.582:                              ;   in Loop: Header=BB303_11 Depth=1
	v_and_b32_e32 v28, 7, v8
	v_lshrrev_b32_e32 v29, 3, v47
	s_mov_b32 s19, exec_lo
	v_cmpx_gt_u32_e32 8, v47
; %bb.583:                              ;   in Loop: Header=BB303_11 Depth=1
	s_delay_alu instid0(VALU_DEP_3) | instskip(NEXT) | instid1(VALU_DEP_1)
	v_clz_i32_u32_e32 v28, v28
	v_min_u32_e32 v45, 32, v28
	s_delay_alu instid0(VALU_DEP_1) | instskip(NEXT) | instid1(VALU_DEP_1)
	v_subrev_nc_u32_e32 v28, 28, v45
	v_lshlrev_b64_e32 v[28:29], v28, v[8:9]
	v_sub_nc_u32_e32 v29, 29, v45
	s_delay_alu instid0(VALU_DEP_2)
	v_and_b32_e32 v28, 7, v28
; %bb.584:                              ;   in Loop: Header=BB303_11 Depth=1
	s_wait_alu 0xfffe
	s_or_b32 exec_lo, exec_lo, s19
	v_lshlrev_b32_e32 v8, 8, v8
	v_lshl_add_u32 v29, v29, 10, 0x2000
	v_lshlrev_b32_e32 v28, 23, v28
	s_delay_alu instid0(VALU_DEP_2) | instskip(NEXT) | instid1(VALU_DEP_1)
	v_and_or_b32 v8, 0x8000, v8, v29
	v_lshl_or_b32 v45, v8, 16, v28
.LBB303_585:                            ;   in Loop: Header=BB303_11 Depth=1
	s_wait_alu 0xfffe
	s_or_b32 exec_lo, exec_lo, s18
.LBB303_586:                            ;   in Loop: Header=BB303_11 Depth=1
	s_wait_alu 0xfffe
	s_or_b32 exec_lo, exec_lo, s17
.LBB303_587:                            ;   in Loop: Header=BB303_11 Depth=1
	s_wait_alu 0xfffe
	s_or_b32 exec_lo, exec_lo, s16
	flat_load_b64 v[28:29], v[20:21] offset:2056
	s_mov_b32 s16, exec_lo
	s_wait_loadcnt_dscnt 0x0
	v_and_b32_e32 v8, 0xff, v28
	s_delay_alu instid0(VALU_DEP_1)
	v_cmpx_ne_u16_e32 0, v8
	s_cbranch_execz .LBB303_595
; %bb.588:                              ;   in Loop: Header=BB303_11 Depth=1
	v_mov_b32_e32 v46, 0x8000
	s_mov_b32 s17, exec_lo
	v_cmpx_ne_u16_e32 0x80, v8
	s_cbranch_execz .LBB303_594
; %bb.589:                              ;   in Loop: Header=BB303_11 Depth=1
	v_and_b32_e32 v47, 0x7f, v28
	v_mov_b32_e32 v46, 0x7c01
	s_mov_b32 s18, exec_lo
	s_delay_alu instid0(VALU_DEP_2)
	v_cmpx_ne_u32_e32 0x7f, v47
	s_cbranch_execz .LBB303_593
; %bb.590:                              ;   in Loop: Header=BB303_11 Depth=1
	v_and_b32_e32 v8, 7, v28
	v_lshrrev_b32_e32 v46, 3, v47
	s_mov_b32 s19, exec_lo
	v_cmpx_gt_u32_e32 8, v47
; %bb.591:                              ;   in Loop: Header=BB303_11 Depth=1
	s_delay_alu instid0(VALU_DEP_3) | instskip(NEXT) | instid1(VALU_DEP_1)
	v_clz_i32_u32_e32 v8, v8
	v_min_u32_e32 v8, 32, v8
	s_delay_alu instid0(VALU_DEP_1) | instskip(NEXT) | instid1(VALU_DEP_1)
	v_subrev_nc_u32_e32 v46, 28, v8
	v_lshlrev_b64_e32 v[56:57], v46, v[28:29]
	v_sub_nc_u32_e32 v46, 29, v8
	s_delay_alu instid0(VALU_DEP_2)
	v_and_b32_e32 v8, 7, v56
; %bb.592:                              ;   in Loop: Header=BB303_11 Depth=1
	s_wait_alu 0xfffe
	s_or_b32 exec_lo, exec_lo, s19
	v_lshlrev_b32_e32 v47, 8, v28
	v_lshl_add_u32 v46, v46, 10, 0x2000
	v_lshlrev_b32_e32 v8, 7, v8
	s_delay_alu instid0(VALU_DEP_3) | instskip(NEXT) | instid1(VALU_DEP_3)
	v_and_b32_e32 v47, 0x8000, v47
	v_and_b32_e32 v46, 0xfc00, v46
	s_delay_alu instid0(VALU_DEP_1)
	v_or3_b32 v46, v47, v46, v8
.LBB303_593:                            ;   in Loop: Header=BB303_11 Depth=1
	s_wait_alu 0xfffe
	s_or_b32 exec_lo, exec_lo, s18
.LBB303_594:                            ;   in Loop: Header=BB303_11 Depth=1
	s_wait_alu 0xfffe
	s_or_b32 exec_lo, exec_lo, s17
.LBB303_595:                            ;   in Loop: Header=BB303_11 Depth=1
	s_wait_alu 0xfffe
	s_or_b32 exec_lo, exec_lo, s16
	v_lshrrev_b16 v8, 8, v28
	v_dual_mov_b32 v56, 0 :: v_dual_mov_b32 v47, 0
	s_mov_b32 s16, exec_lo
	s_delay_alu instid0(VALU_DEP_2)
	v_cmpx_ne_u16_e32 0, v8
	s_cbranch_execz .LBB303_603
; %bb.596:                              ;   in Loop: Header=BB303_11 Depth=1
	v_bfrev_b32_e32 v47, 1
	s_mov_b32 s17, exec_lo
	v_cmpx_ne_u16_e32 0x80, v8
	s_cbranch_execz .LBB303_602
; %bb.597:                              ;   in Loop: Header=BB303_11 Depth=1
	v_and_b32_e32 v57, 0xffff, v8
	v_mov_b32_e32 v47, 0x7c010000
	s_mov_b32 s18, exec_lo
	s_delay_alu instid0(VALU_DEP_2) | instskip(NEXT) | instid1(VALU_DEP_1)
	v_and_b32_e32 v59, 0x7f, v57
	v_cmpx_ne_u32_e32 0x7f, v59
	s_cbranch_execz .LBB303_601
; %bb.598:                              ;   in Loop: Header=BB303_11 Depth=1
	v_and_b32_e32 v47, 7, v57
	v_lshrrev_b32_e32 v58, 3, v59
	s_mov_b32 s19, exec_lo
	v_cmpx_gt_u32_e32 8, v59
; %bb.599:                              ;   in Loop: Header=BB303_11 Depth=1
	s_delay_alu instid0(VALU_DEP_3) | instskip(NEXT) | instid1(VALU_DEP_1)
	v_clz_i32_u32_e32 v47, v47
	v_min_u32_e32 v47, 32, v47
	s_delay_alu instid0(VALU_DEP_1) | instskip(NEXT) | instid1(VALU_DEP_1)
	v_subrev_nc_u32_e32 v58, 28, v47
	v_lshlrev_b64_e32 v[59:60], v58, v[8:9]
	v_sub_nc_u32_e32 v58, 29, v47
	s_delay_alu instid0(VALU_DEP_2)
	v_and_b32_e32 v47, 7, v59
; %bb.600:                              ;   in Loop: Header=BB303_11 Depth=1
	s_wait_alu 0xfffe
	s_or_b32 exec_lo, exec_lo, s19
	v_lshlrev_b32_e32 v8, 8, v57
	v_lshl_add_u32 v57, v58, 10, 0x2000
	v_lshlrev_b32_e32 v47, 23, v47
	s_delay_alu instid0(VALU_DEP_2) | instskip(NEXT) | instid1(VALU_DEP_1)
	v_and_or_b32 v8, 0x8000, v8, v57
	v_lshl_or_b32 v47, v8, 16, v47
.LBB303_601:                            ;   in Loop: Header=BB303_11 Depth=1
	s_wait_alu 0xfffe
	s_or_b32 exec_lo, exec_lo, s18
.LBB303_602:                            ;   in Loop: Header=BB303_11 Depth=1
	s_wait_alu 0xfffe
	s_or_b32 exec_lo, exec_lo, s17
.LBB303_603:                            ;   in Loop: Header=BB303_11 Depth=1
	s_wait_alu 0xfffe
	s_or_b32 exec_lo, exec_lo, s16
	v_lshrrev_b32_e32 v8, 16, v28
	s_mov_b32 s16, exec_lo
	s_delay_alu instid0(VALU_DEP_1) | instskip(NEXT) | instid1(VALU_DEP_1)
	v_and_b32_e32 v57, 0xff, v8
	v_cmpx_ne_u16_e32 0, v57
	s_cbranch_execz .LBB303_611
; %bb.604:                              ;   in Loop: Header=BB303_11 Depth=1
	v_mov_b32_e32 v56, 0x8000
	s_mov_b32 s17, exec_lo
	v_cmpx_ne_u16_e32 0x80, v57
	s_cbranch_execz .LBB303_610
; %bb.605:                              ;   in Loop: Header=BB303_11 Depth=1
	v_bfe_u32 v58, v28, 16, 7
	v_mov_b32_e32 v56, 0x7c01
	s_mov_b32 s18, exec_lo
	s_delay_alu instid0(VALU_DEP_2)
	v_cmpx_ne_u32_e32 0x7f, v58
	s_cbranch_execz .LBB303_609
; %bb.606:                              ;   in Loop: Header=BB303_11 Depth=1
	v_and_b32_e32 v56, 7, v8
	v_lshrrev_b32_e32 v57, 3, v58
	s_mov_b32 s19, exec_lo
	v_cmpx_gt_u32_e32 8, v58
; %bb.607:                              ;   in Loop: Header=BB303_11 Depth=1
	s_delay_alu instid0(VALU_DEP_3) | instskip(NEXT) | instid1(VALU_DEP_1)
	v_clz_i32_u32_e32 v56, v56
	v_min_u32_e32 v58, 32, v56
	s_delay_alu instid0(VALU_DEP_1) | instskip(NEXT) | instid1(VALU_DEP_1)
	v_subrev_nc_u32_e32 v56, 28, v58
	v_lshlrev_b64_e32 v[56:57], v56, v[8:9]
	v_sub_nc_u32_e32 v57, 29, v58
	s_delay_alu instid0(VALU_DEP_2)
	v_and_b32_e32 v56, 7, v56
; %bb.608:                              ;   in Loop: Header=BB303_11 Depth=1
	s_wait_alu 0xfffe
	s_or_b32 exec_lo, exec_lo, s19
	v_lshlrev_b32_e32 v8, 8, v8
	v_lshl_add_u32 v57, v57, 10, 0x2000
	v_lshlrev_b32_e32 v56, 7, v56
	s_delay_alu instid0(VALU_DEP_3) | instskip(NEXT) | instid1(VALU_DEP_3)
	v_and_b32_e32 v8, 0x8000, v8
	v_and_b32_e32 v57, 0xfc00, v57
	s_delay_alu instid0(VALU_DEP_1)
	v_or3_b32 v56, v8, v57, v56
.LBB303_609:                            ;   in Loop: Header=BB303_11 Depth=1
	s_wait_alu 0xfffe
	s_or_b32 exec_lo, exec_lo, s18
.LBB303_610:                            ;   in Loop: Header=BB303_11 Depth=1
	s_wait_alu 0xfffe
	s_or_b32 exec_lo, exec_lo, s17
.LBB303_611:                            ;   in Loop: Header=BB303_11 Depth=1
	s_wait_alu 0xfffe
	s_or_b32 exec_lo, exec_lo, s16
	v_dual_mov_b32 v57, 0 :: v_dual_mov_b32 v58, 0
	s_mov_b32 s16, exec_lo
	v_cmpx_lt_u32_e32 0xffffff, v28
	s_cbranch_execz .LBB303_619
; %bb.612:                              ;   in Loop: Header=BB303_11 Depth=1
	v_lshrrev_b32_e32 v8, 24, v28
	v_bfrev_b32_e32 v58, 1
	s_mov_b32 s17, exec_lo
	s_delay_alu instid0(VALU_DEP_2)
	v_cmpx_ne_u32_e32 0x80, v8
	s_cbranch_execz .LBB303_618
; %bb.613:                              ;   in Loop: Header=BB303_11 Depth=1
	v_and_b32_e32 v60, 0x7f, v8
	v_mov_b32_e32 v58, 0x7c010000
	s_mov_b32 s18, exec_lo
	s_delay_alu instid0(VALU_DEP_2)
	v_cmpx_ne_u32_e32 0x7f, v60
	s_cbranch_execz .LBB303_617
; %bb.614:                              ;   in Loop: Header=BB303_11 Depth=1
	v_and_b32_e32 v58, 7, v8
	v_lshrrev_b32_e32 v59, 3, v60
	s_mov_b32 s19, exec_lo
	v_cmpx_gt_u32_e32 8, v60
; %bb.615:                              ;   in Loop: Header=BB303_11 Depth=1
	s_delay_alu instid0(VALU_DEP_3) | instskip(NEXT) | instid1(VALU_DEP_1)
	v_clz_i32_u32_e32 v58, v58
	v_min_u32_e32 v60, 32, v58
	s_delay_alu instid0(VALU_DEP_1) | instskip(NEXT) | instid1(VALU_DEP_1)
	v_subrev_nc_u32_e32 v58, 28, v60
	v_lshlrev_b64_e32 v[58:59], v58, v[8:9]
	v_sub_nc_u32_e32 v59, 29, v60
	s_delay_alu instid0(VALU_DEP_2)
	v_and_b32_e32 v58, 7, v58
; %bb.616:                              ;   in Loop: Header=BB303_11 Depth=1
	s_wait_alu 0xfffe
	s_or_b32 exec_lo, exec_lo, s19
	v_lshlrev_b32_e32 v8, 8, v8
	v_lshl_add_u32 v59, v59, 10, 0x2000
	v_lshlrev_b32_e32 v58, 23, v58
	s_delay_alu instid0(VALU_DEP_2) | instskip(NEXT) | instid1(VALU_DEP_1)
	v_and_or_b32 v8, 0x8000, v8, v59
	v_lshl_or_b32 v58, v8, 16, v58
.LBB303_617:                            ;   in Loop: Header=BB303_11 Depth=1
	s_wait_alu 0xfffe
	s_or_b32 exec_lo, exec_lo, s18
.LBB303_618:                            ;   in Loop: Header=BB303_11 Depth=1
	s_wait_alu 0xfffe
	s_or_b32 exec_lo, exec_lo, s17
.LBB303_619:                            ;   in Loop: Header=BB303_11 Depth=1
	s_wait_alu 0xfffe
	s_or_b32 exec_lo, exec_lo, s16
	v_dual_mov_b32 v8, v29 :: v_dual_and_b32 v59, 0xff, v29
	s_mov_b32 s16, exec_lo
	s_delay_alu instid0(VALU_DEP_1)
	v_cmpx_ne_u16_e32 0, v59
	s_cbranch_execz .LBB303_627
; %bb.620:                              ;   in Loop: Header=BB303_11 Depth=1
	v_mov_b32_e32 v57, 0x8000
	s_mov_b32 s17, exec_lo
	v_cmpx_ne_u16_e32 0x80, v59
	s_cbranch_execz .LBB303_626
; %bb.621:                              ;   in Loop: Header=BB303_11 Depth=1
	v_and_b32_e32 v60, 0x7f, v29
	v_mov_b32_e32 v57, 0x7c01
	s_mov_b32 s18, exec_lo
	s_delay_alu instid0(VALU_DEP_2)
	v_cmpx_ne_u32_e32 0x7f, v60
	s_cbranch_execz .LBB303_625
; %bb.622:                              ;   in Loop: Header=BB303_11 Depth=1
	v_and_b32_e32 v57, 7, v29
	v_lshrrev_b32_e32 v59, 3, v60
	s_mov_b32 s19, exec_lo
	v_cmpx_gt_u32_e32 8, v60
; %bb.623:                              ;   in Loop: Header=BB303_11 Depth=1
	s_delay_alu instid0(VALU_DEP_3) | instskip(NEXT) | instid1(VALU_DEP_1)
	v_clz_i32_u32_e32 v57, v57
	v_min_u32_e32 v57, 32, v57
	s_delay_alu instid0(VALU_DEP_1) | instskip(NEXT) | instid1(VALU_DEP_1)
	v_subrev_nc_u32_e32 v59, 28, v57
	v_lshlrev_b64_e32 v[60:61], v59, v[8:9]
	v_sub_nc_u32_e32 v59, 29, v57
	s_delay_alu instid0(VALU_DEP_2)
	v_and_b32_e32 v57, 7, v60
; %bb.624:                              ;   in Loop: Header=BB303_11 Depth=1
	s_wait_alu 0xfffe
	s_or_b32 exec_lo, exec_lo, s19
	v_lshlrev_b32_e32 v60, 8, v29
	v_lshl_add_u32 v59, v59, 10, 0x2000
	v_lshlrev_b32_e32 v57, 7, v57
	s_delay_alu instid0(VALU_DEP_3) | instskip(NEXT) | instid1(VALU_DEP_3)
	v_and_b32_e32 v60, 0x8000, v60
	v_and_b32_e32 v59, 0xfc00, v59
	s_delay_alu instid0(VALU_DEP_1)
	v_or3_b32 v57, v60, v59, v57
.LBB303_625:                            ;   in Loop: Header=BB303_11 Depth=1
	s_wait_alu 0xfffe
	s_or_b32 exec_lo, exec_lo, s18
.LBB303_626:                            ;   in Loop: Header=BB303_11 Depth=1
	s_wait_alu 0xfffe
	s_or_b32 exec_lo, exec_lo, s17
.LBB303_627:                            ;   in Loop: Header=BB303_11 Depth=1
	s_wait_alu 0xfffe
	s_or_b32 exec_lo, exec_lo, s16
	v_lshrrev_b16 v8, 8, v8
	v_dual_mov_b32 v73, 0 :: v_dual_mov_b32 v74, 0
	s_mov_b32 s16, exec_lo
	s_delay_alu instid0(VALU_DEP_2)
	v_cmpx_ne_u16_e32 0, v8
	s_cbranch_execz .LBB303_635
; %bb.628:                              ;   in Loop: Header=BB303_11 Depth=1
	v_bfrev_b32_e32 v74, 1
	s_mov_b32 s17, exec_lo
	v_cmpx_ne_u16_e32 0x80, v8
	s_cbranch_execz .LBB303_634
; %bb.629:                              ;   in Loop: Header=BB303_11 Depth=1
	v_and_b32_e32 v59, 0xffff, v8
	v_mov_b32_e32 v74, 0x7c010000
	s_mov_b32 s18, exec_lo
	s_delay_alu instid0(VALU_DEP_2) | instskip(NEXT) | instid1(VALU_DEP_1)
	v_and_b32_e32 v62, 0x7f, v59
	v_cmpx_ne_u32_e32 0x7f, v62
	s_cbranch_execz .LBB303_633
; %bb.630:                              ;   in Loop: Header=BB303_11 Depth=1
	v_and_b32_e32 v60, 7, v59
	v_lshrrev_b32_e32 v61, 3, v62
	s_mov_b32 s19, exec_lo
	v_cmpx_gt_u32_e32 8, v62
; %bb.631:                              ;   in Loop: Header=BB303_11 Depth=1
	s_delay_alu instid0(VALU_DEP_3) | instskip(NEXT) | instid1(VALU_DEP_1)
	v_clz_i32_u32_e32 v60, v60
	v_min_u32_e32 v62, 32, v60
	s_delay_alu instid0(VALU_DEP_1) | instskip(NEXT) | instid1(VALU_DEP_1)
	v_subrev_nc_u32_e32 v60, 28, v62
	v_lshlrev_b64_e32 v[60:61], v60, v[8:9]
	v_sub_nc_u32_e32 v61, 29, v62
	s_delay_alu instid0(VALU_DEP_2)
	v_and_b32_e32 v60, 7, v60
; %bb.632:                              ;   in Loop: Header=BB303_11 Depth=1
	s_wait_alu 0xfffe
	s_or_b32 exec_lo, exec_lo, s19
	v_lshlrev_b32_e32 v8, 8, v59
	v_lshl_add_u32 v59, v61, 10, 0x2000
	s_delay_alu instid0(VALU_DEP_1) | instskip(SKIP_1) | instid1(VALU_DEP_1)
	v_and_or_b32 v8, 0x8000, v8, v59
	v_lshlrev_b32_e32 v59, 23, v60
	v_lshl_or_b32 v74, v8, 16, v59
.LBB303_633:                            ;   in Loop: Header=BB303_11 Depth=1
	s_wait_alu 0xfffe
	s_or_b32 exec_lo, exec_lo, s18
.LBB303_634:                            ;   in Loop: Header=BB303_11 Depth=1
	s_wait_alu 0xfffe
	s_or_b32 exec_lo, exec_lo, s17
.LBB303_635:                            ;   in Loop: Header=BB303_11 Depth=1
	s_wait_alu 0xfffe
	s_or_b32 exec_lo, exec_lo, s16
	v_lshrrev_b32_e32 v8, 16, v29
	s_mov_b32 s16, exec_lo
	s_delay_alu instid0(VALU_DEP_1) | instskip(NEXT) | instid1(VALU_DEP_1)
	v_and_b32_e32 v59, 0xff, v8
	v_cmpx_ne_u16_e32 0, v59
	s_cbranch_execz .LBB303_643
; %bb.636:                              ;   in Loop: Header=BB303_11 Depth=1
	v_mov_b32_e32 v73, 0x8000
	s_mov_b32 s17, exec_lo
	v_cmpx_ne_u16_e32 0x80, v59
	s_cbranch_execz .LBB303_642
; %bb.637:                              ;   in Loop: Header=BB303_11 Depth=1
	v_bfe_u32 v61, v29, 16, 7
	v_mov_b32_e32 v73, 0x7c01
	s_mov_b32 s18, exec_lo
	s_delay_alu instid0(VALU_DEP_2)
	v_cmpx_ne_u32_e32 0x7f, v61
	s_cbranch_execz .LBB303_641
; %bb.638:                              ;   in Loop: Header=BB303_11 Depth=1
	v_and_b32_e32 v59, 7, v8
	v_lshrrev_b32_e32 v60, 3, v61
	s_mov_b32 s19, exec_lo
	v_cmpx_gt_u32_e32 8, v61
; %bb.639:                              ;   in Loop: Header=BB303_11 Depth=1
	s_delay_alu instid0(VALU_DEP_3) | instskip(NEXT) | instid1(VALU_DEP_1)
	v_clz_i32_u32_e32 v59, v59
	v_min_u32_e32 v61, 32, v59
	s_delay_alu instid0(VALU_DEP_1) | instskip(NEXT) | instid1(VALU_DEP_1)
	v_subrev_nc_u32_e32 v59, 28, v61
	v_lshlrev_b64_e32 v[59:60], v59, v[8:9]
	v_sub_nc_u32_e32 v60, 29, v61
	s_delay_alu instid0(VALU_DEP_2)
	v_and_b32_e32 v59, 7, v59
; %bb.640:                              ;   in Loop: Header=BB303_11 Depth=1
	s_wait_alu 0xfffe
	s_or_b32 exec_lo, exec_lo, s19
	v_lshlrev_b32_e32 v8, 8, v8
	v_lshl_add_u32 v60, v60, 10, 0x2000
	v_lshlrev_b32_e32 v59, 7, v59
	s_delay_alu instid0(VALU_DEP_3) | instskip(NEXT) | instid1(VALU_DEP_3)
	v_and_b32_e32 v8, 0x8000, v8
	v_and_b32_e32 v60, 0xfc00, v60
	s_delay_alu instid0(VALU_DEP_1)
	v_or3_b32 v73, v8, v60, v59
.LBB303_641:                            ;   in Loop: Header=BB303_11 Depth=1
	s_wait_alu 0xfffe
	s_or_b32 exec_lo, exec_lo, s18
.LBB303_642:                            ;   in Loop: Header=BB303_11 Depth=1
	s_wait_alu 0xfffe
	s_or_b32 exec_lo, exec_lo, s17
.LBB303_643:                            ;   in Loop: Header=BB303_11 Depth=1
	s_wait_alu 0xfffe
	s_or_b32 exec_lo, exec_lo, s16
	v_mov_b32_e32 v91, 0
	v_mov_b32_e32 v89, 0
	s_mov_b32 s16, exec_lo
	v_cmpx_lt_u64_e64 s[2:3], v[28:29]
	s_cbranch_execz .LBB303_651
; %bb.644:                              ;   in Loop: Header=BB303_11 Depth=1
	v_lshrrev_b32_e32 v8, 24, v29
	v_bfrev_b32_e32 v89, 1
	s_mov_b32 s17, exec_lo
	s_delay_alu instid0(VALU_DEP_2)
	v_cmpx_ne_u32_e32 0x80, v8
	s_cbranch_execz .LBB303_650
; %bb.645:                              ;   in Loop: Header=BB303_11 Depth=1
	v_and_b32_e32 v59, 0x7f, v8
	v_mov_b32_e32 v89, 0x7c010000
	s_mov_b32 s18, exec_lo
	s_delay_alu instid0(VALU_DEP_2)
	v_cmpx_ne_u32_e32 0x7f, v59
	s_cbranch_execz .LBB303_649
; %bb.646:                              ;   in Loop: Header=BB303_11 Depth=1
	v_and_b32_e32 v28, 7, v8
	v_lshrrev_b32_e32 v29, 3, v59
	s_mov_b32 s19, exec_lo
	v_cmpx_gt_u32_e32 8, v59
; %bb.647:                              ;   in Loop: Header=BB303_11 Depth=1
	s_delay_alu instid0(VALU_DEP_3) | instskip(NEXT) | instid1(VALU_DEP_1)
	v_clz_i32_u32_e32 v28, v28
	v_min_u32_e32 v59, 32, v28
	s_delay_alu instid0(VALU_DEP_1) | instskip(NEXT) | instid1(VALU_DEP_1)
	v_subrev_nc_u32_e32 v28, 28, v59
	v_lshlrev_b64_e32 v[28:29], v28, v[8:9]
	v_sub_nc_u32_e32 v29, 29, v59
	s_delay_alu instid0(VALU_DEP_2)
	v_and_b32_e32 v28, 7, v28
; %bb.648:                              ;   in Loop: Header=BB303_11 Depth=1
	s_wait_alu 0xfffe
	s_or_b32 exec_lo, exec_lo, s19
	v_lshlrev_b32_e32 v8, 8, v8
	v_lshl_add_u32 v29, v29, 10, 0x2000
	v_lshlrev_b32_e32 v28, 23, v28
	s_delay_alu instid0(VALU_DEP_2) | instskip(NEXT) | instid1(VALU_DEP_1)
	v_and_or_b32 v8, 0x8000, v8, v29
	v_lshl_or_b32 v89, v8, 16, v28
.LBB303_649:                            ;   in Loop: Header=BB303_11 Depth=1
	s_wait_alu 0xfffe
	s_or_b32 exec_lo, exec_lo, s18
.LBB303_650:                            ;   in Loop: Header=BB303_11 Depth=1
	s_wait_alu 0xfffe
	s_or_b32 exec_lo, exec_lo, s17
.LBB303_651:                            ;   in Loop: Header=BB303_11 Depth=1
	s_wait_alu 0xfffe
	s_or_b32 exec_lo, exec_lo, s16
	flat_load_b64 v[28:29], v[20:21] offset:2560
	s_mov_b32 s16, exec_lo
	s_wait_loadcnt_dscnt 0x0
	v_and_b32_e32 v8, 0xff, v28
	s_delay_alu instid0(VALU_DEP_1)
	v_cmpx_ne_u16_e32 0, v8
	s_cbranch_execz .LBB303_659
; %bb.652:                              ;   in Loop: Header=BB303_11 Depth=1
	v_mov_b32_e32 v91, 0x8000
	s_mov_b32 s17, exec_lo
	v_cmpx_ne_u16_e32 0x80, v8
	s_cbranch_execz .LBB303_658
; %bb.653:                              ;   in Loop: Header=BB303_11 Depth=1
	v_and_b32_e32 v60, 0x7f, v28
	v_mov_b32_e32 v91, 0x7c01
	s_mov_b32 s18, exec_lo
	s_delay_alu instid0(VALU_DEP_2)
	v_cmpx_ne_u32_e32 0x7f, v60
	s_cbranch_execz .LBB303_657
; %bb.654:                              ;   in Loop: Header=BB303_11 Depth=1
	v_and_b32_e32 v8, 7, v28
	v_lshrrev_b32_e32 v59, 3, v60
	s_mov_b32 s19, exec_lo
	v_cmpx_gt_u32_e32 8, v60
; %bb.655:                              ;   in Loop: Header=BB303_11 Depth=1
	s_delay_alu instid0(VALU_DEP_3) | instskip(NEXT) | instid1(VALU_DEP_1)
	v_clz_i32_u32_e32 v8, v8
	v_min_u32_e32 v8, 32, v8
	s_delay_alu instid0(VALU_DEP_1) | instskip(NEXT) | instid1(VALU_DEP_1)
	v_subrev_nc_u32_e32 v59, 28, v8
	v_lshlrev_b64_e32 v[60:61], v59, v[28:29]
	v_sub_nc_u32_e32 v59, 29, v8
	s_delay_alu instid0(VALU_DEP_2)
	v_and_b32_e32 v8, 7, v60
; %bb.656:                              ;   in Loop: Header=BB303_11 Depth=1
	s_wait_alu 0xfffe
	s_or_b32 exec_lo, exec_lo, s19
	v_lshlrev_b32_e32 v60, 8, v28
	v_lshl_add_u32 v59, v59, 10, 0x2000
	v_lshlrev_b32_e32 v8, 7, v8
	s_delay_alu instid0(VALU_DEP_3) | instskip(NEXT) | instid1(VALU_DEP_3)
	v_and_b32_e32 v60, 0x8000, v60
	v_and_b32_e32 v59, 0xfc00, v59
	s_delay_alu instid0(VALU_DEP_1)
	v_or3_b32 v91, v60, v59, v8
.LBB303_657:                            ;   in Loop: Header=BB303_11 Depth=1
	s_wait_alu 0xfffe
	s_or_b32 exec_lo, exec_lo, s18
.LBB303_658:                            ;   in Loop: Header=BB303_11 Depth=1
	s_wait_alu 0xfffe
	s_or_b32 exec_lo, exec_lo, s17
.LBB303_659:                            ;   in Loop: Header=BB303_11 Depth=1
	s_wait_alu 0xfffe
	s_or_b32 exec_lo, exec_lo, s16
	v_lshrrev_b16 v8, 8, v28
	v_dual_mov_b32 v94, 0 :: v_dual_mov_b32 v93, 0
	s_mov_b32 s16, exec_lo
	s_delay_alu instid0(VALU_DEP_2)
	v_cmpx_ne_u16_e32 0, v8
	s_cbranch_execz .LBB303_667
; %bb.660:                              ;   in Loop: Header=BB303_11 Depth=1
	v_bfrev_b32_e32 v93, 1
	s_mov_b32 s17, exec_lo
	v_cmpx_ne_u16_e32 0x80, v8
	s_cbranch_execz .LBB303_666
; %bb.661:                              ;   in Loop: Header=BB303_11 Depth=1
	v_and_b32_e32 v59, 0xffff, v8
	v_mov_b32_e32 v93, 0x7c010000
	s_mov_b32 s18, exec_lo
	s_delay_alu instid0(VALU_DEP_2) | instskip(NEXT) | instid1(VALU_DEP_1)
	v_and_b32_e32 v62, 0x7f, v59
	v_cmpx_ne_u32_e32 0x7f, v62
	s_cbranch_execz .LBB303_665
; %bb.662:                              ;   in Loop: Header=BB303_11 Depth=1
	v_and_b32_e32 v60, 7, v59
	v_lshrrev_b32_e32 v61, 3, v62
	s_mov_b32 s19, exec_lo
	v_cmpx_gt_u32_e32 8, v62
; %bb.663:                              ;   in Loop: Header=BB303_11 Depth=1
	s_delay_alu instid0(VALU_DEP_3) | instskip(NEXT) | instid1(VALU_DEP_1)
	v_clz_i32_u32_e32 v60, v60
	v_min_u32_e32 v62, 32, v60
	s_delay_alu instid0(VALU_DEP_1) | instskip(NEXT) | instid1(VALU_DEP_1)
	v_subrev_nc_u32_e32 v60, 28, v62
	v_lshlrev_b64_e32 v[60:61], v60, v[8:9]
	v_sub_nc_u32_e32 v61, 29, v62
	s_delay_alu instid0(VALU_DEP_2)
	v_and_b32_e32 v60, 7, v60
; %bb.664:                              ;   in Loop: Header=BB303_11 Depth=1
	s_wait_alu 0xfffe
	s_or_b32 exec_lo, exec_lo, s19
	v_lshlrev_b32_e32 v8, 8, v59
	v_lshl_add_u32 v59, v61, 10, 0x2000
	s_delay_alu instid0(VALU_DEP_1) | instskip(SKIP_1) | instid1(VALU_DEP_1)
	v_and_or_b32 v8, 0x8000, v8, v59
	v_lshlrev_b32_e32 v59, 23, v60
	v_lshl_or_b32 v93, v8, 16, v59
.LBB303_665:                            ;   in Loop: Header=BB303_11 Depth=1
	s_wait_alu 0xfffe
	s_or_b32 exec_lo, exec_lo, s18
.LBB303_666:                            ;   in Loop: Header=BB303_11 Depth=1
	s_wait_alu 0xfffe
	s_or_b32 exec_lo, exec_lo, s17
.LBB303_667:                            ;   in Loop: Header=BB303_11 Depth=1
	s_wait_alu 0xfffe
	s_or_b32 exec_lo, exec_lo, s16
	v_lshrrev_b32_e32 v8, 16, v28
	s_mov_b32 s16, exec_lo
	s_delay_alu instid0(VALU_DEP_1) | instskip(NEXT) | instid1(VALU_DEP_1)
	v_and_b32_e32 v59, 0xff, v8
	v_cmpx_ne_u16_e32 0, v59
	s_cbranch_execz .LBB303_675
; %bb.668:                              ;   in Loop: Header=BB303_11 Depth=1
	v_mov_b32_e32 v94, 0x8000
	s_mov_b32 s17, exec_lo
	v_cmpx_ne_u16_e32 0x80, v59
	s_cbranch_execz .LBB303_674
; %bb.669:                              ;   in Loop: Header=BB303_11 Depth=1
	v_bfe_u32 v61, v28, 16, 7
	v_mov_b32_e32 v94, 0x7c01
	s_mov_b32 s18, exec_lo
	s_delay_alu instid0(VALU_DEP_2)
	v_cmpx_ne_u32_e32 0x7f, v61
	s_cbranch_execz .LBB303_673
; %bb.670:                              ;   in Loop: Header=BB303_11 Depth=1
	v_and_b32_e32 v59, 7, v8
	v_lshrrev_b32_e32 v60, 3, v61
	s_mov_b32 s19, exec_lo
	v_cmpx_gt_u32_e32 8, v61
; %bb.671:                              ;   in Loop: Header=BB303_11 Depth=1
	s_delay_alu instid0(VALU_DEP_3) | instskip(NEXT) | instid1(VALU_DEP_1)
	v_clz_i32_u32_e32 v59, v59
	v_min_u32_e32 v61, 32, v59
	s_delay_alu instid0(VALU_DEP_1) | instskip(NEXT) | instid1(VALU_DEP_1)
	v_subrev_nc_u32_e32 v59, 28, v61
	v_lshlrev_b64_e32 v[59:60], v59, v[8:9]
	v_sub_nc_u32_e32 v60, 29, v61
	s_delay_alu instid0(VALU_DEP_2)
	v_and_b32_e32 v59, 7, v59
; %bb.672:                              ;   in Loop: Header=BB303_11 Depth=1
	s_wait_alu 0xfffe
	s_or_b32 exec_lo, exec_lo, s19
	v_lshlrev_b32_e32 v8, 8, v8
	v_lshl_add_u32 v60, v60, 10, 0x2000
	v_lshlrev_b32_e32 v59, 7, v59
	s_delay_alu instid0(VALU_DEP_3) | instskip(NEXT) | instid1(VALU_DEP_3)
	v_and_b32_e32 v8, 0x8000, v8
	v_and_b32_e32 v60, 0xfc00, v60
	s_delay_alu instid0(VALU_DEP_1)
	v_or3_b32 v94, v8, v60, v59
.LBB303_673:                            ;   in Loop: Header=BB303_11 Depth=1
	s_wait_alu 0xfffe
	s_or_b32 exec_lo, exec_lo, s18
.LBB303_674:                            ;   in Loop: Header=BB303_11 Depth=1
	s_wait_alu 0xfffe
	s_or_b32 exec_lo, exec_lo, s17
.LBB303_675:                            ;   in Loop: Header=BB303_11 Depth=1
	s_wait_alu 0xfffe
	s_or_b32 exec_lo, exec_lo, s16
	v_dual_mov_b32 v95, 0 :: v_dual_mov_b32 v104, 0
	s_mov_b32 s16, exec_lo
	v_cmpx_lt_u32_e32 0xffffff, v28
	s_cbranch_execz .LBB303_683
; %bb.676:                              ;   in Loop: Header=BB303_11 Depth=1
	v_lshrrev_b32_e32 v8, 24, v28
	v_bfrev_b32_e32 v104, 1
	s_mov_b32 s17, exec_lo
	s_delay_alu instid0(VALU_DEP_2)
	v_cmpx_ne_u32_e32 0x80, v8
	s_cbranch_execz .LBB303_682
; %bb.677:                              ;   in Loop: Header=BB303_11 Depth=1
	v_and_b32_e32 v61, 0x7f, v8
	v_mov_b32_e32 v104, 0x7c010000
	s_mov_b32 s18, exec_lo
	s_delay_alu instid0(VALU_DEP_2)
	v_cmpx_ne_u32_e32 0x7f, v61
	s_cbranch_execz .LBB303_681
; %bb.678:                              ;   in Loop: Header=BB303_11 Depth=1
	v_and_b32_e32 v59, 7, v8
	v_lshrrev_b32_e32 v60, 3, v61
	s_mov_b32 s19, exec_lo
	v_cmpx_gt_u32_e32 8, v61
; %bb.679:                              ;   in Loop: Header=BB303_11 Depth=1
	s_delay_alu instid0(VALU_DEP_3) | instskip(NEXT) | instid1(VALU_DEP_1)
	v_clz_i32_u32_e32 v59, v59
	v_min_u32_e32 v61, 32, v59
	s_delay_alu instid0(VALU_DEP_1) | instskip(NEXT) | instid1(VALU_DEP_1)
	v_subrev_nc_u32_e32 v59, 28, v61
	v_lshlrev_b64_e32 v[59:60], v59, v[8:9]
	v_sub_nc_u32_e32 v60, 29, v61
	s_delay_alu instid0(VALU_DEP_2)
	v_and_b32_e32 v59, 7, v59
; %bb.680:                              ;   in Loop: Header=BB303_11 Depth=1
	s_wait_alu 0xfffe
	s_or_b32 exec_lo, exec_lo, s19
	v_lshlrev_b32_e32 v8, 8, v8
	v_lshl_add_u32 v60, v60, 10, 0x2000
	v_lshlrev_b32_e32 v59, 23, v59
	s_delay_alu instid0(VALU_DEP_2) | instskip(NEXT) | instid1(VALU_DEP_1)
	v_and_or_b32 v8, 0x8000, v8, v60
	v_lshl_or_b32 v104, v8, 16, v59
.LBB303_681:                            ;   in Loop: Header=BB303_11 Depth=1
	s_wait_alu 0xfffe
	s_or_b32 exec_lo, exec_lo, s18
.LBB303_682:                            ;   in Loop: Header=BB303_11 Depth=1
	s_wait_alu 0xfffe
	s_or_b32 exec_lo, exec_lo, s17
.LBB303_683:                            ;   in Loop: Header=BB303_11 Depth=1
	s_wait_alu 0xfffe
	s_or_b32 exec_lo, exec_lo, s16
	v_dual_mov_b32 v8, v29 :: v_dual_and_b32 v59, 0xff, v29
	s_mov_b32 s16, exec_lo
	s_delay_alu instid0(VALU_DEP_1)
	v_cmpx_ne_u16_e32 0, v59
	s_cbranch_execz .LBB303_691
; %bb.684:                              ;   in Loop: Header=BB303_11 Depth=1
	v_mov_b32_e32 v95, 0x8000
	s_mov_b32 s17, exec_lo
	v_cmpx_ne_u16_e32 0x80, v59
	s_cbranch_execz .LBB303_690
; %bb.685:                              ;   in Loop: Header=BB303_11 Depth=1
	v_and_b32_e32 v61, 0x7f, v29
	v_mov_b32_e32 v95, 0x7c01
	s_mov_b32 s18, exec_lo
	s_delay_alu instid0(VALU_DEP_2)
	v_cmpx_ne_u32_e32 0x7f, v61
	s_cbranch_execz .LBB303_689
; %bb.686:                              ;   in Loop: Header=BB303_11 Depth=1
	v_and_b32_e32 v59, 7, v29
	v_lshrrev_b32_e32 v60, 3, v61
	s_mov_b32 s19, exec_lo
	v_cmpx_gt_u32_e32 8, v61
; %bb.687:                              ;   in Loop: Header=BB303_11 Depth=1
	s_delay_alu instid0(VALU_DEP_3) | instskip(NEXT) | instid1(VALU_DEP_1)
	v_clz_i32_u32_e32 v59, v59
	v_min_u32_e32 v61, 32, v59
	s_delay_alu instid0(VALU_DEP_1) | instskip(NEXT) | instid1(VALU_DEP_1)
	v_subrev_nc_u32_e32 v59, 28, v61
	v_lshlrev_b64_e32 v[59:60], v59, v[8:9]
	v_sub_nc_u32_e32 v60, 29, v61
	s_delay_alu instid0(VALU_DEP_2)
	v_and_b32_e32 v59, 7, v59
; %bb.688:                              ;   in Loop: Header=BB303_11 Depth=1
	s_wait_alu 0xfffe
	s_or_b32 exec_lo, exec_lo, s19
	v_lshlrev_b32_e32 v61, 8, v29
	v_lshl_add_u32 v60, v60, 10, 0x2000
	v_lshlrev_b32_e32 v59, 7, v59
	s_delay_alu instid0(VALU_DEP_3) | instskip(NEXT) | instid1(VALU_DEP_3)
	v_and_b32_e32 v61, 0x8000, v61
	v_and_b32_e32 v60, 0xfc00, v60
	s_delay_alu instid0(VALU_DEP_1)
	v_or3_b32 v95, v61, v60, v59
.LBB303_689:                            ;   in Loop: Header=BB303_11 Depth=1
	s_wait_alu 0xfffe
	s_or_b32 exec_lo, exec_lo, s18
.LBB303_690:                            ;   in Loop: Header=BB303_11 Depth=1
	s_wait_alu 0xfffe
	s_or_b32 exec_lo, exec_lo, s17
.LBB303_691:                            ;   in Loop: Header=BB303_11 Depth=1
	s_wait_alu 0xfffe
	s_or_b32 exec_lo, exec_lo, s16
	v_lshrrev_b16 v8, 8, v8
	v_dual_mov_b32 v108, 0 :: v_dual_mov_b32 v109, 0
	s_mov_b32 s16, exec_lo
	s_delay_alu instid0(VALU_DEP_2)
	v_cmpx_ne_u16_e32 0, v8
	s_cbranch_execz .LBB303_699
; %bb.692:                              ;   in Loop: Header=BB303_11 Depth=1
	v_bfrev_b32_e32 v109, 1
	s_mov_b32 s17, exec_lo
	v_cmpx_ne_u16_e32 0x80, v8
	s_cbranch_execz .LBB303_698
; %bb.693:                              ;   in Loop: Header=BB303_11 Depth=1
	v_and_b32_e32 v59, 0xffff, v8
	v_mov_b32_e32 v109, 0x7c010000
	s_mov_b32 s18, exec_lo
	s_delay_alu instid0(VALU_DEP_2) | instskip(NEXT) | instid1(VALU_DEP_1)
	v_and_b32_e32 v62, 0x7f, v59
	v_cmpx_ne_u32_e32 0x7f, v62
	s_cbranch_execz .LBB303_697
; %bb.694:                              ;   in Loop: Header=BB303_11 Depth=1
	v_and_b32_e32 v60, 7, v59
	v_lshrrev_b32_e32 v61, 3, v62
	s_mov_b32 s19, exec_lo
	v_cmpx_gt_u32_e32 8, v62
; %bb.695:                              ;   in Loop: Header=BB303_11 Depth=1
	s_delay_alu instid0(VALU_DEP_3) | instskip(NEXT) | instid1(VALU_DEP_1)
	v_clz_i32_u32_e32 v60, v60
	v_min_u32_e32 v62, 32, v60
	s_delay_alu instid0(VALU_DEP_1) | instskip(NEXT) | instid1(VALU_DEP_1)
	v_subrev_nc_u32_e32 v60, 28, v62
	v_lshlrev_b64_e32 v[60:61], v60, v[8:9]
	v_sub_nc_u32_e32 v61, 29, v62
	s_delay_alu instid0(VALU_DEP_2)
	v_and_b32_e32 v60, 7, v60
; %bb.696:                              ;   in Loop: Header=BB303_11 Depth=1
	s_wait_alu 0xfffe
	s_or_b32 exec_lo, exec_lo, s19
	v_lshlrev_b32_e32 v8, 8, v59
	v_lshl_add_u32 v59, v61, 10, 0x2000
	s_delay_alu instid0(VALU_DEP_1) | instskip(SKIP_1) | instid1(VALU_DEP_1)
	v_and_or_b32 v8, 0x8000, v8, v59
	v_lshlrev_b32_e32 v59, 23, v60
	v_lshl_or_b32 v109, v8, 16, v59
.LBB303_697:                            ;   in Loop: Header=BB303_11 Depth=1
	s_wait_alu 0xfffe
	s_or_b32 exec_lo, exec_lo, s18
.LBB303_698:                            ;   in Loop: Header=BB303_11 Depth=1
	s_wait_alu 0xfffe
	s_or_b32 exec_lo, exec_lo, s17
.LBB303_699:                            ;   in Loop: Header=BB303_11 Depth=1
	s_wait_alu 0xfffe
	s_or_b32 exec_lo, exec_lo, s16
	v_lshrrev_b32_e32 v8, 16, v29
	s_mov_b32 s16, exec_lo
	s_delay_alu instid0(VALU_DEP_1) | instskip(NEXT) | instid1(VALU_DEP_1)
	v_and_b32_e32 v59, 0xff, v8
	v_cmpx_ne_u16_e32 0, v59
	s_cbranch_execz .LBB303_707
; %bb.700:                              ;   in Loop: Header=BB303_11 Depth=1
	v_mov_b32_e32 v108, 0x8000
	s_mov_b32 s17, exec_lo
	v_cmpx_ne_u16_e32 0x80, v59
	s_cbranch_execz .LBB303_706
; %bb.701:                              ;   in Loop: Header=BB303_11 Depth=1
	v_bfe_u32 v61, v29, 16, 7
	v_mov_b32_e32 v108, 0x7c01
	s_mov_b32 s18, exec_lo
	s_delay_alu instid0(VALU_DEP_2)
	v_cmpx_ne_u32_e32 0x7f, v61
	s_cbranch_execz .LBB303_705
; %bb.702:                              ;   in Loop: Header=BB303_11 Depth=1
	v_and_b32_e32 v59, 7, v8
	v_lshrrev_b32_e32 v60, 3, v61
	s_mov_b32 s19, exec_lo
	v_cmpx_gt_u32_e32 8, v61
; %bb.703:                              ;   in Loop: Header=BB303_11 Depth=1
	s_delay_alu instid0(VALU_DEP_3) | instskip(NEXT) | instid1(VALU_DEP_1)
	v_clz_i32_u32_e32 v59, v59
	v_min_u32_e32 v61, 32, v59
	s_delay_alu instid0(VALU_DEP_1) | instskip(NEXT) | instid1(VALU_DEP_1)
	v_subrev_nc_u32_e32 v59, 28, v61
	v_lshlrev_b64_e32 v[59:60], v59, v[8:9]
	v_sub_nc_u32_e32 v60, 29, v61
	s_delay_alu instid0(VALU_DEP_2)
	v_and_b32_e32 v59, 7, v59
; %bb.704:                              ;   in Loop: Header=BB303_11 Depth=1
	s_wait_alu 0xfffe
	s_or_b32 exec_lo, exec_lo, s19
	v_lshlrev_b32_e32 v8, 8, v8
	v_lshl_add_u32 v60, v60, 10, 0x2000
	v_lshlrev_b32_e32 v59, 7, v59
	s_delay_alu instid0(VALU_DEP_3) | instskip(NEXT) | instid1(VALU_DEP_3)
	v_and_b32_e32 v8, 0x8000, v8
	v_and_b32_e32 v60, 0xfc00, v60
	s_delay_alu instid0(VALU_DEP_1)
	v_or3_b32 v108, v8, v60, v59
.LBB303_705:                            ;   in Loop: Header=BB303_11 Depth=1
	s_wait_alu 0xfffe
	s_or_b32 exec_lo, exec_lo, s18
.LBB303_706:                            ;   in Loop: Header=BB303_11 Depth=1
	s_wait_alu 0xfffe
	s_or_b32 exec_lo, exec_lo, s17
.LBB303_707:                            ;   in Loop: Header=BB303_11 Depth=1
	s_wait_alu 0xfffe
	s_or_b32 exec_lo, exec_lo, s16
	v_dual_mov_b32 v75, 0 :: v_dual_mov_b32 v110, 0
	s_mov_b32 s16, exec_lo
	v_cmpx_lt_u64_e64 s[2:3], v[28:29]
	s_cbranch_execz .LBB303_715
; %bb.708:                              ;   in Loop: Header=BB303_11 Depth=1
	v_lshrrev_b32_e32 v8, 24, v29
	v_bfrev_b32_e32 v110, 1
	s_mov_b32 s17, exec_lo
	s_delay_alu instid0(VALU_DEP_2)
	v_cmpx_ne_u32_e32 0x80, v8
	s_cbranch_execz .LBB303_714
; %bb.709:                              ;   in Loop: Header=BB303_11 Depth=1
	v_and_b32_e32 v59, 0x7f, v8
	v_mov_b32_e32 v110, 0x7c010000
	s_mov_b32 s18, exec_lo
	s_delay_alu instid0(VALU_DEP_2)
	v_cmpx_ne_u32_e32 0x7f, v59
	s_cbranch_execz .LBB303_713
; %bb.710:                              ;   in Loop: Header=BB303_11 Depth=1
	v_and_b32_e32 v28, 7, v8
	v_lshrrev_b32_e32 v29, 3, v59
	s_mov_b32 s19, exec_lo
	v_cmpx_gt_u32_e32 8, v59
; %bb.711:                              ;   in Loop: Header=BB303_11 Depth=1
	s_delay_alu instid0(VALU_DEP_3) | instskip(NEXT) | instid1(VALU_DEP_1)
	v_clz_i32_u32_e32 v28, v28
	v_min_u32_e32 v59, 32, v28
	s_delay_alu instid0(VALU_DEP_1) | instskip(NEXT) | instid1(VALU_DEP_1)
	v_subrev_nc_u32_e32 v28, 28, v59
	v_lshlrev_b64_e32 v[28:29], v28, v[8:9]
	v_sub_nc_u32_e32 v29, 29, v59
	s_delay_alu instid0(VALU_DEP_2)
	v_and_b32_e32 v28, 7, v28
; %bb.712:                              ;   in Loop: Header=BB303_11 Depth=1
	s_wait_alu 0xfffe
	s_or_b32 exec_lo, exec_lo, s19
	v_lshlrev_b32_e32 v8, 8, v8
	v_lshl_add_u32 v29, v29, 10, 0x2000
	v_lshlrev_b32_e32 v28, 23, v28
	s_delay_alu instid0(VALU_DEP_2) | instskip(NEXT) | instid1(VALU_DEP_1)
	v_and_or_b32 v8, 0x8000, v8, v29
	v_lshl_or_b32 v110, v8, 16, v28
.LBB303_713:                            ;   in Loop: Header=BB303_11 Depth=1
	s_wait_alu 0xfffe
	s_or_b32 exec_lo, exec_lo, s18
.LBB303_714:                            ;   in Loop: Header=BB303_11 Depth=1
	s_wait_alu 0xfffe
	s_or_b32 exec_lo, exec_lo, s17
.LBB303_715:                            ;   in Loop: Header=BB303_11 Depth=1
	s_wait_alu 0xfffe
	s_or_b32 exec_lo, exec_lo, s16
	flat_load_b64 v[28:29], v[20:21] offset:2568
	s_mov_b32 s16, exec_lo
	s_wait_loadcnt_dscnt 0x0
	v_and_b32_e32 v8, 0xff, v28
	s_delay_alu instid0(VALU_DEP_1)
	v_cmpx_ne_u16_e32 0, v8
	s_cbranch_execz .LBB303_723
; %bb.716:                              ;   in Loop: Header=BB303_11 Depth=1
	v_mov_b32_e32 v75, 0x8000
	s_mov_b32 s17, exec_lo
	v_cmpx_ne_u16_e32 0x80, v8
	s_cbranch_execz .LBB303_722
; %bb.717:                              ;   in Loop: Header=BB303_11 Depth=1
	v_and_b32_e32 v60, 0x7f, v28
	v_mov_b32_e32 v75, 0x7c01
	s_mov_b32 s18, exec_lo
	s_delay_alu instid0(VALU_DEP_2)
	v_cmpx_ne_u32_e32 0x7f, v60
	s_cbranch_execz .LBB303_721
; %bb.718:                              ;   in Loop: Header=BB303_11 Depth=1
	v_and_b32_e32 v8, 7, v28
	v_lshrrev_b32_e32 v59, 3, v60
	s_mov_b32 s19, exec_lo
	v_cmpx_gt_u32_e32 8, v60
; %bb.719:                              ;   in Loop: Header=BB303_11 Depth=1
	s_delay_alu instid0(VALU_DEP_3) | instskip(NEXT) | instid1(VALU_DEP_1)
	v_clz_i32_u32_e32 v8, v8
	v_min_u32_e32 v8, 32, v8
	s_delay_alu instid0(VALU_DEP_1) | instskip(NEXT) | instid1(VALU_DEP_1)
	v_subrev_nc_u32_e32 v59, 28, v8
	v_lshlrev_b64_e32 v[60:61], v59, v[28:29]
	v_sub_nc_u32_e32 v59, 29, v8
	s_delay_alu instid0(VALU_DEP_2)
	v_and_b32_e32 v8, 7, v60
; %bb.720:                              ;   in Loop: Header=BB303_11 Depth=1
	s_wait_alu 0xfffe
	s_or_b32 exec_lo, exec_lo, s19
	v_lshlrev_b32_e32 v60, 8, v28
	v_lshl_add_u32 v59, v59, 10, 0x2000
	v_lshlrev_b32_e32 v8, 7, v8
	s_delay_alu instid0(VALU_DEP_3) | instskip(NEXT) | instid1(VALU_DEP_3)
	v_and_b32_e32 v60, 0x8000, v60
	v_and_b32_e32 v59, 0xfc00, v59
	s_delay_alu instid0(VALU_DEP_1)
	v_or3_b32 v75, v60, v59, v8
.LBB303_721:                            ;   in Loop: Header=BB303_11 Depth=1
	s_wait_alu 0xfffe
	s_or_b32 exec_lo, exec_lo, s18
.LBB303_722:                            ;   in Loop: Header=BB303_11 Depth=1
	s_wait_alu 0xfffe
	s_or_b32 exec_lo, exec_lo, s17
.LBB303_723:                            ;   in Loop: Header=BB303_11 Depth=1
	s_wait_alu 0xfffe
	s_or_b32 exec_lo, exec_lo, s16
	v_lshrrev_b16 v8, 8, v28
	v_dual_mov_b32 v77, 0 :: v_dual_mov_b32 v76, 0
	s_mov_b32 s16, exec_lo
	s_delay_alu instid0(VALU_DEP_2)
	v_cmpx_ne_u16_e32 0, v8
	s_cbranch_execz .LBB303_731
; %bb.724:                              ;   in Loop: Header=BB303_11 Depth=1
	v_bfrev_b32_e32 v76, 1
	s_mov_b32 s17, exec_lo
	v_cmpx_ne_u16_e32 0x80, v8
	s_cbranch_execz .LBB303_730
; %bb.725:                              ;   in Loop: Header=BB303_11 Depth=1
	v_and_b32_e32 v59, 0xffff, v8
	v_mov_b32_e32 v76, 0x7c010000
	s_mov_b32 s18, exec_lo
	s_delay_alu instid0(VALU_DEP_2) | instskip(NEXT) | instid1(VALU_DEP_1)
	v_and_b32_e32 v62, 0x7f, v59
	v_cmpx_ne_u32_e32 0x7f, v62
	s_cbranch_execz .LBB303_729
; %bb.726:                              ;   in Loop: Header=BB303_11 Depth=1
	v_and_b32_e32 v60, 7, v59
	v_lshrrev_b32_e32 v61, 3, v62
	s_mov_b32 s19, exec_lo
	v_cmpx_gt_u32_e32 8, v62
; %bb.727:                              ;   in Loop: Header=BB303_11 Depth=1
	s_delay_alu instid0(VALU_DEP_3) | instskip(NEXT) | instid1(VALU_DEP_1)
	v_clz_i32_u32_e32 v60, v60
	v_min_u32_e32 v62, 32, v60
	s_delay_alu instid0(VALU_DEP_1) | instskip(NEXT) | instid1(VALU_DEP_1)
	v_subrev_nc_u32_e32 v60, 28, v62
	v_lshlrev_b64_e32 v[60:61], v60, v[8:9]
	v_sub_nc_u32_e32 v61, 29, v62
	s_delay_alu instid0(VALU_DEP_2)
	v_and_b32_e32 v60, 7, v60
; %bb.728:                              ;   in Loop: Header=BB303_11 Depth=1
	s_wait_alu 0xfffe
	s_or_b32 exec_lo, exec_lo, s19
	v_lshlrev_b32_e32 v8, 8, v59
	v_lshl_add_u32 v59, v61, 10, 0x2000
	s_delay_alu instid0(VALU_DEP_1) | instskip(SKIP_1) | instid1(VALU_DEP_1)
	v_and_or_b32 v8, 0x8000, v8, v59
	v_lshlrev_b32_e32 v59, 23, v60
	v_lshl_or_b32 v76, v8, 16, v59
.LBB303_729:                            ;   in Loop: Header=BB303_11 Depth=1
	s_wait_alu 0xfffe
	s_or_b32 exec_lo, exec_lo, s18
.LBB303_730:                            ;   in Loop: Header=BB303_11 Depth=1
	s_wait_alu 0xfffe
	s_or_b32 exec_lo, exec_lo, s17
.LBB303_731:                            ;   in Loop: Header=BB303_11 Depth=1
	s_wait_alu 0xfffe
	s_or_b32 exec_lo, exec_lo, s16
	v_lshrrev_b32_e32 v8, 16, v28
	s_mov_b32 s16, exec_lo
	s_delay_alu instid0(VALU_DEP_1) | instskip(NEXT) | instid1(VALU_DEP_1)
	v_and_b32_e32 v59, 0xff, v8
	v_cmpx_ne_u16_e32 0, v59
	s_cbranch_execz .LBB303_739
; %bb.732:                              ;   in Loop: Header=BB303_11 Depth=1
	v_mov_b32_e32 v77, 0x8000
	s_mov_b32 s17, exec_lo
	v_cmpx_ne_u16_e32 0x80, v59
	s_cbranch_execz .LBB303_738
; %bb.733:                              ;   in Loop: Header=BB303_11 Depth=1
	v_bfe_u32 v61, v28, 16, 7
	v_mov_b32_e32 v77, 0x7c01
	s_mov_b32 s18, exec_lo
	s_delay_alu instid0(VALU_DEP_2)
	v_cmpx_ne_u32_e32 0x7f, v61
	s_cbranch_execz .LBB303_737
; %bb.734:                              ;   in Loop: Header=BB303_11 Depth=1
	v_and_b32_e32 v59, 7, v8
	v_lshrrev_b32_e32 v60, 3, v61
	s_mov_b32 s19, exec_lo
	v_cmpx_gt_u32_e32 8, v61
; %bb.735:                              ;   in Loop: Header=BB303_11 Depth=1
	s_delay_alu instid0(VALU_DEP_3) | instskip(NEXT) | instid1(VALU_DEP_1)
	v_clz_i32_u32_e32 v59, v59
	v_min_u32_e32 v61, 32, v59
	s_delay_alu instid0(VALU_DEP_1) | instskip(NEXT) | instid1(VALU_DEP_1)
	v_subrev_nc_u32_e32 v59, 28, v61
	v_lshlrev_b64_e32 v[59:60], v59, v[8:9]
	v_sub_nc_u32_e32 v60, 29, v61
	s_delay_alu instid0(VALU_DEP_2)
	v_and_b32_e32 v59, 7, v59
; %bb.736:                              ;   in Loop: Header=BB303_11 Depth=1
	s_wait_alu 0xfffe
	s_or_b32 exec_lo, exec_lo, s19
	v_lshlrev_b32_e32 v8, 8, v8
	v_lshl_add_u32 v60, v60, 10, 0x2000
	v_lshlrev_b32_e32 v59, 7, v59
	s_delay_alu instid0(VALU_DEP_3) | instskip(NEXT) | instid1(VALU_DEP_3)
	v_and_b32_e32 v8, 0x8000, v8
	v_and_b32_e32 v60, 0xfc00, v60
	s_delay_alu instid0(VALU_DEP_1)
	v_or3_b32 v77, v8, v60, v59
.LBB303_737:                            ;   in Loop: Header=BB303_11 Depth=1
	s_wait_alu 0xfffe
	s_or_b32 exec_lo, exec_lo, s18
.LBB303_738:                            ;   in Loop: Header=BB303_11 Depth=1
	s_wait_alu 0xfffe
	s_or_b32 exec_lo, exec_lo, s17
.LBB303_739:                            ;   in Loop: Header=BB303_11 Depth=1
	s_wait_alu 0xfffe
	s_or_b32 exec_lo, exec_lo, s16
	v_dual_mov_b32 v78, 0 :: v_dual_mov_b32 v79, 0
	s_mov_b32 s16, exec_lo
	v_cmpx_lt_u32_e32 0xffffff, v28
	s_cbranch_execz .LBB303_747
; %bb.740:                              ;   in Loop: Header=BB303_11 Depth=1
	v_lshrrev_b32_e32 v8, 24, v28
	v_bfrev_b32_e32 v79, 1
	s_mov_b32 s17, exec_lo
	s_delay_alu instid0(VALU_DEP_2)
	v_cmpx_ne_u32_e32 0x80, v8
	s_cbranch_execz .LBB303_746
; %bb.741:                              ;   in Loop: Header=BB303_11 Depth=1
	v_and_b32_e32 v61, 0x7f, v8
	v_mov_b32_e32 v79, 0x7c010000
	s_mov_b32 s18, exec_lo
	s_delay_alu instid0(VALU_DEP_2)
	v_cmpx_ne_u32_e32 0x7f, v61
	s_cbranch_execz .LBB303_745
; %bb.742:                              ;   in Loop: Header=BB303_11 Depth=1
	v_and_b32_e32 v59, 7, v8
	v_lshrrev_b32_e32 v60, 3, v61
	s_mov_b32 s19, exec_lo
	v_cmpx_gt_u32_e32 8, v61
; %bb.743:                              ;   in Loop: Header=BB303_11 Depth=1
	s_delay_alu instid0(VALU_DEP_3) | instskip(NEXT) | instid1(VALU_DEP_1)
	v_clz_i32_u32_e32 v59, v59
	v_min_u32_e32 v61, 32, v59
	s_delay_alu instid0(VALU_DEP_1) | instskip(NEXT) | instid1(VALU_DEP_1)
	v_subrev_nc_u32_e32 v59, 28, v61
	v_lshlrev_b64_e32 v[59:60], v59, v[8:9]
	v_sub_nc_u32_e32 v60, 29, v61
	s_delay_alu instid0(VALU_DEP_2)
	v_and_b32_e32 v59, 7, v59
; %bb.744:                              ;   in Loop: Header=BB303_11 Depth=1
	s_wait_alu 0xfffe
	s_or_b32 exec_lo, exec_lo, s19
	v_lshlrev_b32_e32 v8, 8, v8
	v_lshl_add_u32 v60, v60, 10, 0x2000
	v_lshlrev_b32_e32 v59, 23, v59
	s_delay_alu instid0(VALU_DEP_2) | instskip(NEXT) | instid1(VALU_DEP_1)
	v_and_or_b32 v8, 0x8000, v8, v60
	v_lshl_or_b32 v79, v8, 16, v59
.LBB303_745:                            ;   in Loop: Header=BB303_11 Depth=1
	s_wait_alu 0xfffe
	s_or_b32 exec_lo, exec_lo, s18
.LBB303_746:                            ;   in Loop: Header=BB303_11 Depth=1
	s_wait_alu 0xfffe
	s_or_b32 exec_lo, exec_lo, s17
.LBB303_747:                            ;   in Loop: Header=BB303_11 Depth=1
	s_wait_alu 0xfffe
	s_or_b32 exec_lo, exec_lo, s16
	v_dual_mov_b32 v8, v29 :: v_dual_and_b32 v59, 0xff, v29
	s_mov_b32 s16, exec_lo
	s_delay_alu instid0(VALU_DEP_1)
	v_cmpx_ne_u16_e32 0, v59
	s_cbranch_execz .LBB303_755
; %bb.748:                              ;   in Loop: Header=BB303_11 Depth=1
	v_mov_b32_e32 v78, 0x8000
	s_mov_b32 s17, exec_lo
	v_cmpx_ne_u16_e32 0x80, v59
	s_cbranch_execz .LBB303_754
; %bb.749:                              ;   in Loop: Header=BB303_11 Depth=1
	v_and_b32_e32 v61, 0x7f, v29
	v_mov_b32_e32 v78, 0x7c01
	s_mov_b32 s18, exec_lo
	s_delay_alu instid0(VALU_DEP_2)
	v_cmpx_ne_u32_e32 0x7f, v61
	s_cbranch_execz .LBB303_753
; %bb.750:                              ;   in Loop: Header=BB303_11 Depth=1
	v_and_b32_e32 v59, 7, v29
	v_lshrrev_b32_e32 v60, 3, v61
	s_mov_b32 s19, exec_lo
	v_cmpx_gt_u32_e32 8, v61
; %bb.751:                              ;   in Loop: Header=BB303_11 Depth=1
	s_delay_alu instid0(VALU_DEP_3) | instskip(NEXT) | instid1(VALU_DEP_1)
	v_clz_i32_u32_e32 v59, v59
	v_min_u32_e32 v61, 32, v59
	s_delay_alu instid0(VALU_DEP_1) | instskip(NEXT) | instid1(VALU_DEP_1)
	v_subrev_nc_u32_e32 v59, 28, v61
	v_lshlrev_b64_e32 v[59:60], v59, v[8:9]
	v_sub_nc_u32_e32 v60, 29, v61
	s_delay_alu instid0(VALU_DEP_2)
	v_and_b32_e32 v59, 7, v59
; %bb.752:                              ;   in Loop: Header=BB303_11 Depth=1
	s_wait_alu 0xfffe
	s_or_b32 exec_lo, exec_lo, s19
	v_lshlrev_b32_e32 v61, 8, v29
	v_lshl_add_u32 v60, v60, 10, 0x2000
	v_lshlrev_b32_e32 v59, 7, v59
	s_delay_alu instid0(VALU_DEP_3) | instskip(NEXT) | instid1(VALU_DEP_3)
	v_and_b32_e32 v61, 0x8000, v61
	v_and_b32_e32 v60, 0xfc00, v60
	s_delay_alu instid0(VALU_DEP_1)
	v_or3_b32 v78, v61, v60, v59
.LBB303_753:                            ;   in Loop: Header=BB303_11 Depth=1
	s_wait_alu 0xfffe
	s_or_b32 exec_lo, exec_lo, s18
.LBB303_754:                            ;   in Loop: Header=BB303_11 Depth=1
	s_wait_alu 0xfffe
	s_or_b32 exec_lo, exec_lo, s17
.LBB303_755:                            ;   in Loop: Header=BB303_11 Depth=1
	s_wait_alu 0xfffe
	s_or_b32 exec_lo, exec_lo, s16
	v_lshrrev_b16 v8, 8, v8
	v_dual_mov_b32 v105, 0 :: v_dual_mov_b32 v106, 0
	s_mov_b32 s16, exec_lo
	s_delay_alu instid0(VALU_DEP_2)
	v_cmpx_ne_u16_e32 0, v8
	s_cbranch_execz .LBB303_763
; %bb.756:                              ;   in Loop: Header=BB303_11 Depth=1
	v_bfrev_b32_e32 v106, 1
	s_mov_b32 s17, exec_lo
	v_cmpx_ne_u16_e32 0x80, v8
	s_cbranch_execz .LBB303_762
; %bb.757:                              ;   in Loop: Header=BB303_11 Depth=1
	v_and_b32_e32 v59, 0xffff, v8
	v_mov_b32_e32 v106, 0x7c010000
	s_mov_b32 s18, exec_lo
	s_delay_alu instid0(VALU_DEP_2) | instskip(NEXT) | instid1(VALU_DEP_1)
	v_and_b32_e32 v62, 0x7f, v59
	v_cmpx_ne_u32_e32 0x7f, v62
	s_cbranch_execz .LBB303_761
; %bb.758:                              ;   in Loop: Header=BB303_11 Depth=1
	v_and_b32_e32 v60, 7, v59
	v_lshrrev_b32_e32 v61, 3, v62
	s_mov_b32 s19, exec_lo
	v_cmpx_gt_u32_e32 8, v62
; %bb.759:                              ;   in Loop: Header=BB303_11 Depth=1
	s_delay_alu instid0(VALU_DEP_3) | instskip(NEXT) | instid1(VALU_DEP_1)
	v_clz_i32_u32_e32 v60, v60
	v_min_u32_e32 v62, 32, v60
	s_delay_alu instid0(VALU_DEP_1) | instskip(NEXT) | instid1(VALU_DEP_1)
	v_subrev_nc_u32_e32 v60, 28, v62
	v_lshlrev_b64_e32 v[60:61], v60, v[8:9]
	v_sub_nc_u32_e32 v61, 29, v62
	s_delay_alu instid0(VALU_DEP_2)
	v_and_b32_e32 v60, 7, v60
; %bb.760:                              ;   in Loop: Header=BB303_11 Depth=1
	s_wait_alu 0xfffe
	s_or_b32 exec_lo, exec_lo, s19
	v_lshlrev_b32_e32 v8, 8, v59
	v_lshl_add_u32 v59, v61, 10, 0x2000
	s_delay_alu instid0(VALU_DEP_1) | instskip(SKIP_1) | instid1(VALU_DEP_1)
	v_and_or_b32 v8, 0x8000, v8, v59
	v_lshlrev_b32_e32 v59, 23, v60
	v_lshl_or_b32 v106, v8, 16, v59
.LBB303_761:                            ;   in Loop: Header=BB303_11 Depth=1
	s_wait_alu 0xfffe
	s_or_b32 exec_lo, exec_lo, s18
.LBB303_762:                            ;   in Loop: Header=BB303_11 Depth=1
	s_wait_alu 0xfffe
	s_or_b32 exec_lo, exec_lo, s17
.LBB303_763:                            ;   in Loop: Header=BB303_11 Depth=1
	s_wait_alu 0xfffe
	s_or_b32 exec_lo, exec_lo, s16
	v_lshrrev_b32_e32 v8, 16, v29
	s_mov_b32 s16, exec_lo
	s_delay_alu instid0(VALU_DEP_1) | instskip(NEXT) | instid1(VALU_DEP_1)
	v_and_b32_e32 v59, 0xff, v8
	v_cmpx_ne_u16_e32 0, v59
	s_cbranch_execz .LBB303_771
; %bb.764:                              ;   in Loop: Header=BB303_11 Depth=1
	v_mov_b32_e32 v105, 0x8000
	s_mov_b32 s17, exec_lo
	v_cmpx_ne_u16_e32 0x80, v59
	s_cbranch_execz .LBB303_770
; %bb.765:                              ;   in Loop: Header=BB303_11 Depth=1
	v_bfe_u32 v61, v29, 16, 7
	v_mov_b32_e32 v105, 0x7c01
	s_mov_b32 s18, exec_lo
	s_delay_alu instid0(VALU_DEP_2)
	v_cmpx_ne_u32_e32 0x7f, v61
	s_cbranch_execz .LBB303_769
; %bb.766:                              ;   in Loop: Header=BB303_11 Depth=1
	v_and_b32_e32 v59, 7, v8
	v_lshrrev_b32_e32 v60, 3, v61
	s_mov_b32 s19, exec_lo
	v_cmpx_gt_u32_e32 8, v61
; %bb.767:                              ;   in Loop: Header=BB303_11 Depth=1
	s_delay_alu instid0(VALU_DEP_3) | instskip(NEXT) | instid1(VALU_DEP_1)
	v_clz_i32_u32_e32 v59, v59
	v_min_u32_e32 v61, 32, v59
	s_delay_alu instid0(VALU_DEP_1) | instskip(NEXT) | instid1(VALU_DEP_1)
	v_subrev_nc_u32_e32 v59, 28, v61
	v_lshlrev_b64_e32 v[59:60], v59, v[8:9]
	v_sub_nc_u32_e32 v60, 29, v61
	s_delay_alu instid0(VALU_DEP_2)
	v_and_b32_e32 v59, 7, v59
; %bb.768:                              ;   in Loop: Header=BB303_11 Depth=1
	s_wait_alu 0xfffe
	s_or_b32 exec_lo, exec_lo, s19
	v_lshlrev_b32_e32 v8, 8, v8
	v_lshl_add_u32 v60, v60, 10, 0x2000
	v_lshlrev_b32_e32 v59, 7, v59
	s_delay_alu instid0(VALU_DEP_3) | instskip(NEXT) | instid1(VALU_DEP_3)
	v_and_b32_e32 v8, 0x8000, v8
	v_and_b32_e32 v60, 0xfc00, v60
	s_delay_alu instid0(VALU_DEP_1)
	v_or3_b32 v105, v8, v60, v59
.LBB303_769:                            ;   in Loop: Header=BB303_11 Depth=1
	s_wait_alu 0xfffe
	s_or_b32 exec_lo, exec_lo, s18
.LBB303_770:                            ;   in Loop: Header=BB303_11 Depth=1
	s_wait_alu 0xfffe
	s_or_b32 exec_lo, exec_lo, s17
.LBB303_771:                            ;   in Loop: Header=BB303_11 Depth=1
	s_wait_alu 0xfffe
	s_or_b32 exec_lo, exec_lo, s16
	v_mov_b32_e32 v59, 0
	v_mov_b32_e32 v107, 0
	s_mov_b32 s16, exec_lo
	v_cmpx_lt_u64_e64 s[2:3], v[28:29]
	s_cbranch_execz .LBB303_779
; %bb.772:                              ;   in Loop: Header=BB303_11 Depth=1
	v_lshrrev_b32_e32 v8, 24, v29
	v_bfrev_b32_e32 v107, 1
	s_mov_b32 s17, exec_lo
	s_delay_alu instid0(VALU_DEP_2)
	v_cmpx_ne_u32_e32 0x80, v8
	s_cbranch_execz .LBB303_778
; %bb.773:                              ;   in Loop: Header=BB303_11 Depth=1
	v_and_b32_e32 v60, 0x7f, v8
	v_mov_b32_e32 v107, 0x7c010000
	s_mov_b32 s18, exec_lo
	s_delay_alu instid0(VALU_DEP_2)
	v_cmpx_ne_u32_e32 0x7f, v60
	s_cbranch_execz .LBB303_777
; %bb.774:                              ;   in Loop: Header=BB303_11 Depth=1
	v_and_b32_e32 v28, 7, v8
	v_lshrrev_b32_e32 v29, 3, v60
	s_mov_b32 s19, exec_lo
	v_cmpx_gt_u32_e32 8, v60
; %bb.775:                              ;   in Loop: Header=BB303_11 Depth=1
	s_delay_alu instid0(VALU_DEP_3) | instskip(NEXT) | instid1(VALU_DEP_1)
	v_clz_i32_u32_e32 v28, v28
	v_min_u32_e32 v60, 32, v28
	s_delay_alu instid0(VALU_DEP_1) | instskip(NEXT) | instid1(VALU_DEP_1)
	v_subrev_nc_u32_e32 v28, 28, v60
	v_lshlrev_b64_e32 v[28:29], v28, v[8:9]
	v_sub_nc_u32_e32 v29, 29, v60
	s_delay_alu instid0(VALU_DEP_2)
	v_and_b32_e32 v28, 7, v28
; %bb.776:                              ;   in Loop: Header=BB303_11 Depth=1
	s_wait_alu 0xfffe
	s_or_b32 exec_lo, exec_lo, s19
	v_lshlrev_b32_e32 v8, 8, v8
	v_lshl_add_u32 v29, v29, 10, 0x2000
	v_lshlrev_b32_e32 v28, 23, v28
	s_delay_alu instid0(VALU_DEP_2) | instskip(NEXT) | instid1(VALU_DEP_1)
	v_and_or_b32 v8, 0x8000, v8, v29
	v_lshl_or_b32 v107, v8, 16, v28
.LBB303_777:                            ;   in Loop: Header=BB303_11 Depth=1
	s_wait_alu 0xfffe
	s_or_b32 exec_lo, exec_lo, s18
.LBB303_778:                            ;   in Loop: Header=BB303_11 Depth=1
	s_wait_alu 0xfffe
	s_or_b32 exec_lo, exec_lo, s17
.LBB303_779:                            ;   in Loop: Header=BB303_11 Depth=1
	s_wait_alu 0xfffe
	s_or_b32 exec_lo, exec_lo, s16
	flat_load_b64 v[28:29], v[20:21] offset:3072
	s_mov_b32 s16, exec_lo
	s_wait_loadcnt_dscnt 0x0
	v_and_b32_e32 v8, 0xff, v28
	s_delay_alu instid0(VALU_DEP_1)
	v_cmpx_ne_u16_e32 0, v8
	s_cbranch_execz .LBB303_787
; %bb.780:                              ;   in Loop: Header=BB303_11 Depth=1
	v_mov_b32_e32 v59, 0x8000
	s_mov_b32 s17, exec_lo
	v_cmpx_ne_u16_e32 0x80, v8
	s_cbranch_execz .LBB303_786
; %bb.781:                              ;   in Loop: Header=BB303_11 Depth=1
	v_and_b32_e32 v60, 0x7f, v28
	v_mov_b32_e32 v59, 0x7c01
	s_mov_b32 s18, exec_lo
	s_delay_alu instid0(VALU_DEP_2)
	v_cmpx_ne_u32_e32 0x7f, v60
	s_cbranch_execz .LBB303_785
; %bb.782:                              ;   in Loop: Header=BB303_11 Depth=1
	v_and_b32_e32 v8, 7, v28
	v_lshrrev_b32_e32 v59, 3, v60
	s_mov_b32 s19, exec_lo
	v_cmpx_gt_u32_e32 8, v60
; %bb.783:                              ;   in Loop: Header=BB303_11 Depth=1
	s_delay_alu instid0(VALU_DEP_3) | instskip(NEXT) | instid1(VALU_DEP_1)
	v_clz_i32_u32_e32 v8, v8
	v_min_u32_e32 v8, 32, v8
	s_delay_alu instid0(VALU_DEP_1) | instskip(NEXT) | instid1(VALU_DEP_1)
	v_subrev_nc_u32_e32 v59, 28, v8
	v_lshlrev_b64_e32 v[60:61], v59, v[28:29]
	v_sub_nc_u32_e32 v59, 29, v8
	s_delay_alu instid0(VALU_DEP_2)
	v_and_b32_e32 v8, 7, v60
; %bb.784:                              ;   in Loop: Header=BB303_11 Depth=1
	s_wait_alu 0xfffe
	s_or_b32 exec_lo, exec_lo, s19
	v_lshlrev_b32_e32 v60, 8, v28
	v_lshl_add_u32 v59, v59, 10, 0x2000
	v_lshlrev_b32_e32 v8, 7, v8
	s_delay_alu instid0(VALU_DEP_3) | instskip(NEXT) | instid1(VALU_DEP_3)
	v_and_b32_e32 v60, 0x8000, v60
	v_and_b32_e32 v59, 0xfc00, v59
	s_delay_alu instid0(VALU_DEP_1)
	v_or3_b32 v59, v60, v59, v8
.LBB303_785:                            ;   in Loop: Header=BB303_11 Depth=1
	s_wait_alu 0xfffe
	s_or_b32 exec_lo, exec_lo, s18
.LBB303_786:                            ;   in Loop: Header=BB303_11 Depth=1
	s_wait_alu 0xfffe
	s_or_b32 exec_lo, exec_lo, s17
.LBB303_787:                            ;   in Loop: Header=BB303_11 Depth=1
	s_wait_alu 0xfffe
	s_or_b32 exec_lo, exec_lo, s16
	v_lshrrev_b16 v8, 8, v28
	v_dual_mov_b32 v61, 0 :: v_dual_mov_b32 v60, 0
	s_mov_b32 s16, exec_lo
	s_delay_alu instid0(VALU_DEP_2)
	v_cmpx_ne_u16_e32 0, v8
	s_cbranch_execz .LBB303_795
; %bb.788:                              ;   in Loop: Header=BB303_11 Depth=1
	v_bfrev_b32_e32 v60, 1
	s_mov_b32 s17, exec_lo
	v_cmpx_ne_u16_e32 0x80, v8
	s_cbranch_execz .LBB303_794
; %bb.789:                              ;   in Loop: Header=BB303_11 Depth=1
	v_and_b32_e32 v62, 0xffff, v8
	v_mov_b32_e32 v60, 0x7c010000
	s_mov_b32 s18, exec_lo
	s_delay_alu instid0(VALU_DEP_2) | instskip(NEXT) | instid1(VALU_DEP_1)
	v_and_b32_e32 v72, 0x7f, v62
	v_cmpx_ne_u32_e32 0x7f, v72
	s_cbranch_execz .LBB303_793
; %bb.790:                              ;   in Loop: Header=BB303_11 Depth=1
	v_and_b32_e32 v60, 7, v62
	v_lshrrev_b32_e32 v63, 3, v72
	s_mov_b32 s19, exec_lo
	v_cmpx_gt_u32_e32 8, v72
; %bb.791:                              ;   in Loop: Header=BB303_11 Depth=1
	s_delay_alu instid0(VALU_DEP_3) | instskip(NEXT) | instid1(VALU_DEP_1)
	v_clz_i32_u32_e32 v60, v60
	v_min_u32_e32 v60, 32, v60
	s_delay_alu instid0(VALU_DEP_1) | instskip(NEXT) | instid1(VALU_DEP_1)
	v_subrev_nc_u32_e32 v63, 28, v60
	v_lshlrev_b64_e32 v[120:121], v63, v[8:9]
	v_sub_nc_u32_e32 v63, 29, v60
	s_delay_alu instid0(VALU_DEP_2)
	v_and_b32_e32 v60, 7, v120
; %bb.792:                              ;   in Loop: Header=BB303_11 Depth=1
	s_wait_alu 0xfffe
	s_or_b32 exec_lo, exec_lo, s19
	v_lshlrev_b32_e32 v8, 8, v62
	v_lshl_add_u32 v62, v63, 10, 0x2000
	v_lshlrev_b32_e32 v60, 23, v60
	s_delay_alu instid0(VALU_DEP_2) | instskip(NEXT) | instid1(VALU_DEP_1)
	v_and_or_b32 v8, 0x8000, v8, v62
	v_lshl_or_b32 v60, v8, 16, v60
.LBB303_793:                            ;   in Loop: Header=BB303_11 Depth=1
	s_wait_alu 0xfffe
	s_or_b32 exec_lo, exec_lo, s18
.LBB303_794:                            ;   in Loop: Header=BB303_11 Depth=1
	s_wait_alu 0xfffe
	s_or_b32 exec_lo, exec_lo, s17
.LBB303_795:                            ;   in Loop: Header=BB303_11 Depth=1
	s_wait_alu 0xfffe
	s_or_b32 exec_lo, exec_lo, s16
	v_lshrrev_b32_e32 v8, 16, v28
	s_mov_b32 s16, exec_lo
	s_delay_alu instid0(VALU_DEP_1) | instskip(NEXT) | instid1(VALU_DEP_1)
	v_and_b32_e32 v62, 0xff, v8
	v_cmpx_ne_u16_e32 0, v62
	s_cbranch_execz .LBB303_803
; %bb.796:                              ;   in Loop: Header=BB303_11 Depth=1
	v_mov_b32_e32 v61, 0x8000
	s_mov_b32 s17, exec_lo
	v_cmpx_ne_u16_e32 0x80, v62
	s_cbranch_execz .LBB303_802
; %bb.797:                              ;   in Loop: Header=BB303_11 Depth=1
	v_bfe_u32 v63, v28, 16, 7
	v_mov_b32_e32 v61, 0x7c01
	s_mov_b32 s18, exec_lo
	s_delay_alu instid0(VALU_DEP_2)
	v_cmpx_ne_u32_e32 0x7f, v63
	s_cbranch_execz .LBB303_801
; %bb.798:                              ;   in Loop: Header=BB303_11 Depth=1
	v_and_b32_e32 v61, 7, v8
	v_lshrrev_b32_e32 v62, 3, v63
	s_mov_b32 s19, exec_lo
	v_cmpx_gt_u32_e32 8, v63
; %bb.799:                              ;   in Loop: Header=BB303_11 Depth=1
	s_delay_alu instid0(VALU_DEP_3) | instskip(NEXT) | instid1(VALU_DEP_1)
	v_clz_i32_u32_e32 v61, v61
	v_min_u32_e32 v63, 32, v61
	s_delay_alu instid0(VALU_DEP_1) | instskip(NEXT) | instid1(VALU_DEP_1)
	v_subrev_nc_u32_e32 v61, 28, v63
	v_lshlrev_b64_e32 v[61:62], v61, v[8:9]
	v_sub_nc_u32_e32 v62, 29, v63
	s_delay_alu instid0(VALU_DEP_2)
	v_and_b32_e32 v61, 7, v61
; %bb.800:                              ;   in Loop: Header=BB303_11 Depth=1
	s_wait_alu 0xfffe
	s_or_b32 exec_lo, exec_lo, s19
	v_lshlrev_b32_e32 v8, 8, v8
	v_lshl_add_u32 v62, v62, 10, 0x2000
	v_lshlrev_b32_e32 v61, 7, v61
	s_delay_alu instid0(VALU_DEP_3) | instskip(NEXT) | instid1(VALU_DEP_3)
	v_and_b32_e32 v8, 0x8000, v8
	v_and_b32_e32 v62, 0xfc00, v62
	s_delay_alu instid0(VALU_DEP_1)
	v_or3_b32 v61, v8, v62, v61
.LBB303_801:                            ;   in Loop: Header=BB303_11 Depth=1
	s_wait_alu 0xfffe
	s_or_b32 exec_lo, exec_lo, s18
.LBB303_802:                            ;   in Loop: Header=BB303_11 Depth=1
	s_wait_alu 0xfffe
	s_or_b32 exec_lo, exec_lo, s17
.LBB303_803:                            ;   in Loop: Header=BB303_11 Depth=1
	s_wait_alu 0xfffe
	s_or_b32 exec_lo, exec_lo, s16
	v_mov_b32_e32 v88, 0
	v_mov_b32_e32 v62, 0
	s_mov_b32 s16, exec_lo
	v_cmpx_lt_u32_e32 0xffffff, v28
	s_cbranch_execz .LBB303_811
; %bb.804:                              ;   in Loop: Header=BB303_11 Depth=1
	v_lshrrev_b32_e32 v8, 24, v28
	v_bfrev_b32_e32 v62, 1
	s_mov_b32 s17, exec_lo
	s_delay_alu instid0(VALU_DEP_2)
	v_cmpx_ne_u32_e32 0x80, v8
	s_cbranch_execz .LBB303_810
; %bb.805:                              ;   in Loop: Header=BB303_11 Depth=1
	v_and_b32_e32 v72, 0x7f, v8
	v_mov_b32_e32 v62, 0x7c010000
	s_mov_b32 s18, exec_lo
	s_delay_alu instid0(VALU_DEP_2)
	v_cmpx_ne_u32_e32 0x7f, v72
	s_cbranch_execz .LBB303_809
; %bb.806:                              ;   in Loop: Header=BB303_11 Depth=1
	v_and_b32_e32 v62, 7, v8
	v_lshrrev_b32_e32 v63, 3, v72
	s_mov_b32 s19, exec_lo
	v_cmpx_gt_u32_e32 8, v72
; %bb.807:                              ;   in Loop: Header=BB303_11 Depth=1
	s_delay_alu instid0(VALU_DEP_3) | instskip(NEXT) | instid1(VALU_DEP_1)
	v_clz_i32_u32_e32 v62, v62
	v_min_u32_e32 v72, 32, v62
	s_delay_alu instid0(VALU_DEP_1) | instskip(NEXT) | instid1(VALU_DEP_1)
	v_subrev_nc_u32_e32 v62, 28, v72
	v_lshlrev_b64_e32 v[62:63], v62, v[8:9]
	v_sub_nc_u32_e32 v63, 29, v72
	s_delay_alu instid0(VALU_DEP_2)
	v_and_b32_e32 v62, 7, v62
; %bb.808:                              ;   in Loop: Header=BB303_11 Depth=1
	s_wait_alu 0xfffe
	s_or_b32 exec_lo, exec_lo, s19
	v_lshlrev_b32_e32 v8, 8, v8
	v_lshl_add_u32 v63, v63, 10, 0x2000
	v_lshlrev_b32_e32 v62, 23, v62
	s_delay_alu instid0(VALU_DEP_2) | instskip(NEXT) | instid1(VALU_DEP_1)
	v_and_or_b32 v8, 0x8000, v8, v63
	v_lshl_or_b32 v62, v8, 16, v62
.LBB303_809:                            ;   in Loop: Header=BB303_11 Depth=1
	s_wait_alu 0xfffe
	s_or_b32 exec_lo, exec_lo, s18
.LBB303_810:                            ;   in Loop: Header=BB303_11 Depth=1
	s_wait_alu 0xfffe
	s_or_b32 exec_lo, exec_lo, s17
.LBB303_811:                            ;   in Loop: Header=BB303_11 Depth=1
	s_wait_alu 0xfffe
	s_or_b32 exec_lo, exec_lo, s16
	v_dual_mov_b32 v8, v29 :: v_dual_and_b32 v63, 0xff, v29
	s_mov_b32 s16, exec_lo
	s_delay_alu instid0(VALU_DEP_1)
	v_cmpx_ne_u16_e32 0, v63
	s_cbranch_execz .LBB303_819
; %bb.812:                              ;   in Loop: Header=BB303_11 Depth=1
	v_mov_b32_e32 v88, 0x8000
	s_mov_b32 s17, exec_lo
	v_cmpx_ne_u16_e32 0x80, v63
	s_cbranch_execz .LBB303_818
; %bb.813:                              ;   in Loop: Header=BB303_11 Depth=1
	v_and_b32_e32 v90, 0x7f, v29
	v_mov_b32_e32 v88, 0x7c01
	s_mov_b32 s18, exec_lo
	s_delay_alu instid0(VALU_DEP_2)
	v_cmpx_ne_u32_e32 0x7f, v90
	s_cbranch_execz .LBB303_817
; %bb.814:                              ;   in Loop: Header=BB303_11 Depth=1
	v_and_b32_e32 v63, 7, v29
	v_lshrrev_b32_e32 v72, 3, v90
	s_mov_b32 s19, exec_lo
	v_cmpx_gt_u32_e32 8, v90
; %bb.815:                              ;   in Loop: Header=BB303_11 Depth=1
	s_delay_alu instid0(VALU_DEP_3) | instskip(NEXT) | instid1(VALU_DEP_1)
	v_clz_i32_u32_e32 v63, v63
	v_min_u32_e32 v63, 32, v63
	s_delay_alu instid0(VALU_DEP_1) | instskip(NEXT) | instid1(VALU_DEP_1)
	v_subrev_nc_u32_e32 v72, 28, v63
	v_lshlrev_b64_e32 v[120:121], v72, v[8:9]
	v_sub_nc_u32_e32 v72, 29, v63
	s_delay_alu instid0(VALU_DEP_2)
	v_and_b32_e32 v63, 7, v120
; %bb.816:                              ;   in Loop: Header=BB303_11 Depth=1
	s_wait_alu 0xfffe
	s_or_b32 exec_lo, exec_lo, s19
	v_lshlrev_b32_e32 v88, 8, v29
	v_lshl_add_u32 v72, v72, 10, 0x2000
	v_lshlrev_b32_e32 v63, 7, v63
	s_delay_alu instid0(VALU_DEP_3) | instskip(NEXT) | instid1(VALU_DEP_3)
	v_and_b32_e32 v88, 0x8000, v88
	v_and_b32_e32 v72, 0xfc00, v72
	s_delay_alu instid0(VALU_DEP_1)
	v_or3_b32 v88, v88, v72, v63
.LBB303_817:                            ;   in Loop: Header=BB303_11 Depth=1
	s_wait_alu 0xfffe
	s_or_b32 exec_lo, exec_lo, s18
.LBB303_818:                            ;   in Loop: Header=BB303_11 Depth=1
	s_wait_alu 0xfffe
	s_or_b32 exec_lo, exec_lo, s17
.LBB303_819:                            ;   in Loop: Header=BB303_11 Depth=1
	s_wait_alu 0xfffe
	s_or_b32 exec_lo, exec_lo, s16
	v_lshrrev_b16 v8, 8, v8
	v_mov_b32_e32 v90, 0
	v_mov_b32_e32 v92, 0
	s_mov_b32 s16, exec_lo
	s_delay_alu instid0(VALU_DEP_3)
	v_cmpx_ne_u16_e32 0, v8
	s_cbranch_execz .LBB303_827
; %bb.820:                              ;   in Loop: Header=BB303_11 Depth=1
	v_bfrev_b32_e32 v92, 1
	s_mov_b32 s17, exec_lo
	v_cmpx_ne_u16_e32 0x80, v8
	s_cbranch_execz .LBB303_826
; %bb.821:                              ;   in Loop: Header=BB303_11 Depth=1
	v_and_b32_e32 v63, 0xffff, v8
	v_mov_b32_e32 v92, 0x7c010000
	s_mov_b32 s18, exec_lo
	s_delay_alu instid0(VALU_DEP_2) | instskip(NEXT) | instid1(VALU_DEP_1)
	v_and_b32_e32 v111, 0x7f, v63
	v_cmpx_ne_u32_e32 0x7f, v111
	s_cbranch_execz .LBB303_825
; %bb.822:                              ;   in Loop: Header=BB303_11 Depth=1
	v_and_b32_e32 v72, 7, v63
	v_lshrrev_b32_e32 v92, 3, v111
	s_mov_b32 s19, exec_lo
	v_cmpx_gt_u32_e32 8, v111
; %bb.823:                              ;   in Loop: Header=BB303_11 Depth=1
	s_delay_alu instid0(VALU_DEP_3) | instskip(NEXT) | instid1(VALU_DEP_1)
	v_clz_i32_u32_e32 v72, v72
	v_min_u32_e32 v72, 32, v72
	s_delay_alu instid0(VALU_DEP_1) | instskip(NEXT) | instid1(VALU_DEP_1)
	v_subrev_nc_u32_e32 v92, 28, v72
	v_lshlrev_b64_e32 v[120:121], v92, v[8:9]
	v_sub_nc_u32_e32 v92, 29, v72
	s_delay_alu instid0(VALU_DEP_2)
	v_and_b32_e32 v72, 7, v120
; %bb.824:                              ;   in Loop: Header=BB303_11 Depth=1
	s_wait_alu 0xfffe
	s_or_b32 exec_lo, exec_lo, s19
	v_lshlrev_b32_e32 v8, 8, v63
	v_lshl_add_u32 v63, v92, 10, 0x2000
	s_delay_alu instid0(VALU_DEP_1) | instskip(SKIP_1) | instid1(VALU_DEP_1)
	v_and_or_b32 v8, 0x8000, v8, v63
	v_lshlrev_b32_e32 v63, 23, v72
	v_lshl_or_b32 v92, v8, 16, v63
.LBB303_825:                            ;   in Loop: Header=BB303_11 Depth=1
	s_wait_alu 0xfffe
	s_or_b32 exec_lo, exec_lo, s18
.LBB303_826:                            ;   in Loop: Header=BB303_11 Depth=1
	s_wait_alu 0xfffe
	s_or_b32 exec_lo, exec_lo, s17
.LBB303_827:                            ;   in Loop: Header=BB303_11 Depth=1
	s_wait_alu 0xfffe
	s_or_b32 exec_lo, exec_lo, s16
	v_lshrrev_b32_e32 v8, 16, v29
	s_mov_b32 s16, exec_lo
	s_delay_alu instid0(VALU_DEP_1) | instskip(NEXT) | instid1(VALU_DEP_1)
	v_and_b32_e32 v63, 0xff, v8
	v_cmpx_ne_u16_e32 0, v63
	s_cbranch_execz .LBB303_835
; %bb.828:                              ;   in Loop: Header=BB303_11 Depth=1
	v_mov_b32_e32 v90, 0x8000
	s_mov_b32 s17, exec_lo
	v_cmpx_ne_u16_e32 0x80, v63
	s_cbranch_execz .LBB303_834
; %bb.829:                              ;   in Loop: Header=BB303_11 Depth=1
	v_bfe_u32 v111, v29, 16, 7
	v_mov_b32_e32 v90, 0x7c01
	s_mov_b32 s18, exec_lo
	s_delay_alu instid0(VALU_DEP_2)
	v_cmpx_ne_u32_e32 0x7f, v111
	s_cbranch_execz .LBB303_833
; %bb.830:                              ;   in Loop: Header=BB303_11 Depth=1
	v_and_b32_e32 v63, 7, v8
	v_lshrrev_b32_e32 v72, 3, v111
	s_mov_b32 s19, exec_lo
	v_cmpx_gt_u32_e32 8, v111
; %bb.831:                              ;   in Loop: Header=BB303_11 Depth=1
	s_delay_alu instid0(VALU_DEP_3) | instskip(NEXT) | instid1(VALU_DEP_1)
	v_clz_i32_u32_e32 v63, v63
	v_min_u32_e32 v63, 32, v63
	s_delay_alu instid0(VALU_DEP_1) | instskip(NEXT) | instid1(VALU_DEP_1)
	v_subrev_nc_u32_e32 v72, 28, v63
	v_lshlrev_b64_e32 v[120:121], v72, v[8:9]
	v_sub_nc_u32_e32 v72, 29, v63
	s_delay_alu instid0(VALU_DEP_2)
	v_and_b32_e32 v63, 7, v120
; %bb.832:                              ;   in Loop: Header=BB303_11 Depth=1
	s_wait_alu 0xfffe
	s_or_b32 exec_lo, exec_lo, s19
	v_lshlrev_b32_e32 v8, 8, v8
	v_lshl_add_u32 v72, v72, 10, 0x2000
	v_lshlrev_b32_e32 v63, 7, v63
	s_delay_alu instid0(VALU_DEP_3) | instskip(NEXT) | instid1(VALU_DEP_3)
	v_and_b32_e32 v8, 0x8000, v8
	v_and_b32_e32 v72, 0xfc00, v72
	s_delay_alu instid0(VALU_DEP_1)
	v_or3_b32 v90, v8, v72, v63
.LBB303_833:                            ;   in Loop: Header=BB303_11 Depth=1
	s_wait_alu 0xfffe
	s_or_b32 exec_lo, exec_lo, s18
.LBB303_834:                            ;   in Loop: Header=BB303_11 Depth=1
	s_wait_alu 0xfffe
	s_or_b32 exec_lo, exec_lo, s17
.LBB303_835:                            ;   in Loop: Header=BB303_11 Depth=1
	s_wait_alu 0xfffe
	s_or_b32 exec_lo, exec_lo, s16
	v_cmp_lt_u64_e64 s1, s[2:3], v[28:29]
	v_mov_b32_e32 v28, 0
	v_mov_b32_e32 v120, 0
	s_and_saveexec_b32 s16, s1
	s_cbranch_execz .LBB303_843
; %bb.836:                              ;   in Loop: Header=BB303_11 Depth=1
	v_lshrrev_b32_e32 v8, 24, v29
	v_bfrev_b32_e32 v120, 1
	s_mov_b32 s17, exec_lo
	s_delay_alu instid0(VALU_DEP_2)
	v_cmpx_ne_u32_e32 0x80, v8
	s_cbranch_execz .LBB303_842
; %bb.837:                              ;   in Loop: Header=BB303_11 Depth=1
	v_and_b32_e32 v72, 0x7f, v8
	v_mov_b32_e32 v120, 0x7c010000
	s_mov_b32 s18, exec_lo
	s_delay_alu instid0(VALU_DEP_2)
	v_cmpx_ne_u32_e32 0x7f, v72
	s_cbranch_execz .LBB303_841
; %bb.838:                              ;   in Loop: Header=BB303_11 Depth=1
	v_and_b32_e32 v29, 7, v8
	v_lshrrev_b32_e32 v63, 3, v72
	s_mov_b32 s19, exec_lo
	v_cmpx_gt_u32_e32 8, v72
; %bb.839:                              ;   in Loop: Header=BB303_11 Depth=1
	s_delay_alu instid0(VALU_DEP_3) | instskip(NEXT) | instid1(VALU_DEP_1)
	v_clz_i32_u32_e32 v29, v29
	v_min_u32_e32 v29, 32, v29
	s_delay_alu instid0(VALU_DEP_1) | instskip(NEXT) | instid1(VALU_DEP_1)
	v_subrev_nc_u32_e32 v63, 28, v29
	v_lshlrev_b64_e32 v[120:121], v63, v[8:9]
	v_sub_nc_u32_e32 v63, 29, v29
	s_delay_alu instid0(VALU_DEP_2)
	v_and_b32_e32 v29, 7, v120
; %bb.840:                              ;   in Loop: Header=BB303_11 Depth=1
	s_wait_alu 0xfffe
	s_or_b32 exec_lo, exec_lo, s19
	v_lshlrev_b32_e32 v8, 8, v8
	v_lshl_add_u32 v63, v63, 10, 0x2000
	v_lshlrev_b32_e32 v29, 23, v29
	s_delay_alu instid0(VALU_DEP_2) | instskip(NEXT) | instid1(VALU_DEP_1)
	v_and_or_b32 v8, 0x8000, v8, v63
	v_lshl_or_b32 v120, v8, 16, v29
.LBB303_841:                            ;   in Loop: Header=BB303_11 Depth=1
	s_wait_alu 0xfffe
	s_or_b32 exec_lo, exec_lo, s18
.LBB303_842:                            ;   in Loop: Header=BB303_11 Depth=1
	s_wait_alu 0xfffe
	s_or_b32 exec_lo, exec_lo, s17
.LBB303_843:                            ;   in Loop: Header=BB303_11 Depth=1
	s_wait_alu 0xfffe
	s_or_b32 exec_lo, exec_lo, s16
	flat_load_b64 v[20:21], v[20:21] offset:3080
	s_mov_b32 s16, exec_lo
	s_wait_loadcnt_dscnt 0x0
	v_and_b32_e32 v8, 0xff, v20
	s_delay_alu instid0(VALU_DEP_1)
	v_cmpx_ne_u16_e32 0, v8
	s_cbranch_execz .LBB303_851
; %bb.844:                              ;   in Loop: Header=BB303_11 Depth=1
	v_mov_b32_e32 v28, 0x8000
	s_mov_b32 s17, exec_lo
	v_cmpx_ne_u16_e32 0x80, v8
	s_cbranch_execz .LBB303_850
; %bb.845:                              ;   in Loop: Header=BB303_11 Depth=1
	v_and_b32_e32 v29, 0x7f, v20
	v_mov_b32_e32 v28, 0x7c01
	s_mov_b32 s18, exec_lo
	s_delay_alu instid0(VALU_DEP_2)
	v_cmpx_ne_u32_e32 0x7f, v29
	s_cbranch_execz .LBB303_849
; %bb.846:                              ;   in Loop: Header=BB303_11 Depth=1
	v_and_b32_e32 v8, 7, v20
	v_lshrrev_b32_e32 v28, 3, v29
	s_mov_b32 s19, exec_lo
	v_cmpx_gt_u32_e32 8, v29
; %bb.847:                              ;   in Loop: Header=BB303_11 Depth=1
	s_delay_alu instid0(VALU_DEP_3) | instskip(NEXT) | instid1(VALU_DEP_1)
	v_clz_i32_u32_e32 v8, v8
	v_min_u32_e32 v8, 32, v8
	s_delay_alu instid0(VALU_DEP_1) | instskip(NEXT) | instid1(VALU_DEP_1)
	v_subrev_nc_u32_e32 v28, 28, v8
	v_lshlrev_b64_e32 v[121:122], v28, v[20:21]
	v_sub_nc_u32_e32 v28, 29, v8
	s_delay_alu instid0(VALU_DEP_2)
	v_and_b32_e32 v8, 7, v121
; %bb.848:                              ;   in Loop: Header=BB303_11 Depth=1
	s_wait_alu 0xfffe
	s_or_b32 exec_lo, exec_lo, s19
	v_lshlrev_b32_e32 v29, 8, v20
	v_lshl_add_u32 v28, v28, 10, 0x2000
	v_lshlrev_b32_e32 v8, 7, v8
	s_delay_alu instid0(VALU_DEP_3) | instskip(NEXT) | instid1(VALU_DEP_3)
	v_and_b32_e32 v29, 0x8000, v29
	v_and_b32_e32 v28, 0xfc00, v28
	s_delay_alu instid0(VALU_DEP_1)
	v_or3_b32 v28, v29, v28, v8
.LBB303_849:                            ;   in Loop: Header=BB303_11 Depth=1
	s_wait_alu 0xfffe
	s_or_b32 exec_lo, exec_lo, s18
.LBB303_850:                            ;   in Loop: Header=BB303_11 Depth=1
	s_wait_alu 0xfffe
	s_or_b32 exec_lo, exec_lo, s17
.LBB303_851:                            ;   in Loop: Header=BB303_11 Depth=1
	s_wait_alu 0xfffe
	s_or_b32 exec_lo, exec_lo, s16
	v_lshrrev_b16 v8, 8, v20
	v_mov_b32_e32 v111, 0
	v_mov_b32_e32 v29, 0
	s_mov_b32 s16, exec_lo
	s_delay_alu instid0(VALU_DEP_3)
	v_cmpx_ne_u16_e32 0, v8
	s_cbranch_execz .LBB303_859
; %bb.852:                              ;   in Loop: Header=BB303_11 Depth=1
	v_bfrev_b32_e32 v29, 1
	s_mov_b32 s17, exec_lo
	v_cmpx_ne_u16_e32 0x80, v8
	s_cbranch_execz .LBB303_858
; %bb.853:                              ;   in Loop: Header=BB303_11 Depth=1
	v_and_b32_e32 v63, 0xffff, v8
	v_mov_b32_e32 v29, 0x7c010000
	s_mov_b32 s18, exec_lo
	s_delay_alu instid0(VALU_DEP_2) | instskip(NEXT) | instid1(VALU_DEP_1)
	v_and_b32_e32 v121, 0x7f, v63
	v_cmpx_ne_u32_e32 0x7f, v121
	s_cbranch_execz .LBB303_857
; %bb.854:                              ;   in Loop: Header=BB303_11 Depth=1
	v_and_b32_e32 v29, 7, v63
	v_lshrrev_b32_e32 v72, 3, v121
	s_mov_b32 s19, exec_lo
	v_cmpx_gt_u32_e32 8, v121
; %bb.855:                              ;   in Loop: Header=BB303_11 Depth=1
	s_delay_alu instid0(VALU_DEP_3) | instskip(NEXT) | instid1(VALU_DEP_1)
	v_clz_i32_u32_e32 v29, v29
	v_min_u32_e32 v29, 32, v29
	s_delay_alu instid0(VALU_DEP_1) | instskip(NEXT) | instid1(VALU_DEP_1)
	v_subrev_nc_u32_e32 v72, 28, v29
	v_lshlrev_b64_e32 v[121:122], v72, v[8:9]
	v_sub_nc_u32_e32 v72, 29, v29
	s_delay_alu instid0(VALU_DEP_2)
	v_and_b32_e32 v29, 7, v121
; %bb.856:                              ;   in Loop: Header=BB303_11 Depth=1
	s_wait_alu 0xfffe
	s_or_b32 exec_lo, exec_lo, s19
	v_lshlrev_b32_e32 v8, 8, v63
	v_lshl_add_u32 v63, v72, 10, 0x2000
	v_lshlrev_b32_e32 v29, 23, v29
	s_delay_alu instid0(VALU_DEP_2) | instskip(NEXT) | instid1(VALU_DEP_1)
	v_and_or_b32 v8, 0x8000, v8, v63
	v_lshl_or_b32 v29, v8, 16, v29
.LBB303_857:                            ;   in Loop: Header=BB303_11 Depth=1
	s_wait_alu 0xfffe
	s_or_b32 exec_lo, exec_lo, s18
.LBB303_858:                            ;   in Loop: Header=BB303_11 Depth=1
	s_wait_alu 0xfffe
	s_or_b32 exec_lo, exec_lo, s17
.LBB303_859:                            ;   in Loop: Header=BB303_11 Depth=1
	s_wait_alu 0xfffe
	s_or_b32 exec_lo, exec_lo, s16
	v_lshrrev_b32_e32 v8, 16, v20
	s_mov_b32 s16, exec_lo
	s_delay_alu instid0(VALU_DEP_1) | instskip(NEXT) | instid1(VALU_DEP_1)
	v_and_b32_e32 v63, 0xff, v8
	v_cmpx_ne_u16_e32 0, v63
	s_cbranch_execz .LBB303_867
; %bb.860:                              ;   in Loop: Header=BB303_11 Depth=1
	v_mov_b32_e32 v111, 0x8000
	s_mov_b32 s17, exec_lo
	v_cmpx_ne_u16_e32 0x80, v63
	s_cbranch_execz .LBB303_866
; %bb.861:                              ;   in Loop: Header=BB303_11 Depth=1
	v_bfe_u32 v121, v20, 16, 7
	v_mov_b32_e32 v111, 0x7c01
	s_mov_b32 s18, exec_lo
	s_delay_alu instid0(VALU_DEP_2)
	v_cmpx_ne_u32_e32 0x7f, v121
	s_cbranch_execz .LBB303_865
; %bb.862:                              ;   in Loop: Header=BB303_11 Depth=1
	v_and_b32_e32 v63, 7, v8
	v_lshrrev_b32_e32 v72, 3, v121
	s_mov_b32 s19, exec_lo
	v_cmpx_gt_u32_e32 8, v121
; %bb.863:                              ;   in Loop: Header=BB303_11 Depth=1
	s_delay_alu instid0(VALU_DEP_3) | instskip(NEXT) | instid1(VALU_DEP_1)
	v_clz_i32_u32_e32 v63, v63
	v_min_u32_e32 v63, 32, v63
	s_delay_alu instid0(VALU_DEP_1) | instskip(NEXT) | instid1(VALU_DEP_1)
	v_subrev_nc_u32_e32 v72, 28, v63
	v_lshlrev_b64_e32 v[121:122], v72, v[8:9]
	v_sub_nc_u32_e32 v72, 29, v63
	s_delay_alu instid0(VALU_DEP_2)
	v_and_b32_e32 v63, 7, v121
; %bb.864:                              ;   in Loop: Header=BB303_11 Depth=1
	s_wait_alu 0xfffe
	s_or_b32 exec_lo, exec_lo, s19
	v_lshlrev_b32_e32 v8, 8, v8
	v_lshl_add_u32 v72, v72, 10, 0x2000
	v_lshlrev_b32_e32 v63, 7, v63
	s_delay_alu instid0(VALU_DEP_3) | instskip(NEXT) | instid1(VALU_DEP_3)
	v_and_b32_e32 v8, 0x8000, v8
	v_and_b32_e32 v72, 0xfc00, v72
	s_delay_alu instid0(VALU_DEP_1)
	v_or3_b32 v111, v8, v72, v63
.LBB303_865:                            ;   in Loop: Header=BB303_11 Depth=1
	s_wait_alu 0xfffe
	s_or_b32 exec_lo, exec_lo, s18
.LBB303_866:                            ;   in Loop: Header=BB303_11 Depth=1
	s_wait_alu 0xfffe
	s_or_b32 exec_lo, exec_lo, s17
.LBB303_867:                            ;   in Loop: Header=BB303_11 Depth=1
	s_wait_alu 0xfffe
	s_or_b32 exec_lo, exec_lo, s16
	v_dual_mov_b32 v121, 0 :: v_dual_mov_b32 v122, 0
	s_mov_b32 s16, exec_lo
	v_cmpx_lt_u32_e32 0xffffff, v20
	s_cbranch_execz .LBB303_875
; %bb.868:                              ;   in Loop: Header=BB303_11 Depth=1
	v_lshrrev_b32_e32 v8, 24, v20
	v_bfrev_b32_e32 v122, 1
	s_mov_b32 s17, exec_lo
	s_delay_alu instid0(VALU_DEP_2)
	v_cmpx_ne_u32_e32 0x80, v8
	s_cbranch_execz .LBB303_874
; %bb.869:                              ;   in Loop: Header=BB303_11 Depth=1
	v_and_b32_e32 v123, 0x7f, v8
	v_mov_b32_e32 v122, 0x7c010000
	s_mov_b32 s18, exec_lo
	s_delay_alu instid0(VALU_DEP_2)
	v_cmpx_ne_u32_e32 0x7f, v123
	s_cbranch_execz .LBB303_873
; %bb.870:                              ;   in Loop: Header=BB303_11 Depth=1
	v_and_b32_e32 v63, 7, v8
	v_lshrrev_b32_e32 v72, 3, v123
	s_mov_b32 s19, exec_lo
	v_cmpx_gt_u32_e32 8, v123
; %bb.871:                              ;   in Loop: Header=BB303_11 Depth=1
	s_delay_alu instid0(VALU_DEP_3) | instskip(NEXT) | instid1(VALU_DEP_1)
	v_clz_i32_u32_e32 v63, v63
	v_min_u32_e32 v63, 32, v63
	s_delay_alu instid0(VALU_DEP_1) | instskip(NEXT) | instid1(VALU_DEP_1)
	v_subrev_nc_u32_e32 v72, 28, v63
	v_lshlrev_b64_e32 v[122:123], v72, v[8:9]
	v_sub_nc_u32_e32 v72, 29, v63
	s_delay_alu instid0(VALU_DEP_2)
	v_and_b32_e32 v63, 7, v122
; %bb.872:                              ;   in Loop: Header=BB303_11 Depth=1
	s_wait_alu 0xfffe
	s_or_b32 exec_lo, exec_lo, s19
	v_lshlrev_b32_e32 v8, 8, v8
	v_lshl_add_u32 v72, v72, 10, 0x2000
	v_lshlrev_b32_e32 v63, 23, v63
	s_delay_alu instid0(VALU_DEP_2) | instskip(NEXT) | instid1(VALU_DEP_1)
	v_and_or_b32 v8, 0x8000, v8, v72
	v_lshl_or_b32 v122, v8, 16, v63
.LBB303_873:                            ;   in Loop: Header=BB303_11 Depth=1
	s_wait_alu 0xfffe
	s_or_b32 exec_lo, exec_lo, s18
.LBB303_874:                            ;   in Loop: Header=BB303_11 Depth=1
	s_wait_alu 0xfffe
	s_or_b32 exec_lo, exec_lo, s17
.LBB303_875:                            ;   in Loop: Header=BB303_11 Depth=1
	s_wait_alu 0xfffe
	s_or_b32 exec_lo, exec_lo, s16
	v_dual_mov_b32 v8, v21 :: v_dual_and_b32 v63, 0xff, v21
	s_mov_b32 s16, exec_lo
	s_delay_alu instid0(VALU_DEP_1)
	v_cmpx_ne_u16_e32 0, v63
	s_cbranch_execz .LBB303_883
; %bb.876:                              ;   in Loop: Header=BB303_11 Depth=1
	v_mov_b32_e32 v121, 0x8000
	s_mov_b32 s17, exec_lo
	v_cmpx_ne_u16_e32 0x80, v63
	s_cbranch_execz .LBB303_882
; %bb.877:                              ;   in Loop: Header=BB303_11 Depth=1
	v_and_b32_e32 v123, 0x7f, v21
	v_mov_b32_e32 v121, 0x7c01
	s_mov_b32 s18, exec_lo
	s_delay_alu instid0(VALU_DEP_2)
	v_cmpx_ne_u32_e32 0x7f, v123
	s_cbranch_execz .LBB303_881
; %bb.878:                              ;   in Loop: Header=BB303_11 Depth=1
	v_and_b32_e32 v63, 7, v21
	v_lshrrev_b32_e32 v72, 3, v123
	s_mov_b32 s19, exec_lo
	v_cmpx_gt_u32_e32 8, v123
; %bb.879:                              ;   in Loop: Header=BB303_11 Depth=1
	s_delay_alu instid0(VALU_DEP_3) | instskip(NEXT) | instid1(VALU_DEP_1)
	v_clz_i32_u32_e32 v63, v63
	v_min_u32_e32 v63, 32, v63
	s_delay_alu instid0(VALU_DEP_1) | instskip(NEXT) | instid1(VALU_DEP_1)
	v_subrev_nc_u32_e32 v72, 28, v63
	v_lshlrev_b64_e32 v[123:124], v72, v[8:9]
	v_sub_nc_u32_e32 v72, 29, v63
	s_delay_alu instid0(VALU_DEP_2)
	v_and_b32_e32 v63, 7, v123
; %bb.880:                              ;   in Loop: Header=BB303_11 Depth=1
	s_wait_alu 0xfffe
	s_or_b32 exec_lo, exec_lo, s19
	v_lshlrev_b32_e32 v121, 8, v21
	v_lshl_add_u32 v72, v72, 10, 0x2000
	v_lshlrev_b32_e32 v63, 7, v63
	s_delay_alu instid0(VALU_DEP_3) | instskip(NEXT) | instid1(VALU_DEP_3)
	v_and_b32_e32 v121, 0x8000, v121
	v_and_b32_e32 v72, 0xfc00, v72
	s_delay_alu instid0(VALU_DEP_1)
	v_or3_b32 v121, v121, v72, v63
.LBB303_881:                            ;   in Loop: Header=BB303_11 Depth=1
	s_wait_alu 0xfffe
	s_or_b32 exec_lo, exec_lo, s18
.LBB303_882:                            ;   in Loop: Header=BB303_11 Depth=1
	s_wait_alu 0xfffe
	s_or_b32 exec_lo, exec_lo, s17
.LBB303_883:                            ;   in Loop: Header=BB303_11 Depth=1
	s_wait_alu 0xfffe
	s_or_b32 exec_lo, exec_lo, s16
	v_lshrrev_b16 v8, 8, v8
	v_dual_mov_b32 v125, 0 :: v_dual_mov_b32 v126, 0
	s_mov_b32 s16, exec_lo
	s_delay_alu instid0(VALU_DEP_2)
	v_cmpx_ne_u16_e32 0, v8
	s_cbranch_execz .LBB303_891
; %bb.884:                              ;   in Loop: Header=BB303_11 Depth=1
	v_bfrev_b32_e32 v126, 1
	s_mov_b32 s17, exec_lo
	v_cmpx_ne_u16_e32 0x80, v8
	s_cbranch_execz .LBB303_890
; %bb.885:                              ;   in Loop: Header=BB303_11 Depth=1
	v_and_b32_e32 v63, 0xffff, v8
	v_mov_b32_e32 v126, 0x7c010000
	s_mov_b32 s18, exec_lo
	s_delay_alu instid0(VALU_DEP_2) | instskip(NEXT) | instid1(VALU_DEP_1)
	v_and_b32_e32 v124, 0x7f, v63
	v_cmpx_ne_u32_e32 0x7f, v124
	s_cbranch_execz .LBB303_889
; %bb.886:                              ;   in Loop: Header=BB303_11 Depth=1
	v_and_b32_e32 v72, 7, v63
	v_lshrrev_b32_e32 v123, 3, v124
	s_mov_b32 s19, exec_lo
	v_cmpx_gt_u32_e32 8, v124
; %bb.887:                              ;   in Loop: Header=BB303_11 Depth=1
	s_delay_alu instid0(VALU_DEP_3) | instskip(NEXT) | instid1(VALU_DEP_1)
	v_clz_i32_u32_e32 v72, v72
	v_min_u32_e32 v72, 32, v72
	s_delay_alu instid0(VALU_DEP_1) | instskip(NEXT) | instid1(VALU_DEP_1)
	v_subrev_nc_u32_e32 v123, 28, v72
	v_lshlrev_b64_e32 v[126:127], v123, v[8:9]
	v_sub_nc_u32_e32 v123, 29, v72
	s_delay_alu instid0(VALU_DEP_2)
	v_and_b32_e32 v72, 7, v126
; %bb.888:                              ;   in Loop: Header=BB303_11 Depth=1
	s_wait_alu 0xfffe
	s_or_b32 exec_lo, exec_lo, s19
	v_lshlrev_b32_e32 v8, 8, v63
	v_lshl_add_u32 v63, v123, 10, 0x2000
	s_delay_alu instid0(VALU_DEP_1) | instskip(SKIP_1) | instid1(VALU_DEP_1)
	v_and_or_b32 v8, 0x8000, v8, v63
	v_lshlrev_b32_e32 v63, 23, v72
	v_lshl_or_b32 v126, v8, 16, v63
.LBB303_889:                            ;   in Loop: Header=BB303_11 Depth=1
	s_wait_alu 0xfffe
	s_or_b32 exec_lo, exec_lo, s18
.LBB303_890:                            ;   in Loop: Header=BB303_11 Depth=1
	s_wait_alu 0xfffe
	s_or_b32 exec_lo, exec_lo, s17
.LBB303_891:                            ;   in Loop: Header=BB303_11 Depth=1
	s_wait_alu 0xfffe
	s_or_b32 exec_lo, exec_lo, s16
	v_lshrrev_b32_e32 v8, 16, v21
	s_mov_b32 s16, exec_lo
	s_delay_alu instid0(VALU_DEP_1) | instskip(NEXT) | instid1(VALU_DEP_1)
	v_and_b32_e32 v63, 0xff, v8
	v_cmpx_ne_u16_e32 0, v63
	s_cbranch_execz .LBB303_899
; %bb.892:                              ;   in Loop: Header=BB303_11 Depth=1
	v_mov_b32_e32 v125, 0x8000
	s_mov_b32 s17, exec_lo
	v_cmpx_ne_u16_e32 0x80, v63
	s_cbranch_execz .LBB303_898
; %bb.893:                              ;   in Loop: Header=BB303_11 Depth=1
	v_bfe_u32 v123, v21, 16, 7
	v_mov_b32_e32 v125, 0x7c01
	s_mov_b32 s18, exec_lo
	s_delay_alu instid0(VALU_DEP_2)
	v_cmpx_ne_u32_e32 0x7f, v123
	s_cbranch_execz .LBB303_897
; %bb.894:                              ;   in Loop: Header=BB303_11 Depth=1
	v_and_b32_e32 v63, 7, v8
	v_lshrrev_b32_e32 v72, 3, v123
	s_mov_b32 s19, exec_lo
	v_cmpx_gt_u32_e32 8, v123
; %bb.895:                              ;   in Loop: Header=BB303_11 Depth=1
	s_delay_alu instid0(VALU_DEP_3) | instskip(NEXT) | instid1(VALU_DEP_1)
	v_clz_i32_u32_e32 v63, v63
	v_min_u32_e32 v63, 32, v63
	s_delay_alu instid0(VALU_DEP_1) | instskip(NEXT) | instid1(VALU_DEP_1)
	v_subrev_nc_u32_e32 v72, 28, v63
	v_lshlrev_b64_e32 v[123:124], v72, v[8:9]
	v_sub_nc_u32_e32 v72, 29, v63
	s_delay_alu instid0(VALU_DEP_2)
	v_and_b32_e32 v63, 7, v123
; %bb.896:                              ;   in Loop: Header=BB303_11 Depth=1
	s_wait_alu 0xfffe
	s_or_b32 exec_lo, exec_lo, s19
	v_lshlrev_b32_e32 v8, 8, v8
	v_lshl_add_u32 v72, v72, 10, 0x2000
	v_lshlrev_b32_e32 v63, 7, v63
	s_delay_alu instid0(VALU_DEP_3) | instskip(NEXT) | instid1(VALU_DEP_3)
	v_and_b32_e32 v8, 0x8000, v8
	v_and_b32_e32 v72, 0xfc00, v72
	s_delay_alu instid0(VALU_DEP_1)
	v_or3_b32 v125, v8, v72, v63
.LBB303_897:                            ;   in Loop: Header=BB303_11 Depth=1
	s_wait_alu 0xfffe
	s_or_b32 exec_lo, exec_lo, s18
.LBB303_898:                            ;   in Loop: Header=BB303_11 Depth=1
	s_wait_alu 0xfffe
	s_or_b32 exec_lo, exec_lo, s17
.LBB303_899:                            ;   in Loop: Header=BB303_11 Depth=1
	s_wait_alu 0xfffe
	s_or_b32 exec_lo, exec_lo, s16
	v_mov_b32_e32 v127, 0
	s_mov_b32 s16, exec_lo
	v_cmpx_lt_u64_e64 s[2:3], v[20:21]
	s_cbranch_execz .LBB303_10
; %bb.900:                              ;   in Loop: Header=BB303_11 Depth=1
	v_lshrrev_b32_e32 v8, 24, v21
	v_bfrev_b32_e32 v127, 1
	s_mov_b32 s17, exec_lo
	s_delay_alu instid0(VALU_DEP_2)
	v_cmpx_ne_u32_e32 0x80, v8
	s_cbranch_execz .LBB303_9
; %bb.901:                              ;   in Loop: Header=BB303_11 Depth=1
	v_and_b32_e32 v63, 0x7f, v8
	v_mov_b32_e32 v127, 0x7c010000
	s_mov_b32 s18, exec_lo
	s_delay_alu instid0(VALU_DEP_2)
	v_cmpx_ne_u32_e32 0x7f, v63
	s_cbranch_execz .LBB303_8
; %bb.902:                              ;   in Loop: Header=BB303_11 Depth=1
	v_and_b32_e32 v20, 7, v8
	v_lshrrev_b32_e32 v21, 3, v63
	s_mov_b32 s19, exec_lo
	v_cmpx_gt_u32_e32 8, v63
	s_cbranch_execz .LBB303_7
; %bb.903:                              ;   in Loop: Header=BB303_11 Depth=1
	v_clz_i32_u32_e32 v20, v20
	s_delay_alu instid0(VALU_DEP_1) | instskip(NEXT) | instid1(VALU_DEP_1)
	v_min_u32_e32 v63, 32, v20
	v_subrev_nc_u32_e32 v20, 28, v63
	s_delay_alu instid0(VALU_DEP_1) | instskip(SKIP_1) | instid1(VALU_DEP_2)
	v_lshlrev_b64_e32 v[20:21], v20, v[8:9]
	v_sub_nc_u32_e32 v21, 29, v63
	v_and_b32_e32 v20, 7, v20
	s_branch .LBB303_7
.LBB303_904:
	s_or_b32 exec_lo, exec_lo, s7
.LBB303_905:
	s_delay_alu instid0(SALU_CYCLE_1) | instskip(SKIP_2) | instid1(VALU_DEP_2)
	s_or_b32 exec_lo, exec_lo, s9
	v_mbcnt_lo_u32_b32 v8, -1, 0
	v_max_num_f32_e32 v16, v48, v48
	v_xor_b32_e32 v9, 16, v8
	v_xor_b32_e32 v13, 8, v8
	;; [unrolled: 1-line block ×3, first 2 shown]
	s_delay_alu instid0(VALU_DEP_3) | instskip(SKIP_3) | instid1(VALU_DEP_2)
	v_cmp_gt_i32_e32 vcc_lo, 32, v9
	s_wait_alu 0xfffd
	v_cndmask_b32_e32 v9, v8, v9, vcc_lo
	v_cmp_gt_i32_e32 vcc_lo, 32, v13
	v_lshlrev_b32_e32 v17, 2, v9
	s_wait_alu 0xfffd
	v_cndmask_b32_e32 v13, v8, v13, vcc_lo
	ds_bpermute_b32 v9, v17, v48
	v_lshlrev_b32_e32 v18, 2, v13
	s_wait_dscnt 0x0
	v_max_num_f32_e32 v9, v9, v9
	s_delay_alu instid0(VALU_DEP_1)
	v_max_num_f32_e32 v9, v16, v9
	v_xor_b32_e32 v16, 4, v8
	ds_bpermute_b32 v13, v18, v9
	v_cmp_gt_i32_e32 vcc_lo, 32, v16
	s_wait_alu 0xfffd
	v_cndmask_b32_e32 v16, v8, v16, vcc_lo
	s_delay_alu instid0(VALU_DEP_1) | instskip(SKIP_1) | instid1(VALU_DEP_1)
	v_lshlrev_b32_e32 v19, 2, v16
	v_xor_b32_e32 v16, 2, v8
	v_cmp_gt_i32_e32 vcc_lo, 32, v16
	s_wait_dscnt 0x0
	s_wait_alu 0xfffd
	v_dual_max_num_f32 v13, v13, v13 :: v_dual_cndmask_b32 v16, v8, v16
	v_cmp_gt_i32_e32 vcc_lo, 32, v20
	s_delay_alu instid0(VALU_DEP_2)
	v_dual_max_num_f32 v9, v9, v13 :: v_dual_lshlrev_b32 v16, 2, v16
	s_wait_alu 0xfffd
	v_cndmask_b32_e32 v20, v8, v20, vcc_lo
	v_cmp_eq_u32_e32 vcc_lo, 0, v23
	ds_bpermute_b32 v13, v19, v9
	s_wait_dscnt 0x0
	v_max_num_f32_e32 v13, v13, v13
	s_delay_alu instid0(VALU_DEP_1) | instskip(SKIP_3) | instid1(VALU_DEP_1)
	v_max_num_f32_e32 v9, v9, v13
	ds_bpermute_b32 v13, v16, v9
	s_wait_dscnt 0x0
	v_max_num_f32_e32 v13, v13, v13
	v_dual_max_num_f32 v8, v9, v13 :: v_dual_lshlrev_b32 v13, 2, v20
	v_lshlrev_b32_e32 v20, 2, v31
	ds_bpermute_b32 v9, v13, v8
	s_and_saveexec_b32 s1, vcc_lo
	s_cbranch_execz .LBB303_907
; %bb.906:
	s_wait_dscnt 0x0
	v_dual_max_num_f32 v9, v9, v9 :: v_dual_max_num_f32 v8, v8, v8
	s_delay_alu instid0(VALU_DEP_1)
	v_max_num_f32_e32 v8, v8, v9
	ds_store_b32 v20, v8 offset:224
.LBB303_907:
	s_wait_alu 0xfffe
	s_or_b32 exec_lo, exec_lo, s1
	v_cmp_gt_u32_e64 s1, 4, v23
	v_mov_b32_e32 v8, 0xff7fffff
	s_wait_loadcnt_dscnt 0x0
	s_barrier_signal -1
	s_barrier_wait -1
	global_inv scope:SCOPE_SE
	s_and_saveexec_b32 s2, s1
; %bb.908:
	ds_load_b32 v8, v38 offset:224
; %bb.909:
	s_wait_alu 0xfffe
	s_or_b32 exec_lo, exec_lo, s2
	s_wait_dscnt 0x0
	ds_bpermute_b32 v9, v16, v8
	v_max_num_f32_e32 v8, v8, v8
	v_subrev_nc_u32_e32 v24, s8, v33
	v_mov_b32_e32 v21, 0
	s_wait_dscnt 0x0
	v_max_num_f32_e32 v9, v9, v9
	s_delay_alu instid0(VALU_DEP_1) | instskip(SKIP_3) | instid1(VALU_DEP_1)
	v_max_num_f32_e32 v8, v8, v9
	ds_bpermute_b32 v9, v13, v8
	s_wait_dscnt 0x0
	v_max_num_f32_e32 v9, v9, v9
	v_max_num_f32_e32 v8, v8, v9
	v_lshl_add_u32 v9, v24, 5, s12
	ds_bpermute_b32 v8, v21, v8
	v_min_i32_e32 v9, v9, v30
	s_delay_alu instid0(VALU_DEP_1) | instskip(NEXT) | instid1(VALU_DEP_1)
	v_subrev_nc_u32_e32 v9, s12, v9
	v_cmp_lt_i32_e64 s2, v12, v9
	s_and_saveexec_b32 s8, s2
	s_cbranch_execz .LBB303_913
; %bb.910:
	s_getpc_b64 s[16:17]
	s_wait_alu 0xfffe
	s_sext_i32_i16 s17, s17
	s_add_co_u32 s16, s16, llvm.amdgcn.dynlds.offset.table@rel32@lo+12
	s_wait_alu 0xfffe
	s_add_co_ci_u32 s17, s17, llvm.amdgcn.dynlds.offset.table@rel32@hi+24
	s_ashr_i32 s7, s6, 31
	v_mov_b32_e32 v21, 0
	s_wait_alu 0xfffe
	s_lshl_b64 s[18:19], s[6:7], 2
	v_mov_b32_e32 v25, v12
	s_wait_alu 0xfffe
	s_add_nc_u64 s[16:17], s[16:17], s[18:19]
	s_mov_b32 s7, 0
	s_load_b32 s3, s[16:17], 0x0
	s_wait_kmcnt 0x0
	v_lshl_add_u32 v24, v12, 2, s3
.LBB303_911:                            ; =>This Inner Loop Header: Depth=1
	ds_load_b32 v28, v24
	v_add_nc_u32_e32 v25, 0x80, v25
	s_delay_alu instid0(VALU_DEP_1) | instskip(SKIP_3) | instid1(VALU_DEP_1)
	v_cmp_ge_i32_e64 s3, v25, v9
	s_or_b32 s7, s3, s7
	s_wait_dscnt 0x0
	v_sub_f32_e32 v28, v28, v8
	v_mul_f32_e32 v28, 0x3fb8aa3b, v28
	s_delay_alu instid0(VALU_DEP_1)
	v_exp_f32_e32 v28, v28
	ds_store_b32 v24, v28
	v_add_f32_e32 v21, v21, v28
	v_add_nc_u32_e32 v24, 0x200, v24
	s_wait_alu 0xfffe
	s_and_not1_b32 exec_lo, exec_lo, s7
	s_cbranch_execnz .LBB303_911
; %bb.912:
	s_or_b32 exec_lo, exec_lo, s7
.LBB303_913:
	s_wait_alu 0xfffe
	s_or_b32 exec_lo, exec_lo, s8
	ds_bpermute_b32 v17, v17, v21
	s_wait_dscnt 0x0
	v_add_f32_e32 v17, v21, v17
	ds_bpermute_b32 v18, v18, v17
	s_wait_dscnt 0x0
	v_add_f32_e32 v17, v17, v18
	;; [unrolled: 3-line block ×5, first 2 shown]
	s_and_saveexec_b32 s3, vcc_lo
; %bb.914:
	ds_store_b32 v20, v17 offset:240
; %bb.915:
	s_wait_alu 0xfffe
	s_or_b32 exec_lo, exec_lo, s3
	s_wait_loadcnt_dscnt 0x0
	s_barrier_signal -1
	s_barrier_wait -1
	global_inv scope:SCOPE_SE
	s_and_saveexec_b32 s3, s1
; %bb.916:
	ds_load_b32 v17, v38 offset:240
; %bb.917:
	s_wait_alu 0xfffe
	s_or_b32 exec_lo, exec_lo, s3
	s_wait_dscnt 0x0
	ds_bpermute_b32 v18, v16, v17
	s_wait_dscnt 0x0
	v_add_f32_e32 v17, v17, v18
	ds_bpermute_b32 v18, v13, v17
	s_wait_dscnt 0x0
	v_dual_add_f32 v17, v17, v18 :: v_dual_mov_b32 v18, 0
	ds_bpermute_b32 v17, v18, v17
	s_and_saveexec_b32 s1, s2
	s_cbranch_execz .LBB303_920
; %bb.918:
	s_wait_dscnt 0x0
	v_add_f32_e32 v19, 0x358637bd, v17
	s_ashr_i32 s7, s6, 31
	s_getpc_b64 s[2:3]
	s_wait_alu 0xfffe
	s_sext_i32_i16 s3, s3
	s_add_co_u32 s2, s2, llvm.amdgcn.dynlds.offset.table@rel32@lo+12
	s_wait_alu 0xfffe
	s_add_co_ci_u32 s3, s3, llvm.amdgcn.dynlds.offset.table@rel32@hi+24
	s_lshl_b64 s[8:9], s[6:7], 2
	s_wait_alu 0xfffe
	s_add_nc_u64 s[2:3], s[2:3], s[8:9]
	v_div_scale_f32 v18, null, v19, v19, 1.0
	s_load_b32 s2, s[2:3], 0x0
	v_rcp_f32_e32 v20, v18
	s_delay_alu instid0(TRANS32_DEP_1) | instskip(NEXT) | instid1(VALU_DEP_1)
	v_fma_f32 v21, -v18, v20, 1.0
	v_fmac_f32_e32 v20, v21, v20
	v_div_scale_f32 v24, vcc_lo, 1.0, v19, 1.0
	s_delay_alu instid0(VALU_DEP_1) | instskip(NEXT) | instid1(VALU_DEP_1)
	v_mul_f32_e32 v21, v24, v20
	v_fma_f32 v25, -v18, v21, v24
	s_delay_alu instid0(VALU_DEP_1) | instskip(NEXT) | instid1(VALU_DEP_1)
	v_fmac_f32_e32 v21, v25, v20
	v_fma_f32 v18, -v18, v21, v24
	s_wait_alu 0xfffd
	s_delay_alu instid0(VALU_DEP_1) | instskip(SKIP_3) | instid1(VALU_DEP_2)
	v_div_fmas_f32 v20, v18, v20, v21
	s_wait_kmcnt 0x0
	v_lshl_add_u32 v18, v12, 2, s2
	s_mov_b32 s2, 0
	v_div_fixup_f32 v19, v20, v19, 1.0
	v_mov_b32_e32 v20, v12
.LBB303_919:                            ; =>This Inner Loop Header: Depth=1
	ds_load_b32 v21, v18
	s_wait_dscnt 0x0
	v_dual_mul_f32 v21, v19, v21 :: v_dual_add_nc_u32 v20, 0x80, v20
	s_delay_alu instid0(VALU_DEP_1)
	v_cmp_ge_i32_e32 vcc_lo, v20, v9
	ds_store_b32 v18, v21
	v_add_nc_u32_e32 v18, 0x200, v18
	s_wait_alu 0xfffe
	s_or_b32 s2, vcc_lo, s2
	s_wait_alu 0xfffe
	s_and_not1_b32 exec_lo, exec_lo, s2
	s_cbranch_execnz .LBB303_919
.LBB303_920:
	s_wait_alu 0xfffe
	s_or_b32 exec_lo, exec_lo, s1
	s_and_b32 s1, 0xffff, s15
	s_wait_loadcnt_dscnt 0x0
	s_wait_alu 0xfffe
	s_cmp_lg_u32 s1, 0
	s_barrier_signal -1
	s_cselect_b32 s1, -1, 0
	s_barrier_wait -1
	s_wait_alu 0xfffe
	s_cmp_lg_u32 s1, 0
	global_inv scope:SCOPE_SE
	s_wait_kmcnt 0x0
	s_add_co_ci_u32 s1, s5, 0
	s_mov_b32 s5, exec_lo
	s_wait_alu 0xfffe
	s_mul_i32 s2, s1, s13
	s_wait_alu 0xfffe
	s_mul_i32 s2, s2, s14
	v_cmpx_eq_u32_e32 0, v12
	s_cbranch_execz .LBB303_922
; %bb.921:
	s_wait_alu 0xfffe
	s_ashr_i32 s3, s2, 31
	s_mul_i32 s8, s1, ttmp9
	s_wait_alu 0xfffe
	s_lshl_b64 s[14:15], s[2:3], 2
	s_ashr_i32 s9, s8, 31
	s_wait_alu 0xfffe
	v_add_co_u32 v2, vcc_lo, v2, s14
	s_wait_alu 0xfffd
	v_add_co_ci_u32_e64 v3, null, s15, v3, vcc_lo
	s_lshl_b64 s[8:9], s[8:9], 2
	s_lshl_b32 s3, s11, 2
	s_wait_alu 0xfffe
	v_add_co_u32 v2, vcc_lo, v2, s8
	s_wait_alu 0xfffd
	v_add_co_ci_u32_e64 v3, null, s9, v3, vcc_lo
	v_add_co_u32 v0, vcc_lo, v0, s14
	s_wait_alu 0xfffd
	v_add_co_ci_u32_e64 v1, null, s15, v1, vcc_lo
	s_delay_alu instid0(VALU_DEP_2) | instskip(SKIP_1) | instid1(VALU_DEP_2)
	v_add_co_u32 v9, vcc_lo, v0, s8
	s_wait_alu 0xfffd
	v_add_co_ci_u32_e64 v18, null, s9, v1, vcc_lo
	v_add_co_u32 v0, vcc_lo, v2, s3
	s_wait_alu 0xfffd
	v_add_co_ci_u32_e64 v1, null, 0, v3, vcc_lo
	;; [unrolled: 3-line block ×3, first 2 shown]
	flat_store_b32 v[0:1], v8
	flat_store_b32 v[2:3], v17
.LBB303_922:
	s_or_b32 exec_lo, exec_lo, s5
	s_and_saveexec_b32 s3, s0
	s_wait_alu 0xfffe
	s_xor_b32 s0, exec_lo, s3
; %bb.923:
	s_ashr_i32 s7, s6, 31
                                        ; implicit-def: $vgpr30
                                        ; implicit-def: $vgpr34
                                        ; implicit-def: $vgpr33
                                        ; implicit-def: $vgpr32
                                        ; implicit-def: $vgpr10
                                        ; implicit-def: $vgpr11
                                        ; implicit-def: $vgpr14
                                        ; implicit-def: $vgpr15
                                        ; implicit-def: $vgpr22
                                        ; implicit-def: $vgpr26_vgpr27
                                        ; implicit-def: $vgpr36
                                        ; implicit-def: $vgpr37
                                        ; implicit-def: $vgpr6_vgpr7
                                        ; implicit-def: $vgpr35
; %bb.924:
	s_wait_alu 0xfffe
	s_or_saveexec_b32 s3, s0
	v_dual_mov_b32 v0, s6 :: v_dual_and_b32 v17, 3, v12
	v_dual_mov_b32 v48, 0 :: v_dual_mov_b32 v1, s7
	v_dual_mov_b32 v51, 0 :: v_dual_mov_b32 v50, 0
	v_dual_mov_b32 v49, 0 :: v_dual_mov_b32 v38, 0
	v_dual_mov_b32 v39, 0 :: v_dual_mov_b32 v28, 0
	v_dual_mov_b32 v29, 0 :: v_dual_mov_b32 v24, 0
	v_dual_mov_b32 v25, 0 :: v_dual_mov_b32 v20, 0
	v_dual_mov_b32 v21, 0 :: v_dual_mov_b32 v18, 0
	v_mov_b32_e32 v19, 0
	s_wait_alu 0xfffe
	s_xor_b32 exec_lo, exec_lo, s3
	s_cbranch_execz .LBB303_1852
; %bb.925:
	s_getpc_b64 s[8:9]
	s_wait_alu 0xfffe
	s_sext_i32_i16 s9, s9
	s_add_co_u32 s8, s8, llvm.amdgcn.dynlds.offset.table@rel32@lo+12
	s_wait_alu 0xfffe
	s_add_co_ci_u32 s9, s9, llvm.amdgcn.dynlds.offset.table@rel32@hi+24
	s_ashr_i32 s7, s6, 31
	v_dual_mov_b32 v1, 0 :: v_dual_lshlrev_b32 v0, 3, v12
	s_wait_alu 0xfffe
	s_lshl_b64 s[14:15], s[6:7], 2
	v_add_co_u32 v2, vcc_lo, v10, v36
	s_wait_alu 0xfffe
	s_add_nc_u64 s[8:9], s[8:9], s[14:15]
	v_dual_mov_b32 v19, 0 :: v_dual_and_b32 v8, 24, v0
	s_load_b32 s0, s[8:9], 0x0
	v_dual_mov_b32 v21, 0 :: v_dual_and_b32 v0, 0xf8, v0
	v_add_co_ci_u32_e64 v3, null, v11, v37, vcc_lo
	v_lshl_add_u32 v9, v31, 5, s12
	s_delay_alu instid0(VALU_DEP_3)
	v_add_co_u32 v2, vcc_lo, v2, v0
	v_dual_mov_b32 v29, 0 :: v_dual_lshlrev_b32 v0, 5, v17
	s_wait_alu 0xfffd
	v_add_co_ci_u32_e64 v3, null, 0, v3, vcc_lo
	v_add_co_u32 v6, vcc_lo, v6, v35
	s_wait_alu 0xfffd
	v_add_co_ci_u32_e64 v7, null, 0, v7, vcc_lo
	v_lshl_or_b32 v0, v31, 7, v0
	s_delay_alu instid0(VALU_DEP_3)
	v_add_co_u32 v6, vcc_lo, v14, v6
	v_dual_mov_b32 v25, 0 :: v_dual_add_nc_u32 v34, -1, v34
	s_wait_alu 0xfffd
	v_add_co_ci_u32_e64 v7, null, v15, v7, vcc_lo
	v_add3_u32 v14, v9, v8, 7
	s_wait_kmcnt 0x0
	v_dual_mov_b32 v18, 0 :: v_dual_add_nc_u32 v15, s0, v0
	v_dual_mov_b32 v20, 0 :: v_dual_mov_b32 v39, 0
	v_dual_mov_b32 v24, 0 :: v_dual_mov_b32 v49, 0
	;; [unrolled: 1-line block ×3, first 2 shown]
	v_mov_b32_e32 v38, 0
	v_mov_b32_e32 v50, 0
	;; [unrolled: 1-line block ×3, first 2 shown]
	s_mov_b32 s8, -1
	s_mov_b32 s9, 0xffffff
	s_mov_b32 s5, 0
	s_branch .LBB303_927
.LBB303_926:                            ;   in Loop: Header=BB303_927 Depth=1
	s_wait_alu 0xfffe
	s_or_b32 exec_lo, exec_lo, s0
	v_dual_add_f32 v10, v10, v11 :: v_dual_add_f32 v35, v112, v113
	v_dual_add_f32 v64, v102, v103 :: v_dual_add_f32 v65, v100, v101
	v_add_f32_e32 v11, v114, v115
	v_add_co_u32 v6, s0, v6, 16
	s_delay_alu instid0(VALU_DEP_3) | instskip(NEXT) | instid1(VALU_DEP_3)
	v_dual_add_f32 v24, v24, v64 :: v_dual_add_f32 v19, v19, v10
	v_dual_add_f32 v20, v20, v11 :: v_dual_add_f32 v25, v25, v65
	v_add_f32_e32 v10, v98, v99
	v_dual_add_f32 v21, v21, v35 :: v_dual_add_f32 v64, v84, v85
	v_dual_add_f32 v35, v86, v87 :: v_dual_add_nc_u32 v32, 4, v32
	s_delay_alu instid0(VALU_DEP_3)
	v_add_f32_e32 v28, v28, v10
	;;#ASMSTART
	v_pk_mul_f16 v10, v54, v116;

	;;#ASMEND
	;;#ASMSTART
	v_pk_mul_f16 v0, v52, v0;

	;;#ASMEND
	;; [unrolled: 4-line block ×4, first 2 shown]
	;;#ASMSTART
	v_pk_add_f16 v0, v10, v0;

	;;#ASMEND
	v_dual_add_f32 v11, v96, v97 :: v_dual_add_f32 v38, v38, v35
	;;#ASMSTART
	v_pk_add_f16 v0, v0, v9;

	;;#ASMEND
	;;#ASMSTART
	v_pk_add_f16 v0, v0, v8;

	;;#ASMEND
	v_dual_add_f32 v65, v82, v83 :: v_dual_and_b32 v10, 0xffff, v0
	v_add_f32_e32 v9, v53, v55
	v_add_f32_e32 v29, v29, v11
	v_lshrrev_b32_e32 v11, 16, v0
	;;#ASMSTART
	v_cvt_f32_f16 v10, v10;
	;;#ASMEND
	v_dual_add_f32 v39, v39, v64 :: v_dual_add_f32 v8, v70, v71
	v_add_f32_e32 v0, v80, v81
	;;#ASMSTART
	v_cvt_f32_f16 v11, v11;
	;;#ASMEND
	v_dual_add_f32 v49, v49, v65 :: v_dual_add_f32 v10, v10, v11
	v_cmp_ge_i32_e32 vcc_lo, v32, v33
	s_delay_alu instid0(VALU_DEP_3) | instskip(SKIP_1) | instid1(VALU_DEP_4)
	v_dual_add_f32 v50, v50, v0 :: v_dual_add_nc_u32 v15, 0x200, v15
	v_dual_add_f32 v51, v51, v8 :: v_dual_add_f32 v48, v48, v9
	v_add_f32_e32 v18, v18, v10
	s_wait_alu 0xf1ff
	v_add_co_ci_u32_e64 v7, null, 0, v7, s0
	v_add_nc_u32_e32 v14, 0x80, v14
	s_or_b32 s5, vcc_lo, s5
	s_wait_alu 0xfffe
	s_and_not1_b32 exec_lo, exec_lo, s5
	s_cbranch_execz .LBB303_1851
.LBB303_927:                            ; =>This Inner Loop Header: Depth=1
	flat_load_b32 v0, v[6:7]
	ds_load_2addr_b64 v[52:55], v15 offset1:1
	ds_load_2addr_b64 v[64:67], v15 offset0:2 offset1:3
	s_mov_b32 s0, exec_lo
	s_wait_dscnt 0x1
	;;#ASMSTART
	v_cvt_f16_f32 v36, v52;

	;;#ASMEND
	;;#ASMSTART
	v_cvt_f16_f32 v37, v53;

	;;#ASMEND
	;; [unrolled: 4-line block ×4, first 2 shown]
	s_wait_dscnt 0x0
	;;#ASMSTART
	v_cvt_f16_f32 v70, v64;

	;;#ASMEND
	;;#ASMSTART
	v_cvt_f16_f32 v53, v65;

	;;#ASMEND
	;; [unrolled: 4-line block ×4, first 2 shown]
	v_mov_b32_e32 v65, 0
	s_wait_loadcnt 0x0
	v_mad_co_i64_i32 v[8:9], null, v0, v22, v[2:3]
	flat_load_b64 v[10:11], v[8:9]
	flat_load_b32 v64, v[26:27]
	s_wait_loadcnt_dscnt 0x101
	v_and_b32_e32 v0, 0xff, v10
	s_delay_alu instid0(VALU_DEP_1)
	v_cmpx_ne_u16_e32 0, v0
	s_cbranch_execz .LBB303_935
; %bb.928:                              ;   in Loop: Header=BB303_927 Depth=1
	v_mov_b32_e32 v65, 0x8000
	s_mov_b32 s12, exec_lo
	v_cmpx_ne_u16_e32 0x80, v0
	s_cbranch_execz .LBB303_934
; %bb.929:                              ;   in Loop: Header=BB303_927 Depth=1
	v_and_b32_e32 v66, 0x7f, v10
	v_mov_b32_e32 v65, 0x7c01
	s_mov_b32 s13, exec_lo
	s_delay_alu instid0(VALU_DEP_2)
	v_cmpx_ne_u32_e32 0x7f, v66
	s_cbranch_execz .LBB303_933
; %bb.930:                              ;   in Loop: Header=BB303_927 Depth=1
	v_and_b32_e32 v0, 7, v10
	v_lshrrev_b32_e32 v35, 3, v66
	s_mov_b32 s14, exec_lo
	v_cmpx_gt_u32_e32 8, v66
; %bb.931:                              ;   in Loop: Header=BB303_927 Depth=1
	s_delay_alu instid0(VALU_DEP_3) | instskip(NEXT) | instid1(VALU_DEP_1)
	v_clz_i32_u32_e32 v0, v0
	v_min_u32_e32 v0, 32, v0
	s_delay_alu instid0(VALU_DEP_1) | instskip(NEXT) | instid1(VALU_DEP_1)
	v_subrev_nc_u32_e32 v35, 28, v0
	v_lshlrev_b64_e32 v[65:66], v35, v[10:11]
	v_sub_nc_u32_e32 v35, 29, v0
	s_delay_alu instid0(VALU_DEP_2)
	v_and_b32_e32 v0, 7, v65
; %bb.932:                              ;   in Loop: Header=BB303_927 Depth=1
	s_wait_alu 0xfffe
	s_or_b32 exec_lo, exec_lo, s14
	v_lshlrev_b32_e32 v65, 8, v10
	v_lshl_add_u32 v35, v35, 10, 0x2000
	v_lshlrev_b32_e32 v0, 7, v0
	s_delay_alu instid0(VALU_DEP_3) | instskip(NEXT) | instid1(VALU_DEP_3)
	v_and_b32_e32 v65, 0x8000, v65
	v_and_b32_e32 v35, 0xfc00, v35
	s_delay_alu instid0(VALU_DEP_1)
	v_or3_b32 v65, v65, v35, v0
.LBB303_933:                            ;   in Loop: Header=BB303_927 Depth=1
	s_wait_alu 0xfffe
	s_or_b32 exec_lo, exec_lo, s13
.LBB303_934:                            ;   in Loop: Header=BB303_927 Depth=1
	s_wait_alu 0xfffe
	s_or_b32 exec_lo, exec_lo, s12
.LBB303_935:                            ;   in Loop: Header=BB303_927 Depth=1
	s_wait_alu 0xfffe
	s_or_b32 exec_lo, exec_lo, s0
	v_lshrrev_b16 v0, 8, v10
	v_dual_mov_b32 v35, 0 :: v_dual_mov_b32 v66, 0
	s_mov_b32 s0, exec_lo
	s_delay_alu instid0(VALU_DEP_2)
	v_cmpx_ne_u16_e32 0, v0
	s_cbranch_execz .LBB303_943
; %bb.936:                              ;   in Loop: Header=BB303_927 Depth=1
	v_bfrev_b32_e32 v66, 1
	s_mov_b32 s12, exec_lo
	v_cmpx_ne_u16_e32 0x80, v0
	s_cbranch_execz .LBB303_942
; %bb.937:                              ;   in Loop: Header=BB303_927 Depth=1
	v_and_b32_e32 v67, 0xffff, v0
	v_mov_b32_e32 v66, 0x7c010000
	s_mov_b32 s13, exec_lo
	s_delay_alu instid0(VALU_DEP_2) | instskip(NEXT) | instid1(VALU_DEP_1)
	v_and_b32_e32 v69, 0x7f, v67
	v_cmpx_ne_u32_e32 0x7f, v69
	s_cbranch_execz .LBB303_941
; %bb.938:                              ;   in Loop: Header=BB303_927 Depth=1
	v_and_b32_e32 v66, 7, v67
	v_lshrrev_b32_e32 v68, 3, v69
	s_mov_b32 s14, exec_lo
	v_cmpx_gt_u32_e32 8, v69
; %bb.939:                              ;   in Loop: Header=BB303_927 Depth=1
	s_delay_alu instid0(VALU_DEP_3) | instskip(NEXT) | instid1(VALU_DEP_1)
	v_clz_i32_u32_e32 v66, v66
	v_min_u32_e32 v66, 32, v66
	s_delay_alu instid0(VALU_DEP_1) | instskip(NEXT) | instid1(VALU_DEP_1)
	v_subrev_nc_u32_e32 v68, 28, v66
	v_lshlrev_b64_e32 v[80:81], v68, v[0:1]
	v_sub_nc_u32_e32 v68, 29, v66
	s_delay_alu instid0(VALU_DEP_2)
	v_and_b32_e32 v66, 7, v80
; %bb.940:                              ;   in Loop: Header=BB303_927 Depth=1
	s_wait_alu 0xfffe
	s_or_b32 exec_lo, exec_lo, s14
	v_lshlrev_b32_e32 v0, 8, v67
	v_lshl_add_u32 v67, v68, 10, 0x2000
	v_lshlrev_b32_e32 v66, 23, v66
	s_delay_alu instid0(VALU_DEP_2) | instskip(NEXT) | instid1(VALU_DEP_1)
	v_and_or_b32 v0, 0x8000, v0, v67
	v_lshl_or_b32 v66, v0, 16, v66
.LBB303_941:                            ;   in Loop: Header=BB303_927 Depth=1
	s_wait_alu 0xfffe
	s_or_b32 exec_lo, exec_lo, s13
.LBB303_942:                            ;   in Loop: Header=BB303_927 Depth=1
	s_wait_alu 0xfffe
	s_or_b32 exec_lo, exec_lo, s12
.LBB303_943:                            ;   in Loop: Header=BB303_927 Depth=1
	s_wait_alu 0xfffe
	s_or_b32 exec_lo, exec_lo, s0
	v_lshrrev_b32_e32 v0, 16, v10
	s_mov_b32 s0, exec_lo
	s_delay_alu instid0(VALU_DEP_1) | instskip(NEXT) | instid1(VALU_DEP_1)
	v_and_b32_e32 v67, 0xff, v0
	v_cmpx_ne_u16_e32 0, v67
	s_cbranch_execz .LBB303_951
; %bb.944:                              ;   in Loop: Header=BB303_927 Depth=1
	v_mov_b32_e32 v35, 0x8000
	s_mov_b32 s12, exec_lo
	v_cmpx_ne_u16_e32 0x80, v67
	s_cbranch_execz .LBB303_950
; %bb.945:                              ;   in Loop: Header=BB303_927 Depth=1
	v_bfe_u32 v68, v10, 16, 7
	v_mov_b32_e32 v35, 0x7c01
	s_mov_b32 s13, exec_lo
	s_delay_alu instid0(VALU_DEP_2)
	v_cmpx_ne_u32_e32 0x7f, v68
	s_cbranch_execz .LBB303_949
; %bb.946:                              ;   in Loop: Header=BB303_927 Depth=1
	v_and_b32_e32 v35, 7, v0
	v_lshrrev_b32_e32 v67, 3, v68
	s_mov_b32 s14, exec_lo
	v_cmpx_gt_u32_e32 8, v68
; %bb.947:                              ;   in Loop: Header=BB303_927 Depth=1
	s_delay_alu instid0(VALU_DEP_3) | instskip(NEXT) | instid1(VALU_DEP_1)
	v_clz_i32_u32_e32 v35, v35
	v_min_u32_e32 v35, 32, v35
	s_delay_alu instid0(VALU_DEP_1) | instskip(NEXT) | instid1(VALU_DEP_1)
	v_subrev_nc_u32_e32 v67, 28, v35
	v_lshlrev_b64_e32 v[68:69], v67, v[0:1]
	v_sub_nc_u32_e32 v67, 29, v35
	s_delay_alu instid0(VALU_DEP_2)
	v_and_b32_e32 v35, 7, v68
; %bb.948:                              ;   in Loop: Header=BB303_927 Depth=1
	s_wait_alu 0xfffe
	s_or_b32 exec_lo, exec_lo, s14
	v_lshlrev_b32_e32 v0, 8, v0
	v_lshl_add_u32 v67, v67, 10, 0x2000
	v_lshlrev_b32_e32 v35, 7, v35
	s_delay_alu instid0(VALU_DEP_3) | instskip(NEXT) | instid1(VALU_DEP_3)
	v_and_b32_e32 v0, 0x8000, v0
	v_and_b32_e32 v67, 0xfc00, v67
	s_delay_alu instid0(VALU_DEP_1)
	v_or3_b32 v35, v0, v67, v35
.LBB303_949:                            ;   in Loop: Header=BB303_927 Depth=1
	s_wait_alu 0xfffe
	s_or_b32 exec_lo, exec_lo, s13
.LBB303_950:                            ;   in Loop: Header=BB303_927 Depth=1
	s_wait_alu 0xfffe
	s_or_b32 exec_lo, exec_lo, s12
.LBB303_951:                            ;   in Loop: Header=BB303_927 Depth=1
	s_wait_alu 0xfffe
	s_or_b32 exec_lo, exec_lo, s0
	v_dual_mov_b32 v67, 0 :: v_dual_mov_b32 v68, 0
	s_mov_b32 s0, exec_lo
	v_cmpx_lt_u32_e32 0xffffff, v10
	s_cbranch_execz .LBB303_959
; %bb.952:                              ;   in Loop: Header=BB303_927 Depth=1
	v_lshrrev_b32_e32 v0, 24, v10
	v_bfrev_b32_e32 v68, 1
	s_mov_b32 s12, exec_lo
	s_delay_alu instid0(VALU_DEP_2)
	v_cmpx_ne_u32_e32 0x80, v0
	s_cbranch_execz .LBB303_958
; %bb.953:                              ;   in Loop: Header=BB303_927 Depth=1
	v_and_b32_e32 v80, 0x7f, v0
	v_mov_b32_e32 v68, 0x7c010000
	s_mov_b32 s13, exec_lo
	s_delay_alu instid0(VALU_DEP_2)
	v_cmpx_ne_u32_e32 0x7f, v80
	s_cbranch_execz .LBB303_957
; %bb.954:                              ;   in Loop: Header=BB303_927 Depth=1
	v_and_b32_e32 v68, 7, v0
	v_lshrrev_b32_e32 v69, 3, v80
	s_mov_b32 s14, exec_lo
	v_cmpx_gt_u32_e32 8, v80
; %bb.955:                              ;   in Loop: Header=BB303_927 Depth=1
	s_delay_alu instid0(VALU_DEP_3) | instskip(NEXT) | instid1(VALU_DEP_1)
	v_clz_i32_u32_e32 v68, v68
	v_min_u32_e32 v80, 32, v68
	s_delay_alu instid0(VALU_DEP_1) | instskip(NEXT) | instid1(VALU_DEP_1)
	v_subrev_nc_u32_e32 v68, 28, v80
	v_lshlrev_b64_e32 v[68:69], v68, v[0:1]
	v_sub_nc_u32_e32 v69, 29, v80
	s_delay_alu instid0(VALU_DEP_2)
	v_and_b32_e32 v68, 7, v68
; %bb.956:                              ;   in Loop: Header=BB303_927 Depth=1
	s_wait_alu 0xfffe
	s_or_b32 exec_lo, exec_lo, s14
	v_lshlrev_b32_e32 v0, 8, v0
	v_lshl_add_u32 v69, v69, 10, 0x2000
	v_lshlrev_b32_e32 v68, 23, v68
	s_delay_alu instid0(VALU_DEP_2) | instskip(NEXT) | instid1(VALU_DEP_1)
	v_and_or_b32 v0, 0x8000, v0, v69
	v_lshl_or_b32 v68, v0, 16, v68
.LBB303_957:                            ;   in Loop: Header=BB303_927 Depth=1
	s_wait_alu 0xfffe
	s_or_b32 exec_lo, exec_lo, s13
.LBB303_958:                            ;   in Loop: Header=BB303_927 Depth=1
	s_wait_alu 0xfffe
	s_or_b32 exec_lo, exec_lo, s12
.LBB303_959:                            ;   in Loop: Header=BB303_927 Depth=1
	s_wait_alu 0xfffe
	s_or_b32 exec_lo, exec_lo, s0
	v_dual_mov_b32 v0, v11 :: v_dual_and_b32 v69, 0xff, v11
	s_mov_b32 s0, exec_lo
	s_delay_alu instid0(VALU_DEP_1)
	v_cmpx_ne_u16_e32 0, v69
	s_cbranch_execz .LBB303_967
; %bb.960:                              ;   in Loop: Header=BB303_927 Depth=1
	v_mov_b32_e32 v67, 0x8000
	s_mov_b32 s12, exec_lo
	v_cmpx_ne_u16_e32 0x80, v69
	s_cbranch_execz .LBB303_966
; %bb.961:                              ;   in Loop: Header=BB303_927 Depth=1
	v_and_b32_e32 v80, 0x7f, v11
	v_mov_b32_e32 v67, 0x7c01
	s_mov_b32 s13, exec_lo
	s_delay_alu instid0(VALU_DEP_2)
	v_cmpx_ne_u32_e32 0x7f, v80
	s_cbranch_execz .LBB303_965
; %bb.962:                              ;   in Loop: Header=BB303_927 Depth=1
	v_and_b32_e32 v67, 7, v11
	v_lshrrev_b32_e32 v69, 3, v80
	s_mov_b32 s14, exec_lo
	v_cmpx_gt_u32_e32 8, v80
; %bb.963:                              ;   in Loop: Header=BB303_927 Depth=1
	s_delay_alu instid0(VALU_DEP_3) | instskip(NEXT) | instid1(VALU_DEP_1)
	v_clz_i32_u32_e32 v67, v67
	v_min_u32_e32 v67, 32, v67
	s_delay_alu instid0(VALU_DEP_1) | instskip(NEXT) | instid1(VALU_DEP_1)
	v_subrev_nc_u32_e32 v69, 28, v67
	v_lshlrev_b64_e32 v[80:81], v69, v[0:1]
	v_sub_nc_u32_e32 v69, 29, v67
	s_delay_alu instid0(VALU_DEP_2)
	v_and_b32_e32 v67, 7, v80
; %bb.964:                              ;   in Loop: Header=BB303_927 Depth=1
	s_wait_alu 0xfffe
	s_or_b32 exec_lo, exec_lo, s14
	v_lshlrev_b32_e32 v80, 8, v11
	v_lshl_add_u32 v69, v69, 10, 0x2000
	v_lshlrev_b32_e32 v67, 7, v67
	s_delay_alu instid0(VALU_DEP_3) | instskip(NEXT) | instid1(VALU_DEP_3)
	v_and_b32_e32 v80, 0x8000, v80
	v_and_b32_e32 v69, 0xfc00, v69
	s_delay_alu instid0(VALU_DEP_1)
	v_or3_b32 v67, v80, v69, v67
.LBB303_965:                            ;   in Loop: Header=BB303_927 Depth=1
	s_wait_alu 0xfffe
	s_or_b32 exec_lo, exec_lo, s13
.LBB303_966:                            ;   in Loop: Header=BB303_927 Depth=1
	s_wait_alu 0xfffe
	s_or_b32 exec_lo, exec_lo, s12
.LBB303_967:                            ;   in Loop: Header=BB303_927 Depth=1
	s_wait_alu 0xfffe
	s_or_b32 exec_lo, exec_lo, s0
	v_lshrrev_b16 v0, 8, v0
	v_dual_mov_b32 v80, 0 :: v_dual_mov_b32 v69, 0
	s_mov_b32 s0, exec_lo
	s_delay_alu instid0(VALU_DEP_2)
	v_cmpx_ne_u16_e32 0, v0
	s_cbranch_execz .LBB303_975
; %bb.968:                              ;   in Loop: Header=BB303_927 Depth=1
	v_bfrev_b32_e32 v69, 1
	s_mov_b32 s12, exec_lo
	v_cmpx_ne_u16_e32 0x80, v0
	s_cbranch_execz .LBB303_974
; %bb.969:                              ;   in Loop: Header=BB303_927 Depth=1
	v_and_b32_e32 v81, 0xffff, v0
	v_mov_b32_e32 v69, 0x7c010000
	s_mov_b32 s13, exec_lo
	s_delay_alu instid0(VALU_DEP_2) | instskip(NEXT) | instid1(VALU_DEP_1)
	v_and_b32_e32 v83, 0x7f, v81
	v_cmpx_ne_u32_e32 0x7f, v83
	s_cbranch_execz .LBB303_973
; %bb.970:                              ;   in Loop: Header=BB303_927 Depth=1
	v_and_b32_e32 v69, 7, v81
	v_lshrrev_b32_e32 v82, 3, v83
	s_mov_b32 s14, exec_lo
	v_cmpx_gt_u32_e32 8, v83
; %bb.971:                              ;   in Loop: Header=BB303_927 Depth=1
	s_delay_alu instid0(VALU_DEP_3) | instskip(NEXT) | instid1(VALU_DEP_1)
	v_clz_i32_u32_e32 v69, v69
	v_min_u32_e32 v69, 32, v69
	s_delay_alu instid0(VALU_DEP_1) | instskip(NEXT) | instid1(VALU_DEP_1)
	v_subrev_nc_u32_e32 v82, 28, v69
	v_lshlrev_b64_e32 v[83:84], v82, v[0:1]
	v_sub_nc_u32_e32 v82, 29, v69
	s_delay_alu instid0(VALU_DEP_2)
	v_and_b32_e32 v69, 7, v83
; %bb.972:                              ;   in Loop: Header=BB303_927 Depth=1
	s_wait_alu 0xfffe
	s_or_b32 exec_lo, exec_lo, s14
	v_lshlrev_b32_e32 v0, 8, v81
	v_lshl_add_u32 v81, v82, 10, 0x2000
	v_lshlrev_b32_e32 v69, 23, v69
	s_delay_alu instid0(VALU_DEP_2) | instskip(NEXT) | instid1(VALU_DEP_1)
	v_and_or_b32 v0, 0x8000, v0, v81
	v_lshl_or_b32 v69, v0, 16, v69
.LBB303_973:                            ;   in Loop: Header=BB303_927 Depth=1
	s_wait_alu 0xfffe
	s_or_b32 exec_lo, exec_lo, s13
.LBB303_974:                            ;   in Loop: Header=BB303_927 Depth=1
	s_wait_alu 0xfffe
	s_or_b32 exec_lo, exec_lo, s12
.LBB303_975:                            ;   in Loop: Header=BB303_927 Depth=1
	s_wait_alu 0xfffe
	s_or_b32 exec_lo, exec_lo, s0
	v_lshrrev_b32_e32 v0, 16, v11
	s_mov_b32 s0, exec_lo
	s_delay_alu instid0(VALU_DEP_1) | instskip(NEXT) | instid1(VALU_DEP_1)
	v_and_b32_e32 v81, 0xff, v0
	v_cmpx_ne_u16_e32 0, v81
	s_cbranch_execz .LBB303_983
; %bb.976:                              ;   in Loop: Header=BB303_927 Depth=1
	v_mov_b32_e32 v80, 0x8000
	s_mov_b32 s12, exec_lo
	v_cmpx_ne_u16_e32 0x80, v81
	s_cbranch_execz .LBB303_982
; %bb.977:                              ;   in Loop: Header=BB303_927 Depth=1
	v_bfe_u32 v82, v11, 16, 7
	v_mov_b32_e32 v80, 0x7c01
	s_mov_b32 s13, exec_lo
	s_delay_alu instid0(VALU_DEP_2)
	v_cmpx_ne_u32_e32 0x7f, v82
	s_cbranch_execz .LBB303_981
; %bb.978:                              ;   in Loop: Header=BB303_927 Depth=1
	v_and_b32_e32 v80, 7, v0
	v_lshrrev_b32_e32 v81, 3, v82
	s_mov_b32 s14, exec_lo
	v_cmpx_gt_u32_e32 8, v82
; %bb.979:                              ;   in Loop: Header=BB303_927 Depth=1
	s_delay_alu instid0(VALU_DEP_3) | instskip(NEXT) | instid1(VALU_DEP_1)
	v_clz_i32_u32_e32 v80, v80
	v_min_u32_e32 v82, 32, v80
	s_delay_alu instid0(VALU_DEP_1) | instskip(NEXT) | instid1(VALU_DEP_1)
	v_subrev_nc_u32_e32 v80, 28, v82
	v_lshlrev_b64_e32 v[80:81], v80, v[0:1]
	v_sub_nc_u32_e32 v81, 29, v82
	s_delay_alu instid0(VALU_DEP_2)
	v_and_b32_e32 v80, 7, v80
; %bb.980:                              ;   in Loop: Header=BB303_927 Depth=1
	s_wait_alu 0xfffe
	s_or_b32 exec_lo, exec_lo, s14
	v_lshlrev_b32_e32 v0, 8, v0
	v_lshl_add_u32 v81, v81, 10, 0x2000
	v_lshlrev_b32_e32 v80, 7, v80
	s_delay_alu instid0(VALU_DEP_3) | instskip(NEXT) | instid1(VALU_DEP_3)
	v_and_b32_e32 v0, 0x8000, v0
	v_and_b32_e32 v81, 0xfc00, v81
	s_delay_alu instid0(VALU_DEP_1)
	v_or3_b32 v80, v0, v81, v80
.LBB303_981:                            ;   in Loop: Header=BB303_927 Depth=1
	s_wait_alu 0xfffe
	s_or_b32 exec_lo, exec_lo, s13
.LBB303_982:                            ;   in Loop: Header=BB303_927 Depth=1
	s_wait_alu 0xfffe
	s_or_b32 exec_lo, exec_lo, s12
.LBB303_983:                            ;   in Loop: Header=BB303_927 Depth=1
	s_wait_alu 0xfffe
	s_or_b32 exec_lo, exec_lo, s0
	v_cmp_lt_u64_e32 vcc_lo, s[8:9], v[10:11]
	v_mov_b32_e32 v10, 0
	s_and_saveexec_b32 s0, vcc_lo
	s_cbranch_execz .LBB303_991
; %bb.984:                              ;   in Loop: Header=BB303_927 Depth=1
	v_lshrrev_b32_e32 v0, 24, v11
	v_bfrev_b32_e32 v10, 1
	s_mov_b32 s12, exec_lo
	s_delay_alu instid0(VALU_DEP_2)
	v_cmpx_ne_u32_e32 0x80, v0
	s_cbranch_execz .LBB303_990
; %bb.985:                              ;   in Loop: Header=BB303_927 Depth=1
	v_and_b32_e32 v81, 0x7f, v0
	v_mov_b32_e32 v10, 0x7c010000
	s_mov_b32 s13, exec_lo
	s_delay_alu instid0(VALU_DEP_2)
	v_cmpx_ne_u32_e32 0x7f, v81
	s_cbranch_execz .LBB303_989
; %bb.986:                              ;   in Loop: Header=BB303_927 Depth=1
	v_and_b32_e32 v10, 7, v0
	v_lshrrev_b32_e32 v11, 3, v81
	s_mov_b32 s14, exec_lo
	v_cmpx_gt_u32_e32 8, v81
; %bb.987:                              ;   in Loop: Header=BB303_927 Depth=1
	s_delay_alu instid0(VALU_DEP_3) | instskip(NEXT) | instid1(VALU_DEP_1)
	v_clz_i32_u32_e32 v10, v10
	v_min_u32_e32 v81, 32, v10
	s_delay_alu instid0(VALU_DEP_1) | instskip(NEXT) | instid1(VALU_DEP_1)
	v_subrev_nc_u32_e32 v10, 28, v81
	v_lshlrev_b64_e32 v[10:11], v10, v[0:1]
	v_sub_nc_u32_e32 v11, 29, v81
	s_delay_alu instid0(VALU_DEP_2)
	v_and_b32_e32 v10, 7, v10
; %bb.988:                              ;   in Loop: Header=BB303_927 Depth=1
	s_wait_alu 0xfffe
	s_or_b32 exec_lo, exec_lo, s14
	v_lshlrev_b32_e32 v0, 8, v0
	v_lshl_add_u32 v11, v11, 10, 0x2000
	v_lshlrev_b32_e32 v10, 23, v10
	s_delay_alu instid0(VALU_DEP_2) | instskip(NEXT) | instid1(VALU_DEP_1)
	v_and_or_b32 v0, 0x8000, v0, v11
	v_lshl_or_b32 v10, v0, 16, v10
.LBB303_989:                            ;   in Loop: Header=BB303_927 Depth=1
	s_wait_alu 0xfffe
	s_or_b32 exec_lo, exec_lo, s13
.LBB303_990:                            ;   in Loop: Header=BB303_927 Depth=1
	s_wait_alu 0xfffe
	s_or_b32 exec_lo, exec_lo, s12
.LBB303_991:                            ;   in Loop: Header=BB303_927 Depth=1
	s_wait_alu 0xfffe
	s_or_b32 exec_lo, exec_lo, s0
	v_or_b32_e32 v0, v68, v35
	s_wait_loadcnt_dscnt 0x0
	v_fma_mixlo_f16 v11, v64, v68, 0 op_sel:[0,1,0] op_sel_hi:[0,1,0]
	v_or_b32_e32 v65, v66, v65
	v_fma_mixlo_f16 v66, v64, v66, 0 op_sel:[0,1,0] op_sel_hi:[0,1,0]
	v_or_b32_e32 v67, v69, v67
	v_fma_mixlo_f16 v0, v64, v0, 0 op_sel_hi:[0,1,0]
	v_or_b32_e32 v68, v10, v80
	v_fma_mixlo_f16 v10, v64, v10, 0 op_sel:[0,1,0] op_sel_hi:[0,1,0]
	v_lshlrev_b32_e32 v86, 16, v66
	v_fma_mixlo_f16 v66, v64, v67, 0 op_sel_hi:[0,1,0]
	v_and_b32_e32 v83, 0xffff, v0
	v_fma_mixlo_f16 v0, v64, v65, 0 op_sel_hi:[0,1,0]
	v_fma_mixlo_f16 v65, v64, v69, 0 op_sel:[0,1,0] op_sel_hi:[0,1,0]
	v_fma_mixlo_f16 v64, v64, v68, 0 op_sel_hi:[0,1,0]
	v_lshlrev_b32_e32 v11, 16, v11
	v_and_b32_e32 v87, 0xffff, v66
	v_and_b32_e32 v96, 0xffff, v0
	v_lshlrev_b32_e32 v84, 16, v65
	v_lshlrev_b32_e32 v81, 16, v10
	v_and_b32_e32 v85, 0xffff, v64
	v_add_nc_u32_e32 v35, -7, v14
	v_cmp_eq_u32_e32 vcc_lo, v34, v32
	v_or_b32_e32 v0, v11, v83
	v_or_b32_e32 v10, v86, v96
	;; [unrolled: 1-line block ×4, first 2 shown]
	v_add_nc_u32_e32 v69, -6, v14
	v_add_nc_u32_e32 v68, -5, v14
	;; [unrolled: 1-line block ×6, first 2 shown]
	s_and_saveexec_b32 s12, vcc_lo
	s_cbranch_execz .LBB303_993
; %bb.992:                              ;   in Loop: Header=BB303_927 Depth=1
	v_cmp_lt_i32_e64 s0, v35, v30
	s_wait_alu 0xf1ff
	s_delay_alu instid0(VALU_DEP_1) | instskip(SKIP_2) | instid1(VALU_DEP_1)
	v_cndmask_b32_e64 v0, 0, v96, s0
	v_cmp_lt_i32_e64 s0, v69, v30
	s_wait_alu 0xf1ff
	v_cndmask_b32_e64 v10, 0, v86, s0
	v_cmp_lt_i32_e64 s0, v68, v30
	s_delay_alu instid0(VALU_DEP_2) | instskip(SKIP_1) | instid1(VALU_DEP_2)
	v_or_b32_e32 v10, v0, v10
	s_wait_alu 0xf1ff
	v_cndmask_b32_e64 v80, 0, v83, s0
	v_cmp_lt_i32_e64 s0, v67, v30
	s_wait_alu 0xf1ff
	s_delay_alu instid0(VALU_DEP_1) | instskip(SKIP_1) | instid1(VALU_DEP_2)
	v_cndmask_b32_e64 v11, 0, v11, s0
	v_cmp_lt_i32_e64 s0, v66, v30
	v_or_b32_e32 v0, v80, v11
	s_wait_alu 0xf1ff
	s_delay_alu instid0(VALU_DEP_2) | instskip(SKIP_2) | instid1(VALU_DEP_1)
	v_cndmask_b32_e64 v82, 0, v87, s0
	v_cmp_lt_i32_e64 s0, v65, v30
	s_wait_alu 0xf1ff
	v_cndmask_b32_e64 v83, 0, v84, s0
	v_cmp_lt_i32_e64 s0, v64, v30
	s_delay_alu instid0(VALU_DEP_2) | instskip(SKIP_1) | instid1(VALU_DEP_2)
	v_or_b32_e32 v80, v82, v83
	s_wait_alu 0xf1ff
	v_cndmask_b32_e64 v84, 0, v85, s0
	v_cmp_lt_i32_e64 s0, v14, v30
	s_wait_alu 0xf1ff
	s_delay_alu instid0(VALU_DEP_1) | instskip(NEXT) | instid1(VALU_DEP_1)
	v_cndmask_b32_e64 v81, 0, v81, s0
	v_or_b32_e32 v82, v84, v81
.LBB303_993:                            ;   in Loop: Header=BB303_927 Depth=1
	s_wait_alu 0xfffe
	s_or_b32 exec_lo, exec_lo, s12
	v_and_b32_e32 v11, 0xffff, v36
	v_and_b32_e32 v36, 0xffff, v54
	;; [unrolled: 1-line block ×4, first 2 shown]
	s_mov_b32 s12, exec_lo
	v_lshl_or_b32 v54, v37, 16, v11
	v_lshl_or_b32 v52, v52, 16, v36
	;;#ASMSTART
	v_pk_mul_f16 v10, v54, v10;

	;;#ASMEND
	;;#ASMSTART
	v_pk_mul_f16 v0, v52, v0;

	;;#ASMEND
	v_lshl_or_b32 v37, v53, 16, v70
	v_lshl_or_b32 v36, v55, 16, v71
	;;#ASMSTART
	v_pk_mul_f16 v11, v37, v80;

	;;#ASMEND
	;;#ASMSTART
	v_pk_mul_f16 v53, v36, v82;

	;;#ASMEND
	;;#ASMSTART
	v_pk_add_f16 v0, v10, v0;

	;;#ASMEND
	;;#ASMSTART
	v_pk_add_f16 v0, v0, v11;

	;;#ASMEND
	;;#ASMSTART
	v_pk_add_f16 v0, v0, v53;

	;;#ASMEND
	v_and_b32_e32 v10, 0xffff, v0
	v_lshrrev_b32_e32 v0, 16, v0
	;;#ASMSTART
	v_cvt_f32_f16 v53, v10;
	;;#ASMEND
	;;#ASMSTART
	v_cvt_f32_f16 v55, v0;
	;;#ASMEND
	flat_load_b64 v[10:11], v[8:9] offset:256
	flat_load_b32 v70, v[26:27]
	v_dual_mov_b32 v71, 0 :: v_dual_mov_b32 v80, 0
	s_wait_loadcnt_dscnt 0x101
	v_and_b32_e32 v0, 0xff, v10
	s_delay_alu instid0(VALU_DEP_1)
	v_cmpx_ne_u16_e32 0, v0
	s_cbranch_execz .LBB303_1001
; %bb.994:                              ;   in Loop: Header=BB303_927 Depth=1
	v_mov_b32_e32 v80, 0x8000
	s_mov_b32 s13, exec_lo
	v_cmpx_ne_u16_e32 0x80, v0
	s_cbranch_execz .LBB303_1000
; %bb.995:                              ;   in Loop: Header=BB303_927 Depth=1
	v_and_b32_e32 v81, 0x7f, v10
	v_mov_b32_e32 v80, 0x7c01
	s_mov_b32 s14, exec_lo
	s_delay_alu instid0(VALU_DEP_2)
	v_cmpx_ne_u32_e32 0x7f, v81
	s_cbranch_execz .LBB303_999
; %bb.996:                              ;   in Loop: Header=BB303_927 Depth=1
	v_and_b32_e32 v0, 7, v10
	v_lshrrev_b32_e32 v80, 3, v81
	s_mov_b32 s15, exec_lo
	v_cmpx_gt_u32_e32 8, v81
; %bb.997:                              ;   in Loop: Header=BB303_927 Depth=1
	s_delay_alu instid0(VALU_DEP_3) | instskip(NEXT) | instid1(VALU_DEP_1)
	v_clz_i32_u32_e32 v0, v0
	v_min_u32_e32 v0, 32, v0
	s_delay_alu instid0(VALU_DEP_1) | instskip(NEXT) | instid1(VALU_DEP_1)
	v_subrev_nc_u32_e32 v80, 28, v0
	v_lshlrev_b64_e32 v[81:82], v80, v[10:11]
	v_sub_nc_u32_e32 v80, 29, v0
	s_delay_alu instid0(VALU_DEP_2)
	v_and_b32_e32 v0, 7, v81
; %bb.998:                              ;   in Loop: Header=BB303_927 Depth=1
	s_wait_alu 0xfffe
	s_or_b32 exec_lo, exec_lo, s15
	v_lshlrev_b32_e32 v81, 8, v10
	v_lshl_add_u32 v80, v80, 10, 0x2000
	v_lshlrev_b32_e32 v0, 7, v0
	s_delay_alu instid0(VALU_DEP_3) | instskip(NEXT) | instid1(VALU_DEP_3)
	v_and_b32_e32 v81, 0x8000, v81
	v_and_b32_e32 v80, 0xfc00, v80
	s_delay_alu instid0(VALU_DEP_1)
	v_or3_b32 v80, v81, v80, v0
.LBB303_999:                            ;   in Loop: Header=BB303_927 Depth=1
	s_wait_alu 0xfffe
	s_or_b32 exec_lo, exec_lo, s14
.LBB303_1000:                           ;   in Loop: Header=BB303_927 Depth=1
	s_wait_alu 0xfffe
	s_or_b32 exec_lo, exec_lo, s13
.LBB303_1001:                           ;   in Loop: Header=BB303_927 Depth=1
	s_wait_alu 0xfffe
	s_or_b32 exec_lo, exec_lo, s12
	v_lshrrev_b16 v0, 8, v10
	s_mov_b32 s12, exec_lo
	s_delay_alu instid0(VALU_DEP_1)
	v_cmpx_ne_u16_e32 0, v0
	s_cbranch_execz .LBB303_1009
; %bb.1002:                             ;   in Loop: Header=BB303_927 Depth=1
	v_bfrev_b32_e32 v71, 1
	s_mov_b32 s13, exec_lo
	v_cmpx_ne_u16_e32 0x80, v0
	s_cbranch_execz .LBB303_1008
; %bb.1003:                             ;   in Loop: Header=BB303_927 Depth=1
	v_and_b32_e32 v81, 0xffff, v0
	v_mov_b32_e32 v71, 0x7c010000
	s_mov_b32 s14, exec_lo
	s_delay_alu instid0(VALU_DEP_2) | instskip(NEXT) | instid1(VALU_DEP_1)
	v_and_b32_e32 v83, 0x7f, v81
	v_cmpx_ne_u32_e32 0x7f, v83
	s_cbranch_execz .LBB303_1007
; %bb.1004:                             ;   in Loop: Header=BB303_927 Depth=1
	v_and_b32_e32 v71, 7, v81
	v_lshrrev_b32_e32 v82, 3, v83
	s_mov_b32 s15, exec_lo
	v_cmpx_gt_u32_e32 8, v83
; %bb.1005:                             ;   in Loop: Header=BB303_927 Depth=1
	s_delay_alu instid0(VALU_DEP_3) | instskip(NEXT) | instid1(VALU_DEP_1)
	v_clz_i32_u32_e32 v71, v71
	v_min_u32_e32 v71, 32, v71
	s_delay_alu instid0(VALU_DEP_1) | instskip(NEXT) | instid1(VALU_DEP_1)
	v_subrev_nc_u32_e32 v82, 28, v71
	v_lshlrev_b64_e32 v[83:84], v82, v[0:1]
	v_sub_nc_u32_e32 v82, 29, v71
	s_delay_alu instid0(VALU_DEP_2)
	v_and_b32_e32 v71, 7, v83
; %bb.1006:                             ;   in Loop: Header=BB303_927 Depth=1
	s_wait_alu 0xfffe
	s_or_b32 exec_lo, exec_lo, s15
	v_lshlrev_b32_e32 v0, 8, v81
	v_lshl_add_u32 v81, v82, 10, 0x2000
	v_lshlrev_b32_e32 v71, 23, v71
	s_delay_alu instid0(VALU_DEP_2) | instskip(NEXT) | instid1(VALU_DEP_1)
	v_and_or_b32 v0, 0x8000, v0, v81
	v_lshl_or_b32 v71, v0, 16, v71
.LBB303_1007:                           ;   in Loop: Header=BB303_927 Depth=1
	s_wait_alu 0xfffe
	s_or_b32 exec_lo, exec_lo, s14
.LBB303_1008:                           ;   in Loop: Header=BB303_927 Depth=1
	s_wait_alu 0xfffe
	s_or_b32 exec_lo, exec_lo, s13
.LBB303_1009:                           ;   in Loop: Header=BB303_927 Depth=1
	s_wait_alu 0xfffe
	s_or_b32 exec_lo, exec_lo, s12
	v_lshrrev_b32_e32 v0, 16, v10
	v_mov_b32_e32 v81, 0
	s_mov_b32 s12, exec_lo
	s_delay_alu instid0(VALU_DEP_2) | instskip(NEXT) | instid1(VALU_DEP_1)
	v_dual_mov_b32 v82, 0 :: v_dual_and_b32 v83, 0xff, v0
	v_cmpx_ne_u16_e32 0, v83
	s_cbranch_execz .LBB303_1017
; %bb.1010:                             ;   in Loop: Header=BB303_927 Depth=1
	v_mov_b32_e32 v82, 0x8000
	s_mov_b32 s13, exec_lo
	v_cmpx_ne_u16_e32 0x80, v83
	s_cbranch_execz .LBB303_1016
; %bb.1011:                             ;   in Loop: Header=BB303_927 Depth=1
	v_bfe_u32 v84, v10, 16, 7
	v_mov_b32_e32 v82, 0x7c01
	s_mov_b32 s14, exec_lo
	s_delay_alu instid0(VALU_DEP_2)
	v_cmpx_ne_u32_e32 0x7f, v84
	s_cbranch_execz .LBB303_1015
; %bb.1012:                             ;   in Loop: Header=BB303_927 Depth=1
	v_and_b32_e32 v82, 7, v0
	v_lshrrev_b32_e32 v83, 3, v84
	s_mov_b32 s15, exec_lo
	v_cmpx_gt_u32_e32 8, v84
; %bb.1013:                             ;   in Loop: Header=BB303_927 Depth=1
	s_delay_alu instid0(VALU_DEP_3) | instskip(NEXT) | instid1(VALU_DEP_1)
	v_clz_i32_u32_e32 v82, v82
	v_min_u32_e32 v84, 32, v82
	s_delay_alu instid0(VALU_DEP_1) | instskip(NEXT) | instid1(VALU_DEP_1)
	v_subrev_nc_u32_e32 v82, 28, v84
	v_lshlrev_b64_e32 v[82:83], v82, v[0:1]
	v_sub_nc_u32_e32 v83, 29, v84
	s_delay_alu instid0(VALU_DEP_2)
	v_and_b32_e32 v82, 7, v82
; %bb.1014:                             ;   in Loop: Header=BB303_927 Depth=1
	s_wait_alu 0xfffe
	s_or_b32 exec_lo, exec_lo, s15
	v_lshlrev_b32_e32 v0, 8, v0
	v_lshl_add_u32 v83, v83, 10, 0x2000
	v_lshlrev_b32_e32 v82, 7, v82
	s_delay_alu instid0(VALU_DEP_3) | instskip(NEXT) | instid1(VALU_DEP_3)
	v_and_b32_e32 v0, 0x8000, v0
	v_and_b32_e32 v83, 0xfc00, v83
	s_delay_alu instid0(VALU_DEP_1)
	v_or3_b32 v82, v0, v83, v82
.LBB303_1015:                           ;   in Loop: Header=BB303_927 Depth=1
	s_wait_alu 0xfffe
	s_or_b32 exec_lo, exec_lo, s14
.LBB303_1016:                           ;   in Loop: Header=BB303_927 Depth=1
	s_wait_alu 0xfffe
	s_or_b32 exec_lo, exec_lo, s13
.LBB303_1017:                           ;   in Loop: Header=BB303_927 Depth=1
	s_wait_alu 0xfffe
	s_or_b32 exec_lo, exec_lo, s12
	s_delay_alu instid0(SALU_CYCLE_1)
	s_mov_b32 s12, exec_lo
	v_cmpx_lt_u32_e32 0xffffff, v10
	s_cbranch_execz .LBB303_1025
; %bb.1018:                             ;   in Loop: Header=BB303_927 Depth=1
	v_lshrrev_b32_e32 v0, 24, v10
	v_bfrev_b32_e32 v81, 1
	s_mov_b32 s13, exec_lo
	s_delay_alu instid0(VALU_DEP_2)
	v_cmpx_ne_u32_e32 0x80, v0
	s_cbranch_execz .LBB303_1024
; %bb.1019:                             ;   in Loop: Header=BB303_927 Depth=1
	v_and_b32_e32 v84, 0x7f, v0
	v_mov_b32_e32 v81, 0x7c010000
	s_mov_b32 s14, exec_lo
	s_delay_alu instid0(VALU_DEP_2)
	v_cmpx_ne_u32_e32 0x7f, v84
	s_cbranch_execz .LBB303_1023
; %bb.1020:                             ;   in Loop: Header=BB303_927 Depth=1
	v_and_b32_e32 v81, 7, v0
	v_lshrrev_b32_e32 v83, 3, v84
	s_mov_b32 s15, exec_lo
	v_cmpx_gt_u32_e32 8, v84
; %bb.1021:                             ;   in Loop: Header=BB303_927 Depth=1
	s_delay_alu instid0(VALU_DEP_3) | instskip(NEXT) | instid1(VALU_DEP_1)
	v_clz_i32_u32_e32 v81, v81
	v_min_u32_e32 v81, 32, v81
	s_delay_alu instid0(VALU_DEP_1) | instskip(NEXT) | instid1(VALU_DEP_1)
	v_subrev_nc_u32_e32 v83, 28, v81
	v_lshlrev_b64_e32 v[84:85], v83, v[0:1]
	v_sub_nc_u32_e32 v83, 29, v81
	s_delay_alu instid0(VALU_DEP_2)
	v_and_b32_e32 v81, 7, v84
; %bb.1022:                             ;   in Loop: Header=BB303_927 Depth=1
	s_wait_alu 0xfffe
	s_or_b32 exec_lo, exec_lo, s15
	v_lshlrev_b32_e32 v0, 8, v0
	v_lshl_add_u32 v83, v83, 10, 0x2000
	v_lshlrev_b32_e32 v81, 23, v81
	s_delay_alu instid0(VALU_DEP_2) | instskip(NEXT) | instid1(VALU_DEP_1)
	v_and_or_b32 v0, 0x8000, v0, v83
	v_lshl_or_b32 v81, v0, 16, v81
.LBB303_1023:                           ;   in Loop: Header=BB303_927 Depth=1
	s_wait_alu 0xfffe
	s_or_b32 exec_lo, exec_lo, s14
.LBB303_1024:                           ;   in Loop: Header=BB303_927 Depth=1
	s_wait_alu 0xfffe
	s_or_b32 exec_lo, exec_lo, s13
.LBB303_1025:                           ;   in Loop: Header=BB303_927 Depth=1
	s_wait_alu 0xfffe
	s_or_b32 exec_lo, exec_lo, s12
	v_dual_mov_b32 v0, v11 :: v_dual_and_b32 v85, 0xff, v11
	v_dual_mov_b32 v83, 0 :: v_dual_mov_b32 v84, 0
	s_mov_b32 s12, exec_lo
	s_delay_alu instid0(VALU_DEP_2)
	v_cmpx_ne_u16_e32 0, v85
	s_cbranch_execz .LBB303_1033
; %bb.1026:                             ;   in Loop: Header=BB303_927 Depth=1
	v_mov_b32_e32 v84, 0x8000
	s_mov_b32 s13, exec_lo
	v_cmpx_ne_u16_e32 0x80, v85
	s_cbranch_execz .LBB303_1032
; %bb.1027:                             ;   in Loop: Header=BB303_927 Depth=1
	v_and_b32_e32 v86, 0x7f, v11
	v_mov_b32_e32 v84, 0x7c01
	s_mov_b32 s14, exec_lo
	s_delay_alu instid0(VALU_DEP_2)
	v_cmpx_ne_u32_e32 0x7f, v86
	s_cbranch_execz .LBB303_1031
; %bb.1028:                             ;   in Loop: Header=BB303_927 Depth=1
	v_and_b32_e32 v84, 7, v11
	v_lshrrev_b32_e32 v85, 3, v86
	s_mov_b32 s15, exec_lo
	v_cmpx_gt_u32_e32 8, v86
; %bb.1029:                             ;   in Loop: Header=BB303_927 Depth=1
	s_delay_alu instid0(VALU_DEP_3) | instskip(NEXT) | instid1(VALU_DEP_1)
	v_clz_i32_u32_e32 v84, v84
	v_min_u32_e32 v86, 32, v84
	s_delay_alu instid0(VALU_DEP_1) | instskip(NEXT) | instid1(VALU_DEP_1)
	v_subrev_nc_u32_e32 v84, 28, v86
	v_lshlrev_b64_e32 v[84:85], v84, v[0:1]
	v_sub_nc_u32_e32 v85, 29, v86
	s_delay_alu instid0(VALU_DEP_2)
	v_and_b32_e32 v84, 7, v84
; %bb.1030:                             ;   in Loop: Header=BB303_927 Depth=1
	s_wait_alu 0xfffe
	s_or_b32 exec_lo, exec_lo, s15
	v_lshlrev_b32_e32 v86, 8, v11
	v_lshl_add_u32 v85, v85, 10, 0x2000
	v_lshlrev_b32_e32 v84, 7, v84
	s_delay_alu instid0(VALU_DEP_3) | instskip(NEXT) | instid1(VALU_DEP_3)
	v_and_b32_e32 v86, 0x8000, v86
	v_and_b32_e32 v85, 0xfc00, v85
	s_delay_alu instid0(VALU_DEP_1)
	v_or3_b32 v84, v86, v85, v84
.LBB303_1031:                           ;   in Loop: Header=BB303_927 Depth=1
	s_wait_alu 0xfffe
	s_or_b32 exec_lo, exec_lo, s14
.LBB303_1032:                           ;   in Loop: Header=BB303_927 Depth=1
	s_wait_alu 0xfffe
	s_or_b32 exec_lo, exec_lo, s13
.LBB303_1033:                           ;   in Loop: Header=BB303_927 Depth=1
	s_wait_alu 0xfffe
	s_or_b32 exec_lo, exec_lo, s12
	v_lshrrev_b16 v0, 8, v0
	v_mov_b32_e32 v85, 0
	s_mov_b32 s12, exec_lo
	s_delay_alu instid0(VALU_DEP_2)
	v_cmpx_ne_u16_e32 0, v0
	s_cbranch_execz .LBB303_1041
; %bb.1034:                             ;   in Loop: Header=BB303_927 Depth=1
	v_bfrev_b32_e32 v85, 1
	s_mov_b32 s13, exec_lo
	v_cmpx_ne_u16_e32 0x80, v0
	s_cbranch_execz .LBB303_1040
; %bb.1035:                             ;   in Loop: Header=BB303_927 Depth=1
	v_and_b32_e32 v86, 0xffff, v0
	v_mov_b32_e32 v85, 0x7c010000
	s_mov_b32 s14, exec_lo
	s_delay_alu instid0(VALU_DEP_2) | instskip(NEXT) | instid1(VALU_DEP_1)
	v_and_b32_e32 v96, 0x7f, v86
	v_cmpx_ne_u32_e32 0x7f, v96
	s_cbranch_execz .LBB303_1039
; %bb.1036:                             ;   in Loop: Header=BB303_927 Depth=1
	v_and_b32_e32 v85, 7, v86
	v_lshrrev_b32_e32 v87, 3, v96
	s_mov_b32 s15, exec_lo
	v_cmpx_gt_u32_e32 8, v96
; %bb.1037:                             ;   in Loop: Header=BB303_927 Depth=1
	s_delay_alu instid0(VALU_DEP_3) | instskip(NEXT) | instid1(VALU_DEP_1)
	v_clz_i32_u32_e32 v85, v85
	v_min_u32_e32 v85, 32, v85
	s_delay_alu instid0(VALU_DEP_1) | instskip(NEXT) | instid1(VALU_DEP_1)
	v_subrev_nc_u32_e32 v87, 28, v85
	v_lshlrev_b64_e32 v[96:97], v87, v[0:1]
	v_sub_nc_u32_e32 v87, 29, v85
	s_delay_alu instid0(VALU_DEP_2)
	v_and_b32_e32 v85, 7, v96
; %bb.1038:                             ;   in Loop: Header=BB303_927 Depth=1
	s_wait_alu 0xfffe
	s_or_b32 exec_lo, exec_lo, s15
	v_lshlrev_b32_e32 v0, 8, v86
	v_lshl_add_u32 v86, v87, 10, 0x2000
	v_lshlrev_b32_e32 v85, 23, v85
	s_delay_alu instid0(VALU_DEP_2) | instskip(NEXT) | instid1(VALU_DEP_1)
	v_and_or_b32 v0, 0x8000, v0, v86
	v_lshl_or_b32 v85, v0, 16, v85
.LBB303_1039:                           ;   in Loop: Header=BB303_927 Depth=1
	s_wait_alu 0xfffe
	s_or_b32 exec_lo, exec_lo, s14
.LBB303_1040:                           ;   in Loop: Header=BB303_927 Depth=1
	s_wait_alu 0xfffe
	s_or_b32 exec_lo, exec_lo, s13
.LBB303_1041:                           ;   in Loop: Header=BB303_927 Depth=1
	s_wait_alu 0xfffe
	s_or_b32 exec_lo, exec_lo, s12
	v_lshrrev_b32_e32 v0, 16, v11
	s_mov_b32 s12, exec_lo
	s_delay_alu instid0(VALU_DEP_1) | instskip(NEXT) | instid1(VALU_DEP_1)
	v_and_b32_e32 v86, 0xff, v0
	v_cmpx_ne_u16_e32 0, v86
	s_cbranch_execz .LBB303_1049
; %bb.1042:                             ;   in Loop: Header=BB303_927 Depth=1
	v_mov_b32_e32 v83, 0x8000
	s_mov_b32 s13, exec_lo
	v_cmpx_ne_u16_e32 0x80, v86
	s_cbranch_execz .LBB303_1048
; %bb.1043:                             ;   in Loop: Header=BB303_927 Depth=1
	v_bfe_u32 v87, v11, 16, 7
	v_mov_b32_e32 v83, 0x7c01
	s_mov_b32 s14, exec_lo
	s_delay_alu instid0(VALU_DEP_2)
	v_cmpx_ne_u32_e32 0x7f, v87
	s_cbranch_execz .LBB303_1047
; %bb.1044:                             ;   in Loop: Header=BB303_927 Depth=1
	v_and_b32_e32 v83, 7, v0
	v_lshrrev_b32_e32 v86, 3, v87
	s_mov_b32 s15, exec_lo
	v_cmpx_gt_u32_e32 8, v87
; %bb.1045:                             ;   in Loop: Header=BB303_927 Depth=1
	s_delay_alu instid0(VALU_DEP_3) | instskip(NEXT) | instid1(VALU_DEP_1)
	v_clz_i32_u32_e32 v83, v83
	v_min_u32_e32 v83, 32, v83
	s_delay_alu instid0(VALU_DEP_1) | instskip(NEXT) | instid1(VALU_DEP_1)
	v_subrev_nc_u32_e32 v86, 28, v83
	v_lshlrev_b64_e32 v[96:97], v86, v[0:1]
	v_sub_nc_u32_e32 v86, 29, v83
	s_delay_alu instid0(VALU_DEP_2)
	v_and_b32_e32 v83, 7, v96
; %bb.1046:                             ;   in Loop: Header=BB303_927 Depth=1
	s_wait_alu 0xfffe
	s_or_b32 exec_lo, exec_lo, s15
	v_lshlrev_b32_e32 v0, 8, v0
	v_lshl_add_u32 v86, v86, 10, 0x2000
	v_lshlrev_b32_e32 v83, 7, v83
	s_delay_alu instid0(VALU_DEP_3) | instskip(NEXT) | instid1(VALU_DEP_3)
	v_and_b32_e32 v0, 0x8000, v0
	v_and_b32_e32 v86, 0xfc00, v86
	s_delay_alu instid0(VALU_DEP_1)
	v_or3_b32 v83, v0, v86, v83
.LBB303_1047:                           ;   in Loop: Header=BB303_927 Depth=1
	s_wait_alu 0xfffe
	s_or_b32 exec_lo, exec_lo, s14
.LBB303_1048:                           ;   in Loop: Header=BB303_927 Depth=1
	s_wait_alu 0xfffe
	s_or_b32 exec_lo, exec_lo, s13
.LBB303_1049:                           ;   in Loop: Header=BB303_927 Depth=1
	s_wait_alu 0xfffe
	s_or_b32 exec_lo, exec_lo, s12
	v_cmp_lt_u64_e64 s0, s[8:9], v[10:11]
	v_mov_b32_e32 v10, 0
	s_and_saveexec_b32 s12, s0
	s_cbranch_execz .LBB303_1057
; %bb.1050:                             ;   in Loop: Header=BB303_927 Depth=1
	v_lshrrev_b32_e32 v0, 24, v11
	v_bfrev_b32_e32 v10, 1
	s_mov_b32 s13, exec_lo
	s_delay_alu instid0(VALU_DEP_2)
	v_cmpx_ne_u32_e32 0x80, v0
	s_cbranch_execz .LBB303_1056
; %bb.1051:                             ;   in Loop: Header=BB303_927 Depth=1
	v_and_b32_e32 v86, 0x7f, v0
	v_mov_b32_e32 v10, 0x7c010000
	s_mov_b32 s14, exec_lo
	s_delay_alu instid0(VALU_DEP_2)
	v_cmpx_ne_u32_e32 0x7f, v86
	s_cbranch_execz .LBB303_1055
; %bb.1052:                             ;   in Loop: Header=BB303_927 Depth=1
	v_and_b32_e32 v10, 7, v0
	v_lshrrev_b32_e32 v11, 3, v86
	s_mov_b32 s15, exec_lo
	v_cmpx_gt_u32_e32 8, v86
; %bb.1053:                             ;   in Loop: Header=BB303_927 Depth=1
	s_delay_alu instid0(VALU_DEP_3) | instskip(NEXT) | instid1(VALU_DEP_1)
	v_clz_i32_u32_e32 v10, v10
	v_min_u32_e32 v86, 32, v10
	s_delay_alu instid0(VALU_DEP_1) | instskip(NEXT) | instid1(VALU_DEP_1)
	v_subrev_nc_u32_e32 v10, 28, v86
	v_lshlrev_b64_e32 v[10:11], v10, v[0:1]
	v_sub_nc_u32_e32 v11, 29, v86
	s_delay_alu instid0(VALU_DEP_2)
	v_and_b32_e32 v10, 7, v10
; %bb.1054:                             ;   in Loop: Header=BB303_927 Depth=1
	s_wait_alu 0xfffe
	s_or_b32 exec_lo, exec_lo, s15
	v_lshlrev_b32_e32 v0, 8, v0
	v_lshl_add_u32 v11, v11, 10, 0x2000
	v_lshlrev_b32_e32 v10, 23, v10
	s_delay_alu instid0(VALU_DEP_2) | instskip(NEXT) | instid1(VALU_DEP_1)
	v_and_or_b32 v0, 0x8000, v0, v11
	v_lshl_or_b32 v10, v0, 16, v10
.LBB303_1055:                           ;   in Loop: Header=BB303_927 Depth=1
	s_wait_alu 0xfffe
	s_or_b32 exec_lo, exec_lo, s14
.LBB303_1056:                           ;   in Loop: Header=BB303_927 Depth=1
	s_wait_alu 0xfffe
	s_or_b32 exec_lo, exec_lo, s13
.LBB303_1057:                           ;   in Loop: Header=BB303_927 Depth=1
	s_wait_alu 0xfffe
	s_or_b32 exec_lo, exec_lo, s12
	v_or_b32_e32 v0, v81, v82
	s_wait_loadcnt_dscnt 0x0
	v_fma_mixlo_f16 v11, v70, v81, 0 op_sel:[0,1,0] op_sel_hi:[0,1,0]
	v_or_b32_e32 v81, v71, v80
	v_fma_mixlo_f16 v71, v70, v71, 0 op_sel:[0,1,0] op_sel_hi:[0,1,0]
	v_or_b32_e32 v82, v85, v84
	v_or_b32_e32 v83, v10, v83
	v_fma_mixlo_f16 v84, v70, v0, 0 op_sel_hi:[0,1,0]
	v_fma_mixlo_f16 v10, v70, v10, 0 op_sel:[0,1,0] op_sel_hi:[0,1,0]
	v_lshlrev_b32_e32 v80, 16, v71
	v_fma_mixlo_f16 v71, v70, v81, 0 op_sel_hi:[0,1,0]
	v_fma_mixlo_f16 v81, v70, v85, 0 op_sel:[0,1,0] op_sel_hi:[0,1,0]
	v_fma_mixlo_f16 v82, v70, v82, 0 op_sel_hi:[0,1,0]
	v_fma_mixlo_f16 v83, v70, v83, 0 op_sel_hi:[0,1,0]
	v_lshlrev_b32_e32 v0, 16, v11
	v_and_b32_e32 v11, 0xffff, v84
	v_and_b32_e32 v86, 0xffff, v71
	v_lshlrev_b32_e32 v70, 16, v81
	v_and_b32_e32 v82, 0xffff, v82
	v_lshlrev_b32_e32 v10, 16, v10
	v_and_b32_e32 v71, 0xffff, v83
	v_or_b32_e32 v81, v0, v11
	v_or_b32_e32 v85, v80, v86
	;; [unrolled: 1-line block ×3, first 2 shown]
	s_delay_alu instid0(VALU_DEP_4)
	v_or_b32_e32 v83, v10, v71
	s_and_saveexec_b32 s12, vcc_lo
	s_cbranch_execz .LBB303_1059
; %bb.1058:                             ;   in Loop: Header=BB303_927 Depth=1
	v_cmp_lt_i32_e64 s0, v35, v30
	s_wait_alu 0xf1ff
	s_delay_alu instid0(VALU_DEP_1) | instskip(SKIP_2) | instid1(VALU_DEP_1)
	v_cndmask_b32_e64 v81, 0, v86, s0
	v_cmp_lt_i32_e64 s0, v69, v30
	s_wait_alu 0xf1ff
	v_cndmask_b32_e64 v80, 0, v80, s0
	v_cmp_lt_i32_e64 s0, v68, v30
	s_delay_alu instid0(VALU_DEP_2) | instskip(SKIP_1) | instid1(VALU_DEP_2)
	v_or_b32_e32 v85, v81, v80
	s_wait_alu 0xf1ff
	v_cndmask_b32_e64 v11, 0, v11, s0
	v_cmp_lt_i32_e64 s0, v67, v30
	s_wait_alu 0xf1ff
	s_delay_alu instid0(VALU_DEP_1) | instskip(SKIP_1) | instid1(VALU_DEP_2)
	v_cndmask_b32_e64 v0, 0, v0, s0
	v_cmp_lt_i32_e64 s0, v66, v30
	v_or_b32_e32 v81, v11, v0
	s_wait_alu 0xf1ff
	s_delay_alu instid0(VALU_DEP_2) | instskip(SKIP_2) | instid1(VALU_DEP_1)
	v_cndmask_b32_e64 v82, 0, v82, s0
	v_cmp_lt_i32_e64 s0, v65, v30
	s_wait_alu 0xf1ff
	v_cndmask_b32_e64 v70, 0, v70, s0
	v_cmp_lt_i32_e64 s0, v64, v30
	s_delay_alu instid0(VALU_DEP_2) | instskip(SKIP_1) | instid1(VALU_DEP_2)
	v_or_b32_e32 v84, v82, v70
	s_wait_alu 0xf1ff
	v_cndmask_b32_e64 v71, 0, v71, s0
	v_cmp_lt_i32_e64 s0, v14, v30
	s_wait_alu 0xf1ff
	s_delay_alu instid0(VALU_DEP_1) | instskip(NEXT) | instid1(VALU_DEP_1)
	v_cndmask_b32_e64 v10, 0, v10, s0
	v_or_b32_e32 v83, v71, v10
.LBB303_1059:                           ;   in Loop: Header=BB303_927 Depth=1
	s_wait_alu 0xfffe
	s_or_b32 exec_lo, exec_lo, s12
	;;#ASMSTART
	v_pk_mul_f16 v0, v54, v85;

	;;#ASMEND
	;;#ASMSTART
	v_pk_mul_f16 v10, v52, v81;

	;;#ASMEND
	;; [unrolled: 4-line block ×4, first 2 shown]
	;;#ASMSTART
	v_pk_add_f16 v0, v0, v10;

	;;#ASMEND
	;;#ASMSTART
	v_pk_add_f16 v0, v0, v11;

	;;#ASMEND
	;; [unrolled: 4-line block ×3, first 2 shown]
	v_dual_mov_b32 v81, 0 :: v_dual_and_b32 v10, 0xffff, v0
	v_lshrrev_b32_e32 v0, 16, v0
	;;#ASMSTART
	v_cvt_f32_f16 v70, v10;
	;;#ASMEND
	;;#ASMSTART
	v_cvt_f32_f16 v71, v0;
	;;#ASMEND
	flat_load_b64 v[10:11], v[8:9] offset:512
	flat_load_b32 v80, v[26:27]
	v_mov_b32_e32 v82, 0
	s_mov_b32 s12, exec_lo
	s_wait_loadcnt_dscnt 0x101
	v_and_b32_e32 v0, 0xff, v10
	s_delay_alu instid0(VALU_DEP_1)
	v_cmpx_ne_u16_e32 0, v0
	s_cbranch_execz .LBB303_1067
; %bb.1060:                             ;   in Loop: Header=BB303_927 Depth=1
	v_mov_b32_e32 v82, 0x8000
	s_mov_b32 s13, exec_lo
	v_cmpx_ne_u16_e32 0x80, v0
	s_cbranch_execz .LBB303_1066
; %bb.1061:                             ;   in Loop: Header=BB303_927 Depth=1
	v_and_b32_e32 v83, 0x7f, v10
	v_mov_b32_e32 v82, 0x7c01
	s_mov_b32 s14, exec_lo
	s_delay_alu instid0(VALU_DEP_2)
	v_cmpx_ne_u32_e32 0x7f, v83
	s_cbranch_execz .LBB303_1065
; %bb.1062:                             ;   in Loop: Header=BB303_927 Depth=1
	v_and_b32_e32 v0, 7, v10
	v_lshrrev_b32_e32 v82, 3, v83
	s_mov_b32 s15, exec_lo
	v_cmpx_gt_u32_e32 8, v83
; %bb.1063:                             ;   in Loop: Header=BB303_927 Depth=1
	s_delay_alu instid0(VALU_DEP_3) | instskip(NEXT) | instid1(VALU_DEP_1)
	v_clz_i32_u32_e32 v0, v0
	v_min_u32_e32 v0, 32, v0
	s_delay_alu instid0(VALU_DEP_1) | instskip(NEXT) | instid1(VALU_DEP_1)
	v_subrev_nc_u32_e32 v82, 28, v0
	v_lshlrev_b64_e32 v[83:84], v82, v[10:11]
	v_sub_nc_u32_e32 v82, 29, v0
	s_delay_alu instid0(VALU_DEP_2)
	v_and_b32_e32 v0, 7, v83
; %bb.1064:                             ;   in Loop: Header=BB303_927 Depth=1
	s_wait_alu 0xfffe
	s_or_b32 exec_lo, exec_lo, s15
	v_lshlrev_b32_e32 v83, 8, v10
	v_lshl_add_u32 v82, v82, 10, 0x2000
	v_lshlrev_b32_e32 v0, 7, v0
	s_delay_alu instid0(VALU_DEP_3) | instskip(NEXT) | instid1(VALU_DEP_3)
	v_and_b32_e32 v83, 0x8000, v83
	v_and_b32_e32 v82, 0xfc00, v82
	s_delay_alu instid0(VALU_DEP_1)
	v_or3_b32 v82, v83, v82, v0
.LBB303_1065:                           ;   in Loop: Header=BB303_927 Depth=1
	s_wait_alu 0xfffe
	s_or_b32 exec_lo, exec_lo, s14
.LBB303_1066:                           ;   in Loop: Header=BB303_927 Depth=1
	s_wait_alu 0xfffe
	s_or_b32 exec_lo, exec_lo, s13
.LBB303_1067:                           ;   in Loop: Header=BB303_927 Depth=1
	s_wait_alu 0xfffe
	s_or_b32 exec_lo, exec_lo, s12
	v_lshrrev_b16 v0, 8, v10
	s_mov_b32 s12, exec_lo
	s_delay_alu instid0(VALU_DEP_1)
	v_cmpx_ne_u16_e32 0, v0
	s_cbranch_execz .LBB303_1075
; %bb.1068:                             ;   in Loop: Header=BB303_927 Depth=1
	v_bfrev_b32_e32 v81, 1
	s_mov_b32 s13, exec_lo
	v_cmpx_ne_u16_e32 0x80, v0
	s_cbranch_execz .LBB303_1074
; %bb.1069:                             ;   in Loop: Header=BB303_927 Depth=1
	v_and_b32_e32 v83, 0xffff, v0
	v_mov_b32_e32 v81, 0x7c010000
	s_mov_b32 s14, exec_lo
	s_delay_alu instid0(VALU_DEP_2) | instskip(NEXT) | instid1(VALU_DEP_1)
	v_and_b32_e32 v85, 0x7f, v83
	v_cmpx_ne_u32_e32 0x7f, v85
	s_cbranch_execz .LBB303_1073
; %bb.1070:                             ;   in Loop: Header=BB303_927 Depth=1
	v_and_b32_e32 v81, 7, v83
	v_lshrrev_b32_e32 v84, 3, v85
	s_mov_b32 s15, exec_lo
	v_cmpx_gt_u32_e32 8, v85
; %bb.1071:                             ;   in Loop: Header=BB303_927 Depth=1
	s_delay_alu instid0(VALU_DEP_3) | instskip(NEXT) | instid1(VALU_DEP_1)
	v_clz_i32_u32_e32 v81, v81
	v_min_u32_e32 v81, 32, v81
	s_delay_alu instid0(VALU_DEP_1) | instskip(NEXT) | instid1(VALU_DEP_1)
	v_subrev_nc_u32_e32 v84, 28, v81
	v_lshlrev_b64_e32 v[85:86], v84, v[0:1]
	v_sub_nc_u32_e32 v84, 29, v81
	s_delay_alu instid0(VALU_DEP_2)
	v_and_b32_e32 v81, 7, v85
; %bb.1072:                             ;   in Loop: Header=BB303_927 Depth=1
	s_wait_alu 0xfffe
	s_or_b32 exec_lo, exec_lo, s15
	v_lshlrev_b32_e32 v0, 8, v83
	v_lshl_add_u32 v83, v84, 10, 0x2000
	v_lshlrev_b32_e32 v81, 23, v81
	s_delay_alu instid0(VALU_DEP_2) | instskip(NEXT) | instid1(VALU_DEP_1)
	v_and_or_b32 v0, 0x8000, v0, v83
	v_lshl_or_b32 v81, v0, 16, v81
.LBB303_1073:                           ;   in Loop: Header=BB303_927 Depth=1
	s_wait_alu 0xfffe
	s_or_b32 exec_lo, exec_lo, s14
.LBB303_1074:                           ;   in Loop: Header=BB303_927 Depth=1
	s_wait_alu 0xfffe
	s_or_b32 exec_lo, exec_lo, s13
.LBB303_1075:                           ;   in Loop: Header=BB303_927 Depth=1
	s_wait_alu 0xfffe
	s_or_b32 exec_lo, exec_lo, s12
	v_lshrrev_b32_e32 v0, 16, v10
	v_mov_b32_e32 v83, 0
	s_mov_b32 s12, exec_lo
	s_delay_alu instid0(VALU_DEP_2) | instskip(NEXT) | instid1(VALU_DEP_1)
	v_dual_mov_b32 v84, 0 :: v_dual_and_b32 v85, 0xff, v0
	v_cmpx_ne_u16_e32 0, v85
	s_cbranch_execz .LBB303_1083
; %bb.1076:                             ;   in Loop: Header=BB303_927 Depth=1
	v_mov_b32_e32 v84, 0x8000
	s_mov_b32 s13, exec_lo
	v_cmpx_ne_u16_e32 0x80, v85
	s_cbranch_execz .LBB303_1082
; %bb.1077:                             ;   in Loop: Header=BB303_927 Depth=1
	v_bfe_u32 v86, v10, 16, 7
	v_mov_b32_e32 v84, 0x7c01
	s_mov_b32 s14, exec_lo
	s_delay_alu instid0(VALU_DEP_2)
	v_cmpx_ne_u32_e32 0x7f, v86
	s_cbranch_execz .LBB303_1081
; %bb.1078:                             ;   in Loop: Header=BB303_927 Depth=1
	v_and_b32_e32 v84, 7, v0
	v_lshrrev_b32_e32 v85, 3, v86
	s_mov_b32 s15, exec_lo
	v_cmpx_gt_u32_e32 8, v86
; %bb.1079:                             ;   in Loop: Header=BB303_927 Depth=1
	s_delay_alu instid0(VALU_DEP_3) | instskip(NEXT) | instid1(VALU_DEP_1)
	v_clz_i32_u32_e32 v84, v84
	v_min_u32_e32 v86, 32, v84
	s_delay_alu instid0(VALU_DEP_1) | instskip(NEXT) | instid1(VALU_DEP_1)
	v_subrev_nc_u32_e32 v84, 28, v86
	v_lshlrev_b64_e32 v[84:85], v84, v[0:1]
	v_sub_nc_u32_e32 v85, 29, v86
	s_delay_alu instid0(VALU_DEP_2)
	v_and_b32_e32 v84, 7, v84
; %bb.1080:                             ;   in Loop: Header=BB303_927 Depth=1
	s_wait_alu 0xfffe
	s_or_b32 exec_lo, exec_lo, s15
	v_lshlrev_b32_e32 v0, 8, v0
	v_lshl_add_u32 v85, v85, 10, 0x2000
	v_lshlrev_b32_e32 v84, 7, v84
	s_delay_alu instid0(VALU_DEP_3) | instskip(NEXT) | instid1(VALU_DEP_3)
	v_and_b32_e32 v0, 0x8000, v0
	v_and_b32_e32 v85, 0xfc00, v85
	s_delay_alu instid0(VALU_DEP_1)
	v_or3_b32 v84, v0, v85, v84
.LBB303_1081:                           ;   in Loop: Header=BB303_927 Depth=1
	s_wait_alu 0xfffe
	s_or_b32 exec_lo, exec_lo, s14
.LBB303_1082:                           ;   in Loop: Header=BB303_927 Depth=1
	s_wait_alu 0xfffe
	s_or_b32 exec_lo, exec_lo, s13
.LBB303_1083:                           ;   in Loop: Header=BB303_927 Depth=1
	s_wait_alu 0xfffe
	s_or_b32 exec_lo, exec_lo, s12
	s_delay_alu instid0(SALU_CYCLE_1)
	s_mov_b32 s12, exec_lo
	v_cmpx_lt_u32_e32 0xffffff, v10
	s_cbranch_execz .LBB303_1091
; %bb.1084:                             ;   in Loop: Header=BB303_927 Depth=1
	v_lshrrev_b32_e32 v0, 24, v10
	v_bfrev_b32_e32 v83, 1
	s_mov_b32 s13, exec_lo
	s_delay_alu instid0(VALU_DEP_2)
	v_cmpx_ne_u32_e32 0x80, v0
	s_cbranch_execz .LBB303_1090
; %bb.1085:                             ;   in Loop: Header=BB303_927 Depth=1
	v_and_b32_e32 v86, 0x7f, v0
	v_mov_b32_e32 v83, 0x7c010000
	s_mov_b32 s14, exec_lo
	s_delay_alu instid0(VALU_DEP_2)
	v_cmpx_ne_u32_e32 0x7f, v86
	s_cbranch_execz .LBB303_1089
; %bb.1086:                             ;   in Loop: Header=BB303_927 Depth=1
	v_and_b32_e32 v83, 7, v0
	v_lshrrev_b32_e32 v85, 3, v86
	s_mov_b32 s15, exec_lo
	v_cmpx_gt_u32_e32 8, v86
; %bb.1087:                             ;   in Loop: Header=BB303_927 Depth=1
	s_delay_alu instid0(VALU_DEP_3) | instskip(NEXT) | instid1(VALU_DEP_1)
	v_clz_i32_u32_e32 v83, v83
	v_min_u32_e32 v83, 32, v83
	s_delay_alu instid0(VALU_DEP_1) | instskip(NEXT) | instid1(VALU_DEP_1)
	v_subrev_nc_u32_e32 v85, 28, v83
	v_lshlrev_b64_e32 v[86:87], v85, v[0:1]
	v_sub_nc_u32_e32 v85, 29, v83
	s_delay_alu instid0(VALU_DEP_2)
	v_and_b32_e32 v83, 7, v86
; %bb.1088:                             ;   in Loop: Header=BB303_927 Depth=1
	s_wait_alu 0xfffe
	s_or_b32 exec_lo, exec_lo, s15
	v_lshlrev_b32_e32 v0, 8, v0
	v_lshl_add_u32 v85, v85, 10, 0x2000
	v_lshlrev_b32_e32 v83, 23, v83
	s_delay_alu instid0(VALU_DEP_2) | instskip(NEXT) | instid1(VALU_DEP_1)
	v_and_or_b32 v0, 0x8000, v0, v85
	v_lshl_or_b32 v83, v0, 16, v83
.LBB303_1089:                           ;   in Loop: Header=BB303_927 Depth=1
	s_wait_alu 0xfffe
	s_or_b32 exec_lo, exec_lo, s14
.LBB303_1090:                           ;   in Loop: Header=BB303_927 Depth=1
	s_wait_alu 0xfffe
	s_or_b32 exec_lo, exec_lo, s13
.LBB303_1091:                           ;   in Loop: Header=BB303_927 Depth=1
	s_wait_alu 0xfffe
	s_or_b32 exec_lo, exec_lo, s12
	v_dual_mov_b32 v0, v11 :: v_dual_and_b32 v87, 0xff, v11
	v_dual_mov_b32 v85, 0 :: v_dual_mov_b32 v86, 0
	s_mov_b32 s12, exec_lo
	s_delay_alu instid0(VALU_DEP_2)
	v_cmpx_ne_u16_e32 0, v87
	s_cbranch_execz .LBB303_1099
; %bb.1092:                             ;   in Loop: Header=BB303_927 Depth=1
	v_mov_b32_e32 v86, 0x8000
	s_mov_b32 s13, exec_lo
	v_cmpx_ne_u16_e32 0x80, v87
	s_cbranch_execz .LBB303_1098
; %bb.1093:                             ;   in Loop: Header=BB303_927 Depth=1
	v_and_b32_e32 v96, 0x7f, v11
	v_mov_b32_e32 v86, 0x7c01
	s_mov_b32 s14, exec_lo
	s_delay_alu instid0(VALU_DEP_2)
	v_cmpx_ne_u32_e32 0x7f, v96
	s_cbranch_execz .LBB303_1097
; %bb.1094:                             ;   in Loop: Header=BB303_927 Depth=1
	v_and_b32_e32 v86, 7, v11
	v_lshrrev_b32_e32 v87, 3, v96
	s_mov_b32 s15, exec_lo
	v_cmpx_gt_u32_e32 8, v96
; %bb.1095:                             ;   in Loop: Header=BB303_927 Depth=1
	s_delay_alu instid0(VALU_DEP_3) | instskip(NEXT) | instid1(VALU_DEP_1)
	v_clz_i32_u32_e32 v86, v86
	v_min_u32_e32 v96, 32, v86
	s_delay_alu instid0(VALU_DEP_1) | instskip(NEXT) | instid1(VALU_DEP_1)
	v_subrev_nc_u32_e32 v86, 28, v96
	v_lshlrev_b64_e32 v[86:87], v86, v[0:1]
	v_sub_nc_u32_e32 v87, 29, v96
	s_delay_alu instid0(VALU_DEP_2)
	v_and_b32_e32 v86, 7, v86
; %bb.1096:                             ;   in Loop: Header=BB303_927 Depth=1
	s_wait_alu 0xfffe
	s_or_b32 exec_lo, exec_lo, s15
	v_lshlrev_b32_e32 v96, 8, v11
	v_lshl_add_u32 v87, v87, 10, 0x2000
	v_lshlrev_b32_e32 v86, 7, v86
	s_delay_alu instid0(VALU_DEP_3) | instskip(NEXT) | instid1(VALU_DEP_3)
	v_and_b32_e32 v96, 0x8000, v96
	v_and_b32_e32 v87, 0xfc00, v87
	s_delay_alu instid0(VALU_DEP_1)
	v_or3_b32 v86, v96, v87, v86
.LBB303_1097:                           ;   in Loop: Header=BB303_927 Depth=1
	s_wait_alu 0xfffe
	s_or_b32 exec_lo, exec_lo, s14
.LBB303_1098:                           ;   in Loop: Header=BB303_927 Depth=1
	s_wait_alu 0xfffe
	s_or_b32 exec_lo, exec_lo, s13
.LBB303_1099:                           ;   in Loop: Header=BB303_927 Depth=1
	s_wait_alu 0xfffe
	s_or_b32 exec_lo, exec_lo, s12
	v_lshrrev_b16 v0, 8, v0
	v_mov_b32_e32 v87, 0
	s_mov_b32 s12, exec_lo
	s_delay_alu instid0(VALU_DEP_2)
	v_cmpx_ne_u16_e32 0, v0
	s_cbranch_execz .LBB303_1107
; %bb.1100:                             ;   in Loop: Header=BB303_927 Depth=1
	v_bfrev_b32_e32 v87, 1
	s_mov_b32 s13, exec_lo
	v_cmpx_ne_u16_e32 0x80, v0
	s_cbranch_execz .LBB303_1106
; %bb.1101:                             ;   in Loop: Header=BB303_927 Depth=1
	v_and_b32_e32 v96, 0xffff, v0
	v_mov_b32_e32 v87, 0x7c010000
	s_mov_b32 s14, exec_lo
	s_delay_alu instid0(VALU_DEP_2) | instskip(NEXT) | instid1(VALU_DEP_1)
	v_and_b32_e32 v98, 0x7f, v96
	v_cmpx_ne_u32_e32 0x7f, v98
	s_cbranch_execz .LBB303_1105
; %bb.1102:                             ;   in Loop: Header=BB303_927 Depth=1
	v_and_b32_e32 v87, 7, v96
	v_lshrrev_b32_e32 v97, 3, v98
	s_mov_b32 s15, exec_lo
	v_cmpx_gt_u32_e32 8, v98
; %bb.1103:                             ;   in Loop: Header=BB303_927 Depth=1
	s_delay_alu instid0(VALU_DEP_3) | instskip(NEXT) | instid1(VALU_DEP_1)
	v_clz_i32_u32_e32 v87, v87
	v_min_u32_e32 v87, 32, v87
	s_delay_alu instid0(VALU_DEP_1) | instskip(NEXT) | instid1(VALU_DEP_1)
	v_subrev_nc_u32_e32 v97, 28, v87
	v_lshlrev_b64_e32 v[98:99], v97, v[0:1]
	v_sub_nc_u32_e32 v97, 29, v87
	s_delay_alu instid0(VALU_DEP_2)
	v_and_b32_e32 v87, 7, v98
; %bb.1104:                             ;   in Loop: Header=BB303_927 Depth=1
	s_wait_alu 0xfffe
	s_or_b32 exec_lo, exec_lo, s15
	v_lshlrev_b32_e32 v0, 8, v96
	v_lshl_add_u32 v96, v97, 10, 0x2000
	v_lshlrev_b32_e32 v87, 23, v87
	s_delay_alu instid0(VALU_DEP_2) | instskip(NEXT) | instid1(VALU_DEP_1)
	v_and_or_b32 v0, 0x8000, v0, v96
	v_lshl_or_b32 v87, v0, 16, v87
.LBB303_1105:                           ;   in Loop: Header=BB303_927 Depth=1
	s_wait_alu 0xfffe
	s_or_b32 exec_lo, exec_lo, s14
.LBB303_1106:                           ;   in Loop: Header=BB303_927 Depth=1
	s_wait_alu 0xfffe
	s_or_b32 exec_lo, exec_lo, s13
.LBB303_1107:                           ;   in Loop: Header=BB303_927 Depth=1
	s_wait_alu 0xfffe
	s_or_b32 exec_lo, exec_lo, s12
	v_lshrrev_b32_e32 v0, 16, v11
	s_mov_b32 s12, exec_lo
	s_delay_alu instid0(VALU_DEP_1) | instskip(NEXT) | instid1(VALU_DEP_1)
	v_and_b32_e32 v96, 0xff, v0
	v_cmpx_ne_u16_e32 0, v96
	s_cbranch_execz .LBB303_1115
; %bb.1108:                             ;   in Loop: Header=BB303_927 Depth=1
	v_mov_b32_e32 v85, 0x8000
	s_mov_b32 s13, exec_lo
	v_cmpx_ne_u16_e32 0x80, v96
	s_cbranch_execz .LBB303_1114
; %bb.1109:                             ;   in Loop: Header=BB303_927 Depth=1
	v_bfe_u32 v97, v11, 16, 7
	v_mov_b32_e32 v85, 0x7c01
	s_mov_b32 s14, exec_lo
	s_delay_alu instid0(VALU_DEP_2)
	v_cmpx_ne_u32_e32 0x7f, v97
	s_cbranch_execz .LBB303_1113
; %bb.1110:                             ;   in Loop: Header=BB303_927 Depth=1
	v_and_b32_e32 v85, 7, v0
	v_lshrrev_b32_e32 v96, 3, v97
	s_mov_b32 s15, exec_lo
	v_cmpx_gt_u32_e32 8, v97
; %bb.1111:                             ;   in Loop: Header=BB303_927 Depth=1
	s_delay_alu instid0(VALU_DEP_3) | instskip(NEXT) | instid1(VALU_DEP_1)
	v_clz_i32_u32_e32 v85, v85
	v_min_u32_e32 v85, 32, v85
	s_delay_alu instid0(VALU_DEP_1) | instskip(NEXT) | instid1(VALU_DEP_1)
	v_subrev_nc_u32_e32 v96, 28, v85
	v_lshlrev_b64_e32 v[97:98], v96, v[0:1]
	v_sub_nc_u32_e32 v96, 29, v85
	s_delay_alu instid0(VALU_DEP_2)
	v_and_b32_e32 v85, 7, v97
; %bb.1112:                             ;   in Loop: Header=BB303_927 Depth=1
	s_wait_alu 0xfffe
	s_or_b32 exec_lo, exec_lo, s15
	v_lshlrev_b32_e32 v0, 8, v0
	v_lshl_add_u32 v96, v96, 10, 0x2000
	v_lshlrev_b32_e32 v85, 7, v85
	s_delay_alu instid0(VALU_DEP_3) | instskip(NEXT) | instid1(VALU_DEP_3)
	v_and_b32_e32 v0, 0x8000, v0
	v_and_b32_e32 v96, 0xfc00, v96
	s_delay_alu instid0(VALU_DEP_1)
	v_or3_b32 v85, v0, v96, v85
.LBB303_1113:                           ;   in Loop: Header=BB303_927 Depth=1
	s_wait_alu 0xfffe
	s_or_b32 exec_lo, exec_lo, s14
.LBB303_1114:                           ;   in Loop: Header=BB303_927 Depth=1
	s_wait_alu 0xfffe
	s_or_b32 exec_lo, exec_lo, s13
.LBB303_1115:                           ;   in Loop: Header=BB303_927 Depth=1
	s_wait_alu 0xfffe
	s_or_b32 exec_lo, exec_lo, s12
	v_cmp_lt_u64_e64 s0, s[8:9], v[10:11]
	v_mov_b32_e32 v10, 0
	s_and_saveexec_b32 s12, s0
	s_cbranch_execz .LBB303_1123
; %bb.1116:                             ;   in Loop: Header=BB303_927 Depth=1
	v_lshrrev_b32_e32 v0, 24, v11
	v_bfrev_b32_e32 v10, 1
	s_mov_b32 s13, exec_lo
	s_delay_alu instid0(VALU_DEP_2)
	v_cmpx_ne_u32_e32 0x80, v0
	s_cbranch_execz .LBB303_1122
; %bb.1117:                             ;   in Loop: Header=BB303_927 Depth=1
	v_and_b32_e32 v96, 0x7f, v0
	v_mov_b32_e32 v10, 0x7c010000
	s_mov_b32 s14, exec_lo
	s_delay_alu instid0(VALU_DEP_2)
	v_cmpx_ne_u32_e32 0x7f, v96
	s_cbranch_execz .LBB303_1121
; %bb.1118:                             ;   in Loop: Header=BB303_927 Depth=1
	v_and_b32_e32 v10, 7, v0
	v_lshrrev_b32_e32 v11, 3, v96
	s_mov_b32 s15, exec_lo
	v_cmpx_gt_u32_e32 8, v96
; %bb.1119:                             ;   in Loop: Header=BB303_927 Depth=1
	s_delay_alu instid0(VALU_DEP_3) | instskip(NEXT) | instid1(VALU_DEP_1)
	v_clz_i32_u32_e32 v10, v10
	v_min_u32_e32 v96, 32, v10
	s_delay_alu instid0(VALU_DEP_1) | instskip(NEXT) | instid1(VALU_DEP_1)
	v_subrev_nc_u32_e32 v10, 28, v96
	v_lshlrev_b64_e32 v[10:11], v10, v[0:1]
	v_sub_nc_u32_e32 v11, 29, v96
	s_delay_alu instid0(VALU_DEP_2)
	v_and_b32_e32 v10, 7, v10
; %bb.1120:                             ;   in Loop: Header=BB303_927 Depth=1
	s_wait_alu 0xfffe
	s_or_b32 exec_lo, exec_lo, s15
	v_lshlrev_b32_e32 v0, 8, v0
	v_lshl_add_u32 v11, v11, 10, 0x2000
	v_lshlrev_b32_e32 v10, 23, v10
	s_delay_alu instid0(VALU_DEP_2) | instskip(NEXT) | instid1(VALU_DEP_1)
	v_and_or_b32 v0, 0x8000, v0, v11
	v_lshl_or_b32 v10, v0, 16, v10
.LBB303_1121:                           ;   in Loop: Header=BB303_927 Depth=1
	s_wait_alu 0xfffe
	s_or_b32 exec_lo, exec_lo, s14
.LBB303_1122:                           ;   in Loop: Header=BB303_927 Depth=1
	s_wait_alu 0xfffe
	s_or_b32 exec_lo, exec_lo, s13
.LBB303_1123:                           ;   in Loop: Header=BB303_927 Depth=1
	s_wait_alu 0xfffe
	s_or_b32 exec_lo, exec_lo, s12
	v_or_b32_e32 v0, v83, v84
	s_wait_loadcnt_dscnt 0x0
	v_fma_mixlo_f16 v11, v80, v83, 0 op_sel:[0,1,0] op_sel_hi:[0,1,0]
	v_or_b32_e32 v83, v81, v82
	v_fma_mixlo_f16 v81, v80, v81, 0 op_sel:[0,1,0] op_sel_hi:[0,1,0]
	v_or_b32_e32 v84, v87, v86
	v_or_b32_e32 v85, v10, v85
	v_fma_mixlo_f16 v86, v80, v0, 0 op_sel_hi:[0,1,0]
	v_fma_mixlo_f16 v10, v80, v10, 0 op_sel:[0,1,0] op_sel_hi:[0,1,0]
	v_lshlrev_b32_e32 v82, 16, v81
	v_fma_mixlo_f16 v81, v80, v83, 0 op_sel_hi:[0,1,0]
	v_fma_mixlo_f16 v83, v80, v87, 0 op_sel:[0,1,0] op_sel_hi:[0,1,0]
	v_fma_mixlo_f16 v84, v80, v84, 0 op_sel_hi:[0,1,0]
	v_fma_mixlo_f16 v85, v80, v85, 0 op_sel_hi:[0,1,0]
	v_lshlrev_b32_e32 v0, 16, v11
	v_and_b32_e32 v11, 0xffff, v86
	v_and_b32_e32 v96, 0xffff, v81
	v_lshlrev_b32_e32 v80, 16, v83
	v_and_b32_e32 v84, 0xffff, v84
	v_lshlrev_b32_e32 v10, 16, v10
	v_and_b32_e32 v81, 0xffff, v85
	v_or_b32_e32 v83, v0, v11
	v_or_b32_e32 v87, v82, v96
	;; [unrolled: 1-line block ×3, first 2 shown]
	s_delay_alu instid0(VALU_DEP_4)
	v_or_b32_e32 v85, v10, v81
	s_and_saveexec_b32 s12, vcc_lo
	s_cbranch_execz .LBB303_1125
; %bb.1124:                             ;   in Loop: Header=BB303_927 Depth=1
	v_cmp_lt_i32_e64 s0, v35, v30
	s_wait_alu 0xf1ff
	s_delay_alu instid0(VALU_DEP_1) | instskip(SKIP_2) | instid1(VALU_DEP_1)
	v_cndmask_b32_e64 v83, 0, v96, s0
	v_cmp_lt_i32_e64 s0, v69, v30
	s_wait_alu 0xf1ff
	v_cndmask_b32_e64 v82, 0, v82, s0
	v_cmp_lt_i32_e64 s0, v68, v30
	s_delay_alu instid0(VALU_DEP_2) | instskip(SKIP_1) | instid1(VALU_DEP_2)
	v_or_b32_e32 v87, v83, v82
	s_wait_alu 0xf1ff
	v_cndmask_b32_e64 v11, 0, v11, s0
	v_cmp_lt_i32_e64 s0, v67, v30
	s_wait_alu 0xf1ff
	s_delay_alu instid0(VALU_DEP_1) | instskip(SKIP_1) | instid1(VALU_DEP_2)
	v_cndmask_b32_e64 v0, 0, v0, s0
	v_cmp_lt_i32_e64 s0, v66, v30
	v_or_b32_e32 v83, v11, v0
	s_wait_alu 0xf1ff
	s_delay_alu instid0(VALU_DEP_2) | instskip(SKIP_2) | instid1(VALU_DEP_1)
	v_cndmask_b32_e64 v84, 0, v84, s0
	v_cmp_lt_i32_e64 s0, v65, v30
	s_wait_alu 0xf1ff
	v_cndmask_b32_e64 v80, 0, v80, s0
	v_cmp_lt_i32_e64 s0, v64, v30
	s_delay_alu instid0(VALU_DEP_2) | instskip(SKIP_1) | instid1(VALU_DEP_2)
	v_or_b32_e32 v86, v84, v80
	s_wait_alu 0xf1ff
	v_cndmask_b32_e64 v81, 0, v81, s0
	v_cmp_lt_i32_e64 s0, v14, v30
	s_wait_alu 0xf1ff
	s_delay_alu instid0(VALU_DEP_1) | instskip(NEXT) | instid1(VALU_DEP_1)
	v_cndmask_b32_e64 v10, 0, v10, s0
	v_or_b32_e32 v85, v81, v10
.LBB303_1125:                           ;   in Loop: Header=BB303_927 Depth=1
	s_wait_alu 0xfffe
	s_or_b32 exec_lo, exec_lo, s12
	;;#ASMSTART
	v_pk_mul_f16 v0, v54, v87;

	;;#ASMEND
	;;#ASMSTART
	v_pk_mul_f16 v10, v52, v83;

	;;#ASMEND
	;; [unrolled: 4-line block ×4, first 2 shown]
	;;#ASMSTART
	v_pk_add_f16 v0, v0, v10;

	;;#ASMEND
	;;#ASMSTART
	v_pk_add_f16 v0, v0, v11;

	;;#ASMEND
	;;#ASMSTART
	v_pk_add_f16 v0, v0, v80;

	;;#ASMEND
	v_dual_mov_b32 v83, 0 :: v_dual_and_b32 v10, 0xffff, v0
	v_lshrrev_b32_e32 v0, 16, v0
	;;#ASMSTART
	v_cvt_f32_f16 v80, v10;
	;;#ASMEND
	;;#ASMSTART
	v_cvt_f32_f16 v81, v0;
	;;#ASMEND
	flat_load_b64 v[10:11], v[8:9] offset:768
	flat_load_b32 v82, v[26:27]
	v_mov_b32_e32 v84, 0
	s_mov_b32 s12, exec_lo
	s_wait_loadcnt_dscnt 0x101
	v_and_b32_e32 v0, 0xff, v10
	s_delay_alu instid0(VALU_DEP_1)
	v_cmpx_ne_u16_e32 0, v0
	s_cbranch_execz .LBB303_1133
; %bb.1126:                             ;   in Loop: Header=BB303_927 Depth=1
	v_mov_b32_e32 v84, 0x8000
	s_mov_b32 s13, exec_lo
	v_cmpx_ne_u16_e32 0x80, v0
	s_cbranch_execz .LBB303_1132
; %bb.1127:                             ;   in Loop: Header=BB303_927 Depth=1
	v_and_b32_e32 v85, 0x7f, v10
	v_mov_b32_e32 v84, 0x7c01
	s_mov_b32 s14, exec_lo
	s_delay_alu instid0(VALU_DEP_2)
	v_cmpx_ne_u32_e32 0x7f, v85
	s_cbranch_execz .LBB303_1131
; %bb.1128:                             ;   in Loop: Header=BB303_927 Depth=1
	v_and_b32_e32 v0, 7, v10
	v_lshrrev_b32_e32 v84, 3, v85
	s_mov_b32 s15, exec_lo
	v_cmpx_gt_u32_e32 8, v85
; %bb.1129:                             ;   in Loop: Header=BB303_927 Depth=1
	s_delay_alu instid0(VALU_DEP_3) | instskip(NEXT) | instid1(VALU_DEP_1)
	v_clz_i32_u32_e32 v0, v0
	v_min_u32_e32 v0, 32, v0
	s_delay_alu instid0(VALU_DEP_1) | instskip(NEXT) | instid1(VALU_DEP_1)
	v_subrev_nc_u32_e32 v84, 28, v0
	v_lshlrev_b64_e32 v[85:86], v84, v[10:11]
	v_sub_nc_u32_e32 v84, 29, v0
	s_delay_alu instid0(VALU_DEP_2)
	v_and_b32_e32 v0, 7, v85
; %bb.1130:                             ;   in Loop: Header=BB303_927 Depth=1
	s_wait_alu 0xfffe
	s_or_b32 exec_lo, exec_lo, s15
	v_lshlrev_b32_e32 v85, 8, v10
	v_lshl_add_u32 v84, v84, 10, 0x2000
	v_lshlrev_b32_e32 v0, 7, v0
	s_delay_alu instid0(VALU_DEP_3) | instskip(NEXT) | instid1(VALU_DEP_3)
	v_and_b32_e32 v85, 0x8000, v85
	v_and_b32_e32 v84, 0xfc00, v84
	s_delay_alu instid0(VALU_DEP_1)
	v_or3_b32 v84, v85, v84, v0
.LBB303_1131:                           ;   in Loop: Header=BB303_927 Depth=1
	s_wait_alu 0xfffe
	s_or_b32 exec_lo, exec_lo, s14
.LBB303_1132:                           ;   in Loop: Header=BB303_927 Depth=1
	s_wait_alu 0xfffe
	s_or_b32 exec_lo, exec_lo, s13
.LBB303_1133:                           ;   in Loop: Header=BB303_927 Depth=1
	s_wait_alu 0xfffe
	s_or_b32 exec_lo, exec_lo, s12
	v_lshrrev_b16 v0, 8, v10
	s_mov_b32 s12, exec_lo
	s_delay_alu instid0(VALU_DEP_1)
	v_cmpx_ne_u16_e32 0, v0
	s_cbranch_execz .LBB303_1141
; %bb.1134:                             ;   in Loop: Header=BB303_927 Depth=1
	v_bfrev_b32_e32 v83, 1
	s_mov_b32 s13, exec_lo
	v_cmpx_ne_u16_e32 0x80, v0
	s_cbranch_execz .LBB303_1140
; %bb.1135:                             ;   in Loop: Header=BB303_927 Depth=1
	v_and_b32_e32 v85, 0xffff, v0
	v_mov_b32_e32 v83, 0x7c010000
	s_mov_b32 s14, exec_lo
	s_delay_alu instid0(VALU_DEP_2) | instskip(NEXT) | instid1(VALU_DEP_1)
	v_and_b32_e32 v87, 0x7f, v85
	v_cmpx_ne_u32_e32 0x7f, v87
	s_cbranch_execz .LBB303_1139
; %bb.1136:                             ;   in Loop: Header=BB303_927 Depth=1
	v_and_b32_e32 v83, 7, v85
	v_lshrrev_b32_e32 v86, 3, v87
	s_mov_b32 s15, exec_lo
	v_cmpx_gt_u32_e32 8, v87
; %bb.1137:                             ;   in Loop: Header=BB303_927 Depth=1
	s_delay_alu instid0(VALU_DEP_3) | instskip(NEXT) | instid1(VALU_DEP_1)
	v_clz_i32_u32_e32 v83, v83
	v_min_u32_e32 v83, 32, v83
	s_delay_alu instid0(VALU_DEP_1) | instskip(NEXT) | instid1(VALU_DEP_1)
	v_subrev_nc_u32_e32 v86, 28, v83
	v_lshlrev_b64_e32 v[96:97], v86, v[0:1]
	v_sub_nc_u32_e32 v86, 29, v83
	s_delay_alu instid0(VALU_DEP_2)
	v_and_b32_e32 v83, 7, v96
; %bb.1138:                             ;   in Loop: Header=BB303_927 Depth=1
	s_wait_alu 0xfffe
	s_or_b32 exec_lo, exec_lo, s15
	v_lshlrev_b32_e32 v0, 8, v85
	v_lshl_add_u32 v85, v86, 10, 0x2000
	v_lshlrev_b32_e32 v83, 23, v83
	s_delay_alu instid0(VALU_DEP_2) | instskip(NEXT) | instid1(VALU_DEP_1)
	v_and_or_b32 v0, 0x8000, v0, v85
	v_lshl_or_b32 v83, v0, 16, v83
.LBB303_1139:                           ;   in Loop: Header=BB303_927 Depth=1
	s_wait_alu 0xfffe
	s_or_b32 exec_lo, exec_lo, s14
.LBB303_1140:                           ;   in Loop: Header=BB303_927 Depth=1
	s_wait_alu 0xfffe
	s_or_b32 exec_lo, exec_lo, s13
.LBB303_1141:                           ;   in Loop: Header=BB303_927 Depth=1
	s_wait_alu 0xfffe
	s_or_b32 exec_lo, exec_lo, s12
	v_lshrrev_b32_e32 v0, 16, v10
	v_mov_b32_e32 v85, 0
	s_mov_b32 s12, exec_lo
	s_delay_alu instid0(VALU_DEP_2) | instskip(NEXT) | instid1(VALU_DEP_1)
	v_dual_mov_b32 v86, 0 :: v_dual_and_b32 v87, 0xff, v0
	v_cmpx_ne_u16_e32 0, v87
	s_cbranch_execz .LBB303_1149
; %bb.1142:                             ;   in Loop: Header=BB303_927 Depth=1
	v_mov_b32_e32 v86, 0x8000
	s_mov_b32 s13, exec_lo
	v_cmpx_ne_u16_e32 0x80, v87
	s_cbranch_execz .LBB303_1148
; %bb.1143:                             ;   in Loop: Header=BB303_927 Depth=1
	v_bfe_u32 v96, v10, 16, 7
	v_mov_b32_e32 v86, 0x7c01
	s_mov_b32 s14, exec_lo
	s_delay_alu instid0(VALU_DEP_2)
	v_cmpx_ne_u32_e32 0x7f, v96
	s_cbranch_execz .LBB303_1147
; %bb.1144:                             ;   in Loop: Header=BB303_927 Depth=1
	v_and_b32_e32 v86, 7, v0
	v_lshrrev_b32_e32 v87, 3, v96
	s_mov_b32 s15, exec_lo
	v_cmpx_gt_u32_e32 8, v96
; %bb.1145:                             ;   in Loop: Header=BB303_927 Depth=1
	s_delay_alu instid0(VALU_DEP_3) | instskip(NEXT) | instid1(VALU_DEP_1)
	v_clz_i32_u32_e32 v86, v86
	v_min_u32_e32 v96, 32, v86
	s_delay_alu instid0(VALU_DEP_1) | instskip(NEXT) | instid1(VALU_DEP_1)
	v_subrev_nc_u32_e32 v86, 28, v96
	v_lshlrev_b64_e32 v[86:87], v86, v[0:1]
	v_sub_nc_u32_e32 v87, 29, v96
	s_delay_alu instid0(VALU_DEP_2)
	v_and_b32_e32 v86, 7, v86
; %bb.1146:                             ;   in Loop: Header=BB303_927 Depth=1
	s_wait_alu 0xfffe
	s_or_b32 exec_lo, exec_lo, s15
	v_lshlrev_b32_e32 v0, 8, v0
	v_lshl_add_u32 v87, v87, 10, 0x2000
	v_lshlrev_b32_e32 v86, 7, v86
	s_delay_alu instid0(VALU_DEP_3) | instskip(NEXT) | instid1(VALU_DEP_3)
	v_and_b32_e32 v0, 0x8000, v0
	v_and_b32_e32 v87, 0xfc00, v87
	s_delay_alu instid0(VALU_DEP_1)
	v_or3_b32 v86, v0, v87, v86
.LBB303_1147:                           ;   in Loop: Header=BB303_927 Depth=1
	s_wait_alu 0xfffe
	s_or_b32 exec_lo, exec_lo, s14
.LBB303_1148:                           ;   in Loop: Header=BB303_927 Depth=1
	s_wait_alu 0xfffe
	s_or_b32 exec_lo, exec_lo, s13
.LBB303_1149:                           ;   in Loop: Header=BB303_927 Depth=1
	s_wait_alu 0xfffe
	s_or_b32 exec_lo, exec_lo, s12
	s_delay_alu instid0(SALU_CYCLE_1)
	s_mov_b32 s12, exec_lo
	v_cmpx_lt_u32_e32 0xffffff, v10
	s_cbranch_execz .LBB303_1157
; %bb.1150:                             ;   in Loop: Header=BB303_927 Depth=1
	v_lshrrev_b32_e32 v0, 24, v10
	v_bfrev_b32_e32 v85, 1
	s_mov_b32 s13, exec_lo
	s_delay_alu instid0(VALU_DEP_2)
	v_cmpx_ne_u32_e32 0x80, v0
	s_cbranch_execz .LBB303_1156
; %bb.1151:                             ;   in Loop: Header=BB303_927 Depth=1
	v_and_b32_e32 v96, 0x7f, v0
	v_mov_b32_e32 v85, 0x7c010000
	s_mov_b32 s14, exec_lo
	s_delay_alu instid0(VALU_DEP_2)
	v_cmpx_ne_u32_e32 0x7f, v96
	s_cbranch_execz .LBB303_1155
; %bb.1152:                             ;   in Loop: Header=BB303_927 Depth=1
	v_and_b32_e32 v85, 7, v0
	v_lshrrev_b32_e32 v87, 3, v96
	s_mov_b32 s15, exec_lo
	v_cmpx_gt_u32_e32 8, v96
; %bb.1153:                             ;   in Loop: Header=BB303_927 Depth=1
	s_delay_alu instid0(VALU_DEP_3) | instskip(NEXT) | instid1(VALU_DEP_1)
	v_clz_i32_u32_e32 v85, v85
	v_min_u32_e32 v85, 32, v85
	s_delay_alu instid0(VALU_DEP_1) | instskip(NEXT) | instid1(VALU_DEP_1)
	v_subrev_nc_u32_e32 v87, 28, v85
	v_lshlrev_b64_e32 v[96:97], v87, v[0:1]
	v_sub_nc_u32_e32 v87, 29, v85
	s_delay_alu instid0(VALU_DEP_2)
	v_and_b32_e32 v85, 7, v96
; %bb.1154:                             ;   in Loop: Header=BB303_927 Depth=1
	s_wait_alu 0xfffe
	s_or_b32 exec_lo, exec_lo, s15
	v_lshlrev_b32_e32 v0, 8, v0
	v_lshl_add_u32 v87, v87, 10, 0x2000
	v_lshlrev_b32_e32 v85, 23, v85
	s_delay_alu instid0(VALU_DEP_2) | instskip(NEXT) | instid1(VALU_DEP_1)
	v_and_or_b32 v0, 0x8000, v0, v87
	v_lshl_or_b32 v85, v0, 16, v85
.LBB303_1155:                           ;   in Loop: Header=BB303_927 Depth=1
	s_wait_alu 0xfffe
	s_or_b32 exec_lo, exec_lo, s14
.LBB303_1156:                           ;   in Loop: Header=BB303_927 Depth=1
	s_wait_alu 0xfffe
	s_or_b32 exec_lo, exec_lo, s13
.LBB303_1157:                           ;   in Loop: Header=BB303_927 Depth=1
	s_wait_alu 0xfffe
	s_or_b32 exec_lo, exec_lo, s12
	v_dual_mov_b32 v0, v11 :: v_dual_and_b32 v97, 0xff, v11
	v_dual_mov_b32 v87, 0 :: v_dual_mov_b32 v96, 0
	s_mov_b32 s12, exec_lo
	s_delay_alu instid0(VALU_DEP_2)
	v_cmpx_ne_u16_e32 0, v97
	s_cbranch_execz .LBB303_1165
; %bb.1158:                             ;   in Loop: Header=BB303_927 Depth=1
	v_mov_b32_e32 v96, 0x8000
	s_mov_b32 s13, exec_lo
	v_cmpx_ne_u16_e32 0x80, v97
	s_cbranch_execz .LBB303_1164
; %bb.1159:                             ;   in Loop: Header=BB303_927 Depth=1
	v_and_b32_e32 v98, 0x7f, v11
	v_mov_b32_e32 v96, 0x7c01
	s_mov_b32 s14, exec_lo
	s_delay_alu instid0(VALU_DEP_2)
	v_cmpx_ne_u32_e32 0x7f, v98
	s_cbranch_execz .LBB303_1163
; %bb.1160:                             ;   in Loop: Header=BB303_927 Depth=1
	v_and_b32_e32 v96, 7, v11
	v_lshrrev_b32_e32 v97, 3, v98
	s_mov_b32 s15, exec_lo
	v_cmpx_gt_u32_e32 8, v98
; %bb.1161:                             ;   in Loop: Header=BB303_927 Depth=1
	s_delay_alu instid0(VALU_DEP_3) | instskip(NEXT) | instid1(VALU_DEP_1)
	v_clz_i32_u32_e32 v96, v96
	v_min_u32_e32 v98, 32, v96
	s_delay_alu instid0(VALU_DEP_1) | instskip(NEXT) | instid1(VALU_DEP_1)
	v_subrev_nc_u32_e32 v96, 28, v98
	v_lshlrev_b64_e32 v[96:97], v96, v[0:1]
	v_sub_nc_u32_e32 v97, 29, v98
	s_delay_alu instid0(VALU_DEP_2)
	v_and_b32_e32 v96, 7, v96
; %bb.1162:                             ;   in Loop: Header=BB303_927 Depth=1
	s_wait_alu 0xfffe
	s_or_b32 exec_lo, exec_lo, s15
	v_lshlrev_b32_e32 v98, 8, v11
	v_lshl_add_u32 v97, v97, 10, 0x2000
	v_lshlrev_b32_e32 v96, 7, v96
	s_delay_alu instid0(VALU_DEP_3) | instskip(NEXT) | instid1(VALU_DEP_3)
	v_and_b32_e32 v98, 0x8000, v98
	v_and_b32_e32 v97, 0xfc00, v97
	s_delay_alu instid0(VALU_DEP_1)
	v_or3_b32 v96, v98, v97, v96
.LBB303_1163:                           ;   in Loop: Header=BB303_927 Depth=1
	s_wait_alu 0xfffe
	s_or_b32 exec_lo, exec_lo, s14
.LBB303_1164:                           ;   in Loop: Header=BB303_927 Depth=1
	s_wait_alu 0xfffe
	s_or_b32 exec_lo, exec_lo, s13
.LBB303_1165:                           ;   in Loop: Header=BB303_927 Depth=1
	s_wait_alu 0xfffe
	s_or_b32 exec_lo, exec_lo, s12
	v_lshrrev_b16 v0, 8, v0
	v_mov_b32_e32 v97, 0
	s_mov_b32 s12, exec_lo
	s_delay_alu instid0(VALU_DEP_2)
	v_cmpx_ne_u16_e32 0, v0
	s_cbranch_execz .LBB303_1173
; %bb.1166:                             ;   in Loop: Header=BB303_927 Depth=1
	v_bfrev_b32_e32 v97, 1
	s_mov_b32 s13, exec_lo
	v_cmpx_ne_u16_e32 0x80, v0
	s_cbranch_execz .LBB303_1172
; %bb.1167:                             ;   in Loop: Header=BB303_927 Depth=1
	v_and_b32_e32 v98, 0xffff, v0
	v_mov_b32_e32 v97, 0x7c010000
	s_mov_b32 s14, exec_lo
	s_delay_alu instid0(VALU_DEP_2) | instskip(NEXT) | instid1(VALU_DEP_1)
	v_and_b32_e32 v100, 0x7f, v98
	v_cmpx_ne_u32_e32 0x7f, v100
	s_cbranch_execz .LBB303_1171
; %bb.1168:                             ;   in Loop: Header=BB303_927 Depth=1
	v_and_b32_e32 v97, 7, v98
	v_lshrrev_b32_e32 v99, 3, v100
	s_mov_b32 s15, exec_lo
	v_cmpx_gt_u32_e32 8, v100
; %bb.1169:                             ;   in Loop: Header=BB303_927 Depth=1
	s_delay_alu instid0(VALU_DEP_3) | instskip(NEXT) | instid1(VALU_DEP_1)
	v_clz_i32_u32_e32 v97, v97
	v_min_u32_e32 v97, 32, v97
	s_delay_alu instid0(VALU_DEP_1) | instskip(NEXT) | instid1(VALU_DEP_1)
	v_subrev_nc_u32_e32 v99, 28, v97
	v_lshlrev_b64_e32 v[100:101], v99, v[0:1]
	v_sub_nc_u32_e32 v99, 29, v97
	s_delay_alu instid0(VALU_DEP_2)
	v_and_b32_e32 v97, 7, v100
; %bb.1170:                             ;   in Loop: Header=BB303_927 Depth=1
	s_wait_alu 0xfffe
	s_or_b32 exec_lo, exec_lo, s15
	v_lshlrev_b32_e32 v0, 8, v98
	v_lshl_add_u32 v98, v99, 10, 0x2000
	v_lshlrev_b32_e32 v97, 23, v97
	s_delay_alu instid0(VALU_DEP_2) | instskip(NEXT) | instid1(VALU_DEP_1)
	v_and_or_b32 v0, 0x8000, v0, v98
	v_lshl_or_b32 v97, v0, 16, v97
.LBB303_1171:                           ;   in Loop: Header=BB303_927 Depth=1
	s_wait_alu 0xfffe
	s_or_b32 exec_lo, exec_lo, s14
.LBB303_1172:                           ;   in Loop: Header=BB303_927 Depth=1
	s_wait_alu 0xfffe
	s_or_b32 exec_lo, exec_lo, s13
.LBB303_1173:                           ;   in Loop: Header=BB303_927 Depth=1
	s_wait_alu 0xfffe
	s_or_b32 exec_lo, exec_lo, s12
	v_lshrrev_b32_e32 v0, 16, v11
	s_mov_b32 s12, exec_lo
	s_delay_alu instid0(VALU_DEP_1) | instskip(NEXT) | instid1(VALU_DEP_1)
	v_and_b32_e32 v98, 0xff, v0
	v_cmpx_ne_u16_e32 0, v98
	s_cbranch_execz .LBB303_1181
; %bb.1174:                             ;   in Loop: Header=BB303_927 Depth=1
	v_mov_b32_e32 v87, 0x8000
	s_mov_b32 s13, exec_lo
	v_cmpx_ne_u16_e32 0x80, v98
	s_cbranch_execz .LBB303_1180
; %bb.1175:                             ;   in Loop: Header=BB303_927 Depth=1
	v_bfe_u32 v99, v11, 16, 7
	v_mov_b32_e32 v87, 0x7c01
	s_mov_b32 s14, exec_lo
	s_delay_alu instid0(VALU_DEP_2)
	v_cmpx_ne_u32_e32 0x7f, v99
	s_cbranch_execz .LBB303_1179
; %bb.1176:                             ;   in Loop: Header=BB303_927 Depth=1
	v_and_b32_e32 v87, 7, v0
	v_lshrrev_b32_e32 v98, 3, v99
	s_mov_b32 s15, exec_lo
	v_cmpx_gt_u32_e32 8, v99
; %bb.1177:                             ;   in Loop: Header=BB303_927 Depth=1
	s_delay_alu instid0(VALU_DEP_3) | instskip(NEXT) | instid1(VALU_DEP_1)
	v_clz_i32_u32_e32 v87, v87
	v_min_u32_e32 v87, 32, v87
	s_delay_alu instid0(VALU_DEP_1) | instskip(NEXT) | instid1(VALU_DEP_1)
	v_subrev_nc_u32_e32 v98, 28, v87
	v_lshlrev_b64_e32 v[99:100], v98, v[0:1]
	v_sub_nc_u32_e32 v98, 29, v87
	s_delay_alu instid0(VALU_DEP_2)
	v_and_b32_e32 v87, 7, v99
; %bb.1178:                             ;   in Loop: Header=BB303_927 Depth=1
	s_wait_alu 0xfffe
	s_or_b32 exec_lo, exec_lo, s15
	v_lshlrev_b32_e32 v0, 8, v0
	v_lshl_add_u32 v98, v98, 10, 0x2000
	v_lshlrev_b32_e32 v87, 7, v87
	s_delay_alu instid0(VALU_DEP_3) | instskip(NEXT) | instid1(VALU_DEP_3)
	v_and_b32_e32 v0, 0x8000, v0
	v_and_b32_e32 v98, 0xfc00, v98
	s_delay_alu instid0(VALU_DEP_1)
	v_or3_b32 v87, v0, v98, v87
.LBB303_1179:                           ;   in Loop: Header=BB303_927 Depth=1
	s_wait_alu 0xfffe
	s_or_b32 exec_lo, exec_lo, s14
.LBB303_1180:                           ;   in Loop: Header=BB303_927 Depth=1
	s_wait_alu 0xfffe
	s_or_b32 exec_lo, exec_lo, s13
.LBB303_1181:                           ;   in Loop: Header=BB303_927 Depth=1
	s_wait_alu 0xfffe
	s_or_b32 exec_lo, exec_lo, s12
	v_cmp_lt_u64_e64 s0, s[8:9], v[10:11]
	v_mov_b32_e32 v10, 0
	s_and_saveexec_b32 s12, s0
	s_cbranch_execz .LBB303_1189
; %bb.1182:                             ;   in Loop: Header=BB303_927 Depth=1
	v_lshrrev_b32_e32 v0, 24, v11
	v_bfrev_b32_e32 v10, 1
	s_mov_b32 s13, exec_lo
	s_delay_alu instid0(VALU_DEP_2)
	v_cmpx_ne_u32_e32 0x80, v0
	s_cbranch_execz .LBB303_1188
; %bb.1183:                             ;   in Loop: Header=BB303_927 Depth=1
	v_and_b32_e32 v98, 0x7f, v0
	v_mov_b32_e32 v10, 0x7c010000
	s_mov_b32 s14, exec_lo
	s_delay_alu instid0(VALU_DEP_2)
	v_cmpx_ne_u32_e32 0x7f, v98
	s_cbranch_execz .LBB303_1187
; %bb.1184:                             ;   in Loop: Header=BB303_927 Depth=1
	v_and_b32_e32 v10, 7, v0
	v_lshrrev_b32_e32 v11, 3, v98
	s_mov_b32 s15, exec_lo
	v_cmpx_gt_u32_e32 8, v98
; %bb.1185:                             ;   in Loop: Header=BB303_927 Depth=1
	s_delay_alu instid0(VALU_DEP_3) | instskip(NEXT) | instid1(VALU_DEP_1)
	v_clz_i32_u32_e32 v10, v10
	v_min_u32_e32 v98, 32, v10
	s_delay_alu instid0(VALU_DEP_1) | instskip(NEXT) | instid1(VALU_DEP_1)
	v_subrev_nc_u32_e32 v10, 28, v98
	v_lshlrev_b64_e32 v[10:11], v10, v[0:1]
	v_sub_nc_u32_e32 v11, 29, v98
	s_delay_alu instid0(VALU_DEP_2)
	v_and_b32_e32 v10, 7, v10
; %bb.1186:                             ;   in Loop: Header=BB303_927 Depth=1
	s_wait_alu 0xfffe
	s_or_b32 exec_lo, exec_lo, s15
	v_lshlrev_b32_e32 v0, 8, v0
	v_lshl_add_u32 v11, v11, 10, 0x2000
	v_lshlrev_b32_e32 v10, 23, v10
	s_delay_alu instid0(VALU_DEP_2) | instskip(NEXT) | instid1(VALU_DEP_1)
	v_and_or_b32 v0, 0x8000, v0, v11
	v_lshl_or_b32 v10, v0, 16, v10
.LBB303_1187:                           ;   in Loop: Header=BB303_927 Depth=1
	s_wait_alu 0xfffe
	s_or_b32 exec_lo, exec_lo, s14
.LBB303_1188:                           ;   in Loop: Header=BB303_927 Depth=1
	s_wait_alu 0xfffe
	s_or_b32 exec_lo, exec_lo, s13
.LBB303_1189:                           ;   in Loop: Header=BB303_927 Depth=1
	s_wait_alu 0xfffe
	s_or_b32 exec_lo, exec_lo, s12
	v_or_b32_e32 v0, v85, v86
	s_wait_loadcnt_dscnt 0x0
	v_fma_mixlo_f16 v11, v82, v85, 0 op_sel:[0,1,0] op_sel_hi:[0,1,0]
	v_or_b32_e32 v85, v83, v84
	v_fma_mixlo_f16 v83, v82, v83, 0 op_sel:[0,1,0] op_sel_hi:[0,1,0]
	v_or_b32_e32 v86, v97, v96
	v_or_b32_e32 v87, v10, v87
	v_fma_mixlo_f16 v96, v82, v0, 0 op_sel_hi:[0,1,0]
	v_fma_mixlo_f16 v10, v82, v10, 0 op_sel:[0,1,0] op_sel_hi:[0,1,0]
	v_lshlrev_b32_e32 v84, 16, v83
	v_fma_mixlo_f16 v83, v82, v85, 0 op_sel_hi:[0,1,0]
	v_fma_mixlo_f16 v85, v82, v97, 0 op_sel:[0,1,0] op_sel_hi:[0,1,0]
	v_fma_mixlo_f16 v86, v82, v86, 0 op_sel_hi:[0,1,0]
	v_fma_mixlo_f16 v87, v82, v87, 0 op_sel_hi:[0,1,0]
	v_lshlrev_b32_e32 v0, 16, v11
	v_and_b32_e32 v11, 0xffff, v96
	v_and_b32_e32 v98, 0xffff, v83
	v_lshlrev_b32_e32 v82, 16, v85
	v_and_b32_e32 v86, 0xffff, v86
	v_lshlrev_b32_e32 v10, 16, v10
	v_and_b32_e32 v83, 0xffff, v87
	v_or_b32_e32 v85, v0, v11
	v_or_b32_e32 v97, v84, v98
	;; [unrolled: 1-line block ×3, first 2 shown]
	s_delay_alu instid0(VALU_DEP_4)
	v_or_b32_e32 v87, v10, v83
	s_and_saveexec_b32 s12, vcc_lo
	s_cbranch_execz .LBB303_1191
; %bb.1190:                             ;   in Loop: Header=BB303_927 Depth=1
	v_cmp_lt_i32_e64 s0, v35, v30
	s_wait_alu 0xf1ff
	s_delay_alu instid0(VALU_DEP_1) | instskip(SKIP_2) | instid1(VALU_DEP_1)
	v_cndmask_b32_e64 v85, 0, v98, s0
	v_cmp_lt_i32_e64 s0, v69, v30
	s_wait_alu 0xf1ff
	v_cndmask_b32_e64 v84, 0, v84, s0
	v_cmp_lt_i32_e64 s0, v68, v30
	s_delay_alu instid0(VALU_DEP_2) | instskip(SKIP_1) | instid1(VALU_DEP_2)
	v_or_b32_e32 v97, v85, v84
	s_wait_alu 0xf1ff
	v_cndmask_b32_e64 v11, 0, v11, s0
	v_cmp_lt_i32_e64 s0, v67, v30
	s_wait_alu 0xf1ff
	s_delay_alu instid0(VALU_DEP_1) | instskip(SKIP_1) | instid1(VALU_DEP_2)
	v_cndmask_b32_e64 v0, 0, v0, s0
	v_cmp_lt_i32_e64 s0, v66, v30
	v_or_b32_e32 v85, v11, v0
	s_wait_alu 0xf1ff
	s_delay_alu instid0(VALU_DEP_2) | instskip(SKIP_2) | instid1(VALU_DEP_1)
	v_cndmask_b32_e64 v86, 0, v86, s0
	v_cmp_lt_i32_e64 s0, v65, v30
	s_wait_alu 0xf1ff
	v_cndmask_b32_e64 v82, 0, v82, s0
	v_cmp_lt_i32_e64 s0, v64, v30
	s_delay_alu instid0(VALU_DEP_2) | instskip(SKIP_1) | instid1(VALU_DEP_2)
	v_or_b32_e32 v96, v86, v82
	s_wait_alu 0xf1ff
	v_cndmask_b32_e64 v83, 0, v83, s0
	v_cmp_lt_i32_e64 s0, v14, v30
	s_wait_alu 0xf1ff
	s_delay_alu instid0(VALU_DEP_1) | instskip(NEXT) | instid1(VALU_DEP_1)
	v_cndmask_b32_e64 v10, 0, v10, s0
	v_or_b32_e32 v87, v83, v10
.LBB303_1191:                           ;   in Loop: Header=BB303_927 Depth=1
	s_wait_alu 0xfffe
	s_or_b32 exec_lo, exec_lo, s12
	;;#ASMSTART
	v_pk_mul_f16 v0, v54, v97;

	;;#ASMEND
	;;#ASMSTART
	v_pk_mul_f16 v10, v52, v85;

	;;#ASMEND
	;; [unrolled: 4-line block ×4, first 2 shown]
	;;#ASMSTART
	v_pk_add_f16 v0, v0, v10;

	;;#ASMEND
	;;#ASMSTART
	v_pk_add_f16 v0, v0, v11;

	;;#ASMEND
	;; [unrolled: 4-line block ×3, first 2 shown]
	v_dual_mov_b32 v85, 0 :: v_dual_and_b32 v10, 0xffff, v0
	v_lshrrev_b32_e32 v0, 16, v0
	;;#ASMSTART
	v_cvt_f32_f16 v82, v10;
	;;#ASMEND
	;;#ASMSTART
	v_cvt_f32_f16 v83, v0;
	;;#ASMEND
	flat_load_b64 v[10:11], v[8:9] offset:1024
	flat_load_b32 v84, v[26:27]
	v_mov_b32_e32 v86, 0
	s_mov_b32 s12, exec_lo
	s_wait_loadcnt_dscnt 0x101
	v_and_b32_e32 v0, 0xff, v10
	s_delay_alu instid0(VALU_DEP_1)
	v_cmpx_ne_u16_e32 0, v0
	s_cbranch_execz .LBB303_1199
; %bb.1192:                             ;   in Loop: Header=BB303_927 Depth=1
	v_mov_b32_e32 v86, 0x8000
	s_mov_b32 s13, exec_lo
	v_cmpx_ne_u16_e32 0x80, v0
	s_cbranch_execz .LBB303_1198
; %bb.1193:                             ;   in Loop: Header=BB303_927 Depth=1
	v_and_b32_e32 v87, 0x7f, v10
	v_mov_b32_e32 v86, 0x7c01
	s_mov_b32 s14, exec_lo
	s_delay_alu instid0(VALU_DEP_2)
	v_cmpx_ne_u32_e32 0x7f, v87
	s_cbranch_execz .LBB303_1197
; %bb.1194:                             ;   in Loop: Header=BB303_927 Depth=1
	v_and_b32_e32 v0, 7, v10
	v_lshrrev_b32_e32 v86, 3, v87
	s_mov_b32 s15, exec_lo
	v_cmpx_gt_u32_e32 8, v87
; %bb.1195:                             ;   in Loop: Header=BB303_927 Depth=1
	s_delay_alu instid0(VALU_DEP_3) | instskip(NEXT) | instid1(VALU_DEP_1)
	v_clz_i32_u32_e32 v0, v0
	v_min_u32_e32 v0, 32, v0
	s_delay_alu instid0(VALU_DEP_1) | instskip(NEXT) | instid1(VALU_DEP_1)
	v_subrev_nc_u32_e32 v86, 28, v0
	v_lshlrev_b64_e32 v[96:97], v86, v[10:11]
	v_sub_nc_u32_e32 v86, 29, v0
	s_delay_alu instid0(VALU_DEP_2)
	v_and_b32_e32 v0, 7, v96
; %bb.1196:                             ;   in Loop: Header=BB303_927 Depth=1
	s_wait_alu 0xfffe
	s_or_b32 exec_lo, exec_lo, s15
	v_lshlrev_b32_e32 v87, 8, v10
	v_lshl_add_u32 v86, v86, 10, 0x2000
	v_lshlrev_b32_e32 v0, 7, v0
	s_delay_alu instid0(VALU_DEP_3) | instskip(NEXT) | instid1(VALU_DEP_3)
	v_and_b32_e32 v87, 0x8000, v87
	v_and_b32_e32 v86, 0xfc00, v86
	s_delay_alu instid0(VALU_DEP_1)
	v_or3_b32 v86, v87, v86, v0
.LBB303_1197:                           ;   in Loop: Header=BB303_927 Depth=1
	s_wait_alu 0xfffe
	s_or_b32 exec_lo, exec_lo, s14
.LBB303_1198:                           ;   in Loop: Header=BB303_927 Depth=1
	s_wait_alu 0xfffe
	s_or_b32 exec_lo, exec_lo, s13
.LBB303_1199:                           ;   in Loop: Header=BB303_927 Depth=1
	s_wait_alu 0xfffe
	s_or_b32 exec_lo, exec_lo, s12
	v_lshrrev_b16 v0, 8, v10
	s_mov_b32 s12, exec_lo
	s_delay_alu instid0(VALU_DEP_1)
	v_cmpx_ne_u16_e32 0, v0
	s_cbranch_execz .LBB303_1207
; %bb.1200:                             ;   in Loop: Header=BB303_927 Depth=1
	v_bfrev_b32_e32 v85, 1
	s_mov_b32 s13, exec_lo
	v_cmpx_ne_u16_e32 0x80, v0
	s_cbranch_execz .LBB303_1206
; %bb.1201:                             ;   in Loop: Header=BB303_927 Depth=1
	v_and_b32_e32 v87, 0xffff, v0
	v_mov_b32_e32 v85, 0x7c010000
	s_mov_b32 s14, exec_lo
	s_delay_alu instid0(VALU_DEP_2) | instskip(NEXT) | instid1(VALU_DEP_1)
	v_and_b32_e32 v97, 0x7f, v87
	v_cmpx_ne_u32_e32 0x7f, v97
	s_cbranch_execz .LBB303_1205
; %bb.1202:                             ;   in Loop: Header=BB303_927 Depth=1
	v_and_b32_e32 v85, 7, v87
	v_lshrrev_b32_e32 v96, 3, v97
	s_mov_b32 s15, exec_lo
	v_cmpx_gt_u32_e32 8, v97
; %bb.1203:                             ;   in Loop: Header=BB303_927 Depth=1
	s_delay_alu instid0(VALU_DEP_3) | instskip(NEXT) | instid1(VALU_DEP_1)
	v_clz_i32_u32_e32 v85, v85
	v_min_u32_e32 v85, 32, v85
	s_delay_alu instid0(VALU_DEP_1) | instskip(NEXT) | instid1(VALU_DEP_1)
	v_subrev_nc_u32_e32 v96, 28, v85
	v_lshlrev_b64_e32 v[97:98], v96, v[0:1]
	v_sub_nc_u32_e32 v96, 29, v85
	s_delay_alu instid0(VALU_DEP_2)
	v_and_b32_e32 v85, 7, v97
; %bb.1204:                             ;   in Loop: Header=BB303_927 Depth=1
	s_wait_alu 0xfffe
	s_or_b32 exec_lo, exec_lo, s15
	v_lshlrev_b32_e32 v0, 8, v87
	v_lshl_add_u32 v87, v96, 10, 0x2000
	v_lshlrev_b32_e32 v85, 23, v85
	s_delay_alu instid0(VALU_DEP_2) | instskip(NEXT) | instid1(VALU_DEP_1)
	v_and_or_b32 v0, 0x8000, v0, v87
	v_lshl_or_b32 v85, v0, 16, v85
.LBB303_1205:                           ;   in Loop: Header=BB303_927 Depth=1
	s_wait_alu 0xfffe
	s_or_b32 exec_lo, exec_lo, s14
.LBB303_1206:                           ;   in Loop: Header=BB303_927 Depth=1
	s_wait_alu 0xfffe
	s_or_b32 exec_lo, exec_lo, s13
.LBB303_1207:                           ;   in Loop: Header=BB303_927 Depth=1
	s_wait_alu 0xfffe
	s_or_b32 exec_lo, exec_lo, s12
	v_lshrrev_b32_e32 v0, 16, v10
	v_mov_b32_e32 v87, 0
	s_mov_b32 s12, exec_lo
	s_delay_alu instid0(VALU_DEP_2) | instskip(NEXT) | instid1(VALU_DEP_1)
	v_dual_mov_b32 v96, 0 :: v_dual_and_b32 v97, 0xff, v0
	v_cmpx_ne_u16_e32 0, v97
	s_cbranch_execz .LBB303_1215
; %bb.1208:                             ;   in Loop: Header=BB303_927 Depth=1
	v_mov_b32_e32 v96, 0x8000
	s_mov_b32 s13, exec_lo
	v_cmpx_ne_u16_e32 0x80, v97
	s_cbranch_execz .LBB303_1214
; %bb.1209:                             ;   in Loop: Header=BB303_927 Depth=1
	v_bfe_u32 v98, v10, 16, 7
	v_mov_b32_e32 v96, 0x7c01
	s_mov_b32 s14, exec_lo
	s_delay_alu instid0(VALU_DEP_2)
	v_cmpx_ne_u32_e32 0x7f, v98
	s_cbranch_execz .LBB303_1213
; %bb.1210:                             ;   in Loop: Header=BB303_927 Depth=1
	v_and_b32_e32 v96, 7, v0
	v_lshrrev_b32_e32 v97, 3, v98
	s_mov_b32 s15, exec_lo
	v_cmpx_gt_u32_e32 8, v98
; %bb.1211:                             ;   in Loop: Header=BB303_927 Depth=1
	s_delay_alu instid0(VALU_DEP_3) | instskip(NEXT) | instid1(VALU_DEP_1)
	v_clz_i32_u32_e32 v96, v96
	v_min_u32_e32 v98, 32, v96
	s_delay_alu instid0(VALU_DEP_1) | instskip(NEXT) | instid1(VALU_DEP_1)
	v_subrev_nc_u32_e32 v96, 28, v98
	v_lshlrev_b64_e32 v[96:97], v96, v[0:1]
	v_sub_nc_u32_e32 v97, 29, v98
	s_delay_alu instid0(VALU_DEP_2)
	v_and_b32_e32 v96, 7, v96
; %bb.1212:                             ;   in Loop: Header=BB303_927 Depth=1
	s_wait_alu 0xfffe
	s_or_b32 exec_lo, exec_lo, s15
	v_lshlrev_b32_e32 v0, 8, v0
	v_lshl_add_u32 v97, v97, 10, 0x2000
	v_lshlrev_b32_e32 v96, 7, v96
	s_delay_alu instid0(VALU_DEP_3) | instskip(NEXT) | instid1(VALU_DEP_3)
	v_and_b32_e32 v0, 0x8000, v0
	v_and_b32_e32 v97, 0xfc00, v97
	s_delay_alu instid0(VALU_DEP_1)
	v_or3_b32 v96, v0, v97, v96
.LBB303_1213:                           ;   in Loop: Header=BB303_927 Depth=1
	s_wait_alu 0xfffe
	s_or_b32 exec_lo, exec_lo, s14
.LBB303_1214:                           ;   in Loop: Header=BB303_927 Depth=1
	s_wait_alu 0xfffe
	s_or_b32 exec_lo, exec_lo, s13
.LBB303_1215:                           ;   in Loop: Header=BB303_927 Depth=1
	s_wait_alu 0xfffe
	s_or_b32 exec_lo, exec_lo, s12
	s_delay_alu instid0(SALU_CYCLE_1)
	s_mov_b32 s12, exec_lo
	v_cmpx_lt_u32_e32 0xffffff, v10
	s_cbranch_execz .LBB303_1223
; %bb.1216:                             ;   in Loop: Header=BB303_927 Depth=1
	v_lshrrev_b32_e32 v0, 24, v10
	v_bfrev_b32_e32 v87, 1
	s_mov_b32 s13, exec_lo
	s_delay_alu instid0(VALU_DEP_2)
	v_cmpx_ne_u32_e32 0x80, v0
	s_cbranch_execz .LBB303_1222
; %bb.1217:                             ;   in Loop: Header=BB303_927 Depth=1
	v_and_b32_e32 v98, 0x7f, v0
	v_mov_b32_e32 v87, 0x7c010000
	s_mov_b32 s14, exec_lo
	s_delay_alu instid0(VALU_DEP_2)
	v_cmpx_ne_u32_e32 0x7f, v98
	s_cbranch_execz .LBB303_1221
; %bb.1218:                             ;   in Loop: Header=BB303_927 Depth=1
	v_and_b32_e32 v87, 7, v0
	v_lshrrev_b32_e32 v97, 3, v98
	s_mov_b32 s15, exec_lo
	v_cmpx_gt_u32_e32 8, v98
; %bb.1219:                             ;   in Loop: Header=BB303_927 Depth=1
	s_delay_alu instid0(VALU_DEP_3) | instskip(NEXT) | instid1(VALU_DEP_1)
	v_clz_i32_u32_e32 v87, v87
	v_min_u32_e32 v87, 32, v87
	s_delay_alu instid0(VALU_DEP_1) | instskip(NEXT) | instid1(VALU_DEP_1)
	v_subrev_nc_u32_e32 v97, 28, v87
	v_lshlrev_b64_e32 v[98:99], v97, v[0:1]
	v_sub_nc_u32_e32 v97, 29, v87
	s_delay_alu instid0(VALU_DEP_2)
	v_and_b32_e32 v87, 7, v98
; %bb.1220:                             ;   in Loop: Header=BB303_927 Depth=1
	s_wait_alu 0xfffe
	s_or_b32 exec_lo, exec_lo, s15
	v_lshlrev_b32_e32 v0, 8, v0
	v_lshl_add_u32 v97, v97, 10, 0x2000
	v_lshlrev_b32_e32 v87, 23, v87
	s_delay_alu instid0(VALU_DEP_2) | instskip(NEXT) | instid1(VALU_DEP_1)
	v_and_or_b32 v0, 0x8000, v0, v97
	v_lshl_or_b32 v87, v0, 16, v87
.LBB303_1221:                           ;   in Loop: Header=BB303_927 Depth=1
	s_wait_alu 0xfffe
	s_or_b32 exec_lo, exec_lo, s14
.LBB303_1222:                           ;   in Loop: Header=BB303_927 Depth=1
	s_wait_alu 0xfffe
	s_or_b32 exec_lo, exec_lo, s13
.LBB303_1223:                           ;   in Loop: Header=BB303_927 Depth=1
	s_wait_alu 0xfffe
	s_or_b32 exec_lo, exec_lo, s12
	v_dual_mov_b32 v0, v11 :: v_dual_and_b32 v99, 0xff, v11
	v_dual_mov_b32 v97, 0 :: v_dual_mov_b32 v98, 0
	s_mov_b32 s12, exec_lo
	s_delay_alu instid0(VALU_DEP_2)
	v_cmpx_ne_u16_e32 0, v99
	s_cbranch_execz .LBB303_1231
; %bb.1224:                             ;   in Loop: Header=BB303_927 Depth=1
	v_mov_b32_e32 v98, 0x8000
	s_mov_b32 s13, exec_lo
	v_cmpx_ne_u16_e32 0x80, v99
	s_cbranch_execz .LBB303_1230
; %bb.1225:                             ;   in Loop: Header=BB303_927 Depth=1
	v_and_b32_e32 v100, 0x7f, v11
	v_mov_b32_e32 v98, 0x7c01
	s_mov_b32 s14, exec_lo
	s_delay_alu instid0(VALU_DEP_2)
	v_cmpx_ne_u32_e32 0x7f, v100
	s_cbranch_execz .LBB303_1229
; %bb.1226:                             ;   in Loop: Header=BB303_927 Depth=1
	v_and_b32_e32 v98, 7, v11
	v_lshrrev_b32_e32 v99, 3, v100
	s_mov_b32 s15, exec_lo
	v_cmpx_gt_u32_e32 8, v100
; %bb.1227:                             ;   in Loop: Header=BB303_927 Depth=1
	s_delay_alu instid0(VALU_DEP_3) | instskip(NEXT) | instid1(VALU_DEP_1)
	v_clz_i32_u32_e32 v98, v98
	v_min_u32_e32 v100, 32, v98
	s_delay_alu instid0(VALU_DEP_1) | instskip(NEXT) | instid1(VALU_DEP_1)
	v_subrev_nc_u32_e32 v98, 28, v100
	v_lshlrev_b64_e32 v[98:99], v98, v[0:1]
	v_sub_nc_u32_e32 v99, 29, v100
	s_delay_alu instid0(VALU_DEP_2)
	v_and_b32_e32 v98, 7, v98
; %bb.1228:                             ;   in Loop: Header=BB303_927 Depth=1
	s_wait_alu 0xfffe
	s_or_b32 exec_lo, exec_lo, s15
	v_lshlrev_b32_e32 v100, 8, v11
	v_lshl_add_u32 v99, v99, 10, 0x2000
	v_lshlrev_b32_e32 v98, 7, v98
	s_delay_alu instid0(VALU_DEP_3) | instskip(NEXT) | instid1(VALU_DEP_3)
	v_and_b32_e32 v100, 0x8000, v100
	v_and_b32_e32 v99, 0xfc00, v99
	s_delay_alu instid0(VALU_DEP_1)
	v_or3_b32 v98, v100, v99, v98
.LBB303_1229:                           ;   in Loop: Header=BB303_927 Depth=1
	s_wait_alu 0xfffe
	s_or_b32 exec_lo, exec_lo, s14
.LBB303_1230:                           ;   in Loop: Header=BB303_927 Depth=1
	s_wait_alu 0xfffe
	s_or_b32 exec_lo, exec_lo, s13
.LBB303_1231:                           ;   in Loop: Header=BB303_927 Depth=1
	s_wait_alu 0xfffe
	s_or_b32 exec_lo, exec_lo, s12
	v_lshrrev_b16 v0, 8, v0
	v_mov_b32_e32 v99, 0
	s_mov_b32 s12, exec_lo
	s_delay_alu instid0(VALU_DEP_2)
	v_cmpx_ne_u16_e32 0, v0
	s_cbranch_execz .LBB303_1239
; %bb.1232:                             ;   in Loop: Header=BB303_927 Depth=1
	v_bfrev_b32_e32 v99, 1
	s_mov_b32 s13, exec_lo
	v_cmpx_ne_u16_e32 0x80, v0
	s_cbranch_execz .LBB303_1238
; %bb.1233:                             ;   in Loop: Header=BB303_927 Depth=1
	v_and_b32_e32 v100, 0xffff, v0
	v_mov_b32_e32 v99, 0x7c010000
	s_mov_b32 s14, exec_lo
	s_delay_alu instid0(VALU_DEP_2) | instskip(NEXT) | instid1(VALU_DEP_1)
	v_and_b32_e32 v102, 0x7f, v100
	v_cmpx_ne_u32_e32 0x7f, v102
	s_cbranch_execz .LBB303_1237
; %bb.1234:                             ;   in Loop: Header=BB303_927 Depth=1
	v_and_b32_e32 v99, 7, v100
	v_lshrrev_b32_e32 v101, 3, v102
	s_mov_b32 s15, exec_lo
	v_cmpx_gt_u32_e32 8, v102
; %bb.1235:                             ;   in Loop: Header=BB303_927 Depth=1
	s_delay_alu instid0(VALU_DEP_3) | instskip(NEXT) | instid1(VALU_DEP_1)
	v_clz_i32_u32_e32 v99, v99
	v_min_u32_e32 v99, 32, v99
	s_delay_alu instid0(VALU_DEP_1) | instskip(NEXT) | instid1(VALU_DEP_1)
	v_subrev_nc_u32_e32 v101, 28, v99
	v_lshlrev_b64_e32 v[102:103], v101, v[0:1]
	v_sub_nc_u32_e32 v101, 29, v99
	s_delay_alu instid0(VALU_DEP_2)
	v_and_b32_e32 v99, 7, v102
; %bb.1236:                             ;   in Loop: Header=BB303_927 Depth=1
	s_wait_alu 0xfffe
	s_or_b32 exec_lo, exec_lo, s15
	v_lshlrev_b32_e32 v0, 8, v100
	v_lshl_add_u32 v100, v101, 10, 0x2000
	v_lshlrev_b32_e32 v99, 23, v99
	s_delay_alu instid0(VALU_DEP_2) | instskip(NEXT) | instid1(VALU_DEP_1)
	v_and_or_b32 v0, 0x8000, v0, v100
	v_lshl_or_b32 v99, v0, 16, v99
.LBB303_1237:                           ;   in Loop: Header=BB303_927 Depth=1
	s_wait_alu 0xfffe
	s_or_b32 exec_lo, exec_lo, s14
.LBB303_1238:                           ;   in Loop: Header=BB303_927 Depth=1
	s_wait_alu 0xfffe
	s_or_b32 exec_lo, exec_lo, s13
.LBB303_1239:                           ;   in Loop: Header=BB303_927 Depth=1
	s_wait_alu 0xfffe
	s_or_b32 exec_lo, exec_lo, s12
	v_lshrrev_b32_e32 v0, 16, v11
	s_mov_b32 s12, exec_lo
	s_delay_alu instid0(VALU_DEP_1) | instskip(NEXT) | instid1(VALU_DEP_1)
	v_and_b32_e32 v100, 0xff, v0
	v_cmpx_ne_u16_e32 0, v100
	s_cbranch_execz .LBB303_1247
; %bb.1240:                             ;   in Loop: Header=BB303_927 Depth=1
	v_mov_b32_e32 v97, 0x8000
	s_mov_b32 s13, exec_lo
	v_cmpx_ne_u16_e32 0x80, v100
	s_cbranch_execz .LBB303_1246
; %bb.1241:                             ;   in Loop: Header=BB303_927 Depth=1
	v_bfe_u32 v101, v11, 16, 7
	v_mov_b32_e32 v97, 0x7c01
	s_mov_b32 s14, exec_lo
	s_delay_alu instid0(VALU_DEP_2)
	v_cmpx_ne_u32_e32 0x7f, v101
	s_cbranch_execz .LBB303_1245
; %bb.1242:                             ;   in Loop: Header=BB303_927 Depth=1
	v_and_b32_e32 v97, 7, v0
	v_lshrrev_b32_e32 v100, 3, v101
	s_mov_b32 s15, exec_lo
	v_cmpx_gt_u32_e32 8, v101
; %bb.1243:                             ;   in Loop: Header=BB303_927 Depth=1
	s_delay_alu instid0(VALU_DEP_3) | instskip(NEXT) | instid1(VALU_DEP_1)
	v_clz_i32_u32_e32 v97, v97
	v_min_u32_e32 v97, 32, v97
	s_delay_alu instid0(VALU_DEP_1) | instskip(NEXT) | instid1(VALU_DEP_1)
	v_subrev_nc_u32_e32 v100, 28, v97
	v_lshlrev_b64_e32 v[101:102], v100, v[0:1]
	v_sub_nc_u32_e32 v100, 29, v97
	s_delay_alu instid0(VALU_DEP_2)
	v_and_b32_e32 v97, 7, v101
; %bb.1244:                             ;   in Loop: Header=BB303_927 Depth=1
	s_wait_alu 0xfffe
	s_or_b32 exec_lo, exec_lo, s15
	v_lshlrev_b32_e32 v0, 8, v0
	v_lshl_add_u32 v100, v100, 10, 0x2000
	v_lshlrev_b32_e32 v97, 7, v97
	s_delay_alu instid0(VALU_DEP_3) | instskip(NEXT) | instid1(VALU_DEP_3)
	v_and_b32_e32 v0, 0x8000, v0
	v_and_b32_e32 v100, 0xfc00, v100
	s_delay_alu instid0(VALU_DEP_1)
	v_or3_b32 v97, v0, v100, v97
.LBB303_1245:                           ;   in Loop: Header=BB303_927 Depth=1
	s_wait_alu 0xfffe
	s_or_b32 exec_lo, exec_lo, s14
.LBB303_1246:                           ;   in Loop: Header=BB303_927 Depth=1
	s_wait_alu 0xfffe
	s_or_b32 exec_lo, exec_lo, s13
.LBB303_1247:                           ;   in Loop: Header=BB303_927 Depth=1
	s_wait_alu 0xfffe
	s_or_b32 exec_lo, exec_lo, s12
	v_cmp_lt_u64_e64 s0, s[8:9], v[10:11]
	v_mov_b32_e32 v10, 0
	s_and_saveexec_b32 s12, s0
	s_cbranch_execz .LBB303_1255
; %bb.1248:                             ;   in Loop: Header=BB303_927 Depth=1
	v_lshrrev_b32_e32 v0, 24, v11
	v_bfrev_b32_e32 v10, 1
	s_mov_b32 s13, exec_lo
	s_delay_alu instid0(VALU_DEP_2)
	v_cmpx_ne_u32_e32 0x80, v0
	s_cbranch_execz .LBB303_1254
; %bb.1249:                             ;   in Loop: Header=BB303_927 Depth=1
	v_and_b32_e32 v100, 0x7f, v0
	v_mov_b32_e32 v10, 0x7c010000
	s_mov_b32 s14, exec_lo
	s_delay_alu instid0(VALU_DEP_2)
	v_cmpx_ne_u32_e32 0x7f, v100
	s_cbranch_execz .LBB303_1253
; %bb.1250:                             ;   in Loop: Header=BB303_927 Depth=1
	v_and_b32_e32 v10, 7, v0
	v_lshrrev_b32_e32 v11, 3, v100
	s_mov_b32 s15, exec_lo
	v_cmpx_gt_u32_e32 8, v100
; %bb.1251:                             ;   in Loop: Header=BB303_927 Depth=1
	s_delay_alu instid0(VALU_DEP_3) | instskip(NEXT) | instid1(VALU_DEP_1)
	v_clz_i32_u32_e32 v10, v10
	v_min_u32_e32 v100, 32, v10
	s_delay_alu instid0(VALU_DEP_1) | instskip(NEXT) | instid1(VALU_DEP_1)
	v_subrev_nc_u32_e32 v10, 28, v100
	v_lshlrev_b64_e32 v[10:11], v10, v[0:1]
	v_sub_nc_u32_e32 v11, 29, v100
	s_delay_alu instid0(VALU_DEP_2)
	v_and_b32_e32 v10, 7, v10
; %bb.1252:                             ;   in Loop: Header=BB303_927 Depth=1
	s_wait_alu 0xfffe
	s_or_b32 exec_lo, exec_lo, s15
	v_lshlrev_b32_e32 v0, 8, v0
	v_lshl_add_u32 v11, v11, 10, 0x2000
	v_lshlrev_b32_e32 v10, 23, v10
	s_delay_alu instid0(VALU_DEP_2) | instskip(NEXT) | instid1(VALU_DEP_1)
	v_and_or_b32 v0, 0x8000, v0, v11
	v_lshl_or_b32 v10, v0, 16, v10
.LBB303_1253:                           ;   in Loop: Header=BB303_927 Depth=1
	s_wait_alu 0xfffe
	s_or_b32 exec_lo, exec_lo, s14
.LBB303_1254:                           ;   in Loop: Header=BB303_927 Depth=1
	s_wait_alu 0xfffe
	s_or_b32 exec_lo, exec_lo, s13
.LBB303_1255:                           ;   in Loop: Header=BB303_927 Depth=1
	s_wait_alu 0xfffe
	s_or_b32 exec_lo, exec_lo, s12
	v_or_b32_e32 v0, v87, v96
	s_wait_loadcnt_dscnt 0x0
	v_fma_mixlo_f16 v11, v84, v87, 0 op_sel:[0,1,0] op_sel_hi:[0,1,0]
	v_or_b32_e32 v87, v85, v86
	v_fma_mixlo_f16 v85, v84, v85, 0 op_sel:[0,1,0] op_sel_hi:[0,1,0]
	v_or_b32_e32 v96, v99, v98
	v_or_b32_e32 v97, v10, v97
	v_fma_mixlo_f16 v98, v84, v0, 0 op_sel_hi:[0,1,0]
	v_fma_mixlo_f16 v10, v84, v10, 0 op_sel:[0,1,0] op_sel_hi:[0,1,0]
	v_lshlrev_b32_e32 v86, 16, v85
	v_fma_mixlo_f16 v85, v84, v87, 0 op_sel_hi:[0,1,0]
	v_fma_mixlo_f16 v87, v84, v99, 0 op_sel:[0,1,0] op_sel_hi:[0,1,0]
	v_fma_mixlo_f16 v96, v84, v96, 0 op_sel_hi:[0,1,0]
	v_fma_mixlo_f16 v97, v84, v97, 0 op_sel_hi:[0,1,0]
	v_lshlrev_b32_e32 v0, 16, v11
	v_and_b32_e32 v11, 0xffff, v98
	v_and_b32_e32 v100, 0xffff, v85
	v_lshlrev_b32_e32 v84, 16, v87
	v_and_b32_e32 v96, 0xffff, v96
	v_lshlrev_b32_e32 v10, 16, v10
	v_and_b32_e32 v85, 0xffff, v97
	v_or_b32_e32 v87, v0, v11
	v_or_b32_e32 v99, v86, v100
	v_or_b32_e32 v98, v84, v96
	s_delay_alu instid0(VALU_DEP_4)
	v_or_b32_e32 v97, v10, v85
	s_and_saveexec_b32 s12, vcc_lo
	s_cbranch_execz .LBB303_1257
; %bb.1256:                             ;   in Loop: Header=BB303_927 Depth=1
	v_cmp_lt_i32_e64 s0, v35, v30
	s_wait_alu 0xf1ff
	s_delay_alu instid0(VALU_DEP_1) | instskip(SKIP_2) | instid1(VALU_DEP_1)
	v_cndmask_b32_e64 v87, 0, v100, s0
	v_cmp_lt_i32_e64 s0, v69, v30
	s_wait_alu 0xf1ff
	v_cndmask_b32_e64 v86, 0, v86, s0
	v_cmp_lt_i32_e64 s0, v68, v30
	s_delay_alu instid0(VALU_DEP_2) | instskip(SKIP_1) | instid1(VALU_DEP_2)
	v_or_b32_e32 v99, v87, v86
	s_wait_alu 0xf1ff
	v_cndmask_b32_e64 v11, 0, v11, s0
	v_cmp_lt_i32_e64 s0, v67, v30
	s_wait_alu 0xf1ff
	s_delay_alu instid0(VALU_DEP_1) | instskip(SKIP_1) | instid1(VALU_DEP_2)
	v_cndmask_b32_e64 v0, 0, v0, s0
	v_cmp_lt_i32_e64 s0, v66, v30
	v_or_b32_e32 v87, v11, v0
	s_wait_alu 0xf1ff
	s_delay_alu instid0(VALU_DEP_2) | instskip(SKIP_2) | instid1(VALU_DEP_1)
	v_cndmask_b32_e64 v96, 0, v96, s0
	v_cmp_lt_i32_e64 s0, v65, v30
	s_wait_alu 0xf1ff
	v_cndmask_b32_e64 v84, 0, v84, s0
	v_cmp_lt_i32_e64 s0, v64, v30
	s_delay_alu instid0(VALU_DEP_2) | instskip(SKIP_1) | instid1(VALU_DEP_2)
	v_or_b32_e32 v98, v96, v84
	s_wait_alu 0xf1ff
	v_cndmask_b32_e64 v85, 0, v85, s0
	v_cmp_lt_i32_e64 s0, v14, v30
	s_wait_alu 0xf1ff
	s_delay_alu instid0(VALU_DEP_1) | instskip(NEXT) | instid1(VALU_DEP_1)
	v_cndmask_b32_e64 v10, 0, v10, s0
	v_or_b32_e32 v97, v85, v10
.LBB303_1257:                           ;   in Loop: Header=BB303_927 Depth=1
	s_wait_alu 0xfffe
	s_or_b32 exec_lo, exec_lo, s12
	;;#ASMSTART
	v_pk_mul_f16 v0, v54, v99;

	;;#ASMEND
	;;#ASMSTART
	v_pk_mul_f16 v10, v52, v87;

	;;#ASMEND
	;; [unrolled: 4-line block ×4, first 2 shown]
	;;#ASMSTART
	v_pk_add_f16 v0, v0, v10;

	;;#ASMEND
	;;#ASMSTART
	v_pk_add_f16 v0, v0, v11;

	;;#ASMEND
	;; [unrolled: 4-line block ×3, first 2 shown]
	v_dual_mov_b32 v87, 0 :: v_dual_and_b32 v10, 0xffff, v0
	v_lshrrev_b32_e32 v0, 16, v0
	;;#ASMSTART
	v_cvt_f32_f16 v84, v10;
	;;#ASMEND
	;;#ASMSTART
	v_cvt_f32_f16 v85, v0;
	;;#ASMEND
	flat_load_b64 v[10:11], v[8:9] offset:1280
	flat_load_b32 v86, v[26:27]
	v_mov_b32_e32 v96, 0
	s_mov_b32 s12, exec_lo
	s_wait_loadcnt_dscnt 0x101
	v_and_b32_e32 v0, 0xff, v10
	s_delay_alu instid0(VALU_DEP_1)
	v_cmpx_ne_u16_e32 0, v0
	s_cbranch_execz .LBB303_1265
; %bb.1258:                             ;   in Loop: Header=BB303_927 Depth=1
	v_mov_b32_e32 v96, 0x8000
	s_mov_b32 s13, exec_lo
	v_cmpx_ne_u16_e32 0x80, v0
	s_cbranch_execz .LBB303_1264
; %bb.1259:                             ;   in Loop: Header=BB303_927 Depth=1
	v_and_b32_e32 v97, 0x7f, v10
	v_mov_b32_e32 v96, 0x7c01
	s_mov_b32 s14, exec_lo
	s_delay_alu instid0(VALU_DEP_2)
	v_cmpx_ne_u32_e32 0x7f, v97
	s_cbranch_execz .LBB303_1263
; %bb.1260:                             ;   in Loop: Header=BB303_927 Depth=1
	v_and_b32_e32 v0, 7, v10
	v_lshrrev_b32_e32 v96, 3, v97
	s_mov_b32 s15, exec_lo
	v_cmpx_gt_u32_e32 8, v97
; %bb.1261:                             ;   in Loop: Header=BB303_927 Depth=1
	s_delay_alu instid0(VALU_DEP_3) | instskip(NEXT) | instid1(VALU_DEP_1)
	v_clz_i32_u32_e32 v0, v0
	v_min_u32_e32 v0, 32, v0
	s_delay_alu instid0(VALU_DEP_1) | instskip(NEXT) | instid1(VALU_DEP_1)
	v_subrev_nc_u32_e32 v96, 28, v0
	v_lshlrev_b64_e32 v[97:98], v96, v[10:11]
	v_sub_nc_u32_e32 v96, 29, v0
	s_delay_alu instid0(VALU_DEP_2)
	v_and_b32_e32 v0, 7, v97
; %bb.1262:                             ;   in Loop: Header=BB303_927 Depth=1
	s_wait_alu 0xfffe
	s_or_b32 exec_lo, exec_lo, s15
	v_lshlrev_b32_e32 v97, 8, v10
	v_lshl_add_u32 v96, v96, 10, 0x2000
	v_lshlrev_b32_e32 v0, 7, v0
	s_delay_alu instid0(VALU_DEP_3) | instskip(NEXT) | instid1(VALU_DEP_3)
	v_and_b32_e32 v97, 0x8000, v97
	v_and_b32_e32 v96, 0xfc00, v96
	s_delay_alu instid0(VALU_DEP_1)
	v_or3_b32 v96, v97, v96, v0
.LBB303_1263:                           ;   in Loop: Header=BB303_927 Depth=1
	s_wait_alu 0xfffe
	s_or_b32 exec_lo, exec_lo, s14
.LBB303_1264:                           ;   in Loop: Header=BB303_927 Depth=1
	s_wait_alu 0xfffe
	s_or_b32 exec_lo, exec_lo, s13
.LBB303_1265:                           ;   in Loop: Header=BB303_927 Depth=1
	s_wait_alu 0xfffe
	s_or_b32 exec_lo, exec_lo, s12
	v_lshrrev_b16 v0, 8, v10
	s_mov_b32 s12, exec_lo
	s_delay_alu instid0(VALU_DEP_1)
	v_cmpx_ne_u16_e32 0, v0
	s_cbranch_execz .LBB303_1273
; %bb.1266:                             ;   in Loop: Header=BB303_927 Depth=1
	v_bfrev_b32_e32 v87, 1
	s_mov_b32 s13, exec_lo
	v_cmpx_ne_u16_e32 0x80, v0
	s_cbranch_execz .LBB303_1272
; %bb.1267:                             ;   in Loop: Header=BB303_927 Depth=1
	v_and_b32_e32 v97, 0xffff, v0
	v_mov_b32_e32 v87, 0x7c010000
	s_mov_b32 s14, exec_lo
	s_delay_alu instid0(VALU_DEP_2) | instskip(NEXT) | instid1(VALU_DEP_1)
	v_and_b32_e32 v99, 0x7f, v97
	v_cmpx_ne_u32_e32 0x7f, v99
	s_cbranch_execz .LBB303_1271
; %bb.1268:                             ;   in Loop: Header=BB303_927 Depth=1
	v_and_b32_e32 v87, 7, v97
	v_lshrrev_b32_e32 v98, 3, v99
	s_mov_b32 s15, exec_lo
	v_cmpx_gt_u32_e32 8, v99
; %bb.1269:                             ;   in Loop: Header=BB303_927 Depth=1
	s_delay_alu instid0(VALU_DEP_3) | instskip(NEXT) | instid1(VALU_DEP_1)
	v_clz_i32_u32_e32 v87, v87
	v_min_u32_e32 v87, 32, v87
	s_delay_alu instid0(VALU_DEP_1) | instskip(NEXT) | instid1(VALU_DEP_1)
	v_subrev_nc_u32_e32 v98, 28, v87
	v_lshlrev_b64_e32 v[99:100], v98, v[0:1]
	v_sub_nc_u32_e32 v98, 29, v87
	s_delay_alu instid0(VALU_DEP_2)
	v_and_b32_e32 v87, 7, v99
; %bb.1270:                             ;   in Loop: Header=BB303_927 Depth=1
	s_wait_alu 0xfffe
	s_or_b32 exec_lo, exec_lo, s15
	v_lshlrev_b32_e32 v0, 8, v97
	v_lshl_add_u32 v97, v98, 10, 0x2000
	v_lshlrev_b32_e32 v87, 23, v87
	s_delay_alu instid0(VALU_DEP_2) | instskip(NEXT) | instid1(VALU_DEP_1)
	v_and_or_b32 v0, 0x8000, v0, v97
	v_lshl_or_b32 v87, v0, 16, v87
.LBB303_1271:                           ;   in Loop: Header=BB303_927 Depth=1
	s_wait_alu 0xfffe
	s_or_b32 exec_lo, exec_lo, s14
.LBB303_1272:                           ;   in Loop: Header=BB303_927 Depth=1
	s_wait_alu 0xfffe
	s_or_b32 exec_lo, exec_lo, s13
.LBB303_1273:                           ;   in Loop: Header=BB303_927 Depth=1
	s_wait_alu 0xfffe
	s_or_b32 exec_lo, exec_lo, s12
	v_lshrrev_b32_e32 v0, 16, v10
	v_mov_b32_e32 v97, 0
	s_mov_b32 s12, exec_lo
	s_delay_alu instid0(VALU_DEP_2) | instskip(NEXT) | instid1(VALU_DEP_1)
	v_dual_mov_b32 v98, 0 :: v_dual_and_b32 v99, 0xff, v0
	v_cmpx_ne_u16_e32 0, v99
	s_cbranch_execz .LBB303_1281
; %bb.1274:                             ;   in Loop: Header=BB303_927 Depth=1
	v_mov_b32_e32 v98, 0x8000
	s_mov_b32 s13, exec_lo
	v_cmpx_ne_u16_e32 0x80, v99
	s_cbranch_execz .LBB303_1280
; %bb.1275:                             ;   in Loop: Header=BB303_927 Depth=1
	v_bfe_u32 v100, v10, 16, 7
	v_mov_b32_e32 v98, 0x7c01
	s_mov_b32 s14, exec_lo
	s_delay_alu instid0(VALU_DEP_2)
	v_cmpx_ne_u32_e32 0x7f, v100
	s_cbranch_execz .LBB303_1279
; %bb.1276:                             ;   in Loop: Header=BB303_927 Depth=1
	v_and_b32_e32 v98, 7, v0
	v_lshrrev_b32_e32 v99, 3, v100
	s_mov_b32 s15, exec_lo
	v_cmpx_gt_u32_e32 8, v100
; %bb.1277:                             ;   in Loop: Header=BB303_927 Depth=1
	s_delay_alu instid0(VALU_DEP_3) | instskip(NEXT) | instid1(VALU_DEP_1)
	v_clz_i32_u32_e32 v98, v98
	v_min_u32_e32 v100, 32, v98
	s_delay_alu instid0(VALU_DEP_1) | instskip(NEXT) | instid1(VALU_DEP_1)
	v_subrev_nc_u32_e32 v98, 28, v100
	v_lshlrev_b64_e32 v[98:99], v98, v[0:1]
	v_sub_nc_u32_e32 v99, 29, v100
	s_delay_alu instid0(VALU_DEP_2)
	v_and_b32_e32 v98, 7, v98
; %bb.1278:                             ;   in Loop: Header=BB303_927 Depth=1
	s_wait_alu 0xfffe
	s_or_b32 exec_lo, exec_lo, s15
	v_lshlrev_b32_e32 v0, 8, v0
	v_lshl_add_u32 v99, v99, 10, 0x2000
	v_lshlrev_b32_e32 v98, 7, v98
	s_delay_alu instid0(VALU_DEP_3) | instskip(NEXT) | instid1(VALU_DEP_3)
	v_and_b32_e32 v0, 0x8000, v0
	v_and_b32_e32 v99, 0xfc00, v99
	s_delay_alu instid0(VALU_DEP_1)
	v_or3_b32 v98, v0, v99, v98
.LBB303_1279:                           ;   in Loop: Header=BB303_927 Depth=1
	s_wait_alu 0xfffe
	s_or_b32 exec_lo, exec_lo, s14
.LBB303_1280:                           ;   in Loop: Header=BB303_927 Depth=1
	s_wait_alu 0xfffe
	s_or_b32 exec_lo, exec_lo, s13
.LBB303_1281:                           ;   in Loop: Header=BB303_927 Depth=1
	s_wait_alu 0xfffe
	s_or_b32 exec_lo, exec_lo, s12
	s_delay_alu instid0(SALU_CYCLE_1)
	s_mov_b32 s12, exec_lo
	v_cmpx_lt_u32_e32 0xffffff, v10
	s_cbranch_execz .LBB303_1289
; %bb.1282:                             ;   in Loop: Header=BB303_927 Depth=1
	v_lshrrev_b32_e32 v0, 24, v10
	v_bfrev_b32_e32 v97, 1
	s_mov_b32 s13, exec_lo
	s_delay_alu instid0(VALU_DEP_2)
	v_cmpx_ne_u32_e32 0x80, v0
	s_cbranch_execz .LBB303_1288
; %bb.1283:                             ;   in Loop: Header=BB303_927 Depth=1
	v_and_b32_e32 v100, 0x7f, v0
	v_mov_b32_e32 v97, 0x7c010000
	s_mov_b32 s14, exec_lo
	s_delay_alu instid0(VALU_DEP_2)
	v_cmpx_ne_u32_e32 0x7f, v100
	s_cbranch_execz .LBB303_1287
; %bb.1284:                             ;   in Loop: Header=BB303_927 Depth=1
	v_and_b32_e32 v97, 7, v0
	v_lshrrev_b32_e32 v99, 3, v100
	s_mov_b32 s15, exec_lo
	v_cmpx_gt_u32_e32 8, v100
; %bb.1285:                             ;   in Loop: Header=BB303_927 Depth=1
	s_delay_alu instid0(VALU_DEP_3) | instskip(NEXT) | instid1(VALU_DEP_1)
	v_clz_i32_u32_e32 v97, v97
	v_min_u32_e32 v97, 32, v97
	s_delay_alu instid0(VALU_DEP_1) | instskip(NEXT) | instid1(VALU_DEP_1)
	v_subrev_nc_u32_e32 v99, 28, v97
	v_lshlrev_b64_e32 v[100:101], v99, v[0:1]
	v_sub_nc_u32_e32 v99, 29, v97
	s_delay_alu instid0(VALU_DEP_2)
	v_and_b32_e32 v97, 7, v100
; %bb.1286:                             ;   in Loop: Header=BB303_927 Depth=1
	s_wait_alu 0xfffe
	s_or_b32 exec_lo, exec_lo, s15
	v_lshlrev_b32_e32 v0, 8, v0
	v_lshl_add_u32 v99, v99, 10, 0x2000
	v_lshlrev_b32_e32 v97, 23, v97
	s_delay_alu instid0(VALU_DEP_2) | instskip(NEXT) | instid1(VALU_DEP_1)
	v_and_or_b32 v0, 0x8000, v0, v99
	v_lshl_or_b32 v97, v0, 16, v97
.LBB303_1287:                           ;   in Loop: Header=BB303_927 Depth=1
	s_wait_alu 0xfffe
	s_or_b32 exec_lo, exec_lo, s14
.LBB303_1288:                           ;   in Loop: Header=BB303_927 Depth=1
	s_wait_alu 0xfffe
	s_or_b32 exec_lo, exec_lo, s13
.LBB303_1289:                           ;   in Loop: Header=BB303_927 Depth=1
	s_wait_alu 0xfffe
	s_or_b32 exec_lo, exec_lo, s12
	v_dual_mov_b32 v0, v11 :: v_dual_and_b32 v101, 0xff, v11
	v_dual_mov_b32 v99, 0 :: v_dual_mov_b32 v100, 0
	s_mov_b32 s12, exec_lo
	s_delay_alu instid0(VALU_DEP_2)
	v_cmpx_ne_u16_e32 0, v101
	s_cbranch_execz .LBB303_1297
; %bb.1290:                             ;   in Loop: Header=BB303_927 Depth=1
	v_mov_b32_e32 v100, 0x8000
	s_mov_b32 s13, exec_lo
	v_cmpx_ne_u16_e32 0x80, v101
	s_cbranch_execz .LBB303_1296
; %bb.1291:                             ;   in Loop: Header=BB303_927 Depth=1
	v_and_b32_e32 v102, 0x7f, v11
	v_mov_b32_e32 v100, 0x7c01
	s_mov_b32 s14, exec_lo
	s_delay_alu instid0(VALU_DEP_2)
	v_cmpx_ne_u32_e32 0x7f, v102
	s_cbranch_execz .LBB303_1295
; %bb.1292:                             ;   in Loop: Header=BB303_927 Depth=1
	v_and_b32_e32 v100, 7, v11
	v_lshrrev_b32_e32 v101, 3, v102
	s_mov_b32 s15, exec_lo
	v_cmpx_gt_u32_e32 8, v102
; %bb.1293:                             ;   in Loop: Header=BB303_927 Depth=1
	s_delay_alu instid0(VALU_DEP_3) | instskip(NEXT) | instid1(VALU_DEP_1)
	v_clz_i32_u32_e32 v100, v100
	v_min_u32_e32 v102, 32, v100
	s_delay_alu instid0(VALU_DEP_1) | instskip(NEXT) | instid1(VALU_DEP_1)
	v_subrev_nc_u32_e32 v100, 28, v102
	v_lshlrev_b64_e32 v[100:101], v100, v[0:1]
	v_sub_nc_u32_e32 v101, 29, v102
	s_delay_alu instid0(VALU_DEP_2)
	v_and_b32_e32 v100, 7, v100
; %bb.1294:                             ;   in Loop: Header=BB303_927 Depth=1
	s_wait_alu 0xfffe
	s_or_b32 exec_lo, exec_lo, s15
	v_lshlrev_b32_e32 v102, 8, v11
	v_lshl_add_u32 v101, v101, 10, 0x2000
	v_lshlrev_b32_e32 v100, 7, v100
	s_delay_alu instid0(VALU_DEP_3) | instskip(NEXT) | instid1(VALU_DEP_3)
	v_and_b32_e32 v102, 0x8000, v102
	v_and_b32_e32 v101, 0xfc00, v101
	s_delay_alu instid0(VALU_DEP_1)
	v_or3_b32 v100, v102, v101, v100
.LBB303_1295:                           ;   in Loop: Header=BB303_927 Depth=1
	s_wait_alu 0xfffe
	s_or_b32 exec_lo, exec_lo, s14
.LBB303_1296:                           ;   in Loop: Header=BB303_927 Depth=1
	s_wait_alu 0xfffe
	s_or_b32 exec_lo, exec_lo, s13
.LBB303_1297:                           ;   in Loop: Header=BB303_927 Depth=1
	s_wait_alu 0xfffe
	s_or_b32 exec_lo, exec_lo, s12
	v_lshrrev_b16 v0, 8, v0
	v_mov_b32_e32 v101, 0
	s_mov_b32 s12, exec_lo
	s_delay_alu instid0(VALU_DEP_2)
	v_cmpx_ne_u16_e32 0, v0
	s_cbranch_execz .LBB303_1305
; %bb.1298:                             ;   in Loop: Header=BB303_927 Depth=1
	v_bfrev_b32_e32 v101, 1
	s_mov_b32 s13, exec_lo
	v_cmpx_ne_u16_e32 0x80, v0
	s_cbranch_execz .LBB303_1304
; %bb.1299:                             ;   in Loop: Header=BB303_927 Depth=1
	v_and_b32_e32 v102, 0xffff, v0
	v_mov_b32_e32 v101, 0x7c010000
	s_mov_b32 s14, exec_lo
	s_delay_alu instid0(VALU_DEP_2) | instskip(NEXT) | instid1(VALU_DEP_1)
	v_and_b32_e32 v112, 0x7f, v102
	v_cmpx_ne_u32_e32 0x7f, v112
	s_cbranch_execz .LBB303_1303
; %bb.1300:                             ;   in Loop: Header=BB303_927 Depth=1
	v_and_b32_e32 v101, 7, v102
	v_lshrrev_b32_e32 v103, 3, v112
	s_mov_b32 s15, exec_lo
	v_cmpx_gt_u32_e32 8, v112
; %bb.1301:                             ;   in Loop: Header=BB303_927 Depth=1
	s_delay_alu instid0(VALU_DEP_3) | instskip(NEXT) | instid1(VALU_DEP_1)
	v_clz_i32_u32_e32 v101, v101
	v_min_u32_e32 v101, 32, v101
	s_delay_alu instid0(VALU_DEP_1) | instskip(NEXT) | instid1(VALU_DEP_1)
	v_subrev_nc_u32_e32 v103, 28, v101
	v_lshlrev_b64_e32 v[112:113], v103, v[0:1]
	v_sub_nc_u32_e32 v103, 29, v101
	s_delay_alu instid0(VALU_DEP_2)
	v_and_b32_e32 v101, 7, v112
; %bb.1302:                             ;   in Loop: Header=BB303_927 Depth=1
	s_wait_alu 0xfffe
	s_or_b32 exec_lo, exec_lo, s15
	v_lshlrev_b32_e32 v0, 8, v102
	v_lshl_add_u32 v102, v103, 10, 0x2000
	v_lshlrev_b32_e32 v101, 23, v101
	s_delay_alu instid0(VALU_DEP_2) | instskip(NEXT) | instid1(VALU_DEP_1)
	v_and_or_b32 v0, 0x8000, v0, v102
	v_lshl_or_b32 v101, v0, 16, v101
.LBB303_1303:                           ;   in Loop: Header=BB303_927 Depth=1
	s_wait_alu 0xfffe
	s_or_b32 exec_lo, exec_lo, s14
.LBB303_1304:                           ;   in Loop: Header=BB303_927 Depth=1
	s_wait_alu 0xfffe
	s_or_b32 exec_lo, exec_lo, s13
.LBB303_1305:                           ;   in Loop: Header=BB303_927 Depth=1
	s_wait_alu 0xfffe
	s_or_b32 exec_lo, exec_lo, s12
	v_lshrrev_b32_e32 v0, 16, v11
	s_mov_b32 s12, exec_lo
	s_delay_alu instid0(VALU_DEP_1) | instskip(NEXT) | instid1(VALU_DEP_1)
	v_and_b32_e32 v102, 0xff, v0
	v_cmpx_ne_u16_e32 0, v102
	s_cbranch_execz .LBB303_1313
; %bb.1306:                             ;   in Loop: Header=BB303_927 Depth=1
	v_mov_b32_e32 v99, 0x8000
	s_mov_b32 s13, exec_lo
	v_cmpx_ne_u16_e32 0x80, v102
	s_cbranch_execz .LBB303_1312
; %bb.1307:                             ;   in Loop: Header=BB303_927 Depth=1
	v_bfe_u32 v103, v11, 16, 7
	v_mov_b32_e32 v99, 0x7c01
	s_mov_b32 s14, exec_lo
	s_delay_alu instid0(VALU_DEP_2)
	v_cmpx_ne_u32_e32 0x7f, v103
	s_cbranch_execz .LBB303_1311
; %bb.1308:                             ;   in Loop: Header=BB303_927 Depth=1
	v_and_b32_e32 v99, 7, v0
	v_lshrrev_b32_e32 v102, 3, v103
	s_mov_b32 s15, exec_lo
	v_cmpx_gt_u32_e32 8, v103
; %bb.1309:                             ;   in Loop: Header=BB303_927 Depth=1
	s_delay_alu instid0(VALU_DEP_3) | instskip(NEXT) | instid1(VALU_DEP_1)
	v_clz_i32_u32_e32 v99, v99
	v_min_u32_e32 v99, 32, v99
	s_delay_alu instid0(VALU_DEP_1) | instskip(NEXT) | instid1(VALU_DEP_1)
	v_subrev_nc_u32_e32 v102, 28, v99
	v_lshlrev_b64_e32 v[112:113], v102, v[0:1]
	v_sub_nc_u32_e32 v102, 29, v99
	s_delay_alu instid0(VALU_DEP_2)
	v_and_b32_e32 v99, 7, v112
; %bb.1310:                             ;   in Loop: Header=BB303_927 Depth=1
	s_wait_alu 0xfffe
	s_or_b32 exec_lo, exec_lo, s15
	v_lshlrev_b32_e32 v0, 8, v0
	v_lshl_add_u32 v102, v102, 10, 0x2000
	v_lshlrev_b32_e32 v99, 7, v99
	s_delay_alu instid0(VALU_DEP_3) | instskip(NEXT) | instid1(VALU_DEP_3)
	v_and_b32_e32 v0, 0x8000, v0
	v_and_b32_e32 v102, 0xfc00, v102
	s_delay_alu instid0(VALU_DEP_1)
	v_or3_b32 v99, v0, v102, v99
.LBB303_1311:                           ;   in Loop: Header=BB303_927 Depth=1
	s_wait_alu 0xfffe
	s_or_b32 exec_lo, exec_lo, s14
.LBB303_1312:                           ;   in Loop: Header=BB303_927 Depth=1
	s_wait_alu 0xfffe
	s_or_b32 exec_lo, exec_lo, s13
.LBB303_1313:                           ;   in Loop: Header=BB303_927 Depth=1
	s_wait_alu 0xfffe
	s_or_b32 exec_lo, exec_lo, s12
	v_cmp_lt_u64_e64 s0, s[8:9], v[10:11]
	v_mov_b32_e32 v10, 0
	s_and_saveexec_b32 s12, s0
	s_cbranch_execz .LBB303_1321
; %bb.1314:                             ;   in Loop: Header=BB303_927 Depth=1
	v_lshrrev_b32_e32 v0, 24, v11
	v_bfrev_b32_e32 v10, 1
	s_mov_b32 s13, exec_lo
	s_delay_alu instid0(VALU_DEP_2)
	v_cmpx_ne_u32_e32 0x80, v0
	s_cbranch_execz .LBB303_1320
; %bb.1315:                             ;   in Loop: Header=BB303_927 Depth=1
	v_and_b32_e32 v102, 0x7f, v0
	v_mov_b32_e32 v10, 0x7c010000
	s_mov_b32 s14, exec_lo
	s_delay_alu instid0(VALU_DEP_2)
	v_cmpx_ne_u32_e32 0x7f, v102
	s_cbranch_execz .LBB303_1319
; %bb.1316:                             ;   in Loop: Header=BB303_927 Depth=1
	v_and_b32_e32 v10, 7, v0
	v_lshrrev_b32_e32 v11, 3, v102
	s_mov_b32 s15, exec_lo
	v_cmpx_gt_u32_e32 8, v102
; %bb.1317:                             ;   in Loop: Header=BB303_927 Depth=1
	s_delay_alu instid0(VALU_DEP_3) | instskip(NEXT) | instid1(VALU_DEP_1)
	v_clz_i32_u32_e32 v10, v10
	v_min_u32_e32 v102, 32, v10
	s_delay_alu instid0(VALU_DEP_1) | instskip(NEXT) | instid1(VALU_DEP_1)
	v_subrev_nc_u32_e32 v10, 28, v102
	v_lshlrev_b64_e32 v[10:11], v10, v[0:1]
	v_sub_nc_u32_e32 v11, 29, v102
	s_delay_alu instid0(VALU_DEP_2)
	v_and_b32_e32 v10, 7, v10
; %bb.1318:                             ;   in Loop: Header=BB303_927 Depth=1
	s_wait_alu 0xfffe
	s_or_b32 exec_lo, exec_lo, s15
	v_lshlrev_b32_e32 v0, 8, v0
	v_lshl_add_u32 v11, v11, 10, 0x2000
	v_lshlrev_b32_e32 v10, 23, v10
	s_delay_alu instid0(VALU_DEP_2) | instskip(NEXT) | instid1(VALU_DEP_1)
	v_and_or_b32 v0, 0x8000, v0, v11
	v_lshl_or_b32 v10, v0, 16, v10
.LBB303_1319:                           ;   in Loop: Header=BB303_927 Depth=1
	s_wait_alu 0xfffe
	s_or_b32 exec_lo, exec_lo, s14
.LBB303_1320:                           ;   in Loop: Header=BB303_927 Depth=1
	s_wait_alu 0xfffe
	s_or_b32 exec_lo, exec_lo, s13
.LBB303_1321:                           ;   in Loop: Header=BB303_927 Depth=1
	s_wait_alu 0xfffe
	s_or_b32 exec_lo, exec_lo, s12
	v_or_b32_e32 v0, v97, v98
	s_wait_loadcnt_dscnt 0x0
	v_fma_mixlo_f16 v11, v86, v97, 0 op_sel:[0,1,0] op_sel_hi:[0,1,0]
	v_or_b32_e32 v97, v87, v96
	v_fma_mixlo_f16 v87, v86, v87, 0 op_sel:[0,1,0] op_sel_hi:[0,1,0]
	v_or_b32_e32 v98, v101, v100
	v_or_b32_e32 v99, v10, v99
	v_fma_mixlo_f16 v100, v86, v0, 0 op_sel_hi:[0,1,0]
	v_fma_mixlo_f16 v10, v86, v10, 0 op_sel:[0,1,0] op_sel_hi:[0,1,0]
	v_lshlrev_b32_e32 v96, 16, v87
	v_fma_mixlo_f16 v87, v86, v97, 0 op_sel_hi:[0,1,0]
	v_fma_mixlo_f16 v97, v86, v101, 0 op_sel:[0,1,0] op_sel_hi:[0,1,0]
	v_fma_mixlo_f16 v98, v86, v98, 0 op_sel_hi:[0,1,0]
	v_fma_mixlo_f16 v99, v86, v99, 0 op_sel_hi:[0,1,0]
	v_lshlrev_b32_e32 v0, 16, v11
	v_and_b32_e32 v11, 0xffff, v100
	v_and_b32_e32 v102, 0xffff, v87
	v_lshlrev_b32_e32 v86, 16, v97
	v_and_b32_e32 v98, 0xffff, v98
	v_lshlrev_b32_e32 v10, 16, v10
	v_and_b32_e32 v87, 0xffff, v99
	v_or_b32_e32 v97, v0, v11
	v_or_b32_e32 v101, v96, v102
	;; [unrolled: 1-line block ×3, first 2 shown]
	s_delay_alu instid0(VALU_DEP_4)
	v_or_b32_e32 v99, v10, v87
	s_and_saveexec_b32 s12, vcc_lo
	s_cbranch_execz .LBB303_1323
; %bb.1322:                             ;   in Loop: Header=BB303_927 Depth=1
	v_cmp_lt_i32_e64 s0, v35, v30
	s_wait_alu 0xf1ff
	s_delay_alu instid0(VALU_DEP_1) | instskip(SKIP_2) | instid1(VALU_DEP_1)
	v_cndmask_b32_e64 v97, 0, v102, s0
	v_cmp_lt_i32_e64 s0, v69, v30
	s_wait_alu 0xf1ff
	v_cndmask_b32_e64 v96, 0, v96, s0
	v_cmp_lt_i32_e64 s0, v68, v30
	s_delay_alu instid0(VALU_DEP_2) | instskip(SKIP_1) | instid1(VALU_DEP_2)
	v_or_b32_e32 v101, v97, v96
	s_wait_alu 0xf1ff
	v_cndmask_b32_e64 v11, 0, v11, s0
	v_cmp_lt_i32_e64 s0, v67, v30
	s_wait_alu 0xf1ff
	s_delay_alu instid0(VALU_DEP_1) | instskip(SKIP_1) | instid1(VALU_DEP_2)
	v_cndmask_b32_e64 v0, 0, v0, s0
	v_cmp_lt_i32_e64 s0, v66, v30
	v_or_b32_e32 v97, v11, v0
	s_wait_alu 0xf1ff
	s_delay_alu instid0(VALU_DEP_2) | instskip(SKIP_2) | instid1(VALU_DEP_1)
	v_cndmask_b32_e64 v98, 0, v98, s0
	v_cmp_lt_i32_e64 s0, v65, v30
	s_wait_alu 0xf1ff
	v_cndmask_b32_e64 v86, 0, v86, s0
	v_cmp_lt_i32_e64 s0, v64, v30
	s_delay_alu instid0(VALU_DEP_2) | instskip(SKIP_1) | instid1(VALU_DEP_2)
	v_or_b32_e32 v100, v98, v86
	s_wait_alu 0xf1ff
	v_cndmask_b32_e64 v87, 0, v87, s0
	v_cmp_lt_i32_e64 s0, v14, v30
	s_wait_alu 0xf1ff
	s_delay_alu instid0(VALU_DEP_1) | instskip(NEXT) | instid1(VALU_DEP_1)
	v_cndmask_b32_e64 v10, 0, v10, s0
	v_or_b32_e32 v99, v87, v10
.LBB303_1323:                           ;   in Loop: Header=BB303_927 Depth=1
	s_wait_alu 0xfffe
	s_or_b32 exec_lo, exec_lo, s12
	;;#ASMSTART
	v_pk_mul_f16 v0, v54, v101;

	;;#ASMEND
	;;#ASMSTART
	v_pk_mul_f16 v10, v52, v97;

	;;#ASMEND
	;; [unrolled: 4-line block ×4, first 2 shown]
	;;#ASMSTART
	v_pk_add_f16 v0, v0, v10;

	;;#ASMEND
	;;#ASMSTART
	v_pk_add_f16 v0, v0, v11;

	;;#ASMEND
	;; [unrolled: 4-line block ×3, first 2 shown]
	v_dual_mov_b32 v97, 0 :: v_dual_and_b32 v10, 0xffff, v0
	v_lshrrev_b32_e32 v0, 16, v0
	;;#ASMSTART
	v_cvt_f32_f16 v86, v10;
	;;#ASMEND
	;;#ASMSTART
	v_cvt_f32_f16 v87, v0;
	;;#ASMEND
	flat_load_b64 v[10:11], v[8:9] offset:1536
	flat_load_b32 v96, v[26:27]
	v_mov_b32_e32 v98, 0
	s_mov_b32 s12, exec_lo
	s_wait_loadcnt_dscnt 0x101
	v_and_b32_e32 v0, 0xff, v10
	s_delay_alu instid0(VALU_DEP_1)
	v_cmpx_ne_u16_e32 0, v0
	s_cbranch_execz .LBB303_1331
; %bb.1324:                             ;   in Loop: Header=BB303_927 Depth=1
	v_mov_b32_e32 v98, 0x8000
	s_mov_b32 s13, exec_lo
	v_cmpx_ne_u16_e32 0x80, v0
	s_cbranch_execz .LBB303_1330
; %bb.1325:                             ;   in Loop: Header=BB303_927 Depth=1
	v_and_b32_e32 v99, 0x7f, v10
	v_mov_b32_e32 v98, 0x7c01
	s_mov_b32 s14, exec_lo
	s_delay_alu instid0(VALU_DEP_2)
	v_cmpx_ne_u32_e32 0x7f, v99
	s_cbranch_execz .LBB303_1329
; %bb.1326:                             ;   in Loop: Header=BB303_927 Depth=1
	v_and_b32_e32 v0, 7, v10
	v_lshrrev_b32_e32 v98, 3, v99
	s_mov_b32 s15, exec_lo
	v_cmpx_gt_u32_e32 8, v99
; %bb.1327:                             ;   in Loop: Header=BB303_927 Depth=1
	s_delay_alu instid0(VALU_DEP_3) | instskip(NEXT) | instid1(VALU_DEP_1)
	v_clz_i32_u32_e32 v0, v0
	v_min_u32_e32 v0, 32, v0
	s_delay_alu instid0(VALU_DEP_1) | instskip(NEXT) | instid1(VALU_DEP_1)
	v_subrev_nc_u32_e32 v98, 28, v0
	v_lshlrev_b64_e32 v[99:100], v98, v[10:11]
	v_sub_nc_u32_e32 v98, 29, v0
	s_delay_alu instid0(VALU_DEP_2)
	v_and_b32_e32 v0, 7, v99
; %bb.1328:                             ;   in Loop: Header=BB303_927 Depth=1
	s_wait_alu 0xfffe
	s_or_b32 exec_lo, exec_lo, s15
	v_lshlrev_b32_e32 v99, 8, v10
	v_lshl_add_u32 v98, v98, 10, 0x2000
	v_lshlrev_b32_e32 v0, 7, v0
	s_delay_alu instid0(VALU_DEP_3) | instskip(NEXT) | instid1(VALU_DEP_3)
	v_and_b32_e32 v99, 0x8000, v99
	v_and_b32_e32 v98, 0xfc00, v98
	s_delay_alu instid0(VALU_DEP_1)
	v_or3_b32 v98, v99, v98, v0
.LBB303_1329:                           ;   in Loop: Header=BB303_927 Depth=1
	s_wait_alu 0xfffe
	s_or_b32 exec_lo, exec_lo, s14
.LBB303_1330:                           ;   in Loop: Header=BB303_927 Depth=1
	s_wait_alu 0xfffe
	s_or_b32 exec_lo, exec_lo, s13
.LBB303_1331:                           ;   in Loop: Header=BB303_927 Depth=1
	s_wait_alu 0xfffe
	s_or_b32 exec_lo, exec_lo, s12
	v_lshrrev_b16 v0, 8, v10
	s_mov_b32 s12, exec_lo
	s_delay_alu instid0(VALU_DEP_1)
	v_cmpx_ne_u16_e32 0, v0
	s_cbranch_execz .LBB303_1339
; %bb.1332:                             ;   in Loop: Header=BB303_927 Depth=1
	v_bfrev_b32_e32 v97, 1
	s_mov_b32 s13, exec_lo
	v_cmpx_ne_u16_e32 0x80, v0
	s_cbranch_execz .LBB303_1338
; %bb.1333:                             ;   in Loop: Header=BB303_927 Depth=1
	v_and_b32_e32 v99, 0xffff, v0
	v_mov_b32_e32 v97, 0x7c010000
	s_mov_b32 s14, exec_lo
	s_delay_alu instid0(VALU_DEP_2) | instskip(NEXT) | instid1(VALU_DEP_1)
	v_and_b32_e32 v101, 0x7f, v99
	v_cmpx_ne_u32_e32 0x7f, v101
	s_cbranch_execz .LBB303_1337
; %bb.1334:                             ;   in Loop: Header=BB303_927 Depth=1
	v_and_b32_e32 v97, 7, v99
	v_lshrrev_b32_e32 v100, 3, v101
	s_mov_b32 s15, exec_lo
	v_cmpx_gt_u32_e32 8, v101
; %bb.1335:                             ;   in Loop: Header=BB303_927 Depth=1
	s_delay_alu instid0(VALU_DEP_3) | instskip(NEXT) | instid1(VALU_DEP_1)
	v_clz_i32_u32_e32 v97, v97
	v_min_u32_e32 v97, 32, v97
	s_delay_alu instid0(VALU_DEP_1) | instskip(NEXT) | instid1(VALU_DEP_1)
	v_subrev_nc_u32_e32 v100, 28, v97
	v_lshlrev_b64_e32 v[101:102], v100, v[0:1]
	v_sub_nc_u32_e32 v100, 29, v97
	s_delay_alu instid0(VALU_DEP_2)
	v_and_b32_e32 v97, 7, v101
; %bb.1336:                             ;   in Loop: Header=BB303_927 Depth=1
	s_wait_alu 0xfffe
	s_or_b32 exec_lo, exec_lo, s15
	v_lshlrev_b32_e32 v0, 8, v99
	v_lshl_add_u32 v99, v100, 10, 0x2000
	v_lshlrev_b32_e32 v97, 23, v97
	s_delay_alu instid0(VALU_DEP_2) | instskip(NEXT) | instid1(VALU_DEP_1)
	v_and_or_b32 v0, 0x8000, v0, v99
	v_lshl_or_b32 v97, v0, 16, v97
.LBB303_1337:                           ;   in Loop: Header=BB303_927 Depth=1
	s_wait_alu 0xfffe
	s_or_b32 exec_lo, exec_lo, s14
.LBB303_1338:                           ;   in Loop: Header=BB303_927 Depth=1
	s_wait_alu 0xfffe
	s_or_b32 exec_lo, exec_lo, s13
.LBB303_1339:                           ;   in Loop: Header=BB303_927 Depth=1
	s_wait_alu 0xfffe
	s_or_b32 exec_lo, exec_lo, s12
	v_lshrrev_b32_e32 v0, 16, v10
	v_mov_b32_e32 v99, 0
	s_mov_b32 s12, exec_lo
	s_delay_alu instid0(VALU_DEP_2) | instskip(NEXT) | instid1(VALU_DEP_1)
	v_dual_mov_b32 v100, 0 :: v_dual_and_b32 v101, 0xff, v0
	v_cmpx_ne_u16_e32 0, v101
	s_cbranch_execz .LBB303_1347
; %bb.1340:                             ;   in Loop: Header=BB303_927 Depth=1
	v_mov_b32_e32 v100, 0x8000
	s_mov_b32 s13, exec_lo
	v_cmpx_ne_u16_e32 0x80, v101
	s_cbranch_execz .LBB303_1346
; %bb.1341:                             ;   in Loop: Header=BB303_927 Depth=1
	v_bfe_u32 v102, v10, 16, 7
	v_mov_b32_e32 v100, 0x7c01
	s_mov_b32 s14, exec_lo
	s_delay_alu instid0(VALU_DEP_2)
	v_cmpx_ne_u32_e32 0x7f, v102
	s_cbranch_execz .LBB303_1345
; %bb.1342:                             ;   in Loop: Header=BB303_927 Depth=1
	v_and_b32_e32 v100, 7, v0
	v_lshrrev_b32_e32 v101, 3, v102
	s_mov_b32 s15, exec_lo
	v_cmpx_gt_u32_e32 8, v102
; %bb.1343:                             ;   in Loop: Header=BB303_927 Depth=1
	s_delay_alu instid0(VALU_DEP_3) | instskip(NEXT) | instid1(VALU_DEP_1)
	v_clz_i32_u32_e32 v100, v100
	v_min_u32_e32 v102, 32, v100
	s_delay_alu instid0(VALU_DEP_1) | instskip(NEXT) | instid1(VALU_DEP_1)
	v_subrev_nc_u32_e32 v100, 28, v102
	v_lshlrev_b64_e32 v[100:101], v100, v[0:1]
	v_sub_nc_u32_e32 v101, 29, v102
	s_delay_alu instid0(VALU_DEP_2)
	v_and_b32_e32 v100, 7, v100
; %bb.1344:                             ;   in Loop: Header=BB303_927 Depth=1
	s_wait_alu 0xfffe
	s_or_b32 exec_lo, exec_lo, s15
	v_lshlrev_b32_e32 v0, 8, v0
	v_lshl_add_u32 v101, v101, 10, 0x2000
	v_lshlrev_b32_e32 v100, 7, v100
	s_delay_alu instid0(VALU_DEP_3) | instskip(NEXT) | instid1(VALU_DEP_3)
	v_and_b32_e32 v0, 0x8000, v0
	v_and_b32_e32 v101, 0xfc00, v101
	s_delay_alu instid0(VALU_DEP_1)
	v_or3_b32 v100, v0, v101, v100
.LBB303_1345:                           ;   in Loop: Header=BB303_927 Depth=1
	s_wait_alu 0xfffe
	s_or_b32 exec_lo, exec_lo, s14
.LBB303_1346:                           ;   in Loop: Header=BB303_927 Depth=1
	s_wait_alu 0xfffe
	s_or_b32 exec_lo, exec_lo, s13
.LBB303_1347:                           ;   in Loop: Header=BB303_927 Depth=1
	s_wait_alu 0xfffe
	s_or_b32 exec_lo, exec_lo, s12
	s_delay_alu instid0(SALU_CYCLE_1)
	s_mov_b32 s12, exec_lo
	v_cmpx_lt_u32_e32 0xffffff, v10
	s_cbranch_execz .LBB303_1355
; %bb.1348:                             ;   in Loop: Header=BB303_927 Depth=1
	v_lshrrev_b32_e32 v0, 24, v10
	v_bfrev_b32_e32 v99, 1
	s_mov_b32 s13, exec_lo
	s_delay_alu instid0(VALU_DEP_2)
	v_cmpx_ne_u32_e32 0x80, v0
	s_cbranch_execz .LBB303_1354
; %bb.1349:                             ;   in Loop: Header=BB303_927 Depth=1
	v_and_b32_e32 v102, 0x7f, v0
	v_mov_b32_e32 v99, 0x7c010000
	s_mov_b32 s14, exec_lo
	s_delay_alu instid0(VALU_DEP_2)
	v_cmpx_ne_u32_e32 0x7f, v102
	s_cbranch_execz .LBB303_1353
; %bb.1350:                             ;   in Loop: Header=BB303_927 Depth=1
	v_and_b32_e32 v99, 7, v0
	v_lshrrev_b32_e32 v101, 3, v102
	s_mov_b32 s15, exec_lo
	v_cmpx_gt_u32_e32 8, v102
; %bb.1351:                             ;   in Loop: Header=BB303_927 Depth=1
	s_delay_alu instid0(VALU_DEP_3) | instskip(NEXT) | instid1(VALU_DEP_1)
	v_clz_i32_u32_e32 v99, v99
	v_min_u32_e32 v99, 32, v99
	s_delay_alu instid0(VALU_DEP_1) | instskip(NEXT) | instid1(VALU_DEP_1)
	v_subrev_nc_u32_e32 v101, 28, v99
	v_lshlrev_b64_e32 v[102:103], v101, v[0:1]
	v_sub_nc_u32_e32 v101, 29, v99
	s_delay_alu instid0(VALU_DEP_2)
	v_and_b32_e32 v99, 7, v102
; %bb.1352:                             ;   in Loop: Header=BB303_927 Depth=1
	s_wait_alu 0xfffe
	s_or_b32 exec_lo, exec_lo, s15
	v_lshlrev_b32_e32 v0, 8, v0
	v_lshl_add_u32 v101, v101, 10, 0x2000
	v_lshlrev_b32_e32 v99, 23, v99
	s_delay_alu instid0(VALU_DEP_2) | instskip(NEXT) | instid1(VALU_DEP_1)
	v_and_or_b32 v0, 0x8000, v0, v101
	v_lshl_or_b32 v99, v0, 16, v99
.LBB303_1353:                           ;   in Loop: Header=BB303_927 Depth=1
	s_wait_alu 0xfffe
	s_or_b32 exec_lo, exec_lo, s14
.LBB303_1354:                           ;   in Loop: Header=BB303_927 Depth=1
	s_wait_alu 0xfffe
	s_or_b32 exec_lo, exec_lo, s13
.LBB303_1355:                           ;   in Loop: Header=BB303_927 Depth=1
	s_wait_alu 0xfffe
	s_or_b32 exec_lo, exec_lo, s12
	v_dual_mov_b32 v0, v11 :: v_dual_and_b32 v103, 0xff, v11
	v_dual_mov_b32 v101, 0 :: v_dual_mov_b32 v102, 0
	s_mov_b32 s12, exec_lo
	s_delay_alu instid0(VALU_DEP_2)
	v_cmpx_ne_u16_e32 0, v103
	s_cbranch_execz .LBB303_1363
; %bb.1356:                             ;   in Loop: Header=BB303_927 Depth=1
	v_mov_b32_e32 v102, 0x8000
	s_mov_b32 s13, exec_lo
	v_cmpx_ne_u16_e32 0x80, v103
	s_cbranch_execz .LBB303_1362
; %bb.1357:                             ;   in Loop: Header=BB303_927 Depth=1
	v_and_b32_e32 v112, 0x7f, v11
	v_mov_b32_e32 v102, 0x7c01
	s_mov_b32 s14, exec_lo
	s_delay_alu instid0(VALU_DEP_2)
	v_cmpx_ne_u32_e32 0x7f, v112
	s_cbranch_execz .LBB303_1361
; %bb.1358:                             ;   in Loop: Header=BB303_927 Depth=1
	v_and_b32_e32 v102, 7, v11
	v_lshrrev_b32_e32 v103, 3, v112
	s_mov_b32 s15, exec_lo
	v_cmpx_gt_u32_e32 8, v112
; %bb.1359:                             ;   in Loop: Header=BB303_927 Depth=1
	s_delay_alu instid0(VALU_DEP_3) | instskip(NEXT) | instid1(VALU_DEP_1)
	v_clz_i32_u32_e32 v102, v102
	v_min_u32_e32 v112, 32, v102
	s_delay_alu instid0(VALU_DEP_1) | instskip(NEXT) | instid1(VALU_DEP_1)
	v_subrev_nc_u32_e32 v102, 28, v112
	v_lshlrev_b64_e32 v[102:103], v102, v[0:1]
	v_sub_nc_u32_e32 v103, 29, v112
	s_delay_alu instid0(VALU_DEP_2)
	v_and_b32_e32 v102, 7, v102
; %bb.1360:                             ;   in Loop: Header=BB303_927 Depth=1
	s_wait_alu 0xfffe
	s_or_b32 exec_lo, exec_lo, s15
	v_lshlrev_b32_e32 v112, 8, v11
	v_lshl_add_u32 v103, v103, 10, 0x2000
	v_lshlrev_b32_e32 v102, 7, v102
	s_delay_alu instid0(VALU_DEP_3) | instskip(NEXT) | instid1(VALU_DEP_3)
	v_and_b32_e32 v112, 0x8000, v112
	v_and_b32_e32 v103, 0xfc00, v103
	s_delay_alu instid0(VALU_DEP_1)
	v_or3_b32 v102, v112, v103, v102
.LBB303_1361:                           ;   in Loop: Header=BB303_927 Depth=1
	s_wait_alu 0xfffe
	s_or_b32 exec_lo, exec_lo, s14
.LBB303_1362:                           ;   in Loop: Header=BB303_927 Depth=1
	s_wait_alu 0xfffe
	s_or_b32 exec_lo, exec_lo, s13
.LBB303_1363:                           ;   in Loop: Header=BB303_927 Depth=1
	s_wait_alu 0xfffe
	s_or_b32 exec_lo, exec_lo, s12
	v_lshrrev_b16 v0, 8, v0
	v_mov_b32_e32 v103, 0
	s_mov_b32 s12, exec_lo
	s_delay_alu instid0(VALU_DEP_2)
	v_cmpx_ne_u16_e32 0, v0
	s_cbranch_execz .LBB303_1371
; %bb.1364:                             ;   in Loop: Header=BB303_927 Depth=1
	v_bfrev_b32_e32 v103, 1
	s_mov_b32 s13, exec_lo
	v_cmpx_ne_u16_e32 0x80, v0
	s_cbranch_execz .LBB303_1370
; %bb.1365:                             ;   in Loop: Header=BB303_927 Depth=1
	v_and_b32_e32 v112, 0xffff, v0
	v_mov_b32_e32 v103, 0x7c010000
	s_mov_b32 s14, exec_lo
	s_delay_alu instid0(VALU_DEP_2) | instskip(NEXT) | instid1(VALU_DEP_1)
	v_and_b32_e32 v114, 0x7f, v112
	v_cmpx_ne_u32_e32 0x7f, v114
	s_cbranch_execz .LBB303_1369
; %bb.1366:                             ;   in Loop: Header=BB303_927 Depth=1
	v_and_b32_e32 v103, 7, v112
	v_lshrrev_b32_e32 v113, 3, v114
	s_mov_b32 s15, exec_lo
	v_cmpx_gt_u32_e32 8, v114
; %bb.1367:                             ;   in Loop: Header=BB303_927 Depth=1
	s_delay_alu instid0(VALU_DEP_3) | instskip(NEXT) | instid1(VALU_DEP_1)
	v_clz_i32_u32_e32 v103, v103
	v_min_u32_e32 v103, 32, v103
	s_delay_alu instid0(VALU_DEP_1) | instskip(NEXT) | instid1(VALU_DEP_1)
	v_subrev_nc_u32_e32 v113, 28, v103
	v_lshlrev_b64_e32 v[114:115], v113, v[0:1]
	v_sub_nc_u32_e32 v113, 29, v103
	s_delay_alu instid0(VALU_DEP_2)
	v_and_b32_e32 v103, 7, v114
; %bb.1368:                             ;   in Loop: Header=BB303_927 Depth=1
	s_wait_alu 0xfffe
	s_or_b32 exec_lo, exec_lo, s15
	v_lshlrev_b32_e32 v0, 8, v112
	v_lshl_add_u32 v112, v113, 10, 0x2000
	v_lshlrev_b32_e32 v103, 23, v103
	s_delay_alu instid0(VALU_DEP_2) | instskip(NEXT) | instid1(VALU_DEP_1)
	v_and_or_b32 v0, 0x8000, v0, v112
	v_lshl_or_b32 v103, v0, 16, v103
.LBB303_1369:                           ;   in Loop: Header=BB303_927 Depth=1
	s_wait_alu 0xfffe
	s_or_b32 exec_lo, exec_lo, s14
.LBB303_1370:                           ;   in Loop: Header=BB303_927 Depth=1
	s_wait_alu 0xfffe
	s_or_b32 exec_lo, exec_lo, s13
.LBB303_1371:                           ;   in Loop: Header=BB303_927 Depth=1
	s_wait_alu 0xfffe
	s_or_b32 exec_lo, exec_lo, s12
	v_lshrrev_b32_e32 v0, 16, v11
	s_mov_b32 s12, exec_lo
	s_delay_alu instid0(VALU_DEP_1) | instskip(NEXT) | instid1(VALU_DEP_1)
	v_and_b32_e32 v112, 0xff, v0
	v_cmpx_ne_u16_e32 0, v112
	s_cbranch_execz .LBB303_1379
; %bb.1372:                             ;   in Loop: Header=BB303_927 Depth=1
	v_mov_b32_e32 v101, 0x8000
	s_mov_b32 s13, exec_lo
	v_cmpx_ne_u16_e32 0x80, v112
	s_cbranch_execz .LBB303_1378
; %bb.1373:                             ;   in Loop: Header=BB303_927 Depth=1
	v_bfe_u32 v113, v11, 16, 7
	v_mov_b32_e32 v101, 0x7c01
	s_mov_b32 s14, exec_lo
	s_delay_alu instid0(VALU_DEP_2)
	v_cmpx_ne_u32_e32 0x7f, v113
	s_cbranch_execz .LBB303_1377
; %bb.1374:                             ;   in Loop: Header=BB303_927 Depth=1
	v_and_b32_e32 v101, 7, v0
	v_lshrrev_b32_e32 v112, 3, v113
	s_mov_b32 s15, exec_lo
	v_cmpx_gt_u32_e32 8, v113
; %bb.1375:                             ;   in Loop: Header=BB303_927 Depth=1
	s_delay_alu instid0(VALU_DEP_3) | instskip(NEXT) | instid1(VALU_DEP_1)
	v_clz_i32_u32_e32 v101, v101
	v_min_u32_e32 v101, 32, v101
	s_delay_alu instid0(VALU_DEP_1) | instskip(NEXT) | instid1(VALU_DEP_1)
	v_subrev_nc_u32_e32 v112, 28, v101
	v_lshlrev_b64_e32 v[113:114], v112, v[0:1]
	v_sub_nc_u32_e32 v112, 29, v101
	s_delay_alu instid0(VALU_DEP_2)
	v_and_b32_e32 v101, 7, v113
; %bb.1376:                             ;   in Loop: Header=BB303_927 Depth=1
	s_wait_alu 0xfffe
	s_or_b32 exec_lo, exec_lo, s15
	v_lshlrev_b32_e32 v0, 8, v0
	v_lshl_add_u32 v112, v112, 10, 0x2000
	v_lshlrev_b32_e32 v101, 7, v101
	s_delay_alu instid0(VALU_DEP_3) | instskip(NEXT) | instid1(VALU_DEP_3)
	v_and_b32_e32 v0, 0x8000, v0
	v_and_b32_e32 v112, 0xfc00, v112
	s_delay_alu instid0(VALU_DEP_1)
	v_or3_b32 v101, v0, v112, v101
.LBB303_1377:                           ;   in Loop: Header=BB303_927 Depth=1
	s_wait_alu 0xfffe
	s_or_b32 exec_lo, exec_lo, s14
.LBB303_1378:                           ;   in Loop: Header=BB303_927 Depth=1
	s_wait_alu 0xfffe
	s_or_b32 exec_lo, exec_lo, s13
.LBB303_1379:                           ;   in Loop: Header=BB303_927 Depth=1
	s_wait_alu 0xfffe
	s_or_b32 exec_lo, exec_lo, s12
	v_cmp_lt_u64_e64 s0, s[8:9], v[10:11]
	v_mov_b32_e32 v10, 0
	s_and_saveexec_b32 s12, s0
	s_cbranch_execz .LBB303_1387
; %bb.1380:                             ;   in Loop: Header=BB303_927 Depth=1
	v_lshrrev_b32_e32 v0, 24, v11
	v_bfrev_b32_e32 v10, 1
	s_mov_b32 s13, exec_lo
	s_delay_alu instid0(VALU_DEP_2)
	v_cmpx_ne_u32_e32 0x80, v0
	s_cbranch_execz .LBB303_1386
; %bb.1381:                             ;   in Loop: Header=BB303_927 Depth=1
	v_and_b32_e32 v112, 0x7f, v0
	v_mov_b32_e32 v10, 0x7c010000
	s_mov_b32 s14, exec_lo
	s_delay_alu instid0(VALU_DEP_2)
	v_cmpx_ne_u32_e32 0x7f, v112
	s_cbranch_execz .LBB303_1385
; %bb.1382:                             ;   in Loop: Header=BB303_927 Depth=1
	v_and_b32_e32 v10, 7, v0
	v_lshrrev_b32_e32 v11, 3, v112
	s_mov_b32 s15, exec_lo
	v_cmpx_gt_u32_e32 8, v112
; %bb.1383:                             ;   in Loop: Header=BB303_927 Depth=1
	s_delay_alu instid0(VALU_DEP_3) | instskip(NEXT) | instid1(VALU_DEP_1)
	v_clz_i32_u32_e32 v10, v10
	v_min_u32_e32 v112, 32, v10
	s_delay_alu instid0(VALU_DEP_1) | instskip(NEXT) | instid1(VALU_DEP_1)
	v_subrev_nc_u32_e32 v10, 28, v112
	v_lshlrev_b64_e32 v[10:11], v10, v[0:1]
	v_sub_nc_u32_e32 v11, 29, v112
	s_delay_alu instid0(VALU_DEP_2)
	v_and_b32_e32 v10, 7, v10
; %bb.1384:                             ;   in Loop: Header=BB303_927 Depth=1
	s_wait_alu 0xfffe
	s_or_b32 exec_lo, exec_lo, s15
	v_lshlrev_b32_e32 v0, 8, v0
	v_lshl_add_u32 v11, v11, 10, 0x2000
	v_lshlrev_b32_e32 v10, 23, v10
	s_delay_alu instid0(VALU_DEP_2) | instskip(NEXT) | instid1(VALU_DEP_1)
	v_and_or_b32 v0, 0x8000, v0, v11
	v_lshl_or_b32 v10, v0, 16, v10
.LBB303_1385:                           ;   in Loop: Header=BB303_927 Depth=1
	s_wait_alu 0xfffe
	s_or_b32 exec_lo, exec_lo, s14
.LBB303_1386:                           ;   in Loop: Header=BB303_927 Depth=1
	s_wait_alu 0xfffe
	s_or_b32 exec_lo, exec_lo, s13
.LBB303_1387:                           ;   in Loop: Header=BB303_927 Depth=1
	s_wait_alu 0xfffe
	s_or_b32 exec_lo, exec_lo, s12
	v_or_b32_e32 v0, v99, v100
	s_wait_loadcnt_dscnt 0x0
	v_fma_mixlo_f16 v11, v96, v99, 0 op_sel:[0,1,0] op_sel_hi:[0,1,0]
	v_or_b32_e32 v99, v97, v98
	v_fma_mixlo_f16 v97, v96, v97, 0 op_sel:[0,1,0] op_sel_hi:[0,1,0]
	v_or_b32_e32 v100, v103, v102
	v_or_b32_e32 v101, v10, v101
	v_fma_mixlo_f16 v102, v96, v0, 0 op_sel_hi:[0,1,0]
	v_fma_mixlo_f16 v10, v96, v10, 0 op_sel:[0,1,0] op_sel_hi:[0,1,0]
	v_lshlrev_b32_e32 v98, 16, v97
	v_fma_mixlo_f16 v97, v96, v99, 0 op_sel_hi:[0,1,0]
	v_fma_mixlo_f16 v99, v96, v103, 0 op_sel:[0,1,0] op_sel_hi:[0,1,0]
	v_fma_mixlo_f16 v100, v96, v100, 0 op_sel_hi:[0,1,0]
	v_fma_mixlo_f16 v101, v96, v101, 0 op_sel_hi:[0,1,0]
	v_lshlrev_b32_e32 v0, 16, v11
	v_and_b32_e32 v11, 0xffff, v102
	v_and_b32_e32 v112, 0xffff, v97
	v_lshlrev_b32_e32 v96, 16, v99
	v_and_b32_e32 v100, 0xffff, v100
	v_lshlrev_b32_e32 v10, 16, v10
	v_and_b32_e32 v97, 0xffff, v101
	v_or_b32_e32 v99, v0, v11
	v_or_b32_e32 v103, v98, v112
	v_or_b32_e32 v102, v96, v100
	s_delay_alu instid0(VALU_DEP_4)
	v_or_b32_e32 v101, v10, v97
	s_and_saveexec_b32 s12, vcc_lo
	s_cbranch_execz .LBB303_1389
; %bb.1388:                             ;   in Loop: Header=BB303_927 Depth=1
	v_cmp_lt_i32_e64 s0, v35, v30
	s_wait_alu 0xf1ff
	s_delay_alu instid0(VALU_DEP_1) | instskip(SKIP_2) | instid1(VALU_DEP_1)
	v_cndmask_b32_e64 v99, 0, v112, s0
	v_cmp_lt_i32_e64 s0, v69, v30
	s_wait_alu 0xf1ff
	v_cndmask_b32_e64 v98, 0, v98, s0
	v_cmp_lt_i32_e64 s0, v68, v30
	s_delay_alu instid0(VALU_DEP_2) | instskip(SKIP_1) | instid1(VALU_DEP_2)
	v_or_b32_e32 v103, v99, v98
	s_wait_alu 0xf1ff
	v_cndmask_b32_e64 v11, 0, v11, s0
	v_cmp_lt_i32_e64 s0, v67, v30
	s_wait_alu 0xf1ff
	s_delay_alu instid0(VALU_DEP_1) | instskip(SKIP_1) | instid1(VALU_DEP_2)
	v_cndmask_b32_e64 v0, 0, v0, s0
	v_cmp_lt_i32_e64 s0, v66, v30
	v_or_b32_e32 v99, v11, v0
	s_wait_alu 0xf1ff
	s_delay_alu instid0(VALU_DEP_2) | instskip(SKIP_2) | instid1(VALU_DEP_1)
	v_cndmask_b32_e64 v100, 0, v100, s0
	v_cmp_lt_i32_e64 s0, v65, v30
	s_wait_alu 0xf1ff
	v_cndmask_b32_e64 v96, 0, v96, s0
	v_cmp_lt_i32_e64 s0, v64, v30
	s_delay_alu instid0(VALU_DEP_2) | instskip(SKIP_1) | instid1(VALU_DEP_2)
	v_or_b32_e32 v102, v100, v96
	s_wait_alu 0xf1ff
	v_cndmask_b32_e64 v97, 0, v97, s0
	v_cmp_lt_i32_e64 s0, v14, v30
	s_wait_alu 0xf1ff
	s_delay_alu instid0(VALU_DEP_1) | instskip(NEXT) | instid1(VALU_DEP_1)
	v_cndmask_b32_e64 v10, 0, v10, s0
	v_or_b32_e32 v101, v97, v10
.LBB303_1389:                           ;   in Loop: Header=BB303_927 Depth=1
	s_wait_alu 0xfffe
	s_or_b32 exec_lo, exec_lo, s12
	;;#ASMSTART
	v_pk_mul_f16 v0, v54, v103;

	;;#ASMEND
	;;#ASMSTART
	v_pk_mul_f16 v10, v52, v99;

	;;#ASMEND
	;; [unrolled: 4-line block ×4, first 2 shown]
	;;#ASMSTART
	v_pk_add_f16 v0, v0, v10;

	;;#ASMEND
	;;#ASMSTART
	v_pk_add_f16 v0, v0, v11;

	;;#ASMEND
	;; [unrolled: 4-line block ×3, first 2 shown]
	v_dual_mov_b32 v99, 0 :: v_dual_and_b32 v10, 0xffff, v0
	v_lshrrev_b32_e32 v0, 16, v0
	;;#ASMSTART
	v_cvt_f32_f16 v96, v10;
	;;#ASMEND
	;;#ASMSTART
	v_cvt_f32_f16 v97, v0;
	;;#ASMEND
	flat_load_b64 v[10:11], v[8:9] offset:1792
	flat_load_b32 v98, v[26:27]
	v_mov_b32_e32 v100, 0
	s_mov_b32 s12, exec_lo
	s_wait_loadcnt_dscnt 0x101
	v_and_b32_e32 v0, 0xff, v10
	s_delay_alu instid0(VALU_DEP_1)
	v_cmpx_ne_u16_e32 0, v0
	s_cbranch_execz .LBB303_1397
; %bb.1390:                             ;   in Loop: Header=BB303_927 Depth=1
	v_mov_b32_e32 v100, 0x8000
	s_mov_b32 s13, exec_lo
	v_cmpx_ne_u16_e32 0x80, v0
	s_cbranch_execz .LBB303_1396
; %bb.1391:                             ;   in Loop: Header=BB303_927 Depth=1
	v_and_b32_e32 v101, 0x7f, v10
	v_mov_b32_e32 v100, 0x7c01
	s_mov_b32 s14, exec_lo
	s_delay_alu instid0(VALU_DEP_2)
	v_cmpx_ne_u32_e32 0x7f, v101
	s_cbranch_execz .LBB303_1395
; %bb.1392:                             ;   in Loop: Header=BB303_927 Depth=1
	v_and_b32_e32 v0, 7, v10
	v_lshrrev_b32_e32 v100, 3, v101
	s_mov_b32 s15, exec_lo
	v_cmpx_gt_u32_e32 8, v101
; %bb.1393:                             ;   in Loop: Header=BB303_927 Depth=1
	s_delay_alu instid0(VALU_DEP_3) | instskip(NEXT) | instid1(VALU_DEP_1)
	v_clz_i32_u32_e32 v0, v0
	v_min_u32_e32 v0, 32, v0
	s_delay_alu instid0(VALU_DEP_1) | instskip(NEXT) | instid1(VALU_DEP_1)
	v_subrev_nc_u32_e32 v100, 28, v0
	v_lshlrev_b64_e32 v[101:102], v100, v[10:11]
	v_sub_nc_u32_e32 v100, 29, v0
	s_delay_alu instid0(VALU_DEP_2)
	v_and_b32_e32 v0, 7, v101
; %bb.1394:                             ;   in Loop: Header=BB303_927 Depth=1
	s_wait_alu 0xfffe
	s_or_b32 exec_lo, exec_lo, s15
	v_lshlrev_b32_e32 v101, 8, v10
	v_lshl_add_u32 v100, v100, 10, 0x2000
	v_lshlrev_b32_e32 v0, 7, v0
	s_delay_alu instid0(VALU_DEP_3) | instskip(NEXT) | instid1(VALU_DEP_3)
	v_and_b32_e32 v101, 0x8000, v101
	v_and_b32_e32 v100, 0xfc00, v100
	s_delay_alu instid0(VALU_DEP_1)
	v_or3_b32 v100, v101, v100, v0
.LBB303_1395:                           ;   in Loop: Header=BB303_927 Depth=1
	s_wait_alu 0xfffe
	s_or_b32 exec_lo, exec_lo, s14
.LBB303_1396:                           ;   in Loop: Header=BB303_927 Depth=1
	s_wait_alu 0xfffe
	s_or_b32 exec_lo, exec_lo, s13
.LBB303_1397:                           ;   in Loop: Header=BB303_927 Depth=1
	s_wait_alu 0xfffe
	s_or_b32 exec_lo, exec_lo, s12
	v_lshrrev_b16 v0, 8, v10
	s_mov_b32 s12, exec_lo
	s_delay_alu instid0(VALU_DEP_1)
	v_cmpx_ne_u16_e32 0, v0
	s_cbranch_execz .LBB303_1405
; %bb.1398:                             ;   in Loop: Header=BB303_927 Depth=1
	v_bfrev_b32_e32 v99, 1
	s_mov_b32 s13, exec_lo
	v_cmpx_ne_u16_e32 0x80, v0
	s_cbranch_execz .LBB303_1404
; %bb.1399:                             ;   in Loop: Header=BB303_927 Depth=1
	v_and_b32_e32 v101, 0xffff, v0
	v_mov_b32_e32 v99, 0x7c010000
	s_mov_b32 s14, exec_lo
	s_delay_alu instid0(VALU_DEP_2) | instskip(NEXT) | instid1(VALU_DEP_1)
	v_and_b32_e32 v103, 0x7f, v101
	v_cmpx_ne_u32_e32 0x7f, v103
	s_cbranch_execz .LBB303_1403
; %bb.1400:                             ;   in Loop: Header=BB303_927 Depth=1
	v_and_b32_e32 v99, 7, v101
	v_lshrrev_b32_e32 v102, 3, v103
	s_mov_b32 s15, exec_lo
	v_cmpx_gt_u32_e32 8, v103
; %bb.1401:                             ;   in Loop: Header=BB303_927 Depth=1
	s_delay_alu instid0(VALU_DEP_3) | instskip(NEXT) | instid1(VALU_DEP_1)
	v_clz_i32_u32_e32 v99, v99
	v_min_u32_e32 v99, 32, v99
	s_delay_alu instid0(VALU_DEP_1) | instskip(NEXT) | instid1(VALU_DEP_1)
	v_subrev_nc_u32_e32 v102, 28, v99
	v_lshlrev_b64_e32 v[112:113], v102, v[0:1]
	v_sub_nc_u32_e32 v102, 29, v99
	s_delay_alu instid0(VALU_DEP_2)
	v_and_b32_e32 v99, 7, v112
; %bb.1402:                             ;   in Loop: Header=BB303_927 Depth=1
	s_wait_alu 0xfffe
	s_or_b32 exec_lo, exec_lo, s15
	v_lshlrev_b32_e32 v0, 8, v101
	v_lshl_add_u32 v101, v102, 10, 0x2000
	v_lshlrev_b32_e32 v99, 23, v99
	s_delay_alu instid0(VALU_DEP_2) | instskip(NEXT) | instid1(VALU_DEP_1)
	v_and_or_b32 v0, 0x8000, v0, v101
	v_lshl_or_b32 v99, v0, 16, v99
.LBB303_1403:                           ;   in Loop: Header=BB303_927 Depth=1
	s_wait_alu 0xfffe
	s_or_b32 exec_lo, exec_lo, s14
.LBB303_1404:                           ;   in Loop: Header=BB303_927 Depth=1
	s_wait_alu 0xfffe
	s_or_b32 exec_lo, exec_lo, s13
.LBB303_1405:                           ;   in Loop: Header=BB303_927 Depth=1
	s_wait_alu 0xfffe
	s_or_b32 exec_lo, exec_lo, s12
	v_lshrrev_b32_e32 v0, 16, v10
	v_mov_b32_e32 v101, 0
	s_mov_b32 s12, exec_lo
	s_delay_alu instid0(VALU_DEP_2) | instskip(NEXT) | instid1(VALU_DEP_1)
	v_dual_mov_b32 v102, 0 :: v_dual_and_b32 v103, 0xff, v0
	v_cmpx_ne_u16_e32 0, v103
	s_cbranch_execz .LBB303_1413
; %bb.1406:                             ;   in Loop: Header=BB303_927 Depth=1
	v_mov_b32_e32 v102, 0x8000
	s_mov_b32 s13, exec_lo
	v_cmpx_ne_u16_e32 0x80, v103
	s_cbranch_execz .LBB303_1412
; %bb.1407:                             ;   in Loop: Header=BB303_927 Depth=1
	v_bfe_u32 v112, v10, 16, 7
	v_mov_b32_e32 v102, 0x7c01
	s_mov_b32 s14, exec_lo
	s_delay_alu instid0(VALU_DEP_2)
	v_cmpx_ne_u32_e32 0x7f, v112
	s_cbranch_execz .LBB303_1411
; %bb.1408:                             ;   in Loop: Header=BB303_927 Depth=1
	v_and_b32_e32 v102, 7, v0
	v_lshrrev_b32_e32 v103, 3, v112
	s_mov_b32 s15, exec_lo
	v_cmpx_gt_u32_e32 8, v112
; %bb.1409:                             ;   in Loop: Header=BB303_927 Depth=1
	s_delay_alu instid0(VALU_DEP_3) | instskip(NEXT) | instid1(VALU_DEP_1)
	v_clz_i32_u32_e32 v102, v102
	v_min_u32_e32 v112, 32, v102
	s_delay_alu instid0(VALU_DEP_1) | instskip(NEXT) | instid1(VALU_DEP_1)
	v_subrev_nc_u32_e32 v102, 28, v112
	v_lshlrev_b64_e32 v[102:103], v102, v[0:1]
	v_sub_nc_u32_e32 v103, 29, v112
	s_delay_alu instid0(VALU_DEP_2)
	v_and_b32_e32 v102, 7, v102
; %bb.1410:                             ;   in Loop: Header=BB303_927 Depth=1
	s_wait_alu 0xfffe
	s_or_b32 exec_lo, exec_lo, s15
	v_lshlrev_b32_e32 v0, 8, v0
	v_lshl_add_u32 v103, v103, 10, 0x2000
	v_lshlrev_b32_e32 v102, 7, v102
	s_delay_alu instid0(VALU_DEP_3) | instskip(NEXT) | instid1(VALU_DEP_3)
	v_and_b32_e32 v0, 0x8000, v0
	v_and_b32_e32 v103, 0xfc00, v103
	s_delay_alu instid0(VALU_DEP_1)
	v_or3_b32 v102, v0, v103, v102
.LBB303_1411:                           ;   in Loop: Header=BB303_927 Depth=1
	s_wait_alu 0xfffe
	s_or_b32 exec_lo, exec_lo, s14
.LBB303_1412:                           ;   in Loop: Header=BB303_927 Depth=1
	s_wait_alu 0xfffe
	s_or_b32 exec_lo, exec_lo, s13
.LBB303_1413:                           ;   in Loop: Header=BB303_927 Depth=1
	s_wait_alu 0xfffe
	s_or_b32 exec_lo, exec_lo, s12
	s_delay_alu instid0(SALU_CYCLE_1)
	s_mov_b32 s12, exec_lo
	v_cmpx_lt_u32_e32 0xffffff, v10
	s_cbranch_execz .LBB303_1421
; %bb.1414:                             ;   in Loop: Header=BB303_927 Depth=1
	v_lshrrev_b32_e32 v0, 24, v10
	v_bfrev_b32_e32 v101, 1
	s_mov_b32 s13, exec_lo
	s_delay_alu instid0(VALU_DEP_2)
	v_cmpx_ne_u32_e32 0x80, v0
	s_cbranch_execz .LBB303_1420
; %bb.1415:                             ;   in Loop: Header=BB303_927 Depth=1
	v_and_b32_e32 v112, 0x7f, v0
	v_mov_b32_e32 v101, 0x7c010000
	s_mov_b32 s14, exec_lo
	s_delay_alu instid0(VALU_DEP_2)
	v_cmpx_ne_u32_e32 0x7f, v112
	s_cbranch_execz .LBB303_1419
; %bb.1416:                             ;   in Loop: Header=BB303_927 Depth=1
	v_and_b32_e32 v101, 7, v0
	v_lshrrev_b32_e32 v103, 3, v112
	s_mov_b32 s15, exec_lo
	v_cmpx_gt_u32_e32 8, v112
; %bb.1417:                             ;   in Loop: Header=BB303_927 Depth=1
	s_delay_alu instid0(VALU_DEP_3) | instskip(NEXT) | instid1(VALU_DEP_1)
	v_clz_i32_u32_e32 v101, v101
	v_min_u32_e32 v101, 32, v101
	s_delay_alu instid0(VALU_DEP_1) | instskip(NEXT) | instid1(VALU_DEP_1)
	v_subrev_nc_u32_e32 v103, 28, v101
	v_lshlrev_b64_e32 v[112:113], v103, v[0:1]
	v_sub_nc_u32_e32 v103, 29, v101
	s_delay_alu instid0(VALU_DEP_2)
	v_and_b32_e32 v101, 7, v112
; %bb.1418:                             ;   in Loop: Header=BB303_927 Depth=1
	s_wait_alu 0xfffe
	s_or_b32 exec_lo, exec_lo, s15
	v_lshlrev_b32_e32 v0, 8, v0
	v_lshl_add_u32 v103, v103, 10, 0x2000
	v_lshlrev_b32_e32 v101, 23, v101
	s_delay_alu instid0(VALU_DEP_2) | instskip(NEXT) | instid1(VALU_DEP_1)
	v_and_or_b32 v0, 0x8000, v0, v103
	v_lshl_or_b32 v101, v0, 16, v101
.LBB303_1419:                           ;   in Loop: Header=BB303_927 Depth=1
	s_wait_alu 0xfffe
	s_or_b32 exec_lo, exec_lo, s14
.LBB303_1420:                           ;   in Loop: Header=BB303_927 Depth=1
	s_wait_alu 0xfffe
	s_or_b32 exec_lo, exec_lo, s13
.LBB303_1421:                           ;   in Loop: Header=BB303_927 Depth=1
	s_wait_alu 0xfffe
	s_or_b32 exec_lo, exec_lo, s12
	v_dual_mov_b32 v0, v11 :: v_dual_and_b32 v113, 0xff, v11
	v_dual_mov_b32 v103, 0 :: v_dual_mov_b32 v112, 0
	s_mov_b32 s12, exec_lo
	s_delay_alu instid0(VALU_DEP_2)
	v_cmpx_ne_u16_e32 0, v113
	s_cbranch_execz .LBB303_1429
; %bb.1422:                             ;   in Loop: Header=BB303_927 Depth=1
	v_mov_b32_e32 v112, 0x8000
	s_mov_b32 s13, exec_lo
	v_cmpx_ne_u16_e32 0x80, v113
	s_cbranch_execz .LBB303_1428
; %bb.1423:                             ;   in Loop: Header=BB303_927 Depth=1
	v_and_b32_e32 v114, 0x7f, v11
	v_mov_b32_e32 v112, 0x7c01
	s_mov_b32 s14, exec_lo
	s_delay_alu instid0(VALU_DEP_2)
	v_cmpx_ne_u32_e32 0x7f, v114
	s_cbranch_execz .LBB303_1427
; %bb.1424:                             ;   in Loop: Header=BB303_927 Depth=1
	v_and_b32_e32 v112, 7, v11
	v_lshrrev_b32_e32 v113, 3, v114
	s_mov_b32 s15, exec_lo
	v_cmpx_gt_u32_e32 8, v114
; %bb.1425:                             ;   in Loop: Header=BB303_927 Depth=1
	s_delay_alu instid0(VALU_DEP_3) | instskip(NEXT) | instid1(VALU_DEP_1)
	v_clz_i32_u32_e32 v112, v112
	v_min_u32_e32 v114, 32, v112
	s_delay_alu instid0(VALU_DEP_1) | instskip(NEXT) | instid1(VALU_DEP_1)
	v_subrev_nc_u32_e32 v112, 28, v114
	v_lshlrev_b64_e32 v[112:113], v112, v[0:1]
	v_sub_nc_u32_e32 v113, 29, v114
	s_delay_alu instid0(VALU_DEP_2)
	v_and_b32_e32 v112, 7, v112
; %bb.1426:                             ;   in Loop: Header=BB303_927 Depth=1
	s_wait_alu 0xfffe
	s_or_b32 exec_lo, exec_lo, s15
	v_lshlrev_b32_e32 v114, 8, v11
	v_lshl_add_u32 v113, v113, 10, 0x2000
	v_lshlrev_b32_e32 v112, 7, v112
	s_delay_alu instid0(VALU_DEP_3) | instskip(NEXT) | instid1(VALU_DEP_3)
	v_and_b32_e32 v114, 0x8000, v114
	v_and_b32_e32 v113, 0xfc00, v113
	s_delay_alu instid0(VALU_DEP_1)
	v_or3_b32 v112, v114, v113, v112
.LBB303_1427:                           ;   in Loop: Header=BB303_927 Depth=1
	s_wait_alu 0xfffe
	s_or_b32 exec_lo, exec_lo, s14
.LBB303_1428:                           ;   in Loop: Header=BB303_927 Depth=1
	s_wait_alu 0xfffe
	s_or_b32 exec_lo, exec_lo, s13
.LBB303_1429:                           ;   in Loop: Header=BB303_927 Depth=1
	s_wait_alu 0xfffe
	s_or_b32 exec_lo, exec_lo, s12
	v_lshrrev_b16 v0, 8, v0
	v_mov_b32_e32 v113, 0
	s_mov_b32 s12, exec_lo
	s_delay_alu instid0(VALU_DEP_2)
	v_cmpx_ne_u16_e32 0, v0
	s_cbranch_execz .LBB303_1437
; %bb.1430:                             ;   in Loop: Header=BB303_927 Depth=1
	v_bfrev_b32_e32 v113, 1
	s_mov_b32 s13, exec_lo
	v_cmpx_ne_u16_e32 0x80, v0
	s_cbranch_execz .LBB303_1436
; %bb.1431:                             ;   in Loop: Header=BB303_927 Depth=1
	v_and_b32_e32 v114, 0xffff, v0
	v_mov_b32_e32 v113, 0x7c010000
	s_mov_b32 s14, exec_lo
	s_delay_alu instid0(VALU_DEP_2) | instskip(NEXT) | instid1(VALU_DEP_1)
	v_and_b32_e32 v116, 0x7f, v114
	v_cmpx_ne_u32_e32 0x7f, v116
	s_cbranch_execz .LBB303_1435
; %bb.1432:                             ;   in Loop: Header=BB303_927 Depth=1
	v_and_b32_e32 v113, 7, v114
	v_lshrrev_b32_e32 v115, 3, v116
	s_mov_b32 s15, exec_lo
	v_cmpx_gt_u32_e32 8, v116
; %bb.1433:                             ;   in Loop: Header=BB303_927 Depth=1
	s_delay_alu instid0(VALU_DEP_3) | instskip(NEXT) | instid1(VALU_DEP_1)
	v_clz_i32_u32_e32 v113, v113
	v_min_u32_e32 v113, 32, v113
	s_delay_alu instid0(VALU_DEP_1) | instskip(NEXT) | instid1(VALU_DEP_1)
	v_subrev_nc_u32_e32 v115, 28, v113
	v_lshlrev_b64_e32 v[116:117], v115, v[0:1]
	v_sub_nc_u32_e32 v115, 29, v113
	s_delay_alu instid0(VALU_DEP_2)
	v_and_b32_e32 v113, 7, v116
; %bb.1434:                             ;   in Loop: Header=BB303_927 Depth=1
	s_wait_alu 0xfffe
	s_or_b32 exec_lo, exec_lo, s15
	v_lshlrev_b32_e32 v0, 8, v114
	v_lshl_add_u32 v114, v115, 10, 0x2000
	v_lshlrev_b32_e32 v113, 23, v113
	s_delay_alu instid0(VALU_DEP_2) | instskip(NEXT) | instid1(VALU_DEP_1)
	v_and_or_b32 v0, 0x8000, v0, v114
	v_lshl_or_b32 v113, v0, 16, v113
.LBB303_1435:                           ;   in Loop: Header=BB303_927 Depth=1
	s_wait_alu 0xfffe
	s_or_b32 exec_lo, exec_lo, s14
.LBB303_1436:                           ;   in Loop: Header=BB303_927 Depth=1
	s_wait_alu 0xfffe
	s_or_b32 exec_lo, exec_lo, s13
.LBB303_1437:                           ;   in Loop: Header=BB303_927 Depth=1
	s_wait_alu 0xfffe
	s_or_b32 exec_lo, exec_lo, s12
	v_lshrrev_b32_e32 v0, 16, v11
	s_mov_b32 s12, exec_lo
	s_delay_alu instid0(VALU_DEP_1) | instskip(NEXT) | instid1(VALU_DEP_1)
	v_and_b32_e32 v114, 0xff, v0
	v_cmpx_ne_u16_e32 0, v114
	s_cbranch_execz .LBB303_1445
; %bb.1438:                             ;   in Loop: Header=BB303_927 Depth=1
	v_mov_b32_e32 v103, 0x8000
	s_mov_b32 s13, exec_lo
	v_cmpx_ne_u16_e32 0x80, v114
	s_cbranch_execz .LBB303_1444
; %bb.1439:                             ;   in Loop: Header=BB303_927 Depth=1
	v_bfe_u32 v115, v11, 16, 7
	v_mov_b32_e32 v103, 0x7c01
	s_mov_b32 s14, exec_lo
	s_delay_alu instid0(VALU_DEP_2)
	v_cmpx_ne_u32_e32 0x7f, v115
	s_cbranch_execz .LBB303_1443
; %bb.1440:                             ;   in Loop: Header=BB303_927 Depth=1
	v_and_b32_e32 v103, 7, v0
	v_lshrrev_b32_e32 v114, 3, v115
	s_mov_b32 s15, exec_lo
	v_cmpx_gt_u32_e32 8, v115
; %bb.1441:                             ;   in Loop: Header=BB303_927 Depth=1
	s_delay_alu instid0(VALU_DEP_3) | instskip(NEXT) | instid1(VALU_DEP_1)
	v_clz_i32_u32_e32 v103, v103
	v_min_u32_e32 v103, 32, v103
	s_delay_alu instid0(VALU_DEP_1) | instskip(NEXT) | instid1(VALU_DEP_1)
	v_subrev_nc_u32_e32 v114, 28, v103
	v_lshlrev_b64_e32 v[115:116], v114, v[0:1]
	v_sub_nc_u32_e32 v114, 29, v103
	s_delay_alu instid0(VALU_DEP_2)
	v_and_b32_e32 v103, 7, v115
; %bb.1442:                             ;   in Loop: Header=BB303_927 Depth=1
	s_wait_alu 0xfffe
	s_or_b32 exec_lo, exec_lo, s15
	v_lshlrev_b32_e32 v0, 8, v0
	v_lshl_add_u32 v114, v114, 10, 0x2000
	v_lshlrev_b32_e32 v103, 7, v103
	s_delay_alu instid0(VALU_DEP_3) | instskip(NEXT) | instid1(VALU_DEP_3)
	v_and_b32_e32 v0, 0x8000, v0
	v_and_b32_e32 v114, 0xfc00, v114
	s_delay_alu instid0(VALU_DEP_1)
	v_or3_b32 v103, v0, v114, v103
.LBB303_1443:                           ;   in Loop: Header=BB303_927 Depth=1
	s_wait_alu 0xfffe
	s_or_b32 exec_lo, exec_lo, s14
.LBB303_1444:                           ;   in Loop: Header=BB303_927 Depth=1
	s_wait_alu 0xfffe
	s_or_b32 exec_lo, exec_lo, s13
.LBB303_1445:                           ;   in Loop: Header=BB303_927 Depth=1
	s_wait_alu 0xfffe
	s_or_b32 exec_lo, exec_lo, s12
	v_cmp_lt_u64_e64 s0, s[8:9], v[10:11]
	v_mov_b32_e32 v10, 0
	s_and_saveexec_b32 s12, s0
	s_cbranch_execz .LBB303_1453
; %bb.1446:                             ;   in Loop: Header=BB303_927 Depth=1
	v_lshrrev_b32_e32 v0, 24, v11
	v_bfrev_b32_e32 v10, 1
	s_mov_b32 s13, exec_lo
	s_delay_alu instid0(VALU_DEP_2)
	v_cmpx_ne_u32_e32 0x80, v0
	s_cbranch_execz .LBB303_1452
; %bb.1447:                             ;   in Loop: Header=BB303_927 Depth=1
	v_and_b32_e32 v114, 0x7f, v0
	v_mov_b32_e32 v10, 0x7c010000
	s_mov_b32 s14, exec_lo
	s_delay_alu instid0(VALU_DEP_2)
	v_cmpx_ne_u32_e32 0x7f, v114
	s_cbranch_execz .LBB303_1451
; %bb.1448:                             ;   in Loop: Header=BB303_927 Depth=1
	v_and_b32_e32 v10, 7, v0
	v_lshrrev_b32_e32 v11, 3, v114
	s_mov_b32 s15, exec_lo
	v_cmpx_gt_u32_e32 8, v114
; %bb.1449:                             ;   in Loop: Header=BB303_927 Depth=1
	s_delay_alu instid0(VALU_DEP_3) | instskip(NEXT) | instid1(VALU_DEP_1)
	v_clz_i32_u32_e32 v10, v10
	v_min_u32_e32 v114, 32, v10
	s_delay_alu instid0(VALU_DEP_1) | instskip(NEXT) | instid1(VALU_DEP_1)
	v_subrev_nc_u32_e32 v10, 28, v114
	v_lshlrev_b64_e32 v[10:11], v10, v[0:1]
	v_sub_nc_u32_e32 v11, 29, v114
	s_delay_alu instid0(VALU_DEP_2)
	v_and_b32_e32 v10, 7, v10
; %bb.1450:                             ;   in Loop: Header=BB303_927 Depth=1
	s_wait_alu 0xfffe
	s_or_b32 exec_lo, exec_lo, s15
	v_lshlrev_b32_e32 v0, 8, v0
	v_lshl_add_u32 v11, v11, 10, 0x2000
	v_lshlrev_b32_e32 v10, 23, v10
	s_delay_alu instid0(VALU_DEP_2) | instskip(NEXT) | instid1(VALU_DEP_1)
	v_and_or_b32 v0, 0x8000, v0, v11
	v_lshl_or_b32 v10, v0, 16, v10
.LBB303_1451:                           ;   in Loop: Header=BB303_927 Depth=1
	s_wait_alu 0xfffe
	s_or_b32 exec_lo, exec_lo, s14
.LBB303_1452:                           ;   in Loop: Header=BB303_927 Depth=1
	s_wait_alu 0xfffe
	s_or_b32 exec_lo, exec_lo, s13
.LBB303_1453:                           ;   in Loop: Header=BB303_927 Depth=1
	s_wait_alu 0xfffe
	s_or_b32 exec_lo, exec_lo, s12
	v_or_b32_e32 v0, v101, v102
	s_wait_loadcnt_dscnt 0x0
	v_fma_mixlo_f16 v11, v98, v101, 0 op_sel:[0,1,0] op_sel_hi:[0,1,0]
	v_or_b32_e32 v101, v99, v100
	v_fma_mixlo_f16 v99, v98, v99, 0 op_sel:[0,1,0] op_sel_hi:[0,1,0]
	v_or_b32_e32 v102, v113, v112
	v_or_b32_e32 v103, v10, v103
	v_fma_mixlo_f16 v112, v98, v0, 0 op_sel_hi:[0,1,0]
	v_fma_mixlo_f16 v10, v98, v10, 0 op_sel:[0,1,0] op_sel_hi:[0,1,0]
	v_lshlrev_b32_e32 v100, 16, v99
	v_fma_mixlo_f16 v99, v98, v101, 0 op_sel_hi:[0,1,0]
	v_fma_mixlo_f16 v101, v98, v113, 0 op_sel:[0,1,0] op_sel_hi:[0,1,0]
	v_fma_mixlo_f16 v102, v98, v102, 0 op_sel_hi:[0,1,0]
	v_fma_mixlo_f16 v103, v98, v103, 0 op_sel_hi:[0,1,0]
	v_lshlrev_b32_e32 v0, 16, v11
	v_and_b32_e32 v11, 0xffff, v112
	v_and_b32_e32 v114, 0xffff, v99
	v_lshlrev_b32_e32 v98, 16, v101
	v_and_b32_e32 v102, 0xffff, v102
	v_lshlrev_b32_e32 v10, 16, v10
	v_and_b32_e32 v99, 0xffff, v103
	v_or_b32_e32 v101, v0, v11
	v_or_b32_e32 v113, v100, v114
	;; [unrolled: 1-line block ×3, first 2 shown]
	s_delay_alu instid0(VALU_DEP_4)
	v_or_b32_e32 v103, v10, v99
	s_and_saveexec_b32 s12, vcc_lo
	s_cbranch_execz .LBB303_1455
; %bb.1454:                             ;   in Loop: Header=BB303_927 Depth=1
	v_cmp_lt_i32_e64 s0, v35, v30
	s_wait_alu 0xf1ff
	s_delay_alu instid0(VALU_DEP_1) | instskip(SKIP_2) | instid1(VALU_DEP_1)
	v_cndmask_b32_e64 v101, 0, v114, s0
	v_cmp_lt_i32_e64 s0, v69, v30
	s_wait_alu 0xf1ff
	v_cndmask_b32_e64 v100, 0, v100, s0
	v_cmp_lt_i32_e64 s0, v68, v30
	s_delay_alu instid0(VALU_DEP_2) | instskip(SKIP_1) | instid1(VALU_DEP_2)
	v_or_b32_e32 v113, v101, v100
	s_wait_alu 0xf1ff
	v_cndmask_b32_e64 v11, 0, v11, s0
	v_cmp_lt_i32_e64 s0, v67, v30
	s_wait_alu 0xf1ff
	s_delay_alu instid0(VALU_DEP_1) | instskip(SKIP_1) | instid1(VALU_DEP_2)
	v_cndmask_b32_e64 v0, 0, v0, s0
	v_cmp_lt_i32_e64 s0, v66, v30
	v_or_b32_e32 v101, v11, v0
	s_wait_alu 0xf1ff
	s_delay_alu instid0(VALU_DEP_2) | instskip(SKIP_2) | instid1(VALU_DEP_1)
	v_cndmask_b32_e64 v102, 0, v102, s0
	v_cmp_lt_i32_e64 s0, v65, v30
	s_wait_alu 0xf1ff
	v_cndmask_b32_e64 v98, 0, v98, s0
	v_cmp_lt_i32_e64 s0, v64, v30
	s_delay_alu instid0(VALU_DEP_2) | instskip(SKIP_1) | instid1(VALU_DEP_2)
	v_or_b32_e32 v112, v102, v98
	s_wait_alu 0xf1ff
	v_cndmask_b32_e64 v99, 0, v99, s0
	v_cmp_lt_i32_e64 s0, v14, v30
	s_wait_alu 0xf1ff
	s_delay_alu instid0(VALU_DEP_1) | instskip(NEXT) | instid1(VALU_DEP_1)
	v_cndmask_b32_e64 v10, 0, v10, s0
	v_or_b32_e32 v103, v99, v10
.LBB303_1455:                           ;   in Loop: Header=BB303_927 Depth=1
	s_wait_alu 0xfffe
	s_or_b32 exec_lo, exec_lo, s12
	;;#ASMSTART
	v_pk_mul_f16 v0, v54, v113;

	;;#ASMEND
	;;#ASMSTART
	v_pk_mul_f16 v10, v52, v101;

	;;#ASMEND
	;; [unrolled: 4-line block ×4, first 2 shown]
	;;#ASMSTART
	v_pk_add_f16 v0, v0, v10;

	;;#ASMEND
	;;#ASMSTART
	v_pk_add_f16 v0, v0, v11;

	;;#ASMEND
	;; [unrolled: 4-line block ×3, first 2 shown]
	v_dual_mov_b32 v101, 0 :: v_dual_and_b32 v10, 0xffff, v0
	v_lshrrev_b32_e32 v0, 16, v0
	;;#ASMSTART
	v_cvt_f32_f16 v98, v10;
	;;#ASMEND
	;;#ASMSTART
	v_cvt_f32_f16 v99, v0;
	;;#ASMEND
	flat_load_b64 v[10:11], v[8:9] offset:2048
	flat_load_b32 v100, v[26:27]
	v_mov_b32_e32 v102, 0
	s_mov_b32 s12, exec_lo
	s_wait_loadcnt_dscnt 0x101
	v_and_b32_e32 v0, 0xff, v10
	s_delay_alu instid0(VALU_DEP_1)
	v_cmpx_ne_u16_e32 0, v0
	s_cbranch_execz .LBB303_1463
; %bb.1456:                             ;   in Loop: Header=BB303_927 Depth=1
	v_mov_b32_e32 v102, 0x8000
	s_mov_b32 s13, exec_lo
	v_cmpx_ne_u16_e32 0x80, v0
	s_cbranch_execz .LBB303_1462
; %bb.1457:                             ;   in Loop: Header=BB303_927 Depth=1
	v_and_b32_e32 v103, 0x7f, v10
	v_mov_b32_e32 v102, 0x7c01
	s_mov_b32 s14, exec_lo
	s_delay_alu instid0(VALU_DEP_2)
	v_cmpx_ne_u32_e32 0x7f, v103
	s_cbranch_execz .LBB303_1461
; %bb.1458:                             ;   in Loop: Header=BB303_927 Depth=1
	v_and_b32_e32 v0, 7, v10
	v_lshrrev_b32_e32 v102, 3, v103
	s_mov_b32 s15, exec_lo
	v_cmpx_gt_u32_e32 8, v103
; %bb.1459:                             ;   in Loop: Header=BB303_927 Depth=1
	s_delay_alu instid0(VALU_DEP_3) | instskip(NEXT) | instid1(VALU_DEP_1)
	v_clz_i32_u32_e32 v0, v0
	v_min_u32_e32 v0, 32, v0
	s_delay_alu instid0(VALU_DEP_1) | instskip(NEXT) | instid1(VALU_DEP_1)
	v_subrev_nc_u32_e32 v102, 28, v0
	v_lshlrev_b64_e32 v[112:113], v102, v[10:11]
	v_sub_nc_u32_e32 v102, 29, v0
	s_delay_alu instid0(VALU_DEP_2)
	v_and_b32_e32 v0, 7, v112
; %bb.1460:                             ;   in Loop: Header=BB303_927 Depth=1
	s_wait_alu 0xfffe
	s_or_b32 exec_lo, exec_lo, s15
	v_lshlrev_b32_e32 v103, 8, v10
	v_lshl_add_u32 v102, v102, 10, 0x2000
	v_lshlrev_b32_e32 v0, 7, v0
	s_delay_alu instid0(VALU_DEP_3) | instskip(NEXT) | instid1(VALU_DEP_3)
	v_and_b32_e32 v103, 0x8000, v103
	v_and_b32_e32 v102, 0xfc00, v102
	s_delay_alu instid0(VALU_DEP_1)
	v_or3_b32 v102, v103, v102, v0
.LBB303_1461:                           ;   in Loop: Header=BB303_927 Depth=1
	s_wait_alu 0xfffe
	s_or_b32 exec_lo, exec_lo, s14
.LBB303_1462:                           ;   in Loop: Header=BB303_927 Depth=1
	s_wait_alu 0xfffe
	s_or_b32 exec_lo, exec_lo, s13
.LBB303_1463:                           ;   in Loop: Header=BB303_927 Depth=1
	s_wait_alu 0xfffe
	s_or_b32 exec_lo, exec_lo, s12
	v_lshrrev_b16 v0, 8, v10
	s_mov_b32 s12, exec_lo
	s_delay_alu instid0(VALU_DEP_1)
	v_cmpx_ne_u16_e32 0, v0
	s_cbranch_execz .LBB303_1471
; %bb.1464:                             ;   in Loop: Header=BB303_927 Depth=1
	v_bfrev_b32_e32 v101, 1
	s_mov_b32 s13, exec_lo
	v_cmpx_ne_u16_e32 0x80, v0
	s_cbranch_execz .LBB303_1470
; %bb.1465:                             ;   in Loop: Header=BB303_927 Depth=1
	v_and_b32_e32 v103, 0xffff, v0
	v_mov_b32_e32 v101, 0x7c010000
	s_mov_b32 s14, exec_lo
	s_delay_alu instid0(VALU_DEP_2) | instskip(NEXT) | instid1(VALU_DEP_1)
	v_and_b32_e32 v113, 0x7f, v103
	v_cmpx_ne_u32_e32 0x7f, v113
	s_cbranch_execz .LBB303_1469
; %bb.1466:                             ;   in Loop: Header=BB303_927 Depth=1
	v_and_b32_e32 v101, 7, v103
	v_lshrrev_b32_e32 v112, 3, v113
	s_mov_b32 s15, exec_lo
	v_cmpx_gt_u32_e32 8, v113
; %bb.1467:                             ;   in Loop: Header=BB303_927 Depth=1
	s_delay_alu instid0(VALU_DEP_3) | instskip(NEXT) | instid1(VALU_DEP_1)
	v_clz_i32_u32_e32 v101, v101
	v_min_u32_e32 v101, 32, v101
	s_delay_alu instid0(VALU_DEP_1) | instskip(NEXT) | instid1(VALU_DEP_1)
	v_subrev_nc_u32_e32 v112, 28, v101
	v_lshlrev_b64_e32 v[113:114], v112, v[0:1]
	v_sub_nc_u32_e32 v112, 29, v101
	s_delay_alu instid0(VALU_DEP_2)
	v_and_b32_e32 v101, 7, v113
; %bb.1468:                             ;   in Loop: Header=BB303_927 Depth=1
	s_wait_alu 0xfffe
	s_or_b32 exec_lo, exec_lo, s15
	v_lshlrev_b32_e32 v0, 8, v103
	v_lshl_add_u32 v103, v112, 10, 0x2000
	v_lshlrev_b32_e32 v101, 23, v101
	s_delay_alu instid0(VALU_DEP_2) | instskip(NEXT) | instid1(VALU_DEP_1)
	v_and_or_b32 v0, 0x8000, v0, v103
	v_lshl_or_b32 v101, v0, 16, v101
.LBB303_1469:                           ;   in Loop: Header=BB303_927 Depth=1
	s_wait_alu 0xfffe
	s_or_b32 exec_lo, exec_lo, s14
.LBB303_1470:                           ;   in Loop: Header=BB303_927 Depth=1
	s_wait_alu 0xfffe
	s_or_b32 exec_lo, exec_lo, s13
.LBB303_1471:                           ;   in Loop: Header=BB303_927 Depth=1
	s_wait_alu 0xfffe
	s_or_b32 exec_lo, exec_lo, s12
	v_lshrrev_b32_e32 v0, 16, v10
	v_mov_b32_e32 v103, 0
	s_mov_b32 s12, exec_lo
	s_delay_alu instid0(VALU_DEP_2) | instskip(NEXT) | instid1(VALU_DEP_1)
	v_dual_mov_b32 v112, 0 :: v_dual_and_b32 v113, 0xff, v0
	v_cmpx_ne_u16_e32 0, v113
	s_cbranch_execz .LBB303_1479
; %bb.1472:                             ;   in Loop: Header=BB303_927 Depth=1
	v_mov_b32_e32 v112, 0x8000
	s_mov_b32 s13, exec_lo
	v_cmpx_ne_u16_e32 0x80, v113
	s_cbranch_execz .LBB303_1478
; %bb.1473:                             ;   in Loop: Header=BB303_927 Depth=1
	v_bfe_u32 v114, v10, 16, 7
	v_mov_b32_e32 v112, 0x7c01
	s_mov_b32 s14, exec_lo
	s_delay_alu instid0(VALU_DEP_2)
	v_cmpx_ne_u32_e32 0x7f, v114
	s_cbranch_execz .LBB303_1477
; %bb.1474:                             ;   in Loop: Header=BB303_927 Depth=1
	v_and_b32_e32 v112, 7, v0
	v_lshrrev_b32_e32 v113, 3, v114
	s_mov_b32 s15, exec_lo
	v_cmpx_gt_u32_e32 8, v114
; %bb.1475:                             ;   in Loop: Header=BB303_927 Depth=1
	s_delay_alu instid0(VALU_DEP_3) | instskip(NEXT) | instid1(VALU_DEP_1)
	v_clz_i32_u32_e32 v112, v112
	v_min_u32_e32 v114, 32, v112
	s_delay_alu instid0(VALU_DEP_1) | instskip(NEXT) | instid1(VALU_DEP_1)
	v_subrev_nc_u32_e32 v112, 28, v114
	v_lshlrev_b64_e32 v[112:113], v112, v[0:1]
	v_sub_nc_u32_e32 v113, 29, v114
	s_delay_alu instid0(VALU_DEP_2)
	v_and_b32_e32 v112, 7, v112
; %bb.1476:                             ;   in Loop: Header=BB303_927 Depth=1
	s_wait_alu 0xfffe
	s_or_b32 exec_lo, exec_lo, s15
	v_lshlrev_b32_e32 v0, 8, v0
	v_lshl_add_u32 v113, v113, 10, 0x2000
	v_lshlrev_b32_e32 v112, 7, v112
	s_delay_alu instid0(VALU_DEP_3) | instskip(NEXT) | instid1(VALU_DEP_3)
	v_and_b32_e32 v0, 0x8000, v0
	v_and_b32_e32 v113, 0xfc00, v113
	s_delay_alu instid0(VALU_DEP_1)
	v_or3_b32 v112, v0, v113, v112
.LBB303_1477:                           ;   in Loop: Header=BB303_927 Depth=1
	s_wait_alu 0xfffe
	s_or_b32 exec_lo, exec_lo, s14
.LBB303_1478:                           ;   in Loop: Header=BB303_927 Depth=1
	s_wait_alu 0xfffe
	s_or_b32 exec_lo, exec_lo, s13
.LBB303_1479:                           ;   in Loop: Header=BB303_927 Depth=1
	s_wait_alu 0xfffe
	s_or_b32 exec_lo, exec_lo, s12
	s_delay_alu instid0(SALU_CYCLE_1)
	s_mov_b32 s12, exec_lo
	v_cmpx_lt_u32_e32 0xffffff, v10
	s_cbranch_execz .LBB303_1487
; %bb.1480:                             ;   in Loop: Header=BB303_927 Depth=1
	v_lshrrev_b32_e32 v0, 24, v10
	v_bfrev_b32_e32 v103, 1
	s_mov_b32 s13, exec_lo
	s_delay_alu instid0(VALU_DEP_2)
	v_cmpx_ne_u32_e32 0x80, v0
	s_cbranch_execz .LBB303_1486
; %bb.1481:                             ;   in Loop: Header=BB303_927 Depth=1
	v_and_b32_e32 v114, 0x7f, v0
	v_mov_b32_e32 v103, 0x7c010000
	s_mov_b32 s14, exec_lo
	s_delay_alu instid0(VALU_DEP_2)
	v_cmpx_ne_u32_e32 0x7f, v114
	s_cbranch_execz .LBB303_1485
; %bb.1482:                             ;   in Loop: Header=BB303_927 Depth=1
	v_and_b32_e32 v103, 7, v0
	v_lshrrev_b32_e32 v113, 3, v114
	s_mov_b32 s15, exec_lo
	v_cmpx_gt_u32_e32 8, v114
; %bb.1483:                             ;   in Loop: Header=BB303_927 Depth=1
	s_delay_alu instid0(VALU_DEP_3) | instskip(NEXT) | instid1(VALU_DEP_1)
	v_clz_i32_u32_e32 v103, v103
	v_min_u32_e32 v103, 32, v103
	s_delay_alu instid0(VALU_DEP_1) | instskip(NEXT) | instid1(VALU_DEP_1)
	v_subrev_nc_u32_e32 v113, 28, v103
	v_lshlrev_b64_e32 v[114:115], v113, v[0:1]
	v_sub_nc_u32_e32 v113, 29, v103
	s_delay_alu instid0(VALU_DEP_2)
	v_and_b32_e32 v103, 7, v114
; %bb.1484:                             ;   in Loop: Header=BB303_927 Depth=1
	s_wait_alu 0xfffe
	s_or_b32 exec_lo, exec_lo, s15
	v_lshlrev_b32_e32 v0, 8, v0
	v_lshl_add_u32 v113, v113, 10, 0x2000
	v_lshlrev_b32_e32 v103, 23, v103
	s_delay_alu instid0(VALU_DEP_2) | instskip(NEXT) | instid1(VALU_DEP_1)
	v_and_or_b32 v0, 0x8000, v0, v113
	v_lshl_or_b32 v103, v0, 16, v103
.LBB303_1485:                           ;   in Loop: Header=BB303_927 Depth=1
	s_wait_alu 0xfffe
	s_or_b32 exec_lo, exec_lo, s14
.LBB303_1486:                           ;   in Loop: Header=BB303_927 Depth=1
	s_wait_alu 0xfffe
	s_or_b32 exec_lo, exec_lo, s13
.LBB303_1487:                           ;   in Loop: Header=BB303_927 Depth=1
	s_wait_alu 0xfffe
	s_or_b32 exec_lo, exec_lo, s12
	v_dual_mov_b32 v0, v11 :: v_dual_and_b32 v115, 0xff, v11
	v_dual_mov_b32 v113, 0 :: v_dual_mov_b32 v114, 0
	s_mov_b32 s12, exec_lo
	s_delay_alu instid0(VALU_DEP_2)
	v_cmpx_ne_u16_e32 0, v115
	s_cbranch_execz .LBB303_1495
; %bb.1488:                             ;   in Loop: Header=BB303_927 Depth=1
	v_mov_b32_e32 v114, 0x8000
	s_mov_b32 s13, exec_lo
	v_cmpx_ne_u16_e32 0x80, v115
	s_cbranch_execz .LBB303_1494
; %bb.1489:                             ;   in Loop: Header=BB303_927 Depth=1
	v_and_b32_e32 v116, 0x7f, v11
	v_mov_b32_e32 v114, 0x7c01
	s_mov_b32 s14, exec_lo
	s_delay_alu instid0(VALU_DEP_2)
	v_cmpx_ne_u32_e32 0x7f, v116
	s_cbranch_execz .LBB303_1493
; %bb.1490:                             ;   in Loop: Header=BB303_927 Depth=1
	v_and_b32_e32 v114, 7, v11
	v_lshrrev_b32_e32 v115, 3, v116
	s_mov_b32 s15, exec_lo
	v_cmpx_gt_u32_e32 8, v116
; %bb.1491:                             ;   in Loop: Header=BB303_927 Depth=1
	s_delay_alu instid0(VALU_DEP_3) | instskip(NEXT) | instid1(VALU_DEP_1)
	v_clz_i32_u32_e32 v114, v114
	v_min_u32_e32 v116, 32, v114
	s_delay_alu instid0(VALU_DEP_1) | instskip(NEXT) | instid1(VALU_DEP_1)
	v_subrev_nc_u32_e32 v114, 28, v116
	v_lshlrev_b64_e32 v[114:115], v114, v[0:1]
	v_sub_nc_u32_e32 v115, 29, v116
	s_delay_alu instid0(VALU_DEP_2)
	v_and_b32_e32 v114, 7, v114
; %bb.1492:                             ;   in Loop: Header=BB303_927 Depth=1
	s_wait_alu 0xfffe
	s_or_b32 exec_lo, exec_lo, s15
	v_lshlrev_b32_e32 v116, 8, v11
	v_lshl_add_u32 v115, v115, 10, 0x2000
	v_lshlrev_b32_e32 v114, 7, v114
	s_delay_alu instid0(VALU_DEP_3) | instskip(NEXT) | instid1(VALU_DEP_3)
	v_and_b32_e32 v116, 0x8000, v116
	v_and_b32_e32 v115, 0xfc00, v115
	s_delay_alu instid0(VALU_DEP_1)
	v_or3_b32 v114, v116, v115, v114
.LBB303_1493:                           ;   in Loop: Header=BB303_927 Depth=1
	s_wait_alu 0xfffe
	s_or_b32 exec_lo, exec_lo, s14
.LBB303_1494:                           ;   in Loop: Header=BB303_927 Depth=1
	s_wait_alu 0xfffe
	s_or_b32 exec_lo, exec_lo, s13
.LBB303_1495:                           ;   in Loop: Header=BB303_927 Depth=1
	s_wait_alu 0xfffe
	s_or_b32 exec_lo, exec_lo, s12
	v_lshrrev_b16 v0, 8, v0
	v_mov_b32_e32 v115, 0
	s_mov_b32 s12, exec_lo
	s_delay_alu instid0(VALU_DEP_2)
	v_cmpx_ne_u16_e32 0, v0
	s_cbranch_execz .LBB303_1503
; %bb.1496:                             ;   in Loop: Header=BB303_927 Depth=1
	v_bfrev_b32_e32 v115, 1
	s_mov_b32 s13, exec_lo
	v_cmpx_ne_u16_e32 0x80, v0
	s_cbranch_execz .LBB303_1502
; %bb.1497:                             ;   in Loop: Header=BB303_927 Depth=1
	v_and_b32_e32 v116, 0xffff, v0
	v_mov_b32_e32 v115, 0x7c010000
	s_mov_b32 s14, exec_lo
	s_delay_alu instid0(VALU_DEP_2) | instskip(NEXT) | instid1(VALU_DEP_1)
	v_and_b32_e32 v118, 0x7f, v116
	v_cmpx_ne_u32_e32 0x7f, v118
	s_cbranch_execz .LBB303_1501
; %bb.1498:                             ;   in Loop: Header=BB303_927 Depth=1
	v_and_b32_e32 v115, 7, v116
	v_lshrrev_b32_e32 v117, 3, v118
	s_mov_b32 s15, exec_lo
	v_cmpx_gt_u32_e32 8, v118
; %bb.1499:                             ;   in Loop: Header=BB303_927 Depth=1
	s_delay_alu instid0(VALU_DEP_3) | instskip(NEXT) | instid1(VALU_DEP_1)
	v_clz_i32_u32_e32 v115, v115
	v_min_u32_e32 v115, 32, v115
	s_delay_alu instid0(VALU_DEP_1) | instskip(NEXT) | instid1(VALU_DEP_1)
	v_subrev_nc_u32_e32 v117, 28, v115
	v_lshlrev_b64_e32 v[118:119], v117, v[0:1]
	v_sub_nc_u32_e32 v117, 29, v115
	s_delay_alu instid0(VALU_DEP_2)
	v_and_b32_e32 v115, 7, v118
; %bb.1500:                             ;   in Loop: Header=BB303_927 Depth=1
	s_wait_alu 0xfffe
	s_or_b32 exec_lo, exec_lo, s15
	v_lshlrev_b32_e32 v0, 8, v116
	v_lshl_add_u32 v116, v117, 10, 0x2000
	v_lshlrev_b32_e32 v115, 23, v115
	s_delay_alu instid0(VALU_DEP_2) | instskip(NEXT) | instid1(VALU_DEP_1)
	v_and_or_b32 v0, 0x8000, v0, v116
	v_lshl_or_b32 v115, v0, 16, v115
.LBB303_1501:                           ;   in Loop: Header=BB303_927 Depth=1
	s_wait_alu 0xfffe
	s_or_b32 exec_lo, exec_lo, s14
.LBB303_1502:                           ;   in Loop: Header=BB303_927 Depth=1
	s_wait_alu 0xfffe
	s_or_b32 exec_lo, exec_lo, s13
.LBB303_1503:                           ;   in Loop: Header=BB303_927 Depth=1
	s_wait_alu 0xfffe
	s_or_b32 exec_lo, exec_lo, s12
	v_lshrrev_b32_e32 v0, 16, v11
	s_mov_b32 s12, exec_lo
	s_delay_alu instid0(VALU_DEP_1) | instskip(NEXT) | instid1(VALU_DEP_1)
	v_and_b32_e32 v116, 0xff, v0
	v_cmpx_ne_u16_e32 0, v116
	s_cbranch_execz .LBB303_1511
; %bb.1504:                             ;   in Loop: Header=BB303_927 Depth=1
	v_mov_b32_e32 v113, 0x8000
	s_mov_b32 s13, exec_lo
	v_cmpx_ne_u16_e32 0x80, v116
	s_cbranch_execz .LBB303_1510
; %bb.1505:                             ;   in Loop: Header=BB303_927 Depth=1
	v_bfe_u32 v117, v11, 16, 7
	v_mov_b32_e32 v113, 0x7c01
	s_mov_b32 s14, exec_lo
	s_delay_alu instid0(VALU_DEP_2)
	v_cmpx_ne_u32_e32 0x7f, v117
	s_cbranch_execz .LBB303_1509
; %bb.1506:                             ;   in Loop: Header=BB303_927 Depth=1
	v_and_b32_e32 v113, 7, v0
	v_lshrrev_b32_e32 v116, 3, v117
	s_mov_b32 s15, exec_lo
	v_cmpx_gt_u32_e32 8, v117
; %bb.1507:                             ;   in Loop: Header=BB303_927 Depth=1
	s_delay_alu instid0(VALU_DEP_3) | instskip(NEXT) | instid1(VALU_DEP_1)
	v_clz_i32_u32_e32 v113, v113
	v_min_u32_e32 v113, 32, v113
	s_delay_alu instid0(VALU_DEP_1) | instskip(NEXT) | instid1(VALU_DEP_1)
	v_subrev_nc_u32_e32 v116, 28, v113
	v_lshlrev_b64_e32 v[117:118], v116, v[0:1]
	v_sub_nc_u32_e32 v116, 29, v113
	s_delay_alu instid0(VALU_DEP_2)
	v_and_b32_e32 v113, 7, v117
; %bb.1508:                             ;   in Loop: Header=BB303_927 Depth=1
	s_wait_alu 0xfffe
	s_or_b32 exec_lo, exec_lo, s15
	v_lshlrev_b32_e32 v0, 8, v0
	v_lshl_add_u32 v116, v116, 10, 0x2000
	v_lshlrev_b32_e32 v113, 7, v113
	s_delay_alu instid0(VALU_DEP_3) | instskip(NEXT) | instid1(VALU_DEP_3)
	v_and_b32_e32 v0, 0x8000, v0
	v_and_b32_e32 v116, 0xfc00, v116
	s_delay_alu instid0(VALU_DEP_1)
	v_or3_b32 v113, v0, v116, v113
.LBB303_1509:                           ;   in Loop: Header=BB303_927 Depth=1
	s_wait_alu 0xfffe
	s_or_b32 exec_lo, exec_lo, s14
.LBB303_1510:                           ;   in Loop: Header=BB303_927 Depth=1
	s_wait_alu 0xfffe
	s_or_b32 exec_lo, exec_lo, s13
.LBB303_1511:                           ;   in Loop: Header=BB303_927 Depth=1
	s_wait_alu 0xfffe
	s_or_b32 exec_lo, exec_lo, s12
	v_cmp_lt_u64_e64 s0, s[8:9], v[10:11]
	v_mov_b32_e32 v10, 0
	s_and_saveexec_b32 s12, s0
	s_cbranch_execz .LBB303_1519
; %bb.1512:                             ;   in Loop: Header=BB303_927 Depth=1
	v_lshrrev_b32_e32 v0, 24, v11
	v_bfrev_b32_e32 v10, 1
	s_mov_b32 s13, exec_lo
	s_delay_alu instid0(VALU_DEP_2)
	v_cmpx_ne_u32_e32 0x80, v0
	s_cbranch_execz .LBB303_1518
; %bb.1513:                             ;   in Loop: Header=BB303_927 Depth=1
	v_and_b32_e32 v116, 0x7f, v0
	v_mov_b32_e32 v10, 0x7c010000
	s_mov_b32 s14, exec_lo
	s_delay_alu instid0(VALU_DEP_2)
	v_cmpx_ne_u32_e32 0x7f, v116
	s_cbranch_execz .LBB303_1517
; %bb.1514:                             ;   in Loop: Header=BB303_927 Depth=1
	v_and_b32_e32 v10, 7, v0
	v_lshrrev_b32_e32 v11, 3, v116
	s_mov_b32 s15, exec_lo
	v_cmpx_gt_u32_e32 8, v116
; %bb.1515:                             ;   in Loop: Header=BB303_927 Depth=1
	s_delay_alu instid0(VALU_DEP_3) | instskip(NEXT) | instid1(VALU_DEP_1)
	v_clz_i32_u32_e32 v10, v10
	v_min_u32_e32 v116, 32, v10
	s_delay_alu instid0(VALU_DEP_1) | instskip(NEXT) | instid1(VALU_DEP_1)
	v_subrev_nc_u32_e32 v10, 28, v116
	v_lshlrev_b64_e32 v[10:11], v10, v[0:1]
	v_sub_nc_u32_e32 v11, 29, v116
	s_delay_alu instid0(VALU_DEP_2)
	v_and_b32_e32 v10, 7, v10
; %bb.1516:                             ;   in Loop: Header=BB303_927 Depth=1
	s_wait_alu 0xfffe
	s_or_b32 exec_lo, exec_lo, s15
	v_lshlrev_b32_e32 v0, 8, v0
	v_lshl_add_u32 v11, v11, 10, 0x2000
	v_lshlrev_b32_e32 v10, 23, v10
	s_delay_alu instid0(VALU_DEP_2) | instskip(NEXT) | instid1(VALU_DEP_1)
	v_and_or_b32 v0, 0x8000, v0, v11
	v_lshl_or_b32 v10, v0, 16, v10
.LBB303_1517:                           ;   in Loop: Header=BB303_927 Depth=1
	s_wait_alu 0xfffe
	s_or_b32 exec_lo, exec_lo, s14
.LBB303_1518:                           ;   in Loop: Header=BB303_927 Depth=1
	s_wait_alu 0xfffe
	s_or_b32 exec_lo, exec_lo, s13
.LBB303_1519:                           ;   in Loop: Header=BB303_927 Depth=1
	s_wait_alu 0xfffe
	s_or_b32 exec_lo, exec_lo, s12
	v_or_b32_e32 v0, v103, v112
	s_wait_loadcnt_dscnt 0x0
	v_fma_mixlo_f16 v11, v100, v103, 0 op_sel:[0,1,0] op_sel_hi:[0,1,0]
	v_or_b32_e32 v103, v101, v102
	v_fma_mixlo_f16 v101, v100, v101, 0 op_sel:[0,1,0] op_sel_hi:[0,1,0]
	v_or_b32_e32 v112, v115, v114
	v_or_b32_e32 v113, v10, v113
	v_fma_mixlo_f16 v114, v100, v0, 0 op_sel_hi:[0,1,0]
	v_fma_mixlo_f16 v10, v100, v10, 0 op_sel:[0,1,0] op_sel_hi:[0,1,0]
	v_lshlrev_b32_e32 v102, 16, v101
	v_fma_mixlo_f16 v101, v100, v103, 0 op_sel_hi:[0,1,0]
	v_fma_mixlo_f16 v103, v100, v115, 0 op_sel:[0,1,0] op_sel_hi:[0,1,0]
	v_fma_mixlo_f16 v112, v100, v112, 0 op_sel_hi:[0,1,0]
	v_fma_mixlo_f16 v113, v100, v113, 0 op_sel_hi:[0,1,0]
	v_lshlrev_b32_e32 v0, 16, v11
	v_and_b32_e32 v11, 0xffff, v114
	v_and_b32_e32 v116, 0xffff, v101
	v_lshlrev_b32_e32 v100, 16, v103
	v_and_b32_e32 v112, 0xffff, v112
	v_lshlrev_b32_e32 v10, 16, v10
	v_and_b32_e32 v101, 0xffff, v113
	v_or_b32_e32 v103, v0, v11
	v_or_b32_e32 v115, v102, v116
	;; [unrolled: 1-line block ×3, first 2 shown]
	s_delay_alu instid0(VALU_DEP_4)
	v_or_b32_e32 v113, v10, v101
	s_and_saveexec_b32 s12, vcc_lo
	s_cbranch_execz .LBB303_1521
; %bb.1520:                             ;   in Loop: Header=BB303_927 Depth=1
	v_cmp_lt_i32_e64 s0, v35, v30
	s_wait_alu 0xf1ff
	s_delay_alu instid0(VALU_DEP_1) | instskip(SKIP_2) | instid1(VALU_DEP_1)
	v_cndmask_b32_e64 v103, 0, v116, s0
	v_cmp_lt_i32_e64 s0, v69, v30
	s_wait_alu 0xf1ff
	v_cndmask_b32_e64 v102, 0, v102, s0
	v_cmp_lt_i32_e64 s0, v68, v30
	s_delay_alu instid0(VALU_DEP_2) | instskip(SKIP_1) | instid1(VALU_DEP_2)
	v_or_b32_e32 v115, v103, v102
	s_wait_alu 0xf1ff
	v_cndmask_b32_e64 v11, 0, v11, s0
	v_cmp_lt_i32_e64 s0, v67, v30
	s_wait_alu 0xf1ff
	s_delay_alu instid0(VALU_DEP_1) | instskip(SKIP_1) | instid1(VALU_DEP_2)
	v_cndmask_b32_e64 v0, 0, v0, s0
	v_cmp_lt_i32_e64 s0, v66, v30
	v_or_b32_e32 v103, v11, v0
	s_wait_alu 0xf1ff
	s_delay_alu instid0(VALU_DEP_2) | instskip(SKIP_2) | instid1(VALU_DEP_1)
	v_cndmask_b32_e64 v112, 0, v112, s0
	v_cmp_lt_i32_e64 s0, v65, v30
	s_wait_alu 0xf1ff
	v_cndmask_b32_e64 v100, 0, v100, s0
	v_cmp_lt_i32_e64 s0, v64, v30
	s_delay_alu instid0(VALU_DEP_2) | instskip(SKIP_1) | instid1(VALU_DEP_2)
	v_or_b32_e32 v114, v112, v100
	s_wait_alu 0xf1ff
	v_cndmask_b32_e64 v101, 0, v101, s0
	v_cmp_lt_i32_e64 s0, v14, v30
	s_wait_alu 0xf1ff
	s_delay_alu instid0(VALU_DEP_1) | instskip(NEXT) | instid1(VALU_DEP_1)
	v_cndmask_b32_e64 v10, 0, v10, s0
	v_or_b32_e32 v113, v101, v10
.LBB303_1521:                           ;   in Loop: Header=BB303_927 Depth=1
	s_wait_alu 0xfffe
	s_or_b32 exec_lo, exec_lo, s12
	;;#ASMSTART
	v_pk_mul_f16 v0, v54, v115;

	;;#ASMEND
	;;#ASMSTART
	v_pk_mul_f16 v10, v52, v103;

	;;#ASMEND
	;; [unrolled: 4-line block ×4, first 2 shown]
	;;#ASMSTART
	v_pk_add_f16 v0, v0, v10;

	;;#ASMEND
	;;#ASMSTART
	v_pk_add_f16 v0, v0, v11;

	;;#ASMEND
	;; [unrolled: 4-line block ×3, first 2 shown]
	v_dual_mov_b32 v103, 0 :: v_dual_and_b32 v10, 0xffff, v0
	v_lshrrev_b32_e32 v0, 16, v0
	;;#ASMSTART
	v_cvt_f32_f16 v100, v10;
	;;#ASMEND
	;;#ASMSTART
	v_cvt_f32_f16 v101, v0;
	;;#ASMEND
	flat_load_b64 v[10:11], v[8:9] offset:2304
	flat_load_b32 v102, v[26:27]
	v_mov_b32_e32 v112, 0
	s_mov_b32 s12, exec_lo
	s_wait_loadcnt_dscnt 0x101
	v_and_b32_e32 v0, 0xff, v10
	s_delay_alu instid0(VALU_DEP_1)
	v_cmpx_ne_u16_e32 0, v0
	s_cbranch_execz .LBB303_1529
; %bb.1522:                             ;   in Loop: Header=BB303_927 Depth=1
	v_mov_b32_e32 v112, 0x8000
	s_mov_b32 s13, exec_lo
	v_cmpx_ne_u16_e32 0x80, v0
	s_cbranch_execz .LBB303_1528
; %bb.1523:                             ;   in Loop: Header=BB303_927 Depth=1
	v_and_b32_e32 v113, 0x7f, v10
	v_mov_b32_e32 v112, 0x7c01
	s_mov_b32 s14, exec_lo
	s_delay_alu instid0(VALU_DEP_2)
	v_cmpx_ne_u32_e32 0x7f, v113
	s_cbranch_execz .LBB303_1527
; %bb.1524:                             ;   in Loop: Header=BB303_927 Depth=1
	v_and_b32_e32 v0, 7, v10
	v_lshrrev_b32_e32 v112, 3, v113
	s_mov_b32 s15, exec_lo
	v_cmpx_gt_u32_e32 8, v113
; %bb.1525:                             ;   in Loop: Header=BB303_927 Depth=1
	s_delay_alu instid0(VALU_DEP_3) | instskip(NEXT) | instid1(VALU_DEP_1)
	v_clz_i32_u32_e32 v0, v0
	v_min_u32_e32 v0, 32, v0
	s_delay_alu instid0(VALU_DEP_1) | instskip(NEXT) | instid1(VALU_DEP_1)
	v_subrev_nc_u32_e32 v112, 28, v0
	v_lshlrev_b64_e32 v[113:114], v112, v[10:11]
	v_sub_nc_u32_e32 v112, 29, v0
	s_delay_alu instid0(VALU_DEP_2)
	v_and_b32_e32 v0, 7, v113
; %bb.1526:                             ;   in Loop: Header=BB303_927 Depth=1
	s_wait_alu 0xfffe
	s_or_b32 exec_lo, exec_lo, s15
	v_lshlrev_b32_e32 v113, 8, v10
	v_lshl_add_u32 v112, v112, 10, 0x2000
	v_lshlrev_b32_e32 v0, 7, v0
	s_delay_alu instid0(VALU_DEP_3) | instskip(NEXT) | instid1(VALU_DEP_3)
	v_and_b32_e32 v113, 0x8000, v113
	v_and_b32_e32 v112, 0xfc00, v112
	s_delay_alu instid0(VALU_DEP_1)
	v_or3_b32 v112, v113, v112, v0
.LBB303_1527:                           ;   in Loop: Header=BB303_927 Depth=1
	s_wait_alu 0xfffe
	s_or_b32 exec_lo, exec_lo, s14
.LBB303_1528:                           ;   in Loop: Header=BB303_927 Depth=1
	s_wait_alu 0xfffe
	s_or_b32 exec_lo, exec_lo, s13
.LBB303_1529:                           ;   in Loop: Header=BB303_927 Depth=1
	s_wait_alu 0xfffe
	s_or_b32 exec_lo, exec_lo, s12
	v_lshrrev_b16 v0, 8, v10
	s_mov_b32 s12, exec_lo
	s_delay_alu instid0(VALU_DEP_1)
	v_cmpx_ne_u16_e32 0, v0
	s_cbranch_execz .LBB303_1537
; %bb.1530:                             ;   in Loop: Header=BB303_927 Depth=1
	v_bfrev_b32_e32 v103, 1
	s_mov_b32 s13, exec_lo
	v_cmpx_ne_u16_e32 0x80, v0
	s_cbranch_execz .LBB303_1536
; %bb.1531:                             ;   in Loop: Header=BB303_927 Depth=1
	v_and_b32_e32 v113, 0xffff, v0
	v_mov_b32_e32 v103, 0x7c010000
	s_mov_b32 s14, exec_lo
	s_delay_alu instid0(VALU_DEP_2) | instskip(NEXT) | instid1(VALU_DEP_1)
	v_and_b32_e32 v115, 0x7f, v113
	v_cmpx_ne_u32_e32 0x7f, v115
	s_cbranch_execz .LBB303_1535
; %bb.1532:                             ;   in Loop: Header=BB303_927 Depth=1
	v_and_b32_e32 v103, 7, v113
	v_lshrrev_b32_e32 v114, 3, v115
	s_mov_b32 s15, exec_lo
	v_cmpx_gt_u32_e32 8, v115
; %bb.1533:                             ;   in Loop: Header=BB303_927 Depth=1
	s_delay_alu instid0(VALU_DEP_3) | instskip(NEXT) | instid1(VALU_DEP_1)
	v_clz_i32_u32_e32 v103, v103
	v_min_u32_e32 v103, 32, v103
	s_delay_alu instid0(VALU_DEP_1) | instskip(NEXT) | instid1(VALU_DEP_1)
	v_subrev_nc_u32_e32 v114, 28, v103
	v_lshlrev_b64_e32 v[115:116], v114, v[0:1]
	v_sub_nc_u32_e32 v114, 29, v103
	s_delay_alu instid0(VALU_DEP_2)
	v_and_b32_e32 v103, 7, v115
; %bb.1534:                             ;   in Loop: Header=BB303_927 Depth=1
	s_wait_alu 0xfffe
	s_or_b32 exec_lo, exec_lo, s15
	v_lshlrev_b32_e32 v0, 8, v113
	v_lshl_add_u32 v113, v114, 10, 0x2000
	v_lshlrev_b32_e32 v103, 23, v103
	s_delay_alu instid0(VALU_DEP_2) | instskip(NEXT) | instid1(VALU_DEP_1)
	v_and_or_b32 v0, 0x8000, v0, v113
	v_lshl_or_b32 v103, v0, 16, v103
.LBB303_1535:                           ;   in Loop: Header=BB303_927 Depth=1
	s_wait_alu 0xfffe
	s_or_b32 exec_lo, exec_lo, s14
.LBB303_1536:                           ;   in Loop: Header=BB303_927 Depth=1
	s_wait_alu 0xfffe
	s_or_b32 exec_lo, exec_lo, s13
.LBB303_1537:                           ;   in Loop: Header=BB303_927 Depth=1
	s_wait_alu 0xfffe
	s_or_b32 exec_lo, exec_lo, s12
	v_lshrrev_b32_e32 v0, 16, v10
	v_mov_b32_e32 v113, 0
	s_mov_b32 s12, exec_lo
	s_delay_alu instid0(VALU_DEP_2) | instskip(NEXT) | instid1(VALU_DEP_1)
	v_dual_mov_b32 v114, 0 :: v_dual_and_b32 v115, 0xff, v0
	v_cmpx_ne_u16_e32 0, v115
	s_cbranch_execz .LBB303_1545
; %bb.1538:                             ;   in Loop: Header=BB303_927 Depth=1
	v_mov_b32_e32 v114, 0x8000
	s_mov_b32 s13, exec_lo
	v_cmpx_ne_u16_e32 0x80, v115
	s_cbranch_execz .LBB303_1544
; %bb.1539:                             ;   in Loop: Header=BB303_927 Depth=1
	v_bfe_u32 v116, v10, 16, 7
	v_mov_b32_e32 v114, 0x7c01
	s_mov_b32 s14, exec_lo
	s_delay_alu instid0(VALU_DEP_2)
	v_cmpx_ne_u32_e32 0x7f, v116
	s_cbranch_execz .LBB303_1543
; %bb.1540:                             ;   in Loop: Header=BB303_927 Depth=1
	v_and_b32_e32 v114, 7, v0
	v_lshrrev_b32_e32 v115, 3, v116
	s_mov_b32 s15, exec_lo
	v_cmpx_gt_u32_e32 8, v116
; %bb.1541:                             ;   in Loop: Header=BB303_927 Depth=1
	s_delay_alu instid0(VALU_DEP_3) | instskip(NEXT) | instid1(VALU_DEP_1)
	v_clz_i32_u32_e32 v114, v114
	v_min_u32_e32 v116, 32, v114
	s_delay_alu instid0(VALU_DEP_1) | instskip(NEXT) | instid1(VALU_DEP_1)
	v_subrev_nc_u32_e32 v114, 28, v116
	v_lshlrev_b64_e32 v[114:115], v114, v[0:1]
	v_sub_nc_u32_e32 v115, 29, v116
	s_delay_alu instid0(VALU_DEP_2)
	v_and_b32_e32 v114, 7, v114
; %bb.1542:                             ;   in Loop: Header=BB303_927 Depth=1
	s_wait_alu 0xfffe
	s_or_b32 exec_lo, exec_lo, s15
	v_lshlrev_b32_e32 v0, 8, v0
	v_lshl_add_u32 v115, v115, 10, 0x2000
	v_lshlrev_b32_e32 v114, 7, v114
	s_delay_alu instid0(VALU_DEP_3) | instskip(NEXT) | instid1(VALU_DEP_3)
	v_and_b32_e32 v0, 0x8000, v0
	v_and_b32_e32 v115, 0xfc00, v115
	s_delay_alu instid0(VALU_DEP_1)
	v_or3_b32 v114, v0, v115, v114
.LBB303_1543:                           ;   in Loop: Header=BB303_927 Depth=1
	s_wait_alu 0xfffe
	s_or_b32 exec_lo, exec_lo, s14
.LBB303_1544:                           ;   in Loop: Header=BB303_927 Depth=1
	s_wait_alu 0xfffe
	s_or_b32 exec_lo, exec_lo, s13
.LBB303_1545:                           ;   in Loop: Header=BB303_927 Depth=1
	s_wait_alu 0xfffe
	s_or_b32 exec_lo, exec_lo, s12
	s_delay_alu instid0(SALU_CYCLE_1)
	s_mov_b32 s12, exec_lo
	v_cmpx_lt_u32_e32 0xffffff, v10
	s_cbranch_execz .LBB303_1553
; %bb.1546:                             ;   in Loop: Header=BB303_927 Depth=1
	v_lshrrev_b32_e32 v0, 24, v10
	v_bfrev_b32_e32 v113, 1
	s_mov_b32 s13, exec_lo
	s_delay_alu instid0(VALU_DEP_2)
	v_cmpx_ne_u32_e32 0x80, v0
	s_cbranch_execz .LBB303_1552
; %bb.1547:                             ;   in Loop: Header=BB303_927 Depth=1
	v_and_b32_e32 v116, 0x7f, v0
	v_mov_b32_e32 v113, 0x7c010000
	s_mov_b32 s14, exec_lo
	s_delay_alu instid0(VALU_DEP_2)
	v_cmpx_ne_u32_e32 0x7f, v116
	s_cbranch_execz .LBB303_1551
; %bb.1548:                             ;   in Loop: Header=BB303_927 Depth=1
	v_and_b32_e32 v113, 7, v0
	v_lshrrev_b32_e32 v115, 3, v116
	s_mov_b32 s15, exec_lo
	v_cmpx_gt_u32_e32 8, v116
; %bb.1549:                             ;   in Loop: Header=BB303_927 Depth=1
	s_delay_alu instid0(VALU_DEP_3) | instskip(NEXT) | instid1(VALU_DEP_1)
	v_clz_i32_u32_e32 v113, v113
	v_min_u32_e32 v113, 32, v113
	s_delay_alu instid0(VALU_DEP_1) | instskip(NEXT) | instid1(VALU_DEP_1)
	v_subrev_nc_u32_e32 v115, 28, v113
	v_lshlrev_b64_e32 v[116:117], v115, v[0:1]
	v_sub_nc_u32_e32 v115, 29, v113
	s_delay_alu instid0(VALU_DEP_2)
	v_and_b32_e32 v113, 7, v116
; %bb.1550:                             ;   in Loop: Header=BB303_927 Depth=1
	s_wait_alu 0xfffe
	s_or_b32 exec_lo, exec_lo, s15
	v_lshlrev_b32_e32 v0, 8, v0
	v_lshl_add_u32 v115, v115, 10, 0x2000
	v_lshlrev_b32_e32 v113, 23, v113
	s_delay_alu instid0(VALU_DEP_2) | instskip(NEXT) | instid1(VALU_DEP_1)
	v_and_or_b32 v0, 0x8000, v0, v115
	v_lshl_or_b32 v113, v0, 16, v113
.LBB303_1551:                           ;   in Loop: Header=BB303_927 Depth=1
	s_wait_alu 0xfffe
	s_or_b32 exec_lo, exec_lo, s14
.LBB303_1552:                           ;   in Loop: Header=BB303_927 Depth=1
	s_wait_alu 0xfffe
	s_or_b32 exec_lo, exec_lo, s13
.LBB303_1553:                           ;   in Loop: Header=BB303_927 Depth=1
	s_wait_alu 0xfffe
	s_or_b32 exec_lo, exec_lo, s12
	v_dual_mov_b32 v0, v11 :: v_dual_and_b32 v117, 0xff, v11
	v_dual_mov_b32 v115, 0 :: v_dual_mov_b32 v116, 0
	s_mov_b32 s12, exec_lo
	s_delay_alu instid0(VALU_DEP_2)
	v_cmpx_ne_u16_e32 0, v117
	s_cbranch_execz .LBB303_1561
; %bb.1554:                             ;   in Loop: Header=BB303_927 Depth=1
	v_mov_b32_e32 v116, 0x8000
	s_mov_b32 s13, exec_lo
	v_cmpx_ne_u16_e32 0x80, v117
	s_cbranch_execz .LBB303_1560
; %bb.1555:                             ;   in Loop: Header=BB303_927 Depth=1
	v_and_b32_e32 v118, 0x7f, v11
	v_mov_b32_e32 v116, 0x7c01
	s_mov_b32 s14, exec_lo
	s_delay_alu instid0(VALU_DEP_2)
	v_cmpx_ne_u32_e32 0x7f, v118
	s_cbranch_execz .LBB303_1559
; %bb.1556:                             ;   in Loop: Header=BB303_927 Depth=1
	v_and_b32_e32 v116, 7, v11
	v_lshrrev_b32_e32 v117, 3, v118
	s_mov_b32 s15, exec_lo
	v_cmpx_gt_u32_e32 8, v118
; %bb.1557:                             ;   in Loop: Header=BB303_927 Depth=1
	s_delay_alu instid0(VALU_DEP_3) | instskip(NEXT) | instid1(VALU_DEP_1)
	v_clz_i32_u32_e32 v116, v116
	v_min_u32_e32 v118, 32, v116
	s_delay_alu instid0(VALU_DEP_1) | instskip(NEXT) | instid1(VALU_DEP_1)
	v_subrev_nc_u32_e32 v116, 28, v118
	v_lshlrev_b64_e32 v[116:117], v116, v[0:1]
	v_sub_nc_u32_e32 v117, 29, v118
	s_delay_alu instid0(VALU_DEP_2)
	v_and_b32_e32 v116, 7, v116
; %bb.1558:                             ;   in Loop: Header=BB303_927 Depth=1
	s_wait_alu 0xfffe
	s_or_b32 exec_lo, exec_lo, s15
	v_lshlrev_b32_e32 v118, 8, v11
	v_lshl_add_u32 v117, v117, 10, 0x2000
	v_lshlrev_b32_e32 v116, 7, v116
	s_delay_alu instid0(VALU_DEP_3) | instskip(NEXT) | instid1(VALU_DEP_3)
	v_and_b32_e32 v118, 0x8000, v118
	v_and_b32_e32 v117, 0xfc00, v117
	s_delay_alu instid0(VALU_DEP_1)
	v_or3_b32 v116, v118, v117, v116
.LBB303_1559:                           ;   in Loop: Header=BB303_927 Depth=1
	s_wait_alu 0xfffe
	s_or_b32 exec_lo, exec_lo, s14
.LBB303_1560:                           ;   in Loop: Header=BB303_927 Depth=1
	s_wait_alu 0xfffe
	s_or_b32 exec_lo, exec_lo, s13
.LBB303_1561:                           ;   in Loop: Header=BB303_927 Depth=1
	s_wait_alu 0xfffe
	s_or_b32 exec_lo, exec_lo, s12
	v_lshrrev_b16 v0, 8, v0
	v_mov_b32_e32 v117, 0
	s_mov_b32 s12, exec_lo
	s_delay_alu instid0(VALU_DEP_2)
	v_cmpx_ne_u16_e32 0, v0
	s_cbranch_execz .LBB303_1569
; %bb.1562:                             ;   in Loop: Header=BB303_927 Depth=1
	v_bfrev_b32_e32 v117, 1
	s_mov_b32 s13, exec_lo
	v_cmpx_ne_u16_e32 0x80, v0
	s_cbranch_execz .LBB303_1568
; %bb.1563:                             ;   in Loop: Header=BB303_927 Depth=1
	v_and_b32_e32 v118, 0xffff, v0
	v_mov_b32_e32 v117, 0x7c010000
	s_mov_b32 s14, exec_lo
	s_delay_alu instid0(VALU_DEP_2) | instskip(NEXT) | instid1(VALU_DEP_1)
	v_and_b32_e32 v128, 0x7f, v118
	v_cmpx_ne_u32_e32 0x7f, v128
	s_cbranch_execz .LBB303_1567
; %bb.1564:                             ;   in Loop: Header=BB303_927 Depth=1
	v_and_b32_e32 v117, 7, v118
	v_lshrrev_b32_e32 v119, 3, v128
	s_mov_b32 s15, exec_lo
	v_cmpx_gt_u32_e32 8, v128
; %bb.1565:                             ;   in Loop: Header=BB303_927 Depth=1
	s_delay_alu instid0(VALU_DEP_3) | instskip(NEXT) | instid1(VALU_DEP_1)
	v_clz_i32_u32_e32 v117, v117
	v_min_u32_e32 v117, 32, v117
	s_delay_alu instid0(VALU_DEP_1) | instskip(NEXT) | instid1(VALU_DEP_1)
	v_subrev_nc_u32_e32 v119, 28, v117
	v_lshlrev_b64_e32 v[128:129], v119, v[0:1]
	v_sub_nc_u32_e32 v119, 29, v117
	s_delay_alu instid0(VALU_DEP_2)
	v_and_b32_e32 v117, 7, v128
; %bb.1566:                             ;   in Loop: Header=BB303_927 Depth=1
	s_wait_alu 0xfffe
	s_or_b32 exec_lo, exec_lo, s15
	v_lshlrev_b32_e32 v0, 8, v118
	v_lshl_add_u32 v118, v119, 10, 0x2000
	v_lshlrev_b32_e32 v117, 23, v117
	s_delay_alu instid0(VALU_DEP_2) | instskip(NEXT) | instid1(VALU_DEP_1)
	v_and_or_b32 v0, 0x8000, v0, v118
	v_lshl_or_b32 v117, v0, 16, v117
.LBB303_1567:                           ;   in Loop: Header=BB303_927 Depth=1
	s_wait_alu 0xfffe
	s_or_b32 exec_lo, exec_lo, s14
.LBB303_1568:                           ;   in Loop: Header=BB303_927 Depth=1
	s_wait_alu 0xfffe
	s_or_b32 exec_lo, exec_lo, s13
.LBB303_1569:                           ;   in Loop: Header=BB303_927 Depth=1
	s_wait_alu 0xfffe
	s_or_b32 exec_lo, exec_lo, s12
	v_lshrrev_b32_e32 v0, 16, v11
	s_mov_b32 s12, exec_lo
	s_delay_alu instid0(VALU_DEP_1) | instskip(NEXT) | instid1(VALU_DEP_1)
	v_and_b32_e32 v118, 0xff, v0
	v_cmpx_ne_u16_e32 0, v118
	s_cbranch_execz .LBB303_1577
; %bb.1570:                             ;   in Loop: Header=BB303_927 Depth=1
	v_mov_b32_e32 v115, 0x8000
	s_mov_b32 s13, exec_lo
	v_cmpx_ne_u16_e32 0x80, v118
	s_cbranch_execz .LBB303_1576
; %bb.1571:                             ;   in Loop: Header=BB303_927 Depth=1
	v_bfe_u32 v119, v11, 16, 7
	v_mov_b32_e32 v115, 0x7c01
	s_mov_b32 s14, exec_lo
	s_delay_alu instid0(VALU_DEP_2)
	v_cmpx_ne_u32_e32 0x7f, v119
	s_cbranch_execz .LBB303_1575
; %bb.1572:                             ;   in Loop: Header=BB303_927 Depth=1
	v_and_b32_e32 v115, 7, v0
	v_lshrrev_b32_e32 v118, 3, v119
	s_mov_b32 s15, exec_lo
	v_cmpx_gt_u32_e32 8, v119
; %bb.1573:                             ;   in Loop: Header=BB303_927 Depth=1
	s_delay_alu instid0(VALU_DEP_3) | instskip(NEXT) | instid1(VALU_DEP_1)
	v_clz_i32_u32_e32 v115, v115
	v_min_u32_e32 v115, 32, v115
	s_delay_alu instid0(VALU_DEP_1) | instskip(NEXT) | instid1(VALU_DEP_1)
	v_subrev_nc_u32_e32 v118, 28, v115
	v_lshlrev_b64_e32 v[128:129], v118, v[0:1]
	v_sub_nc_u32_e32 v118, 29, v115
	s_delay_alu instid0(VALU_DEP_2)
	v_and_b32_e32 v115, 7, v128
; %bb.1574:                             ;   in Loop: Header=BB303_927 Depth=1
	s_wait_alu 0xfffe
	s_or_b32 exec_lo, exec_lo, s15
	v_lshlrev_b32_e32 v0, 8, v0
	v_lshl_add_u32 v118, v118, 10, 0x2000
	v_lshlrev_b32_e32 v115, 7, v115
	s_delay_alu instid0(VALU_DEP_3) | instskip(NEXT) | instid1(VALU_DEP_3)
	v_and_b32_e32 v0, 0x8000, v0
	v_and_b32_e32 v118, 0xfc00, v118
	s_delay_alu instid0(VALU_DEP_1)
	v_or3_b32 v115, v0, v118, v115
.LBB303_1575:                           ;   in Loop: Header=BB303_927 Depth=1
	s_wait_alu 0xfffe
	s_or_b32 exec_lo, exec_lo, s14
.LBB303_1576:                           ;   in Loop: Header=BB303_927 Depth=1
	s_wait_alu 0xfffe
	s_or_b32 exec_lo, exec_lo, s13
.LBB303_1577:                           ;   in Loop: Header=BB303_927 Depth=1
	s_wait_alu 0xfffe
	s_or_b32 exec_lo, exec_lo, s12
	v_cmp_lt_u64_e64 s0, s[8:9], v[10:11]
	v_mov_b32_e32 v10, 0
	s_and_saveexec_b32 s12, s0
	s_cbranch_execz .LBB303_1585
; %bb.1578:                             ;   in Loop: Header=BB303_927 Depth=1
	v_lshrrev_b32_e32 v0, 24, v11
	v_bfrev_b32_e32 v10, 1
	s_mov_b32 s13, exec_lo
	s_delay_alu instid0(VALU_DEP_2)
	v_cmpx_ne_u32_e32 0x80, v0
	s_cbranch_execz .LBB303_1584
; %bb.1579:                             ;   in Loop: Header=BB303_927 Depth=1
	v_and_b32_e32 v118, 0x7f, v0
	v_mov_b32_e32 v10, 0x7c010000
	s_mov_b32 s14, exec_lo
	s_delay_alu instid0(VALU_DEP_2)
	v_cmpx_ne_u32_e32 0x7f, v118
	s_cbranch_execz .LBB303_1583
; %bb.1580:                             ;   in Loop: Header=BB303_927 Depth=1
	v_and_b32_e32 v10, 7, v0
	v_lshrrev_b32_e32 v11, 3, v118
	s_mov_b32 s15, exec_lo
	v_cmpx_gt_u32_e32 8, v118
; %bb.1581:                             ;   in Loop: Header=BB303_927 Depth=1
	s_delay_alu instid0(VALU_DEP_3) | instskip(NEXT) | instid1(VALU_DEP_1)
	v_clz_i32_u32_e32 v10, v10
	v_min_u32_e32 v118, 32, v10
	s_delay_alu instid0(VALU_DEP_1) | instskip(NEXT) | instid1(VALU_DEP_1)
	v_subrev_nc_u32_e32 v10, 28, v118
	v_lshlrev_b64_e32 v[10:11], v10, v[0:1]
	v_sub_nc_u32_e32 v11, 29, v118
	s_delay_alu instid0(VALU_DEP_2)
	v_and_b32_e32 v10, 7, v10
; %bb.1582:                             ;   in Loop: Header=BB303_927 Depth=1
	s_wait_alu 0xfffe
	s_or_b32 exec_lo, exec_lo, s15
	v_lshlrev_b32_e32 v0, 8, v0
	v_lshl_add_u32 v11, v11, 10, 0x2000
	v_lshlrev_b32_e32 v10, 23, v10
	s_delay_alu instid0(VALU_DEP_2) | instskip(NEXT) | instid1(VALU_DEP_1)
	v_and_or_b32 v0, 0x8000, v0, v11
	v_lshl_or_b32 v10, v0, 16, v10
.LBB303_1583:                           ;   in Loop: Header=BB303_927 Depth=1
	s_wait_alu 0xfffe
	s_or_b32 exec_lo, exec_lo, s14
.LBB303_1584:                           ;   in Loop: Header=BB303_927 Depth=1
	s_wait_alu 0xfffe
	s_or_b32 exec_lo, exec_lo, s13
.LBB303_1585:                           ;   in Loop: Header=BB303_927 Depth=1
	s_wait_alu 0xfffe
	s_or_b32 exec_lo, exec_lo, s12
	v_or_b32_e32 v0, v113, v114
	s_wait_loadcnt_dscnt 0x0
	v_fma_mixlo_f16 v11, v102, v113, 0 op_sel:[0,1,0] op_sel_hi:[0,1,0]
	v_or_b32_e32 v113, v103, v112
	v_fma_mixlo_f16 v103, v102, v103, 0 op_sel:[0,1,0] op_sel_hi:[0,1,0]
	v_or_b32_e32 v114, v117, v116
	v_or_b32_e32 v115, v10, v115
	v_fma_mixlo_f16 v116, v102, v0, 0 op_sel_hi:[0,1,0]
	v_fma_mixlo_f16 v10, v102, v10, 0 op_sel:[0,1,0] op_sel_hi:[0,1,0]
	v_lshlrev_b32_e32 v112, 16, v103
	v_fma_mixlo_f16 v103, v102, v113, 0 op_sel_hi:[0,1,0]
	v_fma_mixlo_f16 v113, v102, v117, 0 op_sel:[0,1,0] op_sel_hi:[0,1,0]
	v_fma_mixlo_f16 v114, v102, v114, 0 op_sel_hi:[0,1,0]
	v_fma_mixlo_f16 v115, v102, v115, 0 op_sel_hi:[0,1,0]
	v_lshlrev_b32_e32 v0, 16, v11
	v_and_b32_e32 v11, 0xffff, v116
	v_and_b32_e32 v118, 0xffff, v103
	v_lshlrev_b32_e32 v102, 16, v113
	v_and_b32_e32 v114, 0xffff, v114
	v_lshlrev_b32_e32 v10, 16, v10
	v_and_b32_e32 v103, 0xffff, v115
	v_or_b32_e32 v113, v0, v11
	v_or_b32_e32 v117, v112, v118
	;; [unrolled: 1-line block ×3, first 2 shown]
	s_delay_alu instid0(VALU_DEP_4)
	v_or_b32_e32 v115, v10, v103
	s_and_saveexec_b32 s12, vcc_lo
	s_cbranch_execz .LBB303_1587
; %bb.1586:                             ;   in Loop: Header=BB303_927 Depth=1
	v_cmp_lt_i32_e64 s0, v35, v30
	s_wait_alu 0xf1ff
	s_delay_alu instid0(VALU_DEP_1) | instskip(SKIP_2) | instid1(VALU_DEP_1)
	v_cndmask_b32_e64 v113, 0, v118, s0
	v_cmp_lt_i32_e64 s0, v69, v30
	s_wait_alu 0xf1ff
	v_cndmask_b32_e64 v112, 0, v112, s0
	v_cmp_lt_i32_e64 s0, v68, v30
	s_delay_alu instid0(VALU_DEP_2) | instskip(SKIP_1) | instid1(VALU_DEP_2)
	v_or_b32_e32 v117, v113, v112
	s_wait_alu 0xf1ff
	v_cndmask_b32_e64 v11, 0, v11, s0
	v_cmp_lt_i32_e64 s0, v67, v30
	s_wait_alu 0xf1ff
	s_delay_alu instid0(VALU_DEP_1) | instskip(SKIP_1) | instid1(VALU_DEP_2)
	v_cndmask_b32_e64 v0, 0, v0, s0
	v_cmp_lt_i32_e64 s0, v66, v30
	v_or_b32_e32 v113, v11, v0
	s_wait_alu 0xf1ff
	s_delay_alu instid0(VALU_DEP_2) | instskip(SKIP_2) | instid1(VALU_DEP_1)
	v_cndmask_b32_e64 v114, 0, v114, s0
	v_cmp_lt_i32_e64 s0, v65, v30
	s_wait_alu 0xf1ff
	v_cndmask_b32_e64 v102, 0, v102, s0
	v_cmp_lt_i32_e64 s0, v64, v30
	s_delay_alu instid0(VALU_DEP_2) | instskip(SKIP_1) | instid1(VALU_DEP_2)
	v_or_b32_e32 v116, v114, v102
	s_wait_alu 0xf1ff
	v_cndmask_b32_e64 v103, 0, v103, s0
	v_cmp_lt_i32_e64 s0, v14, v30
	s_wait_alu 0xf1ff
	s_delay_alu instid0(VALU_DEP_1) | instskip(NEXT) | instid1(VALU_DEP_1)
	v_cndmask_b32_e64 v10, 0, v10, s0
	v_or_b32_e32 v115, v103, v10
.LBB303_1587:                           ;   in Loop: Header=BB303_927 Depth=1
	s_wait_alu 0xfffe
	s_or_b32 exec_lo, exec_lo, s12
	;;#ASMSTART
	v_pk_mul_f16 v0, v54, v117;

	;;#ASMEND
	;;#ASMSTART
	v_pk_mul_f16 v10, v52, v113;

	;;#ASMEND
	;;#ASMSTART
	v_pk_mul_f16 v11, v37, v116;

	;;#ASMEND
	;;#ASMSTART
	v_pk_mul_f16 v102, v36, v115;

	;;#ASMEND
	;;#ASMSTART
	v_pk_add_f16 v0, v0, v10;

	;;#ASMEND
	;;#ASMSTART
	v_pk_add_f16 v0, v0, v11;

	;;#ASMEND
	;; [unrolled: 4-line block ×3, first 2 shown]
	v_dual_mov_b32 v113, 0 :: v_dual_and_b32 v10, 0xffff, v0
	v_lshrrev_b32_e32 v0, 16, v0
	;;#ASMSTART
	v_cvt_f32_f16 v102, v10;
	;;#ASMEND
	;;#ASMSTART
	v_cvt_f32_f16 v103, v0;
	;;#ASMEND
	flat_load_b64 v[10:11], v[8:9] offset:2560
	flat_load_b32 v112, v[26:27]
	v_mov_b32_e32 v114, 0
	s_mov_b32 s12, exec_lo
	s_wait_loadcnt_dscnt 0x101
	v_and_b32_e32 v0, 0xff, v10
	s_delay_alu instid0(VALU_DEP_1)
	v_cmpx_ne_u16_e32 0, v0
	s_cbranch_execz .LBB303_1595
; %bb.1588:                             ;   in Loop: Header=BB303_927 Depth=1
	v_mov_b32_e32 v114, 0x8000
	s_mov_b32 s13, exec_lo
	v_cmpx_ne_u16_e32 0x80, v0
	s_cbranch_execz .LBB303_1594
; %bb.1589:                             ;   in Loop: Header=BB303_927 Depth=1
	v_and_b32_e32 v115, 0x7f, v10
	v_mov_b32_e32 v114, 0x7c01
	s_mov_b32 s14, exec_lo
	s_delay_alu instid0(VALU_DEP_2)
	v_cmpx_ne_u32_e32 0x7f, v115
	s_cbranch_execz .LBB303_1593
; %bb.1590:                             ;   in Loop: Header=BB303_927 Depth=1
	v_and_b32_e32 v0, 7, v10
	v_lshrrev_b32_e32 v114, 3, v115
	s_mov_b32 s15, exec_lo
	v_cmpx_gt_u32_e32 8, v115
; %bb.1591:                             ;   in Loop: Header=BB303_927 Depth=1
	s_delay_alu instid0(VALU_DEP_3) | instskip(NEXT) | instid1(VALU_DEP_1)
	v_clz_i32_u32_e32 v0, v0
	v_min_u32_e32 v0, 32, v0
	s_delay_alu instid0(VALU_DEP_1) | instskip(NEXT) | instid1(VALU_DEP_1)
	v_subrev_nc_u32_e32 v114, 28, v0
	v_lshlrev_b64_e32 v[115:116], v114, v[10:11]
	v_sub_nc_u32_e32 v114, 29, v0
	s_delay_alu instid0(VALU_DEP_2)
	v_and_b32_e32 v0, 7, v115
; %bb.1592:                             ;   in Loop: Header=BB303_927 Depth=1
	s_wait_alu 0xfffe
	s_or_b32 exec_lo, exec_lo, s15
	v_lshlrev_b32_e32 v115, 8, v10
	v_lshl_add_u32 v114, v114, 10, 0x2000
	v_lshlrev_b32_e32 v0, 7, v0
	s_delay_alu instid0(VALU_DEP_3) | instskip(NEXT) | instid1(VALU_DEP_3)
	v_and_b32_e32 v115, 0x8000, v115
	v_and_b32_e32 v114, 0xfc00, v114
	s_delay_alu instid0(VALU_DEP_1)
	v_or3_b32 v114, v115, v114, v0
.LBB303_1593:                           ;   in Loop: Header=BB303_927 Depth=1
	s_wait_alu 0xfffe
	s_or_b32 exec_lo, exec_lo, s14
.LBB303_1594:                           ;   in Loop: Header=BB303_927 Depth=1
	s_wait_alu 0xfffe
	s_or_b32 exec_lo, exec_lo, s13
.LBB303_1595:                           ;   in Loop: Header=BB303_927 Depth=1
	s_wait_alu 0xfffe
	s_or_b32 exec_lo, exec_lo, s12
	v_lshrrev_b16 v0, 8, v10
	s_mov_b32 s12, exec_lo
	s_delay_alu instid0(VALU_DEP_1)
	v_cmpx_ne_u16_e32 0, v0
	s_cbranch_execz .LBB303_1603
; %bb.1596:                             ;   in Loop: Header=BB303_927 Depth=1
	v_bfrev_b32_e32 v113, 1
	s_mov_b32 s13, exec_lo
	v_cmpx_ne_u16_e32 0x80, v0
	s_cbranch_execz .LBB303_1602
; %bb.1597:                             ;   in Loop: Header=BB303_927 Depth=1
	v_and_b32_e32 v115, 0xffff, v0
	v_mov_b32_e32 v113, 0x7c010000
	s_mov_b32 s14, exec_lo
	s_delay_alu instid0(VALU_DEP_2) | instskip(NEXT) | instid1(VALU_DEP_1)
	v_and_b32_e32 v117, 0x7f, v115
	v_cmpx_ne_u32_e32 0x7f, v117
	s_cbranch_execz .LBB303_1601
; %bb.1598:                             ;   in Loop: Header=BB303_927 Depth=1
	v_and_b32_e32 v113, 7, v115
	v_lshrrev_b32_e32 v116, 3, v117
	s_mov_b32 s15, exec_lo
	v_cmpx_gt_u32_e32 8, v117
; %bb.1599:                             ;   in Loop: Header=BB303_927 Depth=1
	s_delay_alu instid0(VALU_DEP_3) | instskip(NEXT) | instid1(VALU_DEP_1)
	v_clz_i32_u32_e32 v113, v113
	v_min_u32_e32 v113, 32, v113
	s_delay_alu instid0(VALU_DEP_1) | instskip(NEXT) | instid1(VALU_DEP_1)
	v_subrev_nc_u32_e32 v116, 28, v113
	v_lshlrev_b64_e32 v[117:118], v116, v[0:1]
	v_sub_nc_u32_e32 v116, 29, v113
	s_delay_alu instid0(VALU_DEP_2)
	v_and_b32_e32 v113, 7, v117
; %bb.1600:                             ;   in Loop: Header=BB303_927 Depth=1
	s_wait_alu 0xfffe
	s_or_b32 exec_lo, exec_lo, s15
	v_lshlrev_b32_e32 v0, 8, v115
	v_lshl_add_u32 v115, v116, 10, 0x2000
	v_lshlrev_b32_e32 v113, 23, v113
	s_delay_alu instid0(VALU_DEP_2) | instskip(NEXT) | instid1(VALU_DEP_1)
	v_and_or_b32 v0, 0x8000, v0, v115
	v_lshl_or_b32 v113, v0, 16, v113
.LBB303_1601:                           ;   in Loop: Header=BB303_927 Depth=1
	s_wait_alu 0xfffe
	s_or_b32 exec_lo, exec_lo, s14
.LBB303_1602:                           ;   in Loop: Header=BB303_927 Depth=1
	s_wait_alu 0xfffe
	s_or_b32 exec_lo, exec_lo, s13
.LBB303_1603:                           ;   in Loop: Header=BB303_927 Depth=1
	s_wait_alu 0xfffe
	s_or_b32 exec_lo, exec_lo, s12
	v_lshrrev_b32_e32 v0, 16, v10
	v_mov_b32_e32 v115, 0
	s_mov_b32 s12, exec_lo
	s_delay_alu instid0(VALU_DEP_2) | instskip(NEXT) | instid1(VALU_DEP_1)
	v_dual_mov_b32 v116, 0 :: v_dual_and_b32 v117, 0xff, v0
	v_cmpx_ne_u16_e32 0, v117
	s_cbranch_execz .LBB303_1611
; %bb.1604:                             ;   in Loop: Header=BB303_927 Depth=1
	v_mov_b32_e32 v116, 0x8000
	s_mov_b32 s13, exec_lo
	v_cmpx_ne_u16_e32 0x80, v117
	s_cbranch_execz .LBB303_1610
; %bb.1605:                             ;   in Loop: Header=BB303_927 Depth=1
	v_bfe_u32 v118, v10, 16, 7
	v_mov_b32_e32 v116, 0x7c01
	s_mov_b32 s14, exec_lo
	s_delay_alu instid0(VALU_DEP_2)
	v_cmpx_ne_u32_e32 0x7f, v118
	s_cbranch_execz .LBB303_1609
; %bb.1606:                             ;   in Loop: Header=BB303_927 Depth=1
	v_and_b32_e32 v116, 7, v0
	v_lshrrev_b32_e32 v117, 3, v118
	s_mov_b32 s15, exec_lo
	v_cmpx_gt_u32_e32 8, v118
; %bb.1607:                             ;   in Loop: Header=BB303_927 Depth=1
	s_delay_alu instid0(VALU_DEP_3) | instskip(NEXT) | instid1(VALU_DEP_1)
	v_clz_i32_u32_e32 v116, v116
	v_min_u32_e32 v118, 32, v116
	s_delay_alu instid0(VALU_DEP_1) | instskip(NEXT) | instid1(VALU_DEP_1)
	v_subrev_nc_u32_e32 v116, 28, v118
	v_lshlrev_b64_e32 v[116:117], v116, v[0:1]
	v_sub_nc_u32_e32 v117, 29, v118
	s_delay_alu instid0(VALU_DEP_2)
	v_and_b32_e32 v116, 7, v116
; %bb.1608:                             ;   in Loop: Header=BB303_927 Depth=1
	s_wait_alu 0xfffe
	s_or_b32 exec_lo, exec_lo, s15
	v_lshlrev_b32_e32 v0, 8, v0
	v_lshl_add_u32 v117, v117, 10, 0x2000
	v_lshlrev_b32_e32 v116, 7, v116
	s_delay_alu instid0(VALU_DEP_3) | instskip(NEXT) | instid1(VALU_DEP_3)
	v_and_b32_e32 v0, 0x8000, v0
	v_and_b32_e32 v117, 0xfc00, v117
	s_delay_alu instid0(VALU_DEP_1)
	v_or3_b32 v116, v0, v117, v116
.LBB303_1609:                           ;   in Loop: Header=BB303_927 Depth=1
	s_wait_alu 0xfffe
	s_or_b32 exec_lo, exec_lo, s14
.LBB303_1610:                           ;   in Loop: Header=BB303_927 Depth=1
	s_wait_alu 0xfffe
	s_or_b32 exec_lo, exec_lo, s13
.LBB303_1611:                           ;   in Loop: Header=BB303_927 Depth=1
	s_wait_alu 0xfffe
	s_or_b32 exec_lo, exec_lo, s12
	s_delay_alu instid0(SALU_CYCLE_1)
	s_mov_b32 s12, exec_lo
	v_cmpx_lt_u32_e32 0xffffff, v10
	s_cbranch_execz .LBB303_1619
; %bb.1612:                             ;   in Loop: Header=BB303_927 Depth=1
	v_lshrrev_b32_e32 v0, 24, v10
	v_bfrev_b32_e32 v115, 1
	s_mov_b32 s13, exec_lo
	s_delay_alu instid0(VALU_DEP_2)
	v_cmpx_ne_u32_e32 0x80, v0
	s_cbranch_execz .LBB303_1618
; %bb.1613:                             ;   in Loop: Header=BB303_927 Depth=1
	v_and_b32_e32 v118, 0x7f, v0
	v_mov_b32_e32 v115, 0x7c010000
	s_mov_b32 s14, exec_lo
	s_delay_alu instid0(VALU_DEP_2)
	v_cmpx_ne_u32_e32 0x7f, v118
	s_cbranch_execz .LBB303_1617
; %bb.1614:                             ;   in Loop: Header=BB303_927 Depth=1
	v_and_b32_e32 v115, 7, v0
	v_lshrrev_b32_e32 v117, 3, v118
	s_mov_b32 s15, exec_lo
	v_cmpx_gt_u32_e32 8, v118
; %bb.1615:                             ;   in Loop: Header=BB303_927 Depth=1
	s_delay_alu instid0(VALU_DEP_3) | instskip(NEXT) | instid1(VALU_DEP_1)
	v_clz_i32_u32_e32 v115, v115
	v_min_u32_e32 v115, 32, v115
	s_delay_alu instid0(VALU_DEP_1) | instskip(NEXT) | instid1(VALU_DEP_1)
	v_subrev_nc_u32_e32 v117, 28, v115
	v_lshlrev_b64_e32 v[118:119], v117, v[0:1]
	v_sub_nc_u32_e32 v117, 29, v115
	s_delay_alu instid0(VALU_DEP_2)
	v_and_b32_e32 v115, 7, v118
; %bb.1616:                             ;   in Loop: Header=BB303_927 Depth=1
	s_wait_alu 0xfffe
	s_or_b32 exec_lo, exec_lo, s15
	v_lshlrev_b32_e32 v0, 8, v0
	v_lshl_add_u32 v117, v117, 10, 0x2000
	v_lshlrev_b32_e32 v115, 23, v115
	s_delay_alu instid0(VALU_DEP_2) | instskip(NEXT) | instid1(VALU_DEP_1)
	v_and_or_b32 v0, 0x8000, v0, v117
	v_lshl_or_b32 v115, v0, 16, v115
.LBB303_1617:                           ;   in Loop: Header=BB303_927 Depth=1
	s_wait_alu 0xfffe
	s_or_b32 exec_lo, exec_lo, s14
.LBB303_1618:                           ;   in Loop: Header=BB303_927 Depth=1
	s_wait_alu 0xfffe
	s_or_b32 exec_lo, exec_lo, s13
.LBB303_1619:                           ;   in Loop: Header=BB303_927 Depth=1
	s_wait_alu 0xfffe
	s_or_b32 exec_lo, exec_lo, s12
	v_dual_mov_b32 v0, v11 :: v_dual_and_b32 v119, 0xff, v11
	v_dual_mov_b32 v117, 0 :: v_dual_mov_b32 v118, 0
	s_mov_b32 s12, exec_lo
	s_delay_alu instid0(VALU_DEP_2)
	v_cmpx_ne_u16_e32 0, v119
	s_cbranch_execz .LBB303_1627
; %bb.1620:                             ;   in Loop: Header=BB303_927 Depth=1
	v_mov_b32_e32 v118, 0x8000
	s_mov_b32 s13, exec_lo
	v_cmpx_ne_u16_e32 0x80, v119
	s_cbranch_execz .LBB303_1626
; %bb.1621:                             ;   in Loop: Header=BB303_927 Depth=1
	v_and_b32_e32 v128, 0x7f, v11
	v_mov_b32_e32 v118, 0x7c01
	s_mov_b32 s14, exec_lo
	s_delay_alu instid0(VALU_DEP_2)
	v_cmpx_ne_u32_e32 0x7f, v128
	s_cbranch_execz .LBB303_1625
; %bb.1622:                             ;   in Loop: Header=BB303_927 Depth=1
	v_and_b32_e32 v118, 7, v11
	v_lshrrev_b32_e32 v119, 3, v128
	s_mov_b32 s15, exec_lo
	v_cmpx_gt_u32_e32 8, v128
; %bb.1623:                             ;   in Loop: Header=BB303_927 Depth=1
	s_delay_alu instid0(VALU_DEP_3) | instskip(NEXT) | instid1(VALU_DEP_1)
	v_clz_i32_u32_e32 v118, v118
	v_min_u32_e32 v128, 32, v118
	s_delay_alu instid0(VALU_DEP_1) | instskip(NEXT) | instid1(VALU_DEP_1)
	v_subrev_nc_u32_e32 v118, 28, v128
	v_lshlrev_b64_e32 v[118:119], v118, v[0:1]
	v_sub_nc_u32_e32 v119, 29, v128
	s_delay_alu instid0(VALU_DEP_2)
	v_and_b32_e32 v118, 7, v118
; %bb.1624:                             ;   in Loop: Header=BB303_927 Depth=1
	s_wait_alu 0xfffe
	s_or_b32 exec_lo, exec_lo, s15
	v_lshlrev_b32_e32 v128, 8, v11
	v_lshl_add_u32 v119, v119, 10, 0x2000
	v_lshlrev_b32_e32 v118, 7, v118
	s_delay_alu instid0(VALU_DEP_3) | instskip(NEXT) | instid1(VALU_DEP_3)
	v_and_b32_e32 v128, 0x8000, v128
	v_and_b32_e32 v119, 0xfc00, v119
	s_delay_alu instid0(VALU_DEP_1)
	v_or3_b32 v118, v128, v119, v118
.LBB303_1625:                           ;   in Loop: Header=BB303_927 Depth=1
	s_wait_alu 0xfffe
	s_or_b32 exec_lo, exec_lo, s14
.LBB303_1626:                           ;   in Loop: Header=BB303_927 Depth=1
	s_wait_alu 0xfffe
	s_or_b32 exec_lo, exec_lo, s13
.LBB303_1627:                           ;   in Loop: Header=BB303_927 Depth=1
	s_wait_alu 0xfffe
	s_or_b32 exec_lo, exec_lo, s12
	v_lshrrev_b16 v0, 8, v0
	v_mov_b32_e32 v119, 0
	s_mov_b32 s12, exec_lo
	s_delay_alu instid0(VALU_DEP_2)
	v_cmpx_ne_u16_e32 0, v0
	s_cbranch_execz .LBB303_1635
; %bb.1628:                             ;   in Loop: Header=BB303_927 Depth=1
	v_bfrev_b32_e32 v119, 1
	s_mov_b32 s13, exec_lo
	v_cmpx_ne_u16_e32 0x80, v0
	s_cbranch_execz .LBB303_1634
; %bb.1629:                             ;   in Loop: Header=BB303_927 Depth=1
	v_and_b32_e32 v128, 0xffff, v0
	v_mov_b32_e32 v119, 0x7c010000
	s_mov_b32 s14, exec_lo
	s_delay_alu instid0(VALU_DEP_2) | instskip(NEXT) | instid1(VALU_DEP_1)
	v_and_b32_e32 v130, 0x7f, v128
	v_cmpx_ne_u32_e32 0x7f, v130
	s_cbranch_execz .LBB303_1633
; %bb.1630:                             ;   in Loop: Header=BB303_927 Depth=1
	v_and_b32_e32 v119, 7, v128
	v_lshrrev_b32_e32 v129, 3, v130
	s_mov_b32 s15, exec_lo
	v_cmpx_gt_u32_e32 8, v130
; %bb.1631:                             ;   in Loop: Header=BB303_927 Depth=1
	s_delay_alu instid0(VALU_DEP_3) | instskip(NEXT) | instid1(VALU_DEP_1)
	v_clz_i32_u32_e32 v119, v119
	v_min_u32_e32 v119, 32, v119
	s_delay_alu instid0(VALU_DEP_1) | instskip(NEXT) | instid1(VALU_DEP_1)
	v_subrev_nc_u32_e32 v129, 28, v119
	v_lshlrev_b64_e32 v[130:131], v129, v[0:1]
	v_sub_nc_u32_e32 v129, 29, v119
	s_delay_alu instid0(VALU_DEP_2)
	v_and_b32_e32 v119, 7, v130
; %bb.1632:                             ;   in Loop: Header=BB303_927 Depth=1
	s_wait_alu 0xfffe
	s_or_b32 exec_lo, exec_lo, s15
	v_lshlrev_b32_e32 v0, 8, v128
	v_lshl_add_u32 v128, v129, 10, 0x2000
	v_lshlrev_b32_e32 v119, 23, v119
	s_delay_alu instid0(VALU_DEP_2) | instskip(NEXT) | instid1(VALU_DEP_1)
	v_and_or_b32 v0, 0x8000, v0, v128
	v_lshl_or_b32 v119, v0, 16, v119
.LBB303_1633:                           ;   in Loop: Header=BB303_927 Depth=1
	s_wait_alu 0xfffe
	s_or_b32 exec_lo, exec_lo, s14
.LBB303_1634:                           ;   in Loop: Header=BB303_927 Depth=1
	s_wait_alu 0xfffe
	s_or_b32 exec_lo, exec_lo, s13
.LBB303_1635:                           ;   in Loop: Header=BB303_927 Depth=1
	s_wait_alu 0xfffe
	s_or_b32 exec_lo, exec_lo, s12
	v_lshrrev_b32_e32 v0, 16, v11
	s_mov_b32 s12, exec_lo
	s_delay_alu instid0(VALU_DEP_1) | instskip(NEXT) | instid1(VALU_DEP_1)
	v_and_b32_e32 v128, 0xff, v0
	v_cmpx_ne_u16_e64 0, v128
	s_cbranch_execz .LBB303_1643
; %bb.1636:                             ;   in Loop: Header=BB303_927 Depth=1
	v_mov_b32_e32 v117, 0x8000
	s_mov_b32 s13, exec_lo
	v_cmpx_ne_u16_e64 0x80, v128
	s_cbranch_execz .LBB303_1642
; %bb.1637:                             ;   in Loop: Header=BB303_927 Depth=1
	v_bfe_u32 v129, v11, 16, 7
	v_mov_b32_e32 v117, 0x7c01
	s_mov_b32 s14, exec_lo
	s_delay_alu instid0(VALU_DEP_2)
	v_cmpx_ne_u32_e32 0x7f, v129
	s_cbranch_execz .LBB303_1641
; %bb.1638:                             ;   in Loop: Header=BB303_927 Depth=1
	v_and_b32_e32 v117, 7, v0
	v_lshrrev_b32_e32 v128, 3, v129
	s_mov_b32 s15, exec_lo
	v_cmpx_gt_u32_e32 8, v129
; %bb.1639:                             ;   in Loop: Header=BB303_927 Depth=1
	s_delay_alu instid0(VALU_DEP_3) | instskip(NEXT) | instid1(VALU_DEP_1)
	v_clz_i32_u32_e32 v117, v117
	v_min_u32_e32 v117, 32, v117
	s_delay_alu instid0(VALU_DEP_1) | instskip(NEXT) | instid1(VALU_DEP_1)
	v_subrev_nc_u32_e32 v128, 28, v117
	v_lshlrev_b64_e32 v[129:130], v128, v[0:1]
	v_sub_nc_u32_e32 v128, 29, v117
	s_delay_alu instid0(VALU_DEP_2)
	v_and_b32_e32 v117, 7, v129
; %bb.1640:                             ;   in Loop: Header=BB303_927 Depth=1
	s_wait_alu 0xfffe
	s_or_b32 exec_lo, exec_lo, s15
	v_lshlrev_b32_e32 v0, 8, v0
	v_lshl_add_u32 v128, v128, 10, 0x2000
	v_lshlrev_b32_e32 v117, 7, v117
	s_delay_alu instid0(VALU_DEP_3) | instskip(NEXT) | instid1(VALU_DEP_3)
	v_and_b32_e32 v0, 0x8000, v0
	v_and_b32_e32 v128, 0xfc00, v128
	s_delay_alu instid0(VALU_DEP_1)
	v_or3_b32 v117, v0, v128, v117
.LBB303_1641:                           ;   in Loop: Header=BB303_927 Depth=1
	s_wait_alu 0xfffe
	s_or_b32 exec_lo, exec_lo, s14
.LBB303_1642:                           ;   in Loop: Header=BB303_927 Depth=1
	s_wait_alu 0xfffe
	s_or_b32 exec_lo, exec_lo, s13
.LBB303_1643:                           ;   in Loop: Header=BB303_927 Depth=1
	s_wait_alu 0xfffe
	s_or_b32 exec_lo, exec_lo, s12
	v_cmp_lt_u64_e64 s0, s[8:9], v[10:11]
	v_mov_b32_e32 v10, 0
	s_and_saveexec_b32 s12, s0
	s_cbranch_execz .LBB303_1651
; %bb.1644:                             ;   in Loop: Header=BB303_927 Depth=1
	v_lshrrev_b32_e32 v0, 24, v11
	v_bfrev_b32_e32 v10, 1
	s_mov_b32 s13, exec_lo
	s_delay_alu instid0(VALU_DEP_2)
	v_cmpx_ne_u32_e32 0x80, v0
	s_cbranch_execz .LBB303_1650
; %bb.1645:                             ;   in Loop: Header=BB303_927 Depth=1
	v_and_b32_e32 v128, 0x7f, v0
	v_mov_b32_e32 v10, 0x7c010000
	s_mov_b32 s14, exec_lo
	s_delay_alu instid0(VALU_DEP_2)
	v_cmpx_ne_u32_e32 0x7f, v128
	s_cbranch_execz .LBB303_1649
; %bb.1646:                             ;   in Loop: Header=BB303_927 Depth=1
	v_and_b32_e32 v10, 7, v0
	v_lshrrev_b32_e32 v11, 3, v128
	s_mov_b32 s15, exec_lo
	v_cmpx_gt_u32_e32 8, v128
; %bb.1647:                             ;   in Loop: Header=BB303_927 Depth=1
	s_delay_alu instid0(VALU_DEP_3) | instskip(NEXT) | instid1(VALU_DEP_1)
	v_clz_i32_u32_e32 v10, v10
	v_min_u32_e32 v128, 32, v10
	s_delay_alu instid0(VALU_DEP_1) | instskip(NEXT) | instid1(VALU_DEP_1)
	v_subrev_nc_u32_e32 v10, 28, v128
	v_lshlrev_b64_e32 v[10:11], v10, v[0:1]
	v_sub_nc_u32_e32 v11, 29, v128
	s_delay_alu instid0(VALU_DEP_2)
	v_and_b32_e32 v10, 7, v10
; %bb.1648:                             ;   in Loop: Header=BB303_927 Depth=1
	s_wait_alu 0xfffe
	s_or_b32 exec_lo, exec_lo, s15
	v_lshlrev_b32_e32 v0, 8, v0
	v_lshl_add_u32 v11, v11, 10, 0x2000
	v_lshlrev_b32_e32 v10, 23, v10
	s_delay_alu instid0(VALU_DEP_2) | instskip(NEXT) | instid1(VALU_DEP_1)
	v_and_or_b32 v0, 0x8000, v0, v11
	v_lshl_or_b32 v10, v0, 16, v10
.LBB303_1649:                           ;   in Loop: Header=BB303_927 Depth=1
	s_wait_alu 0xfffe
	s_or_b32 exec_lo, exec_lo, s14
.LBB303_1650:                           ;   in Loop: Header=BB303_927 Depth=1
	s_wait_alu 0xfffe
	s_or_b32 exec_lo, exec_lo, s13
.LBB303_1651:                           ;   in Loop: Header=BB303_927 Depth=1
	s_wait_alu 0xfffe
	s_or_b32 exec_lo, exec_lo, s12
	v_or_b32_e32 v0, v115, v116
	s_wait_loadcnt_dscnt 0x0
	v_fma_mixlo_f16 v11, v112, v115, 0 op_sel:[0,1,0] op_sel_hi:[0,1,0]
	v_or_b32_e32 v115, v113, v114
	v_fma_mixlo_f16 v113, v112, v113, 0 op_sel:[0,1,0] op_sel_hi:[0,1,0]
	v_or_b32_e32 v116, v119, v118
	v_or_b32_e32 v117, v10, v117
	v_fma_mixlo_f16 v118, v112, v0, 0 op_sel_hi:[0,1,0]
	v_fma_mixlo_f16 v10, v112, v10, 0 op_sel:[0,1,0] op_sel_hi:[0,1,0]
	v_lshlrev_b32_e32 v114, 16, v113
	v_fma_mixlo_f16 v113, v112, v115, 0 op_sel_hi:[0,1,0]
	v_fma_mixlo_f16 v115, v112, v119, 0 op_sel:[0,1,0] op_sel_hi:[0,1,0]
	v_fma_mixlo_f16 v116, v112, v116, 0 op_sel_hi:[0,1,0]
	v_fma_mixlo_f16 v117, v112, v117, 0 op_sel_hi:[0,1,0]
	v_lshlrev_b32_e32 v0, 16, v11
	v_and_b32_e32 v11, 0xffff, v118
	v_and_b32_e32 v128, 0xffff, v113
	v_lshlrev_b32_e32 v112, 16, v115
	v_and_b32_e32 v116, 0xffff, v116
	v_lshlrev_b32_e32 v10, 16, v10
	v_and_b32_e32 v113, 0xffff, v117
	v_or_b32_e32 v115, v0, v11
	v_or_b32_e32 v119, v114, v128
	;; [unrolled: 1-line block ×3, first 2 shown]
	s_delay_alu instid0(VALU_DEP_4)
	v_or_b32_e32 v117, v10, v113
	s_and_saveexec_b32 s12, vcc_lo
	s_cbranch_execz .LBB303_1653
; %bb.1652:                             ;   in Loop: Header=BB303_927 Depth=1
	v_cmp_lt_i32_e64 s0, v35, v30
	s_wait_alu 0xf1ff
	s_delay_alu instid0(VALU_DEP_1) | instskip(SKIP_2) | instid1(VALU_DEP_1)
	v_cndmask_b32_e64 v115, 0, v128, s0
	v_cmp_lt_i32_e64 s0, v69, v30
	s_wait_alu 0xf1ff
	v_cndmask_b32_e64 v114, 0, v114, s0
	v_cmp_lt_i32_e64 s0, v68, v30
	s_delay_alu instid0(VALU_DEP_2) | instskip(SKIP_1) | instid1(VALU_DEP_2)
	v_or_b32_e32 v119, v115, v114
	s_wait_alu 0xf1ff
	v_cndmask_b32_e64 v11, 0, v11, s0
	v_cmp_lt_i32_e64 s0, v67, v30
	s_wait_alu 0xf1ff
	s_delay_alu instid0(VALU_DEP_1) | instskip(SKIP_1) | instid1(VALU_DEP_2)
	v_cndmask_b32_e64 v0, 0, v0, s0
	v_cmp_lt_i32_e64 s0, v66, v30
	v_or_b32_e32 v115, v11, v0
	s_wait_alu 0xf1ff
	s_delay_alu instid0(VALU_DEP_2) | instskip(SKIP_2) | instid1(VALU_DEP_1)
	v_cndmask_b32_e64 v116, 0, v116, s0
	v_cmp_lt_i32_e64 s0, v65, v30
	s_wait_alu 0xf1ff
	v_cndmask_b32_e64 v112, 0, v112, s0
	v_cmp_lt_i32_e64 s0, v64, v30
	s_delay_alu instid0(VALU_DEP_2) | instskip(SKIP_1) | instid1(VALU_DEP_2)
	v_or_b32_e32 v118, v116, v112
	s_wait_alu 0xf1ff
	v_cndmask_b32_e64 v113, 0, v113, s0
	v_cmp_lt_i32_e64 s0, v14, v30
	s_wait_alu 0xf1ff
	s_delay_alu instid0(VALU_DEP_1) | instskip(NEXT) | instid1(VALU_DEP_1)
	v_cndmask_b32_e64 v10, 0, v10, s0
	v_or_b32_e32 v117, v113, v10
.LBB303_1653:                           ;   in Loop: Header=BB303_927 Depth=1
	s_wait_alu 0xfffe
	s_or_b32 exec_lo, exec_lo, s12
	;;#ASMSTART
	v_pk_mul_f16 v0, v54, v119;

	;;#ASMEND
	;;#ASMSTART
	v_pk_mul_f16 v10, v52, v115;

	;;#ASMEND
	;; [unrolled: 4-line block ×4, first 2 shown]
	;;#ASMSTART
	v_pk_add_f16 v0, v0, v10;

	;;#ASMEND
	;;#ASMSTART
	v_pk_add_f16 v0, v0, v11;

	;;#ASMEND
	;; [unrolled: 4-line block ×3, first 2 shown]
	v_dual_mov_b32 v115, 0 :: v_dual_and_b32 v10, 0xffff, v0
	v_lshrrev_b32_e32 v0, 16, v0
	;;#ASMSTART
	v_cvt_f32_f16 v112, v10;
	;;#ASMEND
	;;#ASMSTART
	v_cvt_f32_f16 v113, v0;
	;;#ASMEND
	flat_load_b64 v[10:11], v[8:9] offset:2816
	flat_load_b32 v114, v[26:27]
	v_mov_b32_e32 v116, 0
	s_mov_b32 s12, exec_lo
	s_wait_loadcnt_dscnt 0x101
	v_and_b32_e32 v0, 0xff, v10
	s_delay_alu instid0(VALU_DEP_1)
	v_cmpx_ne_u16_e32 0, v0
	s_cbranch_execz .LBB303_1661
; %bb.1654:                             ;   in Loop: Header=BB303_927 Depth=1
	v_mov_b32_e32 v116, 0x8000
	s_mov_b32 s13, exec_lo
	v_cmpx_ne_u16_e32 0x80, v0
	s_cbranch_execz .LBB303_1660
; %bb.1655:                             ;   in Loop: Header=BB303_927 Depth=1
	v_and_b32_e32 v117, 0x7f, v10
	v_mov_b32_e32 v116, 0x7c01
	s_mov_b32 s14, exec_lo
	s_delay_alu instid0(VALU_DEP_2)
	v_cmpx_ne_u32_e32 0x7f, v117
	s_cbranch_execz .LBB303_1659
; %bb.1656:                             ;   in Loop: Header=BB303_927 Depth=1
	v_and_b32_e32 v0, 7, v10
	v_lshrrev_b32_e32 v116, 3, v117
	s_mov_b32 s15, exec_lo
	v_cmpx_gt_u32_e32 8, v117
; %bb.1657:                             ;   in Loop: Header=BB303_927 Depth=1
	s_delay_alu instid0(VALU_DEP_3) | instskip(NEXT) | instid1(VALU_DEP_1)
	v_clz_i32_u32_e32 v0, v0
	v_min_u32_e32 v0, 32, v0
	s_delay_alu instid0(VALU_DEP_1) | instskip(NEXT) | instid1(VALU_DEP_1)
	v_subrev_nc_u32_e32 v116, 28, v0
	v_lshlrev_b64_e32 v[117:118], v116, v[10:11]
	v_sub_nc_u32_e32 v116, 29, v0
	s_delay_alu instid0(VALU_DEP_2)
	v_and_b32_e32 v0, 7, v117
; %bb.1658:                             ;   in Loop: Header=BB303_927 Depth=1
	s_wait_alu 0xfffe
	s_or_b32 exec_lo, exec_lo, s15
	v_lshlrev_b32_e32 v117, 8, v10
	v_lshl_add_u32 v116, v116, 10, 0x2000
	v_lshlrev_b32_e32 v0, 7, v0
	s_delay_alu instid0(VALU_DEP_3) | instskip(NEXT) | instid1(VALU_DEP_3)
	v_and_b32_e32 v117, 0x8000, v117
	v_and_b32_e32 v116, 0xfc00, v116
	s_delay_alu instid0(VALU_DEP_1)
	v_or3_b32 v116, v117, v116, v0
.LBB303_1659:                           ;   in Loop: Header=BB303_927 Depth=1
	s_wait_alu 0xfffe
	s_or_b32 exec_lo, exec_lo, s14
.LBB303_1660:                           ;   in Loop: Header=BB303_927 Depth=1
	s_wait_alu 0xfffe
	s_or_b32 exec_lo, exec_lo, s13
.LBB303_1661:                           ;   in Loop: Header=BB303_927 Depth=1
	s_wait_alu 0xfffe
	s_or_b32 exec_lo, exec_lo, s12
	v_lshrrev_b16 v0, 8, v10
	s_mov_b32 s12, exec_lo
	s_delay_alu instid0(VALU_DEP_1)
	v_cmpx_ne_u16_e32 0, v0
	s_cbranch_execz .LBB303_1669
; %bb.1662:                             ;   in Loop: Header=BB303_927 Depth=1
	v_bfrev_b32_e32 v115, 1
	s_mov_b32 s13, exec_lo
	v_cmpx_ne_u16_e32 0x80, v0
	s_cbranch_execz .LBB303_1668
; %bb.1663:                             ;   in Loop: Header=BB303_927 Depth=1
	v_and_b32_e32 v117, 0xffff, v0
	v_mov_b32_e32 v115, 0x7c010000
	s_mov_b32 s14, exec_lo
	s_delay_alu instid0(VALU_DEP_2) | instskip(NEXT) | instid1(VALU_DEP_1)
	v_and_b32_e32 v119, 0x7f, v117
	v_cmpx_ne_u32_e32 0x7f, v119
	s_cbranch_execz .LBB303_1667
; %bb.1664:                             ;   in Loop: Header=BB303_927 Depth=1
	v_and_b32_e32 v115, 7, v117
	v_lshrrev_b32_e32 v118, 3, v119
	s_mov_b32 s15, exec_lo
	v_cmpx_gt_u32_e32 8, v119
; %bb.1665:                             ;   in Loop: Header=BB303_927 Depth=1
	s_delay_alu instid0(VALU_DEP_3) | instskip(NEXT) | instid1(VALU_DEP_1)
	v_clz_i32_u32_e32 v115, v115
	v_min_u32_e32 v115, 32, v115
	s_delay_alu instid0(VALU_DEP_1) | instskip(NEXT) | instid1(VALU_DEP_1)
	v_subrev_nc_u32_e32 v118, 28, v115
	v_lshlrev_b64_e32 v[128:129], v118, v[0:1]
	v_sub_nc_u32_e32 v118, 29, v115
	s_delay_alu instid0(VALU_DEP_2)
	v_and_b32_e32 v115, 7, v128
; %bb.1666:                             ;   in Loop: Header=BB303_927 Depth=1
	s_wait_alu 0xfffe
	s_or_b32 exec_lo, exec_lo, s15
	v_lshlrev_b32_e32 v0, 8, v117
	v_lshl_add_u32 v117, v118, 10, 0x2000
	v_lshlrev_b32_e32 v115, 23, v115
	s_delay_alu instid0(VALU_DEP_2) | instskip(NEXT) | instid1(VALU_DEP_1)
	v_and_or_b32 v0, 0x8000, v0, v117
	v_lshl_or_b32 v115, v0, 16, v115
.LBB303_1667:                           ;   in Loop: Header=BB303_927 Depth=1
	s_wait_alu 0xfffe
	s_or_b32 exec_lo, exec_lo, s14
.LBB303_1668:                           ;   in Loop: Header=BB303_927 Depth=1
	s_wait_alu 0xfffe
	s_or_b32 exec_lo, exec_lo, s13
.LBB303_1669:                           ;   in Loop: Header=BB303_927 Depth=1
	s_wait_alu 0xfffe
	s_or_b32 exec_lo, exec_lo, s12
	v_lshrrev_b32_e32 v0, 16, v10
	v_mov_b32_e32 v117, 0
	s_mov_b32 s12, exec_lo
	s_delay_alu instid0(VALU_DEP_2) | instskip(NEXT) | instid1(VALU_DEP_1)
	v_dual_mov_b32 v118, 0 :: v_dual_and_b32 v119, 0xff, v0
	v_cmpx_ne_u16_e32 0, v119
	s_cbranch_execz .LBB303_1677
; %bb.1670:                             ;   in Loop: Header=BB303_927 Depth=1
	v_mov_b32_e32 v118, 0x8000
	s_mov_b32 s13, exec_lo
	v_cmpx_ne_u16_e32 0x80, v119
	s_cbranch_execz .LBB303_1676
; %bb.1671:                             ;   in Loop: Header=BB303_927 Depth=1
	v_bfe_u32 v128, v10, 16, 7
	v_mov_b32_e32 v118, 0x7c01
	s_mov_b32 s14, exec_lo
	s_delay_alu instid0(VALU_DEP_2)
	v_cmpx_ne_u32_e32 0x7f, v128
	s_cbranch_execz .LBB303_1675
; %bb.1672:                             ;   in Loop: Header=BB303_927 Depth=1
	v_and_b32_e32 v118, 7, v0
	v_lshrrev_b32_e32 v119, 3, v128
	s_mov_b32 s15, exec_lo
	v_cmpx_gt_u32_e32 8, v128
; %bb.1673:                             ;   in Loop: Header=BB303_927 Depth=1
	s_delay_alu instid0(VALU_DEP_3) | instskip(NEXT) | instid1(VALU_DEP_1)
	v_clz_i32_u32_e32 v118, v118
	v_min_u32_e32 v128, 32, v118
	s_delay_alu instid0(VALU_DEP_1) | instskip(NEXT) | instid1(VALU_DEP_1)
	v_subrev_nc_u32_e32 v118, 28, v128
	v_lshlrev_b64_e32 v[118:119], v118, v[0:1]
	v_sub_nc_u32_e32 v119, 29, v128
	s_delay_alu instid0(VALU_DEP_2)
	v_and_b32_e32 v118, 7, v118
; %bb.1674:                             ;   in Loop: Header=BB303_927 Depth=1
	s_wait_alu 0xfffe
	s_or_b32 exec_lo, exec_lo, s15
	v_lshlrev_b32_e32 v0, 8, v0
	v_lshl_add_u32 v119, v119, 10, 0x2000
	v_lshlrev_b32_e32 v118, 7, v118
	s_delay_alu instid0(VALU_DEP_3) | instskip(NEXT) | instid1(VALU_DEP_3)
	v_and_b32_e32 v0, 0x8000, v0
	v_and_b32_e32 v119, 0xfc00, v119
	s_delay_alu instid0(VALU_DEP_1)
	v_or3_b32 v118, v0, v119, v118
.LBB303_1675:                           ;   in Loop: Header=BB303_927 Depth=1
	s_wait_alu 0xfffe
	s_or_b32 exec_lo, exec_lo, s14
.LBB303_1676:                           ;   in Loop: Header=BB303_927 Depth=1
	s_wait_alu 0xfffe
	s_or_b32 exec_lo, exec_lo, s13
.LBB303_1677:                           ;   in Loop: Header=BB303_927 Depth=1
	s_wait_alu 0xfffe
	s_or_b32 exec_lo, exec_lo, s12
	s_delay_alu instid0(SALU_CYCLE_1)
	s_mov_b32 s12, exec_lo
	v_cmpx_lt_u32_e32 0xffffff, v10
	s_cbranch_execz .LBB303_1685
; %bb.1678:                             ;   in Loop: Header=BB303_927 Depth=1
	v_lshrrev_b32_e32 v0, 24, v10
	v_bfrev_b32_e32 v117, 1
	s_mov_b32 s13, exec_lo
	s_delay_alu instid0(VALU_DEP_2)
	v_cmpx_ne_u32_e32 0x80, v0
	s_cbranch_execz .LBB303_1684
; %bb.1679:                             ;   in Loop: Header=BB303_927 Depth=1
	v_and_b32_e32 v128, 0x7f, v0
	v_mov_b32_e32 v117, 0x7c010000
	s_mov_b32 s14, exec_lo
	s_delay_alu instid0(VALU_DEP_2)
	v_cmpx_ne_u32_e32 0x7f, v128
	s_cbranch_execz .LBB303_1683
; %bb.1680:                             ;   in Loop: Header=BB303_927 Depth=1
	v_and_b32_e32 v117, 7, v0
	v_lshrrev_b32_e32 v119, 3, v128
	s_mov_b32 s15, exec_lo
	v_cmpx_gt_u32_e32 8, v128
; %bb.1681:                             ;   in Loop: Header=BB303_927 Depth=1
	s_delay_alu instid0(VALU_DEP_3) | instskip(NEXT) | instid1(VALU_DEP_1)
	v_clz_i32_u32_e32 v117, v117
	v_min_u32_e32 v117, 32, v117
	s_delay_alu instid0(VALU_DEP_1) | instskip(NEXT) | instid1(VALU_DEP_1)
	v_subrev_nc_u32_e32 v119, 28, v117
	v_lshlrev_b64_e32 v[128:129], v119, v[0:1]
	v_sub_nc_u32_e32 v119, 29, v117
	s_delay_alu instid0(VALU_DEP_2)
	v_and_b32_e32 v117, 7, v128
; %bb.1682:                             ;   in Loop: Header=BB303_927 Depth=1
	s_wait_alu 0xfffe
	s_or_b32 exec_lo, exec_lo, s15
	v_lshlrev_b32_e32 v0, 8, v0
	v_lshl_add_u32 v119, v119, 10, 0x2000
	v_lshlrev_b32_e32 v117, 23, v117
	s_delay_alu instid0(VALU_DEP_2) | instskip(NEXT) | instid1(VALU_DEP_1)
	v_and_or_b32 v0, 0x8000, v0, v119
	v_lshl_or_b32 v117, v0, 16, v117
.LBB303_1683:                           ;   in Loop: Header=BB303_927 Depth=1
	s_wait_alu 0xfffe
	s_or_b32 exec_lo, exec_lo, s14
.LBB303_1684:                           ;   in Loop: Header=BB303_927 Depth=1
	s_wait_alu 0xfffe
	s_or_b32 exec_lo, exec_lo, s13
.LBB303_1685:                           ;   in Loop: Header=BB303_927 Depth=1
	s_wait_alu 0xfffe
	s_or_b32 exec_lo, exec_lo, s12
	v_dual_mov_b32 v0, v11 :: v_dual_and_b32 v129, 0xff, v11
	v_dual_mov_b32 v119, 0 :: v_dual_mov_b32 v128, 0
	s_mov_b32 s12, exec_lo
	s_delay_alu instid0(VALU_DEP_2)
	v_cmpx_ne_u16_e64 0, v129
	s_cbranch_execz .LBB303_1693
; %bb.1686:                             ;   in Loop: Header=BB303_927 Depth=1
	v_mov_b32_e32 v128, 0x8000
	s_mov_b32 s13, exec_lo
	v_cmpx_ne_u16_e64 0x80, v129
	s_cbranch_execz .LBB303_1692
; %bb.1687:                             ;   in Loop: Header=BB303_927 Depth=1
	v_and_b32_e32 v130, 0x7f, v11
	v_mov_b32_e32 v128, 0x7c01
	s_mov_b32 s14, exec_lo
	s_delay_alu instid0(VALU_DEP_2)
	v_cmpx_ne_u32_e32 0x7f, v130
	s_cbranch_execz .LBB303_1691
; %bb.1688:                             ;   in Loop: Header=BB303_927 Depth=1
	v_and_b32_e32 v128, 7, v11
	v_lshrrev_b32_e32 v129, 3, v130
	s_mov_b32 s15, exec_lo
	v_cmpx_gt_u32_e32 8, v130
; %bb.1689:                             ;   in Loop: Header=BB303_927 Depth=1
	s_delay_alu instid0(VALU_DEP_3) | instskip(NEXT) | instid1(VALU_DEP_1)
	v_clz_i32_u32_e32 v128, v128
	v_min_u32_e32 v130, 32, v128
	s_delay_alu instid0(VALU_DEP_1) | instskip(NEXT) | instid1(VALU_DEP_1)
	v_subrev_nc_u32_e32 v128, 28, v130
	v_lshlrev_b64_e32 v[128:129], v128, v[0:1]
	v_sub_nc_u32_e32 v129, 29, v130
	s_delay_alu instid0(VALU_DEP_2)
	v_and_b32_e32 v128, 7, v128
; %bb.1690:                             ;   in Loop: Header=BB303_927 Depth=1
	s_wait_alu 0xfffe
	s_or_b32 exec_lo, exec_lo, s15
	v_lshlrev_b32_e32 v130, 8, v11
	v_lshl_add_u32 v129, v129, 10, 0x2000
	v_lshlrev_b32_e32 v128, 7, v128
	s_delay_alu instid0(VALU_DEP_3) | instskip(NEXT) | instid1(VALU_DEP_3)
	v_and_b32_e32 v130, 0x8000, v130
	v_and_b32_e32 v129, 0xfc00, v129
	s_delay_alu instid0(VALU_DEP_1)
	v_or3_b32 v128, v130, v129, v128
.LBB303_1691:                           ;   in Loop: Header=BB303_927 Depth=1
	s_wait_alu 0xfffe
	s_or_b32 exec_lo, exec_lo, s14
.LBB303_1692:                           ;   in Loop: Header=BB303_927 Depth=1
	s_wait_alu 0xfffe
	s_or_b32 exec_lo, exec_lo, s13
.LBB303_1693:                           ;   in Loop: Header=BB303_927 Depth=1
	s_wait_alu 0xfffe
	s_or_b32 exec_lo, exec_lo, s12
	v_lshrrev_b16 v0, 8, v0
	v_mov_b32_e32 v129, 0
	s_mov_b32 s12, exec_lo
	s_delay_alu instid0(VALU_DEP_2)
	v_cmpx_ne_u16_e32 0, v0
	s_cbranch_execz .LBB303_1701
; %bb.1694:                             ;   in Loop: Header=BB303_927 Depth=1
	v_bfrev_b32_e32 v129, 1
	s_mov_b32 s13, exec_lo
	v_cmpx_ne_u16_e32 0x80, v0
	s_cbranch_execz .LBB303_1700
; %bb.1695:                             ;   in Loop: Header=BB303_927 Depth=1
	v_and_b32_e32 v130, 0xffff, v0
	v_mov_b32_e32 v129, 0x7c010000
	s_mov_b32 s14, exec_lo
	s_delay_alu instid0(VALU_DEP_2) | instskip(NEXT) | instid1(VALU_DEP_1)
	v_and_b32_e32 v132, 0x7f, v130
	v_cmpx_ne_u32_e32 0x7f, v132
	s_cbranch_execz .LBB303_1699
; %bb.1696:                             ;   in Loop: Header=BB303_927 Depth=1
	v_and_b32_e32 v129, 7, v130
	v_lshrrev_b32_e32 v131, 3, v132
	s_mov_b32 s15, exec_lo
	v_cmpx_gt_u32_e32 8, v132
; %bb.1697:                             ;   in Loop: Header=BB303_927 Depth=1
	s_delay_alu instid0(VALU_DEP_3) | instskip(NEXT) | instid1(VALU_DEP_1)
	v_clz_i32_u32_e32 v129, v129
	v_min_u32_e32 v129, 32, v129
	s_delay_alu instid0(VALU_DEP_1) | instskip(NEXT) | instid1(VALU_DEP_1)
	v_subrev_nc_u32_e32 v131, 28, v129
	v_lshlrev_b64_e32 v[132:133], v131, v[0:1]
	v_sub_nc_u32_e32 v131, 29, v129
	s_delay_alu instid0(VALU_DEP_2)
	v_and_b32_e32 v129, 7, v132
; %bb.1698:                             ;   in Loop: Header=BB303_927 Depth=1
	s_wait_alu 0xfffe
	s_or_b32 exec_lo, exec_lo, s15
	v_lshlrev_b32_e32 v0, 8, v130
	v_lshl_add_u32 v130, v131, 10, 0x2000
	v_lshlrev_b32_e32 v129, 23, v129
	s_delay_alu instid0(VALU_DEP_2) | instskip(NEXT) | instid1(VALU_DEP_1)
	v_and_or_b32 v0, 0x8000, v0, v130
	v_lshl_or_b32 v129, v0, 16, v129
.LBB303_1699:                           ;   in Loop: Header=BB303_927 Depth=1
	s_wait_alu 0xfffe
	s_or_b32 exec_lo, exec_lo, s14
.LBB303_1700:                           ;   in Loop: Header=BB303_927 Depth=1
	s_wait_alu 0xfffe
	s_or_b32 exec_lo, exec_lo, s13
.LBB303_1701:                           ;   in Loop: Header=BB303_927 Depth=1
	s_wait_alu 0xfffe
	s_or_b32 exec_lo, exec_lo, s12
	v_lshrrev_b32_e32 v0, 16, v11
	s_mov_b32 s12, exec_lo
	s_delay_alu instid0(VALU_DEP_1) | instskip(NEXT) | instid1(VALU_DEP_1)
	v_and_b32_e32 v130, 0xff, v0
	v_cmpx_ne_u16_e64 0, v130
	s_cbranch_execz .LBB303_1709
; %bb.1702:                             ;   in Loop: Header=BB303_927 Depth=1
	v_mov_b32_e32 v119, 0x8000
	s_mov_b32 s13, exec_lo
	v_cmpx_ne_u16_e64 0x80, v130
	s_cbranch_execz .LBB303_1708
; %bb.1703:                             ;   in Loop: Header=BB303_927 Depth=1
	v_bfe_u32 v131, v11, 16, 7
	v_mov_b32_e32 v119, 0x7c01
	s_mov_b32 s14, exec_lo
	s_delay_alu instid0(VALU_DEP_2)
	v_cmpx_ne_u32_e32 0x7f, v131
	s_cbranch_execz .LBB303_1707
; %bb.1704:                             ;   in Loop: Header=BB303_927 Depth=1
	v_and_b32_e32 v119, 7, v0
	v_lshrrev_b32_e32 v130, 3, v131
	s_mov_b32 s15, exec_lo
	v_cmpx_gt_u32_e32 8, v131
; %bb.1705:                             ;   in Loop: Header=BB303_927 Depth=1
	s_delay_alu instid0(VALU_DEP_3) | instskip(NEXT) | instid1(VALU_DEP_1)
	v_clz_i32_u32_e32 v119, v119
	v_min_u32_e32 v119, 32, v119
	s_delay_alu instid0(VALU_DEP_1) | instskip(NEXT) | instid1(VALU_DEP_1)
	v_subrev_nc_u32_e32 v130, 28, v119
	v_lshlrev_b64_e32 v[131:132], v130, v[0:1]
	v_sub_nc_u32_e32 v130, 29, v119
	s_delay_alu instid0(VALU_DEP_2)
	v_and_b32_e32 v119, 7, v131
; %bb.1706:                             ;   in Loop: Header=BB303_927 Depth=1
	s_wait_alu 0xfffe
	s_or_b32 exec_lo, exec_lo, s15
	v_lshlrev_b32_e32 v0, 8, v0
	v_lshl_add_u32 v130, v130, 10, 0x2000
	v_lshlrev_b32_e32 v119, 7, v119
	s_delay_alu instid0(VALU_DEP_3) | instskip(NEXT) | instid1(VALU_DEP_3)
	v_and_b32_e32 v0, 0x8000, v0
	v_and_b32_e32 v130, 0xfc00, v130
	s_delay_alu instid0(VALU_DEP_1)
	v_or3_b32 v119, v0, v130, v119
.LBB303_1707:                           ;   in Loop: Header=BB303_927 Depth=1
	s_wait_alu 0xfffe
	s_or_b32 exec_lo, exec_lo, s14
.LBB303_1708:                           ;   in Loop: Header=BB303_927 Depth=1
	s_wait_alu 0xfffe
	s_or_b32 exec_lo, exec_lo, s13
.LBB303_1709:                           ;   in Loop: Header=BB303_927 Depth=1
	s_wait_alu 0xfffe
	s_or_b32 exec_lo, exec_lo, s12
	v_cmp_lt_u64_e64 s0, s[8:9], v[10:11]
	v_mov_b32_e32 v10, 0
	s_and_saveexec_b32 s12, s0
	s_cbranch_execz .LBB303_1717
; %bb.1710:                             ;   in Loop: Header=BB303_927 Depth=1
	v_lshrrev_b32_e32 v0, 24, v11
	v_bfrev_b32_e32 v10, 1
	s_mov_b32 s13, exec_lo
	s_delay_alu instid0(VALU_DEP_2)
	v_cmpx_ne_u32_e32 0x80, v0
	s_cbranch_execz .LBB303_1716
; %bb.1711:                             ;   in Loop: Header=BB303_927 Depth=1
	v_and_b32_e32 v130, 0x7f, v0
	v_mov_b32_e32 v10, 0x7c010000
	s_mov_b32 s14, exec_lo
	s_delay_alu instid0(VALU_DEP_2)
	v_cmpx_ne_u32_e32 0x7f, v130
	s_cbranch_execz .LBB303_1715
; %bb.1712:                             ;   in Loop: Header=BB303_927 Depth=1
	v_and_b32_e32 v10, 7, v0
	v_lshrrev_b32_e32 v11, 3, v130
	s_mov_b32 s15, exec_lo
	v_cmpx_gt_u32_e32 8, v130
; %bb.1713:                             ;   in Loop: Header=BB303_927 Depth=1
	s_delay_alu instid0(VALU_DEP_3) | instskip(NEXT) | instid1(VALU_DEP_1)
	v_clz_i32_u32_e32 v10, v10
	v_min_u32_e32 v130, 32, v10
	s_delay_alu instid0(VALU_DEP_1) | instskip(NEXT) | instid1(VALU_DEP_1)
	v_subrev_nc_u32_e32 v10, 28, v130
	v_lshlrev_b64_e32 v[10:11], v10, v[0:1]
	v_sub_nc_u32_e32 v11, 29, v130
	s_delay_alu instid0(VALU_DEP_2)
	v_and_b32_e32 v10, 7, v10
; %bb.1714:                             ;   in Loop: Header=BB303_927 Depth=1
	s_wait_alu 0xfffe
	s_or_b32 exec_lo, exec_lo, s15
	v_lshlrev_b32_e32 v0, 8, v0
	v_lshl_add_u32 v11, v11, 10, 0x2000
	v_lshlrev_b32_e32 v10, 23, v10
	s_delay_alu instid0(VALU_DEP_2) | instskip(NEXT) | instid1(VALU_DEP_1)
	v_and_or_b32 v0, 0x8000, v0, v11
	v_lshl_or_b32 v10, v0, 16, v10
.LBB303_1715:                           ;   in Loop: Header=BB303_927 Depth=1
	s_wait_alu 0xfffe
	s_or_b32 exec_lo, exec_lo, s14
.LBB303_1716:                           ;   in Loop: Header=BB303_927 Depth=1
	s_wait_alu 0xfffe
	s_or_b32 exec_lo, exec_lo, s13
.LBB303_1717:                           ;   in Loop: Header=BB303_927 Depth=1
	s_wait_alu 0xfffe
	s_or_b32 exec_lo, exec_lo, s12
	v_or_b32_e32 v0, v117, v118
	s_wait_loadcnt_dscnt 0x0
	v_fma_mixlo_f16 v11, v114, v117, 0 op_sel:[0,1,0] op_sel_hi:[0,1,0]
	v_or_b32_e32 v117, v115, v116
	v_fma_mixlo_f16 v115, v114, v115, 0 op_sel:[0,1,0] op_sel_hi:[0,1,0]
	v_or_b32_e32 v118, v129, v128
	v_or_b32_e32 v119, v10, v119
	v_fma_mixlo_f16 v128, v114, v0, 0 op_sel_hi:[0,1,0]
	v_fma_mixlo_f16 v10, v114, v10, 0 op_sel:[0,1,0] op_sel_hi:[0,1,0]
	v_lshlrev_b32_e32 v116, 16, v115
	v_fma_mixlo_f16 v115, v114, v117, 0 op_sel_hi:[0,1,0]
	v_fma_mixlo_f16 v117, v114, v129, 0 op_sel:[0,1,0] op_sel_hi:[0,1,0]
	v_fma_mixlo_f16 v118, v114, v118, 0 op_sel_hi:[0,1,0]
	v_fma_mixlo_f16 v119, v114, v119, 0 op_sel_hi:[0,1,0]
	v_lshlrev_b32_e32 v0, 16, v11
	v_and_b32_e32 v11, 0xffff, v128
	v_and_b32_e32 v130, 0xffff, v115
	v_lshlrev_b32_e32 v114, 16, v117
	v_and_b32_e32 v118, 0xffff, v118
	v_lshlrev_b32_e32 v10, 16, v10
	v_and_b32_e32 v115, 0xffff, v119
	v_or_b32_e32 v117, v0, v11
	v_or_b32_e32 v129, v116, v130
	;; [unrolled: 1-line block ×3, first 2 shown]
	s_delay_alu instid0(VALU_DEP_4)
	v_or_b32_e32 v119, v10, v115
	s_and_saveexec_b32 s12, vcc_lo
	s_cbranch_execz .LBB303_1719
; %bb.1718:                             ;   in Loop: Header=BB303_927 Depth=1
	v_cmp_lt_i32_e64 s0, v35, v30
	s_wait_alu 0xf1ff
	s_delay_alu instid0(VALU_DEP_1) | instskip(SKIP_2) | instid1(VALU_DEP_1)
	v_cndmask_b32_e64 v117, 0, v130, s0
	v_cmp_lt_i32_e64 s0, v69, v30
	s_wait_alu 0xf1ff
	v_cndmask_b32_e64 v116, 0, v116, s0
	v_cmp_lt_i32_e64 s0, v68, v30
	s_delay_alu instid0(VALU_DEP_2) | instskip(SKIP_1) | instid1(VALU_DEP_2)
	v_or_b32_e32 v129, v117, v116
	s_wait_alu 0xf1ff
	v_cndmask_b32_e64 v11, 0, v11, s0
	v_cmp_lt_i32_e64 s0, v67, v30
	s_wait_alu 0xf1ff
	s_delay_alu instid0(VALU_DEP_1) | instskip(SKIP_1) | instid1(VALU_DEP_2)
	v_cndmask_b32_e64 v0, 0, v0, s0
	v_cmp_lt_i32_e64 s0, v66, v30
	v_or_b32_e32 v117, v11, v0
	s_wait_alu 0xf1ff
	s_delay_alu instid0(VALU_DEP_2) | instskip(SKIP_2) | instid1(VALU_DEP_1)
	v_cndmask_b32_e64 v118, 0, v118, s0
	v_cmp_lt_i32_e64 s0, v65, v30
	s_wait_alu 0xf1ff
	v_cndmask_b32_e64 v114, 0, v114, s0
	v_cmp_lt_i32_e64 s0, v64, v30
	s_delay_alu instid0(VALU_DEP_2) | instskip(SKIP_1) | instid1(VALU_DEP_2)
	v_or_b32_e32 v128, v118, v114
	s_wait_alu 0xf1ff
	v_cndmask_b32_e64 v115, 0, v115, s0
	v_cmp_lt_i32_e64 s0, v14, v30
	s_wait_alu 0xf1ff
	s_delay_alu instid0(VALU_DEP_1) | instskip(NEXT) | instid1(VALU_DEP_1)
	v_cndmask_b32_e64 v10, 0, v10, s0
	v_or_b32_e32 v119, v115, v10
.LBB303_1719:                           ;   in Loop: Header=BB303_927 Depth=1
	s_wait_alu 0xfffe
	s_or_b32 exec_lo, exec_lo, s12
	;;#ASMSTART
	v_pk_mul_f16 v0, v54, v129;

	;;#ASMEND
	;;#ASMSTART
	v_pk_mul_f16 v10, v52, v117;

	;;#ASMEND
	;; [unrolled: 4-line block ×4, first 2 shown]
	;;#ASMSTART
	v_pk_add_f16 v0, v0, v10;

	;;#ASMEND
	;;#ASMSTART
	v_pk_add_f16 v0, v0, v11;

	;;#ASMEND
	;; [unrolled: 4-line block ×3, first 2 shown]
	v_dual_mov_b32 v117, 0 :: v_dual_and_b32 v10, 0xffff, v0
	v_lshrrev_b32_e32 v0, 16, v0
	;;#ASMSTART
	v_cvt_f32_f16 v114, v10;
	;;#ASMEND
	;;#ASMSTART
	v_cvt_f32_f16 v115, v0;
	;;#ASMEND
	flat_load_b64 v[10:11], v[8:9] offset:3072
	flat_load_b32 v116, v[26:27]
	v_mov_b32_e32 v118, 0
	s_mov_b32 s12, exec_lo
	s_wait_loadcnt_dscnt 0x101
	v_and_b32_e32 v0, 0xff, v10
	s_delay_alu instid0(VALU_DEP_1)
	v_cmpx_ne_u16_e32 0, v0
	s_cbranch_execz .LBB303_1727
; %bb.1720:                             ;   in Loop: Header=BB303_927 Depth=1
	v_mov_b32_e32 v118, 0x8000
	s_mov_b32 s13, exec_lo
	v_cmpx_ne_u16_e32 0x80, v0
	s_cbranch_execz .LBB303_1726
; %bb.1721:                             ;   in Loop: Header=BB303_927 Depth=1
	v_and_b32_e32 v119, 0x7f, v10
	v_mov_b32_e32 v118, 0x7c01
	s_mov_b32 s14, exec_lo
	s_delay_alu instid0(VALU_DEP_2)
	v_cmpx_ne_u32_e32 0x7f, v119
	s_cbranch_execz .LBB303_1725
; %bb.1722:                             ;   in Loop: Header=BB303_927 Depth=1
	v_and_b32_e32 v0, 7, v10
	v_lshrrev_b32_e32 v118, 3, v119
	s_mov_b32 s15, exec_lo
	v_cmpx_gt_u32_e32 8, v119
; %bb.1723:                             ;   in Loop: Header=BB303_927 Depth=1
	s_delay_alu instid0(VALU_DEP_3) | instskip(NEXT) | instid1(VALU_DEP_1)
	v_clz_i32_u32_e32 v0, v0
	v_min_u32_e32 v0, 32, v0
	s_delay_alu instid0(VALU_DEP_1) | instskip(NEXT) | instid1(VALU_DEP_1)
	v_subrev_nc_u32_e32 v118, 28, v0
	v_lshlrev_b64_e32 v[128:129], v118, v[10:11]
	v_sub_nc_u32_e32 v118, 29, v0
	s_delay_alu instid0(VALU_DEP_2)
	v_and_b32_e32 v0, 7, v128
; %bb.1724:                             ;   in Loop: Header=BB303_927 Depth=1
	s_wait_alu 0xfffe
	s_or_b32 exec_lo, exec_lo, s15
	v_lshlrev_b32_e32 v119, 8, v10
	v_lshl_add_u32 v118, v118, 10, 0x2000
	v_lshlrev_b32_e32 v0, 7, v0
	s_delay_alu instid0(VALU_DEP_3) | instskip(NEXT) | instid1(VALU_DEP_3)
	v_and_b32_e32 v119, 0x8000, v119
	v_and_b32_e32 v118, 0xfc00, v118
	s_delay_alu instid0(VALU_DEP_1)
	v_or3_b32 v118, v119, v118, v0
.LBB303_1725:                           ;   in Loop: Header=BB303_927 Depth=1
	s_wait_alu 0xfffe
	s_or_b32 exec_lo, exec_lo, s14
.LBB303_1726:                           ;   in Loop: Header=BB303_927 Depth=1
	s_wait_alu 0xfffe
	s_or_b32 exec_lo, exec_lo, s13
.LBB303_1727:                           ;   in Loop: Header=BB303_927 Depth=1
	s_wait_alu 0xfffe
	s_or_b32 exec_lo, exec_lo, s12
	v_lshrrev_b16 v0, 8, v10
	s_mov_b32 s12, exec_lo
	s_delay_alu instid0(VALU_DEP_1)
	v_cmpx_ne_u16_e32 0, v0
	s_cbranch_execz .LBB303_1735
; %bb.1728:                             ;   in Loop: Header=BB303_927 Depth=1
	v_bfrev_b32_e32 v117, 1
	s_mov_b32 s13, exec_lo
	v_cmpx_ne_u16_e32 0x80, v0
	s_cbranch_execz .LBB303_1734
; %bb.1729:                             ;   in Loop: Header=BB303_927 Depth=1
	v_and_b32_e32 v119, 0xffff, v0
	v_mov_b32_e32 v117, 0x7c010000
	s_mov_b32 s14, exec_lo
	s_delay_alu instid0(VALU_DEP_2) | instskip(NEXT) | instid1(VALU_DEP_1)
	v_and_b32_e32 v129, 0x7f, v119
	v_cmpx_ne_u32_e32 0x7f, v129
	s_cbranch_execz .LBB303_1733
; %bb.1730:                             ;   in Loop: Header=BB303_927 Depth=1
	v_and_b32_e32 v117, 7, v119
	v_lshrrev_b32_e32 v128, 3, v129
	s_mov_b32 s15, exec_lo
	v_cmpx_gt_u32_e32 8, v129
; %bb.1731:                             ;   in Loop: Header=BB303_927 Depth=1
	s_delay_alu instid0(VALU_DEP_3) | instskip(NEXT) | instid1(VALU_DEP_1)
	v_clz_i32_u32_e32 v117, v117
	v_min_u32_e32 v117, 32, v117
	s_delay_alu instid0(VALU_DEP_1) | instskip(NEXT) | instid1(VALU_DEP_1)
	v_subrev_nc_u32_e32 v128, 28, v117
	v_lshlrev_b64_e32 v[129:130], v128, v[0:1]
	v_sub_nc_u32_e32 v128, 29, v117
	s_delay_alu instid0(VALU_DEP_2)
	v_and_b32_e32 v117, 7, v129
; %bb.1732:                             ;   in Loop: Header=BB303_927 Depth=1
	s_wait_alu 0xfffe
	s_or_b32 exec_lo, exec_lo, s15
	v_lshlrev_b32_e32 v0, 8, v119
	v_lshl_add_u32 v119, v128, 10, 0x2000
	v_lshlrev_b32_e32 v117, 23, v117
	s_delay_alu instid0(VALU_DEP_2) | instskip(NEXT) | instid1(VALU_DEP_1)
	v_and_or_b32 v0, 0x8000, v0, v119
	v_lshl_or_b32 v117, v0, 16, v117
.LBB303_1733:                           ;   in Loop: Header=BB303_927 Depth=1
	s_wait_alu 0xfffe
	s_or_b32 exec_lo, exec_lo, s14
.LBB303_1734:                           ;   in Loop: Header=BB303_927 Depth=1
	s_wait_alu 0xfffe
	s_or_b32 exec_lo, exec_lo, s13
.LBB303_1735:                           ;   in Loop: Header=BB303_927 Depth=1
	s_wait_alu 0xfffe
	s_or_b32 exec_lo, exec_lo, s12
	v_lshrrev_b32_e32 v0, 16, v10
	v_mov_b32_e32 v119, 0
	s_mov_b32 s12, exec_lo
	s_delay_alu instid0(VALU_DEP_2) | instskip(NEXT) | instid1(VALU_DEP_1)
	v_dual_mov_b32 v128, 0 :: v_dual_and_b32 v129, 0xff, v0
	v_cmpx_ne_u16_e64 0, v129
	s_cbranch_execz .LBB303_1743
; %bb.1736:                             ;   in Loop: Header=BB303_927 Depth=1
	v_mov_b32_e32 v128, 0x8000
	s_mov_b32 s13, exec_lo
	v_cmpx_ne_u16_e64 0x80, v129
	s_cbranch_execz .LBB303_1742
; %bb.1737:                             ;   in Loop: Header=BB303_927 Depth=1
	v_bfe_u32 v130, v10, 16, 7
	v_mov_b32_e32 v128, 0x7c01
	s_mov_b32 s14, exec_lo
	s_delay_alu instid0(VALU_DEP_2)
	v_cmpx_ne_u32_e32 0x7f, v130
	s_cbranch_execz .LBB303_1741
; %bb.1738:                             ;   in Loop: Header=BB303_927 Depth=1
	v_and_b32_e32 v128, 7, v0
	v_lshrrev_b32_e32 v129, 3, v130
	s_mov_b32 s15, exec_lo
	v_cmpx_gt_u32_e32 8, v130
; %bb.1739:                             ;   in Loop: Header=BB303_927 Depth=1
	s_delay_alu instid0(VALU_DEP_3) | instskip(NEXT) | instid1(VALU_DEP_1)
	v_clz_i32_u32_e32 v128, v128
	v_min_u32_e32 v130, 32, v128
	s_delay_alu instid0(VALU_DEP_1) | instskip(NEXT) | instid1(VALU_DEP_1)
	v_subrev_nc_u32_e32 v128, 28, v130
	v_lshlrev_b64_e32 v[128:129], v128, v[0:1]
	v_sub_nc_u32_e32 v129, 29, v130
	s_delay_alu instid0(VALU_DEP_2)
	v_and_b32_e32 v128, 7, v128
; %bb.1740:                             ;   in Loop: Header=BB303_927 Depth=1
	s_wait_alu 0xfffe
	s_or_b32 exec_lo, exec_lo, s15
	v_lshlrev_b32_e32 v0, 8, v0
	v_lshl_add_u32 v129, v129, 10, 0x2000
	v_lshlrev_b32_e32 v128, 7, v128
	s_delay_alu instid0(VALU_DEP_3) | instskip(NEXT) | instid1(VALU_DEP_3)
	v_and_b32_e32 v0, 0x8000, v0
	v_and_b32_e32 v129, 0xfc00, v129
	s_delay_alu instid0(VALU_DEP_1)
	v_or3_b32 v128, v0, v129, v128
.LBB303_1741:                           ;   in Loop: Header=BB303_927 Depth=1
	s_wait_alu 0xfffe
	s_or_b32 exec_lo, exec_lo, s14
.LBB303_1742:                           ;   in Loop: Header=BB303_927 Depth=1
	s_wait_alu 0xfffe
	s_or_b32 exec_lo, exec_lo, s13
.LBB303_1743:                           ;   in Loop: Header=BB303_927 Depth=1
	s_wait_alu 0xfffe
	s_or_b32 exec_lo, exec_lo, s12
	s_delay_alu instid0(SALU_CYCLE_1)
	s_mov_b32 s12, exec_lo
	v_cmpx_lt_u32_e32 0xffffff, v10
	s_cbranch_execz .LBB303_1751
; %bb.1744:                             ;   in Loop: Header=BB303_927 Depth=1
	v_lshrrev_b32_e32 v0, 24, v10
	v_bfrev_b32_e32 v119, 1
	s_mov_b32 s13, exec_lo
	s_delay_alu instid0(VALU_DEP_2)
	v_cmpx_ne_u32_e32 0x80, v0
	s_cbranch_execz .LBB303_1750
; %bb.1745:                             ;   in Loop: Header=BB303_927 Depth=1
	v_and_b32_e32 v130, 0x7f, v0
	v_mov_b32_e32 v119, 0x7c010000
	s_mov_b32 s14, exec_lo
	s_delay_alu instid0(VALU_DEP_2)
	v_cmpx_ne_u32_e32 0x7f, v130
	s_cbranch_execz .LBB303_1749
; %bb.1746:                             ;   in Loop: Header=BB303_927 Depth=1
	v_and_b32_e32 v119, 7, v0
	v_lshrrev_b32_e32 v129, 3, v130
	s_mov_b32 s15, exec_lo
	v_cmpx_gt_u32_e32 8, v130
; %bb.1747:                             ;   in Loop: Header=BB303_927 Depth=1
	s_delay_alu instid0(VALU_DEP_3) | instskip(NEXT) | instid1(VALU_DEP_1)
	v_clz_i32_u32_e32 v119, v119
	v_min_u32_e32 v119, 32, v119
	s_delay_alu instid0(VALU_DEP_1) | instskip(NEXT) | instid1(VALU_DEP_1)
	v_subrev_nc_u32_e32 v129, 28, v119
	v_lshlrev_b64_e32 v[130:131], v129, v[0:1]
	v_sub_nc_u32_e32 v129, 29, v119
	s_delay_alu instid0(VALU_DEP_2)
	v_and_b32_e32 v119, 7, v130
; %bb.1748:                             ;   in Loop: Header=BB303_927 Depth=1
	s_wait_alu 0xfffe
	s_or_b32 exec_lo, exec_lo, s15
	v_lshlrev_b32_e32 v0, 8, v0
	v_lshl_add_u32 v129, v129, 10, 0x2000
	v_lshlrev_b32_e32 v119, 23, v119
	s_delay_alu instid0(VALU_DEP_2) | instskip(NEXT) | instid1(VALU_DEP_1)
	v_and_or_b32 v0, 0x8000, v0, v129
	v_lshl_or_b32 v119, v0, 16, v119
.LBB303_1749:                           ;   in Loop: Header=BB303_927 Depth=1
	s_wait_alu 0xfffe
	s_or_b32 exec_lo, exec_lo, s14
.LBB303_1750:                           ;   in Loop: Header=BB303_927 Depth=1
	s_wait_alu 0xfffe
	s_or_b32 exec_lo, exec_lo, s13
.LBB303_1751:                           ;   in Loop: Header=BB303_927 Depth=1
	s_wait_alu 0xfffe
	s_or_b32 exec_lo, exec_lo, s12
	v_dual_mov_b32 v0, v11 :: v_dual_and_b32 v131, 0xff, v11
	v_dual_mov_b32 v129, 0 :: v_dual_mov_b32 v130, 0
	s_mov_b32 s12, exec_lo
	s_delay_alu instid0(VALU_DEP_2)
	v_cmpx_ne_u16_e64 0, v131
	s_cbranch_execz .LBB303_1759
; %bb.1752:                             ;   in Loop: Header=BB303_927 Depth=1
	v_mov_b32_e32 v130, 0x8000
	s_mov_b32 s13, exec_lo
	v_cmpx_ne_u16_e64 0x80, v131
	s_cbranch_execz .LBB303_1758
; %bb.1753:                             ;   in Loop: Header=BB303_927 Depth=1
	v_and_b32_e32 v132, 0x7f, v11
	v_mov_b32_e32 v130, 0x7c01
	s_mov_b32 s14, exec_lo
	s_delay_alu instid0(VALU_DEP_2)
	v_cmpx_ne_u32_e32 0x7f, v132
	s_cbranch_execz .LBB303_1757
; %bb.1754:                             ;   in Loop: Header=BB303_927 Depth=1
	v_and_b32_e32 v130, 7, v11
	v_lshrrev_b32_e32 v131, 3, v132
	s_mov_b32 s15, exec_lo
	v_cmpx_gt_u32_e32 8, v132
; %bb.1755:                             ;   in Loop: Header=BB303_927 Depth=1
	s_delay_alu instid0(VALU_DEP_3) | instskip(NEXT) | instid1(VALU_DEP_1)
	v_clz_i32_u32_e32 v130, v130
	v_min_u32_e32 v132, 32, v130
	s_delay_alu instid0(VALU_DEP_1) | instskip(NEXT) | instid1(VALU_DEP_1)
	v_subrev_nc_u32_e32 v130, 28, v132
	v_lshlrev_b64_e32 v[130:131], v130, v[0:1]
	v_sub_nc_u32_e32 v131, 29, v132
	s_delay_alu instid0(VALU_DEP_2)
	v_and_b32_e32 v130, 7, v130
; %bb.1756:                             ;   in Loop: Header=BB303_927 Depth=1
	s_wait_alu 0xfffe
	s_or_b32 exec_lo, exec_lo, s15
	v_lshlrev_b32_e32 v132, 8, v11
	v_lshl_add_u32 v131, v131, 10, 0x2000
	v_lshlrev_b32_e32 v130, 7, v130
	s_delay_alu instid0(VALU_DEP_3) | instskip(NEXT) | instid1(VALU_DEP_3)
	v_and_b32_e32 v132, 0x8000, v132
	v_and_b32_e32 v131, 0xfc00, v131
	s_delay_alu instid0(VALU_DEP_1)
	v_or3_b32 v130, v132, v131, v130
.LBB303_1757:                           ;   in Loop: Header=BB303_927 Depth=1
	s_wait_alu 0xfffe
	s_or_b32 exec_lo, exec_lo, s14
.LBB303_1758:                           ;   in Loop: Header=BB303_927 Depth=1
	s_wait_alu 0xfffe
	s_or_b32 exec_lo, exec_lo, s13
.LBB303_1759:                           ;   in Loop: Header=BB303_927 Depth=1
	s_wait_alu 0xfffe
	s_or_b32 exec_lo, exec_lo, s12
	v_lshrrev_b16 v0, 8, v0
	v_mov_b32_e32 v131, 0
	s_mov_b32 s12, exec_lo
	s_delay_alu instid0(VALU_DEP_2)
	v_cmpx_ne_u16_e32 0, v0
	s_cbranch_execz .LBB303_1767
; %bb.1760:                             ;   in Loop: Header=BB303_927 Depth=1
	v_bfrev_b32_e32 v131, 1
	s_mov_b32 s13, exec_lo
	v_cmpx_ne_u16_e32 0x80, v0
	s_cbranch_execz .LBB303_1766
; %bb.1761:                             ;   in Loop: Header=BB303_927 Depth=1
	v_and_b32_e32 v132, 0xffff, v0
	v_mov_b32_e32 v131, 0x7c010000
	s_mov_b32 s14, exec_lo
	s_delay_alu instid0(VALU_DEP_2) | instskip(NEXT) | instid1(VALU_DEP_1)
	v_and_b32_e32 v134, 0x7f, v132
	v_cmpx_ne_u32_e32 0x7f, v134
	s_cbranch_execz .LBB303_1765
; %bb.1762:                             ;   in Loop: Header=BB303_927 Depth=1
	v_and_b32_e32 v131, 7, v132
	v_lshrrev_b32_e32 v133, 3, v134
	s_mov_b32 s15, exec_lo
	v_cmpx_gt_u32_e32 8, v134
; %bb.1763:                             ;   in Loop: Header=BB303_927 Depth=1
	s_delay_alu instid0(VALU_DEP_3) | instskip(NEXT) | instid1(VALU_DEP_1)
	v_clz_i32_u32_e32 v131, v131
	v_min_u32_e32 v131, 32, v131
	s_delay_alu instid0(VALU_DEP_1) | instskip(NEXT) | instid1(VALU_DEP_1)
	v_subrev_nc_u32_e32 v133, 28, v131
	v_lshlrev_b64_e32 v[134:135], v133, v[0:1]
	v_sub_nc_u32_e32 v133, 29, v131
	s_delay_alu instid0(VALU_DEP_2)
	v_and_b32_e32 v131, 7, v134
; %bb.1764:                             ;   in Loop: Header=BB303_927 Depth=1
	s_wait_alu 0xfffe
	s_or_b32 exec_lo, exec_lo, s15
	v_lshlrev_b32_e32 v0, 8, v132
	v_lshl_add_u32 v132, v133, 10, 0x2000
	v_lshlrev_b32_e32 v131, 23, v131
	s_delay_alu instid0(VALU_DEP_2) | instskip(NEXT) | instid1(VALU_DEP_1)
	v_and_or_b32 v0, 0x8000, v0, v132
	v_lshl_or_b32 v131, v0, 16, v131
.LBB303_1765:                           ;   in Loop: Header=BB303_927 Depth=1
	s_wait_alu 0xfffe
	s_or_b32 exec_lo, exec_lo, s14
.LBB303_1766:                           ;   in Loop: Header=BB303_927 Depth=1
	s_wait_alu 0xfffe
	s_or_b32 exec_lo, exec_lo, s13
.LBB303_1767:                           ;   in Loop: Header=BB303_927 Depth=1
	s_wait_alu 0xfffe
	s_or_b32 exec_lo, exec_lo, s12
	v_lshrrev_b32_e32 v0, 16, v11
	s_mov_b32 s12, exec_lo
	s_delay_alu instid0(VALU_DEP_1) | instskip(NEXT) | instid1(VALU_DEP_1)
	v_and_b32_e32 v132, 0xff, v0
	v_cmpx_ne_u16_e64 0, v132
	s_cbranch_execz .LBB303_1775
; %bb.1768:                             ;   in Loop: Header=BB303_927 Depth=1
	v_mov_b32_e32 v129, 0x8000
	s_mov_b32 s13, exec_lo
	v_cmpx_ne_u16_e64 0x80, v132
	s_cbranch_execz .LBB303_1774
; %bb.1769:                             ;   in Loop: Header=BB303_927 Depth=1
	v_bfe_u32 v133, v11, 16, 7
	v_mov_b32_e32 v129, 0x7c01
	s_mov_b32 s14, exec_lo
	s_delay_alu instid0(VALU_DEP_2)
	v_cmpx_ne_u32_e32 0x7f, v133
	s_cbranch_execz .LBB303_1773
; %bb.1770:                             ;   in Loop: Header=BB303_927 Depth=1
	v_and_b32_e32 v129, 7, v0
	v_lshrrev_b32_e32 v132, 3, v133
	s_mov_b32 s15, exec_lo
	v_cmpx_gt_u32_e32 8, v133
; %bb.1771:                             ;   in Loop: Header=BB303_927 Depth=1
	s_delay_alu instid0(VALU_DEP_3) | instskip(NEXT) | instid1(VALU_DEP_1)
	v_clz_i32_u32_e32 v129, v129
	v_min_u32_e32 v129, 32, v129
	s_delay_alu instid0(VALU_DEP_1) | instskip(NEXT) | instid1(VALU_DEP_1)
	v_subrev_nc_u32_e32 v132, 28, v129
	v_lshlrev_b64_e32 v[133:134], v132, v[0:1]
	v_sub_nc_u32_e32 v132, 29, v129
	s_delay_alu instid0(VALU_DEP_2)
	v_and_b32_e32 v129, 7, v133
; %bb.1772:                             ;   in Loop: Header=BB303_927 Depth=1
	s_wait_alu 0xfffe
	s_or_b32 exec_lo, exec_lo, s15
	v_lshlrev_b32_e32 v0, 8, v0
	v_lshl_add_u32 v132, v132, 10, 0x2000
	v_lshlrev_b32_e32 v129, 7, v129
	s_delay_alu instid0(VALU_DEP_3) | instskip(NEXT) | instid1(VALU_DEP_3)
	v_and_b32_e32 v0, 0x8000, v0
	v_and_b32_e32 v132, 0xfc00, v132
	s_delay_alu instid0(VALU_DEP_1)
	v_or3_b32 v129, v0, v132, v129
.LBB303_1773:                           ;   in Loop: Header=BB303_927 Depth=1
	s_wait_alu 0xfffe
	s_or_b32 exec_lo, exec_lo, s14
.LBB303_1774:                           ;   in Loop: Header=BB303_927 Depth=1
	s_wait_alu 0xfffe
	s_or_b32 exec_lo, exec_lo, s13
.LBB303_1775:                           ;   in Loop: Header=BB303_927 Depth=1
	s_wait_alu 0xfffe
	s_or_b32 exec_lo, exec_lo, s12
	v_cmp_lt_u64_e64 s0, s[8:9], v[10:11]
	v_mov_b32_e32 v10, 0
	s_and_saveexec_b32 s12, s0
	s_cbranch_execz .LBB303_1783
; %bb.1776:                             ;   in Loop: Header=BB303_927 Depth=1
	v_lshrrev_b32_e32 v0, 24, v11
	v_bfrev_b32_e32 v10, 1
	s_mov_b32 s13, exec_lo
	s_delay_alu instid0(VALU_DEP_2)
	v_cmpx_ne_u32_e32 0x80, v0
	s_cbranch_execz .LBB303_1782
; %bb.1777:                             ;   in Loop: Header=BB303_927 Depth=1
	v_and_b32_e32 v132, 0x7f, v0
	v_mov_b32_e32 v10, 0x7c010000
	s_mov_b32 s14, exec_lo
	s_delay_alu instid0(VALU_DEP_2)
	v_cmpx_ne_u32_e32 0x7f, v132
	s_cbranch_execz .LBB303_1781
; %bb.1778:                             ;   in Loop: Header=BB303_927 Depth=1
	v_and_b32_e32 v10, 7, v0
	v_lshrrev_b32_e32 v11, 3, v132
	s_mov_b32 s15, exec_lo
	v_cmpx_gt_u32_e32 8, v132
; %bb.1779:                             ;   in Loop: Header=BB303_927 Depth=1
	s_delay_alu instid0(VALU_DEP_3) | instskip(NEXT) | instid1(VALU_DEP_1)
	v_clz_i32_u32_e32 v10, v10
	v_min_u32_e32 v132, 32, v10
	s_delay_alu instid0(VALU_DEP_1) | instskip(NEXT) | instid1(VALU_DEP_1)
	v_subrev_nc_u32_e32 v10, 28, v132
	v_lshlrev_b64_e32 v[10:11], v10, v[0:1]
	v_sub_nc_u32_e32 v11, 29, v132
	s_delay_alu instid0(VALU_DEP_2)
	v_and_b32_e32 v10, 7, v10
; %bb.1780:                             ;   in Loop: Header=BB303_927 Depth=1
	s_wait_alu 0xfffe
	s_or_b32 exec_lo, exec_lo, s15
	v_lshlrev_b32_e32 v0, 8, v0
	v_lshl_add_u32 v11, v11, 10, 0x2000
	v_lshlrev_b32_e32 v10, 23, v10
	s_delay_alu instid0(VALU_DEP_2) | instskip(NEXT) | instid1(VALU_DEP_1)
	v_and_or_b32 v0, 0x8000, v0, v11
	v_lshl_or_b32 v10, v0, 16, v10
.LBB303_1781:                           ;   in Loop: Header=BB303_927 Depth=1
	s_wait_alu 0xfffe
	s_or_b32 exec_lo, exec_lo, s14
.LBB303_1782:                           ;   in Loop: Header=BB303_927 Depth=1
	s_wait_alu 0xfffe
	s_or_b32 exec_lo, exec_lo, s13
.LBB303_1783:                           ;   in Loop: Header=BB303_927 Depth=1
	s_wait_alu 0xfffe
	s_or_b32 exec_lo, exec_lo, s12
	v_or_b32_e32 v0, v119, v128
	s_wait_loadcnt_dscnt 0x0
	v_fma_mixlo_f16 v11, v116, v119, 0 op_sel:[0,1,0] op_sel_hi:[0,1,0]
	v_or_b32_e32 v119, v117, v118
	v_fma_mixlo_f16 v117, v116, v117, 0 op_sel:[0,1,0] op_sel_hi:[0,1,0]
	v_or_b32_e32 v128, v131, v130
	v_or_b32_e32 v129, v10, v129
	v_fma_mixlo_f16 v130, v116, v0, 0 op_sel_hi:[0,1,0]
	v_fma_mixlo_f16 v10, v116, v10, 0 op_sel:[0,1,0] op_sel_hi:[0,1,0]
	v_lshlrev_b32_e32 v118, 16, v117
	v_fma_mixlo_f16 v117, v116, v119, 0 op_sel_hi:[0,1,0]
	v_fma_mixlo_f16 v119, v116, v131, 0 op_sel:[0,1,0] op_sel_hi:[0,1,0]
	v_fma_mixlo_f16 v128, v116, v128, 0 op_sel_hi:[0,1,0]
	v_fma_mixlo_f16 v129, v116, v129, 0 op_sel_hi:[0,1,0]
	v_lshlrev_b32_e32 v0, 16, v11
	v_and_b32_e32 v11, 0xffff, v130
	v_and_b32_e32 v132, 0xffff, v117
	v_lshlrev_b32_e32 v116, 16, v119
	v_and_b32_e32 v128, 0xffff, v128
	v_lshlrev_b32_e32 v10, 16, v10
	v_and_b32_e32 v117, 0xffff, v129
	v_or_b32_e32 v119, v0, v11
	v_or_b32_e32 v131, v118, v132
	;; [unrolled: 1-line block ×3, first 2 shown]
	s_delay_alu instid0(VALU_DEP_4)
	v_or_b32_e32 v129, v10, v117
	s_and_saveexec_b32 s12, vcc_lo
	s_cbranch_execz .LBB303_1785
; %bb.1784:                             ;   in Loop: Header=BB303_927 Depth=1
	v_cmp_lt_i32_e64 s0, v35, v30
	s_wait_alu 0xf1ff
	s_delay_alu instid0(VALU_DEP_1) | instskip(SKIP_2) | instid1(VALU_DEP_1)
	v_cndmask_b32_e64 v119, 0, v132, s0
	v_cmp_lt_i32_e64 s0, v69, v30
	s_wait_alu 0xf1ff
	v_cndmask_b32_e64 v118, 0, v118, s0
	v_cmp_lt_i32_e64 s0, v68, v30
	s_delay_alu instid0(VALU_DEP_2) | instskip(SKIP_1) | instid1(VALU_DEP_2)
	v_or_b32_e32 v131, v119, v118
	s_wait_alu 0xf1ff
	v_cndmask_b32_e64 v11, 0, v11, s0
	v_cmp_lt_i32_e64 s0, v67, v30
	s_wait_alu 0xf1ff
	s_delay_alu instid0(VALU_DEP_1) | instskip(SKIP_1) | instid1(VALU_DEP_2)
	v_cndmask_b32_e64 v0, 0, v0, s0
	v_cmp_lt_i32_e64 s0, v66, v30
	v_or_b32_e32 v119, v11, v0
	s_wait_alu 0xf1ff
	s_delay_alu instid0(VALU_DEP_2) | instskip(SKIP_2) | instid1(VALU_DEP_1)
	v_cndmask_b32_e64 v128, 0, v128, s0
	v_cmp_lt_i32_e64 s0, v65, v30
	s_wait_alu 0xf1ff
	v_cndmask_b32_e64 v116, 0, v116, s0
	v_cmp_lt_i32_e64 s0, v64, v30
	s_delay_alu instid0(VALU_DEP_2) | instskip(SKIP_1) | instid1(VALU_DEP_2)
	v_or_b32_e32 v130, v128, v116
	s_wait_alu 0xf1ff
	v_cndmask_b32_e64 v117, 0, v117, s0
	v_cmp_lt_i32_e64 s0, v14, v30
	s_wait_alu 0xf1ff
	s_delay_alu instid0(VALU_DEP_1) | instskip(NEXT) | instid1(VALU_DEP_1)
	v_cndmask_b32_e64 v10, 0, v10, s0
	v_or_b32_e32 v129, v117, v10
.LBB303_1785:                           ;   in Loop: Header=BB303_927 Depth=1
	s_wait_alu 0xfffe
	s_or_b32 exec_lo, exec_lo, s12
	;;#ASMSTART
	v_pk_mul_f16 v0, v54, v131;

	;;#ASMEND
	;;#ASMSTART
	v_pk_mul_f16 v10, v52, v119;

	;;#ASMEND
	;; [unrolled: 4-line block ×4, first 2 shown]
	;;#ASMSTART
	v_pk_add_f16 v0, v0, v10;

	;;#ASMEND
	;;#ASMSTART
	v_pk_add_f16 v0, v0, v11;

	;;#ASMEND
	;; [unrolled: 4-line block ×3, first 2 shown]
	v_dual_mov_b32 v117, 0 :: v_dual_and_b32 v10, 0xffff, v0
	v_lshrrev_b32_e32 v0, 16, v0
	;;#ASMSTART
	v_cvt_f32_f16 v10, v10;
	;;#ASMEND
	;;#ASMSTART
	v_cvt_f32_f16 v11, v0;
	;;#ASMEND
	flat_load_b64 v[8:9], v[8:9] offset:3328
	flat_load_b32 v116, v[26:27]
	v_mov_b32_e32 v118, 0
	s_mov_b32 s12, exec_lo
	s_wait_loadcnt_dscnt 0x101
	v_and_b32_e32 v0, 0xff, v8
	s_delay_alu instid0(VALU_DEP_1)
	v_cmpx_ne_u16_e32 0, v0
	s_cbranch_execz .LBB303_1793
; %bb.1786:                             ;   in Loop: Header=BB303_927 Depth=1
	v_mov_b32_e32 v118, 0x8000
	s_mov_b32 s13, exec_lo
	v_cmpx_ne_u16_e32 0x80, v0
	s_cbranch_execz .LBB303_1792
; %bb.1787:                             ;   in Loop: Header=BB303_927 Depth=1
	v_and_b32_e32 v119, 0x7f, v8
	v_mov_b32_e32 v118, 0x7c01
	s_mov_b32 s14, exec_lo
	s_delay_alu instid0(VALU_DEP_2)
	v_cmpx_ne_u32_e32 0x7f, v119
	s_cbranch_execz .LBB303_1791
; %bb.1788:                             ;   in Loop: Header=BB303_927 Depth=1
	v_and_b32_e32 v0, 7, v8
	v_lshrrev_b32_e32 v118, 3, v119
	s_mov_b32 s15, exec_lo
	v_cmpx_gt_u32_e32 8, v119
; %bb.1789:                             ;   in Loop: Header=BB303_927 Depth=1
	s_delay_alu instid0(VALU_DEP_3) | instskip(NEXT) | instid1(VALU_DEP_1)
	v_clz_i32_u32_e32 v0, v0
	v_min_u32_e32 v0, 32, v0
	s_delay_alu instid0(VALU_DEP_1) | instskip(NEXT) | instid1(VALU_DEP_1)
	v_subrev_nc_u32_e32 v118, 28, v0
	v_lshlrev_b64_e32 v[128:129], v118, v[8:9]
	v_sub_nc_u32_e32 v118, 29, v0
	s_delay_alu instid0(VALU_DEP_2)
	v_and_b32_e32 v0, 7, v128
; %bb.1790:                             ;   in Loop: Header=BB303_927 Depth=1
	s_wait_alu 0xfffe
	s_or_b32 exec_lo, exec_lo, s15
	v_lshlrev_b32_e32 v119, 8, v8
	v_lshl_add_u32 v118, v118, 10, 0x2000
	v_lshlrev_b32_e32 v0, 7, v0
	s_delay_alu instid0(VALU_DEP_3) | instskip(NEXT) | instid1(VALU_DEP_3)
	v_and_b32_e32 v119, 0x8000, v119
	v_and_b32_e32 v118, 0xfc00, v118
	s_delay_alu instid0(VALU_DEP_1)
	v_or3_b32 v118, v119, v118, v0
.LBB303_1791:                           ;   in Loop: Header=BB303_927 Depth=1
	s_wait_alu 0xfffe
	s_or_b32 exec_lo, exec_lo, s14
.LBB303_1792:                           ;   in Loop: Header=BB303_927 Depth=1
	s_wait_alu 0xfffe
	s_or_b32 exec_lo, exec_lo, s13
.LBB303_1793:                           ;   in Loop: Header=BB303_927 Depth=1
	s_wait_alu 0xfffe
	s_or_b32 exec_lo, exec_lo, s12
	v_lshrrev_b16 v0, 8, v8
	s_mov_b32 s12, exec_lo
	s_delay_alu instid0(VALU_DEP_1)
	v_cmpx_ne_u16_e32 0, v0
	s_cbranch_execz .LBB303_1801
; %bb.1794:                             ;   in Loop: Header=BB303_927 Depth=1
	v_bfrev_b32_e32 v117, 1
	s_mov_b32 s13, exec_lo
	v_cmpx_ne_u16_e32 0x80, v0
	s_cbranch_execz .LBB303_1800
; %bb.1795:                             ;   in Loop: Header=BB303_927 Depth=1
	v_and_b32_e32 v119, 0xffff, v0
	v_mov_b32_e32 v117, 0x7c010000
	s_mov_b32 s14, exec_lo
	s_delay_alu instid0(VALU_DEP_2) | instskip(NEXT) | instid1(VALU_DEP_1)
	v_and_b32_e32 v129, 0x7f, v119
	v_cmpx_ne_u32_e32 0x7f, v129
	s_cbranch_execz .LBB303_1799
; %bb.1796:                             ;   in Loop: Header=BB303_927 Depth=1
	v_and_b32_e32 v117, 7, v119
	v_lshrrev_b32_e32 v128, 3, v129
	s_mov_b32 s15, exec_lo
	v_cmpx_gt_u32_e32 8, v129
; %bb.1797:                             ;   in Loop: Header=BB303_927 Depth=1
	s_delay_alu instid0(VALU_DEP_3) | instskip(NEXT) | instid1(VALU_DEP_1)
	v_clz_i32_u32_e32 v117, v117
	v_min_u32_e32 v117, 32, v117
	s_delay_alu instid0(VALU_DEP_1) | instskip(NEXT) | instid1(VALU_DEP_1)
	v_subrev_nc_u32_e32 v128, 28, v117
	v_lshlrev_b64_e32 v[129:130], v128, v[0:1]
	v_sub_nc_u32_e32 v128, 29, v117
	s_delay_alu instid0(VALU_DEP_2)
	v_and_b32_e32 v117, 7, v129
; %bb.1798:                             ;   in Loop: Header=BB303_927 Depth=1
	s_wait_alu 0xfffe
	s_or_b32 exec_lo, exec_lo, s15
	v_lshlrev_b32_e32 v0, 8, v119
	v_lshl_add_u32 v119, v128, 10, 0x2000
	v_lshlrev_b32_e32 v117, 23, v117
	s_delay_alu instid0(VALU_DEP_2) | instskip(NEXT) | instid1(VALU_DEP_1)
	v_and_or_b32 v0, 0x8000, v0, v119
	v_lshl_or_b32 v117, v0, 16, v117
.LBB303_1799:                           ;   in Loop: Header=BB303_927 Depth=1
	s_wait_alu 0xfffe
	s_or_b32 exec_lo, exec_lo, s14
.LBB303_1800:                           ;   in Loop: Header=BB303_927 Depth=1
	s_wait_alu 0xfffe
	s_or_b32 exec_lo, exec_lo, s13
.LBB303_1801:                           ;   in Loop: Header=BB303_927 Depth=1
	s_wait_alu 0xfffe
	s_or_b32 exec_lo, exec_lo, s12
	v_lshrrev_b32_e32 v0, 16, v8
	v_mov_b32_e32 v119, 0
	s_mov_b32 s12, exec_lo
	s_delay_alu instid0(VALU_DEP_2) | instskip(NEXT) | instid1(VALU_DEP_1)
	v_dual_mov_b32 v128, 0 :: v_dual_and_b32 v129, 0xff, v0
	v_cmpx_ne_u16_e64 0, v129
	s_cbranch_execz .LBB303_1809
; %bb.1802:                             ;   in Loop: Header=BB303_927 Depth=1
	v_mov_b32_e32 v128, 0x8000
	s_mov_b32 s13, exec_lo
	v_cmpx_ne_u16_e64 0x80, v129
	s_cbranch_execz .LBB303_1808
; %bb.1803:                             ;   in Loop: Header=BB303_927 Depth=1
	v_bfe_u32 v130, v8, 16, 7
	v_mov_b32_e32 v128, 0x7c01
	s_mov_b32 s14, exec_lo
	s_delay_alu instid0(VALU_DEP_2)
	v_cmpx_ne_u32_e32 0x7f, v130
	s_cbranch_execz .LBB303_1807
; %bb.1804:                             ;   in Loop: Header=BB303_927 Depth=1
	v_and_b32_e32 v128, 7, v0
	v_lshrrev_b32_e32 v129, 3, v130
	s_mov_b32 s15, exec_lo
	v_cmpx_gt_u32_e32 8, v130
; %bb.1805:                             ;   in Loop: Header=BB303_927 Depth=1
	s_delay_alu instid0(VALU_DEP_3) | instskip(NEXT) | instid1(VALU_DEP_1)
	v_clz_i32_u32_e32 v128, v128
	v_min_u32_e32 v130, 32, v128
	s_delay_alu instid0(VALU_DEP_1) | instskip(NEXT) | instid1(VALU_DEP_1)
	v_subrev_nc_u32_e32 v128, 28, v130
	v_lshlrev_b64_e32 v[128:129], v128, v[0:1]
	v_sub_nc_u32_e32 v129, 29, v130
	s_delay_alu instid0(VALU_DEP_2)
	v_and_b32_e32 v128, 7, v128
; %bb.1806:                             ;   in Loop: Header=BB303_927 Depth=1
	s_wait_alu 0xfffe
	s_or_b32 exec_lo, exec_lo, s15
	v_lshlrev_b32_e32 v0, 8, v0
	v_lshl_add_u32 v129, v129, 10, 0x2000
	v_lshlrev_b32_e32 v128, 7, v128
	s_delay_alu instid0(VALU_DEP_3) | instskip(NEXT) | instid1(VALU_DEP_3)
	v_and_b32_e32 v0, 0x8000, v0
	v_and_b32_e32 v129, 0xfc00, v129
	s_delay_alu instid0(VALU_DEP_1)
	v_or3_b32 v128, v0, v129, v128
.LBB303_1807:                           ;   in Loop: Header=BB303_927 Depth=1
	s_wait_alu 0xfffe
	s_or_b32 exec_lo, exec_lo, s14
.LBB303_1808:                           ;   in Loop: Header=BB303_927 Depth=1
	s_wait_alu 0xfffe
	s_or_b32 exec_lo, exec_lo, s13
.LBB303_1809:                           ;   in Loop: Header=BB303_927 Depth=1
	s_wait_alu 0xfffe
	s_or_b32 exec_lo, exec_lo, s12
	s_delay_alu instid0(SALU_CYCLE_1)
	s_mov_b32 s12, exec_lo
	v_cmpx_lt_u32_e32 0xffffff, v8
	s_cbranch_execz .LBB303_1817
; %bb.1810:                             ;   in Loop: Header=BB303_927 Depth=1
	v_lshrrev_b32_e32 v0, 24, v8
	v_bfrev_b32_e32 v119, 1
	s_mov_b32 s13, exec_lo
	s_delay_alu instid0(VALU_DEP_2)
	v_cmpx_ne_u32_e32 0x80, v0
	s_cbranch_execz .LBB303_1816
; %bb.1811:                             ;   in Loop: Header=BB303_927 Depth=1
	v_and_b32_e32 v130, 0x7f, v0
	v_mov_b32_e32 v119, 0x7c010000
	s_mov_b32 s14, exec_lo
	s_delay_alu instid0(VALU_DEP_2)
	v_cmpx_ne_u32_e32 0x7f, v130
	s_cbranch_execz .LBB303_1815
; %bb.1812:                             ;   in Loop: Header=BB303_927 Depth=1
	v_and_b32_e32 v119, 7, v0
	v_lshrrev_b32_e32 v129, 3, v130
	s_mov_b32 s15, exec_lo
	v_cmpx_gt_u32_e32 8, v130
; %bb.1813:                             ;   in Loop: Header=BB303_927 Depth=1
	s_delay_alu instid0(VALU_DEP_3) | instskip(NEXT) | instid1(VALU_DEP_1)
	v_clz_i32_u32_e32 v119, v119
	v_min_u32_e32 v119, 32, v119
	s_delay_alu instid0(VALU_DEP_1) | instskip(NEXT) | instid1(VALU_DEP_1)
	v_subrev_nc_u32_e32 v129, 28, v119
	v_lshlrev_b64_e32 v[130:131], v129, v[0:1]
	v_sub_nc_u32_e32 v129, 29, v119
	s_delay_alu instid0(VALU_DEP_2)
	v_and_b32_e32 v119, 7, v130
; %bb.1814:                             ;   in Loop: Header=BB303_927 Depth=1
	s_wait_alu 0xfffe
	s_or_b32 exec_lo, exec_lo, s15
	v_lshlrev_b32_e32 v0, 8, v0
	v_lshl_add_u32 v129, v129, 10, 0x2000
	v_lshlrev_b32_e32 v119, 23, v119
	s_delay_alu instid0(VALU_DEP_2) | instskip(NEXT) | instid1(VALU_DEP_1)
	v_and_or_b32 v0, 0x8000, v0, v129
	v_lshl_or_b32 v119, v0, 16, v119
.LBB303_1815:                           ;   in Loop: Header=BB303_927 Depth=1
	s_wait_alu 0xfffe
	s_or_b32 exec_lo, exec_lo, s14
.LBB303_1816:                           ;   in Loop: Header=BB303_927 Depth=1
	s_wait_alu 0xfffe
	s_or_b32 exec_lo, exec_lo, s13
.LBB303_1817:                           ;   in Loop: Header=BB303_927 Depth=1
	s_wait_alu 0xfffe
	s_or_b32 exec_lo, exec_lo, s12
	v_dual_mov_b32 v0, v9 :: v_dual_and_b32 v131, 0xff, v9
	v_dual_mov_b32 v129, 0 :: v_dual_mov_b32 v130, 0
	s_mov_b32 s12, exec_lo
	s_delay_alu instid0(VALU_DEP_2)
	v_cmpx_ne_u16_e64 0, v131
	s_cbranch_execz .LBB303_1825
; %bb.1818:                             ;   in Loop: Header=BB303_927 Depth=1
	v_mov_b32_e32 v130, 0x8000
	s_mov_b32 s13, exec_lo
	v_cmpx_ne_u16_e64 0x80, v131
	s_cbranch_execz .LBB303_1824
; %bb.1819:                             ;   in Loop: Header=BB303_927 Depth=1
	v_and_b32_e32 v132, 0x7f, v9
	v_mov_b32_e32 v130, 0x7c01
	s_mov_b32 s14, exec_lo
	s_delay_alu instid0(VALU_DEP_2)
	v_cmpx_ne_u32_e32 0x7f, v132
	s_cbranch_execz .LBB303_1823
; %bb.1820:                             ;   in Loop: Header=BB303_927 Depth=1
	v_and_b32_e32 v130, 7, v9
	v_lshrrev_b32_e32 v131, 3, v132
	s_mov_b32 s15, exec_lo
	v_cmpx_gt_u32_e32 8, v132
; %bb.1821:                             ;   in Loop: Header=BB303_927 Depth=1
	s_delay_alu instid0(VALU_DEP_3) | instskip(NEXT) | instid1(VALU_DEP_1)
	v_clz_i32_u32_e32 v130, v130
	v_min_u32_e32 v132, 32, v130
	s_delay_alu instid0(VALU_DEP_1) | instskip(NEXT) | instid1(VALU_DEP_1)
	v_subrev_nc_u32_e32 v130, 28, v132
	v_lshlrev_b64_e32 v[130:131], v130, v[0:1]
	v_sub_nc_u32_e32 v131, 29, v132
	s_delay_alu instid0(VALU_DEP_2)
	v_and_b32_e32 v130, 7, v130
; %bb.1822:                             ;   in Loop: Header=BB303_927 Depth=1
	s_wait_alu 0xfffe
	s_or_b32 exec_lo, exec_lo, s15
	v_lshlrev_b32_e32 v132, 8, v9
	v_lshl_add_u32 v131, v131, 10, 0x2000
	v_lshlrev_b32_e32 v130, 7, v130
	s_delay_alu instid0(VALU_DEP_3) | instskip(NEXT) | instid1(VALU_DEP_3)
	v_and_b32_e32 v132, 0x8000, v132
	v_and_b32_e32 v131, 0xfc00, v131
	s_delay_alu instid0(VALU_DEP_1)
	v_or3_b32 v130, v132, v131, v130
.LBB303_1823:                           ;   in Loop: Header=BB303_927 Depth=1
	s_wait_alu 0xfffe
	s_or_b32 exec_lo, exec_lo, s14
.LBB303_1824:                           ;   in Loop: Header=BB303_927 Depth=1
	s_wait_alu 0xfffe
	s_or_b32 exec_lo, exec_lo, s13
.LBB303_1825:                           ;   in Loop: Header=BB303_927 Depth=1
	s_wait_alu 0xfffe
	s_or_b32 exec_lo, exec_lo, s12
	v_lshrrev_b16 v0, 8, v0
	v_mov_b32_e32 v131, 0
	s_mov_b32 s12, exec_lo
	s_delay_alu instid0(VALU_DEP_2)
	v_cmpx_ne_u16_e32 0, v0
	s_cbranch_execz .LBB303_1833
; %bb.1826:                             ;   in Loop: Header=BB303_927 Depth=1
	v_bfrev_b32_e32 v131, 1
	s_mov_b32 s13, exec_lo
	v_cmpx_ne_u16_e32 0x80, v0
	s_cbranch_execz .LBB303_1832
; %bb.1827:                             ;   in Loop: Header=BB303_927 Depth=1
	v_and_b32_e32 v132, 0xffff, v0
	v_mov_b32_e32 v131, 0x7c010000
	s_mov_b32 s14, exec_lo
	s_delay_alu instid0(VALU_DEP_2) | instskip(NEXT) | instid1(VALU_DEP_1)
	v_and_b32_e32 v134, 0x7f, v132
	v_cmpx_ne_u32_e32 0x7f, v134
	s_cbranch_execz .LBB303_1831
; %bb.1828:                             ;   in Loop: Header=BB303_927 Depth=1
	v_and_b32_e32 v131, 7, v132
	v_lshrrev_b32_e32 v133, 3, v134
	s_mov_b32 s15, exec_lo
	v_cmpx_gt_u32_e32 8, v134
; %bb.1829:                             ;   in Loop: Header=BB303_927 Depth=1
	s_delay_alu instid0(VALU_DEP_3) | instskip(NEXT) | instid1(VALU_DEP_1)
	v_clz_i32_u32_e32 v131, v131
	v_min_u32_e32 v131, 32, v131
	s_delay_alu instid0(VALU_DEP_1) | instskip(NEXT) | instid1(VALU_DEP_1)
	v_subrev_nc_u32_e32 v133, 28, v131
	v_lshlrev_b64_e32 v[134:135], v133, v[0:1]
	v_sub_nc_u32_e32 v133, 29, v131
	s_delay_alu instid0(VALU_DEP_2)
	v_and_b32_e32 v131, 7, v134
; %bb.1830:                             ;   in Loop: Header=BB303_927 Depth=1
	s_wait_alu 0xfffe
	s_or_b32 exec_lo, exec_lo, s15
	v_lshlrev_b32_e32 v0, 8, v132
	v_lshl_add_u32 v132, v133, 10, 0x2000
	v_lshlrev_b32_e32 v131, 23, v131
	s_delay_alu instid0(VALU_DEP_2) | instskip(NEXT) | instid1(VALU_DEP_1)
	v_and_or_b32 v0, 0x8000, v0, v132
	v_lshl_or_b32 v131, v0, 16, v131
.LBB303_1831:                           ;   in Loop: Header=BB303_927 Depth=1
	s_wait_alu 0xfffe
	s_or_b32 exec_lo, exec_lo, s14
.LBB303_1832:                           ;   in Loop: Header=BB303_927 Depth=1
	s_wait_alu 0xfffe
	s_or_b32 exec_lo, exec_lo, s13
.LBB303_1833:                           ;   in Loop: Header=BB303_927 Depth=1
	s_wait_alu 0xfffe
	s_or_b32 exec_lo, exec_lo, s12
	v_lshrrev_b32_e32 v0, 16, v9
	s_mov_b32 s12, exec_lo
	s_delay_alu instid0(VALU_DEP_1) | instskip(NEXT) | instid1(VALU_DEP_1)
	v_and_b32_e32 v132, 0xff, v0
	v_cmpx_ne_u16_e64 0, v132
	s_cbranch_execz .LBB303_1841
; %bb.1834:                             ;   in Loop: Header=BB303_927 Depth=1
	v_mov_b32_e32 v129, 0x8000
	s_mov_b32 s13, exec_lo
	v_cmpx_ne_u16_e64 0x80, v132
	s_cbranch_execz .LBB303_1840
; %bb.1835:                             ;   in Loop: Header=BB303_927 Depth=1
	v_bfe_u32 v133, v9, 16, 7
	v_mov_b32_e32 v129, 0x7c01
	s_mov_b32 s14, exec_lo
	s_delay_alu instid0(VALU_DEP_2)
	v_cmpx_ne_u32_e32 0x7f, v133
	s_cbranch_execz .LBB303_1839
; %bb.1836:                             ;   in Loop: Header=BB303_927 Depth=1
	v_and_b32_e32 v129, 7, v0
	v_lshrrev_b32_e32 v132, 3, v133
	s_mov_b32 s15, exec_lo
	v_cmpx_gt_u32_e32 8, v133
; %bb.1837:                             ;   in Loop: Header=BB303_927 Depth=1
	s_delay_alu instid0(VALU_DEP_3) | instskip(NEXT) | instid1(VALU_DEP_1)
	v_clz_i32_u32_e32 v129, v129
	v_min_u32_e32 v129, 32, v129
	s_delay_alu instid0(VALU_DEP_1) | instskip(NEXT) | instid1(VALU_DEP_1)
	v_subrev_nc_u32_e32 v132, 28, v129
	v_lshlrev_b64_e32 v[133:134], v132, v[0:1]
	v_sub_nc_u32_e32 v132, 29, v129
	s_delay_alu instid0(VALU_DEP_2)
	v_and_b32_e32 v129, 7, v133
; %bb.1838:                             ;   in Loop: Header=BB303_927 Depth=1
	s_wait_alu 0xfffe
	s_or_b32 exec_lo, exec_lo, s15
	v_lshlrev_b32_e32 v0, 8, v0
	v_lshl_add_u32 v132, v132, 10, 0x2000
	v_lshlrev_b32_e32 v129, 7, v129
	s_delay_alu instid0(VALU_DEP_3) | instskip(NEXT) | instid1(VALU_DEP_3)
	v_and_b32_e32 v0, 0x8000, v0
	v_and_b32_e32 v132, 0xfc00, v132
	s_delay_alu instid0(VALU_DEP_1)
	v_or3_b32 v129, v0, v132, v129
.LBB303_1839:                           ;   in Loop: Header=BB303_927 Depth=1
	s_wait_alu 0xfffe
	s_or_b32 exec_lo, exec_lo, s14
.LBB303_1840:                           ;   in Loop: Header=BB303_927 Depth=1
	s_wait_alu 0xfffe
	s_or_b32 exec_lo, exec_lo, s13
.LBB303_1841:                           ;   in Loop: Header=BB303_927 Depth=1
	s_wait_alu 0xfffe
	s_or_b32 exec_lo, exec_lo, s12
	v_cmp_lt_u64_e64 s0, s[8:9], v[8:9]
	v_mov_b32_e32 v8, 0
	s_and_saveexec_b32 s12, s0
	s_cbranch_execz .LBB303_1849
; %bb.1842:                             ;   in Loop: Header=BB303_927 Depth=1
	v_lshrrev_b32_e32 v0, 24, v9
	v_bfrev_b32_e32 v8, 1
	s_mov_b32 s13, exec_lo
	s_delay_alu instid0(VALU_DEP_2)
	v_cmpx_ne_u32_e32 0x80, v0
	s_cbranch_execz .LBB303_1848
; %bb.1843:                             ;   in Loop: Header=BB303_927 Depth=1
	v_and_b32_e32 v132, 0x7f, v0
	v_mov_b32_e32 v8, 0x7c010000
	s_mov_b32 s14, exec_lo
	s_delay_alu instid0(VALU_DEP_2)
	v_cmpx_ne_u32_e32 0x7f, v132
	s_cbranch_execz .LBB303_1847
; %bb.1844:                             ;   in Loop: Header=BB303_927 Depth=1
	v_and_b32_e32 v8, 7, v0
	v_lshrrev_b32_e32 v9, 3, v132
	s_mov_b32 s15, exec_lo
	v_cmpx_gt_u32_e32 8, v132
; %bb.1845:                             ;   in Loop: Header=BB303_927 Depth=1
	s_delay_alu instid0(VALU_DEP_3) | instskip(NEXT) | instid1(VALU_DEP_1)
	v_clz_i32_u32_e32 v8, v8
	v_min_u32_e32 v132, 32, v8
	s_delay_alu instid0(VALU_DEP_1) | instskip(NEXT) | instid1(VALU_DEP_1)
	v_subrev_nc_u32_e32 v8, 28, v132
	v_lshlrev_b64_e32 v[8:9], v8, v[0:1]
	v_sub_nc_u32_e32 v9, 29, v132
	s_delay_alu instid0(VALU_DEP_2)
	v_and_b32_e32 v8, 7, v8
; %bb.1846:                             ;   in Loop: Header=BB303_927 Depth=1
	s_wait_alu 0xfffe
	s_or_b32 exec_lo, exec_lo, s15
	v_lshlrev_b32_e32 v0, 8, v0
	v_lshl_add_u32 v9, v9, 10, 0x2000
	v_lshlrev_b32_e32 v8, 23, v8
	s_delay_alu instid0(VALU_DEP_2) | instskip(NEXT) | instid1(VALU_DEP_1)
	v_and_or_b32 v0, 0x8000, v0, v9
	v_lshl_or_b32 v8, v0, 16, v8
.LBB303_1847:                           ;   in Loop: Header=BB303_927 Depth=1
	s_wait_alu 0xfffe
	s_or_b32 exec_lo, exec_lo, s14
.LBB303_1848:                           ;   in Loop: Header=BB303_927 Depth=1
	s_wait_alu 0xfffe
	s_or_b32 exec_lo, exec_lo, s13
.LBB303_1849:                           ;   in Loop: Header=BB303_927 Depth=1
	s_wait_alu 0xfffe
	s_or_b32 exec_lo, exec_lo, s12
	v_or_b32_e32 v0, v119, v128
	s_wait_loadcnt_dscnt 0x0
	v_fma_mixlo_f16 v9, v116, v119, 0 op_sel:[0,1,0] op_sel_hi:[0,1,0]
	v_or_b32_e32 v118, v117, v118
	v_fma_mixlo_f16 v119, v116, v117, 0 op_sel:[0,1,0] op_sel_hi:[0,1,0]
	v_or_b32_e32 v128, v131, v130
	v_fma_mixlo_f16 v0, v116, v0, 0 op_sel_hi:[0,1,0]
	v_or_b32_e32 v129, v8, v129
	v_lshlrev_b32_e32 v117, 16, v9
	v_lshlrev_b32_e32 v130, 16, v119
	v_fma_mixlo_f16 v9, v116, v118, 0 op_sel_hi:[0,1,0]
	v_and_b32_e32 v119, 0xffff, v0
	v_fma_mixlo_f16 v0, v116, v131, 0 op_sel:[0,1,0] op_sel_hi:[0,1,0]
	v_fma_mixlo_f16 v118, v116, v128, 0 op_sel_hi:[0,1,0]
	v_fma_mixlo_f16 v8, v116, v8, 0 op_sel:[0,1,0] op_sel_hi:[0,1,0]
	v_fma_mixlo_f16 v116, v116, v129, 0 op_sel_hi:[0,1,0]
	v_and_b32_e32 v132, 0xffff, v9
	v_lshlrev_b32_e32 v128, 16, v0
	v_and_b32_e32 v131, 0xffff, v118
	v_lshlrev_b32_e32 v118, 16, v8
	v_and_b32_e32 v129, 0xffff, v116
	v_or_b32_e32 v0, v117, v119
	v_or_b32_e32 v116, v130, v132
	v_or_b32_e32 v9, v128, v131
	s_delay_alu instid0(VALU_DEP_4)
	v_or_b32_e32 v8, v118, v129
	s_and_saveexec_b32 s0, vcc_lo
	s_cbranch_execz .LBB303_926
; %bb.1850:                             ;   in Loop: Header=BB303_927 Depth=1
	v_cmp_lt_i32_e32 vcc_lo, v35, v30
	s_wait_alu 0xfffd
	v_cndmask_b32_e32 v0, 0, v132, vcc_lo
	v_cmp_lt_i32_e32 vcc_lo, v69, v30
	s_wait_alu 0xfffd
	v_cndmask_b32_e32 v8, 0, v130, vcc_lo
	;; [unrolled: 3-line block ×4, first 2 shown]
	v_cmp_lt_i32_e32 vcc_lo, v66, v30
	v_or_b32_e32 v116, v0, v8
	s_delay_alu instid0(VALU_DEP_3)
	v_or_b32_e32 v0, v9, v35
	s_wait_alu 0xfffd
	v_cndmask_b32_e32 v66, 0, v131, vcc_lo
	v_cmp_lt_i32_e32 vcc_lo, v65, v30
	s_wait_alu 0xfffd
	v_cndmask_b32_e32 v65, 0, v128, vcc_lo
	v_cmp_lt_i32_e32 vcc_lo, v64, v30
	s_delay_alu instid0(VALU_DEP_2)
	v_or_b32_e32 v9, v66, v65
	s_wait_alu 0xfffd
	v_cndmask_b32_e32 v64, 0, v129, vcc_lo
	v_cmp_lt_i32_e32 vcc_lo, v14, v30
	s_wait_alu 0xfffd
	v_cndmask_b32_e32 v67, 0, v118, vcc_lo
	s_delay_alu instid0(VALU_DEP_1)
	v_or_b32_e32 v8, v64, v67
	s_branch .LBB303_926
.LBB303_1851:
	s_or_b32 exec_lo, exec_lo, s5
	v_dual_mov_b32 v0, s6 :: v_dual_mov_b32 v1, s7
.LBB303_1852:
	s_or_b32 exec_lo, exec_lo, s3
	s_delay_alu instid0(VALU_DEP_1)
	v_lshlrev_b64_e32 v[0:1], 2, v[0:1]
	s_getpc_b64 s[6:7]
	s_wait_alu 0xfffe
	s_sext_i32_i16 s7, s7
	s_add_co_u32 s6, s6, llvm.amdgcn.dynlds.offset.table@rel32@lo+12
	s_wait_alu 0xfffe
	s_add_co_ci_u32 s7, s7, llvm.amdgcn.dynlds.offset.table@rel32@hi+24
	s_wait_storecnt 0x0
	s_wait_loadcnt_dscnt 0x0
	s_barrier_signal -1
	s_barrier_wait -1
	global_inv scope:SCOPE_SE
	v_add_co_u32 v0, vcc_lo, s6, v0
	s_wait_alu 0xfffc
	v_add_co_ci_u32_e64 v1, null, s7, v1, vcc_lo
	ds_bpermute_b32 v10, v16, v25
	ds_bpermute_b32 v2, v16, v50
	;; [unrolled: 1-line block ×3, first 2 shown]
	global_load_b32 v22, v[0:1], off
	ds_bpermute_b32 v0, v16, v48
	ds_bpermute_b32 v1, v16, v51
	;; [unrolled: 1-line block ×11, first 2 shown]
	s_mov_b32 s0, exec_lo
	s_wait_dscnt 0xd
	v_add_f32_e32 v25, v25, v10
	s_wait_dscnt 0xb
	v_dual_add_f32 v2, v50, v2 :: v_dual_add_f32 v3, v49, v3
	s_wait_dscnt 0x9
	v_dual_add_f32 v0, v48, v0 :: v_dual_add_f32 v1, v51, v1
	s_wait_dscnt 0x7
	v_dual_add_f32 v6, v39, v6 :: v_dual_add_f32 v7, v38, v7
	s_wait_dscnt 0x5
	v_dual_add_f32 v8, v29, v8 :: v_dual_add_f32 v27, v28, v9
	ds_bpermute_b32 v10, v13, v1
	s_wait_dscnt 0x4
	v_dual_add_f32 v24, v24, v11 :: v_dual_add_f32 v21, v21, v14
	s_wait_dscnt 0x3
	v_add_f32_e32 v28, v20, v15
	s_wait_dscnt 0x2
	v_add_f32_e32 v26, v19, v26
	;; [unrolled: 2-line block ×3, first 2 shown]
	ds_bpermute_b32 v9, v13, v0
	ds_bpermute_b32 v11, v13, v2
	;; [unrolled: 1-line block ×11, first 2 shown]
	v_lshrrev_b32_e32 v19, 2, v23
	v_and_b32_e32 v23, 28, v23
	ds_bpermute_b32 v39, v13, v26
	s_wait_dscnt 0xc
	v_add_f32_e32 v15, v1, v10
	ds_bpermute_b32 v48, v13, v18
	v_mul_u32_u24_e32 v20, 0x1c0, v31
	s_wait_dscnt 0xc
	v_dual_add_f32 v16, v0, v9 :: v_dual_and_b32 v31, 0x3c3, v12
	s_wait_dscnt 0xa
	v_dual_add_f32 v14, v2, v11 :: v_dual_add_f32 v13, v3, v29
	s_wait_dscnt 0x8
	v_dual_add_f32 v11, v6, v30 :: v_dual_add_f32 v10, v7, v32
	;; [unrolled: 2-line block ×5, first 2 shown]
	s_wait_dscnt 0x1
	v_add_f32_e32 v1, v26, v39
	s_wait_dscnt 0x0
	v_add_f32_e32 v0, v18, v48
	s_wait_loadcnt 0x0
	v_add_nc_u32_e32 v18, v22, v23
	v_cmpx_eq_u32_e32 64, v31
	s_cbranch_execz .LBB303_1854
; %bb.1853:
	s_delay_alu instid0(VALU_DEP_2) | instskip(NEXT) | instid1(VALU_DEP_1)
	v_add_nc_u32_e32 v21, v18, v20
	v_add_nc_u32_e32 v23, 0xfffffc80, v21
	;; [unrolled: 1-line block ×9, first 2 shown]
	ds_store_b32 v23, v16
	ds_store_b32 v24, v15
	;; [unrolled: 1-line block ×8, first 2 shown]
	v_add_nc_u32_e32 v23, 0xfffffd80, v21
	v_add_nc_u32_e32 v24, 0xfffffda0, v21
	;; [unrolled: 1-line block ×6, first 2 shown]
	ds_store_b32 v23, v7
	ds_store_b32 v24, v6
	ds_store_b32 v25, v3
	ds_store_b32 v26, v2
	ds_store_b32 v27, v1
	ds_store_b32 v21, v0
.LBB303_1854:
	s_wait_alu 0xfffe
	s_or_b32 exec_lo, exec_lo, s0
	v_lshlrev_b32_e32 v19, 2, v19
	v_cmp_eq_u32_e32 vcc_lo, 0, v17
	s_mov_b32 s3, exec_lo
	s_wait_dscnt 0x0
	s_barrier_signal -1
	v_add3_u32 v17, v22, v20, v19
	s_barrier_wait -1
	global_inv scope:SCOPE_SE
	v_cmpx_gt_u32_e32 64, v12
	s_cbranch_execz .LBB303_1871
; %bb.1855:
	s_and_saveexec_b32 s0, vcc_lo
	s_cbranch_execnz .LBB303_1893
; %bb.1856:
	s_wait_alu 0xfffe
	s_or_b32 exec_lo, exec_lo, s0
	s_and_saveexec_b32 s0, vcc_lo
	s_cbranch_execnz .LBB303_1894
.LBB303_1857:
	s_wait_alu 0xfffe
	s_or_b32 exec_lo, exec_lo, s0
	s_and_saveexec_b32 s0, vcc_lo
	s_cbranch_execnz .LBB303_1895
.LBB303_1858:
	s_wait_alu 0xfffe
	s_or_b32 exec_lo, exec_lo, s0
	s_and_saveexec_b32 s0, vcc_lo
	s_cbranch_execnz .LBB303_1896
.LBB303_1859:
	s_wait_alu 0xfffe
	s_or_b32 exec_lo, exec_lo, s0
	s_and_saveexec_b32 s0, vcc_lo
	s_cbranch_execnz .LBB303_1897
.LBB303_1860:
	s_wait_alu 0xfffe
	s_or_b32 exec_lo, exec_lo, s0
	s_and_saveexec_b32 s0, vcc_lo
	s_cbranch_execnz .LBB303_1898
.LBB303_1861:
	s_wait_alu 0xfffe
	s_or_b32 exec_lo, exec_lo, s0
	s_and_saveexec_b32 s0, vcc_lo
	s_cbranch_execnz .LBB303_1899
.LBB303_1862:
	s_wait_alu 0xfffe
	s_or_b32 exec_lo, exec_lo, s0
	s_and_saveexec_b32 s0, vcc_lo
	s_cbranch_execnz .LBB303_1900
.LBB303_1863:
	s_wait_alu 0xfffe
	s_or_b32 exec_lo, exec_lo, s0
	s_and_saveexec_b32 s0, vcc_lo
	s_cbranch_execnz .LBB303_1901
.LBB303_1864:
	s_wait_alu 0xfffe
	s_or_b32 exec_lo, exec_lo, s0
	s_and_saveexec_b32 s0, vcc_lo
	s_cbranch_execnz .LBB303_1902
.LBB303_1865:
	s_wait_alu 0xfffe
	s_or_b32 exec_lo, exec_lo, s0
	s_and_saveexec_b32 s0, vcc_lo
	s_cbranch_execnz .LBB303_1903
.LBB303_1866:
	s_wait_alu 0xfffe
	s_or_b32 exec_lo, exec_lo, s0
	s_and_saveexec_b32 s0, vcc_lo
	s_cbranch_execnz .LBB303_1904
.LBB303_1867:
	s_wait_alu 0xfffe
	s_or_b32 exec_lo, exec_lo, s0
	s_and_saveexec_b32 s0, vcc_lo
	s_cbranch_execnz .LBB303_1905
.LBB303_1868:
	s_wait_alu 0xfffe
	s_or_b32 exec_lo, exec_lo, s0
	s_and_saveexec_b32 s0, vcc_lo
	s_cbranch_execz .LBB303_1870
.LBB303_1869:
	ds_load_b32 v19, v17 offset:416
	s_wait_dscnt 0x0
	v_add_f32_e32 v0, v19, v0
.LBB303_1870:
	s_wait_alu 0xfffe
	s_or_b32 exec_lo, exec_lo, s0
.LBB303_1871:
	s_wait_alu 0xfffe
	s_or_b32 exec_lo, exec_lo, s3
	v_and_b32_e32 v19, 0x3e3, v12
	s_mov_b32 s3, exec_lo
	s_wait_loadcnt 0x0
	s_barrier_signal -1
	s_barrier_wait -1
	global_inv scope:SCOPE_SE
	v_cmpx_eq_u32_e32 32, v19
	s_cbranch_execz .LBB303_1873
; %bb.1872:
	ds_store_2addr_b32 v18, v16, v15 offset1:8
	ds_store_2addr_b32 v18, v14, v13 offset0:16 offset1:24
	ds_store_2addr_b32 v18, v11, v10 offset0:32 offset1:40
	;; [unrolled: 1-line block ×6, first 2 shown]
.LBB303_1873:
	s_wait_alu 0xfffe
	s_or_b32 exec_lo, exec_lo, s3
	s_delay_alu instid0(SALU_CYCLE_1)
	s_mov_b32 s3, exec_lo
	s_wait_loadcnt_dscnt 0x0
	s_barrier_signal -1
	s_barrier_wait -1
	global_inv scope:SCOPE_SE
	v_cmpx_gt_u32_e32 32, v12
	s_cbranch_execz .LBB303_1890
; %bb.1874:
	s_and_saveexec_b32 s0, vcc_lo
	s_cbranch_execnz .LBB303_1906
; %bb.1875:
	s_wait_alu 0xfffe
	s_or_b32 exec_lo, exec_lo, s0
	s_and_saveexec_b32 s0, vcc_lo
	s_cbranch_execnz .LBB303_1907
.LBB303_1876:
	s_wait_alu 0xfffe
	s_or_b32 exec_lo, exec_lo, s0
	s_and_saveexec_b32 s0, vcc_lo
	s_cbranch_execnz .LBB303_1908
.LBB303_1877:
	s_wait_alu 0xfffe
	s_or_b32 exec_lo, exec_lo, s0
	s_and_saveexec_b32 s0, vcc_lo
	s_cbranch_execnz .LBB303_1909
.LBB303_1878:
	s_wait_alu 0xfffe
	s_or_b32 exec_lo, exec_lo, s0
	s_and_saveexec_b32 s0, vcc_lo
	s_cbranch_execnz .LBB303_1910
.LBB303_1879:
	s_wait_alu 0xfffe
	s_or_b32 exec_lo, exec_lo, s0
	s_and_saveexec_b32 s0, vcc_lo
	s_cbranch_execnz .LBB303_1911
.LBB303_1880:
	s_wait_alu 0xfffe
	s_or_b32 exec_lo, exec_lo, s0
	s_and_saveexec_b32 s0, vcc_lo
	s_cbranch_execnz .LBB303_1912
.LBB303_1881:
	s_wait_alu 0xfffe
	s_or_b32 exec_lo, exec_lo, s0
	s_and_saveexec_b32 s0, vcc_lo
	s_cbranch_execnz .LBB303_1913
.LBB303_1882:
	s_wait_alu 0xfffe
	s_or_b32 exec_lo, exec_lo, s0
	s_and_saveexec_b32 s0, vcc_lo
	s_cbranch_execnz .LBB303_1914
.LBB303_1883:
	s_wait_alu 0xfffe
	s_or_b32 exec_lo, exec_lo, s0
	s_and_saveexec_b32 s0, vcc_lo
	s_cbranch_execnz .LBB303_1915
.LBB303_1884:
	s_wait_alu 0xfffe
	s_or_b32 exec_lo, exec_lo, s0
	s_and_saveexec_b32 s0, vcc_lo
	s_cbranch_execnz .LBB303_1916
.LBB303_1885:
	s_wait_alu 0xfffe
	s_or_b32 exec_lo, exec_lo, s0
	s_and_saveexec_b32 s0, vcc_lo
	s_cbranch_execnz .LBB303_1917
.LBB303_1886:
	s_wait_alu 0xfffe
	s_or_b32 exec_lo, exec_lo, s0
	s_and_saveexec_b32 s0, vcc_lo
	s_cbranch_execnz .LBB303_1918
.LBB303_1887:
	s_wait_alu 0xfffe
	s_or_b32 exec_lo, exec_lo, s0
	s_and_saveexec_b32 s0, vcc_lo
	s_cbranch_execz .LBB303_1889
.LBB303_1888:
	ds_load_b32 v17, v17 offset:416
	s_wait_dscnt 0x0
	v_add_f32_e32 v0, v17, v0
.LBB303_1889:
	s_wait_alu 0xfffe
	s_or_b32 exec_lo, exec_lo, s0
.LBB303_1890:
	s_wait_alu 0xfffe
	s_or_b32 exec_lo, exec_lo, s3
	v_cmp_eq_u32_e32 vcc_lo, 0, v19
	s_wait_loadcnt 0x0
	s_barrier_signal -1
	s_barrier_wait -1
	global_inv scope:SCOPE_SE
	s_and_b32 exec_lo, exec_lo, vcc_lo
	s_cbranch_execz .LBB303_1892
; %bb.1891:
	s_mul_i32 s0, s2, 0x70
	s_mul_i32 s2, s4, s1
	s_wait_alu 0xfffe
	s_ashr_i32 s1, s0, 31
	s_ashr_i32 s3, s2, 31
	s_wait_alu 0xfffe
	s_lshl_b64 s[0:1], s[0:1], 1
	s_mulk_i32 s11, 0xe0
	s_wait_alu 0xfffe
	v_add_co_u32 v4, vcc_lo, v4, s0
	s_wait_alu 0xfffd
	v_add_co_ci_u32_e64 v5, null, s1, v5, vcc_lo
	s_lshl_b64 s[0:1], s[2:3], 1
	v_lshrrev_b32_e32 v12, 1, v12
	s_wait_alu 0xfffe
	v_add_co_u32 v4, vcc_lo, v4, s0
	s_wait_alu 0xfffd
	v_add_co_ci_u32_e64 v5, null, s1, v5, vcc_lo
	s_delay_alu instid0(VALU_DEP_2) | instskip(SKIP_1) | instid1(VALU_DEP_2)
	v_add_co_u32 v4, vcc_lo, v4, s11
	s_wait_alu 0xfffd
	v_add_co_ci_u32_e64 v5, null, 0, v5, vcc_lo
	s_delay_alu instid0(VALU_DEP_2) | instskip(SKIP_1) | instid1(VALU_DEP_2)
	v_add_co_u32 v4, vcc_lo, v4, v12
	s_wait_alu 0xfffd
	v_add_co_ci_u32_e64 v5, null, 0, v5, vcc_lo
	;;#ASMSTART
	v_cvt_f16_f32 v12, v16;

	;;#ASMEND
	flat_store_b16 v[4:5], v12
	;;#ASMSTART
	v_cvt_f16_f32 v12, v15;

	;;#ASMEND
	flat_store_b16 v[4:5], v12 offset:16
	;;#ASMSTART
	v_cvt_f16_f32 v12, v14;

	;;#ASMEND
	flat_store_b16 v[4:5], v12 offset:32
	;; [unrolled: 5-line block ×13, first 2 shown]
.LBB303_1892:
	s_wait_alu 0xfffe
	s_or_b32 exec_lo, exec_lo, s10
	s_clause 0x1f
	scratch_load_b32 v142, off, s32
	scratch_load_b32 v141, off, s32 offset:4
	scratch_load_b32 v140, off, s32 offset:8
	scratch_load_b32 v139, off, s32 offset:12
	scratch_load_b32 v138, off, s32 offset:16
	scratch_load_b32 v137, off, s32 offset:20
	scratch_load_b32 v136, off, s32 offset:24
	scratch_load_b32 v127, off, s32 offset:28
	scratch_load_b32 v126, off, s32 offset:32
	scratch_load_b32 v125, off, s32 offset:36
	scratch_load_b32 v124, off, s32 offset:40
	scratch_load_b32 v123, off, s32 offset:44
	scratch_load_b32 v122, off, s32 offset:48
	scratch_load_b32 v121, off, s32 offset:52
	scratch_load_b32 v120, off, s32 offset:56
	scratch_load_b32 v111, off, s32 offset:60
	scratch_load_b32 v110, off, s32 offset:64
	scratch_load_b32 v109, off, s32 offset:68
	scratch_load_b32 v108, off, s32 offset:72
	scratch_load_b32 v107, off, s32 offset:76
	scratch_load_b32 v106, off, s32 offset:80
	scratch_load_b32 v105, off, s32 offset:84
	scratch_load_b32 v104, off, s32 offset:88
	scratch_load_b32 v95, off, s32 offset:92
	scratch_load_b32 v94, off, s32 offset:96
	scratch_load_b32 v93, off, s32 offset:100
	scratch_load_b32 v92, off, s32 offset:104
	scratch_load_b32 v91, off, s32 offset:108
	scratch_load_b32 v90, off, s32 offset:112
	scratch_load_b32 v89, off, s32 offset:116
	scratch_load_b32 v88, off, s32 offset:120
	scratch_load_b32 v79, off, s32 offset:124
	s_clause 0x16
	scratch_load_b32 v78, off, s32 offset:128
	scratch_load_b32 v77, off, s32 offset:132
	;; [unrolled: 1-line block ×23, first 2 shown]
	s_wait_loadcnt_dscnt 0x0
	s_setpc_b64 s[30:31]
.LBB303_1893:
	ds_load_b32 v19, v17
	s_wait_dscnt 0x0
	v_add_f32_e32 v16, v19, v16
	s_wait_alu 0xfffe
	s_or_b32 exec_lo, exec_lo, s0
	s_and_saveexec_b32 s0, vcc_lo
	s_cbranch_execz .LBB303_1857
.LBB303_1894:
	ds_load_b32 v19, v17 offset:32
	s_wait_dscnt 0x0
	v_add_f32_e32 v15, v19, v15
	s_wait_alu 0xfffe
	s_or_b32 exec_lo, exec_lo, s0
	s_and_saveexec_b32 s0, vcc_lo
	s_cbranch_execz .LBB303_1858
.LBB303_1895:
	ds_load_b32 v19, v17 offset:64
	s_wait_dscnt 0x0
	v_add_f32_e32 v14, v19, v14
	s_wait_alu 0xfffe
	s_or_b32 exec_lo, exec_lo, s0
	s_and_saveexec_b32 s0, vcc_lo
	s_cbranch_execz .LBB303_1859
.LBB303_1896:
	ds_load_b32 v19, v17 offset:96
	s_wait_dscnt 0x0
	v_add_f32_e32 v13, v19, v13
	s_wait_alu 0xfffe
	s_or_b32 exec_lo, exec_lo, s0
	s_and_saveexec_b32 s0, vcc_lo
	s_cbranch_execz .LBB303_1860
.LBB303_1897:
	ds_load_b32 v19, v17 offset:128
	s_wait_dscnt 0x0
	v_add_f32_e32 v11, v19, v11
	s_wait_alu 0xfffe
	s_or_b32 exec_lo, exec_lo, s0
	s_and_saveexec_b32 s0, vcc_lo
	s_cbranch_execz .LBB303_1861
.LBB303_1898:
	ds_load_b32 v19, v17 offset:160
	s_wait_dscnt 0x0
	v_add_f32_e32 v10, v19, v10
	s_wait_alu 0xfffe
	s_or_b32 exec_lo, exec_lo, s0
	s_and_saveexec_b32 s0, vcc_lo
	s_cbranch_execz .LBB303_1862
.LBB303_1899:
	ds_load_b32 v19, v17 offset:192
	s_wait_dscnt 0x0
	v_add_f32_e32 v9, v19, v9
	s_wait_alu 0xfffe
	s_or_b32 exec_lo, exec_lo, s0
	s_and_saveexec_b32 s0, vcc_lo
	s_cbranch_execz .LBB303_1863
.LBB303_1900:
	ds_load_b32 v19, v17 offset:224
	s_wait_dscnt 0x0
	v_add_f32_e32 v8, v19, v8
	s_wait_alu 0xfffe
	s_or_b32 exec_lo, exec_lo, s0
	s_and_saveexec_b32 s0, vcc_lo
	s_cbranch_execz .LBB303_1864
.LBB303_1901:
	ds_load_b32 v19, v17 offset:256
	s_wait_dscnt 0x0
	v_add_f32_e32 v7, v19, v7
	s_wait_alu 0xfffe
	s_or_b32 exec_lo, exec_lo, s0
	s_and_saveexec_b32 s0, vcc_lo
	s_cbranch_execz .LBB303_1865
.LBB303_1902:
	ds_load_b32 v19, v17 offset:288
	s_wait_dscnt 0x0
	v_add_f32_e32 v6, v19, v6
	s_wait_alu 0xfffe
	s_or_b32 exec_lo, exec_lo, s0
	s_and_saveexec_b32 s0, vcc_lo
	s_cbranch_execz .LBB303_1866
.LBB303_1903:
	ds_load_b32 v19, v17 offset:320
	s_wait_dscnt 0x0
	v_add_f32_e32 v3, v19, v3
	s_wait_alu 0xfffe
	s_or_b32 exec_lo, exec_lo, s0
	s_and_saveexec_b32 s0, vcc_lo
	s_cbranch_execz .LBB303_1867
.LBB303_1904:
	ds_load_b32 v19, v17 offset:352
	s_wait_dscnt 0x0
	v_add_f32_e32 v2, v19, v2
	s_wait_alu 0xfffe
	s_or_b32 exec_lo, exec_lo, s0
	s_and_saveexec_b32 s0, vcc_lo
	s_cbranch_execz .LBB303_1868
.LBB303_1905:
	ds_load_b32 v19, v17 offset:384
	s_wait_dscnt 0x0
	v_add_f32_e32 v1, v19, v1
	s_wait_alu 0xfffe
	s_or_b32 exec_lo, exec_lo, s0
	s_and_saveexec_b32 s0, vcc_lo
	s_cbranch_execnz .LBB303_1869
	s_branch .LBB303_1870
.LBB303_1906:
	ds_load_b32 v18, v17
	s_wait_dscnt 0x0
	v_add_f32_e32 v16, v18, v16
	s_wait_alu 0xfffe
	s_or_b32 exec_lo, exec_lo, s0
	s_and_saveexec_b32 s0, vcc_lo
	s_cbranch_execz .LBB303_1876
.LBB303_1907:
	ds_load_b32 v18, v17 offset:32
	s_wait_dscnt 0x0
	v_add_f32_e32 v15, v18, v15
	s_wait_alu 0xfffe
	s_or_b32 exec_lo, exec_lo, s0
	s_and_saveexec_b32 s0, vcc_lo
	s_cbranch_execz .LBB303_1877
.LBB303_1908:
	ds_load_b32 v18, v17 offset:64
	s_wait_dscnt 0x0
	v_add_f32_e32 v14, v18, v14
	s_wait_alu 0xfffe
	s_or_b32 exec_lo, exec_lo, s0
	s_and_saveexec_b32 s0, vcc_lo
	s_cbranch_execz .LBB303_1878
.LBB303_1909:
	ds_load_b32 v18, v17 offset:96
	s_wait_dscnt 0x0
	v_add_f32_e32 v13, v18, v13
	s_wait_alu 0xfffe
	s_or_b32 exec_lo, exec_lo, s0
	s_and_saveexec_b32 s0, vcc_lo
	s_cbranch_execz .LBB303_1879
.LBB303_1910:
	ds_load_b32 v18, v17 offset:128
	s_wait_dscnt 0x0
	v_add_f32_e32 v11, v18, v11
	s_wait_alu 0xfffe
	s_or_b32 exec_lo, exec_lo, s0
	s_and_saveexec_b32 s0, vcc_lo
	s_cbranch_execz .LBB303_1880
.LBB303_1911:
	ds_load_b32 v18, v17 offset:160
	s_wait_dscnt 0x0
	v_add_f32_e32 v10, v18, v10
	s_wait_alu 0xfffe
	s_or_b32 exec_lo, exec_lo, s0
	s_and_saveexec_b32 s0, vcc_lo
	s_cbranch_execz .LBB303_1881
.LBB303_1912:
	ds_load_b32 v18, v17 offset:192
	s_wait_dscnt 0x0
	v_add_f32_e32 v9, v18, v9
	s_wait_alu 0xfffe
	s_or_b32 exec_lo, exec_lo, s0
	s_and_saveexec_b32 s0, vcc_lo
	s_cbranch_execz .LBB303_1882
.LBB303_1913:
	ds_load_b32 v18, v17 offset:224
	s_wait_dscnt 0x0
	v_add_f32_e32 v8, v18, v8
	s_wait_alu 0xfffe
	s_or_b32 exec_lo, exec_lo, s0
	s_and_saveexec_b32 s0, vcc_lo
	s_cbranch_execz .LBB303_1883
.LBB303_1914:
	ds_load_b32 v18, v17 offset:256
	s_wait_dscnt 0x0
	v_add_f32_e32 v7, v18, v7
	s_wait_alu 0xfffe
	s_or_b32 exec_lo, exec_lo, s0
	s_and_saveexec_b32 s0, vcc_lo
	s_cbranch_execz .LBB303_1884
.LBB303_1915:
	ds_load_b32 v18, v17 offset:288
	s_wait_dscnt 0x0
	v_add_f32_e32 v6, v18, v6
	s_wait_alu 0xfffe
	s_or_b32 exec_lo, exec_lo, s0
	s_and_saveexec_b32 s0, vcc_lo
	s_cbranch_execz .LBB303_1885
.LBB303_1916:
	ds_load_b32 v18, v17 offset:320
	s_wait_dscnt 0x0
	v_add_f32_e32 v3, v18, v3
	s_wait_alu 0xfffe
	s_or_b32 exec_lo, exec_lo, s0
	s_and_saveexec_b32 s0, vcc_lo
	s_cbranch_execz .LBB303_1886
.LBB303_1917:
	ds_load_b32 v18, v17 offset:352
	s_wait_dscnt 0x0
	v_add_f32_e32 v2, v18, v2
	s_wait_alu 0xfffe
	s_or_b32 exec_lo, exec_lo, s0
	s_and_saveexec_b32 s0, vcc_lo
	s_cbranch_execz .LBB303_1887
.LBB303_1918:
	ds_load_b32 v18, v17 offset:384
	s_wait_dscnt 0x0
	v_add_f32_e32 v1, v18, v1
	s_wait_alu 0xfffe
	s_or_b32 exec_lo, exec_lo, s0
	s_and_saveexec_b32 s0, vcc_lo
	s_cbranch_execnz .LBB303_1888
	s_branch .LBB303_1889
.Lfunc_end303:
	.size	_ZN4vllm22paged_attention_kernelIthLi112ELi32ELi128ELNS_18Fp8KVCacheDataTypeE1ELb0ELi512EEEvPfS2_PT_PKS3_PKT0_S9_ifPKiSB_iPKfiiiSD_SD_iiiii, .Lfunc_end303-_ZN4vllm22paged_attention_kernelIthLi112ELi32ELi128ELNS_18Fp8KVCacheDataTypeE1ELb0ELi512EEEvPfS2_PT_PKS3_PKT0_S9_ifPKiSB_iPKfiiiSD_SD_iiiii
                                        ; -- End function
	.set .L_ZN4vllm22paged_attention_kernelIthLi112ELi32ELi128ELNS_18Fp8KVCacheDataTypeE1ELb0ELi512EEEvPfS2_PT_PKS3_PKT0_S9_ifPKiSB_iPKfiiiSD_SD_iiiii.num_vgpr, 184
	.set .L_ZN4vllm22paged_attention_kernelIthLi112ELi32ELi128ELNS_18Fp8KVCacheDataTypeE1ELb0ELi512EEEvPfS2_PT_PKS3_PKT0_S9_ifPKiSB_iPKfiiiSD_SD_iiiii.num_agpr, 0
	.set .L_ZN4vllm22paged_attention_kernelIthLi112ELi32ELi128ELNS_18Fp8KVCacheDataTypeE1ELb0ELi512EEEvPfS2_PT_PKS3_PKT0_S9_ifPKiSB_iPKfiiiSD_SD_iiiii.numbered_sgpr, 33
	.set .L_ZN4vllm22paged_attention_kernelIthLi112ELi32ELi128ELNS_18Fp8KVCacheDataTypeE1ELb0ELi512EEEvPfS2_PT_PKS3_PKT0_S9_ifPKiSB_iPKfiiiSD_SD_iiiii.num_named_barrier, 0
	.set .L_ZN4vllm22paged_attention_kernelIthLi112ELi32ELi128ELNS_18Fp8KVCacheDataTypeE1ELb0ELi512EEEvPfS2_PT_PKS3_PKT0_S9_ifPKiSB_iPKfiiiSD_SD_iiiii.private_seg_size, 224
	.set .L_ZN4vllm22paged_attention_kernelIthLi112ELi32ELi128ELNS_18Fp8KVCacheDataTypeE1ELb0ELi512EEEvPfS2_PT_PKS3_PKT0_S9_ifPKiSB_iPKfiiiSD_SD_iiiii.uses_vcc, 1
	.set .L_ZN4vllm22paged_attention_kernelIthLi112ELi32ELi128ELNS_18Fp8KVCacheDataTypeE1ELb0ELi512EEEvPfS2_PT_PKS3_PKT0_S9_ifPKiSB_iPKfiiiSD_SD_iiiii.uses_flat_scratch, 1
	.set .L_ZN4vllm22paged_attention_kernelIthLi112ELi32ELi128ELNS_18Fp8KVCacheDataTypeE1ELb0ELi512EEEvPfS2_PT_PKS3_PKT0_S9_ifPKiSB_iPKfiiiSD_SD_iiiii.has_dyn_sized_stack, 0
	.set .L_ZN4vllm22paged_attention_kernelIthLi112ELi32ELi128ELNS_18Fp8KVCacheDataTypeE1ELb0ELi512EEEvPfS2_PT_PKS3_PKT0_S9_ifPKiSB_iPKfiiiSD_SD_iiiii.has_recursion, 0
	.set .L_ZN4vllm22paged_attention_kernelIthLi112ELi32ELi128ELNS_18Fp8KVCacheDataTypeE1ELb0ELi512EEEvPfS2_PT_PKS3_PKT0_S9_ifPKiSB_iPKfiiiSD_SD_iiiii.has_indirect_call, 0
	.section	.AMDGPU.csdata,"",@progbits
; Function info:
; codeLenInByte = 74132
; TotalNumSgprs: 35
; NumVgprs: 184
; ScratchSize: 224
; MemoryBound: 0
	.section	.text._ZN4vllm25paged_attention_v2_kernelIthLi112ELi32ELi128ELNS_18Fp8KVCacheDataTypeE1ELb0ELi512EEEvPfS2_PT_PKS3_PKT0_S9_ifPKiSB_iPKfiiiSD_SD_iiiii,"axG",@progbits,_ZN4vllm25paged_attention_v2_kernelIthLi112ELi32ELi128ELNS_18Fp8KVCacheDataTypeE1ELb0ELi512EEEvPfS2_PT_PKS3_PKT0_S9_ifPKiSB_iPKfiiiSD_SD_iiiii,comdat
	.protected	_ZN4vllm25paged_attention_v2_kernelIthLi112ELi32ELi128ELNS_18Fp8KVCacheDataTypeE1ELb0ELi512EEEvPfS2_PT_PKS3_PKT0_S9_ifPKiSB_iPKfiiiSD_SD_iiiii ; -- Begin function _ZN4vllm25paged_attention_v2_kernelIthLi112ELi32ELi128ELNS_18Fp8KVCacheDataTypeE1ELb0ELi512EEEvPfS2_PT_PKS3_PKT0_S9_ifPKiSB_iPKfiiiSD_SD_iiiii
	.globl	_ZN4vllm25paged_attention_v2_kernelIthLi112ELi32ELi128ELNS_18Fp8KVCacheDataTypeE1ELb0ELi512EEEvPfS2_PT_PKS3_PKT0_S9_ifPKiSB_iPKfiiiSD_SD_iiiii
	.p2align	8
	.type	_ZN4vllm25paged_attention_v2_kernelIthLi112ELi32ELi128ELNS_18Fp8KVCacheDataTypeE1ELb0ELi512EEEvPfS2_PT_PKS3_PKT0_S9_ifPKiSB_iPKfiiiSD_SD_iiiii,@function
_ZN4vllm25paged_attention_v2_kernelIthLi112ELi32ELi128ELNS_18Fp8KVCacheDataTypeE1ELb0ELi512EEEvPfS2_PT_PKS3_PKT0_S9_ifPKiSB_iPKfiiiSD_SD_iiiii: ; @_ZN4vllm25paged_attention_v2_kernelIthLi112ELi32ELi128ELNS_18Fp8KVCacheDataTypeE1ELb0ELi512EEEvPfS2_PT_PKS3_PKT0_S9_ifPKiSB_iPKfiiiSD_SD_iiiii
; %bb.0:
	s_clause 0x5
	s_load_b256 s[20:27], s[0:1], 0x0
	s_load_b256 s[12:19], s[0:1], 0x20
	s_load_b96 s[28:30], s[0:1], 0x40
	s_load_b64 s[10:11], s[0:1], 0x50
	s_load_b96 s[36:38], s[0:1], 0x58
	s_load_b128 s[4:7], s[0:1], 0x68
	v_mov_b32_e32 v31, v0
	s_getpc_b64 s[2:3]
	s_sext_i32_i16 s3, s3
	s_add_co_u32 s2, s2, _ZN4vllm22paged_attention_kernelIthLi112ELi32ELi128ELNS_18Fp8KVCacheDataTypeE1ELb0ELi512EEEvPfS2_PT_PKS3_PKT0_S9_ifPKiSB_iPKfiiiSD_SD_iiiii@rel32@lo+8
	s_add_co_ci_u32 s3, s3, _ZN4vllm22paged_attention_kernelIthLi112ELi32ELi128ELNS_18Fp8KVCacheDataTypeE1ELb0ELi512EEEvPfS2_PT_PKS3_PKT0_S9_ifPKiSB_iPKfiiiSD_SD_iiiii@rel32@hi+16
	s_add_nc_u64 s[8:9], s[0:1], 0x90
	s_mov_b32 s32, 0
	s_wait_kmcnt 0x0
	v_dual_mov_b32 v17, s29 :: v_dual_mov_b32 v18, s30
	v_dual_mov_b32 v0, s20 :: v_dual_mov_b32 v1, s21
	;; [unrolled: 1-line block ×14, first 2 shown]
	s_mov_b32 s15, 0
	s_wait_alu 0xfffe
	s_swappc_b64 s[30:31], s[2:3]
	s_endpgm
	.section	.rodata,"a",@progbits
	.p2align	6, 0x0
	.amdhsa_kernel _ZN4vllm25paged_attention_v2_kernelIthLi112ELi32ELi128ELNS_18Fp8KVCacheDataTypeE1ELb0ELi512EEEvPfS2_PT_PKS3_PKT0_S9_ifPKiSB_iPKfiiiSD_SD_iiiii
		.amdhsa_group_segment_fixed_size 256
		.amdhsa_private_segment_fixed_size 224
		.amdhsa_kernarg_size 400
		.amdhsa_user_sgpr_count 2
		.amdhsa_user_sgpr_dispatch_ptr 0
		.amdhsa_user_sgpr_queue_ptr 0
		.amdhsa_user_sgpr_kernarg_segment_ptr 1
		.amdhsa_user_sgpr_dispatch_id 0
		.amdhsa_user_sgpr_private_segment_size 0
		.amdhsa_wavefront_size32 1
		.amdhsa_uses_dynamic_stack 0
		.amdhsa_enable_private_segment 1
		.amdhsa_system_sgpr_workgroup_id_x 1
		.amdhsa_system_sgpr_workgroup_id_y 1
		.amdhsa_system_sgpr_workgroup_id_z 1
		.amdhsa_system_sgpr_workgroup_info 0
		.amdhsa_system_vgpr_workitem_id 0
		.amdhsa_next_free_vgpr 184
		.amdhsa_next_free_sgpr 39
		.amdhsa_reserve_vcc 1
		.amdhsa_float_round_mode_32 0
		.amdhsa_float_round_mode_16_64 0
		.amdhsa_float_denorm_mode_32 3
		.amdhsa_float_denorm_mode_16_64 3
		.amdhsa_fp16_overflow 0
		.amdhsa_workgroup_processor_mode 1
		.amdhsa_memory_ordered 1
		.amdhsa_forward_progress 1
		.amdhsa_inst_pref_size 2
		.amdhsa_round_robin_scheduling 0
		.amdhsa_exception_fp_ieee_invalid_op 0
		.amdhsa_exception_fp_denorm_src 0
		.amdhsa_exception_fp_ieee_div_zero 0
		.amdhsa_exception_fp_ieee_overflow 0
		.amdhsa_exception_fp_ieee_underflow 0
		.amdhsa_exception_fp_ieee_inexact 0
		.amdhsa_exception_int_div_zero 0
	.end_amdhsa_kernel
	.section	.text._ZN4vllm25paged_attention_v2_kernelIthLi112ELi32ELi128ELNS_18Fp8KVCacheDataTypeE1ELb0ELi512EEEvPfS2_PT_PKS3_PKT0_S9_ifPKiSB_iPKfiiiSD_SD_iiiii,"axG",@progbits,_ZN4vllm25paged_attention_v2_kernelIthLi112ELi32ELi128ELNS_18Fp8KVCacheDataTypeE1ELb0ELi512EEEvPfS2_PT_PKS3_PKT0_S9_ifPKiSB_iPKfiiiSD_SD_iiiii,comdat
.Lfunc_end304:
	.size	_ZN4vllm25paged_attention_v2_kernelIthLi112ELi32ELi128ELNS_18Fp8KVCacheDataTypeE1ELb0ELi512EEEvPfS2_PT_PKS3_PKT0_S9_ifPKiSB_iPKfiiiSD_SD_iiiii, .Lfunc_end304-_ZN4vllm25paged_attention_v2_kernelIthLi112ELi32ELi128ELNS_18Fp8KVCacheDataTypeE1ELb0ELi512EEEvPfS2_PT_PKS3_PKT0_S9_ifPKiSB_iPKfiiiSD_SD_iiiii
                                        ; -- End function
	.set _ZN4vllm25paged_attention_v2_kernelIthLi112ELi32ELi128ELNS_18Fp8KVCacheDataTypeE1ELb0ELi512EEEvPfS2_PT_PKS3_PKT0_S9_ifPKiSB_iPKfiiiSD_SD_iiiii.num_vgpr, max(32, .L_ZN4vllm22paged_attention_kernelIthLi112ELi32ELi128ELNS_18Fp8KVCacheDataTypeE1ELb0ELi512EEEvPfS2_PT_PKS3_PKT0_S9_ifPKiSB_iPKfiiiSD_SD_iiiii.num_vgpr)
	.set _ZN4vllm25paged_attention_v2_kernelIthLi112ELi32ELi128ELNS_18Fp8KVCacheDataTypeE1ELb0ELi512EEEvPfS2_PT_PKS3_PKT0_S9_ifPKiSB_iPKfiiiSD_SD_iiiii.num_agpr, max(0, .L_ZN4vllm22paged_attention_kernelIthLi112ELi32ELi128ELNS_18Fp8KVCacheDataTypeE1ELb0ELi512EEEvPfS2_PT_PKS3_PKT0_S9_ifPKiSB_iPKfiiiSD_SD_iiiii.num_agpr)
	.set _ZN4vllm25paged_attention_v2_kernelIthLi112ELi32ELi128ELNS_18Fp8KVCacheDataTypeE1ELb0ELi512EEEvPfS2_PT_PKS3_PKT0_S9_ifPKiSB_iPKfiiiSD_SD_iiiii.numbered_sgpr, max(39, .L_ZN4vllm22paged_attention_kernelIthLi112ELi32ELi128ELNS_18Fp8KVCacheDataTypeE1ELb0ELi512EEEvPfS2_PT_PKS3_PKT0_S9_ifPKiSB_iPKfiiiSD_SD_iiiii.numbered_sgpr)
	.set _ZN4vllm25paged_attention_v2_kernelIthLi112ELi32ELi128ELNS_18Fp8KVCacheDataTypeE1ELb0ELi512EEEvPfS2_PT_PKS3_PKT0_S9_ifPKiSB_iPKfiiiSD_SD_iiiii.num_named_barrier, max(0, .L_ZN4vllm22paged_attention_kernelIthLi112ELi32ELi128ELNS_18Fp8KVCacheDataTypeE1ELb0ELi512EEEvPfS2_PT_PKS3_PKT0_S9_ifPKiSB_iPKfiiiSD_SD_iiiii.num_named_barrier)
	.set _ZN4vllm25paged_attention_v2_kernelIthLi112ELi32ELi128ELNS_18Fp8KVCacheDataTypeE1ELb0ELi512EEEvPfS2_PT_PKS3_PKT0_S9_ifPKiSB_iPKfiiiSD_SD_iiiii.private_seg_size, 0+max(.L_ZN4vllm22paged_attention_kernelIthLi112ELi32ELi128ELNS_18Fp8KVCacheDataTypeE1ELb0ELi512EEEvPfS2_PT_PKS3_PKT0_S9_ifPKiSB_iPKfiiiSD_SD_iiiii.private_seg_size)
	.set _ZN4vllm25paged_attention_v2_kernelIthLi112ELi32ELi128ELNS_18Fp8KVCacheDataTypeE1ELb0ELi512EEEvPfS2_PT_PKS3_PKT0_S9_ifPKiSB_iPKfiiiSD_SD_iiiii.uses_vcc, or(1, .L_ZN4vllm22paged_attention_kernelIthLi112ELi32ELi128ELNS_18Fp8KVCacheDataTypeE1ELb0ELi512EEEvPfS2_PT_PKS3_PKT0_S9_ifPKiSB_iPKfiiiSD_SD_iiiii.uses_vcc)
	.set _ZN4vllm25paged_attention_v2_kernelIthLi112ELi32ELi128ELNS_18Fp8KVCacheDataTypeE1ELb0ELi512EEEvPfS2_PT_PKS3_PKT0_S9_ifPKiSB_iPKfiiiSD_SD_iiiii.uses_flat_scratch, or(0, .L_ZN4vllm22paged_attention_kernelIthLi112ELi32ELi128ELNS_18Fp8KVCacheDataTypeE1ELb0ELi512EEEvPfS2_PT_PKS3_PKT0_S9_ifPKiSB_iPKfiiiSD_SD_iiiii.uses_flat_scratch)
	.set _ZN4vllm25paged_attention_v2_kernelIthLi112ELi32ELi128ELNS_18Fp8KVCacheDataTypeE1ELb0ELi512EEEvPfS2_PT_PKS3_PKT0_S9_ifPKiSB_iPKfiiiSD_SD_iiiii.has_dyn_sized_stack, or(0, .L_ZN4vllm22paged_attention_kernelIthLi112ELi32ELi128ELNS_18Fp8KVCacheDataTypeE1ELb0ELi512EEEvPfS2_PT_PKS3_PKT0_S9_ifPKiSB_iPKfiiiSD_SD_iiiii.has_dyn_sized_stack)
	.set _ZN4vllm25paged_attention_v2_kernelIthLi112ELi32ELi128ELNS_18Fp8KVCacheDataTypeE1ELb0ELi512EEEvPfS2_PT_PKS3_PKT0_S9_ifPKiSB_iPKfiiiSD_SD_iiiii.has_recursion, or(0, .L_ZN4vllm22paged_attention_kernelIthLi112ELi32ELi128ELNS_18Fp8KVCacheDataTypeE1ELb0ELi512EEEvPfS2_PT_PKS3_PKT0_S9_ifPKiSB_iPKfiiiSD_SD_iiiii.has_recursion)
	.set _ZN4vllm25paged_attention_v2_kernelIthLi112ELi32ELi128ELNS_18Fp8KVCacheDataTypeE1ELb0ELi512EEEvPfS2_PT_PKS3_PKT0_S9_ifPKiSB_iPKfiiiSD_SD_iiiii.has_indirect_call, or(0, .L_ZN4vllm22paged_attention_kernelIthLi112ELi32ELi128ELNS_18Fp8KVCacheDataTypeE1ELb0ELi512EEEvPfS2_PT_PKS3_PKT0_S9_ifPKiSB_iPKfiiiSD_SD_iiiii.has_indirect_call)
	.section	.AMDGPU.csdata,"",@progbits
; Kernel info:
; codeLenInByte = 224
; TotalNumSgprs: 41
; NumVgprs: 184
; ScratchSize: 224
; MemoryBound: 0
; FloatMode: 240
; IeeeMode: 1
; LDSByteSize: 256 bytes/workgroup (compile time only)
; SGPRBlocks: 0
; VGPRBlocks: 22
; NumSGPRsForWavesPerEU: 41
; NumVGPRsForWavesPerEU: 184
; Occupancy: 8
; WaveLimiterHint : 1
; COMPUTE_PGM_RSRC2:SCRATCH_EN: 1
; COMPUTE_PGM_RSRC2:USER_SGPR: 2
; COMPUTE_PGM_RSRC2:TRAP_HANDLER: 0
; COMPUTE_PGM_RSRC2:TGID_X_EN: 1
; COMPUTE_PGM_RSRC2:TGID_Y_EN: 1
; COMPUTE_PGM_RSRC2:TGID_Z_EN: 1
; COMPUTE_PGM_RSRC2:TIDIG_COMP_CNT: 0
	.text
	.p2align	2                               ; -- Begin function _ZN4vllm22paged_attention_kernelIthLi120ELi32ELi128ELNS_18Fp8KVCacheDataTypeE1ELb0ELi512EEEvPfS2_PT_PKS3_PKT0_S9_ifPKiSB_iPKfiiiSD_SD_iiiii
	.type	_ZN4vllm22paged_attention_kernelIthLi120ELi32ELi128ELNS_18Fp8KVCacheDataTypeE1ELb0ELi512EEEvPfS2_PT_PKS3_PKT0_S9_ifPKiSB_iPKfiiiSD_SD_iiiii,@function
_ZN4vllm22paged_attention_kernelIthLi120ELi32ELi128ELNS_18Fp8KVCacheDataTypeE1ELb0ELi512EEEvPfS2_PT_PKS3_PKT0_S9_ifPKiSB_iPKfiiiSD_SD_iiiii: ; @_ZN4vllm22paged_attention_kernelIthLi120ELi32ELi128ELNS_18Fp8KVCacheDataTypeE1ELb0ELi512EEEvPfS2_PT_PKS3_PKT0_S9_ifPKiSB_iPKfiiiSD_SD_iiiii
; %bb.0:
	s_wait_loadcnt_dscnt 0x0
	s_wait_expcnt 0x0
	s_wait_samplecnt 0x0
	s_wait_bvhcnt 0x0
	s_wait_kmcnt 0x0
	s_and_b32 s13, ttmp7, 0xffff
	s_clause 0x1f
	scratch_store_b32 off, v40, s32 offset:316
	; meta instruction
	scratch_store_b32 off, v41, s32 offset:312
	; meta instruction
	;; [unrolled: 2-line block ×31, first 2 shown]
	scratch_store_b32 off, v95, s32 offset:192
	s_clause 0x1f
	scratch_store_b32 off, v104, s32 offset:188
	; meta instruction
	scratch_store_b32 off, v105, s32 offset:184
	; meta instruction
	;; [unrolled: 2-line block ×31, first 2 shown]
	scratch_store_b32 off, v159, s32 offset:64
	s_clause 0x13
	scratch_store_b32 off, v168, s32 offset:60
	; meta instruction
	scratch_store_b32 off, v169, s32 offset:56
	; meta instruction
	scratch_store_b32 off, v170, s32 offset:52
	; meta instruction
	scratch_store_b32 off, v171, s32 offset:48
	; meta instruction
	scratch_store_b32 off, v172, s32 offset:44
	; meta instruction
	scratch_store_b32 off, v173, s32 offset:40
	; meta instruction
	scratch_store_b32 off, v174, s32 offset:36
	; meta instruction
	scratch_store_b32 off, v175, s32 offset:32
	; meta instruction
	scratch_store_b32 off, v184, s32 offset:28
	; meta instruction
	scratch_store_b32 off, v185, s32 offset:24
	; meta instruction
	scratch_store_b32 off, v186, s32 offset:20
	; meta instruction
	scratch_store_b32 off, v187, s32 offset:16
	; meta instruction
	scratch_store_b32 off, v188, s32 offset:12
	; meta instruction
	scratch_store_b32 off, v189, s32 offset:8
	; meta instruction
	scratch_store_b32 off, v190, s32 offset:4
	; meta instruction
	scratch_store_b32 off, v191, s32
	; meta instruction
	scratch_store_b32 off, v15, s32 offset:320
	scratch_store_b32 off, v14, s32 offset:324
	;; [unrolled: 1-line block ×4, first 2 shown]
	s_wait_alu 0xfffe
	s_lshl_b32 s0, s13, 2
	v_dual_mov_b32 v14, v1 :: v_dual_mov_b32 v15, v0
	s_wait_alu 0xfffe
	v_add_co_u32 v0, vcc_lo, v16, s0
	s_wait_alu 0xfffd
	v_add_co_ci_u32_e64 v1, null, 0, v17, vcc_lo
	s_lshr_b32 s11, ttmp7, 16
	s_mov_b32 s10, exec_lo
	s_wait_alu 0xfffe
	s_lshl_b32 s12, s11, 9
	flat_load_b32 v30, v[0:1]
	s_wait_loadcnt_dscnt 0x0
	s_wait_alu 0xfffe
	v_cmpx_lt_i32_e64 s12, v30
	s_cbranch_execz .LBB305_2024
; %bb.1:
	v_sub_nc_u32_e32 v1, 0, v12
	s_clause 0x1
	scratch_store_b32 off, v4, s32 offset:340
	scratch_store_b32 off, v5, s32 offset:336
	s_clause 0x1
	s_load_u16 s0, s[8:9], 0x12
	s_load_b32 s1, s[8:9], 0x0
	s_mov_b32 s6, s15
	v_max_i32_e32 v1, v12, v1
	s_delay_alu instid0(VALU_DEP_1) | instskip(SKIP_1) | instid1(VALU_DEP_2)
	v_cvt_f32_u32_e32 v4, v1
	v_sub_nc_u32_e32 v5, 0, v1
	v_rcp_iflag_f32_e32 v4, v4
	v_mov_b32_e32 v39, 0
	s_wait_kmcnt 0x0
	s_cmp_lg_u32 s0, 0
	s_cselect_b32 s0, -1, 0
	s_delay_alu instid0(TRANS32_DEP_1)
	v_mul_f32_e32 v4, 0x4f7ffffe, v4
	global_load_u16 v0, v39, s[8:9] offset:22
	s_wait_alu 0xfffe
	s_cmp_lg_u32 s0, 0
	s_add_co_ci_u32 s14, s1, 0
	v_cvt_u32_f32_e32 v4, v4
	s_mov_b32 s1, exec_lo
	s_wait_alu 0xfffe
	s_abs_i32 s0, s14
	s_delay_alu instid0(VALU_DEP_1) | instskip(NEXT) | instid1(VALU_DEP_1)
	v_mul_lo_u32 v5, v5, v4
	v_mul_hi_u32 v5, v4, v5
	s_delay_alu instid0(VALU_DEP_1) | instskip(SKIP_1) | instid1(VALU_DEP_1)
	v_add_nc_u32_e32 v4, v4, v5
	s_wait_alu 0xfffe
	v_mul_hi_u32 v4, s0, v4
	s_delay_alu instid0(VALU_DEP_1) | instskip(SKIP_1) | instid1(VALU_DEP_2)
	v_mul_lo_u32 v5, v4, v1
	v_add_nc_u32_e32 v10, 1, v4
	v_sub_nc_u32_e32 v5, s0, v5
	s_abs_i32 s0, ttmp9
	s_delay_alu instid0(VALU_DEP_1) | instskip(SKIP_2) | instid1(VALU_DEP_2)
	v_sub_nc_u32_e32 v11, v5, v1
	v_cmp_ge_u32_e32 vcc_lo, v5, v1
	s_wait_alu 0xfffd
	v_dual_cndmask_b32 v4, v4, v10 :: v_dual_cndmask_b32 v5, v5, v11
	v_xor_b32_e32 v10, s14, v12
	s_delay_alu instid0(VALU_DEP_2) | instskip(NEXT) | instid1(VALU_DEP_3)
	v_add_nc_u32_e32 v11, 1, v4
	v_cmp_ge_u32_e32 vcc_lo, v5, v1
	s_delay_alu instid0(VALU_DEP_3) | instskip(SKIP_1) | instid1(VALU_DEP_3)
	v_ashrrev_i32_e32 v10, 31, v10
	s_wait_alu 0xfffd
	v_cndmask_b32_e32 v1, v4, v11, vcc_lo
	s_delay_alu instid0(VALU_DEP_1) | instskip(NEXT) | instid1(VALU_DEP_1)
	v_xor_b32_e32 v1, v1, v10
	v_sub_nc_u32_e32 v5, v1, v10
	s_delay_alu instid0(VALU_DEP_1) | instskip(NEXT) | instid1(VALU_DEP_1)
	v_sub_nc_u32_e32 v1, 0, v5
	v_max_i32_e32 v4, v5, v1
	s_delay_alu instid0(VALU_DEP_1) | instskip(SKIP_1) | instid1(VALU_DEP_2)
	v_cvt_f32_u32_e32 v1, v4
	v_sub_nc_u32_e32 v10, 0, v4
	v_rcp_iflag_f32_e32 v1, v1
	s_delay_alu instid0(TRANS32_DEP_1) | instskip(NEXT) | instid1(VALU_DEP_1)
	v_mul_f32_e32 v1, 0x4f7ffffe, v1
	v_cvt_u32_f32_e32 v1, v1
	s_delay_alu instid0(VALU_DEP_1) | instskip(NEXT) | instid1(VALU_DEP_1)
	v_mul_lo_u32 v10, v10, v1
	v_mul_hi_u32 v10, v1, v10
	s_delay_alu instid0(VALU_DEP_1) | instskip(SKIP_1) | instid1(VALU_DEP_1)
	v_add_nc_u32_e32 v1, v1, v10
	s_wait_alu 0xfffe
	v_mad_co_u64_u32 v[16:17], null, s0, v1, 0
	s_wait_loadcnt 0x0
	v_readfirstlane_b32 s15, v0
	v_cmpx_ne_u64_e32 0, v[19:20]
	s_cbranch_execz .LBB305_3
; %bb.2:
	s_mov_b32 s2, ttmp9
	s_ashr_i32 s3, ttmp9, 31
	s_wait_alu 0xfffe
	s_lshl_b64 s[2:3], s[2:3], 2
	s_wait_alu 0xfffe
	v_add_co_u32 v0, vcc_lo, v19, s2
	s_wait_alu 0xfffd
	v_add_co_ci_u32_e64 v1, null, s3, v20, vcc_lo
	flat_load_b32 v39, v[0:1]
.LBB305_3:
	s_or_b32 exec_lo, exec_lo, s1
	v_and_b32_e32 v12, 0x3ff, v31
	v_ashrrev_i32_e32 v5, 31, v5
	s_ashr_i32 s1, ttmp9, 31
	s_mul_i32 s4, ttmp9, 0x78
	s_mov_b32 s2, exec_lo
	v_cmpx_gt_u32_e32 15, v12
	s_cbranch_execz .LBB305_5
; %bb.4:
	v_mul_lo_u32 v0, v21, s13
	s_wait_alu 0xfffe
	s_ashr_i32 s5, s4, 31
	v_lshlrev_b32_e32 v10, 4, v12
	s_wait_alu 0xfffe
	s_lshl_b64 s[16:17], s[4:5], 1
	s_delay_alu instid0(VALU_DEP_2) | instskip(NEXT) | instid1(VALU_DEP_1)
	v_ashrrev_i32_e32 v1, 31, v0
	v_lshlrev_b64_e32 v[0:1], 1, v[0:1]
	s_delay_alu instid0(VALU_DEP_1) | instskip(SKIP_1) | instid1(VALU_DEP_2)
	v_add_co_u32 v0, vcc_lo, v6, v0
	s_wait_alu 0xfffd
	v_add_co_ci_u32_e64 v1, null, v7, v1, vcc_lo
	s_wait_alu 0xfffe
	s_delay_alu instid0(VALU_DEP_2) | instskip(SKIP_1) | instid1(VALU_DEP_2)
	v_add_co_u32 v0, vcc_lo, v0, s16
	s_wait_alu 0xfffd
	v_add_co_ci_u32_e64 v1, null, s17, v1, vcc_lo
	s_delay_alu instid0(VALU_DEP_2) | instskip(SKIP_1) | instid1(VALU_DEP_2)
	v_add_co_u32 v0, vcc_lo, v0, v10
	s_wait_alu 0xfffd
	v_add_co_ci_u32_e64 v1, null, 0, v1, vcc_lo
	flat_load_b128 v[31:34], v[0:1]
	s_wait_loadcnt_dscnt 0x0
	ds_store_b128 v10, v[31:34]
.LBB305_5:
	s_wait_alu 0xfffe
	s_or_b32 exec_lo, exec_lo, s2
	v_mul_lo_u32 v0, v17, v4
	v_dual_mov_b32 v48, 0xff7fffff :: v_dual_add_nc_u32 v7, 31, v30
	v_xor_b32_e32 v5, s1, v5
	s_load_b32 s5, s[8:9], 0x8
	s_lshl_b32 s3, s11, 4
	s_delay_alu instid0(VALU_DEP_2) | instskip(SKIP_1) | instid1(VALU_DEP_4)
	v_ashrrev_i32_e32 v10, 31, v7
	s_mov_b32 s16, exec_lo
	v_sub_nc_u32_e32 v0, s0, v0
	s_wait_alu 0xfffe
	s_add_co_i32 s0, s3, 16
	s_delay_alu instid0(VALU_DEP_1) | instskip(SKIP_2) | instid1(VALU_DEP_2)
	v_sub_nc_u32_e32 v6, v0, v4
	v_cmp_ge_u32_e32 vcc_lo, v0, v4
	s_wait_alu 0xfffd
	v_dual_cndmask_b32 v0, v0, v6 :: v_dual_add_nc_u32 v1, 1, v17
	s_delay_alu instid0(VALU_DEP_1) | instskip(NEXT) | instid1(VALU_DEP_2)
	v_cndmask_b32_e32 v1, v17, v1, vcc_lo
	v_cmp_ge_u32_e32 vcc_lo, v0, v4
	v_lshrrev_b32_e32 v4, 27, v10
	v_mul_lo_u32 v0, v18, s13
	s_delay_alu instid0(VALU_DEP_2) | instskip(SKIP_1) | instid1(VALU_DEP_2)
	v_add_nc_u32_e32 v4, v7, v4
	v_add_nc_u32_e32 v6, 1, v1
	v_ashrrev_i32_e32 v4, 5, v4
	s_wait_alu 0xfffd
	s_delay_alu instid0(VALU_DEP_2) | instskip(SKIP_3) | instid1(VALU_DEP_3)
	v_cndmask_b32_e32 v1, v1, v6, vcc_lo
	v_lshrrev_b32_e32 v6, 5, v12
	s_wait_alu 0xfffe
	v_min_i32_e32 v33, s0, v4
	v_xor_b32_e32 v1, v1, v5
	s_delay_alu instid0(VALU_DEP_3) | instskip(NEXT) | instid1(VALU_DEP_2)
	v_add_nc_u32_e32 v32, s3, v6
	v_sub_nc_u32_e32 v5, v1, v5
	v_ashrrev_i32_e32 v1, 31, v0
	s_delay_alu instid0(VALU_DEP_3) | instskip(NEXT) | instid1(VALU_DEP_3)
	v_cmp_ge_i32_e64 s0, v32, v33
	v_mul_lo_u32 v36, v5, v23
	s_delay_alu instid0(VALU_DEP_3)
	v_lshlrev_b64_e32 v[0:1], 2, v[0:1]
	v_lshlrev_b32_e32 v5, 2, v32
	scratch_store_b32 off, v4, s32 offset:352 ; 4-byte Folded Spill
	v_and_b32_e32 v4, 31, v12
	scratch_store_b64 off, v[0:1], s32 offset:344 ; 8-byte Folded Spill
	v_ashrrev_i32_e32 v0, 31, v36
	v_lshlrev_b32_e32 v18, 2, v4
	s_clause 0x1
	scratch_store_b32 off, v5, s32 offset:356
	scratch_store_b32 off, v0, s32 offset:360
	s_wait_storecnt 0x0
	s_wait_loadcnt_dscnt 0x0
	s_barrier_signal -1
	s_barrier_wait -1
	global_inv scope:SCOPE_SE
	v_cmpx_lt_i32_e64 v32, v33
	s_cbranch_execz .LBB305_969
; %bb.6:
	v_and_b32_e32 v10, 31, v12
	v_ashrrev_i32_e32 v4, 31, v36
	v_add_co_u32 v1, vcc_lo, v8, v36
	s_clause 0x1
	scratch_store_b32 off, v15, s32 offset:368
	scratch_store_b32 off, v14, s32 offset:364
	v_lshlrev_b32_e32 v6, 2, v32
	s_wait_alu 0xfffd
	v_add_co_ci_u32_e64 v4, null, v9, v4, vcc_lo
	v_dual_mov_b32 v9, 0 :: v_dual_lshlrev_b32 v0, 4, v10
	v_lshrrev_b32_e32 v7, 5, v12
	scratch_store_b32 off, v18, s32 offset:372 ; 4-byte Folded Spill
	scratch_load_b32 v8, off, s32 offset:324 ; 4-byte Folded Reload
	s_getpc_b64 s[8:9]
	s_wait_alu 0xfffe
	s_sext_i32_i16 s9, s9
	s_add_co_u32 s8, s8, llvm.amdgcn.dynlds.offset.table@rel32@lo+12
	s_wait_alu 0xfffe
	s_add_co_ci_u32 s9, s9, llvm.amdgcn.dynlds.offset.table@rel32@hi+24
	v_add_co_u32 v0, vcc_lo, v1, v0
	s_wait_alu 0xfffd
	v_add_co_ci_u32_e64 v1, null, 0, v4, vcc_lo
	scratch_load_b64 v[4:5], off, s32 offset:344 ; 8-byte Folded Reload
	s_ashr_i32 s7, s6, 31
	v_sub_nc_u32_e32 v49, 1, v30
	s_wait_alu 0xfffe
	s_lshl_b64 s[18:19], s[6:7], 2
	v_mov_b32_e32 v52, v32
	s_wait_alu 0xfffe
	s_add_nc_u64 s[8:9], s[8:9], s[18:19]
	s_mov_b32 s7, 0
	s_load_b32 s2, s[8:9], 0x0
	s_mov_b32 s8, -1
	s_mov_b32 s9, 0xffffff
	v_cmp_neq_f32_e32 vcc_lo, 0, v39
	v_mov_b32_e32 v48, 0xff7fffff
	s_wait_loadcnt 0x0
	v_add_co_u32 v4, s1, v4, v6
	s_wait_alu 0xf1ff
	v_add_co_ci_u32_e64 v5, null, 0, v5, s1
	v_lshlrev_b32_e32 v6, 5, v7
	v_lshl_or_b32 v7, v7, 7, v18
	v_add_co_u32 v18, s1, v8, v4
	scratch_load_b32 v4, off, s32 offset:320 ; 4-byte Folded Reload
	v_add3_u32 v50, s12, v6, v10
	s_wait_kmcnt 0x0
	v_add_nc_u32_e32 v51, s2, v7
	s_wait_loadcnt 0x0
	s_wait_alu 0xf1ff
	v_add_co_ci_u32_e64 v19, null, v4, v5, s1
	s_branch .LBB305_11
.LBB305_7:                              ;   in Loop: Header=BB305_11 Depth=1
	s_wait_alu 0xfffe
	s_or_b32 exec_lo, exec_lo, s19
	v_lshlrev_b32_e32 v6, 8, v8
	v_lshl_add_u32 v5, v5, 10, 0x2000
	v_lshlrev_b32_e32 v4, 23, v4
	s_delay_alu instid0(VALU_DEP_2) | instskip(NEXT) | instid1(VALU_DEP_1)
	v_and_or_b32 v5, 0x8000, v6, v5
	v_lshl_or_b32 v20, v5, 16, v4
.LBB305_8:                              ;   in Loop: Header=BB305_11 Depth=1
	s_wait_alu 0xfffe
	s_or_b32 exec_lo, exec_lo, s18
.LBB305_9:                              ;   in Loop: Header=BB305_11 Depth=1
	s_wait_alu 0xfffe
	s_or_b32 exec_lo, exec_lo, s17
.LBB305_10:                             ;   in Loop: Header=BB305_11 Depth=1
	s_wait_alu 0xfffe
	s_or_b32 exec_lo, exec_lo, s2
	ds_load_b128 v[4:7], v9
	v_or_b32_e32 v10, v55, v54
	v_or_b32_e32 v8, v66, v64
	;; [unrolled: 1-line block ×4, first 2 shown]
	v_fma_mixlo_f16 v11, v53, v55, 0 op_sel:[0,1,0] op_sel_hi:[0,1,0]
	v_fma_mixlo_f16 v10, v53, v10, 0 op_sel_hi:[0,1,0]
	v_fma_mixlo_f16 v14, v53, v66, 0 op_sel:[0,1,0] op_sel_hi:[0,1,0]
	v_fma_mixlo_f16 v8, v53, v8, 0 op_sel_hi:[0,1,0]
	v_fma_mixlo_f16 v16, v53, v68, 0 op_sel:[0,1,0] op_sel_hi:[0,1,0]
	v_fma_mixlo_f16 v23, v53, v70, 0 op_sel:[0,1,0] op_sel_hi:[0,1,0]
	v_fma_mixlo_f16 v15, v53, v15, 0 op_sel_hi:[0,1,0]
	v_fma_mixlo_f16 v17, v53, v17, 0 op_sel_hi:[0,1,0]
	v_and_b32_e32 v11, 0xffff, v11
	v_and_b32_e32 v10, 0xffff, v10
	;; [unrolled: 1-line block ×3, first 2 shown]
	v_fma_mixlo_f16 v66, v53, v100, 0 op_sel:[0,1,0] op_sel_hi:[0,1,0]
	v_or_b32_e32 v67, v137, v138
	v_or_b32_e32 v28, v29, v28
	v_cmp_lt_i32_e64 s1, v50, v30
	s_wait_dscnt 0x0
	v_and_b32_e32 v21, 0xffff, v4
	v_lshrrev_b32_e32 v4, 16, v4
	v_lshrrev_b32_e32 v31, 16, v5
	;;#ASMSTART
	v_cvt_f32_f16 v21, v21;
	;;#ASMEND
	;;#ASMSTART
	v_cvt_f32_f16 v34, v4;
	;;#ASMEND
	;; [unrolled: 3-line block ×3, first 2 shown]
	v_and_b32_e32 v5, 0xffff, v5
	;;#ASMSTART
	v_cvt_f32_f16 v11, v11;
	;;#ASMEND
	;;#ASMSTART
	v_cvt_f32_f16 v10, v5;
	;;#ASMEND
	v_and_b32_e32 v4, 0xffff, v14
	v_and_b32_e32 v5, 0xffff, v6
	v_lshrrev_b32_e32 v14, 16, v6
	;;#ASMSTART
	v_cvt_f32_f16 v64, v31;
	;;#ASMEND
	;;#ASMSTART
	v_cvt_f32_f16 v6, v8;
	;;#ASMEND
	v_and_b32_e32 v15, 0xffff, v15
	;;#ASMSTART
	v_cvt_f32_f16 v65, v4;
	;;#ASMEND
	;;#ASMSTART
	v_cvt_f32_f16 v141, v5;
	;;#ASMEND
	;; [unrolled: 3-line block ×4, first 2 shown]
	v_and_b32_e32 v4, 0xffff, v16
	v_and_b32_e32 v5, 0xffff, v7
	v_lshrrev_b32_e32 v7, 16, v7
	v_and_b32_e32 v8, 0xffff, v17
	v_and_b32_e32 v14, 0xffff, v23
	;;#ASMSTART
	v_cvt_f32_f16 v143, v4;
	;;#ASMEND
	;;#ASMSTART
	v_cvt_f32_f16 v152, v5;
	;;#ASMEND
	;; [unrolled: 3-line block ×5, first 2 shown]
	ds_load_b128 v[154:157], v9 offset:16
	v_or_b32_e32 v7, v71, v69
	v_fma_mixlo_f16 v8, v53, v71, 0 op_sel:[0,1,0] op_sel_hi:[0,1,0]
	v_or_b32_e32 v4, v82, v80
	v_or_b32_e32 v14, v83, v81
	v_fma_mixlo_f16 v5, v53, v82, 0 op_sel:[0,1,0] op_sel_hi:[0,1,0]
	v_fma_mixlo_f16 v7, v53, v7, 0 op_sel_hi:[0,1,0]
	v_or_b32_e32 v15, v86, v84
	v_fma_mixlo_f16 v4, v53, v4, 0 op_sel_hi:[0,1,0]
	v_fma_mixlo_f16 v17, v53, v86, 0 op_sel:[0,1,0] op_sel_hi:[0,1,0]
	v_fma_mixlo_f16 v14, v53, v14, 0 op_sel_hi:[0,1,0]
	v_and_b32_e32 v7, 0xffff, v7
	v_fma_mixlo_f16 v16, v53, v83, 0 op_sel:[0,1,0] op_sel_hi:[0,1,0]
	v_and_b32_e32 v4, 0xffff, v4
	v_fma_mixlo_f16 v15, v53, v15, 0 op_sel_hi:[0,1,0]
	v_fma_mixlo_f16 v67, v53, v67, 0 op_sel_hi:[0,1,0]
	v_add_nc_u32_e32 v52, 4, v52
	v_add_co_u32 v18, s2, v18, 16
	s_delay_alu instid0(VALU_DEP_4)
	v_and_b32_e32 v15, 0xffff, v15
	s_wait_dscnt 0x0
	v_and_b32_e32 v23, 0xffff, v154
	v_lshrrev_b32_e32 v31, 16, v154
	;;#ASMSTART
	v_cvt_f32_f16 v55, v23;
	;;#ASMEND
	v_and_b32_e32 v23, 0xffff, v8
	;;#ASMSTART
	v_cvt_f32_f16 v70, v31;
	;;#ASMEND
	;;#ASMSTART
	v_cvt_f32_f16 v8, v7;
	;;#ASMEND
	v_dual_mul_f32 v8, v55, v8 :: v_dual_and_b32 v35, 0xffff, v155
	v_lshrrev_b32_e32 v37, 16, v155
	;;#ASMSTART
	v_cvt_f32_f16 v71, v23;
	;;#ASMEND
	;;#ASMSTART
	v_cvt_f32_f16 v80, v35;
	;;#ASMEND
	;; [unrolled: 3-line block ×4, first 2 shown]
	v_fmac_f32_e32 v8, v21, v54
	v_dual_mul_f32 v54, v80, v86 :: v_dual_mul_f32 v55, v70, v71
	v_and_b32_e32 v7, 0xffff, v156
	v_lshrrev_b32_e32 v23, 16, v156
	v_and_b32_e32 v4, 0xffff, v16
	s_delay_alu instid0(VALU_DEP_4)
	v_dual_fmac_f32 v54, v10, v6 :: v_dual_and_b32 v5, 0xffff, v5
	;;#ASMSTART
	v_cvt_f32_f16 v139, v5;
	;;#ASMEND
	v_mul_f32_e32 v21, v81, v139
	v_dual_fmac_f32 v55, v34, v11 :: v_dual_and_b32 v14, 0xffff, v14
	;;#ASMSTART
	v_cvt_f32_f16 v7, v7;
	;;#ASMEND
	;;#ASMSTART
	v_cvt_f32_f16 v82, v23;
	;;#ASMEND
	;;#ASMSTART
	v_cvt_f32_f16 v83, v14;
	;;#ASMEND
	v_and_b32_e32 v5, 0xffff, v157
	v_lshrrev_b32_e32 v14, 16, v157
	;;#ASMSTART
	v_cvt_f32_f16 v84, v4;
	;;#ASMEND
	;;#ASMSTART
	v_cvt_f32_f16 v68, v5;
	;;#ASMEND
	;; [unrolled: 3-line block ×4, first 2 shown]
	v_fmac_f32_e32 v21, v64, v65
	v_and_b32_e32 v16, 0xffff, v17
	;;#ASMSTART
	v_cvt_f32_f16 v35, v16;
	;;#ASMEND
	ds_load_b128 v[154:157], v9 offset:32
	v_or_b32_e32 v4, v98, v96
	v_or_b32_e32 v5, v87, v85
	v_or_b32_e32 v16, v100, v97
	v_or_b32_e32 v17, v112, v101
	v_mul_f32_e32 v65, v7, v83
	v_fma_mixlo_f16 v14, v53, v98, 0 op_sel:[0,1,0] op_sel_hi:[0,1,0]
	v_fma_mixlo_f16 v15, v53, v4, 0 op_sel_hi:[0,1,0]
	v_fma_mixlo_f16 v4, v53, v87, 0 op_sel:[0,1,0] op_sel_hi:[0,1,0]
	v_fma_mixlo_f16 v5, v53, v5, 0 op_sel_hi:[0,1,0]
	v_fma_mixlo_f16 v16, v53, v16, 0 op_sel_hi:[0,1,0]
	v_mul_f32_e32 v69, v69, v35
	v_fma_mixlo_f16 v17, v53, v17, 0 op_sel_hi:[0,1,0]
	v_fmac_f32_e32 v65, v141, v142
	v_fma_mixlo_f16 v85, v53, v112, 0 op_sel:[0,1,0] op_sel_hi:[0,1,0]
	v_and_b32_e32 v5, 0xffff, v5
	v_and_b32_e32 v4, 0xffff, v4
	;; [unrolled: 1-line block ×4, first 2 shown]
	v_fmac_f32_e32 v69, v185, v186
	s_wait_dscnt 0x0
	v_and_b32_e32 v23, 0xffff, v154
	v_lshrrev_b32_e32 v31, 16, v154
	;;#ASMSTART
	v_cvt_f32_f16 v191, v23;
	;;#ASMEND
	v_and_b32_e32 v23, 0xffff, v155
	v_lshrrev_b32_e32 v87, 16, v155
	v_and_b32_e32 v16, 0xffff, v16
	;;#ASMSTART
	v_cvt_f32_f16 v38, v31;
	;;#ASMEND
	;;#ASMSTART
	v_cvt_f32_f16 v31, v5;
	;;#ASMEND
	;; [unrolled: 3-line block ×5, first 2 shown]
	v_and_b32_e32 v87, 0xffff, v156
	v_lshrrev_b32_e32 v96, 16, v156
	;;#ASMSTART
	v_cvt_f32_f16 v23, v15;
	;;#ASMEND
	;;#ASMSTART
	v_cvt_f32_f16 v187, v14;
	;;#ASMEND
	;; [unrolled: 3-line block ×5, first 2 shown]
	v_and_b32_e32 v15, 0xffff, v157
	v_lshrrev_b32_e32 v16, 16, v157
	v_and_b32_e32 v17, 0xffff, v17
	v_dual_fmac_f32 v65, v173, v175 :: v_dual_and_b32 v14, 0xffff, v66
	;;#ASMSTART
	v_cvt_f32_f16 v188, v14;
	;;#ASMEND
	;;#ASMSTART
	v_cvt_f32_f16 v189, v15;
	;;#ASMEND
	;; [unrolled: 3-line block ×4, first 2 shown]
	v_fmac_f32_e32 v55, v38, v5
	v_and_b32_e32 v66, 0xffff, v85
	;;#ASMSTART
	v_cvt_f32_f16 v158, v66;
	;;#ASMEND
	ds_load_b128 v[14:17], v9 offset:48
	v_or_b32_e32 v98, v102, v99
	v_or_b32_e32 v85, v114, v103
	;; [unrolled: 1-line block ×4, first 2 shown]
	v_fma_mixlo_f16 v97, v53, v114, 0 op_sel:[0,1,0] op_sel_hi:[0,1,0]
	v_fma_mixlo_f16 v98, v53, v98, 0 op_sel_hi:[0,1,0]
	v_fma_mixlo_f16 v85, v53, v85, 0 op_sel_hi:[0,1,0]
	v_fma_mixlo_f16 v99, v53, v102, 0 op_sel:[0,1,0] op_sel_hi:[0,1,0]
	v_fma_mixlo_f16 v102, v53, v116, 0 op_sel:[0,1,0] op_sel_hi:[0,1,0]
	v_fma_mixlo_f16 v101, v53, v101, 0 op_sel_hi:[0,1,0]
	v_fma_mixlo_f16 v100, v53, v100, 0 op_sel_hi:[0,1,0]
	v_fma_mixlo_f16 v103, v53, v128, 0 op_sel:[0,1,0] op_sel_hi:[0,1,0]
	v_and_b32_e32 v70, 0xffff, v98
	v_fmac_f32_e32 v69, v157, v158
	v_and_b32_e32 v71, 0xffff, v99
	v_or_b32_e32 v87, v123, v124
	v_or_b32_e32 v96, v127, v136
	;; [unrolled: 1-line block ×4, first 2 shown]
	s_wait_dscnt 0x0
	v_and_b32_e32 v112, 0xffff, v14
	v_lshrrev_b32_e32 v14, 16, v14
	v_and_b32_e32 v80, 0xffff, v15
	v_lshrrev_b32_e32 v15, 16, v15
	;;#ASMSTART
	v_cvt_f32_f16 v159, v112;
	;;#ASMEND
	;;#ASMSTART
	v_cvt_f32_f16 v168, v14;
	;;#ASMEND
	;; [unrolled: 3-line block ×6, first 2 shown]
	v_and_b32_e32 v14, 0xffff, v85
	v_and_b32_e32 v15, 0xffff, v97
	;; [unrolled: 1-line block ×3, first 2 shown]
	v_lshrrev_b32_e32 v16, 16, v16
	;;#ASMSTART
	v_cvt_f32_f16 v172, v14;
	;;#ASMEND
	;;#ASMSTART
	v_cvt_f32_f16 v139, v15;
	;;#ASMEND
	;; [unrolled: 3-line block ×4, first 2 shown]
	v_and_b32_e32 v14, 0xffff, v102
	v_and_b32_e32 v15, 0xffff, v17
	v_lshrrev_b32_e32 v16, 16, v17
	v_and_b32_e32 v17, 0xffff, v101
	v_and_b32_e32 v71, 0xffff, v100
	v_dual_fmac_f32 v55, v168, v170 :: v_dual_and_b32 v70, 0xffff, v103
	v_fma_mixlo_f16 v66, v53, v137, 0 op_sel:[0,1,0] op_sel_hi:[0,1,0]
	;;#ASMSTART
	v_cvt_f32_f16 v137, v71;
	;;#ASMEND
	;;#ASMSTART
	v_cvt_f32_f16 v154, v14;
	;;#ASMEND
	;; [unrolled: 3-line block ×6, first 2 shown]
	ds_load_b128 v[14:17], v9 offset:64
	v_or_b32_e32 v97, v132, v129
	v_or_b32_e32 v85, v130, v119
	v_fma_mixlo_f16 v99, v53, v118, 0 op_sel:[0,1,0] op_sel_hi:[0,1,0]
	v_fma_mixlo_f16 v86, v53, v86, 0 op_sel_hi:[0,1,0]
	v_fma_mixlo_f16 v71, v53, v96, 0 op_sel_hi:[0,1,0]
	;; [unrolled: 1-line block ×3, first 2 shown]
	v_fma_mixlo_f16 v96, v53, v130, 0 op_sel:[0,1,0] op_sel_hi:[0,1,0]
	v_fma_mixlo_f16 v85, v53, v85, 0 op_sel_hi:[0,1,0]
	v_fma_mixlo_f16 v115, v53, v144, 0 op_sel:[0,1,0] op_sel_hi:[0,1,0]
	v_fma_mixlo_f16 v114, v53, v98, 0 op_sel_hi:[0,1,0]
	v_fmac_f32_e32 v69, v102, v103
	v_fma_mixlo_f16 v112, v53, v132, 0 op_sel:[0,1,0] op_sel_hi:[0,1,0]
	v_and_b32_e32 v10, 0xffff, v99
	v_fma_mixlo_f16 v80, v53, v123, 0 op_sel:[0,1,0] op_sel_hi:[0,1,0]
	v_fma_mixlo_f16 v81, v53, v87, 0 op_sel_hi:[0,1,0]
	v_or_b32_e32 v87, v125, v126
	v_or_b32_e32 v34, v134, v131
	v_mul_f32_e32 v64, v82, v84
	v_mul_f32_e32 v68, v68, v37
	s_wait_dscnt 0x0
	v_and_b32_e32 v6, 0xffff, v14
	v_lshrrev_b32_e32 v7, 16, v14
	v_lshrrev_b32_e32 v14, 16, v15
	;;#ASMSTART
	v_cvt_f32_f16 v113, v6;
	;;#ASMEND
	v_and_b32_e32 v6, 0xffff, v86
	v_and_b32_e32 v11, 0xffff, v15
	;;#ASMSTART
	v_cvt_f32_f16 v119, v7;
	;;#ASMEND
	;;#ASMSTART
	v_cvt_f32_f16 v128, v6;
	;;#ASMEND
	;; [unrolled: 3-line block ×5, first 2 shown]
	v_and_b32_e32 v14, 0xffff, v97
	v_and_b32_e32 v6, 0xffff, v85
	;; [unrolled: 1-line block ×4, first 2 shown]
	v_lshrrev_b32_e32 v11, 16, v16
	;;#ASMSTART
	v_cvt_f32_f16 v123, v6;
	;;#ASMEND
	;;#ASMSTART
	v_cvt_f32_f16 v98, v7;
	;;#ASMEND
	;; [unrolled: 3-line block ×5, first 2 shown]
	v_and_b32_e32 v14, 0xffff, v115
	v_and_b32_e32 v6, 0xffff, v112
	;; [unrolled: 1-line block ×3, first 2 shown]
	v_lshrrev_b32_e32 v10, 16, v17
	v_and_b32_e32 v11, 0xffff, v114
	;;#ASMSTART
	v_cvt_f32_f16 v114, v6;
	;;#ASMEND
	;;#ASMSTART
	v_cvt_f32_f16 v115, v7;
	;;#ASMEND
	;; [unrolled: 3-line block ×5, first 2 shown]
	ds_load_b128 v[14:17], v9 offset:80
	v_or_b32_e32 v85, v148, v145
	v_fma_mixlo_f16 v83, v53, v87, 0 op_sel_hi:[0,1,0]
	v_or_b32_e32 v7, v146, v135
	v_or_b32_e32 v87, v160, v149
	v_fma_mixlo_f16 v96, v53, v134, 0 op_sel:[0,1,0] op_sel_hi:[0,1,0]
	v_fma_mixlo_f16 v34, v53, v34, 0 op_sel_hi:[0,1,0]
	v_fma_mixlo_f16 v85, v53, v85, 0 op_sel_hi:[0,1,0]
	v_fma_mixlo_f16 v11, v53, v146, 0 op_sel:[0,1,0] op_sel_hi:[0,1,0]
	v_fma_mixlo_f16 v7, v53, v7, 0 op_sel_hi:[0,1,0]
	v_fma_mixlo_f16 v87, v53, v87, 0 op_sel_hi:[0,1,0]
	v_fma_mixlo_f16 v37, v53, v160, 0 op_sel:[0,1,0] op_sel_hi:[0,1,0]
	v_fma_mixlo_f16 v97, v53, v148, 0 op_sel:[0,1,0] op_sel_hi:[0,1,0]
	v_and_b32_e32 v35, 0xffff, v96
	v_fma_mixlo_f16 v70, v53, v127, 0 op_sel:[0,1,0] op_sel_hi:[0,1,0]
	v_fma_mixlo_f16 v82, v53, v125, 0 op_sel:[0,1,0] op_sel_hi:[0,1,0]
	v_or_b32_e32 v6, v110, v106
	v_fma_mixlo_f16 v84, v53, v110, 0 op_sel:[0,1,0] op_sel_hi:[0,1,0]
	v_fmac_f32_e32 v64, v140, v143
	v_and_b32_e32 v34, 0xffff, v34
	s_wait_dscnt 0x0
	v_and_b32_e32 v112, 0xffff, v14
	v_lshrrev_b32_e32 v14, 16, v14
	v_and_b32_e32 v96, 0xffff, v15
	v_lshrrev_b32_e32 v15, 16, v15
	;;#ASMSTART
	v_cvt_f32_f16 v110, v112;
	;;#ASMEND
	;;#ASMSTART
	v_cvt_f32_f16 v125, v14;
	;;#ASMEND
	;; [unrolled: 3-line block ×6, first 2 shown]
	v_and_b32_e32 v14, 0xffff, v16
	v_lshrrev_b32_e32 v15, 16, v16
	v_and_b32_e32 v16, 0xffff, v85
	v_dual_fmac_f32 v68, v152, v153 :: v_dual_and_b32 v7, 0xffff, v7
	v_and_b32_e32 v11, 0xffff, v11
	;;#ASMSTART
	v_cvt_f32_f16 v142, v7;
	;;#ASMEND
	;;#ASMSTART
	v_cvt_f32_f16 v143, v11;
	;;#ASMEND
	;; [unrolled: 3-line block ×5, first 2 shown]
	v_lshrrev_b32_e32 v14, 16, v17
	v_and_b32_e32 v15, 0xffff, v87
	v_and_b32_e32 v16, 0xffff, v37
	v_or_b32_e32 v10, v94, v95
	v_and_b32_e32 v7, 0xffff, v97
	v_and_b32_e32 v11, 0xffff, v17
	;;#ASMSTART
	v_cvt_f32_f16 v148, v7;
	;;#ASMEND
	;;#ASMSTART
	v_cvt_f32_f16 v149, v11;
	;;#ASMEND
	;; [unrolled: 3-line block ×5, first 2 shown]
	ds_load_b128 v[14:17], v9 offset:96
	v_or_b32_e32 v34, v150, v147
	v_fma_mixlo_f16 v87, v53, v6, 0 op_sel_hi:[0,1,0]
	v_or_b32_e32 v6, v162, v151
	v_or_b32_e32 v35, v164, v161
	;; [unrolled: 1-line block ×3, first 2 shown]
	v_fma_mixlo_f16 v34, v53, v34, 0 op_sel_hi:[0,1,0]
	v_fma_mixlo_f16 v7, v53, v162, 0 op_sel:[0,1,0] op_sel_hi:[0,1,0]
	v_fma_mixlo_f16 v6, v53, v6, 0 op_sel_hi:[0,1,0]
	v_fma_mixlo_f16 v132, v53, v150, 0 op_sel:[0,1,0] op_sel_hi:[0,1,0]
	v_fma_mixlo_f16 v133, v53, v164, 0 op_sel:[0,1,0] op_sel_hi:[0,1,0]
	v_fma_mixlo_f16 v35, v53, v35, 0 op_sel_hi:[0,1,0]
	v_fma_mixlo_f16 v37, v53, v37, 0 op_sel_hi:[0,1,0]
	v_fma_mixlo_f16 v164, v53, v176, 0 op_sel:[0,1,0] op_sel_hi:[0,1,0]
	v_dual_fmac_f32 v54, v4, v23 :: v_dual_and_b32 v5, 0xffff, v34
	v_fma_mixlo_f16 v96, v53, v94, 0 op_sel:[0,1,0] op_sel_hi:[0,1,0]
	v_fma_mixlo_f16 v97, v53, v10, 0 op_sel_hi:[0,1,0]
	v_or_b32_e32 v10, v109, v104
	v_or_b32_e32 v11, v105, v108
	s_wait_dscnt 0x0
	v_and_b32_e32 v131, 0xffff, v14
	v_lshrrev_b32_e32 v4, 16, v14
	;;#ASMSTART
	v_cvt_f32_f16 v131, v131;
	;;#ASMEND
	v_and_b32_e32 v14, 0xffff, v132
	;;#ASMSTART
	v_cvt_f32_f16 v134, v4;
	;;#ASMEND
	;;#ASMSTART
	v_cvt_f32_f16 v135, v5;
	;;#ASMEND
	v_and_b32_e32 v4, 0xffff, v6
	v_and_b32_e32 v5, 0xffff, v7
	;; [unrolled: 1-line block ×3, first 2 shown]
	v_lshrrev_b32_e32 v7, 16, v16
	v_and_b32_e32 v23, 0xffff, v15
	v_lshrrev_b32_e32 v15, 16, v15
	;;#ASMSTART
	v_cvt_f32_f16 v144, v14;
	;;#ASMEND
	;;#ASMSTART
	v_cvt_f32_f16 v145, v23;
	;;#ASMEND
	;; [unrolled: 3-line block ×3, first 2 shown]
	v_and_b32_e32 v14, 0xffff, v35
	;;#ASMSTART
	v_cvt_f32_f16 v147, v4;
	;;#ASMEND
	;;#ASMSTART
	v_cvt_f32_f16 v150, v5;
	;;#ASMEND
	;; [unrolled: 3-line block ×4, first 2 shown]
	v_and_b32_e32 v4, 0xffff, v133
	v_and_b32_e32 v5, 0xffff, v17
	v_lshrrev_b32_e32 v6, 16, v17
	v_and_b32_e32 v7, 0xffff, v37
	;;#ASMSTART
	v_cvt_f32_f16 v162, v14;
	;;#ASMEND
	v_and_b32_e32 v14, 0xffff, v164
	;;#ASMSTART
	v_cvt_f32_f16 v165, v4;
	;;#ASMEND
	;;#ASMSTART
	v_cvt_f32_f16 v176, v5;
	;;#ASMEND
	;; [unrolled: 3-line block ×5, first 2 shown]
	ds_load_b128 v[4:7], v9 offset:112
	v_fma_mixlo_f16 v133, v53, v11, 0 op_sel_hi:[0,1,0]
	v_or_b32_e32 v11, v178, v167
	v_or_b32_e32 v15, v166, v163
	;; [unrolled: 1-line block ×4, first 2 shown]
	v_fmac_f32_e32 v8, v191, v31
	v_fma_mixlo_f16 v14, v53, v178, 0 op_sel:[0,1,0] op_sel_hi:[0,1,0]
	v_fma_mixlo_f16 v11, v53, v11, 0 op_sel_hi:[0,1,0]
	v_fma_mixlo_f16 v31, v53, v166, 0 op_sel:[0,1,0] op_sel_hi:[0,1,0]
	v_fma_mixlo_f16 v15, v53, v15, 0 op_sel_hi:[0,1,0]
	v_fma_mixlo_f16 v16, v53, v16, 0 op_sel_hi:[0,1,0]
	v_fma_mixlo_f16 v34, v53, v180, 0 op_sel:[0,1,0] op_sel_hi:[0,1,0]
	v_fma_mixlo_f16 v17, v53, v17, 0 op_sel_hi:[0,1,0]
	v_fma_mixlo_f16 v35, v53, v40, 0 op_sel:[0,1,0] op_sel_hi:[0,1,0]
	v_and_b32_e32 v15, 0xffff, v15
	v_and_b32_e32 v31, 0xffff, v31
	v_fma_mixlo_f16 v85, v53, v109, 0 op_sel:[0,1,0] op_sel_hi:[0,1,0]
	v_fma_mixlo_f16 v164, v53, v10, 0 op_sel_hi:[0,1,0]
	v_fma_mixlo_f16 v132, v53, v105, 0 op_sel:[0,1,0] op_sel_hi:[0,1,0]
	s_wait_dscnt 0x0
	v_and_b32_e32 v37, 0xffff, v4
	v_lshrrev_b32_e32 v4, 16, v4
	;;#ASMSTART
	v_cvt_f32_f16 v163, v37;
	;;#ASMEND
	v_and_b32_e32 v37, 0xffff, v5
	v_lshrrev_b32_e32 v5, 16, v5
	;;#ASMSTART
	v_cvt_f32_f16 v166, v4;
	;;#ASMEND
	;;#ASMSTART
	v_cvt_f32_f16 v167, v15;
	;;#ASMEND
	;; [unrolled: 3-line block ×5, first 2 shown]
	v_and_b32_e32 v4, 0xffff, v11
	v_and_b32_e32 v5, 0xffff, v14
	v_and_b32_e32 v11, 0xffff, v6
	v_lshrrev_b32_e32 v6, 16, v6
	v_and_b32_e32 v14, 0xffff, v16
	v_or_b32_e32 v10, v93, v90
	v_fma_mixlo_f16 v90, v53, v93, 0 op_sel:[0,1,0] op_sel_hi:[0,1,0]
	v_or_b32_e32 v23, v78, v79
	v_dual_fmac_f32 v21, v184, v187 :: v_dual_fmac_f32 v64, v174, v188
	;;#ASMSTART
	v_cvt_f32_f16 v181, v4;
	;;#ASMEND
	;;#ASMSTART
	v_cvt_f32_f16 v40, v5;
	;;#ASMEND
	;; [unrolled: 3-line block ×5, first 2 shown]
	v_and_b32_e32 v4, 0xffff, v34
	v_and_b32_e32 v5, 0xffff, v7
	v_lshrrev_b32_e32 v6, 16, v7
	v_and_b32_e32 v7, 0xffff, v17
	v_and_b32_e32 v11, 0xffff, v35
	;;#ASMSTART
	v_cvt_f32_f16 v109, v4;
	;;#ASMEND
	;;#ASMSTART
	v_cvt_f32_f16 v173, v5;
	;;#ASMEND
	;; [unrolled: 3-line block ×5, first 2 shown]
	ds_load_b128 v[14:17], v9 offset:128
	v_or_b32_e32 v5, v42, v183
	v_fma_mixlo_f16 v187, v53, v23, 0 op_sel_hi:[0,1,0]
	v_or_b32_e32 v11, v182, v179
	v_or_b32_e32 v31, v56, v45
	v_fma_mixlo_f16 v34, v53, v182, 0 op_sel:[0,1,0] op_sel_hi:[0,1,0]
	v_fma_mixlo_f16 v23, v53, v5, 0 op_sel_hi:[0,1,0]
	v_or_b32_e32 v5, v44, v41
	v_fma_mixlo_f16 v11, v53, v11, 0 op_sel_hi:[0,1,0]
	v_fma_mixlo_f16 v185, v53, v10, 0 op_sel_hi:[0,1,0]
	v_fma_mixlo_f16 v10, v53, v42, 0 op_sel:[0,1,0] op_sel_hi:[0,1,0]
	v_fma_mixlo_f16 v183, v53, v31, 0 op_sel_hi:[0,1,0]
	v_fma_mixlo_f16 v37, v53, v5, 0 op_sel_hi:[0,1,0]
	v_fma_mixlo_f16 v41, v53, v56, 0 op_sel:[0,1,0] op_sel_hi:[0,1,0]
	v_fma_mixlo_f16 v35, v53, v44, 0 op_sel:[0,1,0] op_sel_hi:[0,1,0]
	v_and_b32_e32 v11, 0xffff, v11
	v_and_b32_e32 v34, 0xffff, v34
	v_fma_mixlo_f16 v186, v53, v78, 0 op_sel:[0,1,0] op_sel_hi:[0,1,0]
	v_or_b32_e32 v6, v92, v88
	v_or_b32_e32 v7, v89, v91
	s_wait_dscnt 0x0
	v_and_b32_e32 v5, 0xffff, v14
	v_lshrrev_b32_e32 v14, 16, v14
	v_and_b32_e32 v182, 0xffff, v15
	v_lshrrev_b32_e32 v15, 16, v15
	;;#ASMSTART
	v_cvt_f32_f16 v179, v5;
	;;#ASMEND
	;;#ASMSTART
	v_cvt_f32_f16 v5, v14;
	;;#ASMEND
	;; [unrolled: 3-line block ×6, first 2 shown]
	v_and_b32_e32 v14, 0xffff, v16
	v_lshrrev_b32_e32 v15, 16, v16
	v_and_b32_e32 v16, 0xffff, v37
	v_and_b32_e32 v11, 0xffff, v23
	;; [unrolled: 1-line block ×3, first 2 shown]
	;;#ASMSTART
	v_cvt_f32_f16 v23, v11;
	;;#ASMEND
	;;#ASMSTART
	v_cvt_f32_f16 v56, v10;
	;;#ASMEND
	;; [unrolled: 3-line block ×5, first 2 shown]
	v_lshrrev_b32_e32 v14, 16, v17
	v_and_b32_e32 v15, 0xffff, v183
	v_and_b32_e32 v16, 0xffff, v41
	v_fma_mixlo_f16 v4, v53, v92, 0 op_sel:[0,1,0] op_sel_hi:[0,1,0]
	v_and_b32_e32 v10, 0xffff, v35
	v_and_b32_e32 v11, 0xffff, v17
	;;#ASMSTART
	v_cvt_f32_f16 v92, v10;
	;;#ASMEND
	;;#ASMSTART
	v_cvt_f32_f16 v183, v11;
	;;#ASMEND
	;; [unrolled: 3-line block ×5, first 2 shown]
	ds_load_b128 v[14:17], v9 offset:144
	v_or_b32_e32 v10, v58, v47
	v_or_b32_e32 v34, v46, v43
	;; [unrolled: 1-line block ×4, first 2 shown]
	v_fma_mixlo_f16 v11, v53, v58, 0 op_sel:[0,1,0] op_sel_hi:[0,1,0]
	v_fma_mixlo_f16 v10, v53, v10, 0 op_sel_hi:[0,1,0]
	v_fma_mixlo_f16 v46, v53, v46, 0 op_sel:[0,1,0] op_sel_hi:[0,1,0]
	v_fma_mixlo_f16 v34, v53, v34, 0 op_sel_hi:[0,1,0]
	v_fma_mixlo_f16 v37, v53, v37, 0 op_sel_hi:[0,1,0]
	v_fmac_f32_e32 v8, v159, v169
	v_fma_mixlo_f16 v57, v53, v59, 0 op_sel:[0,1,0] op_sel_hi:[0,1,0]
	v_fma_mixlo_f16 v43, v53, v43, 0 op_sel_hi:[0,1,0]
	v_fma_mixlo_f16 v159, v53, v62, 0 op_sel:[0,1,0] op_sel_hi:[0,1,0]
	v_or_b32_e32 v47, v61, v63
	v_fma_mixlo_f16 v158, v53, v7, 0 op_sel_hi:[0,1,0]
	v_or_b32_e32 v7, v76, v73
	v_and_b32_e32 v34, 0xffff, v34
	v_and_b32_e32 v46, 0xffff, v46
	;; [unrolled: 1-line block ×3, first 2 shown]
	s_wait_dscnt 0x0
	v_and_b32_e32 v58, 0xffff, v14
	v_lshrrev_b32_e32 v14, 16, v14
	v_and_b32_e32 v63, 0xffff, v15
	v_lshrrev_b32_e32 v15, 16, v15
	;;#ASMSTART
	v_cvt_f32_f16 v58, v58;
	;;#ASMEND
	;;#ASMSTART
	v_cvt_f32_f16 v59, v14;
	;;#ASMEND
	;; [unrolled: 3-line block ×6, first 2 shown]
	v_and_b32_e32 v11, 0xffff, v11
	v_and_b32_e32 v14, 0xffff, v16
	v_lshrrev_b32_e32 v15, 16, v16
	v_and_b32_e32 v16, 0xffff, v37
	v_fma_mixlo_f16 v157, v53, v89, 0 op_sel:[0,1,0] op_sel_hi:[0,1,0]
	v_fma_mixlo_f16 v35, v53, v76, 0 op_sel:[0,1,0] op_sel_hi:[0,1,0]
	v_fmac_f32_e32 v65, v124, v137
	v_fmac_f32_e32 v64, v136, v154
	;;#ASMSTART
	v_cvt_f32_f16 v76, v10;
	;;#ASMEND
	;;#ASMSTART
	v_cvt_f32_f16 v89, v11;
	;;#ASMEND
	;; [unrolled: 3-line block ×5, first 2 shown]
	v_and_b32_e32 v10, 0xffff, v57
	v_and_b32_e32 v11, 0xffff, v17
	v_lshrrev_b32_e32 v14, 16, v17
	v_and_b32_e32 v15, 0xffff, v43
	v_and_b32_e32 v16, 0xffff, v159
	v_fmac_f32_e32 v21, v138, v139
	;;#ASMSTART
	v_cvt_f32_f16 v10, v10;
	;;#ASMEND
	;;#ASMSTART
	v_cvt_f32_f16 v11, v11;
	;;#ASMEND
	;; [unrolled: 3-line block ×5, first 2 shown]
	ds_load_b128 v[14:17], v9 offset:160
	v_fma_mixlo_f16 v139, v53, v7, 0 op_sel_hi:[0,1,0]
	v_or_b32_e32 v7, v74, v72
	v_or_b32_e32 v43, v77, v75
	v_fma_mixlo_f16 v61, v53, v61, 0 op_sel:[0,1,0] op_sel_hi:[0,1,0]
	v_fma_mixlo_f16 v154, v53, v74, 0 op_sel:[0,1,0] op_sel_hi:[0,1,0]
	v_fma_mixlo_f16 v72, v53, v47, 0 op_sel_hi:[0,1,0]
	v_fma_mixlo_f16 v74, v53, v7, 0 op_sel_hi:[0,1,0]
	v_or_b32_e32 v7, v120, v107
	v_fmac_f32_e32 v54, v171, v172
	v_fma_mixlo_f16 v107, v53, v43, 0 op_sel_hi:[0,1,0]
	v_fma_mixlo_f16 v77, v53, v77, 0 op_sel:[0,1,0] op_sel_hi:[0,1,0]
	v_fmac_f32_e32 v8, v113, v128
	v_fma_mixlo_f16 v46, v53, v7, 0 op_sel_hi:[0,1,0]
	v_fmac_f32_e32 v55, v119, v129
	v_and_b32_e32 v119, 0xffff, v61
	v_and_b32_e32 v102, 0xffff, v72
	v_fmac_f32_e32 v54, v130, v123
	v_fma_mixlo_f16 v43, v53, v120, 0 op_sel:[0,1,0] op_sel_hi:[0,1,0]
	v_fma_mixlo_f16 v47, v53, v29, 0 op_sel:[0,1,0] op_sel_hi:[0,1,0]
	s_wait_dscnt 0x0
	v_and_b32_e32 v7, 0xffff, v14
	v_lshrrev_b32_e32 v14, 16, v14
	v_and_b32_e32 v128, 0xffff, v15
	v_lshrrev_b32_e32 v15, 16, v15
	;;#ASMSTART
	v_cvt_f32_f16 v7, v7;
	;;#ASMEND
	;;#ASMSTART
	v_cvt_f32_f16 v103, v14;
	;;#ASMEND
	;; [unrolled: 3-line block ×6, first 2 shown]
	v_and_b32_e32 v14, 0xffff, v139
	v_and_b32_e32 v15, 0xffff, v35
	;; [unrolled: 1-line block ×3, first 2 shown]
	v_lshrrev_b32_e32 v16, 16, v16
	v_and_b32_e32 v102, 0xffff, v74
	;;#ASMSTART
	v_cvt_f32_f16 v130, v14;
	;;#ASMEND
	;;#ASMSTART
	v_cvt_f32_f16 v61, v15;
	;;#ASMEND
	;; [unrolled: 3-line block ×4, first 2 shown]
	v_and_b32_e32 v14, 0xffff, v154
	v_and_b32_e32 v15, 0xffff, v17
	v_lshrrev_b32_e32 v16, 16, v17
	v_and_b32_e32 v17, 0xffff, v107
	v_fma_mixlo_f16 v57, v53, v28, 0 op_sel_hi:[0,1,0]
	v_or_b32_e32 v28, v122, v111
	v_fma_mixlo_f16 v29, v53, v122, 0 op_sel:[0,1,0] op_sel_hi:[0,1,0]
	v_or_b32_e32 v122, v20, v121
	;;#ASMSTART
	v_cvt_f32_f16 v75, v102;
	;;#ASMEND
	v_and_b32_e32 v35, 0xffff, v77
	;;#ASMSTART
	v_cvt_f32_f16 v77, v14;
	;;#ASMEND
	;;#ASMSTART
	v_cvt_f32_f16 v107, v15;
	;;#ASMEND
	;; [unrolled: 3-line block ×5, first 2 shown]
	ds_load_b128 v[14:17], v9 offset:176
	v_fmac_f32_e32 v68, v189, v190
	v_fmac_f32_e32 v64, v100, v114
	v_fma_mixlo_f16 v6, v53, v6, 0 op_sel_hi:[0,1,0]
	v_fma_mixlo_f16 v35, v53, v28, 0 op_sel_hi:[0,1,0]
	;; [unrolled: 1-line block ×3, first 2 shown]
	v_fmac_f32_e32 v68, v155, v156
	v_fma_mixlo_f16 v28, v53, v20, 0 op_sel:[0,1,0] op_sel_hi:[0,1,0]
	v_dual_fmac_f32 v21, v86, v98 :: v_dual_fmac_f32 v64, v112, v148
	v_fmac_f32_e32 v65, v99, v101
	s_delay_alu instid0(VALU_DEP_4) | instskip(SKIP_3) | instid1(VALU_DEP_4)
	v_fmac_f32_e32 v68, v115, v117
	v_and_b32_e32 v86, 0xffff, v186
	v_dual_fmac_f32 v69, v116, v118 :: v_dual_and_b32 v4, 0xffff, v4
	v_fmac_f32_e32 v8, v110, v126
	v_fmac_f32_e32 v68, v149, v95
	v_dual_fmac_f32 v55, v125, v127 :: v_dual_fmac_f32 v54, v140, v142
	s_delay_alu instid0(VALU_DEP_4)
	v_fmac_f32_e32 v69, v160, v106
	s_wait_dscnt 0x0
	v_and_b32_e32 v53, 0xffff, v14
	v_lshrrev_b32_e32 v14, 16, v14
	;;#ASMSTART
	v_cvt_f32_f16 v98, v53;
	;;#ASMEND
	v_and_b32_e32 v53, 0xffff, v187
	v_and_b32_e32 v112, 0xffff, v15
	v_lshrrev_b32_e32 v15, 16, v15
	;;#ASMSTART
	v_cvt_f32_f16 v99, v14;
	;;#ASMEND
	;;#ASMSTART
	v_cvt_f32_f16 v100, v53;
	;;#ASMEND
	;; [unrolled: 3-line block ×5, first 2 shown]
	v_and_b32_e32 v14, 0xffff, v185
	v_and_b32_e32 v15, 0xffff, v90
	;; [unrolled: 1-line block ×3, first 2 shown]
	v_lshrrev_b32_e32 v16, 16, v16
	v_and_b32_e32 v86, 0xffff, v6
	;;#ASMSTART
	v_cvt_f32_f16 v115, v14;
	;;#ASMEND
	;;#ASMSTART
	v_cvt_f32_f16 v116, v15;
	;;#ASMEND
	;; [unrolled: 3-line block ×4, first 2 shown]
	v_and_b32_e32 v14, 0xffff, v17
	v_lshrrev_b32_e32 v15, 16, v17
	v_and_b32_e32 v16, 0xffff, v158
	v_and_b32_e32 v17, 0xffff, v157
	;;#ASMSTART
	v_cvt_f32_f16 v86, v86;
	;;#ASMEND
	;;#ASMSTART
	v_cvt_f32_f16 v4, v4;
	;;#ASMEND
	;; [unrolled: 3-line block ×6, first 2 shown]
	ds_load_b128 v[14:17], v9 offset:192
	v_dual_fmac_f32 v8, v131, v135 :: v_dual_fmac_f32 v55, v134, v144
	v_dual_fmac_f32 v54, v145, v147 :: v_dual_and_b32 v135, 0xffff, v164
	s_delay_alu instid0(VALU_DEP_2) | instskip(NEXT) | instid1(VALU_DEP_3)
	v_dual_fmac_f32 v8, v163, v167 :: v_dual_and_b32 v145, 0xffff, v132
	v_fmac_f32_e32 v55, v166, v177
	s_delay_alu instid0(VALU_DEP_3) | instskip(SKIP_2) | instid1(VALU_DEP_4)
	v_fmac_f32_e32 v54, v178, v181
	v_fmac_f32_e32 v64, v161, v165
	;; [unrolled: 1-line block ×3, first 2 shown]
	v_dual_fmac_f32 v8, v179, v31 :: v_dual_fmac_f32 v55, v5, v38
	v_and_b32_e32 v31, 0xffff, v97
	v_and_b32_e32 v38, 0xffff, v96
	v_dual_fmac_f32 v54, v45, v23 :: v_dual_fmac_f32 v69, v94, v108
	v_fmac_f32_e32 v21, v141, v143
	v_fmac_f32_e32 v64, v93, v109
	s_wait_dscnt 0x0
	v_dual_fmac_f32 v68, v173, v175 :: v_dual_and_b32 v5, 0xffff, v14
	v_lshrrev_b32_e32 v14, 16, v14
	v_and_b32_e32 v96, 0xffff, v15
	v_lshrrev_b32_e32 v15, 16, v15
	;;#ASMSTART
	v_cvt_f32_f16 v5, v5;
	;;#ASMEND
	;;#ASMSTART
	v_cvt_f32_f16 v23, v14;
	;;#ASMEND
	;; [unrolled: 3-line block ×6, first 2 shown]
	v_and_b32_e32 v14, 0xffff, v87
	v_and_b32_e32 v15, 0xffff, v84
	;; [unrolled: 1-line block ×3, first 2 shown]
	v_lshrrev_b32_e32 v16, 16, v16
	;;#ASMSTART
	v_cvt_f32_f16 v84, v14;
	;;#ASMEND
	;;#ASMSTART
	v_cvt_f32_f16 v87, v15;
	;;#ASMEND
	;; [unrolled: 3-line block ×4, first 2 shown]
	v_and_b32_e32 v14, 0xffff, v85
	v_and_b32_e32 v15, 0xffff, v17
	v_lshrrev_b32_e32 v16, 16, v17
	v_and_b32_e32 v17, 0xffff, v133
	;;#ASMSTART
	v_cvt_f32_f16 v135, v135;
	;;#ASMEND
	;;#ASMSTART
	v_cvt_f32_f16 v85, v14;
	;;#ASMEND
	;; [unrolled: 3-line block ×6, first 2 shown]
	ds_load_b128 v[14:17], v9 offset:208
	v_fmac_f32_e32 v69, v174, v184
	v_dual_fmac_f32 v8, v58, v60 :: v_dual_fmac_f32 v65, v152, v153
	v_fmac_f32_e32 v55, v59, v62
	v_dual_fmac_f32 v21, v146, v150 :: v_dual_fmac_f32 v64, v88, v92
	s_delay_alu instid0(VALU_DEP_4) | instskip(NEXT) | instid1(VALU_DEP_4)
	v_dual_fmac_f32 v68, v183, v42 :: v_dual_fmac_f32 v69, v41, v44
	v_fmac_f32_e32 v8, v7, v113
	v_fmac_f32_e32 v65, v151, v162
	;; [unrolled: 1-line block ×6, first 2 shown]
	v_and_b32_e32 v11, 0xffff, v81
	v_fmac_f32_e32 v69, v34, v138
	v_fmac_f32_e32 v8, v98, v100
	v_and_b32_e32 v98, 0xffff, v71
	v_and_b32_e32 v100, 0xffff, v82
	s_wait_dscnt 0x0
	v_and_b32_e32 v7, 0xffff, v14
	v_lshrrev_b32_e32 v10, 16, v14
	v_and_b32_e32 v14, 0xffff, v80
	v_and_b32_e32 v37, 0xffff, v15
	v_lshrrev_b32_e32 v15, 16, v15
	;;#ASMSTART
	v_cvt_f32_f16 v7, v7;
	;;#ASMEND
	;;#ASMSTART
	v_cvt_f32_f16 v10, v10;
	;;#ASMEND
	;; [unrolled: 3-line block ×6, first 2 shown]
	v_and_b32_e32 v14, 0xffff, v67
	v_and_b32_e32 v15, 0xffff, v66
	;; [unrolled: 1-line block ×3, first 2 shown]
	v_lshrrev_b32_e32 v16, 16, v16
	;;#ASMSTART
	v_cvt_f32_f16 v66, v14;
	;;#ASMEND
	;;#ASMSTART
	v_cvt_f32_f16 v67, v15;
	;;#ASMEND
	;; [unrolled: 3-line block ×4, first 2 shown]
	v_and_b32_e32 v14, 0xffff, v70
	v_and_b32_e32 v15, 0xffff, v17
	v_lshrrev_b32_e32 v16, 16, v17
	v_and_b32_e32 v17, 0xffff, v83
	v_fmac_f32_e32 v65, v79, v105
	v_fmac_f32_e32 v55, v99, v101
	;;#ASMSTART
	v_cvt_f32_f16 v98, v98;
	;;#ASMEND
	;;#ASMSTART
	v_cvt_f32_f16 v70, v14;
	;;#ASMEND
	;; [unrolled: 3-line block ×6, first 2 shown]
	ds_load_b128 v[14:17], v9 offset:224
	v_fmac_f32_e32 v21, v182, v56
	v_dual_fmac_f32 v54, v63, v76 :: v_dual_fmac_f32 v65, v78, v91
	v_dual_fmac_f32 v8, v5, v31 :: v_dual_fmac_f32 v55, v23, v38
	s_delay_alu instid0(VALU_DEP_2) | instskip(NEXT) | instid1(VALU_DEP_3)
	v_dual_fmac_f32 v21, v73, v89 :: v_dual_fmac_f32 v54, v128, v130
	v_fmac_f32_e32 v65, v124, v137
	v_fmac_f32_e32 v64, v74, v77
	s_delay_alu instid0(VALU_DEP_3) | instskip(NEXT) | instid1(VALU_DEP_4)
	v_dual_fmac_f32 v8, v7, v11 :: v_dual_fmac_f32 v21, v129, v61
	v_fmac_f32_e32 v54, v112, v115
	s_delay_alu instid0(VALU_DEP_4) | instskip(NEXT) | instid1(VALU_DEP_4)
	v_fmac_f32_e32 v65, v72, v75
	v_dual_fmac_f32 v55, v10, v34 :: v_dual_fmac_f32 v64, v53, v4
	s_delay_alu instid0(VALU_DEP_4) | instskip(NEXT) | instid1(VALU_DEP_3)
	v_fmac_f32_e32 v21, v114, v116
	v_dual_fmac_f32 v54, v96, v84 :: v_dual_fmac_f32 v65, v6, v86
	v_and_b32_e32 v6, 0xffff, v57
	s_wait_dscnt 0x0
	v_and_b32_e32 v4, 0xffff, v14
	v_lshrrev_b32_e32 v5, 16, v14
	v_and_b32_e32 v7, 0xffff, v47
	v_fmac_f32_e32 v21, v97, v87
	v_fmac_f32_e32 v54, v37, v66
	;;#ASMSTART
	v_cvt_f32_f16 v4, v4;
	;;#ASMEND
	;;#ASMSTART
	v_cvt_f32_f16 v5, v5;
	;;#ASMEND
	;; [unrolled: 3-line block ×4, first 2 shown]
	v_dual_fmac_f32 v8, v4, v6 :: v_dual_fmac_f32 v55, v5, v7
	v_and_b32_e32 v4, 0xffff, v15
	v_lshrrev_b32_e32 v6, 16, v15
	;;#ASMSTART
	v_cvt_f32_f16 v4, v4;
	;;#ASMEND
	v_fmac_f32_e32 v68, v107, v120
	v_fmac_f32_e32 v65, v131, v135
	v_dual_fmac_f32 v21, v80, v67 :: v_dual_and_b32 v10, 0xffff, v46
	;;#ASMSTART
	v_cvt_f32_f16 v5, v6;
	;;#ASMEND
	;;#ASMSTART
	v_cvt_f32_f16 v6, v10;
	;;#ASMEND
	v_fmac_f32_e32 v54, v4, v6
	v_dual_add_f32 v4, v8, v55 :: v_dual_fmac_f32 v69, v111, v121
	v_fmac_f32_e32 v68, v117, v148
	v_dual_fmac_f32 v64, v134, v85 :: v_dual_fmac_f32 v65, v71, v98
	v_and_b32_e32 v11, 0xffff, v43
	;;#ASMSTART
	v_cvt_f32_f16 v7, v11;
	;;#ASMEND
	v_dual_fmac_f32 v21, v5, v7 :: v_dual_add_f32 v4, v4, v54
	v_and_b32_e32 v5, 0xffff, v16
	v_lshrrev_b32_e32 v6, 16, v16
	v_and_b32_e32 v7, 0xffff, v35
	v_dual_fmac_f32 v69, v118, v149 :: v_dual_fmac_f32 v68, v132, v144
	v_fmac_f32_e32 v64, v81, v70
	;;#ASMSTART
	v_cvt_f32_f16 v5, v5;
	;;#ASMEND
	;;#ASMSTART
	v_cvt_f32_f16 v6, v6;
	;;#ASMEND
	;; [unrolled: 3-line block ×3, first 2 shown]
	v_fmac_f32_e32 v65, v5, v7
	v_add_f32_e32 v4, v21, v4
	v_and_b32_e32 v8, 0xffff, v29
	v_add_nc_u32_e32 v20, v49, v50
	v_dual_fmac_f32 v69, v133, v145 :: v_dual_fmac_f32 v68, v82, v99
	;;#ASMSTART
	v_cvt_f32_f16 v8, v8;
	;;#ASMEND
	s_delay_alu instid0(VALU_DEP_3)
	v_fmac_f32_e32 v64, v6, v8
	v_add_f32_e32 v4, v4, v65
	v_and_b32_e32 v5, 0xffff, v17
	v_lshrrev_b32_e32 v7, 16, v17
	v_cvt_f32_i32_e32 v20, v20
	v_dual_fmac_f32 v69, v83, v100 :: v_dual_and_b32 v10, 0xffff, v102
	;;#ASMSTART
	v_cvt_f32_f16 v5, v5;
	;;#ASMEND
	;;#ASMSTART
	v_cvt_f32_f16 v6, v7;
	;;#ASMEND
	;; [unrolled: 3-line block ×3, first 2 shown]
	v_fmac_f32_e32 v68, v5, v7
	v_add_f32_e32 v4, v64, v4
	v_and_b32_e32 v8, 0xffff, v28
	v_mul_f32_e32 v5, v39, v20
	;;#ASMSTART
	v_cvt_f32_f16 v7, v8;
	;;#ASMEND
	s_delay_alu instid0(VALU_DEP_3)
	v_dual_fmac_f32 v69, v6, v7 :: v_dual_add_f32 v4, v4, v68
	s_wait_alu 0xf1ff
	v_add_co_ci_u32_e64 v19, null, 0, v19, s2
	s_wait_alu 0xfffd
	v_dual_cndmask_b32 v5, 0, v5 :: v_dual_add_nc_u32 v50, 0x80, v50
	v_add_f32_e32 v4, v69, v4
	s_delay_alu instid0(VALU_DEP_1) | instskip(SKIP_1) | instid1(VALU_DEP_2)
	v_fmac_f32_e32 v5, v13, v4
	v_max_num_f32_e32 v4, v48, v48
	v_cndmask_b32_e64 v6, 0, v5, s1
	s_delay_alu instid0(VALU_DEP_2)
	v_max_num_f32_e32 v4, v4, v5
	ds_store_b32 v51, v6
	v_cndmask_b32_e64 v48, v48, v4, s1
	v_cmp_ge_i32_e64 s1, v52, v33
	v_add_nc_u32_e32 v51, 0x200, v51
	s_or_b32 s7, s1, s7
	s_wait_alu 0xfffe
	s_and_not1_b32 exec_lo, exec_lo, s7
	s_cbranch_execz .LBB305_968
.LBB305_11:                             ; =>This Inner Loop Header: Depth=1
	flat_load_b32 v4, v[18:19]
	v_mov_b32_e32 v54, 0
	s_mov_b32 s2, exec_lo
	s_wait_loadcnt_dscnt 0x0
	v_mad_co_i64_i32 v[20:21], null, v4, v22, v[0:1]
	flat_load_b64 v[28:29], v[20:21]
	flat_load_b32 v53, v[24:25]
	s_wait_loadcnt_dscnt 0x101
	v_and_b32_e32 v4, 0xff, v28
	s_delay_alu instid0(VALU_DEP_1)
	v_cmpx_ne_u16_e32 0, v4
	s_cbranch_execz .LBB305_19
; %bb.12:                               ;   in Loop: Header=BB305_11 Depth=1
	v_mov_b32_e32 v54, 0x8000
	s_mov_b32 s17, exec_lo
	v_cmpx_ne_u16_e32 0x80, v4
	s_cbranch_execz .LBB305_18
; %bb.13:                               ;   in Loop: Header=BB305_11 Depth=1
	v_and_b32_e32 v6, 0x7f, v28
	v_mov_b32_e32 v54, 0x7c01
	s_mov_b32 s18, exec_lo
	s_delay_alu instid0(VALU_DEP_2)
	v_cmpx_ne_u32_e32 0x7f, v6
	s_cbranch_execz .LBB305_17
; %bb.14:                               ;   in Loop: Header=BB305_11 Depth=1
	v_and_b32_e32 v4, 7, v28
	v_lshrrev_b32_e32 v5, 3, v6
	s_mov_b32 s19, exec_lo
	v_cmpx_gt_u32_e32 8, v6
; %bb.15:                               ;   in Loop: Header=BB305_11 Depth=1
	s_delay_alu instid0(VALU_DEP_3) | instskip(NEXT) | instid1(VALU_DEP_1)
	v_clz_i32_u32_e32 v4, v4
	v_min_u32_e32 v6, 32, v4
	s_delay_alu instid0(VALU_DEP_1) | instskip(NEXT) | instid1(VALU_DEP_1)
	v_subrev_nc_u32_e32 v4, 28, v6
	v_lshlrev_b64_e32 v[4:5], v4, v[28:29]
	v_sub_nc_u32_e32 v5, 29, v6
	s_delay_alu instid0(VALU_DEP_2)
	v_and_b32_e32 v4, 7, v4
; %bb.16:                               ;   in Loop: Header=BB305_11 Depth=1
	s_wait_alu 0xfffe
	s_or_b32 exec_lo, exec_lo, s19
	v_lshlrev_b32_e32 v6, 8, v28
	v_lshl_add_u32 v5, v5, 10, 0x2000
	v_lshlrev_b32_e32 v4, 7, v4
	s_delay_alu instid0(VALU_DEP_3) | instskip(NEXT) | instid1(VALU_DEP_3)
	v_and_b32_e32 v6, 0x8000, v6
	v_and_b32_e32 v5, 0xfc00, v5
	s_delay_alu instid0(VALU_DEP_1)
	v_or3_b32 v54, v6, v5, v4
.LBB305_17:                             ;   in Loop: Header=BB305_11 Depth=1
	s_wait_alu 0xfffe
	s_or_b32 exec_lo, exec_lo, s18
.LBB305_18:                             ;   in Loop: Header=BB305_11 Depth=1
	s_wait_alu 0xfffe
	s_or_b32 exec_lo, exec_lo, s17
.LBB305_19:                             ;   in Loop: Header=BB305_11 Depth=1
	s_wait_alu 0xfffe
	s_or_b32 exec_lo, exec_lo, s2
	v_lshrrev_b16 v8, 8, v28
	v_dual_mov_b32 v64, 0 :: v_dual_mov_b32 v55, 0
	s_mov_b32 s2, exec_lo
	s_delay_alu instid0(VALU_DEP_2)
	v_cmpx_ne_u16_e32 0, v8
	s_cbranch_execz .LBB305_27
; %bb.20:                               ;   in Loop: Header=BB305_11 Depth=1
	v_bfrev_b32_e32 v55, 1
	s_mov_b32 s17, exec_lo
	v_cmpx_ne_u16_e32 0x80, v8
	s_cbranch_execz .LBB305_26
; %bb.21:                               ;   in Loop: Header=BB305_11 Depth=1
	v_and_b32_e32 v4, 0xffff, v8
	v_mov_b32_e32 v55, 0x7c010000
	s_mov_b32 s18, exec_lo
	s_delay_alu instid0(VALU_DEP_2) | instskip(NEXT) | instid1(VALU_DEP_1)
	v_and_b32_e32 v7, 0x7f, v4
	v_cmpx_ne_u32_e32 0x7f, v7
	s_cbranch_execz .LBB305_25
; %bb.22:                               ;   in Loop: Header=BB305_11 Depth=1
	v_and_b32_e32 v5, 7, v4
	v_lshrrev_b32_e32 v6, 3, v7
	s_mov_b32 s19, exec_lo
	v_cmpx_gt_u32_e32 8, v7
; %bb.23:                               ;   in Loop: Header=BB305_11 Depth=1
	s_delay_alu instid0(VALU_DEP_3) | instskip(NEXT) | instid1(VALU_DEP_1)
	v_clz_i32_u32_e32 v5, v5
	v_min_u32_e32 v7, 32, v5
	s_delay_alu instid0(VALU_DEP_1) | instskip(NEXT) | instid1(VALU_DEP_1)
	v_subrev_nc_u32_e32 v5, 28, v7
	v_lshlrev_b64_e32 v[5:6], v5, v[8:9]
	v_sub_nc_u32_e32 v6, 29, v7
	s_delay_alu instid0(VALU_DEP_2)
	v_and_b32_e32 v5, 7, v5
; %bb.24:                               ;   in Loop: Header=BB305_11 Depth=1
	s_wait_alu 0xfffe
	s_or_b32 exec_lo, exec_lo, s19
	v_lshlrev_b32_e32 v4, 8, v4
	v_lshl_add_u32 v6, v6, 10, 0x2000
	v_lshlrev_b32_e32 v5, 23, v5
	s_delay_alu instid0(VALU_DEP_2) | instskip(NEXT) | instid1(VALU_DEP_1)
	v_and_or_b32 v4, 0x8000, v4, v6
	v_lshl_or_b32 v55, v4, 16, v5
.LBB305_25:                             ;   in Loop: Header=BB305_11 Depth=1
	s_wait_alu 0xfffe
	s_or_b32 exec_lo, exec_lo, s18
.LBB305_26:                             ;   in Loop: Header=BB305_11 Depth=1
	s_wait_alu 0xfffe
	s_or_b32 exec_lo, exec_lo, s17
.LBB305_27:                             ;   in Loop: Header=BB305_11 Depth=1
	s_wait_alu 0xfffe
	s_or_b32 exec_lo, exec_lo, s2
	v_lshrrev_b32_e32 v8, 16, v28
	s_mov_b32 s2, exec_lo
	s_delay_alu instid0(VALU_DEP_1) | instskip(NEXT) | instid1(VALU_DEP_1)
	v_and_b32_e32 v4, 0xff, v8
	v_cmpx_ne_u16_e32 0, v4
	s_cbranch_execz .LBB305_35
; %bb.28:                               ;   in Loop: Header=BB305_11 Depth=1
	v_mov_b32_e32 v64, 0x8000
	s_mov_b32 s17, exec_lo
	v_cmpx_ne_u16_e32 0x80, v4
	s_cbranch_execz .LBB305_34
; %bb.29:                               ;   in Loop: Header=BB305_11 Depth=1
	v_bfe_u32 v6, v28, 16, 7
	v_mov_b32_e32 v64, 0x7c01
	s_mov_b32 s18, exec_lo
	s_delay_alu instid0(VALU_DEP_2)
	v_cmpx_ne_u32_e32 0x7f, v6
	s_cbranch_execz .LBB305_33
; %bb.30:                               ;   in Loop: Header=BB305_11 Depth=1
	v_and_b32_e32 v4, 7, v8
	v_lshrrev_b32_e32 v5, 3, v6
	s_mov_b32 s19, exec_lo
	v_cmpx_gt_u32_e32 8, v6
; %bb.31:                               ;   in Loop: Header=BB305_11 Depth=1
	s_delay_alu instid0(VALU_DEP_3) | instskip(NEXT) | instid1(VALU_DEP_1)
	v_clz_i32_u32_e32 v4, v4
	v_min_u32_e32 v6, 32, v4
	s_delay_alu instid0(VALU_DEP_1) | instskip(NEXT) | instid1(VALU_DEP_1)
	v_subrev_nc_u32_e32 v4, 28, v6
	v_lshlrev_b64_e32 v[4:5], v4, v[8:9]
	v_sub_nc_u32_e32 v5, 29, v6
	s_delay_alu instid0(VALU_DEP_2)
	v_and_b32_e32 v4, 7, v4
; %bb.32:                               ;   in Loop: Header=BB305_11 Depth=1
	s_wait_alu 0xfffe
	s_or_b32 exec_lo, exec_lo, s19
	v_lshlrev_b32_e32 v6, 8, v8
	v_lshl_add_u32 v5, v5, 10, 0x2000
	v_lshlrev_b32_e32 v4, 7, v4
	s_delay_alu instid0(VALU_DEP_3) | instskip(NEXT) | instid1(VALU_DEP_3)
	v_and_b32_e32 v6, 0x8000, v6
	v_and_b32_e32 v5, 0xfc00, v5
	s_delay_alu instid0(VALU_DEP_1)
	v_or3_b32 v64, v6, v5, v4
.LBB305_33:                             ;   in Loop: Header=BB305_11 Depth=1
	s_wait_alu 0xfffe
	s_or_b32 exec_lo, exec_lo, s18
.LBB305_34:                             ;   in Loop: Header=BB305_11 Depth=1
	s_wait_alu 0xfffe
	s_or_b32 exec_lo, exec_lo, s17
.LBB305_35:                             ;   in Loop: Header=BB305_11 Depth=1
	s_wait_alu 0xfffe
	s_or_b32 exec_lo, exec_lo, s2
	v_dual_mov_b32 v65, 0 :: v_dual_mov_b32 v66, 0
	s_mov_b32 s2, exec_lo
	v_cmpx_lt_u32_e32 0xffffff, v28
	s_cbranch_execz .LBB305_43
; %bb.36:                               ;   in Loop: Header=BB305_11 Depth=1
	v_lshrrev_b32_e32 v8, 24, v28
	v_bfrev_b32_e32 v66, 1
	s_mov_b32 s17, exec_lo
	s_delay_alu instid0(VALU_DEP_2)
	v_cmpx_ne_u32_e32 0x80, v8
	s_cbranch_execz .LBB305_42
; %bb.37:                               ;   in Loop: Header=BB305_11 Depth=1
	v_and_b32_e32 v6, 0x7f, v8
	v_mov_b32_e32 v66, 0x7c010000
	s_mov_b32 s18, exec_lo
	s_delay_alu instid0(VALU_DEP_2)
	v_cmpx_ne_u32_e32 0x7f, v6
	s_cbranch_execz .LBB305_41
; %bb.38:                               ;   in Loop: Header=BB305_11 Depth=1
	v_and_b32_e32 v4, 7, v8
	v_lshrrev_b32_e32 v5, 3, v6
	s_mov_b32 s19, exec_lo
	v_cmpx_gt_u32_e32 8, v6
; %bb.39:                               ;   in Loop: Header=BB305_11 Depth=1
	s_delay_alu instid0(VALU_DEP_3) | instskip(NEXT) | instid1(VALU_DEP_1)
	v_clz_i32_u32_e32 v4, v4
	v_min_u32_e32 v6, 32, v4
	s_delay_alu instid0(VALU_DEP_1) | instskip(NEXT) | instid1(VALU_DEP_1)
	v_subrev_nc_u32_e32 v4, 28, v6
	v_lshlrev_b64_e32 v[4:5], v4, v[8:9]
	v_sub_nc_u32_e32 v5, 29, v6
	s_delay_alu instid0(VALU_DEP_2)
	v_and_b32_e32 v4, 7, v4
; %bb.40:                               ;   in Loop: Header=BB305_11 Depth=1
	s_wait_alu 0xfffe
	s_or_b32 exec_lo, exec_lo, s19
	v_lshlrev_b32_e32 v6, 8, v8
	v_lshl_add_u32 v5, v5, 10, 0x2000
	v_lshlrev_b32_e32 v4, 23, v4
	s_delay_alu instid0(VALU_DEP_2) | instskip(NEXT) | instid1(VALU_DEP_1)
	v_and_or_b32 v5, 0x8000, v6, v5
	v_lshl_or_b32 v66, v5, 16, v4
.LBB305_41:                             ;   in Loop: Header=BB305_11 Depth=1
	s_wait_alu 0xfffe
	s_or_b32 exec_lo, exec_lo, s18
.LBB305_42:                             ;   in Loop: Header=BB305_11 Depth=1
	s_wait_alu 0xfffe
	s_or_b32 exec_lo, exec_lo, s17
.LBB305_43:                             ;   in Loop: Header=BB305_11 Depth=1
	s_wait_alu 0xfffe
	s_or_b32 exec_lo, exec_lo, s2
	v_and_b32_e32 v4, 0xff, v29
	v_mov_b32_e32 v8, v29
	s_mov_b32 s2, exec_lo
	s_delay_alu instid0(VALU_DEP_2)
	v_cmpx_ne_u16_e32 0, v4
	s_cbranch_execz .LBB305_51
; %bb.44:                               ;   in Loop: Header=BB305_11 Depth=1
	v_mov_b32_e32 v65, 0x8000
	s_mov_b32 s17, exec_lo
	v_cmpx_ne_u16_e32 0x80, v4
	s_cbranch_execz .LBB305_50
; %bb.45:                               ;   in Loop: Header=BB305_11 Depth=1
	v_and_b32_e32 v6, 0x7f, v29
	v_mov_b32_e32 v65, 0x7c01
	s_mov_b32 s18, exec_lo
	s_delay_alu instid0(VALU_DEP_2)
	v_cmpx_ne_u32_e32 0x7f, v6
	s_cbranch_execz .LBB305_49
; %bb.46:                               ;   in Loop: Header=BB305_11 Depth=1
	v_and_b32_e32 v4, 7, v29
	v_lshrrev_b32_e32 v5, 3, v6
	s_mov_b32 s19, exec_lo
	v_cmpx_gt_u32_e32 8, v6
; %bb.47:                               ;   in Loop: Header=BB305_11 Depth=1
	s_delay_alu instid0(VALU_DEP_3) | instskip(NEXT) | instid1(VALU_DEP_1)
	v_clz_i32_u32_e32 v4, v4
	v_min_u32_e32 v6, 32, v4
	s_delay_alu instid0(VALU_DEP_1) | instskip(NEXT) | instid1(VALU_DEP_1)
	v_subrev_nc_u32_e32 v4, 28, v6
	v_lshlrev_b64_e32 v[4:5], v4, v[8:9]
	v_sub_nc_u32_e32 v5, 29, v6
	s_delay_alu instid0(VALU_DEP_2)
	v_and_b32_e32 v4, 7, v4
; %bb.48:                               ;   in Loop: Header=BB305_11 Depth=1
	s_wait_alu 0xfffe
	s_or_b32 exec_lo, exec_lo, s19
	v_lshlrev_b32_e32 v6, 8, v29
	v_lshl_add_u32 v5, v5, 10, 0x2000
	v_lshlrev_b32_e32 v4, 7, v4
	s_delay_alu instid0(VALU_DEP_3) | instskip(NEXT) | instid1(VALU_DEP_3)
	v_and_b32_e32 v6, 0x8000, v6
	v_and_b32_e32 v5, 0xfc00, v5
	s_delay_alu instid0(VALU_DEP_1)
	v_or3_b32 v65, v6, v5, v4
.LBB305_49:                             ;   in Loop: Header=BB305_11 Depth=1
	s_wait_alu 0xfffe
	s_or_b32 exec_lo, exec_lo, s18
.LBB305_50:                             ;   in Loop: Header=BB305_11 Depth=1
	s_wait_alu 0xfffe
	s_or_b32 exec_lo, exec_lo, s17
.LBB305_51:                             ;   in Loop: Header=BB305_11 Depth=1
	s_wait_alu 0xfffe
	s_or_b32 exec_lo, exec_lo, s2
	v_lshrrev_b16 v8, 8, v8
	v_dual_mov_b32 v67, 0 :: v_dual_mov_b32 v68, 0
	s_mov_b32 s2, exec_lo
	s_delay_alu instid0(VALU_DEP_2)
	v_cmpx_ne_u16_e32 0, v8
	s_cbranch_execz .LBB305_59
; %bb.52:                               ;   in Loop: Header=BB305_11 Depth=1
	v_bfrev_b32_e32 v68, 1
	s_mov_b32 s17, exec_lo
	v_cmpx_ne_u16_e32 0x80, v8
	s_cbranch_execz .LBB305_58
; %bb.53:                               ;   in Loop: Header=BB305_11 Depth=1
	v_and_b32_e32 v4, 0xffff, v8
	v_mov_b32_e32 v68, 0x7c010000
	s_mov_b32 s18, exec_lo
	s_delay_alu instid0(VALU_DEP_2) | instskip(NEXT) | instid1(VALU_DEP_1)
	v_and_b32_e32 v7, 0x7f, v4
	v_cmpx_ne_u32_e32 0x7f, v7
	s_cbranch_execz .LBB305_57
; %bb.54:                               ;   in Loop: Header=BB305_11 Depth=1
	v_and_b32_e32 v5, 7, v4
	v_lshrrev_b32_e32 v6, 3, v7
	s_mov_b32 s19, exec_lo
	v_cmpx_gt_u32_e32 8, v7
; %bb.55:                               ;   in Loop: Header=BB305_11 Depth=1
	s_delay_alu instid0(VALU_DEP_3) | instskip(NEXT) | instid1(VALU_DEP_1)
	v_clz_i32_u32_e32 v5, v5
	v_min_u32_e32 v7, 32, v5
	s_delay_alu instid0(VALU_DEP_1) | instskip(NEXT) | instid1(VALU_DEP_1)
	v_subrev_nc_u32_e32 v5, 28, v7
	v_lshlrev_b64_e32 v[5:6], v5, v[8:9]
	v_sub_nc_u32_e32 v6, 29, v7
	s_delay_alu instid0(VALU_DEP_2)
	v_and_b32_e32 v5, 7, v5
; %bb.56:                               ;   in Loop: Header=BB305_11 Depth=1
	s_wait_alu 0xfffe
	s_or_b32 exec_lo, exec_lo, s19
	v_lshlrev_b32_e32 v4, 8, v4
	v_lshl_add_u32 v6, v6, 10, 0x2000
	v_lshlrev_b32_e32 v5, 23, v5
	s_delay_alu instid0(VALU_DEP_2) | instskip(NEXT) | instid1(VALU_DEP_1)
	v_and_or_b32 v4, 0x8000, v4, v6
	v_lshl_or_b32 v68, v4, 16, v5
.LBB305_57:                             ;   in Loop: Header=BB305_11 Depth=1
	s_wait_alu 0xfffe
	s_or_b32 exec_lo, exec_lo, s18
.LBB305_58:                             ;   in Loop: Header=BB305_11 Depth=1
	s_wait_alu 0xfffe
	s_or_b32 exec_lo, exec_lo, s17
.LBB305_59:                             ;   in Loop: Header=BB305_11 Depth=1
	s_wait_alu 0xfffe
	s_or_b32 exec_lo, exec_lo, s2
	v_lshrrev_b32_e32 v8, 16, v29
	s_mov_b32 s2, exec_lo
	s_delay_alu instid0(VALU_DEP_1) | instskip(NEXT) | instid1(VALU_DEP_1)
	v_and_b32_e32 v4, 0xff, v8
	v_cmpx_ne_u16_e32 0, v4
	s_cbranch_execz .LBB305_67
; %bb.60:                               ;   in Loop: Header=BB305_11 Depth=1
	v_mov_b32_e32 v67, 0x8000
	s_mov_b32 s17, exec_lo
	v_cmpx_ne_u16_e32 0x80, v4
	s_cbranch_execz .LBB305_66
; %bb.61:                               ;   in Loop: Header=BB305_11 Depth=1
	v_bfe_u32 v6, v29, 16, 7
	v_mov_b32_e32 v67, 0x7c01
	s_mov_b32 s18, exec_lo
	s_delay_alu instid0(VALU_DEP_2)
	v_cmpx_ne_u32_e32 0x7f, v6
	s_cbranch_execz .LBB305_65
; %bb.62:                               ;   in Loop: Header=BB305_11 Depth=1
	v_and_b32_e32 v4, 7, v8
	v_lshrrev_b32_e32 v5, 3, v6
	s_mov_b32 s19, exec_lo
	v_cmpx_gt_u32_e32 8, v6
; %bb.63:                               ;   in Loop: Header=BB305_11 Depth=1
	s_delay_alu instid0(VALU_DEP_3) | instskip(NEXT) | instid1(VALU_DEP_1)
	v_clz_i32_u32_e32 v4, v4
	v_min_u32_e32 v6, 32, v4
	s_delay_alu instid0(VALU_DEP_1) | instskip(NEXT) | instid1(VALU_DEP_1)
	v_subrev_nc_u32_e32 v4, 28, v6
	v_lshlrev_b64_e32 v[4:5], v4, v[8:9]
	v_sub_nc_u32_e32 v5, 29, v6
	s_delay_alu instid0(VALU_DEP_2)
	v_and_b32_e32 v4, 7, v4
; %bb.64:                               ;   in Loop: Header=BB305_11 Depth=1
	s_wait_alu 0xfffe
	s_or_b32 exec_lo, exec_lo, s19
	v_lshlrev_b32_e32 v6, 8, v8
	v_lshl_add_u32 v5, v5, 10, 0x2000
	v_lshlrev_b32_e32 v4, 7, v4
	s_delay_alu instid0(VALU_DEP_3) | instskip(NEXT) | instid1(VALU_DEP_3)
	v_and_b32_e32 v6, 0x8000, v6
	v_and_b32_e32 v5, 0xfc00, v5
	s_delay_alu instid0(VALU_DEP_1)
	v_or3_b32 v67, v6, v5, v4
.LBB305_65:                             ;   in Loop: Header=BB305_11 Depth=1
	s_wait_alu 0xfffe
	s_or_b32 exec_lo, exec_lo, s18
.LBB305_66:                             ;   in Loop: Header=BB305_11 Depth=1
	s_wait_alu 0xfffe
	s_or_b32 exec_lo, exec_lo, s17
.LBB305_67:                             ;   in Loop: Header=BB305_11 Depth=1
	s_wait_alu 0xfffe
	s_or_b32 exec_lo, exec_lo, s2
	v_dual_mov_b32 v69, 0 :: v_dual_mov_b32 v70, 0
	s_mov_b32 s2, exec_lo
	v_cmpx_lt_u64_e64 s[8:9], v[28:29]
	s_cbranch_execz .LBB305_75
; %bb.68:                               ;   in Loop: Header=BB305_11 Depth=1
	v_lshrrev_b32_e32 v8, 24, v29
	v_bfrev_b32_e32 v70, 1
	s_mov_b32 s17, exec_lo
	s_delay_alu instid0(VALU_DEP_2)
	v_cmpx_ne_u32_e32 0x80, v8
	s_cbranch_execz .LBB305_74
; %bb.69:                               ;   in Loop: Header=BB305_11 Depth=1
	v_and_b32_e32 v6, 0x7f, v8
	v_mov_b32_e32 v70, 0x7c010000
	s_mov_b32 s18, exec_lo
	s_delay_alu instid0(VALU_DEP_2)
	v_cmpx_ne_u32_e32 0x7f, v6
	s_cbranch_execz .LBB305_73
; %bb.70:                               ;   in Loop: Header=BB305_11 Depth=1
	v_and_b32_e32 v4, 7, v8
	v_lshrrev_b32_e32 v5, 3, v6
	s_mov_b32 s19, exec_lo
	v_cmpx_gt_u32_e32 8, v6
; %bb.71:                               ;   in Loop: Header=BB305_11 Depth=1
	s_delay_alu instid0(VALU_DEP_3) | instskip(NEXT) | instid1(VALU_DEP_1)
	v_clz_i32_u32_e32 v4, v4
	v_min_u32_e32 v6, 32, v4
	s_delay_alu instid0(VALU_DEP_1) | instskip(NEXT) | instid1(VALU_DEP_1)
	v_subrev_nc_u32_e32 v4, 28, v6
	v_lshlrev_b64_e32 v[4:5], v4, v[8:9]
	v_sub_nc_u32_e32 v5, 29, v6
	s_delay_alu instid0(VALU_DEP_2)
	v_and_b32_e32 v4, 7, v4
; %bb.72:                               ;   in Loop: Header=BB305_11 Depth=1
	s_wait_alu 0xfffe
	s_or_b32 exec_lo, exec_lo, s19
	v_lshlrev_b32_e32 v6, 8, v8
	v_lshl_add_u32 v5, v5, 10, 0x2000
	v_lshlrev_b32_e32 v4, 23, v4
	s_delay_alu instid0(VALU_DEP_2) | instskip(NEXT) | instid1(VALU_DEP_1)
	v_and_or_b32 v5, 0x8000, v6, v5
	v_lshl_or_b32 v70, v5, 16, v4
.LBB305_73:                             ;   in Loop: Header=BB305_11 Depth=1
	s_wait_alu 0xfffe
	s_or_b32 exec_lo, exec_lo, s18
.LBB305_74:                             ;   in Loop: Header=BB305_11 Depth=1
	s_wait_alu 0xfffe
	s_or_b32 exec_lo, exec_lo, s17
.LBB305_75:                             ;   in Loop: Header=BB305_11 Depth=1
	s_wait_alu 0xfffe
	s_or_b32 exec_lo, exec_lo, s2
	flat_load_b64 v[28:29], v[20:21] offset:8
	s_mov_b32 s2, exec_lo
	s_wait_loadcnt_dscnt 0x0
	v_and_b32_e32 v4, 0xff, v28
	s_delay_alu instid0(VALU_DEP_1)
	v_cmpx_ne_u16_e32 0, v4
	s_cbranch_execz .LBB305_83
; %bb.76:                               ;   in Loop: Header=BB305_11 Depth=1
	v_mov_b32_e32 v69, 0x8000
	s_mov_b32 s17, exec_lo
	v_cmpx_ne_u16_e32 0x80, v4
	s_cbranch_execz .LBB305_82
; %bb.77:                               ;   in Loop: Header=BB305_11 Depth=1
	v_and_b32_e32 v6, 0x7f, v28
	v_mov_b32_e32 v69, 0x7c01
	s_mov_b32 s18, exec_lo
	s_delay_alu instid0(VALU_DEP_2)
	v_cmpx_ne_u32_e32 0x7f, v6
	s_cbranch_execz .LBB305_81
; %bb.78:                               ;   in Loop: Header=BB305_11 Depth=1
	v_and_b32_e32 v4, 7, v28
	v_lshrrev_b32_e32 v5, 3, v6
	s_mov_b32 s19, exec_lo
	v_cmpx_gt_u32_e32 8, v6
; %bb.79:                               ;   in Loop: Header=BB305_11 Depth=1
	s_delay_alu instid0(VALU_DEP_3) | instskip(NEXT) | instid1(VALU_DEP_1)
	v_clz_i32_u32_e32 v4, v4
	v_min_u32_e32 v6, 32, v4
	s_delay_alu instid0(VALU_DEP_1) | instskip(NEXT) | instid1(VALU_DEP_1)
	v_subrev_nc_u32_e32 v4, 28, v6
	v_lshlrev_b64_e32 v[4:5], v4, v[28:29]
	v_sub_nc_u32_e32 v5, 29, v6
	s_delay_alu instid0(VALU_DEP_2)
	v_and_b32_e32 v4, 7, v4
; %bb.80:                               ;   in Loop: Header=BB305_11 Depth=1
	s_wait_alu 0xfffe
	s_or_b32 exec_lo, exec_lo, s19
	v_lshlrev_b32_e32 v6, 8, v28
	v_lshl_add_u32 v5, v5, 10, 0x2000
	v_lshlrev_b32_e32 v4, 7, v4
	s_delay_alu instid0(VALU_DEP_3) | instskip(NEXT) | instid1(VALU_DEP_3)
	v_and_b32_e32 v6, 0x8000, v6
	v_and_b32_e32 v5, 0xfc00, v5
	s_delay_alu instid0(VALU_DEP_1)
	v_or3_b32 v69, v6, v5, v4
.LBB305_81:                             ;   in Loop: Header=BB305_11 Depth=1
	s_wait_alu 0xfffe
	s_or_b32 exec_lo, exec_lo, s18
.LBB305_82:                             ;   in Loop: Header=BB305_11 Depth=1
	s_wait_alu 0xfffe
	s_or_b32 exec_lo, exec_lo, s17
.LBB305_83:                             ;   in Loop: Header=BB305_11 Depth=1
	s_wait_alu 0xfffe
	s_or_b32 exec_lo, exec_lo, s2
	v_lshrrev_b16 v8, 8, v28
	v_dual_mov_b32 v80, 0 :: v_dual_mov_b32 v71, 0
	s_mov_b32 s2, exec_lo
	s_delay_alu instid0(VALU_DEP_2)
	v_cmpx_ne_u16_e32 0, v8
	s_cbranch_execz .LBB305_91
; %bb.84:                               ;   in Loop: Header=BB305_11 Depth=1
	v_bfrev_b32_e32 v71, 1
	s_mov_b32 s17, exec_lo
	v_cmpx_ne_u16_e32 0x80, v8
	s_cbranch_execz .LBB305_90
; %bb.85:                               ;   in Loop: Header=BB305_11 Depth=1
	v_and_b32_e32 v4, 0xffff, v8
	v_mov_b32_e32 v71, 0x7c010000
	s_mov_b32 s18, exec_lo
	s_delay_alu instid0(VALU_DEP_2) | instskip(NEXT) | instid1(VALU_DEP_1)
	v_and_b32_e32 v7, 0x7f, v4
	v_cmpx_ne_u32_e32 0x7f, v7
	s_cbranch_execz .LBB305_89
; %bb.86:                               ;   in Loop: Header=BB305_11 Depth=1
	v_and_b32_e32 v5, 7, v4
	v_lshrrev_b32_e32 v6, 3, v7
	s_mov_b32 s19, exec_lo
	v_cmpx_gt_u32_e32 8, v7
; %bb.87:                               ;   in Loop: Header=BB305_11 Depth=1
	s_delay_alu instid0(VALU_DEP_3) | instskip(NEXT) | instid1(VALU_DEP_1)
	v_clz_i32_u32_e32 v5, v5
	v_min_u32_e32 v7, 32, v5
	s_delay_alu instid0(VALU_DEP_1) | instskip(NEXT) | instid1(VALU_DEP_1)
	v_subrev_nc_u32_e32 v5, 28, v7
	v_lshlrev_b64_e32 v[5:6], v5, v[8:9]
	v_sub_nc_u32_e32 v6, 29, v7
	s_delay_alu instid0(VALU_DEP_2)
	v_and_b32_e32 v5, 7, v5
; %bb.88:                               ;   in Loop: Header=BB305_11 Depth=1
	s_wait_alu 0xfffe
	s_or_b32 exec_lo, exec_lo, s19
	v_lshlrev_b32_e32 v4, 8, v4
	v_lshl_add_u32 v6, v6, 10, 0x2000
	v_lshlrev_b32_e32 v5, 23, v5
	s_delay_alu instid0(VALU_DEP_2) | instskip(NEXT) | instid1(VALU_DEP_1)
	v_and_or_b32 v4, 0x8000, v4, v6
	v_lshl_or_b32 v71, v4, 16, v5
.LBB305_89:                             ;   in Loop: Header=BB305_11 Depth=1
	s_wait_alu 0xfffe
	s_or_b32 exec_lo, exec_lo, s18
.LBB305_90:                             ;   in Loop: Header=BB305_11 Depth=1
	s_wait_alu 0xfffe
	s_or_b32 exec_lo, exec_lo, s17
.LBB305_91:                             ;   in Loop: Header=BB305_11 Depth=1
	s_wait_alu 0xfffe
	s_or_b32 exec_lo, exec_lo, s2
	v_lshrrev_b32_e32 v8, 16, v28
	s_mov_b32 s2, exec_lo
	s_delay_alu instid0(VALU_DEP_1) | instskip(NEXT) | instid1(VALU_DEP_1)
	v_and_b32_e32 v4, 0xff, v8
	v_cmpx_ne_u16_e32 0, v4
	s_cbranch_execz .LBB305_99
; %bb.92:                               ;   in Loop: Header=BB305_11 Depth=1
	v_mov_b32_e32 v80, 0x8000
	s_mov_b32 s17, exec_lo
	v_cmpx_ne_u16_e32 0x80, v4
	s_cbranch_execz .LBB305_98
; %bb.93:                               ;   in Loop: Header=BB305_11 Depth=1
	v_bfe_u32 v6, v28, 16, 7
	v_mov_b32_e32 v80, 0x7c01
	s_mov_b32 s18, exec_lo
	s_delay_alu instid0(VALU_DEP_2)
	v_cmpx_ne_u32_e32 0x7f, v6
	s_cbranch_execz .LBB305_97
; %bb.94:                               ;   in Loop: Header=BB305_11 Depth=1
	v_and_b32_e32 v4, 7, v8
	v_lshrrev_b32_e32 v5, 3, v6
	s_mov_b32 s19, exec_lo
	v_cmpx_gt_u32_e32 8, v6
; %bb.95:                               ;   in Loop: Header=BB305_11 Depth=1
	s_delay_alu instid0(VALU_DEP_3) | instskip(NEXT) | instid1(VALU_DEP_1)
	v_clz_i32_u32_e32 v4, v4
	v_min_u32_e32 v6, 32, v4
	s_delay_alu instid0(VALU_DEP_1) | instskip(NEXT) | instid1(VALU_DEP_1)
	v_subrev_nc_u32_e32 v4, 28, v6
	v_lshlrev_b64_e32 v[4:5], v4, v[8:9]
	v_sub_nc_u32_e32 v5, 29, v6
	s_delay_alu instid0(VALU_DEP_2)
	v_and_b32_e32 v4, 7, v4
; %bb.96:                               ;   in Loop: Header=BB305_11 Depth=1
	s_wait_alu 0xfffe
	s_or_b32 exec_lo, exec_lo, s19
	v_lshlrev_b32_e32 v6, 8, v8
	v_lshl_add_u32 v5, v5, 10, 0x2000
	v_lshlrev_b32_e32 v4, 7, v4
	s_delay_alu instid0(VALU_DEP_3) | instskip(NEXT) | instid1(VALU_DEP_3)
	v_and_b32_e32 v6, 0x8000, v6
	v_and_b32_e32 v5, 0xfc00, v5
	s_delay_alu instid0(VALU_DEP_1)
	v_or3_b32 v80, v6, v5, v4
.LBB305_97:                             ;   in Loop: Header=BB305_11 Depth=1
	s_wait_alu 0xfffe
	s_or_b32 exec_lo, exec_lo, s18
.LBB305_98:                             ;   in Loop: Header=BB305_11 Depth=1
	s_wait_alu 0xfffe
	s_or_b32 exec_lo, exec_lo, s17
.LBB305_99:                             ;   in Loop: Header=BB305_11 Depth=1
	s_wait_alu 0xfffe
	s_or_b32 exec_lo, exec_lo, s2
	v_dual_mov_b32 v81, 0 :: v_dual_mov_b32 v82, 0
	s_mov_b32 s2, exec_lo
	v_cmpx_lt_u32_e32 0xffffff, v28
	s_cbranch_execz .LBB305_107
; %bb.100:                              ;   in Loop: Header=BB305_11 Depth=1
	v_lshrrev_b32_e32 v8, 24, v28
	v_bfrev_b32_e32 v82, 1
	s_mov_b32 s17, exec_lo
	s_delay_alu instid0(VALU_DEP_2)
	v_cmpx_ne_u32_e32 0x80, v8
	s_cbranch_execz .LBB305_106
; %bb.101:                              ;   in Loop: Header=BB305_11 Depth=1
	v_and_b32_e32 v6, 0x7f, v8
	v_mov_b32_e32 v82, 0x7c010000
	s_mov_b32 s18, exec_lo
	s_delay_alu instid0(VALU_DEP_2)
	v_cmpx_ne_u32_e32 0x7f, v6
	s_cbranch_execz .LBB305_105
; %bb.102:                              ;   in Loop: Header=BB305_11 Depth=1
	v_and_b32_e32 v4, 7, v8
	v_lshrrev_b32_e32 v5, 3, v6
	s_mov_b32 s19, exec_lo
	v_cmpx_gt_u32_e32 8, v6
; %bb.103:                              ;   in Loop: Header=BB305_11 Depth=1
	s_delay_alu instid0(VALU_DEP_3) | instskip(NEXT) | instid1(VALU_DEP_1)
	v_clz_i32_u32_e32 v4, v4
	v_min_u32_e32 v6, 32, v4
	s_delay_alu instid0(VALU_DEP_1) | instskip(NEXT) | instid1(VALU_DEP_1)
	v_subrev_nc_u32_e32 v4, 28, v6
	v_lshlrev_b64_e32 v[4:5], v4, v[8:9]
	v_sub_nc_u32_e32 v5, 29, v6
	s_delay_alu instid0(VALU_DEP_2)
	v_and_b32_e32 v4, 7, v4
; %bb.104:                              ;   in Loop: Header=BB305_11 Depth=1
	s_wait_alu 0xfffe
	s_or_b32 exec_lo, exec_lo, s19
	v_lshlrev_b32_e32 v6, 8, v8
	v_lshl_add_u32 v5, v5, 10, 0x2000
	v_lshlrev_b32_e32 v4, 23, v4
	s_delay_alu instid0(VALU_DEP_2) | instskip(NEXT) | instid1(VALU_DEP_1)
	v_and_or_b32 v5, 0x8000, v6, v5
	v_lshl_or_b32 v82, v5, 16, v4
.LBB305_105:                            ;   in Loop: Header=BB305_11 Depth=1
	s_wait_alu 0xfffe
	s_or_b32 exec_lo, exec_lo, s18
.LBB305_106:                            ;   in Loop: Header=BB305_11 Depth=1
	s_wait_alu 0xfffe
	s_or_b32 exec_lo, exec_lo, s17
.LBB305_107:                            ;   in Loop: Header=BB305_11 Depth=1
	s_wait_alu 0xfffe
	s_or_b32 exec_lo, exec_lo, s2
	v_and_b32_e32 v4, 0xff, v29
	v_mov_b32_e32 v8, v29
	s_mov_b32 s2, exec_lo
	s_delay_alu instid0(VALU_DEP_2)
	v_cmpx_ne_u16_e32 0, v4
	s_cbranch_execz .LBB305_115
; %bb.108:                              ;   in Loop: Header=BB305_11 Depth=1
	v_mov_b32_e32 v81, 0x8000
	s_mov_b32 s17, exec_lo
	v_cmpx_ne_u16_e32 0x80, v4
	s_cbranch_execz .LBB305_114
; %bb.109:                              ;   in Loop: Header=BB305_11 Depth=1
	v_and_b32_e32 v6, 0x7f, v29
	v_mov_b32_e32 v81, 0x7c01
	s_mov_b32 s18, exec_lo
	s_delay_alu instid0(VALU_DEP_2)
	v_cmpx_ne_u32_e32 0x7f, v6
	s_cbranch_execz .LBB305_113
; %bb.110:                              ;   in Loop: Header=BB305_11 Depth=1
	v_and_b32_e32 v4, 7, v29
	v_lshrrev_b32_e32 v5, 3, v6
	s_mov_b32 s19, exec_lo
	v_cmpx_gt_u32_e32 8, v6
; %bb.111:                              ;   in Loop: Header=BB305_11 Depth=1
	s_delay_alu instid0(VALU_DEP_3) | instskip(NEXT) | instid1(VALU_DEP_1)
	v_clz_i32_u32_e32 v4, v4
	v_min_u32_e32 v6, 32, v4
	s_delay_alu instid0(VALU_DEP_1) | instskip(NEXT) | instid1(VALU_DEP_1)
	v_subrev_nc_u32_e32 v4, 28, v6
	v_lshlrev_b64_e32 v[4:5], v4, v[8:9]
	v_sub_nc_u32_e32 v5, 29, v6
	s_delay_alu instid0(VALU_DEP_2)
	v_and_b32_e32 v4, 7, v4
; %bb.112:                              ;   in Loop: Header=BB305_11 Depth=1
	s_wait_alu 0xfffe
	s_or_b32 exec_lo, exec_lo, s19
	v_lshlrev_b32_e32 v6, 8, v29
	v_lshl_add_u32 v5, v5, 10, 0x2000
	v_lshlrev_b32_e32 v4, 7, v4
	s_delay_alu instid0(VALU_DEP_3) | instskip(NEXT) | instid1(VALU_DEP_3)
	v_and_b32_e32 v6, 0x8000, v6
	v_and_b32_e32 v5, 0xfc00, v5
	s_delay_alu instid0(VALU_DEP_1)
	v_or3_b32 v81, v6, v5, v4
.LBB305_113:                            ;   in Loop: Header=BB305_11 Depth=1
	s_wait_alu 0xfffe
	s_or_b32 exec_lo, exec_lo, s18
.LBB305_114:                            ;   in Loop: Header=BB305_11 Depth=1
	s_wait_alu 0xfffe
	s_or_b32 exec_lo, exec_lo, s17
.LBB305_115:                            ;   in Loop: Header=BB305_11 Depth=1
	s_wait_alu 0xfffe
	s_or_b32 exec_lo, exec_lo, s2
	v_lshrrev_b16 v8, 8, v8
	v_dual_mov_b32 v84, 0 :: v_dual_mov_b32 v83, 0
	s_mov_b32 s2, exec_lo
	s_delay_alu instid0(VALU_DEP_2)
	v_cmpx_ne_u16_e32 0, v8
	s_cbranch_execz .LBB305_123
; %bb.116:                              ;   in Loop: Header=BB305_11 Depth=1
	v_bfrev_b32_e32 v83, 1
	s_mov_b32 s17, exec_lo
	v_cmpx_ne_u16_e32 0x80, v8
	s_cbranch_execz .LBB305_122
; %bb.117:                              ;   in Loop: Header=BB305_11 Depth=1
	v_and_b32_e32 v4, 0xffff, v8
	v_mov_b32_e32 v83, 0x7c010000
	s_mov_b32 s18, exec_lo
	s_delay_alu instid0(VALU_DEP_2) | instskip(NEXT) | instid1(VALU_DEP_1)
	v_and_b32_e32 v7, 0x7f, v4
	v_cmpx_ne_u32_e32 0x7f, v7
	s_cbranch_execz .LBB305_121
; %bb.118:                              ;   in Loop: Header=BB305_11 Depth=1
	v_and_b32_e32 v5, 7, v4
	v_lshrrev_b32_e32 v6, 3, v7
	s_mov_b32 s19, exec_lo
	v_cmpx_gt_u32_e32 8, v7
; %bb.119:                              ;   in Loop: Header=BB305_11 Depth=1
	s_delay_alu instid0(VALU_DEP_3) | instskip(NEXT) | instid1(VALU_DEP_1)
	v_clz_i32_u32_e32 v5, v5
	v_min_u32_e32 v7, 32, v5
	s_delay_alu instid0(VALU_DEP_1) | instskip(NEXT) | instid1(VALU_DEP_1)
	v_subrev_nc_u32_e32 v5, 28, v7
	v_lshlrev_b64_e32 v[5:6], v5, v[8:9]
	v_sub_nc_u32_e32 v6, 29, v7
	s_delay_alu instid0(VALU_DEP_2)
	v_and_b32_e32 v5, 7, v5
; %bb.120:                              ;   in Loop: Header=BB305_11 Depth=1
	s_wait_alu 0xfffe
	s_or_b32 exec_lo, exec_lo, s19
	v_lshlrev_b32_e32 v4, 8, v4
	v_lshl_add_u32 v6, v6, 10, 0x2000
	v_lshlrev_b32_e32 v5, 23, v5
	s_delay_alu instid0(VALU_DEP_2) | instskip(NEXT) | instid1(VALU_DEP_1)
	v_and_or_b32 v4, 0x8000, v4, v6
	v_lshl_or_b32 v83, v4, 16, v5
.LBB305_121:                            ;   in Loop: Header=BB305_11 Depth=1
	s_wait_alu 0xfffe
	s_or_b32 exec_lo, exec_lo, s18
.LBB305_122:                            ;   in Loop: Header=BB305_11 Depth=1
	s_wait_alu 0xfffe
	s_or_b32 exec_lo, exec_lo, s17
.LBB305_123:                            ;   in Loop: Header=BB305_11 Depth=1
	s_wait_alu 0xfffe
	s_or_b32 exec_lo, exec_lo, s2
	v_lshrrev_b32_e32 v8, 16, v29
	s_mov_b32 s2, exec_lo
	s_delay_alu instid0(VALU_DEP_1) | instskip(NEXT) | instid1(VALU_DEP_1)
	v_and_b32_e32 v4, 0xff, v8
	v_cmpx_ne_u16_e32 0, v4
	s_cbranch_execz .LBB305_131
; %bb.124:                              ;   in Loop: Header=BB305_11 Depth=1
	v_mov_b32_e32 v84, 0x8000
	s_mov_b32 s17, exec_lo
	v_cmpx_ne_u16_e32 0x80, v4
	s_cbranch_execz .LBB305_130
; %bb.125:                              ;   in Loop: Header=BB305_11 Depth=1
	v_bfe_u32 v6, v29, 16, 7
	v_mov_b32_e32 v84, 0x7c01
	s_mov_b32 s18, exec_lo
	s_delay_alu instid0(VALU_DEP_2)
	v_cmpx_ne_u32_e32 0x7f, v6
	s_cbranch_execz .LBB305_129
; %bb.126:                              ;   in Loop: Header=BB305_11 Depth=1
	v_and_b32_e32 v4, 7, v8
	v_lshrrev_b32_e32 v5, 3, v6
	s_mov_b32 s19, exec_lo
	v_cmpx_gt_u32_e32 8, v6
; %bb.127:                              ;   in Loop: Header=BB305_11 Depth=1
	s_delay_alu instid0(VALU_DEP_3) | instskip(NEXT) | instid1(VALU_DEP_1)
	v_clz_i32_u32_e32 v4, v4
	v_min_u32_e32 v6, 32, v4
	s_delay_alu instid0(VALU_DEP_1) | instskip(NEXT) | instid1(VALU_DEP_1)
	v_subrev_nc_u32_e32 v4, 28, v6
	v_lshlrev_b64_e32 v[4:5], v4, v[8:9]
	v_sub_nc_u32_e32 v5, 29, v6
	s_delay_alu instid0(VALU_DEP_2)
	v_and_b32_e32 v4, 7, v4
; %bb.128:                              ;   in Loop: Header=BB305_11 Depth=1
	s_wait_alu 0xfffe
	s_or_b32 exec_lo, exec_lo, s19
	v_lshlrev_b32_e32 v6, 8, v8
	v_lshl_add_u32 v5, v5, 10, 0x2000
	v_lshlrev_b32_e32 v4, 7, v4
	s_delay_alu instid0(VALU_DEP_3) | instskip(NEXT) | instid1(VALU_DEP_3)
	v_and_b32_e32 v6, 0x8000, v6
	v_and_b32_e32 v5, 0xfc00, v5
	s_delay_alu instid0(VALU_DEP_1)
	v_or3_b32 v84, v6, v5, v4
.LBB305_129:                            ;   in Loop: Header=BB305_11 Depth=1
	s_wait_alu 0xfffe
	s_or_b32 exec_lo, exec_lo, s18
.LBB305_130:                            ;   in Loop: Header=BB305_11 Depth=1
	s_wait_alu 0xfffe
	s_or_b32 exec_lo, exec_lo, s17
.LBB305_131:                            ;   in Loop: Header=BB305_11 Depth=1
	s_wait_alu 0xfffe
	s_or_b32 exec_lo, exec_lo, s2
	v_dual_mov_b32 v85, 0 :: v_dual_mov_b32 v86, 0
	s_mov_b32 s2, exec_lo
	v_cmpx_lt_u64_e64 s[8:9], v[28:29]
	s_cbranch_execz .LBB305_139
; %bb.132:                              ;   in Loop: Header=BB305_11 Depth=1
	v_lshrrev_b32_e32 v8, 24, v29
	v_bfrev_b32_e32 v86, 1
	s_mov_b32 s17, exec_lo
	s_delay_alu instid0(VALU_DEP_2)
	v_cmpx_ne_u32_e32 0x80, v8
	s_cbranch_execz .LBB305_138
; %bb.133:                              ;   in Loop: Header=BB305_11 Depth=1
	v_and_b32_e32 v6, 0x7f, v8
	v_mov_b32_e32 v86, 0x7c010000
	s_mov_b32 s18, exec_lo
	s_delay_alu instid0(VALU_DEP_2)
	v_cmpx_ne_u32_e32 0x7f, v6
	s_cbranch_execz .LBB305_137
; %bb.134:                              ;   in Loop: Header=BB305_11 Depth=1
	v_and_b32_e32 v4, 7, v8
	v_lshrrev_b32_e32 v5, 3, v6
	s_mov_b32 s19, exec_lo
	v_cmpx_gt_u32_e32 8, v6
; %bb.135:                              ;   in Loop: Header=BB305_11 Depth=1
	s_delay_alu instid0(VALU_DEP_3) | instskip(NEXT) | instid1(VALU_DEP_1)
	v_clz_i32_u32_e32 v4, v4
	v_min_u32_e32 v6, 32, v4
	s_delay_alu instid0(VALU_DEP_1) | instskip(NEXT) | instid1(VALU_DEP_1)
	v_subrev_nc_u32_e32 v4, 28, v6
	v_lshlrev_b64_e32 v[4:5], v4, v[8:9]
	v_sub_nc_u32_e32 v5, 29, v6
	s_delay_alu instid0(VALU_DEP_2)
	v_and_b32_e32 v4, 7, v4
; %bb.136:                              ;   in Loop: Header=BB305_11 Depth=1
	s_wait_alu 0xfffe
	s_or_b32 exec_lo, exec_lo, s19
	v_lshlrev_b32_e32 v6, 8, v8
	v_lshl_add_u32 v5, v5, 10, 0x2000
	v_lshlrev_b32_e32 v4, 23, v4
	s_delay_alu instid0(VALU_DEP_2) | instskip(NEXT) | instid1(VALU_DEP_1)
	v_and_or_b32 v5, 0x8000, v6, v5
	v_lshl_or_b32 v86, v5, 16, v4
.LBB305_137:                            ;   in Loop: Header=BB305_11 Depth=1
	s_wait_alu 0xfffe
	s_or_b32 exec_lo, exec_lo, s18
.LBB305_138:                            ;   in Loop: Header=BB305_11 Depth=1
	s_wait_alu 0xfffe
	s_or_b32 exec_lo, exec_lo, s17
.LBB305_139:                            ;   in Loop: Header=BB305_11 Depth=1
	s_wait_alu 0xfffe
	s_or_b32 exec_lo, exec_lo, s2
	flat_load_b64 v[28:29], v[20:21] offset:512
	s_mov_b32 s2, exec_lo
	s_wait_loadcnt_dscnt 0x0
	v_and_b32_e32 v4, 0xff, v28
	s_delay_alu instid0(VALU_DEP_1)
	v_cmpx_ne_u16_e32 0, v4
	s_cbranch_execz .LBB305_147
; %bb.140:                              ;   in Loop: Header=BB305_11 Depth=1
	v_mov_b32_e32 v85, 0x8000
	s_mov_b32 s17, exec_lo
	v_cmpx_ne_u16_e32 0x80, v4
	s_cbranch_execz .LBB305_146
; %bb.141:                              ;   in Loop: Header=BB305_11 Depth=1
	v_and_b32_e32 v6, 0x7f, v28
	v_mov_b32_e32 v85, 0x7c01
	s_mov_b32 s18, exec_lo
	s_delay_alu instid0(VALU_DEP_2)
	v_cmpx_ne_u32_e32 0x7f, v6
	s_cbranch_execz .LBB305_145
; %bb.142:                              ;   in Loop: Header=BB305_11 Depth=1
	v_and_b32_e32 v4, 7, v28
	v_lshrrev_b32_e32 v5, 3, v6
	s_mov_b32 s19, exec_lo
	v_cmpx_gt_u32_e32 8, v6
; %bb.143:                              ;   in Loop: Header=BB305_11 Depth=1
	s_delay_alu instid0(VALU_DEP_3) | instskip(NEXT) | instid1(VALU_DEP_1)
	v_clz_i32_u32_e32 v4, v4
	v_min_u32_e32 v6, 32, v4
	s_delay_alu instid0(VALU_DEP_1) | instskip(NEXT) | instid1(VALU_DEP_1)
	v_subrev_nc_u32_e32 v4, 28, v6
	v_lshlrev_b64_e32 v[4:5], v4, v[28:29]
	v_sub_nc_u32_e32 v5, 29, v6
	s_delay_alu instid0(VALU_DEP_2)
	v_and_b32_e32 v4, 7, v4
; %bb.144:                              ;   in Loop: Header=BB305_11 Depth=1
	s_wait_alu 0xfffe
	s_or_b32 exec_lo, exec_lo, s19
	v_lshlrev_b32_e32 v6, 8, v28
	v_lshl_add_u32 v5, v5, 10, 0x2000
	v_lshlrev_b32_e32 v4, 7, v4
	s_delay_alu instid0(VALU_DEP_3) | instskip(NEXT) | instid1(VALU_DEP_3)
	v_and_b32_e32 v6, 0x8000, v6
	v_and_b32_e32 v5, 0xfc00, v5
	s_delay_alu instid0(VALU_DEP_1)
	v_or3_b32 v85, v6, v5, v4
.LBB305_145:                            ;   in Loop: Header=BB305_11 Depth=1
	s_wait_alu 0xfffe
	s_or_b32 exec_lo, exec_lo, s18
.LBB305_146:                            ;   in Loop: Header=BB305_11 Depth=1
	s_wait_alu 0xfffe
	s_or_b32 exec_lo, exec_lo, s17
.LBB305_147:                            ;   in Loop: Header=BB305_11 Depth=1
	s_wait_alu 0xfffe
	s_or_b32 exec_lo, exec_lo, s2
	v_lshrrev_b16 v8, 8, v28
	v_dual_mov_b32 v96, 0 :: v_dual_mov_b32 v87, 0
	s_mov_b32 s2, exec_lo
	s_delay_alu instid0(VALU_DEP_2)
	v_cmpx_ne_u16_e32 0, v8
	s_cbranch_execz .LBB305_155
; %bb.148:                              ;   in Loop: Header=BB305_11 Depth=1
	v_bfrev_b32_e32 v87, 1
	s_mov_b32 s17, exec_lo
	v_cmpx_ne_u16_e32 0x80, v8
	s_cbranch_execz .LBB305_154
; %bb.149:                              ;   in Loop: Header=BB305_11 Depth=1
	v_and_b32_e32 v4, 0xffff, v8
	v_mov_b32_e32 v87, 0x7c010000
	s_mov_b32 s18, exec_lo
	s_delay_alu instid0(VALU_DEP_2) | instskip(NEXT) | instid1(VALU_DEP_1)
	v_and_b32_e32 v7, 0x7f, v4
	v_cmpx_ne_u32_e32 0x7f, v7
	s_cbranch_execz .LBB305_153
; %bb.150:                              ;   in Loop: Header=BB305_11 Depth=1
	v_and_b32_e32 v5, 7, v4
	v_lshrrev_b32_e32 v6, 3, v7
	s_mov_b32 s19, exec_lo
	v_cmpx_gt_u32_e32 8, v7
; %bb.151:                              ;   in Loop: Header=BB305_11 Depth=1
	s_delay_alu instid0(VALU_DEP_3) | instskip(NEXT) | instid1(VALU_DEP_1)
	v_clz_i32_u32_e32 v5, v5
	v_min_u32_e32 v7, 32, v5
	s_delay_alu instid0(VALU_DEP_1) | instskip(NEXT) | instid1(VALU_DEP_1)
	v_subrev_nc_u32_e32 v5, 28, v7
	v_lshlrev_b64_e32 v[5:6], v5, v[8:9]
	v_sub_nc_u32_e32 v6, 29, v7
	s_delay_alu instid0(VALU_DEP_2)
	v_and_b32_e32 v5, 7, v5
; %bb.152:                              ;   in Loop: Header=BB305_11 Depth=1
	s_wait_alu 0xfffe
	s_or_b32 exec_lo, exec_lo, s19
	v_lshlrev_b32_e32 v4, 8, v4
	v_lshl_add_u32 v6, v6, 10, 0x2000
	v_lshlrev_b32_e32 v5, 23, v5
	s_delay_alu instid0(VALU_DEP_2) | instskip(NEXT) | instid1(VALU_DEP_1)
	v_and_or_b32 v4, 0x8000, v4, v6
	v_lshl_or_b32 v87, v4, 16, v5
.LBB305_153:                            ;   in Loop: Header=BB305_11 Depth=1
	s_wait_alu 0xfffe
	s_or_b32 exec_lo, exec_lo, s18
.LBB305_154:                            ;   in Loop: Header=BB305_11 Depth=1
	s_wait_alu 0xfffe
	s_or_b32 exec_lo, exec_lo, s17
.LBB305_155:                            ;   in Loop: Header=BB305_11 Depth=1
	s_wait_alu 0xfffe
	s_or_b32 exec_lo, exec_lo, s2
	v_lshrrev_b32_e32 v8, 16, v28
	s_mov_b32 s2, exec_lo
	s_delay_alu instid0(VALU_DEP_1) | instskip(NEXT) | instid1(VALU_DEP_1)
	v_and_b32_e32 v4, 0xff, v8
	v_cmpx_ne_u16_e32 0, v4
	s_cbranch_execz .LBB305_163
; %bb.156:                              ;   in Loop: Header=BB305_11 Depth=1
	v_mov_b32_e32 v96, 0x8000
	s_mov_b32 s17, exec_lo
	v_cmpx_ne_u16_e32 0x80, v4
	s_cbranch_execz .LBB305_162
; %bb.157:                              ;   in Loop: Header=BB305_11 Depth=1
	v_bfe_u32 v6, v28, 16, 7
	v_mov_b32_e32 v96, 0x7c01
	s_mov_b32 s18, exec_lo
	s_delay_alu instid0(VALU_DEP_2)
	v_cmpx_ne_u32_e32 0x7f, v6
	s_cbranch_execz .LBB305_161
; %bb.158:                              ;   in Loop: Header=BB305_11 Depth=1
	v_and_b32_e32 v4, 7, v8
	v_lshrrev_b32_e32 v5, 3, v6
	s_mov_b32 s19, exec_lo
	v_cmpx_gt_u32_e32 8, v6
; %bb.159:                              ;   in Loop: Header=BB305_11 Depth=1
	s_delay_alu instid0(VALU_DEP_3) | instskip(NEXT) | instid1(VALU_DEP_1)
	v_clz_i32_u32_e32 v4, v4
	v_min_u32_e32 v6, 32, v4
	s_delay_alu instid0(VALU_DEP_1) | instskip(NEXT) | instid1(VALU_DEP_1)
	v_subrev_nc_u32_e32 v4, 28, v6
	v_lshlrev_b64_e32 v[4:5], v4, v[8:9]
	v_sub_nc_u32_e32 v5, 29, v6
	s_delay_alu instid0(VALU_DEP_2)
	v_and_b32_e32 v4, 7, v4
; %bb.160:                              ;   in Loop: Header=BB305_11 Depth=1
	s_wait_alu 0xfffe
	s_or_b32 exec_lo, exec_lo, s19
	v_lshlrev_b32_e32 v6, 8, v8
	v_lshl_add_u32 v5, v5, 10, 0x2000
	v_lshlrev_b32_e32 v4, 7, v4
	s_delay_alu instid0(VALU_DEP_3) | instskip(NEXT) | instid1(VALU_DEP_3)
	v_and_b32_e32 v6, 0x8000, v6
	v_and_b32_e32 v5, 0xfc00, v5
	s_delay_alu instid0(VALU_DEP_1)
	v_or3_b32 v96, v6, v5, v4
.LBB305_161:                            ;   in Loop: Header=BB305_11 Depth=1
	s_wait_alu 0xfffe
	s_or_b32 exec_lo, exec_lo, s18
.LBB305_162:                            ;   in Loop: Header=BB305_11 Depth=1
	s_wait_alu 0xfffe
	s_or_b32 exec_lo, exec_lo, s17
.LBB305_163:                            ;   in Loop: Header=BB305_11 Depth=1
	s_wait_alu 0xfffe
	s_or_b32 exec_lo, exec_lo, s2
	v_dual_mov_b32 v97, 0 :: v_dual_mov_b32 v98, 0
	s_mov_b32 s2, exec_lo
	v_cmpx_lt_u32_e32 0xffffff, v28
	s_cbranch_execz .LBB305_171
; %bb.164:                              ;   in Loop: Header=BB305_11 Depth=1
	v_lshrrev_b32_e32 v8, 24, v28
	v_bfrev_b32_e32 v98, 1
	s_mov_b32 s17, exec_lo
	s_delay_alu instid0(VALU_DEP_2)
	v_cmpx_ne_u32_e32 0x80, v8
	s_cbranch_execz .LBB305_170
; %bb.165:                              ;   in Loop: Header=BB305_11 Depth=1
	v_and_b32_e32 v6, 0x7f, v8
	v_mov_b32_e32 v98, 0x7c010000
	s_mov_b32 s18, exec_lo
	s_delay_alu instid0(VALU_DEP_2)
	v_cmpx_ne_u32_e32 0x7f, v6
	s_cbranch_execz .LBB305_169
; %bb.166:                              ;   in Loop: Header=BB305_11 Depth=1
	v_and_b32_e32 v4, 7, v8
	v_lshrrev_b32_e32 v5, 3, v6
	s_mov_b32 s19, exec_lo
	v_cmpx_gt_u32_e32 8, v6
; %bb.167:                              ;   in Loop: Header=BB305_11 Depth=1
	s_delay_alu instid0(VALU_DEP_3) | instskip(NEXT) | instid1(VALU_DEP_1)
	v_clz_i32_u32_e32 v4, v4
	v_min_u32_e32 v6, 32, v4
	s_delay_alu instid0(VALU_DEP_1) | instskip(NEXT) | instid1(VALU_DEP_1)
	v_subrev_nc_u32_e32 v4, 28, v6
	v_lshlrev_b64_e32 v[4:5], v4, v[8:9]
	v_sub_nc_u32_e32 v5, 29, v6
	s_delay_alu instid0(VALU_DEP_2)
	v_and_b32_e32 v4, 7, v4
; %bb.168:                              ;   in Loop: Header=BB305_11 Depth=1
	s_wait_alu 0xfffe
	s_or_b32 exec_lo, exec_lo, s19
	v_lshlrev_b32_e32 v6, 8, v8
	v_lshl_add_u32 v5, v5, 10, 0x2000
	v_lshlrev_b32_e32 v4, 23, v4
	s_delay_alu instid0(VALU_DEP_2) | instskip(NEXT) | instid1(VALU_DEP_1)
	v_and_or_b32 v5, 0x8000, v6, v5
	v_lshl_or_b32 v98, v5, 16, v4
.LBB305_169:                            ;   in Loop: Header=BB305_11 Depth=1
	s_wait_alu 0xfffe
	s_or_b32 exec_lo, exec_lo, s18
.LBB305_170:                            ;   in Loop: Header=BB305_11 Depth=1
	s_wait_alu 0xfffe
	s_or_b32 exec_lo, exec_lo, s17
.LBB305_171:                            ;   in Loop: Header=BB305_11 Depth=1
	s_wait_alu 0xfffe
	s_or_b32 exec_lo, exec_lo, s2
	v_and_b32_e32 v4, 0xff, v29
	v_mov_b32_e32 v8, v29
	s_mov_b32 s2, exec_lo
	s_delay_alu instid0(VALU_DEP_2)
	v_cmpx_ne_u16_e32 0, v4
	s_cbranch_execz .LBB305_179
; %bb.172:                              ;   in Loop: Header=BB305_11 Depth=1
	v_mov_b32_e32 v97, 0x8000
	s_mov_b32 s17, exec_lo
	v_cmpx_ne_u16_e32 0x80, v4
	s_cbranch_execz .LBB305_178
; %bb.173:                              ;   in Loop: Header=BB305_11 Depth=1
	v_and_b32_e32 v6, 0x7f, v29
	v_mov_b32_e32 v97, 0x7c01
	s_mov_b32 s18, exec_lo
	s_delay_alu instid0(VALU_DEP_2)
	v_cmpx_ne_u32_e32 0x7f, v6
	s_cbranch_execz .LBB305_177
; %bb.174:                              ;   in Loop: Header=BB305_11 Depth=1
	v_and_b32_e32 v4, 7, v29
	v_lshrrev_b32_e32 v5, 3, v6
	s_mov_b32 s19, exec_lo
	v_cmpx_gt_u32_e32 8, v6
; %bb.175:                              ;   in Loop: Header=BB305_11 Depth=1
	s_delay_alu instid0(VALU_DEP_3) | instskip(NEXT) | instid1(VALU_DEP_1)
	v_clz_i32_u32_e32 v4, v4
	v_min_u32_e32 v6, 32, v4
	s_delay_alu instid0(VALU_DEP_1) | instskip(NEXT) | instid1(VALU_DEP_1)
	v_subrev_nc_u32_e32 v4, 28, v6
	v_lshlrev_b64_e32 v[4:5], v4, v[8:9]
	v_sub_nc_u32_e32 v5, 29, v6
	s_delay_alu instid0(VALU_DEP_2)
	v_and_b32_e32 v4, 7, v4
; %bb.176:                              ;   in Loop: Header=BB305_11 Depth=1
	s_wait_alu 0xfffe
	s_or_b32 exec_lo, exec_lo, s19
	v_lshlrev_b32_e32 v6, 8, v29
	v_lshl_add_u32 v5, v5, 10, 0x2000
	v_lshlrev_b32_e32 v4, 7, v4
	s_delay_alu instid0(VALU_DEP_3) | instskip(NEXT) | instid1(VALU_DEP_3)
	v_and_b32_e32 v6, 0x8000, v6
	v_and_b32_e32 v5, 0xfc00, v5
	s_delay_alu instid0(VALU_DEP_1)
	v_or3_b32 v97, v6, v5, v4
.LBB305_177:                            ;   in Loop: Header=BB305_11 Depth=1
	s_wait_alu 0xfffe
	s_or_b32 exec_lo, exec_lo, s18
.LBB305_178:                            ;   in Loop: Header=BB305_11 Depth=1
	s_wait_alu 0xfffe
	s_or_b32 exec_lo, exec_lo, s17
.LBB305_179:                            ;   in Loop: Header=BB305_11 Depth=1
	s_wait_alu 0xfffe
	s_or_b32 exec_lo, exec_lo, s2
	v_lshrrev_b16 v8, 8, v8
	v_dual_mov_b32 v101, 0 :: v_dual_mov_b32 v100, 0
	s_mov_b32 s2, exec_lo
	s_delay_alu instid0(VALU_DEP_2)
	v_cmpx_ne_u16_e32 0, v8
	s_cbranch_execz .LBB305_187
; %bb.180:                              ;   in Loop: Header=BB305_11 Depth=1
	v_bfrev_b32_e32 v100, 1
	s_mov_b32 s17, exec_lo
	v_cmpx_ne_u16_e32 0x80, v8
	s_cbranch_execz .LBB305_186
; %bb.181:                              ;   in Loop: Header=BB305_11 Depth=1
	v_and_b32_e32 v4, 0xffff, v8
	v_mov_b32_e32 v100, 0x7c010000
	s_mov_b32 s18, exec_lo
	s_delay_alu instid0(VALU_DEP_2) | instskip(NEXT) | instid1(VALU_DEP_1)
	v_and_b32_e32 v7, 0x7f, v4
	v_cmpx_ne_u32_e32 0x7f, v7
	s_cbranch_execz .LBB305_185
; %bb.182:                              ;   in Loop: Header=BB305_11 Depth=1
	v_and_b32_e32 v5, 7, v4
	v_lshrrev_b32_e32 v6, 3, v7
	s_mov_b32 s19, exec_lo
	v_cmpx_gt_u32_e32 8, v7
; %bb.183:                              ;   in Loop: Header=BB305_11 Depth=1
	s_delay_alu instid0(VALU_DEP_3) | instskip(NEXT) | instid1(VALU_DEP_1)
	v_clz_i32_u32_e32 v5, v5
	v_min_u32_e32 v7, 32, v5
	s_delay_alu instid0(VALU_DEP_1) | instskip(NEXT) | instid1(VALU_DEP_1)
	v_subrev_nc_u32_e32 v5, 28, v7
	v_lshlrev_b64_e32 v[5:6], v5, v[8:9]
	v_sub_nc_u32_e32 v6, 29, v7
	s_delay_alu instid0(VALU_DEP_2)
	v_and_b32_e32 v5, 7, v5
; %bb.184:                              ;   in Loop: Header=BB305_11 Depth=1
	s_wait_alu 0xfffe
	s_or_b32 exec_lo, exec_lo, s19
	v_lshlrev_b32_e32 v4, 8, v4
	v_lshl_add_u32 v6, v6, 10, 0x2000
	v_lshlrev_b32_e32 v5, 23, v5
	s_delay_alu instid0(VALU_DEP_2) | instskip(NEXT) | instid1(VALU_DEP_1)
	v_and_or_b32 v4, 0x8000, v4, v6
	v_lshl_or_b32 v100, v4, 16, v5
.LBB305_185:                            ;   in Loop: Header=BB305_11 Depth=1
	s_wait_alu 0xfffe
	s_or_b32 exec_lo, exec_lo, s18
.LBB305_186:                            ;   in Loop: Header=BB305_11 Depth=1
	s_wait_alu 0xfffe
	s_or_b32 exec_lo, exec_lo, s17
.LBB305_187:                            ;   in Loop: Header=BB305_11 Depth=1
	s_wait_alu 0xfffe
	s_or_b32 exec_lo, exec_lo, s2
	v_lshrrev_b32_e32 v8, 16, v29
	s_mov_b32 s2, exec_lo
	s_delay_alu instid0(VALU_DEP_1) | instskip(NEXT) | instid1(VALU_DEP_1)
	v_and_b32_e32 v4, 0xff, v8
	v_cmpx_ne_u16_e32 0, v4
	s_cbranch_execz .LBB305_195
; %bb.188:                              ;   in Loop: Header=BB305_11 Depth=1
	v_mov_b32_e32 v101, 0x8000
	s_mov_b32 s17, exec_lo
	v_cmpx_ne_u16_e32 0x80, v4
	s_cbranch_execz .LBB305_194
; %bb.189:                              ;   in Loop: Header=BB305_11 Depth=1
	v_bfe_u32 v6, v29, 16, 7
	v_mov_b32_e32 v101, 0x7c01
	s_mov_b32 s18, exec_lo
	s_delay_alu instid0(VALU_DEP_2)
	v_cmpx_ne_u32_e32 0x7f, v6
	s_cbranch_execz .LBB305_193
; %bb.190:                              ;   in Loop: Header=BB305_11 Depth=1
	v_and_b32_e32 v4, 7, v8
	v_lshrrev_b32_e32 v5, 3, v6
	s_mov_b32 s19, exec_lo
	v_cmpx_gt_u32_e32 8, v6
; %bb.191:                              ;   in Loop: Header=BB305_11 Depth=1
	s_delay_alu instid0(VALU_DEP_3) | instskip(NEXT) | instid1(VALU_DEP_1)
	v_clz_i32_u32_e32 v4, v4
	v_min_u32_e32 v6, 32, v4
	s_delay_alu instid0(VALU_DEP_1) | instskip(NEXT) | instid1(VALU_DEP_1)
	v_subrev_nc_u32_e32 v4, 28, v6
	v_lshlrev_b64_e32 v[4:5], v4, v[8:9]
	v_sub_nc_u32_e32 v5, 29, v6
	s_delay_alu instid0(VALU_DEP_2)
	v_and_b32_e32 v4, 7, v4
; %bb.192:                              ;   in Loop: Header=BB305_11 Depth=1
	s_wait_alu 0xfffe
	s_or_b32 exec_lo, exec_lo, s19
	v_lshlrev_b32_e32 v6, 8, v8
	v_lshl_add_u32 v5, v5, 10, 0x2000
	v_lshlrev_b32_e32 v4, 7, v4
	s_delay_alu instid0(VALU_DEP_3) | instskip(NEXT) | instid1(VALU_DEP_3)
	v_and_b32_e32 v6, 0x8000, v6
	v_and_b32_e32 v5, 0xfc00, v5
	s_delay_alu instid0(VALU_DEP_1)
	v_or3_b32 v101, v6, v5, v4
.LBB305_193:                            ;   in Loop: Header=BB305_11 Depth=1
	s_wait_alu 0xfffe
	s_or_b32 exec_lo, exec_lo, s18
.LBB305_194:                            ;   in Loop: Header=BB305_11 Depth=1
	s_wait_alu 0xfffe
	s_or_b32 exec_lo, exec_lo, s17
.LBB305_195:                            ;   in Loop: Header=BB305_11 Depth=1
	s_wait_alu 0xfffe
	s_or_b32 exec_lo, exec_lo, s2
	v_dual_mov_b32 v99, 0 :: v_dual_mov_b32 v112, 0
	s_mov_b32 s2, exec_lo
	v_cmpx_lt_u64_e64 s[8:9], v[28:29]
	s_cbranch_execz .LBB305_203
; %bb.196:                              ;   in Loop: Header=BB305_11 Depth=1
	v_lshrrev_b32_e32 v8, 24, v29
	v_bfrev_b32_e32 v112, 1
	s_mov_b32 s17, exec_lo
	s_delay_alu instid0(VALU_DEP_2)
	v_cmpx_ne_u32_e32 0x80, v8
	s_cbranch_execz .LBB305_202
; %bb.197:                              ;   in Loop: Header=BB305_11 Depth=1
	v_and_b32_e32 v6, 0x7f, v8
	v_mov_b32_e32 v112, 0x7c010000
	s_mov_b32 s18, exec_lo
	s_delay_alu instid0(VALU_DEP_2)
	v_cmpx_ne_u32_e32 0x7f, v6
	s_cbranch_execz .LBB305_201
; %bb.198:                              ;   in Loop: Header=BB305_11 Depth=1
	v_and_b32_e32 v4, 7, v8
	v_lshrrev_b32_e32 v5, 3, v6
	s_mov_b32 s19, exec_lo
	v_cmpx_gt_u32_e32 8, v6
; %bb.199:                              ;   in Loop: Header=BB305_11 Depth=1
	s_delay_alu instid0(VALU_DEP_3) | instskip(NEXT) | instid1(VALU_DEP_1)
	v_clz_i32_u32_e32 v4, v4
	v_min_u32_e32 v6, 32, v4
	s_delay_alu instid0(VALU_DEP_1) | instskip(NEXT) | instid1(VALU_DEP_1)
	v_subrev_nc_u32_e32 v4, 28, v6
	v_lshlrev_b64_e32 v[4:5], v4, v[8:9]
	v_sub_nc_u32_e32 v5, 29, v6
	s_delay_alu instid0(VALU_DEP_2)
	v_and_b32_e32 v4, 7, v4
; %bb.200:                              ;   in Loop: Header=BB305_11 Depth=1
	s_wait_alu 0xfffe
	s_or_b32 exec_lo, exec_lo, s19
	v_lshlrev_b32_e32 v6, 8, v8
	v_lshl_add_u32 v5, v5, 10, 0x2000
	v_lshlrev_b32_e32 v4, 23, v4
	s_delay_alu instid0(VALU_DEP_2) | instskip(NEXT) | instid1(VALU_DEP_1)
	v_and_or_b32 v5, 0x8000, v6, v5
	v_lshl_or_b32 v112, v5, 16, v4
.LBB305_201:                            ;   in Loop: Header=BB305_11 Depth=1
	s_wait_alu 0xfffe
	s_or_b32 exec_lo, exec_lo, s18
.LBB305_202:                            ;   in Loop: Header=BB305_11 Depth=1
	s_wait_alu 0xfffe
	s_or_b32 exec_lo, exec_lo, s17
.LBB305_203:                            ;   in Loop: Header=BB305_11 Depth=1
	s_wait_alu 0xfffe
	s_or_b32 exec_lo, exec_lo, s2
	flat_load_b64 v[28:29], v[20:21] offset:520
	s_mov_b32 s2, exec_lo
	s_wait_loadcnt_dscnt 0x0
	v_and_b32_e32 v4, 0xff, v28
	s_delay_alu instid0(VALU_DEP_1)
	v_cmpx_ne_u16_e32 0, v4
	s_cbranch_execz .LBB305_211
; %bb.204:                              ;   in Loop: Header=BB305_11 Depth=1
	v_mov_b32_e32 v99, 0x8000
	s_mov_b32 s17, exec_lo
	v_cmpx_ne_u16_e32 0x80, v4
	s_cbranch_execz .LBB305_210
; %bb.205:                              ;   in Loop: Header=BB305_11 Depth=1
	v_and_b32_e32 v6, 0x7f, v28
	v_mov_b32_e32 v99, 0x7c01
	s_mov_b32 s18, exec_lo
	s_delay_alu instid0(VALU_DEP_2)
	v_cmpx_ne_u32_e32 0x7f, v6
	s_cbranch_execz .LBB305_209
; %bb.206:                              ;   in Loop: Header=BB305_11 Depth=1
	v_and_b32_e32 v4, 7, v28
	v_lshrrev_b32_e32 v5, 3, v6
	s_mov_b32 s19, exec_lo
	v_cmpx_gt_u32_e32 8, v6
; %bb.207:                              ;   in Loop: Header=BB305_11 Depth=1
	s_delay_alu instid0(VALU_DEP_3) | instskip(NEXT) | instid1(VALU_DEP_1)
	v_clz_i32_u32_e32 v4, v4
	v_min_u32_e32 v6, 32, v4
	s_delay_alu instid0(VALU_DEP_1) | instskip(NEXT) | instid1(VALU_DEP_1)
	v_subrev_nc_u32_e32 v4, 28, v6
	v_lshlrev_b64_e32 v[4:5], v4, v[28:29]
	v_sub_nc_u32_e32 v5, 29, v6
	s_delay_alu instid0(VALU_DEP_2)
	v_and_b32_e32 v4, 7, v4
; %bb.208:                              ;   in Loop: Header=BB305_11 Depth=1
	s_wait_alu 0xfffe
	s_or_b32 exec_lo, exec_lo, s19
	v_lshlrev_b32_e32 v6, 8, v28
	v_lshl_add_u32 v5, v5, 10, 0x2000
	v_lshlrev_b32_e32 v4, 7, v4
	s_delay_alu instid0(VALU_DEP_3) | instskip(NEXT) | instid1(VALU_DEP_3)
	v_and_b32_e32 v6, 0x8000, v6
	v_and_b32_e32 v5, 0xfc00, v5
	s_delay_alu instid0(VALU_DEP_1)
	v_or3_b32 v99, v6, v5, v4
.LBB305_209:                            ;   in Loop: Header=BB305_11 Depth=1
	s_wait_alu 0xfffe
	s_or_b32 exec_lo, exec_lo, s18
.LBB305_210:                            ;   in Loop: Header=BB305_11 Depth=1
	s_wait_alu 0xfffe
	s_or_b32 exec_lo, exec_lo, s17
.LBB305_211:                            ;   in Loop: Header=BB305_11 Depth=1
	s_wait_alu 0xfffe
	s_or_b32 exec_lo, exec_lo, s2
	v_lshrrev_b16 v8, 8, v28
	v_dual_mov_b32 v103, 0 :: v_dual_mov_b32 v102, 0
	s_mov_b32 s2, exec_lo
	s_delay_alu instid0(VALU_DEP_2)
	v_cmpx_ne_u16_e32 0, v8
	s_cbranch_execz .LBB305_219
; %bb.212:                              ;   in Loop: Header=BB305_11 Depth=1
	v_bfrev_b32_e32 v102, 1
	s_mov_b32 s17, exec_lo
	v_cmpx_ne_u16_e32 0x80, v8
	s_cbranch_execz .LBB305_218
; %bb.213:                              ;   in Loop: Header=BB305_11 Depth=1
	v_and_b32_e32 v4, 0xffff, v8
	v_mov_b32_e32 v102, 0x7c010000
	s_mov_b32 s18, exec_lo
	s_delay_alu instid0(VALU_DEP_2) | instskip(NEXT) | instid1(VALU_DEP_1)
	v_and_b32_e32 v7, 0x7f, v4
	v_cmpx_ne_u32_e32 0x7f, v7
	s_cbranch_execz .LBB305_217
; %bb.214:                              ;   in Loop: Header=BB305_11 Depth=1
	v_and_b32_e32 v5, 7, v4
	v_lshrrev_b32_e32 v6, 3, v7
	s_mov_b32 s19, exec_lo
	v_cmpx_gt_u32_e32 8, v7
; %bb.215:                              ;   in Loop: Header=BB305_11 Depth=1
	s_delay_alu instid0(VALU_DEP_3) | instskip(NEXT) | instid1(VALU_DEP_1)
	v_clz_i32_u32_e32 v5, v5
	v_min_u32_e32 v7, 32, v5
	s_delay_alu instid0(VALU_DEP_1) | instskip(NEXT) | instid1(VALU_DEP_1)
	v_subrev_nc_u32_e32 v5, 28, v7
	v_lshlrev_b64_e32 v[5:6], v5, v[8:9]
	v_sub_nc_u32_e32 v6, 29, v7
	s_delay_alu instid0(VALU_DEP_2)
	v_and_b32_e32 v5, 7, v5
; %bb.216:                              ;   in Loop: Header=BB305_11 Depth=1
	s_wait_alu 0xfffe
	s_or_b32 exec_lo, exec_lo, s19
	v_lshlrev_b32_e32 v4, 8, v4
	v_lshl_add_u32 v6, v6, 10, 0x2000
	v_lshlrev_b32_e32 v5, 23, v5
	s_delay_alu instid0(VALU_DEP_2) | instskip(NEXT) | instid1(VALU_DEP_1)
	v_and_or_b32 v4, 0x8000, v4, v6
	v_lshl_or_b32 v102, v4, 16, v5
.LBB305_217:                            ;   in Loop: Header=BB305_11 Depth=1
	s_wait_alu 0xfffe
	s_or_b32 exec_lo, exec_lo, s18
.LBB305_218:                            ;   in Loop: Header=BB305_11 Depth=1
	s_wait_alu 0xfffe
	s_or_b32 exec_lo, exec_lo, s17
.LBB305_219:                            ;   in Loop: Header=BB305_11 Depth=1
	s_wait_alu 0xfffe
	s_or_b32 exec_lo, exec_lo, s2
	v_lshrrev_b32_e32 v8, 16, v28
	s_mov_b32 s2, exec_lo
	s_delay_alu instid0(VALU_DEP_1) | instskip(NEXT) | instid1(VALU_DEP_1)
	v_and_b32_e32 v4, 0xff, v8
	v_cmpx_ne_u16_e32 0, v4
	s_cbranch_execz .LBB305_227
; %bb.220:                              ;   in Loop: Header=BB305_11 Depth=1
	v_mov_b32_e32 v103, 0x8000
	s_mov_b32 s17, exec_lo
	v_cmpx_ne_u16_e32 0x80, v4
	s_cbranch_execz .LBB305_226
; %bb.221:                              ;   in Loop: Header=BB305_11 Depth=1
	v_bfe_u32 v6, v28, 16, 7
	v_mov_b32_e32 v103, 0x7c01
	s_mov_b32 s18, exec_lo
	s_delay_alu instid0(VALU_DEP_2)
	v_cmpx_ne_u32_e32 0x7f, v6
	s_cbranch_execz .LBB305_225
; %bb.222:                              ;   in Loop: Header=BB305_11 Depth=1
	v_and_b32_e32 v4, 7, v8
	v_lshrrev_b32_e32 v5, 3, v6
	s_mov_b32 s19, exec_lo
	v_cmpx_gt_u32_e32 8, v6
; %bb.223:                              ;   in Loop: Header=BB305_11 Depth=1
	s_delay_alu instid0(VALU_DEP_3) | instskip(NEXT) | instid1(VALU_DEP_1)
	v_clz_i32_u32_e32 v4, v4
	v_min_u32_e32 v6, 32, v4
	s_delay_alu instid0(VALU_DEP_1) | instskip(NEXT) | instid1(VALU_DEP_1)
	v_subrev_nc_u32_e32 v4, 28, v6
	v_lshlrev_b64_e32 v[4:5], v4, v[8:9]
	v_sub_nc_u32_e32 v5, 29, v6
	s_delay_alu instid0(VALU_DEP_2)
	v_and_b32_e32 v4, 7, v4
; %bb.224:                              ;   in Loop: Header=BB305_11 Depth=1
	s_wait_alu 0xfffe
	s_or_b32 exec_lo, exec_lo, s19
	v_lshlrev_b32_e32 v6, 8, v8
	v_lshl_add_u32 v5, v5, 10, 0x2000
	v_lshlrev_b32_e32 v4, 7, v4
	s_delay_alu instid0(VALU_DEP_3) | instskip(NEXT) | instid1(VALU_DEP_3)
	v_and_b32_e32 v6, 0x8000, v6
	v_and_b32_e32 v5, 0xfc00, v5
	s_delay_alu instid0(VALU_DEP_1)
	v_or3_b32 v103, v6, v5, v4
.LBB305_225:                            ;   in Loop: Header=BB305_11 Depth=1
	s_wait_alu 0xfffe
	s_or_b32 exec_lo, exec_lo, s18
.LBB305_226:                            ;   in Loop: Header=BB305_11 Depth=1
	s_wait_alu 0xfffe
	s_or_b32 exec_lo, exec_lo, s17
.LBB305_227:                            ;   in Loop: Header=BB305_11 Depth=1
	s_wait_alu 0xfffe
	s_or_b32 exec_lo, exec_lo, s2
	v_dual_mov_b32 v113, 0 :: v_dual_mov_b32 v114, 0
	s_mov_b32 s2, exec_lo
	v_cmpx_lt_u32_e32 0xffffff, v28
	s_cbranch_execz .LBB305_235
; %bb.228:                              ;   in Loop: Header=BB305_11 Depth=1
	v_lshrrev_b32_e32 v8, 24, v28
	v_bfrev_b32_e32 v114, 1
	s_mov_b32 s17, exec_lo
	s_delay_alu instid0(VALU_DEP_2)
	v_cmpx_ne_u32_e32 0x80, v8
	s_cbranch_execz .LBB305_234
; %bb.229:                              ;   in Loop: Header=BB305_11 Depth=1
	v_and_b32_e32 v6, 0x7f, v8
	v_mov_b32_e32 v114, 0x7c010000
	s_mov_b32 s18, exec_lo
	s_delay_alu instid0(VALU_DEP_2)
	v_cmpx_ne_u32_e32 0x7f, v6
	s_cbranch_execz .LBB305_233
; %bb.230:                              ;   in Loop: Header=BB305_11 Depth=1
	v_and_b32_e32 v4, 7, v8
	v_lshrrev_b32_e32 v5, 3, v6
	s_mov_b32 s19, exec_lo
	v_cmpx_gt_u32_e32 8, v6
; %bb.231:                              ;   in Loop: Header=BB305_11 Depth=1
	s_delay_alu instid0(VALU_DEP_3) | instskip(NEXT) | instid1(VALU_DEP_1)
	v_clz_i32_u32_e32 v4, v4
	v_min_u32_e32 v6, 32, v4
	s_delay_alu instid0(VALU_DEP_1) | instskip(NEXT) | instid1(VALU_DEP_1)
	v_subrev_nc_u32_e32 v4, 28, v6
	v_lshlrev_b64_e32 v[4:5], v4, v[8:9]
	v_sub_nc_u32_e32 v5, 29, v6
	s_delay_alu instid0(VALU_DEP_2)
	v_and_b32_e32 v4, 7, v4
; %bb.232:                              ;   in Loop: Header=BB305_11 Depth=1
	s_wait_alu 0xfffe
	s_or_b32 exec_lo, exec_lo, s19
	v_lshlrev_b32_e32 v6, 8, v8
	v_lshl_add_u32 v5, v5, 10, 0x2000
	v_lshlrev_b32_e32 v4, 23, v4
	s_delay_alu instid0(VALU_DEP_2) | instskip(NEXT) | instid1(VALU_DEP_1)
	v_and_or_b32 v5, 0x8000, v6, v5
	v_lshl_or_b32 v114, v5, 16, v4
.LBB305_233:                            ;   in Loop: Header=BB305_11 Depth=1
	s_wait_alu 0xfffe
	s_or_b32 exec_lo, exec_lo, s18
.LBB305_234:                            ;   in Loop: Header=BB305_11 Depth=1
	s_wait_alu 0xfffe
	s_or_b32 exec_lo, exec_lo, s17
.LBB305_235:                            ;   in Loop: Header=BB305_11 Depth=1
	s_wait_alu 0xfffe
	s_or_b32 exec_lo, exec_lo, s2
	v_and_b32_e32 v4, 0xff, v29
	v_mov_b32_e32 v8, v29
	s_mov_b32 s2, exec_lo
	s_delay_alu instid0(VALU_DEP_2)
	v_cmpx_ne_u16_e32 0, v4
	s_cbranch_execz .LBB305_243
; %bb.236:                              ;   in Loop: Header=BB305_11 Depth=1
	v_mov_b32_e32 v113, 0x8000
	s_mov_b32 s17, exec_lo
	v_cmpx_ne_u16_e32 0x80, v4
	s_cbranch_execz .LBB305_242
; %bb.237:                              ;   in Loop: Header=BB305_11 Depth=1
	v_and_b32_e32 v6, 0x7f, v29
	v_mov_b32_e32 v113, 0x7c01
	s_mov_b32 s18, exec_lo
	s_delay_alu instid0(VALU_DEP_2)
	v_cmpx_ne_u32_e32 0x7f, v6
	s_cbranch_execz .LBB305_241
; %bb.238:                              ;   in Loop: Header=BB305_11 Depth=1
	v_and_b32_e32 v4, 7, v29
	v_lshrrev_b32_e32 v5, 3, v6
	s_mov_b32 s19, exec_lo
	v_cmpx_gt_u32_e32 8, v6
; %bb.239:                              ;   in Loop: Header=BB305_11 Depth=1
	s_delay_alu instid0(VALU_DEP_3) | instskip(NEXT) | instid1(VALU_DEP_1)
	v_clz_i32_u32_e32 v4, v4
	v_min_u32_e32 v6, 32, v4
	s_delay_alu instid0(VALU_DEP_1) | instskip(NEXT) | instid1(VALU_DEP_1)
	v_subrev_nc_u32_e32 v4, 28, v6
	v_lshlrev_b64_e32 v[4:5], v4, v[8:9]
	v_sub_nc_u32_e32 v5, 29, v6
	s_delay_alu instid0(VALU_DEP_2)
	v_and_b32_e32 v4, 7, v4
; %bb.240:                              ;   in Loop: Header=BB305_11 Depth=1
	s_wait_alu 0xfffe
	s_or_b32 exec_lo, exec_lo, s19
	v_lshlrev_b32_e32 v6, 8, v29
	v_lshl_add_u32 v5, v5, 10, 0x2000
	v_lshlrev_b32_e32 v4, 7, v4
	s_delay_alu instid0(VALU_DEP_3) | instskip(NEXT) | instid1(VALU_DEP_3)
	v_and_b32_e32 v6, 0x8000, v6
	v_and_b32_e32 v5, 0xfc00, v5
	s_delay_alu instid0(VALU_DEP_1)
	v_or3_b32 v113, v6, v5, v4
.LBB305_241:                            ;   in Loop: Header=BB305_11 Depth=1
	s_wait_alu 0xfffe
	s_or_b32 exec_lo, exec_lo, s18
.LBB305_242:                            ;   in Loop: Header=BB305_11 Depth=1
	s_wait_alu 0xfffe
	s_or_b32 exec_lo, exec_lo, s17
.LBB305_243:                            ;   in Loop: Header=BB305_11 Depth=1
	s_wait_alu 0xfffe
	s_or_b32 exec_lo, exec_lo, s2
	v_lshrrev_b16 v8, 8, v8
	v_dual_mov_b32 v117, 0 :: v_dual_mov_b32 v116, 0
	s_mov_b32 s2, exec_lo
	s_delay_alu instid0(VALU_DEP_2)
	v_cmpx_ne_u16_e32 0, v8
	s_cbranch_execz .LBB305_251
; %bb.244:                              ;   in Loop: Header=BB305_11 Depth=1
	v_bfrev_b32_e32 v116, 1
	s_mov_b32 s17, exec_lo
	v_cmpx_ne_u16_e32 0x80, v8
	s_cbranch_execz .LBB305_250
; %bb.245:                              ;   in Loop: Header=BB305_11 Depth=1
	v_and_b32_e32 v4, 0xffff, v8
	v_mov_b32_e32 v116, 0x7c010000
	s_mov_b32 s18, exec_lo
	s_delay_alu instid0(VALU_DEP_2) | instskip(NEXT) | instid1(VALU_DEP_1)
	v_and_b32_e32 v7, 0x7f, v4
	v_cmpx_ne_u32_e32 0x7f, v7
	s_cbranch_execz .LBB305_249
; %bb.246:                              ;   in Loop: Header=BB305_11 Depth=1
	v_and_b32_e32 v5, 7, v4
	v_lshrrev_b32_e32 v6, 3, v7
	s_mov_b32 s19, exec_lo
	v_cmpx_gt_u32_e32 8, v7
; %bb.247:                              ;   in Loop: Header=BB305_11 Depth=1
	s_delay_alu instid0(VALU_DEP_3) | instskip(NEXT) | instid1(VALU_DEP_1)
	v_clz_i32_u32_e32 v5, v5
	v_min_u32_e32 v7, 32, v5
	s_delay_alu instid0(VALU_DEP_1) | instskip(NEXT) | instid1(VALU_DEP_1)
	v_subrev_nc_u32_e32 v5, 28, v7
	v_lshlrev_b64_e32 v[5:6], v5, v[8:9]
	v_sub_nc_u32_e32 v6, 29, v7
	s_delay_alu instid0(VALU_DEP_2)
	v_and_b32_e32 v5, 7, v5
; %bb.248:                              ;   in Loop: Header=BB305_11 Depth=1
	s_wait_alu 0xfffe
	s_or_b32 exec_lo, exec_lo, s19
	v_lshlrev_b32_e32 v4, 8, v4
	v_lshl_add_u32 v6, v6, 10, 0x2000
	v_lshlrev_b32_e32 v5, 23, v5
	s_delay_alu instid0(VALU_DEP_2) | instskip(NEXT) | instid1(VALU_DEP_1)
	v_and_or_b32 v4, 0x8000, v4, v6
	v_lshl_or_b32 v116, v4, 16, v5
.LBB305_249:                            ;   in Loop: Header=BB305_11 Depth=1
	s_wait_alu 0xfffe
	s_or_b32 exec_lo, exec_lo, s18
.LBB305_250:                            ;   in Loop: Header=BB305_11 Depth=1
	s_wait_alu 0xfffe
	s_or_b32 exec_lo, exec_lo, s17
.LBB305_251:                            ;   in Loop: Header=BB305_11 Depth=1
	s_wait_alu 0xfffe
	s_or_b32 exec_lo, exec_lo, s2
	v_lshrrev_b32_e32 v8, 16, v29
	s_mov_b32 s2, exec_lo
	s_delay_alu instid0(VALU_DEP_1) | instskip(NEXT) | instid1(VALU_DEP_1)
	v_and_b32_e32 v4, 0xff, v8
	v_cmpx_ne_u16_e32 0, v4
	s_cbranch_execz .LBB305_259
; %bb.252:                              ;   in Loop: Header=BB305_11 Depth=1
	v_mov_b32_e32 v117, 0x8000
	s_mov_b32 s17, exec_lo
	v_cmpx_ne_u16_e32 0x80, v4
	s_cbranch_execz .LBB305_258
; %bb.253:                              ;   in Loop: Header=BB305_11 Depth=1
	v_bfe_u32 v6, v29, 16, 7
	v_mov_b32_e32 v117, 0x7c01
	s_mov_b32 s18, exec_lo
	s_delay_alu instid0(VALU_DEP_2)
	v_cmpx_ne_u32_e32 0x7f, v6
	s_cbranch_execz .LBB305_257
; %bb.254:                              ;   in Loop: Header=BB305_11 Depth=1
	v_and_b32_e32 v4, 7, v8
	v_lshrrev_b32_e32 v5, 3, v6
	s_mov_b32 s19, exec_lo
	v_cmpx_gt_u32_e32 8, v6
; %bb.255:                              ;   in Loop: Header=BB305_11 Depth=1
	s_delay_alu instid0(VALU_DEP_3) | instskip(NEXT) | instid1(VALU_DEP_1)
	v_clz_i32_u32_e32 v4, v4
	v_min_u32_e32 v6, 32, v4
	s_delay_alu instid0(VALU_DEP_1) | instskip(NEXT) | instid1(VALU_DEP_1)
	v_subrev_nc_u32_e32 v4, 28, v6
	v_lshlrev_b64_e32 v[4:5], v4, v[8:9]
	v_sub_nc_u32_e32 v5, 29, v6
	s_delay_alu instid0(VALU_DEP_2)
	v_and_b32_e32 v4, 7, v4
; %bb.256:                              ;   in Loop: Header=BB305_11 Depth=1
	s_wait_alu 0xfffe
	s_or_b32 exec_lo, exec_lo, s19
	v_lshlrev_b32_e32 v6, 8, v8
	v_lshl_add_u32 v5, v5, 10, 0x2000
	v_lshlrev_b32_e32 v4, 7, v4
	s_delay_alu instid0(VALU_DEP_3) | instskip(NEXT) | instid1(VALU_DEP_3)
	v_and_b32_e32 v6, 0x8000, v6
	v_and_b32_e32 v5, 0xfc00, v5
	s_delay_alu instid0(VALU_DEP_1)
	v_or3_b32 v117, v6, v5, v4
.LBB305_257:                            ;   in Loop: Header=BB305_11 Depth=1
	s_wait_alu 0xfffe
	s_or_b32 exec_lo, exec_lo, s18
.LBB305_258:                            ;   in Loop: Header=BB305_11 Depth=1
	s_wait_alu 0xfffe
	s_or_b32 exec_lo, exec_lo, s17
.LBB305_259:                            ;   in Loop: Header=BB305_11 Depth=1
	s_wait_alu 0xfffe
	s_or_b32 exec_lo, exec_lo, s2
	v_dual_mov_b32 v115, 0 :: v_dual_mov_b32 v128, 0
	s_mov_b32 s2, exec_lo
	v_cmpx_lt_u64_e64 s[8:9], v[28:29]
	s_cbranch_execz .LBB305_267
; %bb.260:                              ;   in Loop: Header=BB305_11 Depth=1
	v_lshrrev_b32_e32 v8, 24, v29
	v_bfrev_b32_e32 v128, 1
	s_mov_b32 s17, exec_lo
	s_delay_alu instid0(VALU_DEP_2)
	v_cmpx_ne_u32_e32 0x80, v8
	s_cbranch_execz .LBB305_266
; %bb.261:                              ;   in Loop: Header=BB305_11 Depth=1
	v_and_b32_e32 v6, 0x7f, v8
	v_mov_b32_e32 v128, 0x7c010000
	s_mov_b32 s18, exec_lo
	s_delay_alu instid0(VALU_DEP_2)
	v_cmpx_ne_u32_e32 0x7f, v6
	s_cbranch_execz .LBB305_265
; %bb.262:                              ;   in Loop: Header=BB305_11 Depth=1
	v_and_b32_e32 v4, 7, v8
	v_lshrrev_b32_e32 v5, 3, v6
	s_mov_b32 s19, exec_lo
	v_cmpx_gt_u32_e32 8, v6
; %bb.263:                              ;   in Loop: Header=BB305_11 Depth=1
	s_delay_alu instid0(VALU_DEP_3) | instskip(NEXT) | instid1(VALU_DEP_1)
	v_clz_i32_u32_e32 v4, v4
	v_min_u32_e32 v6, 32, v4
	s_delay_alu instid0(VALU_DEP_1) | instskip(NEXT) | instid1(VALU_DEP_1)
	v_subrev_nc_u32_e32 v4, 28, v6
	v_lshlrev_b64_e32 v[4:5], v4, v[8:9]
	v_sub_nc_u32_e32 v5, 29, v6
	s_delay_alu instid0(VALU_DEP_2)
	v_and_b32_e32 v4, 7, v4
; %bb.264:                              ;   in Loop: Header=BB305_11 Depth=1
	s_wait_alu 0xfffe
	s_or_b32 exec_lo, exec_lo, s19
	v_lshlrev_b32_e32 v6, 8, v8
	v_lshl_add_u32 v5, v5, 10, 0x2000
	v_lshlrev_b32_e32 v4, 23, v4
	s_delay_alu instid0(VALU_DEP_2) | instskip(NEXT) | instid1(VALU_DEP_1)
	v_and_or_b32 v5, 0x8000, v6, v5
	v_lshl_or_b32 v128, v5, 16, v4
.LBB305_265:                            ;   in Loop: Header=BB305_11 Depth=1
	s_wait_alu 0xfffe
	s_or_b32 exec_lo, exec_lo, s18
.LBB305_266:                            ;   in Loop: Header=BB305_11 Depth=1
	s_wait_alu 0xfffe
	s_or_b32 exec_lo, exec_lo, s17
.LBB305_267:                            ;   in Loop: Header=BB305_11 Depth=1
	s_wait_alu 0xfffe
	s_or_b32 exec_lo, exec_lo, s2
	flat_load_b64 v[28:29], v[20:21] offset:1024
	s_mov_b32 s2, exec_lo
	s_wait_loadcnt_dscnt 0x0
	v_and_b32_e32 v4, 0xff, v28
	s_delay_alu instid0(VALU_DEP_1)
	v_cmpx_ne_u16_e32 0, v4
	s_cbranch_execz .LBB305_275
; %bb.268:                              ;   in Loop: Header=BB305_11 Depth=1
	v_mov_b32_e32 v115, 0x8000
	s_mov_b32 s17, exec_lo
	v_cmpx_ne_u16_e32 0x80, v4
	s_cbranch_execz .LBB305_274
; %bb.269:                              ;   in Loop: Header=BB305_11 Depth=1
	v_and_b32_e32 v6, 0x7f, v28
	v_mov_b32_e32 v115, 0x7c01
	s_mov_b32 s18, exec_lo
	s_delay_alu instid0(VALU_DEP_2)
	v_cmpx_ne_u32_e32 0x7f, v6
	s_cbranch_execz .LBB305_273
; %bb.270:                              ;   in Loop: Header=BB305_11 Depth=1
	v_and_b32_e32 v4, 7, v28
	v_lshrrev_b32_e32 v5, 3, v6
	s_mov_b32 s19, exec_lo
	v_cmpx_gt_u32_e32 8, v6
; %bb.271:                              ;   in Loop: Header=BB305_11 Depth=1
	s_delay_alu instid0(VALU_DEP_3) | instskip(NEXT) | instid1(VALU_DEP_1)
	v_clz_i32_u32_e32 v4, v4
	v_min_u32_e32 v6, 32, v4
	s_delay_alu instid0(VALU_DEP_1) | instskip(NEXT) | instid1(VALU_DEP_1)
	v_subrev_nc_u32_e32 v4, 28, v6
	v_lshlrev_b64_e32 v[4:5], v4, v[28:29]
	v_sub_nc_u32_e32 v5, 29, v6
	s_delay_alu instid0(VALU_DEP_2)
	v_and_b32_e32 v4, 7, v4
; %bb.272:                              ;   in Loop: Header=BB305_11 Depth=1
	s_wait_alu 0xfffe
	s_or_b32 exec_lo, exec_lo, s19
	v_lshlrev_b32_e32 v6, 8, v28
	v_lshl_add_u32 v5, v5, 10, 0x2000
	v_lshlrev_b32_e32 v4, 7, v4
	s_delay_alu instid0(VALU_DEP_3) | instskip(NEXT) | instid1(VALU_DEP_3)
	v_and_b32_e32 v6, 0x8000, v6
	v_and_b32_e32 v5, 0xfc00, v5
	s_delay_alu instid0(VALU_DEP_1)
	v_or3_b32 v115, v6, v5, v4
.LBB305_273:                            ;   in Loop: Header=BB305_11 Depth=1
	s_wait_alu 0xfffe
	s_or_b32 exec_lo, exec_lo, s18
.LBB305_274:                            ;   in Loop: Header=BB305_11 Depth=1
	s_wait_alu 0xfffe
	s_or_b32 exec_lo, exec_lo, s17
.LBB305_275:                            ;   in Loop: Header=BB305_11 Depth=1
	s_wait_alu 0xfffe
	s_or_b32 exec_lo, exec_lo, s2
	v_lshrrev_b16 v8, 8, v28
	v_dual_mov_b32 v119, 0 :: v_dual_mov_b32 v118, 0
	s_mov_b32 s2, exec_lo
	s_delay_alu instid0(VALU_DEP_2)
	v_cmpx_ne_u16_e32 0, v8
	s_cbranch_execz .LBB305_283
; %bb.276:                              ;   in Loop: Header=BB305_11 Depth=1
	v_bfrev_b32_e32 v118, 1
	s_mov_b32 s17, exec_lo
	v_cmpx_ne_u16_e32 0x80, v8
	s_cbranch_execz .LBB305_282
; %bb.277:                              ;   in Loop: Header=BB305_11 Depth=1
	v_and_b32_e32 v4, 0xffff, v8
	v_mov_b32_e32 v118, 0x7c010000
	s_mov_b32 s18, exec_lo
	s_delay_alu instid0(VALU_DEP_2) | instskip(NEXT) | instid1(VALU_DEP_1)
	v_and_b32_e32 v7, 0x7f, v4
	v_cmpx_ne_u32_e32 0x7f, v7
	s_cbranch_execz .LBB305_281
; %bb.278:                              ;   in Loop: Header=BB305_11 Depth=1
	v_and_b32_e32 v5, 7, v4
	v_lshrrev_b32_e32 v6, 3, v7
	s_mov_b32 s19, exec_lo
	v_cmpx_gt_u32_e32 8, v7
; %bb.279:                              ;   in Loop: Header=BB305_11 Depth=1
	s_delay_alu instid0(VALU_DEP_3) | instskip(NEXT) | instid1(VALU_DEP_1)
	v_clz_i32_u32_e32 v5, v5
	v_min_u32_e32 v7, 32, v5
	s_delay_alu instid0(VALU_DEP_1) | instskip(NEXT) | instid1(VALU_DEP_1)
	v_subrev_nc_u32_e32 v5, 28, v7
	v_lshlrev_b64_e32 v[5:6], v5, v[8:9]
	v_sub_nc_u32_e32 v6, 29, v7
	s_delay_alu instid0(VALU_DEP_2)
	v_and_b32_e32 v5, 7, v5
; %bb.280:                              ;   in Loop: Header=BB305_11 Depth=1
	s_wait_alu 0xfffe
	s_or_b32 exec_lo, exec_lo, s19
	v_lshlrev_b32_e32 v4, 8, v4
	v_lshl_add_u32 v6, v6, 10, 0x2000
	v_lshlrev_b32_e32 v5, 23, v5
	s_delay_alu instid0(VALU_DEP_2) | instskip(NEXT) | instid1(VALU_DEP_1)
	v_and_or_b32 v4, 0x8000, v4, v6
	v_lshl_or_b32 v118, v4, 16, v5
.LBB305_281:                            ;   in Loop: Header=BB305_11 Depth=1
	s_wait_alu 0xfffe
	s_or_b32 exec_lo, exec_lo, s18
.LBB305_282:                            ;   in Loop: Header=BB305_11 Depth=1
	s_wait_alu 0xfffe
	s_or_b32 exec_lo, exec_lo, s17
.LBB305_283:                            ;   in Loop: Header=BB305_11 Depth=1
	s_wait_alu 0xfffe
	s_or_b32 exec_lo, exec_lo, s2
	v_lshrrev_b32_e32 v8, 16, v28
	s_mov_b32 s2, exec_lo
	s_delay_alu instid0(VALU_DEP_1) | instskip(NEXT) | instid1(VALU_DEP_1)
	v_and_b32_e32 v4, 0xff, v8
	v_cmpx_ne_u16_e32 0, v4
	s_cbranch_execz .LBB305_291
; %bb.284:                              ;   in Loop: Header=BB305_11 Depth=1
	v_mov_b32_e32 v119, 0x8000
	s_mov_b32 s17, exec_lo
	v_cmpx_ne_u16_e32 0x80, v4
	s_cbranch_execz .LBB305_290
; %bb.285:                              ;   in Loop: Header=BB305_11 Depth=1
	v_bfe_u32 v6, v28, 16, 7
	v_mov_b32_e32 v119, 0x7c01
	s_mov_b32 s18, exec_lo
	s_delay_alu instid0(VALU_DEP_2)
	v_cmpx_ne_u32_e32 0x7f, v6
	s_cbranch_execz .LBB305_289
; %bb.286:                              ;   in Loop: Header=BB305_11 Depth=1
	v_and_b32_e32 v4, 7, v8
	v_lshrrev_b32_e32 v5, 3, v6
	s_mov_b32 s19, exec_lo
	v_cmpx_gt_u32_e32 8, v6
; %bb.287:                              ;   in Loop: Header=BB305_11 Depth=1
	s_delay_alu instid0(VALU_DEP_3) | instskip(NEXT) | instid1(VALU_DEP_1)
	v_clz_i32_u32_e32 v4, v4
	v_min_u32_e32 v6, 32, v4
	s_delay_alu instid0(VALU_DEP_1) | instskip(NEXT) | instid1(VALU_DEP_1)
	v_subrev_nc_u32_e32 v4, 28, v6
	v_lshlrev_b64_e32 v[4:5], v4, v[8:9]
	v_sub_nc_u32_e32 v5, 29, v6
	s_delay_alu instid0(VALU_DEP_2)
	v_and_b32_e32 v4, 7, v4
; %bb.288:                              ;   in Loop: Header=BB305_11 Depth=1
	s_wait_alu 0xfffe
	s_or_b32 exec_lo, exec_lo, s19
	v_lshlrev_b32_e32 v6, 8, v8
	v_lshl_add_u32 v5, v5, 10, 0x2000
	v_lshlrev_b32_e32 v4, 7, v4
	s_delay_alu instid0(VALU_DEP_3) | instskip(NEXT) | instid1(VALU_DEP_3)
	v_and_b32_e32 v6, 0x8000, v6
	v_and_b32_e32 v5, 0xfc00, v5
	s_delay_alu instid0(VALU_DEP_1)
	v_or3_b32 v119, v6, v5, v4
.LBB305_289:                            ;   in Loop: Header=BB305_11 Depth=1
	s_wait_alu 0xfffe
	s_or_b32 exec_lo, exec_lo, s18
.LBB305_290:                            ;   in Loop: Header=BB305_11 Depth=1
	s_wait_alu 0xfffe
	s_or_b32 exec_lo, exec_lo, s17
.LBB305_291:                            ;   in Loop: Header=BB305_11 Depth=1
	s_wait_alu 0xfffe
	s_or_b32 exec_lo, exec_lo, s2
	v_dual_mov_b32 v129, 0 :: v_dual_mov_b32 v130, 0
	s_mov_b32 s2, exec_lo
	v_cmpx_lt_u32_e32 0xffffff, v28
	s_cbranch_execz .LBB305_299
; %bb.292:                              ;   in Loop: Header=BB305_11 Depth=1
	v_lshrrev_b32_e32 v8, 24, v28
	v_bfrev_b32_e32 v130, 1
	s_mov_b32 s17, exec_lo
	s_delay_alu instid0(VALU_DEP_2)
	v_cmpx_ne_u32_e32 0x80, v8
	s_cbranch_execz .LBB305_298
; %bb.293:                              ;   in Loop: Header=BB305_11 Depth=1
	v_and_b32_e32 v6, 0x7f, v8
	v_mov_b32_e32 v130, 0x7c010000
	s_mov_b32 s18, exec_lo
	s_delay_alu instid0(VALU_DEP_2)
	v_cmpx_ne_u32_e32 0x7f, v6
	s_cbranch_execz .LBB305_297
; %bb.294:                              ;   in Loop: Header=BB305_11 Depth=1
	v_and_b32_e32 v4, 7, v8
	v_lshrrev_b32_e32 v5, 3, v6
	s_mov_b32 s19, exec_lo
	v_cmpx_gt_u32_e32 8, v6
; %bb.295:                              ;   in Loop: Header=BB305_11 Depth=1
	s_delay_alu instid0(VALU_DEP_3) | instskip(NEXT) | instid1(VALU_DEP_1)
	v_clz_i32_u32_e32 v4, v4
	v_min_u32_e32 v6, 32, v4
	s_delay_alu instid0(VALU_DEP_1) | instskip(NEXT) | instid1(VALU_DEP_1)
	v_subrev_nc_u32_e32 v4, 28, v6
	v_lshlrev_b64_e32 v[4:5], v4, v[8:9]
	v_sub_nc_u32_e32 v5, 29, v6
	s_delay_alu instid0(VALU_DEP_2)
	v_and_b32_e32 v4, 7, v4
; %bb.296:                              ;   in Loop: Header=BB305_11 Depth=1
	s_wait_alu 0xfffe
	s_or_b32 exec_lo, exec_lo, s19
	v_lshlrev_b32_e32 v6, 8, v8
	v_lshl_add_u32 v5, v5, 10, 0x2000
	v_lshlrev_b32_e32 v4, 23, v4
	s_delay_alu instid0(VALU_DEP_2) | instskip(NEXT) | instid1(VALU_DEP_1)
	v_and_or_b32 v5, 0x8000, v6, v5
	v_lshl_or_b32 v130, v5, 16, v4
.LBB305_297:                            ;   in Loop: Header=BB305_11 Depth=1
	s_wait_alu 0xfffe
	s_or_b32 exec_lo, exec_lo, s18
.LBB305_298:                            ;   in Loop: Header=BB305_11 Depth=1
	s_wait_alu 0xfffe
	s_or_b32 exec_lo, exec_lo, s17
.LBB305_299:                            ;   in Loop: Header=BB305_11 Depth=1
	s_wait_alu 0xfffe
	s_or_b32 exec_lo, exec_lo, s2
	v_and_b32_e32 v4, 0xff, v29
	v_mov_b32_e32 v8, v29
	s_mov_b32 s2, exec_lo
	s_delay_alu instid0(VALU_DEP_2)
	v_cmpx_ne_u16_e32 0, v4
	s_cbranch_execz .LBB305_307
; %bb.300:                              ;   in Loop: Header=BB305_11 Depth=1
	v_mov_b32_e32 v129, 0x8000
	s_mov_b32 s17, exec_lo
	v_cmpx_ne_u16_e32 0x80, v4
	s_cbranch_execz .LBB305_306
; %bb.301:                              ;   in Loop: Header=BB305_11 Depth=1
	v_and_b32_e32 v6, 0x7f, v29
	v_mov_b32_e32 v129, 0x7c01
	s_mov_b32 s18, exec_lo
	s_delay_alu instid0(VALU_DEP_2)
	v_cmpx_ne_u32_e32 0x7f, v6
	s_cbranch_execz .LBB305_305
; %bb.302:                              ;   in Loop: Header=BB305_11 Depth=1
	v_and_b32_e32 v4, 7, v29
	v_lshrrev_b32_e32 v5, 3, v6
	s_mov_b32 s19, exec_lo
	v_cmpx_gt_u32_e32 8, v6
; %bb.303:                              ;   in Loop: Header=BB305_11 Depth=1
	s_delay_alu instid0(VALU_DEP_3) | instskip(NEXT) | instid1(VALU_DEP_1)
	v_clz_i32_u32_e32 v4, v4
	v_min_u32_e32 v6, 32, v4
	s_delay_alu instid0(VALU_DEP_1) | instskip(NEXT) | instid1(VALU_DEP_1)
	v_subrev_nc_u32_e32 v4, 28, v6
	v_lshlrev_b64_e32 v[4:5], v4, v[8:9]
	v_sub_nc_u32_e32 v5, 29, v6
	s_delay_alu instid0(VALU_DEP_2)
	v_and_b32_e32 v4, 7, v4
; %bb.304:                              ;   in Loop: Header=BB305_11 Depth=1
	s_wait_alu 0xfffe
	s_or_b32 exec_lo, exec_lo, s19
	v_lshlrev_b32_e32 v6, 8, v29
	v_lshl_add_u32 v5, v5, 10, 0x2000
	v_lshlrev_b32_e32 v4, 7, v4
	s_delay_alu instid0(VALU_DEP_3) | instskip(NEXT) | instid1(VALU_DEP_3)
	v_and_b32_e32 v6, 0x8000, v6
	v_and_b32_e32 v5, 0xfc00, v5
	s_delay_alu instid0(VALU_DEP_1)
	v_or3_b32 v129, v6, v5, v4
.LBB305_305:                            ;   in Loop: Header=BB305_11 Depth=1
	s_wait_alu 0xfffe
	s_or_b32 exec_lo, exec_lo, s18
.LBB305_306:                            ;   in Loop: Header=BB305_11 Depth=1
	s_wait_alu 0xfffe
	s_or_b32 exec_lo, exec_lo, s17
.LBB305_307:                            ;   in Loop: Header=BB305_11 Depth=1
	s_wait_alu 0xfffe
	s_or_b32 exec_lo, exec_lo, s2
	v_lshrrev_b16 v8, 8, v8
	v_dual_mov_b32 v133, 0 :: v_dual_mov_b32 v132, 0
	s_mov_b32 s2, exec_lo
	s_delay_alu instid0(VALU_DEP_2)
	v_cmpx_ne_u16_e32 0, v8
	s_cbranch_execz .LBB305_315
; %bb.308:                              ;   in Loop: Header=BB305_11 Depth=1
	v_bfrev_b32_e32 v132, 1
	s_mov_b32 s17, exec_lo
	v_cmpx_ne_u16_e32 0x80, v8
	s_cbranch_execz .LBB305_314
; %bb.309:                              ;   in Loop: Header=BB305_11 Depth=1
	v_and_b32_e32 v4, 0xffff, v8
	v_mov_b32_e32 v132, 0x7c010000
	s_mov_b32 s18, exec_lo
	s_delay_alu instid0(VALU_DEP_2) | instskip(NEXT) | instid1(VALU_DEP_1)
	v_and_b32_e32 v7, 0x7f, v4
	v_cmpx_ne_u32_e32 0x7f, v7
	s_cbranch_execz .LBB305_313
; %bb.310:                              ;   in Loop: Header=BB305_11 Depth=1
	v_and_b32_e32 v5, 7, v4
	v_lshrrev_b32_e32 v6, 3, v7
	s_mov_b32 s19, exec_lo
	v_cmpx_gt_u32_e32 8, v7
; %bb.311:                              ;   in Loop: Header=BB305_11 Depth=1
	s_delay_alu instid0(VALU_DEP_3) | instskip(NEXT) | instid1(VALU_DEP_1)
	v_clz_i32_u32_e32 v5, v5
	v_min_u32_e32 v7, 32, v5
	s_delay_alu instid0(VALU_DEP_1) | instskip(NEXT) | instid1(VALU_DEP_1)
	v_subrev_nc_u32_e32 v5, 28, v7
	v_lshlrev_b64_e32 v[5:6], v5, v[8:9]
	v_sub_nc_u32_e32 v6, 29, v7
	s_delay_alu instid0(VALU_DEP_2)
	v_and_b32_e32 v5, 7, v5
; %bb.312:                              ;   in Loop: Header=BB305_11 Depth=1
	s_wait_alu 0xfffe
	s_or_b32 exec_lo, exec_lo, s19
	v_lshlrev_b32_e32 v4, 8, v4
	v_lshl_add_u32 v6, v6, 10, 0x2000
	v_lshlrev_b32_e32 v5, 23, v5
	s_delay_alu instid0(VALU_DEP_2) | instskip(NEXT) | instid1(VALU_DEP_1)
	v_and_or_b32 v4, 0x8000, v4, v6
	v_lshl_or_b32 v132, v4, 16, v5
.LBB305_313:                            ;   in Loop: Header=BB305_11 Depth=1
	s_wait_alu 0xfffe
	s_or_b32 exec_lo, exec_lo, s18
.LBB305_314:                            ;   in Loop: Header=BB305_11 Depth=1
	s_wait_alu 0xfffe
	s_or_b32 exec_lo, exec_lo, s17
.LBB305_315:                            ;   in Loop: Header=BB305_11 Depth=1
	s_wait_alu 0xfffe
	s_or_b32 exec_lo, exec_lo, s2
	v_lshrrev_b32_e32 v8, 16, v29
	s_mov_b32 s2, exec_lo
	s_delay_alu instid0(VALU_DEP_1) | instskip(NEXT) | instid1(VALU_DEP_1)
	v_and_b32_e32 v4, 0xff, v8
	v_cmpx_ne_u16_e32 0, v4
	s_cbranch_execz .LBB305_323
; %bb.316:                              ;   in Loop: Header=BB305_11 Depth=1
	v_mov_b32_e32 v133, 0x8000
	s_mov_b32 s17, exec_lo
	v_cmpx_ne_u16_e32 0x80, v4
	s_cbranch_execz .LBB305_322
; %bb.317:                              ;   in Loop: Header=BB305_11 Depth=1
	v_bfe_u32 v6, v29, 16, 7
	v_mov_b32_e32 v133, 0x7c01
	s_mov_b32 s18, exec_lo
	s_delay_alu instid0(VALU_DEP_2)
	v_cmpx_ne_u32_e32 0x7f, v6
	s_cbranch_execz .LBB305_321
; %bb.318:                              ;   in Loop: Header=BB305_11 Depth=1
	v_and_b32_e32 v4, 7, v8
	v_lshrrev_b32_e32 v5, 3, v6
	s_mov_b32 s19, exec_lo
	v_cmpx_gt_u32_e32 8, v6
; %bb.319:                              ;   in Loop: Header=BB305_11 Depth=1
	s_delay_alu instid0(VALU_DEP_3) | instskip(NEXT) | instid1(VALU_DEP_1)
	v_clz_i32_u32_e32 v4, v4
	v_min_u32_e32 v6, 32, v4
	s_delay_alu instid0(VALU_DEP_1) | instskip(NEXT) | instid1(VALU_DEP_1)
	v_subrev_nc_u32_e32 v4, 28, v6
	v_lshlrev_b64_e32 v[4:5], v4, v[8:9]
	v_sub_nc_u32_e32 v5, 29, v6
	s_delay_alu instid0(VALU_DEP_2)
	v_and_b32_e32 v4, 7, v4
; %bb.320:                              ;   in Loop: Header=BB305_11 Depth=1
	s_wait_alu 0xfffe
	s_or_b32 exec_lo, exec_lo, s19
	v_lshlrev_b32_e32 v6, 8, v8
	v_lshl_add_u32 v5, v5, 10, 0x2000
	v_lshlrev_b32_e32 v4, 7, v4
	s_delay_alu instid0(VALU_DEP_3) | instskip(NEXT) | instid1(VALU_DEP_3)
	v_and_b32_e32 v6, 0x8000, v6
	v_and_b32_e32 v5, 0xfc00, v5
	s_delay_alu instid0(VALU_DEP_1)
	v_or3_b32 v133, v6, v5, v4
.LBB305_321:                            ;   in Loop: Header=BB305_11 Depth=1
	s_wait_alu 0xfffe
	s_or_b32 exec_lo, exec_lo, s18
.LBB305_322:                            ;   in Loop: Header=BB305_11 Depth=1
	s_wait_alu 0xfffe
	s_or_b32 exec_lo, exec_lo, s17
.LBB305_323:                            ;   in Loop: Header=BB305_11 Depth=1
	s_wait_alu 0xfffe
	s_or_b32 exec_lo, exec_lo, s2
	v_dual_mov_b32 v131, 0 :: v_dual_mov_b32 v144, 0
	s_mov_b32 s2, exec_lo
	v_cmpx_lt_u64_e64 s[8:9], v[28:29]
	s_cbranch_execz .LBB305_331
; %bb.324:                              ;   in Loop: Header=BB305_11 Depth=1
	v_lshrrev_b32_e32 v8, 24, v29
	v_bfrev_b32_e32 v144, 1
	s_mov_b32 s17, exec_lo
	s_delay_alu instid0(VALU_DEP_2)
	v_cmpx_ne_u32_e32 0x80, v8
	s_cbranch_execz .LBB305_330
; %bb.325:                              ;   in Loop: Header=BB305_11 Depth=1
	v_and_b32_e32 v6, 0x7f, v8
	v_mov_b32_e32 v144, 0x7c010000
	s_mov_b32 s18, exec_lo
	s_delay_alu instid0(VALU_DEP_2)
	v_cmpx_ne_u32_e32 0x7f, v6
	s_cbranch_execz .LBB305_329
; %bb.326:                              ;   in Loop: Header=BB305_11 Depth=1
	v_and_b32_e32 v4, 7, v8
	v_lshrrev_b32_e32 v5, 3, v6
	s_mov_b32 s19, exec_lo
	v_cmpx_gt_u32_e32 8, v6
; %bb.327:                              ;   in Loop: Header=BB305_11 Depth=1
	s_delay_alu instid0(VALU_DEP_3) | instskip(NEXT) | instid1(VALU_DEP_1)
	v_clz_i32_u32_e32 v4, v4
	v_min_u32_e32 v6, 32, v4
	s_delay_alu instid0(VALU_DEP_1) | instskip(NEXT) | instid1(VALU_DEP_1)
	v_subrev_nc_u32_e32 v4, 28, v6
	v_lshlrev_b64_e32 v[4:5], v4, v[8:9]
	v_sub_nc_u32_e32 v5, 29, v6
	s_delay_alu instid0(VALU_DEP_2)
	v_and_b32_e32 v4, 7, v4
; %bb.328:                              ;   in Loop: Header=BB305_11 Depth=1
	s_wait_alu 0xfffe
	s_or_b32 exec_lo, exec_lo, s19
	v_lshlrev_b32_e32 v6, 8, v8
	v_lshl_add_u32 v5, v5, 10, 0x2000
	v_lshlrev_b32_e32 v4, 23, v4
	s_delay_alu instid0(VALU_DEP_2) | instskip(NEXT) | instid1(VALU_DEP_1)
	v_and_or_b32 v5, 0x8000, v6, v5
	v_lshl_or_b32 v144, v5, 16, v4
.LBB305_329:                            ;   in Loop: Header=BB305_11 Depth=1
	s_wait_alu 0xfffe
	s_or_b32 exec_lo, exec_lo, s18
.LBB305_330:                            ;   in Loop: Header=BB305_11 Depth=1
	s_wait_alu 0xfffe
	s_or_b32 exec_lo, exec_lo, s17
.LBB305_331:                            ;   in Loop: Header=BB305_11 Depth=1
	s_wait_alu 0xfffe
	s_or_b32 exec_lo, exec_lo, s2
	flat_load_b64 v[28:29], v[20:21] offset:1032
	s_mov_b32 s2, exec_lo
	s_wait_loadcnt_dscnt 0x0
	v_and_b32_e32 v4, 0xff, v28
	s_delay_alu instid0(VALU_DEP_1)
	v_cmpx_ne_u16_e32 0, v4
	s_cbranch_execz .LBB305_339
; %bb.332:                              ;   in Loop: Header=BB305_11 Depth=1
	v_mov_b32_e32 v131, 0x8000
	s_mov_b32 s17, exec_lo
	v_cmpx_ne_u16_e32 0x80, v4
	s_cbranch_execz .LBB305_338
; %bb.333:                              ;   in Loop: Header=BB305_11 Depth=1
	v_and_b32_e32 v6, 0x7f, v28
	v_mov_b32_e32 v131, 0x7c01
	s_mov_b32 s18, exec_lo
	s_delay_alu instid0(VALU_DEP_2)
	v_cmpx_ne_u32_e32 0x7f, v6
	s_cbranch_execz .LBB305_337
; %bb.334:                              ;   in Loop: Header=BB305_11 Depth=1
	v_and_b32_e32 v4, 7, v28
	v_lshrrev_b32_e32 v5, 3, v6
	s_mov_b32 s19, exec_lo
	v_cmpx_gt_u32_e32 8, v6
; %bb.335:                              ;   in Loop: Header=BB305_11 Depth=1
	s_delay_alu instid0(VALU_DEP_3) | instskip(NEXT) | instid1(VALU_DEP_1)
	v_clz_i32_u32_e32 v4, v4
	v_min_u32_e32 v6, 32, v4
	s_delay_alu instid0(VALU_DEP_1) | instskip(NEXT) | instid1(VALU_DEP_1)
	v_subrev_nc_u32_e32 v4, 28, v6
	v_lshlrev_b64_e32 v[4:5], v4, v[28:29]
	v_sub_nc_u32_e32 v5, 29, v6
	s_delay_alu instid0(VALU_DEP_2)
	v_and_b32_e32 v4, 7, v4
; %bb.336:                              ;   in Loop: Header=BB305_11 Depth=1
	s_wait_alu 0xfffe
	s_or_b32 exec_lo, exec_lo, s19
	v_lshlrev_b32_e32 v6, 8, v28
	v_lshl_add_u32 v5, v5, 10, 0x2000
	v_lshlrev_b32_e32 v4, 7, v4
	s_delay_alu instid0(VALU_DEP_3) | instskip(NEXT) | instid1(VALU_DEP_3)
	v_and_b32_e32 v6, 0x8000, v6
	v_and_b32_e32 v5, 0xfc00, v5
	s_delay_alu instid0(VALU_DEP_1)
	v_or3_b32 v131, v6, v5, v4
.LBB305_337:                            ;   in Loop: Header=BB305_11 Depth=1
	s_wait_alu 0xfffe
	s_or_b32 exec_lo, exec_lo, s18
.LBB305_338:                            ;   in Loop: Header=BB305_11 Depth=1
	s_wait_alu 0xfffe
	s_or_b32 exec_lo, exec_lo, s17
.LBB305_339:                            ;   in Loop: Header=BB305_11 Depth=1
	s_wait_alu 0xfffe
	s_or_b32 exec_lo, exec_lo, s2
	v_lshrrev_b16 v8, 8, v28
	v_dual_mov_b32 v135, 0 :: v_dual_mov_b32 v134, 0
	s_mov_b32 s2, exec_lo
	s_delay_alu instid0(VALU_DEP_2)
	v_cmpx_ne_u16_e32 0, v8
	s_cbranch_execz .LBB305_347
; %bb.340:                              ;   in Loop: Header=BB305_11 Depth=1
	v_bfrev_b32_e32 v134, 1
	s_mov_b32 s17, exec_lo
	v_cmpx_ne_u16_e32 0x80, v8
	s_cbranch_execz .LBB305_346
; %bb.341:                              ;   in Loop: Header=BB305_11 Depth=1
	v_and_b32_e32 v4, 0xffff, v8
	v_mov_b32_e32 v134, 0x7c010000
	s_mov_b32 s18, exec_lo
	s_delay_alu instid0(VALU_DEP_2) | instskip(NEXT) | instid1(VALU_DEP_1)
	v_and_b32_e32 v7, 0x7f, v4
	v_cmpx_ne_u32_e32 0x7f, v7
	s_cbranch_execz .LBB305_345
; %bb.342:                              ;   in Loop: Header=BB305_11 Depth=1
	v_and_b32_e32 v5, 7, v4
	v_lshrrev_b32_e32 v6, 3, v7
	s_mov_b32 s19, exec_lo
	v_cmpx_gt_u32_e32 8, v7
; %bb.343:                              ;   in Loop: Header=BB305_11 Depth=1
	s_delay_alu instid0(VALU_DEP_3) | instskip(NEXT) | instid1(VALU_DEP_1)
	v_clz_i32_u32_e32 v5, v5
	v_min_u32_e32 v7, 32, v5
	s_delay_alu instid0(VALU_DEP_1) | instskip(NEXT) | instid1(VALU_DEP_1)
	v_subrev_nc_u32_e32 v5, 28, v7
	v_lshlrev_b64_e32 v[5:6], v5, v[8:9]
	v_sub_nc_u32_e32 v6, 29, v7
	s_delay_alu instid0(VALU_DEP_2)
	v_and_b32_e32 v5, 7, v5
; %bb.344:                              ;   in Loop: Header=BB305_11 Depth=1
	s_wait_alu 0xfffe
	s_or_b32 exec_lo, exec_lo, s19
	v_lshlrev_b32_e32 v4, 8, v4
	v_lshl_add_u32 v6, v6, 10, 0x2000
	v_lshlrev_b32_e32 v5, 23, v5
	s_delay_alu instid0(VALU_DEP_2) | instskip(NEXT) | instid1(VALU_DEP_1)
	v_and_or_b32 v4, 0x8000, v4, v6
	v_lshl_or_b32 v134, v4, 16, v5
.LBB305_345:                            ;   in Loop: Header=BB305_11 Depth=1
	s_wait_alu 0xfffe
	s_or_b32 exec_lo, exec_lo, s18
.LBB305_346:                            ;   in Loop: Header=BB305_11 Depth=1
	s_wait_alu 0xfffe
	s_or_b32 exec_lo, exec_lo, s17
.LBB305_347:                            ;   in Loop: Header=BB305_11 Depth=1
	s_wait_alu 0xfffe
	s_or_b32 exec_lo, exec_lo, s2
	v_lshrrev_b32_e32 v8, 16, v28
	s_mov_b32 s2, exec_lo
	s_delay_alu instid0(VALU_DEP_1) | instskip(NEXT) | instid1(VALU_DEP_1)
	v_and_b32_e32 v4, 0xff, v8
	v_cmpx_ne_u16_e32 0, v4
	s_cbranch_execz .LBB305_355
; %bb.348:                              ;   in Loop: Header=BB305_11 Depth=1
	v_mov_b32_e32 v135, 0x8000
	s_mov_b32 s17, exec_lo
	v_cmpx_ne_u16_e32 0x80, v4
	s_cbranch_execz .LBB305_354
; %bb.349:                              ;   in Loop: Header=BB305_11 Depth=1
	v_bfe_u32 v6, v28, 16, 7
	v_mov_b32_e32 v135, 0x7c01
	s_mov_b32 s18, exec_lo
	s_delay_alu instid0(VALU_DEP_2)
	v_cmpx_ne_u32_e32 0x7f, v6
	s_cbranch_execz .LBB305_353
; %bb.350:                              ;   in Loop: Header=BB305_11 Depth=1
	v_and_b32_e32 v4, 7, v8
	v_lshrrev_b32_e32 v5, 3, v6
	s_mov_b32 s19, exec_lo
	v_cmpx_gt_u32_e32 8, v6
; %bb.351:                              ;   in Loop: Header=BB305_11 Depth=1
	s_delay_alu instid0(VALU_DEP_3) | instskip(NEXT) | instid1(VALU_DEP_1)
	v_clz_i32_u32_e32 v4, v4
	v_min_u32_e32 v6, 32, v4
	s_delay_alu instid0(VALU_DEP_1) | instskip(NEXT) | instid1(VALU_DEP_1)
	v_subrev_nc_u32_e32 v4, 28, v6
	v_lshlrev_b64_e32 v[4:5], v4, v[8:9]
	v_sub_nc_u32_e32 v5, 29, v6
	s_delay_alu instid0(VALU_DEP_2)
	v_and_b32_e32 v4, 7, v4
; %bb.352:                              ;   in Loop: Header=BB305_11 Depth=1
	s_wait_alu 0xfffe
	s_or_b32 exec_lo, exec_lo, s19
	v_lshlrev_b32_e32 v6, 8, v8
	v_lshl_add_u32 v5, v5, 10, 0x2000
	v_lshlrev_b32_e32 v4, 7, v4
	s_delay_alu instid0(VALU_DEP_3) | instskip(NEXT) | instid1(VALU_DEP_3)
	v_and_b32_e32 v6, 0x8000, v6
	v_and_b32_e32 v5, 0xfc00, v5
	s_delay_alu instid0(VALU_DEP_1)
	v_or3_b32 v135, v6, v5, v4
.LBB305_353:                            ;   in Loop: Header=BB305_11 Depth=1
	s_wait_alu 0xfffe
	s_or_b32 exec_lo, exec_lo, s18
.LBB305_354:                            ;   in Loop: Header=BB305_11 Depth=1
	s_wait_alu 0xfffe
	s_or_b32 exec_lo, exec_lo, s17
.LBB305_355:                            ;   in Loop: Header=BB305_11 Depth=1
	s_wait_alu 0xfffe
	s_or_b32 exec_lo, exec_lo, s2
	v_dual_mov_b32 v145, 0 :: v_dual_mov_b32 v146, 0
	s_mov_b32 s2, exec_lo
	v_cmpx_lt_u32_e32 0xffffff, v28
	s_cbranch_execz .LBB305_363
; %bb.356:                              ;   in Loop: Header=BB305_11 Depth=1
	v_lshrrev_b32_e32 v8, 24, v28
	v_bfrev_b32_e32 v146, 1
	s_mov_b32 s17, exec_lo
	s_delay_alu instid0(VALU_DEP_2)
	v_cmpx_ne_u32_e32 0x80, v8
	s_cbranch_execz .LBB305_362
; %bb.357:                              ;   in Loop: Header=BB305_11 Depth=1
	v_and_b32_e32 v6, 0x7f, v8
	v_mov_b32_e32 v146, 0x7c010000
	s_mov_b32 s18, exec_lo
	s_delay_alu instid0(VALU_DEP_2)
	v_cmpx_ne_u32_e32 0x7f, v6
	s_cbranch_execz .LBB305_361
; %bb.358:                              ;   in Loop: Header=BB305_11 Depth=1
	v_and_b32_e32 v4, 7, v8
	v_lshrrev_b32_e32 v5, 3, v6
	s_mov_b32 s19, exec_lo
	v_cmpx_gt_u32_e32 8, v6
; %bb.359:                              ;   in Loop: Header=BB305_11 Depth=1
	s_delay_alu instid0(VALU_DEP_3) | instskip(NEXT) | instid1(VALU_DEP_1)
	v_clz_i32_u32_e32 v4, v4
	v_min_u32_e32 v6, 32, v4
	s_delay_alu instid0(VALU_DEP_1) | instskip(NEXT) | instid1(VALU_DEP_1)
	v_subrev_nc_u32_e32 v4, 28, v6
	v_lshlrev_b64_e32 v[4:5], v4, v[8:9]
	v_sub_nc_u32_e32 v5, 29, v6
	s_delay_alu instid0(VALU_DEP_2)
	v_and_b32_e32 v4, 7, v4
; %bb.360:                              ;   in Loop: Header=BB305_11 Depth=1
	s_wait_alu 0xfffe
	s_or_b32 exec_lo, exec_lo, s19
	v_lshlrev_b32_e32 v6, 8, v8
	v_lshl_add_u32 v5, v5, 10, 0x2000
	v_lshlrev_b32_e32 v4, 23, v4
	s_delay_alu instid0(VALU_DEP_2) | instskip(NEXT) | instid1(VALU_DEP_1)
	v_and_or_b32 v5, 0x8000, v6, v5
	v_lshl_or_b32 v146, v5, 16, v4
.LBB305_361:                            ;   in Loop: Header=BB305_11 Depth=1
	s_wait_alu 0xfffe
	s_or_b32 exec_lo, exec_lo, s18
.LBB305_362:                            ;   in Loop: Header=BB305_11 Depth=1
	s_wait_alu 0xfffe
	s_or_b32 exec_lo, exec_lo, s17
.LBB305_363:                            ;   in Loop: Header=BB305_11 Depth=1
	s_wait_alu 0xfffe
	s_or_b32 exec_lo, exec_lo, s2
	v_and_b32_e32 v4, 0xff, v29
	v_mov_b32_e32 v8, v29
	s_mov_b32 s2, exec_lo
	s_delay_alu instid0(VALU_DEP_2)
	v_cmpx_ne_u16_e32 0, v4
	s_cbranch_execz .LBB305_371
; %bb.364:                              ;   in Loop: Header=BB305_11 Depth=1
	v_mov_b32_e32 v145, 0x8000
	s_mov_b32 s17, exec_lo
	v_cmpx_ne_u16_e32 0x80, v4
	s_cbranch_execz .LBB305_370
; %bb.365:                              ;   in Loop: Header=BB305_11 Depth=1
	v_and_b32_e32 v6, 0x7f, v29
	v_mov_b32_e32 v145, 0x7c01
	s_mov_b32 s18, exec_lo
	s_delay_alu instid0(VALU_DEP_2)
	v_cmpx_ne_u32_e32 0x7f, v6
	s_cbranch_execz .LBB305_369
; %bb.366:                              ;   in Loop: Header=BB305_11 Depth=1
	v_and_b32_e32 v4, 7, v29
	v_lshrrev_b32_e32 v5, 3, v6
	s_mov_b32 s19, exec_lo
	v_cmpx_gt_u32_e32 8, v6
; %bb.367:                              ;   in Loop: Header=BB305_11 Depth=1
	s_delay_alu instid0(VALU_DEP_3) | instskip(NEXT) | instid1(VALU_DEP_1)
	v_clz_i32_u32_e32 v4, v4
	v_min_u32_e32 v6, 32, v4
	s_delay_alu instid0(VALU_DEP_1) | instskip(NEXT) | instid1(VALU_DEP_1)
	v_subrev_nc_u32_e32 v4, 28, v6
	v_lshlrev_b64_e32 v[4:5], v4, v[8:9]
	v_sub_nc_u32_e32 v5, 29, v6
	s_delay_alu instid0(VALU_DEP_2)
	v_and_b32_e32 v4, 7, v4
; %bb.368:                              ;   in Loop: Header=BB305_11 Depth=1
	s_wait_alu 0xfffe
	s_or_b32 exec_lo, exec_lo, s19
	v_lshlrev_b32_e32 v6, 8, v29
	v_lshl_add_u32 v5, v5, 10, 0x2000
	v_lshlrev_b32_e32 v4, 7, v4
	s_delay_alu instid0(VALU_DEP_3) | instskip(NEXT) | instid1(VALU_DEP_3)
	v_and_b32_e32 v6, 0x8000, v6
	v_and_b32_e32 v5, 0xfc00, v5
	s_delay_alu instid0(VALU_DEP_1)
	v_or3_b32 v145, v6, v5, v4
.LBB305_369:                            ;   in Loop: Header=BB305_11 Depth=1
	s_wait_alu 0xfffe
	s_or_b32 exec_lo, exec_lo, s18
.LBB305_370:                            ;   in Loop: Header=BB305_11 Depth=1
	s_wait_alu 0xfffe
	s_or_b32 exec_lo, exec_lo, s17
.LBB305_371:                            ;   in Loop: Header=BB305_11 Depth=1
	s_wait_alu 0xfffe
	s_or_b32 exec_lo, exec_lo, s2
	v_lshrrev_b16 v8, 8, v8
	v_dual_mov_b32 v149, 0 :: v_dual_mov_b32 v148, 0
	s_mov_b32 s2, exec_lo
	s_delay_alu instid0(VALU_DEP_2)
	v_cmpx_ne_u16_e32 0, v8
	s_cbranch_execz .LBB305_379
; %bb.372:                              ;   in Loop: Header=BB305_11 Depth=1
	v_bfrev_b32_e32 v148, 1
	s_mov_b32 s17, exec_lo
	v_cmpx_ne_u16_e32 0x80, v8
	s_cbranch_execz .LBB305_378
; %bb.373:                              ;   in Loop: Header=BB305_11 Depth=1
	v_and_b32_e32 v4, 0xffff, v8
	v_mov_b32_e32 v148, 0x7c010000
	s_mov_b32 s18, exec_lo
	s_delay_alu instid0(VALU_DEP_2) | instskip(NEXT) | instid1(VALU_DEP_1)
	v_and_b32_e32 v7, 0x7f, v4
	v_cmpx_ne_u32_e32 0x7f, v7
	s_cbranch_execz .LBB305_377
; %bb.374:                              ;   in Loop: Header=BB305_11 Depth=1
	v_and_b32_e32 v5, 7, v4
	v_lshrrev_b32_e32 v6, 3, v7
	s_mov_b32 s19, exec_lo
	v_cmpx_gt_u32_e32 8, v7
; %bb.375:                              ;   in Loop: Header=BB305_11 Depth=1
	s_delay_alu instid0(VALU_DEP_3) | instskip(NEXT) | instid1(VALU_DEP_1)
	v_clz_i32_u32_e32 v5, v5
	v_min_u32_e32 v7, 32, v5
	s_delay_alu instid0(VALU_DEP_1) | instskip(NEXT) | instid1(VALU_DEP_1)
	v_subrev_nc_u32_e32 v5, 28, v7
	v_lshlrev_b64_e32 v[5:6], v5, v[8:9]
	v_sub_nc_u32_e32 v6, 29, v7
	s_delay_alu instid0(VALU_DEP_2)
	v_and_b32_e32 v5, 7, v5
; %bb.376:                              ;   in Loop: Header=BB305_11 Depth=1
	s_wait_alu 0xfffe
	s_or_b32 exec_lo, exec_lo, s19
	v_lshlrev_b32_e32 v4, 8, v4
	v_lshl_add_u32 v6, v6, 10, 0x2000
	v_lshlrev_b32_e32 v5, 23, v5
	s_delay_alu instid0(VALU_DEP_2) | instskip(NEXT) | instid1(VALU_DEP_1)
	v_and_or_b32 v4, 0x8000, v4, v6
	v_lshl_or_b32 v148, v4, 16, v5
.LBB305_377:                            ;   in Loop: Header=BB305_11 Depth=1
	s_wait_alu 0xfffe
	s_or_b32 exec_lo, exec_lo, s18
.LBB305_378:                            ;   in Loop: Header=BB305_11 Depth=1
	s_wait_alu 0xfffe
	s_or_b32 exec_lo, exec_lo, s17
.LBB305_379:                            ;   in Loop: Header=BB305_11 Depth=1
	s_wait_alu 0xfffe
	s_or_b32 exec_lo, exec_lo, s2
	v_lshrrev_b32_e32 v8, 16, v29
	s_mov_b32 s2, exec_lo
	s_delay_alu instid0(VALU_DEP_1) | instskip(NEXT) | instid1(VALU_DEP_1)
	v_and_b32_e32 v4, 0xff, v8
	v_cmpx_ne_u16_e32 0, v4
	s_cbranch_execz .LBB305_387
; %bb.380:                              ;   in Loop: Header=BB305_11 Depth=1
	v_mov_b32_e32 v149, 0x8000
	s_mov_b32 s17, exec_lo
	v_cmpx_ne_u16_e32 0x80, v4
	s_cbranch_execz .LBB305_386
; %bb.381:                              ;   in Loop: Header=BB305_11 Depth=1
	v_bfe_u32 v6, v29, 16, 7
	v_mov_b32_e32 v149, 0x7c01
	s_mov_b32 s18, exec_lo
	s_delay_alu instid0(VALU_DEP_2)
	v_cmpx_ne_u32_e32 0x7f, v6
	s_cbranch_execz .LBB305_385
; %bb.382:                              ;   in Loop: Header=BB305_11 Depth=1
	v_and_b32_e32 v4, 7, v8
	v_lshrrev_b32_e32 v5, 3, v6
	s_mov_b32 s19, exec_lo
	v_cmpx_gt_u32_e32 8, v6
; %bb.383:                              ;   in Loop: Header=BB305_11 Depth=1
	s_delay_alu instid0(VALU_DEP_3) | instskip(NEXT) | instid1(VALU_DEP_1)
	v_clz_i32_u32_e32 v4, v4
	v_min_u32_e32 v6, 32, v4
	s_delay_alu instid0(VALU_DEP_1) | instskip(NEXT) | instid1(VALU_DEP_1)
	v_subrev_nc_u32_e32 v4, 28, v6
	v_lshlrev_b64_e32 v[4:5], v4, v[8:9]
	v_sub_nc_u32_e32 v5, 29, v6
	s_delay_alu instid0(VALU_DEP_2)
	v_and_b32_e32 v4, 7, v4
; %bb.384:                              ;   in Loop: Header=BB305_11 Depth=1
	s_wait_alu 0xfffe
	s_or_b32 exec_lo, exec_lo, s19
	v_lshlrev_b32_e32 v6, 8, v8
	v_lshl_add_u32 v5, v5, 10, 0x2000
	v_lshlrev_b32_e32 v4, 7, v4
	s_delay_alu instid0(VALU_DEP_3) | instskip(NEXT) | instid1(VALU_DEP_3)
	v_and_b32_e32 v6, 0x8000, v6
	v_and_b32_e32 v5, 0xfc00, v5
	s_delay_alu instid0(VALU_DEP_1)
	v_or3_b32 v149, v6, v5, v4
.LBB305_385:                            ;   in Loop: Header=BB305_11 Depth=1
	s_wait_alu 0xfffe
	s_or_b32 exec_lo, exec_lo, s18
.LBB305_386:                            ;   in Loop: Header=BB305_11 Depth=1
	s_wait_alu 0xfffe
	s_or_b32 exec_lo, exec_lo, s17
.LBB305_387:                            ;   in Loop: Header=BB305_11 Depth=1
	s_wait_alu 0xfffe
	s_or_b32 exec_lo, exec_lo, s2
	v_dual_mov_b32 v147, 0 :: v_dual_mov_b32 v160, 0
	s_mov_b32 s2, exec_lo
	v_cmpx_lt_u64_e64 s[8:9], v[28:29]
	s_cbranch_execz .LBB305_395
; %bb.388:                              ;   in Loop: Header=BB305_11 Depth=1
	v_lshrrev_b32_e32 v8, 24, v29
	v_bfrev_b32_e32 v160, 1
	s_mov_b32 s17, exec_lo
	s_delay_alu instid0(VALU_DEP_2)
	v_cmpx_ne_u32_e32 0x80, v8
	s_cbranch_execz .LBB305_394
; %bb.389:                              ;   in Loop: Header=BB305_11 Depth=1
	v_and_b32_e32 v6, 0x7f, v8
	v_mov_b32_e32 v160, 0x7c010000
	s_mov_b32 s18, exec_lo
	s_delay_alu instid0(VALU_DEP_2)
	v_cmpx_ne_u32_e32 0x7f, v6
	s_cbranch_execz .LBB305_393
; %bb.390:                              ;   in Loop: Header=BB305_11 Depth=1
	v_and_b32_e32 v4, 7, v8
	v_lshrrev_b32_e32 v5, 3, v6
	s_mov_b32 s19, exec_lo
	v_cmpx_gt_u32_e32 8, v6
; %bb.391:                              ;   in Loop: Header=BB305_11 Depth=1
	s_delay_alu instid0(VALU_DEP_3) | instskip(NEXT) | instid1(VALU_DEP_1)
	v_clz_i32_u32_e32 v4, v4
	v_min_u32_e32 v6, 32, v4
	s_delay_alu instid0(VALU_DEP_1) | instskip(NEXT) | instid1(VALU_DEP_1)
	v_subrev_nc_u32_e32 v4, 28, v6
	v_lshlrev_b64_e32 v[4:5], v4, v[8:9]
	v_sub_nc_u32_e32 v5, 29, v6
	s_delay_alu instid0(VALU_DEP_2)
	v_and_b32_e32 v4, 7, v4
; %bb.392:                              ;   in Loop: Header=BB305_11 Depth=1
	s_wait_alu 0xfffe
	s_or_b32 exec_lo, exec_lo, s19
	v_lshlrev_b32_e32 v6, 8, v8
	v_lshl_add_u32 v5, v5, 10, 0x2000
	v_lshlrev_b32_e32 v4, 23, v4
	s_delay_alu instid0(VALU_DEP_2) | instskip(NEXT) | instid1(VALU_DEP_1)
	v_and_or_b32 v5, 0x8000, v6, v5
	v_lshl_or_b32 v160, v5, 16, v4
.LBB305_393:                            ;   in Loop: Header=BB305_11 Depth=1
	s_wait_alu 0xfffe
	s_or_b32 exec_lo, exec_lo, s18
.LBB305_394:                            ;   in Loop: Header=BB305_11 Depth=1
	s_wait_alu 0xfffe
	s_or_b32 exec_lo, exec_lo, s17
.LBB305_395:                            ;   in Loop: Header=BB305_11 Depth=1
	s_wait_alu 0xfffe
	s_or_b32 exec_lo, exec_lo, s2
	flat_load_b64 v[28:29], v[20:21] offset:1536
	s_mov_b32 s2, exec_lo
	s_wait_loadcnt_dscnt 0x0
	v_and_b32_e32 v4, 0xff, v28
	s_delay_alu instid0(VALU_DEP_1)
	v_cmpx_ne_u16_e32 0, v4
	s_cbranch_execz .LBB305_403
; %bb.396:                              ;   in Loop: Header=BB305_11 Depth=1
	v_mov_b32_e32 v147, 0x8000
	s_mov_b32 s17, exec_lo
	v_cmpx_ne_u16_e32 0x80, v4
	s_cbranch_execz .LBB305_402
; %bb.397:                              ;   in Loop: Header=BB305_11 Depth=1
	v_and_b32_e32 v6, 0x7f, v28
	v_mov_b32_e32 v147, 0x7c01
	s_mov_b32 s18, exec_lo
	s_delay_alu instid0(VALU_DEP_2)
	v_cmpx_ne_u32_e32 0x7f, v6
	s_cbranch_execz .LBB305_401
; %bb.398:                              ;   in Loop: Header=BB305_11 Depth=1
	v_and_b32_e32 v4, 7, v28
	v_lshrrev_b32_e32 v5, 3, v6
	s_mov_b32 s19, exec_lo
	v_cmpx_gt_u32_e32 8, v6
; %bb.399:                              ;   in Loop: Header=BB305_11 Depth=1
	s_delay_alu instid0(VALU_DEP_3) | instskip(NEXT) | instid1(VALU_DEP_1)
	v_clz_i32_u32_e32 v4, v4
	v_min_u32_e32 v6, 32, v4
	s_delay_alu instid0(VALU_DEP_1) | instskip(NEXT) | instid1(VALU_DEP_1)
	v_subrev_nc_u32_e32 v4, 28, v6
	v_lshlrev_b64_e32 v[4:5], v4, v[28:29]
	v_sub_nc_u32_e32 v5, 29, v6
	s_delay_alu instid0(VALU_DEP_2)
	v_and_b32_e32 v4, 7, v4
; %bb.400:                              ;   in Loop: Header=BB305_11 Depth=1
	s_wait_alu 0xfffe
	s_or_b32 exec_lo, exec_lo, s19
	v_lshlrev_b32_e32 v6, 8, v28
	v_lshl_add_u32 v5, v5, 10, 0x2000
	v_lshlrev_b32_e32 v4, 7, v4
	s_delay_alu instid0(VALU_DEP_3) | instskip(NEXT) | instid1(VALU_DEP_3)
	v_and_b32_e32 v6, 0x8000, v6
	v_and_b32_e32 v5, 0xfc00, v5
	s_delay_alu instid0(VALU_DEP_1)
	v_or3_b32 v147, v6, v5, v4
.LBB305_401:                            ;   in Loop: Header=BB305_11 Depth=1
	s_wait_alu 0xfffe
	s_or_b32 exec_lo, exec_lo, s18
.LBB305_402:                            ;   in Loop: Header=BB305_11 Depth=1
	s_wait_alu 0xfffe
	s_or_b32 exec_lo, exec_lo, s17
.LBB305_403:                            ;   in Loop: Header=BB305_11 Depth=1
	s_wait_alu 0xfffe
	s_or_b32 exec_lo, exec_lo, s2
	v_lshrrev_b16 v8, 8, v28
	v_dual_mov_b32 v151, 0 :: v_dual_mov_b32 v150, 0
	s_mov_b32 s2, exec_lo
	s_delay_alu instid0(VALU_DEP_2)
	v_cmpx_ne_u16_e32 0, v8
	s_cbranch_execz .LBB305_411
; %bb.404:                              ;   in Loop: Header=BB305_11 Depth=1
	v_bfrev_b32_e32 v150, 1
	s_mov_b32 s17, exec_lo
	v_cmpx_ne_u16_e32 0x80, v8
	s_cbranch_execz .LBB305_410
; %bb.405:                              ;   in Loop: Header=BB305_11 Depth=1
	v_and_b32_e32 v4, 0xffff, v8
	v_mov_b32_e32 v150, 0x7c010000
	s_mov_b32 s18, exec_lo
	s_delay_alu instid0(VALU_DEP_2) | instskip(NEXT) | instid1(VALU_DEP_1)
	v_and_b32_e32 v7, 0x7f, v4
	v_cmpx_ne_u32_e32 0x7f, v7
	s_cbranch_execz .LBB305_409
; %bb.406:                              ;   in Loop: Header=BB305_11 Depth=1
	v_and_b32_e32 v5, 7, v4
	v_lshrrev_b32_e32 v6, 3, v7
	s_mov_b32 s19, exec_lo
	v_cmpx_gt_u32_e32 8, v7
; %bb.407:                              ;   in Loop: Header=BB305_11 Depth=1
	s_delay_alu instid0(VALU_DEP_3) | instskip(NEXT) | instid1(VALU_DEP_1)
	v_clz_i32_u32_e32 v5, v5
	v_min_u32_e32 v7, 32, v5
	s_delay_alu instid0(VALU_DEP_1) | instskip(NEXT) | instid1(VALU_DEP_1)
	v_subrev_nc_u32_e32 v5, 28, v7
	v_lshlrev_b64_e32 v[5:6], v5, v[8:9]
	v_sub_nc_u32_e32 v6, 29, v7
	s_delay_alu instid0(VALU_DEP_2)
	v_and_b32_e32 v5, 7, v5
; %bb.408:                              ;   in Loop: Header=BB305_11 Depth=1
	s_wait_alu 0xfffe
	s_or_b32 exec_lo, exec_lo, s19
	v_lshlrev_b32_e32 v4, 8, v4
	v_lshl_add_u32 v6, v6, 10, 0x2000
	v_lshlrev_b32_e32 v5, 23, v5
	s_delay_alu instid0(VALU_DEP_2) | instskip(NEXT) | instid1(VALU_DEP_1)
	v_and_or_b32 v4, 0x8000, v4, v6
	v_lshl_or_b32 v150, v4, 16, v5
.LBB305_409:                            ;   in Loop: Header=BB305_11 Depth=1
	s_wait_alu 0xfffe
	s_or_b32 exec_lo, exec_lo, s18
.LBB305_410:                            ;   in Loop: Header=BB305_11 Depth=1
	s_wait_alu 0xfffe
	s_or_b32 exec_lo, exec_lo, s17
.LBB305_411:                            ;   in Loop: Header=BB305_11 Depth=1
	s_wait_alu 0xfffe
	s_or_b32 exec_lo, exec_lo, s2
	v_lshrrev_b32_e32 v8, 16, v28
	s_mov_b32 s2, exec_lo
	s_delay_alu instid0(VALU_DEP_1) | instskip(NEXT) | instid1(VALU_DEP_1)
	v_and_b32_e32 v4, 0xff, v8
	v_cmpx_ne_u16_e32 0, v4
	s_cbranch_execz .LBB305_419
; %bb.412:                              ;   in Loop: Header=BB305_11 Depth=1
	v_mov_b32_e32 v151, 0x8000
	s_mov_b32 s17, exec_lo
	v_cmpx_ne_u16_e32 0x80, v4
	s_cbranch_execz .LBB305_418
; %bb.413:                              ;   in Loop: Header=BB305_11 Depth=1
	v_bfe_u32 v6, v28, 16, 7
	v_mov_b32_e32 v151, 0x7c01
	s_mov_b32 s18, exec_lo
	s_delay_alu instid0(VALU_DEP_2)
	v_cmpx_ne_u32_e32 0x7f, v6
	s_cbranch_execz .LBB305_417
; %bb.414:                              ;   in Loop: Header=BB305_11 Depth=1
	v_and_b32_e32 v4, 7, v8
	v_lshrrev_b32_e32 v5, 3, v6
	s_mov_b32 s19, exec_lo
	v_cmpx_gt_u32_e32 8, v6
; %bb.415:                              ;   in Loop: Header=BB305_11 Depth=1
	s_delay_alu instid0(VALU_DEP_3) | instskip(NEXT) | instid1(VALU_DEP_1)
	v_clz_i32_u32_e32 v4, v4
	v_min_u32_e32 v6, 32, v4
	s_delay_alu instid0(VALU_DEP_1) | instskip(NEXT) | instid1(VALU_DEP_1)
	v_subrev_nc_u32_e32 v4, 28, v6
	v_lshlrev_b64_e32 v[4:5], v4, v[8:9]
	v_sub_nc_u32_e32 v5, 29, v6
	s_delay_alu instid0(VALU_DEP_2)
	v_and_b32_e32 v4, 7, v4
; %bb.416:                              ;   in Loop: Header=BB305_11 Depth=1
	s_wait_alu 0xfffe
	s_or_b32 exec_lo, exec_lo, s19
	v_lshlrev_b32_e32 v6, 8, v8
	v_lshl_add_u32 v5, v5, 10, 0x2000
	v_lshlrev_b32_e32 v4, 7, v4
	s_delay_alu instid0(VALU_DEP_3) | instskip(NEXT) | instid1(VALU_DEP_3)
	v_and_b32_e32 v6, 0x8000, v6
	v_and_b32_e32 v5, 0xfc00, v5
	s_delay_alu instid0(VALU_DEP_1)
	v_or3_b32 v151, v6, v5, v4
.LBB305_417:                            ;   in Loop: Header=BB305_11 Depth=1
	s_wait_alu 0xfffe
	s_or_b32 exec_lo, exec_lo, s18
.LBB305_418:                            ;   in Loop: Header=BB305_11 Depth=1
	s_wait_alu 0xfffe
	s_or_b32 exec_lo, exec_lo, s17
.LBB305_419:                            ;   in Loop: Header=BB305_11 Depth=1
	s_wait_alu 0xfffe
	s_or_b32 exec_lo, exec_lo, s2
	v_dual_mov_b32 v161, 0 :: v_dual_mov_b32 v162, 0
	s_mov_b32 s2, exec_lo
	v_cmpx_lt_u32_e32 0xffffff, v28
	s_cbranch_execz .LBB305_427
; %bb.420:                              ;   in Loop: Header=BB305_11 Depth=1
	v_lshrrev_b32_e32 v8, 24, v28
	v_bfrev_b32_e32 v162, 1
	s_mov_b32 s17, exec_lo
	s_delay_alu instid0(VALU_DEP_2)
	v_cmpx_ne_u32_e32 0x80, v8
	s_cbranch_execz .LBB305_426
; %bb.421:                              ;   in Loop: Header=BB305_11 Depth=1
	v_and_b32_e32 v6, 0x7f, v8
	v_mov_b32_e32 v162, 0x7c010000
	s_mov_b32 s18, exec_lo
	s_delay_alu instid0(VALU_DEP_2)
	v_cmpx_ne_u32_e32 0x7f, v6
	s_cbranch_execz .LBB305_425
; %bb.422:                              ;   in Loop: Header=BB305_11 Depth=1
	v_and_b32_e32 v4, 7, v8
	v_lshrrev_b32_e32 v5, 3, v6
	s_mov_b32 s19, exec_lo
	v_cmpx_gt_u32_e32 8, v6
; %bb.423:                              ;   in Loop: Header=BB305_11 Depth=1
	s_delay_alu instid0(VALU_DEP_3) | instskip(NEXT) | instid1(VALU_DEP_1)
	v_clz_i32_u32_e32 v4, v4
	v_min_u32_e32 v6, 32, v4
	s_delay_alu instid0(VALU_DEP_1) | instskip(NEXT) | instid1(VALU_DEP_1)
	v_subrev_nc_u32_e32 v4, 28, v6
	v_lshlrev_b64_e32 v[4:5], v4, v[8:9]
	v_sub_nc_u32_e32 v5, 29, v6
	s_delay_alu instid0(VALU_DEP_2)
	v_and_b32_e32 v4, 7, v4
; %bb.424:                              ;   in Loop: Header=BB305_11 Depth=1
	s_wait_alu 0xfffe
	s_or_b32 exec_lo, exec_lo, s19
	v_lshlrev_b32_e32 v6, 8, v8
	v_lshl_add_u32 v5, v5, 10, 0x2000
	v_lshlrev_b32_e32 v4, 23, v4
	s_delay_alu instid0(VALU_DEP_2) | instskip(NEXT) | instid1(VALU_DEP_1)
	v_and_or_b32 v5, 0x8000, v6, v5
	v_lshl_or_b32 v162, v5, 16, v4
.LBB305_425:                            ;   in Loop: Header=BB305_11 Depth=1
	s_wait_alu 0xfffe
	s_or_b32 exec_lo, exec_lo, s18
.LBB305_426:                            ;   in Loop: Header=BB305_11 Depth=1
	s_wait_alu 0xfffe
	s_or_b32 exec_lo, exec_lo, s17
.LBB305_427:                            ;   in Loop: Header=BB305_11 Depth=1
	s_wait_alu 0xfffe
	s_or_b32 exec_lo, exec_lo, s2
	v_and_b32_e32 v4, 0xff, v29
	v_mov_b32_e32 v8, v29
	s_mov_b32 s2, exec_lo
	s_delay_alu instid0(VALU_DEP_2)
	v_cmpx_ne_u16_e32 0, v4
	s_cbranch_execz .LBB305_435
; %bb.428:                              ;   in Loop: Header=BB305_11 Depth=1
	v_mov_b32_e32 v161, 0x8000
	s_mov_b32 s17, exec_lo
	v_cmpx_ne_u16_e32 0x80, v4
	s_cbranch_execz .LBB305_434
; %bb.429:                              ;   in Loop: Header=BB305_11 Depth=1
	v_and_b32_e32 v6, 0x7f, v29
	v_mov_b32_e32 v161, 0x7c01
	s_mov_b32 s18, exec_lo
	s_delay_alu instid0(VALU_DEP_2)
	v_cmpx_ne_u32_e32 0x7f, v6
	s_cbranch_execz .LBB305_433
; %bb.430:                              ;   in Loop: Header=BB305_11 Depth=1
	v_and_b32_e32 v4, 7, v29
	v_lshrrev_b32_e32 v5, 3, v6
	s_mov_b32 s19, exec_lo
	v_cmpx_gt_u32_e32 8, v6
; %bb.431:                              ;   in Loop: Header=BB305_11 Depth=1
	s_delay_alu instid0(VALU_DEP_3) | instskip(NEXT) | instid1(VALU_DEP_1)
	v_clz_i32_u32_e32 v4, v4
	v_min_u32_e32 v6, 32, v4
	s_delay_alu instid0(VALU_DEP_1) | instskip(NEXT) | instid1(VALU_DEP_1)
	v_subrev_nc_u32_e32 v4, 28, v6
	v_lshlrev_b64_e32 v[4:5], v4, v[8:9]
	v_sub_nc_u32_e32 v5, 29, v6
	s_delay_alu instid0(VALU_DEP_2)
	v_and_b32_e32 v4, 7, v4
; %bb.432:                              ;   in Loop: Header=BB305_11 Depth=1
	s_wait_alu 0xfffe
	s_or_b32 exec_lo, exec_lo, s19
	v_lshlrev_b32_e32 v6, 8, v29
	v_lshl_add_u32 v5, v5, 10, 0x2000
	v_lshlrev_b32_e32 v4, 7, v4
	s_delay_alu instid0(VALU_DEP_3) | instskip(NEXT) | instid1(VALU_DEP_3)
	v_and_b32_e32 v6, 0x8000, v6
	v_and_b32_e32 v5, 0xfc00, v5
	s_delay_alu instid0(VALU_DEP_1)
	v_or3_b32 v161, v6, v5, v4
.LBB305_433:                            ;   in Loop: Header=BB305_11 Depth=1
	s_wait_alu 0xfffe
	s_or_b32 exec_lo, exec_lo, s18
.LBB305_434:                            ;   in Loop: Header=BB305_11 Depth=1
	s_wait_alu 0xfffe
	s_or_b32 exec_lo, exec_lo, s17
.LBB305_435:                            ;   in Loop: Header=BB305_11 Depth=1
	s_wait_alu 0xfffe
	s_or_b32 exec_lo, exec_lo, s2
	v_lshrrev_b16 v8, 8, v8
	v_dual_mov_b32 v165, 0 :: v_dual_mov_b32 v164, 0
	s_mov_b32 s2, exec_lo
	s_delay_alu instid0(VALU_DEP_2)
	v_cmpx_ne_u16_e32 0, v8
	s_cbranch_execz .LBB305_443
; %bb.436:                              ;   in Loop: Header=BB305_11 Depth=1
	v_bfrev_b32_e32 v164, 1
	s_mov_b32 s17, exec_lo
	v_cmpx_ne_u16_e32 0x80, v8
	s_cbranch_execz .LBB305_442
; %bb.437:                              ;   in Loop: Header=BB305_11 Depth=1
	v_and_b32_e32 v4, 0xffff, v8
	v_mov_b32_e32 v164, 0x7c010000
	s_mov_b32 s18, exec_lo
	s_delay_alu instid0(VALU_DEP_2) | instskip(NEXT) | instid1(VALU_DEP_1)
	v_and_b32_e32 v7, 0x7f, v4
	v_cmpx_ne_u32_e32 0x7f, v7
	s_cbranch_execz .LBB305_441
; %bb.438:                              ;   in Loop: Header=BB305_11 Depth=1
	v_and_b32_e32 v5, 7, v4
	v_lshrrev_b32_e32 v6, 3, v7
	s_mov_b32 s19, exec_lo
	v_cmpx_gt_u32_e32 8, v7
; %bb.439:                              ;   in Loop: Header=BB305_11 Depth=1
	s_delay_alu instid0(VALU_DEP_3) | instskip(NEXT) | instid1(VALU_DEP_1)
	v_clz_i32_u32_e32 v5, v5
	v_min_u32_e32 v7, 32, v5
	s_delay_alu instid0(VALU_DEP_1) | instskip(NEXT) | instid1(VALU_DEP_1)
	v_subrev_nc_u32_e32 v5, 28, v7
	v_lshlrev_b64_e32 v[5:6], v5, v[8:9]
	v_sub_nc_u32_e32 v6, 29, v7
	s_delay_alu instid0(VALU_DEP_2)
	v_and_b32_e32 v5, 7, v5
; %bb.440:                              ;   in Loop: Header=BB305_11 Depth=1
	s_wait_alu 0xfffe
	s_or_b32 exec_lo, exec_lo, s19
	v_lshlrev_b32_e32 v4, 8, v4
	v_lshl_add_u32 v6, v6, 10, 0x2000
	v_lshlrev_b32_e32 v5, 23, v5
	s_delay_alu instid0(VALU_DEP_2) | instskip(NEXT) | instid1(VALU_DEP_1)
	v_and_or_b32 v4, 0x8000, v4, v6
	v_lshl_or_b32 v164, v4, 16, v5
.LBB305_441:                            ;   in Loop: Header=BB305_11 Depth=1
	s_wait_alu 0xfffe
	s_or_b32 exec_lo, exec_lo, s18
.LBB305_442:                            ;   in Loop: Header=BB305_11 Depth=1
	s_wait_alu 0xfffe
	s_or_b32 exec_lo, exec_lo, s17
.LBB305_443:                            ;   in Loop: Header=BB305_11 Depth=1
	s_wait_alu 0xfffe
	s_or_b32 exec_lo, exec_lo, s2
	v_lshrrev_b32_e32 v8, 16, v29
	s_mov_b32 s2, exec_lo
	s_delay_alu instid0(VALU_DEP_1) | instskip(NEXT) | instid1(VALU_DEP_1)
	v_and_b32_e32 v4, 0xff, v8
	v_cmpx_ne_u16_e32 0, v4
	s_cbranch_execz .LBB305_451
; %bb.444:                              ;   in Loop: Header=BB305_11 Depth=1
	v_mov_b32_e32 v165, 0x8000
	s_mov_b32 s17, exec_lo
	v_cmpx_ne_u16_e32 0x80, v4
	s_cbranch_execz .LBB305_450
; %bb.445:                              ;   in Loop: Header=BB305_11 Depth=1
	v_bfe_u32 v6, v29, 16, 7
	v_mov_b32_e32 v165, 0x7c01
	s_mov_b32 s18, exec_lo
	s_delay_alu instid0(VALU_DEP_2)
	v_cmpx_ne_u32_e32 0x7f, v6
	s_cbranch_execz .LBB305_449
; %bb.446:                              ;   in Loop: Header=BB305_11 Depth=1
	v_and_b32_e32 v4, 7, v8
	v_lshrrev_b32_e32 v5, 3, v6
	s_mov_b32 s19, exec_lo
	v_cmpx_gt_u32_e32 8, v6
; %bb.447:                              ;   in Loop: Header=BB305_11 Depth=1
	s_delay_alu instid0(VALU_DEP_3) | instskip(NEXT) | instid1(VALU_DEP_1)
	v_clz_i32_u32_e32 v4, v4
	v_min_u32_e32 v6, 32, v4
	s_delay_alu instid0(VALU_DEP_1) | instskip(NEXT) | instid1(VALU_DEP_1)
	v_subrev_nc_u32_e32 v4, 28, v6
	v_lshlrev_b64_e32 v[4:5], v4, v[8:9]
	v_sub_nc_u32_e32 v5, 29, v6
	s_delay_alu instid0(VALU_DEP_2)
	v_and_b32_e32 v4, 7, v4
; %bb.448:                              ;   in Loop: Header=BB305_11 Depth=1
	s_wait_alu 0xfffe
	s_or_b32 exec_lo, exec_lo, s19
	v_lshlrev_b32_e32 v6, 8, v8
	v_lshl_add_u32 v5, v5, 10, 0x2000
	v_lshlrev_b32_e32 v4, 7, v4
	s_delay_alu instid0(VALU_DEP_3) | instskip(NEXT) | instid1(VALU_DEP_3)
	v_and_b32_e32 v6, 0x8000, v6
	v_and_b32_e32 v5, 0xfc00, v5
	s_delay_alu instid0(VALU_DEP_1)
	v_or3_b32 v165, v6, v5, v4
.LBB305_449:                            ;   in Loop: Header=BB305_11 Depth=1
	s_wait_alu 0xfffe
	s_or_b32 exec_lo, exec_lo, s18
.LBB305_450:                            ;   in Loop: Header=BB305_11 Depth=1
	s_wait_alu 0xfffe
	s_or_b32 exec_lo, exec_lo, s17
.LBB305_451:                            ;   in Loop: Header=BB305_11 Depth=1
	s_wait_alu 0xfffe
	s_or_b32 exec_lo, exec_lo, s2
	v_dual_mov_b32 v163, 0 :: v_dual_mov_b32 v176, 0
	s_mov_b32 s2, exec_lo
	v_cmpx_lt_u64_e64 s[8:9], v[28:29]
	s_cbranch_execz .LBB305_459
; %bb.452:                              ;   in Loop: Header=BB305_11 Depth=1
	v_lshrrev_b32_e32 v8, 24, v29
	v_bfrev_b32_e32 v176, 1
	s_mov_b32 s17, exec_lo
	s_delay_alu instid0(VALU_DEP_2)
	v_cmpx_ne_u32_e32 0x80, v8
	s_cbranch_execz .LBB305_458
; %bb.453:                              ;   in Loop: Header=BB305_11 Depth=1
	v_and_b32_e32 v6, 0x7f, v8
	v_mov_b32_e32 v176, 0x7c010000
	s_mov_b32 s18, exec_lo
	s_delay_alu instid0(VALU_DEP_2)
	v_cmpx_ne_u32_e32 0x7f, v6
	s_cbranch_execz .LBB305_457
; %bb.454:                              ;   in Loop: Header=BB305_11 Depth=1
	v_and_b32_e32 v4, 7, v8
	v_lshrrev_b32_e32 v5, 3, v6
	s_mov_b32 s19, exec_lo
	v_cmpx_gt_u32_e32 8, v6
; %bb.455:                              ;   in Loop: Header=BB305_11 Depth=1
	s_delay_alu instid0(VALU_DEP_3) | instskip(NEXT) | instid1(VALU_DEP_1)
	v_clz_i32_u32_e32 v4, v4
	v_min_u32_e32 v6, 32, v4
	s_delay_alu instid0(VALU_DEP_1) | instskip(NEXT) | instid1(VALU_DEP_1)
	v_subrev_nc_u32_e32 v4, 28, v6
	v_lshlrev_b64_e32 v[4:5], v4, v[8:9]
	v_sub_nc_u32_e32 v5, 29, v6
	s_delay_alu instid0(VALU_DEP_2)
	v_and_b32_e32 v4, 7, v4
; %bb.456:                              ;   in Loop: Header=BB305_11 Depth=1
	s_wait_alu 0xfffe
	s_or_b32 exec_lo, exec_lo, s19
	v_lshlrev_b32_e32 v6, 8, v8
	v_lshl_add_u32 v5, v5, 10, 0x2000
	v_lshlrev_b32_e32 v4, 23, v4
	s_delay_alu instid0(VALU_DEP_2) | instskip(NEXT) | instid1(VALU_DEP_1)
	v_and_or_b32 v5, 0x8000, v6, v5
	v_lshl_or_b32 v176, v5, 16, v4
.LBB305_457:                            ;   in Loop: Header=BB305_11 Depth=1
	s_wait_alu 0xfffe
	s_or_b32 exec_lo, exec_lo, s18
.LBB305_458:                            ;   in Loop: Header=BB305_11 Depth=1
	s_wait_alu 0xfffe
	s_or_b32 exec_lo, exec_lo, s17
.LBB305_459:                            ;   in Loop: Header=BB305_11 Depth=1
	s_wait_alu 0xfffe
	s_or_b32 exec_lo, exec_lo, s2
	flat_load_b64 v[28:29], v[20:21] offset:1544
	s_mov_b32 s2, exec_lo
	s_wait_loadcnt_dscnt 0x0
	v_and_b32_e32 v4, 0xff, v28
	s_delay_alu instid0(VALU_DEP_1)
	v_cmpx_ne_u16_e32 0, v4
	s_cbranch_execz .LBB305_467
; %bb.460:                              ;   in Loop: Header=BB305_11 Depth=1
	v_mov_b32_e32 v163, 0x8000
	s_mov_b32 s17, exec_lo
	v_cmpx_ne_u16_e32 0x80, v4
	s_cbranch_execz .LBB305_466
; %bb.461:                              ;   in Loop: Header=BB305_11 Depth=1
	v_and_b32_e32 v6, 0x7f, v28
	v_mov_b32_e32 v163, 0x7c01
	s_mov_b32 s18, exec_lo
	s_delay_alu instid0(VALU_DEP_2)
	v_cmpx_ne_u32_e32 0x7f, v6
	s_cbranch_execz .LBB305_465
; %bb.462:                              ;   in Loop: Header=BB305_11 Depth=1
	v_and_b32_e32 v4, 7, v28
	v_lshrrev_b32_e32 v5, 3, v6
	s_mov_b32 s19, exec_lo
	v_cmpx_gt_u32_e32 8, v6
; %bb.463:                              ;   in Loop: Header=BB305_11 Depth=1
	s_delay_alu instid0(VALU_DEP_3) | instskip(NEXT) | instid1(VALU_DEP_1)
	v_clz_i32_u32_e32 v4, v4
	v_min_u32_e32 v6, 32, v4
	s_delay_alu instid0(VALU_DEP_1) | instskip(NEXT) | instid1(VALU_DEP_1)
	v_subrev_nc_u32_e32 v4, 28, v6
	v_lshlrev_b64_e32 v[4:5], v4, v[28:29]
	v_sub_nc_u32_e32 v5, 29, v6
	s_delay_alu instid0(VALU_DEP_2)
	v_and_b32_e32 v4, 7, v4
; %bb.464:                              ;   in Loop: Header=BB305_11 Depth=1
	s_wait_alu 0xfffe
	s_or_b32 exec_lo, exec_lo, s19
	v_lshlrev_b32_e32 v6, 8, v28
	v_lshl_add_u32 v5, v5, 10, 0x2000
	v_lshlrev_b32_e32 v4, 7, v4
	s_delay_alu instid0(VALU_DEP_3) | instskip(NEXT) | instid1(VALU_DEP_3)
	v_and_b32_e32 v6, 0x8000, v6
	v_and_b32_e32 v5, 0xfc00, v5
	s_delay_alu instid0(VALU_DEP_1)
	v_or3_b32 v163, v6, v5, v4
.LBB305_465:                            ;   in Loop: Header=BB305_11 Depth=1
	s_wait_alu 0xfffe
	s_or_b32 exec_lo, exec_lo, s18
.LBB305_466:                            ;   in Loop: Header=BB305_11 Depth=1
	s_wait_alu 0xfffe
	s_or_b32 exec_lo, exec_lo, s17
.LBB305_467:                            ;   in Loop: Header=BB305_11 Depth=1
	s_wait_alu 0xfffe
	s_or_b32 exec_lo, exec_lo, s2
	v_lshrrev_b16 v8, 8, v28
	v_dual_mov_b32 v167, 0 :: v_dual_mov_b32 v166, 0
	s_mov_b32 s2, exec_lo
	s_delay_alu instid0(VALU_DEP_2)
	v_cmpx_ne_u16_e32 0, v8
	s_cbranch_execz .LBB305_475
; %bb.468:                              ;   in Loop: Header=BB305_11 Depth=1
	v_bfrev_b32_e32 v166, 1
	s_mov_b32 s17, exec_lo
	v_cmpx_ne_u16_e32 0x80, v8
	s_cbranch_execz .LBB305_474
; %bb.469:                              ;   in Loop: Header=BB305_11 Depth=1
	v_and_b32_e32 v4, 0xffff, v8
	v_mov_b32_e32 v166, 0x7c010000
	s_mov_b32 s18, exec_lo
	s_delay_alu instid0(VALU_DEP_2) | instskip(NEXT) | instid1(VALU_DEP_1)
	v_and_b32_e32 v7, 0x7f, v4
	v_cmpx_ne_u32_e32 0x7f, v7
	s_cbranch_execz .LBB305_473
; %bb.470:                              ;   in Loop: Header=BB305_11 Depth=1
	v_and_b32_e32 v5, 7, v4
	v_lshrrev_b32_e32 v6, 3, v7
	s_mov_b32 s19, exec_lo
	v_cmpx_gt_u32_e32 8, v7
; %bb.471:                              ;   in Loop: Header=BB305_11 Depth=1
	s_delay_alu instid0(VALU_DEP_3) | instskip(NEXT) | instid1(VALU_DEP_1)
	v_clz_i32_u32_e32 v5, v5
	v_min_u32_e32 v7, 32, v5
	s_delay_alu instid0(VALU_DEP_1) | instskip(NEXT) | instid1(VALU_DEP_1)
	v_subrev_nc_u32_e32 v5, 28, v7
	v_lshlrev_b64_e32 v[5:6], v5, v[8:9]
	v_sub_nc_u32_e32 v6, 29, v7
	s_delay_alu instid0(VALU_DEP_2)
	v_and_b32_e32 v5, 7, v5
; %bb.472:                              ;   in Loop: Header=BB305_11 Depth=1
	s_wait_alu 0xfffe
	s_or_b32 exec_lo, exec_lo, s19
	v_lshlrev_b32_e32 v4, 8, v4
	v_lshl_add_u32 v6, v6, 10, 0x2000
	v_lshlrev_b32_e32 v5, 23, v5
	s_delay_alu instid0(VALU_DEP_2) | instskip(NEXT) | instid1(VALU_DEP_1)
	v_and_or_b32 v4, 0x8000, v4, v6
	v_lshl_or_b32 v166, v4, 16, v5
.LBB305_473:                            ;   in Loop: Header=BB305_11 Depth=1
	s_wait_alu 0xfffe
	s_or_b32 exec_lo, exec_lo, s18
.LBB305_474:                            ;   in Loop: Header=BB305_11 Depth=1
	s_wait_alu 0xfffe
	s_or_b32 exec_lo, exec_lo, s17
.LBB305_475:                            ;   in Loop: Header=BB305_11 Depth=1
	s_wait_alu 0xfffe
	s_or_b32 exec_lo, exec_lo, s2
	v_lshrrev_b32_e32 v8, 16, v28
	s_mov_b32 s2, exec_lo
	s_delay_alu instid0(VALU_DEP_1) | instskip(NEXT) | instid1(VALU_DEP_1)
	v_and_b32_e32 v4, 0xff, v8
	v_cmpx_ne_u16_e32 0, v4
	s_cbranch_execz .LBB305_483
; %bb.476:                              ;   in Loop: Header=BB305_11 Depth=1
	v_mov_b32_e32 v167, 0x8000
	s_mov_b32 s17, exec_lo
	v_cmpx_ne_u16_e32 0x80, v4
	s_cbranch_execz .LBB305_482
; %bb.477:                              ;   in Loop: Header=BB305_11 Depth=1
	v_bfe_u32 v6, v28, 16, 7
	v_mov_b32_e32 v167, 0x7c01
	s_mov_b32 s18, exec_lo
	s_delay_alu instid0(VALU_DEP_2)
	v_cmpx_ne_u32_e32 0x7f, v6
	s_cbranch_execz .LBB305_481
; %bb.478:                              ;   in Loop: Header=BB305_11 Depth=1
	v_and_b32_e32 v4, 7, v8
	v_lshrrev_b32_e32 v5, 3, v6
	s_mov_b32 s19, exec_lo
	v_cmpx_gt_u32_e32 8, v6
; %bb.479:                              ;   in Loop: Header=BB305_11 Depth=1
	s_delay_alu instid0(VALU_DEP_3) | instskip(NEXT) | instid1(VALU_DEP_1)
	v_clz_i32_u32_e32 v4, v4
	v_min_u32_e32 v6, 32, v4
	s_delay_alu instid0(VALU_DEP_1) | instskip(NEXT) | instid1(VALU_DEP_1)
	v_subrev_nc_u32_e32 v4, 28, v6
	v_lshlrev_b64_e32 v[4:5], v4, v[8:9]
	v_sub_nc_u32_e32 v5, 29, v6
	s_delay_alu instid0(VALU_DEP_2)
	v_and_b32_e32 v4, 7, v4
; %bb.480:                              ;   in Loop: Header=BB305_11 Depth=1
	s_wait_alu 0xfffe
	s_or_b32 exec_lo, exec_lo, s19
	v_lshlrev_b32_e32 v6, 8, v8
	v_lshl_add_u32 v5, v5, 10, 0x2000
	v_lshlrev_b32_e32 v4, 7, v4
	s_delay_alu instid0(VALU_DEP_3) | instskip(NEXT) | instid1(VALU_DEP_3)
	v_and_b32_e32 v6, 0x8000, v6
	v_and_b32_e32 v5, 0xfc00, v5
	s_delay_alu instid0(VALU_DEP_1)
	v_or3_b32 v167, v6, v5, v4
.LBB305_481:                            ;   in Loop: Header=BB305_11 Depth=1
	s_wait_alu 0xfffe
	s_or_b32 exec_lo, exec_lo, s18
.LBB305_482:                            ;   in Loop: Header=BB305_11 Depth=1
	s_wait_alu 0xfffe
	s_or_b32 exec_lo, exec_lo, s17
.LBB305_483:                            ;   in Loop: Header=BB305_11 Depth=1
	s_wait_alu 0xfffe
	s_or_b32 exec_lo, exec_lo, s2
	v_dual_mov_b32 v177, 0 :: v_dual_mov_b32 v178, 0
	s_mov_b32 s2, exec_lo
	v_cmpx_lt_u32_e32 0xffffff, v28
	s_cbranch_execz .LBB305_491
; %bb.484:                              ;   in Loop: Header=BB305_11 Depth=1
	v_lshrrev_b32_e32 v8, 24, v28
	v_bfrev_b32_e32 v178, 1
	s_mov_b32 s17, exec_lo
	s_delay_alu instid0(VALU_DEP_2)
	v_cmpx_ne_u32_e32 0x80, v8
	s_cbranch_execz .LBB305_490
; %bb.485:                              ;   in Loop: Header=BB305_11 Depth=1
	v_and_b32_e32 v6, 0x7f, v8
	v_mov_b32_e32 v178, 0x7c010000
	s_mov_b32 s18, exec_lo
	s_delay_alu instid0(VALU_DEP_2)
	v_cmpx_ne_u32_e32 0x7f, v6
	s_cbranch_execz .LBB305_489
; %bb.486:                              ;   in Loop: Header=BB305_11 Depth=1
	v_and_b32_e32 v4, 7, v8
	v_lshrrev_b32_e32 v5, 3, v6
	s_mov_b32 s19, exec_lo
	v_cmpx_gt_u32_e32 8, v6
; %bb.487:                              ;   in Loop: Header=BB305_11 Depth=1
	s_delay_alu instid0(VALU_DEP_3) | instskip(NEXT) | instid1(VALU_DEP_1)
	v_clz_i32_u32_e32 v4, v4
	v_min_u32_e32 v6, 32, v4
	s_delay_alu instid0(VALU_DEP_1) | instskip(NEXT) | instid1(VALU_DEP_1)
	v_subrev_nc_u32_e32 v4, 28, v6
	v_lshlrev_b64_e32 v[4:5], v4, v[8:9]
	v_sub_nc_u32_e32 v5, 29, v6
	s_delay_alu instid0(VALU_DEP_2)
	v_and_b32_e32 v4, 7, v4
; %bb.488:                              ;   in Loop: Header=BB305_11 Depth=1
	s_wait_alu 0xfffe
	s_or_b32 exec_lo, exec_lo, s19
	v_lshlrev_b32_e32 v6, 8, v8
	v_lshl_add_u32 v5, v5, 10, 0x2000
	v_lshlrev_b32_e32 v4, 23, v4
	s_delay_alu instid0(VALU_DEP_2) | instskip(NEXT) | instid1(VALU_DEP_1)
	v_and_or_b32 v5, 0x8000, v6, v5
	v_lshl_or_b32 v178, v5, 16, v4
.LBB305_489:                            ;   in Loop: Header=BB305_11 Depth=1
	s_wait_alu 0xfffe
	s_or_b32 exec_lo, exec_lo, s18
.LBB305_490:                            ;   in Loop: Header=BB305_11 Depth=1
	s_wait_alu 0xfffe
	s_or_b32 exec_lo, exec_lo, s17
.LBB305_491:                            ;   in Loop: Header=BB305_11 Depth=1
	s_wait_alu 0xfffe
	s_or_b32 exec_lo, exec_lo, s2
	v_and_b32_e32 v4, 0xff, v29
	v_mov_b32_e32 v8, v29
	s_mov_b32 s2, exec_lo
	s_delay_alu instid0(VALU_DEP_2)
	v_cmpx_ne_u16_e32 0, v4
	s_cbranch_execz .LBB305_499
; %bb.492:                              ;   in Loop: Header=BB305_11 Depth=1
	v_mov_b32_e32 v177, 0x8000
	s_mov_b32 s17, exec_lo
	v_cmpx_ne_u16_e32 0x80, v4
	s_cbranch_execz .LBB305_498
; %bb.493:                              ;   in Loop: Header=BB305_11 Depth=1
	v_and_b32_e32 v6, 0x7f, v29
	v_mov_b32_e32 v177, 0x7c01
	s_mov_b32 s18, exec_lo
	s_delay_alu instid0(VALU_DEP_2)
	v_cmpx_ne_u32_e32 0x7f, v6
	s_cbranch_execz .LBB305_497
; %bb.494:                              ;   in Loop: Header=BB305_11 Depth=1
	v_and_b32_e32 v4, 7, v29
	v_lshrrev_b32_e32 v5, 3, v6
	s_mov_b32 s19, exec_lo
	v_cmpx_gt_u32_e32 8, v6
; %bb.495:                              ;   in Loop: Header=BB305_11 Depth=1
	s_delay_alu instid0(VALU_DEP_3) | instskip(NEXT) | instid1(VALU_DEP_1)
	v_clz_i32_u32_e32 v4, v4
	v_min_u32_e32 v6, 32, v4
	s_delay_alu instid0(VALU_DEP_1) | instskip(NEXT) | instid1(VALU_DEP_1)
	v_subrev_nc_u32_e32 v4, 28, v6
	v_lshlrev_b64_e32 v[4:5], v4, v[8:9]
	v_sub_nc_u32_e32 v5, 29, v6
	s_delay_alu instid0(VALU_DEP_2)
	v_and_b32_e32 v4, 7, v4
; %bb.496:                              ;   in Loop: Header=BB305_11 Depth=1
	s_wait_alu 0xfffe
	s_or_b32 exec_lo, exec_lo, s19
	v_lshlrev_b32_e32 v6, 8, v29
	v_lshl_add_u32 v5, v5, 10, 0x2000
	v_lshlrev_b32_e32 v4, 7, v4
	s_delay_alu instid0(VALU_DEP_3) | instskip(NEXT) | instid1(VALU_DEP_3)
	v_and_b32_e32 v6, 0x8000, v6
	v_and_b32_e32 v5, 0xfc00, v5
	s_delay_alu instid0(VALU_DEP_1)
	v_or3_b32 v177, v6, v5, v4
.LBB305_497:                            ;   in Loop: Header=BB305_11 Depth=1
	s_wait_alu 0xfffe
	s_or_b32 exec_lo, exec_lo, s18
.LBB305_498:                            ;   in Loop: Header=BB305_11 Depth=1
	s_wait_alu 0xfffe
	s_or_b32 exec_lo, exec_lo, s17
.LBB305_499:                            ;   in Loop: Header=BB305_11 Depth=1
	s_wait_alu 0xfffe
	s_or_b32 exec_lo, exec_lo, s2
	v_lshrrev_b16 v8, 8, v8
	v_dual_mov_b32 v181, 0 :: v_dual_mov_b32 v180, 0
	s_mov_b32 s2, exec_lo
	s_delay_alu instid0(VALU_DEP_2)
	v_cmpx_ne_u16_e32 0, v8
	s_cbranch_execz .LBB305_507
; %bb.500:                              ;   in Loop: Header=BB305_11 Depth=1
	v_bfrev_b32_e32 v180, 1
	s_mov_b32 s17, exec_lo
	v_cmpx_ne_u16_e32 0x80, v8
	s_cbranch_execz .LBB305_506
; %bb.501:                              ;   in Loop: Header=BB305_11 Depth=1
	v_and_b32_e32 v4, 0xffff, v8
	v_mov_b32_e32 v180, 0x7c010000
	s_mov_b32 s18, exec_lo
	s_delay_alu instid0(VALU_DEP_2) | instskip(NEXT) | instid1(VALU_DEP_1)
	v_and_b32_e32 v7, 0x7f, v4
	v_cmpx_ne_u32_e32 0x7f, v7
	s_cbranch_execz .LBB305_505
; %bb.502:                              ;   in Loop: Header=BB305_11 Depth=1
	v_and_b32_e32 v5, 7, v4
	v_lshrrev_b32_e32 v6, 3, v7
	s_mov_b32 s19, exec_lo
	v_cmpx_gt_u32_e32 8, v7
; %bb.503:                              ;   in Loop: Header=BB305_11 Depth=1
	s_delay_alu instid0(VALU_DEP_3) | instskip(NEXT) | instid1(VALU_DEP_1)
	v_clz_i32_u32_e32 v5, v5
	v_min_u32_e32 v7, 32, v5
	s_delay_alu instid0(VALU_DEP_1) | instskip(NEXT) | instid1(VALU_DEP_1)
	v_subrev_nc_u32_e32 v5, 28, v7
	v_lshlrev_b64_e32 v[5:6], v5, v[8:9]
	v_sub_nc_u32_e32 v6, 29, v7
	s_delay_alu instid0(VALU_DEP_2)
	v_and_b32_e32 v5, 7, v5
; %bb.504:                              ;   in Loop: Header=BB305_11 Depth=1
	s_wait_alu 0xfffe
	s_or_b32 exec_lo, exec_lo, s19
	v_lshlrev_b32_e32 v4, 8, v4
	v_lshl_add_u32 v6, v6, 10, 0x2000
	v_lshlrev_b32_e32 v5, 23, v5
	s_delay_alu instid0(VALU_DEP_2) | instskip(NEXT) | instid1(VALU_DEP_1)
	v_and_or_b32 v4, 0x8000, v4, v6
	v_lshl_or_b32 v180, v4, 16, v5
.LBB305_505:                            ;   in Loop: Header=BB305_11 Depth=1
	s_wait_alu 0xfffe
	s_or_b32 exec_lo, exec_lo, s18
.LBB305_506:                            ;   in Loop: Header=BB305_11 Depth=1
	s_wait_alu 0xfffe
	s_or_b32 exec_lo, exec_lo, s17
.LBB305_507:                            ;   in Loop: Header=BB305_11 Depth=1
	s_wait_alu 0xfffe
	s_or_b32 exec_lo, exec_lo, s2
	v_lshrrev_b32_e32 v8, 16, v29
	s_mov_b32 s2, exec_lo
	s_delay_alu instid0(VALU_DEP_1) | instskip(NEXT) | instid1(VALU_DEP_1)
	v_and_b32_e32 v4, 0xff, v8
	v_cmpx_ne_u16_e32 0, v4
	s_cbranch_execz .LBB305_515
; %bb.508:                              ;   in Loop: Header=BB305_11 Depth=1
	v_mov_b32_e32 v181, 0x8000
	s_mov_b32 s17, exec_lo
	v_cmpx_ne_u16_e32 0x80, v4
	s_cbranch_execz .LBB305_514
; %bb.509:                              ;   in Loop: Header=BB305_11 Depth=1
	v_bfe_u32 v6, v29, 16, 7
	v_mov_b32_e32 v181, 0x7c01
	s_mov_b32 s18, exec_lo
	s_delay_alu instid0(VALU_DEP_2)
	v_cmpx_ne_u32_e32 0x7f, v6
	s_cbranch_execz .LBB305_513
; %bb.510:                              ;   in Loop: Header=BB305_11 Depth=1
	v_and_b32_e32 v4, 7, v8
	v_lshrrev_b32_e32 v5, 3, v6
	s_mov_b32 s19, exec_lo
	v_cmpx_gt_u32_e32 8, v6
; %bb.511:                              ;   in Loop: Header=BB305_11 Depth=1
	s_delay_alu instid0(VALU_DEP_3) | instskip(NEXT) | instid1(VALU_DEP_1)
	v_clz_i32_u32_e32 v4, v4
	v_min_u32_e32 v6, 32, v4
	s_delay_alu instid0(VALU_DEP_1) | instskip(NEXT) | instid1(VALU_DEP_1)
	v_subrev_nc_u32_e32 v4, 28, v6
	v_lshlrev_b64_e32 v[4:5], v4, v[8:9]
	v_sub_nc_u32_e32 v5, 29, v6
	s_delay_alu instid0(VALU_DEP_2)
	v_and_b32_e32 v4, 7, v4
; %bb.512:                              ;   in Loop: Header=BB305_11 Depth=1
	s_wait_alu 0xfffe
	s_or_b32 exec_lo, exec_lo, s19
	v_lshlrev_b32_e32 v6, 8, v8
	v_lshl_add_u32 v5, v5, 10, 0x2000
	v_lshlrev_b32_e32 v4, 7, v4
	s_delay_alu instid0(VALU_DEP_3) | instskip(NEXT) | instid1(VALU_DEP_3)
	v_and_b32_e32 v6, 0x8000, v6
	v_and_b32_e32 v5, 0xfc00, v5
	s_delay_alu instid0(VALU_DEP_1)
	v_or3_b32 v181, v6, v5, v4
.LBB305_513:                            ;   in Loop: Header=BB305_11 Depth=1
	s_wait_alu 0xfffe
	s_or_b32 exec_lo, exec_lo, s18
.LBB305_514:                            ;   in Loop: Header=BB305_11 Depth=1
	s_wait_alu 0xfffe
	s_or_b32 exec_lo, exec_lo, s17
.LBB305_515:                            ;   in Loop: Header=BB305_11 Depth=1
	s_wait_alu 0xfffe
	s_or_b32 exec_lo, exec_lo, s2
	v_dual_mov_b32 v179, 0 :: v_dual_mov_b32 v40, 0
	s_mov_b32 s2, exec_lo
	v_cmpx_lt_u64_e64 s[8:9], v[28:29]
	s_cbranch_execz .LBB305_523
; %bb.516:                              ;   in Loop: Header=BB305_11 Depth=1
	v_lshrrev_b32_e32 v8, 24, v29
	v_bfrev_b32_e32 v40, 1
	s_mov_b32 s17, exec_lo
	s_delay_alu instid0(VALU_DEP_2)
	v_cmpx_ne_u32_e32 0x80, v8
	s_cbranch_execz .LBB305_522
; %bb.517:                              ;   in Loop: Header=BB305_11 Depth=1
	v_and_b32_e32 v6, 0x7f, v8
	v_mov_b32_e32 v40, 0x7c010000
	s_mov_b32 s18, exec_lo
	s_delay_alu instid0(VALU_DEP_2)
	v_cmpx_ne_u32_e32 0x7f, v6
	s_cbranch_execz .LBB305_521
; %bb.518:                              ;   in Loop: Header=BB305_11 Depth=1
	v_and_b32_e32 v4, 7, v8
	v_lshrrev_b32_e32 v5, 3, v6
	s_mov_b32 s19, exec_lo
	v_cmpx_gt_u32_e32 8, v6
; %bb.519:                              ;   in Loop: Header=BB305_11 Depth=1
	s_delay_alu instid0(VALU_DEP_3) | instskip(NEXT) | instid1(VALU_DEP_1)
	v_clz_i32_u32_e32 v4, v4
	v_min_u32_e32 v6, 32, v4
	s_delay_alu instid0(VALU_DEP_1) | instskip(NEXT) | instid1(VALU_DEP_1)
	v_subrev_nc_u32_e32 v4, 28, v6
	v_lshlrev_b64_e32 v[4:5], v4, v[8:9]
	v_sub_nc_u32_e32 v5, 29, v6
	s_delay_alu instid0(VALU_DEP_2)
	v_and_b32_e32 v4, 7, v4
; %bb.520:                              ;   in Loop: Header=BB305_11 Depth=1
	s_wait_alu 0xfffe
	s_or_b32 exec_lo, exec_lo, s19
	v_lshlrev_b32_e32 v6, 8, v8
	v_lshl_add_u32 v5, v5, 10, 0x2000
	v_lshlrev_b32_e32 v4, 23, v4
	s_delay_alu instid0(VALU_DEP_2) | instskip(NEXT) | instid1(VALU_DEP_1)
	v_and_or_b32 v5, 0x8000, v6, v5
	v_lshl_or_b32 v40, v5, 16, v4
.LBB305_521:                            ;   in Loop: Header=BB305_11 Depth=1
	s_wait_alu 0xfffe
	s_or_b32 exec_lo, exec_lo, s18
.LBB305_522:                            ;   in Loop: Header=BB305_11 Depth=1
	s_wait_alu 0xfffe
	s_or_b32 exec_lo, exec_lo, s17
.LBB305_523:                            ;   in Loop: Header=BB305_11 Depth=1
	s_wait_alu 0xfffe
	s_or_b32 exec_lo, exec_lo, s2
	flat_load_b64 v[28:29], v[20:21] offset:2048
	s_mov_b32 s2, exec_lo
	s_wait_loadcnt_dscnt 0x0
	v_and_b32_e32 v4, 0xff, v28
	s_delay_alu instid0(VALU_DEP_1)
	v_cmpx_ne_u16_e32 0, v4
	s_cbranch_execz .LBB305_531
; %bb.524:                              ;   in Loop: Header=BB305_11 Depth=1
	v_mov_b32_e32 v179, 0x8000
	s_mov_b32 s17, exec_lo
	v_cmpx_ne_u16_e32 0x80, v4
	s_cbranch_execz .LBB305_530
; %bb.525:                              ;   in Loop: Header=BB305_11 Depth=1
	v_and_b32_e32 v6, 0x7f, v28
	v_mov_b32_e32 v179, 0x7c01
	s_mov_b32 s18, exec_lo
	s_delay_alu instid0(VALU_DEP_2)
	v_cmpx_ne_u32_e32 0x7f, v6
	s_cbranch_execz .LBB305_529
; %bb.526:                              ;   in Loop: Header=BB305_11 Depth=1
	v_and_b32_e32 v4, 7, v28
	v_lshrrev_b32_e32 v5, 3, v6
	s_mov_b32 s19, exec_lo
	v_cmpx_gt_u32_e32 8, v6
; %bb.527:                              ;   in Loop: Header=BB305_11 Depth=1
	s_delay_alu instid0(VALU_DEP_3) | instskip(NEXT) | instid1(VALU_DEP_1)
	v_clz_i32_u32_e32 v4, v4
	v_min_u32_e32 v6, 32, v4
	s_delay_alu instid0(VALU_DEP_1) | instskip(NEXT) | instid1(VALU_DEP_1)
	v_subrev_nc_u32_e32 v4, 28, v6
	v_lshlrev_b64_e32 v[4:5], v4, v[28:29]
	v_sub_nc_u32_e32 v5, 29, v6
	s_delay_alu instid0(VALU_DEP_2)
	v_and_b32_e32 v4, 7, v4
; %bb.528:                              ;   in Loop: Header=BB305_11 Depth=1
	s_wait_alu 0xfffe
	s_or_b32 exec_lo, exec_lo, s19
	v_lshlrev_b32_e32 v6, 8, v28
	v_lshl_add_u32 v5, v5, 10, 0x2000
	v_lshlrev_b32_e32 v4, 7, v4
	s_delay_alu instid0(VALU_DEP_3) | instskip(NEXT) | instid1(VALU_DEP_3)
	v_and_b32_e32 v6, 0x8000, v6
	v_and_b32_e32 v5, 0xfc00, v5
	s_delay_alu instid0(VALU_DEP_1)
	v_or3_b32 v179, v6, v5, v4
.LBB305_529:                            ;   in Loop: Header=BB305_11 Depth=1
	s_wait_alu 0xfffe
	s_or_b32 exec_lo, exec_lo, s18
.LBB305_530:                            ;   in Loop: Header=BB305_11 Depth=1
	s_wait_alu 0xfffe
	s_or_b32 exec_lo, exec_lo, s17
.LBB305_531:                            ;   in Loop: Header=BB305_11 Depth=1
	s_wait_alu 0xfffe
	s_or_b32 exec_lo, exec_lo, s2
	v_lshrrev_b16 v8, 8, v28
	v_dual_mov_b32 v183, 0 :: v_dual_mov_b32 v182, 0
	s_mov_b32 s2, exec_lo
	s_delay_alu instid0(VALU_DEP_2)
	v_cmpx_ne_u16_e32 0, v8
	s_cbranch_execz .LBB305_539
; %bb.532:                              ;   in Loop: Header=BB305_11 Depth=1
	v_bfrev_b32_e32 v182, 1
	s_mov_b32 s17, exec_lo
	v_cmpx_ne_u16_e32 0x80, v8
	s_cbranch_execz .LBB305_538
; %bb.533:                              ;   in Loop: Header=BB305_11 Depth=1
	v_and_b32_e32 v4, 0xffff, v8
	v_mov_b32_e32 v182, 0x7c010000
	s_mov_b32 s18, exec_lo
	s_delay_alu instid0(VALU_DEP_2) | instskip(NEXT) | instid1(VALU_DEP_1)
	v_and_b32_e32 v7, 0x7f, v4
	v_cmpx_ne_u32_e32 0x7f, v7
	s_cbranch_execz .LBB305_537
; %bb.534:                              ;   in Loop: Header=BB305_11 Depth=1
	v_and_b32_e32 v5, 7, v4
	v_lshrrev_b32_e32 v6, 3, v7
	s_mov_b32 s19, exec_lo
	v_cmpx_gt_u32_e32 8, v7
; %bb.535:                              ;   in Loop: Header=BB305_11 Depth=1
	s_delay_alu instid0(VALU_DEP_3) | instskip(NEXT) | instid1(VALU_DEP_1)
	v_clz_i32_u32_e32 v5, v5
	v_min_u32_e32 v7, 32, v5
	s_delay_alu instid0(VALU_DEP_1) | instskip(NEXT) | instid1(VALU_DEP_1)
	v_subrev_nc_u32_e32 v5, 28, v7
	v_lshlrev_b64_e32 v[5:6], v5, v[8:9]
	v_sub_nc_u32_e32 v6, 29, v7
	s_delay_alu instid0(VALU_DEP_2)
	v_and_b32_e32 v5, 7, v5
; %bb.536:                              ;   in Loop: Header=BB305_11 Depth=1
	s_wait_alu 0xfffe
	s_or_b32 exec_lo, exec_lo, s19
	v_lshlrev_b32_e32 v4, 8, v4
	v_lshl_add_u32 v6, v6, 10, 0x2000
	v_lshlrev_b32_e32 v5, 23, v5
	s_delay_alu instid0(VALU_DEP_2) | instskip(NEXT) | instid1(VALU_DEP_1)
	v_and_or_b32 v4, 0x8000, v4, v6
	v_lshl_or_b32 v182, v4, 16, v5
.LBB305_537:                            ;   in Loop: Header=BB305_11 Depth=1
	s_wait_alu 0xfffe
	s_or_b32 exec_lo, exec_lo, s18
.LBB305_538:                            ;   in Loop: Header=BB305_11 Depth=1
	s_wait_alu 0xfffe
	s_or_b32 exec_lo, exec_lo, s17
.LBB305_539:                            ;   in Loop: Header=BB305_11 Depth=1
	s_wait_alu 0xfffe
	s_or_b32 exec_lo, exec_lo, s2
	v_lshrrev_b32_e32 v8, 16, v28
	s_mov_b32 s2, exec_lo
	s_delay_alu instid0(VALU_DEP_1) | instskip(NEXT) | instid1(VALU_DEP_1)
	v_and_b32_e32 v4, 0xff, v8
	v_cmpx_ne_u16_e32 0, v4
	s_cbranch_execz .LBB305_547
; %bb.540:                              ;   in Loop: Header=BB305_11 Depth=1
	v_mov_b32_e32 v183, 0x8000
	s_mov_b32 s17, exec_lo
	v_cmpx_ne_u16_e32 0x80, v4
	s_cbranch_execz .LBB305_546
; %bb.541:                              ;   in Loop: Header=BB305_11 Depth=1
	v_bfe_u32 v6, v28, 16, 7
	v_mov_b32_e32 v183, 0x7c01
	s_mov_b32 s18, exec_lo
	s_delay_alu instid0(VALU_DEP_2)
	v_cmpx_ne_u32_e32 0x7f, v6
	s_cbranch_execz .LBB305_545
; %bb.542:                              ;   in Loop: Header=BB305_11 Depth=1
	v_and_b32_e32 v4, 7, v8
	v_lshrrev_b32_e32 v5, 3, v6
	s_mov_b32 s19, exec_lo
	v_cmpx_gt_u32_e32 8, v6
; %bb.543:                              ;   in Loop: Header=BB305_11 Depth=1
	s_delay_alu instid0(VALU_DEP_3) | instskip(NEXT) | instid1(VALU_DEP_1)
	v_clz_i32_u32_e32 v4, v4
	v_min_u32_e32 v6, 32, v4
	s_delay_alu instid0(VALU_DEP_1) | instskip(NEXT) | instid1(VALU_DEP_1)
	v_subrev_nc_u32_e32 v4, 28, v6
	v_lshlrev_b64_e32 v[4:5], v4, v[8:9]
	v_sub_nc_u32_e32 v5, 29, v6
	s_delay_alu instid0(VALU_DEP_2)
	v_and_b32_e32 v4, 7, v4
; %bb.544:                              ;   in Loop: Header=BB305_11 Depth=1
	s_wait_alu 0xfffe
	s_or_b32 exec_lo, exec_lo, s19
	v_lshlrev_b32_e32 v6, 8, v8
	v_lshl_add_u32 v5, v5, 10, 0x2000
	v_lshlrev_b32_e32 v4, 7, v4
	s_delay_alu instid0(VALU_DEP_3) | instskip(NEXT) | instid1(VALU_DEP_3)
	v_and_b32_e32 v6, 0x8000, v6
	v_and_b32_e32 v5, 0xfc00, v5
	s_delay_alu instid0(VALU_DEP_1)
	v_or3_b32 v183, v6, v5, v4
.LBB305_545:                            ;   in Loop: Header=BB305_11 Depth=1
	s_wait_alu 0xfffe
	s_or_b32 exec_lo, exec_lo, s18
.LBB305_546:                            ;   in Loop: Header=BB305_11 Depth=1
	s_wait_alu 0xfffe
	s_or_b32 exec_lo, exec_lo, s17
.LBB305_547:                            ;   in Loop: Header=BB305_11 Depth=1
	s_wait_alu 0xfffe
	s_or_b32 exec_lo, exec_lo, s2
	v_dual_mov_b32 v41, 0 :: v_dual_mov_b32 v42, 0
	s_mov_b32 s2, exec_lo
	v_cmpx_lt_u32_e32 0xffffff, v28
	s_cbranch_execz .LBB305_555
; %bb.548:                              ;   in Loop: Header=BB305_11 Depth=1
	v_lshrrev_b32_e32 v8, 24, v28
	v_bfrev_b32_e32 v42, 1
	s_mov_b32 s17, exec_lo
	s_delay_alu instid0(VALU_DEP_2)
	v_cmpx_ne_u32_e32 0x80, v8
	s_cbranch_execz .LBB305_554
; %bb.549:                              ;   in Loop: Header=BB305_11 Depth=1
	v_and_b32_e32 v6, 0x7f, v8
	v_mov_b32_e32 v42, 0x7c010000
	s_mov_b32 s18, exec_lo
	s_delay_alu instid0(VALU_DEP_2)
	v_cmpx_ne_u32_e32 0x7f, v6
	s_cbranch_execz .LBB305_553
; %bb.550:                              ;   in Loop: Header=BB305_11 Depth=1
	v_and_b32_e32 v4, 7, v8
	v_lshrrev_b32_e32 v5, 3, v6
	s_mov_b32 s19, exec_lo
	v_cmpx_gt_u32_e32 8, v6
; %bb.551:                              ;   in Loop: Header=BB305_11 Depth=1
	s_delay_alu instid0(VALU_DEP_3) | instskip(NEXT) | instid1(VALU_DEP_1)
	v_clz_i32_u32_e32 v4, v4
	v_min_u32_e32 v6, 32, v4
	s_delay_alu instid0(VALU_DEP_1) | instskip(NEXT) | instid1(VALU_DEP_1)
	v_subrev_nc_u32_e32 v4, 28, v6
	v_lshlrev_b64_e32 v[4:5], v4, v[8:9]
	v_sub_nc_u32_e32 v5, 29, v6
	s_delay_alu instid0(VALU_DEP_2)
	v_and_b32_e32 v4, 7, v4
; %bb.552:                              ;   in Loop: Header=BB305_11 Depth=1
	s_wait_alu 0xfffe
	s_or_b32 exec_lo, exec_lo, s19
	v_lshlrev_b32_e32 v6, 8, v8
	v_lshl_add_u32 v5, v5, 10, 0x2000
	v_lshlrev_b32_e32 v4, 23, v4
	s_delay_alu instid0(VALU_DEP_2) | instskip(NEXT) | instid1(VALU_DEP_1)
	v_and_or_b32 v5, 0x8000, v6, v5
	v_lshl_or_b32 v42, v5, 16, v4
.LBB305_553:                            ;   in Loop: Header=BB305_11 Depth=1
	s_wait_alu 0xfffe
	s_or_b32 exec_lo, exec_lo, s18
.LBB305_554:                            ;   in Loop: Header=BB305_11 Depth=1
	s_wait_alu 0xfffe
	s_or_b32 exec_lo, exec_lo, s17
.LBB305_555:                            ;   in Loop: Header=BB305_11 Depth=1
	s_wait_alu 0xfffe
	s_or_b32 exec_lo, exec_lo, s2
	v_and_b32_e32 v4, 0xff, v29
	v_mov_b32_e32 v8, v29
	s_mov_b32 s2, exec_lo
	s_delay_alu instid0(VALU_DEP_2)
	v_cmpx_ne_u16_e32 0, v4
	s_cbranch_execz .LBB305_563
; %bb.556:                              ;   in Loop: Header=BB305_11 Depth=1
	v_mov_b32_e32 v41, 0x8000
	s_mov_b32 s17, exec_lo
	v_cmpx_ne_u16_e32 0x80, v4
	s_cbranch_execz .LBB305_562
; %bb.557:                              ;   in Loop: Header=BB305_11 Depth=1
	v_and_b32_e32 v6, 0x7f, v29
	v_mov_b32_e32 v41, 0x7c01
	s_mov_b32 s18, exec_lo
	s_delay_alu instid0(VALU_DEP_2)
	v_cmpx_ne_u32_e32 0x7f, v6
	s_cbranch_execz .LBB305_561
; %bb.558:                              ;   in Loop: Header=BB305_11 Depth=1
	v_and_b32_e32 v4, 7, v29
	v_lshrrev_b32_e32 v5, 3, v6
	s_mov_b32 s19, exec_lo
	v_cmpx_gt_u32_e32 8, v6
; %bb.559:                              ;   in Loop: Header=BB305_11 Depth=1
	s_delay_alu instid0(VALU_DEP_3) | instskip(NEXT) | instid1(VALU_DEP_1)
	v_clz_i32_u32_e32 v4, v4
	v_min_u32_e32 v6, 32, v4
	s_delay_alu instid0(VALU_DEP_1) | instskip(NEXT) | instid1(VALU_DEP_1)
	v_subrev_nc_u32_e32 v4, 28, v6
	v_lshlrev_b64_e32 v[4:5], v4, v[8:9]
	v_sub_nc_u32_e32 v5, 29, v6
	s_delay_alu instid0(VALU_DEP_2)
	v_and_b32_e32 v4, 7, v4
; %bb.560:                              ;   in Loop: Header=BB305_11 Depth=1
	s_wait_alu 0xfffe
	s_or_b32 exec_lo, exec_lo, s19
	v_lshlrev_b32_e32 v6, 8, v29
	v_lshl_add_u32 v5, v5, 10, 0x2000
	v_lshlrev_b32_e32 v4, 7, v4
	s_delay_alu instid0(VALU_DEP_3) | instskip(NEXT) | instid1(VALU_DEP_3)
	v_and_b32_e32 v6, 0x8000, v6
	v_and_b32_e32 v5, 0xfc00, v5
	s_delay_alu instid0(VALU_DEP_1)
	v_or3_b32 v41, v6, v5, v4
.LBB305_561:                            ;   in Loop: Header=BB305_11 Depth=1
	s_wait_alu 0xfffe
	s_or_b32 exec_lo, exec_lo, s18
.LBB305_562:                            ;   in Loop: Header=BB305_11 Depth=1
	s_wait_alu 0xfffe
	s_or_b32 exec_lo, exec_lo, s17
.LBB305_563:                            ;   in Loop: Header=BB305_11 Depth=1
	s_wait_alu 0xfffe
	s_or_b32 exec_lo, exec_lo, s2
	v_lshrrev_b16 v8, 8, v8
	v_dual_mov_b32 v45, 0 :: v_dual_mov_b32 v44, 0
	s_mov_b32 s2, exec_lo
	s_delay_alu instid0(VALU_DEP_2)
	v_cmpx_ne_u16_e32 0, v8
	s_cbranch_execz .LBB305_571
; %bb.564:                              ;   in Loop: Header=BB305_11 Depth=1
	v_bfrev_b32_e32 v44, 1
	s_mov_b32 s17, exec_lo
	v_cmpx_ne_u16_e32 0x80, v8
	s_cbranch_execz .LBB305_570
; %bb.565:                              ;   in Loop: Header=BB305_11 Depth=1
	v_and_b32_e32 v4, 0xffff, v8
	v_mov_b32_e32 v44, 0x7c010000
	s_mov_b32 s18, exec_lo
	s_delay_alu instid0(VALU_DEP_2) | instskip(NEXT) | instid1(VALU_DEP_1)
	v_and_b32_e32 v7, 0x7f, v4
	v_cmpx_ne_u32_e32 0x7f, v7
	s_cbranch_execz .LBB305_569
; %bb.566:                              ;   in Loop: Header=BB305_11 Depth=1
	v_and_b32_e32 v5, 7, v4
	v_lshrrev_b32_e32 v6, 3, v7
	s_mov_b32 s19, exec_lo
	v_cmpx_gt_u32_e32 8, v7
; %bb.567:                              ;   in Loop: Header=BB305_11 Depth=1
	s_delay_alu instid0(VALU_DEP_3) | instskip(NEXT) | instid1(VALU_DEP_1)
	v_clz_i32_u32_e32 v5, v5
	v_min_u32_e32 v7, 32, v5
	s_delay_alu instid0(VALU_DEP_1) | instskip(NEXT) | instid1(VALU_DEP_1)
	v_subrev_nc_u32_e32 v5, 28, v7
	v_lshlrev_b64_e32 v[5:6], v5, v[8:9]
	v_sub_nc_u32_e32 v6, 29, v7
	s_delay_alu instid0(VALU_DEP_2)
	v_and_b32_e32 v5, 7, v5
; %bb.568:                              ;   in Loop: Header=BB305_11 Depth=1
	s_wait_alu 0xfffe
	s_or_b32 exec_lo, exec_lo, s19
	v_lshlrev_b32_e32 v4, 8, v4
	v_lshl_add_u32 v6, v6, 10, 0x2000
	v_lshlrev_b32_e32 v5, 23, v5
	s_delay_alu instid0(VALU_DEP_2) | instskip(NEXT) | instid1(VALU_DEP_1)
	v_and_or_b32 v4, 0x8000, v4, v6
	v_lshl_or_b32 v44, v4, 16, v5
.LBB305_569:                            ;   in Loop: Header=BB305_11 Depth=1
	s_wait_alu 0xfffe
	s_or_b32 exec_lo, exec_lo, s18
.LBB305_570:                            ;   in Loop: Header=BB305_11 Depth=1
	s_wait_alu 0xfffe
	s_or_b32 exec_lo, exec_lo, s17
.LBB305_571:                            ;   in Loop: Header=BB305_11 Depth=1
	s_wait_alu 0xfffe
	s_or_b32 exec_lo, exec_lo, s2
	v_lshrrev_b32_e32 v8, 16, v29
	s_mov_b32 s2, exec_lo
	s_delay_alu instid0(VALU_DEP_1) | instskip(NEXT) | instid1(VALU_DEP_1)
	v_and_b32_e32 v4, 0xff, v8
	v_cmpx_ne_u16_e32 0, v4
	s_cbranch_execz .LBB305_579
; %bb.572:                              ;   in Loop: Header=BB305_11 Depth=1
	v_mov_b32_e32 v45, 0x8000
	s_mov_b32 s17, exec_lo
	v_cmpx_ne_u16_e32 0x80, v4
	s_cbranch_execz .LBB305_578
; %bb.573:                              ;   in Loop: Header=BB305_11 Depth=1
	v_bfe_u32 v6, v29, 16, 7
	v_mov_b32_e32 v45, 0x7c01
	s_mov_b32 s18, exec_lo
	s_delay_alu instid0(VALU_DEP_2)
	v_cmpx_ne_u32_e32 0x7f, v6
	s_cbranch_execz .LBB305_577
; %bb.574:                              ;   in Loop: Header=BB305_11 Depth=1
	v_and_b32_e32 v4, 7, v8
	v_lshrrev_b32_e32 v5, 3, v6
	s_mov_b32 s19, exec_lo
	v_cmpx_gt_u32_e32 8, v6
; %bb.575:                              ;   in Loop: Header=BB305_11 Depth=1
	s_delay_alu instid0(VALU_DEP_3) | instskip(NEXT) | instid1(VALU_DEP_1)
	v_clz_i32_u32_e32 v4, v4
	v_min_u32_e32 v6, 32, v4
	s_delay_alu instid0(VALU_DEP_1) | instskip(NEXT) | instid1(VALU_DEP_1)
	v_subrev_nc_u32_e32 v4, 28, v6
	v_lshlrev_b64_e32 v[4:5], v4, v[8:9]
	v_sub_nc_u32_e32 v5, 29, v6
	s_delay_alu instid0(VALU_DEP_2)
	v_and_b32_e32 v4, 7, v4
; %bb.576:                              ;   in Loop: Header=BB305_11 Depth=1
	s_wait_alu 0xfffe
	s_or_b32 exec_lo, exec_lo, s19
	v_lshlrev_b32_e32 v6, 8, v8
	v_lshl_add_u32 v5, v5, 10, 0x2000
	v_lshlrev_b32_e32 v4, 7, v4
	s_delay_alu instid0(VALU_DEP_3) | instskip(NEXT) | instid1(VALU_DEP_3)
	v_and_b32_e32 v6, 0x8000, v6
	v_and_b32_e32 v5, 0xfc00, v5
	s_delay_alu instid0(VALU_DEP_1)
	v_or3_b32 v45, v6, v5, v4
.LBB305_577:                            ;   in Loop: Header=BB305_11 Depth=1
	s_wait_alu 0xfffe
	s_or_b32 exec_lo, exec_lo, s18
.LBB305_578:                            ;   in Loop: Header=BB305_11 Depth=1
	s_wait_alu 0xfffe
	s_or_b32 exec_lo, exec_lo, s17
.LBB305_579:                            ;   in Loop: Header=BB305_11 Depth=1
	s_wait_alu 0xfffe
	s_or_b32 exec_lo, exec_lo, s2
	v_dual_mov_b32 v43, 0 :: v_dual_mov_b32 v56, 0
	s_mov_b32 s2, exec_lo
	v_cmpx_lt_u64_e64 s[8:9], v[28:29]
	s_cbranch_execz .LBB305_587
; %bb.580:                              ;   in Loop: Header=BB305_11 Depth=1
	v_lshrrev_b32_e32 v8, 24, v29
	v_bfrev_b32_e32 v56, 1
	s_mov_b32 s17, exec_lo
	s_delay_alu instid0(VALU_DEP_2)
	v_cmpx_ne_u32_e32 0x80, v8
	s_cbranch_execz .LBB305_586
; %bb.581:                              ;   in Loop: Header=BB305_11 Depth=1
	v_and_b32_e32 v6, 0x7f, v8
	v_mov_b32_e32 v56, 0x7c010000
	s_mov_b32 s18, exec_lo
	s_delay_alu instid0(VALU_DEP_2)
	v_cmpx_ne_u32_e32 0x7f, v6
	s_cbranch_execz .LBB305_585
; %bb.582:                              ;   in Loop: Header=BB305_11 Depth=1
	v_and_b32_e32 v4, 7, v8
	v_lshrrev_b32_e32 v5, 3, v6
	s_mov_b32 s19, exec_lo
	v_cmpx_gt_u32_e32 8, v6
; %bb.583:                              ;   in Loop: Header=BB305_11 Depth=1
	s_delay_alu instid0(VALU_DEP_3) | instskip(NEXT) | instid1(VALU_DEP_1)
	v_clz_i32_u32_e32 v4, v4
	v_min_u32_e32 v6, 32, v4
	s_delay_alu instid0(VALU_DEP_1) | instskip(NEXT) | instid1(VALU_DEP_1)
	v_subrev_nc_u32_e32 v4, 28, v6
	v_lshlrev_b64_e32 v[4:5], v4, v[8:9]
	v_sub_nc_u32_e32 v5, 29, v6
	s_delay_alu instid0(VALU_DEP_2)
	v_and_b32_e32 v4, 7, v4
; %bb.584:                              ;   in Loop: Header=BB305_11 Depth=1
	s_wait_alu 0xfffe
	s_or_b32 exec_lo, exec_lo, s19
	v_lshlrev_b32_e32 v6, 8, v8
	v_lshl_add_u32 v5, v5, 10, 0x2000
	v_lshlrev_b32_e32 v4, 23, v4
	s_delay_alu instid0(VALU_DEP_2) | instskip(NEXT) | instid1(VALU_DEP_1)
	v_and_or_b32 v5, 0x8000, v6, v5
	v_lshl_or_b32 v56, v5, 16, v4
.LBB305_585:                            ;   in Loop: Header=BB305_11 Depth=1
	s_wait_alu 0xfffe
	s_or_b32 exec_lo, exec_lo, s18
.LBB305_586:                            ;   in Loop: Header=BB305_11 Depth=1
	s_wait_alu 0xfffe
	s_or_b32 exec_lo, exec_lo, s17
.LBB305_587:                            ;   in Loop: Header=BB305_11 Depth=1
	s_wait_alu 0xfffe
	s_or_b32 exec_lo, exec_lo, s2
	flat_load_b64 v[28:29], v[20:21] offset:2056
	s_mov_b32 s2, exec_lo
	s_wait_loadcnt_dscnt 0x0
	v_and_b32_e32 v4, 0xff, v28
	s_delay_alu instid0(VALU_DEP_1)
	v_cmpx_ne_u16_e32 0, v4
	s_cbranch_execz .LBB305_595
; %bb.588:                              ;   in Loop: Header=BB305_11 Depth=1
	v_mov_b32_e32 v43, 0x8000
	s_mov_b32 s17, exec_lo
	v_cmpx_ne_u16_e32 0x80, v4
	s_cbranch_execz .LBB305_594
; %bb.589:                              ;   in Loop: Header=BB305_11 Depth=1
	v_and_b32_e32 v6, 0x7f, v28
	v_mov_b32_e32 v43, 0x7c01
	s_mov_b32 s18, exec_lo
	s_delay_alu instid0(VALU_DEP_2)
	v_cmpx_ne_u32_e32 0x7f, v6
	s_cbranch_execz .LBB305_593
; %bb.590:                              ;   in Loop: Header=BB305_11 Depth=1
	v_and_b32_e32 v4, 7, v28
	v_lshrrev_b32_e32 v5, 3, v6
	s_mov_b32 s19, exec_lo
	v_cmpx_gt_u32_e32 8, v6
; %bb.591:                              ;   in Loop: Header=BB305_11 Depth=1
	s_delay_alu instid0(VALU_DEP_3) | instskip(NEXT) | instid1(VALU_DEP_1)
	v_clz_i32_u32_e32 v4, v4
	v_min_u32_e32 v6, 32, v4
	s_delay_alu instid0(VALU_DEP_1) | instskip(NEXT) | instid1(VALU_DEP_1)
	v_subrev_nc_u32_e32 v4, 28, v6
	v_lshlrev_b64_e32 v[4:5], v4, v[28:29]
	v_sub_nc_u32_e32 v5, 29, v6
	s_delay_alu instid0(VALU_DEP_2)
	v_and_b32_e32 v4, 7, v4
; %bb.592:                              ;   in Loop: Header=BB305_11 Depth=1
	s_wait_alu 0xfffe
	s_or_b32 exec_lo, exec_lo, s19
	v_lshlrev_b32_e32 v6, 8, v28
	v_lshl_add_u32 v5, v5, 10, 0x2000
	v_lshlrev_b32_e32 v4, 7, v4
	s_delay_alu instid0(VALU_DEP_3) | instskip(NEXT) | instid1(VALU_DEP_3)
	v_and_b32_e32 v6, 0x8000, v6
	v_and_b32_e32 v5, 0xfc00, v5
	s_delay_alu instid0(VALU_DEP_1)
	v_or3_b32 v43, v6, v5, v4
.LBB305_593:                            ;   in Loop: Header=BB305_11 Depth=1
	s_wait_alu 0xfffe
	s_or_b32 exec_lo, exec_lo, s18
.LBB305_594:                            ;   in Loop: Header=BB305_11 Depth=1
	s_wait_alu 0xfffe
	s_or_b32 exec_lo, exec_lo, s17
.LBB305_595:                            ;   in Loop: Header=BB305_11 Depth=1
	s_wait_alu 0xfffe
	s_or_b32 exec_lo, exec_lo, s2
	v_lshrrev_b16 v8, 8, v28
	v_dual_mov_b32 v47, 0 :: v_dual_mov_b32 v46, 0
	s_mov_b32 s2, exec_lo
	s_delay_alu instid0(VALU_DEP_2)
	v_cmpx_ne_u16_e32 0, v8
	s_cbranch_execz .LBB305_603
; %bb.596:                              ;   in Loop: Header=BB305_11 Depth=1
	v_bfrev_b32_e32 v46, 1
	s_mov_b32 s17, exec_lo
	v_cmpx_ne_u16_e32 0x80, v8
	s_cbranch_execz .LBB305_602
; %bb.597:                              ;   in Loop: Header=BB305_11 Depth=1
	v_and_b32_e32 v4, 0xffff, v8
	v_mov_b32_e32 v46, 0x7c010000
	s_mov_b32 s18, exec_lo
	s_delay_alu instid0(VALU_DEP_2) | instskip(NEXT) | instid1(VALU_DEP_1)
	v_and_b32_e32 v7, 0x7f, v4
	v_cmpx_ne_u32_e32 0x7f, v7
	s_cbranch_execz .LBB305_601
; %bb.598:                              ;   in Loop: Header=BB305_11 Depth=1
	v_and_b32_e32 v5, 7, v4
	v_lshrrev_b32_e32 v6, 3, v7
	s_mov_b32 s19, exec_lo
	v_cmpx_gt_u32_e32 8, v7
; %bb.599:                              ;   in Loop: Header=BB305_11 Depth=1
	s_delay_alu instid0(VALU_DEP_3) | instskip(NEXT) | instid1(VALU_DEP_1)
	v_clz_i32_u32_e32 v5, v5
	v_min_u32_e32 v7, 32, v5
	s_delay_alu instid0(VALU_DEP_1) | instskip(NEXT) | instid1(VALU_DEP_1)
	v_subrev_nc_u32_e32 v5, 28, v7
	v_lshlrev_b64_e32 v[5:6], v5, v[8:9]
	v_sub_nc_u32_e32 v6, 29, v7
	s_delay_alu instid0(VALU_DEP_2)
	v_and_b32_e32 v5, 7, v5
; %bb.600:                              ;   in Loop: Header=BB305_11 Depth=1
	s_wait_alu 0xfffe
	s_or_b32 exec_lo, exec_lo, s19
	v_lshlrev_b32_e32 v4, 8, v4
	v_lshl_add_u32 v6, v6, 10, 0x2000
	v_lshlrev_b32_e32 v5, 23, v5
	s_delay_alu instid0(VALU_DEP_2) | instskip(NEXT) | instid1(VALU_DEP_1)
	v_and_or_b32 v4, 0x8000, v4, v6
	v_lshl_or_b32 v46, v4, 16, v5
.LBB305_601:                            ;   in Loop: Header=BB305_11 Depth=1
	s_wait_alu 0xfffe
	s_or_b32 exec_lo, exec_lo, s18
.LBB305_602:                            ;   in Loop: Header=BB305_11 Depth=1
	s_wait_alu 0xfffe
	s_or_b32 exec_lo, exec_lo, s17
.LBB305_603:                            ;   in Loop: Header=BB305_11 Depth=1
	s_wait_alu 0xfffe
	s_or_b32 exec_lo, exec_lo, s2
	v_lshrrev_b32_e32 v8, 16, v28
	s_mov_b32 s2, exec_lo
	s_delay_alu instid0(VALU_DEP_1) | instskip(NEXT) | instid1(VALU_DEP_1)
	v_and_b32_e32 v4, 0xff, v8
	v_cmpx_ne_u16_e32 0, v4
	s_cbranch_execz .LBB305_611
; %bb.604:                              ;   in Loop: Header=BB305_11 Depth=1
	v_mov_b32_e32 v47, 0x8000
	s_mov_b32 s17, exec_lo
	v_cmpx_ne_u16_e32 0x80, v4
	s_cbranch_execz .LBB305_610
; %bb.605:                              ;   in Loop: Header=BB305_11 Depth=1
	v_bfe_u32 v6, v28, 16, 7
	v_mov_b32_e32 v47, 0x7c01
	s_mov_b32 s18, exec_lo
	s_delay_alu instid0(VALU_DEP_2)
	v_cmpx_ne_u32_e32 0x7f, v6
	s_cbranch_execz .LBB305_609
; %bb.606:                              ;   in Loop: Header=BB305_11 Depth=1
	v_and_b32_e32 v4, 7, v8
	v_lshrrev_b32_e32 v5, 3, v6
	s_mov_b32 s19, exec_lo
	v_cmpx_gt_u32_e32 8, v6
; %bb.607:                              ;   in Loop: Header=BB305_11 Depth=1
	s_delay_alu instid0(VALU_DEP_3) | instskip(NEXT) | instid1(VALU_DEP_1)
	v_clz_i32_u32_e32 v4, v4
	v_min_u32_e32 v6, 32, v4
	s_delay_alu instid0(VALU_DEP_1) | instskip(NEXT) | instid1(VALU_DEP_1)
	v_subrev_nc_u32_e32 v4, 28, v6
	v_lshlrev_b64_e32 v[4:5], v4, v[8:9]
	v_sub_nc_u32_e32 v5, 29, v6
	s_delay_alu instid0(VALU_DEP_2)
	v_and_b32_e32 v4, 7, v4
; %bb.608:                              ;   in Loop: Header=BB305_11 Depth=1
	s_wait_alu 0xfffe
	s_or_b32 exec_lo, exec_lo, s19
	v_lshlrev_b32_e32 v6, 8, v8
	v_lshl_add_u32 v5, v5, 10, 0x2000
	v_lshlrev_b32_e32 v4, 7, v4
	s_delay_alu instid0(VALU_DEP_3) | instskip(NEXT) | instid1(VALU_DEP_3)
	v_and_b32_e32 v6, 0x8000, v6
	v_and_b32_e32 v5, 0xfc00, v5
	s_delay_alu instid0(VALU_DEP_1)
	v_or3_b32 v47, v6, v5, v4
.LBB305_609:                            ;   in Loop: Header=BB305_11 Depth=1
	s_wait_alu 0xfffe
	s_or_b32 exec_lo, exec_lo, s18
.LBB305_610:                            ;   in Loop: Header=BB305_11 Depth=1
	s_wait_alu 0xfffe
	s_or_b32 exec_lo, exec_lo, s17
.LBB305_611:                            ;   in Loop: Header=BB305_11 Depth=1
	s_wait_alu 0xfffe
	s_or_b32 exec_lo, exec_lo, s2
	v_dual_mov_b32 v57, 0 :: v_dual_mov_b32 v58, 0
	s_mov_b32 s2, exec_lo
	v_cmpx_lt_u32_e32 0xffffff, v28
	s_cbranch_execz .LBB305_619
; %bb.612:                              ;   in Loop: Header=BB305_11 Depth=1
	v_lshrrev_b32_e32 v8, 24, v28
	v_bfrev_b32_e32 v58, 1
	s_mov_b32 s17, exec_lo
	s_delay_alu instid0(VALU_DEP_2)
	v_cmpx_ne_u32_e32 0x80, v8
	s_cbranch_execz .LBB305_618
; %bb.613:                              ;   in Loop: Header=BB305_11 Depth=1
	v_and_b32_e32 v6, 0x7f, v8
	v_mov_b32_e32 v58, 0x7c010000
	s_mov_b32 s18, exec_lo
	s_delay_alu instid0(VALU_DEP_2)
	v_cmpx_ne_u32_e32 0x7f, v6
	s_cbranch_execz .LBB305_617
; %bb.614:                              ;   in Loop: Header=BB305_11 Depth=1
	v_and_b32_e32 v4, 7, v8
	v_lshrrev_b32_e32 v5, 3, v6
	s_mov_b32 s19, exec_lo
	v_cmpx_gt_u32_e32 8, v6
; %bb.615:                              ;   in Loop: Header=BB305_11 Depth=1
	s_delay_alu instid0(VALU_DEP_3) | instskip(NEXT) | instid1(VALU_DEP_1)
	v_clz_i32_u32_e32 v4, v4
	v_min_u32_e32 v6, 32, v4
	s_delay_alu instid0(VALU_DEP_1) | instskip(NEXT) | instid1(VALU_DEP_1)
	v_subrev_nc_u32_e32 v4, 28, v6
	v_lshlrev_b64_e32 v[4:5], v4, v[8:9]
	v_sub_nc_u32_e32 v5, 29, v6
	s_delay_alu instid0(VALU_DEP_2)
	v_and_b32_e32 v4, 7, v4
; %bb.616:                              ;   in Loop: Header=BB305_11 Depth=1
	s_wait_alu 0xfffe
	s_or_b32 exec_lo, exec_lo, s19
	v_lshlrev_b32_e32 v6, 8, v8
	v_lshl_add_u32 v5, v5, 10, 0x2000
	v_lshlrev_b32_e32 v4, 23, v4
	s_delay_alu instid0(VALU_DEP_2) | instskip(NEXT) | instid1(VALU_DEP_1)
	v_and_or_b32 v5, 0x8000, v6, v5
	v_lshl_or_b32 v58, v5, 16, v4
.LBB305_617:                            ;   in Loop: Header=BB305_11 Depth=1
	s_wait_alu 0xfffe
	s_or_b32 exec_lo, exec_lo, s18
.LBB305_618:                            ;   in Loop: Header=BB305_11 Depth=1
	s_wait_alu 0xfffe
	s_or_b32 exec_lo, exec_lo, s17
.LBB305_619:                            ;   in Loop: Header=BB305_11 Depth=1
	s_wait_alu 0xfffe
	s_or_b32 exec_lo, exec_lo, s2
	v_and_b32_e32 v4, 0xff, v29
	v_mov_b32_e32 v8, v29
	s_mov_b32 s2, exec_lo
	s_delay_alu instid0(VALU_DEP_2)
	v_cmpx_ne_u16_e32 0, v4
	s_cbranch_execz .LBB305_627
; %bb.620:                              ;   in Loop: Header=BB305_11 Depth=1
	v_mov_b32_e32 v57, 0x8000
	s_mov_b32 s17, exec_lo
	v_cmpx_ne_u16_e32 0x80, v4
	s_cbranch_execz .LBB305_626
; %bb.621:                              ;   in Loop: Header=BB305_11 Depth=1
	v_and_b32_e32 v6, 0x7f, v29
	v_mov_b32_e32 v57, 0x7c01
	s_mov_b32 s18, exec_lo
	s_delay_alu instid0(VALU_DEP_2)
	v_cmpx_ne_u32_e32 0x7f, v6
	s_cbranch_execz .LBB305_625
; %bb.622:                              ;   in Loop: Header=BB305_11 Depth=1
	v_and_b32_e32 v4, 7, v29
	v_lshrrev_b32_e32 v5, 3, v6
	s_mov_b32 s19, exec_lo
	v_cmpx_gt_u32_e32 8, v6
; %bb.623:                              ;   in Loop: Header=BB305_11 Depth=1
	s_delay_alu instid0(VALU_DEP_3) | instskip(NEXT) | instid1(VALU_DEP_1)
	v_clz_i32_u32_e32 v4, v4
	v_min_u32_e32 v6, 32, v4
	s_delay_alu instid0(VALU_DEP_1) | instskip(NEXT) | instid1(VALU_DEP_1)
	v_subrev_nc_u32_e32 v4, 28, v6
	v_lshlrev_b64_e32 v[4:5], v4, v[8:9]
	v_sub_nc_u32_e32 v5, 29, v6
	s_delay_alu instid0(VALU_DEP_2)
	v_and_b32_e32 v4, 7, v4
; %bb.624:                              ;   in Loop: Header=BB305_11 Depth=1
	s_wait_alu 0xfffe
	s_or_b32 exec_lo, exec_lo, s19
	v_lshlrev_b32_e32 v6, 8, v29
	v_lshl_add_u32 v5, v5, 10, 0x2000
	v_lshlrev_b32_e32 v4, 7, v4
	s_delay_alu instid0(VALU_DEP_3) | instskip(NEXT) | instid1(VALU_DEP_3)
	v_and_b32_e32 v6, 0x8000, v6
	v_and_b32_e32 v5, 0xfc00, v5
	s_delay_alu instid0(VALU_DEP_1)
	v_or3_b32 v57, v6, v5, v4
.LBB305_625:                            ;   in Loop: Header=BB305_11 Depth=1
	s_wait_alu 0xfffe
	s_or_b32 exec_lo, exec_lo, s18
.LBB305_626:                            ;   in Loop: Header=BB305_11 Depth=1
	s_wait_alu 0xfffe
	s_or_b32 exec_lo, exec_lo, s17
.LBB305_627:                            ;   in Loop: Header=BB305_11 Depth=1
	s_wait_alu 0xfffe
	s_or_b32 exec_lo, exec_lo, s2
	v_lshrrev_b16 v8, 8, v8
	v_dual_mov_b32 v60, 0 :: v_dual_mov_b32 v59, 0
	s_mov_b32 s2, exec_lo
	s_delay_alu instid0(VALU_DEP_2)
	v_cmpx_ne_u16_e32 0, v8
	s_cbranch_execz .LBB305_635
; %bb.628:                              ;   in Loop: Header=BB305_11 Depth=1
	v_bfrev_b32_e32 v59, 1
	s_mov_b32 s17, exec_lo
	v_cmpx_ne_u16_e32 0x80, v8
	s_cbranch_execz .LBB305_634
; %bb.629:                              ;   in Loop: Header=BB305_11 Depth=1
	v_and_b32_e32 v4, 0xffff, v8
	v_mov_b32_e32 v59, 0x7c010000
	s_mov_b32 s18, exec_lo
	s_delay_alu instid0(VALU_DEP_2) | instskip(NEXT) | instid1(VALU_DEP_1)
	v_and_b32_e32 v7, 0x7f, v4
	v_cmpx_ne_u32_e32 0x7f, v7
	s_cbranch_execz .LBB305_633
; %bb.630:                              ;   in Loop: Header=BB305_11 Depth=1
	v_and_b32_e32 v5, 7, v4
	v_lshrrev_b32_e32 v6, 3, v7
	s_mov_b32 s19, exec_lo
	v_cmpx_gt_u32_e32 8, v7
; %bb.631:                              ;   in Loop: Header=BB305_11 Depth=1
	s_delay_alu instid0(VALU_DEP_3) | instskip(NEXT) | instid1(VALU_DEP_1)
	v_clz_i32_u32_e32 v5, v5
	v_min_u32_e32 v7, 32, v5
	s_delay_alu instid0(VALU_DEP_1) | instskip(NEXT) | instid1(VALU_DEP_1)
	v_subrev_nc_u32_e32 v5, 28, v7
	v_lshlrev_b64_e32 v[5:6], v5, v[8:9]
	v_sub_nc_u32_e32 v6, 29, v7
	s_delay_alu instid0(VALU_DEP_2)
	v_and_b32_e32 v5, 7, v5
; %bb.632:                              ;   in Loop: Header=BB305_11 Depth=1
	s_wait_alu 0xfffe
	s_or_b32 exec_lo, exec_lo, s19
	v_lshlrev_b32_e32 v4, 8, v4
	v_lshl_add_u32 v6, v6, 10, 0x2000
	v_lshlrev_b32_e32 v5, 23, v5
	s_delay_alu instid0(VALU_DEP_2) | instskip(NEXT) | instid1(VALU_DEP_1)
	v_and_or_b32 v4, 0x8000, v4, v6
	v_lshl_or_b32 v59, v4, 16, v5
.LBB305_633:                            ;   in Loop: Header=BB305_11 Depth=1
	s_wait_alu 0xfffe
	s_or_b32 exec_lo, exec_lo, s18
.LBB305_634:                            ;   in Loop: Header=BB305_11 Depth=1
	s_wait_alu 0xfffe
	s_or_b32 exec_lo, exec_lo, s17
.LBB305_635:                            ;   in Loop: Header=BB305_11 Depth=1
	s_wait_alu 0xfffe
	s_or_b32 exec_lo, exec_lo, s2
	v_lshrrev_b32_e32 v8, 16, v29
	s_mov_b32 s2, exec_lo
	s_delay_alu instid0(VALU_DEP_1) | instskip(NEXT) | instid1(VALU_DEP_1)
	v_and_b32_e32 v4, 0xff, v8
	v_cmpx_ne_u16_e32 0, v4
	s_cbranch_execz .LBB305_643
; %bb.636:                              ;   in Loop: Header=BB305_11 Depth=1
	v_mov_b32_e32 v60, 0x8000
	s_mov_b32 s17, exec_lo
	v_cmpx_ne_u16_e32 0x80, v4
	s_cbranch_execz .LBB305_642
; %bb.637:                              ;   in Loop: Header=BB305_11 Depth=1
	v_bfe_u32 v6, v29, 16, 7
	v_mov_b32_e32 v60, 0x7c01
	s_mov_b32 s18, exec_lo
	s_delay_alu instid0(VALU_DEP_2)
	v_cmpx_ne_u32_e32 0x7f, v6
	s_cbranch_execz .LBB305_641
; %bb.638:                              ;   in Loop: Header=BB305_11 Depth=1
	v_and_b32_e32 v4, 7, v8
	v_lshrrev_b32_e32 v5, 3, v6
	s_mov_b32 s19, exec_lo
	v_cmpx_gt_u32_e32 8, v6
; %bb.639:                              ;   in Loop: Header=BB305_11 Depth=1
	s_delay_alu instid0(VALU_DEP_3) | instskip(NEXT) | instid1(VALU_DEP_1)
	v_clz_i32_u32_e32 v4, v4
	v_min_u32_e32 v6, 32, v4
	s_delay_alu instid0(VALU_DEP_1) | instskip(NEXT) | instid1(VALU_DEP_1)
	v_subrev_nc_u32_e32 v4, 28, v6
	v_lshlrev_b64_e32 v[4:5], v4, v[8:9]
	v_sub_nc_u32_e32 v5, 29, v6
	s_delay_alu instid0(VALU_DEP_2)
	v_and_b32_e32 v4, 7, v4
; %bb.640:                              ;   in Loop: Header=BB305_11 Depth=1
	s_wait_alu 0xfffe
	s_or_b32 exec_lo, exec_lo, s19
	v_lshlrev_b32_e32 v6, 8, v8
	v_lshl_add_u32 v5, v5, 10, 0x2000
	v_lshlrev_b32_e32 v4, 7, v4
	s_delay_alu instid0(VALU_DEP_3) | instskip(NEXT) | instid1(VALU_DEP_3)
	v_and_b32_e32 v6, 0x8000, v6
	v_and_b32_e32 v5, 0xfc00, v5
	s_delay_alu instid0(VALU_DEP_1)
	v_or3_b32 v60, v6, v5, v4
.LBB305_641:                            ;   in Loop: Header=BB305_11 Depth=1
	s_wait_alu 0xfffe
	s_or_b32 exec_lo, exec_lo, s18
.LBB305_642:                            ;   in Loop: Header=BB305_11 Depth=1
	s_wait_alu 0xfffe
	s_or_b32 exec_lo, exec_lo, s17
.LBB305_643:                            ;   in Loop: Header=BB305_11 Depth=1
	s_wait_alu 0xfffe
	s_or_b32 exec_lo, exec_lo, s2
	v_dual_mov_b32 v63, 0 :: v_dual_mov_b32 v62, 0
	s_mov_b32 s2, exec_lo
	v_cmpx_lt_u64_e64 s[8:9], v[28:29]
	s_cbranch_execz .LBB305_651
; %bb.644:                              ;   in Loop: Header=BB305_11 Depth=1
	v_lshrrev_b32_e32 v8, 24, v29
	v_bfrev_b32_e32 v62, 1
	s_mov_b32 s17, exec_lo
	s_delay_alu instid0(VALU_DEP_2)
	v_cmpx_ne_u32_e32 0x80, v8
	s_cbranch_execz .LBB305_650
; %bb.645:                              ;   in Loop: Header=BB305_11 Depth=1
	v_and_b32_e32 v6, 0x7f, v8
	v_mov_b32_e32 v62, 0x7c010000
	s_mov_b32 s18, exec_lo
	s_delay_alu instid0(VALU_DEP_2)
	v_cmpx_ne_u32_e32 0x7f, v6
	s_cbranch_execz .LBB305_649
; %bb.646:                              ;   in Loop: Header=BB305_11 Depth=1
	v_and_b32_e32 v4, 7, v8
	v_lshrrev_b32_e32 v5, 3, v6
	s_mov_b32 s19, exec_lo
	v_cmpx_gt_u32_e32 8, v6
; %bb.647:                              ;   in Loop: Header=BB305_11 Depth=1
	s_delay_alu instid0(VALU_DEP_3) | instskip(NEXT) | instid1(VALU_DEP_1)
	v_clz_i32_u32_e32 v4, v4
	v_min_u32_e32 v6, 32, v4
	s_delay_alu instid0(VALU_DEP_1) | instskip(NEXT) | instid1(VALU_DEP_1)
	v_subrev_nc_u32_e32 v4, 28, v6
	v_lshlrev_b64_e32 v[4:5], v4, v[8:9]
	v_sub_nc_u32_e32 v5, 29, v6
	s_delay_alu instid0(VALU_DEP_2)
	v_and_b32_e32 v4, 7, v4
; %bb.648:                              ;   in Loop: Header=BB305_11 Depth=1
	s_wait_alu 0xfffe
	s_or_b32 exec_lo, exec_lo, s19
	v_lshlrev_b32_e32 v6, 8, v8
	v_lshl_add_u32 v5, v5, 10, 0x2000
	v_lshlrev_b32_e32 v4, 23, v4
	s_delay_alu instid0(VALU_DEP_2) | instskip(NEXT) | instid1(VALU_DEP_1)
	v_and_or_b32 v5, 0x8000, v6, v5
	v_lshl_or_b32 v62, v5, 16, v4
.LBB305_649:                            ;   in Loop: Header=BB305_11 Depth=1
	s_wait_alu 0xfffe
	s_or_b32 exec_lo, exec_lo, s18
.LBB305_650:                            ;   in Loop: Header=BB305_11 Depth=1
	s_wait_alu 0xfffe
	s_or_b32 exec_lo, exec_lo, s17
.LBB305_651:                            ;   in Loop: Header=BB305_11 Depth=1
	s_wait_alu 0xfffe
	s_or_b32 exec_lo, exec_lo, s2
	flat_load_b64 v[28:29], v[20:21] offset:2560
	s_mov_b32 s2, exec_lo
	s_wait_loadcnt_dscnt 0x0
	v_and_b32_e32 v4, 0xff, v28
	s_delay_alu instid0(VALU_DEP_1)
	v_cmpx_ne_u16_e32 0, v4
	s_cbranch_execz .LBB305_659
; %bb.652:                              ;   in Loop: Header=BB305_11 Depth=1
	v_mov_b32_e32 v63, 0x8000
	s_mov_b32 s17, exec_lo
	v_cmpx_ne_u16_e32 0x80, v4
	s_cbranch_execz .LBB305_658
; %bb.653:                              ;   in Loop: Header=BB305_11 Depth=1
	v_and_b32_e32 v6, 0x7f, v28
	v_mov_b32_e32 v63, 0x7c01
	s_mov_b32 s18, exec_lo
	s_delay_alu instid0(VALU_DEP_2)
	v_cmpx_ne_u32_e32 0x7f, v6
	s_cbranch_execz .LBB305_657
; %bb.654:                              ;   in Loop: Header=BB305_11 Depth=1
	v_and_b32_e32 v4, 7, v28
	v_lshrrev_b32_e32 v5, 3, v6
	s_mov_b32 s19, exec_lo
	v_cmpx_gt_u32_e32 8, v6
; %bb.655:                              ;   in Loop: Header=BB305_11 Depth=1
	s_delay_alu instid0(VALU_DEP_3) | instskip(NEXT) | instid1(VALU_DEP_1)
	v_clz_i32_u32_e32 v4, v4
	v_min_u32_e32 v6, 32, v4
	s_delay_alu instid0(VALU_DEP_1) | instskip(NEXT) | instid1(VALU_DEP_1)
	v_subrev_nc_u32_e32 v4, 28, v6
	v_lshlrev_b64_e32 v[4:5], v4, v[28:29]
	v_sub_nc_u32_e32 v5, 29, v6
	s_delay_alu instid0(VALU_DEP_2)
	v_and_b32_e32 v4, 7, v4
; %bb.656:                              ;   in Loop: Header=BB305_11 Depth=1
	s_wait_alu 0xfffe
	s_or_b32 exec_lo, exec_lo, s19
	v_lshlrev_b32_e32 v6, 8, v28
	v_lshl_add_u32 v5, v5, 10, 0x2000
	v_lshlrev_b32_e32 v4, 7, v4
	s_delay_alu instid0(VALU_DEP_3) | instskip(NEXT) | instid1(VALU_DEP_3)
	v_and_b32_e32 v6, 0x8000, v6
	v_and_b32_e32 v5, 0xfc00, v5
	s_delay_alu instid0(VALU_DEP_1)
	v_or3_b32 v63, v6, v5, v4
.LBB305_657:                            ;   in Loop: Header=BB305_11 Depth=1
	s_wait_alu 0xfffe
	s_or_b32 exec_lo, exec_lo, s18
.LBB305_658:                            ;   in Loop: Header=BB305_11 Depth=1
	s_wait_alu 0xfffe
	s_or_b32 exec_lo, exec_lo, s17
.LBB305_659:                            ;   in Loop: Header=BB305_11 Depth=1
	s_wait_alu 0xfffe
	s_or_b32 exec_lo, exec_lo, s2
	v_lshrrev_b16 v8, 8, v28
	v_mov_b32_e32 v73, 0
	v_mov_b32_e32 v61, 0
	s_mov_b32 s2, exec_lo
	s_delay_alu instid0(VALU_DEP_3)
	v_cmpx_ne_u16_e32 0, v8
	s_cbranch_execz .LBB305_667
; %bb.660:                              ;   in Loop: Header=BB305_11 Depth=1
	v_bfrev_b32_e32 v61, 1
	s_mov_b32 s17, exec_lo
	v_cmpx_ne_u16_e32 0x80, v8
	s_cbranch_execz .LBB305_666
; %bb.661:                              ;   in Loop: Header=BB305_11 Depth=1
	v_and_b32_e32 v4, 0xffff, v8
	v_mov_b32_e32 v61, 0x7c010000
	s_mov_b32 s18, exec_lo
	s_delay_alu instid0(VALU_DEP_2) | instskip(NEXT) | instid1(VALU_DEP_1)
	v_and_b32_e32 v7, 0x7f, v4
	v_cmpx_ne_u32_e32 0x7f, v7
	s_cbranch_execz .LBB305_665
; %bb.662:                              ;   in Loop: Header=BB305_11 Depth=1
	v_and_b32_e32 v5, 7, v4
	v_lshrrev_b32_e32 v6, 3, v7
	s_mov_b32 s19, exec_lo
	v_cmpx_gt_u32_e32 8, v7
; %bb.663:                              ;   in Loop: Header=BB305_11 Depth=1
	s_delay_alu instid0(VALU_DEP_3) | instskip(NEXT) | instid1(VALU_DEP_1)
	v_clz_i32_u32_e32 v5, v5
	v_min_u32_e32 v7, 32, v5
	s_delay_alu instid0(VALU_DEP_1) | instskip(NEXT) | instid1(VALU_DEP_1)
	v_subrev_nc_u32_e32 v5, 28, v7
	v_lshlrev_b64_e32 v[5:6], v5, v[8:9]
	v_sub_nc_u32_e32 v6, 29, v7
	s_delay_alu instid0(VALU_DEP_2)
	v_and_b32_e32 v5, 7, v5
; %bb.664:                              ;   in Loop: Header=BB305_11 Depth=1
	s_wait_alu 0xfffe
	s_or_b32 exec_lo, exec_lo, s19
	v_lshlrev_b32_e32 v4, 8, v4
	v_lshl_add_u32 v6, v6, 10, 0x2000
	v_lshlrev_b32_e32 v5, 23, v5
	s_delay_alu instid0(VALU_DEP_2) | instskip(NEXT) | instid1(VALU_DEP_1)
	v_and_or_b32 v4, 0x8000, v4, v6
	v_lshl_or_b32 v61, v4, 16, v5
.LBB305_665:                            ;   in Loop: Header=BB305_11 Depth=1
	s_wait_alu 0xfffe
	s_or_b32 exec_lo, exec_lo, s18
.LBB305_666:                            ;   in Loop: Header=BB305_11 Depth=1
	s_wait_alu 0xfffe
	s_or_b32 exec_lo, exec_lo, s17
.LBB305_667:                            ;   in Loop: Header=BB305_11 Depth=1
	s_wait_alu 0xfffe
	s_or_b32 exec_lo, exec_lo, s2
	v_lshrrev_b32_e32 v8, 16, v28
	s_mov_b32 s2, exec_lo
	s_delay_alu instid0(VALU_DEP_1) | instskip(NEXT) | instid1(VALU_DEP_1)
	v_and_b32_e32 v4, 0xff, v8
	v_cmpx_ne_u16_e32 0, v4
	s_cbranch_execz .LBB305_675
; %bb.668:                              ;   in Loop: Header=BB305_11 Depth=1
	v_mov_b32_e32 v73, 0x8000
	s_mov_b32 s17, exec_lo
	v_cmpx_ne_u16_e32 0x80, v4
	s_cbranch_execz .LBB305_674
; %bb.669:                              ;   in Loop: Header=BB305_11 Depth=1
	v_bfe_u32 v6, v28, 16, 7
	v_mov_b32_e32 v73, 0x7c01
	s_mov_b32 s18, exec_lo
	s_delay_alu instid0(VALU_DEP_2)
	v_cmpx_ne_u32_e32 0x7f, v6
	s_cbranch_execz .LBB305_673
; %bb.670:                              ;   in Loop: Header=BB305_11 Depth=1
	v_and_b32_e32 v4, 7, v8
	v_lshrrev_b32_e32 v5, 3, v6
	s_mov_b32 s19, exec_lo
	v_cmpx_gt_u32_e32 8, v6
; %bb.671:                              ;   in Loop: Header=BB305_11 Depth=1
	s_delay_alu instid0(VALU_DEP_3) | instskip(NEXT) | instid1(VALU_DEP_1)
	v_clz_i32_u32_e32 v4, v4
	v_min_u32_e32 v6, 32, v4
	s_delay_alu instid0(VALU_DEP_1) | instskip(NEXT) | instid1(VALU_DEP_1)
	v_subrev_nc_u32_e32 v4, 28, v6
	v_lshlrev_b64_e32 v[4:5], v4, v[8:9]
	v_sub_nc_u32_e32 v5, 29, v6
	s_delay_alu instid0(VALU_DEP_2)
	v_and_b32_e32 v4, 7, v4
; %bb.672:                              ;   in Loop: Header=BB305_11 Depth=1
	s_wait_alu 0xfffe
	s_or_b32 exec_lo, exec_lo, s19
	v_lshlrev_b32_e32 v6, 8, v8
	v_lshl_add_u32 v5, v5, 10, 0x2000
	v_lshlrev_b32_e32 v4, 7, v4
	s_delay_alu instid0(VALU_DEP_3) | instskip(NEXT) | instid1(VALU_DEP_3)
	v_and_b32_e32 v6, 0x8000, v6
	v_and_b32_e32 v5, 0xfc00, v5
	s_delay_alu instid0(VALU_DEP_1)
	v_or3_b32 v73, v6, v5, v4
.LBB305_673:                            ;   in Loop: Header=BB305_11 Depth=1
	s_wait_alu 0xfffe
	s_or_b32 exec_lo, exec_lo, s18
.LBB305_674:                            ;   in Loop: Header=BB305_11 Depth=1
	s_wait_alu 0xfffe
	s_or_b32 exec_lo, exec_lo, s17
.LBB305_675:                            ;   in Loop: Header=BB305_11 Depth=1
	s_wait_alu 0xfffe
	s_or_b32 exec_lo, exec_lo, s2
	v_mov_b32_e32 v72, 0
	v_mov_b32_e32 v76, 0
	s_mov_b32 s2, exec_lo
	v_cmpx_lt_u32_e32 0xffffff, v28
	s_cbranch_execz .LBB305_683
; %bb.676:                              ;   in Loop: Header=BB305_11 Depth=1
	v_lshrrev_b32_e32 v8, 24, v28
	v_bfrev_b32_e32 v76, 1
	s_mov_b32 s17, exec_lo
	s_delay_alu instid0(VALU_DEP_2)
	v_cmpx_ne_u32_e32 0x80, v8
	s_cbranch_execz .LBB305_682
; %bb.677:                              ;   in Loop: Header=BB305_11 Depth=1
	v_and_b32_e32 v6, 0x7f, v8
	v_mov_b32_e32 v76, 0x7c010000
	s_mov_b32 s18, exec_lo
	s_delay_alu instid0(VALU_DEP_2)
	v_cmpx_ne_u32_e32 0x7f, v6
	s_cbranch_execz .LBB305_681
; %bb.678:                              ;   in Loop: Header=BB305_11 Depth=1
	v_and_b32_e32 v4, 7, v8
	v_lshrrev_b32_e32 v5, 3, v6
	s_mov_b32 s19, exec_lo
	v_cmpx_gt_u32_e32 8, v6
; %bb.679:                              ;   in Loop: Header=BB305_11 Depth=1
	s_delay_alu instid0(VALU_DEP_3) | instskip(NEXT) | instid1(VALU_DEP_1)
	v_clz_i32_u32_e32 v4, v4
	v_min_u32_e32 v6, 32, v4
	s_delay_alu instid0(VALU_DEP_1) | instskip(NEXT) | instid1(VALU_DEP_1)
	v_subrev_nc_u32_e32 v4, 28, v6
	v_lshlrev_b64_e32 v[4:5], v4, v[8:9]
	v_sub_nc_u32_e32 v5, 29, v6
	s_delay_alu instid0(VALU_DEP_2)
	v_and_b32_e32 v4, 7, v4
; %bb.680:                              ;   in Loop: Header=BB305_11 Depth=1
	s_wait_alu 0xfffe
	s_or_b32 exec_lo, exec_lo, s19
	v_lshlrev_b32_e32 v6, 8, v8
	v_lshl_add_u32 v5, v5, 10, 0x2000
	v_lshlrev_b32_e32 v4, 23, v4
	s_delay_alu instid0(VALU_DEP_2) | instskip(NEXT) | instid1(VALU_DEP_1)
	v_and_or_b32 v5, 0x8000, v6, v5
	v_lshl_or_b32 v76, v5, 16, v4
.LBB305_681:                            ;   in Loop: Header=BB305_11 Depth=1
	s_wait_alu 0xfffe
	s_or_b32 exec_lo, exec_lo, s18
.LBB305_682:                            ;   in Loop: Header=BB305_11 Depth=1
	s_wait_alu 0xfffe
	s_or_b32 exec_lo, exec_lo, s17
.LBB305_683:                            ;   in Loop: Header=BB305_11 Depth=1
	s_wait_alu 0xfffe
	s_or_b32 exec_lo, exec_lo, s2
	v_and_b32_e32 v4, 0xff, v29
	v_mov_b32_e32 v8, v29
	s_mov_b32 s2, exec_lo
	s_delay_alu instid0(VALU_DEP_2)
	v_cmpx_ne_u16_e32 0, v4
	s_cbranch_execz .LBB305_691
; %bb.684:                              ;   in Loop: Header=BB305_11 Depth=1
	v_mov_b32_e32 v72, 0x8000
	s_mov_b32 s17, exec_lo
	v_cmpx_ne_u16_e32 0x80, v4
	s_cbranch_execz .LBB305_690
; %bb.685:                              ;   in Loop: Header=BB305_11 Depth=1
	v_and_b32_e32 v6, 0x7f, v29
	v_mov_b32_e32 v72, 0x7c01
	s_mov_b32 s18, exec_lo
	s_delay_alu instid0(VALU_DEP_2)
	v_cmpx_ne_u32_e32 0x7f, v6
	s_cbranch_execz .LBB305_689
; %bb.686:                              ;   in Loop: Header=BB305_11 Depth=1
	v_and_b32_e32 v4, 7, v29
	v_lshrrev_b32_e32 v5, 3, v6
	s_mov_b32 s19, exec_lo
	v_cmpx_gt_u32_e32 8, v6
; %bb.687:                              ;   in Loop: Header=BB305_11 Depth=1
	s_delay_alu instid0(VALU_DEP_3) | instskip(NEXT) | instid1(VALU_DEP_1)
	v_clz_i32_u32_e32 v4, v4
	v_min_u32_e32 v6, 32, v4
	s_delay_alu instid0(VALU_DEP_1) | instskip(NEXT) | instid1(VALU_DEP_1)
	v_subrev_nc_u32_e32 v4, 28, v6
	v_lshlrev_b64_e32 v[4:5], v4, v[8:9]
	v_sub_nc_u32_e32 v5, 29, v6
	s_delay_alu instid0(VALU_DEP_2)
	v_and_b32_e32 v4, 7, v4
; %bb.688:                              ;   in Loop: Header=BB305_11 Depth=1
	s_wait_alu 0xfffe
	s_or_b32 exec_lo, exec_lo, s19
	v_lshlrev_b32_e32 v6, 8, v29
	v_lshl_add_u32 v5, v5, 10, 0x2000
	v_lshlrev_b32_e32 v4, 7, v4
	s_delay_alu instid0(VALU_DEP_3) | instskip(NEXT) | instid1(VALU_DEP_3)
	v_and_b32_e32 v6, 0x8000, v6
	v_and_b32_e32 v5, 0xfc00, v5
	s_delay_alu instid0(VALU_DEP_1)
	v_or3_b32 v72, v6, v5, v4
.LBB305_689:                            ;   in Loop: Header=BB305_11 Depth=1
	s_wait_alu 0xfffe
	s_or_b32 exec_lo, exec_lo, s18
.LBB305_690:                            ;   in Loop: Header=BB305_11 Depth=1
	s_wait_alu 0xfffe
	s_or_b32 exec_lo, exec_lo, s17
.LBB305_691:                            ;   in Loop: Header=BB305_11 Depth=1
	s_wait_alu 0xfffe
	s_or_b32 exec_lo, exec_lo, s2
	v_lshrrev_b16 v8, 8, v8
	v_dual_mov_b32 v75, 0 :: v_dual_mov_b32 v74, 0
	s_mov_b32 s2, exec_lo
	s_delay_alu instid0(VALU_DEP_2)
	v_cmpx_ne_u16_e32 0, v8
	s_cbranch_execz .LBB305_699
; %bb.692:                              ;   in Loop: Header=BB305_11 Depth=1
	v_bfrev_b32_e32 v74, 1
	s_mov_b32 s17, exec_lo
	v_cmpx_ne_u16_e32 0x80, v8
	s_cbranch_execz .LBB305_698
; %bb.693:                              ;   in Loop: Header=BB305_11 Depth=1
	v_and_b32_e32 v4, 0xffff, v8
	v_mov_b32_e32 v74, 0x7c010000
	s_mov_b32 s18, exec_lo
	s_delay_alu instid0(VALU_DEP_2) | instskip(NEXT) | instid1(VALU_DEP_1)
	v_and_b32_e32 v7, 0x7f, v4
	v_cmpx_ne_u32_e32 0x7f, v7
	s_cbranch_execz .LBB305_697
; %bb.694:                              ;   in Loop: Header=BB305_11 Depth=1
	v_and_b32_e32 v5, 7, v4
	v_lshrrev_b32_e32 v6, 3, v7
	s_mov_b32 s19, exec_lo
	v_cmpx_gt_u32_e32 8, v7
; %bb.695:                              ;   in Loop: Header=BB305_11 Depth=1
	s_delay_alu instid0(VALU_DEP_3) | instskip(NEXT) | instid1(VALU_DEP_1)
	v_clz_i32_u32_e32 v5, v5
	v_min_u32_e32 v7, 32, v5
	s_delay_alu instid0(VALU_DEP_1) | instskip(NEXT) | instid1(VALU_DEP_1)
	v_subrev_nc_u32_e32 v5, 28, v7
	v_lshlrev_b64_e32 v[5:6], v5, v[8:9]
	v_sub_nc_u32_e32 v6, 29, v7
	s_delay_alu instid0(VALU_DEP_2)
	v_and_b32_e32 v5, 7, v5
; %bb.696:                              ;   in Loop: Header=BB305_11 Depth=1
	s_wait_alu 0xfffe
	s_or_b32 exec_lo, exec_lo, s19
	v_lshlrev_b32_e32 v4, 8, v4
	v_lshl_add_u32 v6, v6, 10, 0x2000
	v_lshlrev_b32_e32 v5, 23, v5
	s_delay_alu instid0(VALU_DEP_2) | instskip(NEXT) | instid1(VALU_DEP_1)
	v_and_or_b32 v4, 0x8000, v4, v6
	v_lshl_or_b32 v74, v4, 16, v5
.LBB305_697:                            ;   in Loop: Header=BB305_11 Depth=1
	s_wait_alu 0xfffe
	s_or_b32 exec_lo, exec_lo, s18
.LBB305_698:                            ;   in Loop: Header=BB305_11 Depth=1
	s_wait_alu 0xfffe
	s_or_b32 exec_lo, exec_lo, s17
.LBB305_699:                            ;   in Loop: Header=BB305_11 Depth=1
	s_wait_alu 0xfffe
	s_or_b32 exec_lo, exec_lo, s2
	v_lshrrev_b32_e32 v8, 16, v29
	s_mov_b32 s2, exec_lo
	s_delay_alu instid0(VALU_DEP_1) | instskip(NEXT) | instid1(VALU_DEP_1)
	v_and_b32_e32 v4, 0xff, v8
	v_cmpx_ne_u16_e32 0, v4
	s_cbranch_execz .LBB305_707
; %bb.700:                              ;   in Loop: Header=BB305_11 Depth=1
	v_mov_b32_e32 v75, 0x8000
	s_mov_b32 s17, exec_lo
	v_cmpx_ne_u16_e32 0x80, v4
	s_cbranch_execz .LBB305_706
; %bb.701:                              ;   in Loop: Header=BB305_11 Depth=1
	v_bfe_u32 v6, v29, 16, 7
	v_mov_b32_e32 v75, 0x7c01
	s_mov_b32 s18, exec_lo
	s_delay_alu instid0(VALU_DEP_2)
	v_cmpx_ne_u32_e32 0x7f, v6
	s_cbranch_execz .LBB305_705
; %bb.702:                              ;   in Loop: Header=BB305_11 Depth=1
	v_and_b32_e32 v4, 7, v8
	v_lshrrev_b32_e32 v5, 3, v6
	s_mov_b32 s19, exec_lo
	v_cmpx_gt_u32_e32 8, v6
; %bb.703:                              ;   in Loop: Header=BB305_11 Depth=1
	s_delay_alu instid0(VALU_DEP_3) | instskip(NEXT) | instid1(VALU_DEP_1)
	v_clz_i32_u32_e32 v4, v4
	v_min_u32_e32 v6, 32, v4
	s_delay_alu instid0(VALU_DEP_1) | instskip(NEXT) | instid1(VALU_DEP_1)
	v_subrev_nc_u32_e32 v4, 28, v6
	v_lshlrev_b64_e32 v[4:5], v4, v[8:9]
	v_sub_nc_u32_e32 v5, 29, v6
	s_delay_alu instid0(VALU_DEP_2)
	v_and_b32_e32 v4, 7, v4
; %bb.704:                              ;   in Loop: Header=BB305_11 Depth=1
	s_wait_alu 0xfffe
	s_or_b32 exec_lo, exec_lo, s19
	v_lshlrev_b32_e32 v6, 8, v8
	v_lshl_add_u32 v5, v5, 10, 0x2000
	v_lshlrev_b32_e32 v4, 7, v4
	s_delay_alu instid0(VALU_DEP_3) | instskip(NEXT) | instid1(VALU_DEP_3)
	v_and_b32_e32 v6, 0x8000, v6
	v_and_b32_e32 v5, 0xfc00, v5
	s_delay_alu instid0(VALU_DEP_1)
	v_or3_b32 v75, v6, v5, v4
.LBB305_705:                            ;   in Loop: Header=BB305_11 Depth=1
	s_wait_alu 0xfffe
	s_or_b32 exec_lo, exec_lo, s18
.LBB305_706:                            ;   in Loop: Header=BB305_11 Depth=1
	s_wait_alu 0xfffe
	s_or_b32 exec_lo, exec_lo, s17
.LBB305_707:                            ;   in Loop: Header=BB305_11 Depth=1
	s_wait_alu 0xfffe
	s_or_b32 exec_lo, exec_lo, s2
	v_mov_b32_e32 v79, 0
	v_mov_b32_e32 v77, 0
	s_mov_b32 s2, exec_lo
	v_cmpx_lt_u64_e64 s[8:9], v[28:29]
	s_cbranch_execz .LBB305_715
; %bb.708:                              ;   in Loop: Header=BB305_11 Depth=1
	v_lshrrev_b32_e32 v8, 24, v29
	v_bfrev_b32_e32 v77, 1
	s_mov_b32 s17, exec_lo
	s_delay_alu instid0(VALU_DEP_2)
	v_cmpx_ne_u32_e32 0x80, v8
	s_cbranch_execz .LBB305_714
; %bb.709:                              ;   in Loop: Header=BB305_11 Depth=1
	v_and_b32_e32 v6, 0x7f, v8
	v_mov_b32_e32 v77, 0x7c010000
	s_mov_b32 s18, exec_lo
	s_delay_alu instid0(VALU_DEP_2)
	v_cmpx_ne_u32_e32 0x7f, v6
	s_cbranch_execz .LBB305_713
; %bb.710:                              ;   in Loop: Header=BB305_11 Depth=1
	v_and_b32_e32 v4, 7, v8
	v_lshrrev_b32_e32 v5, 3, v6
	s_mov_b32 s19, exec_lo
	v_cmpx_gt_u32_e32 8, v6
; %bb.711:                              ;   in Loop: Header=BB305_11 Depth=1
	s_delay_alu instid0(VALU_DEP_3) | instskip(NEXT) | instid1(VALU_DEP_1)
	v_clz_i32_u32_e32 v4, v4
	v_min_u32_e32 v6, 32, v4
	s_delay_alu instid0(VALU_DEP_1) | instskip(NEXT) | instid1(VALU_DEP_1)
	v_subrev_nc_u32_e32 v4, 28, v6
	v_lshlrev_b64_e32 v[4:5], v4, v[8:9]
	v_sub_nc_u32_e32 v5, 29, v6
	s_delay_alu instid0(VALU_DEP_2)
	v_and_b32_e32 v4, 7, v4
; %bb.712:                              ;   in Loop: Header=BB305_11 Depth=1
	s_wait_alu 0xfffe
	s_or_b32 exec_lo, exec_lo, s19
	v_lshlrev_b32_e32 v6, 8, v8
	v_lshl_add_u32 v5, v5, 10, 0x2000
	v_lshlrev_b32_e32 v4, 23, v4
	s_delay_alu instid0(VALU_DEP_2) | instskip(NEXT) | instid1(VALU_DEP_1)
	v_and_or_b32 v5, 0x8000, v6, v5
	v_lshl_or_b32 v77, v5, 16, v4
.LBB305_713:                            ;   in Loop: Header=BB305_11 Depth=1
	s_wait_alu 0xfffe
	s_or_b32 exec_lo, exec_lo, s18
.LBB305_714:                            ;   in Loop: Header=BB305_11 Depth=1
	s_wait_alu 0xfffe
	s_or_b32 exec_lo, exec_lo, s17
.LBB305_715:                            ;   in Loop: Header=BB305_11 Depth=1
	s_wait_alu 0xfffe
	s_or_b32 exec_lo, exec_lo, s2
	flat_load_b64 v[28:29], v[20:21] offset:2568
	s_mov_b32 s2, exec_lo
	s_wait_loadcnt_dscnt 0x0
	v_and_b32_e32 v4, 0xff, v28
	s_delay_alu instid0(VALU_DEP_1)
	v_cmpx_ne_u16_e32 0, v4
	s_cbranch_execz .LBB305_723
; %bb.716:                              ;   in Loop: Header=BB305_11 Depth=1
	v_mov_b32_e32 v79, 0x8000
	s_mov_b32 s17, exec_lo
	v_cmpx_ne_u16_e32 0x80, v4
	s_cbranch_execz .LBB305_722
; %bb.717:                              ;   in Loop: Header=BB305_11 Depth=1
	v_and_b32_e32 v6, 0x7f, v28
	v_mov_b32_e32 v79, 0x7c01
	s_mov_b32 s18, exec_lo
	s_delay_alu instid0(VALU_DEP_2)
	v_cmpx_ne_u32_e32 0x7f, v6
	s_cbranch_execz .LBB305_721
; %bb.718:                              ;   in Loop: Header=BB305_11 Depth=1
	v_and_b32_e32 v4, 7, v28
	v_lshrrev_b32_e32 v5, 3, v6
	s_mov_b32 s19, exec_lo
	v_cmpx_gt_u32_e32 8, v6
; %bb.719:                              ;   in Loop: Header=BB305_11 Depth=1
	s_delay_alu instid0(VALU_DEP_3) | instskip(NEXT) | instid1(VALU_DEP_1)
	v_clz_i32_u32_e32 v4, v4
	v_min_u32_e32 v6, 32, v4
	s_delay_alu instid0(VALU_DEP_1) | instskip(NEXT) | instid1(VALU_DEP_1)
	v_subrev_nc_u32_e32 v4, 28, v6
	v_lshlrev_b64_e32 v[4:5], v4, v[28:29]
	v_sub_nc_u32_e32 v5, 29, v6
	s_delay_alu instid0(VALU_DEP_2)
	v_and_b32_e32 v4, 7, v4
; %bb.720:                              ;   in Loop: Header=BB305_11 Depth=1
	s_wait_alu 0xfffe
	s_or_b32 exec_lo, exec_lo, s19
	v_lshlrev_b32_e32 v6, 8, v28
	v_lshl_add_u32 v5, v5, 10, 0x2000
	v_lshlrev_b32_e32 v4, 7, v4
	s_delay_alu instid0(VALU_DEP_3) | instskip(NEXT) | instid1(VALU_DEP_3)
	v_and_b32_e32 v6, 0x8000, v6
	v_and_b32_e32 v5, 0xfc00, v5
	s_delay_alu instid0(VALU_DEP_1)
	v_or3_b32 v79, v6, v5, v4
.LBB305_721:                            ;   in Loop: Header=BB305_11 Depth=1
	s_wait_alu 0xfffe
	s_or_b32 exec_lo, exec_lo, s18
.LBB305_722:                            ;   in Loop: Header=BB305_11 Depth=1
	s_wait_alu 0xfffe
	s_or_b32 exec_lo, exec_lo, s17
.LBB305_723:                            ;   in Loop: Header=BB305_11 Depth=1
	s_wait_alu 0xfffe
	s_or_b32 exec_lo, exec_lo, s2
	v_lshrrev_b16 v8, 8, v28
	v_mov_b32_e32 v90, 0
	v_mov_b32_e32 v78, 0
	s_mov_b32 s2, exec_lo
	s_delay_alu instid0(VALU_DEP_3)
	v_cmpx_ne_u16_e32 0, v8
	s_cbranch_execz .LBB305_731
; %bb.724:                              ;   in Loop: Header=BB305_11 Depth=1
	v_bfrev_b32_e32 v78, 1
	s_mov_b32 s17, exec_lo
	v_cmpx_ne_u16_e32 0x80, v8
	s_cbranch_execz .LBB305_730
; %bb.725:                              ;   in Loop: Header=BB305_11 Depth=1
	v_and_b32_e32 v4, 0xffff, v8
	v_mov_b32_e32 v78, 0x7c010000
	s_mov_b32 s18, exec_lo
	s_delay_alu instid0(VALU_DEP_2) | instskip(NEXT) | instid1(VALU_DEP_1)
	v_and_b32_e32 v7, 0x7f, v4
	v_cmpx_ne_u32_e32 0x7f, v7
	s_cbranch_execz .LBB305_729
; %bb.726:                              ;   in Loop: Header=BB305_11 Depth=1
	v_and_b32_e32 v5, 7, v4
	v_lshrrev_b32_e32 v6, 3, v7
	s_mov_b32 s19, exec_lo
	v_cmpx_gt_u32_e32 8, v7
; %bb.727:                              ;   in Loop: Header=BB305_11 Depth=1
	s_delay_alu instid0(VALU_DEP_3) | instskip(NEXT) | instid1(VALU_DEP_1)
	v_clz_i32_u32_e32 v5, v5
	v_min_u32_e32 v7, 32, v5
	s_delay_alu instid0(VALU_DEP_1) | instskip(NEXT) | instid1(VALU_DEP_1)
	v_subrev_nc_u32_e32 v5, 28, v7
	v_lshlrev_b64_e32 v[5:6], v5, v[8:9]
	v_sub_nc_u32_e32 v6, 29, v7
	s_delay_alu instid0(VALU_DEP_2)
	v_and_b32_e32 v5, 7, v5
; %bb.728:                              ;   in Loop: Header=BB305_11 Depth=1
	s_wait_alu 0xfffe
	s_or_b32 exec_lo, exec_lo, s19
	v_lshlrev_b32_e32 v4, 8, v4
	v_lshl_add_u32 v6, v6, 10, 0x2000
	v_lshlrev_b32_e32 v5, 23, v5
	s_delay_alu instid0(VALU_DEP_2) | instskip(NEXT) | instid1(VALU_DEP_1)
	v_and_or_b32 v4, 0x8000, v4, v6
	v_lshl_or_b32 v78, v4, 16, v5
.LBB305_729:                            ;   in Loop: Header=BB305_11 Depth=1
	s_wait_alu 0xfffe
	s_or_b32 exec_lo, exec_lo, s18
.LBB305_730:                            ;   in Loop: Header=BB305_11 Depth=1
	s_wait_alu 0xfffe
	s_or_b32 exec_lo, exec_lo, s17
.LBB305_731:                            ;   in Loop: Header=BB305_11 Depth=1
	s_wait_alu 0xfffe
	s_or_b32 exec_lo, exec_lo, s2
	v_lshrrev_b32_e32 v8, 16, v28
	s_mov_b32 s2, exec_lo
	s_delay_alu instid0(VALU_DEP_1) | instskip(NEXT) | instid1(VALU_DEP_1)
	v_and_b32_e32 v4, 0xff, v8
	v_cmpx_ne_u16_e32 0, v4
	s_cbranch_execz .LBB305_739
; %bb.732:                              ;   in Loop: Header=BB305_11 Depth=1
	v_mov_b32_e32 v90, 0x8000
	s_mov_b32 s17, exec_lo
	v_cmpx_ne_u16_e32 0x80, v4
	s_cbranch_execz .LBB305_738
; %bb.733:                              ;   in Loop: Header=BB305_11 Depth=1
	v_bfe_u32 v6, v28, 16, 7
	v_mov_b32_e32 v90, 0x7c01
	s_mov_b32 s18, exec_lo
	s_delay_alu instid0(VALU_DEP_2)
	v_cmpx_ne_u32_e32 0x7f, v6
	s_cbranch_execz .LBB305_737
; %bb.734:                              ;   in Loop: Header=BB305_11 Depth=1
	v_and_b32_e32 v4, 7, v8
	v_lshrrev_b32_e32 v5, 3, v6
	s_mov_b32 s19, exec_lo
	v_cmpx_gt_u32_e32 8, v6
; %bb.735:                              ;   in Loop: Header=BB305_11 Depth=1
	s_delay_alu instid0(VALU_DEP_3) | instskip(NEXT) | instid1(VALU_DEP_1)
	v_clz_i32_u32_e32 v4, v4
	v_min_u32_e32 v6, 32, v4
	s_delay_alu instid0(VALU_DEP_1) | instskip(NEXT) | instid1(VALU_DEP_1)
	v_subrev_nc_u32_e32 v4, 28, v6
	v_lshlrev_b64_e32 v[4:5], v4, v[8:9]
	v_sub_nc_u32_e32 v5, 29, v6
	s_delay_alu instid0(VALU_DEP_2)
	v_and_b32_e32 v4, 7, v4
; %bb.736:                              ;   in Loop: Header=BB305_11 Depth=1
	s_wait_alu 0xfffe
	s_or_b32 exec_lo, exec_lo, s19
	v_lshlrev_b32_e32 v6, 8, v8
	v_lshl_add_u32 v5, v5, 10, 0x2000
	v_lshlrev_b32_e32 v4, 7, v4
	s_delay_alu instid0(VALU_DEP_3) | instskip(NEXT) | instid1(VALU_DEP_3)
	v_and_b32_e32 v6, 0x8000, v6
	v_and_b32_e32 v5, 0xfc00, v5
	s_delay_alu instid0(VALU_DEP_1)
	v_or3_b32 v90, v6, v5, v4
.LBB305_737:                            ;   in Loop: Header=BB305_11 Depth=1
	s_wait_alu 0xfffe
	s_or_b32 exec_lo, exec_lo, s18
.LBB305_738:                            ;   in Loop: Header=BB305_11 Depth=1
	s_wait_alu 0xfffe
	s_or_b32 exec_lo, exec_lo, s17
.LBB305_739:                            ;   in Loop: Header=BB305_11 Depth=1
	s_wait_alu 0xfffe
	s_or_b32 exec_lo, exec_lo, s2
	v_dual_mov_b32 v88, 0 :: v_dual_mov_b32 v93, 0
	s_mov_b32 s2, exec_lo
	v_cmpx_lt_u32_e32 0xffffff, v28
	s_cbranch_execz .LBB305_747
; %bb.740:                              ;   in Loop: Header=BB305_11 Depth=1
	v_lshrrev_b32_e32 v8, 24, v28
	v_bfrev_b32_e32 v93, 1
	s_mov_b32 s17, exec_lo
	s_delay_alu instid0(VALU_DEP_2)
	v_cmpx_ne_u32_e32 0x80, v8
	s_cbranch_execz .LBB305_746
; %bb.741:                              ;   in Loop: Header=BB305_11 Depth=1
	v_and_b32_e32 v6, 0x7f, v8
	v_mov_b32_e32 v93, 0x7c010000
	s_mov_b32 s18, exec_lo
	s_delay_alu instid0(VALU_DEP_2)
	v_cmpx_ne_u32_e32 0x7f, v6
	s_cbranch_execz .LBB305_745
; %bb.742:                              ;   in Loop: Header=BB305_11 Depth=1
	v_and_b32_e32 v4, 7, v8
	v_lshrrev_b32_e32 v5, 3, v6
	s_mov_b32 s19, exec_lo
	v_cmpx_gt_u32_e32 8, v6
; %bb.743:                              ;   in Loop: Header=BB305_11 Depth=1
	s_delay_alu instid0(VALU_DEP_3) | instskip(NEXT) | instid1(VALU_DEP_1)
	v_clz_i32_u32_e32 v4, v4
	v_min_u32_e32 v6, 32, v4
	s_delay_alu instid0(VALU_DEP_1) | instskip(NEXT) | instid1(VALU_DEP_1)
	v_subrev_nc_u32_e32 v4, 28, v6
	v_lshlrev_b64_e32 v[4:5], v4, v[8:9]
	v_sub_nc_u32_e32 v5, 29, v6
	s_delay_alu instid0(VALU_DEP_2)
	v_and_b32_e32 v4, 7, v4
; %bb.744:                              ;   in Loop: Header=BB305_11 Depth=1
	s_wait_alu 0xfffe
	s_or_b32 exec_lo, exec_lo, s19
	v_lshlrev_b32_e32 v6, 8, v8
	v_lshl_add_u32 v5, v5, 10, 0x2000
	v_lshlrev_b32_e32 v4, 23, v4
	s_delay_alu instid0(VALU_DEP_2) | instskip(NEXT) | instid1(VALU_DEP_1)
	v_and_or_b32 v5, 0x8000, v6, v5
	v_lshl_or_b32 v93, v5, 16, v4
.LBB305_745:                            ;   in Loop: Header=BB305_11 Depth=1
	s_wait_alu 0xfffe
	s_or_b32 exec_lo, exec_lo, s18
.LBB305_746:                            ;   in Loop: Header=BB305_11 Depth=1
	s_wait_alu 0xfffe
	s_or_b32 exec_lo, exec_lo, s17
.LBB305_747:                            ;   in Loop: Header=BB305_11 Depth=1
	s_wait_alu 0xfffe
	s_or_b32 exec_lo, exec_lo, s2
	v_and_b32_e32 v4, 0xff, v29
	v_mov_b32_e32 v8, v29
	s_mov_b32 s2, exec_lo
	s_delay_alu instid0(VALU_DEP_2)
	v_cmpx_ne_u16_e32 0, v4
	s_cbranch_execz .LBB305_755
; %bb.748:                              ;   in Loop: Header=BB305_11 Depth=1
	v_mov_b32_e32 v88, 0x8000
	s_mov_b32 s17, exec_lo
	v_cmpx_ne_u16_e32 0x80, v4
	s_cbranch_execz .LBB305_754
; %bb.749:                              ;   in Loop: Header=BB305_11 Depth=1
	v_and_b32_e32 v6, 0x7f, v29
	v_mov_b32_e32 v88, 0x7c01
	s_mov_b32 s18, exec_lo
	s_delay_alu instid0(VALU_DEP_2)
	v_cmpx_ne_u32_e32 0x7f, v6
	s_cbranch_execz .LBB305_753
; %bb.750:                              ;   in Loop: Header=BB305_11 Depth=1
	v_and_b32_e32 v4, 7, v29
	v_lshrrev_b32_e32 v5, 3, v6
	s_mov_b32 s19, exec_lo
	v_cmpx_gt_u32_e32 8, v6
; %bb.751:                              ;   in Loop: Header=BB305_11 Depth=1
	s_delay_alu instid0(VALU_DEP_3) | instskip(NEXT) | instid1(VALU_DEP_1)
	v_clz_i32_u32_e32 v4, v4
	v_min_u32_e32 v6, 32, v4
	s_delay_alu instid0(VALU_DEP_1) | instskip(NEXT) | instid1(VALU_DEP_1)
	v_subrev_nc_u32_e32 v4, 28, v6
	v_lshlrev_b64_e32 v[4:5], v4, v[8:9]
	v_sub_nc_u32_e32 v5, 29, v6
	s_delay_alu instid0(VALU_DEP_2)
	v_and_b32_e32 v4, 7, v4
; %bb.752:                              ;   in Loop: Header=BB305_11 Depth=1
	s_wait_alu 0xfffe
	s_or_b32 exec_lo, exec_lo, s19
	v_lshlrev_b32_e32 v6, 8, v29
	v_lshl_add_u32 v5, v5, 10, 0x2000
	v_lshlrev_b32_e32 v4, 7, v4
	s_delay_alu instid0(VALU_DEP_3) | instskip(NEXT) | instid1(VALU_DEP_3)
	v_and_b32_e32 v6, 0x8000, v6
	v_and_b32_e32 v5, 0xfc00, v5
	s_delay_alu instid0(VALU_DEP_1)
	v_or3_b32 v88, v6, v5, v4
.LBB305_753:                            ;   in Loop: Header=BB305_11 Depth=1
	s_wait_alu 0xfffe
	s_or_b32 exec_lo, exec_lo, s18
.LBB305_754:                            ;   in Loop: Header=BB305_11 Depth=1
	s_wait_alu 0xfffe
	s_or_b32 exec_lo, exec_lo, s17
.LBB305_755:                            ;   in Loop: Header=BB305_11 Depth=1
	s_wait_alu 0xfffe
	s_or_b32 exec_lo, exec_lo, s2
	v_lshrrev_b16 v8, 8, v8
	v_dual_mov_b32 v91, 0 :: v_dual_mov_b32 v92, 0
	s_mov_b32 s2, exec_lo
	s_delay_alu instid0(VALU_DEP_2)
	v_cmpx_ne_u16_e32 0, v8
	s_cbranch_execz .LBB305_763
; %bb.756:                              ;   in Loop: Header=BB305_11 Depth=1
	v_bfrev_b32_e32 v92, 1
	s_mov_b32 s17, exec_lo
	v_cmpx_ne_u16_e32 0x80, v8
	s_cbranch_execz .LBB305_762
; %bb.757:                              ;   in Loop: Header=BB305_11 Depth=1
	v_and_b32_e32 v4, 0xffff, v8
	v_mov_b32_e32 v92, 0x7c010000
	s_mov_b32 s18, exec_lo
	s_delay_alu instid0(VALU_DEP_2) | instskip(NEXT) | instid1(VALU_DEP_1)
	v_and_b32_e32 v7, 0x7f, v4
	v_cmpx_ne_u32_e32 0x7f, v7
	s_cbranch_execz .LBB305_761
; %bb.758:                              ;   in Loop: Header=BB305_11 Depth=1
	v_and_b32_e32 v5, 7, v4
	v_lshrrev_b32_e32 v6, 3, v7
	s_mov_b32 s19, exec_lo
	v_cmpx_gt_u32_e32 8, v7
; %bb.759:                              ;   in Loop: Header=BB305_11 Depth=1
	s_delay_alu instid0(VALU_DEP_3) | instskip(NEXT) | instid1(VALU_DEP_1)
	v_clz_i32_u32_e32 v5, v5
	v_min_u32_e32 v7, 32, v5
	s_delay_alu instid0(VALU_DEP_1) | instskip(NEXT) | instid1(VALU_DEP_1)
	v_subrev_nc_u32_e32 v5, 28, v7
	v_lshlrev_b64_e32 v[5:6], v5, v[8:9]
	v_sub_nc_u32_e32 v6, 29, v7
	s_delay_alu instid0(VALU_DEP_2)
	v_and_b32_e32 v5, 7, v5
; %bb.760:                              ;   in Loop: Header=BB305_11 Depth=1
	s_wait_alu 0xfffe
	s_or_b32 exec_lo, exec_lo, s19
	v_lshlrev_b32_e32 v4, 8, v4
	v_lshl_add_u32 v6, v6, 10, 0x2000
	v_lshlrev_b32_e32 v5, 23, v5
	s_delay_alu instid0(VALU_DEP_2) | instskip(NEXT) | instid1(VALU_DEP_1)
	v_and_or_b32 v4, 0x8000, v4, v6
	v_lshl_or_b32 v92, v4, 16, v5
.LBB305_761:                            ;   in Loop: Header=BB305_11 Depth=1
	s_wait_alu 0xfffe
	s_or_b32 exec_lo, exec_lo, s18
.LBB305_762:                            ;   in Loop: Header=BB305_11 Depth=1
	s_wait_alu 0xfffe
	s_or_b32 exec_lo, exec_lo, s17
.LBB305_763:                            ;   in Loop: Header=BB305_11 Depth=1
	s_wait_alu 0xfffe
	s_or_b32 exec_lo, exec_lo, s2
	v_lshrrev_b32_e32 v8, 16, v29
	s_mov_b32 s2, exec_lo
	s_delay_alu instid0(VALU_DEP_1) | instskip(NEXT) | instid1(VALU_DEP_1)
	v_and_b32_e32 v4, 0xff, v8
	v_cmpx_ne_u16_e32 0, v4
	s_cbranch_execz .LBB305_771
; %bb.764:                              ;   in Loop: Header=BB305_11 Depth=1
	v_mov_b32_e32 v91, 0x8000
	s_mov_b32 s17, exec_lo
	v_cmpx_ne_u16_e32 0x80, v4
	s_cbranch_execz .LBB305_770
; %bb.765:                              ;   in Loop: Header=BB305_11 Depth=1
	v_bfe_u32 v6, v29, 16, 7
	v_mov_b32_e32 v91, 0x7c01
	s_mov_b32 s18, exec_lo
	s_delay_alu instid0(VALU_DEP_2)
	v_cmpx_ne_u32_e32 0x7f, v6
	s_cbranch_execz .LBB305_769
; %bb.766:                              ;   in Loop: Header=BB305_11 Depth=1
	v_and_b32_e32 v4, 7, v8
	v_lshrrev_b32_e32 v5, 3, v6
	s_mov_b32 s19, exec_lo
	v_cmpx_gt_u32_e32 8, v6
; %bb.767:                              ;   in Loop: Header=BB305_11 Depth=1
	s_delay_alu instid0(VALU_DEP_3) | instskip(NEXT) | instid1(VALU_DEP_1)
	v_clz_i32_u32_e32 v4, v4
	v_min_u32_e32 v6, 32, v4
	s_delay_alu instid0(VALU_DEP_1) | instskip(NEXT) | instid1(VALU_DEP_1)
	v_subrev_nc_u32_e32 v4, 28, v6
	v_lshlrev_b64_e32 v[4:5], v4, v[8:9]
	v_sub_nc_u32_e32 v5, 29, v6
	s_delay_alu instid0(VALU_DEP_2)
	v_and_b32_e32 v4, 7, v4
; %bb.768:                              ;   in Loop: Header=BB305_11 Depth=1
	s_wait_alu 0xfffe
	s_or_b32 exec_lo, exec_lo, s19
	v_lshlrev_b32_e32 v6, 8, v8
	v_lshl_add_u32 v5, v5, 10, 0x2000
	v_lshlrev_b32_e32 v4, 7, v4
	s_delay_alu instid0(VALU_DEP_3) | instskip(NEXT) | instid1(VALU_DEP_3)
	v_and_b32_e32 v6, 0x8000, v6
	v_and_b32_e32 v5, 0xfc00, v5
	s_delay_alu instid0(VALU_DEP_1)
	v_or3_b32 v91, v6, v5, v4
.LBB305_769:                            ;   in Loop: Header=BB305_11 Depth=1
	s_wait_alu 0xfffe
	s_or_b32 exec_lo, exec_lo, s18
.LBB305_770:                            ;   in Loop: Header=BB305_11 Depth=1
	s_wait_alu 0xfffe
	s_or_b32 exec_lo, exec_lo, s17
.LBB305_771:                            ;   in Loop: Header=BB305_11 Depth=1
	s_wait_alu 0xfffe
	s_or_b32 exec_lo, exec_lo, s2
	v_mov_b32_e32 v95, 0
	v_mov_b32_e32 v89, 0
	s_mov_b32 s2, exec_lo
	v_cmpx_lt_u64_e64 s[8:9], v[28:29]
	s_cbranch_execz .LBB305_779
; %bb.772:                              ;   in Loop: Header=BB305_11 Depth=1
	v_lshrrev_b32_e32 v8, 24, v29
	v_bfrev_b32_e32 v89, 1
	s_mov_b32 s17, exec_lo
	s_delay_alu instid0(VALU_DEP_2)
	v_cmpx_ne_u32_e32 0x80, v8
	s_cbranch_execz .LBB305_778
; %bb.773:                              ;   in Loop: Header=BB305_11 Depth=1
	v_and_b32_e32 v6, 0x7f, v8
	v_mov_b32_e32 v89, 0x7c010000
	s_mov_b32 s18, exec_lo
	s_delay_alu instid0(VALU_DEP_2)
	v_cmpx_ne_u32_e32 0x7f, v6
	s_cbranch_execz .LBB305_777
; %bb.774:                              ;   in Loop: Header=BB305_11 Depth=1
	v_and_b32_e32 v4, 7, v8
	v_lshrrev_b32_e32 v5, 3, v6
	s_mov_b32 s19, exec_lo
	v_cmpx_gt_u32_e32 8, v6
; %bb.775:                              ;   in Loop: Header=BB305_11 Depth=1
	s_delay_alu instid0(VALU_DEP_3) | instskip(NEXT) | instid1(VALU_DEP_1)
	v_clz_i32_u32_e32 v4, v4
	v_min_u32_e32 v6, 32, v4
	s_delay_alu instid0(VALU_DEP_1) | instskip(NEXT) | instid1(VALU_DEP_1)
	v_subrev_nc_u32_e32 v4, 28, v6
	v_lshlrev_b64_e32 v[4:5], v4, v[8:9]
	v_sub_nc_u32_e32 v5, 29, v6
	s_delay_alu instid0(VALU_DEP_2)
	v_and_b32_e32 v4, 7, v4
; %bb.776:                              ;   in Loop: Header=BB305_11 Depth=1
	s_wait_alu 0xfffe
	s_or_b32 exec_lo, exec_lo, s19
	v_lshlrev_b32_e32 v6, 8, v8
	v_lshl_add_u32 v5, v5, 10, 0x2000
	v_lshlrev_b32_e32 v4, 23, v4
	s_delay_alu instid0(VALU_DEP_2) | instskip(NEXT) | instid1(VALU_DEP_1)
	v_and_or_b32 v5, 0x8000, v6, v5
	v_lshl_or_b32 v89, v5, 16, v4
.LBB305_777:                            ;   in Loop: Header=BB305_11 Depth=1
	s_wait_alu 0xfffe
	s_or_b32 exec_lo, exec_lo, s18
.LBB305_778:                            ;   in Loop: Header=BB305_11 Depth=1
	s_wait_alu 0xfffe
	s_or_b32 exec_lo, exec_lo, s17
.LBB305_779:                            ;   in Loop: Header=BB305_11 Depth=1
	s_wait_alu 0xfffe
	s_or_b32 exec_lo, exec_lo, s2
	flat_load_b64 v[28:29], v[20:21] offset:3072
	s_mov_b32 s2, exec_lo
	s_wait_loadcnt_dscnt 0x0
	v_and_b32_e32 v4, 0xff, v28
	s_delay_alu instid0(VALU_DEP_1)
	v_cmpx_ne_u16_e32 0, v4
	s_cbranch_execz .LBB305_787
; %bb.780:                              ;   in Loop: Header=BB305_11 Depth=1
	v_mov_b32_e32 v95, 0x8000
	s_mov_b32 s17, exec_lo
	v_cmpx_ne_u16_e32 0x80, v4
	s_cbranch_execz .LBB305_786
; %bb.781:                              ;   in Loop: Header=BB305_11 Depth=1
	v_and_b32_e32 v6, 0x7f, v28
	v_mov_b32_e32 v95, 0x7c01
	s_mov_b32 s18, exec_lo
	s_delay_alu instid0(VALU_DEP_2)
	v_cmpx_ne_u32_e32 0x7f, v6
	s_cbranch_execz .LBB305_785
; %bb.782:                              ;   in Loop: Header=BB305_11 Depth=1
	v_and_b32_e32 v4, 7, v28
	v_lshrrev_b32_e32 v5, 3, v6
	s_mov_b32 s19, exec_lo
	v_cmpx_gt_u32_e32 8, v6
; %bb.783:                              ;   in Loop: Header=BB305_11 Depth=1
	s_delay_alu instid0(VALU_DEP_3) | instskip(NEXT) | instid1(VALU_DEP_1)
	v_clz_i32_u32_e32 v4, v4
	v_min_u32_e32 v6, 32, v4
	s_delay_alu instid0(VALU_DEP_1) | instskip(NEXT) | instid1(VALU_DEP_1)
	v_subrev_nc_u32_e32 v4, 28, v6
	v_lshlrev_b64_e32 v[4:5], v4, v[28:29]
	v_sub_nc_u32_e32 v5, 29, v6
	s_delay_alu instid0(VALU_DEP_2)
	v_and_b32_e32 v4, 7, v4
; %bb.784:                              ;   in Loop: Header=BB305_11 Depth=1
	s_wait_alu 0xfffe
	s_or_b32 exec_lo, exec_lo, s19
	v_lshlrev_b32_e32 v6, 8, v28
	v_lshl_add_u32 v5, v5, 10, 0x2000
	v_lshlrev_b32_e32 v4, 7, v4
	s_delay_alu instid0(VALU_DEP_3) | instskip(NEXT) | instid1(VALU_DEP_3)
	v_and_b32_e32 v6, 0x8000, v6
	v_and_b32_e32 v5, 0xfc00, v5
	s_delay_alu instid0(VALU_DEP_1)
	v_or3_b32 v95, v6, v5, v4
.LBB305_785:                            ;   in Loop: Header=BB305_11 Depth=1
	s_wait_alu 0xfffe
	s_or_b32 exec_lo, exec_lo, s18
.LBB305_786:                            ;   in Loop: Header=BB305_11 Depth=1
	s_wait_alu 0xfffe
	s_or_b32 exec_lo, exec_lo, s17
.LBB305_787:                            ;   in Loop: Header=BB305_11 Depth=1
	s_wait_alu 0xfffe
	s_or_b32 exec_lo, exec_lo, s2
	v_lshrrev_b16 v8, 8, v28
	v_mov_b32_e32 v106, 0
	v_mov_b32_e32 v94, 0
	s_mov_b32 s2, exec_lo
	s_delay_alu instid0(VALU_DEP_3)
	v_cmpx_ne_u16_e32 0, v8
	s_cbranch_execz .LBB305_795
; %bb.788:                              ;   in Loop: Header=BB305_11 Depth=1
	v_bfrev_b32_e32 v94, 1
	s_mov_b32 s17, exec_lo
	v_cmpx_ne_u16_e32 0x80, v8
	s_cbranch_execz .LBB305_794
; %bb.789:                              ;   in Loop: Header=BB305_11 Depth=1
	v_and_b32_e32 v4, 0xffff, v8
	v_mov_b32_e32 v94, 0x7c010000
	s_mov_b32 s18, exec_lo
	s_delay_alu instid0(VALU_DEP_2) | instskip(NEXT) | instid1(VALU_DEP_1)
	v_and_b32_e32 v7, 0x7f, v4
	v_cmpx_ne_u32_e32 0x7f, v7
	s_cbranch_execz .LBB305_793
; %bb.790:                              ;   in Loop: Header=BB305_11 Depth=1
	v_and_b32_e32 v5, 7, v4
	v_lshrrev_b32_e32 v6, 3, v7
	s_mov_b32 s19, exec_lo
	v_cmpx_gt_u32_e32 8, v7
; %bb.791:                              ;   in Loop: Header=BB305_11 Depth=1
	s_delay_alu instid0(VALU_DEP_3) | instskip(NEXT) | instid1(VALU_DEP_1)
	v_clz_i32_u32_e32 v5, v5
	v_min_u32_e32 v7, 32, v5
	s_delay_alu instid0(VALU_DEP_1) | instskip(NEXT) | instid1(VALU_DEP_1)
	v_subrev_nc_u32_e32 v5, 28, v7
	v_lshlrev_b64_e32 v[5:6], v5, v[8:9]
	v_sub_nc_u32_e32 v6, 29, v7
	s_delay_alu instid0(VALU_DEP_2)
	v_and_b32_e32 v5, 7, v5
; %bb.792:                              ;   in Loop: Header=BB305_11 Depth=1
	s_wait_alu 0xfffe
	s_or_b32 exec_lo, exec_lo, s19
	v_lshlrev_b32_e32 v4, 8, v4
	v_lshl_add_u32 v6, v6, 10, 0x2000
	v_lshlrev_b32_e32 v5, 23, v5
	s_delay_alu instid0(VALU_DEP_2) | instskip(NEXT) | instid1(VALU_DEP_1)
	v_and_or_b32 v4, 0x8000, v4, v6
	v_lshl_or_b32 v94, v4, 16, v5
.LBB305_793:                            ;   in Loop: Header=BB305_11 Depth=1
	s_wait_alu 0xfffe
	s_or_b32 exec_lo, exec_lo, s18
.LBB305_794:                            ;   in Loop: Header=BB305_11 Depth=1
	s_wait_alu 0xfffe
	s_or_b32 exec_lo, exec_lo, s17
.LBB305_795:                            ;   in Loop: Header=BB305_11 Depth=1
	s_wait_alu 0xfffe
	s_or_b32 exec_lo, exec_lo, s2
	v_lshrrev_b32_e32 v8, 16, v28
	s_mov_b32 s2, exec_lo
	s_delay_alu instid0(VALU_DEP_1) | instskip(NEXT) | instid1(VALU_DEP_1)
	v_and_b32_e32 v4, 0xff, v8
	v_cmpx_ne_u16_e32 0, v4
	s_cbranch_execz .LBB305_803
; %bb.796:                              ;   in Loop: Header=BB305_11 Depth=1
	v_mov_b32_e32 v106, 0x8000
	s_mov_b32 s17, exec_lo
	v_cmpx_ne_u16_e32 0x80, v4
	s_cbranch_execz .LBB305_802
; %bb.797:                              ;   in Loop: Header=BB305_11 Depth=1
	v_bfe_u32 v6, v28, 16, 7
	v_mov_b32_e32 v106, 0x7c01
	s_mov_b32 s18, exec_lo
	s_delay_alu instid0(VALU_DEP_2)
	v_cmpx_ne_u32_e32 0x7f, v6
	s_cbranch_execz .LBB305_801
; %bb.798:                              ;   in Loop: Header=BB305_11 Depth=1
	v_and_b32_e32 v4, 7, v8
	v_lshrrev_b32_e32 v5, 3, v6
	s_mov_b32 s19, exec_lo
	v_cmpx_gt_u32_e32 8, v6
; %bb.799:                              ;   in Loop: Header=BB305_11 Depth=1
	s_delay_alu instid0(VALU_DEP_3) | instskip(NEXT) | instid1(VALU_DEP_1)
	v_clz_i32_u32_e32 v4, v4
	v_min_u32_e32 v6, 32, v4
	s_delay_alu instid0(VALU_DEP_1) | instskip(NEXT) | instid1(VALU_DEP_1)
	v_subrev_nc_u32_e32 v4, 28, v6
	v_lshlrev_b64_e32 v[4:5], v4, v[8:9]
	v_sub_nc_u32_e32 v5, 29, v6
	s_delay_alu instid0(VALU_DEP_2)
	v_and_b32_e32 v4, 7, v4
; %bb.800:                              ;   in Loop: Header=BB305_11 Depth=1
	s_wait_alu 0xfffe
	s_or_b32 exec_lo, exec_lo, s19
	v_lshlrev_b32_e32 v6, 8, v8
	v_lshl_add_u32 v5, v5, 10, 0x2000
	v_lshlrev_b32_e32 v4, 7, v4
	s_delay_alu instid0(VALU_DEP_3) | instskip(NEXT) | instid1(VALU_DEP_3)
	v_and_b32_e32 v6, 0x8000, v6
	v_and_b32_e32 v5, 0xfc00, v5
	s_delay_alu instid0(VALU_DEP_1)
	v_or3_b32 v106, v6, v5, v4
.LBB305_801:                            ;   in Loop: Header=BB305_11 Depth=1
	s_wait_alu 0xfffe
	s_or_b32 exec_lo, exec_lo, s18
.LBB305_802:                            ;   in Loop: Header=BB305_11 Depth=1
	s_wait_alu 0xfffe
	s_or_b32 exec_lo, exec_lo, s17
.LBB305_803:                            ;   in Loop: Header=BB305_11 Depth=1
	s_wait_alu 0xfffe
	s_or_b32 exec_lo, exec_lo, s2
	v_mov_b32_e32 v104, 0
	v_mov_b32_e32 v110, 0
	s_mov_b32 s2, exec_lo
	v_cmpx_lt_u32_e32 0xffffff, v28
	s_cbranch_execz .LBB305_811
; %bb.804:                              ;   in Loop: Header=BB305_11 Depth=1
	v_lshrrev_b32_e32 v8, 24, v28
	v_bfrev_b32_e32 v110, 1
	s_mov_b32 s17, exec_lo
	s_delay_alu instid0(VALU_DEP_2)
	v_cmpx_ne_u32_e32 0x80, v8
	s_cbranch_execz .LBB305_810
; %bb.805:                              ;   in Loop: Header=BB305_11 Depth=1
	v_and_b32_e32 v6, 0x7f, v8
	v_mov_b32_e32 v110, 0x7c010000
	s_mov_b32 s18, exec_lo
	s_delay_alu instid0(VALU_DEP_2)
	v_cmpx_ne_u32_e32 0x7f, v6
	s_cbranch_execz .LBB305_809
; %bb.806:                              ;   in Loop: Header=BB305_11 Depth=1
	v_and_b32_e32 v4, 7, v8
	v_lshrrev_b32_e32 v5, 3, v6
	s_mov_b32 s19, exec_lo
	v_cmpx_gt_u32_e32 8, v6
; %bb.807:                              ;   in Loop: Header=BB305_11 Depth=1
	s_delay_alu instid0(VALU_DEP_3) | instskip(NEXT) | instid1(VALU_DEP_1)
	v_clz_i32_u32_e32 v4, v4
	v_min_u32_e32 v6, 32, v4
	s_delay_alu instid0(VALU_DEP_1) | instskip(NEXT) | instid1(VALU_DEP_1)
	v_subrev_nc_u32_e32 v4, 28, v6
	v_lshlrev_b64_e32 v[4:5], v4, v[8:9]
	v_sub_nc_u32_e32 v5, 29, v6
	s_delay_alu instid0(VALU_DEP_2)
	v_and_b32_e32 v4, 7, v4
; %bb.808:                              ;   in Loop: Header=BB305_11 Depth=1
	s_wait_alu 0xfffe
	s_or_b32 exec_lo, exec_lo, s19
	v_lshlrev_b32_e32 v6, 8, v8
	v_lshl_add_u32 v5, v5, 10, 0x2000
	v_lshlrev_b32_e32 v4, 23, v4
	s_delay_alu instid0(VALU_DEP_2) | instskip(NEXT) | instid1(VALU_DEP_1)
	v_and_or_b32 v5, 0x8000, v6, v5
	v_lshl_or_b32 v110, v5, 16, v4
.LBB305_809:                            ;   in Loop: Header=BB305_11 Depth=1
	s_wait_alu 0xfffe
	s_or_b32 exec_lo, exec_lo, s18
.LBB305_810:                            ;   in Loop: Header=BB305_11 Depth=1
	s_wait_alu 0xfffe
	s_or_b32 exec_lo, exec_lo, s17
.LBB305_811:                            ;   in Loop: Header=BB305_11 Depth=1
	s_wait_alu 0xfffe
	s_or_b32 exec_lo, exec_lo, s2
	v_and_b32_e32 v4, 0xff, v29
	v_mov_b32_e32 v8, v29
	s_mov_b32 s2, exec_lo
	s_delay_alu instid0(VALU_DEP_2)
	v_cmpx_ne_u16_e32 0, v4
	s_cbranch_execz .LBB305_819
; %bb.812:                              ;   in Loop: Header=BB305_11 Depth=1
	v_mov_b32_e32 v104, 0x8000
	s_mov_b32 s17, exec_lo
	v_cmpx_ne_u16_e32 0x80, v4
	s_cbranch_execz .LBB305_818
; %bb.813:                              ;   in Loop: Header=BB305_11 Depth=1
	v_and_b32_e32 v6, 0x7f, v29
	v_mov_b32_e32 v104, 0x7c01
	s_mov_b32 s18, exec_lo
	s_delay_alu instid0(VALU_DEP_2)
	v_cmpx_ne_u32_e32 0x7f, v6
	s_cbranch_execz .LBB305_817
; %bb.814:                              ;   in Loop: Header=BB305_11 Depth=1
	v_and_b32_e32 v4, 7, v29
	v_lshrrev_b32_e32 v5, 3, v6
	s_mov_b32 s19, exec_lo
	v_cmpx_gt_u32_e32 8, v6
; %bb.815:                              ;   in Loop: Header=BB305_11 Depth=1
	s_delay_alu instid0(VALU_DEP_3) | instskip(NEXT) | instid1(VALU_DEP_1)
	v_clz_i32_u32_e32 v4, v4
	v_min_u32_e32 v6, 32, v4
	s_delay_alu instid0(VALU_DEP_1) | instskip(NEXT) | instid1(VALU_DEP_1)
	v_subrev_nc_u32_e32 v4, 28, v6
	v_lshlrev_b64_e32 v[4:5], v4, v[8:9]
	v_sub_nc_u32_e32 v5, 29, v6
	s_delay_alu instid0(VALU_DEP_2)
	v_and_b32_e32 v4, 7, v4
; %bb.816:                              ;   in Loop: Header=BB305_11 Depth=1
	s_wait_alu 0xfffe
	s_or_b32 exec_lo, exec_lo, s19
	v_lshlrev_b32_e32 v6, 8, v29
	v_lshl_add_u32 v5, v5, 10, 0x2000
	v_lshlrev_b32_e32 v4, 7, v4
	s_delay_alu instid0(VALU_DEP_3) | instskip(NEXT) | instid1(VALU_DEP_3)
	v_and_b32_e32 v6, 0x8000, v6
	v_and_b32_e32 v5, 0xfc00, v5
	s_delay_alu instid0(VALU_DEP_1)
	v_or3_b32 v104, v6, v5, v4
.LBB305_817:                            ;   in Loop: Header=BB305_11 Depth=1
	s_wait_alu 0xfffe
	s_or_b32 exec_lo, exec_lo, s18
.LBB305_818:                            ;   in Loop: Header=BB305_11 Depth=1
	s_wait_alu 0xfffe
	s_or_b32 exec_lo, exec_lo, s17
.LBB305_819:                            ;   in Loop: Header=BB305_11 Depth=1
	s_wait_alu 0xfffe
	s_or_b32 exec_lo, exec_lo, s2
	v_lshrrev_b16 v8, 8, v8
	v_dual_mov_b32 v108, 0 :: v_dual_mov_b32 v109, 0
	s_mov_b32 s2, exec_lo
	s_delay_alu instid0(VALU_DEP_2)
	v_cmpx_ne_u16_e32 0, v8
	s_cbranch_execz .LBB305_827
; %bb.820:                              ;   in Loop: Header=BB305_11 Depth=1
	v_bfrev_b32_e32 v109, 1
	s_mov_b32 s17, exec_lo
	v_cmpx_ne_u16_e32 0x80, v8
	s_cbranch_execz .LBB305_826
; %bb.821:                              ;   in Loop: Header=BB305_11 Depth=1
	v_and_b32_e32 v4, 0xffff, v8
	v_mov_b32_e32 v109, 0x7c010000
	s_mov_b32 s18, exec_lo
	s_delay_alu instid0(VALU_DEP_2) | instskip(NEXT) | instid1(VALU_DEP_1)
	v_and_b32_e32 v7, 0x7f, v4
	v_cmpx_ne_u32_e32 0x7f, v7
	s_cbranch_execz .LBB305_825
; %bb.822:                              ;   in Loop: Header=BB305_11 Depth=1
	v_and_b32_e32 v5, 7, v4
	v_lshrrev_b32_e32 v6, 3, v7
	s_mov_b32 s19, exec_lo
	v_cmpx_gt_u32_e32 8, v7
; %bb.823:                              ;   in Loop: Header=BB305_11 Depth=1
	s_delay_alu instid0(VALU_DEP_3) | instskip(NEXT) | instid1(VALU_DEP_1)
	v_clz_i32_u32_e32 v5, v5
	v_min_u32_e32 v7, 32, v5
	s_delay_alu instid0(VALU_DEP_1) | instskip(NEXT) | instid1(VALU_DEP_1)
	v_subrev_nc_u32_e32 v5, 28, v7
	v_lshlrev_b64_e32 v[5:6], v5, v[8:9]
	v_sub_nc_u32_e32 v6, 29, v7
	s_delay_alu instid0(VALU_DEP_2)
	v_and_b32_e32 v5, 7, v5
; %bb.824:                              ;   in Loop: Header=BB305_11 Depth=1
	s_wait_alu 0xfffe
	s_or_b32 exec_lo, exec_lo, s19
	v_lshlrev_b32_e32 v4, 8, v4
	v_lshl_add_u32 v6, v6, 10, 0x2000
	v_lshlrev_b32_e32 v5, 23, v5
	s_delay_alu instid0(VALU_DEP_2) | instskip(NEXT) | instid1(VALU_DEP_1)
	v_and_or_b32 v4, 0x8000, v4, v6
	v_lshl_or_b32 v109, v4, 16, v5
.LBB305_825:                            ;   in Loop: Header=BB305_11 Depth=1
	s_wait_alu 0xfffe
	s_or_b32 exec_lo, exec_lo, s18
.LBB305_826:                            ;   in Loop: Header=BB305_11 Depth=1
	s_wait_alu 0xfffe
	s_or_b32 exec_lo, exec_lo, s17
.LBB305_827:                            ;   in Loop: Header=BB305_11 Depth=1
	s_wait_alu 0xfffe
	s_or_b32 exec_lo, exec_lo, s2
	v_lshrrev_b32_e32 v8, 16, v29
	s_mov_b32 s2, exec_lo
	s_delay_alu instid0(VALU_DEP_1) | instskip(NEXT) | instid1(VALU_DEP_1)
	v_and_b32_e32 v4, 0xff, v8
	v_cmpx_ne_u16_e32 0, v4
	s_cbranch_execz .LBB305_835
; %bb.828:                              ;   in Loop: Header=BB305_11 Depth=1
	v_mov_b32_e32 v108, 0x8000
	s_mov_b32 s17, exec_lo
	v_cmpx_ne_u16_e32 0x80, v4
	s_cbranch_execz .LBB305_834
; %bb.829:                              ;   in Loop: Header=BB305_11 Depth=1
	v_bfe_u32 v6, v29, 16, 7
	v_mov_b32_e32 v108, 0x7c01
	s_mov_b32 s18, exec_lo
	s_delay_alu instid0(VALU_DEP_2)
	v_cmpx_ne_u32_e32 0x7f, v6
	s_cbranch_execz .LBB305_833
; %bb.830:                              ;   in Loop: Header=BB305_11 Depth=1
	v_and_b32_e32 v4, 7, v8
	v_lshrrev_b32_e32 v5, 3, v6
	s_mov_b32 s19, exec_lo
	v_cmpx_gt_u32_e32 8, v6
; %bb.831:                              ;   in Loop: Header=BB305_11 Depth=1
	s_delay_alu instid0(VALU_DEP_3) | instskip(NEXT) | instid1(VALU_DEP_1)
	v_clz_i32_u32_e32 v4, v4
	v_min_u32_e32 v6, 32, v4
	s_delay_alu instid0(VALU_DEP_1) | instskip(NEXT) | instid1(VALU_DEP_1)
	v_subrev_nc_u32_e32 v4, 28, v6
	v_lshlrev_b64_e32 v[4:5], v4, v[8:9]
	v_sub_nc_u32_e32 v5, 29, v6
	s_delay_alu instid0(VALU_DEP_2)
	v_and_b32_e32 v4, 7, v4
; %bb.832:                              ;   in Loop: Header=BB305_11 Depth=1
	s_wait_alu 0xfffe
	s_or_b32 exec_lo, exec_lo, s19
	v_lshlrev_b32_e32 v6, 8, v8
	v_lshl_add_u32 v5, v5, 10, 0x2000
	v_lshlrev_b32_e32 v4, 7, v4
	s_delay_alu instid0(VALU_DEP_3) | instskip(NEXT) | instid1(VALU_DEP_3)
	v_and_b32_e32 v6, 0x8000, v6
	v_and_b32_e32 v5, 0xfc00, v5
	s_delay_alu instid0(VALU_DEP_1)
	v_or3_b32 v108, v6, v5, v4
.LBB305_833:                            ;   in Loop: Header=BB305_11 Depth=1
	s_wait_alu 0xfffe
	s_or_b32 exec_lo, exec_lo, s18
.LBB305_834:                            ;   in Loop: Header=BB305_11 Depth=1
	s_wait_alu 0xfffe
	s_or_b32 exec_lo, exec_lo, s17
.LBB305_835:                            ;   in Loop: Header=BB305_11 Depth=1
	s_wait_alu 0xfffe
	s_or_b32 exec_lo, exec_lo, s2
	v_dual_mov_b32 v124, 0 :: v_dual_mov_b32 v105, 0
	s_mov_b32 s2, exec_lo
	v_cmpx_lt_u64_e64 s[8:9], v[28:29]
	s_cbranch_execz .LBB305_843
; %bb.836:                              ;   in Loop: Header=BB305_11 Depth=1
	v_lshrrev_b32_e32 v8, 24, v29
	v_bfrev_b32_e32 v105, 1
	s_mov_b32 s17, exec_lo
	s_delay_alu instid0(VALU_DEP_2)
	v_cmpx_ne_u32_e32 0x80, v8
	s_cbranch_execz .LBB305_842
; %bb.837:                              ;   in Loop: Header=BB305_11 Depth=1
	v_and_b32_e32 v6, 0x7f, v8
	v_mov_b32_e32 v105, 0x7c010000
	s_mov_b32 s18, exec_lo
	s_delay_alu instid0(VALU_DEP_2)
	v_cmpx_ne_u32_e32 0x7f, v6
	s_cbranch_execz .LBB305_841
; %bb.838:                              ;   in Loop: Header=BB305_11 Depth=1
	v_and_b32_e32 v4, 7, v8
	v_lshrrev_b32_e32 v5, 3, v6
	s_mov_b32 s19, exec_lo
	v_cmpx_gt_u32_e32 8, v6
; %bb.839:                              ;   in Loop: Header=BB305_11 Depth=1
	s_delay_alu instid0(VALU_DEP_3) | instskip(NEXT) | instid1(VALU_DEP_1)
	v_clz_i32_u32_e32 v4, v4
	v_min_u32_e32 v6, 32, v4
	s_delay_alu instid0(VALU_DEP_1) | instskip(NEXT) | instid1(VALU_DEP_1)
	v_subrev_nc_u32_e32 v4, 28, v6
	v_lshlrev_b64_e32 v[4:5], v4, v[8:9]
	v_sub_nc_u32_e32 v5, 29, v6
	s_delay_alu instid0(VALU_DEP_2)
	v_and_b32_e32 v4, 7, v4
; %bb.840:                              ;   in Loop: Header=BB305_11 Depth=1
	s_wait_alu 0xfffe
	s_or_b32 exec_lo, exec_lo, s19
	v_lshlrev_b32_e32 v6, 8, v8
	v_lshl_add_u32 v5, v5, 10, 0x2000
	v_lshlrev_b32_e32 v4, 23, v4
	s_delay_alu instid0(VALU_DEP_2) | instskip(NEXT) | instid1(VALU_DEP_1)
	v_and_or_b32 v5, 0x8000, v6, v5
	v_lshl_or_b32 v105, v5, 16, v4
.LBB305_841:                            ;   in Loop: Header=BB305_11 Depth=1
	s_wait_alu 0xfffe
	s_or_b32 exec_lo, exec_lo, s18
.LBB305_842:                            ;   in Loop: Header=BB305_11 Depth=1
	s_wait_alu 0xfffe
	s_or_b32 exec_lo, exec_lo, s17
.LBB305_843:                            ;   in Loop: Header=BB305_11 Depth=1
	s_wait_alu 0xfffe
	s_or_b32 exec_lo, exec_lo, s2
	flat_load_b64 v[28:29], v[20:21] offset:3080
	s_mov_b32 s2, exec_lo
	s_wait_loadcnt_dscnt 0x0
	v_and_b32_e32 v4, 0xff, v28
	s_delay_alu instid0(VALU_DEP_1)
	v_cmpx_ne_u16_e32 0, v4
	s_cbranch_execz .LBB305_851
; %bb.844:                              ;   in Loop: Header=BB305_11 Depth=1
	v_mov_b32_e32 v124, 0x8000
	s_mov_b32 s17, exec_lo
	v_cmpx_ne_u16_e32 0x80, v4
	s_cbranch_execz .LBB305_850
; %bb.845:                              ;   in Loop: Header=BB305_11 Depth=1
	v_and_b32_e32 v6, 0x7f, v28
	v_mov_b32_e32 v124, 0x7c01
	s_mov_b32 s18, exec_lo
	s_delay_alu instid0(VALU_DEP_2)
	v_cmpx_ne_u32_e32 0x7f, v6
	s_cbranch_execz .LBB305_849
; %bb.846:                              ;   in Loop: Header=BB305_11 Depth=1
	v_and_b32_e32 v4, 7, v28
	v_lshrrev_b32_e32 v5, 3, v6
	s_mov_b32 s19, exec_lo
	v_cmpx_gt_u32_e32 8, v6
; %bb.847:                              ;   in Loop: Header=BB305_11 Depth=1
	s_delay_alu instid0(VALU_DEP_3) | instskip(NEXT) | instid1(VALU_DEP_1)
	v_clz_i32_u32_e32 v4, v4
	v_min_u32_e32 v6, 32, v4
	s_delay_alu instid0(VALU_DEP_1) | instskip(NEXT) | instid1(VALU_DEP_1)
	v_subrev_nc_u32_e32 v4, 28, v6
	v_lshlrev_b64_e32 v[4:5], v4, v[28:29]
	v_sub_nc_u32_e32 v5, 29, v6
	s_delay_alu instid0(VALU_DEP_2)
	v_and_b32_e32 v4, 7, v4
; %bb.848:                              ;   in Loop: Header=BB305_11 Depth=1
	s_wait_alu 0xfffe
	s_or_b32 exec_lo, exec_lo, s19
	v_lshlrev_b32_e32 v6, 8, v28
	v_lshl_add_u32 v5, v5, 10, 0x2000
	v_lshlrev_b32_e32 v4, 7, v4
	s_delay_alu instid0(VALU_DEP_3) | instskip(NEXT) | instid1(VALU_DEP_3)
	v_and_b32_e32 v6, 0x8000, v6
	v_and_b32_e32 v5, 0xfc00, v5
	s_delay_alu instid0(VALU_DEP_1)
	v_or3_b32 v124, v6, v5, v4
.LBB305_849:                            ;   in Loop: Header=BB305_11 Depth=1
	s_wait_alu 0xfffe
	s_or_b32 exec_lo, exec_lo, s18
.LBB305_850:                            ;   in Loop: Header=BB305_11 Depth=1
	s_wait_alu 0xfffe
	s_or_b32 exec_lo, exec_lo, s17
.LBB305_851:                            ;   in Loop: Header=BB305_11 Depth=1
	s_wait_alu 0xfffe
	s_or_b32 exec_lo, exec_lo, s2
	v_lshrrev_b16 v8, 8, v28
	v_dual_mov_b32 v138, 0 :: v_dual_mov_b32 v123, 0
	s_mov_b32 s2, exec_lo
	s_delay_alu instid0(VALU_DEP_2)
	v_cmpx_ne_u16_e32 0, v8
	s_cbranch_execz .LBB305_859
; %bb.852:                              ;   in Loop: Header=BB305_11 Depth=1
	v_bfrev_b32_e32 v123, 1
	s_mov_b32 s17, exec_lo
	v_cmpx_ne_u16_e32 0x80, v8
	s_cbranch_execz .LBB305_858
; %bb.853:                              ;   in Loop: Header=BB305_11 Depth=1
	v_and_b32_e32 v4, 0xffff, v8
	v_mov_b32_e32 v123, 0x7c010000
	s_mov_b32 s18, exec_lo
	s_delay_alu instid0(VALU_DEP_2) | instskip(NEXT) | instid1(VALU_DEP_1)
	v_and_b32_e32 v7, 0x7f, v4
	v_cmpx_ne_u32_e32 0x7f, v7
	s_cbranch_execz .LBB305_857
; %bb.854:                              ;   in Loop: Header=BB305_11 Depth=1
	v_and_b32_e32 v5, 7, v4
	v_lshrrev_b32_e32 v6, 3, v7
	s_mov_b32 s19, exec_lo
	v_cmpx_gt_u32_e32 8, v7
; %bb.855:                              ;   in Loop: Header=BB305_11 Depth=1
	s_delay_alu instid0(VALU_DEP_3) | instskip(NEXT) | instid1(VALU_DEP_1)
	v_clz_i32_u32_e32 v5, v5
	v_min_u32_e32 v7, 32, v5
	s_delay_alu instid0(VALU_DEP_1) | instskip(NEXT) | instid1(VALU_DEP_1)
	v_subrev_nc_u32_e32 v5, 28, v7
	v_lshlrev_b64_e32 v[5:6], v5, v[8:9]
	v_sub_nc_u32_e32 v6, 29, v7
	s_delay_alu instid0(VALU_DEP_2)
	v_and_b32_e32 v5, 7, v5
; %bb.856:                              ;   in Loop: Header=BB305_11 Depth=1
	s_wait_alu 0xfffe
	s_or_b32 exec_lo, exec_lo, s19
	v_lshlrev_b32_e32 v4, 8, v4
	v_lshl_add_u32 v6, v6, 10, 0x2000
	v_lshlrev_b32_e32 v5, 23, v5
	s_delay_alu instid0(VALU_DEP_2) | instskip(NEXT) | instid1(VALU_DEP_1)
	v_and_or_b32 v4, 0x8000, v4, v6
	v_lshl_or_b32 v123, v4, 16, v5
.LBB305_857:                            ;   in Loop: Header=BB305_11 Depth=1
	s_wait_alu 0xfffe
	s_or_b32 exec_lo, exec_lo, s18
.LBB305_858:                            ;   in Loop: Header=BB305_11 Depth=1
	s_wait_alu 0xfffe
	s_or_b32 exec_lo, exec_lo, s17
.LBB305_859:                            ;   in Loop: Header=BB305_11 Depth=1
	s_wait_alu 0xfffe
	s_or_b32 exec_lo, exec_lo, s2
	v_lshrrev_b32_e32 v8, 16, v28
	s_mov_b32 s2, exec_lo
	s_delay_alu instid0(VALU_DEP_1) | instskip(NEXT) | instid1(VALU_DEP_1)
	v_and_b32_e32 v4, 0xff, v8
	v_cmpx_ne_u16_e32 0, v4
	s_cbranch_execz .LBB305_867
; %bb.860:                              ;   in Loop: Header=BB305_11 Depth=1
	v_mov_b32_e32 v138, 0x8000
	s_mov_b32 s17, exec_lo
	v_cmpx_ne_u16_e32 0x80, v4
	s_cbranch_execz .LBB305_866
; %bb.861:                              ;   in Loop: Header=BB305_11 Depth=1
	v_bfe_u32 v6, v28, 16, 7
	v_mov_b32_e32 v138, 0x7c01
	s_mov_b32 s18, exec_lo
	s_delay_alu instid0(VALU_DEP_2)
	v_cmpx_ne_u32_e32 0x7f, v6
	s_cbranch_execz .LBB305_865
; %bb.862:                              ;   in Loop: Header=BB305_11 Depth=1
	v_and_b32_e32 v4, 7, v8
	v_lshrrev_b32_e32 v5, 3, v6
	s_mov_b32 s19, exec_lo
	v_cmpx_gt_u32_e32 8, v6
; %bb.863:                              ;   in Loop: Header=BB305_11 Depth=1
	s_delay_alu instid0(VALU_DEP_3) | instskip(NEXT) | instid1(VALU_DEP_1)
	v_clz_i32_u32_e32 v4, v4
	v_min_u32_e32 v6, 32, v4
	s_delay_alu instid0(VALU_DEP_1) | instskip(NEXT) | instid1(VALU_DEP_1)
	v_subrev_nc_u32_e32 v4, 28, v6
	v_lshlrev_b64_e32 v[4:5], v4, v[8:9]
	v_sub_nc_u32_e32 v5, 29, v6
	s_delay_alu instid0(VALU_DEP_2)
	v_and_b32_e32 v4, 7, v4
; %bb.864:                              ;   in Loop: Header=BB305_11 Depth=1
	s_wait_alu 0xfffe
	s_or_b32 exec_lo, exec_lo, s19
	v_lshlrev_b32_e32 v6, 8, v8
	v_lshl_add_u32 v5, v5, 10, 0x2000
	v_lshlrev_b32_e32 v4, 7, v4
	s_delay_alu instid0(VALU_DEP_3) | instskip(NEXT) | instid1(VALU_DEP_3)
	v_and_b32_e32 v6, 0x8000, v6
	v_and_b32_e32 v5, 0xfc00, v5
	s_delay_alu instid0(VALU_DEP_1)
	v_or3_b32 v138, v6, v5, v4
.LBB305_865:                            ;   in Loop: Header=BB305_11 Depth=1
	s_wait_alu 0xfffe
	s_or_b32 exec_lo, exec_lo, s18
.LBB305_866:                            ;   in Loop: Header=BB305_11 Depth=1
	s_wait_alu 0xfffe
	s_or_b32 exec_lo, exec_lo, s17
.LBB305_867:                            ;   in Loop: Header=BB305_11 Depth=1
	s_wait_alu 0xfffe
	s_or_b32 exec_lo, exec_lo, s2
	v_dual_mov_b32 v136, 0 :: v_dual_mov_b32 v137, 0
	s_mov_b32 s2, exec_lo
	v_cmpx_lt_u32_e32 0xffffff, v28
	s_cbranch_execz .LBB305_875
; %bb.868:                              ;   in Loop: Header=BB305_11 Depth=1
	v_lshrrev_b32_e32 v8, 24, v28
	v_bfrev_b32_e32 v137, 1
	s_mov_b32 s17, exec_lo
	s_delay_alu instid0(VALU_DEP_2)
	v_cmpx_ne_u32_e32 0x80, v8
	s_cbranch_execz .LBB305_874
; %bb.869:                              ;   in Loop: Header=BB305_11 Depth=1
	v_and_b32_e32 v6, 0x7f, v8
	v_mov_b32_e32 v137, 0x7c010000
	s_mov_b32 s18, exec_lo
	s_delay_alu instid0(VALU_DEP_2)
	v_cmpx_ne_u32_e32 0x7f, v6
	s_cbranch_execz .LBB305_873
; %bb.870:                              ;   in Loop: Header=BB305_11 Depth=1
	v_and_b32_e32 v4, 7, v8
	v_lshrrev_b32_e32 v5, 3, v6
	s_mov_b32 s19, exec_lo
	v_cmpx_gt_u32_e32 8, v6
; %bb.871:                              ;   in Loop: Header=BB305_11 Depth=1
	s_delay_alu instid0(VALU_DEP_3) | instskip(NEXT) | instid1(VALU_DEP_1)
	v_clz_i32_u32_e32 v4, v4
	v_min_u32_e32 v6, 32, v4
	s_delay_alu instid0(VALU_DEP_1) | instskip(NEXT) | instid1(VALU_DEP_1)
	v_subrev_nc_u32_e32 v4, 28, v6
	v_lshlrev_b64_e32 v[4:5], v4, v[8:9]
	v_sub_nc_u32_e32 v5, 29, v6
	s_delay_alu instid0(VALU_DEP_2)
	v_and_b32_e32 v4, 7, v4
; %bb.872:                              ;   in Loop: Header=BB305_11 Depth=1
	s_wait_alu 0xfffe
	s_or_b32 exec_lo, exec_lo, s19
	v_lshlrev_b32_e32 v6, 8, v8
	v_lshl_add_u32 v5, v5, 10, 0x2000
	v_lshlrev_b32_e32 v4, 23, v4
	s_delay_alu instid0(VALU_DEP_2) | instskip(NEXT) | instid1(VALU_DEP_1)
	v_and_or_b32 v5, 0x8000, v6, v5
	v_lshl_or_b32 v137, v5, 16, v4
.LBB305_873:                            ;   in Loop: Header=BB305_11 Depth=1
	s_wait_alu 0xfffe
	s_or_b32 exec_lo, exec_lo, s18
.LBB305_874:                            ;   in Loop: Header=BB305_11 Depth=1
	s_wait_alu 0xfffe
	s_or_b32 exec_lo, exec_lo, s17
.LBB305_875:                            ;   in Loop: Header=BB305_11 Depth=1
	s_wait_alu 0xfffe
	s_or_b32 exec_lo, exec_lo, s2
	v_and_b32_e32 v4, 0xff, v29
	v_mov_b32_e32 v8, v29
	s_mov_b32 s2, exec_lo
	s_delay_alu instid0(VALU_DEP_2)
	v_cmpx_ne_u16_e32 0, v4
	s_cbranch_execz .LBB305_883
; %bb.876:                              ;   in Loop: Header=BB305_11 Depth=1
	v_mov_b32_e32 v136, 0x8000
	s_mov_b32 s17, exec_lo
	v_cmpx_ne_u16_e32 0x80, v4
	s_cbranch_execz .LBB305_882
; %bb.877:                              ;   in Loop: Header=BB305_11 Depth=1
	v_and_b32_e32 v6, 0x7f, v29
	v_mov_b32_e32 v136, 0x7c01
	s_mov_b32 s18, exec_lo
	s_delay_alu instid0(VALU_DEP_2)
	v_cmpx_ne_u32_e32 0x7f, v6
	s_cbranch_execz .LBB305_881
; %bb.878:                              ;   in Loop: Header=BB305_11 Depth=1
	v_and_b32_e32 v4, 7, v29
	v_lshrrev_b32_e32 v5, 3, v6
	s_mov_b32 s19, exec_lo
	v_cmpx_gt_u32_e32 8, v6
; %bb.879:                              ;   in Loop: Header=BB305_11 Depth=1
	s_delay_alu instid0(VALU_DEP_3) | instskip(NEXT) | instid1(VALU_DEP_1)
	v_clz_i32_u32_e32 v4, v4
	v_min_u32_e32 v6, 32, v4
	s_delay_alu instid0(VALU_DEP_1) | instskip(NEXT) | instid1(VALU_DEP_1)
	v_subrev_nc_u32_e32 v4, 28, v6
	v_lshlrev_b64_e32 v[4:5], v4, v[8:9]
	v_sub_nc_u32_e32 v5, 29, v6
	s_delay_alu instid0(VALU_DEP_2)
	v_and_b32_e32 v4, 7, v4
; %bb.880:                              ;   in Loop: Header=BB305_11 Depth=1
	s_wait_alu 0xfffe
	s_or_b32 exec_lo, exec_lo, s19
	v_lshlrev_b32_e32 v6, 8, v29
	v_lshl_add_u32 v5, v5, 10, 0x2000
	v_lshlrev_b32_e32 v4, 7, v4
	s_delay_alu instid0(VALU_DEP_3) | instskip(NEXT) | instid1(VALU_DEP_3)
	v_and_b32_e32 v6, 0x8000, v6
	v_and_b32_e32 v5, 0xfc00, v5
	s_delay_alu instid0(VALU_DEP_1)
	v_or3_b32 v136, v6, v5, v4
.LBB305_881:                            ;   in Loop: Header=BB305_11 Depth=1
	s_wait_alu 0xfffe
	s_or_b32 exec_lo, exec_lo, s18
.LBB305_882:                            ;   in Loop: Header=BB305_11 Depth=1
	s_wait_alu 0xfffe
	s_or_b32 exec_lo, exec_lo, s17
.LBB305_883:                            ;   in Loop: Header=BB305_11 Depth=1
	s_wait_alu 0xfffe
	s_or_b32 exec_lo, exec_lo, s2
	v_lshrrev_b16 v8, 8, v8
	v_dual_mov_b32 v126, 0 :: v_dual_mov_b32 v127, 0
	s_mov_b32 s2, exec_lo
	s_delay_alu instid0(VALU_DEP_2)
	v_cmpx_ne_u16_e32 0, v8
	s_cbranch_execz .LBB305_891
; %bb.884:                              ;   in Loop: Header=BB305_11 Depth=1
	v_bfrev_b32_e32 v127, 1
	s_mov_b32 s17, exec_lo
	v_cmpx_ne_u16_e32 0x80, v8
	s_cbranch_execz .LBB305_890
; %bb.885:                              ;   in Loop: Header=BB305_11 Depth=1
	v_and_b32_e32 v4, 0xffff, v8
	v_mov_b32_e32 v127, 0x7c010000
	s_mov_b32 s18, exec_lo
	s_delay_alu instid0(VALU_DEP_2) | instskip(NEXT) | instid1(VALU_DEP_1)
	v_and_b32_e32 v7, 0x7f, v4
	v_cmpx_ne_u32_e32 0x7f, v7
	s_cbranch_execz .LBB305_889
; %bb.886:                              ;   in Loop: Header=BB305_11 Depth=1
	v_and_b32_e32 v5, 7, v4
	v_lshrrev_b32_e32 v6, 3, v7
	s_mov_b32 s19, exec_lo
	v_cmpx_gt_u32_e32 8, v7
; %bb.887:                              ;   in Loop: Header=BB305_11 Depth=1
	s_delay_alu instid0(VALU_DEP_3) | instskip(NEXT) | instid1(VALU_DEP_1)
	v_clz_i32_u32_e32 v5, v5
	v_min_u32_e32 v7, 32, v5
	s_delay_alu instid0(VALU_DEP_1) | instskip(NEXT) | instid1(VALU_DEP_1)
	v_subrev_nc_u32_e32 v5, 28, v7
	v_lshlrev_b64_e32 v[5:6], v5, v[8:9]
	v_sub_nc_u32_e32 v6, 29, v7
	s_delay_alu instid0(VALU_DEP_2)
	v_and_b32_e32 v5, 7, v5
; %bb.888:                              ;   in Loop: Header=BB305_11 Depth=1
	s_wait_alu 0xfffe
	s_or_b32 exec_lo, exec_lo, s19
	v_lshlrev_b32_e32 v4, 8, v4
	v_lshl_add_u32 v6, v6, 10, 0x2000
	v_lshlrev_b32_e32 v5, 23, v5
	s_delay_alu instid0(VALU_DEP_2) | instskip(NEXT) | instid1(VALU_DEP_1)
	v_and_or_b32 v4, 0x8000, v4, v6
	v_lshl_or_b32 v127, v4, 16, v5
.LBB305_889:                            ;   in Loop: Header=BB305_11 Depth=1
	s_wait_alu 0xfffe
	s_or_b32 exec_lo, exec_lo, s18
.LBB305_890:                            ;   in Loop: Header=BB305_11 Depth=1
	s_wait_alu 0xfffe
	s_or_b32 exec_lo, exec_lo, s17
.LBB305_891:                            ;   in Loop: Header=BB305_11 Depth=1
	s_wait_alu 0xfffe
	s_or_b32 exec_lo, exec_lo, s2
	v_lshrrev_b32_e32 v8, 16, v29
	s_mov_b32 s2, exec_lo
	s_delay_alu instid0(VALU_DEP_1) | instskip(NEXT) | instid1(VALU_DEP_1)
	v_and_b32_e32 v4, 0xff, v8
	v_cmpx_ne_u16_e32 0, v4
	s_cbranch_execz .LBB305_899
; %bb.892:                              ;   in Loop: Header=BB305_11 Depth=1
	v_mov_b32_e32 v126, 0x8000
	s_mov_b32 s17, exec_lo
	v_cmpx_ne_u16_e32 0x80, v4
	s_cbranch_execz .LBB305_898
; %bb.893:                              ;   in Loop: Header=BB305_11 Depth=1
	v_bfe_u32 v6, v29, 16, 7
	v_mov_b32_e32 v126, 0x7c01
	s_mov_b32 s18, exec_lo
	s_delay_alu instid0(VALU_DEP_2)
	v_cmpx_ne_u32_e32 0x7f, v6
	s_cbranch_execz .LBB305_897
; %bb.894:                              ;   in Loop: Header=BB305_11 Depth=1
	v_and_b32_e32 v4, 7, v8
	v_lshrrev_b32_e32 v5, 3, v6
	s_mov_b32 s19, exec_lo
	v_cmpx_gt_u32_e32 8, v6
; %bb.895:                              ;   in Loop: Header=BB305_11 Depth=1
	s_delay_alu instid0(VALU_DEP_3) | instskip(NEXT) | instid1(VALU_DEP_1)
	v_clz_i32_u32_e32 v4, v4
	v_min_u32_e32 v6, 32, v4
	s_delay_alu instid0(VALU_DEP_1) | instskip(NEXT) | instid1(VALU_DEP_1)
	v_subrev_nc_u32_e32 v4, 28, v6
	v_lshlrev_b64_e32 v[4:5], v4, v[8:9]
	v_sub_nc_u32_e32 v5, 29, v6
	s_delay_alu instid0(VALU_DEP_2)
	v_and_b32_e32 v4, 7, v4
; %bb.896:                              ;   in Loop: Header=BB305_11 Depth=1
	s_wait_alu 0xfffe
	s_or_b32 exec_lo, exec_lo, s19
	v_lshlrev_b32_e32 v6, 8, v8
	v_lshl_add_u32 v5, v5, 10, 0x2000
	v_lshlrev_b32_e32 v4, 7, v4
	s_delay_alu instid0(VALU_DEP_3) | instskip(NEXT) | instid1(VALU_DEP_3)
	v_and_b32_e32 v6, 0x8000, v6
	v_and_b32_e32 v5, 0xfc00, v5
	s_delay_alu instid0(VALU_DEP_1)
	v_or3_b32 v126, v6, v5, v4
.LBB305_897:                            ;   in Loop: Header=BB305_11 Depth=1
	s_wait_alu 0xfffe
	s_or_b32 exec_lo, exec_lo, s18
.LBB305_898:                            ;   in Loop: Header=BB305_11 Depth=1
	s_wait_alu 0xfffe
	s_or_b32 exec_lo, exec_lo, s17
.LBB305_899:                            ;   in Loop: Header=BB305_11 Depth=1
	s_wait_alu 0xfffe
	s_or_b32 exec_lo, exec_lo, s2
	v_cmp_lt_u64_e64 s1, s[8:9], v[28:29]
	v_dual_mov_b32 v28, 0 :: v_dual_mov_b32 v125, 0
	s_and_saveexec_b32 s2, s1
	s_cbranch_execz .LBB305_907
; %bb.900:                              ;   in Loop: Header=BB305_11 Depth=1
	v_lshrrev_b32_e32 v8, 24, v29
	v_bfrev_b32_e32 v125, 1
	s_mov_b32 s17, exec_lo
	s_delay_alu instid0(VALU_DEP_2)
	v_cmpx_ne_u32_e32 0x80, v8
	s_cbranch_execz .LBB305_906
; %bb.901:                              ;   in Loop: Header=BB305_11 Depth=1
	v_and_b32_e32 v6, 0x7f, v8
	v_mov_b32_e32 v125, 0x7c010000
	s_mov_b32 s18, exec_lo
	s_delay_alu instid0(VALU_DEP_2)
	v_cmpx_ne_u32_e32 0x7f, v6
	s_cbranch_execz .LBB305_905
; %bb.902:                              ;   in Loop: Header=BB305_11 Depth=1
	v_and_b32_e32 v4, 7, v8
	v_lshrrev_b32_e32 v5, 3, v6
	s_mov_b32 s19, exec_lo
	v_cmpx_gt_u32_e32 8, v6
; %bb.903:                              ;   in Loop: Header=BB305_11 Depth=1
	s_delay_alu instid0(VALU_DEP_3) | instskip(NEXT) | instid1(VALU_DEP_1)
	v_clz_i32_u32_e32 v4, v4
	v_min_u32_e32 v6, 32, v4
	s_delay_alu instid0(VALU_DEP_1) | instskip(NEXT) | instid1(VALU_DEP_1)
	v_subrev_nc_u32_e32 v4, 28, v6
	v_lshlrev_b64_e32 v[4:5], v4, v[8:9]
	v_sub_nc_u32_e32 v5, 29, v6
	s_delay_alu instid0(VALU_DEP_2)
	v_and_b32_e32 v4, 7, v4
; %bb.904:                              ;   in Loop: Header=BB305_11 Depth=1
	s_wait_alu 0xfffe
	s_or_b32 exec_lo, exec_lo, s19
	v_lshlrev_b32_e32 v6, 8, v8
	v_lshl_add_u32 v5, v5, 10, 0x2000
	v_lshlrev_b32_e32 v4, 23, v4
	s_delay_alu instid0(VALU_DEP_2) | instskip(NEXT) | instid1(VALU_DEP_1)
	v_and_or_b32 v5, 0x8000, v6, v5
	v_lshl_or_b32 v125, v5, 16, v4
.LBB305_905:                            ;   in Loop: Header=BB305_11 Depth=1
	s_wait_alu 0xfffe
	s_or_b32 exec_lo, exec_lo, s18
.LBB305_906:                            ;   in Loop: Header=BB305_11 Depth=1
	s_wait_alu 0xfffe
	s_or_b32 exec_lo, exec_lo, s17
.LBB305_907:                            ;   in Loop: Header=BB305_11 Depth=1
	s_wait_alu 0xfffe
	s_or_b32 exec_lo, exec_lo, s2
	flat_load_b64 v[20:21], v[20:21] offset:3584
	s_mov_b32 s2, exec_lo
	s_wait_loadcnt_dscnt 0x0
	v_and_b32_e32 v4, 0xff, v20
	s_delay_alu instid0(VALU_DEP_1)
	v_cmpx_ne_u16_e32 0, v4
	s_cbranch_execz .LBB305_915
; %bb.908:                              ;   in Loop: Header=BB305_11 Depth=1
	v_mov_b32_e32 v28, 0x8000
	s_mov_b32 s17, exec_lo
	v_cmpx_ne_u16_e32 0x80, v4
	s_cbranch_execz .LBB305_914
; %bb.909:                              ;   in Loop: Header=BB305_11 Depth=1
	v_and_b32_e32 v6, 0x7f, v20
	v_mov_b32_e32 v28, 0x7c01
	s_mov_b32 s18, exec_lo
	s_delay_alu instid0(VALU_DEP_2)
	v_cmpx_ne_u32_e32 0x7f, v6
	s_cbranch_execz .LBB305_913
; %bb.910:                              ;   in Loop: Header=BB305_11 Depth=1
	v_and_b32_e32 v4, 7, v20
	v_lshrrev_b32_e32 v5, 3, v6
	s_mov_b32 s19, exec_lo
	v_cmpx_gt_u32_e32 8, v6
; %bb.911:                              ;   in Loop: Header=BB305_11 Depth=1
	s_delay_alu instid0(VALU_DEP_3) | instskip(NEXT) | instid1(VALU_DEP_1)
	v_clz_i32_u32_e32 v4, v4
	v_min_u32_e32 v6, 32, v4
	s_delay_alu instid0(VALU_DEP_1) | instskip(NEXT) | instid1(VALU_DEP_1)
	v_subrev_nc_u32_e32 v4, 28, v6
	v_lshlrev_b64_e32 v[4:5], v4, v[20:21]
	v_sub_nc_u32_e32 v5, 29, v6
	s_delay_alu instid0(VALU_DEP_2)
	v_and_b32_e32 v4, 7, v4
; %bb.912:                              ;   in Loop: Header=BB305_11 Depth=1
	s_wait_alu 0xfffe
	s_or_b32 exec_lo, exec_lo, s19
	v_lshlrev_b32_e32 v6, 8, v20
	v_lshl_add_u32 v5, v5, 10, 0x2000
	v_lshlrev_b32_e32 v4, 7, v4
	s_delay_alu instid0(VALU_DEP_3) | instskip(NEXT) | instid1(VALU_DEP_3)
	v_and_b32_e32 v6, 0x8000, v6
	v_and_b32_e32 v5, 0xfc00, v5
	s_delay_alu instid0(VALU_DEP_1)
	v_or3_b32 v28, v6, v5, v4
.LBB305_913:                            ;   in Loop: Header=BB305_11 Depth=1
	s_wait_alu 0xfffe
	s_or_b32 exec_lo, exec_lo, s18
.LBB305_914:                            ;   in Loop: Header=BB305_11 Depth=1
	s_wait_alu 0xfffe
	s_or_b32 exec_lo, exec_lo, s17
.LBB305_915:                            ;   in Loop: Header=BB305_11 Depth=1
	s_wait_alu 0xfffe
	s_or_b32 exec_lo, exec_lo, s2
	v_lshrrev_b16 v8, 8, v20
	v_mov_b32_e32 v107, 0
	v_mov_b32_e32 v29, 0
	s_mov_b32 s2, exec_lo
	s_delay_alu instid0(VALU_DEP_3)
	v_cmpx_ne_u16_e32 0, v8
	s_cbranch_execz .LBB305_923
; %bb.916:                              ;   in Loop: Header=BB305_11 Depth=1
	v_bfrev_b32_e32 v29, 1
	s_mov_b32 s17, exec_lo
	v_cmpx_ne_u16_e32 0x80, v8
	s_cbranch_execz .LBB305_922
; %bb.917:                              ;   in Loop: Header=BB305_11 Depth=1
	v_and_b32_e32 v4, 0xffff, v8
	v_mov_b32_e32 v29, 0x7c010000
	s_mov_b32 s18, exec_lo
	s_delay_alu instid0(VALU_DEP_2) | instskip(NEXT) | instid1(VALU_DEP_1)
	v_and_b32_e32 v7, 0x7f, v4
	v_cmpx_ne_u32_e32 0x7f, v7
	s_cbranch_execz .LBB305_921
; %bb.918:                              ;   in Loop: Header=BB305_11 Depth=1
	v_and_b32_e32 v5, 7, v4
	v_lshrrev_b32_e32 v6, 3, v7
	s_mov_b32 s19, exec_lo
	v_cmpx_gt_u32_e32 8, v7
; %bb.919:                              ;   in Loop: Header=BB305_11 Depth=1
	s_delay_alu instid0(VALU_DEP_3) | instskip(NEXT) | instid1(VALU_DEP_1)
	v_clz_i32_u32_e32 v5, v5
	v_min_u32_e32 v7, 32, v5
	s_delay_alu instid0(VALU_DEP_1) | instskip(NEXT) | instid1(VALU_DEP_1)
	v_subrev_nc_u32_e32 v5, 28, v7
	v_lshlrev_b64_e32 v[5:6], v5, v[8:9]
	v_sub_nc_u32_e32 v6, 29, v7
	s_delay_alu instid0(VALU_DEP_2)
	v_and_b32_e32 v5, 7, v5
; %bb.920:                              ;   in Loop: Header=BB305_11 Depth=1
	s_wait_alu 0xfffe
	s_or_b32 exec_lo, exec_lo, s19
	v_lshlrev_b32_e32 v4, 8, v4
	v_lshl_add_u32 v6, v6, 10, 0x2000
	v_lshlrev_b32_e32 v5, 23, v5
	s_delay_alu instid0(VALU_DEP_2) | instskip(NEXT) | instid1(VALU_DEP_1)
	v_and_or_b32 v4, 0x8000, v4, v6
	v_lshl_or_b32 v29, v4, 16, v5
.LBB305_921:                            ;   in Loop: Header=BB305_11 Depth=1
	s_wait_alu 0xfffe
	s_or_b32 exec_lo, exec_lo, s18
.LBB305_922:                            ;   in Loop: Header=BB305_11 Depth=1
	s_wait_alu 0xfffe
	s_or_b32 exec_lo, exec_lo, s17
.LBB305_923:                            ;   in Loop: Header=BB305_11 Depth=1
	s_wait_alu 0xfffe
	s_or_b32 exec_lo, exec_lo, s2
	v_lshrrev_b32_e32 v8, 16, v20
	s_mov_b32 s2, exec_lo
	s_delay_alu instid0(VALU_DEP_1) | instskip(NEXT) | instid1(VALU_DEP_1)
	v_and_b32_e32 v4, 0xff, v8
	v_cmpx_ne_u16_e32 0, v4
	s_cbranch_execz .LBB305_931
; %bb.924:                              ;   in Loop: Header=BB305_11 Depth=1
	v_mov_b32_e32 v107, 0x8000
	s_mov_b32 s17, exec_lo
	v_cmpx_ne_u16_e32 0x80, v4
	s_cbranch_execz .LBB305_930
; %bb.925:                              ;   in Loop: Header=BB305_11 Depth=1
	v_bfe_u32 v6, v20, 16, 7
	v_mov_b32_e32 v107, 0x7c01
	s_mov_b32 s18, exec_lo
	s_delay_alu instid0(VALU_DEP_2)
	v_cmpx_ne_u32_e32 0x7f, v6
	s_cbranch_execz .LBB305_929
; %bb.926:                              ;   in Loop: Header=BB305_11 Depth=1
	v_and_b32_e32 v4, 7, v8
	v_lshrrev_b32_e32 v5, 3, v6
	s_mov_b32 s19, exec_lo
	v_cmpx_gt_u32_e32 8, v6
; %bb.927:                              ;   in Loop: Header=BB305_11 Depth=1
	s_delay_alu instid0(VALU_DEP_3) | instskip(NEXT) | instid1(VALU_DEP_1)
	v_clz_i32_u32_e32 v4, v4
	v_min_u32_e32 v6, 32, v4
	s_delay_alu instid0(VALU_DEP_1) | instskip(NEXT) | instid1(VALU_DEP_1)
	v_subrev_nc_u32_e32 v4, 28, v6
	v_lshlrev_b64_e32 v[4:5], v4, v[8:9]
	v_sub_nc_u32_e32 v5, 29, v6
	s_delay_alu instid0(VALU_DEP_2)
	v_and_b32_e32 v4, 7, v4
; %bb.928:                              ;   in Loop: Header=BB305_11 Depth=1
	s_wait_alu 0xfffe
	s_or_b32 exec_lo, exec_lo, s19
	v_lshlrev_b32_e32 v6, 8, v8
	v_lshl_add_u32 v5, v5, 10, 0x2000
	v_lshlrev_b32_e32 v4, 7, v4
	s_delay_alu instid0(VALU_DEP_3) | instskip(NEXT) | instid1(VALU_DEP_3)
	v_and_b32_e32 v6, 0x8000, v6
	v_and_b32_e32 v5, 0xfc00, v5
	s_delay_alu instid0(VALU_DEP_1)
	v_or3_b32 v107, v6, v5, v4
.LBB305_929:                            ;   in Loop: Header=BB305_11 Depth=1
	s_wait_alu 0xfffe
	s_or_b32 exec_lo, exec_lo, s18
.LBB305_930:                            ;   in Loop: Header=BB305_11 Depth=1
	s_wait_alu 0xfffe
	s_or_b32 exec_lo, exec_lo, s17
.LBB305_931:                            ;   in Loop: Header=BB305_11 Depth=1
	s_wait_alu 0xfffe
	s_or_b32 exec_lo, exec_lo, s2
	v_dual_mov_b32 v111, 0 :: v_dual_mov_b32 v120, 0
	s_mov_b32 s2, exec_lo
	v_cmpx_lt_u32_e32 0xffffff, v20
	s_cbranch_execz .LBB305_939
; %bb.932:                              ;   in Loop: Header=BB305_11 Depth=1
	v_lshrrev_b32_e32 v8, 24, v20
	v_bfrev_b32_e32 v120, 1
	s_mov_b32 s17, exec_lo
	s_delay_alu instid0(VALU_DEP_2)
	v_cmpx_ne_u32_e32 0x80, v8
	s_cbranch_execz .LBB305_938
; %bb.933:                              ;   in Loop: Header=BB305_11 Depth=1
	v_and_b32_e32 v6, 0x7f, v8
	v_mov_b32_e32 v120, 0x7c010000
	s_mov_b32 s18, exec_lo
	s_delay_alu instid0(VALU_DEP_2)
	v_cmpx_ne_u32_e32 0x7f, v6
	s_cbranch_execz .LBB305_937
; %bb.934:                              ;   in Loop: Header=BB305_11 Depth=1
	v_and_b32_e32 v4, 7, v8
	v_lshrrev_b32_e32 v5, 3, v6
	s_mov_b32 s19, exec_lo
	v_cmpx_gt_u32_e32 8, v6
; %bb.935:                              ;   in Loop: Header=BB305_11 Depth=1
	s_delay_alu instid0(VALU_DEP_3) | instskip(NEXT) | instid1(VALU_DEP_1)
	v_clz_i32_u32_e32 v4, v4
	v_min_u32_e32 v6, 32, v4
	s_delay_alu instid0(VALU_DEP_1) | instskip(NEXT) | instid1(VALU_DEP_1)
	v_subrev_nc_u32_e32 v4, 28, v6
	v_lshlrev_b64_e32 v[4:5], v4, v[8:9]
	v_sub_nc_u32_e32 v5, 29, v6
	s_delay_alu instid0(VALU_DEP_2)
	v_and_b32_e32 v4, 7, v4
; %bb.936:                              ;   in Loop: Header=BB305_11 Depth=1
	s_wait_alu 0xfffe
	s_or_b32 exec_lo, exec_lo, s19
	v_lshlrev_b32_e32 v6, 8, v8
	v_lshl_add_u32 v5, v5, 10, 0x2000
	v_lshlrev_b32_e32 v4, 23, v4
	s_delay_alu instid0(VALU_DEP_2) | instskip(NEXT) | instid1(VALU_DEP_1)
	v_and_or_b32 v5, 0x8000, v6, v5
	v_lshl_or_b32 v120, v5, 16, v4
.LBB305_937:                            ;   in Loop: Header=BB305_11 Depth=1
	s_wait_alu 0xfffe
	s_or_b32 exec_lo, exec_lo, s18
.LBB305_938:                            ;   in Loop: Header=BB305_11 Depth=1
	s_wait_alu 0xfffe
	s_or_b32 exec_lo, exec_lo, s17
.LBB305_939:                            ;   in Loop: Header=BB305_11 Depth=1
	s_wait_alu 0xfffe
	s_or_b32 exec_lo, exec_lo, s2
	v_and_b32_e32 v4, 0xff, v21
	v_mov_b32_e32 v8, v21
	s_mov_b32 s2, exec_lo
	s_delay_alu instid0(VALU_DEP_2)
	v_cmpx_ne_u16_e32 0, v4
	s_cbranch_execz .LBB305_947
; %bb.940:                              ;   in Loop: Header=BB305_11 Depth=1
	v_mov_b32_e32 v111, 0x8000
	s_mov_b32 s17, exec_lo
	v_cmpx_ne_u16_e32 0x80, v4
	s_cbranch_execz .LBB305_946
; %bb.941:                              ;   in Loop: Header=BB305_11 Depth=1
	v_and_b32_e32 v6, 0x7f, v21
	v_mov_b32_e32 v111, 0x7c01
	s_mov_b32 s18, exec_lo
	s_delay_alu instid0(VALU_DEP_2)
	v_cmpx_ne_u32_e32 0x7f, v6
	s_cbranch_execz .LBB305_945
; %bb.942:                              ;   in Loop: Header=BB305_11 Depth=1
	v_and_b32_e32 v4, 7, v21
	v_lshrrev_b32_e32 v5, 3, v6
	s_mov_b32 s19, exec_lo
	v_cmpx_gt_u32_e32 8, v6
; %bb.943:                              ;   in Loop: Header=BB305_11 Depth=1
	s_delay_alu instid0(VALU_DEP_3) | instskip(NEXT) | instid1(VALU_DEP_1)
	v_clz_i32_u32_e32 v4, v4
	v_min_u32_e32 v6, 32, v4
	s_delay_alu instid0(VALU_DEP_1) | instskip(NEXT) | instid1(VALU_DEP_1)
	v_subrev_nc_u32_e32 v4, 28, v6
	v_lshlrev_b64_e32 v[4:5], v4, v[8:9]
	v_sub_nc_u32_e32 v5, 29, v6
	s_delay_alu instid0(VALU_DEP_2)
	v_and_b32_e32 v4, 7, v4
; %bb.944:                              ;   in Loop: Header=BB305_11 Depth=1
	s_wait_alu 0xfffe
	s_or_b32 exec_lo, exec_lo, s19
	v_lshlrev_b32_e32 v6, 8, v21
	v_lshl_add_u32 v5, v5, 10, 0x2000
	v_lshlrev_b32_e32 v4, 7, v4
	s_delay_alu instid0(VALU_DEP_3) | instskip(NEXT) | instid1(VALU_DEP_3)
	v_and_b32_e32 v6, 0x8000, v6
	v_and_b32_e32 v5, 0xfc00, v5
	s_delay_alu instid0(VALU_DEP_1)
	v_or3_b32 v111, v6, v5, v4
.LBB305_945:                            ;   in Loop: Header=BB305_11 Depth=1
	s_wait_alu 0xfffe
	s_or_b32 exec_lo, exec_lo, s18
.LBB305_946:                            ;   in Loop: Header=BB305_11 Depth=1
	s_wait_alu 0xfffe
	s_or_b32 exec_lo, exec_lo, s17
.LBB305_947:                            ;   in Loop: Header=BB305_11 Depth=1
	s_wait_alu 0xfffe
	s_or_b32 exec_lo, exec_lo, s2
	v_lshrrev_b16 v8, 8, v8
	v_dual_mov_b32 v121, 0 :: v_dual_mov_b32 v122, 0
	s_mov_b32 s2, exec_lo
	s_delay_alu instid0(VALU_DEP_2)
	v_cmpx_ne_u16_e32 0, v8
	s_cbranch_execz .LBB305_955
; %bb.948:                              ;   in Loop: Header=BB305_11 Depth=1
	v_bfrev_b32_e32 v122, 1
	s_mov_b32 s17, exec_lo
	v_cmpx_ne_u16_e32 0x80, v8
	s_cbranch_execz .LBB305_954
; %bb.949:                              ;   in Loop: Header=BB305_11 Depth=1
	v_and_b32_e32 v4, 0xffff, v8
	v_mov_b32_e32 v122, 0x7c010000
	s_mov_b32 s18, exec_lo
	s_delay_alu instid0(VALU_DEP_2) | instskip(NEXT) | instid1(VALU_DEP_1)
	v_and_b32_e32 v7, 0x7f, v4
	v_cmpx_ne_u32_e32 0x7f, v7
	s_cbranch_execz .LBB305_953
; %bb.950:                              ;   in Loop: Header=BB305_11 Depth=1
	v_and_b32_e32 v5, 7, v4
	v_lshrrev_b32_e32 v6, 3, v7
	s_mov_b32 s19, exec_lo
	v_cmpx_gt_u32_e32 8, v7
; %bb.951:                              ;   in Loop: Header=BB305_11 Depth=1
	s_delay_alu instid0(VALU_DEP_3) | instskip(NEXT) | instid1(VALU_DEP_1)
	v_clz_i32_u32_e32 v5, v5
	v_min_u32_e32 v7, 32, v5
	s_delay_alu instid0(VALU_DEP_1) | instskip(NEXT) | instid1(VALU_DEP_1)
	v_subrev_nc_u32_e32 v5, 28, v7
	v_lshlrev_b64_e32 v[5:6], v5, v[8:9]
	v_sub_nc_u32_e32 v6, 29, v7
	s_delay_alu instid0(VALU_DEP_2)
	v_and_b32_e32 v5, 7, v5
; %bb.952:                              ;   in Loop: Header=BB305_11 Depth=1
	s_wait_alu 0xfffe
	s_or_b32 exec_lo, exec_lo, s19
	v_lshlrev_b32_e32 v4, 8, v4
	v_lshl_add_u32 v6, v6, 10, 0x2000
	v_lshlrev_b32_e32 v5, 23, v5
	s_delay_alu instid0(VALU_DEP_2) | instskip(NEXT) | instid1(VALU_DEP_1)
	v_and_or_b32 v4, 0x8000, v4, v6
	v_lshl_or_b32 v122, v4, 16, v5
.LBB305_953:                            ;   in Loop: Header=BB305_11 Depth=1
	s_wait_alu 0xfffe
	s_or_b32 exec_lo, exec_lo, s18
.LBB305_954:                            ;   in Loop: Header=BB305_11 Depth=1
	s_wait_alu 0xfffe
	s_or_b32 exec_lo, exec_lo, s17
.LBB305_955:                            ;   in Loop: Header=BB305_11 Depth=1
	s_wait_alu 0xfffe
	s_or_b32 exec_lo, exec_lo, s2
	v_lshrrev_b32_e32 v8, 16, v21
	s_mov_b32 s2, exec_lo
	s_delay_alu instid0(VALU_DEP_1) | instskip(NEXT) | instid1(VALU_DEP_1)
	v_and_b32_e32 v4, 0xff, v8
	v_cmpx_ne_u16_e32 0, v4
	s_cbranch_execz .LBB305_963
; %bb.956:                              ;   in Loop: Header=BB305_11 Depth=1
	v_mov_b32_e32 v121, 0x8000
	s_mov_b32 s17, exec_lo
	v_cmpx_ne_u16_e32 0x80, v4
	s_cbranch_execz .LBB305_962
; %bb.957:                              ;   in Loop: Header=BB305_11 Depth=1
	v_bfe_u32 v6, v21, 16, 7
	v_mov_b32_e32 v121, 0x7c01
	s_mov_b32 s18, exec_lo
	s_delay_alu instid0(VALU_DEP_2)
	v_cmpx_ne_u32_e32 0x7f, v6
	s_cbranch_execz .LBB305_961
; %bb.958:                              ;   in Loop: Header=BB305_11 Depth=1
	v_and_b32_e32 v4, 7, v8
	v_lshrrev_b32_e32 v5, 3, v6
	s_mov_b32 s19, exec_lo
	v_cmpx_gt_u32_e32 8, v6
; %bb.959:                              ;   in Loop: Header=BB305_11 Depth=1
	s_delay_alu instid0(VALU_DEP_3) | instskip(NEXT) | instid1(VALU_DEP_1)
	v_clz_i32_u32_e32 v4, v4
	v_min_u32_e32 v6, 32, v4
	s_delay_alu instid0(VALU_DEP_1) | instskip(NEXT) | instid1(VALU_DEP_1)
	v_subrev_nc_u32_e32 v4, 28, v6
	v_lshlrev_b64_e32 v[4:5], v4, v[8:9]
	v_sub_nc_u32_e32 v5, 29, v6
	s_delay_alu instid0(VALU_DEP_2)
	v_and_b32_e32 v4, 7, v4
; %bb.960:                              ;   in Loop: Header=BB305_11 Depth=1
	s_wait_alu 0xfffe
	s_or_b32 exec_lo, exec_lo, s19
	v_lshlrev_b32_e32 v6, 8, v8
	v_lshl_add_u32 v5, v5, 10, 0x2000
	v_lshlrev_b32_e32 v4, 7, v4
	s_delay_alu instid0(VALU_DEP_3) | instskip(NEXT) | instid1(VALU_DEP_3)
	v_and_b32_e32 v6, 0x8000, v6
	v_and_b32_e32 v5, 0xfc00, v5
	s_delay_alu instid0(VALU_DEP_1)
	v_or3_b32 v121, v6, v5, v4
.LBB305_961:                            ;   in Loop: Header=BB305_11 Depth=1
	s_wait_alu 0xfffe
	s_or_b32 exec_lo, exec_lo, s18
.LBB305_962:                            ;   in Loop: Header=BB305_11 Depth=1
	s_wait_alu 0xfffe
	s_or_b32 exec_lo, exec_lo, s17
.LBB305_963:                            ;   in Loop: Header=BB305_11 Depth=1
	s_wait_alu 0xfffe
	s_or_b32 exec_lo, exec_lo, s2
	v_cmp_lt_u64_e64 s1, s[8:9], v[20:21]
	v_mov_b32_e32 v20, 0
	s_and_saveexec_b32 s2, s1
	s_cbranch_execz .LBB305_10
; %bb.964:                              ;   in Loop: Header=BB305_11 Depth=1
	v_lshrrev_b32_e32 v8, 24, v21
	v_bfrev_b32_e32 v20, 1
	s_mov_b32 s17, exec_lo
	s_delay_alu instid0(VALU_DEP_2)
	v_cmpx_ne_u32_e32 0x80, v8
	s_cbranch_execz .LBB305_9
; %bb.965:                              ;   in Loop: Header=BB305_11 Depth=1
	v_and_b32_e32 v6, 0x7f, v8
	v_mov_b32_e32 v20, 0x7c010000
	s_mov_b32 s18, exec_lo
	s_delay_alu instid0(VALU_DEP_2)
	v_cmpx_ne_u32_e32 0x7f, v6
	s_cbranch_execz .LBB305_8
; %bb.966:                              ;   in Loop: Header=BB305_11 Depth=1
	v_and_b32_e32 v4, 7, v8
	v_lshrrev_b32_e32 v5, 3, v6
	s_mov_b32 s19, exec_lo
	v_cmpx_gt_u32_e32 8, v6
	s_cbranch_execz .LBB305_7
; %bb.967:                              ;   in Loop: Header=BB305_11 Depth=1
	v_clz_i32_u32_e32 v4, v4
	s_delay_alu instid0(VALU_DEP_1) | instskip(NEXT) | instid1(VALU_DEP_1)
	v_min_u32_e32 v6, 32, v4
	v_subrev_nc_u32_e32 v4, 28, v6
	s_delay_alu instid0(VALU_DEP_1) | instskip(SKIP_1) | instid1(VALU_DEP_2)
	v_lshlrev_b64_e32 v[4:5], v4, v[8:9]
	v_sub_nc_u32_e32 v5, 29, v6
	v_and_b32_e32 v4, 7, v4
	s_branch .LBB305_7
.LBB305_968:
	s_or_b32 exec_lo, exec_lo, s7
	s_clause 0x2
	scratch_load_b32 v14, off, s32 offset:364
	scratch_load_b32 v15, off, s32 offset:368
	;; [unrolled: 1-line block ×3, first 2 shown]
.LBB305_969:
	s_or_b32 exec_lo, exec_lo, s16
	v_mbcnt_lo_u32_b32 v0, -1, 0
	v_max_num_f32_e32 v5, v48, v48
	s_delay_alu instid0(VALU_DEP_2) | instskip(SKIP_1) | instid1(VALU_DEP_2)
	v_xor_b32_e32 v1, 16, v0
	v_xor_b32_e32 v4, 8, v0
	v_cmp_gt_i32_e32 vcc_lo, 32, v1
	s_wait_alu 0xfffd
	v_cndmask_b32_e32 v1, v0, v1, vcc_lo
	s_delay_alu instid0(VALU_DEP_3) | instskip(NEXT) | instid1(VALU_DEP_2)
	v_cmp_gt_i32_e32 vcc_lo, 32, v4
	v_lshlrev_b32_e32 v6, 2, v1
	ds_bpermute_b32 v1, v6, v48
	s_wait_dscnt 0x0
	s_wait_alu 0xfffd
	v_dual_cndmask_b32 v4, v0, v4 :: v_dual_max_num_f32 v1, v1, v1
	s_delay_alu instid0(VALU_DEP_1) | instskip(SKIP_1) | instid1(VALU_DEP_1)
	v_max_num_f32_e32 v1, v5, v1
	v_xor_b32_e32 v5, 4, v0
	v_cmp_gt_i32_e32 vcc_lo, 32, v5
	s_wait_alu 0xfffd
	v_cndmask_b32_e32 v5, v0, v5, vcc_lo
	s_delay_alu instid0(VALU_DEP_1) | instskip(SKIP_1) | instid1(VALU_DEP_1)
	v_lshlrev_b32_e32 v8, 2, v5
	v_xor_b32_e32 v5, 2, v0
	v_cmp_gt_i32_e32 vcc_lo, 32, v5
	s_wait_alu 0xfffd
	v_cndmask_b32_e32 v5, v0, v5, vcc_lo
	s_delay_alu instid0(VALU_DEP_1) | instskip(SKIP_1) | instid1(VALU_DEP_1)
	v_lshlrev_b32_e32 v16, 2, v5
	v_xor_b32_e32 v5, 1, v0
	v_cmp_gt_i32_e32 vcc_lo, 32, v5
	s_wait_alu 0xfffd
	v_dual_cndmask_b32 v0, v0, v5 :: v_dual_lshlrev_b32 v7, 2, v4
	ds_bpermute_b32 v4, v7, v1
	v_lshlrev_b32_e32 v13, 2, v0
	v_and_b32_e32 v0, 31, v12
	s_delay_alu instid0(VALU_DEP_1) | instskip(SKIP_1) | instid1(VALU_DEP_1)
	v_cmp_eq_u32_e32 vcc_lo, 0, v0
	v_lshrrev_b32_e32 v0, 5, v12
	v_lshlrev_b32_e32 v9, 2, v0
	s_wait_dscnt 0x0
	v_max_num_f32_e32 v4, v4, v4
	s_delay_alu instid0(VALU_DEP_1) | instskip(SKIP_3) | instid1(VALU_DEP_1)
	v_max_num_f32_e32 v1, v1, v4
	ds_bpermute_b32 v4, v8, v1
	s_wait_dscnt 0x0
	v_max_num_f32_e32 v4, v4, v4
	v_max_num_f32_e32 v1, v1, v4
	ds_bpermute_b32 v4, v16, v1
	s_wait_dscnt 0x0
	v_max_num_f32_e32 v4, v4, v4
	s_delay_alu instid0(VALU_DEP_1)
	v_max_num_f32_e32 v4, v1, v4
	ds_bpermute_b32 v5, v13, v4
	s_and_saveexec_b32 s1, vcc_lo
	s_cbranch_execz .LBB305_971
; %bb.970:
	s_wait_dscnt 0x0
	v_dual_max_num_f32 v0, v5, v5 :: v_dual_max_num_f32 v1, v4, v4
	s_delay_alu instid0(VALU_DEP_1)
	v_max_num_f32_e32 v0, v1, v0
	ds_store_b32 v9, v0 offset:240
.LBB305_971:
	s_wait_alu 0xfffe
	s_or_b32 exec_lo, exec_lo, s1
	v_and_b32_e32 v0, 31, v12
	v_mov_b32_e32 v4, 0xff7fffff
	s_wait_storecnt 0x0
	s_wait_loadcnt_dscnt 0x0
	s_barrier_signal -1
	s_barrier_wait -1
	v_cmp_gt_u32_e64 s1, 4, v0
	global_inv scope:SCOPE_SE
	s_and_saveexec_b32 s2, s1
; %bb.972:
	ds_load_b32 v4, v18 offset:240
; %bb.973:
	s_wait_alu 0xfffe
	s_or_b32 exec_lo, exec_lo, s2
	s_wait_dscnt 0x0
	ds_bpermute_b32 v0, v16, v4
	v_dual_max_num_f32 v1, v4, v4 :: v_dual_mov_b32 v10, 0
	v_subrev_nc_u32_e32 v4, s3, v33
	s_wait_dscnt 0x0
	v_max_num_f32_e32 v0, v0, v0
	s_delay_alu instid0(VALU_DEP_1) | instskip(SKIP_3) | instid1(VALU_DEP_1)
	v_max_num_f32_e32 v0, v1, v0
	ds_bpermute_b32 v1, v13, v0
	s_wait_dscnt 0x0
	v_max_num_f32_e32 v1, v1, v1
	v_max_num_f32_e32 v0, v0, v1
	v_lshl_add_u32 v1, v4, 5, s12
	ds_bpermute_b32 v4, v10, v0
	v_min_i32_e32 v0, v1, v30
	s_delay_alu instid0(VALU_DEP_1) | instskip(NEXT) | instid1(VALU_DEP_1)
	v_subrev_nc_u32_e32 v5, s12, v0
	v_cmp_lt_i32_e64 s2, v12, v5
	s_and_saveexec_b32 s8, s2
	s_cbranch_execz .LBB305_977
; %bb.974:
	s_getpc_b64 s[16:17]
	s_wait_alu 0xfffe
	s_sext_i32_i16 s17, s17
	s_add_co_u32 s16, s16, llvm.amdgcn.dynlds.offset.table@rel32@lo+12
	s_wait_alu 0xfffe
	s_add_co_ci_u32 s17, s17, llvm.amdgcn.dynlds.offset.table@rel32@hi+24
	s_ashr_i32 s7, s6, 31
	v_dual_mov_b32 v10, 0 :: v_dual_mov_b32 v17, v12
	s_wait_alu 0xfffe
	s_lshl_b64 s[18:19], s[6:7], 2
	s_mov_b32 s7, 0
	s_wait_alu 0xfffe
	s_add_nc_u64 s[16:17], s[16:17], s[18:19]
	s_load_b32 s3, s[16:17], 0x0
	s_wait_kmcnt 0x0
	v_lshl_add_u32 v11, v12, 2, s3
.LBB305_975:                            ; =>This Inner Loop Header: Depth=1
	ds_load_b32 v0, v11
	v_add_nc_u32_e32 v17, 0x80, v17
	s_delay_alu instid0(VALU_DEP_1) | instskip(SKIP_3) | instid1(VALU_DEP_1)
	v_cmp_ge_i32_e64 s3, v17, v5
	s_or_b32 s7, s3, s7
	s_wait_dscnt 0x0
	v_sub_f32_e32 v0, v0, v4
	v_mul_f32_e32 v0, 0x3fb8aa3b, v0
	s_delay_alu instid0(VALU_DEP_1)
	v_exp_f32_e32 v0, v0
	ds_store_b32 v11, v0
	v_dual_add_f32 v10, v10, v0 :: v_dual_add_nc_u32 v11, 0x200, v11
	s_wait_alu 0xfffe
	s_and_not1_b32 exec_lo, exec_lo, s7
	s_cbranch_execnz .LBB305_975
; %bb.976:
	s_or_b32 exec_lo, exec_lo, s7
.LBB305_977:
	s_wait_alu 0xfffe
	s_or_b32 exec_lo, exec_lo, s8
	ds_bpermute_b32 v0, v6, v10
	s_wait_dscnt 0x0
	v_add_f32_e32 v0, v10, v0
	ds_bpermute_b32 v1, v7, v0
	s_wait_dscnt 0x0
	v_add_f32_e32 v0, v0, v1
	;; [unrolled: 3-line block ×5, first 2 shown]
	s_and_saveexec_b32 s3, vcc_lo
; %bb.978:
	ds_store_b32 v9, v6 offset:256
; %bb.979:
	s_wait_alu 0xfffe
	s_or_b32 exec_lo, exec_lo, s3
	s_wait_loadcnt_dscnt 0x0
	s_barrier_signal -1
	s_barrier_wait -1
	global_inv scope:SCOPE_SE
	s_and_saveexec_b32 s3, s1
; %bb.980:
	ds_load_b32 v6, v18 offset:256
; %bb.981:
	s_wait_alu 0xfffe
	s_or_b32 exec_lo, exec_lo, s3
	s_wait_dscnt 0x0
	ds_bpermute_b32 v0, v16, v6
	s_wait_dscnt 0x0
	v_add_f32_e32 v0, v6, v0
	ds_bpermute_b32 v1, v13, v0
	s_wait_dscnt 0x0
	v_dual_add_f32 v0, v0, v1 :: v_dual_mov_b32 v1, 0
	ds_bpermute_b32 v6, v1, v0
	s_and_saveexec_b32 s1, s2
	s_cbranch_execz .LBB305_984
; %bb.982:
	s_wait_dscnt 0x0
	v_add_f32_e32 v0, 0x358637bd, v6
	s_ashr_i32 s7, s6, 31
	s_getpc_b64 s[2:3]
	s_wait_alu 0xfffe
	s_sext_i32_i16 s3, s3
	s_add_co_u32 s2, s2, llvm.amdgcn.dynlds.offset.table@rel32@lo+12
	s_wait_alu 0xfffe
	s_add_co_ci_u32 s3, s3, llvm.amdgcn.dynlds.offset.table@rel32@hi+24
	s_lshl_b64 s[8:9], s[6:7], 2
	s_wait_alu 0xfffe
	s_add_nc_u64 s[2:3], s[2:3], s[8:9]
	v_div_scale_f32 v1, null, v0, v0, 1.0
	s_load_b32 s2, s[2:3], 0x0
	v_rcp_f32_e32 v7, v1
	s_delay_alu instid0(TRANS32_DEP_1) | instskip(NEXT) | instid1(VALU_DEP_1)
	v_fma_f32 v8, -v1, v7, 1.0
	v_fmac_f32_e32 v7, v8, v7
	v_div_scale_f32 v9, vcc_lo, 1.0, v0, 1.0
	s_delay_alu instid0(VALU_DEP_1) | instskip(NEXT) | instid1(VALU_DEP_1)
	v_mul_f32_e32 v8, v9, v7
	v_fma_f32 v10, -v1, v8, v9
	s_delay_alu instid0(VALU_DEP_1) | instskip(NEXT) | instid1(VALU_DEP_1)
	v_fmac_f32_e32 v8, v10, v7
	v_fma_f32 v1, -v1, v8, v9
	v_mov_b32_e32 v9, v12
	s_wait_alu 0xfffd
	s_delay_alu instid0(VALU_DEP_2) | instskip(SKIP_3) | instid1(VALU_DEP_2)
	v_div_fmas_f32 v1, v1, v7, v8
	s_wait_kmcnt 0x0
	v_lshl_add_u32 v7, v12, 2, s2
	s_mov_b32 s2, 0
	v_div_fixup_f32 v8, v1, v0, 1.0
.LBB305_983:                            ; =>This Inner Loop Header: Depth=1
	ds_load_b32 v0, v7
	s_wait_dscnt 0x0
	v_dual_mul_f32 v0, v8, v0 :: v_dual_add_nc_u32 v9, 0x80, v9
	s_delay_alu instid0(VALU_DEP_1)
	v_cmp_ge_i32_e32 vcc_lo, v9, v5
	ds_store_b32 v7, v0
	v_add_nc_u32_e32 v7, 0x200, v7
	s_wait_alu 0xfffe
	s_or_b32 s2, vcc_lo, s2
	s_wait_alu 0xfffe
	s_and_not1_b32 exec_lo, exec_lo, s2
	s_cbranch_execnz .LBB305_983
.LBB305_984:
	s_wait_alu 0xfffe
	s_or_b32 exec_lo, exec_lo, s1
	s_and_b32 s1, 0xffff, s15
	s_wait_loadcnt_dscnt 0x0
	s_wait_alu 0xfffe
	s_cmp_lg_u32 s1, 0
	s_barrier_signal -1
	s_cselect_b32 s1, -1, 0
	s_barrier_wait -1
	s_wait_alu 0xfffe
	s_cmp_lg_u32 s1, 0
	global_inv scope:SCOPE_SE
	s_wait_kmcnt 0x0
	s_add_co_ci_u32 s1, s5, 0
	s_mov_b32 s5, exec_lo
	s_wait_alu 0xfffe
	s_mul_i32 s2, s1, s13
	s_wait_alu 0xfffe
	s_mul_i32 s2, s2, s14
	v_cmpx_eq_u32_e32 0, v12
	s_cbranch_execz .LBB305_986
; %bb.985:
	s_wait_alu 0xfffe
	s_ashr_i32 s3, s2, 31
	s_mul_i32 s8, s1, ttmp9
	s_wait_alu 0xfffe
	s_lshl_b64 s[14:15], s[2:3], 2
	s_ashr_i32 s9, s8, 31
	s_wait_alu 0xfffe
	v_add_co_u32 v0, vcc_lo, v2, s14
	s_wait_alu 0xfffd
	v_add_co_ci_u32_e64 v1, null, s15, v3, vcc_lo
	s_lshl_b64 s[8:9], s[8:9], 2
	s_lshl_b32 s3, s11, 2
	s_wait_alu 0xfffe
	v_add_co_u32 v0, vcc_lo, v0, s8
	s_wait_alu 0xfffd
	v_add_co_ci_u32_e64 v1, null, s9, v1, vcc_lo
	v_add_co_u32 v2, vcc_lo, v15, s14
	s_wait_alu 0xfffd
	v_add_co_ci_u32_e64 v3, null, s15, v14, vcc_lo
	s_delay_alu instid0(VALU_DEP_2) | instskip(SKIP_1) | instid1(VALU_DEP_2)
	v_add_co_u32 v2, vcc_lo, v2, s8
	s_wait_alu 0xfffd
	v_add_co_ci_u32_e64 v3, null, s9, v3, vcc_lo
	v_add_co_u32 v0, vcc_lo, v0, s3
	s_wait_alu 0xfffd
	v_add_co_ci_u32_e64 v1, null, 0, v1, vcc_lo
	;; [unrolled: 3-line block ×3, first 2 shown]
	flat_store_b32 v[0:1], v4
	flat_store_b32 v[2:3], v6
.LBB305_986:
	s_or_b32 exec_lo, exec_lo, s5
	s_and_saveexec_b32 s3, s0
	s_wait_alu 0xfffe
	s_xor_b32 s0, exec_lo, s3
; %bb.987:
                                        ; implicit-def: $vgpr0
                                        ; kill: killed $vgpr0
	s_ashr_i32 s7, s6, 31
                                        ; implicit-def: $vgpr0
                                        ; kill: killed $vgpr0
                                        ; implicit-def: $vgpr30
                                        ; implicit-def: $vgpr33
                                        ; implicit-def: $vgpr32
                                        ; implicit-def: $vgpr22
                                        ; implicit-def: $vgpr26_vgpr27
                                        ; implicit-def: $vgpr36
                                        ; implicit-def: $vgpr0
                                        ; kill: killed $vgpr0
                                        ; implicit-def: $vgpr0
                                        ; kill: killed $vgpr0
	;; [unrolled: 2-line block ×4, first 2 shown]
                                        ; implicit-def: $vgpr0_vgpr1
                                        ; kill: killed $vgpr0_vgpr1
                                        ; implicit-def: $vgpr0
                                        ; kill: killed $vgpr0
; %bb.988:
	s_wait_alu 0xfffe
	s_or_saveexec_b32 s3, s0
	v_dual_mov_b32 v49, 0 :: v_dual_mov_b32 v0, s6
	v_dual_mov_b32 v1, s7 :: v_dual_mov_b32 v52, 0
	v_dual_mov_b32 v50, 0 :: v_dual_and_b32 v17, 3, v12
	v_dual_mov_b32 v51, 0 :: v_dual_mov_b32 v48, 0
	v_dual_mov_b32 v39, 0 :: v_dual_mov_b32 v38, 0
	;; [unrolled: 1-line block ×6, first 2 shown]
	s_wait_alu 0xfffe
	s_xor_b32 exec_lo, exec_lo, s3
	s_cbranch_execz .LBB305_1982
; %bb.989:
	scratch_load_b32 v1, off, s32 offset:332 th:TH_LOAD_LU ; 4-byte Folded Reload
	s_getpc_b64 s[8:9]
	s_wait_alu 0xfffe
	s_sext_i32_i16 s9, s9
	s_add_co_u32 s8, s8, llvm.amdgcn.dynlds.offset.table@rel32@lo+12
	s_wait_alu 0xfffe
	s_add_co_ci_u32 s9, s9, llvm.amdgcn.dynlds.offset.table@rel32@hi+24
	s_ashr_i32 s7, s6, 31
	v_lshlrev_b32_e32 v0, 3, v12
	s_wait_alu 0xfffe
	s_lshl_b64 s[14:15], s[6:7], 2
	v_dual_mov_b32 v20, 0 :: v_dual_mov_b32 v39, 0
	s_wait_alu 0xfffe
	s_add_nc_u64 s[8:9], s[8:9], s[14:15]
	v_dual_mov_b32 v24, 0 :: v_dual_mov_b32 v51, 0
	s_load_b32 s0, s[8:9], 0x0
	v_dual_mov_b32 v28, 0 :: v_dual_mov_b32 v49, 0
	v_mov_b32_e32 v38, 0
	v_mov_b32_e32 v48, 0
	;; [unrolled: 1-line block ×4, first 2 shown]
	s_mov_b32 s8, -1
	s_mov_b32 s9, 0xffffff
	s_mov_b32 s5, 0
	v_mov_b32_e32 v21, 0
	v_mov_b32_e32 v19, 0
	;; [unrolled: 1-line block ×3, first 2 shown]
	v_dual_mov_b32 v29, 0 :: v_dual_mov_b32 v18, 0
	s_wait_loadcnt 0x0
	v_add_co_u32 v2, vcc_lo, v1, v36
	s_clause 0x1
	scratch_load_b32 v1, off, s32 offset:328 th:TH_LOAD_LU
	scratch_load_b32 v3, off, s32 offset:360 th:TH_LOAD_LU
	s_wait_loadcnt 0x0
	s_wait_alu 0xfffd
	v_add_co_ci_u32_e64 v3, null, v1, v3, vcc_lo
	s_clause 0x2
	scratch_load_b32 v1, off, s32 offset:352 th:TH_LOAD_LU
	scratch_load_b64 v[5:6], off, s32 offset:344 th:TH_LOAD_LU
	scratch_load_b32 v7, off, s32 offset:356 th:TH_LOAD_LU
	s_wait_loadcnt 0x2
	v_dual_mov_b32 v1, 0 :: v_dual_add_nc_u32 v34, -1, v1
	v_and_b32_e32 v4, 24, v0
	v_and_b32_e32 v0, 0xf8, v0
	s_delay_alu instid0(VALU_DEP_1)
	v_add_co_u32 v2, vcc_lo, v2, v0
	s_wait_alu 0xfffd
	v_add_co_ci_u32_e64 v3, null, 0, v3, vcc_lo
	s_wait_loadcnt 0x0
	v_add_co_u32 v5, vcc_lo, v5, v7
	v_lshlrev_b32_e32 v0, 5, v17
	s_wait_alu 0xfffd
	v_add_co_ci_u32_e64 v7, null, 0, v6, vcc_lo
	v_lshrrev_b32_e32 v6, 5, v12
	s_delay_alu instid0(VALU_DEP_1)
	v_lshl_add_u32 v8, v6, 5, s12
	v_lshl_or_b32 v0, v6, 7, v0
	scratch_load_b32 v6, off, s32 offset:324 th:TH_LOAD_LU ; 4-byte Folded Reload
	v_add3_u32 v14, v8, v4, 7
	s_wait_kmcnt 0x0
	v_add_nc_u32_e32 v15, s0, v0
	s_wait_loadcnt 0x0
	v_add_co_u32 v6, vcc_lo, v6, v5
	scratch_load_b32 v5, off, s32 offset:320 th:TH_LOAD_LU ; 4-byte Folded Reload
	s_wait_loadcnt 0x0
	s_wait_alu 0xfffd
	v_add_co_ci_u32_e64 v7, null, v5, v7, vcc_lo
	s_branch .LBB305_991
.LBB305_990:                            ;   in Loop: Header=BB305_991 Depth=1
	s_wait_alu 0xfffe
	s_or_b32 exec_lo, exec_lo, s0
	v_dual_add_f32 v4, v4, v5 :: v_dual_add_f32 v5, v117, v118
	v_add_f32_e32 v23, v113, v114
	v_add_f32_e32 v11, v115, v116
	v_add_co_u32 v6, s0, v6, 16
	s_delay_alu instid0(VALU_DEP_4) | instskip(NEXT) | instid1(VALU_DEP_4)
	v_dual_add_f32 v20, v20, v5 :: v_dual_add_f32 v31, v103, v112
	v_dual_add_f32 v24, v24, v23 :: v_dual_add_f32 v23, v85, v86
	v_add_f32_e32 v5, v97, v98
	s_wait_alu 0xf1ff
	v_add_co_ci_u32_e64 v7, null, 0, v7, s0
	v_add_f32_e32 v25, v25, v31
	v_dual_add_f32 v48, v48, v23 :: v_dual_add_f32 v19, v19, v4
	v_add_f32_e32 v38, v38, v5
	v_add_f32_e32 v4, v101, v102
	;; [unrolled: 1-line block ×3, first 2 shown]
	v_dual_add_f32 v31, v83, v84 :: v_dual_add_nc_u32 v14, 0x80, v14
	s_delay_alu instid0(VALU_DEP_3) | instskip(SKIP_2) | instid1(VALU_DEP_2)
	v_dual_add_f32 v28, v28, v4 :: v_dual_add_nc_u32 v15, 0x200, v15
	v_add_f32_e32 v4, v99, v100
	v_add_nc_u32_e32 v32, 4, v32
	v_add_f32_e32 v29, v29, v4
	;;#ASMSTART
	v_pk_mul_f16 v4, v55, v10;

	;;#ASMEND
	;;#ASMSTART
	v_pk_mul_f16 v0, v53, v0;

	;;#ASMEND
	;; [unrolled: 4-line block ×4, first 2 shown]
	;;#ASMSTART
	v_pk_add_f16 v0, v4, v0;

	;;#ASMEND
	;;#ASMSTART
	v_pk_add_f16 v0, v0, v5;

	;;#ASMEND
	;; [unrolled: 4-line block ×3, first 2 shown]
	v_and_b32_e32 v8, 0xffff, v0
	v_lshrrev_b32_e32 v9, 16, v0
	v_dual_add_f32 v0, v81, v82 :: v_dual_add_f32 v11, v87, v96
	v_add_f32_e32 v50, v50, v31
	;;#ASMSTART
	v_cvt_f32_f16 v8, v8;
	;;#ASMEND
	v_add_f32_e32 v5, v54, v64
	v_add_f32_e32 v4, v71, v80
	;; [unrolled: 1-line block ×3, first 2 shown]
	;;#ASMSTART
	v_cvt_f32_f16 v9, v9;
	;;#ASMEND
	v_add_f32_e32 v8, v8, v9
	v_cmp_ge_i32_e32 vcc_lo, v32, v33
	v_add_f32_e32 v51, v51, v0
	v_dual_add_f32 v49, v49, v5 :: v_dual_add_f32 v52, v52, v4
	s_delay_alu instid0(VALU_DEP_4)
	v_add_f32_e32 v18, v18, v8
	s_or_b32 s5, vcc_lo, s5
	s_wait_alu 0xfffe
	s_and_not1_b32 exec_lo, exec_lo, s5
	s_cbranch_execz .LBB305_1981
.LBB305_991:                            ; =>This Inner Loop Header: Depth=1
	flat_load_b32 v0, v[6:7]
	ds_load_2addr_b64 v[64:67], v15 offset1:1
	ds_load_2addr_b64 v[68:71], v15 offset0:2 offset1:3
	s_mov_b32 s0, exec_lo
	s_wait_dscnt 0x1
	;;#ASMSTART
	v_cvt_f16_f32 v4, v64;

	;;#ASMEND
	;;#ASMSTART
	v_cvt_f16_f32 v5, v65;

	;;#ASMEND
	;; [unrolled: 4-line block ×4, first 2 shown]
	s_wait_dscnt 0x0
	;;#ASMSTART
	v_cvt_f16_f32 v53, v68;

	;;#ASMEND
	;;#ASMSTART
	v_cvt_f16_f32 v31, v69;

	;;#ASMEND
	;; [unrolled: 4-line block ×4, first 2 shown]
	v_mov_b32_e32 v64, 0
	s_wait_loadcnt 0x0
	v_mad_co_i64_i32 v[8:9], null, v0, v22, v[2:3]
	flat_load_b64 v[10:11], v[8:9]
	flat_load_b32 v55, v[26:27]
	s_wait_loadcnt_dscnt 0x101
	v_and_b32_e32 v0, 0xff, v10
	s_delay_alu instid0(VALU_DEP_1)
	v_cmpx_ne_u16_e32 0, v0
	s_cbranch_execz .LBB305_999
; %bb.992:                              ;   in Loop: Header=BB305_991 Depth=1
	v_mov_b32_e32 v64, 0x8000
	s_mov_b32 s12, exec_lo
	v_cmpx_ne_u16_e32 0x80, v0
	s_cbranch_execz .LBB305_998
; %bb.993:                              ;   in Loop: Header=BB305_991 Depth=1
	v_and_b32_e32 v65, 0x7f, v10
	v_mov_b32_e32 v64, 0x7c01
	s_mov_b32 s13, exec_lo
	s_delay_alu instid0(VALU_DEP_2)
	v_cmpx_ne_u32_e32 0x7f, v65
	s_cbranch_execz .LBB305_997
; %bb.994:                              ;   in Loop: Header=BB305_991 Depth=1
	v_and_b32_e32 v0, 7, v10
	v_lshrrev_b32_e32 v35, 3, v65
	s_mov_b32 s14, exec_lo
	v_cmpx_gt_u32_e32 8, v65
; %bb.995:                              ;   in Loop: Header=BB305_991 Depth=1
	s_delay_alu instid0(VALU_DEP_3) | instskip(NEXT) | instid1(VALU_DEP_1)
	v_clz_i32_u32_e32 v0, v0
	v_min_u32_e32 v0, 32, v0
	s_delay_alu instid0(VALU_DEP_1) | instskip(NEXT) | instid1(VALU_DEP_1)
	v_subrev_nc_u32_e32 v35, 28, v0
	v_lshlrev_b64_e32 v[64:65], v35, v[10:11]
	v_sub_nc_u32_e32 v35, 29, v0
	s_delay_alu instid0(VALU_DEP_2)
	v_and_b32_e32 v0, 7, v64
; %bb.996:                              ;   in Loop: Header=BB305_991 Depth=1
	s_wait_alu 0xfffe
	s_or_b32 exec_lo, exec_lo, s14
	v_lshlrev_b32_e32 v64, 8, v10
	v_lshl_add_u32 v35, v35, 10, 0x2000
	v_lshlrev_b32_e32 v0, 7, v0
	s_delay_alu instid0(VALU_DEP_3) | instskip(NEXT) | instid1(VALU_DEP_3)
	v_and_b32_e32 v64, 0x8000, v64
	v_and_b32_e32 v35, 0xfc00, v35
	s_delay_alu instid0(VALU_DEP_1)
	v_or3_b32 v64, v64, v35, v0
.LBB305_997:                            ;   in Loop: Header=BB305_991 Depth=1
	s_wait_alu 0xfffe
	s_or_b32 exec_lo, exec_lo, s13
.LBB305_998:                            ;   in Loop: Header=BB305_991 Depth=1
	s_wait_alu 0xfffe
	s_or_b32 exec_lo, exec_lo, s12
.LBB305_999:                            ;   in Loop: Header=BB305_991 Depth=1
	s_wait_alu 0xfffe
	s_or_b32 exec_lo, exec_lo, s0
	v_lshrrev_b16 v0, 8, v10
	v_mov_b32_e32 v35, 0
	v_mov_b32_e32 v65, 0
	s_mov_b32 s0, exec_lo
	s_delay_alu instid0(VALU_DEP_3)
	v_cmpx_ne_u16_e32 0, v0
	s_cbranch_execz .LBB305_1007
; %bb.1000:                             ;   in Loop: Header=BB305_991 Depth=1
	v_bfrev_b32_e32 v65, 1
	s_mov_b32 s12, exec_lo
	v_cmpx_ne_u16_e32 0x80, v0
	s_cbranch_execz .LBB305_1006
; %bb.1001:                             ;   in Loop: Header=BB305_991 Depth=1
	v_and_b32_e32 v66, 0xffff, v0
	v_mov_b32_e32 v65, 0x7c010000
	s_mov_b32 s13, exec_lo
	s_delay_alu instid0(VALU_DEP_2) | instskip(NEXT) | instid1(VALU_DEP_1)
	v_and_b32_e32 v68, 0x7f, v66
	v_cmpx_ne_u32_e32 0x7f, v68
	s_cbranch_execz .LBB305_1005
; %bb.1002:                             ;   in Loop: Header=BB305_991 Depth=1
	v_and_b32_e32 v65, 7, v66
	v_lshrrev_b32_e32 v67, 3, v68
	s_mov_b32 s14, exec_lo
	v_cmpx_gt_u32_e32 8, v68
; %bb.1003:                             ;   in Loop: Header=BB305_991 Depth=1
	s_delay_alu instid0(VALU_DEP_3) | instskip(NEXT) | instid1(VALU_DEP_1)
	v_clz_i32_u32_e32 v65, v65
	v_min_u32_e32 v65, 32, v65
	s_delay_alu instid0(VALU_DEP_1) | instskip(NEXT) | instid1(VALU_DEP_1)
	v_subrev_nc_u32_e32 v67, 28, v65
	v_lshlrev_b64_e32 v[68:69], v67, v[0:1]
	v_sub_nc_u32_e32 v67, 29, v65
	s_delay_alu instid0(VALU_DEP_2)
	v_and_b32_e32 v65, 7, v68
; %bb.1004:                             ;   in Loop: Header=BB305_991 Depth=1
	s_wait_alu 0xfffe
	s_or_b32 exec_lo, exec_lo, s14
	v_lshlrev_b32_e32 v0, 8, v66
	v_lshl_add_u32 v66, v67, 10, 0x2000
	v_lshlrev_b32_e32 v65, 23, v65
	s_delay_alu instid0(VALU_DEP_2) | instskip(NEXT) | instid1(VALU_DEP_1)
	v_and_or_b32 v0, 0x8000, v0, v66
	v_lshl_or_b32 v65, v0, 16, v65
.LBB305_1005:                           ;   in Loop: Header=BB305_991 Depth=1
	s_wait_alu 0xfffe
	s_or_b32 exec_lo, exec_lo, s13
.LBB305_1006:                           ;   in Loop: Header=BB305_991 Depth=1
	s_wait_alu 0xfffe
	s_or_b32 exec_lo, exec_lo, s12
.LBB305_1007:                           ;   in Loop: Header=BB305_991 Depth=1
	s_wait_alu 0xfffe
	s_or_b32 exec_lo, exec_lo, s0
	v_lshrrev_b32_e32 v0, 16, v10
	s_mov_b32 s0, exec_lo
	s_delay_alu instid0(VALU_DEP_1) | instskip(NEXT) | instid1(VALU_DEP_1)
	v_and_b32_e32 v66, 0xff, v0
	v_cmpx_ne_u16_e32 0, v66
	s_cbranch_execz .LBB305_1015
; %bb.1008:                             ;   in Loop: Header=BB305_991 Depth=1
	v_mov_b32_e32 v35, 0x8000
	s_mov_b32 s12, exec_lo
	v_cmpx_ne_u16_e32 0x80, v66
	s_cbranch_execz .LBB305_1014
; %bb.1009:                             ;   in Loop: Header=BB305_991 Depth=1
	v_bfe_u32 v67, v10, 16, 7
	v_mov_b32_e32 v35, 0x7c01
	s_mov_b32 s13, exec_lo
	s_delay_alu instid0(VALU_DEP_2)
	v_cmpx_ne_u32_e32 0x7f, v67
	s_cbranch_execz .LBB305_1013
; %bb.1010:                             ;   in Loop: Header=BB305_991 Depth=1
	v_and_b32_e32 v35, 7, v0
	v_lshrrev_b32_e32 v66, 3, v67
	s_mov_b32 s14, exec_lo
	v_cmpx_gt_u32_e32 8, v67
; %bb.1011:                             ;   in Loop: Header=BB305_991 Depth=1
	s_delay_alu instid0(VALU_DEP_3) | instskip(NEXT) | instid1(VALU_DEP_1)
	v_clz_i32_u32_e32 v35, v35
	v_min_u32_e32 v35, 32, v35
	s_delay_alu instid0(VALU_DEP_1) | instskip(NEXT) | instid1(VALU_DEP_1)
	v_subrev_nc_u32_e32 v66, 28, v35
	v_lshlrev_b64_e32 v[67:68], v66, v[0:1]
	v_sub_nc_u32_e32 v66, 29, v35
	s_delay_alu instid0(VALU_DEP_2)
	v_and_b32_e32 v35, 7, v67
; %bb.1012:                             ;   in Loop: Header=BB305_991 Depth=1
	s_wait_alu 0xfffe
	s_or_b32 exec_lo, exec_lo, s14
	v_lshlrev_b32_e32 v0, 8, v0
	v_lshl_add_u32 v66, v66, 10, 0x2000
	v_lshlrev_b32_e32 v35, 7, v35
	s_delay_alu instid0(VALU_DEP_3) | instskip(NEXT) | instid1(VALU_DEP_3)
	v_and_b32_e32 v0, 0x8000, v0
	v_and_b32_e32 v66, 0xfc00, v66
	s_delay_alu instid0(VALU_DEP_1)
	v_or3_b32 v35, v0, v66, v35
.LBB305_1013:                           ;   in Loop: Header=BB305_991 Depth=1
	s_wait_alu 0xfffe
	s_or_b32 exec_lo, exec_lo, s13
.LBB305_1014:                           ;   in Loop: Header=BB305_991 Depth=1
	s_wait_alu 0xfffe
	s_or_b32 exec_lo, exec_lo, s12
.LBB305_1015:                           ;   in Loop: Header=BB305_991 Depth=1
	s_wait_alu 0xfffe
	s_or_b32 exec_lo, exec_lo, s0
	v_dual_mov_b32 v66, 0 :: v_dual_mov_b32 v67, 0
	s_mov_b32 s0, exec_lo
	v_cmpx_lt_u32_e32 0xffffff, v10
	s_cbranch_execz .LBB305_1023
; %bb.1016:                             ;   in Loop: Header=BB305_991 Depth=1
	v_lshrrev_b32_e32 v0, 24, v10
	v_bfrev_b32_e32 v67, 1
	s_mov_b32 s12, exec_lo
	s_delay_alu instid0(VALU_DEP_2)
	v_cmpx_ne_u32_e32 0x80, v0
	s_cbranch_execz .LBB305_1022
; %bb.1017:                             ;   in Loop: Header=BB305_991 Depth=1
	v_and_b32_e32 v69, 0x7f, v0
	v_mov_b32_e32 v67, 0x7c010000
	s_mov_b32 s13, exec_lo
	s_delay_alu instid0(VALU_DEP_2)
	v_cmpx_ne_u32_e32 0x7f, v69
	s_cbranch_execz .LBB305_1021
; %bb.1018:                             ;   in Loop: Header=BB305_991 Depth=1
	v_and_b32_e32 v67, 7, v0
	v_lshrrev_b32_e32 v68, 3, v69
	s_mov_b32 s14, exec_lo
	v_cmpx_gt_u32_e32 8, v69
; %bb.1019:                             ;   in Loop: Header=BB305_991 Depth=1
	s_delay_alu instid0(VALU_DEP_3) | instskip(NEXT) | instid1(VALU_DEP_1)
	v_clz_i32_u32_e32 v67, v67
	v_min_u32_e32 v69, 32, v67
	s_delay_alu instid0(VALU_DEP_1) | instskip(NEXT) | instid1(VALU_DEP_1)
	v_subrev_nc_u32_e32 v67, 28, v69
	v_lshlrev_b64_e32 v[67:68], v67, v[0:1]
	v_sub_nc_u32_e32 v68, 29, v69
	s_delay_alu instid0(VALU_DEP_2)
	v_and_b32_e32 v67, 7, v67
; %bb.1020:                             ;   in Loop: Header=BB305_991 Depth=1
	s_wait_alu 0xfffe
	s_or_b32 exec_lo, exec_lo, s14
	v_lshlrev_b32_e32 v0, 8, v0
	v_lshl_add_u32 v68, v68, 10, 0x2000
	v_lshlrev_b32_e32 v67, 23, v67
	s_delay_alu instid0(VALU_DEP_2) | instskip(NEXT) | instid1(VALU_DEP_1)
	v_and_or_b32 v0, 0x8000, v0, v68
	v_lshl_or_b32 v67, v0, 16, v67
.LBB305_1021:                           ;   in Loop: Header=BB305_991 Depth=1
	s_wait_alu 0xfffe
	s_or_b32 exec_lo, exec_lo, s13
.LBB305_1022:                           ;   in Loop: Header=BB305_991 Depth=1
	s_wait_alu 0xfffe
	s_or_b32 exec_lo, exec_lo, s12
.LBB305_1023:                           ;   in Loop: Header=BB305_991 Depth=1
	s_wait_alu 0xfffe
	s_or_b32 exec_lo, exec_lo, s0
	v_and_b32_e32 v68, 0xff, v11
	v_mov_b32_e32 v0, v11
	s_mov_b32 s0, exec_lo
	s_delay_alu instid0(VALU_DEP_2)
	v_cmpx_ne_u16_e32 0, v68
	s_cbranch_execz .LBB305_1031
; %bb.1024:                             ;   in Loop: Header=BB305_991 Depth=1
	v_mov_b32_e32 v66, 0x8000
	s_mov_b32 s12, exec_lo
	v_cmpx_ne_u16_e32 0x80, v68
	s_cbranch_execz .LBB305_1030
; %bb.1025:                             ;   in Loop: Header=BB305_991 Depth=1
	v_and_b32_e32 v69, 0x7f, v11
	v_mov_b32_e32 v66, 0x7c01
	s_mov_b32 s13, exec_lo
	s_delay_alu instid0(VALU_DEP_2)
	v_cmpx_ne_u32_e32 0x7f, v69
	s_cbranch_execz .LBB305_1029
; %bb.1026:                             ;   in Loop: Header=BB305_991 Depth=1
	v_and_b32_e32 v66, 7, v11
	v_lshrrev_b32_e32 v68, 3, v69
	s_mov_b32 s14, exec_lo
	v_cmpx_gt_u32_e32 8, v69
; %bb.1027:                             ;   in Loop: Header=BB305_991 Depth=1
	s_delay_alu instid0(VALU_DEP_3) | instskip(NEXT) | instid1(VALU_DEP_1)
	v_clz_i32_u32_e32 v66, v66
	v_min_u32_e32 v66, 32, v66
	s_delay_alu instid0(VALU_DEP_1) | instskip(NEXT) | instid1(VALU_DEP_1)
	v_subrev_nc_u32_e32 v68, 28, v66
	v_lshlrev_b64_e32 v[69:70], v68, v[0:1]
	v_sub_nc_u32_e32 v68, 29, v66
	s_delay_alu instid0(VALU_DEP_2)
	v_and_b32_e32 v66, 7, v69
; %bb.1028:                             ;   in Loop: Header=BB305_991 Depth=1
	s_wait_alu 0xfffe
	s_or_b32 exec_lo, exec_lo, s14
	v_lshlrev_b32_e32 v69, 8, v11
	v_lshl_add_u32 v68, v68, 10, 0x2000
	v_lshlrev_b32_e32 v66, 7, v66
	s_delay_alu instid0(VALU_DEP_3) | instskip(NEXT) | instid1(VALU_DEP_3)
	v_and_b32_e32 v69, 0x8000, v69
	v_and_b32_e32 v68, 0xfc00, v68
	s_delay_alu instid0(VALU_DEP_1)
	v_or3_b32 v66, v69, v68, v66
.LBB305_1029:                           ;   in Loop: Header=BB305_991 Depth=1
	s_wait_alu 0xfffe
	s_or_b32 exec_lo, exec_lo, s13
.LBB305_1030:                           ;   in Loop: Header=BB305_991 Depth=1
	s_wait_alu 0xfffe
	s_or_b32 exec_lo, exec_lo, s12
.LBB305_1031:                           ;   in Loop: Header=BB305_991 Depth=1
	s_wait_alu 0xfffe
	s_or_b32 exec_lo, exec_lo, s0
	v_lshrrev_b16 v0, 8, v0
	v_dual_mov_b32 v69, 0 :: v_dual_mov_b32 v68, 0
	s_mov_b32 s0, exec_lo
	s_delay_alu instid0(VALU_DEP_2)
	v_cmpx_ne_u16_e32 0, v0
	s_cbranch_execz .LBB305_1039
; %bb.1032:                             ;   in Loop: Header=BB305_991 Depth=1
	v_bfrev_b32_e32 v68, 1
	s_mov_b32 s12, exec_lo
	v_cmpx_ne_u16_e32 0x80, v0
	s_cbranch_execz .LBB305_1038
; %bb.1033:                             ;   in Loop: Header=BB305_991 Depth=1
	v_and_b32_e32 v70, 0xffff, v0
	v_mov_b32_e32 v68, 0x7c010000
	s_mov_b32 s13, exec_lo
	s_delay_alu instid0(VALU_DEP_2) | instskip(NEXT) | instid1(VALU_DEP_1)
	v_and_b32_e32 v80, 0x7f, v70
	v_cmpx_ne_u32_e32 0x7f, v80
	s_cbranch_execz .LBB305_1037
; %bb.1034:                             ;   in Loop: Header=BB305_991 Depth=1
	v_and_b32_e32 v68, 7, v70
	v_lshrrev_b32_e32 v71, 3, v80
	s_mov_b32 s14, exec_lo
	v_cmpx_gt_u32_e32 8, v80
; %bb.1035:                             ;   in Loop: Header=BB305_991 Depth=1
	s_delay_alu instid0(VALU_DEP_3) | instskip(NEXT) | instid1(VALU_DEP_1)
	v_clz_i32_u32_e32 v68, v68
	v_min_u32_e32 v68, 32, v68
	s_delay_alu instid0(VALU_DEP_1) | instskip(NEXT) | instid1(VALU_DEP_1)
	v_subrev_nc_u32_e32 v71, 28, v68
	v_lshlrev_b64_e32 v[80:81], v71, v[0:1]
	v_sub_nc_u32_e32 v71, 29, v68
	s_delay_alu instid0(VALU_DEP_2)
	v_and_b32_e32 v68, 7, v80
; %bb.1036:                             ;   in Loop: Header=BB305_991 Depth=1
	s_wait_alu 0xfffe
	s_or_b32 exec_lo, exec_lo, s14
	v_lshlrev_b32_e32 v0, 8, v70
	v_lshl_add_u32 v70, v71, 10, 0x2000
	v_lshlrev_b32_e32 v68, 23, v68
	s_delay_alu instid0(VALU_DEP_2) | instskip(NEXT) | instid1(VALU_DEP_1)
	v_and_or_b32 v0, 0x8000, v0, v70
	v_lshl_or_b32 v68, v0, 16, v68
.LBB305_1037:                           ;   in Loop: Header=BB305_991 Depth=1
	s_wait_alu 0xfffe
	s_or_b32 exec_lo, exec_lo, s13
.LBB305_1038:                           ;   in Loop: Header=BB305_991 Depth=1
	s_wait_alu 0xfffe
	s_or_b32 exec_lo, exec_lo, s12
.LBB305_1039:                           ;   in Loop: Header=BB305_991 Depth=1
	s_wait_alu 0xfffe
	s_or_b32 exec_lo, exec_lo, s0
	v_lshrrev_b32_e32 v0, 16, v11
	s_mov_b32 s0, exec_lo
	s_delay_alu instid0(VALU_DEP_1) | instskip(NEXT) | instid1(VALU_DEP_1)
	v_and_b32_e32 v70, 0xff, v0
	v_cmpx_ne_u16_e32 0, v70
	s_cbranch_execz .LBB305_1047
; %bb.1040:                             ;   in Loop: Header=BB305_991 Depth=1
	v_mov_b32_e32 v69, 0x8000
	s_mov_b32 s12, exec_lo
	v_cmpx_ne_u16_e32 0x80, v70
	s_cbranch_execz .LBB305_1046
; %bb.1041:                             ;   in Loop: Header=BB305_991 Depth=1
	v_bfe_u32 v71, v11, 16, 7
	v_mov_b32_e32 v69, 0x7c01
	s_mov_b32 s13, exec_lo
	s_delay_alu instid0(VALU_DEP_2)
	v_cmpx_ne_u32_e32 0x7f, v71
	s_cbranch_execz .LBB305_1045
; %bb.1042:                             ;   in Loop: Header=BB305_991 Depth=1
	v_and_b32_e32 v69, 7, v0
	v_lshrrev_b32_e32 v70, 3, v71
	s_mov_b32 s14, exec_lo
	v_cmpx_gt_u32_e32 8, v71
; %bb.1043:                             ;   in Loop: Header=BB305_991 Depth=1
	s_delay_alu instid0(VALU_DEP_3) | instskip(NEXT) | instid1(VALU_DEP_1)
	v_clz_i32_u32_e32 v69, v69
	v_min_u32_e32 v71, 32, v69
	s_delay_alu instid0(VALU_DEP_1) | instskip(NEXT) | instid1(VALU_DEP_1)
	v_subrev_nc_u32_e32 v69, 28, v71
	v_lshlrev_b64_e32 v[69:70], v69, v[0:1]
	v_sub_nc_u32_e32 v70, 29, v71
	s_delay_alu instid0(VALU_DEP_2)
	v_and_b32_e32 v69, 7, v69
; %bb.1044:                             ;   in Loop: Header=BB305_991 Depth=1
	s_wait_alu 0xfffe
	s_or_b32 exec_lo, exec_lo, s14
	v_lshlrev_b32_e32 v0, 8, v0
	v_lshl_add_u32 v70, v70, 10, 0x2000
	v_lshlrev_b32_e32 v69, 7, v69
	s_delay_alu instid0(VALU_DEP_3) | instskip(NEXT) | instid1(VALU_DEP_3)
	v_and_b32_e32 v0, 0x8000, v0
	v_and_b32_e32 v70, 0xfc00, v70
	s_delay_alu instid0(VALU_DEP_1)
	v_or3_b32 v69, v0, v70, v69
.LBB305_1045:                           ;   in Loop: Header=BB305_991 Depth=1
	s_wait_alu 0xfffe
	s_or_b32 exec_lo, exec_lo, s13
.LBB305_1046:                           ;   in Loop: Header=BB305_991 Depth=1
	s_wait_alu 0xfffe
	s_or_b32 exec_lo, exec_lo, s12
.LBB305_1047:                           ;   in Loop: Header=BB305_991 Depth=1
	s_wait_alu 0xfffe
	s_or_b32 exec_lo, exec_lo, s0
	v_cmp_lt_u64_e32 vcc_lo, s[8:9], v[10:11]
	v_mov_b32_e32 v10, 0
	s_and_saveexec_b32 s0, vcc_lo
	s_cbranch_execz .LBB305_1055
; %bb.1048:                             ;   in Loop: Header=BB305_991 Depth=1
	v_lshrrev_b32_e32 v0, 24, v11
	v_bfrev_b32_e32 v10, 1
	s_mov_b32 s12, exec_lo
	s_delay_alu instid0(VALU_DEP_2)
	v_cmpx_ne_u32_e32 0x80, v0
	s_cbranch_execz .LBB305_1054
; %bb.1049:                             ;   in Loop: Header=BB305_991 Depth=1
	v_and_b32_e32 v70, 0x7f, v0
	v_mov_b32_e32 v10, 0x7c010000
	s_mov_b32 s13, exec_lo
	s_delay_alu instid0(VALU_DEP_2)
	v_cmpx_ne_u32_e32 0x7f, v70
	s_cbranch_execz .LBB305_1053
; %bb.1050:                             ;   in Loop: Header=BB305_991 Depth=1
	v_and_b32_e32 v10, 7, v0
	v_lshrrev_b32_e32 v11, 3, v70
	s_mov_b32 s14, exec_lo
	v_cmpx_gt_u32_e32 8, v70
; %bb.1051:                             ;   in Loop: Header=BB305_991 Depth=1
	s_delay_alu instid0(VALU_DEP_3) | instskip(NEXT) | instid1(VALU_DEP_1)
	v_clz_i32_u32_e32 v10, v10
	v_min_u32_e32 v70, 32, v10
	s_delay_alu instid0(VALU_DEP_1) | instskip(NEXT) | instid1(VALU_DEP_1)
	v_subrev_nc_u32_e32 v10, 28, v70
	v_lshlrev_b64_e32 v[10:11], v10, v[0:1]
	v_sub_nc_u32_e32 v11, 29, v70
	s_delay_alu instid0(VALU_DEP_2)
	v_and_b32_e32 v10, 7, v10
; %bb.1052:                             ;   in Loop: Header=BB305_991 Depth=1
	s_wait_alu 0xfffe
	s_or_b32 exec_lo, exec_lo, s14
	v_lshlrev_b32_e32 v0, 8, v0
	v_lshl_add_u32 v11, v11, 10, 0x2000
	v_lshlrev_b32_e32 v10, 23, v10
	s_delay_alu instid0(VALU_DEP_2) | instskip(NEXT) | instid1(VALU_DEP_1)
	v_and_or_b32 v0, 0x8000, v0, v11
	v_lshl_or_b32 v10, v0, 16, v10
.LBB305_1053:                           ;   in Loop: Header=BB305_991 Depth=1
	s_wait_alu 0xfffe
	s_or_b32 exec_lo, exec_lo, s13
.LBB305_1054:                           ;   in Loop: Header=BB305_991 Depth=1
	s_wait_alu 0xfffe
	s_or_b32 exec_lo, exec_lo, s12
.LBB305_1055:                           ;   in Loop: Header=BB305_991 Depth=1
	s_wait_alu 0xfffe
	s_or_b32 exec_lo, exec_lo, s0
	v_or_b32_e32 v0, v67, v35
	s_wait_loadcnt_dscnt 0x0
	v_fma_mixlo_f16 v11, v55, v67, 0 op_sel:[0,1,0] op_sel_hi:[0,1,0]
	v_or_b32_e32 v64, v65, v64
	v_fma_mixlo_f16 v65, v55, v65, 0 op_sel:[0,1,0] op_sel_hi:[0,1,0]
	v_or_b32_e32 v66, v68, v66
	v_fma_mixlo_f16 v0, v55, v0, 0 op_sel_hi:[0,1,0]
	v_or_b32_e32 v67, v10, v69
	v_fma_mixlo_f16 v10, v55, v10, 0 op_sel:[0,1,0] op_sel_hi:[0,1,0]
	v_lshlrev_b32_e32 v83, 16, v65
	v_fma_mixlo_f16 v65, v55, v66, 0 op_sel_hi:[0,1,0]
	v_and_b32_e32 v80, 0xffff, v0
	v_fma_mixlo_f16 v0, v55, v64, 0 op_sel_hi:[0,1,0]
	v_fma_mixlo_f16 v64, v55, v68, 0 op_sel:[0,1,0] op_sel_hi:[0,1,0]
	v_fma_mixlo_f16 v66, v55, v67, 0 op_sel_hi:[0,1,0]
	v_lshlrev_b32_e32 v11, 16, v11
	v_and_b32_e32 v84, 0xffff, v65
	v_and_b32_e32 v85, 0xffff, v0
	v_lshlrev_b32_e32 v81, 16, v64
	v_lshlrev_b32_e32 v55, 16, v10
	v_and_b32_e32 v82, 0xffff, v66
	v_add_nc_u32_e32 v35, -7, v14
	v_cmp_eq_u32_e32 vcc_lo, v34, v32
	v_or_b32_e32 v0, v11, v80
	v_or_b32_e32 v10, v83, v85
	;; [unrolled: 1-line block ×4, first 2 shown]
	v_add_nc_u32_e32 v70, -6, v14
	v_add_nc_u32_e32 v69, -5, v14
	;; [unrolled: 1-line block ×6, first 2 shown]
	s_and_saveexec_b32 s12, vcc_lo
	s_cbranch_execz .LBB305_1057
; %bb.1056:                             ;   in Loop: Header=BB305_991 Depth=1
	v_cmp_lt_i32_e64 s0, v35, v30
	s_wait_alu 0xf1ff
	s_delay_alu instid0(VALU_DEP_1) | instskip(SKIP_2) | instid1(VALU_DEP_1)
	v_cndmask_b32_e64 v0, 0, v85, s0
	v_cmp_lt_i32_e64 s0, v70, v30
	s_wait_alu 0xf1ff
	v_cndmask_b32_e64 v10, 0, v83, s0
	v_cmp_lt_i32_e64 s0, v69, v30
	s_delay_alu instid0(VALU_DEP_2) | instskip(SKIP_1) | instid1(VALU_DEP_2)
	v_or_b32_e32 v10, v0, v10
	s_wait_alu 0xf1ff
	v_cndmask_b32_e64 v64, 0, v80, s0
	v_cmp_lt_i32_e64 s0, v68, v30
	s_wait_alu 0xf1ff
	s_delay_alu instid0(VALU_DEP_1) | instskip(SKIP_1) | instid1(VALU_DEP_2)
	v_cndmask_b32_e64 v11, 0, v11, s0
	v_cmp_lt_i32_e64 s0, v67, v30
	v_or_b32_e32 v0, v64, v11
	s_wait_alu 0xf1ff
	s_delay_alu instid0(VALU_DEP_2) | instskip(SKIP_2) | instid1(VALU_DEP_1)
	v_cndmask_b32_e64 v71, 0, v84, s0
	v_cmp_lt_i32_e64 s0, v66, v30
	s_wait_alu 0xf1ff
	v_cndmask_b32_e64 v80, 0, v81, s0
	v_cmp_lt_i32_e64 s0, v65, v30
	s_delay_alu instid0(VALU_DEP_2) | instskip(SKIP_1) | instid1(VALU_DEP_2)
	v_or_b32_e32 v64, v71, v80
	s_wait_alu 0xf1ff
	v_cndmask_b32_e64 v81, 0, v82, s0
	v_cmp_lt_i32_e64 s0, v14, v30
	s_wait_alu 0xf1ff
	s_delay_alu instid0(VALU_DEP_1) | instskip(NEXT) | instid1(VALU_DEP_1)
	v_cndmask_b32_e64 v55, 0, v55, s0
	v_or_b32_e32 v71, v81, v55
.LBB305_1057:                           ;   in Loop: Header=BB305_991 Depth=1
	s_wait_alu 0xfffe
	s_or_b32 exec_lo, exec_lo, s12
	v_and_b32_e32 v4, 0xffff, v4
	v_and_b32_e32 v11, 0xffff, v37
	;; [unrolled: 1-line block ×4, first 2 shown]
	s_mov_b32 s12, exec_lo
	v_lshl_or_b32 v55, v5, 16, v4
	v_lshl_or_b32 v53, v23, 16, v11
	;;#ASMSTART
	v_pk_mul_f16 v4, v55, v10;

	;;#ASMEND
	;;#ASMSTART
	v_pk_mul_f16 v0, v53, v0;

	;;#ASMEND
	v_lshl_or_b32 v37, v31, 16, v37
	;;#ASMSTART
	v_pk_mul_f16 v5, v37, v64;

	;;#ASMEND
	v_mov_b32_e32 v23, 0
	v_lshl_or_b32 v36, v36, 16, v54
	;;#ASMSTART
	v_pk_mul_f16 v10, v36, v71;

	;;#ASMEND
	;;#ASMSTART
	v_pk_add_f16 v0, v4, v0;

	;;#ASMEND
	;;#ASMSTART
	v_pk_add_f16 v0, v0, v5;
	;; [unrolled: 4-line block ×3, first 2 shown]

	;;#ASMEND
	v_and_b32_e32 v4, 0xffff, v0
	v_lshrrev_b32_e32 v0, 16, v0
	;;#ASMSTART
	v_cvt_f32_f16 v54, v4;
	;;#ASMEND
	;;#ASMSTART
	v_cvt_f32_f16 v64, v0;
	;;#ASMEND
	flat_load_b64 v[10:11], v[8:9] offset:256
	flat_load_b32 v4, v[26:27]
	s_wait_loadcnt_dscnt 0x101
	v_dual_mov_b32 v5, 0 :: v_dual_and_b32 v0, 0xff, v10
	s_delay_alu instid0(VALU_DEP_1)
	v_cmpx_ne_u16_e32 0, v0
	s_cbranch_execz .LBB305_1065
; %bb.1058:                             ;   in Loop: Header=BB305_991 Depth=1
	v_mov_b32_e32 v23, 0x8000
	s_mov_b32 s13, exec_lo
	v_cmpx_ne_u16_e32 0x80, v0
	s_cbranch_execz .LBB305_1064
; %bb.1059:                             ;   in Loop: Header=BB305_991 Depth=1
	v_and_b32_e32 v31, 0x7f, v10
	v_mov_b32_e32 v23, 0x7c01
	s_mov_b32 s14, exec_lo
	s_delay_alu instid0(VALU_DEP_2)
	v_cmpx_ne_u32_e32 0x7f, v31
	s_cbranch_execz .LBB305_1063
; %bb.1060:                             ;   in Loop: Header=BB305_991 Depth=1
	v_and_b32_e32 v0, 7, v10
	v_lshrrev_b32_e32 v23, 3, v31
	s_mov_b32 s15, exec_lo
	v_cmpx_gt_u32_e32 8, v31
; %bb.1061:                             ;   in Loop: Header=BB305_991 Depth=1
	s_delay_alu instid0(VALU_DEP_3) | instskip(NEXT) | instid1(VALU_DEP_1)
	v_clz_i32_u32_e32 v0, v0
	v_min_u32_e32 v0, 32, v0
	s_delay_alu instid0(VALU_DEP_1) | instskip(NEXT) | instid1(VALU_DEP_1)
	v_subrev_nc_u32_e32 v23, 28, v0
	v_lshlrev_b64_e32 v[80:81], v23, v[10:11]
	v_sub_nc_u32_e32 v23, 29, v0
	s_delay_alu instid0(VALU_DEP_2)
	v_and_b32_e32 v0, 7, v80
; %bb.1062:                             ;   in Loop: Header=BB305_991 Depth=1
	s_wait_alu 0xfffe
	s_or_b32 exec_lo, exec_lo, s15
	v_lshlrev_b32_e32 v31, 8, v10
	v_lshl_add_u32 v23, v23, 10, 0x2000
	v_lshlrev_b32_e32 v0, 7, v0
	s_delay_alu instid0(VALU_DEP_3) | instskip(NEXT) | instid1(VALU_DEP_3)
	v_and_b32_e32 v31, 0x8000, v31
	v_and_b32_e32 v23, 0xfc00, v23
	s_delay_alu instid0(VALU_DEP_1)
	v_or3_b32 v23, v31, v23, v0
.LBB305_1063:                           ;   in Loop: Header=BB305_991 Depth=1
	s_wait_alu 0xfffe
	s_or_b32 exec_lo, exec_lo, s14
.LBB305_1064:                           ;   in Loop: Header=BB305_991 Depth=1
	s_wait_alu 0xfffe
	s_or_b32 exec_lo, exec_lo, s13
.LBB305_1065:                           ;   in Loop: Header=BB305_991 Depth=1
	s_wait_alu 0xfffe
	s_or_b32 exec_lo, exec_lo, s12
	v_lshrrev_b16 v0, 8, v10
	s_mov_b32 s12, exec_lo
	s_delay_alu instid0(VALU_DEP_1)
	v_cmpx_ne_u16_e32 0, v0
	s_cbranch_execz .LBB305_1073
; %bb.1066:                             ;   in Loop: Header=BB305_991 Depth=1
	v_bfrev_b32_e32 v5, 1
	s_mov_b32 s13, exec_lo
	v_cmpx_ne_u16_e32 0x80, v0
	s_cbranch_execz .LBB305_1072
; %bb.1067:                             ;   in Loop: Header=BB305_991 Depth=1
	v_and_b32_e32 v31, 0xffff, v0
	v_mov_b32_e32 v5, 0x7c010000
	s_mov_b32 s14, exec_lo
	s_delay_alu instid0(VALU_DEP_2) | instskip(NEXT) | instid1(VALU_DEP_1)
	v_and_b32_e32 v80, 0x7f, v31
	v_cmpx_ne_u32_e32 0x7f, v80
	s_cbranch_execz .LBB305_1071
; %bb.1068:                             ;   in Loop: Header=BB305_991 Depth=1
	v_and_b32_e32 v5, 7, v31
	v_lshrrev_b32_e32 v71, 3, v80
	s_mov_b32 s15, exec_lo
	v_cmpx_gt_u32_e32 8, v80
; %bb.1069:                             ;   in Loop: Header=BB305_991 Depth=1
	s_delay_alu instid0(VALU_DEP_3) | instskip(NEXT) | instid1(VALU_DEP_1)
	v_clz_i32_u32_e32 v5, v5
	v_min_u32_e32 v5, 32, v5
	s_delay_alu instid0(VALU_DEP_1) | instskip(NEXT) | instid1(VALU_DEP_1)
	v_subrev_nc_u32_e32 v71, 28, v5
	v_lshlrev_b64_e32 v[80:81], v71, v[0:1]
	v_sub_nc_u32_e32 v71, 29, v5
	s_delay_alu instid0(VALU_DEP_2)
	v_and_b32_e32 v5, 7, v80
; %bb.1070:                             ;   in Loop: Header=BB305_991 Depth=1
	s_wait_alu 0xfffe
	s_or_b32 exec_lo, exec_lo, s15
	v_lshlrev_b32_e32 v0, 8, v31
	v_lshl_add_u32 v31, v71, 10, 0x2000
	v_lshlrev_b32_e32 v5, 23, v5
	s_delay_alu instid0(VALU_DEP_2) | instskip(NEXT) | instid1(VALU_DEP_1)
	v_and_or_b32 v0, 0x8000, v0, v31
	v_lshl_or_b32 v5, v0, 16, v5
.LBB305_1071:                           ;   in Loop: Header=BB305_991 Depth=1
	s_wait_alu 0xfffe
	s_or_b32 exec_lo, exec_lo, s14
.LBB305_1072:                           ;   in Loop: Header=BB305_991 Depth=1
	s_wait_alu 0xfffe
	s_or_b32 exec_lo, exec_lo, s13
.LBB305_1073:                           ;   in Loop: Header=BB305_991 Depth=1
	s_wait_alu 0xfffe
	s_or_b32 exec_lo, exec_lo, s12
	v_lshrrev_b32_e32 v0, 16, v10
	v_mov_b32_e32 v71, 0
	s_mov_b32 s12, exec_lo
	s_delay_alu instid0(VALU_DEP_2) | instskip(NEXT) | instid1(VALU_DEP_1)
	v_dual_mov_b32 v31, 0 :: v_dual_and_b32 v80, 0xff, v0
	v_cmpx_ne_u16_e32 0, v80
	s_cbranch_execz .LBB305_1081
; %bb.1074:                             ;   in Loop: Header=BB305_991 Depth=1
	v_mov_b32_e32 v71, 0x8000
	s_mov_b32 s13, exec_lo
	v_cmpx_ne_u16_e32 0x80, v80
	s_cbranch_execz .LBB305_1080
; %bb.1075:                             ;   in Loop: Header=BB305_991 Depth=1
	v_bfe_u32 v81, v10, 16, 7
	v_mov_b32_e32 v71, 0x7c01
	s_mov_b32 s14, exec_lo
	s_delay_alu instid0(VALU_DEP_2)
	v_cmpx_ne_u32_e32 0x7f, v81
	s_cbranch_execz .LBB305_1079
; %bb.1076:                             ;   in Loop: Header=BB305_991 Depth=1
	v_and_b32_e32 v71, 7, v0
	v_lshrrev_b32_e32 v80, 3, v81
	s_mov_b32 s15, exec_lo
	v_cmpx_gt_u32_e32 8, v81
; %bb.1077:                             ;   in Loop: Header=BB305_991 Depth=1
	s_delay_alu instid0(VALU_DEP_3) | instskip(NEXT) | instid1(VALU_DEP_1)
	v_clz_i32_u32_e32 v71, v71
	v_min_u32_e32 v71, 32, v71
	s_delay_alu instid0(VALU_DEP_1) | instskip(NEXT) | instid1(VALU_DEP_1)
	v_subrev_nc_u32_e32 v80, 28, v71
	v_lshlrev_b64_e32 v[81:82], v80, v[0:1]
	v_sub_nc_u32_e32 v80, 29, v71
	s_delay_alu instid0(VALU_DEP_2)
	v_and_b32_e32 v71, 7, v81
; %bb.1078:                             ;   in Loop: Header=BB305_991 Depth=1
	s_wait_alu 0xfffe
	s_or_b32 exec_lo, exec_lo, s15
	v_lshlrev_b32_e32 v0, 8, v0
	v_lshl_add_u32 v80, v80, 10, 0x2000
	v_lshlrev_b32_e32 v71, 7, v71
	s_delay_alu instid0(VALU_DEP_3) | instskip(NEXT) | instid1(VALU_DEP_3)
	v_and_b32_e32 v0, 0x8000, v0
	v_and_b32_e32 v80, 0xfc00, v80
	s_delay_alu instid0(VALU_DEP_1)
	v_or3_b32 v71, v0, v80, v71
.LBB305_1079:                           ;   in Loop: Header=BB305_991 Depth=1
	s_wait_alu 0xfffe
	s_or_b32 exec_lo, exec_lo, s14
.LBB305_1080:                           ;   in Loop: Header=BB305_991 Depth=1
	s_wait_alu 0xfffe
	s_or_b32 exec_lo, exec_lo, s13
.LBB305_1081:                           ;   in Loop: Header=BB305_991 Depth=1
	s_wait_alu 0xfffe
	s_or_b32 exec_lo, exec_lo, s12
	s_delay_alu instid0(SALU_CYCLE_1)
	s_mov_b32 s12, exec_lo
	v_cmpx_lt_u32_e32 0xffffff, v10
	s_cbranch_execz .LBB305_1089
; %bb.1082:                             ;   in Loop: Header=BB305_991 Depth=1
	v_lshrrev_b32_e32 v0, 24, v10
	v_bfrev_b32_e32 v31, 1
	s_mov_b32 s13, exec_lo
	s_delay_alu instid0(VALU_DEP_2)
	v_cmpx_ne_u32_e32 0x80, v0
	s_cbranch_execz .LBB305_1088
; %bb.1083:                             ;   in Loop: Header=BB305_991 Depth=1
	v_and_b32_e32 v81, 0x7f, v0
	v_mov_b32_e32 v31, 0x7c010000
	s_mov_b32 s14, exec_lo
	s_delay_alu instid0(VALU_DEP_2)
	v_cmpx_ne_u32_e32 0x7f, v81
	s_cbranch_execz .LBB305_1087
; %bb.1084:                             ;   in Loop: Header=BB305_991 Depth=1
	v_and_b32_e32 v31, 7, v0
	v_lshrrev_b32_e32 v80, 3, v81
	s_mov_b32 s15, exec_lo
	v_cmpx_gt_u32_e32 8, v81
; %bb.1085:                             ;   in Loop: Header=BB305_991 Depth=1
	s_delay_alu instid0(VALU_DEP_3) | instskip(NEXT) | instid1(VALU_DEP_1)
	v_clz_i32_u32_e32 v31, v31
	v_min_u32_e32 v31, 32, v31
	s_delay_alu instid0(VALU_DEP_1) | instskip(NEXT) | instid1(VALU_DEP_1)
	v_subrev_nc_u32_e32 v80, 28, v31
	v_lshlrev_b64_e32 v[81:82], v80, v[0:1]
	v_sub_nc_u32_e32 v80, 29, v31
	s_delay_alu instid0(VALU_DEP_2)
	v_and_b32_e32 v31, 7, v81
; %bb.1086:                             ;   in Loop: Header=BB305_991 Depth=1
	s_wait_alu 0xfffe
	s_or_b32 exec_lo, exec_lo, s15
	v_lshlrev_b32_e32 v0, 8, v0
	v_lshl_add_u32 v80, v80, 10, 0x2000
	v_lshlrev_b32_e32 v31, 23, v31
	s_delay_alu instid0(VALU_DEP_2) | instskip(NEXT) | instid1(VALU_DEP_1)
	v_and_or_b32 v0, 0x8000, v0, v80
	v_lshl_or_b32 v31, v0, 16, v31
.LBB305_1087:                           ;   in Loop: Header=BB305_991 Depth=1
	s_wait_alu 0xfffe
	s_or_b32 exec_lo, exec_lo, s14
.LBB305_1088:                           ;   in Loop: Header=BB305_991 Depth=1
	s_wait_alu 0xfffe
	s_or_b32 exec_lo, exec_lo, s13
.LBB305_1089:                           ;   in Loop: Header=BB305_991 Depth=1
	s_wait_alu 0xfffe
	s_or_b32 exec_lo, exec_lo, s12
	v_dual_mov_b32 v81, 0 :: v_dual_and_b32 v82, 0xff, v11
	v_mov_b32_e32 v0, v11
	v_mov_b32_e32 v80, 0
	s_mov_b32 s12, exec_lo
	s_delay_alu instid0(VALU_DEP_3)
	v_cmpx_ne_u16_e32 0, v82
	s_cbranch_execz .LBB305_1097
; %bb.1090:                             ;   in Loop: Header=BB305_991 Depth=1
	v_mov_b32_e32 v81, 0x8000
	s_mov_b32 s13, exec_lo
	v_cmpx_ne_u16_e32 0x80, v82
	s_cbranch_execz .LBB305_1096
; %bb.1091:                             ;   in Loop: Header=BB305_991 Depth=1
	v_and_b32_e32 v83, 0x7f, v11
	v_mov_b32_e32 v81, 0x7c01
	s_mov_b32 s14, exec_lo
	s_delay_alu instid0(VALU_DEP_2)
	v_cmpx_ne_u32_e32 0x7f, v83
	s_cbranch_execz .LBB305_1095
; %bb.1092:                             ;   in Loop: Header=BB305_991 Depth=1
	v_and_b32_e32 v81, 7, v11
	v_lshrrev_b32_e32 v82, 3, v83
	s_mov_b32 s15, exec_lo
	v_cmpx_gt_u32_e32 8, v83
; %bb.1093:                             ;   in Loop: Header=BB305_991 Depth=1
	s_delay_alu instid0(VALU_DEP_3) | instskip(NEXT) | instid1(VALU_DEP_1)
	v_clz_i32_u32_e32 v81, v81
	v_min_u32_e32 v83, 32, v81
	s_delay_alu instid0(VALU_DEP_1) | instskip(NEXT) | instid1(VALU_DEP_1)
	v_subrev_nc_u32_e32 v81, 28, v83
	v_lshlrev_b64_e32 v[81:82], v81, v[0:1]
	v_sub_nc_u32_e32 v82, 29, v83
	s_delay_alu instid0(VALU_DEP_2)
	v_and_b32_e32 v81, 7, v81
; %bb.1094:                             ;   in Loop: Header=BB305_991 Depth=1
	s_wait_alu 0xfffe
	s_or_b32 exec_lo, exec_lo, s15
	v_lshlrev_b32_e32 v83, 8, v11
	v_lshl_add_u32 v82, v82, 10, 0x2000
	v_lshlrev_b32_e32 v81, 7, v81
	s_delay_alu instid0(VALU_DEP_3) | instskip(NEXT) | instid1(VALU_DEP_3)
	v_and_b32_e32 v83, 0x8000, v83
	v_and_b32_e32 v82, 0xfc00, v82
	s_delay_alu instid0(VALU_DEP_1)
	v_or3_b32 v81, v83, v82, v81
.LBB305_1095:                           ;   in Loop: Header=BB305_991 Depth=1
	s_wait_alu 0xfffe
	s_or_b32 exec_lo, exec_lo, s14
.LBB305_1096:                           ;   in Loop: Header=BB305_991 Depth=1
	s_wait_alu 0xfffe
	s_or_b32 exec_lo, exec_lo, s13
.LBB305_1097:                           ;   in Loop: Header=BB305_991 Depth=1
	s_wait_alu 0xfffe
	s_or_b32 exec_lo, exec_lo, s12
	v_lshrrev_b16 v0, 8, v0
	v_mov_b32_e32 v82, 0
	s_mov_b32 s12, exec_lo
	s_delay_alu instid0(VALU_DEP_2)
	v_cmpx_ne_u16_e32 0, v0
	s_cbranch_execz .LBB305_1105
; %bb.1098:                             ;   in Loop: Header=BB305_991 Depth=1
	v_bfrev_b32_e32 v82, 1
	s_mov_b32 s13, exec_lo
	v_cmpx_ne_u16_e32 0x80, v0
	s_cbranch_execz .LBB305_1104
; %bb.1099:                             ;   in Loop: Header=BB305_991 Depth=1
	v_and_b32_e32 v83, 0xffff, v0
	v_mov_b32_e32 v82, 0x7c010000
	s_mov_b32 s14, exec_lo
	s_delay_alu instid0(VALU_DEP_2) | instskip(NEXT) | instid1(VALU_DEP_1)
	v_and_b32_e32 v85, 0x7f, v83
	v_cmpx_ne_u32_e32 0x7f, v85
	s_cbranch_execz .LBB305_1103
; %bb.1100:                             ;   in Loop: Header=BB305_991 Depth=1
	v_and_b32_e32 v82, 7, v83
	v_lshrrev_b32_e32 v84, 3, v85
	s_mov_b32 s15, exec_lo
	v_cmpx_gt_u32_e32 8, v85
; %bb.1101:                             ;   in Loop: Header=BB305_991 Depth=1
	s_delay_alu instid0(VALU_DEP_3) | instskip(NEXT) | instid1(VALU_DEP_1)
	v_clz_i32_u32_e32 v82, v82
	v_min_u32_e32 v82, 32, v82
	s_delay_alu instid0(VALU_DEP_1) | instskip(NEXT) | instid1(VALU_DEP_1)
	v_subrev_nc_u32_e32 v84, 28, v82
	v_lshlrev_b64_e32 v[85:86], v84, v[0:1]
	v_sub_nc_u32_e32 v84, 29, v82
	s_delay_alu instid0(VALU_DEP_2)
	v_and_b32_e32 v82, 7, v85
; %bb.1102:                             ;   in Loop: Header=BB305_991 Depth=1
	s_wait_alu 0xfffe
	s_or_b32 exec_lo, exec_lo, s15
	v_lshlrev_b32_e32 v0, 8, v83
	v_lshl_add_u32 v83, v84, 10, 0x2000
	v_lshlrev_b32_e32 v82, 23, v82
	s_delay_alu instid0(VALU_DEP_2) | instskip(NEXT) | instid1(VALU_DEP_1)
	v_and_or_b32 v0, 0x8000, v0, v83
	v_lshl_or_b32 v82, v0, 16, v82
.LBB305_1103:                           ;   in Loop: Header=BB305_991 Depth=1
	s_wait_alu 0xfffe
	s_or_b32 exec_lo, exec_lo, s14
.LBB305_1104:                           ;   in Loop: Header=BB305_991 Depth=1
	s_wait_alu 0xfffe
	s_or_b32 exec_lo, exec_lo, s13
.LBB305_1105:                           ;   in Loop: Header=BB305_991 Depth=1
	s_wait_alu 0xfffe
	s_or_b32 exec_lo, exec_lo, s12
	v_lshrrev_b32_e32 v0, 16, v11
	s_mov_b32 s12, exec_lo
	s_delay_alu instid0(VALU_DEP_1) | instskip(NEXT) | instid1(VALU_DEP_1)
	v_and_b32_e32 v83, 0xff, v0
	v_cmpx_ne_u16_e32 0, v83
	s_cbranch_execz .LBB305_1113
; %bb.1106:                             ;   in Loop: Header=BB305_991 Depth=1
	v_mov_b32_e32 v80, 0x8000
	s_mov_b32 s13, exec_lo
	v_cmpx_ne_u16_e32 0x80, v83
	s_cbranch_execz .LBB305_1112
; %bb.1107:                             ;   in Loop: Header=BB305_991 Depth=1
	v_bfe_u32 v84, v11, 16, 7
	v_mov_b32_e32 v80, 0x7c01
	s_mov_b32 s14, exec_lo
	s_delay_alu instid0(VALU_DEP_2)
	v_cmpx_ne_u32_e32 0x7f, v84
	s_cbranch_execz .LBB305_1111
; %bb.1108:                             ;   in Loop: Header=BB305_991 Depth=1
	v_and_b32_e32 v80, 7, v0
	v_lshrrev_b32_e32 v83, 3, v84
	s_mov_b32 s15, exec_lo
	v_cmpx_gt_u32_e32 8, v84
; %bb.1109:                             ;   in Loop: Header=BB305_991 Depth=1
	s_delay_alu instid0(VALU_DEP_3) | instskip(NEXT) | instid1(VALU_DEP_1)
	v_clz_i32_u32_e32 v80, v80
	v_min_u32_e32 v80, 32, v80
	s_delay_alu instid0(VALU_DEP_1) | instskip(NEXT) | instid1(VALU_DEP_1)
	v_subrev_nc_u32_e32 v83, 28, v80
	v_lshlrev_b64_e32 v[84:85], v83, v[0:1]
	v_sub_nc_u32_e32 v83, 29, v80
	s_delay_alu instid0(VALU_DEP_2)
	v_and_b32_e32 v80, 7, v84
; %bb.1110:                             ;   in Loop: Header=BB305_991 Depth=1
	s_wait_alu 0xfffe
	s_or_b32 exec_lo, exec_lo, s15
	v_lshlrev_b32_e32 v0, 8, v0
	v_lshl_add_u32 v83, v83, 10, 0x2000
	v_lshlrev_b32_e32 v80, 7, v80
	s_delay_alu instid0(VALU_DEP_3) | instskip(NEXT) | instid1(VALU_DEP_3)
	v_and_b32_e32 v0, 0x8000, v0
	v_and_b32_e32 v83, 0xfc00, v83
	s_delay_alu instid0(VALU_DEP_1)
	v_or3_b32 v80, v0, v83, v80
.LBB305_1111:                           ;   in Loop: Header=BB305_991 Depth=1
	s_wait_alu 0xfffe
	s_or_b32 exec_lo, exec_lo, s14
.LBB305_1112:                           ;   in Loop: Header=BB305_991 Depth=1
	s_wait_alu 0xfffe
	s_or_b32 exec_lo, exec_lo, s13
.LBB305_1113:                           ;   in Loop: Header=BB305_991 Depth=1
	s_wait_alu 0xfffe
	s_or_b32 exec_lo, exec_lo, s12
	v_cmp_lt_u64_e64 s0, s[8:9], v[10:11]
	v_mov_b32_e32 v10, 0
	s_and_saveexec_b32 s12, s0
	s_cbranch_execz .LBB305_1121
; %bb.1114:                             ;   in Loop: Header=BB305_991 Depth=1
	v_lshrrev_b32_e32 v0, 24, v11
	v_bfrev_b32_e32 v10, 1
	s_mov_b32 s13, exec_lo
	s_delay_alu instid0(VALU_DEP_2)
	v_cmpx_ne_u32_e32 0x80, v0
	s_cbranch_execz .LBB305_1120
; %bb.1115:                             ;   in Loop: Header=BB305_991 Depth=1
	v_and_b32_e32 v83, 0x7f, v0
	v_mov_b32_e32 v10, 0x7c010000
	s_mov_b32 s14, exec_lo
	s_delay_alu instid0(VALU_DEP_2)
	v_cmpx_ne_u32_e32 0x7f, v83
	s_cbranch_execz .LBB305_1119
; %bb.1116:                             ;   in Loop: Header=BB305_991 Depth=1
	v_and_b32_e32 v10, 7, v0
	v_lshrrev_b32_e32 v11, 3, v83
	s_mov_b32 s15, exec_lo
	v_cmpx_gt_u32_e32 8, v83
; %bb.1117:                             ;   in Loop: Header=BB305_991 Depth=1
	s_delay_alu instid0(VALU_DEP_3) | instskip(NEXT) | instid1(VALU_DEP_1)
	v_clz_i32_u32_e32 v10, v10
	v_min_u32_e32 v83, 32, v10
	s_delay_alu instid0(VALU_DEP_1) | instskip(NEXT) | instid1(VALU_DEP_1)
	v_subrev_nc_u32_e32 v10, 28, v83
	v_lshlrev_b64_e32 v[10:11], v10, v[0:1]
	v_sub_nc_u32_e32 v11, 29, v83
	s_delay_alu instid0(VALU_DEP_2)
	v_and_b32_e32 v10, 7, v10
; %bb.1118:                             ;   in Loop: Header=BB305_991 Depth=1
	s_wait_alu 0xfffe
	s_or_b32 exec_lo, exec_lo, s15
	v_lshlrev_b32_e32 v0, 8, v0
	v_lshl_add_u32 v11, v11, 10, 0x2000
	v_lshlrev_b32_e32 v10, 23, v10
	s_delay_alu instid0(VALU_DEP_2) | instskip(NEXT) | instid1(VALU_DEP_1)
	v_and_or_b32 v0, 0x8000, v0, v11
	v_lshl_or_b32 v10, v0, 16, v10
.LBB305_1119:                           ;   in Loop: Header=BB305_991 Depth=1
	s_wait_alu 0xfffe
	s_or_b32 exec_lo, exec_lo, s14
.LBB305_1120:                           ;   in Loop: Header=BB305_991 Depth=1
	s_wait_alu 0xfffe
	s_or_b32 exec_lo, exec_lo, s13
.LBB305_1121:                           ;   in Loop: Header=BB305_991 Depth=1
	s_wait_alu 0xfffe
	s_or_b32 exec_lo, exec_lo, s12
	v_or_b32_e32 v0, v31, v71
	s_wait_loadcnt_dscnt 0x0
	v_fma_mixlo_f16 v11, v4, v31, 0 op_sel:[0,1,0] op_sel_hi:[0,1,0]
	v_or_b32_e32 v31, v5, v23
	v_fma_mixlo_f16 v5, v4, v5, 0 op_sel:[0,1,0] op_sel_hi:[0,1,0]
	v_or_b32_e32 v71, v82, v81
	v_fma_mixlo_f16 v81, v4, v0, 0 op_sel_hi:[0,1,0]
	v_or_b32_e32 v80, v10, v80
	v_lshlrev_b32_e32 v0, 16, v11
	v_lshlrev_b32_e32 v23, 16, v5
	v_fma_mixlo_f16 v11, v4, v31, 0 op_sel_hi:[0,1,0]
	v_and_b32_e32 v5, 0xffff, v81
	v_fma_mixlo_f16 v31, v4, v82, 0 op_sel:[0,1,0] op_sel_hi:[0,1,0]
	v_fma_mixlo_f16 v71, v4, v71, 0 op_sel_hi:[0,1,0]
	v_fma_mixlo_f16 v81, v4, v10, 0 op_sel:[0,1,0] op_sel_hi:[0,1,0]
	v_fma_mixlo_f16 v80, v4, v80, 0 op_sel_hi:[0,1,0]
	v_and_b32_e32 v83, 0xffff, v11
	v_lshlrev_b32_e32 v10, 16, v31
	v_and_b32_e32 v71, 0xffff, v71
	v_lshlrev_b32_e32 v4, 16, v81
	v_and_b32_e32 v11, 0xffff, v80
	v_or_b32_e32 v31, v0, v5
	v_or_b32_e32 v82, v23, v83
	v_or_b32_e32 v81, v10, v71
	s_delay_alu instid0(VALU_DEP_4)
	v_or_b32_e32 v80, v4, v11
	s_and_saveexec_b32 s12, vcc_lo
	s_cbranch_execz .LBB305_1123
; %bb.1122:                             ;   in Loop: Header=BB305_991 Depth=1
	v_cmp_lt_i32_e64 s0, v35, v30
	s_wait_alu 0xf1ff
	s_delay_alu instid0(VALU_DEP_1) | instskip(SKIP_2) | instid1(VALU_DEP_1)
	v_cndmask_b32_e64 v31, 0, v83, s0
	v_cmp_lt_i32_e64 s0, v70, v30
	s_wait_alu 0xf1ff
	v_cndmask_b32_e64 v23, 0, v23, s0
	v_cmp_lt_i32_e64 s0, v69, v30
	s_delay_alu instid0(VALU_DEP_2) | instskip(SKIP_1) | instid1(VALU_DEP_2)
	v_or_b32_e32 v82, v31, v23
	s_wait_alu 0xf1ff
	v_cndmask_b32_e64 v5, 0, v5, s0
	v_cmp_lt_i32_e64 s0, v68, v30
	s_wait_alu 0xf1ff
	s_delay_alu instid0(VALU_DEP_1) | instskip(SKIP_1) | instid1(VALU_DEP_2)
	v_cndmask_b32_e64 v0, 0, v0, s0
	v_cmp_lt_i32_e64 s0, v67, v30
	v_or_b32_e32 v31, v5, v0
	s_wait_alu 0xf1ff
	s_delay_alu instid0(VALU_DEP_2) | instskip(SKIP_2) | instid1(VALU_DEP_1)
	v_cndmask_b32_e64 v71, 0, v71, s0
	v_cmp_lt_i32_e64 s0, v66, v30
	s_wait_alu 0xf1ff
	v_cndmask_b32_e64 v10, 0, v10, s0
	v_cmp_lt_i32_e64 s0, v65, v30
	s_delay_alu instid0(VALU_DEP_2) | instskip(SKIP_1) | instid1(VALU_DEP_2)
	v_or_b32_e32 v81, v71, v10
	s_wait_alu 0xf1ff
	v_cndmask_b32_e64 v11, 0, v11, s0
	v_cmp_lt_i32_e64 s0, v14, v30
	s_wait_alu 0xf1ff
	s_delay_alu instid0(VALU_DEP_1) | instskip(NEXT) | instid1(VALU_DEP_1)
	v_cndmask_b32_e64 v4, 0, v4, s0
	v_or_b32_e32 v80, v11, v4
.LBB305_1123:                           ;   in Loop: Header=BB305_991 Depth=1
	s_wait_alu 0xfffe
	s_or_b32 exec_lo, exec_lo, s12
	;;#ASMSTART
	v_pk_mul_f16 v0, v55, v82;

	;;#ASMEND
	;;#ASMSTART
	v_pk_mul_f16 v4, v53, v31;

	;;#ASMEND
	;; [unrolled: 4-line block ×4, first 2 shown]
	;;#ASMSTART
	v_pk_add_f16 v0, v0, v4;

	;;#ASMEND
	;;#ASMSTART
	v_pk_add_f16 v0, v0, v5;

	;;#ASMEND
	;; [unrolled: 4-line block ×3, first 2 shown]
	v_dual_mov_b32 v5, 0 :: v_dual_and_b32 v4, 0xffff, v0
	v_lshrrev_b32_e32 v0, 16, v0
	;;#ASMSTART
	v_cvt_f32_f16 v71, v4;
	;;#ASMEND
	;;#ASMSTART
	v_cvt_f32_f16 v80, v0;
	;;#ASMEND
	flat_load_b64 v[10:11], v[8:9] offset:512
	flat_load_b32 v4, v[26:27]
	s_mov_b32 s12, exec_lo
	s_wait_loadcnt_dscnt 0x101
	v_dual_mov_b32 v23, 0 :: v_dual_and_b32 v0, 0xff, v10
	s_delay_alu instid0(VALU_DEP_1)
	v_cmpx_ne_u16_e32 0, v0
	s_cbranch_execz .LBB305_1131
; %bb.1124:                             ;   in Loop: Header=BB305_991 Depth=1
	v_mov_b32_e32 v23, 0x8000
	s_mov_b32 s13, exec_lo
	v_cmpx_ne_u16_e32 0x80, v0
	s_cbranch_execz .LBB305_1130
; %bb.1125:                             ;   in Loop: Header=BB305_991 Depth=1
	v_and_b32_e32 v31, 0x7f, v10
	v_mov_b32_e32 v23, 0x7c01
	s_mov_b32 s14, exec_lo
	s_delay_alu instid0(VALU_DEP_2)
	v_cmpx_ne_u32_e32 0x7f, v31
	s_cbranch_execz .LBB305_1129
; %bb.1126:                             ;   in Loop: Header=BB305_991 Depth=1
	v_and_b32_e32 v0, 7, v10
	v_lshrrev_b32_e32 v23, 3, v31
	s_mov_b32 s15, exec_lo
	v_cmpx_gt_u32_e32 8, v31
; %bb.1127:                             ;   in Loop: Header=BB305_991 Depth=1
	s_delay_alu instid0(VALU_DEP_3) | instskip(NEXT) | instid1(VALU_DEP_1)
	v_clz_i32_u32_e32 v0, v0
	v_min_u32_e32 v0, 32, v0
	s_delay_alu instid0(VALU_DEP_1) | instskip(NEXT) | instid1(VALU_DEP_1)
	v_subrev_nc_u32_e32 v23, 28, v0
	v_lshlrev_b64_e32 v[81:82], v23, v[10:11]
	v_sub_nc_u32_e32 v23, 29, v0
	s_delay_alu instid0(VALU_DEP_2)
	v_and_b32_e32 v0, 7, v81
; %bb.1128:                             ;   in Loop: Header=BB305_991 Depth=1
	s_wait_alu 0xfffe
	s_or_b32 exec_lo, exec_lo, s15
	v_lshlrev_b32_e32 v31, 8, v10
	v_lshl_add_u32 v23, v23, 10, 0x2000
	v_lshlrev_b32_e32 v0, 7, v0
	s_delay_alu instid0(VALU_DEP_3) | instskip(NEXT) | instid1(VALU_DEP_3)
	v_and_b32_e32 v31, 0x8000, v31
	v_and_b32_e32 v23, 0xfc00, v23
	s_delay_alu instid0(VALU_DEP_1)
	v_or3_b32 v23, v31, v23, v0
.LBB305_1129:                           ;   in Loop: Header=BB305_991 Depth=1
	s_wait_alu 0xfffe
	s_or_b32 exec_lo, exec_lo, s14
.LBB305_1130:                           ;   in Loop: Header=BB305_991 Depth=1
	s_wait_alu 0xfffe
	s_or_b32 exec_lo, exec_lo, s13
.LBB305_1131:                           ;   in Loop: Header=BB305_991 Depth=1
	s_wait_alu 0xfffe
	s_or_b32 exec_lo, exec_lo, s12
	v_lshrrev_b16 v0, 8, v10
	s_mov_b32 s12, exec_lo
	s_delay_alu instid0(VALU_DEP_1)
	v_cmpx_ne_u16_e32 0, v0
	s_cbranch_execz .LBB305_1139
; %bb.1132:                             ;   in Loop: Header=BB305_991 Depth=1
	v_bfrev_b32_e32 v5, 1
	s_mov_b32 s13, exec_lo
	v_cmpx_ne_u16_e32 0x80, v0
	s_cbranch_execz .LBB305_1138
; %bb.1133:                             ;   in Loop: Header=BB305_991 Depth=1
	v_and_b32_e32 v31, 0xffff, v0
	v_mov_b32_e32 v5, 0x7c010000
	s_mov_b32 s14, exec_lo
	s_delay_alu instid0(VALU_DEP_2) | instskip(NEXT) | instid1(VALU_DEP_1)
	v_and_b32_e32 v82, 0x7f, v31
	v_cmpx_ne_u32_e32 0x7f, v82
	s_cbranch_execz .LBB305_1137
; %bb.1134:                             ;   in Loop: Header=BB305_991 Depth=1
	v_and_b32_e32 v5, 7, v31
	v_lshrrev_b32_e32 v81, 3, v82
	s_mov_b32 s15, exec_lo
	v_cmpx_gt_u32_e32 8, v82
; %bb.1135:                             ;   in Loop: Header=BB305_991 Depth=1
	s_delay_alu instid0(VALU_DEP_3) | instskip(NEXT) | instid1(VALU_DEP_1)
	v_clz_i32_u32_e32 v5, v5
	v_min_u32_e32 v5, 32, v5
	s_delay_alu instid0(VALU_DEP_1) | instskip(NEXT) | instid1(VALU_DEP_1)
	v_subrev_nc_u32_e32 v81, 28, v5
	v_lshlrev_b64_e32 v[82:83], v81, v[0:1]
	v_sub_nc_u32_e32 v81, 29, v5
	s_delay_alu instid0(VALU_DEP_2)
	v_and_b32_e32 v5, 7, v82
; %bb.1136:                             ;   in Loop: Header=BB305_991 Depth=1
	s_wait_alu 0xfffe
	s_or_b32 exec_lo, exec_lo, s15
	v_lshlrev_b32_e32 v0, 8, v31
	v_lshl_add_u32 v31, v81, 10, 0x2000
	v_lshlrev_b32_e32 v5, 23, v5
	s_delay_alu instid0(VALU_DEP_2) | instskip(NEXT) | instid1(VALU_DEP_1)
	v_and_or_b32 v0, 0x8000, v0, v31
	v_lshl_or_b32 v5, v0, 16, v5
.LBB305_1137:                           ;   in Loop: Header=BB305_991 Depth=1
	s_wait_alu 0xfffe
	s_or_b32 exec_lo, exec_lo, s14
.LBB305_1138:                           ;   in Loop: Header=BB305_991 Depth=1
	s_wait_alu 0xfffe
	s_or_b32 exec_lo, exec_lo, s13
.LBB305_1139:                           ;   in Loop: Header=BB305_991 Depth=1
	s_wait_alu 0xfffe
	s_or_b32 exec_lo, exec_lo, s12
	v_lshrrev_b32_e32 v0, 16, v10
	v_mov_b32_e32 v81, 0
	s_mov_b32 s12, exec_lo
	s_delay_alu instid0(VALU_DEP_2) | instskip(NEXT) | instid1(VALU_DEP_1)
	v_dual_mov_b32 v31, 0 :: v_dual_and_b32 v82, 0xff, v0
	v_cmpx_ne_u16_e32 0, v82
	s_cbranch_execz .LBB305_1147
; %bb.1140:                             ;   in Loop: Header=BB305_991 Depth=1
	v_mov_b32_e32 v81, 0x8000
	s_mov_b32 s13, exec_lo
	v_cmpx_ne_u16_e32 0x80, v82
	s_cbranch_execz .LBB305_1146
; %bb.1141:                             ;   in Loop: Header=BB305_991 Depth=1
	v_bfe_u32 v83, v10, 16, 7
	v_mov_b32_e32 v81, 0x7c01
	s_mov_b32 s14, exec_lo
	s_delay_alu instid0(VALU_DEP_2)
	v_cmpx_ne_u32_e32 0x7f, v83
	s_cbranch_execz .LBB305_1145
; %bb.1142:                             ;   in Loop: Header=BB305_991 Depth=1
	v_and_b32_e32 v81, 7, v0
	v_lshrrev_b32_e32 v82, 3, v83
	s_mov_b32 s15, exec_lo
	v_cmpx_gt_u32_e32 8, v83
; %bb.1143:                             ;   in Loop: Header=BB305_991 Depth=1
	s_delay_alu instid0(VALU_DEP_3) | instskip(NEXT) | instid1(VALU_DEP_1)
	v_clz_i32_u32_e32 v81, v81
	v_min_u32_e32 v83, 32, v81
	s_delay_alu instid0(VALU_DEP_1) | instskip(NEXT) | instid1(VALU_DEP_1)
	v_subrev_nc_u32_e32 v81, 28, v83
	v_lshlrev_b64_e32 v[81:82], v81, v[0:1]
	v_sub_nc_u32_e32 v82, 29, v83
	s_delay_alu instid0(VALU_DEP_2)
	v_and_b32_e32 v81, 7, v81
; %bb.1144:                             ;   in Loop: Header=BB305_991 Depth=1
	s_wait_alu 0xfffe
	s_or_b32 exec_lo, exec_lo, s15
	v_lshlrev_b32_e32 v0, 8, v0
	v_lshl_add_u32 v82, v82, 10, 0x2000
	v_lshlrev_b32_e32 v81, 7, v81
	s_delay_alu instid0(VALU_DEP_3) | instskip(NEXT) | instid1(VALU_DEP_3)
	v_and_b32_e32 v0, 0x8000, v0
	v_and_b32_e32 v82, 0xfc00, v82
	s_delay_alu instid0(VALU_DEP_1)
	v_or3_b32 v81, v0, v82, v81
.LBB305_1145:                           ;   in Loop: Header=BB305_991 Depth=1
	s_wait_alu 0xfffe
	s_or_b32 exec_lo, exec_lo, s14
.LBB305_1146:                           ;   in Loop: Header=BB305_991 Depth=1
	s_wait_alu 0xfffe
	s_or_b32 exec_lo, exec_lo, s13
.LBB305_1147:                           ;   in Loop: Header=BB305_991 Depth=1
	s_wait_alu 0xfffe
	s_or_b32 exec_lo, exec_lo, s12
	s_delay_alu instid0(SALU_CYCLE_1)
	s_mov_b32 s12, exec_lo
	v_cmpx_lt_u32_e32 0xffffff, v10
	s_cbranch_execz .LBB305_1155
; %bb.1148:                             ;   in Loop: Header=BB305_991 Depth=1
	v_lshrrev_b32_e32 v0, 24, v10
	v_bfrev_b32_e32 v31, 1
	s_mov_b32 s13, exec_lo
	s_delay_alu instid0(VALU_DEP_2)
	v_cmpx_ne_u32_e32 0x80, v0
	s_cbranch_execz .LBB305_1154
; %bb.1149:                             ;   in Loop: Header=BB305_991 Depth=1
	v_and_b32_e32 v83, 0x7f, v0
	v_mov_b32_e32 v31, 0x7c010000
	s_mov_b32 s14, exec_lo
	s_delay_alu instid0(VALU_DEP_2)
	v_cmpx_ne_u32_e32 0x7f, v83
	s_cbranch_execz .LBB305_1153
; %bb.1150:                             ;   in Loop: Header=BB305_991 Depth=1
	v_and_b32_e32 v31, 7, v0
	v_lshrrev_b32_e32 v82, 3, v83
	s_mov_b32 s15, exec_lo
	v_cmpx_gt_u32_e32 8, v83
; %bb.1151:                             ;   in Loop: Header=BB305_991 Depth=1
	s_delay_alu instid0(VALU_DEP_3) | instskip(NEXT) | instid1(VALU_DEP_1)
	v_clz_i32_u32_e32 v31, v31
	v_min_u32_e32 v31, 32, v31
	s_delay_alu instid0(VALU_DEP_1) | instskip(NEXT) | instid1(VALU_DEP_1)
	v_subrev_nc_u32_e32 v82, 28, v31
	v_lshlrev_b64_e32 v[83:84], v82, v[0:1]
	v_sub_nc_u32_e32 v82, 29, v31
	s_delay_alu instid0(VALU_DEP_2)
	v_and_b32_e32 v31, 7, v83
; %bb.1152:                             ;   in Loop: Header=BB305_991 Depth=1
	s_wait_alu 0xfffe
	s_or_b32 exec_lo, exec_lo, s15
	v_lshlrev_b32_e32 v0, 8, v0
	v_lshl_add_u32 v82, v82, 10, 0x2000
	v_lshlrev_b32_e32 v31, 23, v31
	s_delay_alu instid0(VALU_DEP_2) | instskip(NEXT) | instid1(VALU_DEP_1)
	v_and_or_b32 v0, 0x8000, v0, v82
	v_lshl_or_b32 v31, v0, 16, v31
.LBB305_1153:                           ;   in Loop: Header=BB305_991 Depth=1
	s_wait_alu 0xfffe
	s_or_b32 exec_lo, exec_lo, s14
.LBB305_1154:                           ;   in Loop: Header=BB305_991 Depth=1
	s_wait_alu 0xfffe
	s_or_b32 exec_lo, exec_lo, s13
.LBB305_1155:                           ;   in Loop: Header=BB305_991 Depth=1
	s_wait_alu 0xfffe
	s_or_b32 exec_lo, exec_lo, s12
	v_dual_mov_b32 v83, 0 :: v_dual_and_b32 v84, 0xff, v11
	v_mov_b32_e32 v0, v11
	v_mov_b32_e32 v82, 0
	s_mov_b32 s12, exec_lo
	s_delay_alu instid0(VALU_DEP_3)
	v_cmpx_ne_u16_e32 0, v84
	s_cbranch_execz .LBB305_1163
; %bb.1156:                             ;   in Loop: Header=BB305_991 Depth=1
	v_mov_b32_e32 v83, 0x8000
	s_mov_b32 s13, exec_lo
	v_cmpx_ne_u16_e32 0x80, v84
	s_cbranch_execz .LBB305_1162
; %bb.1157:                             ;   in Loop: Header=BB305_991 Depth=1
	v_and_b32_e32 v85, 0x7f, v11
	v_mov_b32_e32 v83, 0x7c01
	s_mov_b32 s14, exec_lo
	s_delay_alu instid0(VALU_DEP_2)
	v_cmpx_ne_u32_e32 0x7f, v85
	s_cbranch_execz .LBB305_1161
; %bb.1158:                             ;   in Loop: Header=BB305_991 Depth=1
	v_and_b32_e32 v83, 7, v11
	v_lshrrev_b32_e32 v84, 3, v85
	s_mov_b32 s15, exec_lo
	v_cmpx_gt_u32_e32 8, v85
; %bb.1159:                             ;   in Loop: Header=BB305_991 Depth=1
	s_delay_alu instid0(VALU_DEP_3) | instskip(NEXT) | instid1(VALU_DEP_1)
	v_clz_i32_u32_e32 v83, v83
	v_min_u32_e32 v85, 32, v83
	s_delay_alu instid0(VALU_DEP_1) | instskip(NEXT) | instid1(VALU_DEP_1)
	v_subrev_nc_u32_e32 v83, 28, v85
	v_lshlrev_b64_e32 v[83:84], v83, v[0:1]
	v_sub_nc_u32_e32 v84, 29, v85
	s_delay_alu instid0(VALU_DEP_2)
	v_and_b32_e32 v83, 7, v83
; %bb.1160:                             ;   in Loop: Header=BB305_991 Depth=1
	s_wait_alu 0xfffe
	s_or_b32 exec_lo, exec_lo, s15
	v_lshlrev_b32_e32 v85, 8, v11
	v_lshl_add_u32 v84, v84, 10, 0x2000
	v_lshlrev_b32_e32 v83, 7, v83
	s_delay_alu instid0(VALU_DEP_3) | instskip(NEXT) | instid1(VALU_DEP_3)
	v_and_b32_e32 v85, 0x8000, v85
	v_and_b32_e32 v84, 0xfc00, v84
	s_delay_alu instid0(VALU_DEP_1)
	v_or3_b32 v83, v85, v84, v83
.LBB305_1161:                           ;   in Loop: Header=BB305_991 Depth=1
	s_wait_alu 0xfffe
	s_or_b32 exec_lo, exec_lo, s14
.LBB305_1162:                           ;   in Loop: Header=BB305_991 Depth=1
	s_wait_alu 0xfffe
	s_or_b32 exec_lo, exec_lo, s13
.LBB305_1163:                           ;   in Loop: Header=BB305_991 Depth=1
	s_wait_alu 0xfffe
	s_or_b32 exec_lo, exec_lo, s12
	v_lshrrev_b16 v0, 8, v0
	v_mov_b32_e32 v84, 0
	s_mov_b32 s12, exec_lo
	s_delay_alu instid0(VALU_DEP_2)
	v_cmpx_ne_u16_e32 0, v0
	s_cbranch_execz .LBB305_1171
; %bb.1164:                             ;   in Loop: Header=BB305_991 Depth=1
	v_bfrev_b32_e32 v84, 1
	s_mov_b32 s13, exec_lo
	v_cmpx_ne_u16_e32 0x80, v0
	s_cbranch_execz .LBB305_1170
; %bb.1165:                             ;   in Loop: Header=BB305_991 Depth=1
	v_and_b32_e32 v85, 0xffff, v0
	v_mov_b32_e32 v84, 0x7c010000
	s_mov_b32 s14, exec_lo
	s_delay_alu instid0(VALU_DEP_2) | instskip(NEXT) | instid1(VALU_DEP_1)
	v_and_b32_e32 v87, 0x7f, v85
	v_cmpx_ne_u32_e32 0x7f, v87
	s_cbranch_execz .LBB305_1169
; %bb.1166:                             ;   in Loop: Header=BB305_991 Depth=1
	v_and_b32_e32 v84, 7, v85
	v_lshrrev_b32_e32 v86, 3, v87
	s_mov_b32 s15, exec_lo
	v_cmpx_gt_u32_e32 8, v87
; %bb.1167:                             ;   in Loop: Header=BB305_991 Depth=1
	s_delay_alu instid0(VALU_DEP_3) | instskip(NEXT) | instid1(VALU_DEP_1)
	v_clz_i32_u32_e32 v84, v84
	v_min_u32_e32 v84, 32, v84
	s_delay_alu instid0(VALU_DEP_1) | instskip(NEXT) | instid1(VALU_DEP_1)
	v_subrev_nc_u32_e32 v86, 28, v84
	v_lshlrev_b64_e32 v[96:97], v86, v[0:1]
	v_sub_nc_u32_e32 v86, 29, v84
	s_delay_alu instid0(VALU_DEP_2)
	v_and_b32_e32 v84, 7, v96
; %bb.1168:                             ;   in Loop: Header=BB305_991 Depth=1
	s_wait_alu 0xfffe
	s_or_b32 exec_lo, exec_lo, s15
	v_lshlrev_b32_e32 v0, 8, v85
	v_lshl_add_u32 v85, v86, 10, 0x2000
	v_lshlrev_b32_e32 v84, 23, v84
	s_delay_alu instid0(VALU_DEP_2) | instskip(NEXT) | instid1(VALU_DEP_1)
	v_and_or_b32 v0, 0x8000, v0, v85
	v_lshl_or_b32 v84, v0, 16, v84
.LBB305_1169:                           ;   in Loop: Header=BB305_991 Depth=1
	s_wait_alu 0xfffe
	s_or_b32 exec_lo, exec_lo, s14
.LBB305_1170:                           ;   in Loop: Header=BB305_991 Depth=1
	s_wait_alu 0xfffe
	s_or_b32 exec_lo, exec_lo, s13
.LBB305_1171:                           ;   in Loop: Header=BB305_991 Depth=1
	s_wait_alu 0xfffe
	s_or_b32 exec_lo, exec_lo, s12
	v_lshrrev_b32_e32 v0, 16, v11
	s_mov_b32 s12, exec_lo
	s_delay_alu instid0(VALU_DEP_1) | instskip(NEXT) | instid1(VALU_DEP_1)
	v_and_b32_e32 v85, 0xff, v0
	v_cmpx_ne_u16_e32 0, v85
	s_cbranch_execz .LBB305_1179
; %bb.1172:                             ;   in Loop: Header=BB305_991 Depth=1
	v_mov_b32_e32 v82, 0x8000
	s_mov_b32 s13, exec_lo
	v_cmpx_ne_u16_e32 0x80, v85
	s_cbranch_execz .LBB305_1178
; %bb.1173:                             ;   in Loop: Header=BB305_991 Depth=1
	v_bfe_u32 v86, v11, 16, 7
	v_mov_b32_e32 v82, 0x7c01
	s_mov_b32 s14, exec_lo
	s_delay_alu instid0(VALU_DEP_2)
	v_cmpx_ne_u32_e32 0x7f, v86
	s_cbranch_execz .LBB305_1177
; %bb.1174:                             ;   in Loop: Header=BB305_991 Depth=1
	v_and_b32_e32 v82, 7, v0
	v_lshrrev_b32_e32 v85, 3, v86
	s_mov_b32 s15, exec_lo
	v_cmpx_gt_u32_e32 8, v86
; %bb.1175:                             ;   in Loop: Header=BB305_991 Depth=1
	s_delay_alu instid0(VALU_DEP_3) | instskip(NEXT) | instid1(VALU_DEP_1)
	v_clz_i32_u32_e32 v82, v82
	v_min_u32_e32 v82, 32, v82
	s_delay_alu instid0(VALU_DEP_1) | instskip(NEXT) | instid1(VALU_DEP_1)
	v_subrev_nc_u32_e32 v85, 28, v82
	v_lshlrev_b64_e32 v[86:87], v85, v[0:1]
	v_sub_nc_u32_e32 v85, 29, v82
	s_delay_alu instid0(VALU_DEP_2)
	v_and_b32_e32 v82, 7, v86
; %bb.1176:                             ;   in Loop: Header=BB305_991 Depth=1
	s_wait_alu 0xfffe
	s_or_b32 exec_lo, exec_lo, s15
	v_lshlrev_b32_e32 v0, 8, v0
	v_lshl_add_u32 v85, v85, 10, 0x2000
	v_lshlrev_b32_e32 v82, 7, v82
	s_delay_alu instid0(VALU_DEP_3) | instskip(NEXT) | instid1(VALU_DEP_3)
	v_and_b32_e32 v0, 0x8000, v0
	v_and_b32_e32 v85, 0xfc00, v85
	s_delay_alu instid0(VALU_DEP_1)
	v_or3_b32 v82, v0, v85, v82
.LBB305_1177:                           ;   in Loop: Header=BB305_991 Depth=1
	s_wait_alu 0xfffe
	s_or_b32 exec_lo, exec_lo, s14
.LBB305_1178:                           ;   in Loop: Header=BB305_991 Depth=1
	s_wait_alu 0xfffe
	s_or_b32 exec_lo, exec_lo, s13
.LBB305_1179:                           ;   in Loop: Header=BB305_991 Depth=1
	s_wait_alu 0xfffe
	s_or_b32 exec_lo, exec_lo, s12
	v_cmp_lt_u64_e64 s0, s[8:9], v[10:11]
	v_mov_b32_e32 v10, 0
	s_and_saveexec_b32 s12, s0
	s_cbranch_execz .LBB305_1187
; %bb.1180:                             ;   in Loop: Header=BB305_991 Depth=1
	v_lshrrev_b32_e32 v0, 24, v11
	v_bfrev_b32_e32 v10, 1
	s_mov_b32 s13, exec_lo
	s_delay_alu instid0(VALU_DEP_2)
	v_cmpx_ne_u32_e32 0x80, v0
	s_cbranch_execz .LBB305_1186
; %bb.1181:                             ;   in Loop: Header=BB305_991 Depth=1
	v_and_b32_e32 v85, 0x7f, v0
	v_mov_b32_e32 v10, 0x7c010000
	s_mov_b32 s14, exec_lo
	s_delay_alu instid0(VALU_DEP_2)
	v_cmpx_ne_u32_e32 0x7f, v85
	s_cbranch_execz .LBB305_1185
; %bb.1182:                             ;   in Loop: Header=BB305_991 Depth=1
	v_and_b32_e32 v10, 7, v0
	v_lshrrev_b32_e32 v11, 3, v85
	s_mov_b32 s15, exec_lo
	v_cmpx_gt_u32_e32 8, v85
; %bb.1183:                             ;   in Loop: Header=BB305_991 Depth=1
	s_delay_alu instid0(VALU_DEP_3) | instskip(NEXT) | instid1(VALU_DEP_1)
	v_clz_i32_u32_e32 v10, v10
	v_min_u32_e32 v85, 32, v10
	s_delay_alu instid0(VALU_DEP_1) | instskip(NEXT) | instid1(VALU_DEP_1)
	v_subrev_nc_u32_e32 v10, 28, v85
	v_lshlrev_b64_e32 v[10:11], v10, v[0:1]
	v_sub_nc_u32_e32 v11, 29, v85
	s_delay_alu instid0(VALU_DEP_2)
	v_and_b32_e32 v10, 7, v10
; %bb.1184:                             ;   in Loop: Header=BB305_991 Depth=1
	s_wait_alu 0xfffe
	s_or_b32 exec_lo, exec_lo, s15
	v_lshlrev_b32_e32 v0, 8, v0
	v_lshl_add_u32 v11, v11, 10, 0x2000
	v_lshlrev_b32_e32 v10, 23, v10
	s_delay_alu instid0(VALU_DEP_2) | instskip(NEXT) | instid1(VALU_DEP_1)
	v_and_or_b32 v0, 0x8000, v0, v11
	v_lshl_or_b32 v10, v0, 16, v10
.LBB305_1185:                           ;   in Loop: Header=BB305_991 Depth=1
	s_wait_alu 0xfffe
	s_or_b32 exec_lo, exec_lo, s14
.LBB305_1186:                           ;   in Loop: Header=BB305_991 Depth=1
	s_wait_alu 0xfffe
	s_or_b32 exec_lo, exec_lo, s13
.LBB305_1187:                           ;   in Loop: Header=BB305_991 Depth=1
	s_wait_alu 0xfffe
	s_or_b32 exec_lo, exec_lo, s12
	v_or_b32_e32 v0, v31, v81
	s_wait_loadcnt_dscnt 0x0
	v_fma_mixlo_f16 v11, v4, v31, 0 op_sel:[0,1,0] op_sel_hi:[0,1,0]
	v_or_b32_e32 v31, v5, v23
	v_fma_mixlo_f16 v5, v4, v5, 0 op_sel:[0,1,0] op_sel_hi:[0,1,0]
	v_or_b32_e32 v81, v84, v83
	v_fma_mixlo_f16 v83, v4, v0, 0 op_sel_hi:[0,1,0]
	v_or_b32_e32 v82, v10, v82
	v_lshlrev_b32_e32 v0, 16, v11
	v_lshlrev_b32_e32 v23, 16, v5
	v_fma_mixlo_f16 v11, v4, v31, 0 op_sel_hi:[0,1,0]
	v_and_b32_e32 v5, 0xffff, v83
	v_fma_mixlo_f16 v31, v4, v84, 0 op_sel:[0,1,0] op_sel_hi:[0,1,0]
	v_fma_mixlo_f16 v81, v4, v81, 0 op_sel_hi:[0,1,0]
	v_fma_mixlo_f16 v83, v4, v10, 0 op_sel:[0,1,0] op_sel_hi:[0,1,0]
	v_fma_mixlo_f16 v82, v4, v82, 0 op_sel_hi:[0,1,0]
	v_and_b32_e32 v85, 0xffff, v11
	v_lshlrev_b32_e32 v10, 16, v31
	v_and_b32_e32 v81, 0xffff, v81
	v_lshlrev_b32_e32 v4, 16, v83
	v_and_b32_e32 v11, 0xffff, v82
	v_or_b32_e32 v31, v0, v5
	v_or_b32_e32 v84, v23, v85
	v_or_b32_e32 v83, v10, v81
	s_delay_alu instid0(VALU_DEP_4)
	v_or_b32_e32 v82, v4, v11
	s_and_saveexec_b32 s12, vcc_lo
	s_cbranch_execz .LBB305_1189
; %bb.1188:                             ;   in Loop: Header=BB305_991 Depth=1
	v_cmp_lt_i32_e64 s0, v35, v30
	s_wait_alu 0xf1ff
	s_delay_alu instid0(VALU_DEP_1) | instskip(SKIP_2) | instid1(VALU_DEP_1)
	v_cndmask_b32_e64 v31, 0, v85, s0
	v_cmp_lt_i32_e64 s0, v70, v30
	s_wait_alu 0xf1ff
	v_cndmask_b32_e64 v23, 0, v23, s0
	v_cmp_lt_i32_e64 s0, v69, v30
	s_delay_alu instid0(VALU_DEP_2) | instskip(SKIP_1) | instid1(VALU_DEP_2)
	v_or_b32_e32 v84, v31, v23
	s_wait_alu 0xf1ff
	v_cndmask_b32_e64 v5, 0, v5, s0
	v_cmp_lt_i32_e64 s0, v68, v30
	s_wait_alu 0xf1ff
	s_delay_alu instid0(VALU_DEP_1) | instskip(SKIP_1) | instid1(VALU_DEP_2)
	v_cndmask_b32_e64 v0, 0, v0, s0
	v_cmp_lt_i32_e64 s0, v67, v30
	v_or_b32_e32 v31, v5, v0
	s_wait_alu 0xf1ff
	s_delay_alu instid0(VALU_DEP_2) | instskip(SKIP_2) | instid1(VALU_DEP_1)
	v_cndmask_b32_e64 v81, 0, v81, s0
	v_cmp_lt_i32_e64 s0, v66, v30
	s_wait_alu 0xf1ff
	v_cndmask_b32_e64 v10, 0, v10, s0
	v_cmp_lt_i32_e64 s0, v65, v30
	s_delay_alu instid0(VALU_DEP_2) | instskip(SKIP_1) | instid1(VALU_DEP_2)
	v_or_b32_e32 v83, v81, v10
	s_wait_alu 0xf1ff
	v_cndmask_b32_e64 v11, 0, v11, s0
	v_cmp_lt_i32_e64 s0, v14, v30
	s_wait_alu 0xf1ff
	s_delay_alu instid0(VALU_DEP_1) | instskip(NEXT) | instid1(VALU_DEP_1)
	v_cndmask_b32_e64 v4, 0, v4, s0
	v_or_b32_e32 v82, v11, v4
.LBB305_1189:                           ;   in Loop: Header=BB305_991 Depth=1
	s_wait_alu 0xfffe
	s_or_b32 exec_lo, exec_lo, s12
	;;#ASMSTART
	v_pk_mul_f16 v0, v55, v84;

	;;#ASMEND
	;;#ASMSTART
	v_pk_mul_f16 v4, v53, v31;

	;;#ASMEND
	;; [unrolled: 4-line block ×4, first 2 shown]
	;;#ASMSTART
	v_pk_add_f16 v0, v0, v4;

	;;#ASMEND
	;;#ASMSTART
	v_pk_add_f16 v0, v0, v5;

	;;#ASMEND
	;; [unrolled: 4-line block ×3, first 2 shown]
	v_dual_mov_b32 v5, 0 :: v_dual_and_b32 v4, 0xffff, v0
	v_lshrrev_b32_e32 v0, 16, v0
	;;#ASMSTART
	v_cvt_f32_f16 v81, v4;
	;;#ASMEND
	;;#ASMSTART
	v_cvt_f32_f16 v82, v0;
	;;#ASMEND
	flat_load_b64 v[10:11], v[8:9] offset:768
	flat_load_b32 v4, v[26:27]
	s_mov_b32 s12, exec_lo
	s_wait_loadcnt_dscnt 0x101
	v_dual_mov_b32 v23, 0 :: v_dual_and_b32 v0, 0xff, v10
	s_delay_alu instid0(VALU_DEP_1)
	v_cmpx_ne_u16_e32 0, v0
	s_cbranch_execz .LBB305_1197
; %bb.1190:                             ;   in Loop: Header=BB305_991 Depth=1
	v_mov_b32_e32 v23, 0x8000
	s_mov_b32 s13, exec_lo
	v_cmpx_ne_u16_e32 0x80, v0
	s_cbranch_execz .LBB305_1196
; %bb.1191:                             ;   in Loop: Header=BB305_991 Depth=1
	v_and_b32_e32 v31, 0x7f, v10
	v_mov_b32_e32 v23, 0x7c01
	s_mov_b32 s14, exec_lo
	s_delay_alu instid0(VALU_DEP_2)
	v_cmpx_ne_u32_e32 0x7f, v31
	s_cbranch_execz .LBB305_1195
; %bb.1192:                             ;   in Loop: Header=BB305_991 Depth=1
	v_and_b32_e32 v0, 7, v10
	v_lshrrev_b32_e32 v23, 3, v31
	s_mov_b32 s15, exec_lo
	v_cmpx_gt_u32_e32 8, v31
; %bb.1193:                             ;   in Loop: Header=BB305_991 Depth=1
	s_delay_alu instid0(VALU_DEP_3) | instskip(NEXT) | instid1(VALU_DEP_1)
	v_clz_i32_u32_e32 v0, v0
	v_min_u32_e32 v0, 32, v0
	s_delay_alu instid0(VALU_DEP_1) | instskip(NEXT) | instid1(VALU_DEP_1)
	v_subrev_nc_u32_e32 v23, 28, v0
	v_lshlrev_b64_e32 v[83:84], v23, v[10:11]
	v_sub_nc_u32_e32 v23, 29, v0
	s_delay_alu instid0(VALU_DEP_2)
	v_and_b32_e32 v0, 7, v83
; %bb.1194:                             ;   in Loop: Header=BB305_991 Depth=1
	s_wait_alu 0xfffe
	s_or_b32 exec_lo, exec_lo, s15
	v_lshlrev_b32_e32 v31, 8, v10
	v_lshl_add_u32 v23, v23, 10, 0x2000
	v_lshlrev_b32_e32 v0, 7, v0
	s_delay_alu instid0(VALU_DEP_3) | instskip(NEXT) | instid1(VALU_DEP_3)
	v_and_b32_e32 v31, 0x8000, v31
	v_and_b32_e32 v23, 0xfc00, v23
	s_delay_alu instid0(VALU_DEP_1)
	v_or3_b32 v23, v31, v23, v0
.LBB305_1195:                           ;   in Loop: Header=BB305_991 Depth=1
	s_wait_alu 0xfffe
	s_or_b32 exec_lo, exec_lo, s14
.LBB305_1196:                           ;   in Loop: Header=BB305_991 Depth=1
	s_wait_alu 0xfffe
	s_or_b32 exec_lo, exec_lo, s13
.LBB305_1197:                           ;   in Loop: Header=BB305_991 Depth=1
	s_wait_alu 0xfffe
	s_or_b32 exec_lo, exec_lo, s12
	v_lshrrev_b16 v0, 8, v10
	s_mov_b32 s12, exec_lo
	s_delay_alu instid0(VALU_DEP_1)
	v_cmpx_ne_u16_e32 0, v0
	s_cbranch_execz .LBB305_1205
; %bb.1198:                             ;   in Loop: Header=BB305_991 Depth=1
	v_bfrev_b32_e32 v5, 1
	s_mov_b32 s13, exec_lo
	v_cmpx_ne_u16_e32 0x80, v0
	s_cbranch_execz .LBB305_1204
; %bb.1199:                             ;   in Loop: Header=BB305_991 Depth=1
	v_and_b32_e32 v31, 0xffff, v0
	v_mov_b32_e32 v5, 0x7c010000
	s_mov_b32 s14, exec_lo
	s_delay_alu instid0(VALU_DEP_2) | instskip(NEXT) | instid1(VALU_DEP_1)
	v_and_b32_e32 v84, 0x7f, v31
	v_cmpx_ne_u32_e32 0x7f, v84
	s_cbranch_execz .LBB305_1203
; %bb.1200:                             ;   in Loop: Header=BB305_991 Depth=1
	v_and_b32_e32 v5, 7, v31
	v_lshrrev_b32_e32 v83, 3, v84
	s_mov_b32 s15, exec_lo
	v_cmpx_gt_u32_e32 8, v84
; %bb.1201:                             ;   in Loop: Header=BB305_991 Depth=1
	s_delay_alu instid0(VALU_DEP_3) | instskip(NEXT) | instid1(VALU_DEP_1)
	v_clz_i32_u32_e32 v5, v5
	v_min_u32_e32 v5, 32, v5
	s_delay_alu instid0(VALU_DEP_1) | instskip(NEXT) | instid1(VALU_DEP_1)
	v_subrev_nc_u32_e32 v83, 28, v5
	v_lshlrev_b64_e32 v[84:85], v83, v[0:1]
	v_sub_nc_u32_e32 v83, 29, v5
	s_delay_alu instid0(VALU_DEP_2)
	v_and_b32_e32 v5, 7, v84
; %bb.1202:                             ;   in Loop: Header=BB305_991 Depth=1
	s_wait_alu 0xfffe
	s_or_b32 exec_lo, exec_lo, s15
	v_lshlrev_b32_e32 v0, 8, v31
	v_lshl_add_u32 v31, v83, 10, 0x2000
	v_lshlrev_b32_e32 v5, 23, v5
	s_delay_alu instid0(VALU_DEP_2) | instskip(NEXT) | instid1(VALU_DEP_1)
	v_and_or_b32 v0, 0x8000, v0, v31
	v_lshl_or_b32 v5, v0, 16, v5
.LBB305_1203:                           ;   in Loop: Header=BB305_991 Depth=1
	s_wait_alu 0xfffe
	s_or_b32 exec_lo, exec_lo, s14
.LBB305_1204:                           ;   in Loop: Header=BB305_991 Depth=1
	s_wait_alu 0xfffe
	s_or_b32 exec_lo, exec_lo, s13
.LBB305_1205:                           ;   in Loop: Header=BB305_991 Depth=1
	s_wait_alu 0xfffe
	s_or_b32 exec_lo, exec_lo, s12
	v_lshrrev_b32_e32 v0, 16, v10
	v_mov_b32_e32 v83, 0
	s_mov_b32 s12, exec_lo
	s_delay_alu instid0(VALU_DEP_2) | instskip(NEXT) | instid1(VALU_DEP_1)
	v_dual_mov_b32 v31, 0 :: v_dual_and_b32 v84, 0xff, v0
	v_cmpx_ne_u16_e32 0, v84
	s_cbranch_execz .LBB305_1213
; %bb.1206:                             ;   in Loop: Header=BB305_991 Depth=1
	v_mov_b32_e32 v83, 0x8000
	s_mov_b32 s13, exec_lo
	v_cmpx_ne_u16_e32 0x80, v84
	s_cbranch_execz .LBB305_1212
; %bb.1207:                             ;   in Loop: Header=BB305_991 Depth=1
	v_bfe_u32 v85, v10, 16, 7
	v_mov_b32_e32 v83, 0x7c01
	s_mov_b32 s14, exec_lo
	s_delay_alu instid0(VALU_DEP_2)
	v_cmpx_ne_u32_e32 0x7f, v85
	s_cbranch_execz .LBB305_1211
; %bb.1208:                             ;   in Loop: Header=BB305_991 Depth=1
	v_and_b32_e32 v83, 7, v0
	v_lshrrev_b32_e32 v84, 3, v85
	s_mov_b32 s15, exec_lo
	v_cmpx_gt_u32_e32 8, v85
; %bb.1209:                             ;   in Loop: Header=BB305_991 Depth=1
	s_delay_alu instid0(VALU_DEP_3) | instskip(NEXT) | instid1(VALU_DEP_1)
	v_clz_i32_u32_e32 v83, v83
	v_min_u32_e32 v85, 32, v83
	s_delay_alu instid0(VALU_DEP_1) | instskip(NEXT) | instid1(VALU_DEP_1)
	v_subrev_nc_u32_e32 v83, 28, v85
	v_lshlrev_b64_e32 v[83:84], v83, v[0:1]
	v_sub_nc_u32_e32 v84, 29, v85
	s_delay_alu instid0(VALU_DEP_2)
	v_and_b32_e32 v83, 7, v83
; %bb.1210:                             ;   in Loop: Header=BB305_991 Depth=1
	s_wait_alu 0xfffe
	s_or_b32 exec_lo, exec_lo, s15
	v_lshlrev_b32_e32 v0, 8, v0
	v_lshl_add_u32 v84, v84, 10, 0x2000
	v_lshlrev_b32_e32 v83, 7, v83
	s_delay_alu instid0(VALU_DEP_3) | instskip(NEXT) | instid1(VALU_DEP_3)
	v_and_b32_e32 v0, 0x8000, v0
	v_and_b32_e32 v84, 0xfc00, v84
	s_delay_alu instid0(VALU_DEP_1)
	v_or3_b32 v83, v0, v84, v83
.LBB305_1211:                           ;   in Loop: Header=BB305_991 Depth=1
	s_wait_alu 0xfffe
	s_or_b32 exec_lo, exec_lo, s14
.LBB305_1212:                           ;   in Loop: Header=BB305_991 Depth=1
	s_wait_alu 0xfffe
	s_or_b32 exec_lo, exec_lo, s13
.LBB305_1213:                           ;   in Loop: Header=BB305_991 Depth=1
	s_wait_alu 0xfffe
	s_or_b32 exec_lo, exec_lo, s12
	s_delay_alu instid0(SALU_CYCLE_1)
	s_mov_b32 s12, exec_lo
	v_cmpx_lt_u32_e32 0xffffff, v10
	s_cbranch_execz .LBB305_1221
; %bb.1214:                             ;   in Loop: Header=BB305_991 Depth=1
	v_lshrrev_b32_e32 v0, 24, v10
	v_bfrev_b32_e32 v31, 1
	s_mov_b32 s13, exec_lo
	s_delay_alu instid0(VALU_DEP_2)
	v_cmpx_ne_u32_e32 0x80, v0
	s_cbranch_execz .LBB305_1220
; %bb.1215:                             ;   in Loop: Header=BB305_991 Depth=1
	v_and_b32_e32 v85, 0x7f, v0
	v_mov_b32_e32 v31, 0x7c010000
	s_mov_b32 s14, exec_lo
	s_delay_alu instid0(VALU_DEP_2)
	v_cmpx_ne_u32_e32 0x7f, v85
	s_cbranch_execz .LBB305_1219
; %bb.1216:                             ;   in Loop: Header=BB305_991 Depth=1
	v_and_b32_e32 v31, 7, v0
	v_lshrrev_b32_e32 v84, 3, v85
	s_mov_b32 s15, exec_lo
	v_cmpx_gt_u32_e32 8, v85
; %bb.1217:                             ;   in Loop: Header=BB305_991 Depth=1
	s_delay_alu instid0(VALU_DEP_3) | instskip(NEXT) | instid1(VALU_DEP_1)
	v_clz_i32_u32_e32 v31, v31
	v_min_u32_e32 v31, 32, v31
	s_delay_alu instid0(VALU_DEP_1) | instskip(NEXT) | instid1(VALU_DEP_1)
	v_subrev_nc_u32_e32 v84, 28, v31
	v_lshlrev_b64_e32 v[85:86], v84, v[0:1]
	v_sub_nc_u32_e32 v84, 29, v31
	s_delay_alu instid0(VALU_DEP_2)
	v_and_b32_e32 v31, 7, v85
; %bb.1218:                             ;   in Loop: Header=BB305_991 Depth=1
	s_wait_alu 0xfffe
	s_or_b32 exec_lo, exec_lo, s15
	v_lshlrev_b32_e32 v0, 8, v0
	v_lshl_add_u32 v84, v84, 10, 0x2000
	v_lshlrev_b32_e32 v31, 23, v31
	s_delay_alu instid0(VALU_DEP_2) | instskip(NEXT) | instid1(VALU_DEP_1)
	v_and_or_b32 v0, 0x8000, v0, v84
	v_lshl_or_b32 v31, v0, 16, v31
.LBB305_1219:                           ;   in Loop: Header=BB305_991 Depth=1
	s_wait_alu 0xfffe
	s_or_b32 exec_lo, exec_lo, s14
.LBB305_1220:                           ;   in Loop: Header=BB305_991 Depth=1
	s_wait_alu 0xfffe
	s_or_b32 exec_lo, exec_lo, s13
.LBB305_1221:                           ;   in Loop: Header=BB305_991 Depth=1
	s_wait_alu 0xfffe
	s_or_b32 exec_lo, exec_lo, s12
	v_dual_mov_b32 v85, 0 :: v_dual_and_b32 v86, 0xff, v11
	v_mov_b32_e32 v0, v11
	v_mov_b32_e32 v84, 0
	s_mov_b32 s12, exec_lo
	s_delay_alu instid0(VALU_DEP_3)
	v_cmpx_ne_u16_e32 0, v86
	s_cbranch_execz .LBB305_1229
; %bb.1222:                             ;   in Loop: Header=BB305_991 Depth=1
	v_mov_b32_e32 v85, 0x8000
	s_mov_b32 s13, exec_lo
	v_cmpx_ne_u16_e32 0x80, v86
	s_cbranch_execz .LBB305_1228
; %bb.1223:                             ;   in Loop: Header=BB305_991 Depth=1
	v_and_b32_e32 v87, 0x7f, v11
	v_mov_b32_e32 v85, 0x7c01
	s_mov_b32 s14, exec_lo
	s_delay_alu instid0(VALU_DEP_2)
	v_cmpx_ne_u32_e32 0x7f, v87
	s_cbranch_execz .LBB305_1227
; %bb.1224:                             ;   in Loop: Header=BB305_991 Depth=1
	v_and_b32_e32 v85, 7, v11
	v_lshrrev_b32_e32 v86, 3, v87
	s_mov_b32 s15, exec_lo
	v_cmpx_gt_u32_e32 8, v87
; %bb.1225:                             ;   in Loop: Header=BB305_991 Depth=1
	s_delay_alu instid0(VALU_DEP_3) | instskip(NEXT) | instid1(VALU_DEP_1)
	v_clz_i32_u32_e32 v85, v85
	v_min_u32_e32 v87, 32, v85
	s_delay_alu instid0(VALU_DEP_1) | instskip(NEXT) | instid1(VALU_DEP_1)
	v_subrev_nc_u32_e32 v85, 28, v87
	v_lshlrev_b64_e32 v[85:86], v85, v[0:1]
	v_sub_nc_u32_e32 v86, 29, v87
	s_delay_alu instid0(VALU_DEP_2)
	v_and_b32_e32 v85, 7, v85
; %bb.1226:                             ;   in Loop: Header=BB305_991 Depth=1
	s_wait_alu 0xfffe
	s_or_b32 exec_lo, exec_lo, s15
	v_lshlrev_b32_e32 v87, 8, v11
	v_lshl_add_u32 v86, v86, 10, 0x2000
	v_lshlrev_b32_e32 v85, 7, v85
	s_delay_alu instid0(VALU_DEP_3) | instskip(NEXT) | instid1(VALU_DEP_3)
	v_and_b32_e32 v87, 0x8000, v87
	v_and_b32_e32 v86, 0xfc00, v86
	s_delay_alu instid0(VALU_DEP_1)
	v_or3_b32 v85, v87, v86, v85
.LBB305_1227:                           ;   in Loop: Header=BB305_991 Depth=1
	s_wait_alu 0xfffe
	s_or_b32 exec_lo, exec_lo, s14
.LBB305_1228:                           ;   in Loop: Header=BB305_991 Depth=1
	s_wait_alu 0xfffe
	s_or_b32 exec_lo, exec_lo, s13
.LBB305_1229:                           ;   in Loop: Header=BB305_991 Depth=1
	s_wait_alu 0xfffe
	s_or_b32 exec_lo, exec_lo, s12
	v_lshrrev_b16 v0, 8, v0
	v_mov_b32_e32 v86, 0
	s_mov_b32 s12, exec_lo
	s_delay_alu instid0(VALU_DEP_2)
	v_cmpx_ne_u16_e32 0, v0
	s_cbranch_execz .LBB305_1237
; %bb.1230:                             ;   in Loop: Header=BB305_991 Depth=1
	v_bfrev_b32_e32 v86, 1
	s_mov_b32 s13, exec_lo
	v_cmpx_ne_u16_e32 0x80, v0
	s_cbranch_execz .LBB305_1236
; %bb.1231:                             ;   in Loop: Header=BB305_991 Depth=1
	v_and_b32_e32 v87, 0xffff, v0
	v_mov_b32_e32 v86, 0x7c010000
	s_mov_b32 s14, exec_lo
	s_delay_alu instid0(VALU_DEP_2) | instskip(NEXT) | instid1(VALU_DEP_1)
	v_and_b32_e32 v97, 0x7f, v87
	v_cmpx_ne_u32_e32 0x7f, v97
	s_cbranch_execz .LBB305_1235
; %bb.1232:                             ;   in Loop: Header=BB305_991 Depth=1
	v_and_b32_e32 v86, 7, v87
	v_lshrrev_b32_e32 v96, 3, v97
	s_mov_b32 s15, exec_lo
	v_cmpx_gt_u32_e32 8, v97
; %bb.1233:                             ;   in Loop: Header=BB305_991 Depth=1
	s_delay_alu instid0(VALU_DEP_3) | instskip(NEXT) | instid1(VALU_DEP_1)
	v_clz_i32_u32_e32 v86, v86
	v_min_u32_e32 v86, 32, v86
	s_delay_alu instid0(VALU_DEP_1) | instskip(NEXT) | instid1(VALU_DEP_1)
	v_subrev_nc_u32_e32 v96, 28, v86
	v_lshlrev_b64_e32 v[97:98], v96, v[0:1]
	v_sub_nc_u32_e32 v96, 29, v86
	s_delay_alu instid0(VALU_DEP_2)
	v_and_b32_e32 v86, 7, v97
; %bb.1234:                             ;   in Loop: Header=BB305_991 Depth=1
	s_wait_alu 0xfffe
	s_or_b32 exec_lo, exec_lo, s15
	v_lshlrev_b32_e32 v0, 8, v87
	v_lshl_add_u32 v87, v96, 10, 0x2000
	v_lshlrev_b32_e32 v86, 23, v86
	s_delay_alu instid0(VALU_DEP_2) | instskip(NEXT) | instid1(VALU_DEP_1)
	v_and_or_b32 v0, 0x8000, v0, v87
	v_lshl_or_b32 v86, v0, 16, v86
.LBB305_1235:                           ;   in Loop: Header=BB305_991 Depth=1
	s_wait_alu 0xfffe
	s_or_b32 exec_lo, exec_lo, s14
.LBB305_1236:                           ;   in Loop: Header=BB305_991 Depth=1
	s_wait_alu 0xfffe
	s_or_b32 exec_lo, exec_lo, s13
.LBB305_1237:                           ;   in Loop: Header=BB305_991 Depth=1
	s_wait_alu 0xfffe
	s_or_b32 exec_lo, exec_lo, s12
	v_lshrrev_b32_e32 v0, 16, v11
	s_mov_b32 s12, exec_lo
	s_delay_alu instid0(VALU_DEP_1) | instskip(NEXT) | instid1(VALU_DEP_1)
	v_and_b32_e32 v87, 0xff, v0
	v_cmpx_ne_u16_e32 0, v87
	s_cbranch_execz .LBB305_1245
; %bb.1238:                             ;   in Loop: Header=BB305_991 Depth=1
	v_mov_b32_e32 v84, 0x8000
	s_mov_b32 s13, exec_lo
	v_cmpx_ne_u16_e32 0x80, v87
	s_cbranch_execz .LBB305_1244
; %bb.1239:                             ;   in Loop: Header=BB305_991 Depth=1
	v_bfe_u32 v96, v11, 16, 7
	v_mov_b32_e32 v84, 0x7c01
	s_mov_b32 s14, exec_lo
	s_delay_alu instid0(VALU_DEP_2)
	v_cmpx_ne_u32_e32 0x7f, v96
	s_cbranch_execz .LBB305_1243
; %bb.1240:                             ;   in Loop: Header=BB305_991 Depth=1
	v_and_b32_e32 v84, 7, v0
	v_lshrrev_b32_e32 v87, 3, v96
	s_mov_b32 s15, exec_lo
	v_cmpx_gt_u32_e32 8, v96
; %bb.1241:                             ;   in Loop: Header=BB305_991 Depth=1
	s_delay_alu instid0(VALU_DEP_3) | instskip(NEXT) | instid1(VALU_DEP_1)
	v_clz_i32_u32_e32 v84, v84
	v_min_u32_e32 v84, 32, v84
	s_delay_alu instid0(VALU_DEP_1) | instskip(NEXT) | instid1(VALU_DEP_1)
	v_subrev_nc_u32_e32 v87, 28, v84
	v_lshlrev_b64_e32 v[96:97], v87, v[0:1]
	v_sub_nc_u32_e32 v87, 29, v84
	s_delay_alu instid0(VALU_DEP_2)
	v_and_b32_e32 v84, 7, v96
; %bb.1242:                             ;   in Loop: Header=BB305_991 Depth=1
	s_wait_alu 0xfffe
	s_or_b32 exec_lo, exec_lo, s15
	v_lshlrev_b32_e32 v0, 8, v0
	v_lshl_add_u32 v87, v87, 10, 0x2000
	v_lshlrev_b32_e32 v84, 7, v84
	s_delay_alu instid0(VALU_DEP_3) | instskip(NEXT) | instid1(VALU_DEP_3)
	v_and_b32_e32 v0, 0x8000, v0
	v_and_b32_e32 v87, 0xfc00, v87
	s_delay_alu instid0(VALU_DEP_1)
	v_or3_b32 v84, v0, v87, v84
.LBB305_1243:                           ;   in Loop: Header=BB305_991 Depth=1
	s_wait_alu 0xfffe
	s_or_b32 exec_lo, exec_lo, s14
.LBB305_1244:                           ;   in Loop: Header=BB305_991 Depth=1
	s_wait_alu 0xfffe
	s_or_b32 exec_lo, exec_lo, s13
.LBB305_1245:                           ;   in Loop: Header=BB305_991 Depth=1
	s_wait_alu 0xfffe
	s_or_b32 exec_lo, exec_lo, s12
	v_cmp_lt_u64_e64 s0, s[8:9], v[10:11]
	v_mov_b32_e32 v10, 0
	s_and_saveexec_b32 s12, s0
	s_cbranch_execz .LBB305_1253
; %bb.1246:                             ;   in Loop: Header=BB305_991 Depth=1
	v_lshrrev_b32_e32 v0, 24, v11
	v_bfrev_b32_e32 v10, 1
	s_mov_b32 s13, exec_lo
	s_delay_alu instid0(VALU_DEP_2)
	v_cmpx_ne_u32_e32 0x80, v0
	s_cbranch_execz .LBB305_1252
; %bb.1247:                             ;   in Loop: Header=BB305_991 Depth=1
	v_and_b32_e32 v87, 0x7f, v0
	v_mov_b32_e32 v10, 0x7c010000
	s_mov_b32 s14, exec_lo
	s_delay_alu instid0(VALU_DEP_2)
	v_cmpx_ne_u32_e32 0x7f, v87
	s_cbranch_execz .LBB305_1251
; %bb.1248:                             ;   in Loop: Header=BB305_991 Depth=1
	v_and_b32_e32 v10, 7, v0
	v_lshrrev_b32_e32 v11, 3, v87
	s_mov_b32 s15, exec_lo
	v_cmpx_gt_u32_e32 8, v87
; %bb.1249:                             ;   in Loop: Header=BB305_991 Depth=1
	s_delay_alu instid0(VALU_DEP_3) | instskip(NEXT) | instid1(VALU_DEP_1)
	v_clz_i32_u32_e32 v10, v10
	v_min_u32_e32 v87, 32, v10
	s_delay_alu instid0(VALU_DEP_1) | instskip(NEXT) | instid1(VALU_DEP_1)
	v_subrev_nc_u32_e32 v10, 28, v87
	v_lshlrev_b64_e32 v[10:11], v10, v[0:1]
	v_sub_nc_u32_e32 v11, 29, v87
	s_delay_alu instid0(VALU_DEP_2)
	v_and_b32_e32 v10, 7, v10
; %bb.1250:                             ;   in Loop: Header=BB305_991 Depth=1
	s_wait_alu 0xfffe
	s_or_b32 exec_lo, exec_lo, s15
	v_lshlrev_b32_e32 v0, 8, v0
	v_lshl_add_u32 v11, v11, 10, 0x2000
	v_lshlrev_b32_e32 v10, 23, v10
	s_delay_alu instid0(VALU_DEP_2) | instskip(NEXT) | instid1(VALU_DEP_1)
	v_and_or_b32 v0, 0x8000, v0, v11
	v_lshl_or_b32 v10, v0, 16, v10
.LBB305_1251:                           ;   in Loop: Header=BB305_991 Depth=1
	s_wait_alu 0xfffe
	s_or_b32 exec_lo, exec_lo, s14
.LBB305_1252:                           ;   in Loop: Header=BB305_991 Depth=1
	s_wait_alu 0xfffe
	s_or_b32 exec_lo, exec_lo, s13
.LBB305_1253:                           ;   in Loop: Header=BB305_991 Depth=1
	s_wait_alu 0xfffe
	s_or_b32 exec_lo, exec_lo, s12
	v_or_b32_e32 v0, v31, v83
	s_wait_loadcnt_dscnt 0x0
	v_fma_mixlo_f16 v11, v4, v31, 0 op_sel:[0,1,0] op_sel_hi:[0,1,0]
	v_or_b32_e32 v31, v5, v23
	v_fma_mixlo_f16 v5, v4, v5, 0 op_sel:[0,1,0] op_sel_hi:[0,1,0]
	v_or_b32_e32 v83, v86, v85
	v_fma_mixlo_f16 v85, v4, v0, 0 op_sel_hi:[0,1,0]
	v_or_b32_e32 v84, v10, v84
	v_lshlrev_b32_e32 v0, 16, v11
	v_lshlrev_b32_e32 v23, 16, v5
	v_fma_mixlo_f16 v11, v4, v31, 0 op_sel_hi:[0,1,0]
	v_and_b32_e32 v5, 0xffff, v85
	v_fma_mixlo_f16 v31, v4, v86, 0 op_sel:[0,1,0] op_sel_hi:[0,1,0]
	v_fma_mixlo_f16 v83, v4, v83, 0 op_sel_hi:[0,1,0]
	v_fma_mixlo_f16 v85, v4, v10, 0 op_sel:[0,1,0] op_sel_hi:[0,1,0]
	v_fma_mixlo_f16 v84, v4, v84, 0 op_sel_hi:[0,1,0]
	v_and_b32_e32 v87, 0xffff, v11
	v_lshlrev_b32_e32 v10, 16, v31
	v_and_b32_e32 v83, 0xffff, v83
	v_lshlrev_b32_e32 v4, 16, v85
	v_and_b32_e32 v11, 0xffff, v84
	v_or_b32_e32 v31, v0, v5
	v_or_b32_e32 v86, v23, v87
	;; [unrolled: 1-line block ×3, first 2 shown]
	s_delay_alu instid0(VALU_DEP_4)
	v_or_b32_e32 v84, v4, v11
	s_and_saveexec_b32 s12, vcc_lo
	s_cbranch_execz .LBB305_1255
; %bb.1254:                             ;   in Loop: Header=BB305_991 Depth=1
	v_cmp_lt_i32_e64 s0, v35, v30
	s_wait_alu 0xf1ff
	s_delay_alu instid0(VALU_DEP_1) | instskip(SKIP_2) | instid1(VALU_DEP_1)
	v_cndmask_b32_e64 v31, 0, v87, s0
	v_cmp_lt_i32_e64 s0, v70, v30
	s_wait_alu 0xf1ff
	v_cndmask_b32_e64 v23, 0, v23, s0
	v_cmp_lt_i32_e64 s0, v69, v30
	s_delay_alu instid0(VALU_DEP_2) | instskip(SKIP_1) | instid1(VALU_DEP_2)
	v_or_b32_e32 v86, v31, v23
	s_wait_alu 0xf1ff
	v_cndmask_b32_e64 v5, 0, v5, s0
	v_cmp_lt_i32_e64 s0, v68, v30
	s_wait_alu 0xf1ff
	s_delay_alu instid0(VALU_DEP_1) | instskip(SKIP_1) | instid1(VALU_DEP_2)
	v_cndmask_b32_e64 v0, 0, v0, s0
	v_cmp_lt_i32_e64 s0, v67, v30
	v_or_b32_e32 v31, v5, v0
	s_wait_alu 0xf1ff
	s_delay_alu instid0(VALU_DEP_2) | instskip(SKIP_2) | instid1(VALU_DEP_1)
	v_cndmask_b32_e64 v83, 0, v83, s0
	v_cmp_lt_i32_e64 s0, v66, v30
	s_wait_alu 0xf1ff
	v_cndmask_b32_e64 v10, 0, v10, s0
	v_cmp_lt_i32_e64 s0, v65, v30
	s_delay_alu instid0(VALU_DEP_2) | instskip(SKIP_1) | instid1(VALU_DEP_2)
	v_or_b32_e32 v85, v83, v10
	s_wait_alu 0xf1ff
	v_cndmask_b32_e64 v11, 0, v11, s0
	v_cmp_lt_i32_e64 s0, v14, v30
	s_wait_alu 0xf1ff
	s_delay_alu instid0(VALU_DEP_1) | instskip(NEXT) | instid1(VALU_DEP_1)
	v_cndmask_b32_e64 v4, 0, v4, s0
	v_or_b32_e32 v84, v11, v4
.LBB305_1255:                           ;   in Loop: Header=BB305_991 Depth=1
	s_wait_alu 0xfffe
	s_or_b32 exec_lo, exec_lo, s12
	;;#ASMSTART
	v_pk_mul_f16 v0, v55, v86;

	;;#ASMEND
	;;#ASMSTART
	v_pk_mul_f16 v4, v53, v31;

	;;#ASMEND
	;; [unrolled: 4-line block ×4, first 2 shown]
	;;#ASMSTART
	v_pk_add_f16 v0, v0, v4;

	;;#ASMEND
	;;#ASMSTART
	v_pk_add_f16 v0, v0, v5;

	;;#ASMEND
	;; [unrolled: 4-line block ×3, first 2 shown]
	v_dual_mov_b32 v5, 0 :: v_dual_and_b32 v4, 0xffff, v0
	v_lshrrev_b32_e32 v0, 16, v0
	;;#ASMSTART
	v_cvt_f32_f16 v83, v4;
	;;#ASMEND
	;;#ASMSTART
	v_cvt_f32_f16 v84, v0;
	;;#ASMEND
	flat_load_b64 v[10:11], v[8:9] offset:1024
	flat_load_b32 v4, v[26:27]
	s_mov_b32 s12, exec_lo
	s_wait_loadcnt_dscnt 0x101
	v_dual_mov_b32 v23, 0 :: v_dual_and_b32 v0, 0xff, v10
	s_delay_alu instid0(VALU_DEP_1)
	v_cmpx_ne_u16_e32 0, v0
	s_cbranch_execz .LBB305_1263
; %bb.1256:                             ;   in Loop: Header=BB305_991 Depth=1
	v_mov_b32_e32 v23, 0x8000
	s_mov_b32 s13, exec_lo
	v_cmpx_ne_u16_e32 0x80, v0
	s_cbranch_execz .LBB305_1262
; %bb.1257:                             ;   in Loop: Header=BB305_991 Depth=1
	v_and_b32_e32 v31, 0x7f, v10
	v_mov_b32_e32 v23, 0x7c01
	s_mov_b32 s14, exec_lo
	s_delay_alu instid0(VALU_DEP_2)
	v_cmpx_ne_u32_e32 0x7f, v31
	s_cbranch_execz .LBB305_1261
; %bb.1258:                             ;   in Loop: Header=BB305_991 Depth=1
	v_and_b32_e32 v0, 7, v10
	v_lshrrev_b32_e32 v23, 3, v31
	s_mov_b32 s15, exec_lo
	v_cmpx_gt_u32_e32 8, v31
; %bb.1259:                             ;   in Loop: Header=BB305_991 Depth=1
	s_delay_alu instid0(VALU_DEP_3) | instskip(NEXT) | instid1(VALU_DEP_1)
	v_clz_i32_u32_e32 v0, v0
	v_min_u32_e32 v0, 32, v0
	s_delay_alu instid0(VALU_DEP_1) | instskip(NEXT) | instid1(VALU_DEP_1)
	v_subrev_nc_u32_e32 v23, 28, v0
	v_lshlrev_b64_e32 v[85:86], v23, v[10:11]
	v_sub_nc_u32_e32 v23, 29, v0
	s_delay_alu instid0(VALU_DEP_2)
	v_and_b32_e32 v0, 7, v85
; %bb.1260:                             ;   in Loop: Header=BB305_991 Depth=1
	s_wait_alu 0xfffe
	s_or_b32 exec_lo, exec_lo, s15
	v_lshlrev_b32_e32 v31, 8, v10
	v_lshl_add_u32 v23, v23, 10, 0x2000
	v_lshlrev_b32_e32 v0, 7, v0
	s_delay_alu instid0(VALU_DEP_3) | instskip(NEXT) | instid1(VALU_DEP_3)
	v_and_b32_e32 v31, 0x8000, v31
	v_and_b32_e32 v23, 0xfc00, v23
	s_delay_alu instid0(VALU_DEP_1)
	v_or3_b32 v23, v31, v23, v0
.LBB305_1261:                           ;   in Loop: Header=BB305_991 Depth=1
	s_wait_alu 0xfffe
	s_or_b32 exec_lo, exec_lo, s14
.LBB305_1262:                           ;   in Loop: Header=BB305_991 Depth=1
	s_wait_alu 0xfffe
	s_or_b32 exec_lo, exec_lo, s13
.LBB305_1263:                           ;   in Loop: Header=BB305_991 Depth=1
	s_wait_alu 0xfffe
	s_or_b32 exec_lo, exec_lo, s12
	v_lshrrev_b16 v0, 8, v10
	s_mov_b32 s12, exec_lo
	s_delay_alu instid0(VALU_DEP_1)
	v_cmpx_ne_u16_e32 0, v0
	s_cbranch_execz .LBB305_1271
; %bb.1264:                             ;   in Loop: Header=BB305_991 Depth=1
	v_bfrev_b32_e32 v5, 1
	s_mov_b32 s13, exec_lo
	v_cmpx_ne_u16_e32 0x80, v0
	s_cbranch_execz .LBB305_1270
; %bb.1265:                             ;   in Loop: Header=BB305_991 Depth=1
	v_and_b32_e32 v31, 0xffff, v0
	v_mov_b32_e32 v5, 0x7c010000
	s_mov_b32 s14, exec_lo
	s_delay_alu instid0(VALU_DEP_2) | instskip(NEXT) | instid1(VALU_DEP_1)
	v_and_b32_e32 v86, 0x7f, v31
	v_cmpx_ne_u32_e32 0x7f, v86
	s_cbranch_execz .LBB305_1269
; %bb.1266:                             ;   in Loop: Header=BB305_991 Depth=1
	v_and_b32_e32 v5, 7, v31
	v_lshrrev_b32_e32 v85, 3, v86
	s_mov_b32 s15, exec_lo
	v_cmpx_gt_u32_e32 8, v86
; %bb.1267:                             ;   in Loop: Header=BB305_991 Depth=1
	s_delay_alu instid0(VALU_DEP_3) | instskip(NEXT) | instid1(VALU_DEP_1)
	v_clz_i32_u32_e32 v5, v5
	v_min_u32_e32 v5, 32, v5
	s_delay_alu instid0(VALU_DEP_1) | instskip(NEXT) | instid1(VALU_DEP_1)
	v_subrev_nc_u32_e32 v85, 28, v5
	v_lshlrev_b64_e32 v[86:87], v85, v[0:1]
	v_sub_nc_u32_e32 v85, 29, v5
	s_delay_alu instid0(VALU_DEP_2)
	v_and_b32_e32 v5, 7, v86
; %bb.1268:                             ;   in Loop: Header=BB305_991 Depth=1
	s_wait_alu 0xfffe
	s_or_b32 exec_lo, exec_lo, s15
	v_lshlrev_b32_e32 v0, 8, v31
	v_lshl_add_u32 v31, v85, 10, 0x2000
	v_lshlrev_b32_e32 v5, 23, v5
	s_delay_alu instid0(VALU_DEP_2) | instskip(NEXT) | instid1(VALU_DEP_1)
	v_and_or_b32 v0, 0x8000, v0, v31
	v_lshl_or_b32 v5, v0, 16, v5
.LBB305_1269:                           ;   in Loop: Header=BB305_991 Depth=1
	s_wait_alu 0xfffe
	s_or_b32 exec_lo, exec_lo, s14
.LBB305_1270:                           ;   in Loop: Header=BB305_991 Depth=1
	s_wait_alu 0xfffe
	s_or_b32 exec_lo, exec_lo, s13
.LBB305_1271:                           ;   in Loop: Header=BB305_991 Depth=1
	s_wait_alu 0xfffe
	s_or_b32 exec_lo, exec_lo, s12
	v_lshrrev_b32_e32 v0, 16, v10
	v_mov_b32_e32 v85, 0
	s_mov_b32 s12, exec_lo
	s_delay_alu instid0(VALU_DEP_2) | instskip(NEXT) | instid1(VALU_DEP_1)
	v_dual_mov_b32 v31, 0 :: v_dual_and_b32 v86, 0xff, v0
	v_cmpx_ne_u16_e32 0, v86
	s_cbranch_execz .LBB305_1279
; %bb.1272:                             ;   in Loop: Header=BB305_991 Depth=1
	v_mov_b32_e32 v85, 0x8000
	s_mov_b32 s13, exec_lo
	v_cmpx_ne_u16_e32 0x80, v86
	s_cbranch_execz .LBB305_1278
; %bb.1273:                             ;   in Loop: Header=BB305_991 Depth=1
	v_bfe_u32 v87, v10, 16, 7
	v_mov_b32_e32 v85, 0x7c01
	s_mov_b32 s14, exec_lo
	s_delay_alu instid0(VALU_DEP_2)
	v_cmpx_ne_u32_e32 0x7f, v87
	s_cbranch_execz .LBB305_1277
; %bb.1274:                             ;   in Loop: Header=BB305_991 Depth=1
	v_and_b32_e32 v85, 7, v0
	v_lshrrev_b32_e32 v86, 3, v87
	s_mov_b32 s15, exec_lo
	v_cmpx_gt_u32_e32 8, v87
; %bb.1275:                             ;   in Loop: Header=BB305_991 Depth=1
	s_delay_alu instid0(VALU_DEP_3) | instskip(NEXT) | instid1(VALU_DEP_1)
	v_clz_i32_u32_e32 v85, v85
	v_min_u32_e32 v87, 32, v85
	s_delay_alu instid0(VALU_DEP_1) | instskip(NEXT) | instid1(VALU_DEP_1)
	v_subrev_nc_u32_e32 v85, 28, v87
	v_lshlrev_b64_e32 v[85:86], v85, v[0:1]
	v_sub_nc_u32_e32 v86, 29, v87
	s_delay_alu instid0(VALU_DEP_2)
	v_and_b32_e32 v85, 7, v85
; %bb.1276:                             ;   in Loop: Header=BB305_991 Depth=1
	s_wait_alu 0xfffe
	s_or_b32 exec_lo, exec_lo, s15
	v_lshlrev_b32_e32 v0, 8, v0
	v_lshl_add_u32 v86, v86, 10, 0x2000
	v_lshlrev_b32_e32 v85, 7, v85
	s_delay_alu instid0(VALU_DEP_3) | instskip(NEXT) | instid1(VALU_DEP_3)
	v_and_b32_e32 v0, 0x8000, v0
	v_and_b32_e32 v86, 0xfc00, v86
	s_delay_alu instid0(VALU_DEP_1)
	v_or3_b32 v85, v0, v86, v85
.LBB305_1277:                           ;   in Loop: Header=BB305_991 Depth=1
	s_wait_alu 0xfffe
	s_or_b32 exec_lo, exec_lo, s14
.LBB305_1278:                           ;   in Loop: Header=BB305_991 Depth=1
	s_wait_alu 0xfffe
	s_or_b32 exec_lo, exec_lo, s13
.LBB305_1279:                           ;   in Loop: Header=BB305_991 Depth=1
	s_wait_alu 0xfffe
	s_or_b32 exec_lo, exec_lo, s12
	s_delay_alu instid0(SALU_CYCLE_1)
	s_mov_b32 s12, exec_lo
	v_cmpx_lt_u32_e32 0xffffff, v10
	s_cbranch_execz .LBB305_1287
; %bb.1280:                             ;   in Loop: Header=BB305_991 Depth=1
	v_lshrrev_b32_e32 v0, 24, v10
	v_bfrev_b32_e32 v31, 1
	s_mov_b32 s13, exec_lo
	s_delay_alu instid0(VALU_DEP_2)
	v_cmpx_ne_u32_e32 0x80, v0
	s_cbranch_execz .LBB305_1286
; %bb.1281:                             ;   in Loop: Header=BB305_991 Depth=1
	v_and_b32_e32 v87, 0x7f, v0
	v_mov_b32_e32 v31, 0x7c010000
	s_mov_b32 s14, exec_lo
	s_delay_alu instid0(VALU_DEP_2)
	v_cmpx_ne_u32_e32 0x7f, v87
	s_cbranch_execz .LBB305_1285
; %bb.1282:                             ;   in Loop: Header=BB305_991 Depth=1
	v_and_b32_e32 v31, 7, v0
	v_lshrrev_b32_e32 v86, 3, v87
	s_mov_b32 s15, exec_lo
	v_cmpx_gt_u32_e32 8, v87
; %bb.1283:                             ;   in Loop: Header=BB305_991 Depth=1
	s_delay_alu instid0(VALU_DEP_3) | instskip(NEXT) | instid1(VALU_DEP_1)
	v_clz_i32_u32_e32 v31, v31
	v_min_u32_e32 v31, 32, v31
	s_delay_alu instid0(VALU_DEP_1) | instskip(NEXT) | instid1(VALU_DEP_1)
	v_subrev_nc_u32_e32 v86, 28, v31
	v_lshlrev_b64_e32 v[96:97], v86, v[0:1]
	v_sub_nc_u32_e32 v86, 29, v31
	s_delay_alu instid0(VALU_DEP_2)
	v_and_b32_e32 v31, 7, v96
; %bb.1284:                             ;   in Loop: Header=BB305_991 Depth=1
	s_wait_alu 0xfffe
	s_or_b32 exec_lo, exec_lo, s15
	v_lshlrev_b32_e32 v0, 8, v0
	v_lshl_add_u32 v86, v86, 10, 0x2000
	v_lshlrev_b32_e32 v31, 23, v31
	s_delay_alu instid0(VALU_DEP_2) | instskip(NEXT) | instid1(VALU_DEP_1)
	v_and_or_b32 v0, 0x8000, v0, v86
	v_lshl_or_b32 v31, v0, 16, v31
.LBB305_1285:                           ;   in Loop: Header=BB305_991 Depth=1
	s_wait_alu 0xfffe
	s_or_b32 exec_lo, exec_lo, s14
.LBB305_1286:                           ;   in Loop: Header=BB305_991 Depth=1
	s_wait_alu 0xfffe
	s_or_b32 exec_lo, exec_lo, s13
.LBB305_1287:                           ;   in Loop: Header=BB305_991 Depth=1
	s_wait_alu 0xfffe
	s_or_b32 exec_lo, exec_lo, s12
	v_dual_mov_b32 v87, 0 :: v_dual_and_b32 v96, 0xff, v11
	v_mov_b32_e32 v0, v11
	v_mov_b32_e32 v86, 0
	s_mov_b32 s12, exec_lo
	s_delay_alu instid0(VALU_DEP_3)
	v_cmpx_ne_u16_e32 0, v96
	s_cbranch_execz .LBB305_1295
; %bb.1288:                             ;   in Loop: Header=BB305_991 Depth=1
	v_mov_b32_e32 v87, 0x8000
	s_mov_b32 s13, exec_lo
	v_cmpx_ne_u16_e32 0x80, v96
	s_cbranch_execz .LBB305_1294
; %bb.1289:                             ;   in Loop: Header=BB305_991 Depth=1
	v_and_b32_e32 v97, 0x7f, v11
	v_mov_b32_e32 v87, 0x7c01
	s_mov_b32 s14, exec_lo
	s_delay_alu instid0(VALU_DEP_2)
	v_cmpx_ne_u32_e32 0x7f, v97
	s_cbranch_execz .LBB305_1293
; %bb.1290:                             ;   in Loop: Header=BB305_991 Depth=1
	v_and_b32_e32 v87, 7, v11
	v_lshrrev_b32_e32 v96, 3, v97
	s_mov_b32 s15, exec_lo
	v_cmpx_gt_u32_e32 8, v97
; %bb.1291:                             ;   in Loop: Header=BB305_991 Depth=1
	s_delay_alu instid0(VALU_DEP_3) | instskip(NEXT) | instid1(VALU_DEP_1)
	v_clz_i32_u32_e32 v87, v87
	v_min_u32_e32 v87, 32, v87
	s_delay_alu instid0(VALU_DEP_1) | instskip(NEXT) | instid1(VALU_DEP_1)
	v_subrev_nc_u32_e32 v96, 28, v87
	v_lshlrev_b64_e32 v[97:98], v96, v[0:1]
	v_sub_nc_u32_e32 v96, 29, v87
	s_delay_alu instid0(VALU_DEP_2)
	v_and_b32_e32 v87, 7, v97
; %bb.1292:                             ;   in Loop: Header=BB305_991 Depth=1
	s_wait_alu 0xfffe
	s_or_b32 exec_lo, exec_lo, s15
	v_lshlrev_b32_e32 v97, 8, v11
	v_lshl_add_u32 v96, v96, 10, 0x2000
	v_lshlrev_b32_e32 v87, 7, v87
	s_delay_alu instid0(VALU_DEP_3) | instskip(NEXT) | instid1(VALU_DEP_3)
	v_and_b32_e32 v97, 0x8000, v97
	v_and_b32_e32 v96, 0xfc00, v96
	s_delay_alu instid0(VALU_DEP_1)
	v_or3_b32 v87, v97, v96, v87
.LBB305_1293:                           ;   in Loop: Header=BB305_991 Depth=1
	s_wait_alu 0xfffe
	s_or_b32 exec_lo, exec_lo, s14
.LBB305_1294:                           ;   in Loop: Header=BB305_991 Depth=1
	s_wait_alu 0xfffe
	s_or_b32 exec_lo, exec_lo, s13
.LBB305_1295:                           ;   in Loop: Header=BB305_991 Depth=1
	s_wait_alu 0xfffe
	s_or_b32 exec_lo, exec_lo, s12
	v_lshrrev_b16 v0, 8, v0
	v_mov_b32_e32 v96, 0
	s_mov_b32 s12, exec_lo
	s_delay_alu instid0(VALU_DEP_2)
	v_cmpx_ne_u16_e32 0, v0
	s_cbranch_execz .LBB305_1303
; %bb.1296:                             ;   in Loop: Header=BB305_991 Depth=1
	v_bfrev_b32_e32 v96, 1
	s_mov_b32 s13, exec_lo
	v_cmpx_ne_u16_e32 0x80, v0
	s_cbranch_execz .LBB305_1302
; %bb.1297:                             ;   in Loop: Header=BB305_991 Depth=1
	v_and_b32_e32 v97, 0xffff, v0
	v_mov_b32_e32 v96, 0x7c010000
	s_mov_b32 s14, exec_lo
	s_delay_alu instid0(VALU_DEP_2) | instskip(NEXT) | instid1(VALU_DEP_1)
	v_and_b32_e32 v99, 0x7f, v97
	v_cmpx_ne_u32_e32 0x7f, v99
	s_cbranch_execz .LBB305_1301
; %bb.1298:                             ;   in Loop: Header=BB305_991 Depth=1
	v_and_b32_e32 v96, 7, v97
	v_lshrrev_b32_e32 v98, 3, v99
	s_mov_b32 s15, exec_lo
	v_cmpx_gt_u32_e32 8, v99
; %bb.1299:                             ;   in Loop: Header=BB305_991 Depth=1
	s_delay_alu instid0(VALU_DEP_3) | instskip(NEXT) | instid1(VALU_DEP_1)
	v_clz_i32_u32_e32 v96, v96
	v_min_u32_e32 v96, 32, v96
	s_delay_alu instid0(VALU_DEP_1) | instskip(NEXT) | instid1(VALU_DEP_1)
	v_subrev_nc_u32_e32 v98, 28, v96
	v_lshlrev_b64_e32 v[99:100], v98, v[0:1]
	v_sub_nc_u32_e32 v98, 29, v96
	s_delay_alu instid0(VALU_DEP_2)
	v_and_b32_e32 v96, 7, v99
; %bb.1300:                             ;   in Loop: Header=BB305_991 Depth=1
	s_wait_alu 0xfffe
	s_or_b32 exec_lo, exec_lo, s15
	v_lshlrev_b32_e32 v0, 8, v97
	v_lshl_add_u32 v97, v98, 10, 0x2000
	v_lshlrev_b32_e32 v96, 23, v96
	s_delay_alu instid0(VALU_DEP_2) | instskip(NEXT) | instid1(VALU_DEP_1)
	v_and_or_b32 v0, 0x8000, v0, v97
	v_lshl_or_b32 v96, v0, 16, v96
.LBB305_1301:                           ;   in Loop: Header=BB305_991 Depth=1
	s_wait_alu 0xfffe
	s_or_b32 exec_lo, exec_lo, s14
.LBB305_1302:                           ;   in Loop: Header=BB305_991 Depth=1
	s_wait_alu 0xfffe
	s_or_b32 exec_lo, exec_lo, s13
.LBB305_1303:                           ;   in Loop: Header=BB305_991 Depth=1
	s_wait_alu 0xfffe
	s_or_b32 exec_lo, exec_lo, s12
	v_lshrrev_b32_e32 v0, 16, v11
	s_mov_b32 s12, exec_lo
	s_delay_alu instid0(VALU_DEP_1) | instskip(NEXT) | instid1(VALU_DEP_1)
	v_and_b32_e32 v97, 0xff, v0
	v_cmpx_ne_u16_e32 0, v97
	s_cbranch_execz .LBB305_1311
; %bb.1304:                             ;   in Loop: Header=BB305_991 Depth=1
	v_mov_b32_e32 v86, 0x8000
	s_mov_b32 s13, exec_lo
	v_cmpx_ne_u16_e32 0x80, v97
	s_cbranch_execz .LBB305_1310
; %bb.1305:                             ;   in Loop: Header=BB305_991 Depth=1
	v_bfe_u32 v98, v11, 16, 7
	v_mov_b32_e32 v86, 0x7c01
	s_mov_b32 s14, exec_lo
	s_delay_alu instid0(VALU_DEP_2)
	v_cmpx_ne_u32_e32 0x7f, v98
	s_cbranch_execz .LBB305_1309
; %bb.1306:                             ;   in Loop: Header=BB305_991 Depth=1
	v_and_b32_e32 v86, 7, v0
	v_lshrrev_b32_e32 v97, 3, v98
	s_mov_b32 s15, exec_lo
	v_cmpx_gt_u32_e32 8, v98
; %bb.1307:                             ;   in Loop: Header=BB305_991 Depth=1
	s_delay_alu instid0(VALU_DEP_3) | instskip(NEXT) | instid1(VALU_DEP_1)
	v_clz_i32_u32_e32 v86, v86
	v_min_u32_e32 v86, 32, v86
	s_delay_alu instid0(VALU_DEP_1) | instskip(NEXT) | instid1(VALU_DEP_1)
	v_subrev_nc_u32_e32 v97, 28, v86
	v_lshlrev_b64_e32 v[98:99], v97, v[0:1]
	v_sub_nc_u32_e32 v97, 29, v86
	s_delay_alu instid0(VALU_DEP_2)
	v_and_b32_e32 v86, 7, v98
; %bb.1308:                             ;   in Loop: Header=BB305_991 Depth=1
	s_wait_alu 0xfffe
	s_or_b32 exec_lo, exec_lo, s15
	v_lshlrev_b32_e32 v0, 8, v0
	v_lshl_add_u32 v97, v97, 10, 0x2000
	v_lshlrev_b32_e32 v86, 7, v86
	s_delay_alu instid0(VALU_DEP_3) | instskip(NEXT) | instid1(VALU_DEP_3)
	v_and_b32_e32 v0, 0x8000, v0
	v_and_b32_e32 v97, 0xfc00, v97
	s_delay_alu instid0(VALU_DEP_1)
	v_or3_b32 v86, v0, v97, v86
.LBB305_1309:                           ;   in Loop: Header=BB305_991 Depth=1
	s_wait_alu 0xfffe
	s_or_b32 exec_lo, exec_lo, s14
.LBB305_1310:                           ;   in Loop: Header=BB305_991 Depth=1
	s_wait_alu 0xfffe
	s_or_b32 exec_lo, exec_lo, s13
.LBB305_1311:                           ;   in Loop: Header=BB305_991 Depth=1
	s_wait_alu 0xfffe
	s_or_b32 exec_lo, exec_lo, s12
	v_cmp_lt_u64_e64 s0, s[8:9], v[10:11]
	v_mov_b32_e32 v10, 0
	s_and_saveexec_b32 s12, s0
	s_cbranch_execz .LBB305_1319
; %bb.1312:                             ;   in Loop: Header=BB305_991 Depth=1
	v_lshrrev_b32_e32 v0, 24, v11
	v_bfrev_b32_e32 v10, 1
	s_mov_b32 s13, exec_lo
	s_delay_alu instid0(VALU_DEP_2)
	v_cmpx_ne_u32_e32 0x80, v0
	s_cbranch_execz .LBB305_1318
; %bb.1313:                             ;   in Loop: Header=BB305_991 Depth=1
	v_and_b32_e32 v97, 0x7f, v0
	v_mov_b32_e32 v10, 0x7c010000
	s_mov_b32 s14, exec_lo
	s_delay_alu instid0(VALU_DEP_2)
	v_cmpx_ne_u32_e32 0x7f, v97
	s_cbranch_execz .LBB305_1317
; %bb.1314:                             ;   in Loop: Header=BB305_991 Depth=1
	v_and_b32_e32 v10, 7, v0
	v_lshrrev_b32_e32 v11, 3, v97
	s_mov_b32 s15, exec_lo
	v_cmpx_gt_u32_e32 8, v97
; %bb.1315:                             ;   in Loop: Header=BB305_991 Depth=1
	s_delay_alu instid0(VALU_DEP_3) | instskip(NEXT) | instid1(VALU_DEP_1)
	v_clz_i32_u32_e32 v10, v10
	v_min_u32_e32 v97, 32, v10
	s_delay_alu instid0(VALU_DEP_1) | instskip(NEXT) | instid1(VALU_DEP_1)
	v_subrev_nc_u32_e32 v10, 28, v97
	v_lshlrev_b64_e32 v[10:11], v10, v[0:1]
	v_sub_nc_u32_e32 v11, 29, v97
	s_delay_alu instid0(VALU_DEP_2)
	v_and_b32_e32 v10, 7, v10
; %bb.1316:                             ;   in Loop: Header=BB305_991 Depth=1
	s_wait_alu 0xfffe
	s_or_b32 exec_lo, exec_lo, s15
	v_lshlrev_b32_e32 v0, 8, v0
	v_lshl_add_u32 v11, v11, 10, 0x2000
	v_lshlrev_b32_e32 v10, 23, v10
	s_delay_alu instid0(VALU_DEP_2) | instskip(NEXT) | instid1(VALU_DEP_1)
	v_and_or_b32 v0, 0x8000, v0, v11
	v_lshl_or_b32 v10, v0, 16, v10
.LBB305_1317:                           ;   in Loop: Header=BB305_991 Depth=1
	s_wait_alu 0xfffe
	s_or_b32 exec_lo, exec_lo, s14
.LBB305_1318:                           ;   in Loop: Header=BB305_991 Depth=1
	s_wait_alu 0xfffe
	s_or_b32 exec_lo, exec_lo, s13
.LBB305_1319:                           ;   in Loop: Header=BB305_991 Depth=1
	s_wait_alu 0xfffe
	s_or_b32 exec_lo, exec_lo, s12
	v_or_b32_e32 v0, v31, v85
	s_wait_loadcnt_dscnt 0x0
	v_fma_mixlo_f16 v11, v4, v31, 0 op_sel:[0,1,0] op_sel_hi:[0,1,0]
	v_or_b32_e32 v31, v5, v23
	v_fma_mixlo_f16 v5, v4, v5, 0 op_sel:[0,1,0] op_sel_hi:[0,1,0]
	v_or_b32_e32 v85, v96, v87
	v_fma_mixlo_f16 v87, v4, v0, 0 op_sel_hi:[0,1,0]
	v_or_b32_e32 v86, v10, v86
	v_lshlrev_b32_e32 v0, 16, v11
	v_lshlrev_b32_e32 v23, 16, v5
	v_fma_mixlo_f16 v11, v4, v31, 0 op_sel_hi:[0,1,0]
	v_and_b32_e32 v5, 0xffff, v87
	v_fma_mixlo_f16 v31, v4, v96, 0 op_sel:[0,1,0] op_sel_hi:[0,1,0]
	v_fma_mixlo_f16 v85, v4, v85, 0 op_sel_hi:[0,1,0]
	v_fma_mixlo_f16 v87, v4, v10, 0 op_sel:[0,1,0] op_sel_hi:[0,1,0]
	v_fma_mixlo_f16 v86, v4, v86, 0 op_sel_hi:[0,1,0]
	v_and_b32_e32 v97, 0xffff, v11
	v_lshlrev_b32_e32 v10, 16, v31
	v_and_b32_e32 v85, 0xffff, v85
	v_lshlrev_b32_e32 v4, 16, v87
	v_and_b32_e32 v11, 0xffff, v86
	v_or_b32_e32 v31, v0, v5
	v_or_b32_e32 v96, v23, v97
	;; [unrolled: 1-line block ×3, first 2 shown]
	s_delay_alu instid0(VALU_DEP_4)
	v_or_b32_e32 v86, v4, v11
	s_and_saveexec_b32 s12, vcc_lo
	s_cbranch_execz .LBB305_1321
; %bb.1320:                             ;   in Loop: Header=BB305_991 Depth=1
	v_cmp_lt_i32_e64 s0, v35, v30
	s_wait_alu 0xf1ff
	s_delay_alu instid0(VALU_DEP_1) | instskip(SKIP_2) | instid1(VALU_DEP_1)
	v_cndmask_b32_e64 v31, 0, v97, s0
	v_cmp_lt_i32_e64 s0, v70, v30
	s_wait_alu 0xf1ff
	v_cndmask_b32_e64 v23, 0, v23, s0
	v_cmp_lt_i32_e64 s0, v69, v30
	s_delay_alu instid0(VALU_DEP_2) | instskip(SKIP_1) | instid1(VALU_DEP_2)
	v_or_b32_e32 v96, v31, v23
	s_wait_alu 0xf1ff
	v_cndmask_b32_e64 v5, 0, v5, s0
	v_cmp_lt_i32_e64 s0, v68, v30
	s_wait_alu 0xf1ff
	s_delay_alu instid0(VALU_DEP_1) | instskip(SKIP_1) | instid1(VALU_DEP_2)
	v_cndmask_b32_e64 v0, 0, v0, s0
	v_cmp_lt_i32_e64 s0, v67, v30
	v_or_b32_e32 v31, v5, v0
	s_wait_alu 0xf1ff
	s_delay_alu instid0(VALU_DEP_2) | instskip(SKIP_2) | instid1(VALU_DEP_1)
	v_cndmask_b32_e64 v85, 0, v85, s0
	v_cmp_lt_i32_e64 s0, v66, v30
	s_wait_alu 0xf1ff
	v_cndmask_b32_e64 v10, 0, v10, s0
	v_cmp_lt_i32_e64 s0, v65, v30
	s_delay_alu instid0(VALU_DEP_2) | instskip(SKIP_1) | instid1(VALU_DEP_2)
	v_or_b32_e32 v87, v85, v10
	s_wait_alu 0xf1ff
	v_cndmask_b32_e64 v11, 0, v11, s0
	v_cmp_lt_i32_e64 s0, v14, v30
	s_wait_alu 0xf1ff
	s_delay_alu instid0(VALU_DEP_1) | instskip(NEXT) | instid1(VALU_DEP_1)
	v_cndmask_b32_e64 v4, 0, v4, s0
	v_or_b32_e32 v86, v11, v4
.LBB305_1321:                           ;   in Loop: Header=BB305_991 Depth=1
	s_wait_alu 0xfffe
	s_or_b32 exec_lo, exec_lo, s12
	;;#ASMSTART
	v_pk_mul_f16 v0, v55, v96;

	;;#ASMEND
	;;#ASMSTART
	v_pk_mul_f16 v4, v53, v31;

	;;#ASMEND
	;; [unrolled: 4-line block ×4, first 2 shown]
	;;#ASMSTART
	v_pk_add_f16 v0, v0, v4;

	;;#ASMEND
	;;#ASMSTART
	v_pk_add_f16 v0, v0, v5;

	;;#ASMEND
	;; [unrolled: 4-line block ×3, first 2 shown]
	v_dual_mov_b32 v5, 0 :: v_dual_and_b32 v4, 0xffff, v0
	v_lshrrev_b32_e32 v0, 16, v0
	;;#ASMSTART
	v_cvt_f32_f16 v85, v4;
	;;#ASMEND
	;;#ASMSTART
	v_cvt_f32_f16 v86, v0;
	;;#ASMEND
	flat_load_b64 v[10:11], v[8:9] offset:1280
	flat_load_b32 v4, v[26:27]
	s_mov_b32 s12, exec_lo
	s_wait_loadcnt_dscnt 0x101
	v_dual_mov_b32 v23, 0 :: v_dual_and_b32 v0, 0xff, v10
	s_delay_alu instid0(VALU_DEP_1)
	v_cmpx_ne_u16_e32 0, v0
	s_cbranch_execz .LBB305_1329
; %bb.1322:                             ;   in Loop: Header=BB305_991 Depth=1
	v_mov_b32_e32 v23, 0x8000
	s_mov_b32 s13, exec_lo
	v_cmpx_ne_u16_e32 0x80, v0
	s_cbranch_execz .LBB305_1328
; %bb.1323:                             ;   in Loop: Header=BB305_991 Depth=1
	v_and_b32_e32 v31, 0x7f, v10
	v_mov_b32_e32 v23, 0x7c01
	s_mov_b32 s14, exec_lo
	s_delay_alu instid0(VALU_DEP_2)
	v_cmpx_ne_u32_e32 0x7f, v31
	s_cbranch_execz .LBB305_1327
; %bb.1324:                             ;   in Loop: Header=BB305_991 Depth=1
	v_and_b32_e32 v0, 7, v10
	v_lshrrev_b32_e32 v23, 3, v31
	s_mov_b32 s15, exec_lo
	v_cmpx_gt_u32_e32 8, v31
; %bb.1325:                             ;   in Loop: Header=BB305_991 Depth=1
	s_delay_alu instid0(VALU_DEP_3) | instskip(NEXT) | instid1(VALU_DEP_1)
	v_clz_i32_u32_e32 v0, v0
	v_min_u32_e32 v0, 32, v0
	s_delay_alu instid0(VALU_DEP_1) | instskip(NEXT) | instid1(VALU_DEP_1)
	v_subrev_nc_u32_e32 v23, 28, v0
	v_lshlrev_b64_e32 v[96:97], v23, v[10:11]
	v_sub_nc_u32_e32 v23, 29, v0
	s_delay_alu instid0(VALU_DEP_2)
	v_and_b32_e32 v0, 7, v96
; %bb.1326:                             ;   in Loop: Header=BB305_991 Depth=1
	s_wait_alu 0xfffe
	s_or_b32 exec_lo, exec_lo, s15
	v_lshlrev_b32_e32 v31, 8, v10
	v_lshl_add_u32 v23, v23, 10, 0x2000
	v_lshlrev_b32_e32 v0, 7, v0
	s_delay_alu instid0(VALU_DEP_3) | instskip(NEXT) | instid1(VALU_DEP_3)
	v_and_b32_e32 v31, 0x8000, v31
	v_and_b32_e32 v23, 0xfc00, v23
	s_delay_alu instid0(VALU_DEP_1)
	v_or3_b32 v23, v31, v23, v0
.LBB305_1327:                           ;   in Loop: Header=BB305_991 Depth=1
	s_wait_alu 0xfffe
	s_or_b32 exec_lo, exec_lo, s14
.LBB305_1328:                           ;   in Loop: Header=BB305_991 Depth=1
	s_wait_alu 0xfffe
	s_or_b32 exec_lo, exec_lo, s13
.LBB305_1329:                           ;   in Loop: Header=BB305_991 Depth=1
	s_wait_alu 0xfffe
	s_or_b32 exec_lo, exec_lo, s12
	v_lshrrev_b16 v0, 8, v10
	s_mov_b32 s12, exec_lo
	s_delay_alu instid0(VALU_DEP_1)
	v_cmpx_ne_u16_e32 0, v0
	s_cbranch_execz .LBB305_1337
; %bb.1330:                             ;   in Loop: Header=BB305_991 Depth=1
	v_bfrev_b32_e32 v5, 1
	s_mov_b32 s13, exec_lo
	v_cmpx_ne_u16_e32 0x80, v0
	s_cbranch_execz .LBB305_1336
; %bb.1331:                             ;   in Loop: Header=BB305_991 Depth=1
	v_and_b32_e32 v31, 0xffff, v0
	v_mov_b32_e32 v5, 0x7c010000
	s_mov_b32 s14, exec_lo
	s_delay_alu instid0(VALU_DEP_2) | instskip(NEXT) | instid1(VALU_DEP_1)
	v_and_b32_e32 v96, 0x7f, v31
	v_cmpx_ne_u32_e32 0x7f, v96
	s_cbranch_execz .LBB305_1335
; %bb.1332:                             ;   in Loop: Header=BB305_991 Depth=1
	v_and_b32_e32 v5, 7, v31
	v_lshrrev_b32_e32 v87, 3, v96
	s_mov_b32 s15, exec_lo
	v_cmpx_gt_u32_e32 8, v96
; %bb.1333:                             ;   in Loop: Header=BB305_991 Depth=1
	s_delay_alu instid0(VALU_DEP_3) | instskip(NEXT) | instid1(VALU_DEP_1)
	v_clz_i32_u32_e32 v5, v5
	v_min_u32_e32 v5, 32, v5
	s_delay_alu instid0(VALU_DEP_1) | instskip(NEXT) | instid1(VALU_DEP_1)
	v_subrev_nc_u32_e32 v87, 28, v5
	v_lshlrev_b64_e32 v[96:97], v87, v[0:1]
	v_sub_nc_u32_e32 v87, 29, v5
	s_delay_alu instid0(VALU_DEP_2)
	v_and_b32_e32 v5, 7, v96
; %bb.1334:                             ;   in Loop: Header=BB305_991 Depth=1
	s_wait_alu 0xfffe
	s_or_b32 exec_lo, exec_lo, s15
	v_lshlrev_b32_e32 v0, 8, v31
	v_lshl_add_u32 v31, v87, 10, 0x2000
	v_lshlrev_b32_e32 v5, 23, v5
	s_delay_alu instid0(VALU_DEP_2) | instskip(NEXT) | instid1(VALU_DEP_1)
	v_and_or_b32 v0, 0x8000, v0, v31
	v_lshl_or_b32 v5, v0, 16, v5
.LBB305_1335:                           ;   in Loop: Header=BB305_991 Depth=1
	s_wait_alu 0xfffe
	s_or_b32 exec_lo, exec_lo, s14
.LBB305_1336:                           ;   in Loop: Header=BB305_991 Depth=1
	s_wait_alu 0xfffe
	s_or_b32 exec_lo, exec_lo, s13
.LBB305_1337:                           ;   in Loop: Header=BB305_991 Depth=1
	s_wait_alu 0xfffe
	s_or_b32 exec_lo, exec_lo, s12
	v_lshrrev_b32_e32 v0, 16, v10
	v_mov_b32_e32 v87, 0
	s_mov_b32 s12, exec_lo
	s_delay_alu instid0(VALU_DEP_2) | instskip(NEXT) | instid1(VALU_DEP_1)
	v_dual_mov_b32 v31, 0 :: v_dual_and_b32 v96, 0xff, v0
	v_cmpx_ne_u16_e32 0, v96
	s_cbranch_execz .LBB305_1345
; %bb.1338:                             ;   in Loop: Header=BB305_991 Depth=1
	v_mov_b32_e32 v87, 0x8000
	s_mov_b32 s13, exec_lo
	v_cmpx_ne_u16_e32 0x80, v96
	s_cbranch_execz .LBB305_1344
; %bb.1339:                             ;   in Loop: Header=BB305_991 Depth=1
	v_bfe_u32 v97, v10, 16, 7
	v_mov_b32_e32 v87, 0x7c01
	s_mov_b32 s14, exec_lo
	s_delay_alu instid0(VALU_DEP_2)
	v_cmpx_ne_u32_e32 0x7f, v97
	s_cbranch_execz .LBB305_1343
; %bb.1340:                             ;   in Loop: Header=BB305_991 Depth=1
	v_and_b32_e32 v87, 7, v0
	v_lshrrev_b32_e32 v96, 3, v97
	s_mov_b32 s15, exec_lo
	v_cmpx_gt_u32_e32 8, v97
; %bb.1341:                             ;   in Loop: Header=BB305_991 Depth=1
	s_delay_alu instid0(VALU_DEP_3) | instskip(NEXT) | instid1(VALU_DEP_1)
	v_clz_i32_u32_e32 v87, v87
	v_min_u32_e32 v87, 32, v87
	s_delay_alu instid0(VALU_DEP_1) | instskip(NEXT) | instid1(VALU_DEP_1)
	v_subrev_nc_u32_e32 v96, 28, v87
	v_lshlrev_b64_e32 v[97:98], v96, v[0:1]
	v_sub_nc_u32_e32 v96, 29, v87
	s_delay_alu instid0(VALU_DEP_2)
	v_and_b32_e32 v87, 7, v97
; %bb.1342:                             ;   in Loop: Header=BB305_991 Depth=1
	s_wait_alu 0xfffe
	s_or_b32 exec_lo, exec_lo, s15
	v_lshlrev_b32_e32 v0, 8, v0
	v_lshl_add_u32 v96, v96, 10, 0x2000
	v_lshlrev_b32_e32 v87, 7, v87
	s_delay_alu instid0(VALU_DEP_3) | instskip(NEXT) | instid1(VALU_DEP_3)
	v_and_b32_e32 v0, 0x8000, v0
	v_and_b32_e32 v96, 0xfc00, v96
	s_delay_alu instid0(VALU_DEP_1)
	v_or3_b32 v87, v0, v96, v87
.LBB305_1343:                           ;   in Loop: Header=BB305_991 Depth=1
	s_wait_alu 0xfffe
	s_or_b32 exec_lo, exec_lo, s14
.LBB305_1344:                           ;   in Loop: Header=BB305_991 Depth=1
	s_wait_alu 0xfffe
	s_or_b32 exec_lo, exec_lo, s13
.LBB305_1345:                           ;   in Loop: Header=BB305_991 Depth=1
	s_wait_alu 0xfffe
	s_or_b32 exec_lo, exec_lo, s12
	s_delay_alu instid0(SALU_CYCLE_1)
	s_mov_b32 s12, exec_lo
	v_cmpx_lt_u32_e32 0xffffff, v10
	s_cbranch_execz .LBB305_1353
; %bb.1346:                             ;   in Loop: Header=BB305_991 Depth=1
	v_lshrrev_b32_e32 v0, 24, v10
	v_bfrev_b32_e32 v31, 1
	s_mov_b32 s13, exec_lo
	s_delay_alu instid0(VALU_DEP_2)
	v_cmpx_ne_u32_e32 0x80, v0
	s_cbranch_execz .LBB305_1352
; %bb.1347:                             ;   in Loop: Header=BB305_991 Depth=1
	v_and_b32_e32 v97, 0x7f, v0
	v_mov_b32_e32 v31, 0x7c010000
	s_mov_b32 s14, exec_lo
	s_delay_alu instid0(VALU_DEP_2)
	v_cmpx_ne_u32_e32 0x7f, v97
	s_cbranch_execz .LBB305_1351
; %bb.1348:                             ;   in Loop: Header=BB305_991 Depth=1
	v_and_b32_e32 v31, 7, v0
	v_lshrrev_b32_e32 v96, 3, v97
	s_mov_b32 s15, exec_lo
	v_cmpx_gt_u32_e32 8, v97
; %bb.1349:                             ;   in Loop: Header=BB305_991 Depth=1
	s_delay_alu instid0(VALU_DEP_3) | instskip(NEXT) | instid1(VALU_DEP_1)
	v_clz_i32_u32_e32 v31, v31
	v_min_u32_e32 v31, 32, v31
	s_delay_alu instid0(VALU_DEP_1) | instskip(NEXT) | instid1(VALU_DEP_1)
	v_subrev_nc_u32_e32 v96, 28, v31
	v_lshlrev_b64_e32 v[97:98], v96, v[0:1]
	v_sub_nc_u32_e32 v96, 29, v31
	s_delay_alu instid0(VALU_DEP_2)
	v_and_b32_e32 v31, 7, v97
; %bb.1350:                             ;   in Loop: Header=BB305_991 Depth=1
	s_wait_alu 0xfffe
	s_or_b32 exec_lo, exec_lo, s15
	v_lshlrev_b32_e32 v0, 8, v0
	v_lshl_add_u32 v96, v96, 10, 0x2000
	v_lshlrev_b32_e32 v31, 23, v31
	s_delay_alu instid0(VALU_DEP_2) | instskip(NEXT) | instid1(VALU_DEP_1)
	v_and_or_b32 v0, 0x8000, v0, v96
	v_lshl_or_b32 v31, v0, 16, v31
.LBB305_1351:                           ;   in Loop: Header=BB305_991 Depth=1
	s_wait_alu 0xfffe
	s_or_b32 exec_lo, exec_lo, s14
.LBB305_1352:                           ;   in Loop: Header=BB305_991 Depth=1
	s_wait_alu 0xfffe
	s_or_b32 exec_lo, exec_lo, s13
.LBB305_1353:                           ;   in Loop: Header=BB305_991 Depth=1
	s_wait_alu 0xfffe
	s_or_b32 exec_lo, exec_lo, s12
	v_dual_mov_b32 v97, 0 :: v_dual_and_b32 v98, 0xff, v11
	v_mov_b32_e32 v0, v11
	v_mov_b32_e32 v96, 0
	s_mov_b32 s12, exec_lo
	s_delay_alu instid0(VALU_DEP_3)
	v_cmpx_ne_u16_e32 0, v98
	s_cbranch_execz .LBB305_1361
; %bb.1354:                             ;   in Loop: Header=BB305_991 Depth=1
	v_mov_b32_e32 v97, 0x8000
	s_mov_b32 s13, exec_lo
	v_cmpx_ne_u16_e32 0x80, v98
	s_cbranch_execz .LBB305_1360
; %bb.1355:                             ;   in Loop: Header=BB305_991 Depth=1
	v_and_b32_e32 v99, 0x7f, v11
	v_mov_b32_e32 v97, 0x7c01
	s_mov_b32 s14, exec_lo
	s_delay_alu instid0(VALU_DEP_2)
	v_cmpx_ne_u32_e32 0x7f, v99
	s_cbranch_execz .LBB305_1359
; %bb.1356:                             ;   in Loop: Header=BB305_991 Depth=1
	v_and_b32_e32 v97, 7, v11
	v_lshrrev_b32_e32 v98, 3, v99
	s_mov_b32 s15, exec_lo
	v_cmpx_gt_u32_e32 8, v99
; %bb.1357:                             ;   in Loop: Header=BB305_991 Depth=1
	s_delay_alu instid0(VALU_DEP_3) | instskip(NEXT) | instid1(VALU_DEP_1)
	v_clz_i32_u32_e32 v97, v97
	v_min_u32_e32 v99, 32, v97
	s_delay_alu instid0(VALU_DEP_1) | instskip(NEXT) | instid1(VALU_DEP_1)
	v_subrev_nc_u32_e32 v97, 28, v99
	v_lshlrev_b64_e32 v[97:98], v97, v[0:1]
	v_sub_nc_u32_e32 v98, 29, v99
	s_delay_alu instid0(VALU_DEP_2)
	v_and_b32_e32 v97, 7, v97
; %bb.1358:                             ;   in Loop: Header=BB305_991 Depth=1
	s_wait_alu 0xfffe
	s_or_b32 exec_lo, exec_lo, s15
	v_lshlrev_b32_e32 v99, 8, v11
	v_lshl_add_u32 v98, v98, 10, 0x2000
	v_lshlrev_b32_e32 v97, 7, v97
	s_delay_alu instid0(VALU_DEP_3) | instskip(NEXT) | instid1(VALU_DEP_3)
	v_and_b32_e32 v99, 0x8000, v99
	v_and_b32_e32 v98, 0xfc00, v98
	s_delay_alu instid0(VALU_DEP_1)
	v_or3_b32 v97, v99, v98, v97
.LBB305_1359:                           ;   in Loop: Header=BB305_991 Depth=1
	s_wait_alu 0xfffe
	s_or_b32 exec_lo, exec_lo, s14
.LBB305_1360:                           ;   in Loop: Header=BB305_991 Depth=1
	s_wait_alu 0xfffe
	s_or_b32 exec_lo, exec_lo, s13
.LBB305_1361:                           ;   in Loop: Header=BB305_991 Depth=1
	s_wait_alu 0xfffe
	s_or_b32 exec_lo, exec_lo, s12
	v_lshrrev_b16 v0, 8, v0
	v_mov_b32_e32 v98, 0
	s_mov_b32 s12, exec_lo
	s_delay_alu instid0(VALU_DEP_2)
	v_cmpx_ne_u16_e32 0, v0
	s_cbranch_execz .LBB305_1369
; %bb.1362:                             ;   in Loop: Header=BB305_991 Depth=1
	v_bfrev_b32_e32 v98, 1
	s_mov_b32 s13, exec_lo
	v_cmpx_ne_u16_e32 0x80, v0
	s_cbranch_execz .LBB305_1368
; %bb.1363:                             ;   in Loop: Header=BB305_991 Depth=1
	v_and_b32_e32 v99, 0xffff, v0
	v_mov_b32_e32 v98, 0x7c010000
	s_mov_b32 s14, exec_lo
	s_delay_alu instid0(VALU_DEP_2) | instskip(NEXT) | instid1(VALU_DEP_1)
	v_and_b32_e32 v101, 0x7f, v99
	v_cmpx_ne_u32_e32 0x7f, v101
	s_cbranch_execz .LBB305_1367
; %bb.1364:                             ;   in Loop: Header=BB305_991 Depth=1
	v_and_b32_e32 v98, 7, v99
	v_lshrrev_b32_e32 v100, 3, v101
	s_mov_b32 s15, exec_lo
	v_cmpx_gt_u32_e32 8, v101
; %bb.1365:                             ;   in Loop: Header=BB305_991 Depth=1
	s_delay_alu instid0(VALU_DEP_3) | instskip(NEXT) | instid1(VALU_DEP_1)
	v_clz_i32_u32_e32 v98, v98
	v_min_u32_e32 v98, 32, v98
	s_delay_alu instid0(VALU_DEP_1) | instskip(NEXT) | instid1(VALU_DEP_1)
	v_subrev_nc_u32_e32 v100, 28, v98
	v_lshlrev_b64_e32 v[101:102], v100, v[0:1]
	v_sub_nc_u32_e32 v100, 29, v98
	s_delay_alu instid0(VALU_DEP_2)
	v_and_b32_e32 v98, 7, v101
; %bb.1366:                             ;   in Loop: Header=BB305_991 Depth=1
	s_wait_alu 0xfffe
	s_or_b32 exec_lo, exec_lo, s15
	v_lshlrev_b32_e32 v0, 8, v99
	v_lshl_add_u32 v99, v100, 10, 0x2000
	v_lshlrev_b32_e32 v98, 23, v98
	s_delay_alu instid0(VALU_DEP_2) | instskip(NEXT) | instid1(VALU_DEP_1)
	v_and_or_b32 v0, 0x8000, v0, v99
	v_lshl_or_b32 v98, v0, 16, v98
.LBB305_1367:                           ;   in Loop: Header=BB305_991 Depth=1
	s_wait_alu 0xfffe
	s_or_b32 exec_lo, exec_lo, s14
.LBB305_1368:                           ;   in Loop: Header=BB305_991 Depth=1
	s_wait_alu 0xfffe
	s_or_b32 exec_lo, exec_lo, s13
.LBB305_1369:                           ;   in Loop: Header=BB305_991 Depth=1
	s_wait_alu 0xfffe
	s_or_b32 exec_lo, exec_lo, s12
	v_lshrrev_b32_e32 v0, 16, v11
	s_mov_b32 s12, exec_lo
	s_delay_alu instid0(VALU_DEP_1) | instskip(NEXT) | instid1(VALU_DEP_1)
	v_and_b32_e32 v99, 0xff, v0
	v_cmpx_ne_u16_e32 0, v99
	s_cbranch_execz .LBB305_1377
; %bb.1370:                             ;   in Loop: Header=BB305_991 Depth=1
	v_mov_b32_e32 v96, 0x8000
	s_mov_b32 s13, exec_lo
	v_cmpx_ne_u16_e32 0x80, v99
	s_cbranch_execz .LBB305_1376
; %bb.1371:                             ;   in Loop: Header=BB305_991 Depth=1
	v_bfe_u32 v100, v11, 16, 7
	v_mov_b32_e32 v96, 0x7c01
	s_mov_b32 s14, exec_lo
	s_delay_alu instid0(VALU_DEP_2)
	v_cmpx_ne_u32_e32 0x7f, v100
	s_cbranch_execz .LBB305_1375
; %bb.1372:                             ;   in Loop: Header=BB305_991 Depth=1
	v_and_b32_e32 v96, 7, v0
	v_lshrrev_b32_e32 v99, 3, v100
	s_mov_b32 s15, exec_lo
	v_cmpx_gt_u32_e32 8, v100
; %bb.1373:                             ;   in Loop: Header=BB305_991 Depth=1
	s_delay_alu instid0(VALU_DEP_3) | instskip(NEXT) | instid1(VALU_DEP_1)
	v_clz_i32_u32_e32 v96, v96
	v_min_u32_e32 v96, 32, v96
	s_delay_alu instid0(VALU_DEP_1) | instskip(NEXT) | instid1(VALU_DEP_1)
	v_subrev_nc_u32_e32 v99, 28, v96
	v_lshlrev_b64_e32 v[100:101], v99, v[0:1]
	v_sub_nc_u32_e32 v99, 29, v96
	s_delay_alu instid0(VALU_DEP_2)
	v_and_b32_e32 v96, 7, v100
; %bb.1374:                             ;   in Loop: Header=BB305_991 Depth=1
	s_wait_alu 0xfffe
	s_or_b32 exec_lo, exec_lo, s15
	v_lshlrev_b32_e32 v0, 8, v0
	v_lshl_add_u32 v99, v99, 10, 0x2000
	v_lshlrev_b32_e32 v96, 7, v96
	s_delay_alu instid0(VALU_DEP_3) | instskip(NEXT) | instid1(VALU_DEP_3)
	v_and_b32_e32 v0, 0x8000, v0
	v_and_b32_e32 v99, 0xfc00, v99
	s_delay_alu instid0(VALU_DEP_1)
	v_or3_b32 v96, v0, v99, v96
.LBB305_1375:                           ;   in Loop: Header=BB305_991 Depth=1
	s_wait_alu 0xfffe
	s_or_b32 exec_lo, exec_lo, s14
.LBB305_1376:                           ;   in Loop: Header=BB305_991 Depth=1
	s_wait_alu 0xfffe
	s_or_b32 exec_lo, exec_lo, s13
.LBB305_1377:                           ;   in Loop: Header=BB305_991 Depth=1
	s_wait_alu 0xfffe
	s_or_b32 exec_lo, exec_lo, s12
	v_cmp_lt_u64_e64 s0, s[8:9], v[10:11]
	v_mov_b32_e32 v10, 0
	s_and_saveexec_b32 s12, s0
	s_cbranch_execz .LBB305_1385
; %bb.1378:                             ;   in Loop: Header=BB305_991 Depth=1
	v_lshrrev_b32_e32 v0, 24, v11
	v_bfrev_b32_e32 v10, 1
	s_mov_b32 s13, exec_lo
	s_delay_alu instid0(VALU_DEP_2)
	v_cmpx_ne_u32_e32 0x80, v0
	s_cbranch_execz .LBB305_1384
; %bb.1379:                             ;   in Loop: Header=BB305_991 Depth=1
	v_and_b32_e32 v99, 0x7f, v0
	v_mov_b32_e32 v10, 0x7c010000
	s_mov_b32 s14, exec_lo
	s_delay_alu instid0(VALU_DEP_2)
	v_cmpx_ne_u32_e32 0x7f, v99
	s_cbranch_execz .LBB305_1383
; %bb.1380:                             ;   in Loop: Header=BB305_991 Depth=1
	v_and_b32_e32 v10, 7, v0
	v_lshrrev_b32_e32 v11, 3, v99
	s_mov_b32 s15, exec_lo
	v_cmpx_gt_u32_e32 8, v99
; %bb.1381:                             ;   in Loop: Header=BB305_991 Depth=1
	s_delay_alu instid0(VALU_DEP_3) | instskip(NEXT) | instid1(VALU_DEP_1)
	v_clz_i32_u32_e32 v10, v10
	v_min_u32_e32 v99, 32, v10
	s_delay_alu instid0(VALU_DEP_1) | instskip(NEXT) | instid1(VALU_DEP_1)
	v_subrev_nc_u32_e32 v10, 28, v99
	v_lshlrev_b64_e32 v[10:11], v10, v[0:1]
	v_sub_nc_u32_e32 v11, 29, v99
	s_delay_alu instid0(VALU_DEP_2)
	v_and_b32_e32 v10, 7, v10
; %bb.1382:                             ;   in Loop: Header=BB305_991 Depth=1
	s_wait_alu 0xfffe
	s_or_b32 exec_lo, exec_lo, s15
	v_lshlrev_b32_e32 v0, 8, v0
	v_lshl_add_u32 v11, v11, 10, 0x2000
	v_lshlrev_b32_e32 v10, 23, v10
	s_delay_alu instid0(VALU_DEP_2) | instskip(NEXT) | instid1(VALU_DEP_1)
	v_and_or_b32 v0, 0x8000, v0, v11
	v_lshl_or_b32 v10, v0, 16, v10
.LBB305_1383:                           ;   in Loop: Header=BB305_991 Depth=1
	s_wait_alu 0xfffe
	s_or_b32 exec_lo, exec_lo, s14
.LBB305_1384:                           ;   in Loop: Header=BB305_991 Depth=1
	s_wait_alu 0xfffe
	s_or_b32 exec_lo, exec_lo, s13
.LBB305_1385:                           ;   in Loop: Header=BB305_991 Depth=1
	s_wait_alu 0xfffe
	s_or_b32 exec_lo, exec_lo, s12
	v_or_b32_e32 v0, v31, v87
	s_wait_loadcnt_dscnt 0x0
	v_fma_mixlo_f16 v11, v4, v31, 0 op_sel:[0,1,0] op_sel_hi:[0,1,0]
	v_or_b32_e32 v31, v5, v23
	v_fma_mixlo_f16 v5, v4, v5, 0 op_sel:[0,1,0] op_sel_hi:[0,1,0]
	v_or_b32_e32 v87, v98, v97
	v_fma_mixlo_f16 v97, v4, v0, 0 op_sel_hi:[0,1,0]
	v_or_b32_e32 v96, v10, v96
	v_lshlrev_b32_e32 v0, 16, v11
	v_lshlrev_b32_e32 v23, 16, v5
	v_fma_mixlo_f16 v11, v4, v31, 0 op_sel_hi:[0,1,0]
	v_and_b32_e32 v5, 0xffff, v97
	v_fma_mixlo_f16 v31, v4, v98, 0 op_sel:[0,1,0] op_sel_hi:[0,1,0]
	v_fma_mixlo_f16 v87, v4, v87, 0 op_sel_hi:[0,1,0]
	v_fma_mixlo_f16 v97, v4, v10, 0 op_sel:[0,1,0] op_sel_hi:[0,1,0]
	v_fma_mixlo_f16 v96, v4, v96, 0 op_sel_hi:[0,1,0]
	v_and_b32_e32 v99, 0xffff, v11
	v_lshlrev_b32_e32 v10, 16, v31
	v_and_b32_e32 v87, 0xffff, v87
	v_lshlrev_b32_e32 v4, 16, v97
	v_and_b32_e32 v11, 0xffff, v96
	v_or_b32_e32 v31, v0, v5
	v_or_b32_e32 v98, v23, v99
	;; [unrolled: 1-line block ×3, first 2 shown]
	s_delay_alu instid0(VALU_DEP_4)
	v_or_b32_e32 v96, v4, v11
	s_and_saveexec_b32 s12, vcc_lo
	s_cbranch_execz .LBB305_1387
; %bb.1386:                             ;   in Loop: Header=BB305_991 Depth=1
	v_cmp_lt_i32_e64 s0, v35, v30
	s_wait_alu 0xf1ff
	s_delay_alu instid0(VALU_DEP_1) | instskip(SKIP_2) | instid1(VALU_DEP_1)
	v_cndmask_b32_e64 v31, 0, v99, s0
	v_cmp_lt_i32_e64 s0, v70, v30
	s_wait_alu 0xf1ff
	v_cndmask_b32_e64 v23, 0, v23, s0
	v_cmp_lt_i32_e64 s0, v69, v30
	s_delay_alu instid0(VALU_DEP_2) | instskip(SKIP_1) | instid1(VALU_DEP_2)
	v_or_b32_e32 v98, v31, v23
	s_wait_alu 0xf1ff
	v_cndmask_b32_e64 v5, 0, v5, s0
	v_cmp_lt_i32_e64 s0, v68, v30
	s_wait_alu 0xf1ff
	s_delay_alu instid0(VALU_DEP_1) | instskip(SKIP_1) | instid1(VALU_DEP_2)
	v_cndmask_b32_e64 v0, 0, v0, s0
	v_cmp_lt_i32_e64 s0, v67, v30
	v_or_b32_e32 v31, v5, v0
	s_wait_alu 0xf1ff
	s_delay_alu instid0(VALU_DEP_2) | instskip(SKIP_2) | instid1(VALU_DEP_1)
	v_cndmask_b32_e64 v87, 0, v87, s0
	v_cmp_lt_i32_e64 s0, v66, v30
	s_wait_alu 0xf1ff
	v_cndmask_b32_e64 v10, 0, v10, s0
	v_cmp_lt_i32_e64 s0, v65, v30
	s_delay_alu instid0(VALU_DEP_2) | instskip(SKIP_1) | instid1(VALU_DEP_2)
	v_or_b32_e32 v97, v87, v10
	s_wait_alu 0xf1ff
	v_cndmask_b32_e64 v11, 0, v11, s0
	v_cmp_lt_i32_e64 s0, v14, v30
	s_wait_alu 0xf1ff
	s_delay_alu instid0(VALU_DEP_1) | instskip(NEXT) | instid1(VALU_DEP_1)
	v_cndmask_b32_e64 v4, 0, v4, s0
	v_or_b32_e32 v96, v11, v4
.LBB305_1387:                           ;   in Loop: Header=BB305_991 Depth=1
	s_wait_alu 0xfffe
	s_or_b32 exec_lo, exec_lo, s12
	;;#ASMSTART
	v_pk_mul_f16 v0, v55, v98;

	;;#ASMEND
	;;#ASMSTART
	v_pk_mul_f16 v4, v53, v31;

	;;#ASMEND
	;; [unrolled: 4-line block ×4, first 2 shown]
	;;#ASMSTART
	v_pk_add_f16 v0, v0, v4;

	;;#ASMEND
	;;#ASMSTART
	v_pk_add_f16 v0, v0, v5;

	;;#ASMEND
	;; [unrolled: 4-line block ×3, first 2 shown]
	v_dual_mov_b32 v5, 0 :: v_dual_and_b32 v4, 0xffff, v0
	v_lshrrev_b32_e32 v0, 16, v0
	;;#ASMSTART
	v_cvt_f32_f16 v87, v4;
	;;#ASMEND
	;;#ASMSTART
	v_cvt_f32_f16 v96, v0;
	;;#ASMEND
	flat_load_b64 v[10:11], v[8:9] offset:1536
	flat_load_b32 v4, v[26:27]
	s_mov_b32 s12, exec_lo
	s_wait_loadcnt_dscnt 0x101
	v_dual_mov_b32 v23, 0 :: v_dual_and_b32 v0, 0xff, v10
	s_delay_alu instid0(VALU_DEP_1)
	v_cmpx_ne_u16_e32 0, v0
	s_cbranch_execz .LBB305_1395
; %bb.1388:                             ;   in Loop: Header=BB305_991 Depth=1
	v_mov_b32_e32 v23, 0x8000
	s_mov_b32 s13, exec_lo
	v_cmpx_ne_u16_e32 0x80, v0
	s_cbranch_execz .LBB305_1394
; %bb.1389:                             ;   in Loop: Header=BB305_991 Depth=1
	v_and_b32_e32 v31, 0x7f, v10
	v_mov_b32_e32 v23, 0x7c01
	s_mov_b32 s14, exec_lo
	s_delay_alu instid0(VALU_DEP_2)
	v_cmpx_ne_u32_e32 0x7f, v31
	s_cbranch_execz .LBB305_1393
; %bb.1390:                             ;   in Loop: Header=BB305_991 Depth=1
	v_and_b32_e32 v0, 7, v10
	v_lshrrev_b32_e32 v23, 3, v31
	s_mov_b32 s15, exec_lo
	v_cmpx_gt_u32_e32 8, v31
; %bb.1391:                             ;   in Loop: Header=BB305_991 Depth=1
	s_delay_alu instid0(VALU_DEP_3) | instskip(NEXT) | instid1(VALU_DEP_1)
	v_clz_i32_u32_e32 v0, v0
	v_min_u32_e32 v0, 32, v0
	s_delay_alu instid0(VALU_DEP_1) | instskip(NEXT) | instid1(VALU_DEP_1)
	v_subrev_nc_u32_e32 v23, 28, v0
	v_lshlrev_b64_e32 v[97:98], v23, v[10:11]
	v_sub_nc_u32_e32 v23, 29, v0
	s_delay_alu instid0(VALU_DEP_2)
	v_and_b32_e32 v0, 7, v97
; %bb.1392:                             ;   in Loop: Header=BB305_991 Depth=1
	s_wait_alu 0xfffe
	s_or_b32 exec_lo, exec_lo, s15
	v_lshlrev_b32_e32 v31, 8, v10
	v_lshl_add_u32 v23, v23, 10, 0x2000
	v_lshlrev_b32_e32 v0, 7, v0
	s_delay_alu instid0(VALU_DEP_3) | instskip(NEXT) | instid1(VALU_DEP_3)
	v_and_b32_e32 v31, 0x8000, v31
	v_and_b32_e32 v23, 0xfc00, v23
	s_delay_alu instid0(VALU_DEP_1)
	v_or3_b32 v23, v31, v23, v0
.LBB305_1393:                           ;   in Loop: Header=BB305_991 Depth=1
	s_wait_alu 0xfffe
	s_or_b32 exec_lo, exec_lo, s14
.LBB305_1394:                           ;   in Loop: Header=BB305_991 Depth=1
	s_wait_alu 0xfffe
	s_or_b32 exec_lo, exec_lo, s13
.LBB305_1395:                           ;   in Loop: Header=BB305_991 Depth=1
	s_wait_alu 0xfffe
	s_or_b32 exec_lo, exec_lo, s12
	v_lshrrev_b16 v0, 8, v10
	s_mov_b32 s12, exec_lo
	s_delay_alu instid0(VALU_DEP_1)
	v_cmpx_ne_u16_e32 0, v0
	s_cbranch_execz .LBB305_1403
; %bb.1396:                             ;   in Loop: Header=BB305_991 Depth=1
	v_bfrev_b32_e32 v5, 1
	s_mov_b32 s13, exec_lo
	v_cmpx_ne_u16_e32 0x80, v0
	s_cbranch_execz .LBB305_1402
; %bb.1397:                             ;   in Loop: Header=BB305_991 Depth=1
	v_and_b32_e32 v31, 0xffff, v0
	v_mov_b32_e32 v5, 0x7c010000
	s_mov_b32 s14, exec_lo
	s_delay_alu instid0(VALU_DEP_2) | instskip(NEXT) | instid1(VALU_DEP_1)
	v_and_b32_e32 v98, 0x7f, v31
	v_cmpx_ne_u32_e32 0x7f, v98
	s_cbranch_execz .LBB305_1401
; %bb.1398:                             ;   in Loop: Header=BB305_991 Depth=1
	v_and_b32_e32 v5, 7, v31
	v_lshrrev_b32_e32 v97, 3, v98
	s_mov_b32 s15, exec_lo
	v_cmpx_gt_u32_e32 8, v98
; %bb.1399:                             ;   in Loop: Header=BB305_991 Depth=1
	s_delay_alu instid0(VALU_DEP_3) | instskip(NEXT) | instid1(VALU_DEP_1)
	v_clz_i32_u32_e32 v5, v5
	v_min_u32_e32 v5, 32, v5
	s_delay_alu instid0(VALU_DEP_1) | instskip(NEXT) | instid1(VALU_DEP_1)
	v_subrev_nc_u32_e32 v97, 28, v5
	v_lshlrev_b64_e32 v[98:99], v97, v[0:1]
	v_sub_nc_u32_e32 v97, 29, v5
	s_delay_alu instid0(VALU_DEP_2)
	v_and_b32_e32 v5, 7, v98
; %bb.1400:                             ;   in Loop: Header=BB305_991 Depth=1
	s_wait_alu 0xfffe
	s_or_b32 exec_lo, exec_lo, s15
	v_lshlrev_b32_e32 v0, 8, v31
	v_lshl_add_u32 v31, v97, 10, 0x2000
	v_lshlrev_b32_e32 v5, 23, v5
	s_delay_alu instid0(VALU_DEP_2) | instskip(NEXT) | instid1(VALU_DEP_1)
	v_and_or_b32 v0, 0x8000, v0, v31
	v_lshl_or_b32 v5, v0, 16, v5
.LBB305_1401:                           ;   in Loop: Header=BB305_991 Depth=1
	s_wait_alu 0xfffe
	s_or_b32 exec_lo, exec_lo, s14
.LBB305_1402:                           ;   in Loop: Header=BB305_991 Depth=1
	s_wait_alu 0xfffe
	s_or_b32 exec_lo, exec_lo, s13
.LBB305_1403:                           ;   in Loop: Header=BB305_991 Depth=1
	s_wait_alu 0xfffe
	s_or_b32 exec_lo, exec_lo, s12
	v_lshrrev_b32_e32 v0, 16, v10
	v_mov_b32_e32 v97, 0
	s_mov_b32 s12, exec_lo
	s_delay_alu instid0(VALU_DEP_2) | instskip(NEXT) | instid1(VALU_DEP_1)
	v_dual_mov_b32 v31, 0 :: v_dual_and_b32 v98, 0xff, v0
	v_cmpx_ne_u16_e32 0, v98
	s_cbranch_execz .LBB305_1411
; %bb.1404:                             ;   in Loop: Header=BB305_991 Depth=1
	v_mov_b32_e32 v97, 0x8000
	s_mov_b32 s13, exec_lo
	v_cmpx_ne_u16_e32 0x80, v98
	s_cbranch_execz .LBB305_1410
; %bb.1405:                             ;   in Loop: Header=BB305_991 Depth=1
	v_bfe_u32 v99, v10, 16, 7
	v_mov_b32_e32 v97, 0x7c01
	s_mov_b32 s14, exec_lo
	s_delay_alu instid0(VALU_DEP_2)
	v_cmpx_ne_u32_e32 0x7f, v99
	s_cbranch_execz .LBB305_1409
; %bb.1406:                             ;   in Loop: Header=BB305_991 Depth=1
	v_and_b32_e32 v97, 7, v0
	v_lshrrev_b32_e32 v98, 3, v99
	s_mov_b32 s15, exec_lo
	v_cmpx_gt_u32_e32 8, v99
; %bb.1407:                             ;   in Loop: Header=BB305_991 Depth=1
	s_delay_alu instid0(VALU_DEP_3) | instskip(NEXT) | instid1(VALU_DEP_1)
	v_clz_i32_u32_e32 v97, v97
	v_min_u32_e32 v99, 32, v97
	s_delay_alu instid0(VALU_DEP_1) | instskip(NEXT) | instid1(VALU_DEP_1)
	v_subrev_nc_u32_e32 v97, 28, v99
	v_lshlrev_b64_e32 v[97:98], v97, v[0:1]
	v_sub_nc_u32_e32 v98, 29, v99
	s_delay_alu instid0(VALU_DEP_2)
	v_and_b32_e32 v97, 7, v97
; %bb.1408:                             ;   in Loop: Header=BB305_991 Depth=1
	s_wait_alu 0xfffe
	s_or_b32 exec_lo, exec_lo, s15
	v_lshlrev_b32_e32 v0, 8, v0
	v_lshl_add_u32 v98, v98, 10, 0x2000
	v_lshlrev_b32_e32 v97, 7, v97
	s_delay_alu instid0(VALU_DEP_3) | instskip(NEXT) | instid1(VALU_DEP_3)
	v_and_b32_e32 v0, 0x8000, v0
	v_and_b32_e32 v98, 0xfc00, v98
	s_delay_alu instid0(VALU_DEP_1)
	v_or3_b32 v97, v0, v98, v97
.LBB305_1409:                           ;   in Loop: Header=BB305_991 Depth=1
	s_wait_alu 0xfffe
	s_or_b32 exec_lo, exec_lo, s14
.LBB305_1410:                           ;   in Loop: Header=BB305_991 Depth=1
	s_wait_alu 0xfffe
	s_or_b32 exec_lo, exec_lo, s13
.LBB305_1411:                           ;   in Loop: Header=BB305_991 Depth=1
	s_wait_alu 0xfffe
	s_or_b32 exec_lo, exec_lo, s12
	s_delay_alu instid0(SALU_CYCLE_1)
	s_mov_b32 s12, exec_lo
	v_cmpx_lt_u32_e32 0xffffff, v10
	s_cbranch_execz .LBB305_1419
; %bb.1412:                             ;   in Loop: Header=BB305_991 Depth=1
	v_lshrrev_b32_e32 v0, 24, v10
	v_bfrev_b32_e32 v31, 1
	s_mov_b32 s13, exec_lo
	s_delay_alu instid0(VALU_DEP_2)
	v_cmpx_ne_u32_e32 0x80, v0
	s_cbranch_execz .LBB305_1418
; %bb.1413:                             ;   in Loop: Header=BB305_991 Depth=1
	v_and_b32_e32 v99, 0x7f, v0
	v_mov_b32_e32 v31, 0x7c010000
	s_mov_b32 s14, exec_lo
	s_delay_alu instid0(VALU_DEP_2)
	v_cmpx_ne_u32_e32 0x7f, v99
	s_cbranch_execz .LBB305_1417
; %bb.1414:                             ;   in Loop: Header=BB305_991 Depth=1
	v_and_b32_e32 v31, 7, v0
	v_lshrrev_b32_e32 v98, 3, v99
	s_mov_b32 s15, exec_lo
	v_cmpx_gt_u32_e32 8, v99
; %bb.1415:                             ;   in Loop: Header=BB305_991 Depth=1
	s_delay_alu instid0(VALU_DEP_3) | instskip(NEXT) | instid1(VALU_DEP_1)
	v_clz_i32_u32_e32 v31, v31
	v_min_u32_e32 v31, 32, v31
	s_delay_alu instid0(VALU_DEP_1) | instskip(NEXT) | instid1(VALU_DEP_1)
	v_subrev_nc_u32_e32 v98, 28, v31
	v_lshlrev_b64_e32 v[99:100], v98, v[0:1]
	v_sub_nc_u32_e32 v98, 29, v31
	s_delay_alu instid0(VALU_DEP_2)
	v_and_b32_e32 v31, 7, v99
; %bb.1416:                             ;   in Loop: Header=BB305_991 Depth=1
	s_wait_alu 0xfffe
	s_or_b32 exec_lo, exec_lo, s15
	v_lshlrev_b32_e32 v0, 8, v0
	v_lshl_add_u32 v98, v98, 10, 0x2000
	v_lshlrev_b32_e32 v31, 23, v31
	s_delay_alu instid0(VALU_DEP_2) | instskip(NEXT) | instid1(VALU_DEP_1)
	v_and_or_b32 v0, 0x8000, v0, v98
	v_lshl_or_b32 v31, v0, 16, v31
.LBB305_1417:                           ;   in Loop: Header=BB305_991 Depth=1
	s_wait_alu 0xfffe
	s_or_b32 exec_lo, exec_lo, s14
.LBB305_1418:                           ;   in Loop: Header=BB305_991 Depth=1
	s_wait_alu 0xfffe
	s_or_b32 exec_lo, exec_lo, s13
.LBB305_1419:                           ;   in Loop: Header=BB305_991 Depth=1
	s_wait_alu 0xfffe
	s_or_b32 exec_lo, exec_lo, s12
	v_dual_mov_b32 v99, 0 :: v_dual_and_b32 v100, 0xff, v11
	v_mov_b32_e32 v0, v11
	v_mov_b32_e32 v98, 0
	s_mov_b32 s12, exec_lo
	s_delay_alu instid0(VALU_DEP_3)
	v_cmpx_ne_u16_e32 0, v100
	s_cbranch_execz .LBB305_1427
; %bb.1420:                             ;   in Loop: Header=BB305_991 Depth=1
	v_mov_b32_e32 v99, 0x8000
	s_mov_b32 s13, exec_lo
	v_cmpx_ne_u16_e32 0x80, v100
	s_cbranch_execz .LBB305_1426
; %bb.1421:                             ;   in Loop: Header=BB305_991 Depth=1
	v_and_b32_e32 v101, 0x7f, v11
	v_mov_b32_e32 v99, 0x7c01
	s_mov_b32 s14, exec_lo
	s_delay_alu instid0(VALU_DEP_2)
	v_cmpx_ne_u32_e32 0x7f, v101
	s_cbranch_execz .LBB305_1425
; %bb.1422:                             ;   in Loop: Header=BB305_991 Depth=1
	v_and_b32_e32 v99, 7, v11
	v_lshrrev_b32_e32 v100, 3, v101
	s_mov_b32 s15, exec_lo
	v_cmpx_gt_u32_e32 8, v101
; %bb.1423:                             ;   in Loop: Header=BB305_991 Depth=1
	s_delay_alu instid0(VALU_DEP_3) | instskip(NEXT) | instid1(VALU_DEP_1)
	v_clz_i32_u32_e32 v99, v99
	v_min_u32_e32 v101, 32, v99
	s_delay_alu instid0(VALU_DEP_1) | instskip(NEXT) | instid1(VALU_DEP_1)
	v_subrev_nc_u32_e32 v99, 28, v101
	v_lshlrev_b64_e32 v[99:100], v99, v[0:1]
	v_sub_nc_u32_e32 v100, 29, v101
	s_delay_alu instid0(VALU_DEP_2)
	v_and_b32_e32 v99, 7, v99
; %bb.1424:                             ;   in Loop: Header=BB305_991 Depth=1
	s_wait_alu 0xfffe
	s_or_b32 exec_lo, exec_lo, s15
	v_lshlrev_b32_e32 v101, 8, v11
	v_lshl_add_u32 v100, v100, 10, 0x2000
	v_lshlrev_b32_e32 v99, 7, v99
	s_delay_alu instid0(VALU_DEP_3) | instskip(NEXT) | instid1(VALU_DEP_3)
	v_and_b32_e32 v101, 0x8000, v101
	v_and_b32_e32 v100, 0xfc00, v100
	s_delay_alu instid0(VALU_DEP_1)
	v_or3_b32 v99, v101, v100, v99
.LBB305_1425:                           ;   in Loop: Header=BB305_991 Depth=1
	s_wait_alu 0xfffe
	s_or_b32 exec_lo, exec_lo, s14
.LBB305_1426:                           ;   in Loop: Header=BB305_991 Depth=1
	s_wait_alu 0xfffe
	s_or_b32 exec_lo, exec_lo, s13
.LBB305_1427:                           ;   in Loop: Header=BB305_991 Depth=1
	s_wait_alu 0xfffe
	s_or_b32 exec_lo, exec_lo, s12
	v_lshrrev_b16 v0, 8, v0
	v_mov_b32_e32 v100, 0
	s_mov_b32 s12, exec_lo
	s_delay_alu instid0(VALU_DEP_2)
	v_cmpx_ne_u16_e32 0, v0
	s_cbranch_execz .LBB305_1435
; %bb.1428:                             ;   in Loop: Header=BB305_991 Depth=1
	v_bfrev_b32_e32 v100, 1
	s_mov_b32 s13, exec_lo
	v_cmpx_ne_u16_e32 0x80, v0
	s_cbranch_execz .LBB305_1434
; %bb.1429:                             ;   in Loop: Header=BB305_991 Depth=1
	v_and_b32_e32 v101, 0xffff, v0
	v_mov_b32_e32 v100, 0x7c010000
	s_mov_b32 s14, exec_lo
	s_delay_alu instid0(VALU_DEP_2) | instskip(NEXT) | instid1(VALU_DEP_1)
	v_and_b32_e32 v103, 0x7f, v101
	v_cmpx_ne_u32_e32 0x7f, v103
	s_cbranch_execz .LBB305_1433
; %bb.1430:                             ;   in Loop: Header=BB305_991 Depth=1
	v_and_b32_e32 v100, 7, v101
	v_lshrrev_b32_e32 v102, 3, v103
	s_mov_b32 s15, exec_lo
	v_cmpx_gt_u32_e32 8, v103
; %bb.1431:                             ;   in Loop: Header=BB305_991 Depth=1
	s_delay_alu instid0(VALU_DEP_3) | instskip(NEXT) | instid1(VALU_DEP_1)
	v_clz_i32_u32_e32 v100, v100
	v_min_u32_e32 v100, 32, v100
	s_delay_alu instid0(VALU_DEP_1) | instskip(NEXT) | instid1(VALU_DEP_1)
	v_subrev_nc_u32_e32 v102, 28, v100
	v_lshlrev_b64_e32 v[112:113], v102, v[0:1]
	v_sub_nc_u32_e32 v102, 29, v100
	s_delay_alu instid0(VALU_DEP_2)
	v_and_b32_e32 v100, 7, v112
; %bb.1432:                             ;   in Loop: Header=BB305_991 Depth=1
	s_wait_alu 0xfffe
	s_or_b32 exec_lo, exec_lo, s15
	v_lshlrev_b32_e32 v0, 8, v101
	v_lshl_add_u32 v101, v102, 10, 0x2000
	v_lshlrev_b32_e32 v100, 23, v100
	s_delay_alu instid0(VALU_DEP_2) | instskip(NEXT) | instid1(VALU_DEP_1)
	v_and_or_b32 v0, 0x8000, v0, v101
	v_lshl_or_b32 v100, v0, 16, v100
.LBB305_1433:                           ;   in Loop: Header=BB305_991 Depth=1
	s_wait_alu 0xfffe
	s_or_b32 exec_lo, exec_lo, s14
.LBB305_1434:                           ;   in Loop: Header=BB305_991 Depth=1
	s_wait_alu 0xfffe
	s_or_b32 exec_lo, exec_lo, s13
.LBB305_1435:                           ;   in Loop: Header=BB305_991 Depth=1
	s_wait_alu 0xfffe
	s_or_b32 exec_lo, exec_lo, s12
	v_lshrrev_b32_e32 v0, 16, v11
	s_mov_b32 s12, exec_lo
	s_delay_alu instid0(VALU_DEP_1) | instskip(NEXT) | instid1(VALU_DEP_1)
	v_and_b32_e32 v101, 0xff, v0
	v_cmpx_ne_u16_e32 0, v101
	s_cbranch_execz .LBB305_1443
; %bb.1436:                             ;   in Loop: Header=BB305_991 Depth=1
	v_mov_b32_e32 v98, 0x8000
	s_mov_b32 s13, exec_lo
	v_cmpx_ne_u16_e32 0x80, v101
	s_cbranch_execz .LBB305_1442
; %bb.1437:                             ;   in Loop: Header=BB305_991 Depth=1
	v_bfe_u32 v102, v11, 16, 7
	v_mov_b32_e32 v98, 0x7c01
	s_mov_b32 s14, exec_lo
	s_delay_alu instid0(VALU_DEP_2)
	v_cmpx_ne_u32_e32 0x7f, v102
	s_cbranch_execz .LBB305_1441
; %bb.1438:                             ;   in Loop: Header=BB305_991 Depth=1
	v_and_b32_e32 v98, 7, v0
	v_lshrrev_b32_e32 v101, 3, v102
	s_mov_b32 s15, exec_lo
	v_cmpx_gt_u32_e32 8, v102
; %bb.1439:                             ;   in Loop: Header=BB305_991 Depth=1
	s_delay_alu instid0(VALU_DEP_3) | instskip(NEXT) | instid1(VALU_DEP_1)
	v_clz_i32_u32_e32 v98, v98
	v_min_u32_e32 v98, 32, v98
	s_delay_alu instid0(VALU_DEP_1) | instskip(NEXT) | instid1(VALU_DEP_1)
	v_subrev_nc_u32_e32 v101, 28, v98
	v_lshlrev_b64_e32 v[102:103], v101, v[0:1]
	v_sub_nc_u32_e32 v101, 29, v98
	s_delay_alu instid0(VALU_DEP_2)
	v_and_b32_e32 v98, 7, v102
; %bb.1440:                             ;   in Loop: Header=BB305_991 Depth=1
	s_wait_alu 0xfffe
	s_or_b32 exec_lo, exec_lo, s15
	v_lshlrev_b32_e32 v0, 8, v0
	v_lshl_add_u32 v101, v101, 10, 0x2000
	v_lshlrev_b32_e32 v98, 7, v98
	s_delay_alu instid0(VALU_DEP_3) | instskip(NEXT) | instid1(VALU_DEP_3)
	v_and_b32_e32 v0, 0x8000, v0
	v_and_b32_e32 v101, 0xfc00, v101
	s_delay_alu instid0(VALU_DEP_1)
	v_or3_b32 v98, v0, v101, v98
.LBB305_1441:                           ;   in Loop: Header=BB305_991 Depth=1
	s_wait_alu 0xfffe
	s_or_b32 exec_lo, exec_lo, s14
.LBB305_1442:                           ;   in Loop: Header=BB305_991 Depth=1
	s_wait_alu 0xfffe
	s_or_b32 exec_lo, exec_lo, s13
.LBB305_1443:                           ;   in Loop: Header=BB305_991 Depth=1
	s_wait_alu 0xfffe
	s_or_b32 exec_lo, exec_lo, s12
	v_cmp_lt_u64_e64 s0, s[8:9], v[10:11]
	v_mov_b32_e32 v10, 0
	s_and_saveexec_b32 s12, s0
	s_cbranch_execz .LBB305_1451
; %bb.1444:                             ;   in Loop: Header=BB305_991 Depth=1
	v_lshrrev_b32_e32 v0, 24, v11
	v_bfrev_b32_e32 v10, 1
	s_mov_b32 s13, exec_lo
	s_delay_alu instid0(VALU_DEP_2)
	v_cmpx_ne_u32_e32 0x80, v0
	s_cbranch_execz .LBB305_1450
; %bb.1445:                             ;   in Loop: Header=BB305_991 Depth=1
	v_and_b32_e32 v101, 0x7f, v0
	v_mov_b32_e32 v10, 0x7c010000
	s_mov_b32 s14, exec_lo
	s_delay_alu instid0(VALU_DEP_2)
	v_cmpx_ne_u32_e32 0x7f, v101
	s_cbranch_execz .LBB305_1449
; %bb.1446:                             ;   in Loop: Header=BB305_991 Depth=1
	v_and_b32_e32 v10, 7, v0
	v_lshrrev_b32_e32 v11, 3, v101
	s_mov_b32 s15, exec_lo
	v_cmpx_gt_u32_e32 8, v101
; %bb.1447:                             ;   in Loop: Header=BB305_991 Depth=1
	s_delay_alu instid0(VALU_DEP_3) | instskip(NEXT) | instid1(VALU_DEP_1)
	v_clz_i32_u32_e32 v10, v10
	v_min_u32_e32 v101, 32, v10
	s_delay_alu instid0(VALU_DEP_1) | instskip(NEXT) | instid1(VALU_DEP_1)
	v_subrev_nc_u32_e32 v10, 28, v101
	v_lshlrev_b64_e32 v[10:11], v10, v[0:1]
	v_sub_nc_u32_e32 v11, 29, v101
	s_delay_alu instid0(VALU_DEP_2)
	v_and_b32_e32 v10, 7, v10
; %bb.1448:                             ;   in Loop: Header=BB305_991 Depth=1
	s_wait_alu 0xfffe
	s_or_b32 exec_lo, exec_lo, s15
	v_lshlrev_b32_e32 v0, 8, v0
	v_lshl_add_u32 v11, v11, 10, 0x2000
	v_lshlrev_b32_e32 v10, 23, v10
	s_delay_alu instid0(VALU_DEP_2) | instskip(NEXT) | instid1(VALU_DEP_1)
	v_and_or_b32 v0, 0x8000, v0, v11
	v_lshl_or_b32 v10, v0, 16, v10
.LBB305_1449:                           ;   in Loop: Header=BB305_991 Depth=1
	s_wait_alu 0xfffe
	s_or_b32 exec_lo, exec_lo, s14
.LBB305_1450:                           ;   in Loop: Header=BB305_991 Depth=1
	s_wait_alu 0xfffe
	s_or_b32 exec_lo, exec_lo, s13
.LBB305_1451:                           ;   in Loop: Header=BB305_991 Depth=1
	s_wait_alu 0xfffe
	s_or_b32 exec_lo, exec_lo, s12
	v_or_b32_e32 v0, v31, v97
	s_wait_loadcnt_dscnt 0x0
	v_fma_mixlo_f16 v11, v4, v31, 0 op_sel:[0,1,0] op_sel_hi:[0,1,0]
	v_or_b32_e32 v31, v5, v23
	v_fma_mixlo_f16 v5, v4, v5, 0 op_sel:[0,1,0] op_sel_hi:[0,1,0]
	v_or_b32_e32 v97, v100, v99
	v_fma_mixlo_f16 v99, v4, v0, 0 op_sel_hi:[0,1,0]
	v_or_b32_e32 v98, v10, v98
	v_lshlrev_b32_e32 v0, 16, v11
	v_lshlrev_b32_e32 v23, 16, v5
	v_fma_mixlo_f16 v11, v4, v31, 0 op_sel_hi:[0,1,0]
	v_and_b32_e32 v5, 0xffff, v99
	v_fma_mixlo_f16 v31, v4, v100, 0 op_sel:[0,1,0] op_sel_hi:[0,1,0]
	v_fma_mixlo_f16 v97, v4, v97, 0 op_sel_hi:[0,1,0]
	v_fma_mixlo_f16 v99, v4, v10, 0 op_sel:[0,1,0] op_sel_hi:[0,1,0]
	v_fma_mixlo_f16 v98, v4, v98, 0 op_sel_hi:[0,1,0]
	v_and_b32_e32 v101, 0xffff, v11
	v_lshlrev_b32_e32 v10, 16, v31
	v_and_b32_e32 v97, 0xffff, v97
	v_lshlrev_b32_e32 v4, 16, v99
	v_and_b32_e32 v11, 0xffff, v98
	v_or_b32_e32 v31, v0, v5
	v_or_b32_e32 v100, v23, v101
	;; [unrolled: 1-line block ×3, first 2 shown]
	s_delay_alu instid0(VALU_DEP_4)
	v_or_b32_e32 v98, v4, v11
	s_and_saveexec_b32 s12, vcc_lo
	s_cbranch_execz .LBB305_1453
; %bb.1452:                             ;   in Loop: Header=BB305_991 Depth=1
	v_cmp_lt_i32_e64 s0, v35, v30
	s_wait_alu 0xf1ff
	s_delay_alu instid0(VALU_DEP_1) | instskip(SKIP_2) | instid1(VALU_DEP_1)
	v_cndmask_b32_e64 v31, 0, v101, s0
	v_cmp_lt_i32_e64 s0, v70, v30
	s_wait_alu 0xf1ff
	v_cndmask_b32_e64 v23, 0, v23, s0
	v_cmp_lt_i32_e64 s0, v69, v30
	s_delay_alu instid0(VALU_DEP_2) | instskip(SKIP_1) | instid1(VALU_DEP_2)
	v_or_b32_e32 v100, v31, v23
	s_wait_alu 0xf1ff
	v_cndmask_b32_e64 v5, 0, v5, s0
	v_cmp_lt_i32_e64 s0, v68, v30
	s_wait_alu 0xf1ff
	s_delay_alu instid0(VALU_DEP_1) | instskip(SKIP_1) | instid1(VALU_DEP_2)
	v_cndmask_b32_e64 v0, 0, v0, s0
	v_cmp_lt_i32_e64 s0, v67, v30
	v_or_b32_e32 v31, v5, v0
	s_wait_alu 0xf1ff
	s_delay_alu instid0(VALU_DEP_2) | instskip(SKIP_2) | instid1(VALU_DEP_1)
	v_cndmask_b32_e64 v97, 0, v97, s0
	v_cmp_lt_i32_e64 s0, v66, v30
	s_wait_alu 0xf1ff
	v_cndmask_b32_e64 v10, 0, v10, s0
	v_cmp_lt_i32_e64 s0, v65, v30
	s_delay_alu instid0(VALU_DEP_2) | instskip(SKIP_1) | instid1(VALU_DEP_2)
	v_or_b32_e32 v99, v97, v10
	s_wait_alu 0xf1ff
	v_cndmask_b32_e64 v11, 0, v11, s0
	v_cmp_lt_i32_e64 s0, v14, v30
	s_wait_alu 0xf1ff
	s_delay_alu instid0(VALU_DEP_1) | instskip(NEXT) | instid1(VALU_DEP_1)
	v_cndmask_b32_e64 v4, 0, v4, s0
	v_or_b32_e32 v98, v11, v4
.LBB305_1453:                           ;   in Loop: Header=BB305_991 Depth=1
	s_wait_alu 0xfffe
	s_or_b32 exec_lo, exec_lo, s12
	;;#ASMSTART
	v_pk_mul_f16 v0, v55, v100;

	;;#ASMEND
	;;#ASMSTART
	v_pk_mul_f16 v4, v53, v31;

	;;#ASMEND
	;; [unrolled: 4-line block ×4, first 2 shown]
	;;#ASMSTART
	v_pk_add_f16 v0, v0, v4;

	;;#ASMEND
	;;#ASMSTART
	v_pk_add_f16 v0, v0, v5;

	;;#ASMEND
	;; [unrolled: 4-line block ×3, first 2 shown]
	v_dual_mov_b32 v5, 0 :: v_dual_and_b32 v4, 0xffff, v0
	v_lshrrev_b32_e32 v0, 16, v0
	;;#ASMSTART
	v_cvt_f32_f16 v97, v4;
	;;#ASMEND
	;;#ASMSTART
	v_cvt_f32_f16 v98, v0;
	;;#ASMEND
	flat_load_b64 v[10:11], v[8:9] offset:1792
	flat_load_b32 v4, v[26:27]
	s_mov_b32 s12, exec_lo
	s_wait_loadcnt_dscnt 0x101
	v_dual_mov_b32 v23, 0 :: v_dual_and_b32 v0, 0xff, v10
	s_delay_alu instid0(VALU_DEP_1)
	v_cmpx_ne_u16_e32 0, v0
	s_cbranch_execz .LBB305_1461
; %bb.1454:                             ;   in Loop: Header=BB305_991 Depth=1
	v_mov_b32_e32 v23, 0x8000
	s_mov_b32 s13, exec_lo
	v_cmpx_ne_u16_e32 0x80, v0
	s_cbranch_execz .LBB305_1460
; %bb.1455:                             ;   in Loop: Header=BB305_991 Depth=1
	v_and_b32_e32 v31, 0x7f, v10
	v_mov_b32_e32 v23, 0x7c01
	s_mov_b32 s14, exec_lo
	s_delay_alu instid0(VALU_DEP_2)
	v_cmpx_ne_u32_e32 0x7f, v31
	s_cbranch_execz .LBB305_1459
; %bb.1456:                             ;   in Loop: Header=BB305_991 Depth=1
	v_and_b32_e32 v0, 7, v10
	v_lshrrev_b32_e32 v23, 3, v31
	s_mov_b32 s15, exec_lo
	v_cmpx_gt_u32_e32 8, v31
; %bb.1457:                             ;   in Loop: Header=BB305_991 Depth=1
	s_delay_alu instid0(VALU_DEP_3) | instskip(NEXT) | instid1(VALU_DEP_1)
	v_clz_i32_u32_e32 v0, v0
	v_min_u32_e32 v0, 32, v0
	s_delay_alu instid0(VALU_DEP_1) | instskip(NEXT) | instid1(VALU_DEP_1)
	v_subrev_nc_u32_e32 v23, 28, v0
	v_lshlrev_b64_e32 v[99:100], v23, v[10:11]
	v_sub_nc_u32_e32 v23, 29, v0
	s_delay_alu instid0(VALU_DEP_2)
	v_and_b32_e32 v0, 7, v99
; %bb.1458:                             ;   in Loop: Header=BB305_991 Depth=1
	s_wait_alu 0xfffe
	s_or_b32 exec_lo, exec_lo, s15
	v_lshlrev_b32_e32 v31, 8, v10
	v_lshl_add_u32 v23, v23, 10, 0x2000
	v_lshlrev_b32_e32 v0, 7, v0
	s_delay_alu instid0(VALU_DEP_3) | instskip(NEXT) | instid1(VALU_DEP_3)
	v_and_b32_e32 v31, 0x8000, v31
	v_and_b32_e32 v23, 0xfc00, v23
	s_delay_alu instid0(VALU_DEP_1)
	v_or3_b32 v23, v31, v23, v0
.LBB305_1459:                           ;   in Loop: Header=BB305_991 Depth=1
	s_wait_alu 0xfffe
	s_or_b32 exec_lo, exec_lo, s14
.LBB305_1460:                           ;   in Loop: Header=BB305_991 Depth=1
	s_wait_alu 0xfffe
	s_or_b32 exec_lo, exec_lo, s13
.LBB305_1461:                           ;   in Loop: Header=BB305_991 Depth=1
	s_wait_alu 0xfffe
	s_or_b32 exec_lo, exec_lo, s12
	v_lshrrev_b16 v0, 8, v10
	s_mov_b32 s12, exec_lo
	s_delay_alu instid0(VALU_DEP_1)
	v_cmpx_ne_u16_e32 0, v0
	s_cbranch_execz .LBB305_1469
; %bb.1462:                             ;   in Loop: Header=BB305_991 Depth=1
	v_bfrev_b32_e32 v5, 1
	s_mov_b32 s13, exec_lo
	v_cmpx_ne_u16_e32 0x80, v0
	s_cbranch_execz .LBB305_1468
; %bb.1463:                             ;   in Loop: Header=BB305_991 Depth=1
	v_and_b32_e32 v31, 0xffff, v0
	v_mov_b32_e32 v5, 0x7c010000
	s_mov_b32 s14, exec_lo
	s_delay_alu instid0(VALU_DEP_2) | instskip(NEXT) | instid1(VALU_DEP_1)
	v_and_b32_e32 v100, 0x7f, v31
	v_cmpx_ne_u32_e32 0x7f, v100
	s_cbranch_execz .LBB305_1467
; %bb.1464:                             ;   in Loop: Header=BB305_991 Depth=1
	v_and_b32_e32 v5, 7, v31
	v_lshrrev_b32_e32 v99, 3, v100
	s_mov_b32 s15, exec_lo
	v_cmpx_gt_u32_e32 8, v100
; %bb.1465:                             ;   in Loop: Header=BB305_991 Depth=1
	s_delay_alu instid0(VALU_DEP_3) | instskip(NEXT) | instid1(VALU_DEP_1)
	v_clz_i32_u32_e32 v5, v5
	v_min_u32_e32 v5, 32, v5
	s_delay_alu instid0(VALU_DEP_1) | instskip(NEXT) | instid1(VALU_DEP_1)
	v_subrev_nc_u32_e32 v99, 28, v5
	v_lshlrev_b64_e32 v[100:101], v99, v[0:1]
	v_sub_nc_u32_e32 v99, 29, v5
	s_delay_alu instid0(VALU_DEP_2)
	v_and_b32_e32 v5, 7, v100
; %bb.1466:                             ;   in Loop: Header=BB305_991 Depth=1
	s_wait_alu 0xfffe
	s_or_b32 exec_lo, exec_lo, s15
	v_lshlrev_b32_e32 v0, 8, v31
	v_lshl_add_u32 v31, v99, 10, 0x2000
	v_lshlrev_b32_e32 v5, 23, v5
	s_delay_alu instid0(VALU_DEP_2) | instskip(NEXT) | instid1(VALU_DEP_1)
	v_and_or_b32 v0, 0x8000, v0, v31
	v_lshl_or_b32 v5, v0, 16, v5
.LBB305_1467:                           ;   in Loop: Header=BB305_991 Depth=1
	s_wait_alu 0xfffe
	s_or_b32 exec_lo, exec_lo, s14
.LBB305_1468:                           ;   in Loop: Header=BB305_991 Depth=1
	s_wait_alu 0xfffe
	s_or_b32 exec_lo, exec_lo, s13
.LBB305_1469:                           ;   in Loop: Header=BB305_991 Depth=1
	s_wait_alu 0xfffe
	s_or_b32 exec_lo, exec_lo, s12
	v_lshrrev_b32_e32 v0, 16, v10
	v_mov_b32_e32 v99, 0
	s_mov_b32 s12, exec_lo
	s_delay_alu instid0(VALU_DEP_2) | instskip(NEXT) | instid1(VALU_DEP_1)
	v_dual_mov_b32 v31, 0 :: v_dual_and_b32 v100, 0xff, v0
	v_cmpx_ne_u16_e32 0, v100
	s_cbranch_execz .LBB305_1477
; %bb.1470:                             ;   in Loop: Header=BB305_991 Depth=1
	v_mov_b32_e32 v99, 0x8000
	s_mov_b32 s13, exec_lo
	v_cmpx_ne_u16_e32 0x80, v100
	s_cbranch_execz .LBB305_1476
; %bb.1471:                             ;   in Loop: Header=BB305_991 Depth=1
	v_bfe_u32 v101, v10, 16, 7
	v_mov_b32_e32 v99, 0x7c01
	s_mov_b32 s14, exec_lo
	s_delay_alu instid0(VALU_DEP_2)
	v_cmpx_ne_u32_e32 0x7f, v101
	s_cbranch_execz .LBB305_1475
; %bb.1472:                             ;   in Loop: Header=BB305_991 Depth=1
	v_and_b32_e32 v99, 7, v0
	v_lshrrev_b32_e32 v100, 3, v101
	s_mov_b32 s15, exec_lo
	v_cmpx_gt_u32_e32 8, v101
; %bb.1473:                             ;   in Loop: Header=BB305_991 Depth=1
	s_delay_alu instid0(VALU_DEP_3) | instskip(NEXT) | instid1(VALU_DEP_1)
	v_clz_i32_u32_e32 v99, v99
	v_min_u32_e32 v101, 32, v99
	s_delay_alu instid0(VALU_DEP_1) | instskip(NEXT) | instid1(VALU_DEP_1)
	v_subrev_nc_u32_e32 v99, 28, v101
	v_lshlrev_b64_e32 v[99:100], v99, v[0:1]
	v_sub_nc_u32_e32 v100, 29, v101
	s_delay_alu instid0(VALU_DEP_2)
	v_and_b32_e32 v99, 7, v99
; %bb.1474:                             ;   in Loop: Header=BB305_991 Depth=1
	s_wait_alu 0xfffe
	s_or_b32 exec_lo, exec_lo, s15
	v_lshlrev_b32_e32 v0, 8, v0
	v_lshl_add_u32 v100, v100, 10, 0x2000
	v_lshlrev_b32_e32 v99, 7, v99
	s_delay_alu instid0(VALU_DEP_3) | instskip(NEXT) | instid1(VALU_DEP_3)
	v_and_b32_e32 v0, 0x8000, v0
	v_and_b32_e32 v100, 0xfc00, v100
	s_delay_alu instid0(VALU_DEP_1)
	v_or3_b32 v99, v0, v100, v99
.LBB305_1475:                           ;   in Loop: Header=BB305_991 Depth=1
	s_wait_alu 0xfffe
	s_or_b32 exec_lo, exec_lo, s14
.LBB305_1476:                           ;   in Loop: Header=BB305_991 Depth=1
	s_wait_alu 0xfffe
	s_or_b32 exec_lo, exec_lo, s13
.LBB305_1477:                           ;   in Loop: Header=BB305_991 Depth=1
	s_wait_alu 0xfffe
	s_or_b32 exec_lo, exec_lo, s12
	s_delay_alu instid0(SALU_CYCLE_1)
	s_mov_b32 s12, exec_lo
	v_cmpx_lt_u32_e32 0xffffff, v10
	s_cbranch_execz .LBB305_1485
; %bb.1478:                             ;   in Loop: Header=BB305_991 Depth=1
	v_lshrrev_b32_e32 v0, 24, v10
	v_bfrev_b32_e32 v31, 1
	s_mov_b32 s13, exec_lo
	s_delay_alu instid0(VALU_DEP_2)
	v_cmpx_ne_u32_e32 0x80, v0
	s_cbranch_execz .LBB305_1484
; %bb.1479:                             ;   in Loop: Header=BB305_991 Depth=1
	v_and_b32_e32 v101, 0x7f, v0
	v_mov_b32_e32 v31, 0x7c010000
	s_mov_b32 s14, exec_lo
	s_delay_alu instid0(VALU_DEP_2)
	v_cmpx_ne_u32_e32 0x7f, v101
	s_cbranch_execz .LBB305_1483
; %bb.1480:                             ;   in Loop: Header=BB305_991 Depth=1
	v_and_b32_e32 v31, 7, v0
	v_lshrrev_b32_e32 v100, 3, v101
	s_mov_b32 s15, exec_lo
	v_cmpx_gt_u32_e32 8, v101
; %bb.1481:                             ;   in Loop: Header=BB305_991 Depth=1
	s_delay_alu instid0(VALU_DEP_3) | instskip(NEXT) | instid1(VALU_DEP_1)
	v_clz_i32_u32_e32 v31, v31
	v_min_u32_e32 v31, 32, v31
	s_delay_alu instid0(VALU_DEP_1) | instskip(NEXT) | instid1(VALU_DEP_1)
	v_subrev_nc_u32_e32 v100, 28, v31
	v_lshlrev_b64_e32 v[101:102], v100, v[0:1]
	v_sub_nc_u32_e32 v100, 29, v31
	s_delay_alu instid0(VALU_DEP_2)
	v_and_b32_e32 v31, 7, v101
; %bb.1482:                             ;   in Loop: Header=BB305_991 Depth=1
	s_wait_alu 0xfffe
	s_or_b32 exec_lo, exec_lo, s15
	v_lshlrev_b32_e32 v0, 8, v0
	v_lshl_add_u32 v100, v100, 10, 0x2000
	v_lshlrev_b32_e32 v31, 23, v31
	s_delay_alu instid0(VALU_DEP_2) | instskip(NEXT) | instid1(VALU_DEP_1)
	v_and_or_b32 v0, 0x8000, v0, v100
	v_lshl_or_b32 v31, v0, 16, v31
.LBB305_1483:                           ;   in Loop: Header=BB305_991 Depth=1
	s_wait_alu 0xfffe
	s_or_b32 exec_lo, exec_lo, s14
.LBB305_1484:                           ;   in Loop: Header=BB305_991 Depth=1
	s_wait_alu 0xfffe
	s_or_b32 exec_lo, exec_lo, s13
.LBB305_1485:                           ;   in Loop: Header=BB305_991 Depth=1
	s_wait_alu 0xfffe
	s_or_b32 exec_lo, exec_lo, s12
	v_dual_mov_b32 v101, 0 :: v_dual_and_b32 v102, 0xff, v11
	v_mov_b32_e32 v0, v11
	v_mov_b32_e32 v100, 0
	s_mov_b32 s12, exec_lo
	s_delay_alu instid0(VALU_DEP_3)
	v_cmpx_ne_u16_e32 0, v102
	s_cbranch_execz .LBB305_1493
; %bb.1486:                             ;   in Loop: Header=BB305_991 Depth=1
	v_mov_b32_e32 v101, 0x8000
	s_mov_b32 s13, exec_lo
	v_cmpx_ne_u16_e32 0x80, v102
	s_cbranch_execz .LBB305_1492
; %bb.1487:                             ;   in Loop: Header=BB305_991 Depth=1
	v_and_b32_e32 v103, 0x7f, v11
	v_mov_b32_e32 v101, 0x7c01
	s_mov_b32 s14, exec_lo
	s_delay_alu instid0(VALU_DEP_2)
	v_cmpx_ne_u32_e32 0x7f, v103
	s_cbranch_execz .LBB305_1491
; %bb.1488:                             ;   in Loop: Header=BB305_991 Depth=1
	v_and_b32_e32 v101, 7, v11
	v_lshrrev_b32_e32 v102, 3, v103
	s_mov_b32 s15, exec_lo
	v_cmpx_gt_u32_e32 8, v103
; %bb.1489:                             ;   in Loop: Header=BB305_991 Depth=1
	s_delay_alu instid0(VALU_DEP_3) | instskip(NEXT) | instid1(VALU_DEP_1)
	v_clz_i32_u32_e32 v101, v101
	v_min_u32_e32 v103, 32, v101
	s_delay_alu instid0(VALU_DEP_1) | instskip(NEXT) | instid1(VALU_DEP_1)
	v_subrev_nc_u32_e32 v101, 28, v103
	v_lshlrev_b64_e32 v[101:102], v101, v[0:1]
	v_sub_nc_u32_e32 v102, 29, v103
	s_delay_alu instid0(VALU_DEP_2)
	v_and_b32_e32 v101, 7, v101
; %bb.1490:                             ;   in Loop: Header=BB305_991 Depth=1
	s_wait_alu 0xfffe
	s_or_b32 exec_lo, exec_lo, s15
	v_lshlrev_b32_e32 v103, 8, v11
	v_lshl_add_u32 v102, v102, 10, 0x2000
	v_lshlrev_b32_e32 v101, 7, v101
	s_delay_alu instid0(VALU_DEP_3) | instskip(NEXT) | instid1(VALU_DEP_3)
	v_and_b32_e32 v103, 0x8000, v103
	v_and_b32_e32 v102, 0xfc00, v102
	s_delay_alu instid0(VALU_DEP_1)
	v_or3_b32 v101, v103, v102, v101
.LBB305_1491:                           ;   in Loop: Header=BB305_991 Depth=1
	s_wait_alu 0xfffe
	s_or_b32 exec_lo, exec_lo, s14
.LBB305_1492:                           ;   in Loop: Header=BB305_991 Depth=1
	s_wait_alu 0xfffe
	s_or_b32 exec_lo, exec_lo, s13
.LBB305_1493:                           ;   in Loop: Header=BB305_991 Depth=1
	s_wait_alu 0xfffe
	s_or_b32 exec_lo, exec_lo, s12
	v_lshrrev_b16 v0, 8, v0
	v_mov_b32_e32 v102, 0
	s_mov_b32 s12, exec_lo
	s_delay_alu instid0(VALU_DEP_2)
	v_cmpx_ne_u16_e32 0, v0
	s_cbranch_execz .LBB305_1501
; %bb.1494:                             ;   in Loop: Header=BB305_991 Depth=1
	v_bfrev_b32_e32 v102, 1
	s_mov_b32 s13, exec_lo
	v_cmpx_ne_u16_e32 0x80, v0
	s_cbranch_execz .LBB305_1500
; %bb.1495:                             ;   in Loop: Header=BB305_991 Depth=1
	v_and_b32_e32 v103, 0xffff, v0
	v_mov_b32_e32 v102, 0x7c010000
	s_mov_b32 s14, exec_lo
	s_delay_alu instid0(VALU_DEP_2) | instskip(NEXT) | instid1(VALU_DEP_1)
	v_and_b32_e32 v113, 0x7f, v103
	v_cmpx_ne_u32_e32 0x7f, v113
	s_cbranch_execz .LBB305_1499
; %bb.1496:                             ;   in Loop: Header=BB305_991 Depth=1
	v_and_b32_e32 v102, 7, v103
	v_lshrrev_b32_e32 v112, 3, v113
	s_mov_b32 s15, exec_lo
	v_cmpx_gt_u32_e32 8, v113
; %bb.1497:                             ;   in Loop: Header=BB305_991 Depth=1
	s_delay_alu instid0(VALU_DEP_3) | instskip(NEXT) | instid1(VALU_DEP_1)
	v_clz_i32_u32_e32 v102, v102
	v_min_u32_e32 v102, 32, v102
	s_delay_alu instid0(VALU_DEP_1) | instskip(NEXT) | instid1(VALU_DEP_1)
	v_subrev_nc_u32_e32 v112, 28, v102
	v_lshlrev_b64_e32 v[113:114], v112, v[0:1]
	v_sub_nc_u32_e32 v112, 29, v102
	s_delay_alu instid0(VALU_DEP_2)
	v_and_b32_e32 v102, 7, v113
; %bb.1498:                             ;   in Loop: Header=BB305_991 Depth=1
	s_wait_alu 0xfffe
	s_or_b32 exec_lo, exec_lo, s15
	v_lshlrev_b32_e32 v0, 8, v103
	v_lshl_add_u32 v103, v112, 10, 0x2000
	v_lshlrev_b32_e32 v102, 23, v102
	s_delay_alu instid0(VALU_DEP_2) | instskip(NEXT) | instid1(VALU_DEP_1)
	v_and_or_b32 v0, 0x8000, v0, v103
	v_lshl_or_b32 v102, v0, 16, v102
.LBB305_1499:                           ;   in Loop: Header=BB305_991 Depth=1
	s_wait_alu 0xfffe
	s_or_b32 exec_lo, exec_lo, s14
.LBB305_1500:                           ;   in Loop: Header=BB305_991 Depth=1
	s_wait_alu 0xfffe
	s_or_b32 exec_lo, exec_lo, s13
.LBB305_1501:                           ;   in Loop: Header=BB305_991 Depth=1
	s_wait_alu 0xfffe
	s_or_b32 exec_lo, exec_lo, s12
	v_lshrrev_b32_e32 v0, 16, v11
	s_mov_b32 s12, exec_lo
	s_delay_alu instid0(VALU_DEP_1) | instskip(NEXT) | instid1(VALU_DEP_1)
	v_and_b32_e32 v103, 0xff, v0
	v_cmpx_ne_u16_e32 0, v103
	s_cbranch_execz .LBB305_1509
; %bb.1502:                             ;   in Loop: Header=BB305_991 Depth=1
	v_mov_b32_e32 v100, 0x8000
	s_mov_b32 s13, exec_lo
	v_cmpx_ne_u16_e32 0x80, v103
	s_cbranch_execz .LBB305_1508
; %bb.1503:                             ;   in Loop: Header=BB305_991 Depth=1
	v_bfe_u32 v112, v11, 16, 7
	v_mov_b32_e32 v100, 0x7c01
	s_mov_b32 s14, exec_lo
	s_delay_alu instid0(VALU_DEP_2)
	v_cmpx_ne_u32_e32 0x7f, v112
	s_cbranch_execz .LBB305_1507
; %bb.1504:                             ;   in Loop: Header=BB305_991 Depth=1
	v_and_b32_e32 v100, 7, v0
	v_lshrrev_b32_e32 v103, 3, v112
	s_mov_b32 s15, exec_lo
	v_cmpx_gt_u32_e32 8, v112
; %bb.1505:                             ;   in Loop: Header=BB305_991 Depth=1
	s_delay_alu instid0(VALU_DEP_3) | instskip(NEXT) | instid1(VALU_DEP_1)
	v_clz_i32_u32_e32 v100, v100
	v_min_u32_e32 v100, 32, v100
	s_delay_alu instid0(VALU_DEP_1) | instskip(NEXT) | instid1(VALU_DEP_1)
	v_subrev_nc_u32_e32 v103, 28, v100
	v_lshlrev_b64_e32 v[112:113], v103, v[0:1]
	v_sub_nc_u32_e32 v103, 29, v100
	s_delay_alu instid0(VALU_DEP_2)
	v_and_b32_e32 v100, 7, v112
; %bb.1506:                             ;   in Loop: Header=BB305_991 Depth=1
	s_wait_alu 0xfffe
	s_or_b32 exec_lo, exec_lo, s15
	v_lshlrev_b32_e32 v0, 8, v0
	v_lshl_add_u32 v103, v103, 10, 0x2000
	v_lshlrev_b32_e32 v100, 7, v100
	s_delay_alu instid0(VALU_DEP_3) | instskip(NEXT) | instid1(VALU_DEP_3)
	v_and_b32_e32 v0, 0x8000, v0
	v_and_b32_e32 v103, 0xfc00, v103
	s_delay_alu instid0(VALU_DEP_1)
	v_or3_b32 v100, v0, v103, v100
.LBB305_1507:                           ;   in Loop: Header=BB305_991 Depth=1
	s_wait_alu 0xfffe
	s_or_b32 exec_lo, exec_lo, s14
.LBB305_1508:                           ;   in Loop: Header=BB305_991 Depth=1
	s_wait_alu 0xfffe
	s_or_b32 exec_lo, exec_lo, s13
.LBB305_1509:                           ;   in Loop: Header=BB305_991 Depth=1
	s_wait_alu 0xfffe
	s_or_b32 exec_lo, exec_lo, s12
	v_cmp_lt_u64_e64 s0, s[8:9], v[10:11]
	v_mov_b32_e32 v10, 0
	s_and_saveexec_b32 s12, s0
	s_cbranch_execz .LBB305_1517
; %bb.1510:                             ;   in Loop: Header=BB305_991 Depth=1
	v_lshrrev_b32_e32 v0, 24, v11
	v_bfrev_b32_e32 v10, 1
	s_mov_b32 s13, exec_lo
	s_delay_alu instid0(VALU_DEP_2)
	v_cmpx_ne_u32_e32 0x80, v0
	s_cbranch_execz .LBB305_1516
; %bb.1511:                             ;   in Loop: Header=BB305_991 Depth=1
	v_and_b32_e32 v103, 0x7f, v0
	v_mov_b32_e32 v10, 0x7c010000
	s_mov_b32 s14, exec_lo
	s_delay_alu instid0(VALU_DEP_2)
	v_cmpx_ne_u32_e32 0x7f, v103
	s_cbranch_execz .LBB305_1515
; %bb.1512:                             ;   in Loop: Header=BB305_991 Depth=1
	v_and_b32_e32 v10, 7, v0
	v_lshrrev_b32_e32 v11, 3, v103
	s_mov_b32 s15, exec_lo
	v_cmpx_gt_u32_e32 8, v103
; %bb.1513:                             ;   in Loop: Header=BB305_991 Depth=1
	s_delay_alu instid0(VALU_DEP_3) | instskip(NEXT) | instid1(VALU_DEP_1)
	v_clz_i32_u32_e32 v10, v10
	v_min_u32_e32 v103, 32, v10
	s_delay_alu instid0(VALU_DEP_1) | instskip(NEXT) | instid1(VALU_DEP_1)
	v_subrev_nc_u32_e32 v10, 28, v103
	v_lshlrev_b64_e32 v[10:11], v10, v[0:1]
	v_sub_nc_u32_e32 v11, 29, v103
	s_delay_alu instid0(VALU_DEP_2)
	v_and_b32_e32 v10, 7, v10
; %bb.1514:                             ;   in Loop: Header=BB305_991 Depth=1
	s_wait_alu 0xfffe
	s_or_b32 exec_lo, exec_lo, s15
	v_lshlrev_b32_e32 v0, 8, v0
	v_lshl_add_u32 v11, v11, 10, 0x2000
	v_lshlrev_b32_e32 v10, 23, v10
	s_delay_alu instid0(VALU_DEP_2) | instskip(NEXT) | instid1(VALU_DEP_1)
	v_and_or_b32 v0, 0x8000, v0, v11
	v_lshl_or_b32 v10, v0, 16, v10
.LBB305_1515:                           ;   in Loop: Header=BB305_991 Depth=1
	s_wait_alu 0xfffe
	s_or_b32 exec_lo, exec_lo, s14
.LBB305_1516:                           ;   in Loop: Header=BB305_991 Depth=1
	s_wait_alu 0xfffe
	s_or_b32 exec_lo, exec_lo, s13
.LBB305_1517:                           ;   in Loop: Header=BB305_991 Depth=1
	s_wait_alu 0xfffe
	s_or_b32 exec_lo, exec_lo, s12
	v_or_b32_e32 v0, v31, v99
	s_wait_loadcnt_dscnt 0x0
	v_fma_mixlo_f16 v11, v4, v31, 0 op_sel:[0,1,0] op_sel_hi:[0,1,0]
	v_or_b32_e32 v31, v5, v23
	v_fma_mixlo_f16 v5, v4, v5, 0 op_sel:[0,1,0] op_sel_hi:[0,1,0]
	v_or_b32_e32 v99, v102, v101
	v_fma_mixlo_f16 v101, v4, v0, 0 op_sel_hi:[0,1,0]
	v_or_b32_e32 v100, v10, v100
	v_lshlrev_b32_e32 v0, 16, v11
	v_lshlrev_b32_e32 v23, 16, v5
	v_fma_mixlo_f16 v11, v4, v31, 0 op_sel_hi:[0,1,0]
	v_and_b32_e32 v5, 0xffff, v101
	v_fma_mixlo_f16 v31, v4, v102, 0 op_sel:[0,1,0] op_sel_hi:[0,1,0]
	v_fma_mixlo_f16 v99, v4, v99, 0 op_sel_hi:[0,1,0]
	v_fma_mixlo_f16 v101, v4, v10, 0 op_sel:[0,1,0] op_sel_hi:[0,1,0]
	v_fma_mixlo_f16 v100, v4, v100, 0 op_sel_hi:[0,1,0]
	v_and_b32_e32 v103, 0xffff, v11
	v_lshlrev_b32_e32 v10, 16, v31
	v_and_b32_e32 v99, 0xffff, v99
	v_lshlrev_b32_e32 v4, 16, v101
	v_and_b32_e32 v11, 0xffff, v100
	v_or_b32_e32 v31, v0, v5
	v_or_b32_e32 v102, v23, v103
	;; [unrolled: 1-line block ×3, first 2 shown]
	s_delay_alu instid0(VALU_DEP_4)
	v_or_b32_e32 v100, v4, v11
	s_and_saveexec_b32 s12, vcc_lo
	s_cbranch_execz .LBB305_1519
; %bb.1518:                             ;   in Loop: Header=BB305_991 Depth=1
	v_cmp_lt_i32_e64 s0, v35, v30
	s_wait_alu 0xf1ff
	s_delay_alu instid0(VALU_DEP_1) | instskip(SKIP_2) | instid1(VALU_DEP_1)
	v_cndmask_b32_e64 v31, 0, v103, s0
	v_cmp_lt_i32_e64 s0, v70, v30
	s_wait_alu 0xf1ff
	v_cndmask_b32_e64 v23, 0, v23, s0
	v_cmp_lt_i32_e64 s0, v69, v30
	s_delay_alu instid0(VALU_DEP_2) | instskip(SKIP_1) | instid1(VALU_DEP_2)
	v_or_b32_e32 v102, v31, v23
	s_wait_alu 0xf1ff
	v_cndmask_b32_e64 v5, 0, v5, s0
	v_cmp_lt_i32_e64 s0, v68, v30
	s_wait_alu 0xf1ff
	s_delay_alu instid0(VALU_DEP_1) | instskip(SKIP_1) | instid1(VALU_DEP_2)
	v_cndmask_b32_e64 v0, 0, v0, s0
	v_cmp_lt_i32_e64 s0, v67, v30
	v_or_b32_e32 v31, v5, v0
	s_wait_alu 0xf1ff
	s_delay_alu instid0(VALU_DEP_2) | instskip(SKIP_2) | instid1(VALU_DEP_1)
	v_cndmask_b32_e64 v99, 0, v99, s0
	v_cmp_lt_i32_e64 s0, v66, v30
	s_wait_alu 0xf1ff
	v_cndmask_b32_e64 v10, 0, v10, s0
	v_cmp_lt_i32_e64 s0, v65, v30
	s_delay_alu instid0(VALU_DEP_2) | instskip(SKIP_1) | instid1(VALU_DEP_2)
	v_or_b32_e32 v101, v99, v10
	s_wait_alu 0xf1ff
	v_cndmask_b32_e64 v11, 0, v11, s0
	v_cmp_lt_i32_e64 s0, v14, v30
	s_wait_alu 0xf1ff
	s_delay_alu instid0(VALU_DEP_1) | instskip(NEXT) | instid1(VALU_DEP_1)
	v_cndmask_b32_e64 v4, 0, v4, s0
	v_or_b32_e32 v100, v11, v4
.LBB305_1519:                           ;   in Loop: Header=BB305_991 Depth=1
	s_wait_alu 0xfffe
	s_or_b32 exec_lo, exec_lo, s12
	;;#ASMSTART
	v_pk_mul_f16 v0, v55, v102;

	;;#ASMEND
	;;#ASMSTART
	v_pk_mul_f16 v4, v53, v31;

	;;#ASMEND
	;; [unrolled: 4-line block ×4, first 2 shown]
	;;#ASMSTART
	v_pk_add_f16 v0, v0, v4;

	;;#ASMEND
	;;#ASMSTART
	v_pk_add_f16 v0, v0, v5;

	;;#ASMEND
	;; [unrolled: 4-line block ×3, first 2 shown]
	v_dual_mov_b32 v5, 0 :: v_dual_and_b32 v4, 0xffff, v0
	v_lshrrev_b32_e32 v0, 16, v0
	;;#ASMSTART
	v_cvt_f32_f16 v99, v4;
	;;#ASMEND
	;;#ASMSTART
	v_cvt_f32_f16 v100, v0;
	;;#ASMEND
	flat_load_b64 v[10:11], v[8:9] offset:2048
	flat_load_b32 v4, v[26:27]
	s_mov_b32 s12, exec_lo
	s_wait_loadcnt_dscnt 0x101
	v_dual_mov_b32 v23, 0 :: v_dual_and_b32 v0, 0xff, v10
	s_delay_alu instid0(VALU_DEP_1)
	v_cmpx_ne_u16_e32 0, v0
	s_cbranch_execz .LBB305_1527
; %bb.1520:                             ;   in Loop: Header=BB305_991 Depth=1
	v_mov_b32_e32 v23, 0x8000
	s_mov_b32 s13, exec_lo
	v_cmpx_ne_u16_e32 0x80, v0
	s_cbranch_execz .LBB305_1526
; %bb.1521:                             ;   in Loop: Header=BB305_991 Depth=1
	v_and_b32_e32 v31, 0x7f, v10
	v_mov_b32_e32 v23, 0x7c01
	s_mov_b32 s14, exec_lo
	s_delay_alu instid0(VALU_DEP_2)
	v_cmpx_ne_u32_e32 0x7f, v31
	s_cbranch_execz .LBB305_1525
; %bb.1522:                             ;   in Loop: Header=BB305_991 Depth=1
	v_and_b32_e32 v0, 7, v10
	v_lshrrev_b32_e32 v23, 3, v31
	s_mov_b32 s15, exec_lo
	v_cmpx_gt_u32_e32 8, v31
; %bb.1523:                             ;   in Loop: Header=BB305_991 Depth=1
	s_delay_alu instid0(VALU_DEP_3) | instskip(NEXT) | instid1(VALU_DEP_1)
	v_clz_i32_u32_e32 v0, v0
	v_min_u32_e32 v0, 32, v0
	s_delay_alu instid0(VALU_DEP_1) | instskip(NEXT) | instid1(VALU_DEP_1)
	v_subrev_nc_u32_e32 v23, 28, v0
	v_lshlrev_b64_e32 v[101:102], v23, v[10:11]
	v_sub_nc_u32_e32 v23, 29, v0
	s_delay_alu instid0(VALU_DEP_2)
	v_and_b32_e32 v0, 7, v101
; %bb.1524:                             ;   in Loop: Header=BB305_991 Depth=1
	s_wait_alu 0xfffe
	s_or_b32 exec_lo, exec_lo, s15
	v_lshlrev_b32_e32 v31, 8, v10
	v_lshl_add_u32 v23, v23, 10, 0x2000
	v_lshlrev_b32_e32 v0, 7, v0
	s_delay_alu instid0(VALU_DEP_3) | instskip(NEXT) | instid1(VALU_DEP_3)
	v_and_b32_e32 v31, 0x8000, v31
	v_and_b32_e32 v23, 0xfc00, v23
	s_delay_alu instid0(VALU_DEP_1)
	v_or3_b32 v23, v31, v23, v0
.LBB305_1525:                           ;   in Loop: Header=BB305_991 Depth=1
	s_wait_alu 0xfffe
	s_or_b32 exec_lo, exec_lo, s14
.LBB305_1526:                           ;   in Loop: Header=BB305_991 Depth=1
	s_wait_alu 0xfffe
	s_or_b32 exec_lo, exec_lo, s13
.LBB305_1527:                           ;   in Loop: Header=BB305_991 Depth=1
	s_wait_alu 0xfffe
	s_or_b32 exec_lo, exec_lo, s12
	v_lshrrev_b16 v0, 8, v10
	s_mov_b32 s12, exec_lo
	s_delay_alu instid0(VALU_DEP_1)
	v_cmpx_ne_u16_e32 0, v0
	s_cbranch_execz .LBB305_1535
; %bb.1528:                             ;   in Loop: Header=BB305_991 Depth=1
	v_bfrev_b32_e32 v5, 1
	s_mov_b32 s13, exec_lo
	v_cmpx_ne_u16_e32 0x80, v0
	s_cbranch_execz .LBB305_1534
; %bb.1529:                             ;   in Loop: Header=BB305_991 Depth=1
	v_and_b32_e32 v31, 0xffff, v0
	v_mov_b32_e32 v5, 0x7c010000
	s_mov_b32 s14, exec_lo
	s_delay_alu instid0(VALU_DEP_2) | instskip(NEXT) | instid1(VALU_DEP_1)
	v_and_b32_e32 v102, 0x7f, v31
	v_cmpx_ne_u32_e32 0x7f, v102
	s_cbranch_execz .LBB305_1533
; %bb.1530:                             ;   in Loop: Header=BB305_991 Depth=1
	v_and_b32_e32 v5, 7, v31
	v_lshrrev_b32_e32 v101, 3, v102
	s_mov_b32 s15, exec_lo
	v_cmpx_gt_u32_e32 8, v102
; %bb.1531:                             ;   in Loop: Header=BB305_991 Depth=1
	s_delay_alu instid0(VALU_DEP_3) | instskip(NEXT) | instid1(VALU_DEP_1)
	v_clz_i32_u32_e32 v5, v5
	v_min_u32_e32 v5, 32, v5
	s_delay_alu instid0(VALU_DEP_1) | instskip(NEXT) | instid1(VALU_DEP_1)
	v_subrev_nc_u32_e32 v101, 28, v5
	v_lshlrev_b64_e32 v[102:103], v101, v[0:1]
	v_sub_nc_u32_e32 v101, 29, v5
	s_delay_alu instid0(VALU_DEP_2)
	v_and_b32_e32 v5, 7, v102
; %bb.1532:                             ;   in Loop: Header=BB305_991 Depth=1
	s_wait_alu 0xfffe
	s_or_b32 exec_lo, exec_lo, s15
	v_lshlrev_b32_e32 v0, 8, v31
	v_lshl_add_u32 v31, v101, 10, 0x2000
	v_lshlrev_b32_e32 v5, 23, v5
	s_delay_alu instid0(VALU_DEP_2) | instskip(NEXT) | instid1(VALU_DEP_1)
	v_and_or_b32 v0, 0x8000, v0, v31
	v_lshl_or_b32 v5, v0, 16, v5
.LBB305_1533:                           ;   in Loop: Header=BB305_991 Depth=1
	s_wait_alu 0xfffe
	s_or_b32 exec_lo, exec_lo, s14
.LBB305_1534:                           ;   in Loop: Header=BB305_991 Depth=1
	s_wait_alu 0xfffe
	s_or_b32 exec_lo, exec_lo, s13
.LBB305_1535:                           ;   in Loop: Header=BB305_991 Depth=1
	s_wait_alu 0xfffe
	s_or_b32 exec_lo, exec_lo, s12
	v_lshrrev_b32_e32 v0, 16, v10
	v_mov_b32_e32 v101, 0
	s_mov_b32 s12, exec_lo
	s_delay_alu instid0(VALU_DEP_2) | instskip(NEXT) | instid1(VALU_DEP_1)
	v_dual_mov_b32 v31, 0 :: v_dual_and_b32 v102, 0xff, v0
	v_cmpx_ne_u16_e32 0, v102
	s_cbranch_execz .LBB305_1543
; %bb.1536:                             ;   in Loop: Header=BB305_991 Depth=1
	v_mov_b32_e32 v101, 0x8000
	s_mov_b32 s13, exec_lo
	v_cmpx_ne_u16_e32 0x80, v102
	s_cbranch_execz .LBB305_1542
; %bb.1537:                             ;   in Loop: Header=BB305_991 Depth=1
	v_bfe_u32 v103, v10, 16, 7
	v_mov_b32_e32 v101, 0x7c01
	s_mov_b32 s14, exec_lo
	s_delay_alu instid0(VALU_DEP_2)
	v_cmpx_ne_u32_e32 0x7f, v103
	s_cbranch_execz .LBB305_1541
; %bb.1538:                             ;   in Loop: Header=BB305_991 Depth=1
	v_and_b32_e32 v101, 7, v0
	v_lshrrev_b32_e32 v102, 3, v103
	s_mov_b32 s15, exec_lo
	v_cmpx_gt_u32_e32 8, v103
; %bb.1539:                             ;   in Loop: Header=BB305_991 Depth=1
	s_delay_alu instid0(VALU_DEP_3) | instskip(NEXT) | instid1(VALU_DEP_1)
	v_clz_i32_u32_e32 v101, v101
	v_min_u32_e32 v103, 32, v101
	s_delay_alu instid0(VALU_DEP_1) | instskip(NEXT) | instid1(VALU_DEP_1)
	v_subrev_nc_u32_e32 v101, 28, v103
	v_lshlrev_b64_e32 v[101:102], v101, v[0:1]
	v_sub_nc_u32_e32 v102, 29, v103
	s_delay_alu instid0(VALU_DEP_2)
	v_and_b32_e32 v101, 7, v101
; %bb.1540:                             ;   in Loop: Header=BB305_991 Depth=1
	s_wait_alu 0xfffe
	s_or_b32 exec_lo, exec_lo, s15
	v_lshlrev_b32_e32 v0, 8, v0
	v_lshl_add_u32 v102, v102, 10, 0x2000
	v_lshlrev_b32_e32 v101, 7, v101
	s_delay_alu instid0(VALU_DEP_3) | instskip(NEXT) | instid1(VALU_DEP_3)
	v_and_b32_e32 v0, 0x8000, v0
	v_and_b32_e32 v102, 0xfc00, v102
	s_delay_alu instid0(VALU_DEP_1)
	v_or3_b32 v101, v0, v102, v101
.LBB305_1541:                           ;   in Loop: Header=BB305_991 Depth=1
	s_wait_alu 0xfffe
	s_or_b32 exec_lo, exec_lo, s14
.LBB305_1542:                           ;   in Loop: Header=BB305_991 Depth=1
	s_wait_alu 0xfffe
	s_or_b32 exec_lo, exec_lo, s13
.LBB305_1543:                           ;   in Loop: Header=BB305_991 Depth=1
	s_wait_alu 0xfffe
	s_or_b32 exec_lo, exec_lo, s12
	s_delay_alu instid0(SALU_CYCLE_1)
	s_mov_b32 s12, exec_lo
	v_cmpx_lt_u32_e32 0xffffff, v10
	s_cbranch_execz .LBB305_1551
; %bb.1544:                             ;   in Loop: Header=BB305_991 Depth=1
	v_lshrrev_b32_e32 v0, 24, v10
	v_bfrev_b32_e32 v31, 1
	s_mov_b32 s13, exec_lo
	s_delay_alu instid0(VALU_DEP_2)
	v_cmpx_ne_u32_e32 0x80, v0
	s_cbranch_execz .LBB305_1550
; %bb.1545:                             ;   in Loop: Header=BB305_991 Depth=1
	v_and_b32_e32 v103, 0x7f, v0
	v_mov_b32_e32 v31, 0x7c010000
	s_mov_b32 s14, exec_lo
	s_delay_alu instid0(VALU_DEP_2)
	v_cmpx_ne_u32_e32 0x7f, v103
	s_cbranch_execz .LBB305_1549
; %bb.1546:                             ;   in Loop: Header=BB305_991 Depth=1
	v_and_b32_e32 v31, 7, v0
	v_lshrrev_b32_e32 v102, 3, v103
	s_mov_b32 s15, exec_lo
	v_cmpx_gt_u32_e32 8, v103
; %bb.1547:                             ;   in Loop: Header=BB305_991 Depth=1
	s_delay_alu instid0(VALU_DEP_3) | instskip(NEXT) | instid1(VALU_DEP_1)
	v_clz_i32_u32_e32 v31, v31
	v_min_u32_e32 v31, 32, v31
	s_delay_alu instid0(VALU_DEP_1) | instskip(NEXT) | instid1(VALU_DEP_1)
	v_subrev_nc_u32_e32 v102, 28, v31
	v_lshlrev_b64_e32 v[112:113], v102, v[0:1]
	v_sub_nc_u32_e32 v102, 29, v31
	s_delay_alu instid0(VALU_DEP_2)
	v_and_b32_e32 v31, 7, v112
; %bb.1548:                             ;   in Loop: Header=BB305_991 Depth=1
	s_wait_alu 0xfffe
	s_or_b32 exec_lo, exec_lo, s15
	v_lshlrev_b32_e32 v0, 8, v0
	v_lshl_add_u32 v102, v102, 10, 0x2000
	v_lshlrev_b32_e32 v31, 23, v31
	s_delay_alu instid0(VALU_DEP_2) | instskip(NEXT) | instid1(VALU_DEP_1)
	v_and_or_b32 v0, 0x8000, v0, v102
	v_lshl_or_b32 v31, v0, 16, v31
.LBB305_1549:                           ;   in Loop: Header=BB305_991 Depth=1
	s_wait_alu 0xfffe
	s_or_b32 exec_lo, exec_lo, s14
.LBB305_1550:                           ;   in Loop: Header=BB305_991 Depth=1
	s_wait_alu 0xfffe
	s_or_b32 exec_lo, exec_lo, s13
.LBB305_1551:                           ;   in Loop: Header=BB305_991 Depth=1
	s_wait_alu 0xfffe
	s_or_b32 exec_lo, exec_lo, s12
	v_dual_mov_b32 v103, 0 :: v_dual_and_b32 v112, 0xff, v11
	v_mov_b32_e32 v0, v11
	v_mov_b32_e32 v102, 0
	s_mov_b32 s12, exec_lo
	s_delay_alu instid0(VALU_DEP_3)
	v_cmpx_ne_u16_e32 0, v112
	s_cbranch_execz .LBB305_1559
; %bb.1552:                             ;   in Loop: Header=BB305_991 Depth=1
	v_mov_b32_e32 v103, 0x8000
	s_mov_b32 s13, exec_lo
	v_cmpx_ne_u16_e32 0x80, v112
	s_cbranch_execz .LBB305_1558
; %bb.1553:                             ;   in Loop: Header=BB305_991 Depth=1
	v_and_b32_e32 v113, 0x7f, v11
	v_mov_b32_e32 v103, 0x7c01
	s_mov_b32 s14, exec_lo
	s_delay_alu instid0(VALU_DEP_2)
	v_cmpx_ne_u32_e32 0x7f, v113
	s_cbranch_execz .LBB305_1557
; %bb.1554:                             ;   in Loop: Header=BB305_991 Depth=1
	v_and_b32_e32 v103, 7, v11
	v_lshrrev_b32_e32 v112, 3, v113
	s_mov_b32 s15, exec_lo
	v_cmpx_gt_u32_e32 8, v113
; %bb.1555:                             ;   in Loop: Header=BB305_991 Depth=1
	s_delay_alu instid0(VALU_DEP_3) | instskip(NEXT) | instid1(VALU_DEP_1)
	v_clz_i32_u32_e32 v103, v103
	v_min_u32_e32 v103, 32, v103
	s_delay_alu instid0(VALU_DEP_1) | instskip(NEXT) | instid1(VALU_DEP_1)
	v_subrev_nc_u32_e32 v112, 28, v103
	v_lshlrev_b64_e32 v[113:114], v112, v[0:1]
	v_sub_nc_u32_e32 v112, 29, v103
	s_delay_alu instid0(VALU_DEP_2)
	v_and_b32_e32 v103, 7, v113
; %bb.1556:                             ;   in Loop: Header=BB305_991 Depth=1
	s_wait_alu 0xfffe
	s_or_b32 exec_lo, exec_lo, s15
	v_lshlrev_b32_e32 v113, 8, v11
	v_lshl_add_u32 v112, v112, 10, 0x2000
	v_lshlrev_b32_e32 v103, 7, v103
	s_delay_alu instid0(VALU_DEP_3) | instskip(NEXT) | instid1(VALU_DEP_3)
	v_and_b32_e32 v113, 0x8000, v113
	v_and_b32_e32 v112, 0xfc00, v112
	s_delay_alu instid0(VALU_DEP_1)
	v_or3_b32 v103, v113, v112, v103
.LBB305_1557:                           ;   in Loop: Header=BB305_991 Depth=1
	s_wait_alu 0xfffe
	s_or_b32 exec_lo, exec_lo, s14
.LBB305_1558:                           ;   in Loop: Header=BB305_991 Depth=1
	s_wait_alu 0xfffe
	s_or_b32 exec_lo, exec_lo, s13
.LBB305_1559:                           ;   in Loop: Header=BB305_991 Depth=1
	s_wait_alu 0xfffe
	s_or_b32 exec_lo, exec_lo, s12
	v_lshrrev_b16 v0, 8, v0
	v_mov_b32_e32 v112, 0
	s_mov_b32 s12, exec_lo
	s_delay_alu instid0(VALU_DEP_2)
	v_cmpx_ne_u16_e32 0, v0
	s_cbranch_execz .LBB305_1567
; %bb.1560:                             ;   in Loop: Header=BB305_991 Depth=1
	v_bfrev_b32_e32 v112, 1
	s_mov_b32 s13, exec_lo
	v_cmpx_ne_u16_e32 0x80, v0
	s_cbranch_execz .LBB305_1566
; %bb.1561:                             ;   in Loop: Header=BB305_991 Depth=1
	v_and_b32_e32 v113, 0xffff, v0
	v_mov_b32_e32 v112, 0x7c010000
	s_mov_b32 s14, exec_lo
	s_delay_alu instid0(VALU_DEP_2) | instskip(NEXT) | instid1(VALU_DEP_1)
	v_and_b32_e32 v115, 0x7f, v113
	v_cmpx_ne_u32_e32 0x7f, v115
	s_cbranch_execz .LBB305_1565
; %bb.1562:                             ;   in Loop: Header=BB305_991 Depth=1
	v_and_b32_e32 v112, 7, v113
	v_lshrrev_b32_e32 v114, 3, v115
	s_mov_b32 s15, exec_lo
	v_cmpx_gt_u32_e32 8, v115
; %bb.1563:                             ;   in Loop: Header=BB305_991 Depth=1
	s_delay_alu instid0(VALU_DEP_3) | instskip(NEXT) | instid1(VALU_DEP_1)
	v_clz_i32_u32_e32 v112, v112
	v_min_u32_e32 v112, 32, v112
	s_delay_alu instid0(VALU_DEP_1) | instskip(NEXT) | instid1(VALU_DEP_1)
	v_subrev_nc_u32_e32 v114, 28, v112
	v_lshlrev_b64_e32 v[115:116], v114, v[0:1]
	v_sub_nc_u32_e32 v114, 29, v112
	s_delay_alu instid0(VALU_DEP_2)
	v_and_b32_e32 v112, 7, v115
; %bb.1564:                             ;   in Loop: Header=BB305_991 Depth=1
	s_wait_alu 0xfffe
	s_or_b32 exec_lo, exec_lo, s15
	v_lshlrev_b32_e32 v0, 8, v113
	v_lshl_add_u32 v113, v114, 10, 0x2000
	v_lshlrev_b32_e32 v112, 23, v112
	s_delay_alu instid0(VALU_DEP_2) | instskip(NEXT) | instid1(VALU_DEP_1)
	v_and_or_b32 v0, 0x8000, v0, v113
	v_lshl_or_b32 v112, v0, 16, v112
.LBB305_1565:                           ;   in Loop: Header=BB305_991 Depth=1
	s_wait_alu 0xfffe
	s_or_b32 exec_lo, exec_lo, s14
.LBB305_1566:                           ;   in Loop: Header=BB305_991 Depth=1
	s_wait_alu 0xfffe
	s_or_b32 exec_lo, exec_lo, s13
.LBB305_1567:                           ;   in Loop: Header=BB305_991 Depth=1
	s_wait_alu 0xfffe
	s_or_b32 exec_lo, exec_lo, s12
	v_lshrrev_b32_e32 v0, 16, v11
	s_mov_b32 s12, exec_lo
	s_delay_alu instid0(VALU_DEP_1) | instskip(NEXT) | instid1(VALU_DEP_1)
	v_and_b32_e32 v113, 0xff, v0
	v_cmpx_ne_u16_e32 0, v113
	s_cbranch_execz .LBB305_1575
; %bb.1568:                             ;   in Loop: Header=BB305_991 Depth=1
	v_mov_b32_e32 v102, 0x8000
	s_mov_b32 s13, exec_lo
	v_cmpx_ne_u16_e32 0x80, v113
	s_cbranch_execz .LBB305_1574
; %bb.1569:                             ;   in Loop: Header=BB305_991 Depth=1
	v_bfe_u32 v114, v11, 16, 7
	v_mov_b32_e32 v102, 0x7c01
	s_mov_b32 s14, exec_lo
	s_delay_alu instid0(VALU_DEP_2)
	v_cmpx_ne_u32_e32 0x7f, v114
	s_cbranch_execz .LBB305_1573
; %bb.1570:                             ;   in Loop: Header=BB305_991 Depth=1
	v_and_b32_e32 v102, 7, v0
	v_lshrrev_b32_e32 v113, 3, v114
	s_mov_b32 s15, exec_lo
	v_cmpx_gt_u32_e32 8, v114
; %bb.1571:                             ;   in Loop: Header=BB305_991 Depth=1
	s_delay_alu instid0(VALU_DEP_3) | instskip(NEXT) | instid1(VALU_DEP_1)
	v_clz_i32_u32_e32 v102, v102
	v_min_u32_e32 v102, 32, v102
	s_delay_alu instid0(VALU_DEP_1) | instskip(NEXT) | instid1(VALU_DEP_1)
	v_subrev_nc_u32_e32 v113, 28, v102
	v_lshlrev_b64_e32 v[114:115], v113, v[0:1]
	v_sub_nc_u32_e32 v113, 29, v102
	s_delay_alu instid0(VALU_DEP_2)
	v_and_b32_e32 v102, 7, v114
; %bb.1572:                             ;   in Loop: Header=BB305_991 Depth=1
	s_wait_alu 0xfffe
	s_or_b32 exec_lo, exec_lo, s15
	v_lshlrev_b32_e32 v0, 8, v0
	v_lshl_add_u32 v113, v113, 10, 0x2000
	v_lshlrev_b32_e32 v102, 7, v102
	s_delay_alu instid0(VALU_DEP_3) | instskip(NEXT) | instid1(VALU_DEP_3)
	v_and_b32_e32 v0, 0x8000, v0
	v_and_b32_e32 v113, 0xfc00, v113
	s_delay_alu instid0(VALU_DEP_1)
	v_or3_b32 v102, v0, v113, v102
.LBB305_1573:                           ;   in Loop: Header=BB305_991 Depth=1
	s_wait_alu 0xfffe
	s_or_b32 exec_lo, exec_lo, s14
.LBB305_1574:                           ;   in Loop: Header=BB305_991 Depth=1
	s_wait_alu 0xfffe
	s_or_b32 exec_lo, exec_lo, s13
.LBB305_1575:                           ;   in Loop: Header=BB305_991 Depth=1
	s_wait_alu 0xfffe
	s_or_b32 exec_lo, exec_lo, s12
	v_cmp_lt_u64_e64 s0, s[8:9], v[10:11]
	v_mov_b32_e32 v10, 0
	s_and_saveexec_b32 s12, s0
	s_cbranch_execz .LBB305_1583
; %bb.1576:                             ;   in Loop: Header=BB305_991 Depth=1
	v_lshrrev_b32_e32 v0, 24, v11
	v_bfrev_b32_e32 v10, 1
	s_mov_b32 s13, exec_lo
	s_delay_alu instid0(VALU_DEP_2)
	v_cmpx_ne_u32_e32 0x80, v0
	s_cbranch_execz .LBB305_1582
; %bb.1577:                             ;   in Loop: Header=BB305_991 Depth=1
	v_and_b32_e32 v113, 0x7f, v0
	v_mov_b32_e32 v10, 0x7c010000
	s_mov_b32 s14, exec_lo
	s_delay_alu instid0(VALU_DEP_2)
	v_cmpx_ne_u32_e32 0x7f, v113
	s_cbranch_execz .LBB305_1581
; %bb.1578:                             ;   in Loop: Header=BB305_991 Depth=1
	v_and_b32_e32 v10, 7, v0
	v_lshrrev_b32_e32 v11, 3, v113
	s_mov_b32 s15, exec_lo
	v_cmpx_gt_u32_e32 8, v113
; %bb.1579:                             ;   in Loop: Header=BB305_991 Depth=1
	s_delay_alu instid0(VALU_DEP_3) | instskip(NEXT) | instid1(VALU_DEP_1)
	v_clz_i32_u32_e32 v10, v10
	v_min_u32_e32 v113, 32, v10
	s_delay_alu instid0(VALU_DEP_1) | instskip(NEXT) | instid1(VALU_DEP_1)
	v_subrev_nc_u32_e32 v10, 28, v113
	v_lshlrev_b64_e32 v[10:11], v10, v[0:1]
	v_sub_nc_u32_e32 v11, 29, v113
	s_delay_alu instid0(VALU_DEP_2)
	v_and_b32_e32 v10, 7, v10
; %bb.1580:                             ;   in Loop: Header=BB305_991 Depth=1
	s_wait_alu 0xfffe
	s_or_b32 exec_lo, exec_lo, s15
	v_lshlrev_b32_e32 v0, 8, v0
	v_lshl_add_u32 v11, v11, 10, 0x2000
	v_lshlrev_b32_e32 v10, 23, v10
	s_delay_alu instid0(VALU_DEP_2) | instskip(NEXT) | instid1(VALU_DEP_1)
	v_and_or_b32 v0, 0x8000, v0, v11
	v_lshl_or_b32 v10, v0, 16, v10
.LBB305_1581:                           ;   in Loop: Header=BB305_991 Depth=1
	s_wait_alu 0xfffe
	s_or_b32 exec_lo, exec_lo, s14
.LBB305_1582:                           ;   in Loop: Header=BB305_991 Depth=1
	s_wait_alu 0xfffe
	s_or_b32 exec_lo, exec_lo, s13
.LBB305_1583:                           ;   in Loop: Header=BB305_991 Depth=1
	s_wait_alu 0xfffe
	s_or_b32 exec_lo, exec_lo, s12
	v_or_b32_e32 v0, v31, v101
	s_wait_loadcnt_dscnt 0x0
	v_fma_mixlo_f16 v11, v4, v31, 0 op_sel:[0,1,0] op_sel_hi:[0,1,0]
	v_or_b32_e32 v31, v5, v23
	v_fma_mixlo_f16 v5, v4, v5, 0 op_sel:[0,1,0] op_sel_hi:[0,1,0]
	v_or_b32_e32 v101, v112, v103
	v_fma_mixlo_f16 v103, v4, v0, 0 op_sel_hi:[0,1,0]
	v_or_b32_e32 v102, v10, v102
	v_lshlrev_b32_e32 v0, 16, v11
	v_lshlrev_b32_e32 v23, 16, v5
	v_fma_mixlo_f16 v11, v4, v31, 0 op_sel_hi:[0,1,0]
	v_and_b32_e32 v5, 0xffff, v103
	v_fma_mixlo_f16 v31, v4, v112, 0 op_sel:[0,1,0] op_sel_hi:[0,1,0]
	v_fma_mixlo_f16 v101, v4, v101, 0 op_sel_hi:[0,1,0]
	v_fma_mixlo_f16 v103, v4, v10, 0 op_sel:[0,1,0] op_sel_hi:[0,1,0]
	v_fma_mixlo_f16 v102, v4, v102, 0 op_sel_hi:[0,1,0]
	v_and_b32_e32 v113, 0xffff, v11
	v_lshlrev_b32_e32 v10, 16, v31
	v_and_b32_e32 v101, 0xffff, v101
	v_lshlrev_b32_e32 v4, 16, v103
	v_and_b32_e32 v11, 0xffff, v102
	v_or_b32_e32 v31, v0, v5
	v_or_b32_e32 v112, v23, v113
	;; [unrolled: 1-line block ×3, first 2 shown]
	s_delay_alu instid0(VALU_DEP_4)
	v_or_b32_e32 v102, v4, v11
	s_and_saveexec_b32 s12, vcc_lo
	s_cbranch_execz .LBB305_1585
; %bb.1584:                             ;   in Loop: Header=BB305_991 Depth=1
	v_cmp_lt_i32_e64 s0, v35, v30
	s_wait_alu 0xf1ff
	s_delay_alu instid0(VALU_DEP_1) | instskip(SKIP_2) | instid1(VALU_DEP_1)
	v_cndmask_b32_e64 v31, 0, v113, s0
	v_cmp_lt_i32_e64 s0, v70, v30
	s_wait_alu 0xf1ff
	v_cndmask_b32_e64 v23, 0, v23, s0
	v_cmp_lt_i32_e64 s0, v69, v30
	s_delay_alu instid0(VALU_DEP_2) | instskip(SKIP_1) | instid1(VALU_DEP_2)
	v_or_b32_e32 v112, v31, v23
	s_wait_alu 0xf1ff
	v_cndmask_b32_e64 v5, 0, v5, s0
	v_cmp_lt_i32_e64 s0, v68, v30
	s_wait_alu 0xf1ff
	s_delay_alu instid0(VALU_DEP_1) | instskip(SKIP_1) | instid1(VALU_DEP_2)
	v_cndmask_b32_e64 v0, 0, v0, s0
	v_cmp_lt_i32_e64 s0, v67, v30
	v_or_b32_e32 v31, v5, v0
	s_wait_alu 0xf1ff
	s_delay_alu instid0(VALU_DEP_2) | instskip(SKIP_2) | instid1(VALU_DEP_1)
	v_cndmask_b32_e64 v101, 0, v101, s0
	v_cmp_lt_i32_e64 s0, v66, v30
	s_wait_alu 0xf1ff
	v_cndmask_b32_e64 v10, 0, v10, s0
	v_cmp_lt_i32_e64 s0, v65, v30
	s_delay_alu instid0(VALU_DEP_2) | instskip(SKIP_1) | instid1(VALU_DEP_2)
	v_or_b32_e32 v103, v101, v10
	s_wait_alu 0xf1ff
	v_cndmask_b32_e64 v11, 0, v11, s0
	v_cmp_lt_i32_e64 s0, v14, v30
	s_wait_alu 0xf1ff
	s_delay_alu instid0(VALU_DEP_1) | instskip(NEXT) | instid1(VALU_DEP_1)
	v_cndmask_b32_e64 v4, 0, v4, s0
	v_or_b32_e32 v102, v11, v4
.LBB305_1585:                           ;   in Loop: Header=BB305_991 Depth=1
	s_wait_alu 0xfffe
	s_or_b32 exec_lo, exec_lo, s12
	;;#ASMSTART
	v_pk_mul_f16 v0, v55, v112;

	;;#ASMEND
	;;#ASMSTART
	v_pk_mul_f16 v4, v53, v31;

	;;#ASMEND
	;; [unrolled: 4-line block ×4, first 2 shown]
	;;#ASMSTART
	v_pk_add_f16 v0, v0, v4;

	;;#ASMEND
	;;#ASMSTART
	v_pk_add_f16 v0, v0, v5;

	;;#ASMEND
	;; [unrolled: 4-line block ×3, first 2 shown]
	v_dual_mov_b32 v5, 0 :: v_dual_and_b32 v4, 0xffff, v0
	v_lshrrev_b32_e32 v0, 16, v0
	;;#ASMSTART
	v_cvt_f32_f16 v101, v4;
	;;#ASMEND
	;;#ASMSTART
	v_cvt_f32_f16 v102, v0;
	;;#ASMEND
	flat_load_b64 v[10:11], v[8:9] offset:2304
	flat_load_b32 v4, v[26:27]
	s_mov_b32 s12, exec_lo
	s_wait_loadcnt_dscnt 0x101
	v_dual_mov_b32 v23, 0 :: v_dual_and_b32 v0, 0xff, v10
	s_delay_alu instid0(VALU_DEP_1)
	v_cmpx_ne_u16_e32 0, v0
	s_cbranch_execz .LBB305_1593
; %bb.1586:                             ;   in Loop: Header=BB305_991 Depth=1
	v_mov_b32_e32 v23, 0x8000
	s_mov_b32 s13, exec_lo
	v_cmpx_ne_u16_e32 0x80, v0
	s_cbranch_execz .LBB305_1592
; %bb.1587:                             ;   in Loop: Header=BB305_991 Depth=1
	v_and_b32_e32 v31, 0x7f, v10
	v_mov_b32_e32 v23, 0x7c01
	s_mov_b32 s14, exec_lo
	s_delay_alu instid0(VALU_DEP_2)
	v_cmpx_ne_u32_e32 0x7f, v31
	s_cbranch_execz .LBB305_1591
; %bb.1588:                             ;   in Loop: Header=BB305_991 Depth=1
	v_and_b32_e32 v0, 7, v10
	v_lshrrev_b32_e32 v23, 3, v31
	s_mov_b32 s15, exec_lo
	v_cmpx_gt_u32_e32 8, v31
; %bb.1589:                             ;   in Loop: Header=BB305_991 Depth=1
	s_delay_alu instid0(VALU_DEP_3) | instskip(NEXT) | instid1(VALU_DEP_1)
	v_clz_i32_u32_e32 v0, v0
	v_min_u32_e32 v0, 32, v0
	s_delay_alu instid0(VALU_DEP_1) | instskip(NEXT) | instid1(VALU_DEP_1)
	v_subrev_nc_u32_e32 v23, 28, v0
	v_lshlrev_b64_e32 v[112:113], v23, v[10:11]
	v_sub_nc_u32_e32 v23, 29, v0
	s_delay_alu instid0(VALU_DEP_2)
	v_and_b32_e32 v0, 7, v112
; %bb.1590:                             ;   in Loop: Header=BB305_991 Depth=1
	s_wait_alu 0xfffe
	s_or_b32 exec_lo, exec_lo, s15
	v_lshlrev_b32_e32 v31, 8, v10
	v_lshl_add_u32 v23, v23, 10, 0x2000
	v_lshlrev_b32_e32 v0, 7, v0
	s_delay_alu instid0(VALU_DEP_3) | instskip(NEXT) | instid1(VALU_DEP_3)
	v_and_b32_e32 v31, 0x8000, v31
	v_and_b32_e32 v23, 0xfc00, v23
	s_delay_alu instid0(VALU_DEP_1)
	v_or3_b32 v23, v31, v23, v0
.LBB305_1591:                           ;   in Loop: Header=BB305_991 Depth=1
	s_wait_alu 0xfffe
	s_or_b32 exec_lo, exec_lo, s14
.LBB305_1592:                           ;   in Loop: Header=BB305_991 Depth=1
	s_wait_alu 0xfffe
	s_or_b32 exec_lo, exec_lo, s13
.LBB305_1593:                           ;   in Loop: Header=BB305_991 Depth=1
	s_wait_alu 0xfffe
	s_or_b32 exec_lo, exec_lo, s12
	v_lshrrev_b16 v0, 8, v10
	s_mov_b32 s12, exec_lo
	s_delay_alu instid0(VALU_DEP_1)
	v_cmpx_ne_u16_e32 0, v0
	s_cbranch_execz .LBB305_1601
; %bb.1594:                             ;   in Loop: Header=BB305_991 Depth=1
	v_bfrev_b32_e32 v5, 1
	s_mov_b32 s13, exec_lo
	v_cmpx_ne_u16_e32 0x80, v0
	s_cbranch_execz .LBB305_1600
; %bb.1595:                             ;   in Loop: Header=BB305_991 Depth=1
	v_and_b32_e32 v31, 0xffff, v0
	v_mov_b32_e32 v5, 0x7c010000
	s_mov_b32 s14, exec_lo
	s_delay_alu instid0(VALU_DEP_2) | instskip(NEXT) | instid1(VALU_DEP_1)
	v_and_b32_e32 v112, 0x7f, v31
	v_cmpx_ne_u32_e32 0x7f, v112
	s_cbranch_execz .LBB305_1599
; %bb.1596:                             ;   in Loop: Header=BB305_991 Depth=1
	v_and_b32_e32 v5, 7, v31
	v_lshrrev_b32_e32 v103, 3, v112
	s_mov_b32 s15, exec_lo
	v_cmpx_gt_u32_e32 8, v112
; %bb.1597:                             ;   in Loop: Header=BB305_991 Depth=1
	s_delay_alu instid0(VALU_DEP_3) | instskip(NEXT) | instid1(VALU_DEP_1)
	v_clz_i32_u32_e32 v5, v5
	v_min_u32_e32 v5, 32, v5
	s_delay_alu instid0(VALU_DEP_1) | instskip(NEXT) | instid1(VALU_DEP_1)
	v_subrev_nc_u32_e32 v103, 28, v5
	v_lshlrev_b64_e32 v[112:113], v103, v[0:1]
	v_sub_nc_u32_e32 v103, 29, v5
	s_delay_alu instid0(VALU_DEP_2)
	v_and_b32_e32 v5, 7, v112
; %bb.1598:                             ;   in Loop: Header=BB305_991 Depth=1
	s_wait_alu 0xfffe
	s_or_b32 exec_lo, exec_lo, s15
	v_lshlrev_b32_e32 v0, 8, v31
	v_lshl_add_u32 v31, v103, 10, 0x2000
	v_lshlrev_b32_e32 v5, 23, v5
	s_delay_alu instid0(VALU_DEP_2) | instskip(NEXT) | instid1(VALU_DEP_1)
	v_and_or_b32 v0, 0x8000, v0, v31
	v_lshl_or_b32 v5, v0, 16, v5
.LBB305_1599:                           ;   in Loop: Header=BB305_991 Depth=1
	s_wait_alu 0xfffe
	s_or_b32 exec_lo, exec_lo, s14
.LBB305_1600:                           ;   in Loop: Header=BB305_991 Depth=1
	s_wait_alu 0xfffe
	s_or_b32 exec_lo, exec_lo, s13
.LBB305_1601:                           ;   in Loop: Header=BB305_991 Depth=1
	s_wait_alu 0xfffe
	s_or_b32 exec_lo, exec_lo, s12
	v_lshrrev_b32_e32 v0, 16, v10
	v_mov_b32_e32 v103, 0
	s_mov_b32 s12, exec_lo
	s_delay_alu instid0(VALU_DEP_2) | instskip(NEXT) | instid1(VALU_DEP_1)
	v_dual_mov_b32 v31, 0 :: v_dual_and_b32 v112, 0xff, v0
	v_cmpx_ne_u16_e32 0, v112
	s_cbranch_execz .LBB305_1609
; %bb.1602:                             ;   in Loop: Header=BB305_991 Depth=1
	v_mov_b32_e32 v103, 0x8000
	s_mov_b32 s13, exec_lo
	v_cmpx_ne_u16_e32 0x80, v112
	s_cbranch_execz .LBB305_1608
; %bb.1603:                             ;   in Loop: Header=BB305_991 Depth=1
	v_bfe_u32 v113, v10, 16, 7
	v_mov_b32_e32 v103, 0x7c01
	s_mov_b32 s14, exec_lo
	s_delay_alu instid0(VALU_DEP_2)
	v_cmpx_ne_u32_e32 0x7f, v113
	s_cbranch_execz .LBB305_1607
; %bb.1604:                             ;   in Loop: Header=BB305_991 Depth=1
	v_and_b32_e32 v103, 7, v0
	v_lshrrev_b32_e32 v112, 3, v113
	s_mov_b32 s15, exec_lo
	v_cmpx_gt_u32_e32 8, v113
; %bb.1605:                             ;   in Loop: Header=BB305_991 Depth=1
	s_delay_alu instid0(VALU_DEP_3) | instskip(NEXT) | instid1(VALU_DEP_1)
	v_clz_i32_u32_e32 v103, v103
	v_min_u32_e32 v103, 32, v103
	s_delay_alu instid0(VALU_DEP_1) | instskip(NEXT) | instid1(VALU_DEP_1)
	v_subrev_nc_u32_e32 v112, 28, v103
	v_lshlrev_b64_e32 v[113:114], v112, v[0:1]
	v_sub_nc_u32_e32 v112, 29, v103
	s_delay_alu instid0(VALU_DEP_2)
	v_and_b32_e32 v103, 7, v113
; %bb.1606:                             ;   in Loop: Header=BB305_991 Depth=1
	s_wait_alu 0xfffe
	s_or_b32 exec_lo, exec_lo, s15
	v_lshlrev_b32_e32 v0, 8, v0
	v_lshl_add_u32 v112, v112, 10, 0x2000
	v_lshlrev_b32_e32 v103, 7, v103
	s_delay_alu instid0(VALU_DEP_3) | instskip(NEXT) | instid1(VALU_DEP_3)
	v_and_b32_e32 v0, 0x8000, v0
	v_and_b32_e32 v112, 0xfc00, v112
	s_delay_alu instid0(VALU_DEP_1)
	v_or3_b32 v103, v0, v112, v103
.LBB305_1607:                           ;   in Loop: Header=BB305_991 Depth=1
	s_wait_alu 0xfffe
	s_or_b32 exec_lo, exec_lo, s14
.LBB305_1608:                           ;   in Loop: Header=BB305_991 Depth=1
	s_wait_alu 0xfffe
	s_or_b32 exec_lo, exec_lo, s13
.LBB305_1609:                           ;   in Loop: Header=BB305_991 Depth=1
	s_wait_alu 0xfffe
	s_or_b32 exec_lo, exec_lo, s12
	s_delay_alu instid0(SALU_CYCLE_1)
	s_mov_b32 s12, exec_lo
	v_cmpx_lt_u32_e32 0xffffff, v10
	s_cbranch_execz .LBB305_1617
; %bb.1610:                             ;   in Loop: Header=BB305_991 Depth=1
	v_lshrrev_b32_e32 v0, 24, v10
	v_bfrev_b32_e32 v31, 1
	s_mov_b32 s13, exec_lo
	s_delay_alu instid0(VALU_DEP_2)
	v_cmpx_ne_u32_e32 0x80, v0
	s_cbranch_execz .LBB305_1616
; %bb.1611:                             ;   in Loop: Header=BB305_991 Depth=1
	v_and_b32_e32 v113, 0x7f, v0
	v_mov_b32_e32 v31, 0x7c010000
	s_mov_b32 s14, exec_lo
	s_delay_alu instid0(VALU_DEP_2)
	v_cmpx_ne_u32_e32 0x7f, v113
	s_cbranch_execz .LBB305_1615
; %bb.1612:                             ;   in Loop: Header=BB305_991 Depth=1
	v_and_b32_e32 v31, 7, v0
	v_lshrrev_b32_e32 v112, 3, v113
	s_mov_b32 s15, exec_lo
	v_cmpx_gt_u32_e32 8, v113
; %bb.1613:                             ;   in Loop: Header=BB305_991 Depth=1
	s_delay_alu instid0(VALU_DEP_3) | instskip(NEXT) | instid1(VALU_DEP_1)
	v_clz_i32_u32_e32 v31, v31
	v_min_u32_e32 v31, 32, v31
	s_delay_alu instid0(VALU_DEP_1) | instskip(NEXT) | instid1(VALU_DEP_1)
	v_subrev_nc_u32_e32 v112, 28, v31
	v_lshlrev_b64_e32 v[113:114], v112, v[0:1]
	v_sub_nc_u32_e32 v112, 29, v31
	s_delay_alu instid0(VALU_DEP_2)
	v_and_b32_e32 v31, 7, v113
; %bb.1614:                             ;   in Loop: Header=BB305_991 Depth=1
	s_wait_alu 0xfffe
	s_or_b32 exec_lo, exec_lo, s15
	v_lshlrev_b32_e32 v0, 8, v0
	v_lshl_add_u32 v112, v112, 10, 0x2000
	v_lshlrev_b32_e32 v31, 23, v31
	s_delay_alu instid0(VALU_DEP_2) | instskip(NEXT) | instid1(VALU_DEP_1)
	v_and_or_b32 v0, 0x8000, v0, v112
	v_lshl_or_b32 v31, v0, 16, v31
.LBB305_1615:                           ;   in Loop: Header=BB305_991 Depth=1
	s_wait_alu 0xfffe
	s_or_b32 exec_lo, exec_lo, s14
.LBB305_1616:                           ;   in Loop: Header=BB305_991 Depth=1
	s_wait_alu 0xfffe
	s_or_b32 exec_lo, exec_lo, s13
.LBB305_1617:                           ;   in Loop: Header=BB305_991 Depth=1
	s_wait_alu 0xfffe
	s_or_b32 exec_lo, exec_lo, s12
	v_dual_mov_b32 v113, 0 :: v_dual_and_b32 v114, 0xff, v11
	v_mov_b32_e32 v0, v11
	v_mov_b32_e32 v112, 0
	s_mov_b32 s12, exec_lo
	s_delay_alu instid0(VALU_DEP_3)
	v_cmpx_ne_u16_e32 0, v114
	s_cbranch_execz .LBB305_1625
; %bb.1618:                             ;   in Loop: Header=BB305_991 Depth=1
	v_mov_b32_e32 v113, 0x8000
	s_mov_b32 s13, exec_lo
	v_cmpx_ne_u16_e32 0x80, v114
	s_cbranch_execz .LBB305_1624
; %bb.1619:                             ;   in Loop: Header=BB305_991 Depth=1
	v_and_b32_e32 v115, 0x7f, v11
	v_mov_b32_e32 v113, 0x7c01
	s_mov_b32 s14, exec_lo
	s_delay_alu instid0(VALU_DEP_2)
	v_cmpx_ne_u32_e32 0x7f, v115
	s_cbranch_execz .LBB305_1623
; %bb.1620:                             ;   in Loop: Header=BB305_991 Depth=1
	v_and_b32_e32 v113, 7, v11
	v_lshrrev_b32_e32 v114, 3, v115
	s_mov_b32 s15, exec_lo
	v_cmpx_gt_u32_e32 8, v115
; %bb.1621:                             ;   in Loop: Header=BB305_991 Depth=1
	s_delay_alu instid0(VALU_DEP_3) | instskip(NEXT) | instid1(VALU_DEP_1)
	v_clz_i32_u32_e32 v113, v113
	v_min_u32_e32 v115, 32, v113
	s_delay_alu instid0(VALU_DEP_1) | instskip(NEXT) | instid1(VALU_DEP_1)
	v_subrev_nc_u32_e32 v113, 28, v115
	v_lshlrev_b64_e32 v[113:114], v113, v[0:1]
	v_sub_nc_u32_e32 v114, 29, v115
	s_delay_alu instid0(VALU_DEP_2)
	v_and_b32_e32 v113, 7, v113
; %bb.1622:                             ;   in Loop: Header=BB305_991 Depth=1
	s_wait_alu 0xfffe
	s_or_b32 exec_lo, exec_lo, s15
	v_lshlrev_b32_e32 v115, 8, v11
	v_lshl_add_u32 v114, v114, 10, 0x2000
	v_lshlrev_b32_e32 v113, 7, v113
	s_delay_alu instid0(VALU_DEP_3) | instskip(NEXT) | instid1(VALU_DEP_3)
	v_and_b32_e32 v115, 0x8000, v115
	v_and_b32_e32 v114, 0xfc00, v114
	s_delay_alu instid0(VALU_DEP_1)
	v_or3_b32 v113, v115, v114, v113
.LBB305_1623:                           ;   in Loop: Header=BB305_991 Depth=1
	s_wait_alu 0xfffe
	s_or_b32 exec_lo, exec_lo, s14
.LBB305_1624:                           ;   in Loop: Header=BB305_991 Depth=1
	s_wait_alu 0xfffe
	s_or_b32 exec_lo, exec_lo, s13
.LBB305_1625:                           ;   in Loop: Header=BB305_991 Depth=1
	s_wait_alu 0xfffe
	s_or_b32 exec_lo, exec_lo, s12
	v_lshrrev_b16 v0, 8, v0
	v_mov_b32_e32 v114, 0
	s_mov_b32 s12, exec_lo
	s_delay_alu instid0(VALU_DEP_2)
	v_cmpx_ne_u16_e32 0, v0
	s_cbranch_execz .LBB305_1633
; %bb.1626:                             ;   in Loop: Header=BB305_991 Depth=1
	v_bfrev_b32_e32 v114, 1
	s_mov_b32 s13, exec_lo
	v_cmpx_ne_u16_e32 0x80, v0
	s_cbranch_execz .LBB305_1632
; %bb.1627:                             ;   in Loop: Header=BB305_991 Depth=1
	v_and_b32_e32 v115, 0xffff, v0
	v_mov_b32_e32 v114, 0x7c010000
	s_mov_b32 s14, exec_lo
	s_delay_alu instid0(VALU_DEP_2) | instskip(NEXT) | instid1(VALU_DEP_1)
	v_and_b32_e32 v117, 0x7f, v115
	v_cmpx_ne_u32_e32 0x7f, v117
	s_cbranch_execz .LBB305_1631
; %bb.1628:                             ;   in Loop: Header=BB305_991 Depth=1
	v_and_b32_e32 v114, 7, v115
	v_lshrrev_b32_e32 v116, 3, v117
	s_mov_b32 s15, exec_lo
	v_cmpx_gt_u32_e32 8, v117
; %bb.1629:                             ;   in Loop: Header=BB305_991 Depth=1
	s_delay_alu instid0(VALU_DEP_3) | instskip(NEXT) | instid1(VALU_DEP_1)
	v_clz_i32_u32_e32 v114, v114
	v_min_u32_e32 v114, 32, v114
	s_delay_alu instid0(VALU_DEP_1) | instskip(NEXT) | instid1(VALU_DEP_1)
	v_subrev_nc_u32_e32 v116, 28, v114
	v_lshlrev_b64_e32 v[117:118], v116, v[0:1]
	v_sub_nc_u32_e32 v116, 29, v114
	s_delay_alu instid0(VALU_DEP_2)
	v_and_b32_e32 v114, 7, v117
; %bb.1630:                             ;   in Loop: Header=BB305_991 Depth=1
	s_wait_alu 0xfffe
	s_or_b32 exec_lo, exec_lo, s15
	v_lshlrev_b32_e32 v0, 8, v115
	v_lshl_add_u32 v115, v116, 10, 0x2000
	v_lshlrev_b32_e32 v114, 23, v114
	s_delay_alu instid0(VALU_DEP_2) | instskip(NEXT) | instid1(VALU_DEP_1)
	v_and_or_b32 v0, 0x8000, v0, v115
	v_lshl_or_b32 v114, v0, 16, v114
.LBB305_1631:                           ;   in Loop: Header=BB305_991 Depth=1
	s_wait_alu 0xfffe
	s_or_b32 exec_lo, exec_lo, s14
.LBB305_1632:                           ;   in Loop: Header=BB305_991 Depth=1
	s_wait_alu 0xfffe
	s_or_b32 exec_lo, exec_lo, s13
.LBB305_1633:                           ;   in Loop: Header=BB305_991 Depth=1
	s_wait_alu 0xfffe
	s_or_b32 exec_lo, exec_lo, s12
	v_lshrrev_b32_e32 v0, 16, v11
	s_mov_b32 s12, exec_lo
	s_delay_alu instid0(VALU_DEP_1) | instskip(NEXT) | instid1(VALU_DEP_1)
	v_and_b32_e32 v115, 0xff, v0
	v_cmpx_ne_u16_e32 0, v115
	s_cbranch_execz .LBB305_1641
; %bb.1634:                             ;   in Loop: Header=BB305_991 Depth=1
	v_mov_b32_e32 v112, 0x8000
	s_mov_b32 s13, exec_lo
	v_cmpx_ne_u16_e32 0x80, v115
	s_cbranch_execz .LBB305_1640
; %bb.1635:                             ;   in Loop: Header=BB305_991 Depth=1
	v_bfe_u32 v116, v11, 16, 7
	v_mov_b32_e32 v112, 0x7c01
	s_mov_b32 s14, exec_lo
	s_delay_alu instid0(VALU_DEP_2)
	v_cmpx_ne_u32_e32 0x7f, v116
	s_cbranch_execz .LBB305_1639
; %bb.1636:                             ;   in Loop: Header=BB305_991 Depth=1
	v_and_b32_e32 v112, 7, v0
	v_lshrrev_b32_e32 v115, 3, v116
	s_mov_b32 s15, exec_lo
	v_cmpx_gt_u32_e32 8, v116
; %bb.1637:                             ;   in Loop: Header=BB305_991 Depth=1
	s_delay_alu instid0(VALU_DEP_3) | instskip(NEXT) | instid1(VALU_DEP_1)
	v_clz_i32_u32_e32 v112, v112
	v_min_u32_e32 v112, 32, v112
	s_delay_alu instid0(VALU_DEP_1) | instskip(NEXT) | instid1(VALU_DEP_1)
	v_subrev_nc_u32_e32 v115, 28, v112
	v_lshlrev_b64_e32 v[116:117], v115, v[0:1]
	v_sub_nc_u32_e32 v115, 29, v112
	s_delay_alu instid0(VALU_DEP_2)
	v_and_b32_e32 v112, 7, v116
; %bb.1638:                             ;   in Loop: Header=BB305_991 Depth=1
	s_wait_alu 0xfffe
	s_or_b32 exec_lo, exec_lo, s15
	v_lshlrev_b32_e32 v0, 8, v0
	v_lshl_add_u32 v115, v115, 10, 0x2000
	v_lshlrev_b32_e32 v112, 7, v112
	s_delay_alu instid0(VALU_DEP_3) | instskip(NEXT) | instid1(VALU_DEP_3)
	v_and_b32_e32 v0, 0x8000, v0
	v_and_b32_e32 v115, 0xfc00, v115
	s_delay_alu instid0(VALU_DEP_1)
	v_or3_b32 v112, v0, v115, v112
.LBB305_1639:                           ;   in Loop: Header=BB305_991 Depth=1
	s_wait_alu 0xfffe
	s_or_b32 exec_lo, exec_lo, s14
.LBB305_1640:                           ;   in Loop: Header=BB305_991 Depth=1
	s_wait_alu 0xfffe
	s_or_b32 exec_lo, exec_lo, s13
.LBB305_1641:                           ;   in Loop: Header=BB305_991 Depth=1
	s_wait_alu 0xfffe
	s_or_b32 exec_lo, exec_lo, s12
	v_cmp_lt_u64_e64 s0, s[8:9], v[10:11]
	v_mov_b32_e32 v10, 0
	s_and_saveexec_b32 s12, s0
	s_cbranch_execz .LBB305_1649
; %bb.1642:                             ;   in Loop: Header=BB305_991 Depth=1
	v_lshrrev_b32_e32 v0, 24, v11
	v_bfrev_b32_e32 v10, 1
	s_mov_b32 s13, exec_lo
	s_delay_alu instid0(VALU_DEP_2)
	v_cmpx_ne_u32_e32 0x80, v0
	s_cbranch_execz .LBB305_1648
; %bb.1643:                             ;   in Loop: Header=BB305_991 Depth=1
	v_and_b32_e32 v115, 0x7f, v0
	v_mov_b32_e32 v10, 0x7c010000
	s_mov_b32 s14, exec_lo
	s_delay_alu instid0(VALU_DEP_2)
	v_cmpx_ne_u32_e32 0x7f, v115
	s_cbranch_execz .LBB305_1647
; %bb.1644:                             ;   in Loop: Header=BB305_991 Depth=1
	v_and_b32_e32 v10, 7, v0
	v_lshrrev_b32_e32 v11, 3, v115
	s_mov_b32 s15, exec_lo
	v_cmpx_gt_u32_e32 8, v115
; %bb.1645:                             ;   in Loop: Header=BB305_991 Depth=1
	s_delay_alu instid0(VALU_DEP_3) | instskip(NEXT) | instid1(VALU_DEP_1)
	v_clz_i32_u32_e32 v10, v10
	v_min_u32_e32 v115, 32, v10
	s_delay_alu instid0(VALU_DEP_1) | instskip(NEXT) | instid1(VALU_DEP_1)
	v_subrev_nc_u32_e32 v10, 28, v115
	v_lshlrev_b64_e32 v[10:11], v10, v[0:1]
	v_sub_nc_u32_e32 v11, 29, v115
	s_delay_alu instid0(VALU_DEP_2)
	v_and_b32_e32 v10, 7, v10
; %bb.1646:                             ;   in Loop: Header=BB305_991 Depth=1
	s_wait_alu 0xfffe
	s_or_b32 exec_lo, exec_lo, s15
	v_lshlrev_b32_e32 v0, 8, v0
	v_lshl_add_u32 v11, v11, 10, 0x2000
	v_lshlrev_b32_e32 v10, 23, v10
	s_delay_alu instid0(VALU_DEP_2) | instskip(NEXT) | instid1(VALU_DEP_1)
	v_and_or_b32 v0, 0x8000, v0, v11
	v_lshl_or_b32 v10, v0, 16, v10
.LBB305_1647:                           ;   in Loop: Header=BB305_991 Depth=1
	s_wait_alu 0xfffe
	s_or_b32 exec_lo, exec_lo, s14
.LBB305_1648:                           ;   in Loop: Header=BB305_991 Depth=1
	s_wait_alu 0xfffe
	s_or_b32 exec_lo, exec_lo, s13
.LBB305_1649:                           ;   in Loop: Header=BB305_991 Depth=1
	s_wait_alu 0xfffe
	s_or_b32 exec_lo, exec_lo, s12
	v_or_b32_e32 v0, v31, v103
	s_wait_loadcnt_dscnt 0x0
	v_fma_mixlo_f16 v11, v4, v31, 0 op_sel:[0,1,0] op_sel_hi:[0,1,0]
	v_or_b32_e32 v31, v5, v23
	v_fma_mixlo_f16 v5, v4, v5, 0 op_sel:[0,1,0] op_sel_hi:[0,1,0]
	v_or_b32_e32 v103, v114, v113
	v_fma_mixlo_f16 v113, v4, v0, 0 op_sel_hi:[0,1,0]
	v_or_b32_e32 v112, v10, v112
	v_lshlrev_b32_e32 v0, 16, v11
	v_lshlrev_b32_e32 v23, 16, v5
	v_fma_mixlo_f16 v11, v4, v31, 0 op_sel_hi:[0,1,0]
	v_and_b32_e32 v5, 0xffff, v113
	v_fma_mixlo_f16 v31, v4, v114, 0 op_sel:[0,1,0] op_sel_hi:[0,1,0]
	v_fma_mixlo_f16 v103, v4, v103, 0 op_sel_hi:[0,1,0]
	v_fma_mixlo_f16 v113, v4, v10, 0 op_sel:[0,1,0] op_sel_hi:[0,1,0]
	v_fma_mixlo_f16 v112, v4, v112, 0 op_sel_hi:[0,1,0]
	v_and_b32_e32 v115, 0xffff, v11
	v_lshlrev_b32_e32 v10, 16, v31
	v_and_b32_e32 v103, 0xffff, v103
	v_lshlrev_b32_e32 v4, 16, v113
	v_and_b32_e32 v11, 0xffff, v112
	v_or_b32_e32 v31, v0, v5
	v_or_b32_e32 v114, v23, v115
	;; [unrolled: 1-line block ×3, first 2 shown]
	s_delay_alu instid0(VALU_DEP_4)
	v_or_b32_e32 v112, v4, v11
	s_and_saveexec_b32 s12, vcc_lo
	s_cbranch_execz .LBB305_1651
; %bb.1650:                             ;   in Loop: Header=BB305_991 Depth=1
	v_cmp_lt_i32_e64 s0, v35, v30
	s_wait_alu 0xf1ff
	s_delay_alu instid0(VALU_DEP_1) | instskip(SKIP_2) | instid1(VALU_DEP_1)
	v_cndmask_b32_e64 v31, 0, v115, s0
	v_cmp_lt_i32_e64 s0, v70, v30
	s_wait_alu 0xf1ff
	v_cndmask_b32_e64 v23, 0, v23, s0
	v_cmp_lt_i32_e64 s0, v69, v30
	s_delay_alu instid0(VALU_DEP_2) | instskip(SKIP_1) | instid1(VALU_DEP_2)
	v_or_b32_e32 v114, v31, v23
	s_wait_alu 0xf1ff
	v_cndmask_b32_e64 v5, 0, v5, s0
	v_cmp_lt_i32_e64 s0, v68, v30
	s_wait_alu 0xf1ff
	s_delay_alu instid0(VALU_DEP_1) | instskip(SKIP_1) | instid1(VALU_DEP_2)
	v_cndmask_b32_e64 v0, 0, v0, s0
	v_cmp_lt_i32_e64 s0, v67, v30
	v_or_b32_e32 v31, v5, v0
	s_wait_alu 0xf1ff
	s_delay_alu instid0(VALU_DEP_2) | instskip(SKIP_2) | instid1(VALU_DEP_1)
	v_cndmask_b32_e64 v103, 0, v103, s0
	v_cmp_lt_i32_e64 s0, v66, v30
	s_wait_alu 0xf1ff
	v_cndmask_b32_e64 v10, 0, v10, s0
	v_cmp_lt_i32_e64 s0, v65, v30
	s_delay_alu instid0(VALU_DEP_2) | instskip(SKIP_1) | instid1(VALU_DEP_2)
	v_or_b32_e32 v113, v103, v10
	s_wait_alu 0xf1ff
	v_cndmask_b32_e64 v11, 0, v11, s0
	v_cmp_lt_i32_e64 s0, v14, v30
	s_wait_alu 0xf1ff
	s_delay_alu instid0(VALU_DEP_1) | instskip(NEXT) | instid1(VALU_DEP_1)
	v_cndmask_b32_e64 v4, 0, v4, s0
	v_or_b32_e32 v112, v11, v4
.LBB305_1651:                           ;   in Loop: Header=BB305_991 Depth=1
	s_wait_alu 0xfffe
	s_or_b32 exec_lo, exec_lo, s12
	;;#ASMSTART
	v_pk_mul_f16 v0, v55, v114;

	;;#ASMEND
	;;#ASMSTART
	v_pk_mul_f16 v4, v53, v31;

	;;#ASMEND
	;; [unrolled: 4-line block ×4, first 2 shown]
	;;#ASMSTART
	v_pk_add_f16 v0, v0, v4;

	;;#ASMEND
	;;#ASMSTART
	v_pk_add_f16 v0, v0, v5;

	;;#ASMEND
	;; [unrolled: 4-line block ×3, first 2 shown]
	v_dual_mov_b32 v5, 0 :: v_dual_and_b32 v4, 0xffff, v0
	v_lshrrev_b32_e32 v0, 16, v0
	;;#ASMSTART
	v_cvt_f32_f16 v103, v4;
	;;#ASMEND
	;;#ASMSTART
	v_cvt_f32_f16 v112, v0;
	;;#ASMEND
	flat_load_b64 v[10:11], v[8:9] offset:2560
	flat_load_b32 v4, v[26:27]
	s_mov_b32 s12, exec_lo
	s_wait_loadcnt_dscnt 0x101
	v_dual_mov_b32 v23, 0 :: v_dual_and_b32 v0, 0xff, v10
	s_delay_alu instid0(VALU_DEP_1)
	v_cmpx_ne_u16_e32 0, v0
	s_cbranch_execz .LBB305_1659
; %bb.1652:                             ;   in Loop: Header=BB305_991 Depth=1
	v_mov_b32_e32 v23, 0x8000
	s_mov_b32 s13, exec_lo
	v_cmpx_ne_u16_e32 0x80, v0
	s_cbranch_execz .LBB305_1658
; %bb.1653:                             ;   in Loop: Header=BB305_991 Depth=1
	v_and_b32_e32 v31, 0x7f, v10
	v_mov_b32_e32 v23, 0x7c01
	s_mov_b32 s14, exec_lo
	s_delay_alu instid0(VALU_DEP_2)
	v_cmpx_ne_u32_e32 0x7f, v31
	s_cbranch_execz .LBB305_1657
; %bb.1654:                             ;   in Loop: Header=BB305_991 Depth=1
	v_and_b32_e32 v0, 7, v10
	v_lshrrev_b32_e32 v23, 3, v31
	s_mov_b32 s15, exec_lo
	v_cmpx_gt_u32_e32 8, v31
; %bb.1655:                             ;   in Loop: Header=BB305_991 Depth=1
	s_delay_alu instid0(VALU_DEP_3) | instskip(NEXT) | instid1(VALU_DEP_1)
	v_clz_i32_u32_e32 v0, v0
	v_min_u32_e32 v0, 32, v0
	s_delay_alu instid0(VALU_DEP_1) | instskip(NEXT) | instid1(VALU_DEP_1)
	v_subrev_nc_u32_e32 v23, 28, v0
	v_lshlrev_b64_e32 v[113:114], v23, v[10:11]
	v_sub_nc_u32_e32 v23, 29, v0
	s_delay_alu instid0(VALU_DEP_2)
	v_and_b32_e32 v0, 7, v113
; %bb.1656:                             ;   in Loop: Header=BB305_991 Depth=1
	s_wait_alu 0xfffe
	s_or_b32 exec_lo, exec_lo, s15
	v_lshlrev_b32_e32 v31, 8, v10
	v_lshl_add_u32 v23, v23, 10, 0x2000
	v_lshlrev_b32_e32 v0, 7, v0
	s_delay_alu instid0(VALU_DEP_3) | instskip(NEXT) | instid1(VALU_DEP_3)
	v_and_b32_e32 v31, 0x8000, v31
	v_and_b32_e32 v23, 0xfc00, v23
	s_delay_alu instid0(VALU_DEP_1)
	v_or3_b32 v23, v31, v23, v0
.LBB305_1657:                           ;   in Loop: Header=BB305_991 Depth=1
	s_wait_alu 0xfffe
	s_or_b32 exec_lo, exec_lo, s14
.LBB305_1658:                           ;   in Loop: Header=BB305_991 Depth=1
	s_wait_alu 0xfffe
	s_or_b32 exec_lo, exec_lo, s13
.LBB305_1659:                           ;   in Loop: Header=BB305_991 Depth=1
	s_wait_alu 0xfffe
	s_or_b32 exec_lo, exec_lo, s12
	v_lshrrev_b16 v0, 8, v10
	s_mov_b32 s12, exec_lo
	s_delay_alu instid0(VALU_DEP_1)
	v_cmpx_ne_u16_e32 0, v0
	s_cbranch_execz .LBB305_1667
; %bb.1660:                             ;   in Loop: Header=BB305_991 Depth=1
	v_bfrev_b32_e32 v5, 1
	s_mov_b32 s13, exec_lo
	v_cmpx_ne_u16_e32 0x80, v0
	s_cbranch_execz .LBB305_1666
; %bb.1661:                             ;   in Loop: Header=BB305_991 Depth=1
	v_and_b32_e32 v31, 0xffff, v0
	v_mov_b32_e32 v5, 0x7c010000
	s_mov_b32 s14, exec_lo
	s_delay_alu instid0(VALU_DEP_2) | instskip(NEXT) | instid1(VALU_DEP_1)
	v_and_b32_e32 v114, 0x7f, v31
	v_cmpx_ne_u32_e32 0x7f, v114
	s_cbranch_execz .LBB305_1665
; %bb.1662:                             ;   in Loop: Header=BB305_991 Depth=1
	v_and_b32_e32 v5, 7, v31
	v_lshrrev_b32_e32 v113, 3, v114
	s_mov_b32 s15, exec_lo
	v_cmpx_gt_u32_e32 8, v114
; %bb.1663:                             ;   in Loop: Header=BB305_991 Depth=1
	s_delay_alu instid0(VALU_DEP_3) | instskip(NEXT) | instid1(VALU_DEP_1)
	v_clz_i32_u32_e32 v5, v5
	v_min_u32_e32 v5, 32, v5
	s_delay_alu instid0(VALU_DEP_1) | instskip(NEXT) | instid1(VALU_DEP_1)
	v_subrev_nc_u32_e32 v113, 28, v5
	v_lshlrev_b64_e32 v[114:115], v113, v[0:1]
	v_sub_nc_u32_e32 v113, 29, v5
	s_delay_alu instid0(VALU_DEP_2)
	v_and_b32_e32 v5, 7, v114
; %bb.1664:                             ;   in Loop: Header=BB305_991 Depth=1
	s_wait_alu 0xfffe
	s_or_b32 exec_lo, exec_lo, s15
	v_lshlrev_b32_e32 v0, 8, v31
	v_lshl_add_u32 v31, v113, 10, 0x2000
	v_lshlrev_b32_e32 v5, 23, v5
	s_delay_alu instid0(VALU_DEP_2) | instskip(NEXT) | instid1(VALU_DEP_1)
	v_and_or_b32 v0, 0x8000, v0, v31
	v_lshl_or_b32 v5, v0, 16, v5
.LBB305_1665:                           ;   in Loop: Header=BB305_991 Depth=1
	s_wait_alu 0xfffe
	s_or_b32 exec_lo, exec_lo, s14
.LBB305_1666:                           ;   in Loop: Header=BB305_991 Depth=1
	s_wait_alu 0xfffe
	s_or_b32 exec_lo, exec_lo, s13
.LBB305_1667:                           ;   in Loop: Header=BB305_991 Depth=1
	s_wait_alu 0xfffe
	s_or_b32 exec_lo, exec_lo, s12
	v_lshrrev_b32_e32 v0, 16, v10
	v_mov_b32_e32 v113, 0
	s_mov_b32 s12, exec_lo
	s_delay_alu instid0(VALU_DEP_2) | instskip(NEXT) | instid1(VALU_DEP_1)
	v_dual_mov_b32 v31, 0 :: v_dual_and_b32 v114, 0xff, v0
	v_cmpx_ne_u16_e32 0, v114
	s_cbranch_execz .LBB305_1675
; %bb.1668:                             ;   in Loop: Header=BB305_991 Depth=1
	v_mov_b32_e32 v113, 0x8000
	s_mov_b32 s13, exec_lo
	v_cmpx_ne_u16_e32 0x80, v114
	s_cbranch_execz .LBB305_1674
; %bb.1669:                             ;   in Loop: Header=BB305_991 Depth=1
	v_bfe_u32 v115, v10, 16, 7
	v_mov_b32_e32 v113, 0x7c01
	s_mov_b32 s14, exec_lo
	s_delay_alu instid0(VALU_DEP_2)
	v_cmpx_ne_u32_e32 0x7f, v115
	s_cbranch_execz .LBB305_1673
; %bb.1670:                             ;   in Loop: Header=BB305_991 Depth=1
	v_and_b32_e32 v113, 7, v0
	v_lshrrev_b32_e32 v114, 3, v115
	s_mov_b32 s15, exec_lo
	v_cmpx_gt_u32_e32 8, v115
; %bb.1671:                             ;   in Loop: Header=BB305_991 Depth=1
	s_delay_alu instid0(VALU_DEP_3) | instskip(NEXT) | instid1(VALU_DEP_1)
	v_clz_i32_u32_e32 v113, v113
	v_min_u32_e32 v115, 32, v113
	s_delay_alu instid0(VALU_DEP_1) | instskip(NEXT) | instid1(VALU_DEP_1)
	v_subrev_nc_u32_e32 v113, 28, v115
	v_lshlrev_b64_e32 v[113:114], v113, v[0:1]
	v_sub_nc_u32_e32 v114, 29, v115
	s_delay_alu instid0(VALU_DEP_2)
	v_and_b32_e32 v113, 7, v113
; %bb.1672:                             ;   in Loop: Header=BB305_991 Depth=1
	s_wait_alu 0xfffe
	s_or_b32 exec_lo, exec_lo, s15
	v_lshlrev_b32_e32 v0, 8, v0
	v_lshl_add_u32 v114, v114, 10, 0x2000
	v_lshlrev_b32_e32 v113, 7, v113
	s_delay_alu instid0(VALU_DEP_3) | instskip(NEXT) | instid1(VALU_DEP_3)
	v_and_b32_e32 v0, 0x8000, v0
	v_and_b32_e32 v114, 0xfc00, v114
	s_delay_alu instid0(VALU_DEP_1)
	v_or3_b32 v113, v0, v114, v113
.LBB305_1673:                           ;   in Loop: Header=BB305_991 Depth=1
	s_wait_alu 0xfffe
	s_or_b32 exec_lo, exec_lo, s14
.LBB305_1674:                           ;   in Loop: Header=BB305_991 Depth=1
	s_wait_alu 0xfffe
	s_or_b32 exec_lo, exec_lo, s13
.LBB305_1675:                           ;   in Loop: Header=BB305_991 Depth=1
	s_wait_alu 0xfffe
	s_or_b32 exec_lo, exec_lo, s12
	s_delay_alu instid0(SALU_CYCLE_1)
	s_mov_b32 s12, exec_lo
	v_cmpx_lt_u32_e32 0xffffff, v10
	s_cbranch_execz .LBB305_1683
; %bb.1676:                             ;   in Loop: Header=BB305_991 Depth=1
	v_lshrrev_b32_e32 v0, 24, v10
	v_bfrev_b32_e32 v31, 1
	s_mov_b32 s13, exec_lo
	s_delay_alu instid0(VALU_DEP_2)
	v_cmpx_ne_u32_e32 0x80, v0
	s_cbranch_execz .LBB305_1682
; %bb.1677:                             ;   in Loop: Header=BB305_991 Depth=1
	v_and_b32_e32 v115, 0x7f, v0
	v_mov_b32_e32 v31, 0x7c010000
	s_mov_b32 s14, exec_lo
	s_delay_alu instid0(VALU_DEP_2)
	v_cmpx_ne_u32_e32 0x7f, v115
	s_cbranch_execz .LBB305_1681
; %bb.1678:                             ;   in Loop: Header=BB305_991 Depth=1
	v_and_b32_e32 v31, 7, v0
	v_lshrrev_b32_e32 v114, 3, v115
	s_mov_b32 s15, exec_lo
	v_cmpx_gt_u32_e32 8, v115
; %bb.1679:                             ;   in Loop: Header=BB305_991 Depth=1
	s_delay_alu instid0(VALU_DEP_3) | instskip(NEXT) | instid1(VALU_DEP_1)
	v_clz_i32_u32_e32 v31, v31
	v_min_u32_e32 v31, 32, v31
	s_delay_alu instid0(VALU_DEP_1) | instskip(NEXT) | instid1(VALU_DEP_1)
	v_subrev_nc_u32_e32 v114, 28, v31
	v_lshlrev_b64_e32 v[115:116], v114, v[0:1]
	v_sub_nc_u32_e32 v114, 29, v31
	s_delay_alu instid0(VALU_DEP_2)
	v_and_b32_e32 v31, 7, v115
; %bb.1680:                             ;   in Loop: Header=BB305_991 Depth=1
	s_wait_alu 0xfffe
	s_or_b32 exec_lo, exec_lo, s15
	v_lshlrev_b32_e32 v0, 8, v0
	v_lshl_add_u32 v114, v114, 10, 0x2000
	v_lshlrev_b32_e32 v31, 23, v31
	s_delay_alu instid0(VALU_DEP_2) | instskip(NEXT) | instid1(VALU_DEP_1)
	v_and_or_b32 v0, 0x8000, v0, v114
	v_lshl_or_b32 v31, v0, 16, v31
.LBB305_1681:                           ;   in Loop: Header=BB305_991 Depth=1
	s_wait_alu 0xfffe
	s_or_b32 exec_lo, exec_lo, s14
.LBB305_1682:                           ;   in Loop: Header=BB305_991 Depth=1
	s_wait_alu 0xfffe
	s_or_b32 exec_lo, exec_lo, s13
.LBB305_1683:                           ;   in Loop: Header=BB305_991 Depth=1
	s_wait_alu 0xfffe
	s_or_b32 exec_lo, exec_lo, s12
	v_dual_mov_b32 v115, 0 :: v_dual_and_b32 v116, 0xff, v11
	v_mov_b32_e32 v0, v11
	v_mov_b32_e32 v114, 0
	s_mov_b32 s12, exec_lo
	s_delay_alu instid0(VALU_DEP_3)
	v_cmpx_ne_u16_e32 0, v116
	s_cbranch_execz .LBB305_1691
; %bb.1684:                             ;   in Loop: Header=BB305_991 Depth=1
	v_mov_b32_e32 v115, 0x8000
	s_mov_b32 s13, exec_lo
	v_cmpx_ne_u16_e32 0x80, v116
	s_cbranch_execz .LBB305_1690
; %bb.1685:                             ;   in Loop: Header=BB305_991 Depth=1
	v_and_b32_e32 v117, 0x7f, v11
	v_mov_b32_e32 v115, 0x7c01
	s_mov_b32 s14, exec_lo
	s_delay_alu instid0(VALU_DEP_2)
	v_cmpx_ne_u32_e32 0x7f, v117
	s_cbranch_execz .LBB305_1689
; %bb.1686:                             ;   in Loop: Header=BB305_991 Depth=1
	v_and_b32_e32 v115, 7, v11
	v_lshrrev_b32_e32 v116, 3, v117
	s_mov_b32 s15, exec_lo
	v_cmpx_gt_u32_e32 8, v117
; %bb.1687:                             ;   in Loop: Header=BB305_991 Depth=1
	s_delay_alu instid0(VALU_DEP_3) | instskip(NEXT) | instid1(VALU_DEP_1)
	v_clz_i32_u32_e32 v115, v115
	v_min_u32_e32 v117, 32, v115
	s_delay_alu instid0(VALU_DEP_1) | instskip(NEXT) | instid1(VALU_DEP_1)
	v_subrev_nc_u32_e32 v115, 28, v117
	v_lshlrev_b64_e32 v[115:116], v115, v[0:1]
	v_sub_nc_u32_e32 v116, 29, v117
	s_delay_alu instid0(VALU_DEP_2)
	v_and_b32_e32 v115, 7, v115
; %bb.1688:                             ;   in Loop: Header=BB305_991 Depth=1
	s_wait_alu 0xfffe
	s_or_b32 exec_lo, exec_lo, s15
	v_lshlrev_b32_e32 v117, 8, v11
	v_lshl_add_u32 v116, v116, 10, 0x2000
	v_lshlrev_b32_e32 v115, 7, v115
	s_delay_alu instid0(VALU_DEP_3) | instskip(NEXT) | instid1(VALU_DEP_3)
	v_and_b32_e32 v117, 0x8000, v117
	v_and_b32_e32 v116, 0xfc00, v116
	s_delay_alu instid0(VALU_DEP_1)
	v_or3_b32 v115, v117, v116, v115
.LBB305_1689:                           ;   in Loop: Header=BB305_991 Depth=1
	s_wait_alu 0xfffe
	s_or_b32 exec_lo, exec_lo, s14
.LBB305_1690:                           ;   in Loop: Header=BB305_991 Depth=1
	s_wait_alu 0xfffe
	s_or_b32 exec_lo, exec_lo, s13
.LBB305_1691:                           ;   in Loop: Header=BB305_991 Depth=1
	s_wait_alu 0xfffe
	s_or_b32 exec_lo, exec_lo, s12
	v_lshrrev_b16 v0, 8, v0
	v_mov_b32_e32 v116, 0
	s_mov_b32 s12, exec_lo
	s_delay_alu instid0(VALU_DEP_2)
	v_cmpx_ne_u16_e32 0, v0
	s_cbranch_execz .LBB305_1699
; %bb.1692:                             ;   in Loop: Header=BB305_991 Depth=1
	v_bfrev_b32_e32 v116, 1
	s_mov_b32 s13, exec_lo
	v_cmpx_ne_u16_e32 0x80, v0
	s_cbranch_execz .LBB305_1698
; %bb.1693:                             ;   in Loop: Header=BB305_991 Depth=1
	v_and_b32_e32 v117, 0xffff, v0
	v_mov_b32_e32 v116, 0x7c010000
	s_mov_b32 s14, exec_lo
	s_delay_alu instid0(VALU_DEP_2) | instskip(NEXT) | instid1(VALU_DEP_1)
	v_and_b32_e32 v119, 0x7f, v117
	v_cmpx_ne_u32_e32 0x7f, v119
	s_cbranch_execz .LBB305_1697
; %bb.1694:                             ;   in Loop: Header=BB305_991 Depth=1
	v_and_b32_e32 v116, 7, v117
	v_lshrrev_b32_e32 v118, 3, v119
	s_mov_b32 s15, exec_lo
	v_cmpx_gt_u32_e32 8, v119
; %bb.1695:                             ;   in Loop: Header=BB305_991 Depth=1
	s_delay_alu instid0(VALU_DEP_3) | instskip(NEXT) | instid1(VALU_DEP_1)
	v_clz_i32_u32_e32 v116, v116
	v_min_u32_e32 v116, 32, v116
	s_delay_alu instid0(VALU_DEP_1) | instskip(NEXT) | instid1(VALU_DEP_1)
	v_subrev_nc_u32_e32 v118, 28, v116
	v_lshlrev_b64_e32 v[128:129], v118, v[0:1]
	v_sub_nc_u32_e32 v118, 29, v116
	s_delay_alu instid0(VALU_DEP_2)
	v_and_b32_e32 v116, 7, v128
; %bb.1696:                             ;   in Loop: Header=BB305_991 Depth=1
	s_wait_alu 0xfffe
	s_or_b32 exec_lo, exec_lo, s15
	v_lshlrev_b32_e32 v0, 8, v117
	v_lshl_add_u32 v117, v118, 10, 0x2000
	v_lshlrev_b32_e32 v116, 23, v116
	s_delay_alu instid0(VALU_DEP_2) | instskip(NEXT) | instid1(VALU_DEP_1)
	v_and_or_b32 v0, 0x8000, v0, v117
	v_lshl_or_b32 v116, v0, 16, v116
.LBB305_1697:                           ;   in Loop: Header=BB305_991 Depth=1
	s_wait_alu 0xfffe
	s_or_b32 exec_lo, exec_lo, s14
.LBB305_1698:                           ;   in Loop: Header=BB305_991 Depth=1
	s_wait_alu 0xfffe
	s_or_b32 exec_lo, exec_lo, s13
.LBB305_1699:                           ;   in Loop: Header=BB305_991 Depth=1
	s_wait_alu 0xfffe
	s_or_b32 exec_lo, exec_lo, s12
	v_lshrrev_b32_e32 v0, 16, v11
	s_mov_b32 s12, exec_lo
	s_delay_alu instid0(VALU_DEP_1) | instskip(NEXT) | instid1(VALU_DEP_1)
	v_and_b32_e32 v117, 0xff, v0
	v_cmpx_ne_u16_e32 0, v117
	s_cbranch_execz .LBB305_1707
; %bb.1700:                             ;   in Loop: Header=BB305_991 Depth=1
	v_mov_b32_e32 v114, 0x8000
	s_mov_b32 s13, exec_lo
	v_cmpx_ne_u16_e32 0x80, v117
	s_cbranch_execz .LBB305_1706
; %bb.1701:                             ;   in Loop: Header=BB305_991 Depth=1
	v_bfe_u32 v118, v11, 16, 7
	v_mov_b32_e32 v114, 0x7c01
	s_mov_b32 s14, exec_lo
	s_delay_alu instid0(VALU_DEP_2)
	v_cmpx_ne_u32_e32 0x7f, v118
	s_cbranch_execz .LBB305_1705
; %bb.1702:                             ;   in Loop: Header=BB305_991 Depth=1
	v_and_b32_e32 v114, 7, v0
	v_lshrrev_b32_e32 v117, 3, v118
	s_mov_b32 s15, exec_lo
	v_cmpx_gt_u32_e32 8, v118
; %bb.1703:                             ;   in Loop: Header=BB305_991 Depth=1
	s_delay_alu instid0(VALU_DEP_3) | instskip(NEXT) | instid1(VALU_DEP_1)
	v_clz_i32_u32_e32 v114, v114
	v_min_u32_e32 v114, 32, v114
	s_delay_alu instid0(VALU_DEP_1) | instskip(NEXT) | instid1(VALU_DEP_1)
	v_subrev_nc_u32_e32 v117, 28, v114
	v_lshlrev_b64_e32 v[118:119], v117, v[0:1]
	v_sub_nc_u32_e32 v117, 29, v114
	s_delay_alu instid0(VALU_DEP_2)
	v_and_b32_e32 v114, 7, v118
; %bb.1704:                             ;   in Loop: Header=BB305_991 Depth=1
	s_wait_alu 0xfffe
	s_or_b32 exec_lo, exec_lo, s15
	v_lshlrev_b32_e32 v0, 8, v0
	v_lshl_add_u32 v117, v117, 10, 0x2000
	v_lshlrev_b32_e32 v114, 7, v114
	s_delay_alu instid0(VALU_DEP_3) | instskip(NEXT) | instid1(VALU_DEP_3)
	v_and_b32_e32 v0, 0x8000, v0
	v_and_b32_e32 v117, 0xfc00, v117
	s_delay_alu instid0(VALU_DEP_1)
	v_or3_b32 v114, v0, v117, v114
.LBB305_1705:                           ;   in Loop: Header=BB305_991 Depth=1
	s_wait_alu 0xfffe
	s_or_b32 exec_lo, exec_lo, s14
.LBB305_1706:                           ;   in Loop: Header=BB305_991 Depth=1
	s_wait_alu 0xfffe
	s_or_b32 exec_lo, exec_lo, s13
.LBB305_1707:                           ;   in Loop: Header=BB305_991 Depth=1
	s_wait_alu 0xfffe
	s_or_b32 exec_lo, exec_lo, s12
	v_cmp_lt_u64_e64 s0, s[8:9], v[10:11]
	v_mov_b32_e32 v10, 0
	s_and_saveexec_b32 s12, s0
	s_cbranch_execz .LBB305_1715
; %bb.1708:                             ;   in Loop: Header=BB305_991 Depth=1
	v_lshrrev_b32_e32 v0, 24, v11
	v_bfrev_b32_e32 v10, 1
	s_mov_b32 s13, exec_lo
	s_delay_alu instid0(VALU_DEP_2)
	v_cmpx_ne_u32_e32 0x80, v0
	s_cbranch_execz .LBB305_1714
; %bb.1709:                             ;   in Loop: Header=BB305_991 Depth=1
	v_and_b32_e32 v117, 0x7f, v0
	v_mov_b32_e32 v10, 0x7c010000
	s_mov_b32 s14, exec_lo
	s_delay_alu instid0(VALU_DEP_2)
	v_cmpx_ne_u32_e32 0x7f, v117
	s_cbranch_execz .LBB305_1713
; %bb.1710:                             ;   in Loop: Header=BB305_991 Depth=1
	v_and_b32_e32 v10, 7, v0
	v_lshrrev_b32_e32 v11, 3, v117
	s_mov_b32 s15, exec_lo
	v_cmpx_gt_u32_e32 8, v117
; %bb.1711:                             ;   in Loop: Header=BB305_991 Depth=1
	s_delay_alu instid0(VALU_DEP_3) | instskip(NEXT) | instid1(VALU_DEP_1)
	v_clz_i32_u32_e32 v10, v10
	v_min_u32_e32 v117, 32, v10
	s_delay_alu instid0(VALU_DEP_1) | instskip(NEXT) | instid1(VALU_DEP_1)
	v_subrev_nc_u32_e32 v10, 28, v117
	v_lshlrev_b64_e32 v[10:11], v10, v[0:1]
	v_sub_nc_u32_e32 v11, 29, v117
	s_delay_alu instid0(VALU_DEP_2)
	v_and_b32_e32 v10, 7, v10
; %bb.1712:                             ;   in Loop: Header=BB305_991 Depth=1
	s_wait_alu 0xfffe
	s_or_b32 exec_lo, exec_lo, s15
	v_lshlrev_b32_e32 v0, 8, v0
	v_lshl_add_u32 v11, v11, 10, 0x2000
	v_lshlrev_b32_e32 v10, 23, v10
	s_delay_alu instid0(VALU_DEP_2) | instskip(NEXT) | instid1(VALU_DEP_1)
	v_and_or_b32 v0, 0x8000, v0, v11
	v_lshl_or_b32 v10, v0, 16, v10
.LBB305_1713:                           ;   in Loop: Header=BB305_991 Depth=1
	s_wait_alu 0xfffe
	s_or_b32 exec_lo, exec_lo, s14
.LBB305_1714:                           ;   in Loop: Header=BB305_991 Depth=1
	s_wait_alu 0xfffe
	s_or_b32 exec_lo, exec_lo, s13
.LBB305_1715:                           ;   in Loop: Header=BB305_991 Depth=1
	s_wait_alu 0xfffe
	s_or_b32 exec_lo, exec_lo, s12
	v_or_b32_e32 v0, v31, v113
	s_wait_loadcnt_dscnt 0x0
	v_fma_mixlo_f16 v11, v4, v31, 0 op_sel:[0,1,0] op_sel_hi:[0,1,0]
	v_or_b32_e32 v31, v5, v23
	v_fma_mixlo_f16 v5, v4, v5, 0 op_sel:[0,1,0] op_sel_hi:[0,1,0]
	v_or_b32_e32 v113, v116, v115
	v_fma_mixlo_f16 v115, v4, v0, 0 op_sel_hi:[0,1,0]
	v_or_b32_e32 v114, v10, v114
	v_lshlrev_b32_e32 v0, 16, v11
	v_lshlrev_b32_e32 v23, 16, v5
	v_fma_mixlo_f16 v11, v4, v31, 0 op_sel_hi:[0,1,0]
	v_and_b32_e32 v5, 0xffff, v115
	v_fma_mixlo_f16 v31, v4, v116, 0 op_sel:[0,1,0] op_sel_hi:[0,1,0]
	v_fma_mixlo_f16 v113, v4, v113, 0 op_sel_hi:[0,1,0]
	v_fma_mixlo_f16 v115, v4, v10, 0 op_sel:[0,1,0] op_sel_hi:[0,1,0]
	v_fma_mixlo_f16 v114, v4, v114, 0 op_sel_hi:[0,1,0]
	v_and_b32_e32 v117, 0xffff, v11
	v_lshlrev_b32_e32 v10, 16, v31
	v_and_b32_e32 v113, 0xffff, v113
	v_lshlrev_b32_e32 v4, 16, v115
	v_and_b32_e32 v11, 0xffff, v114
	v_or_b32_e32 v31, v0, v5
	v_or_b32_e32 v116, v23, v117
	;; [unrolled: 1-line block ×3, first 2 shown]
	s_delay_alu instid0(VALU_DEP_4)
	v_or_b32_e32 v114, v4, v11
	s_and_saveexec_b32 s12, vcc_lo
	s_cbranch_execz .LBB305_1717
; %bb.1716:                             ;   in Loop: Header=BB305_991 Depth=1
	v_cmp_lt_i32_e64 s0, v35, v30
	s_wait_alu 0xf1ff
	s_delay_alu instid0(VALU_DEP_1) | instskip(SKIP_2) | instid1(VALU_DEP_1)
	v_cndmask_b32_e64 v31, 0, v117, s0
	v_cmp_lt_i32_e64 s0, v70, v30
	s_wait_alu 0xf1ff
	v_cndmask_b32_e64 v23, 0, v23, s0
	v_cmp_lt_i32_e64 s0, v69, v30
	s_delay_alu instid0(VALU_DEP_2) | instskip(SKIP_1) | instid1(VALU_DEP_2)
	v_or_b32_e32 v116, v31, v23
	s_wait_alu 0xf1ff
	v_cndmask_b32_e64 v5, 0, v5, s0
	v_cmp_lt_i32_e64 s0, v68, v30
	s_wait_alu 0xf1ff
	s_delay_alu instid0(VALU_DEP_1) | instskip(SKIP_1) | instid1(VALU_DEP_2)
	v_cndmask_b32_e64 v0, 0, v0, s0
	v_cmp_lt_i32_e64 s0, v67, v30
	v_or_b32_e32 v31, v5, v0
	s_wait_alu 0xf1ff
	s_delay_alu instid0(VALU_DEP_2) | instskip(SKIP_2) | instid1(VALU_DEP_1)
	v_cndmask_b32_e64 v113, 0, v113, s0
	v_cmp_lt_i32_e64 s0, v66, v30
	s_wait_alu 0xf1ff
	v_cndmask_b32_e64 v10, 0, v10, s0
	v_cmp_lt_i32_e64 s0, v65, v30
	s_delay_alu instid0(VALU_DEP_2) | instskip(SKIP_1) | instid1(VALU_DEP_2)
	v_or_b32_e32 v115, v113, v10
	s_wait_alu 0xf1ff
	v_cndmask_b32_e64 v11, 0, v11, s0
	v_cmp_lt_i32_e64 s0, v14, v30
	s_wait_alu 0xf1ff
	s_delay_alu instid0(VALU_DEP_1) | instskip(NEXT) | instid1(VALU_DEP_1)
	v_cndmask_b32_e64 v4, 0, v4, s0
	v_or_b32_e32 v114, v11, v4
.LBB305_1717:                           ;   in Loop: Header=BB305_991 Depth=1
	s_wait_alu 0xfffe
	s_or_b32 exec_lo, exec_lo, s12
	;;#ASMSTART
	v_pk_mul_f16 v0, v55, v116;

	;;#ASMEND
	;;#ASMSTART
	v_pk_mul_f16 v4, v53, v31;

	;;#ASMEND
	;; [unrolled: 4-line block ×4, first 2 shown]
	;;#ASMSTART
	v_pk_add_f16 v0, v0, v4;

	;;#ASMEND
	;;#ASMSTART
	v_pk_add_f16 v0, v0, v5;

	;;#ASMEND
	;; [unrolled: 4-line block ×3, first 2 shown]
	v_dual_mov_b32 v5, 0 :: v_dual_and_b32 v4, 0xffff, v0
	v_lshrrev_b32_e32 v0, 16, v0
	;;#ASMSTART
	v_cvt_f32_f16 v113, v4;
	;;#ASMEND
	;;#ASMSTART
	v_cvt_f32_f16 v114, v0;
	;;#ASMEND
	flat_load_b64 v[10:11], v[8:9] offset:2816
	flat_load_b32 v4, v[26:27]
	s_mov_b32 s12, exec_lo
	s_wait_loadcnt_dscnt 0x101
	v_dual_mov_b32 v23, 0 :: v_dual_and_b32 v0, 0xff, v10
	s_delay_alu instid0(VALU_DEP_1)
	v_cmpx_ne_u16_e32 0, v0
	s_cbranch_execz .LBB305_1725
; %bb.1718:                             ;   in Loop: Header=BB305_991 Depth=1
	v_mov_b32_e32 v23, 0x8000
	s_mov_b32 s13, exec_lo
	v_cmpx_ne_u16_e32 0x80, v0
	s_cbranch_execz .LBB305_1724
; %bb.1719:                             ;   in Loop: Header=BB305_991 Depth=1
	v_and_b32_e32 v31, 0x7f, v10
	v_mov_b32_e32 v23, 0x7c01
	s_mov_b32 s14, exec_lo
	s_delay_alu instid0(VALU_DEP_2)
	v_cmpx_ne_u32_e32 0x7f, v31
	s_cbranch_execz .LBB305_1723
; %bb.1720:                             ;   in Loop: Header=BB305_991 Depth=1
	v_and_b32_e32 v0, 7, v10
	v_lshrrev_b32_e32 v23, 3, v31
	s_mov_b32 s15, exec_lo
	v_cmpx_gt_u32_e32 8, v31
; %bb.1721:                             ;   in Loop: Header=BB305_991 Depth=1
	s_delay_alu instid0(VALU_DEP_3) | instskip(NEXT) | instid1(VALU_DEP_1)
	v_clz_i32_u32_e32 v0, v0
	v_min_u32_e32 v0, 32, v0
	s_delay_alu instid0(VALU_DEP_1) | instskip(NEXT) | instid1(VALU_DEP_1)
	v_subrev_nc_u32_e32 v23, 28, v0
	v_lshlrev_b64_e32 v[115:116], v23, v[10:11]
	v_sub_nc_u32_e32 v23, 29, v0
	s_delay_alu instid0(VALU_DEP_2)
	v_and_b32_e32 v0, 7, v115
; %bb.1722:                             ;   in Loop: Header=BB305_991 Depth=1
	s_wait_alu 0xfffe
	s_or_b32 exec_lo, exec_lo, s15
	v_lshlrev_b32_e32 v31, 8, v10
	v_lshl_add_u32 v23, v23, 10, 0x2000
	v_lshlrev_b32_e32 v0, 7, v0
	s_delay_alu instid0(VALU_DEP_3) | instskip(NEXT) | instid1(VALU_DEP_3)
	v_and_b32_e32 v31, 0x8000, v31
	v_and_b32_e32 v23, 0xfc00, v23
	s_delay_alu instid0(VALU_DEP_1)
	v_or3_b32 v23, v31, v23, v0
.LBB305_1723:                           ;   in Loop: Header=BB305_991 Depth=1
	s_wait_alu 0xfffe
	s_or_b32 exec_lo, exec_lo, s14
.LBB305_1724:                           ;   in Loop: Header=BB305_991 Depth=1
	s_wait_alu 0xfffe
	s_or_b32 exec_lo, exec_lo, s13
.LBB305_1725:                           ;   in Loop: Header=BB305_991 Depth=1
	s_wait_alu 0xfffe
	s_or_b32 exec_lo, exec_lo, s12
	v_lshrrev_b16 v0, 8, v10
	s_mov_b32 s12, exec_lo
	s_delay_alu instid0(VALU_DEP_1)
	v_cmpx_ne_u16_e32 0, v0
	s_cbranch_execz .LBB305_1733
; %bb.1726:                             ;   in Loop: Header=BB305_991 Depth=1
	v_bfrev_b32_e32 v5, 1
	s_mov_b32 s13, exec_lo
	v_cmpx_ne_u16_e32 0x80, v0
	s_cbranch_execz .LBB305_1732
; %bb.1727:                             ;   in Loop: Header=BB305_991 Depth=1
	v_and_b32_e32 v31, 0xffff, v0
	v_mov_b32_e32 v5, 0x7c010000
	s_mov_b32 s14, exec_lo
	s_delay_alu instid0(VALU_DEP_2) | instskip(NEXT) | instid1(VALU_DEP_1)
	v_and_b32_e32 v116, 0x7f, v31
	v_cmpx_ne_u32_e32 0x7f, v116
	s_cbranch_execz .LBB305_1731
; %bb.1728:                             ;   in Loop: Header=BB305_991 Depth=1
	v_and_b32_e32 v5, 7, v31
	v_lshrrev_b32_e32 v115, 3, v116
	s_mov_b32 s15, exec_lo
	v_cmpx_gt_u32_e32 8, v116
; %bb.1729:                             ;   in Loop: Header=BB305_991 Depth=1
	s_delay_alu instid0(VALU_DEP_3) | instskip(NEXT) | instid1(VALU_DEP_1)
	v_clz_i32_u32_e32 v5, v5
	v_min_u32_e32 v5, 32, v5
	s_delay_alu instid0(VALU_DEP_1) | instskip(NEXT) | instid1(VALU_DEP_1)
	v_subrev_nc_u32_e32 v115, 28, v5
	v_lshlrev_b64_e32 v[116:117], v115, v[0:1]
	v_sub_nc_u32_e32 v115, 29, v5
	s_delay_alu instid0(VALU_DEP_2)
	v_and_b32_e32 v5, 7, v116
; %bb.1730:                             ;   in Loop: Header=BB305_991 Depth=1
	s_wait_alu 0xfffe
	s_or_b32 exec_lo, exec_lo, s15
	v_lshlrev_b32_e32 v0, 8, v31
	v_lshl_add_u32 v31, v115, 10, 0x2000
	v_lshlrev_b32_e32 v5, 23, v5
	s_delay_alu instid0(VALU_DEP_2) | instskip(NEXT) | instid1(VALU_DEP_1)
	v_and_or_b32 v0, 0x8000, v0, v31
	v_lshl_or_b32 v5, v0, 16, v5
.LBB305_1731:                           ;   in Loop: Header=BB305_991 Depth=1
	s_wait_alu 0xfffe
	s_or_b32 exec_lo, exec_lo, s14
.LBB305_1732:                           ;   in Loop: Header=BB305_991 Depth=1
	s_wait_alu 0xfffe
	s_or_b32 exec_lo, exec_lo, s13
.LBB305_1733:                           ;   in Loop: Header=BB305_991 Depth=1
	s_wait_alu 0xfffe
	s_or_b32 exec_lo, exec_lo, s12
	v_lshrrev_b32_e32 v0, 16, v10
	v_mov_b32_e32 v115, 0
	s_mov_b32 s12, exec_lo
	s_delay_alu instid0(VALU_DEP_2) | instskip(NEXT) | instid1(VALU_DEP_1)
	v_dual_mov_b32 v31, 0 :: v_dual_and_b32 v116, 0xff, v0
	v_cmpx_ne_u16_e32 0, v116
	s_cbranch_execz .LBB305_1741
; %bb.1734:                             ;   in Loop: Header=BB305_991 Depth=1
	v_mov_b32_e32 v115, 0x8000
	s_mov_b32 s13, exec_lo
	v_cmpx_ne_u16_e32 0x80, v116
	s_cbranch_execz .LBB305_1740
; %bb.1735:                             ;   in Loop: Header=BB305_991 Depth=1
	v_bfe_u32 v117, v10, 16, 7
	v_mov_b32_e32 v115, 0x7c01
	s_mov_b32 s14, exec_lo
	s_delay_alu instid0(VALU_DEP_2)
	v_cmpx_ne_u32_e32 0x7f, v117
	s_cbranch_execz .LBB305_1739
; %bb.1736:                             ;   in Loop: Header=BB305_991 Depth=1
	v_and_b32_e32 v115, 7, v0
	v_lshrrev_b32_e32 v116, 3, v117
	s_mov_b32 s15, exec_lo
	v_cmpx_gt_u32_e32 8, v117
; %bb.1737:                             ;   in Loop: Header=BB305_991 Depth=1
	s_delay_alu instid0(VALU_DEP_3) | instskip(NEXT) | instid1(VALU_DEP_1)
	v_clz_i32_u32_e32 v115, v115
	v_min_u32_e32 v117, 32, v115
	s_delay_alu instid0(VALU_DEP_1) | instskip(NEXT) | instid1(VALU_DEP_1)
	v_subrev_nc_u32_e32 v115, 28, v117
	v_lshlrev_b64_e32 v[115:116], v115, v[0:1]
	v_sub_nc_u32_e32 v116, 29, v117
	s_delay_alu instid0(VALU_DEP_2)
	v_and_b32_e32 v115, 7, v115
; %bb.1738:                             ;   in Loop: Header=BB305_991 Depth=1
	s_wait_alu 0xfffe
	s_or_b32 exec_lo, exec_lo, s15
	v_lshlrev_b32_e32 v0, 8, v0
	v_lshl_add_u32 v116, v116, 10, 0x2000
	v_lshlrev_b32_e32 v115, 7, v115
	s_delay_alu instid0(VALU_DEP_3) | instskip(NEXT) | instid1(VALU_DEP_3)
	v_and_b32_e32 v0, 0x8000, v0
	v_and_b32_e32 v116, 0xfc00, v116
	s_delay_alu instid0(VALU_DEP_1)
	v_or3_b32 v115, v0, v116, v115
.LBB305_1739:                           ;   in Loop: Header=BB305_991 Depth=1
	s_wait_alu 0xfffe
	s_or_b32 exec_lo, exec_lo, s14
.LBB305_1740:                           ;   in Loop: Header=BB305_991 Depth=1
	s_wait_alu 0xfffe
	s_or_b32 exec_lo, exec_lo, s13
.LBB305_1741:                           ;   in Loop: Header=BB305_991 Depth=1
	s_wait_alu 0xfffe
	s_or_b32 exec_lo, exec_lo, s12
	s_delay_alu instid0(SALU_CYCLE_1)
	s_mov_b32 s12, exec_lo
	v_cmpx_lt_u32_e32 0xffffff, v10
	s_cbranch_execz .LBB305_1749
; %bb.1742:                             ;   in Loop: Header=BB305_991 Depth=1
	v_lshrrev_b32_e32 v0, 24, v10
	v_bfrev_b32_e32 v31, 1
	s_mov_b32 s13, exec_lo
	s_delay_alu instid0(VALU_DEP_2)
	v_cmpx_ne_u32_e32 0x80, v0
	s_cbranch_execz .LBB305_1748
; %bb.1743:                             ;   in Loop: Header=BB305_991 Depth=1
	v_and_b32_e32 v117, 0x7f, v0
	v_mov_b32_e32 v31, 0x7c010000
	s_mov_b32 s14, exec_lo
	s_delay_alu instid0(VALU_DEP_2)
	v_cmpx_ne_u32_e32 0x7f, v117
	s_cbranch_execz .LBB305_1747
; %bb.1744:                             ;   in Loop: Header=BB305_991 Depth=1
	v_and_b32_e32 v31, 7, v0
	v_lshrrev_b32_e32 v116, 3, v117
	s_mov_b32 s15, exec_lo
	v_cmpx_gt_u32_e32 8, v117
; %bb.1745:                             ;   in Loop: Header=BB305_991 Depth=1
	s_delay_alu instid0(VALU_DEP_3) | instskip(NEXT) | instid1(VALU_DEP_1)
	v_clz_i32_u32_e32 v31, v31
	v_min_u32_e32 v31, 32, v31
	s_delay_alu instid0(VALU_DEP_1) | instskip(NEXT) | instid1(VALU_DEP_1)
	v_subrev_nc_u32_e32 v116, 28, v31
	v_lshlrev_b64_e32 v[117:118], v116, v[0:1]
	v_sub_nc_u32_e32 v116, 29, v31
	s_delay_alu instid0(VALU_DEP_2)
	v_and_b32_e32 v31, 7, v117
; %bb.1746:                             ;   in Loop: Header=BB305_991 Depth=1
	s_wait_alu 0xfffe
	s_or_b32 exec_lo, exec_lo, s15
	v_lshlrev_b32_e32 v0, 8, v0
	v_lshl_add_u32 v116, v116, 10, 0x2000
	v_lshlrev_b32_e32 v31, 23, v31
	s_delay_alu instid0(VALU_DEP_2) | instskip(NEXT) | instid1(VALU_DEP_1)
	v_and_or_b32 v0, 0x8000, v0, v116
	v_lshl_or_b32 v31, v0, 16, v31
.LBB305_1747:                           ;   in Loop: Header=BB305_991 Depth=1
	s_wait_alu 0xfffe
	s_or_b32 exec_lo, exec_lo, s14
.LBB305_1748:                           ;   in Loop: Header=BB305_991 Depth=1
	s_wait_alu 0xfffe
	s_or_b32 exec_lo, exec_lo, s13
.LBB305_1749:                           ;   in Loop: Header=BB305_991 Depth=1
	s_wait_alu 0xfffe
	s_or_b32 exec_lo, exec_lo, s12
	v_dual_mov_b32 v117, 0 :: v_dual_and_b32 v118, 0xff, v11
	v_mov_b32_e32 v0, v11
	v_mov_b32_e32 v116, 0
	s_mov_b32 s12, exec_lo
	s_delay_alu instid0(VALU_DEP_3)
	v_cmpx_ne_u16_e32 0, v118
	s_cbranch_execz .LBB305_1757
; %bb.1750:                             ;   in Loop: Header=BB305_991 Depth=1
	v_mov_b32_e32 v117, 0x8000
	s_mov_b32 s13, exec_lo
	v_cmpx_ne_u16_e32 0x80, v118
	s_cbranch_execz .LBB305_1756
; %bb.1751:                             ;   in Loop: Header=BB305_991 Depth=1
	v_and_b32_e32 v119, 0x7f, v11
	v_mov_b32_e32 v117, 0x7c01
	s_mov_b32 s14, exec_lo
	s_delay_alu instid0(VALU_DEP_2)
	v_cmpx_ne_u32_e32 0x7f, v119
	s_cbranch_execz .LBB305_1755
; %bb.1752:                             ;   in Loop: Header=BB305_991 Depth=1
	v_and_b32_e32 v117, 7, v11
	v_lshrrev_b32_e32 v118, 3, v119
	s_mov_b32 s15, exec_lo
	v_cmpx_gt_u32_e32 8, v119
; %bb.1753:                             ;   in Loop: Header=BB305_991 Depth=1
	s_delay_alu instid0(VALU_DEP_3) | instskip(NEXT) | instid1(VALU_DEP_1)
	v_clz_i32_u32_e32 v117, v117
	v_min_u32_e32 v119, 32, v117
	s_delay_alu instid0(VALU_DEP_1) | instskip(NEXT) | instid1(VALU_DEP_1)
	v_subrev_nc_u32_e32 v117, 28, v119
	v_lshlrev_b64_e32 v[117:118], v117, v[0:1]
	v_sub_nc_u32_e32 v118, 29, v119
	s_delay_alu instid0(VALU_DEP_2)
	v_and_b32_e32 v117, 7, v117
; %bb.1754:                             ;   in Loop: Header=BB305_991 Depth=1
	s_wait_alu 0xfffe
	s_or_b32 exec_lo, exec_lo, s15
	v_lshlrev_b32_e32 v119, 8, v11
	v_lshl_add_u32 v118, v118, 10, 0x2000
	v_lshlrev_b32_e32 v117, 7, v117
	s_delay_alu instid0(VALU_DEP_3) | instskip(NEXT) | instid1(VALU_DEP_3)
	v_and_b32_e32 v119, 0x8000, v119
	v_and_b32_e32 v118, 0xfc00, v118
	s_delay_alu instid0(VALU_DEP_1)
	v_or3_b32 v117, v119, v118, v117
.LBB305_1755:                           ;   in Loop: Header=BB305_991 Depth=1
	s_wait_alu 0xfffe
	s_or_b32 exec_lo, exec_lo, s14
.LBB305_1756:                           ;   in Loop: Header=BB305_991 Depth=1
	s_wait_alu 0xfffe
	s_or_b32 exec_lo, exec_lo, s13
.LBB305_1757:                           ;   in Loop: Header=BB305_991 Depth=1
	s_wait_alu 0xfffe
	s_or_b32 exec_lo, exec_lo, s12
	v_lshrrev_b16 v0, 8, v0
	v_mov_b32_e32 v118, 0
	s_mov_b32 s12, exec_lo
	s_delay_alu instid0(VALU_DEP_2)
	v_cmpx_ne_u16_e32 0, v0
	s_cbranch_execz .LBB305_1765
; %bb.1758:                             ;   in Loop: Header=BB305_991 Depth=1
	v_bfrev_b32_e32 v118, 1
	s_mov_b32 s13, exec_lo
	v_cmpx_ne_u16_e32 0x80, v0
	s_cbranch_execz .LBB305_1764
; %bb.1759:                             ;   in Loop: Header=BB305_991 Depth=1
	v_and_b32_e32 v119, 0xffff, v0
	v_mov_b32_e32 v118, 0x7c010000
	s_mov_b32 s14, exec_lo
	s_delay_alu instid0(VALU_DEP_2) | instskip(NEXT) | instid1(VALU_DEP_1)
	v_and_b32_e32 v129, 0x7f, v119
	v_cmpx_ne_u32_e32 0x7f, v129
	s_cbranch_execz .LBB305_1763
; %bb.1760:                             ;   in Loop: Header=BB305_991 Depth=1
	v_and_b32_e32 v118, 7, v119
	v_lshrrev_b32_e32 v128, 3, v129
	s_mov_b32 s15, exec_lo
	v_cmpx_gt_u32_e32 8, v129
; %bb.1761:                             ;   in Loop: Header=BB305_991 Depth=1
	s_delay_alu instid0(VALU_DEP_3) | instskip(NEXT) | instid1(VALU_DEP_1)
	v_clz_i32_u32_e32 v118, v118
	v_min_u32_e32 v118, 32, v118
	s_delay_alu instid0(VALU_DEP_1) | instskip(NEXT) | instid1(VALU_DEP_1)
	v_subrev_nc_u32_e32 v128, 28, v118
	v_lshlrev_b64_e32 v[129:130], v128, v[0:1]
	v_sub_nc_u32_e32 v128, 29, v118
	s_delay_alu instid0(VALU_DEP_2)
	v_and_b32_e32 v118, 7, v129
; %bb.1762:                             ;   in Loop: Header=BB305_991 Depth=1
	s_wait_alu 0xfffe
	s_or_b32 exec_lo, exec_lo, s15
	v_lshlrev_b32_e32 v0, 8, v119
	v_lshl_add_u32 v119, v128, 10, 0x2000
	v_lshlrev_b32_e32 v118, 23, v118
	s_delay_alu instid0(VALU_DEP_2) | instskip(NEXT) | instid1(VALU_DEP_1)
	v_and_or_b32 v0, 0x8000, v0, v119
	v_lshl_or_b32 v118, v0, 16, v118
.LBB305_1763:                           ;   in Loop: Header=BB305_991 Depth=1
	s_wait_alu 0xfffe
	s_or_b32 exec_lo, exec_lo, s14
.LBB305_1764:                           ;   in Loop: Header=BB305_991 Depth=1
	s_wait_alu 0xfffe
	s_or_b32 exec_lo, exec_lo, s13
.LBB305_1765:                           ;   in Loop: Header=BB305_991 Depth=1
	s_wait_alu 0xfffe
	s_or_b32 exec_lo, exec_lo, s12
	v_lshrrev_b32_e32 v0, 16, v11
	s_mov_b32 s12, exec_lo
	s_delay_alu instid0(VALU_DEP_1) | instskip(NEXT) | instid1(VALU_DEP_1)
	v_and_b32_e32 v119, 0xff, v0
	v_cmpx_ne_u16_e32 0, v119
	s_cbranch_execz .LBB305_1773
; %bb.1766:                             ;   in Loop: Header=BB305_991 Depth=1
	v_mov_b32_e32 v116, 0x8000
	s_mov_b32 s13, exec_lo
	v_cmpx_ne_u16_e32 0x80, v119
	s_cbranch_execz .LBB305_1772
; %bb.1767:                             ;   in Loop: Header=BB305_991 Depth=1
	v_bfe_u32 v128, v11, 16, 7
	v_mov_b32_e32 v116, 0x7c01
	s_mov_b32 s14, exec_lo
	s_delay_alu instid0(VALU_DEP_2)
	v_cmpx_ne_u32_e32 0x7f, v128
	s_cbranch_execz .LBB305_1771
; %bb.1768:                             ;   in Loop: Header=BB305_991 Depth=1
	v_and_b32_e32 v116, 7, v0
	v_lshrrev_b32_e32 v119, 3, v128
	s_mov_b32 s15, exec_lo
	v_cmpx_gt_u32_e32 8, v128
; %bb.1769:                             ;   in Loop: Header=BB305_991 Depth=1
	s_delay_alu instid0(VALU_DEP_3) | instskip(NEXT) | instid1(VALU_DEP_1)
	v_clz_i32_u32_e32 v116, v116
	v_min_u32_e32 v116, 32, v116
	s_delay_alu instid0(VALU_DEP_1) | instskip(NEXT) | instid1(VALU_DEP_1)
	v_subrev_nc_u32_e32 v119, 28, v116
	v_lshlrev_b64_e32 v[128:129], v119, v[0:1]
	v_sub_nc_u32_e32 v119, 29, v116
	s_delay_alu instid0(VALU_DEP_2)
	v_and_b32_e32 v116, 7, v128
; %bb.1770:                             ;   in Loop: Header=BB305_991 Depth=1
	s_wait_alu 0xfffe
	s_or_b32 exec_lo, exec_lo, s15
	v_lshlrev_b32_e32 v0, 8, v0
	v_lshl_add_u32 v119, v119, 10, 0x2000
	v_lshlrev_b32_e32 v116, 7, v116
	s_delay_alu instid0(VALU_DEP_3) | instskip(NEXT) | instid1(VALU_DEP_3)
	v_and_b32_e32 v0, 0x8000, v0
	v_and_b32_e32 v119, 0xfc00, v119
	s_delay_alu instid0(VALU_DEP_1)
	v_or3_b32 v116, v0, v119, v116
.LBB305_1771:                           ;   in Loop: Header=BB305_991 Depth=1
	s_wait_alu 0xfffe
	s_or_b32 exec_lo, exec_lo, s14
.LBB305_1772:                           ;   in Loop: Header=BB305_991 Depth=1
	s_wait_alu 0xfffe
	s_or_b32 exec_lo, exec_lo, s13
.LBB305_1773:                           ;   in Loop: Header=BB305_991 Depth=1
	s_wait_alu 0xfffe
	s_or_b32 exec_lo, exec_lo, s12
	v_cmp_lt_u64_e64 s0, s[8:9], v[10:11]
	v_mov_b32_e32 v10, 0
	s_and_saveexec_b32 s12, s0
	s_cbranch_execz .LBB305_1781
; %bb.1774:                             ;   in Loop: Header=BB305_991 Depth=1
	v_lshrrev_b32_e32 v0, 24, v11
	v_bfrev_b32_e32 v10, 1
	s_mov_b32 s13, exec_lo
	s_delay_alu instid0(VALU_DEP_2)
	v_cmpx_ne_u32_e32 0x80, v0
	s_cbranch_execz .LBB305_1780
; %bb.1775:                             ;   in Loop: Header=BB305_991 Depth=1
	v_and_b32_e32 v119, 0x7f, v0
	v_mov_b32_e32 v10, 0x7c010000
	s_mov_b32 s14, exec_lo
	s_delay_alu instid0(VALU_DEP_2)
	v_cmpx_ne_u32_e32 0x7f, v119
	s_cbranch_execz .LBB305_1779
; %bb.1776:                             ;   in Loop: Header=BB305_991 Depth=1
	v_and_b32_e32 v10, 7, v0
	v_lshrrev_b32_e32 v11, 3, v119
	s_mov_b32 s15, exec_lo
	v_cmpx_gt_u32_e32 8, v119
; %bb.1777:                             ;   in Loop: Header=BB305_991 Depth=1
	s_delay_alu instid0(VALU_DEP_3) | instskip(NEXT) | instid1(VALU_DEP_1)
	v_clz_i32_u32_e32 v10, v10
	v_min_u32_e32 v119, 32, v10
	s_delay_alu instid0(VALU_DEP_1) | instskip(NEXT) | instid1(VALU_DEP_1)
	v_subrev_nc_u32_e32 v10, 28, v119
	v_lshlrev_b64_e32 v[10:11], v10, v[0:1]
	v_sub_nc_u32_e32 v11, 29, v119
	s_delay_alu instid0(VALU_DEP_2)
	v_and_b32_e32 v10, 7, v10
; %bb.1778:                             ;   in Loop: Header=BB305_991 Depth=1
	s_wait_alu 0xfffe
	s_or_b32 exec_lo, exec_lo, s15
	v_lshlrev_b32_e32 v0, 8, v0
	v_lshl_add_u32 v11, v11, 10, 0x2000
	v_lshlrev_b32_e32 v10, 23, v10
	s_delay_alu instid0(VALU_DEP_2) | instskip(NEXT) | instid1(VALU_DEP_1)
	v_and_or_b32 v0, 0x8000, v0, v11
	v_lshl_or_b32 v10, v0, 16, v10
.LBB305_1779:                           ;   in Loop: Header=BB305_991 Depth=1
	s_wait_alu 0xfffe
	s_or_b32 exec_lo, exec_lo, s14
.LBB305_1780:                           ;   in Loop: Header=BB305_991 Depth=1
	s_wait_alu 0xfffe
	s_or_b32 exec_lo, exec_lo, s13
.LBB305_1781:                           ;   in Loop: Header=BB305_991 Depth=1
	s_wait_alu 0xfffe
	s_or_b32 exec_lo, exec_lo, s12
	v_or_b32_e32 v0, v31, v115
	s_wait_loadcnt_dscnt 0x0
	v_fma_mixlo_f16 v11, v4, v31, 0 op_sel:[0,1,0] op_sel_hi:[0,1,0]
	v_or_b32_e32 v31, v5, v23
	v_fma_mixlo_f16 v5, v4, v5, 0 op_sel:[0,1,0] op_sel_hi:[0,1,0]
	v_or_b32_e32 v115, v118, v117
	v_fma_mixlo_f16 v117, v4, v0, 0 op_sel_hi:[0,1,0]
	v_or_b32_e32 v116, v10, v116
	v_lshlrev_b32_e32 v0, 16, v11
	v_lshlrev_b32_e32 v23, 16, v5
	v_fma_mixlo_f16 v11, v4, v31, 0 op_sel_hi:[0,1,0]
	v_and_b32_e32 v5, 0xffff, v117
	v_fma_mixlo_f16 v31, v4, v118, 0 op_sel:[0,1,0] op_sel_hi:[0,1,0]
	v_fma_mixlo_f16 v115, v4, v115, 0 op_sel_hi:[0,1,0]
	v_fma_mixlo_f16 v117, v4, v10, 0 op_sel:[0,1,0] op_sel_hi:[0,1,0]
	v_fma_mixlo_f16 v116, v4, v116, 0 op_sel_hi:[0,1,0]
	v_and_b32_e32 v119, 0xffff, v11
	v_lshlrev_b32_e32 v10, 16, v31
	v_and_b32_e32 v115, 0xffff, v115
	v_lshlrev_b32_e32 v4, 16, v117
	v_and_b32_e32 v11, 0xffff, v116
	v_or_b32_e32 v31, v0, v5
	v_or_b32_e32 v118, v23, v119
	;; [unrolled: 1-line block ×3, first 2 shown]
	s_delay_alu instid0(VALU_DEP_4)
	v_or_b32_e32 v116, v4, v11
	s_and_saveexec_b32 s12, vcc_lo
	s_cbranch_execz .LBB305_1783
; %bb.1782:                             ;   in Loop: Header=BB305_991 Depth=1
	v_cmp_lt_i32_e64 s0, v35, v30
	s_wait_alu 0xf1ff
	s_delay_alu instid0(VALU_DEP_1) | instskip(SKIP_2) | instid1(VALU_DEP_1)
	v_cndmask_b32_e64 v31, 0, v119, s0
	v_cmp_lt_i32_e64 s0, v70, v30
	s_wait_alu 0xf1ff
	v_cndmask_b32_e64 v23, 0, v23, s0
	v_cmp_lt_i32_e64 s0, v69, v30
	s_delay_alu instid0(VALU_DEP_2) | instskip(SKIP_1) | instid1(VALU_DEP_2)
	v_or_b32_e32 v118, v31, v23
	s_wait_alu 0xf1ff
	v_cndmask_b32_e64 v5, 0, v5, s0
	v_cmp_lt_i32_e64 s0, v68, v30
	s_wait_alu 0xf1ff
	s_delay_alu instid0(VALU_DEP_1) | instskip(SKIP_1) | instid1(VALU_DEP_2)
	v_cndmask_b32_e64 v0, 0, v0, s0
	v_cmp_lt_i32_e64 s0, v67, v30
	v_or_b32_e32 v31, v5, v0
	s_wait_alu 0xf1ff
	s_delay_alu instid0(VALU_DEP_2) | instskip(SKIP_2) | instid1(VALU_DEP_1)
	v_cndmask_b32_e64 v115, 0, v115, s0
	v_cmp_lt_i32_e64 s0, v66, v30
	s_wait_alu 0xf1ff
	v_cndmask_b32_e64 v10, 0, v10, s0
	v_cmp_lt_i32_e64 s0, v65, v30
	s_delay_alu instid0(VALU_DEP_2) | instskip(SKIP_1) | instid1(VALU_DEP_2)
	v_or_b32_e32 v117, v115, v10
	s_wait_alu 0xf1ff
	v_cndmask_b32_e64 v11, 0, v11, s0
	v_cmp_lt_i32_e64 s0, v14, v30
	s_wait_alu 0xf1ff
	s_delay_alu instid0(VALU_DEP_1) | instskip(NEXT) | instid1(VALU_DEP_1)
	v_cndmask_b32_e64 v4, 0, v4, s0
	v_or_b32_e32 v116, v11, v4
.LBB305_1783:                           ;   in Loop: Header=BB305_991 Depth=1
	s_wait_alu 0xfffe
	s_or_b32 exec_lo, exec_lo, s12
	;;#ASMSTART
	v_pk_mul_f16 v0, v55, v118;

	;;#ASMEND
	;;#ASMSTART
	v_pk_mul_f16 v4, v53, v31;

	;;#ASMEND
	;; [unrolled: 4-line block ×4, first 2 shown]
	;;#ASMSTART
	v_pk_add_f16 v0, v0, v4;

	;;#ASMEND
	;;#ASMSTART
	v_pk_add_f16 v0, v0, v5;

	;;#ASMEND
	;; [unrolled: 4-line block ×3, first 2 shown]
	v_dual_mov_b32 v5, 0 :: v_dual_and_b32 v4, 0xffff, v0
	v_lshrrev_b32_e32 v0, 16, v0
	;;#ASMSTART
	v_cvt_f32_f16 v115, v4;
	;;#ASMEND
	;;#ASMSTART
	v_cvt_f32_f16 v116, v0;
	;;#ASMEND
	flat_load_b64 v[10:11], v[8:9] offset:3072
	flat_load_b32 v4, v[26:27]
	s_mov_b32 s12, exec_lo
	s_wait_loadcnt_dscnt 0x101
	v_dual_mov_b32 v23, 0 :: v_dual_and_b32 v0, 0xff, v10
	s_delay_alu instid0(VALU_DEP_1)
	v_cmpx_ne_u16_e32 0, v0
	s_cbranch_execz .LBB305_1791
; %bb.1784:                             ;   in Loop: Header=BB305_991 Depth=1
	v_mov_b32_e32 v23, 0x8000
	s_mov_b32 s13, exec_lo
	v_cmpx_ne_u16_e32 0x80, v0
	s_cbranch_execz .LBB305_1790
; %bb.1785:                             ;   in Loop: Header=BB305_991 Depth=1
	v_and_b32_e32 v31, 0x7f, v10
	v_mov_b32_e32 v23, 0x7c01
	s_mov_b32 s14, exec_lo
	s_delay_alu instid0(VALU_DEP_2)
	v_cmpx_ne_u32_e32 0x7f, v31
	s_cbranch_execz .LBB305_1789
; %bb.1786:                             ;   in Loop: Header=BB305_991 Depth=1
	v_and_b32_e32 v0, 7, v10
	v_lshrrev_b32_e32 v23, 3, v31
	s_mov_b32 s15, exec_lo
	v_cmpx_gt_u32_e32 8, v31
; %bb.1787:                             ;   in Loop: Header=BB305_991 Depth=1
	s_delay_alu instid0(VALU_DEP_3) | instskip(NEXT) | instid1(VALU_DEP_1)
	v_clz_i32_u32_e32 v0, v0
	v_min_u32_e32 v0, 32, v0
	s_delay_alu instid0(VALU_DEP_1) | instskip(NEXT) | instid1(VALU_DEP_1)
	v_subrev_nc_u32_e32 v23, 28, v0
	v_lshlrev_b64_e32 v[117:118], v23, v[10:11]
	v_sub_nc_u32_e32 v23, 29, v0
	s_delay_alu instid0(VALU_DEP_2)
	v_and_b32_e32 v0, 7, v117
; %bb.1788:                             ;   in Loop: Header=BB305_991 Depth=1
	s_wait_alu 0xfffe
	s_or_b32 exec_lo, exec_lo, s15
	v_lshlrev_b32_e32 v31, 8, v10
	v_lshl_add_u32 v23, v23, 10, 0x2000
	v_lshlrev_b32_e32 v0, 7, v0
	s_delay_alu instid0(VALU_DEP_3) | instskip(NEXT) | instid1(VALU_DEP_3)
	v_and_b32_e32 v31, 0x8000, v31
	v_and_b32_e32 v23, 0xfc00, v23
	s_delay_alu instid0(VALU_DEP_1)
	v_or3_b32 v23, v31, v23, v0
.LBB305_1789:                           ;   in Loop: Header=BB305_991 Depth=1
	s_wait_alu 0xfffe
	s_or_b32 exec_lo, exec_lo, s14
.LBB305_1790:                           ;   in Loop: Header=BB305_991 Depth=1
	s_wait_alu 0xfffe
	s_or_b32 exec_lo, exec_lo, s13
.LBB305_1791:                           ;   in Loop: Header=BB305_991 Depth=1
	s_wait_alu 0xfffe
	s_or_b32 exec_lo, exec_lo, s12
	v_lshrrev_b16 v0, 8, v10
	s_mov_b32 s12, exec_lo
	s_delay_alu instid0(VALU_DEP_1)
	v_cmpx_ne_u16_e32 0, v0
	s_cbranch_execz .LBB305_1799
; %bb.1792:                             ;   in Loop: Header=BB305_991 Depth=1
	v_bfrev_b32_e32 v5, 1
	s_mov_b32 s13, exec_lo
	v_cmpx_ne_u16_e32 0x80, v0
	s_cbranch_execz .LBB305_1798
; %bb.1793:                             ;   in Loop: Header=BB305_991 Depth=1
	v_and_b32_e32 v31, 0xffff, v0
	v_mov_b32_e32 v5, 0x7c010000
	s_mov_b32 s14, exec_lo
	s_delay_alu instid0(VALU_DEP_2) | instskip(NEXT) | instid1(VALU_DEP_1)
	v_and_b32_e32 v118, 0x7f, v31
	v_cmpx_ne_u32_e32 0x7f, v118
	s_cbranch_execz .LBB305_1797
; %bb.1794:                             ;   in Loop: Header=BB305_991 Depth=1
	v_and_b32_e32 v5, 7, v31
	v_lshrrev_b32_e32 v117, 3, v118
	s_mov_b32 s15, exec_lo
	v_cmpx_gt_u32_e32 8, v118
; %bb.1795:                             ;   in Loop: Header=BB305_991 Depth=1
	s_delay_alu instid0(VALU_DEP_3) | instskip(NEXT) | instid1(VALU_DEP_1)
	v_clz_i32_u32_e32 v5, v5
	v_min_u32_e32 v5, 32, v5
	s_delay_alu instid0(VALU_DEP_1) | instskip(NEXT) | instid1(VALU_DEP_1)
	v_subrev_nc_u32_e32 v117, 28, v5
	v_lshlrev_b64_e32 v[118:119], v117, v[0:1]
	v_sub_nc_u32_e32 v117, 29, v5
	s_delay_alu instid0(VALU_DEP_2)
	v_and_b32_e32 v5, 7, v118
; %bb.1796:                             ;   in Loop: Header=BB305_991 Depth=1
	s_wait_alu 0xfffe
	s_or_b32 exec_lo, exec_lo, s15
	v_lshlrev_b32_e32 v0, 8, v31
	v_lshl_add_u32 v31, v117, 10, 0x2000
	v_lshlrev_b32_e32 v5, 23, v5
	s_delay_alu instid0(VALU_DEP_2) | instskip(NEXT) | instid1(VALU_DEP_1)
	v_and_or_b32 v0, 0x8000, v0, v31
	v_lshl_or_b32 v5, v0, 16, v5
.LBB305_1797:                           ;   in Loop: Header=BB305_991 Depth=1
	s_wait_alu 0xfffe
	s_or_b32 exec_lo, exec_lo, s14
.LBB305_1798:                           ;   in Loop: Header=BB305_991 Depth=1
	s_wait_alu 0xfffe
	s_or_b32 exec_lo, exec_lo, s13
.LBB305_1799:                           ;   in Loop: Header=BB305_991 Depth=1
	s_wait_alu 0xfffe
	s_or_b32 exec_lo, exec_lo, s12
	v_lshrrev_b32_e32 v0, 16, v10
	v_mov_b32_e32 v117, 0
	s_mov_b32 s12, exec_lo
	s_delay_alu instid0(VALU_DEP_2) | instskip(NEXT) | instid1(VALU_DEP_1)
	v_dual_mov_b32 v31, 0 :: v_dual_and_b32 v118, 0xff, v0
	v_cmpx_ne_u16_e32 0, v118
	s_cbranch_execz .LBB305_1807
; %bb.1800:                             ;   in Loop: Header=BB305_991 Depth=1
	v_mov_b32_e32 v117, 0x8000
	s_mov_b32 s13, exec_lo
	v_cmpx_ne_u16_e32 0x80, v118
	s_cbranch_execz .LBB305_1806
; %bb.1801:                             ;   in Loop: Header=BB305_991 Depth=1
	v_bfe_u32 v119, v10, 16, 7
	v_mov_b32_e32 v117, 0x7c01
	s_mov_b32 s14, exec_lo
	s_delay_alu instid0(VALU_DEP_2)
	v_cmpx_ne_u32_e32 0x7f, v119
	s_cbranch_execz .LBB305_1805
; %bb.1802:                             ;   in Loop: Header=BB305_991 Depth=1
	v_and_b32_e32 v117, 7, v0
	v_lshrrev_b32_e32 v118, 3, v119
	s_mov_b32 s15, exec_lo
	v_cmpx_gt_u32_e32 8, v119
; %bb.1803:                             ;   in Loop: Header=BB305_991 Depth=1
	s_delay_alu instid0(VALU_DEP_3) | instskip(NEXT) | instid1(VALU_DEP_1)
	v_clz_i32_u32_e32 v117, v117
	v_min_u32_e32 v119, 32, v117
	s_delay_alu instid0(VALU_DEP_1) | instskip(NEXT) | instid1(VALU_DEP_1)
	v_subrev_nc_u32_e32 v117, 28, v119
	v_lshlrev_b64_e32 v[117:118], v117, v[0:1]
	v_sub_nc_u32_e32 v118, 29, v119
	s_delay_alu instid0(VALU_DEP_2)
	v_and_b32_e32 v117, 7, v117
; %bb.1804:                             ;   in Loop: Header=BB305_991 Depth=1
	s_wait_alu 0xfffe
	s_or_b32 exec_lo, exec_lo, s15
	v_lshlrev_b32_e32 v0, 8, v0
	v_lshl_add_u32 v118, v118, 10, 0x2000
	v_lshlrev_b32_e32 v117, 7, v117
	s_delay_alu instid0(VALU_DEP_3) | instskip(NEXT) | instid1(VALU_DEP_3)
	v_and_b32_e32 v0, 0x8000, v0
	v_and_b32_e32 v118, 0xfc00, v118
	s_delay_alu instid0(VALU_DEP_1)
	v_or3_b32 v117, v0, v118, v117
.LBB305_1805:                           ;   in Loop: Header=BB305_991 Depth=1
	s_wait_alu 0xfffe
	s_or_b32 exec_lo, exec_lo, s14
.LBB305_1806:                           ;   in Loop: Header=BB305_991 Depth=1
	s_wait_alu 0xfffe
	s_or_b32 exec_lo, exec_lo, s13
.LBB305_1807:                           ;   in Loop: Header=BB305_991 Depth=1
	s_wait_alu 0xfffe
	s_or_b32 exec_lo, exec_lo, s12
	s_delay_alu instid0(SALU_CYCLE_1)
	s_mov_b32 s12, exec_lo
	v_cmpx_lt_u32_e32 0xffffff, v10
	s_cbranch_execz .LBB305_1815
; %bb.1808:                             ;   in Loop: Header=BB305_991 Depth=1
	v_lshrrev_b32_e32 v0, 24, v10
	v_bfrev_b32_e32 v31, 1
	s_mov_b32 s13, exec_lo
	s_delay_alu instid0(VALU_DEP_2)
	v_cmpx_ne_u32_e32 0x80, v0
	s_cbranch_execz .LBB305_1814
; %bb.1809:                             ;   in Loop: Header=BB305_991 Depth=1
	v_and_b32_e32 v119, 0x7f, v0
	v_mov_b32_e32 v31, 0x7c010000
	s_mov_b32 s14, exec_lo
	s_delay_alu instid0(VALU_DEP_2)
	v_cmpx_ne_u32_e32 0x7f, v119
	s_cbranch_execz .LBB305_1813
; %bb.1810:                             ;   in Loop: Header=BB305_991 Depth=1
	v_and_b32_e32 v31, 7, v0
	v_lshrrev_b32_e32 v118, 3, v119
	s_mov_b32 s15, exec_lo
	v_cmpx_gt_u32_e32 8, v119
; %bb.1811:                             ;   in Loop: Header=BB305_991 Depth=1
	s_delay_alu instid0(VALU_DEP_3) | instskip(NEXT) | instid1(VALU_DEP_1)
	v_clz_i32_u32_e32 v31, v31
	v_min_u32_e32 v31, 32, v31
	s_delay_alu instid0(VALU_DEP_1) | instskip(NEXT) | instid1(VALU_DEP_1)
	v_subrev_nc_u32_e32 v118, 28, v31
	v_lshlrev_b64_e32 v[128:129], v118, v[0:1]
	v_sub_nc_u32_e32 v118, 29, v31
	s_delay_alu instid0(VALU_DEP_2)
	v_and_b32_e32 v31, 7, v128
; %bb.1812:                             ;   in Loop: Header=BB305_991 Depth=1
	s_wait_alu 0xfffe
	s_or_b32 exec_lo, exec_lo, s15
	v_lshlrev_b32_e32 v0, 8, v0
	v_lshl_add_u32 v118, v118, 10, 0x2000
	v_lshlrev_b32_e32 v31, 23, v31
	s_delay_alu instid0(VALU_DEP_2) | instskip(NEXT) | instid1(VALU_DEP_1)
	v_and_or_b32 v0, 0x8000, v0, v118
	v_lshl_or_b32 v31, v0, 16, v31
.LBB305_1813:                           ;   in Loop: Header=BB305_991 Depth=1
	s_wait_alu 0xfffe
	s_or_b32 exec_lo, exec_lo, s14
.LBB305_1814:                           ;   in Loop: Header=BB305_991 Depth=1
	s_wait_alu 0xfffe
	s_or_b32 exec_lo, exec_lo, s13
.LBB305_1815:                           ;   in Loop: Header=BB305_991 Depth=1
	s_wait_alu 0xfffe
	s_or_b32 exec_lo, exec_lo, s12
	v_dual_mov_b32 v119, 0 :: v_dual_and_b32 v128, 0xff, v11
	v_mov_b32_e32 v0, v11
	v_mov_b32_e32 v118, 0
	s_mov_b32 s12, exec_lo
	s_delay_alu instid0(VALU_DEP_3)
	v_cmpx_ne_u16_e64 0, v128
	s_cbranch_execz .LBB305_1823
; %bb.1816:                             ;   in Loop: Header=BB305_991 Depth=1
	v_mov_b32_e32 v119, 0x8000
	s_mov_b32 s13, exec_lo
	v_cmpx_ne_u16_e64 0x80, v128
	s_cbranch_execz .LBB305_1822
; %bb.1817:                             ;   in Loop: Header=BB305_991 Depth=1
	v_and_b32_e32 v129, 0x7f, v11
	v_mov_b32_e32 v119, 0x7c01
	s_mov_b32 s14, exec_lo
	s_delay_alu instid0(VALU_DEP_2)
	v_cmpx_ne_u32_e32 0x7f, v129
	s_cbranch_execz .LBB305_1821
; %bb.1818:                             ;   in Loop: Header=BB305_991 Depth=1
	v_and_b32_e32 v119, 7, v11
	v_lshrrev_b32_e32 v128, 3, v129
	s_mov_b32 s15, exec_lo
	v_cmpx_gt_u32_e32 8, v129
; %bb.1819:                             ;   in Loop: Header=BB305_991 Depth=1
	s_delay_alu instid0(VALU_DEP_3) | instskip(NEXT) | instid1(VALU_DEP_1)
	v_clz_i32_u32_e32 v119, v119
	v_min_u32_e32 v119, 32, v119
	s_delay_alu instid0(VALU_DEP_1) | instskip(NEXT) | instid1(VALU_DEP_1)
	v_subrev_nc_u32_e32 v128, 28, v119
	v_lshlrev_b64_e32 v[129:130], v128, v[0:1]
	v_sub_nc_u32_e32 v128, 29, v119
	s_delay_alu instid0(VALU_DEP_2)
	v_and_b32_e32 v119, 7, v129
; %bb.1820:                             ;   in Loop: Header=BB305_991 Depth=1
	s_wait_alu 0xfffe
	s_or_b32 exec_lo, exec_lo, s15
	v_lshlrev_b32_e32 v129, 8, v11
	v_lshl_add_u32 v128, v128, 10, 0x2000
	v_lshlrev_b32_e32 v119, 7, v119
	s_delay_alu instid0(VALU_DEP_3) | instskip(NEXT) | instid1(VALU_DEP_3)
	v_and_b32_e32 v129, 0x8000, v129
	v_and_b32_e32 v128, 0xfc00, v128
	s_delay_alu instid0(VALU_DEP_1)
	v_or3_b32 v119, v129, v128, v119
.LBB305_1821:                           ;   in Loop: Header=BB305_991 Depth=1
	s_wait_alu 0xfffe
	s_or_b32 exec_lo, exec_lo, s14
.LBB305_1822:                           ;   in Loop: Header=BB305_991 Depth=1
	s_wait_alu 0xfffe
	s_or_b32 exec_lo, exec_lo, s13
.LBB305_1823:                           ;   in Loop: Header=BB305_991 Depth=1
	s_wait_alu 0xfffe
	s_or_b32 exec_lo, exec_lo, s12
	v_lshrrev_b16 v0, 8, v0
	v_mov_b32_e32 v128, 0
	s_mov_b32 s12, exec_lo
	s_delay_alu instid0(VALU_DEP_2)
	v_cmpx_ne_u16_e32 0, v0
	s_cbranch_execz .LBB305_1831
; %bb.1824:                             ;   in Loop: Header=BB305_991 Depth=1
	v_bfrev_b32_e32 v128, 1
	s_mov_b32 s13, exec_lo
	v_cmpx_ne_u16_e32 0x80, v0
	s_cbranch_execz .LBB305_1830
; %bb.1825:                             ;   in Loop: Header=BB305_991 Depth=1
	v_and_b32_e32 v129, 0xffff, v0
	v_mov_b32_e32 v128, 0x7c010000
	s_mov_b32 s14, exec_lo
	s_delay_alu instid0(VALU_DEP_2) | instskip(NEXT) | instid1(VALU_DEP_1)
	v_and_b32_e32 v131, 0x7f, v129
	v_cmpx_ne_u32_e32 0x7f, v131
	s_cbranch_execz .LBB305_1829
; %bb.1826:                             ;   in Loop: Header=BB305_991 Depth=1
	v_and_b32_e32 v128, 7, v129
	v_lshrrev_b32_e32 v130, 3, v131
	s_mov_b32 s15, exec_lo
	v_cmpx_gt_u32_e32 8, v131
; %bb.1827:                             ;   in Loop: Header=BB305_991 Depth=1
	s_delay_alu instid0(VALU_DEP_3) | instskip(NEXT) | instid1(VALU_DEP_1)
	v_clz_i32_u32_e32 v128, v128
	v_min_u32_e32 v128, 32, v128
	s_delay_alu instid0(VALU_DEP_1) | instskip(NEXT) | instid1(VALU_DEP_1)
	v_subrev_nc_u32_e32 v130, 28, v128
	v_lshlrev_b64_e32 v[131:132], v130, v[0:1]
	v_sub_nc_u32_e32 v130, 29, v128
	s_delay_alu instid0(VALU_DEP_2)
	v_and_b32_e32 v128, 7, v131
; %bb.1828:                             ;   in Loop: Header=BB305_991 Depth=1
	s_wait_alu 0xfffe
	s_or_b32 exec_lo, exec_lo, s15
	v_lshlrev_b32_e32 v0, 8, v129
	v_lshl_add_u32 v129, v130, 10, 0x2000
	v_lshlrev_b32_e32 v128, 23, v128
	s_delay_alu instid0(VALU_DEP_2) | instskip(NEXT) | instid1(VALU_DEP_1)
	v_and_or_b32 v0, 0x8000, v0, v129
	v_lshl_or_b32 v128, v0, 16, v128
.LBB305_1829:                           ;   in Loop: Header=BB305_991 Depth=1
	s_wait_alu 0xfffe
	s_or_b32 exec_lo, exec_lo, s14
.LBB305_1830:                           ;   in Loop: Header=BB305_991 Depth=1
	s_wait_alu 0xfffe
	s_or_b32 exec_lo, exec_lo, s13
.LBB305_1831:                           ;   in Loop: Header=BB305_991 Depth=1
	s_wait_alu 0xfffe
	s_or_b32 exec_lo, exec_lo, s12
	v_lshrrev_b32_e32 v0, 16, v11
	s_mov_b32 s12, exec_lo
	s_delay_alu instid0(VALU_DEP_1) | instskip(NEXT) | instid1(VALU_DEP_1)
	v_and_b32_e32 v129, 0xff, v0
	v_cmpx_ne_u16_e64 0, v129
	s_cbranch_execz .LBB305_1839
; %bb.1832:                             ;   in Loop: Header=BB305_991 Depth=1
	v_mov_b32_e32 v118, 0x8000
	s_mov_b32 s13, exec_lo
	v_cmpx_ne_u16_e64 0x80, v129
	s_cbranch_execz .LBB305_1838
; %bb.1833:                             ;   in Loop: Header=BB305_991 Depth=1
	v_bfe_u32 v130, v11, 16, 7
	v_mov_b32_e32 v118, 0x7c01
	s_mov_b32 s14, exec_lo
	s_delay_alu instid0(VALU_DEP_2)
	v_cmpx_ne_u32_e32 0x7f, v130
	s_cbranch_execz .LBB305_1837
; %bb.1834:                             ;   in Loop: Header=BB305_991 Depth=1
	v_and_b32_e32 v118, 7, v0
	v_lshrrev_b32_e32 v129, 3, v130
	s_mov_b32 s15, exec_lo
	v_cmpx_gt_u32_e32 8, v130
; %bb.1835:                             ;   in Loop: Header=BB305_991 Depth=1
	s_delay_alu instid0(VALU_DEP_3) | instskip(NEXT) | instid1(VALU_DEP_1)
	v_clz_i32_u32_e32 v118, v118
	v_min_u32_e32 v118, 32, v118
	s_delay_alu instid0(VALU_DEP_1) | instskip(NEXT) | instid1(VALU_DEP_1)
	v_subrev_nc_u32_e32 v129, 28, v118
	v_lshlrev_b64_e32 v[130:131], v129, v[0:1]
	v_sub_nc_u32_e32 v129, 29, v118
	s_delay_alu instid0(VALU_DEP_2)
	v_and_b32_e32 v118, 7, v130
; %bb.1836:                             ;   in Loop: Header=BB305_991 Depth=1
	s_wait_alu 0xfffe
	s_or_b32 exec_lo, exec_lo, s15
	v_lshlrev_b32_e32 v0, 8, v0
	v_lshl_add_u32 v129, v129, 10, 0x2000
	v_lshlrev_b32_e32 v118, 7, v118
	s_delay_alu instid0(VALU_DEP_3) | instskip(NEXT) | instid1(VALU_DEP_3)
	v_and_b32_e32 v0, 0x8000, v0
	v_and_b32_e32 v129, 0xfc00, v129
	s_delay_alu instid0(VALU_DEP_1)
	v_or3_b32 v118, v0, v129, v118
.LBB305_1837:                           ;   in Loop: Header=BB305_991 Depth=1
	s_wait_alu 0xfffe
	s_or_b32 exec_lo, exec_lo, s14
.LBB305_1838:                           ;   in Loop: Header=BB305_991 Depth=1
	s_wait_alu 0xfffe
	s_or_b32 exec_lo, exec_lo, s13
.LBB305_1839:                           ;   in Loop: Header=BB305_991 Depth=1
	s_wait_alu 0xfffe
	s_or_b32 exec_lo, exec_lo, s12
	v_cmp_lt_u64_e64 s0, s[8:9], v[10:11]
	v_mov_b32_e32 v10, 0
	s_and_saveexec_b32 s12, s0
	s_cbranch_execz .LBB305_1847
; %bb.1840:                             ;   in Loop: Header=BB305_991 Depth=1
	v_lshrrev_b32_e32 v0, 24, v11
	v_bfrev_b32_e32 v10, 1
	s_mov_b32 s13, exec_lo
	s_delay_alu instid0(VALU_DEP_2)
	v_cmpx_ne_u32_e32 0x80, v0
	s_cbranch_execz .LBB305_1846
; %bb.1841:                             ;   in Loop: Header=BB305_991 Depth=1
	v_and_b32_e32 v129, 0x7f, v0
	v_mov_b32_e32 v10, 0x7c010000
	s_mov_b32 s14, exec_lo
	s_delay_alu instid0(VALU_DEP_2)
	v_cmpx_ne_u32_e32 0x7f, v129
	s_cbranch_execz .LBB305_1845
; %bb.1842:                             ;   in Loop: Header=BB305_991 Depth=1
	v_and_b32_e32 v10, 7, v0
	v_lshrrev_b32_e32 v11, 3, v129
	s_mov_b32 s15, exec_lo
	v_cmpx_gt_u32_e32 8, v129
; %bb.1843:                             ;   in Loop: Header=BB305_991 Depth=1
	s_delay_alu instid0(VALU_DEP_3) | instskip(NEXT) | instid1(VALU_DEP_1)
	v_clz_i32_u32_e32 v10, v10
	v_min_u32_e32 v129, 32, v10
	s_delay_alu instid0(VALU_DEP_1) | instskip(NEXT) | instid1(VALU_DEP_1)
	v_subrev_nc_u32_e32 v10, 28, v129
	v_lshlrev_b64_e32 v[10:11], v10, v[0:1]
	v_sub_nc_u32_e32 v11, 29, v129
	s_delay_alu instid0(VALU_DEP_2)
	v_and_b32_e32 v10, 7, v10
; %bb.1844:                             ;   in Loop: Header=BB305_991 Depth=1
	s_wait_alu 0xfffe
	s_or_b32 exec_lo, exec_lo, s15
	v_lshlrev_b32_e32 v0, 8, v0
	v_lshl_add_u32 v11, v11, 10, 0x2000
	v_lshlrev_b32_e32 v10, 23, v10
	s_delay_alu instid0(VALU_DEP_2) | instskip(NEXT) | instid1(VALU_DEP_1)
	v_and_or_b32 v0, 0x8000, v0, v11
	v_lshl_or_b32 v10, v0, 16, v10
.LBB305_1845:                           ;   in Loop: Header=BB305_991 Depth=1
	s_wait_alu 0xfffe
	s_or_b32 exec_lo, exec_lo, s14
.LBB305_1846:                           ;   in Loop: Header=BB305_991 Depth=1
	s_wait_alu 0xfffe
	s_or_b32 exec_lo, exec_lo, s13
.LBB305_1847:                           ;   in Loop: Header=BB305_991 Depth=1
	s_wait_alu 0xfffe
	s_or_b32 exec_lo, exec_lo, s12
	v_or_b32_e32 v0, v31, v117
	s_wait_loadcnt_dscnt 0x0
	v_fma_mixlo_f16 v11, v4, v31, 0 op_sel:[0,1,0] op_sel_hi:[0,1,0]
	v_or_b32_e32 v31, v5, v23
	v_fma_mixlo_f16 v5, v4, v5, 0 op_sel:[0,1,0] op_sel_hi:[0,1,0]
	v_or_b32_e32 v117, v128, v119
	v_fma_mixlo_f16 v119, v4, v0, 0 op_sel_hi:[0,1,0]
	v_or_b32_e32 v118, v10, v118
	v_lshlrev_b32_e32 v0, 16, v11
	v_lshlrev_b32_e32 v23, 16, v5
	v_fma_mixlo_f16 v11, v4, v31, 0 op_sel_hi:[0,1,0]
	v_and_b32_e32 v5, 0xffff, v119
	v_fma_mixlo_f16 v31, v4, v128, 0 op_sel:[0,1,0] op_sel_hi:[0,1,0]
	v_fma_mixlo_f16 v117, v4, v117, 0 op_sel_hi:[0,1,0]
	v_fma_mixlo_f16 v119, v4, v10, 0 op_sel:[0,1,0] op_sel_hi:[0,1,0]
	v_fma_mixlo_f16 v118, v4, v118, 0 op_sel_hi:[0,1,0]
	v_and_b32_e32 v129, 0xffff, v11
	v_lshlrev_b32_e32 v10, 16, v31
	v_and_b32_e32 v117, 0xffff, v117
	v_lshlrev_b32_e32 v4, 16, v119
	v_and_b32_e32 v11, 0xffff, v118
	v_or_b32_e32 v31, v0, v5
	v_or_b32_e32 v128, v23, v129
	;; [unrolled: 1-line block ×3, first 2 shown]
	s_delay_alu instid0(VALU_DEP_4)
	v_or_b32_e32 v118, v4, v11
	s_and_saveexec_b32 s12, vcc_lo
	s_cbranch_execz .LBB305_1849
; %bb.1848:                             ;   in Loop: Header=BB305_991 Depth=1
	v_cmp_lt_i32_e64 s0, v35, v30
	s_wait_alu 0xf1ff
	s_delay_alu instid0(VALU_DEP_1) | instskip(SKIP_2) | instid1(VALU_DEP_1)
	v_cndmask_b32_e64 v31, 0, v129, s0
	v_cmp_lt_i32_e64 s0, v70, v30
	s_wait_alu 0xf1ff
	v_cndmask_b32_e64 v23, 0, v23, s0
	v_cmp_lt_i32_e64 s0, v69, v30
	s_delay_alu instid0(VALU_DEP_2) | instskip(SKIP_1) | instid1(VALU_DEP_2)
	v_or_b32_e32 v128, v31, v23
	s_wait_alu 0xf1ff
	v_cndmask_b32_e64 v5, 0, v5, s0
	v_cmp_lt_i32_e64 s0, v68, v30
	s_wait_alu 0xf1ff
	s_delay_alu instid0(VALU_DEP_1) | instskip(SKIP_1) | instid1(VALU_DEP_2)
	v_cndmask_b32_e64 v0, 0, v0, s0
	v_cmp_lt_i32_e64 s0, v67, v30
	v_or_b32_e32 v31, v5, v0
	s_wait_alu 0xf1ff
	s_delay_alu instid0(VALU_DEP_2) | instskip(SKIP_2) | instid1(VALU_DEP_1)
	v_cndmask_b32_e64 v117, 0, v117, s0
	v_cmp_lt_i32_e64 s0, v66, v30
	s_wait_alu 0xf1ff
	v_cndmask_b32_e64 v10, 0, v10, s0
	v_cmp_lt_i32_e64 s0, v65, v30
	s_delay_alu instid0(VALU_DEP_2) | instskip(SKIP_1) | instid1(VALU_DEP_2)
	v_or_b32_e32 v119, v117, v10
	s_wait_alu 0xf1ff
	v_cndmask_b32_e64 v11, 0, v11, s0
	v_cmp_lt_i32_e64 s0, v14, v30
	s_wait_alu 0xf1ff
	s_delay_alu instid0(VALU_DEP_1) | instskip(NEXT) | instid1(VALU_DEP_1)
	v_cndmask_b32_e64 v4, 0, v4, s0
	v_or_b32_e32 v118, v11, v4
.LBB305_1849:                           ;   in Loop: Header=BB305_991 Depth=1
	s_wait_alu 0xfffe
	s_or_b32 exec_lo, exec_lo, s12
	;;#ASMSTART
	v_pk_mul_f16 v0, v55, v128;

	;;#ASMEND
	;;#ASMSTART
	v_pk_mul_f16 v4, v53, v31;

	;;#ASMEND
	;; [unrolled: 4-line block ×4, first 2 shown]
	;;#ASMSTART
	v_pk_add_f16 v0, v0, v4;

	;;#ASMEND
	;;#ASMSTART
	v_pk_add_f16 v0, v0, v5;

	;;#ASMEND
	;; [unrolled: 4-line block ×3, first 2 shown]
	v_dual_mov_b32 v5, 0 :: v_dual_and_b32 v4, 0xffff, v0
	v_lshrrev_b32_e32 v0, 16, v0
	;;#ASMSTART
	v_cvt_f32_f16 v117, v4;
	;;#ASMEND
	;;#ASMSTART
	v_cvt_f32_f16 v118, v0;
	;;#ASMEND
	flat_load_b64 v[10:11], v[8:9] offset:3328
	flat_load_b32 v4, v[26:27]
	s_mov_b32 s12, exec_lo
	s_wait_loadcnt_dscnt 0x101
	v_dual_mov_b32 v23, 0 :: v_dual_and_b32 v0, 0xff, v10
	s_delay_alu instid0(VALU_DEP_1)
	v_cmpx_ne_u16_e32 0, v0
	s_cbranch_execz .LBB305_1857
; %bb.1850:                             ;   in Loop: Header=BB305_991 Depth=1
	v_mov_b32_e32 v23, 0x8000
	s_mov_b32 s13, exec_lo
	v_cmpx_ne_u16_e32 0x80, v0
	s_cbranch_execz .LBB305_1856
; %bb.1851:                             ;   in Loop: Header=BB305_991 Depth=1
	v_and_b32_e32 v31, 0x7f, v10
	v_mov_b32_e32 v23, 0x7c01
	s_mov_b32 s14, exec_lo
	s_delay_alu instid0(VALU_DEP_2)
	v_cmpx_ne_u32_e32 0x7f, v31
	s_cbranch_execz .LBB305_1855
; %bb.1852:                             ;   in Loop: Header=BB305_991 Depth=1
	v_and_b32_e32 v0, 7, v10
	v_lshrrev_b32_e32 v23, 3, v31
	s_mov_b32 s15, exec_lo
	v_cmpx_gt_u32_e32 8, v31
; %bb.1853:                             ;   in Loop: Header=BB305_991 Depth=1
	s_delay_alu instid0(VALU_DEP_3) | instskip(NEXT) | instid1(VALU_DEP_1)
	v_clz_i32_u32_e32 v0, v0
	v_min_u32_e32 v0, 32, v0
	s_delay_alu instid0(VALU_DEP_1) | instskip(NEXT) | instid1(VALU_DEP_1)
	v_subrev_nc_u32_e32 v23, 28, v0
	v_lshlrev_b64_e32 v[128:129], v23, v[10:11]
	v_sub_nc_u32_e32 v23, 29, v0
	s_delay_alu instid0(VALU_DEP_2)
	v_and_b32_e32 v0, 7, v128
; %bb.1854:                             ;   in Loop: Header=BB305_991 Depth=1
	s_wait_alu 0xfffe
	s_or_b32 exec_lo, exec_lo, s15
	v_lshlrev_b32_e32 v31, 8, v10
	v_lshl_add_u32 v23, v23, 10, 0x2000
	v_lshlrev_b32_e32 v0, 7, v0
	s_delay_alu instid0(VALU_DEP_3) | instskip(NEXT) | instid1(VALU_DEP_3)
	v_and_b32_e32 v31, 0x8000, v31
	v_and_b32_e32 v23, 0xfc00, v23
	s_delay_alu instid0(VALU_DEP_1)
	v_or3_b32 v23, v31, v23, v0
.LBB305_1855:                           ;   in Loop: Header=BB305_991 Depth=1
	s_wait_alu 0xfffe
	s_or_b32 exec_lo, exec_lo, s14
.LBB305_1856:                           ;   in Loop: Header=BB305_991 Depth=1
	s_wait_alu 0xfffe
	s_or_b32 exec_lo, exec_lo, s13
.LBB305_1857:                           ;   in Loop: Header=BB305_991 Depth=1
	s_wait_alu 0xfffe
	s_or_b32 exec_lo, exec_lo, s12
	v_lshrrev_b16 v0, 8, v10
	s_mov_b32 s12, exec_lo
	s_delay_alu instid0(VALU_DEP_1)
	v_cmpx_ne_u16_e32 0, v0
	s_cbranch_execz .LBB305_1865
; %bb.1858:                             ;   in Loop: Header=BB305_991 Depth=1
	v_bfrev_b32_e32 v5, 1
	s_mov_b32 s13, exec_lo
	v_cmpx_ne_u16_e32 0x80, v0
	s_cbranch_execz .LBB305_1864
; %bb.1859:                             ;   in Loop: Header=BB305_991 Depth=1
	v_and_b32_e32 v31, 0xffff, v0
	v_mov_b32_e32 v5, 0x7c010000
	s_mov_b32 s14, exec_lo
	s_delay_alu instid0(VALU_DEP_2) | instskip(NEXT) | instid1(VALU_DEP_1)
	v_and_b32_e32 v128, 0x7f, v31
	v_cmpx_ne_u32_e32 0x7f, v128
	s_cbranch_execz .LBB305_1863
; %bb.1860:                             ;   in Loop: Header=BB305_991 Depth=1
	v_and_b32_e32 v5, 7, v31
	v_lshrrev_b32_e32 v119, 3, v128
	s_mov_b32 s15, exec_lo
	v_cmpx_gt_u32_e32 8, v128
; %bb.1861:                             ;   in Loop: Header=BB305_991 Depth=1
	s_delay_alu instid0(VALU_DEP_3) | instskip(NEXT) | instid1(VALU_DEP_1)
	v_clz_i32_u32_e32 v5, v5
	v_min_u32_e32 v5, 32, v5
	s_delay_alu instid0(VALU_DEP_1) | instskip(NEXT) | instid1(VALU_DEP_1)
	v_subrev_nc_u32_e32 v119, 28, v5
	v_lshlrev_b64_e32 v[128:129], v119, v[0:1]
	v_sub_nc_u32_e32 v119, 29, v5
	s_delay_alu instid0(VALU_DEP_2)
	v_and_b32_e32 v5, 7, v128
; %bb.1862:                             ;   in Loop: Header=BB305_991 Depth=1
	s_wait_alu 0xfffe
	s_or_b32 exec_lo, exec_lo, s15
	v_lshlrev_b32_e32 v0, 8, v31
	v_lshl_add_u32 v31, v119, 10, 0x2000
	v_lshlrev_b32_e32 v5, 23, v5
	s_delay_alu instid0(VALU_DEP_2) | instskip(NEXT) | instid1(VALU_DEP_1)
	v_and_or_b32 v0, 0x8000, v0, v31
	v_lshl_or_b32 v5, v0, 16, v5
.LBB305_1863:                           ;   in Loop: Header=BB305_991 Depth=1
	s_wait_alu 0xfffe
	s_or_b32 exec_lo, exec_lo, s14
.LBB305_1864:                           ;   in Loop: Header=BB305_991 Depth=1
	s_wait_alu 0xfffe
	s_or_b32 exec_lo, exec_lo, s13
.LBB305_1865:                           ;   in Loop: Header=BB305_991 Depth=1
	s_wait_alu 0xfffe
	s_or_b32 exec_lo, exec_lo, s12
	v_lshrrev_b32_e32 v0, 16, v10
	v_mov_b32_e32 v119, 0
	s_mov_b32 s12, exec_lo
	s_delay_alu instid0(VALU_DEP_2) | instskip(NEXT) | instid1(VALU_DEP_1)
	v_dual_mov_b32 v31, 0 :: v_dual_and_b32 v128, 0xff, v0
	v_cmpx_ne_u16_e64 0, v128
	s_cbranch_execz .LBB305_1873
; %bb.1866:                             ;   in Loop: Header=BB305_991 Depth=1
	v_mov_b32_e32 v119, 0x8000
	s_mov_b32 s13, exec_lo
	v_cmpx_ne_u16_e64 0x80, v128
	s_cbranch_execz .LBB305_1872
; %bb.1867:                             ;   in Loop: Header=BB305_991 Depth=1
	v_bfe_u32 v129, v10, 16, 7
	v_mov_b32_e32 v119, 0x7c01
	s_mov_b32 s14, exec_lo
	s_delay_alu instid0(VALU_DEP_2)
	v_cmpx_ne_u32_e32 0x7f, v129
	s_cbranch_execz .LBB305_1871
; %bb.1868:                             ;   in Loop: Header=BB305_991 Depth=1
	v_and_b32_e32 v119, 7, v0
	v_lshrrev_b32_e32 v128, 3, v129
	s_mov_b32 s15, exec_lo
	v_cmpx_gt_u32_e32 8, v129
; %bb.1869:                             ;   in Loop: Header=BB305_991 Depth=1
	s_delay_alu instid0(VALU_DEP_3) | instskip(NEXT) | instid1(VALU_DEP_1)
	v_clz_i32_u32_e32 v119, v119
	v_min_u32_e32 v119, 32, v119
	s_delay_alu instid0(VALU_DEP_1) | instskip(NEXT) | instid1(VALU_DEP_1)
	v_subrev_nc_u32_e32 v128, 28, v119
	v_lshlrev_b64_e32 v[129:130], v128, v[0:1]
	v_sub_nc_u32_e32 v128, 29, v119
	s_delay_alu instid0(VALU_DEP_2)
	v_and_b32_e32 v119, 7, v129
; %bb.1870:                             ;   in Loop: Header=BB305_991 Depth=1
	s_wait_alu 0xfffe
	s_or_b32 exec_lo, exec_lo, s15
	v_lshlrev_b32_e32 v0, 8, v0
	v_lshl_add_u32 v128, v128, 10, 0x2000
	v_lshlrev_b32_e32 v119, 7, v119
	s_delay_alu instid0(VALU_DEP_3) | instskip(NEXT) | instid1(VALU_DEP_3)
	v_and_b32_e32 v0, 0x8000, v0
	v_and_b32_e32 v128, 0xfc00, v128
	s_delay_alu instid0(VALU_DEP_1)
	v_or3_b32 v119, v0, v128, v119
.LBB305_1871:                           ;   in Loop: Header=BB305_991 Depth=1
	s_wait_alu 0xfffe
	s_or_b32 exec_lo, exec_lo, s14
.LBB305_1872:                           ;   in Loop: Header=BB305_991 Depth=1
	s_wait_alu 0xfffe
	s_or_b32 exec_lo, exec_lo, s13
.LBB305_1873:                           ;   in Loop: Header=BB305_991 Depth=1
	s_wait_alu 0xfffe
	s_or_b32 exec_lo, exec_lo, s12
	s_delay_alu instid0(SALU_CYCLE_1)
	s_mov_b32 s12, exec_lo
	v_cmpx_lt_u32_e32 0xffffff, v10
	s_cbranch_execz .LBB305_1881
; %bb.1874:                             ;   in Loop: Header=BB305_991 Depth=1
	v_lshrrev_b32_e32 v0, 24, v10
	v_bfrev_b32_e32 v31, 1
	s_mov_b32 s13, exec_lo
	s_delay_alu instid0(VALU_DEP_2)
	v_cmpx_ne_u32_e32 0x80, v0
	s_cbranch_execz .LBB305_1880
; %bb.1875:                             ;   in Loop: Header=BB305_991 Depth=1
	v_and_b32_e32 v129, 0x7f, v0
	v_mov_b32_e32 v31, 0x7c010000
	s_mov_b32 s14, exec_lo
	s_delay_alu instid0(VALU_DEP_2)
	v_cmpx_ne_u32_e32 0x7f, v129
	s_cbranch_execz .LBB305_1879
; %bb.1876:                             ;   in Loop: Header=BB305_991 Depth=1
	v_and_b32_e32 v31, 7, v0
	v_lshrrev_b32_e32 v128, 3, v129
	s_mov_b32 s15, exec_lo
	v_cmpx_gt_u32_e32 8, v129
; %bb.1877:                             ;   in Loop: Header=BB305_991 Depth=1
	s_delay_alu instid0(VALU_DEP_3) | instskip(NEXT) | instid1(VALU_DEP_1)
	v_clz_i32_u32_e32 v31, v31
	v_min_u32_e32 v31, 32, v31
	s_delay_alu instid0(VALU_DEP_1) | instskip(NEXT) | instid1(VALU_DEP_1)
	v_subrev_nc_u32_e32 v128, 28, v31
	v_lshlrev_b64_e32 v[129:130], v128, v[0:1]
	v_sub_nc_u32_e32 v128, 29, v31
	s_delay_alu instid0(VALU_DEP_2)
	v_and_b32_e32 v31, 7, v129
; %bb.1878:                             ;   in Loop: Header=BB305_991 Depth=1
	s_wait_alu 0xfffe
	s_or_b32 exec_lo, exec_lo, s15
	v_lshlrev_b32_e32 v0, 8, v0
	v_lshl_add_u32 v128, v128, 10, 0x2000
	v_lshlrev_b32_e32 v31, 23, v31
	s_delay_alu instid0(VALU_DEP_2) | instskip(NEXT) | instid1(VALU_DEP_1)
	v_and_or_b32 v0, 0x8000, v0, v128
	v_lshl_or_b32 v31, v0, 16, v31
.LBB305_1879:                           ;   in Loop: Header=BB305_991 Depth=1
	s_wait_alu 0xfffe
	s_or_b32 exec_lo, exec_lo, s14
.LBB305_1880:                           ;   in Loop: Header=BB305_991 Depth=1
	s_wait_alu 0xfffe
	s_or_b32 exec_lo, exec_lo, s13
.LBB305_1881:                           ;   in Loop: Header=BB305_991 Depth=1
	s_wait_alu 0xfffe
	s_or_b32 exec_lo, exec_lo, s12
	v_dual_mov_b32 v129, 0 :: v_dual_and_b32 v130, 0xff, v11
	v_mov_b32_e32 v0, v11
	v_mov_b32_e32 v128, 0
	s_mov_b32 s12, exec_lo
	s_delay_alu instid0(VALU_DEP_3)
	v_cmpx_ne_u16_e64 0, v130
	s_cbranch_execz .LBB305_1889
; %bb.1882:                             ;   in Loop: Header=BB305_991 Depth=1
	v_mov_b32_e32 v129, 0x8000
	s_mov_b32 s13, exec_lo
	v_cmpx_ne_u16_e64 0x80, v130
	s_cbranch_execz .LBB305_1888
; %bb.1883:                             ;   in Loop: Header=BB305_991 Depth=1
	v_and_b32_e32 v131, 0x7f, v11
	v_mov_b32_e32 v129, 0x7c01
	s_mov_b32 s14, exec_lo
	s_delay_alu instid0(VALU_DEP_2)
	v_cmpx_ne_u32_e32 0x7f, v131
	s_cbranch_execz .LBB305_1887
; %bb.1884:                             ;   in Loop: Header=BB305_991 Depth=1
	v_and_b32_e32 v129, 7, v11
	v_lshrrev_b32_e32 v130, 3, v131
	s_mov_b32 s15, exec_lo
	v_cmpx_gt_u32_e32 8, v131
; %bb.1885:                             ;   in Loop: Header=BB305_991 Depth=1
	s_delay_alu instid0(VALU_DEP_3) | instskip(NEXT) | instid1(VALU_DEP_1)
	v_clz_i32_u32_e32 v129, v129
	v_min_u32_e32 v131, 32, v129
	s_delay_alu instid0(VALU_DEP_1) | instskip(NEXT) | instid1(VALU_DEP_1)
	v_subrev_nc_u32_e32 v129, 28, v131
	v_lshlrev_b64_e32 v[129:130], v129, v[0:1]
	v_sub_nc_u32_e32 v130, 29, v131
	s_delay_alu instid0(VALU_DEP_2)
	v_and_b32_e32 v129, 7, v129
; %bb.1886:                             ;   in Loop: Header=BB305_991 Depth=1
	s_wait_alu 0xfffe
	s_or_b32 exec_lo, exec_lo, s15
	v_lshlrev_b32_e32 v131, 8, v11
	v_lshl_add_u32 v130, v130, 10, 0x2000
	v_lshlrev_b32_e32 v129, 7, v129
	s_delay_alu instid0(VALU_DEP_3) | instskip(NEXT) | instid1(VALU_DEP_3)
	v_and_b32_e32 v131, 0x8000, v131
	v_and_b32_e32 v130, 0xfc00, v130
	s_delay_alu instid0(VALU_DEP_1)
	v_or3_b32 v129, v131, v130, v129
.LBB305_1887:                           ;   in Loop: Header=BB305_991 Depth=1
	s_wait_alu 0xfffe
	s_or_b32 exec_lo, exec_lo, s14
.LBB305_1888:                           ;   in Loop: Header=BB305_991 Depth=1
	s_wait_alu 0xfffe
	s_or_b32 exec_lo, exec_lo, s13
.LBB305_1889:                           ;   in Loop: Header=BB305_991 Depth=1
	s_wait_alu 0xfffe
	s_or_b32 exec_lo, exec_lo, s12
	v_lshrrev_b16 v0, 8, v0
	v_mov_b32_e32 v130, 0
	s_mov_b32 s12, exec_lo
	s_delay_alu instid0(VALU_DEP_2)
	v_cmpx_ne_u16_e32 0, v0
	s_cbranch_execz .LBB305_1897
; %bb.1890:                             ;   in Loop: Header=BB305_991 Depth=1
	v_bfrev_b32_e32 v130, 1
	s_mov_b32 s13, exec_lo
	v_cmpx_ne_u16_e32 0x80, v0
	s_cbranch_execz .LBB305_1896
; %bb.1891:                             ;   in Loop: Header=BB305_991 Depth=1
	v_and_b32_e32 v131, 0xffff, v0
	v_mov_b32_e32 v130, 0x7c010000
	s_mov_b32 s14, exec_lo
	s_delay_alu instid0(VALU_DEP_2) | instskip(NEXT) | instid1(VALU_DEP_1)
	v_and_b32_e32 v133, 0x7f, v131
	v_cmpx_ne_u32_e32 0x7f, v133
	s_cbranch_execz .LBB305_1895
; %bb.1892:                             ;   in Loop: Header=BB305_991 Depth=1
	v_and_b32_e32 v130, 7, v131
	v_lshrrev_b32_e32 v132, 3, v133
	s_mov_b32 s15, exec_lo
	v_cmpx_gt_u32_e32 8, v133
; %bb.1893:                             ;   in Loop: Header=BB305_991 Depth=1
	s_delay_alu instid0(VALU_DEP_3) | instskip(NEXT) | instid1(VALU_DEP_1)
	v_clz_i32_u32_e32 v130, v130
	v_min_u32_e32 v130, 32, v130
	s_delay_alu instid0(VALU_DEP_1) | instskip(NEXT) | instid1(VALU_DEP_1)
	v_subrev_nc_u32_e32 v132, 28, v130
	v_lshlrev_b64_e32 v[133:134], v132, v[0:1]
	v_sub_nc_u32_e32 v132, 29, v130
	s_delay_alu instid0(VALU_DEP_2)
	v_and_b32_e32 v130, 7, v133
; %bb.1894:                             ;   in Loop: Header=BB305_991 Depth=1
	s_wait_alu 0xfffe
	s_or_b32 exec_lo, exec_lo, s15
	v_lshlrev_b32_e32 v0, 8, v131
	v_lshl_add_u32 v131, v132, 10, 0x2000
	v_lshlrev_b32_e32 v130, 23, v130
	s_delay_alu instid0(VALU_DEP_2) | instskip(NEXT) | instid1(VALU_DEP_1)
	v_and_or_b32 v0, 0x8000, v0, v131
	v_lshl_or_b32 v130, v0, 16, v130
.LBB305_1895:                           ;   in Loop: Header=BB305_991 Depth=1
	s_wait_alu 0xfffe
	s_or_b32 exec_lo, exec_lo, s14
.LBB305_1896:                           ;   in Loop: Header=BB305_991 Depth=1
	s_wait_alu 0xfffe
	s_or_b32 exec_lo, exec_lo, s13
.LBB305_1897:                           ;   in Loop: Header=BB305_991 Depth=1
	s_wait_alu 0xfffe
	s_or_b32 exec_lo, exec_lo, s12
	v_lshrrev_b32_e32 v0, 16, v11
	s_mov_b32 s12, exec_lo
	s_delay_alu instid0(VALU_DEP_1) | instskip(NEXT) | instid1(VALU_DEP_1)
	v_and_b32_e32 v131, 0xff, v0
	v_cmpx_ne_u16_e64 0, v131
	s_cbranch_execz .LBB305_1905
; %bb.1898:                             ;   in Loop: Header=BB305_991 Depth=1
	v_mov_b32_e32 v128, 0x8000
	s_mov_b32 s13, exec_lo
	v_cmpx_ne_u16_e64 0x80, v131
	s_cbranch_execz .LBB305_1904
; %bb.1899:                             ;   in Loop: Header=BB305_991 Depth=1
	v_bfe_u32 v132, v11, 16, 7
	v_mov_b32_e32 v128, 0x7c01
	s_mov_b32 s14, exec_lo
	s_delay_alu instid0(VALU_DEP_2)
	v_cmpx_ne_u32_e32 0x7f, v132
	s_cbranch_execz .LBB305_1903
; %bb.1900:                             ;   in Loop: Header=BB305_991 Depth=1
	v_and_b32_e32 v128, 7, v0
	v_lshrrev_b32_e32 v131, 3, v132
	s_mov_b32 s15, exec_lo
	v_cmpx_gt_u32_e32 8, v132
; %bb.1901:                             ;   in Loop: Header=BB305_991 Depth=1
	s_delay_alu instid0(VALU_DEP_3) | instskip(NEXT) | instid1(VALU_DEP_1)
	v_clz_i32_u32_e32 v128, v128
	v_min_u32_e32 v128, 32, v128
	s_delay_alu instid0(VALU_DEP_1) | instskip(NEXT) | instid1(VALU_DEP_1)
	v_subrev_nc_u32_e32 v131, 28, v128
	v_lshlrev_b64_e32 v[132:133], v131, v[0:1]
	v_sub_nc_u32_e32 v131, 29, v128
	s_delay_alu instid0(VALU_DEP_2)
	v_and_b32_e32 v128, 7, v132
; %bb.1902:                             ;   in Loop: Header=BB305_991 Depth=1
	s_wait_alu 0xfffe
	s_or_b32 exec_lo, exec_lo, s15
	v_lshlrev_b32_e32 v0, 8, v0
	v_lshl_add_u32 v131, v131, 10, 0x2000
	v_lshlrev_b32_e32 v128, 7, v128
	s_delay_alu instid0(VALU_DEP_3) | instskip(NEXT) | instid1(VALU_DEP_3)
	v_and_b32_e32 v0, 0x8000, v0
	v_and_b32_e32 v131, 0xfc00, v131
	s_delay_alu instid0(VALU_DEP_1)
	v_or3_b32 v128, v0, v131, v128
.LBB305_1903:                           ;   in Loop: Header=BB305_991 Depth=1
	s_wait_alu 0xfffe
	s_or_b32 exec_lo, exec_lo, s14
.LBB305_1904:                           ;   in Loop: Header=BB305_991 Depth=1
	s_wait_alu 0xfffe
	s_or_b32 exec_lo, exec_lo, s13
.LBB305_1905:                           ;   in Loop: Header=BB305_991 Depth=1
	s_wait_alu 0xfffe
	s_or_b32 exec_lo, exec_lo, s12
	v_cmp_lt_u64_e64 s0, s[8:9], v[10:11]
	v_mov_b32_e32 v10, 0
	s_and_saveexec_b32 s12, s0
	s_cbranch_execz .LBB305_1913
; %bb.1906:                             ;   in Loop: Header=BB305_991 Depth=1
	v_lshrrev_b32_e32 v0, 24, v11
	v_bfrev_b32_e32 v10, 1
	s_mov_b32 s13, exec_lo
	s_delay_alu instid0(VALU_DEP_2)
	v_cmpx_ne_u32_e32 0x80, v0
	s_cbranch_execz .LBB305_1912
; %bb.1907:                             ;   in Loop: Header=BB305_991 Depth=1
	v_and_b32_e32 v131, 0x7f, v0
	v_mov_b32_e32 v10, 0x7c010000
	s_mov_b32 s14, exec_lo
	s_delay_alu instid0(VALU_DEP_2)
	v_cmpx_ne_u32_e32 0x7f, v131
	s_cbranch_execz .LBB305_1911
; %bb.1908:                             ;   in Loop: Header=BB305_991 Depth=1
	v_and_b32_e32 v10, 7, v0
	v_lshrrev_b32_e32 v11, 3, v131
	s_mov_b32 s15, exec_lo
	v_cmpx_gt_u32_e32 8, v131
; %bb.1909:                             ;   in Loop: Header=BB305_991 Depth=1
	s_delay_alu instid0(VALU_DEP_3) | instskip(NEXT) | instid1(VALU_DEP_1)
	v_clz_i32_u32_e32 v10, v10
	v_min_u32_e32 v131, 32, v10
	s_delay_alu instid0(VALU_DEP_1) | instskip(NEXT) | instid1(VALU_DEP_1)
	v_subrev_nc_u32_e32 v10, 28, v131
	v_lshlrev_b64_e32 v[10:11], v10, v[0:1]
	v_sub_nc_u32_e32 v11, 29, v131
	s_delay_alu instid0(VALU_DEP_2)
	v_and_b32_e32 v10, 7, v10
; %bb.1910:                             ;   in Loop: Header=BB305_991 Depth=1
	s_wait_alu 0xfffe
	s_or_b32 exec_lo, exec_lo, s15
	v_lshlrev_b32_e32 v0, 8, v0
	v_lshl_add_u32 v11, v11, 10, 0x2000
	v_lshlrev_b32_e32 v10, 23, v10
	s_delay_alu instid0(VALU_DEP_2) | instskip(NEXT) | instid1(VALU_DEP_1)
	v_and_or_b32 v0, 0x8000, v0, v11
	v_lshl_or_b32 v10, v0, 16, v10
.LBB305_1911:                           ;   in Loop: Header=BB305_991 Depth=1
	s_wait_alu 0xfffe
	s_or_b32 exec_lo, exec_lo, s14
.LBB305_1912:                           ;   in Loop: Header=BB305_991 Depth=1
	s_wait_alu 0xfffe
	s_or_b32 exec_lo, exec_lo, s13
.LBB305_1913:                           ;   in Loop: Header=BB305_991 Depth=1
	s_wait_alu 0xfffe
	s_or_b32 exec_lo, exec_lo, s12
	v_or_b32_e32 v0, v31, v119
	s_wait_loadcnt_dscnt 0x0
	v_fma_mixlo_f16 v11, v4, v31, 0 op_sel:[0,1,0] op_sel_hi:[0,1,0]
	v_or_b32_e32 v31, v5, v23
	v_fma_mixlo_f16 v5, v4, v5, 0 op_sel:[0,1,0] op_sel_hi:[0,1,0]
	v_or_b32_e32 v119, v130, v129
	v_fma_mixlo_f16 v129, v4, v0, 0 op_sel_hi:[0,1,0]
	v_or_b32_e32 v128, v10, v128
	v_lshlrev_b32_e32 v0, 16, v11
	v_lshlrev_b32_e32 v23, 16, v5
	v_fma_mixlo_f16 v11, v4, v31, 0 op_sel_hi:[0,1,0]
	v_and_b32_e32 v5, 0xffff, v129
	v_fma_mixlo_f16 v31, v4, v130, 0 op_sel:[0,1,0] op_sel_hi:[0,1,0]
	v_fma_mixlo_f16 v119, v4, v119, 0 op_sel_hi:[0,1,0]
	v_fma_mixlo_f16 v129, v4, v10, 0 op_sel:[0,1,0] op_sel_hi:[0,1,0]
	v_fma_mixlo_f16 v128, v4, v128, 0 op_sel_hi:[0,1,0]
	v_and_b32_e32 v131, 0xffff, v11
	v_lshlrev_b32_e32 v10, 16, v31
	v_and_b32_e32 v119, 0xffff, v119
	v_lshlrev_b32_e32 v4, 16, v129
	v_and_b32_e32 v11, 0xffff, v128
	v_or_b32_e32 v31, v0, v5
	v_or_b32_e32 v130, v23, v131
	;; [unrolled: 1-line block ×3, first 2 shown]
	s_delay_alu instid0(VALU_DEP_4)
	v_or_b32_e32 v128, v4, v11
	s_and_saveexec_b32 s12, vcc_lo
	s_cbranch_execz .LBB305_1915
; %bb.1914:                             ;   in Loop: Header=BB305_991 Depth=1
	v_cmp_lt_i32_e64 s0, v35, v30
	s_wait_alu 0xf1ff
	s_delay_alu instid0(VALU_DEP_1) | instskip(SKIP_2) | instid1(VALU_DEP_1)
	v_cndmask_b32_e64 v31, 0, v131, s0
	v_cmp_lt_i32_e64 s0, v70, v30
	s_wait_alu 0xf1ff
	v_cndmask_b32_e64 v23, 0, v23, s0
	v_cmp_lt_i32_e64 s0, v69, v30
	s_delay_alu instid0(VALU_DEP_2) | instskip(SKIP_1) | instid1(VALU_DEP_2)
	v_or_b32_e32 v130, v31, v23
	s_wait_alu 0xf1ff
	v_cndmask_b32_e64 v5, 0, v5, s0
	v_cmp_lt_i32_e64 s0, v68, v30
	s_wait_alu 0xf1ff
	s_delay_alu instid0(VALU_DEP_1) | instskip(SKIP_1) | instid1(VALU_DEP_2)
	v_cndmask_b32_e64 v0, 0, v0, s0
	v_cmp_lt_i32_e64 s0, v67, v30
	v_or_b32_e32 v31, v5, v0
	s_wait_alu 0xf1ff
	s_delay_alu instid0(VALU_DEP_2) | instskip(SKIP_2) | instid1(VALU_DEP_1)
	v_cndmask_b32_e64 v119, 0, v119, s0
	v_cmp_lt_i32_e64 s0, v66, v30
	s_wait_alu 0xf1ff
	v_cndmask_b32_e64 v10, 0, v10, s0
	v_cmp_lt_i32_e64 s0, v65, v30
	s_delay_alu instid0(VALU_DEP_2) | instskip(SKIP_1) | instid1(VALU_DEP_2)
	v_or_b32_e32 v129, v119, v10
	s_wait_alu 0xf1ff
	v_cndmask_b32_e64 v11, 0, v11, s0
	v_cmp_lt_i32_e64 s0, v14, v30
	s_wait_alu 0xf1ff
	s_delay_alu instid0(VALU_DEP_1) | instskip(NEXT) | instid1(VALU_DEP_1)
	v_cndmask_b32_e64 v4, 0, v4, s0
	v_or_b32_e32 v128, v11, v4
.LBB305_1915:                           ;   in Loop: Header=BB305_991 Depth=1
	s_wait_alu 0xfffe
	s_or_b32 exec_lo, exec_lo, s12
	;;#ASMSTART
	v_pk_mul_f16 v0, v55, v130;

	;;#ASMEND
	;;#ASMSTART
	v_pk_mul_f16 v4, v53, v31;

	;;#ASMEND
	;; [unrolled: 4-line block ×4, first 2 shown]
	;;#ASMSTART
	v_pk_add_f16 v0, v0, v4;

	;;#ASMEND
	;;#ASMSTART
	v_pk_add_f16 v0, v0, v5;

	;;#ASMEND
	;;#ASMSTART
	v_pk_add_f16 v0, v0, v10;

	;;#ASMEND
	v_dual_mov_b32 v11, 0 :: v_dual_and_b32 v4, 0xffff, v0
	v_lshrrev_b32_e32 v0, 16, v0
	;;#ASMSTART
	v_cvt_f32_f16 v4, v4;
	;;#ASMEND
	;;#ASMSTART
	v_cvt_f32_f16 v5, v0;
	;;#ASMEND
	flat_load_b64 v[8:9], v[8:9] offset:3584
	flat_load_b32 v10, v[26:27]
	s_mov_b32 s12, exec_lo
	s_wait_loadcnt_dscnt 0x101
	v_dual_mov_b32 v23, 0 :: v_dual_and_b32 v0, 0xff, v8
	s_delay_alu instid0(VALU_DEP_1)
	v_cmpx_ne_u16_e32 0, v0
	s_cbranch_execz .LBB305_1923
; %bb.1916:                             ;   in Loop: Header=BB305_991 Depth=1
	v_mov_b32_e32 v23, 0x8000
	s_mov_b32 s13, exec_lo
	v_cmpx_ne_u16_e32 0x80, v0
	s_cbranch_execz .LBB305_1922
; %bb.1917:                             ;   in Loop: Header=BB305_991 Depth=1
	v_and_b32_e32 v31, 0x7f, v8
	v_mov_b32_e32 v23, 0x7c01
	s_mov_b32 s14, exec_lo
	s_delay_alu instid0(VALU_DEP_2)
	v_cmpx_ne_u32_e32 0x7f, v31
	s_cbranch_execz .LBB305_1921
; %bb.1918:                             ;   in Loop: Header=BB305_991 Depth=1
	v_and_b32_e32 v0, 7, v8
	v_lshrrev_b32_e32 v23, 3, v31
	s_mov_b32 s15, exec_lo
	v_cmpx_gt_u32_e32 8, v31
; %bb.1919:                             ;   in Loop: Header=BB305_991 Depth=1
	s_delay_alu instid0(VALU_DEP_3) | instskip(NEXT) | instid1(VALU_DEP_1)
	v_clz_i32_u32_e32 v0, v0
	v_min_u32_e32 v0, 32, v0
	s_delay_alu instid0(VALU_DEP_1) | instskip(NEXT) | instid1(VALU_DEP_1)
	v_subrev_nc_u32_e32 v23, 28, v0
	v_lshlrev_b64_e32 v[128:129], v23, v[8:9]
	v_sub_nc_u32_e32 v23, 29, v0
	s_delay_alu instid0(VALU_DEP_2)
	v_and_b32_e32 v0, 7, v128
; %bb.1920:                             ;   in Loop: Header=BB305_991 Depth=1
	s_wait_alu 0xfffe
	s_or_b32 exec_lo, exec_lo, s15
	v_lshlrev_b32_e32 v31, 8, v8
	v_lshl_add_u32 v23, v23, 10, 0x2000
	v_lshlrev_b32_e32 v0, 7, v0
	s_delay_alu instid0(VALU_DEP_3) | instskip(NEXT) | instid1(VALU_DEP_3)
	v_and_b32_e32 v31, 0x8000, v31
	v_and_b32_e32 v23, 0xfc00, v23
	s_delay_alu instid0(VALU_DEP_1)
	v_or3_b32 v23, v31, v23, v0
.LBB305_1921:                           ;   in Loop: Header=BB305_991 Depth=1
	s_wait_alu 0xfffe
	s_or_b32 exec_lo, exec_lo, s14
.LBB305_1922:                           ;   in Loop: Header=BB305_991 Depth=1
	s_wait_alu 0xfffe
	s_or_b32 exec_lo, exec_lo, s13
.LBB305_1923:                           ;   in Loop: Header=BB305_991 Depth=1
	s_wait_alu 0xfffe
	s_or_b32 exec_lo, exec_lo, s12
	v_lshrrev_b16 v0, 8, v8
	s_mov_b32 s12, exec_lo
	s_delay_alu instid0(VALU_DEP_1)
	v_cmpx_ne_u16_e32 0, v0
	s_cbranch_execz .LBB305_1931
; %bb.1924:                             ;   in Loop: Header=BB305_991 Depth=1
	v_bfrev_b32_e32 v11, 1
	s_mov_b32 s13, exec_lo
	v_cmpx_ne_u16_e32 0x80, v0
	s_cbranch_execz .LBB305_1930
; %bb.1925:                             ;   in Loop: Header=BB305_991 Depth=1
	v_and_b32_e32 v31, 0xffff, v0
	v_mov_b32_e32 v11, 0x7c010000
	s_mov_b32 s14, exec_lo
	s_delay_alu instid0(VALU_DEP_2) | instskip(NEXT) | instid1(VALU_DEP_1)
	v_and_b32_e32 v128, 0x7f, v31
	v_cmpx_ne_u32_e32 0x7f, v128
	s_cbranch_execz .LBB305_1929
; %bb.1926:                             ;   in Loop: Header=BB305_991 Depth=1
	v_and_b32_e32 v11, 7, v31
	v_lshrrev_b32_e32 v119, 3, v128
	s_mov_b32 s15, exec_lo
	v_cmpx_gt_u32_e32 8, v128
; %bb.1927:                             ;   in Loop: Header=BB305_991 Depth=1
	s_delay_alu instid0(VALU_DEP_3) | instskip(NEXT) | instid1(VALU_DEP_1)
	v_clz_i32_u32_e32 v11, v11
	v_min_u32_e32 v11, 32, v11
	s_delay_alu instid0(VALU_DEP_1) | instskip(NEXT) | instid1(VALU_DEP_1)
	v_subrev_nc_u32_e32 v119, 28, v11
	v_lshlrev_b64_e32 v[128:129], v119, v[0:1]
	v_sub_nc_u32_e32 v119, 29, v11
	s_delay_alu instid0(VALU_DEP_2)
	v_and_b32_e32 v11, 7, v128
; %bb.1928:                             ;   in Loop: Header=BB305_991 Depth=1
	s_wait_alu 0xfffe
	s_or_b32 exec_lo, exec_lo, s15
	v_lshlrev_b32_e32 v0, 8, v31
	v_lshl_add_u32 v31, v119, 10, 0x2000
	v_lshlrev_b32_e32 v11, 23, v11
	s_delay_alu instid0(VALU_DEP_2) | instskip(NEXT) | instid1(VALU_DEP_1)
	v_and_or_b32 v0, 0x8000, v0, v31
	v_lshl_or_b32 v11, v0, 16, v11
.LBB305_1929:                           ;   in Loop: Header=BB305_991 Depth=1
	s_wait_alu 0xfffe
	s_or_b32 exec_lo, exec_lo, s14
.LBB305_1930:                           ;   in Loop: Header=BB305_991 Depth=1
	s_wait_alu 0xfffe
	s_or_b32 exec_lo, exec_lo, s13
.LBB305_1931:                           ;   in Loop: Header=BB305_991 Depth=1
	s_wait_alu 0xfffe
	s_or_b32 exec_lo, exec_lo, s12
	v_lshrrev_b32_e32 v0, 16, v8
	v_mov_b32_e32 v119, 0
	s_mov_b32 s12, exec_lo
	s_delay_alu instid0(VALU_DEP_2) | instskip(NEXT) | instid1(VALU_DEP_1)
	v_dual_mov_b32 v31, 0 :: v_dual_and_b32 v128, 0xff, v0
	v_cmpx_ne_u16_e64 0, v128
	s_cbranch_execz .LBB305_1939
; %bb.1932:                             ;   in Loop: Header=BB305_991 Depth=1
	v_mov_b32_e32 v119, 0x8000
	s_mov_b32 s13, exec_lo
	v_cmpx_ne_u16_e64 0x80, v128
	s_cbranch_execz .LBB305_1938
; %bb.1933:                             ;   in Loop: Header=BB305_991 Depth=1
	v_bfe_u32 v129, v8, 16, 7
	v_mov_b32_e32 v119, 0x7c01
	s_mov_b32 s14, exec_lo
	s_delay_alu instid0(VALU_DEP_2)
	v_cmpx_ne_u32_e32 0x7f, v129
	s_cbranch_execz .LBB305_1937
; %bb.1934:                             ;   in Loop: Header=BB305_991 Depth=1
	v_and_b32_e32 v119, 7, v0
	v_lshrrev_b32_e32 v128, 3, v129
	s_mov_b32 s15, exec_lo
	v_cmpx_gt_u32_e32 8, v129
; %bb.1935:                             ;   in Loop: Header=BB305_991 Depth=1
	s_delay_alu instid0(VALU_DEP_3) | instskip(NEXT) | instid1(VALU_DEP_1)
	v_clz_i32_u32_e32 v119, v119
	v_min_u32_e32 v119, 32, v119
	s_delay_alu instid0(VALU_DEP_1) | instskip(NEXT) | instid1(VALU_DEP_1)
	v_subrev_nc_u32_e32 v128, 28, v119
	v_lshlrev_b64_e32 v[129:130], v128, v[0:1]
	v_sub_nc_u32_e32 v128, 29, v119
	s_delay_alu instid0(VALU_DEP_2)
	v_and_b32_e32 v119, 7, v129
; %bb.1936:                             ;   in Loop: Header=BB305_991 Depth=1
	s_wait_alu 0xfffe
	s_or_b32 exec_lo, exec_lo, s15
	v_lshlrev_b32_e32 v0, 8, v0
	v_lshl_add_u32 v128, v128, 10, 0x2000
	v_lshlrev_b32_e32 v119, 7, v119
	s_delay_alu instid0(VALU_DEP_3) | instskip(NEXT) | instid1(VALU_DEP_3)
	v_and_b32_e32 v0, 0x8000, v0
	v_and_b32_e32 v128, 0xfc00, v128
	s_delay_alu instid0(VALU_DEP_1)
	v_or3_b32 v119, v0, v128, v119
.LBB305_1937:                           ;   in Loop: Header=BB305_991 Depth=1
	s_wait_alu 0xfffe
	s_or_b32 exec_lo, exec_lo, s14
.LBB305_1938:                           ;   in Loop: Header=BB305_991 Depth=1
	s_wait_alu 0xfffe
	s_or_b32 exec_lo, exec_lo, s13
.LBB305_1939:                           ;   in Loop: Header=BB305_991 Depth=1
	s_wait_alu 0xfffe
	s_or_b32 exec_lo, exec_lo, s12
	s_delay_alu instid0(SALU_CYCLE_1)
	s_mov_b32 s12, exec_lo
	v_cmpx_lt_u32_e32 0xffffff, v8
	s_cbranch_execz .LBB305_1947
; %bb.1940:                             ;   in Loop: Header=BB305_991 Depth=1
	v_lshrrev_b32_e32 v0, 24, v8
	v_bfrev_b32_e32 v31, 1
	s_mov_b32 s13, exec_lo
	s_delay_alu instid0(VALU_DEP_2)
	v_cmpx_ne_u32_e32 0x80, v0
	s_cbranch_execz .LBB305_1946
; %bb.1941:                             ;   in Loop: Header=BB305_991 Depth=1
	v_and_b32_e32 v129, 0x7f, v0
	v_mov_b32_e32 v31, 0x7c010000
	s_mov_b32 s14, exec_lo
	s_delay_alu instid0(VALU_DEP_2)
	v_cmpx_ne_u32_e32 0x7f, v129
	s_cbranch_execz .LBB305_1945
; %bb.1942:                             ;   in Loop: Header=BB305_991 Depth=1
	v_and_b32_e32 v31, 7, v0
	v_lshrrev_b32_e32 v128, 3, v129
	s_mov_b32 s15, exec_lo
	v_cmpx_gt_u32_e32 8, v129
; %bb.1943:                             ;   in Loop: Header=BB305_991 Depth=1
	s_delay_alu instid0(VALU_DEP_3) | instskip(NEXT) | instid1(VALU_DEP_1)
	v_clz_i32_u32_e32 v31, v31
	v_min_u32_e32 v31, 32, v31
	s_delay_alu instid0(VALU_DEP_1) | instskip(NEXT) | instid1(VALU_DEP_1)
	v_subrev_nc_u32_e32 v128, 28, v31
	v_lshlrev_b64_e32 v[129:130], v128, v[0:1]
	v_sub_nc_u32_e32 v128, 29, v31
	s_delay_alu instid0(VALU_DEP_2)
	v_and_b32_e32 v31, 7, v129
; %bb.1944:                             ;   in Loop: Header=BB305_991 Depth=1
	s_wait_alu 0xfffe
	s_or_b32 exec_lo, exec_lo, s15
	v_lshlrev_b32_e32 v0, 8, v0
	v_lshl_add_u32 v128, v128, 10, 0x2000
	v_lshlrev_b32_e32 v31, 23, v31
	s_delay_alu instid0(VALU_DEP_2) | instskip(NEXT) | instid1(VALU_DEP_1)
	v_and_or_b32 v0, 0x8000, v0, v128
	v_lshl_or_b32 v31, v0, 16, v31
.LBB305_1945:                           ;   in Loop: Header=BB305_991 Depth=1
	s_wait_alu 0xfffe
	s_or_b32 exec_lo, exec_lo, s14
.LBB305_1946:                           ;   in Loop: Header=BB305_991 Depth=1
	s_wait_alu 0xfffe
	s_or_b32 exec_lo, exec_lo, s13
.LBB305_1947:                           ;   in Loop: Header=BB305_991 Depth=1
	s_wait_alu 0xfffe
	s_or_b32 exec_lo, exec_lo, s12
	v_dual_mov_b32 v129, 0 :: v_dual_and_b32 v130, 0xff, v9
	v_mov_b32_e32 v0, v9
	v_mov_b32_e32 v128, 0
	s_mov_b32 s12, exec_lo
	s_delay_alu instid0(VALU_DEP_3)
	v_cmpx_ne_u16_e64 0, v130
	s_cbranch_execz .LBB305_1955
; %bb.1948:                             ;   in Loop: Header=BB305_991 Depth=1
	v_mov_b32_e32 v129, 0x8000
	s_mov_b32 s13, exec_lo
	v_cmpx_ne_u16_e64 0x80, v130
	s_cbranch_execz .LBB305_1954
; %bb.1949:                             ;   in Loop: Header=BB305_991 Depth=1
	v_and_b32_e32 v131, 0x7f, v9
	v_mov_b32_e32 v129, 0x7c01
	s_mov_b32 s14, exec_lo
	s_delay_alu instid0(VALU_DEP_2)
	v_cmpx_ne_u32_e32 0x7f, v131
	s_cbranch_execz .LBB305_1953
; %bb.1950:                             ;   in Loop: Header=BB305_991 Depth=1
	v_and_b32_e32 v129, 7, v9
	v_lshrrev_b32_e32 v130, 3, v131
	s_mov_b32 s15, exec_lo
	v_cmpx_gt_u32_e32 8, v131
; %bb.1951:                             ;   in Loop: Header=BB305_991 Depth=1
	s_delay_alu instid0(VALU_DEP_3) | instskip(NEXT) | instid1(VALU_DEP_1)
	v_clz_i32_u32_e32 v129, v129
	v_min_u32_e32 v131, 32, v129
	s_delay_alu instid0(VALU_DEP_1) | instskip(NEXT) | instid1(VALU_DEP_1)
	v_subrev_nc_u32_e32 v129, 28, v131
	v_lshlrev_b64_e32 v[129:130], v129, v[0:1]
	v_sub_nc_u32_e32 v130, 29, v131
	s_delay_alu instid0(VALU_DEP_2)
	v_and_b32_e32 v129, 7, v129
; %bb.1952:                             ;   in Loop: Header=BB305_991 Depth=1
	s_wait_alu 0xfffe
	s_or_b32 exec_lo, exec_lo, s15
	v_lshlrev_b32_e32 v131, 8, v9
	v_lshl_add_u32 v130, v130, 10, 0x2000
	v_lshlrev_b32_e32 v129, 7, v129
	s_delay_alu instid0(VALU_DEP_3) | instskip(NEXT) | instid1(VALU_DEP_3)
	v_and_b32_e32 v131, 0x8000, v131
	v_and_b32_e32 v130, 0xfc00, v130
	s_delay_alu instid0(VALU_DEP_1)
	v_or3_b32 v129, v131, v130, v129
.LBB305_1953:                           ;   in Loop: Header=BB305_991 Depth=1
	s_wait_alu 0xfffe
	s_or_b32 exec_lo, exec_lo, s14
.LBB305_1954:                           ;   in Loop: Header=BB305_991 Depth=1
	s_wait_alu 0xfffe
	s_or_b32 exec_lo, exec_lo, s13
.LBB305_1955:                           ;   in Loop: Header=BB305_991 Depth=1
	s_wait_alu 0xfffe
	s_or_b32 exec_lo, exec_lo, s12
	v_lshrrev_b16 v0, 8, v0
	v_mov_b32_e32 v130, 0
	s_mov_b32 s12, exec_lo
	s_delay_alu instid0(VALU_DEP_2)
	v_cmpx_ne_u16_e32 0, v0
	s_cbranch_execz .LBB305_1963
; %bb.1956:                             ;   in Loop: Header=BB305_991 Depth=1
	v_bfrev_b32_e32 v130, 1
	s_mov_b32 s13, exec_lo
	v_cmpx_ne_u16_e32 0x80, v0
	s_cbranch_execz .LBB305_1962
; %bb.1957:                             ;   in Loop: Header=BB305_991 Depth=1
	v_and_b32_e32 v131, 0xffff, v0
	v_mov_b32_e32 v130, 0x7c010000
	s_mov_b32 s14, exec_lo
	s_delay_alu instid0(VALU_DEP_2) | instskip(NEXT) | instid1(VALU_DEP_1)
	v_and_b32_e32 v133, 0x7f, v131
	v_cmpx_ne_u32_e32 0x7f, v133
	s_cbranch_execz .LBB305_1961
; %bb.1958:                             ;   in Loop: Header=BB305_991 Depth=1
	v_and_b32_e32 v130, 7, v131
	v_lshrrev_b32_e32 v132, 3, v133
	s_mov_b32 s15, exec_lo
	v_cmpx_gt_u32_e32 8, v133
; %bb.1959:                             ;   in Loop: Header=BB305_991 Depth=1
	s_delay_alu instid0(VALU_DEP_3) | instskip(NEXT) | instid1(VALU_DEP_1)
	v_clz_i32_u32_e32 v130, v130
	v_min_u32_e32 v130, 32, v130
	s_delay_alu instid0(VALU_DEP_1) | instskip(NEXT) | instid1(VALU_DEP_1)
	v_subrev_nc_u32_e32 v132, 28, v130
	v_lshlrev_b64_e32 v[133:134], v132, v[0:1]
	v_sub_nc_u32_e32 v132, 29, v130
	s_delay_alu instid0(VALU_DEP_2)
	v_and_b32_e32 v130, 7, v133
; %bb.1960:                             ;   in Loop: Header=BB305_991 Depth=1
	s_wait_alu 0xfffe
	s_or_b32 exec_lo, exec_lo, s15
	v_lshlrev_b32_e32 v0, 8, v131
	v_lshl_add_u32 v131, v132, 10, 0x2000
	v_lshlrev_b32_e32 v130, 23, v130
	s_delay_alu instid0(VALU_DEP_2) | instskip(NEXT) | instid1(VALU_DEP_1)
	v_and_or_b32 v0, 0x8000, v0, v131
	v_lshl_or_b32 v130, v0, 16, v130
.LBB305_1961:                           ;   in Loop: Header=BB305_991 Depth=1
	s_wait_alu 0xfffe
	s_or_b32 exec_lo, exec_lo, s14
.LBB305_1962:                           ;   in Loop: Header=BB305_991 Depth=1
	s_wait_alu 0xfffe
	s_or_b32 exec_lo, exec_lo, s13
.LBB305_1963:                           ;   in Loop: Header=BB305_991 Depth=1
	s_wait_alu 0xfffe
	s_or_b32 exec_lo, exec_lo, s12
	v_lshrrev_b32_e32 v0, 16, v9
	s_mov_b32 s12, exec_lo
	s_delay_alu instid0(VALU_DEP_1) | instskip(NEXT) | instid1(VALU_DEP_1)
	v_and_b32_e32 v131, 0xff, v0
	v_cmpx_ne_u16_e64 0, v131
	s_cbranch_execz .LBB305_1971
; %bb.1964:                             ;   in Loop: Header=BB305_991 Depth=1
	v_mov_b32_e32 v128, 0x8000
	s_mov_b32 s13, exec_lo
	v_cmpx_ne_u16_e64 0x80, v131
	s_cbranch_execz .LBB305_1970
; %bb.1965:                             ;   in Loop: Header=BB305_991 Depth=1
	v_bfe_u32 v132, v9, 16, 7
	v_mov_b32_e32 v128, 0x7c01
	s_mov_b32 s14, exec_lo
	s_delay_alu instid0(VALU_DEP_2)
	v_cmpx_ne_u32_e32 0x7f, v132
	s_cbranch_execz .LBB305_1969
; %bb.1966:                             ;   in Loop: Header=BB305_991 Depth=1
	v_and_b32_e32 v128, 7, v0
	v_lshrrev_b32_e32 v131, 3, v132
	s_mov_b32 s15, exec_lo
	v_cmpx_gt_u32_e32 8, v132
; %bb.1967:                             ;   in Loop: Header=BB305_991 Depth=1
	s_delay_alu instid0(VALU_DEP_3) | instskip(NEXT) | instid1(VALU_DEP_1)
	v_clz_i32_u32_e32 v128, v128
	v_min_u32_e32 v128, 32, v128
	s_delay_alu instid0(VALU_DEP_1) | instskip(NEXT) | instid1(VALU_DEP_1)
	v_subrev_nc_u32_e32 v131, 28, v128
	v_lshlrev_b64_e32 v[132:133], v131, v[0:1]
	v_sub_nc_u32_e32 v131, 29, v128
	s_delay_alu instid0(VALU_DEP_2)
	v_and_b32_e32 v128, 7, v132
; %bb.1968:                             ;   in Loop: Header=BB305_991 Depth=1
	s_wait_alu 0xfffe
	s_or_b32 exec_lo, exec_lo, s15
	v_lshlrev_b32_e32 v0, 8, v0
	v_lshl_add_u32 v131, v131, 10, 0x2000
	v_lshlrev_b32_e32 v128, 7, v128
	s_delay_alu instid0(VALU_DEP_3) | instskip(NEXT) | instid1(VALU_DEP_3)
	v_and_b32_e32 v0, 0x8000, v0
	v_and_b32_e32 v131, 0xfc00, v131
	s_delay_alu instid0(VALU_DEP_1)
	v_or3_b32 v128, v0, v131, v128
.LBB305_1969:                           ;   in Loop: Header=BB305_991 Depth=1
	s_wait_alu 0xfffe
	s_or_b32 exec_lo, exec_lo, s14
.LBB305_1970:                           ;   in Loop: Header=BB305_991 Depth=1
	s_wait_alu 0xfffe
	s_or_b32 exec_lo, exec_lo, s13
.LBB305_1971:                           ;   in Loop: Header=BB305_991 Depth=1
	s_wait_alu 0xfffe
	s_or_b32 exec_lo, exec_lo, s12
	v_cmp_lt_u64_e64 s0, s[8:9], v[8:9]
	v_mov_b32_e32 v8, 0
	s_and_saveexec_b32 s12, s0
	s_cbranch_execz .LBB305_1979
; %bb.1972:                             ;   in Loop: Header=BB305_991 Depth=1
	v_lshrrev_b32_e32 v0, 24, v9
	v_bfrev_b32_e32 v8, 1
	s_mov_b32 s13, exec_lo
	s_delay_alu instid0(VALU_DEP_2)
	v_cmpx_ne_u32_e32 0x80, v0
	s_cbranch_execz .LBB305_1978
; %bb.1973:                             ;   in Loop: Header=BB305_991 Depth=1
	v_and_b32_e32 v131, 0x7f, v0
	v_mov_b32_e32 v8, 0x7c010000
	s_mov_b32 s14, exec_lo
	s_delay_alu instid0(VALU_DEP_2)
	v_cmpx_ne_u32_e32 0x7f, v131
	s_cbranch_execz .LBB305_1977
; %bb.1974:                             ;   in Loop: Header=BB305_991 Depth=1
	v_and_b32_e32 v8, 7, v0
	v_lshrrev_b32_e32 v9, 3, v131
	s_mov_b32 s15, exec_lo
	v_cmpx_gt_u32_e32 8, v131
; %bb.1975:                             ;   in Loop: Header=BB305_991 Depth=1
	s_delay_alu instid0(VALU_DEP_3) | instskip(NEXT) | instid1(VALU_DEP_1)
	v_clz_i32_u32_e32 v8, v8
	v_min_u32_e32 v131, 32, v8
	s_delay_alu instid0(VALU_DEP_1) | instskip(NEXT) | instid1(VALU_DEP_1)
	v_subrev_nc_u32_e32 v8, 28, v131
	v_lshlrev_b64_e32 v[8:9], v8, v[0:1]
	v_sub_nc_u32_e32 v9, 29, v131
	s_delay_alu instid0(VALU_DEP_2)
	v_and_b32_e32 v8, 7, v8
; %bb.1976:                             ;   in Loop: Header=BB305_991 Depth=1
	s_wait_alu 0xfffe
	s_or_b32 exec_lo, exec_lo, s15
	v_lshlrev_b32_e32 v0, 8, v0
	v_lshl_add_u32 v9, v9, 10, 0x2000
	v_lshlrev_b32_e32 v8, 23, v8
	s_delay_alu instid0(VALU_DEP_2) | instskip(NEXT) | instid1(VALU_DEP_1)
	v_and_or_b32 v0, 0x8000, v0, v9
	v_lshl_or_b32 v8, v0, 16, v8
.LBB305_1977:                           ;   in Loop: Header=BB305_991 Depth=1
	s_wait_alu 0xfffe
	s_or_b32 exec_lo, exec_lo, s14
.LBB305_1978:                           ;   in Loop: Header=BB305_991 Depth=1
	s_wait_alu 0xfffe
	s_or_b32 exec_lo, exec_lo, s13
.LBB305_1979:                           ;   in Loop: Header=BB305_991 Depth=1
	s_wait_alu 0xfffe
	s_or_b32 exec_lo, exec_lo, s12
	v_or_b32_e32 v0, v31, v119
	s_wait_loadcnt_dscnt 0x0
	v_fma_mixlo_f16 v9, v10, v31, 0 op_sel:[0,1,0] op_sel_hi:[0,1,0]
	v_or_b32_e32 v23, v11, v23
	v_fma_mixlo_f16 v31, v10, v11, 0 op_sel:[0,1,0] op_sel_hi:[0,1,0]
	v_or_b32_e32 v119, v130, v129
	v_fma_mixlo_f16 v0, v10, v0, 0 op_sel_hi:[0,1,0]
	v_or_b32_e32 v128, v8, v128
	v_lshlrev_b32_e32 v11, 16, v9
	v_lshlrev_b32_e32 v129, 16, v31
	v_fma_mixlo_f16 v9, v10, v23, 0 op_sel_hi:[0,1,0]
	v_and_b32_e32 v31, 0xffff, v0
	v_fma_mixlo_f16 v0, v10, v130, 0 op_sel:[0,1,0] op_sel_hi:[0,1,0]
	v_fma_mixlo_f16 v23, v10, v119, 0 op_sel_hi:[0,1,0]
	v_fma_mixlo_f16 v8, v10, v8, 0 op_sel:[0,1,0] op_sel_hi:[0,1,0]
	v_fma_mixlo_f16 v10, v10, v128, 0 op_sel_hi:[0,1,0]
	v_and_b32_e32 v131, 0xffff, v9
	v_lshlrev_b32_e32 v119, 16, v0
	v_and_b32_e32 v130, 0xffff, v23
	v_lshlrev_b32_e32 v23, 16, v8
	v_and_b32_e32 v128, 0xffff, v10
	v_or_b32_e32 v0, v11, v31
	v_or_b32_e32 v10, v129, v131
	v_or_b32_e32 v9, v119, v130
	s_delay_alu instid0(VALU_DEP_4)
	v_or_b32_e32 v8, v23, v128
	s_and_saveexec_b32 s0, vcc_lo
	s_cbranch_execz .LBB305_990
; %bb.1980:                             ;   in Loop: Header=BB305_991 Depth=1
	v_cmp_lt_i32_e32 vcc_lo, v35, v30
	s_wait_alu 0xfffd
	v_cndmask_b32_e32 v0, 0, v131, vcc_lo
	v_cmp_lt_i32_e32 vcc_lo, v70, v30
	s_wait_alu 0xfffd
	v_cndmask_b32_e32 v8, 0, v129, vcc_lo
	;; [unrolled: 3-line block ×5, first 2 shown]
	v_cmp_lt_i32_e32 vcc_lo, v66, v30
	v_or_b32_e32 v10, v0, v8
	v_or_b32_e32 v0, v9, v11
	s_wait_alu 0xfffd
	v_cndmask_b32_e32 v35, 0, v119, vcc_lo
	v_cmp_lt_i32_e32 vcc_lo, v65, v30
	s_delay_alu instid0(VALU_DEP_2)
	v_or_b32_e32 v9, v31, v35
	s_wait_alu 0xfffd
	v_cndmask_b32_e32 v65, 0, v128, vcc_lo
	v_cmp_lt_i32_e32 vcc_lo, v14, v30
	s_wait_alu 0xfffd
	v_cndmask_b32_e32 v23, 0, v23, vcc_lo
	s_delay_alu instid0(VALU_DEP_1)
	v_or_b32_e32 v8, v65, v23
	s_branch .LBB305_990
.LBB305_1981:
	s_or_b32 exec_lo, exec_lo, s5
	v_dual_mov_b32 v0, s6 :: v_dual_mov_b32 v1, s7
.LBB305_1982:
	s_or_b32 exec_lo, exec_lo, s3
	s_delay_alu instid0(VALU_DEP_1)
	v_lshlrev_b64_e32 v[0:1], 2, v[0:1]
	s_getpc_b64 s[6:7]
	s_wait_alu 0xfffe
	s_sext_i32_i16 s7, s7
	s_add_co_u32 s6, s6, llvm.amdgcn.dynlds.offset.table@rel32@lo+12
	s_wait_alu 0xfffe
	s_add_co_ci_u32 s7, s7, llvm.amdgcn.dynlds.offset.table@rel32@hi+24
	s_wait_storecnt 0x0
	s_wait_loadcnt_dscnt 0x0
	s_barrier_signal -1
	s_barrier_wait -1
	global_inv scope:SCOPE_SE
	v_add_co_u32 v0, vcc_lo, s6, v0
	s_wait_alu 0xfffc
	v_add_co_ci_u32_e64 v1, null, s7, v1, vcc_lo
	ds_bpermute_b32 v2, v16, v51
	ds_bpermute_b32 v3, v16, v50
	;; [unrolled: 1-line block ×3, first 2 shown]
	global_load_b32 v22, v[0:1], off
	ds_bpermute_b32 v0, v16, v49
	ds_bpermute_b32 v1, v16, v52
	;; [unrolled: 1-line block ×12, first 2 shown]
	s_mov_b32 s0, exec_lo
	s_wait_dscnt 0xd
	v_dual_add_f32 v2, v51, v2 :: v_dual_add_f32 v3, v50, v3
	s_wait_dscnt 0xc
	v_add_f32_e32 v21, v21, v11
	s_wait_dscnt 0xa
	v_dual_add_f32 v0, v49, v0 :: v_dual_add_f32 v1, v52, v1
	ds_bpermute_b32 v11, v13, v3
	s_wait_dscnt 0x9
	v_dual_add_f32 v4, v48, v4 :: v_dual_add_f32 v5, v39, v5
	s_wait_dscnt 0x7
	v_dual_add_f32 v6, v38, v6 :: v_dual_add_f32 v7, v29, v7
	s_wait_dscnt 0x6
	v_add_f32_e32 v23, v28, v8
	s_wait_dscnt 0x4
	v_dual_add_f32 v25, v25, v9 :: v_dual_add_f32 v24, v24, v10
	s_wait_dscnt 0x3
	v_add_f32_e32 v20, v20, v14
	s_wait_dscnt 0x2
	v_add_f32_e32 v26, v19, v15
	;; [unrolled: 2-line block ×3, first 2 shown]
	ds_bpermute_b32 v9, v13, v1
	ds_bpermute_b32 v8, v13, v0
	;; [unrolled: 1-line block ×13, first 2 shown]
	s_wait_dscnt 0xd
	v_add_f32_e32 v11, v3, v11
	ds_bpermute_b32 v37, v13, v18
	v_and_b32_e32 v13, 31, v12
	s_wait_dscnt 0xd
	v_dual_add_f32 v14, v1, v9 :: v_dual_and_b32 v39, 0x3c3, v12
	s_delay_alu instid0(VALU_DEP_2)
	v_lshrrev_b32_e32 v16, 2, v13
	s_wait_dscnt 0xc
	v_dual_add_f32 v15, v0, v8 :: v_dual_and_b32 v38, 28, v13
	v_lshrrev_b32_e32 v13, 5, v12
	s_wait_dscnt 0x8
	v_dual_add_f32 v9, v5, v28 :: v_dual_add_f32 v8, v6, v29
	s_wait_dscnt 0x7
	v_add_f32_e32 v7, v7, v30
	s_wait_dscnt 0x6
	v_add_f32_e32 v6, v23, v31
	v_mul_u32_u24_e32 v19, 0x1e0, v13
	v_dual_add_f32 v13, v2, v10 :: v_dual_add_f32 v10, v4, v27
	s_wait_dscnt 0x2
	v_dual_add_f32 v5, v25, v32 :: v_dual_add_f32 v2, v20, v35
	v_dual_add_f32 v4, v24, v33 :: v_dual_add_f32 v3, v21, v34
	s_wait_dscnt 0x0
	v_add_f32_e32 v0, v18, v37
	v_add_f32_e32 v1, v26, v36
	s_wait_loadcnt 0x0
	v_add_nc_u32_e32 v18, v22, v38
	v_cmpx_eq_u32_e32 64, v39
	s_cbranch_execz .LBB305_1984
; %bb.1983:
	s_delay_alu instid0(VALU_DEP_2) | instskip(NEXT) | instid1(VALU_DEP_1)
	v_add_nc_u32_e32 v20, v18, v19
	v_add_nc_u32_e32 v21, 0xfffffc40, v20
	;; [unrolled: 1-line block ×9, first 2 shown]
	ds_store_b32 v21, v15
	ds_store_b32 v23, v14
	;; [unrolled: 1-line block ×8, first 2 shown]
	v_add_nc_u32_e32 v21, 0xfffffd40, v20
	v_add_nc_u32_e32 v23, 0xfffffd60, v20
	;; [unrolled: 1-line block ×7, first 2 shown]
	ds_store_b32 v21, v6
	ds_store_b32 v23, v5
	;; [unrolled: 1-line block ×7, first 2 shown]
.LBB305_1984:
	s_wait_alu 0xfffe
	s_or_b32 exec_lo, exec_lo, s0
	v_lshlrev_b32_e32 v16, 2, v16
	v_cmp_eq_u32_e32 vcc_lo, 0, v17
	v_cmp_gt_u32_e64 s0, 64, v12
	s_wait_dscnt 0x0
	s_barrier_signal -1
	v_add3_u32 v16, v22, v19, v16
	s_barrier_wait -1
	global_inv scope:SCOPE_SE
	s_mov_b32 s3, exec_lo
	s_clause 0x1
	scratch_load_b32 v19, off, s32 offset:336
	scratch_load_b32 v20, off, s32 offset:340
	s_wait_alu 0xfffe
	s_and_b32 s0, s3, s0
	s_wait_alu 0xfffe
	s_mov_b32 exec_lo, s0
	s_cbranch_execz .LBB305_2002
; %bb.1985:
	s_and_saveexec_b32 s0, vcc_lo
	s_cbranch_execnz .LBB305_2025
; %bb.1986:
	s_wait_alu 0xfffe
	s_or_b32 exec_lo, exec_lo, s0
	s_and_saveexec_b32 s0, vcc_lo
	s_cbranch_execnz .LBB305_2026
.LBB305_1987:
	s_wait_alu 0xfffe
	s_or_b32 exec_lo, exec_lo, s0
	s_and_saveexec_b32 s0, vcc_lo
	s_cbranch_execnz .LBB305_2027
.LBB305_1988:
	s_wait_alu 0xfffe
	s_or_b32 exec_lo, exec_lo, s0
	s_and_saveexec_b32 s0, vcc_lo
	s_cbranch_execnz .LBB305_2028
.LBB305_1989:
	s_wait_alu 0xfffe
	s_or_b32 exec_lo, exec_lo, s0
	s_and_saveexec_b32 s0, vcc_lo
	s_cbranch_execnz .LBB305_2029
.LBB305_1990:
	s_wait_alu 0xfffe
	s_or_b32 exec_lo, exec_lo, s0
	s_and_saveexec_b32 s0, vcc_lo
	s_cbranch_execnz .LBB305_2030
.LBB305_1991:
	s_wait_alu 0xfffe
	s_or_b32 exec_lo, exec_lo, s0
	s_and_saveexec_b32 s0, vcc_lo
	s_cbranch_execnz .LBB305_2031
.LBB305_1992:
	s_wait_alu 0xfffe
	s_or_b32 exec_lo, exec_lo, s0
	s_and_saveexec_b32 s0, vcc_lo
	s_cbranch_execnz .LBB305_2032
.LBB305_1993:
	s_wait_alu 0xfffe
	s_or_b32 exec_lo, exec_lo, s0
	s_and_saveexec_b32 s0, vcc_lo
	s_cbranch_execnz .LBB305_2033
.LBB305_1994:
	s_wait_alu 0xfffe
	s_or_b32 exec_lo, exec_lo, s0
	s_and_saveexec_b32 s0, vcc_lo
	s_cbranch_execnz .LBB305_2034
.LBB305_1995:
	s_wait_alu 0xfffe
	s_or_b32 exec_lo, exec_lo, s0
	s_and_saveexec_b32 s0, vcc_lo
	s_cbranch_execnz .LBB305_2035
.LBB305_1996:
	s_wait_alu 0xfffe
	s_or_b32 exec_lo, exec_lo, s0
	s_and_saveexec_b32 s0, vcc_lo
	s_cbranch_execnz .LBB305_2036
.LBB305_1997:
	s_wait_alu 0xfffe
	s_or_b32 exec_lo, exec_lo, s0
	s_and_saveexec_b32 s0, vcc_lo
	s_cbranch_execnz .LBB305_2037
.LBB305_1998:
	s_wait_alu 0xfffe
	s_or_b32 exec_lo, exec_lo, s0
	s_and_saveexec_b32 s0, vcc_lo
	s_cbranch_execnz .LBB305_2038
.LBB305_1999:
	s_wait_alu 0xfffe
	s_or_b32 exec_lo, exec_lo, s0
	s_and_saveexec_b32 s0, vcc_lo
	s_cbranch_execz .LBB305_2001
.LBB305_2000:
	ds_load_b32 v17, v16 offset:448
	s_wait_dscnt 0x0
	v_add_f32_e32 v0, v17, v0
.LBB305_2001:
	s_wait_alu 0xfffe
	s_or_b32 exec_lo, exec_lo, s0
.LBB305_2002:
	s_delay_alu instid0(SALU_CYCLE_1)
	s_or_b32 exec_lo, exec_lo, s3
	v_and_b32_e32 v17, 0x3e3, v12
	s_mov_b32 s3, exec_lo
	s_wait_loadcnt 0x0
	s_barrier_signal -1
	s_barrier_wait -1
	global_inv scope:SCOPE_SE
	v_cmpx_eq_u32_e32 32, v17
	s_cbranch_execz .LBB305_2004
; %bb.2003:
	ds_store_2addr_b32 v18, v15, v14 offset1:8
	ds_store_2addr_b32 v18, v13, v11 offset0:16 offset1:24
	ds_store_2addr_b32 v18, v10, v9 offset0:32 offset1:40
	ds_store_2addr_b32 v18, v8, v7 offset0:48 offset1:56
	ds_store_2addr_b32 v18, v6, v5 offset0:64 offset1:72
	ds_store_2addr_b32 v18, v4, v3 offset0:80 offset1:88
	ds_store_2addr_b32 v18, v2, v1 offset0:96 offset1:104
	ds_store_b32 v18, v0 offset:448
.LBB305_2004:
	s_wait_alu 0xfffe
	s_or_b32 exec_lo, exec_lo, s3
	s_delay_alu instid0(SALU_CYCLE_1)
	s_mov_b32 s3, exec_lo
	s_wait_loadcnt_dscnt 0x0
	s_barrier_signal -1
	s_barrier_wait -1
	global_inv scope:SCOPE_SE
	v_cmpx_gt_u32_e32 32, v12
	s_cbranch_execz .LBB305_2022
; %bb.2005:
	s_and_saveexec_b32 s0, vcc_lo
	s_cbranch_execnz .LBB305_2039
; %bb.2006:
	s_wait_alu 0xfffe
	s_or_b32 exec_lo, exec_lo, s0
	s_and_saveexec_b32 s0, vcc_lo
	s_cbranch_execnz .LBB305_2040
.LBB305_2007:
	s_wait_alu 0xfffe
	s_or_b32 exec_lo, exec_lo, s0
	s_and_saveexec_b32 s0, vcc_lo
	s_cbranch_execnz .LBB305_2041
.LBB305_2008:
	s_wait_alu 0xfffe
	s_or_b32 exec_lo, exec_lo, s0
	s_and_saveexec_b32 s0, vcc_lo
	s_cbranch_execnz .LBB305_2042
.LBB305_2009:
	s_wait_alu 0xfffe
	s_or_b32 exec_lo, exec_lo, s0
	s_and_saveexec_b32 s0, vcc_lo
	s_cbranch_execnz .LBB305_2043
.LBB305_2010:
	s_wait_alu 0xfffe
	s_or_b32 exec_lo, exec_lo, s0
	s_and_saveexec_b32 s0, vcc_lo
	s_cbranch_execnz .LBB305_2044
.LBB305_2011:
	s_wait_alu 0xfffe
	s_or_b32 exec_lo, exec_lo, s0
	s_and_saveexec_b32 s0, vcc_lo
	s_cbranch_execnz .LBB305_2045
.LBB305_2012:
	s_wait_alu 0xfffe
	s_or_b32 exec_lo, exec_lo, s0
	s_and_saveexec_b32 s0, vcc_lo
	s_cbranch_execnz .LBB305_2046
.LBB305_2013:
	s_wait_alu 0xfffe
	s_or_b32 exec_lo, exec_lo, s0
	s_and_saveexec_b32 s0, vcc_lo
	s_cbranch_execnz .LBB305_2047
.LBB305_2014:
	s_wait_alu 0xfffe
	s_or_b32 exec_lo, exec_lo, s0
	s_and_saveexec_b32 s0, vcc_lo
	s_cbranch_execnz .LBB305_2048
.LBB305_2015:
	s_wait_alu 0xfffe
	s_or_b32 exec_lo, exec_lo, s0
	s_and_saveexec_b32 s0, vcc_lo
	s_cbranch_execnz .LBB305_2049
.LBB305_2016:
	s_wait_alu 0xfffe
	s_or_b32 exec_lo, exec_lo, s0
	s_and_saveexec_b32 s0, vcc_lo
	s_cbranch_execnz .LBB305_2050
.LBB305_2017:
	s_wait_alu 0xfffe
	s_or_b32 exec_lo, exec_lo, s0
	s_and_saveexec_b32 s0, vcc_lo
	s_cbranch_execnz .LBB305_2051
.LBB305_2018:
	s_wait_alu 0xfffe
	s_or_b32 exec_lo, exec_lo, s0
	s_and_saveexec_b32 s0, vcc_lo
	s_cbranch_execnz .LBB305_2052
.LBB305_2019:
	s_wait_alu 0xfffe
	s_or_b32 exec_lo, exec_lo, s0
	s_and_saveexec_b32 s0, vcc_lo
	s_cbranch_execz .LBB305_2021
.LBB305_2020:
	ds_load_b32 v16, v16 offset:448
	s_wait_dscnt 0x0
	v_add_f32_e32 v0, v16, v0
.LBB305_2021:
	s_wait_alu 0xfffe
	s_or_b32 exec_lo, exec_lo, s0
.LBB305_2022:
	s_wait_alu 0xfffe
	s_or_b32 exec_lo, exec_lo, s3
	v_cmp_eq_u32_e32 vcc_lo, 0, v17
	s_wait_loadcnt 0x0
	s_barrier_signal -1
	s_barrier_wait -1
	global_inv scope:SCOPE_SE
	s_and_b32 exec_lo, exec_lo, vcc_lo
	s_cbranch_execz .LBB305_2024
; %bb.2023:
	s_mul_i32 s0, s2, 0x78
	s_mul_i32 s2, s4, s1
	s_wait_alu 0xfffe
	s_ashr_i32 s1, s0, 31
	s_ashr_i32 s3, s2, 31
	s_wait_alu 0xfffe
	s_lshl_b64 s[0:1], s[0:1], 1
	s_mulk_i32 s11, 0xf0
	s_wait_alu 0xfffe
	v_add_co_u32 v16, vcc_lo, v20, s0
	s_wait_alu 0xfffd
	v_add_co_ci_u32_e64 v17, null, s1, v19, vcc_lo
	s_lshl_b64 s[0:1], s[2:3], 1
	v_lshrrev_b32_e32 v12, 1, v12
	s_wait_alu 0xfffe
	v_add_co_u32 v16, vcc_lo, v16, s0
	s_wait_alu 0xfffd
	v_add_co_ci_u32_e64 v17, null, s1, v17, vcc_lo
	s_delay_alu instid0(VALU_DEP_2) | instskip(SKIP_1) | instid1(VALU_DEP_2)
	v_add_co_u32 v16, vcc_lo, v16, s11
	s_wait_alu 0xfffd
	v_add_co_ci_u32_e64 v17, null, 0, v17, vcc_lo
	s_delay_alu instid0(VALU_DEP_2) | instskip(SKIP_1) | instid1(VALU_DEP_2)
	v_add_co_u32 v16, vcc_lo, v16, v12
	s_wait_alu 0xfffd
	v_add_co_ci_u32_e64 v17, null, 0, v17, vcc_lo
	;;#ASMSTART
	v_cvt_f16_f32 v12, v15;

	;;#ASMEND
	flat_store_b16 v[16:17], v12
	;;#ASMSTART
	v_cvt_f16_f32 v12, v14;

	;;#ASMEND
	flat_store_b16 v[16:17], v12 offset:16
	;;#ASMSTART
	v_cvt_f16_f32 v12, v13;

	;;#ASMEND
	flat_store_b16 v[16:17], v12 offset:32
	;; [unrolled: 5-line block ×14, first 2 shown]
.LBB305_2024:
	s_or_b32 exec_lo, exec_lo, s10
	s_clause 0x1f
	scratch_load_b32 v191, off, s32
	scratch_load_b32 v190, off, s32 offset:4
	scratch_load_b32 v189, off, s32 offset:8
	;; [unrolled: 1-line block ×31, first 2 shown]
	s_clause 0x1f
	scratch_load_b32 v127, off, s32 offset:128
	scratch_load_b32 v126, off, s32 offset:132
	;; [unrolled: 1-line block ×32, first 2 shown]
	s_clause 0xf
	scratch_load_b32 v63, off, s32 offset:256
	scratch_load_b32 v62, off, s32 offset:260
	;; [unrolled: 1-line block ×16, first 2 shown]
	s_wait_loadcnt_dscnt 0x0
	s_setpc_b64 s[30:31]
.LBB305_2025:
	ds_load_b32 v17, v16
	s_wait_dscnt 0x0
	v_add_f32_e32 v15, v17, v15
	s_wait_alu 0xfffe
	s_or_b32 exec_lo, exec_lo, s0
	s_and_saveexec_b32 s0, vcc_lo
	s_cbranch_execz .LBB305_1987
.LBB305_2026:
	ds_load_b32 v17, v16 offset:32
	s_wait_dscnt 0x0
	v_add_f32_e32 v14, v17, v14
	s_wait_alu 0xfffe
	s_or_b32 exec_lo, exec_lo, s0
	s_and_saveexec_b32 s0, vcc_lo
	s_cbranch_execz .LBB305_1988
.LBB305_2027:
	ds_load_b32 v17, v16 offset:64
	s_wait_dscnt 0x0
	v_add_f32_e32 v13, v17, v13
	s_wait_alu 0xfffe
	s_or_b32 exec_lo, exec_lo, s0
	s_and_saveexec_b32 s0, vcc_lo
	s_cbranch_execz .LBB305_1989
.LBB305_2028:
	ds_load_b32 v17, v16 offset:96
	s_wait_dscnt 0x0
	v_add_f32_e32 v11, v17, v11
	s_wait_alu 0xfffe
	s_or_b32 exec_lo, exec_lo, s0
	s_and_saveexec_b32 s0, vcc_lo
	s_cbranch_execz .LBB305_1990
.LBB305_2029:
	ds_load_b32 v17, v16 offset:128
	s_wait_dscnt 0x0
	v_add_f32_e32 v10, v17, v10
	s_wait_alu 0xfffe
	s_or_b32 exec_lo, exec_lo, s0
	s_and_saveexec_b32 s0, vcc_lo
	s_cbranch_execz .LBB305_1991
.LBB305_2030:
	ds_load_b32 v17, v16 offset:160
	s_wait_dscnt 0x0
	v_add_f32_e32 v9, v17, v9
	s_wait_alu 0xfffe
	s_or_b32 exec_lo, exec_lo, s0
	s_and_saveexec_b32 s0, vcc_lo
	s_cbranch_execz .LBB305_1992
.LBB305_2031:
	ds_load_b32 v17, v16 offset:192
	s_wait_dscnt 0x0
	v_add_f32_e32 v8, v17, v8
	s_wait_alu 0xfffe
	s_or_b32 exec_lo, exec_lo, s0
	s_and_saveexec_b32 s0, vcc_lo
	s_cbranch_execz .LBB305_1993
.LBB305_2032:
	ds_load_b32 v17, v16 offset:224
	s_wait_dscnt 0x0
	v_add_f32_e32 v7, v17, v7
	s_wait_alu 0xfffe
	s_or_b32 exec_lo, exec_lo, s0
	s_and_saveexec_b32 s0, vcc_lo
	s_cbranch_execz .LBB305_1994
.LBB305_2033:
	ds_load_b32 v17, v16 offset:256
	s_wait_dscnt 0x0
	v_add_f32_e32 v6, v17, v6
	s_wait_alu 0xfffe
	s_or_b32 exec_lo, exec_lo, s0
	s_and_saveexec_b32 s0, vcc_lo
	s_cbranch_execz .LBB305_1995
.LBB305_2034:
	ds_load_b32 v17, v16 offset:288
	s_wait_dscnt 0x0
	v_add_f32_e32 v5, v17, v5
	s_wait_alu 0xfffe
	s_or_b32 exec_lo, exec_lo, s0
	s_and_saveexec_b32 s0, vcc_lo
	s_cbranch_execz .LBB305_1996
.LBB305_2035:
	ds_load_b32 v17, v16 offset:320
	s_wait_dscnt 0x0
	v_add_f32_e32 v4, v17, v4
	s_wait_alu 0xfffe
	s_or_b32 exec_lo, exec_lo, s0
	s_and_saveexec_b32 s0, vcc_lo
	s_cbranch_execz .LBB305_1997
.LBB305_2036:
	ds_load_b32 v17, v16 offset:352
	s_wait_dscnt 0x0
	v_add_f32_e32 v3, v17, v3
	s_wait_alu 0xfffe
	s_or_b32 exec_lo, exec_lo, s0
	s_and_saveexec_b32 s0, vcc_lo
	s_cbranch_execz .LBB305_1998
.LBB305_2037:
	ds_load_b32 v17, v16 offset:384
	s_wait_dscnt 0x0
	v_add_f32_e32 v2, v17, v2
	s_wait_alu 0xfffe
	s_or_b32 exec_lo, exec_lo, s0
	s_and_saveexec_b32 s0, vcc_lo
	s_cbranch_execz .LBB305_1999
.LBB305_2038:
	ds_load_b32 v17, v16 offset:416
	s_wait_dscnt 0x0
	v_add_f32_e32 v1, v17, v1
	s_wait_alu 0xfffe
	s_or_b32 exec_lo, exec_lo, s0
	s_and_saveexec_b32 s0, vcc_lo
	s_cbranch_execnz .LBB305_2000
	s_branch .LBB305_2001
.LBB305_2039:
	ds_load_b32 v18, v16
	s_wait_dscnt 0x0
	v_add_f32_e32 v15, v18, v15
	s_wait_alu 0xfffe
	s_or_b32 exec_lo, exec_lo, s0
	s_and_saveexec_b32 s0, vcc_lo
	s_cbranch_execz .LBB305_2007
.LBB305_2040:
	ds_load_b32 v18, v16 offset:32
	s_wait_dscnt 0x0
	v_add_f32_e32 v14, v18, v14
	s_wait_alu 0xfffe
	s_or_b32 exec_lo, exec_lo, s0
	s_and_saveexec_b32 s0, vcc_lo
	s_cbranch_execz .LBB305_2008
.LBB305_2041:
	ds_load_b32 v18, v16 offset:64
	s_wait_dscnt 0x0
	v_add_f32_e32 v13, v18, v13
	s_wait_alu 0xfffe
	s_or_b32 exec_lo, exec_lo, s0
	s_and_saveexec_b32 s0, vcc_lo
	s_cbranch_execz .LBB305_2009
.LBB305_2042:
	ds_load_b32 v18, v16 offset:96
	s_wait_dscnt 0x0
	v_add_f32_e32 v11, v18, v11
	s_wait_alu 0xfffe
	s_or_b32 exec_lo, exec_lo, s0
	s_and_saveexec_b32 s0, vcc_lo
	s_cbranch_execz .LBB305_2010
.LBB305_2043:
	ds_load_b32 v18, v16 offset:128
	s_wait_dscnt 0x0
	v_add_f32_e32 v10, v18, v10
	s_wait_alu 0xfffe
	s_or_b32 exec_lo, exec_lo, s0
	s_and_saveexec_b32 s0, vcc_lo
	s_cbranch_execz .LBB305_2011
.LBB305_2044:
	ds_load_b32 v18, v16 offset:160
	s_wait_dscnt 0x0
	v_add_f32_e32 v9, v18, v9
	s_wait_alu 0xfffe
	s_or_b32 exec_lo, exec_lo, s0
	s_and_saveexec_b32 s0, vcc_lo
	s_cbranch_execz .LBB305_2012
.LBB305_2045:
	ds_load_b32 v18, v16 offset:192
	s_wait_dscnt 0x0
	v_add_f32_e32 v8, v18, v8
	s_wait_alu 0xfffe
	s_or_b32 exec_lo, exec_lo, s0
	s_and_saveexec_b32 s0, vcc_lo
	s_cbranch_execz .LBB305_2013
.LBB305_2046:
	ds_load_b32 v18, v16 offset:224
	s_wait_dscnt 0x0
	v_add_f32_e32 v7, v18, v7
	s_wait_alu 0xfffe
	s_or_b32 exec_lo, exec_lo, s0
	s_and_saveexec_b32 s0, vcc_lo
	s_cbranch_execz .LBB305_2014
.LBB305_2047:
	ds_load_b32 v18, v16 offset:256
	s_wait_dscnt 0x0
	v_add_f32_e32 v6, v18, v6
	s_wait_alu 0xfffe
	s_or_b32 exec_lo, exec_lo, s0
	s_and_saveexec_b32 s0, vcc_lo
	s_cbranch_execz .LBB305_2015
.LBB305_2048:
	ds_load_b32 v18, v16 offset:288
	s_wait_dscnt 0x0
	v_add_f32_e32 v5, v18, v5
	s_wait_alu 0xfffe
	s_or_b32 exec_lo, exec_lo, s0
	s_and_saveexec_b32 s0, vcc_lo
	s_cbranch_execz .LBB305_2016
.LBB305_2049:
	ds_load_b32 v18, v16 offset:320
	s_wait_dscnt 0x0
	v_add_f32_e32 v4, v18, v4
	s_wait_alu 0xfffe
	s_or_b32 exec_lo, exec_lo, s0
	s_and_saveexec_b32 s0, vcc_lo
	s_cbranch_execz .LBB305_2017
.LBB305_2050:
	ds_load_b32 v18, v16 offset:352
	s_wait_dscnt 0x0
	v_add_f32_e32 v3, v18, v3
	s_wait_alu 0xfffe
	s_or_b32 exec_lo, exec_lo, s0
	s_and_saveexec_b32 s0, vcc_lo
	s_cbranch_execz .LBB305_2018
.LBB305_2051:
	ds_load_b32 v18, v16 offset:384
	s_wait_dscnt 0x0
	v_add_f32_e32 v2, v18, v2
	s_wait_alu 0xfffe
	s_or_b32 exec_lo, exec_lo, s0
	s_and_saveexec_b32 s0, vcc_lo
	s_cbranch_execz .LBB305_2019
.LBB305_2052:
	ds_load_b32 v18, v16 offset:416
	s_wait_dscnt 0x0
	v_add_f32_e32 v1, v18, v1
	s_wait_alu 0xfffe
	s_or_b32 exec_lo, exec_lo, s0
	s_and_saveexec_b32 s0, vcc_lo
	s_cbranch_execnz .LBB305_2020
	s_branch .LBB305_2021
.Lfunc_end305:
	.size	_ZN4vllm22paged_attention_kernelIthLi120ELi32ELi128ELNS_18Fp8KVCacheDataTypeE1ELb0ELi512EEEvPfS2_PT_PKS3_PKT0_S9_ifPKiSB_iPKfiiiSD_SD_iiiii, .Lfunc_end305-_ZN4vllm22paged_attention_kernelIthLi120ELi32ELi128ELNS_18Fp8KVCacheDataTypeE1ELb0ELi512EEEvPfS2_PT_PKS3_PKT0_S9_ifPKiSB_iPKfiiiSD_SD_iiiii
                                        ; -- End function
	.set .L_ZN4vllm22paged_attention_kernelIthLi120ELi32ELi128ELNS_18Fp8KVCacheDataTypeE1ELb0ELi512EEEvPfS2_PT_PKS3_PKT0_S9_ifPKiSB_iPKfiiiSD_SD_iiiii.num_vgpr, 192
	.set .L_ZN4vllm22paged_attention_kernelIthLi120ELi32ELi128ELNS_18Fp8KVCacheDataTypeE1ELb0ELi512EEEvPfS2_PT_PKS3_PKT0_S9_ifPKiSB_iPKfiiiSD_SD_iiiii.num_agpr, 0
	.set .L_ZN4vllm22paged_attention_kernelIthLi120ELi32ELi128ELNS_18Fp8KVCacheDataTypeE1ELb0ELi512EEEvPfS2_PT_PKS3_PKT0_S9_ifPKiSB_iPKfiiiSD_SD_iiiii.numbered_sgpr, 33
	.set .L_ZN4vllm22paged_attention_kernelIthLi120ELi32ELi128ELNS_18Fp8KVCacheDataTypeE1ELb0ELi512EEEvPfS2_PT_PKS3_PKT0_S9_ifPKiSB_iPKfiiiSD_SD_iiiii.num_named_barrier, 0
	.set .L_ZN4vllm22paged_attention_kernelIthLi120ELi32ELi128ELNS_18Fp8KVCacheDataTypeE1ELb0ELi512EEEvPfS2_PT_PKS3_PKT0_S9_ifPKiSB_iPKfiiiSD_SD_iiiii.private_seg_size, 380
	.set .L_ZN4vllm22paged_attention_kernelIthLi120ELi32ELi128ELNS_18Fp8KVCacheDataTypeE1ELb0ELi512EEEvPfS2_PT_PKS3_PKT0_S9_ifPKiSB_iPKfiiiSD_SD_iiiii.uses_vcc, 1
	.set .L_ZN4vllm22paged_attention_kernelIthLi120ELi32ELi128ELNS_18Fp8KVCacheDataTypeE1ELb0ELi512EEEvPfS2_PT_PKS3_PKT0_S9_ifPKiSB_iPKfiiiSD_SD_iiiii.uses_flat_scratch, 1
	.set .L_ZN4vllm22paged_attention_kernelIthLi120ELi32ELi128ELNS_18Fp8KVCacheDataTypeE1ELb0ELi512EEEvPfS2_PT_PKS3_PKT0_S9_ifPKiSB_iPKfiiiSD_SD_iiiii.has_dyn_sized_stack, 0
	.set .L_ZN4vllm22paged_attention_kernelIthLi120ELi32ELi128ELNS_18Fp8KVCacheDataTypeE1ELb0ELi512EEEvPfS2_PT_PKS3_PKT0_S9_ifPKiSB_iPKfiiiSD_SD_iiiii.has_recursion, 0
	.set .L_ZN4vllm22paged_attention_kernelIthLi120ELi32ELi128ELNS_18Fp8KVCacheDataTypeE1ELb0ELi512EEEvPfS2_PT_PKS3_PKT0_S9_ifPKiSB_iPKfiiiSD_SD_iiiii.has_indirect_call, 0
	.section	.AMDGPU.csdata,"",@progbits
; Function info:
; codeLenInByte = 79868
; TotalNumSgprs: 35
; NumVgprs: 192
; ScratchSize: 380
; MemoryBound: 0
	.section	.text._ZN4vllm25paged_attention_v2_kernelIthLi120ELi32ELi128ELNS_18Fp8KVCacheDataTypeE1ELb0ELi512EEEvPfS2_PT_PKS3_PKT0_S9_ifPKiSB_iPKfiiiSD_SD_iiiii,"axG",@progbits,_ZN4vllm25paged_attention_v2_kernelIthLi120ELi32ELi128ELNS_18Fp8KVCacheDataTypeE1ELb0ELi512EEEvPfS2_PT_PKS3_PKT0_S9_ifPKiSB_iPKfiiiSD_SD_iiiii,comdat
	.protected	_ZN4vllm25paged_attention_v2_kernelIthLi120ELi32ELi128ELNS_18Fp8KVCacheDataTypeE1ELb0ELi512EEEvPfS2_PT_PKS3_PKT0_S9_ifPKiSB_iPKfiiiSD_SD_iiiii ; -- Begin function _ZN4vllm25paged_attention_v2_kernelIthLi120ELi32ELi128ELNS_18Fp8KVCacheDataTypeE1ELb0ELi512EEEvPfS2_PT_PKS3_PKT0_S9_ifPKiSB_iPKfiiiSD_SD_iiiii
	.globl	_ZN4vllm25paged_attention_v2_kernelIthLi120ELi32ELi128ELNS_18Fp8KVCacheDataTypeE1ELb0ELi512EEEvPfS2_PT_PKS3_PKT0_S9_ifPKiSB_iPKfiiiSD_SD_iiiii
	.p2align	8
	.type	_ZN4vllm25paged_attention_v2_kernelIthLi120ELi32ELi128ELNS_18Fp8KVCacheDataTypeE1ELb0ELi512EEEvPfS2_PT_PKS3_PKT0_S9_ifPKiSB_iPKfiiiSD_SD_iiiii,@function
_ZN4vllm25paged_attention_v2_kernelIthLi120ELi32ELi128ELNS_18Fp8KVCacheDataTypeE1ELb0ELi512EEEvPfS2_PT_PKS3_PKT0_S9_ifPKiSB_iPKfiiiSD_SD_iiiii: ; @_ZN4vllm25paged_attention_v2_kernelIthLi120ELi32ELi128ELNS_18Fp8KVCacheDataTypeE1ELb0ELi512EEEvPfS2_PT_PKS3_PKT0_S9_ifPKiSB_iPKfiiiSD_SD_iiiii
; %bb.0:
	s_clause 0x5
	s_load_b256 s[20:27], s[0:1], 0x0
	s_load_b256 s[12:19], s[0:1], 0x20
	s_load_b96 s[28:30], s[0:1], 0x40
	s_load_b64 s[10:11], s[0:1], 0x50
	s_load_b96 s[36:38], s[0:1], 0x58
	s_load_b128 s[4:7], s[0:1], 0x68
	v_mov_b32_e32 v31, v0
	s_getpc_b64 s[2:3]
	s_sext_i32_i16 s3, s3
	s_add_co_u32 s2, s2, _ZN4vllm22paged_attention_kernelIthLi120ELi32ELi128ELNS_18Fp8KVCacheDataTypeE1ELb0ELi512EEEvPfS2_PT_PKS3_PKT0_S9_ifPKiSB_iPKfiiiSD_SD_iiiii@rel32@lo+8
	s_add_co_ci_u32 s3, s3, _ZN4vllm22paged_attention_kernelIthLi120ELi32ELi128ELNS_18Fp8KVCacheDataTypeE1ELb0ELi512EEEvPfS2_PT_PKS3_PKT0_S9_ifPKiSB_iPKfiiiSD_SD_iiiii@rel32@hi+16
	s_add_nc_u64 s[8:9], s[0:1], 0x90
	s_mov_b32 s32, 0
	s_wait_kmcnt 0x0
	v_dual_mov_b32 v17, s29 :: v_dual_mov_b32 v18, s30
	v_dual_mov_b32 v0, s20 :: v_dual_mov_b32 v1, s21
	;; [unrolled: 1-line block ×14, first 2 shown]
	s_mov_b32 s15, 2
	s_wait_alu 0xfffe
	s_swappc_b64 s[30:31], s[2:3]
	s_endpgm
	.section	.rodata,"a",@progbits
	.p2align	6, 0x0
	.amdhsa_kernel _ZN4vllm25paged_attention_v2_kernelIthLi120ELi32ELi128ELNS_18Fp8KVCacheDataTypeE1ELb0ELi512EEEvPfS2_PT_PKS3_PKT0_S9_ifPKiSB_iPKfiiiSD_SD_iiiii
		.amdhsa_group_segment_fixed_size 272
		.amdhsa_private_segment_fixed_size 380
		.amdhsa_kernarg_size 400
		.amdhsa_user_sgpr_count 2
		.amdhsa_user_sgpr_dispatch_ptr 0
		.amdhsa_user_sgpr_queue_ptr 0
		.amdhsa_user_sgpr_kernarg_segment_ptr 1
		.amdhsa_user_sgpr_dispatch_id 0
		.amdhsa_user_sgpr_private_segment_size 0
		.amdhsa_wavefront_size32 1
		.amdhsa_uses_dynamic_stack 0
		.amdhsa_enable_private_segment 1
		.amdhsa_system_sgpr_workgroup_id_x 1
		.amdhsa_system_sgpr_workgroup_id_y 1
		.amdhsa_system_sgpr_workgroup_id_z 1
		.amdhsa_system_sgpr_workgroup_info 0
		.amdhsa_system_vgpr_workitem_id 0
		.amdhsa_next_free_vgpr 192
		.amdhsa_next_free_sgpr 39
		.amdhsa_reserve_vcc 1
		.amdhsa_float_round_mode_32 0
		.amdhsa_float_round_mode_16_64 0
		.amdhsa_float_denorm_mode_32 3
		.amdhsa_float_denorm_mode_16_64 3
		.amdhsa_fp16_overflow 0
		.amdhsa_workgroup_processor_mode 1
		.amdhsa_memory_ordered 1
		.amdhsa_forward_progress 1
		.amdhsa_inst_pref_size 2
		.amdhsa_round_robin_scheduling 0
		.amdhsa_exception_fp_ieee_invalid_op 0
		.amdhsa_exception_fp_denorm_src 0
		.amdhsa_exception_fp_ieee_div_zero 0
		.amdhsa_exception_fp_ieee_overflow 0
		.amdhsa_exception_fp_ieee_underflow 0
		.amdhsa_exception_fp_ieee_inexact 0
		.amdhsa_exception_int_div_zero 0
	.end_amdhsa_kernel
	.section	.text._ZN4vllm25paged_attention_v2_kernelIthLi120ELi32ELi128ELNS_18Fp8KVCacheDataTypeE1ELb0ELi512EEEvPfS2_PT_PKS3_PKT0_S9_ifPKiSB_iPKfiiiSD_SD_iiiii,"axG",@progbits,_ZN4vllm25paged_attention_v2_kernelIthLi120ELi32ELi128ELNS_18Fp8KVCacheDataTypeE1ELb0ELi512EEEvPfS2_PT_PKS3_PKT0_S9_ifPKiSB_iPKfiiiSD_SD_iiiii,comdat
.Lfunc_end306:
	.size	_ZN4vllm25paged_attention_v2_kernelIthLi120ELi32ELi128ELNS_18Fp8KVCacheDataTypeE1ELb0ELi512EEEvPfS2_PT_PKS3_PKT0_S9_ifPKiSB_iPKfiiiSD_SD_iiiii, .Lfunc_end306-_ZN4vllm25paged_attention_v2_kernelIthLi120ELi32ELi128ELNS_18Fp8KVCacheDataTypeE1ELb0ELi512EEEvPfS2_PT_PKS3_PKT0_S9_ifPKiSB_iPKfiiiSD_SD_iiiii
                                        ; -- End function
	.set _ZN4vllm25paged_attention_v2_kernelIthLi120ELi32ELi128ELNS_18Fp8KVCacheDataTypeE1ELb0ELi512EEEvPfS2_PT_PKS3_PKT0_S9_ifPKiSB_iPKfiiiSD_SD_iiiii.num_vgpr, max(32, .L_ZN4vllm22paged_attention_kernelIthLi120ELi32ELi128ELNS_18Fp8KVCacheDataTypeE1ELb0ELi512EEEvPfS2_PT_PKS3_PKT0_S9_ifPKiSB_iPKfiiiSD_SD_iiiii.num_vgpr)
	.set _ZN4vllm25paged_attention_v2_kernelIthLi120ELi32ELi128ELNS_18Fp8KVCacheDataTypeE1ELb0ELi512EEEvPfS2_PT_PKS3_PKT0_S9_ifPKiSB_iPKfiiiSD_SD_iiiii.num_agpr, max(0, .L_ZN4vllm22paged_attention_kernelIthLi120ELi32ELi128ELNS_18Fp8KVCacheDataTypeE1ELb0ELi512EEEvPfS2_PT_PKS3_PKT0_S9_ifPKiSB_iPKfiiiSD_SD_iiiii.num_agpr)
	.set _ZN4vllm25paged_attention_v2_kernelIthLi120ELi32ELi128ELNS_18Fp8KVCacheDataTypeE1ELb0ELi512EEEvPfS2_PT_PKS3_PKT0_S9_ifPKiSB_iPKfiiiSD_SD_iiiii.numbered_sgpr, max(39, .L_ZN4vllm22paged_attention_kernelIthLi120ELi32ELi128ELNS_18Fp8KVCacheDataTypeE1ELb0ELi512EEEvPfS2_PT_PKS3_PKT0_S9_ifPKiSB_iPKfiiiSD_SD_iiiii.numbered_sgpr)
	.set _ZN4vllm25paged_attention_v2_kernelIthLi120ELi32ELi128ELNS_18Fp8KVCacheDataTypeE1ELb0ELi512EEEvPfS2_PT_PKS3_PKT0_S9_ifPKiSB_iPKfiiiSD_SD_iiiii.num_named_barrier, max(0, .L_ZN4vllm22paged_attention_kernelIthLi120ELi32ELi128ELNS_18Fp8KVCacheDataTypeE1ELb0ELi512EEEvPfS2_PT_PKS3_PKT0_S9_ifPKiSB_iPKfiiiSD_SD_iiiii.num_named_barrier)
	.set _ZN4vllm25paged_attention_v2_kernelIthLi120ELi32ELi128ELNS_18Fp8KVCacheDataTypeE1ELb0ELi512EEEvPfS2_PT_PKS3_PKT0_S9_ifPKiSB_iPKfiiiSD_SD_iiiii.private_seg_size, 0+max(.L_ZN4vllm22paged_attention_kernelIthLi120ELi32ELi128ELNS_18Fp8KVCacheDataTypeE1ELb0ELi512EEEvPfS2_PT_PKS3_PKT0_S9_ifPKiSB_iPKfiiiSD_SD_iiiii.private_seg_size)
	.set _ZN4vllm25paged_attention_v2_kernelIthLi120ELi32ELi128ELNS_18Fp8KVCacheDataTypeE1ELb0ELi512EEEvPfS2_PT_PKS3_PKT0_S9_ifPKiSB_iPKfiiiSD_SD_iiiii.uses_vcc, or(1, .L_ZN4vllm22paged_attention_kernelIthLi120ELi32ELi128ELNS_18Fp8KVCacheDataTypeE1ELb0ELi512EEEvPfS2_PT_PKS3_PKT0_S9_ifPKiSB_iPKfiiiSD_SD_iiiii.uses_vcc)
	.set _ZN4vllm25paged_attention_v2_kernelIthLi120ELi32ELi128ELNS_18Fp8KVCacheDataTypeE1ELb0ELi512EEEvPfS2_PT_PKS3_PKT0_S9_ifPKiSB_iPKfiiiSD_SD_iiiii.uses_flat_scratch, or(0, .L_ZN4vllm22paged_attention_kernelIthLi120ELi32ELi128ELNS_18Fp8KVCacheDataTypeE1ELb0ELi512EEEvPfS2_PT_PKS3_PKT0_S9_ifPKiSB_iPKfiiiSD_SD_iiiii.uses_flat_scratch)
	.set _ZN4vllm25paged_attention_v2_kernelIthLi120ELi32ELi128ELNS_18Fp8KVCacheDataTypeE1ELb0ELi512EEEvPfS2_PT_PKS3_PKT0_S9_ifPKiSB_iPKfiiiSD_SD_iiiii.has_dyn_sized_stack, or(0, .L_ZN4vllm22paged_attention_kernelIthLi120ELi32ELi128ELNS_18Fp8KVCacheDataTypeE1ELb0ELi512EEEvPfS2_PT_PKS3_PKT0_S9_ifPKiSB_iPKfiiiSD_SD_iiiii.has_dyn_sized_stack)
	.set _ZN4vllm25paged_attention_v2_kernelIthLi120ELi32ELi128ELNS_18Fp8KVCacheDataTypeE1ELb0ELi512EEEvPfS2_PT_PKS3_PKT0_S9_ifPKiSB_iPKfiiiSD_SD_iiiii.has_recursion, or(0, .L_ZN4vllm22paged_attention_kernelIthLi120ELi32ELi128ELNS_18Fp8KVCacheDataTypeE1ELb0ELi512EEEvPfS2_PT_PKS3_PKT0_S9_ifPKiSB_iPKfiiiSD_SD_iiiii.has_recursion)
	.set _ZN4vllm25paged_attention_v2_kernelIthLi120ELi32ELi128ELNS_18Fp8KVCacheDataTypeE1ELb0ELi512EEEvPfS2_PT_PKS3_PKT0_S9_ifPKiSB_iPKfiiiSD_SD_iiiii.has_indirect_call, or(0, .L_ZN4vllm22paged_attention_kernelIthLi120ELi32ELi128ELNS_18Fp8KVCacheDataTypeE1ELb0ELi512EEEvPfS2_PT_PKS3_PKT0_S9_ifPKiSB_iPKfiiiSD_SD_iiiii.has_indirect_call)
	.section	.AMDGPU.csdata,"",@progbits
; Kernel info:
; codeLenInByte = 224
; TotalNumSgprs: 41
; NumVgprs: 192
; ScratchSize: 380
; MemoryBound: 0
; FloatMode: 240
; IeeeMode: 1
; LDSByteSize: 272 bytes/workgroup (compile time only)
; SGPRBlocks: 0
; VGPRBlocks: 23
; NumSGPRsForWavesPerEU: 41
; NumVGPRsForWavesPerEU: 192
; Occupancy: 8
; WaveLimiterHint : 1
; COMPUTE_PGM_RSRC2:SCRATCH_EN: 1
; COMPUTE_PGM_RSRC2:USER_SGPR: 2
; COMPUTE_PGM_RSRC2:TRAP_HANDLER: 0
; COMPUTE_PGM_RSRC2:TGID_X_EN: 1
; COMPUTE_PGM_RSRC2:TGID_Y_EN: 1
; COMPUTE_PGM_RSRC2:TGID_Z_EN: 1
; COMPUTE_PGM_RSRC2:TIDIG_COMP_CNT: 0
	.text
	.p2align	2                               ; -- Begin function _ZN4vllm22paged_attention_kernelIthLi128ELi32ELi128ELNS_18Fp8KVCacheDataTypeE1ELb0ELi512EEEvPfS2_PT_PKS3_PKT0_S9_ifPKiSB_iPKfiiiSD_SD_iiiii
	.type	_ZN4vllm22paged_attention_kernelIthLi128ELi32ELi128ELNS_18Fp8KVCacheDataTypeE1ELb0ELi512EEEvPfS2_PT_PKS3_PKT0_S9_ifPKiSB_iPKfiiiSD_SD_iiiii,@function
_ZN4vllm22paged_attention_kernelIthLi128ELi32ELi128ELNS_18Fp8KVCacheDataTypeE1ELb0ELi512EEEvPfS2_PT_PKS3_PKT0_S9_ifPKiSB_iPKfiiiSD_SD_iiiii: ; @_ZN4vllm22paged_attention_kernelIthLi128ELi32ELi128ELNS_18Fp8KVCacheDataTypeE1ELb0ELi512EEEvPfS2_PT_PKS3_PKT0_S9_ifPKiSB_iPKfiiiSD_SD_iiiii
; %bb.0:
	s_wait_loadcnt_dscnt 0x0
	s_wait_expcnt 0x0
	s_wait_samplecnt 0x0
	s_wait_bvhcnt 0x0
	s_wait_kmcnt 0x0
	s_clause 0x1f
	scratch_store_b32 off, v40, s32 offset:280
	; meta instruction
	scratch_store_b32 off, v41, s32 offset:276
	; meta instruction
	;; [unrolled: 2-line block ×31, first 2 shown]
	scratch_store_b32 off, v95, s32 offset:156
	s_clause 0x1f
	scratch_store_b32 off, v104, s32 offset:152
	; meta instruction
	scratch_store_b32 off, v105, s32 offset:148
	; meta instruction
	;; [unrolled: 2-line block ×31, first 2 shown]
	scratch_store_b32 off, v159, s32 offset:28
	s_clause 0x6
	scratch_store_b32 off, v168, s32 offset:24
	; meta instruction
	scratch_store_b32 off, v169, s32 offset:20
	; meta instruction
	;; [unrolled: 2-line block ×6, first 2 shown]
	scratch_store_b32 off, v174, s32
	s_and_b32 s13, ttmp7, 0xffff
	s_lshr_b32 s11, ttmp7, 16
	s_wait_alu 0xfffe
	s_lshl_b32 s0, s13, 2
	s_lshl_b32 s12, s11, 9
	s_wait_alu 0xfffe
	v_add_co_u32 v16, vcc_lo, v16, s0
	s_wait_alu 0xfffd
	v_add_co_ci_u32_e64 v17, null, 0, v17, vcc_lo
	s_mov_b32 s10, exec_lo
	flat_load_b32 v32, v[16:17]
	s_wait_loadcnt_dscnt 0x0
	v_cmpx_lt_i32_e64 s12, v32
	s_cbranch_execz .LBB307_2156
; %bb.1:
	v_mov_b32_e32 v39, 0
	v_sub_nc_u32_e32 v16, 0, v12
	s_clause 0x1
	s_load_u16 s0, s[8:9], 0x12
	s_load_b32 s1, s[8:9], 0x0
	s_mov_b32 s6, s15
	global_load_u16 v30, v39, s[8:9] offset:22
	v_max_i32_e32 v16, v12, v16
	s_delay_alu instid0(VALU_DEP_1) | instskip(SKIP_1) | instid1(VALU_DEP_2)
	v_cvt_f32_u32_e32 v17, v16
	v_sub_nc_u32_e32 v28, 0, v16
	v_rcp_iflag_f32_e32 v17, v17
	s_wait_kmcnt 0x0
	s_cmp_lg_u32 s0, 0
	s_cselect_b32 s0, -1, 0
	s_delay_alu instid0(TRANS32_DEP_1)
	v_mul_f32_e32 v17, 0x4f7ffffe, v17
	s_wait_alu 0xfffe
	s_cmp_lg_u32 s0, 0
	s_add_co_ci_u32 s14, s1, 0
	s_mov_b32 s1, exec_lo
	v_cvt_u32_f32_e32 v17, v17
	s_wait_alu 0xfffe
	s_abs_i32 s0, s14
	v_xor_b32_e32 v12, s14, v12
	s_delay_alu instid0(VALU_DEP_2) | instskip(NEXT) | instid1(VALU_DEP_2)
	v_mul_lo_u32 v28, v28, v17
	v_ashrrev_i32_e32 v12, 31, v12
	s_delay_alu instid0(VALU_DEP_2) | instskip(NEXT) | instid1(VALU_DEP_1)
	v_mul_hi_u32 v28, v17, v28
	v_add_nc_u32_e32 v17, v17, v28
	s_wait_alu 0xfffe
	s_delay_alu instid0(VALU_DEP_1) | instskip(NEXT) | instid1(VALU_DEP_1)
	v_mul_hi_u32 v17, s0, v17
	v_mul_lo_u32 v28, v17, v16
	v_add_nc_u32_e32 v29, 1, v17
	s_delay_alu instid0(VALU_DEP_2) | instskip(SKIP_1) | instid1(VALU_DEP_1)
	v_sub_nc_u32_e32 v28, s0, v28
	s_abs_i32 s0, ttmp9
	v_sub_nc_u32_e32 v33, v28, v16
	v_cmp_ge_u32_e32 vcc_lo, v28, v16
	s_wait_alu 0xfffd
	v_cndmask_b32_e32 v17, v17, v29, vcc_lo
	s_delay_alu instid0(VALU_DEP_3) | instskip(NEXT) | instid1(VALU_DEP_2)
	v_cndmask_b32_e32 v28, v28, v33, vcc_lo
	v_add_nc_u32_e32 v29, 1, v17
	s_delay_alu instid0(VALU_DEP_2) | instskip(SKIP_1) | instid1(VALU_DEP_2)
	v_cmp_ge_u32_e32 vcc_lo, v28, v16
	s_wait_alu 0xfffd
	v_cndmask_b32_e32 v16, v17, v29, vcc_lo
	s_delay_alu instid0(VALU_DEP_1) | instskip(NEXT) | instid1(VALU_DEP_1)
	v_xor_b32_e32 v16, v16, v12
	v_sub_nc_u32_e32 v29, v16, v12
	s_delay_alu instid0(VALU_DEP_1) | instskip(NEXT) | instid1(VALU_DEP_1)
	v_sub_nc_u32_e32 v12, 0, v29
	v_max_i32_e32 v28, v29, v12
	s_delay_alu instid0(VALU_DEP_1) | instskip(SKIP_1) | instid1(VALU_DEP_2)
	v_cvt_f32_u32_e32 v12, v28
	v_sub_nc_u32_e32 v16, 0, v28
	v_rcp_iflag_f32_e32 v12, v12
	s_delay_alu instid0(TRANS32_DEP_1) | instskip(NEXT) | instid1(VALU_DEP_1)
	v_mul_f32_e32 v12, 0x4f7ffffe, v12
	v_cvt_u32_f32_e32 v12, v12
	s_delay_alu instid0(VALU_DEP_1) | instskip(NEXT) | instid1(VALU_DEP_1)
	v_mul_lo_u32 v16, v16, v12
	v_mul_hi_u32 v16, v12, v16
	s_delay_alu instid0(VALU_DEP_1) | instskip(SKIP_1) | instid1(VALU_DEP_1)
	v_add_nc_u32_e32 v12, v12, v16
	s_wait_alu 0xfffe
	v_mad_co_u64_u32 v[16:17], null, s0, v12, 0
	s_wait_loadcnt 0x0
	v_readfirstlane_b32 s15, v30
	v_cmpx_ne_u64_e32 0, v[19:20]
	s_cbranch_execz .LBB307_3
; %bb.2:
	s_mov_b32 s2, ttmp9
	s_ashr_i32 s3, ttmp9, 31
	s_wait_alu 0xfffe
	s_lshl_b64 s[2:3], s[2:3], 2
	s_wait_alu 0xfffe
	v_add_co_u32 v19, vcc_lo, v19, s2
	s_wait_alu 0xfffd
	v_add_co_ci_u32_e64 v20, null, s3, v20, vcc_lo
	flat_load_b32 v39, v[19:20]
.LBB307_3:
	s_or_b32 exec_lo, exec_lo, s1
	v_and_b32_e32 v12, 0x3ff, v31
	v_ashrrev_i32_e32 v16, 31, v29
	s_ashr_i32 s1, ttmp9, 31
	s_lshl_b32 s4, ttmp9, 7
	s_mov_b32 s2, exec_lo
	v_cmpx_gt_u32_e32 16, v12
	s_cbranch_execz .LBB307_5
; %bb.4:
	v_mul_lo_u32 v19, v21, s13
	s_wait_alu 0xfffe
	s_ashr_i32 s5, s4, 31
	v_lshlrev_b32_e32 v21, 4, v12
	s_wait_alu 0xfffe
	s_lshl_b64 s[16:17], s[4:5], 1
	s_delay_alu instid0(VALU_DEP_2) | instskip(NEXT) | instid1(VALU_DEP_1)
	v_ashrrev_i32_e32 v20, 31, v19
	v_lshlrev_b64_e32 v[19:20], 1, v[19:20]
	s_delay_alu instid0(VALU_DEP_1) | instskip(SKIP_1) | instid1(VALU_DEP_2)
	v_add_co_u32 v6, vcc_lo, v6, v19
	s_wait_alu 0xfffd
	v_add_co_ci_u32_e64 v7, null, v7, v20, vcc_lo
	s_wait_alu 0xfffe
	s_delay_alu instid0(VALU_DEP_2) | instskip(SKIP_1) | instid1(VALU_DEP_2)
	v_add_co_u32 v6, vcc_lo, v6, s16
	s_wait_alu 0xfffd
	v_add_co_ci_u32_e64 v7, null, s17, v7, vcc_lo
	s_delay_alu instid0(VALU_DEP_2) | instskip(SKIP_1) | instid1(VALU_DEP_2)
	v_add_co_u32 v6, vcc_lo, v6, v21
	s_wait_alu 0xfffd
	v_add_co_ci_u32_e64 v7, null, 0, v7, vcc_lo
	flat_load_b128 v[33:36], v[6:7]
	s_wait_loadcnt_dscnt 0x0
	ds_store_b128 v21, v[33:36]
.LBB307_5:
	s_wait_alu 0xfffe
	s_or_b32 exec_lo, exec_lo, s2
	v_mul_lo_u32 v6, v17, v28
	v_xor_b32_e32 v16, s1, v16
	s_load_b32 s5, s[8:9], 0x8
	v_lshrrev_b32_e32 v30, 5, v12
	s_lshl_b32 s8, s11, 4
	s_mov_b32 s9, exec_lo
	s_wait_storecnt 0x0
	s_wait_loadcnt_dscnt 0x0
	s_barrier_signal -1
	v_sub_nc_u32_e32 v6, s0, v6
	s_wait_alu 0xfffe
	s_add_co_i32 s0, s8, 16
	v_add_nc_u32_e32 v31, s8, v30
	s_barrier_wait -1
	global_inv scope:SCOPE_SE
	v_sub_nc_u32_e32 v19, v6, v28
	v_cmp_ge_u32_e32 vcc_lo, v6, v28
	v_add_nc_u32_e32 v7, 1, v17
	v_dual_mov_b32 v48, 0xff7fffff :: v_dual_lshlrev_b32 v35, 2, v31
	s_wait_alu 0xfffd
	v_cndmask_b32_e32 v6, v6, v19, vcc_lo
	s_delay_alu instid0(VALU_DEP_3) | instskip(SKIP_1) | instid1(VALU_DEP_3)
	v_cndmask_b32_e32 v7, v17, v7, vcc_lo
	v_add_nc_u32_e32 v17, 31, v32
	v_cmp_ge_u32_e32 vcc_lo, v6, v28
	s_delay_alu instid0(VALU_DEP_3) | instskip(NEXT) | instid1(VALU_DEP_3)
	v_add_nc_u32_e32 v19, 1, v7
	v_ashrrev_i32_e32 v20, 31, v17
	v_mul_lo_u32 v6, v18, s13
	s_wait_alu 0xfffd
	s_delay_alu instid0(VALU_DEP_3) | instskip(NEXT) | instid1(VALU_DEP_3)
	v_cndmask_b32_e32 v7, v7, v19, vcc_lo
	v_lshrrev_b32_e32 v19, 27, v20
	s_delay_alu instid0(VALU_DEP_2) | instskip(NEXT) | instid1(VALU_DEP_2)
	v_xor_b32_e32 v7, v7, v16
	v_add_nc_u32_e32 v17, v17, v19
	s_delay_alu instid0(VALU_DEP_2) | instskip(NEXT) | instid1(VALU_DEP_2)
	v_sub_nc_u32_e32 v16, v7, v16
	v_ashrrev_i32_e32 v34, 5, v17
	v_ashrrev_i32_e32 v7, 31, v6
	s_delay_alu instid0(VALU_DEP_3) | instskip(SKIP_1) | instid1(VALU_DEP_3)
	v_mul_lo_u32 v36, v16, v23
	s_wait_alu 0xfffe
	v_min_i32_e32 v33, s0, v34
	v_and_b32_e32 v23, 31, v12
	v_lshlrev_b64_e32 v[6:7], 2, v[6:7]
	s_delay_alu instid0(VALU_DEP_3) | instskip(NEXT) | instid1(VALU_DEP_3)
	v_cmp_ge_i32_e64 s0, v31, v33
	v_lshlrev_b32_e32 v38, 2, v23
	v_ashrrev_i32_e32 v37, 31, v36
	v_cmpx_lt_i32_e64 v31, v33
	s_cbranch_execz .LBB307_1033
; %bb.6:
	s_getpc_b64 s[2:3]
	s_wait_alu 0xfffe
	s_sext_i32_i16 s3, s3
	s_add_co_u32 s2, s2, llvm.amdgcn.dynlds.offset.table@rel32@lo+12
	s_wait_alu 0xfffe
	s_add_co_ci_u32 s3, s3, llvm.amdgcn.dynlds.offset.table@rel32@hi+24
	s_ashr_i32 s7, s6, 31
	v_lshlrev_b32_e32 v16, 4, v23
	s_wait_alu 0xfffe
	s_lshl_b64 s[16:17], s[6:7], 2
	v_add_co_u32 v8, vcc_lo, v8, v36
	s_wait_alu 0xfffe
	s_add_nc_u64 s[2:3], s[2:3], s[16:17]
	s_wait_alu 0xfffd
	v_add_co_ci_u32_e64 v17, null, v9, v37, vcc_lo
	s_load_b32 s2, s[2:3], 0x0
	v_mov_b32_e32 v9, 0
	v_add_co_u32 v16, vcc_lo, v8, v16
	v_add_co_u32 v8, s1, v6, v35
	s_wait_alu 0xf1ff
	v_add_co_ci_u32_e64 v19, null, 0, v7, s1
	v_lshlrev_b32_e32 v20, 5, v30
	v_lshl_or_b32 v21, v30, 7, v38
	v_add_co_u32 v18, s1, v14, v8
	s_wait_alu 0xfffd
	v_add_co_ci_u32_e64 v17, null, 0, v17, vcc_lo
	s_wait_alu 0xf1ff
	v_add_co_ci_u32_e64 v19, null, v15, v19, s1
	v_sub_nc_u32_e32 v49, 1, v32
	v_add3_u32 v50, s12, v20, v23
	v_mov_b32_e32 v48, 0xff7fffff
	s_wait_kmcnt 0x0
	v_dual_mov_b32 v52, v31 :: v_dual_add_nc_u32 v51, s2, v21
	s_mov_b32 s2, -1
	s_mov_b32 s7, 0
	s_mov_b32 s3, 0xffffff
	v_cmp_neq_f32_e32 vcc_lo, 0, v39
	s_branch .LBB307_11
.LBB307_7:                              ;   in Loop: Header=BB307_11 Depth=1
	s_wait_alu 0xfffe
	s_or_b32 exec_lo, exec_lo, s19
	v_lshlrev_b32_e32 v8, 8, v8
	v_lshl_add_u32 v21, v21, 10, 0x2000
	v_lshlrev_b32_e32 v20, 23, v20
	s_delay_alu instid0(VALU_DEP_2) | instskip(NEXT) | instid1(VALU_DEP_1)
	v_and_or_b32 v8, 0x8000, v8, v21
	v_lshl_or_b32 v20, v8, 16, v20
.LBB307_8:                              ;   in Loop: Header=BB307_11 Depth=1
	s_wait_alu 0xfffe
	s_or_b32 exec_lo, exec_lo, s18
.LBB307_9:                              ;   in Loop: Header=BB307_11 Depth=1
	s_wait_alu 0xfffe
	s_or_b32 exec_lo, exec_lo, s17
.LBB307_10:                             ;   in Loop: Header=BB307_11 Depth=1
	s_wait_alu 0xfffe
	s_or_b32 exec_lo, exec_lo, s16
	v_or_b32_e32 v8, v58, v57
	v_fma_mixlo_f16 v57, v53, v58, 0 op_sel:[0,1,0] op_sel_hi:[0,1,0]
	v_fma_mixlo_f16 v59, v53, v56, 0 op_sel:[0,1,0] op_sel_hi:[0,1,0]
	v_or_b32_e32 v21, v159, v153
	v_fma_mixlo_f16 v156, v53, v55, 0 op_sel:[0,1,0] op_sel_hi:[0,1,0]
	v_fma_mixlo_f16 v58, v53, v8, 0 op_sel_hi:[0,1,0]
	v_or_b32_e32 v8, v56, v47
	v_fma_mixlo_f16 v47, v53, v88, 0 op_sel:[0,1,0] op_sel_hi:[0,1,0]
	v_fma_mixlo_f16 v154, v53, v66, 0 op_sel:[0,1,0] op_sel_hi:[0,1,0]
	v_cmp_lt_i32_e64 s1, v50, v32
	v_add_nc_u32_e32 v52, 4, v52
	v_fma_mixlo_f16 v60, v53, v8, 0 op_sel_hi:[0,1,0]
	v_or_b32_e32 v8, v88, v78
	s_delay_alu instid0(VALU_DEP_1) | instskip(SKIP_3) | instid1(VALU_DEP_3)
	v_fma_mixlo_f16 v56, v53, v8, 0 op_sel_hi:[0,1,0]
	v_or_b32_e32 v8, v28, v79
	v_fma_mixlo_f16 v79, v53, v72, 0 op_sel:[0,1,0] op_sel_hi:[0,1,0]
	v_fma_mixlo_f16 v28, v53, v28, 0 op_sel:[0,1,0] op_sel_hi:[0,1,0]
	v_fma_mixlo_f16 v29, v53, v8, 0 op_sel_hi:[0,1,0]
	v_or_b32_e32 v8, v77, v75
	v_fma_mixlo_f16 v75, v53, v107, 0 op_sel:[0,1,0] op_sel_hi:[0,1,0]
	v_fma_mixlo_f16 v77, v53, v77, 0 op_sel:[0,1,0] op_sel_hi:[0,1,0]
	v_and_b32_e32 v28, 0xffff, v28
	v_and_b32_e32 v29, 0xffff, v29
	v_fma_mixlo_f16 v78, v53, v8, 0 op_sel_hi:[0,1,0]
	v_or_b32_e32 v8, v72, v63
	v_fma_mixlo_f16 v63, v53, v108, 0 op_sel:[0,1,0] op_sel_hi:[0,1,0]
	s_delay_alu instid0(VALU_DEP_2) | instskip(SKIP_2) | instid1(VALU_DEP_2)
	v_fma_mixlo_f16 v88, v53, v8, 0 op_sel_hi:[0,1,0]
	v_or_b32_e32 v8, v107, v76
	v_fma_mixlo_f16 v107, v53, v92, 0 op_sel:[0,1,0] op_sel_hi:[0,1,0]
	v_fma_mixlo_f16 v76, v53, v8, 0 op_sel_hi:[0,1,0]
	v_or_b32_e32 v8, v108, v105
	s_delay_alu instid0(VALU_DEP_1) | instskip(SKIP_3) | instid1(VALU_DEP_3)
	v_fma_mixlo_f16 v72, v53, v8, 0 op_sel_hi:[0,1,0]
	v_or_b32_e32 v8, v104, v93
	v_fma_mixlo_f16 v93, v53, v125, 0 op_sel:[0,1,0] op_sel_hi:[0,1,0]
	v_fma_mixlo_f16 v104, v53, v104, 0 op_sel:[0,1,0] op_sel_hi:[0,1,0]
	v_fma_mixlo_f16 v105, v53, v8, 0 op_sel_hi:[0,1,0]
	v_or_b32_e32 v8, v92, v91
	v_fma_mixlo_f16 v91, v53, v126, 0 op_sel:[0,1,0] op_sel_hi:[0,1,0]
	s_delay_alu instid0(VALU_DEP_2) | instskip(SKIP_2) | instid1(VALU_DEP_2)
	v_fma_mixlo_f16 v108, v53, v8, 0 op_sel_hi:[0,1,0]
	v_or_b32_e32 v8, v125, v94
	v_fma_mixlo_f16 v125, v53, v110, 0 op_sel:[0,1,0] op_sel_hi:[0,1,0]
	v_fma_mixlo_f16 v94, v53, v8, 0 op_sel_hi:[0,1,0]
	v_or_b32_e32 v8, v126, v124
	s_delay_alu instid0(VALU_DEP_1) | instskip(SKIP_3) | instid1(VALU_DEP_3)
	v_fma_mixlo_f16 v92, v53, v8, 0 op_sel_hi:[0,1,0]
	v_or_b32_e32 v8, v123, v121
	v_fma_mixlo_f16 v121, v53, v140, 0 op_sel:[0,1,0] op_sel_hi:[0,1,0]
	v_fma_mixlo_f16 v123, v53, v123, 0 op_sel:[0,1,0] op_sel_hi:[0,1,0]
	;; [unrolled: 14-line block ×11, first 2 shown]
	v_fma_mixlo_f16 v115, v53, v8, 0 op_sel_hi:[0,1,0]
	v_or_b32_e32 v8, v87, v86
	v_fma_mixlo_f16 v86, v53, v101, 0 op_sel:[0,1,0] op_sel_hi:[0,1,0]
	v_and_b32_e32 v96, 0xffff, v96
	s_delay_alu instid0(VALU_DEP_3) | instskip(SKIP_1) | instid1(VALU_DEP_1)
	v_fma_mixlo_f16 v117, v53, v8, 0 op_sel_hi:[0,1,0]
	v_or_b32_e32 v8, v100, v97
	v_fma_mixlo_f16 v97, v53, v8, 0 op_sel_hi:[0,1,0]
	v_or_b32_e32 v8, v101, v99
	v_fma_mixlo_f16 v99, v53, v82, 0 op_sel:[0,1,0] op_sel_hi:[0,1,0]
	s_delay_alu instid0(VALU_DEP_2) | instskip(SKIP_1) | instid1(VALU_DEP_3)
	v_fma_mixlo_f16 v87, v53, v8, 0 op_sel_hi:[0,1,0]
	v_or_b32_e32 v8, v82, v80
	v_and_b32_e32 v99, 0xffff, v99
	s_delay_alu instid0(VALU_DEP_2) | instskip(SKIP_3) | instid1(VALU_DEP_3)
	v_fma_mixlo_f16 v100, v53, v8, 0 op_sel_hi:[0,1,0]
	v_or_b32_e32 v8, v71, v70
	v_fma_mixlo_f16 v70, v53, v71, 0 op_sel:[0,1,0] op_sel_hi:[0,1,0]
	v_fma_mixlo_f16 v71, v53, v84, 0 op_sel:[0,1,0] op_sel_hi:[0,1,0]
	v_fma_mixlo_f16 v101, v53, v8, 0 op_sel_hi:[0,1,0]
	v_or_b32_e32 v8, v84, v81
	v_fma_mixlo_f16 v81, v53, v85, 0 op_sel:[0,1,0] op_sel_hi:[0,1,0]
	v_fma_mixlo_f16 v84, v53, v68, 0 op_sel:[0,1,0] op_sel_hi:[0,1,0]
	v_and_b32_e32 v70, 0xffff, v70
	v_and_b32_e32 v101, 0xffff, v101
	v_fma_mixlo_f16 v80, v53, v8, 0 op_sel_hi:[0,1,0]
	v_or_b32_e32 v8, v85, v83
	v_and_b32_e32 v71, 0xffff, v71
	v_and_b32_e32 v81, 0xffff, v81
	s_delay_alu instid0(VALU_DEP_3) | instskip(SKIP_3) | instid1(VALU_DEP_3)
	v_fma_mixlo_f16 v82, v53, v8, 0 op_sel_hi:[0,1,0]
	v_or_b32_e32 v8, v66, v64
	v_fma_mixlo_f16 v64, v53, v159, 0 op_sel:[0,1,0] op_sel_hi:[0,1,0]
	v_fma_mixlo_f16 v66, v53, v152, 0 op_sel:[0,1,0] op_sel_hi:[0,1,0]
	v_fma_mixlo_f16 v155, v53, v8, 0 op_sel_hi:[0,1,0]
	v_or_b32_e32 v8, v55, v54
	v_fma_mixlo_f16 v54, v53, v169, 0 op_sel:[0,1,0] op_sel_hi:[0,1,0]
	s_delay_alu instid0(VALU_DEP_4) | instskip(SKIP_1) | instid1(VALU_DEP_4)
	v_and_b32_e32 v66, 0xffff, v66
	v_and_b32_e32 v64, 0xffff, v64
	v_fma_mixlo_f16 v157, v53, v8, 0 op_sel_hi:[0,1,0]
	v_or_b32_e32 v8, v68, v65
	v_fma_mixlo_f16 v65, v53, v21, 0 op_sel_hi:[0,1,0]
	v_or_b32_e32 v21, v152, v143
	v_fma_mixlo_f16 v68, v53, v69, 0 op_sel:[0,1,0] op_sel_hi:[0,1,0]
	v_and_b32_e32 v54, 0xffff, v54
	v_fma_mixlo_f16 v85, v53, v8, 0 op_sel_hi:[0,1,0]
	v_or_b32_e32 v8, v69, v67
	v_fma_mixlo_f16 v67, v53, v21, 0 op_sel_hi:[0,1,0]
	v_or_b32_e32 v21, v169, v158
	v_and_b32_e32 v65, 0xffff, v65
	s_delay_alu instid0(VALU_DEP_4) | instskip(NEXT) | instid1(VALU_DEP_4)
	v_fma_mixlo_f16 v83, v53, v8, 0 op_sel_hi:[0,1,0]
	v_and_b32_e32 v67, 0xffff, v67
	s_delay_alu instid0(VALU_DEP_4)
	v_fma_mixlo_f16 v55, v53, v21, 0 op_sel_hi:[0,1,0]
	v_or_b32_e32 v21, v20, v168
	ds_load_b128 v[168:171], v9
	v_fma_mixlo_f16 v20, v53, v20, 0 op_sel:[0,1,0] op_sel_hi:[0,1,0]
	v_and_b32_e32 v55, 0xffff, v55
	v_fma_mixlo_f16 v21, v53, v21, 0 op_sel_hi:[0,1,0]
	s_delay_alu instid0(VALU_DEP_3) | instskip(NEXT) | instid1(VALU_DEP_2)
	v_and_b32_e32 v20, 0xffff, v20
	v_and_b32_e32 v21, 0xffff, v21
	s_wait_dscnt 0x0
	v_lshrrev_b32_e32 v53, 16, v168
	v_and_b32_e32 v69, 0xffff, v168
	;;#ASMSTART
	v_cvt_f32_f16 v69, v69;
	;;#ASMEND
	;;#ASMSTART
	v_cvt_f32_f16 v143, v53;
	;;#ASMEND
	v_and_b32_e32 v53, 0xffff, v157
	;;#ASMSTART
	v_cvt_f32_f16 v157, v53;
	;;#ASMEND
	v_and_b32_e32 v53, 0xffff, v156
	;;#ASMSTART
	v_cvt_f32_f16 v156, v53;
	;;#ASMEND
	v_lshrrev_b32_e32 v53, 16, v169
	v_and_b32_e32 v152, 0xffff, v169
	;;#ASMSTART
	v_cvt_f32_f16 v158, v152;
	;;#ASMEND
	;;#ASMSTART
	v_cvt_f32_f16 v159, v53;
	;;#ASMEND
	v_and_b32_e32 v53, 0xffff, v155
	;;#ASMSTART
	v_cvt_f32_f16 v168, v53;
	;;#ASMEND
	v_and_b32_e32 v53, 0xffff, v154
	;;#ASMSTART
	v_cvt_f32_f16 v169, v53;
	;;#ASMEND
	;; [unrolled: 16-line block ×4, first 2 shown]
	ds_load_b128 v[152:155], v9 offset:16
	v_and_b32_e32 v80, 0xffff, v80
	s_wait_dscnt 0x0
	v_and_b32_e32 v53, 0xffff, v152
	v_lshrrev_b32_e32 v68, 16, v152
	;;#ASMSTART
	v_cvt_f32_f16 v53, v53;
	;;#ASMEND
	;;#ASMSTART
	v_cvt_f32_f16 v68, v68;
	;;#ASMEND
	;; [unrolled: 3-line block ×3, first 2 shown]
	v_mul_f32_e32 v53, v53, v101
	;;#ASMSTART
	v_cvt_f32_f16 v70, v70;
	;;#ASMEND
	v_mul_f32_e32 v68, v68, v70
	v_lshrrev_b32_e32 v70, 16, v153
	s_delay_alu instid0(VALU_DEP_3)
	v_fmac_f32_e32 v53, v69, v157
	v_and_b32_e32 v69, 0xffff, v153
	;;#ASMSTART
	v_cvt_f32_f16 v69, v69;
	;;#ASMEND
	;;#ASMSTART
	v_cvt_f32_f16 v101, v70;
	;;#ASMEND
	v_and_b32_e32 v70, 0xffff, v100
	;;#ASMSTART
	v_cvt_f32_f16 v70, v70;
	;;#ASMEND
	;;#ASMSTART
	v_cvt_f32_f16 v99, v99;
	;;#ASMEND
	s_delay_alu instid0(VALU_DEP_1)
	v_mul_f32_e32 v70, v69, v70
	v_mul_f32_e32 v69, v101, v99
	v_add_nc_u32_e32 v8, v49, v50
	v_lshrrev_b32_e32 v100, 16, v154
	v_and_b32_e32 v99, 0xffff, v154
	;;#ASMSTART
	v_cvt_f32_f16 v99, v99;
	;;#ASMEND
	v_fmac_f32_e32 v69, v159, v169
	v_cvt_f32_i32_e32 v8, v8
	;;#ASMSTART
	v_cvt_f32_f16 v100, v100;
	;;#ASMEND
	;;#ASMSTART
	v_cvt_f32_f16 v80, v80;
	;;#ASMEND
	;; [unrolled: 3-line block ×3, first 2 shown]
	v_mul_f32_e32 v80, v99, v80
	v_dual_mul_f32 v8, v39, v8 :: v_dual_mul_f32 v71, v100, v71
	v_and_b32_e32 v82, 0xffff, v82
	v_fmac_f32_e32 v68, v143, v156
	s_delay_alu instid0(VALU_DEP_4)
	v_fmac_f32_e32 v80, v170, v85
	s_wait_alu 0xfffd
	v_cndmask_b32_e32 v8, 0, v8, vcc_lo
	v_dual_fmac_f32 v71, v172, v84 :: v_dual_and_b32 v84, 0xffff, v155
	v_lshrrev_b32_e32 v85, 16, v155
	;;#ASMSTART
	v_cvt_f32_f16 v84, v84;
	;;#ASMEND
	;;#ASMSTART
	v_cvt_f32_f16 v85, v85;
	;;#ASMEND
	;; [unrolled: 3-line block ×4, first 2 shown]
	ds_load_b128 v[152:155], v9 offset:32
	v_dual_mul_f32 v82, v84, v82 :: v_dual_mul_f32 v81, v85, v81
	v_dual_fmac_f32 v70, v158, v168 :: v_dual_and_b32 v85, 0xffff, v117
	v_and_b32_e32 v98, 0xffff, v98
	s_delay_alu instid0(VALU_DEP_3) | instskip(NEXT) | instid1(VALU_DEP_4)
	v_dual_fmac_f32 v82, v171, v83 :: v_dual_and_b32 v99, 0xffff, v116
	v_fmac_f32_e32 v81, v173, v174
	v_add_nc_u32_e32 v50, 0x80, v50
	s_wait_dscnt 0x0
	v_lshrrev_b32_e32 v84, 16, v152
	v_and_b32_e32 v83, 0xffff, v152
	;;#ASMSTART
	v_cvt_f32_f16 v83, v83;
	;;#ASMEND
	;;#ASMSTART
	v_cvt_f32_f16 v84, v84;
	;;#ASMEND
	;;#ASMSTART
	v_cvt_f32_f16 v85, v85;
	;;#ASMEND
	;;#ASMSTART
	v_cvt_f32_f16 v99, v99;
	;;#ASMEND
	v_dual_fmac_f32 v53, v83, v85 :: v_dual_fmac_f32 v68, v84, v99
	v_lshrrev_b32_e32 v84, 16, v153
	v_and_b32_e32 v83, 0xffff, v153
	v_and_b32_e32 v85, 0xffff, v115
	;;#ASMSTART
	v_cvt_f32_f16 v83, v83;
	;;#ASMEND
	;;#ASMSTART
	v_cvt_f32_f16 v84, v84;
	;;#ASMEND
	;;#ASMSTART
	v_cvt_f32_f16 v85, v85;
	;;#ASMEND
	;;#ASMSTART
	v_cvt_f32_f16 v98, v98;
	;;#ASMEND
	v_dual_fmac_f32 v70, v83, v85 :: v_dual_fmac_f32 v69, v84, v98
	v_lshrrev_b32_e32 v84, 16, v154
	v_and_b32_e32 v83, 0xffff, v154
	;; [unrolled: 16-line block ×3, first 2 shown]
	v_and_b32_e32 v85, 0xffff, v87
	v_and_b32_e32 v86, 0xffff, v86
	;;#ASMSTART
	v_cvt_f32_f16 v83, v83;
	;;#ASMEND
	;;#ASMSTART
	v_cvt_f32_f16 v84, v84;
	;;#ASMEND
	;; [unrolled: 3-line block ×4, first 2 shown]
	v_dual_fmac_f32 v82, v83, v85 :: v_dual_fmac_f32 v81, v84, v86
	v_and_b32_e32 v96, 0xffff, v133
	ds_load_b128 v[83:86], v9 offset:48
	v_and_b32_e32 v97, 0xffff, v132
	s_wait_dscnt 0x0
	v_lshrrev_b32_e32 v87, 16, v83
	v_and_b32_e32 v83, 0xffff, v83
	;;#ASMSTART
	v_cvt_f32_f16 v83, v83;
	;;#ASMEND
	;;#ASMSTART
	v_cvt_f32_f16 v87, v87;
	;;#ASMEND
	;; [unrolled: 3-line block ×4, first 2 shown]
	v_fmac_f32_e32 v53, v83, v96
	v_fmac_f32_e32 v68, v87, v97
	v_lshrrev_b32_e32 v87, 16, v84
	v_and_b32_e32 v83, 0xffff, v84
	;;#ASMSTART
	v_cvt_f32_f16 v83, v83;
	;;#ASMEND
	;;#ASMSTART
	v_cvt_f32_f16 v84, v87;
	;;#ASMEND
	v_and_b32_e32 v87, 0xffff, v131
	v_and_b32_e32 v96, 0xffff, v114
	;;#ASMSTART
	v_cvt_f32_f16 v87, v87;
	;;#ASMEND
	;;#ASMSTART
	v_cvt_f32_f16 v96, v96;
	;;#ASMEND
	s_delay_alu instid0(VALU_DEP_1)
	v_dual_fmac_f32 v70, v83, v87 :: v_dual_fmac_f32 v69, v84, v96
	v_lshrrev_b32_e32 v84, 16, v85
	v_and_b32_e32 v83, 0xffff, v85
	v_and_b32_e32 v85, 0xffff, v113
	;;#ASMSTART
	v_cvt_f32_f16 v83, v83;
	;;#ASMEND
	;;#ASMSTART
	v_cvt_f32_f16 v84, v84;
	;;#ASMEND
	;;#ASMSTART
	v_cvt_f32_f16 v85, v85;
	;;#ASMEND
	s_delay_alu instid0(VALU_DEP_1) | instskip(SKIP_1) | instid1(VALU_DEP_1)
	v_dual_fmac_f32 v80, v83, v85 :: v_dual_and_b32 v87, 0xffff, v112
	;;#ASMSTART
	v_cvt_f32_f16 v87, v87;
	;;#ASMEND
	v_fmac_f32_e32 v71, v84, v87
	v_lshrrev_b32_e32 v84, 16, v86
	v_and_b32_e32 v83, 0xffff, v86
	v_and_b32_e32 v85, 0xffff, v103
	;; [unrolled: 1-line block ×3, first 2 shown]
	;;#ASMSTART
	v_cvt_f32_f16 v83, v83;
	;;#ASMEND
	;;#ASMSTART
	v_cvt_f32_f16 v84, v84;
	;;#ASMEND
	;; [unrolled: 3-line block ×4, first 2 shown]
	v_dual_fmac_f32 v82, v83, v85 :: v_dual_fmac_f32 v81, v84, v86
	v_and_b32_e32 v96, 0xffff, v149
	ds_load_b128 v[83:86], v9 offset:64
	v_and_b32_e32 v97, 0xffff, v148
	s_wait_dscnt 0x0
	v_lshrrev_b32_e32 v87, 16, v83
	v_and_b32_e32 v83, 0xffff, v83
	;;#ASMSTART
	v_cvt_f32_f16 v83, v83;
	;;#ASMEND
	;;#ASMSTART
	v_cvt_f32_f16 v87, v87;
	;;#ASMEND
	;; [unrolled: 3-line block ×4, first 2 shown]
	v_dual_fmac_f32 v53, v83, v96 :: v_dual_and_b32 v96, 0xffff, v130
	v_fmac_f32_e32 v68, v87, v97
	v_lshrrev_b32_e32 v87, 16, v84
	v_and_b32_e32 v83, 0xffff, v84
	;;#ASMSTART
	v_cvt_f32_f16 v83, v83;
	;;#ASMEND
	;;#ASMSTART
	v_cvt_f32_f16 v84, v87;
	;;#ASMEND
	v_and_b32_e32 v87, 0xffff, v147
	;;#ASMSTART
	v_cvt_f32_f16 v87, v87;
	;;#ASMEND
	;;#ASMSTART
	v_cvt_f32_f16 v96, v96;
	;;#ASMEND
	s_delay_alu instid0(VALU_DEP_1)
	v_dual_fmac_f32 v70, v83, v87 :: v_dual_fmac_f32 v69, v84, v96
	v_lshrrev_b32_e32 v84, 16, v85
	v_and_b32_e32 v83, 0xffff, v85
	v_and_b32_e32 v85, 0xffff, v129
	;;#ASMSTART
	v_cvt_f32_f16 v83, v83;
	;;#ASMEND
	;;#ASMSTART
	v_cvt_f32_f16 v84, v84;
	;;#ASMEND
	;; [unrolled: 3-line block ×3, first 2 shown]
	v_and_b32_e32 v87, 0xffff, v128
	;;#ASMSTART
	v_cvt_f32_f16 v87, v87;
	;;#ASMEND
	s_delay_alu instid0(VALU_DEP_1)
	v_dual_fmac_f32 v80, v83, v85 :: v_dual_fmac_f32 v71, v84, v87
	v_and_b32_e32 v96, 0xffff, v165
	v_lshrrev_b32_e32 v84, 16, v86
	v_and_b32_e32 v83, 0xffff, v86
	v_and_b32_e32 v85, 0xffff, v119
	;; [unrolled: 1-line block ×3, first 2 shown]
	;;#ASMSTART
	v_cvt_f32_f16 v83, v83;
	;;#ASMEND
	;;#ASMSTART
	v_cvt_f32_f16 v84, v84;
	;;#ASMEND
	;; [unrolled: 3-line block ×4, first 2 shown]
	v_dual_fmac_f32 v82, v83, v85 :: v_dual_fmac_f32 v81, v84, v86
	ds_load_b128 v[83:86], v9 offset:80
	v_and_b32_e32 v97, 0xffff, v164
	s_wait_dscnt 0x0
	v_lshrrev_b32_e32 v87, 16, v83
	v_and_b32_e32 v83, 0xffff, v83
	;;#ASMSTART
	v_cvt_f32_f16 v83, v83;
	;;#ASMEND
	;;#ASMSTART
	v_cvt_f32_f16 v87, v87;
	;;#ASMEND
	;; [unrolled: 3-line block ×4, first 2 shown]
	v_dual_fmac_f32 v53, v83, v96 :: v_dual_and_b32 v96, 0xffff, v146
	v_fmac_f32_e32 v68, v87, v97
	v_lshrrev_b32_e32 v87, 16, v84
	v_and_b32_e32 v83, 0xffff, v84
	;;#ASMSTART
	v_cvt_f32_f16 v83, v83;
	;;#ASMEND
	;;#ASMSTART
	v_cvt_f32_f16 v84, v87;
	;;#ASMEND
	v_and_b32_e32 v87, 0xffff, v163
	;;#ASMSTART
	v_cvt_f32_f16 v87, v87;
	;;#ASMEND
	;;#ASMSTART
	v_cvt_f32_f16 v96, v96;
	;;#ASMEND
	s_delay_alu instid0(VALU_DEP_1)
	v_dual_fmac_f32 v70, v83, v87 :: v_dual_fmac_f32 v69, v84, v96
	v_lshrrev_b32_e32 v84, 16, v85
	v_and_b32_e32 v83, 0xffff, v85
	v_and_b32_e32 v85, 0xffff, v145
	;;#ASMSTART
	v_cvt_f32_f16 v83, v83;
	;;#ASMEND
	;;#ASMSTART
	v_cvt_f32_f16 v84, v84;
	;;#ASMEND
	;; [unrolled: 3-line block ×3, first 2 shown]
	v_and_b32_e32 v87, 0xffff, v144
	;;#ASMSTART
	v_cvt_f32_f16 v87, v87;
	;;#ASMEND
	s_delay_alu instid0(VALU_DEP_1)
	v_dual_fmac_f32 v80, v83, v85 :: v_dual_fmac_f32 v71, v84, v87
	v_lshrrev_b32_e32 v84, 16, v86
	v_and_b32_e32 v83, 0xffff, v86
	v_and_b32_e32 v85, 0xffff, v135
	;; [unrolled: 1-line block ×3, first 2 shown]
	;;#ASMSTART
	v_cvt_f32_f16 v83, v83;
	;;#ASMEND
	;;#ASMSTART
	v_cvt_f32_f16 v84, v84;
	;;#ASMEND
	;; [unrolled: 3-line block ×4, first 2 shown]
	v_fmac_f32_e32 v82, v83, v85
	v_dual_fmac_f32 v81, v84, v86 :: v_dual_and_b32 v96, 0xffff, v181
	ds_load_b128 v[83:86], v9 offset:96
	v_and_b32_e32 v97, 0xffff, v180
	s_wait_dscnt 0x0
	v_lshrrev_b32_e32 v87, 16, v83
	v_and_b32_e32 v83, 0xffff, v83
	;;#ASMSTART
	v_cvt_f32_f16 v83, v83;
	;;#ASMEND
	;;#ASMSTART
	v_cvt_f32_f16 v87, v87;
	;;#ASMEND
	;; [unrolled: 3-line block ×4, first 2 shown]
	v_fmac_f32_e32 v53, v83, v96
	v_fmac_f32_e32 v68, v87, v97
	v_lshrrev_b32_e32 v87, 16, v84
	v_and_b32_e32 v83, 0xffff, v84
	;;#ASMSTART
	v_cvt_f32_f16 v83, v83;
	;;#ASMEND
	;;#ASMSTART
	v_cvt_f32_f16 v84, v87;
	;;#ASMEND
	v_and_b32_e32 v87, 0xffff, v179
	v_and_b32_e32 v96, 0xffff, v162
	;;#ASMSTART
	v_cvt_f32_f16 v87, v87;
	;;#ASMEND
	;;#ASMSTART
	v_cvt_f32_f16 v96, v96;
	;;#ASMEND
	s_delay_alu instid0(VALU_DEP_1)
	v_dual_fmac_f32 v70, v83, v87 :: v_dual_fmac_f32 v69, v84, v96
	v_lshrrev_b32_e32 v84, 16, v85
	v_and_b32_e32 v83, 0xffff, v85
	v_and_b32_e32 v85, 0xffff, v161
	;;#ASMSTART
	v_cvt_f32_f16 v83, v83;
	;;#ASMEND
	;;#ASMSTART
	v_cvt_f32_f16 v84, v84;
	;;#ASMEND
	;; [unrolled: 3-line block ×3, first 2 shown]
	v_and_b32_e32 v87, 0xffff, v160
	;;#ASMSTART
	v_cvt_f32_f16 v87, v87;
	;;#ASMEND
	s_delay_alu instid0(VALU_DEP_1)
	v_dual_fmac_f32 v80, v83, v85 :: v_dual_fmac_f32 v71, v84, v87
	v_lshrrev_b32_e32 v84, 16, v86
	v_and_b32_e32 v83, 0xffff, v86
	v_and_b32_e32 v85, 0xffff, v151
	;; [unrolled: 1-line block ×3, first 2 shown]
	;;#ASMSTART
	v_cvt_f32_f16 v83, v83;
	;;#ASMEND
	;;#ASMSTART
	v_cvt_f32_f16 v84, v84;
	;;#ASMEND
	;; [unrolled: 3-line block ×4, first 2 shown]
	v_fmac_f32_e32 v82, v83, v85
	v_dual_fmac_f32 v81, v84, v86 :: v_dual_and_b32 v96, 0xffff, v45
	ds_load_b128 v[83:86], v9 offset:112
	v_and_b32_e32 v97, 0xffff, v44
	s_wait_dscnt 0x0
	v_lshrrev_b32_e32 v87, 16, v83
	v_and_b32_e32 v83, 0xffff, v83
	;;#ASMSTART
	v_cvt_f32_f16 v83, v83;
	;;#ASMEND
	;;#ASMSTART
	v_cvt_f32_f16 v87, v87;
	;;#ASMEND
	;; [unrolled: 3-line block ×4, first 2 shown]
	v_fmac_f32_e32 v53, v83, v96
	v_fmac_f32_e32 v68, v87, v97
	v_lshrrev_b32_e32 v87, 16, v84
	v_and_b32_e32 v83, 0xffff, v84
	;;#ASMSTART
	v_cvt_f32_f16 v83, v83;
	;;#ASMEND
	;;#ASMSTART
	v_cvt_f32_f16 v84, v87;
	;;#ASMEND
	v_and_b32_e32 v87, 0xffff, v43
	v_and_b32_e32 v96, 0xffff, v178
	;;#ASMSTART
	v_cvt_f32_f16 v87, v87;
	;;#ASMEND
	;;#ASMSTART
	v_cvt_f32_f16 v96, v96;
	;;#ASMEND
	s_delay_alu instid0(VALU_DEP_1)
	v_dual_fmac_f32 v70, v83, v87 :: v_dual_fmac_f32 v69, v84, v96
	v_lshrrev_b32_e32 v84, 16, v85
	v_and_b32_e32 v83, 0xffff, v85
	v_and_b32_e32 v85, 0xffff, v177
	;;#ASMSTART
	v_cvt_f32_f16 v83, v83;
	;;#ASMEND
	;;#ASMSTART
	v_cvt_f32_f16 v84, v84;
	;;#ASMEND
	;; [unrolled: 3-line block ×3, first 2 shown]
	v_and_b32_e32 v87, 0xffff, v176
	;;#ASMSTART
	v_cvt_f32_f16 v87, v87;
	;;#ASMEND
	s_delay_alu instid0(VALU_DEP_1)
	v_dual_fmac_f32 v80, v83, v85 :: v_dual_fmac_f32 v71, v84, v87
	v_lshrrev_b32_e32 v84, 16, v86
	v_and_b32_e32 v83, 0xffff, v86
	v_and_b32_e32 v85, 0xffff, v167
	;; [unrolled: 1-line block ×3, first 2 shown]
	;;#ASMSTART
	v_cvt_f32_f16 v83, v83;
	;;#ASMEND
	;;#ASMSTART
	v_cvt_f32_f16 v84, v84;
	;;#ASMEND
	;; [unrolled: 3-line block ×4, first 2 shown]
	v_fmac_f32_e32 v82, v83, v85
	v_dual_fmac_f32 v81, v84, v86 :: v_dual_and_b32 v96, 0xffff, v95
	ds_load_b128 v[83:86], v9 offset:128
	v_and_b32_e32 v97, 0xffff, v90
	s_wait_dscnt 0x0
	v_lshrrev_b32_e32 v87, 16, v83
	v_and_b32_e32 v83, 0xffff, v83
	;;#ASMSTART
	v_cvt_f32_f16 v83, v83;
	;;#ASMEND
	;;#ASMSTART
	v_cvt_f32_f16 v87, v87;
	;;#ASMEND
	;; [unrolled: 3-line block ×4, first 2 shown]
	v_fmac_f32_e32 v53, v83, v96
	v_fmac_f32_e32 v68, v87, v97
	v_lshrrev_b32_e32 v87, 16, v84
	v_and_b32_e32 v83, 0xffff, v84
	;;#ASMSTART
	v_cvt_f32_f16 v83, v83;
	;;#ASMEND
	;;#ASMSTART
	v_cvt_f32_f16 v84, v87;
	;;#ASMEND
	v_and_b32_e32 v87, 0xffff, v89
	v_and_b32_e32 v96, 0xffff, v42
	;;#ASMSTART
	v_cvt_f32_f16 v87, v87;
	;;#ASMEND
	;;#ASMSTART
	v_cvt_f32_f16 v96, v96;
	;;#ASMEND
	s_delay_alu instid0(VALU_DEP_1)
	v_dual_fmac_f32 v70, v83, v87 :: v_dual_fmac_f32 v69, v84, v96
	v_lshrrev_b32_e32 v84, 16, v85
	v_and_b32_e32 v83, 0xffff, v85
	v_and_b32_e32 v85, 0xffff, v41
	;;#ASMSTART
	v_cvt_f32_f16 v83, v83;
	;;#ASMEND
	;;#ASMSTART
	v_cvt_f32_f16 v84, v84;
	;;#ASMEND
	;; [unrolled: 3-line block ×3, first 2 shown]
	v_and_b32_e32 v87, 0xffff, v40
	;;#ASMSTART
	v_cvt_f32_f16 v87, v87;
	;;#ASMEND
	v_dual_fmac_f32 v80, v83, v85 :: v_dual_and_b32 v83, 0xffff, v86
	v_and_b32_e32 v85, 0xffff, v183
	s_delay_alu instid0(VALU_DEP_3)
	v_dual_fmac_f32 v71, v84, v87 :: v_dual_and_b32 v96, 0xffff, v142
	v_lshrrev_b32_e32 v84, 16, v86
	v_and_b32_e32 v86, 0xffff, v182
	;;#ASMSTART
	v_cvt_f32_f16 v83, v83;
	;;#ASMEND
	;;#ASMSTART
	v_cvt_f32_f16 v84, v84;
	;;#ASMEND
	;; [unrolled: 3-line block ×4, first 2 shown]
	v_dual_fmac_f32 v82, v83, v85 :: v_dual_fmac_f32 v81, v84, v86
	ds_load_b128 v[83:86], v9 offset:144
	v_and_b32_e32 v97, 0xffff, v138
	s_wait_dscnt 0x0
	v_lshrrev_b32_e32 v87, 16, v83
	v_and_b32_e32 v83, 0xffff, v83
	;;#ASMSTART
	v_cvt_f32_f16 v83, v83;
	;;#ASMEND
	;;#ASMSTART
	v_cvt_f32_f16 v87, v87;
	;;#ASMEND
	;; [unrolled: 3-line block ×4, first 2 shown]
	v_fmac_f32_e32 v53, v83, v96
	v_fmac_f32_e32 v68, v87, v97
	v_lshrrev_b32_e32 v87, 16, v84
	v_and_b32_e32 v83, 0xffff, v84
	;;#ASMSTART
	v_cvt_f32_f16 v83, v83;
	;;#ASMEND
	;;#ASMSTART
	v_cvt_f32_f16 v84, v87;
	;;#ASMEND
	v_and_b32_e32 v87, 0xffff, v137
	v_and_b32_e32 v96, 0xffff, v74
	;;#ASMSTART
	v_cvt_f32_f16 v87, v87;
	;;#ASMEND
	;;#ASMSTART
	v_cvt_f32_f16 v96, v96;
	;;#ASMEND
	s_delay_alu instid0(VALU_DEP_1)
	v_dual_fmac_f32 v70, v83, v87 :: v_dual_fmac_f32 v69, v84, v96
	v_lshrrev_b32_e32 v84, 16, v85
	v_and_b32_e32 v83, 0xffff, v85
	v_and_b32_e32 v85, 0xffff, v73
	;;#ASMSTART
	v_cvt_f32_f16 v83, v83;
	;;#ASMEND
	;;#ASMSTART
	v_cvt_f32_f16 v84, v84;
	;;#ASMEND
	;; [unrolled: 3-line block ×3, first 2 shown]
	v_and_b32_e32 v87, 0xffff, v62
	;;#ASMSTART
	v_cvt_f32_f16 v87, v87;
	;;#ASMEND
	s_delay_alu instid0(VALU_DEP_1)
	v_dual_fmac_f32 v80, v83, v85 :: v_dual_fmac_f32 v71, v84, v87
	v_lshrrev_b32_e32 v84, 16, v86
	v_and_b32_e32 v83, 0xffff, v86
	v_and_b32_e32 v85, 0xffff, v61
	;; [unrolled: 1-line block ×3, first 2 shown]
	;;#ASMSTART
	v_cvt_f32_f16 v83, v83;
	;;#ASMEND
	;;#ASMSTART
	v_cvt_f32_f16 v84, v84;
	;;#ASMEND
	;; [unrolled: 3-line block ×4, first 2 shown]
	v_dual_fmac_f32 v82, v83, v85 :: v_dual_fmac_f32 v81, v84, v86
	ds_load_b128 v[83:86], v9 offset:160
	v_and_b32_e32 v96, 0xffff, v141
	v_and_b32_e32 v97, 0xffff, v140
	s_wait_dscnt 0x0
	v_lshrrev_b32_e32 v87, 16, v83
	v_and_b32_e32 v83, 0xffff, v83
	;;#ASMSTART
	v_cvt_f32_f16 v83, v83;
	;;#ASMEND
	;;#ASMSTART
	v_cvt_f32_f16 v87, v87;
	;;#ASMEND
	;; [unrolled: 3-line block ×4, first 2 shown]
	v_fmac_f32_e32 v53, v83, v96
	v_fmac_f32_e32 v68, v87, v97
	v_lshrrev_b32_e32 v87, 16, v84
	v_and_b32_e32 v83, 0xffff, v84
	;;#ASMSTART
	v_cvt_f32_f16 v83, v83;
	;;#ASMEND
	;;#ASMSTART
	v_cvt_f32_f16 v84, v87;
	;;#ASMEND
	v_and_b32_e32 v87, 0xffff, v139
	v_and_b32_e32 v96, 0xffff, v136
	;;#ASMSTART
	v_cvt_f32_f16 v87, v87;
	;;#ASMEND
	;;#ASMSTART
	v_cvt_f32_f16 v96, v96;
	;;#ASMEND
	s_delay_alu instid0(VALU_DEP_1)
	v_dual_fmac_f32 v70, v83, v87 :: v_dual_fmac_f32 v69, v84, v96
	v_lshrrev_b32_e32 v84, 16, v85
	v_and_b32_e32 v83, 0xffff, v85
	v_and_b32_e32 v85, 0xffff, v127
	;;#ASMSTART
	v_cvt_f32_f16 v83, v83;
	;;#ASMEND
	;;#ASMSTART
	v_cvt_f32_f16 v84, v84;
	;;#ASMEND
	;; [unrolled: 3-line block ×3, first 2 shown]
	v_and_b32_e32 v87, 0xffff, v120
	;;#ASMSTART
	v_cvt_f32_f16 v87, v87;
	;;#ASMEND
	s_delay_alu instid0(VALU_DEP_1)
	v_dual_fmac_f32 v80, v83, v85 :: v_dual_fmac_f32 v71, v84, v87
	v_lshrrev_b32_e32 v84, 16, v86
	v_and_b32_e32 v83, 0xffff, v86
	v_and_b32_e32 v85, 0xffff, v111
	;; [unrolled: 1-line block ×3, first 2 shown]
	;;#ASMSTART
	v_cvt_f32_f16 v83, v83;
	;;#ASMEND
	;;#ASMSTART
	v_cvt_f32_f16 v84, v84;
	;;#ASMEND
	;;#ASMSTART
	v_cvt_f32_f16 v85, v85;
	;;#ASMEND
	;;#ASMSTART
	v_cvt_f32_f16 v86, v86;
	;;#ASMEND
	v_dual_fmac_f32 v82, v83, v85 :: v_dual_fmac_f32 v81, v84, v86
	ds_load_b128 v[83:86], v9 offset:176
	v_and_b32_e32 v96, 0xffff, v126
	v_and_b32_e32 v97, 0xffff, v125
	s_wait_dscnt 0x0
	v_lshrrev_b32_e32 v87, 16, v83
	v_and_b32_e32 v83, 0xffff, v83
	;;#ASMSTART
	v_cvt_f32_f16 v83, v83;
	;;#ASMEND
	;;#ASMSTART
	v_cvt_f32_f16 v87, v87;
	;;#ASMEND
	;; [unrolled: 3-line block ×4, first 2 shown]
	v_fmac_f32_e32 v53, v83, v96
	v_fmac_f32_e32 v68, v87, v97
	v_lshrrev_b32_e32 v87, 16, v84
	v_and_b32_e32 v83, 0xffff, v84
	;;#ASMSTART
	v_cvt_f32_f16 v83, v83;
	;;#ASMEND
	;;#ASMSTART
	v_cvt_f32_f16 v84, v87;
	;;#ASMEND
	v_and_b32_e32 v87, 0xffff, v124
	v_and_b32_e32 v96, 0xffff, v123
	;;#ASMSTART
	v_cvt_f32_f16 v87, v87;
	;;#ASMEND
	;;#ASMSTART
	v_cvt_f32_f16 v96, v96;
	;;#ASMEND
	s_delay_alu instid0(VALU_DEP_1)
	v_dual_fmac_f32 v70, v83, v87 :: v_dual_fmac_f32 v69, v84, v96
	v_lshrrev_b32_e32 v84, 16, v85
	v_and_b32_e32 v83, 0xffff, v85
	v_and_b32_e32 v85, 0xffff, v122
	;;#ASMSTART
	v_cvt_f32_f16 v83, v83;
	;;#ASMEND
	;;#ASMSTART
	v_cvt_f32_f16 v84, v84;
	;;#ASMEND
	;; [unrolled: 3-line block ×3, first 2 shown]
	v_and_b32_e32 v87, 0xffff, v121
	;;#ASMSTART
	v_cvt_f32_f16 v87, v87;
	;;#ASMEND
	s_delay_alu instid0(VALU_DEP_1)
	v_dual_fmac_f32 v80, v83, v85 :: v_dual_fmac_f32 v71, v84, v87
	v_lshrrev_b32_e32 v84, 16, v86
	v_and_b32_e32 v83, 0xffff, v86
	v_and_b32_e32 v85, 0xffff, v110
	;; [unrolled: 1-line block ×3, first 2 shown]
	;;#ASMSTART
	v_cvt_f32_f16 v83, v83;
	;;#ASMEND
	;;#ASMSTART
	v_cvt_f32_f16 v84, v84;
	;;#ASMEND
	;; [unrolled: 3-line block ×4, first 2 shown]
	v_dual_fmac_f32 v82, v83, v85 :: v_dual_fmac_f32 v81, v84, v86
	ds_load_b128 v[83:86], v9 offset:192
	v_and_b32_e32 v96, 0xffff, v108
	v_and_b32_e32 v97, 0xffff, v107
	s_wait_dscnt 0x0
	v_lshrrev_b32_e32 v87, 16, v83
	v_and_b32_e32 v83, 0xffff, v83
	;;#ASMSTART
	v_cvt_f32_f16 v83, v83;
	;;#ASMEND
	;;#ASMSTART
	v_cvt_f32_f16 v87, v87;
	;;#ASMEND
	;; [unrolled: 3-line block ×4, first 2 shown]
	v_fmac_f32_e32 v53, v83, v96
	v_fmac_f32_e32 v68, v87, v97
	v_lshrrev_b32_e32 v87, 16, v84
	v_and_b32_e32 v83, 0xffff, v84
	;;#ASMSTART
	v_cvt_f32_f16 v83, v83;
	;;#ASMEND
	;;#ASMSTART
	v_cvt_f32_f16 v84, v87;
	;;#ASMEND
	v_and_b32_e32 v87, 0xffff, v105
	v_and_b32_e32 v96, 0xffff, v104
	;;#ASMSTART
	v_cvt_f32_f16 v87, v87;
	;;#ASMEND
	;;#ASMSTART
	v_cvt_f32_f16 v96, v96;
	;;#ASMEND
	s_delay_alu instid0(VALU_DEP_1)
	v_dual_fmac_f32 v70, v83, v87 :: v_dual_fmac_f32 v69, v84, v96
	v_lshrrev_b32_e32 v84, 16, v85
	v_and_b32_e32 v83, 0xffff, v85
	v_and_b32_e32 v85, 0xffff, v94
	;;#ASMSTART
	v_cvt_f32_f16 v83, v83;
	;;#ASMEND
	;;#ASMSTART
	v_cvt_f32_f16 v84, v84;
	;;#ASMEND
	;; [unrolled: 3-line block ×3, first 2 shown]
	v_and_b32_e32 v87, 0xffff, v93
	;;#ASMSTART
	v_cvt_f32_f16 v87, v87;
	;;#ASMEND
	s_delay_alu instid0(VALU_DEP_1)
	v_dual_fmac_f32 v80, v83, v85 :: v_dual_fmac_f32 v71, v84, v87
	v_lshrrev_b32_e32 v84, 16, v86
	v_and_b32_e32 v83, 0xffff, v86
	v_and_b32_e32 v85, 0xffff, v92
	;; [unrolled: 1-line block ×3, first 2 shown]
	;;#ASMSTART
	v_cvt_f32_f16 v83, v83;
	;;#ASMEND
	;;#ASMSTART
	v_cvt_f32_f16 v84, v84;
	;;#ASMEND
	;; [unrolled: 3-line block ×4, first 2 shown]
	v_dual_fmac_f32 v82, v83, v85 :: v_dual_fmac_f32 v81, v84, v86
	ds_load_b128 v[83:86], v9 offset:208
	v_and_b32_e32 v96, 0xffff, v88
	v_and_b32_e32 v97, 0xffff, v79
	s_wait_dscnt 0x0
	v_lshrrev_b32_e32 v87, 16, v83
	v_and_b32_e32 v83, 0xffff, v83
	;;#ASMSTART
	v_cvt_f32_f16 v83, v83;
	;;#ASMEND
	;;#ASMSTART
	v_cvt_f32_f16 v87, v87;
	;;#ASMEND
	;;#ASMSTART
	v_cvt_f32_f16 v96, v96;
	;;#ASMEND
	;;#ASMSTART
	v_cvt_f32_f16 v97, v97;
	;;#ASMEND
	v_fmac_f32_e32 v53, v83, v96
	v_fmac_f32_e32 v68, v87, v97
	v_lshrrev_b32_e32 v87, 16, v84
	v_and_b32_e32 v83, 0xffff, v84
	;;#ASMSTART
	v_cvt_f32_f16 v83, v83;
	;;#ASMEND
	;;#ASMSTART
	v_cvt_f32_f16 v84, v87;
	;;#ASMEND
	v_and_b32_e32 v87, 0xffff, v78
	v_and_b32_e32 v96, 0xffff, v77
	;;#ASMSTART
	v_cvt_f32_f16 v87, v87;
	;;#ASMEND
	;;#ASMSTART
	v_cvt_f32_f16 v96, v96;
	;;#ASMEND
	s_delay_alu instid0(VALU_DEP_1)
	v_dual_fmac_f32 v70, v83, v87 :: v_dual_fmac_f32 v69, v84, v96
	v_lshrrev_b32_e32 v84, 16, v85
	v_and_b32_e32 v83, 0xffff, v85
	v_and_b32_e32 v85, 0xffff, v76
	;;#ASMSTART
	v_cvt_f32_f16 v83, v83;
	;;#ASMEND
	;;#ASMSTART
	v_cvt_f32_f16 v84, v84;
	;;#ASMEND
	;; [unrolled: 3-line block ×3, first 2 shown]
	v_and_b32_e32 v87, 0xffff, v75
	;;#ASMSTART
	v_cvt_f32_f16 v87, v87;
	;;#ASMEND
	s_delay_alu instid0(VALU_DEP_1)
	v_dual_fmac_f32 v80, v83, v85 :: v_dual_fmac_f32 v71, v84, v87
	v_lshrrev_b32_e32 v84, 16, v86
	v_and_b32_e32 v83, 0xffff, v86
	v_and_b32_e32 v85, 0xffff, v72
	;; [unrolled: 1-line block ×3, first 2 shown]
	;;#ASMSTART
	v_cvt_f32_f16 v83, v83;
	;;#ASMEND
	;;#ASMSTART
	v_cvt_f32_f16 v84, v84;
	;;#ASMEND
	;;#ASMSTART
	v_cvt_f32_f16 v85, v85;
	;;#ASMEND
	;;#ASMSTART
	v_cvt_f32_f16 v86, v86;
	;;#ASMEND
	v_dual_fmac_f32 v82, v83, v85 :: v_dual_fmac_f32 v81, v84, v86
	ds_load_b128 v[83:86], v9 offset:224
	v_and_b32_e32 v96, 0xffff, v60
	v_and_b32_e32 v97, 0xffff, v59
	s_wait_dscnt 0x0
	v_lshrrev_b32_e32 v87, 16, v83
	v_and_b32_e32 v83, 0xffff, v83
	;;#ASMSTART
	v_cvt_f32_f16 v83, v83;
	;;#ASMEND
	;;#ASMSTART
	v_cvt_f32_f16 v87, v87;
	;;#ASMEND
	;;#ASMSTART
	v_cvt_f32_f16 v96, v96;
	;;#ASMEND
	;;#ASMSTART
	v_cvt_f32_f16 v97, v97;
	;;#ASMEND
	v_fmac_f32_e32 v53, v83, v96
	v_fmac_f32_e32 v68, v87, v97
	v_lshrrev_b32_e32 v87, 16, v84
	v_and_b32_e32 v83, 0xffff, v84
	;;#ASMSTART
	v_cvt_f32_f16 v83, v83;
	;;#ASMEND
	;;#ASMSTART
	v_cvt_f32_f16 v84, v87;
	;;#ASMEND
	v_and_b32_e32 v87, 0xffff, v58
	v_and_b32_e32 v96, 0xffff, v57
	;;#ASMSTART
	v_cvt_f32_f16 v87, v87;
	;;#ASMEND
	;;#ASMSTART
	v_cvt_f32_f16 v96, v96;
	;;#ASMEND
	s_delay_alu instid0(VALU_DEP_1)
	v_dual_fmac_f32 v70, v83, v87 :: v_dual_fmac_f32 v69, v84, v96
	v_lshrrev_b32_e32 v84, 16, v85
	v_and_b32_e32 v83, 0xffff, v85
	;;#ASMSTART
	v_cvt_f32_f16 v83, v83;
	;;#ASMEND
	;;#ASMSTART
	v_cvt_f32_f16 v84, v84;
	;;#ASMEND
	v_and_b32_e32 v85, 0xffff, v56
	v_and_b32_e32 v87, 0xffff, v47
	;;#ASMSTART
	v_cvt_f32_f16 v85, v85;
	;;#ASMEND
	;;#ASMSTART
	v_cvt_f32_f16 v87, v87;
	;;#ASMEND
	s_delay_alu instid0(VALU_DEP_1)
	v_dual_fmac_f32 v80, v83, v85 :: v_dual_fmac_f32 v71, v84, v87
	v_lshrrev_b32_e32 v84, 16, v86
	v_and_b32_e32 v83, 0xffff, v86
	;;#ASMSTART
	v_cvt_f32_f16 v83, v83;
	;;#ASMEND
	;;#ASMSTART
	v_cvt_f32_f16 v84, v84;
	;;#ASMEND
	;; [unrolled: 3-line block ×4, first 2 shown]
	v_dual_fmac_f32 v82, v83, v29 :: v_dual_fmac_f32 v81, v84, v28
	ds_load_b128 v[83:86], v9 offset:240
	s_wait_dscnt 0x0
	v_lshrrev_b32_e32 v29, 16, v83
	v_and_b32_e32 v28, 0xffff, v83
	;;#ASMSTART
	v_cvt_f32_f16 v28, v28;
	;;#ASMEND
	;;#ASMSTART
	v_cvt_f32_f16 v29, v29;
	;;#ASMEND
	;;#ASMSTART
	v_cvt_f32_f16 v67, v67;
	;;#ASMEND
	;;#ASMSTART
	v_cvt_f32_f16 v66, v66;
	;;#ASMEND
	v_dual_fmac_f32 v53, v28, v67 :: v_dual_fmac_f32 v68, v29, v66
	v_lshrrev_b32_e32 v29, 16, v84
	v_and_b32_e32 v28, 0xffff, v84
	;;#ASMSTART
	v_cvt_f32_f16 v28, v28;
	;;#ASMEND
	;;#ASMSTART
	v_cvt_f32_f16 v29, v29;
	;;#ASMEND
	;;#ASMSTART
	v_cvt_f32_f16 v65, v65;
	;;#ASMEND
	;;#ASMSTART
	v_cvt_f32_f16 v64, v64;
	;;#ASMEND
	v_dual_fmac_f32 v70, v28, v65 :: v_dual_fmac_f32 v69, v29, v64
	v_lshrrev_b32_e32 v29, 16, v85
	v_and_b32_e32 v28, 0xffff, v85
	;;#ASMSTART
	v_cvt_f32_f16 v28, v28;
	;;#ASMEND
	;;#ASMSTART
	v_cvt_f32_f16 v29, v29;
	;;#ASMEND
	;;#ASMSTART
	v_cvt_f32_f16 v55, v55;
	;;#ASMEND
	;;#ASMSTART
	v_cvt_f32_f16 v54, v54;
	;;#ASMEND
	v_dual_fmac_f32 v80, v28, v55 :: v_dual_fmac_f32 v71, v29, v54
	v_lshrrev_b32_e32 v29, 16, v86
	v_and_b32_e32 v28, 0xffff, v86
	;;#ASMSTART
	v_cvt_f32_f16 v28, v28;
	;;#ASMEND
	;;#ASMSTART
	v_cvt_f32_f16 v29, v29;
	;;#ASMEND
	;; [unrolled: 3-line block ×4, first 2 shown]
	v_fmac_f32_e32 v81, v29, v20
	v_add_f32_e32 v20, v53, v68
	v_fmac_f32_e32 v82, v28, v21
	s_delay_alu instid0(VALU_DEP_2) | instskip(NEXT) | instid1(VALU_DEP_1)
	v_add_f32_e32 v20, v20, v70
	v_add_f32_e32 v20, v69, v20
	s_delay_alu instid0(VALU_DEP_1) | instskip(NEXT) | instid1(VALU_DEP_1)
	v_add_f32_e32 v20, v20, v80
	v_add_f32_e32 v20, v71, v20
	s_delay_alu instid0(VALU_DEP_1) | instskip(NEXT) | instid1(VALU_DEP_1)
	v_add_f32_e32 v20, v20, v82
	v_add_f32_e32 v20, v81, v20
	s_delay_alu instid0(VALU_DEP_1) | instskip(SKIP_1) | instid1(VALU_DEP_1)
	v_fmac_f32_e32 v8, v13, v20
	s_wait_alu 0xf1ff
	v_cndmask_b32_e64 v20, 0, v8, s1
	ds_store_b32 v51, v20
	v_dual_max_num_f32 v20, v48, v48 :: v_dual_add_nc_u32 v51, 0x200, v51
	s_delay_alu instid0(VALU_DEP_1) | instskip(NEXT) | instid1(VALU_DEP_1)
	v_max_num_f32_e32 v8, v20, v8
	v_cndmask_b32_e64 v48, v48, v8, s1
	v_add_co_u32 v18, s1, v18, 16
	s_wait_alu 0xf1ff
	v_add_co_ci_u32_e64 v19, null, 0, v19, s1
	v_cmp_ge_i32_e64 s1, v52, v33
	s_or_b32 s7, s1, s7
	s_wait_alu 0xfffe
	s_and_not1_b32 exec_lo, exec_lo, s7
	s_cbranch_execz .LBB307_1032
.LBB307_11:                             ; =>This Inner Loop Header: Depth=1
	flat_load_b32 v8, v[18:19]
	v_mov_b32_e32 v54, 0
	s_mov_b32 s16, exec_lo
	s_wait_loadcnt_dscnt 0x0
	v_mad_co_i64_i32 v[20:21], null, v8, v22, v[16:17]
	flat_load_b64 v[28:29], v[20:21]
	flat_load_b32 v53, v[24:25]
	s_wait_loadcnt_dscnt 0x101
	v_and_b32_e32 v8, 0xff, v28
	s_delay_alu instid0(VALU_DEP_1)
	v_cmpx_ne_u16_e32 0, v8
	s_cbranch_execz .LBB307_19
; %bb.12:                               ;   in Loop: Header=BB307_11 Depth=1
	v_mov_b32_e32 v54, 0x8000
	s_mov_b32 s17, exec_lo
	v_cmpx_ne_u16_e32 0x80, v8
	s_cbranch_execz .LBB307_18
; %bb.13:                               ;   in Loop: Header=BB307_11 Depth=1
	v_and_b32_e32 v55, 0x7f, v28
	v_mov_b32_e32 v54, 0x7c01
	s_mov_b32 s18, exec_lo
	s_delay_alu instid0(VALU_DEP_2)
	v_cmpx_ne_u32_e32 0x7f, v55
	s_cbranch_execz .LBB307_17
; %bb.14:                               ;   in Loop: Header=BB307_11 Depth=1
	v_and_b32_e32 v8, 7, v28
	v_lshrrev_b32_e32 v54, 3, v55
	s_mov_b32 s19, exec_lo
	v_cmpx_gt_u32_e32 8, v55
; %bb.15:                               ;   in Loop: Header=BB307_11 Depth=1
	s_delay_alu instid0(VALU_DEP_3) | instskip(NEXT) | instid1(VALU_DEP_1)
	v_clz_i32_u32_e32 v8, v8
	v_min_u32_e32 v8, 32, v8
	s_delay_alu instid0(VALU_DEP_1) | instskip(NEXT) | instid1(VALU_DEP_1)
	v_subrev_nc_u32_e32 v54, 28, v8
	v_lshlrev_b64_e32 v[64:65], v54, v[28:29]
	v_sub_nc_u32_e32 v54, 29, v8
	s_delay_alu instid0(VALU_DEP_2)
	v_and_b32_e32 v8, 7, v64
; %bb.16:                               ;   in Loop: Header=BB307_11 Depth=1
	s_wait_alu 0xfffe
	s_or_b32 exec_lo, exec_lo, s19
	v_lshlrev_b32_e32 v55, 8, v28
	v_lshl_add_u32 v54, v54, 10, 0x2000
	v_lshlrev_b32_e32 v8, 7, v8
	s_delay_alu instid0(VALU_DEP_3) | instskip(NEXT) | instid1(VALU_DEP_3)
	v_and_b32_e32 v55, 0x8000, v55
	v_and_b32_e32 v54, 0xfc00, v54
	s_delay_alu instid0(VALU_DEP_1)
	v_or3_b32 v54, v55, v54, v8
.LBB307_17:                             ;   in Loop: Header=BB307_11 Depth=1
	s_wait_alu 0xfffe
	s_or_b32 exec_lo, exec_lo, s18
.LBB307_18:                             ;   in Loop: Header=BB307_11 Depth=1
	s_wait_alu 0xfffe
	s_or_b32 exec_lo, exec_lo, s17
.LBB307_19:                             ;   in Loop: Header=BB307_11 Depth=1
	s_wait_alu 0xfffe
	s_or_b32 exec_lo, exec_lo, s16
	v_lshrrev_b16 v8, 8, v28
	v_dual_mov_b32 v64, 0 :: v_dual_mov_b32 v55, 0
	s_mov_b32 s16, exec_lo
	s_delay_alu instid0(VALU_DEP_2)
	v_cmpx_ne_u16_e32 0, v8
	s_cbranch_execz .LBB307_27
; %bb.20:                               ;   in Loop: Header=BB307_11 Depth=1
	v_bfrev_b32_e32 v55, 1
	s_mov_b32 s17, exec_lo
	v_cmpx_ne_u16_e32 0x80, v8
	s_cbranch_execz .LBB307_26
; %bb.21:                               ;   in Loop: Header=BB307_11 Depth=1
	v_and_b32_e32 v65, 0xffff, v8
	v_mov_b32_e32 v55, 0x7c010000
	s_mov_b32 s18, exec_lo
	s_delay_alu instid0(VALU_DEP_2) | instskip(NEXT) | instid1(VALU_DEP_1)
	v_and_b32_e32 v67, 0x7f, v65
	v_cmpx_ne_u32_e32 0x7f, v67
	s_cbranch_execz .LBB307_25
; %bb.22:                               ;   in Loop: Header=BB307_11 Depth=1
	v_and_b32_e32 v55, 7, v65
	v_lshrrev_b32_e32 v66, 3, v67
	s_mov_b32 s19, exec_lo
	v_cmpx_gt_u32_e32 8, v67
; %bb.23:                               ;   in Loop: Header=BB307_11 Depth=1
	s_delay_alu instid0(VALU_DEP_3) | instskip(NEXT) | instid1(VALU_DEP_1)
	v_clz_i32_u32_e32 v55, v55
	v_min_u32_e32 v55, 32, v55
	s_delay_alu instid0(VALU_DEP_1) | instskip(NEXT) | instid1(VALU_DEP_1)
	v_subrev_nc_u32_e32 v66, 28, v55
	v_lshlrev_b64_e32 v[67:68], v66, v[8:9]
	v_sub_nc_u32_e32 v66, 29, v55
	s_delay_alu instid0(VALU_DEP_2)
	v_and_b32_e32 v55, 7, v67
; %bb.24:                               ;   in Loop: Header=BB307_11 Depth=1
	s_wait_alu 0xfffe
	s_or_b32 exec_lo, exec_lo, s19
	v_lshlrev_b32_e32 v8, 8, v65
	v_lshl_add_u32 v65, v66, 10, 0x2000
	v_lshlrev_b32_e32 v55, 23, v55
	s_delay_alu instid0(VALU_DEP_2) | instskip(NEXT) | instid1(VALU_DEP_1)
	v_and_or_b32 v8, 0x8000, v8, v65
	v_lshl_or_b32 v55, v8, 16, v55
.LBB307_25:                             ;   in Loop: Header=BB307_11 Depth=1
	s_wait_alu 0xfffe
	s_or_b32 exec_lo, exec_lo, s18
.LBB307_26:                             ;   in Loop: Header=BB307_11 Depth=1
	s_wait_alu 0xfffe
	s_or_b32 exec_lo, exec_lo, s17
.LBB307_27:                             ;   in Loop: Header=BB307_11 Depth=1
	s_wait_alu 0xfffe
	s_or_b32 exec_lo, exec_lo, s16
	v_lshrrev_b32_e32 v8, 16, v28
	s_mov_b32 s16, exec_lo
	s_delay_alu instid0(VALU_DEP_1) | instskip(NEXT) | instid1(VALU_DEP_1)
	v_and_b32_e32 v65, 0xff, v8
	v_cmpx_ne_u16_e32 0, v65
	s_cbranch_execz .LBB307_35
; %bb.28:                               ;   in Loop: Header=BB307_11 Depth=1
	v_mov_b32_e32 v64, 0x8000
	s_mov_b32 s17, exec_lo
	v_cmpx_ne_u16_e32 0x80, v65
	s_cbranch_execz .LBB307_34
; %bb.29:                               ;   in Loop: Header=BB307_11 Depth=1
	v_bfe_u32 v66, v28, 16, 7
	v_mov_b32_e32 v64, 0x7c01
	s_mov_b32 s18, exec_lo
	s_delay_alu instid0(VALU_DEP_2)
	v_cmpx_ne_u32_e32 0x7f, v66
	s_cbranch_execz .LBB307_33
; %bb.30:                               ;   in Loop: Header=BB307_11 Depth=1
	v_and_b32_e32 v64, 7, v8
	v_lshrrev_b32_e32 v65, 3, v66
	s_mov_b32 s19, exec_lo
	v_cmpx_gt_u32_e32 8, v66
; %bb.31:                               ;   in Loop: Header=BB307_11 Depth=1
	s_delay_alu instid0(VALU_DEP_3) | instskip(NEXT) | instid1(VALU_DEP_1)
	v_clz_i32_u32_e32 v64, v64
	v_min_u32_e32 v66, 32, v64
	s_delay_alu instid0(VALU_DEP_1) | instskip(NEXT) | instid1(VALU_DEP_1)
	v_subrev_nc_u32_e32 v64, 28, v66
	v_lshlrev_b64_e32 v[64:65], v64, v[8:9]
	v_sub_nc_u32_e32 v65, 29, v66
	s_delay_alu instid0(VALU_DEP_2)
	v_and_b32_e32 v64, 7, v64
; %bb.32:                               ;   in Loop: Header=BB307_11 Depth=1
	s_wait_alu 0xfffe
	s_or_b32 exec_lo, exec_lo, s19
	v_lshlrev_b32_e32 v8, 8, v8
	v_lshl_add_u32 v65, v65, 10, 0x2000
	v_lshlrev_b32_e32 v64, 7, v64
	s_delay_alu instid0(VALU_DEP_3) | instskip(NEXT) | instid1(VALU_DEP_3)
	v_and_b32_e32 v8, 0x8000, v8
	v_and_b32_e32 v65, 0xfc00, v65
	s_delay_alu instid0(VALU_DEP_1)
	v_or3_b32 v64, v8, v65, v64
.LBB307_33:                             ;   in Loop: Header=BB307_11 Depth=1
	s_wait_alu 0xfffe
	s_or_b32 exec_lo, exec_lo, s18
.LBB307_34:                             ;   in Loop: Header=BB307_11 Depth=1
	s_wait_alu 0xfffe
	s_or_b32 exec_lo, exec_lo, s17
.LBB307_35:                             ;   in Loop: Header=BB307_11 Depth=1
	s_wait_alu 0xfffe
	s_or_b32 exec_lo, exec_lo, s16
	v_dual_mov_b32 v65, 0 :: v_dual_mov_b32 v66, 0
	s_mov_b32 s16, exec_lo
	v_cmpx_lt_u32_e32 0xffffff, v28
	s_cbranch_execz .LBB307_43
; %bb.36:                               ;   in Loop: Header=BB307_11 Depth=1
	v_lshrrev_b32_e32 v8, 24, v28
	v_bfrev_b32_e32 v66, 1
	s_mov_b32 s17, exec_lo
	s_delay_alu instid0(VALU_DEP_2)
	v_cmpx_ne_u32_e32 0x80, v8
	s_cbranch_execz .LBB307_42
; %bb.37:                               ;   in Loop: Header=BB307_11 Depth=1
	v_and_b32_e32 v68, 0x7f, v8
	v_mov_b32_e32 v66, 0x7c010000
	s_mov_b32 s18, exec_lo
	s_delay_alu instid0(VALU_DEP_2)
	v_cmpx_ne_u32_e32 0x7f, v68
	s_cbranch_execz .LBB307_41
; %bb.38:                               ;   in Loop: Header=BB307_11 Depth=1
	v_and_b32_e32 v66, 7, v8
	v_lshrrev_b32_e32 v67, 3, v68
	s_mov_b32 s19, exec_lo
	v_cmpx_gt_u32_e32 8, v68
; %bb.39:                               ;   in Loop: Header=BB307_11 Depth=1
	s_delay_alu instid0(VALU_DEP_3) | instskip(NEXT) | instid1(VALU_DEP_1)
	v_clz_i32_u32_e32 v66, v66
	v_min_u32_e32 v68, 32, v66
	s_delay_alu instid0(VALU_DEP_1) | instskip(NEXT) | instid1(VALU_DEP_1)
	v_subrev_nc_u32_e32 v66, 28, v68
	v_lshlrev_b64_e32 v[66:67], v66, v[8:9]
	v_sub_nc_u32_e32 v67, 29, v68
	s_delay_alu instid0(VALU_DEP_2)
	v_and_b32_e32 v66, 7, v66
; %bb.40:                               ;   in Loop: Header=BB307_11 Depth=1
	s_wait_alu 0xfffe
	s_or_b32 exec_lo, exec_lo, s19
	v_lshlrev_b32_e32 v8, 8, v8
	v_lshl_add_u32 v67, v67, 10, 0x2000
	v_lshlrev_b32_e32 v66, 23, v66
	s_delay_alu instid0(VALU_DEP_2) | instskip(NEXT) | instid1(VALU_DEP_1)
	v_and_or_b32 v8, 0x8000, v8, v67
	v_lshl_or_b32 v66, v8, 16, v66
.LBB307_41:                             ;   in Loop: Header=BB307_11 Depth=1
	s_wait_alu 0xfffe
	s_or_b32 exec_lo, exec_lo, s18
.LBB307_42:                             ;   in Loop: Header=BB307_11 Depth=1
	s_wait_alu 0xfffe
	s_or_b32 exec_lo, exec_lo, s17
.LBB307_43:                             ;   in Loop: Header=BB307_11 Depth=1
	s_wait_alu 0xfffe
	s_or_b32 exec_lo, exec_lo, s16
	v_dual_mov_b32 v8, v29 :: v_dual_and_b32 v67, 0xff, v29
	s_mov_b32 s16, exec_lo
	s_delay_alu instid0(VALU_DEP_1)
	v_cmpx_ne_u16_e32 0, v67
	s_cbranch_execz .LBB307_51
; %bb.44:                               ;   in Loop: Header=BB307_11 Depth=1
	v_mov_b32_e32 v65, 0x8000
	s_mov_b32 s17, exec_lo
	v_cmpx_ne_u16_e32 0x80, v67
	s_cbranch_execz .LBB307_50
; %bb.45:                               ;   in Loop: Header=BB307_11 Depth=1
	v_and_b32_e32 v68, 0x7f, v29
	v_mov_b32_e32 v65, 0x7c01
	s_mov_b32 s18, exec_lo
	s_delay_alu instid0(VALU_DEP_2)
	v_cmpx_ne_u32_e32 0x7f, v68
	s_cbranch_execz .LBB307_49
; %bb.46:                               ;   in Loop: Header=BB307_11 Depth=1
	v_and_b32_e32 v65, 7, v29
	v_lshrrev_b32_e32 v67, 3, v68
	s_mov_b32 s19, exec_lo
	v_cmpx_gt_u32_e32 8, v68
; %bb.47:                               ;   in Loop: Header=BB307_11 Depth=1
	s_delay_alu instid0(VALU_DEP_3) | instskip(NEXT) | instid1(VALU_DEP_1)
	v_clz_i32_u32_e32 v65, v65
	v_min_u32_e32 v65, 32, v65
	s_delay_alu instid0(VALU_DEP_1) | instskip(NEXT) | instid1(VALU_DEP_1)
	v_subrev_nc_u32_e32 v67, 28, v65
	v_lshlrev_b64_e32 v[68:69], v67, v[8:9]
	v_sub_nc_u32_e32 v67, 29, v65
	s_delay_alu instid0(VALU_DEP_2)
	v_and_b32_e32 v65, 7, v68
; %bb.48:                               ;   in Loop: Header=BB307_11 Depth=1
	s_wait_alu 0xfffe
	s_or_b32 exec_lo, exec_lo, s19
	v_lshlrev_b32_e32 v68, 8, v29
	v_lshl_add_u32 v67, v67, 10, 0x2000
	v_lshlrev_b32_e32 v65, 7, v65
	s_delay_alu instid0(VALU_DEP_3) | instskip(NEXT) | instid1(VALU_DEP_3)
	v_and_b32_e32 v68, 0x8000, v68
	v_and_b32_e32 v67, 0xfc00, v67
	s_delay_alu instid0(VALU_DEP_1)
	v_or3_b32 v65, v68, v67, v65
.LBB307_49:                             ;   in Loop: Header=BB307_11 Depth=1
	s_wait_alu 0xfffe
	s_or_b32 exec_lo, exec_lo, s18
.LBB307_50:                             ;   in Loop: Header=BB307_11 Depth=1
	s_wait_alu 0xfffe
	s_or_b32 exec_lo, exec_lo, s17
.LBB307_51:                             ;   in Loop: Header=BB307_11 Depth=1
	s_wait_alu 0xfffe
	s_or_b32 exec_lo, exec_lo, s16
	v_lshrrev_b16 v8, 8, v8
	v_dual_mov_b32 v67, 0 :: v_dual_mov_b32 v68, 0
	s_mov_b32 s16, exec_lo
	s_delay_alu instid0(VALU_DEP_2)
	v_cmpx_ne_u16_e32 0, v8
	s_cbranch_execz .LBB307_59
; %bb.52:                               ;   in Loop: Header=BB307_11 Depth=1
	v_bfrev_b32_e32 v68, 1
	s_mov_b32 s17, exec_lo
	v_cmpx_ne_u16_e32 0x80, v8
	s_cbranch_execz .LBB307_58
; %bb.53:                               ;   in Loop: Header=BB307_11 Depth=1
	v_and_b32_e32 v69, 0xffff, v8
	v_mov_b32_e32 v68, 0x7c010000
	s_mov_b32 s18, exec_lo
	s_delay_alu instid0(VALU_DEP_2) | instskip(NEXT) | instid1(VALU_DEP_1)
	v_and_b32_e32 v71, 0x7f, v69
	v_cmpx_ne_u32_e32 0x7f, v71
	s_cbranch_execz .LBB307_57
; %bb.54:                               ;   in Loop: Header=BB307_11 Depth=1
	v_and_b32_e32 v68, 7, v69
	v_lshrrev_b32_e32 v70, 3, v71
	s_mov_b32 s19, exec_lo
	v_cmpx_gt_u32_e32 8, v71
; %bb.55:                               ;   in Loop: Header=BB307_11 Depth=1
	s_delay_alu instid0(VALU_DEP_3) | instskip(NEXT) | instid1(VALU_DEP_1)
	v_clz_i32_u32_e32 v68, v68
	v_min_u32_e32 v68, 32, v68
	s_delay_alu instid0(VALU_DEP_1) | instskip(NEXT) | instid1(VALU_DEP_1)
	v_subrev_nc_u32_e32 v70, 28, v68
	v_lshlrev_b64_e32 v[80:81], v70, v[8:9]
	v_sub_nc_u32_e32 v70, 29, v68
	s_delay_alu instid0(VALU_DEP_2)
	v_and_b32_e32 v68, 7, v80
; %bb.56:                               ;   in Loop: Header=BB307_11 Depth=1
	s_wait_alu 0xfffe
	s_or_b32 exec_lo, exec_lo, s19
	v_lshlrev_b32_e32 v8, 8, v69
	v_lshl_add_u32 v69, v70, 10, 0x2000
	v_lshlrev_b32_e32 v68, 23, v68
	s_delay_alu instid0(VALU_DEP_2) | instskip(NEXT) | instid1(VALU_DEP_1)
	v_and_or_b32 v8, 0x8000, v8, v69
	v_lshl_or_b32 v68, v8, 16, v68
.LBB307_57:                             ;   in Loop: Header=BB307_11 Depth=1
	s_wait_alu 0xfffe
	s_or_b32 exec_lo, exec_lo, s18
.LBB307_58:                             ;   in Loop: Header=BB307_11 Depth=1
	s_wait_alu 0xfffe
	s_or_b32 exec_lo, exec_lo, s17
.LBB307_59:                             ;   in Loop: Header=BB307_11 Depth=1
	s_wait_alu 0xfffe
	s_or_b32 exec_lo, exec_lo, s16
	v_lshrrev_b32_e32 v8, 16, v29
	s_mov_b32 s16, exec_lo
	s_delay_alu instid0(VALU_DEP_1) | instskip(NEXT) | instid1(VALU_DEP_1)
	v_and_b32_e32 v69, 0xff, v8
	v_cmpx_ne_u16_e32 0, v69
	s_cbranch_execz .LBB307_67
; %bb.60:                               ;   in Loop: Header=BB307_11 Depth=1
	v_mov_b32_e32 v67, 0x8000
	s_mov_b32 s17, exec_lo
	v_cmpx_ne_u16_e32 0x80, v69
	s_cbranch_execz .LBB307_66
; %bb.61:                               ;   in Loop: Header=BB307_11 Depth=1
	v_bfe_u32 v70, v29, 16, 7
	v_mov_b32_e32 v67, 0x7c01
	s_mov_b32 s18, exec_lo
	s_delay_alu instid0(VALU_DEP_2)
	v_cmpx_ne_u32_e32 0x7f, v70
	s_cbranch_execz .LBB307_65
; %bb.62:                               ;   in Loop: Header=BB307_11 Depth=1
	v_and_b32_e32 v67, 7, v8
	v_lshrrev_b32_e32 v69, 3, v70
	s_mov_b32 s19, exec_lo
	v_cmpx_gt_u32_e32 8, v70
; %bb.63:                               ;   in Loop: Header=BB307_11 Depth=1
	s_delay_alu instid0(VALU_DEP_3) | instskip(NEXT) | instid1(VALU_DEP_1)
	v_clz_i32_u32_e32 v67, v67
	v_min_u32_e32 v67, 32, v67
	s_delay_alu instid0(VALU_DEP_1) | instskip(NEXT) | instid1(VALU_DEP_1)
	v_subrev_nc_u32_e32 v69, 28, v67
	v_lshlrev_b64_e32 v[70:71], v69, v[8:9]
	v_sub_nc_u32_e32 v69, 29, v67
	s_delay_alu instid0(VALU_DEP_2)
	v_and_b32_e32 v67, 7, v70
; %bb.64:                               ;   in Loop: Header=BB307_11 Depth=1
	s_wait_alu 0xfffe
	s_or_b32 exec_lo, exec_lo, s19
	v_lshlrev_b32_e32 v8, 8, v8
	v_lshl_add_u32 v69, v69, 10, 0x2000
	v_lshlrev_b32_e32 v67, 7, v67
	s_delay_alu instid0(VALU_DEP_3) | instskip(NEXT) | instid1(VALU_DEP_3)
	v_and_b32_e32 v8, 0x8000, v8
	v_and_b32_e32 v69, 0xfc00, v69
	s_delay_alu instid0(VALU_DEP_1)
	v_or3_b32 v67, v8, v69, v67
.LBB307_65:                             ;   in Loop: Header=BB307_11 Depth=1
	s_wait_alu 0xfffe
	s_or_b32 exec_lo, exec_lo, s18
.LBB307_66:                             ;   in Loop: Header=BB307_11 Depth=1
	s_wait_alu 0xfffe
	s_or_b32 exec_lo, exec_lo, s17
.LBB307_67:                             ;   in Loop: Header=BB307_11 Depth=1
	s_wait_alu 0xfffe
	s_or_b32 exec_lo, exec_lo, s16
	v_dual_mov_b32 v70, 0 :: v_dual_mov_b32 v69, 0
	s_mov_b32 s16, exec_lo
	v_cmpx_lt_u64_e64 s[2:3], v[28:29]
	s_cbranch_execz .LBB307_75
; %bb.68:                               ;   in Loop: Header=BB307_11 Depth=1
	v_lshrrev_b32_e32 v8, 24, v29
	v_bfrev_b32_e32 v69, 1
	s_mov_b32 s17, exec_lo
	s_delay_alu instid0(VALU_DEP_2)
	v_cmpx_ne_u32_e32 0x80, v8
	s_cbranch_execz .LBB307_74
; %bb.69:                               ;   in Loop: Header=BB307_11 Depth=1
	v_and_b32_e32 v71, 0x7f, v8
	v_mov_b32_e32 v69, 0x7c010000
	s_mov_b32 s18, exec_lo
	s_delay_alu instid0(VALU_DEP_2)
	v_cmpx_ne_u32_e32 0x7f, v71
	s_cbranch_execz .LBB307_73
; %bb.70:                               ;   in Loop: Header=BB307_11 Depth=1
	v_and_b32_e32 v28, 7, v8
	v_lshrrev_b32_e32 v29, 3, v71
	s_mov_b32 s19, exec_lo
	v_cmpx_gt_u32_e32 8, v71
; %bb.71:                               ;   in Loop: Header=BB307_11 Depth=1
	s_delay_alu instid0(VALU_DEP_3) | instskip(NEXT) | instid1(VALU_DEP_1)
	v_clz_i32_u32_e32 v28, v28
	v_min_u32_e32 v69, 32, v28
	s_delay_alu instid0(VALU_DEP_1) | instskip(NEXT) | instid1(VALU_DEP_1)
	v_subrev_nc_u32_e32 v28, 28, v69
	v_lshlrev_b64_e32 v[28:29], v28, v[8:9]
	v_sub_nc_u32_e32 v29, 29, v69
	s_delay_alu instid0(VALU_DEP_2)
	v_and_b32_e32 v28, 7, v28
; %bb.72:                               ;   in Loop: Header=BB307_11 Depth=1
	s_wait_alu 0xfffe
	s_or_b32 exec_lo, exec_lo, s19
	v_lshlrev_b32_e32 v8, 8, v8
	v_lshl_add_u32 v29, v29, 10, 0x2000
	v_lshlrev_b32_e32 v28, 23, v28
	s_delay_alu instid0(VALU_DEP_2) | instskip(NEXT) | instid1(VALU_DEP_1)
	v_and_or_b32 v8, 0x8000, v8, v29
	v_lshl_or_b32 v69, v8, 16, v28
.LBB307_73:                             ;   in Loop: Header=BB307_11 Depth=1
	s_wait_alu 0xfffe
	s_or_b32 exec_lo, exec_lo, s18
.LBB307_74:                             ;   in Loop: Header=BB307_11 Depth=1
	s_wait_alu 0xfffe
	s_or_b32 exec_lo, exec_lo, s17
.LBB307_75:                             ;   in Loop: Header=BB307_11 Depth=1
	s_wait_alu 0xfffe
	s_or_b32 exec_lo, exec_lo, s16
	flat_load_b64 v[28:29], v[20:21] offset:8
	s_mov_b32 s16, exec_lo
	s_wait_loadcnt_dscnt 0x0
	v_and_b32_e32 v8, 0xff, v28
	s_delay_alu instid0(VALU_DEP_1)
	v_cmpx_ne_u16_e32 0, v8
	s_cbranch_execz .LBB307_83
; %bb.76:                               ;   in Loop: Header=BB307_11 Depth=1
	v_mov_b32_e32 v70, 0x8000
	s_mov_b32 s17, exec_lo
	v_cmpx_ne_u16_e32 0x80, v8
	s_cbranch_execz .LBB307_82
; %bb.77:                               ;   in Loop: Header=BB307_11 Depth=1
	v_and_b32_e32 v71, 0x7f, v28
	v_mov_b32_e32 v70, 0x7c01
	s_mov_b32 s18, exec_lo
	s_delay_alu instid0(VALU_DEP_2)
	v_cmpx_ne_u32_e32 0x7f, v71
	s_cbranch_execz .LBB307_81
; %bb.78:                               ;   in Loop: Header=BB307_11 Depth=1
	v_and_b32_e32 v8, 7, v28
	v_lshrrev_b32_e32 v70, 3, v71
	s_mov_b32 s19, exec_lo
	v_cmpx_gt_u32_e32 8, v71
; %bb.79:                               ;   in Loop: Header=BB307_11 Depth=1
	s_delay_alu instid0(VALU_DEP_3) | instskip(NEXT) | instid1(VALU_DEP_1)
	v_clz_i32_u32_e32 v8, v8
	v_min_u32_e32 v8, 32, v8
	s_delay_alu instid0(VALU_DEP_1) | instskip(NEXT) | instid1(VALU_DEP_1)
	v_subrev_nc_u32_e32 v70, 28, v8
	v_lshlrev_b64_e32 v[80:81], v70, v[28:29]
	v_sub_nc_u32_e32 v70, 29, v8
	s_delay_alu instid0(VALU_DEP_2)
	v_and_b32_e32 v8, 7, v80
; %bb.80:                               ;   in Loop: Header=BB307_11 Depth=1
	s_wait_alu 0xfffe
	s_or_b32 exec_lo, exec_lo, s19
	v_lshlrev_b32_e32 v71, 8, v28
	v_lshl_add_u32 v70, v70, 10, 0x2000
	v_lshlrev_b32_e32 v8, 7, v8
	s_delay_alu instid0(VALU_DEP_3) | instskip(NEXT) | instid1(VALU_DEP_3)
	v_and_b32_e32 v71, 0x8000, v71
	v_and_b32_e32 v70, 0xfc00, v70
	s_delay_alu instid0(VALU_DEP_1)
	v_or3_b32 v70, v71, v70, v8
.LBB307_81:                             ;   in Loop: Header=BB307_11 Depth=1
	s_wait_alu 0xfffe
	s_or_b32 exec_lo, exec_lo, s18
.LBB307_82:                             ;   in Loop: Header=BB307_11 Depth=1
	s_wait_alu 0xfffe
	s_or_b32 exec_lo, exec_lo, s17
.LBB307_83:                             ;   in Loop: Header=BB307_11 Depth=1
	s_wait_alu 0xfffe
	s_or_b32 exec_lo, exec_lo, s16
	v_lshrrev_b16 v8, 8, v28
	v_dual_mov_b32 v80, 0 :: v_dual_mov_b32 v71, 0
	s_mov_b32 s16, exec_lo
	s_delay_alu instid0(VALU_DEP_2)
	v_cmpx_ne_u16_e32 0, v8
	s_cbranch_execz .LBB307_91
; %bb.84:                               ;   in Loop: Header=BB307_11 Depth=1
	v_bfrev_b32_e32 v71, 1
	s_mov_b32 s17, exec_lo
	v_cmpx_ne_u16_e32 0x80, v8
	s_cbranch_execz .LBB307_90
; %bb.85:                               ;   in Loop: Header=BB307_11 Depth=1
	v_and_b32_e32 v81, 0xffff, v8
	v_mov_b32_e32 v71, 0x7c010000
	s_mov_b32 s18, exec_lo
	s_delay_alu instid0(VALU_DEP_2) | instskip(NEXT) | instid1(VALU_DEP_1)
	v_and_b32_e32 v83, 0x7f, v81
	v_cmpx_ne_u32_e32 0x7f, v83
	s_cbranch_execz .LBB307_89
; %bb.86:                               ;   in Loop: Header=BB307_11 Depth=1
	v_and_b32_e32 v71, 7, v81
	v_lshrrev_b32_e32 v82, 3, v83
	s_mov_b32 s19, exec_lo
	v_cmpx_gt_u32_e32 8, v83
; %bb.87:                               ;   in Loop: Header=BB307_11 Depth=1
	s_delay_alu instid0(VALU_DEP_3) | instskip(NEXT) | instid1(VALU_DEP_1)
	v_clz_i32_u32_e32 v71, v71
	v_min_u32_e32 v71, 32, v71
	s_delay_alu instid0(VALU_DEP_1) | instskip(NEXT) | instid1(VALU_DEP_1)
	v_subrev_nc_u32_e32 v82, 28, v71
	v_lshlrev_b64_e32 v[83:84], v82, v[8:9]
	v_sub_nc_u32_e32 v82, 29, v71
	s_delay_alu instid0(VALU_DEP_2)
	v_and_b32_e32 v71, 7, v83
; %bb.88:                               ;   in Loop: Header=BB307_11 Depth=1
	s_wait_alu 0xfffe
	s_or_b32 exec_lo, exec_lo, s19
	v_lshlrev_b32_e32 v8, 8, v81
	v_lshl_add_u32 v81, v82, 10, 0x2000
	v_lshlrev_b32_e32 v71, 23, v71
	s_delay_alu instid0(VALU_DEP_2) | instskip(NEXT) | instid1(VALU_DEP_1)
	v_and_or_b32 v8, 0x8000, v8, v81
	v_lshl_or_b32 v71, v8, 16, v71
.LBB307_89:                             ;   in Loop: Header=BB307_11 Depth=1
	s_wait_alu 0xfffe
	s_or_b32 exec_lo, exec_lo, s18
.LBB307_90:                             ;   in Loop: Header=BB307_11 Depth=1
	s_wait_alu 0xfffe
	s_or_b32 exec_lo, exec_lo, s17
.LBB307_91:                             ;   in Loop: Header=BB307_11 Depth=1
	s_wait_alu 0xfffe
	s_or_b32 exec_lo, exec_lo, s16
	v_lshrrev_b32_e32 v8, 16, v28
	s_mov_b32 s16, exec_lo
	s_delay_alu instid0(VALU_DEP_1) | instskip(NEXT) | instid1(VALU_DEP_1)
	v_and_b32_e32 v81, 0xff, v8
	v_cmpx_ne_u16_e32 0, v81
	s_cbranch_execz .LBB307_99
; %bb.92:                               ;   in Loop: Header=BB307_11 Depth=1
	v_mov_b32_e32 v80, 0x8000
	s_mov_b32 s17, exec_lo
	v_cmpx_ne_u16_e32 0x80, v81
	s_cbranch_execz .LBB307_98
; %bb.93:                               ;   in Loop: Header=BB307_11 Depth=1
	v_bfe_u32 v82, v28, 16, 7
	v_mov_b32_e32 v80, 0x7c01
	s_mov_b32 s18, exec_lo
	s_delay_alu instid0(VALU_DEP_2)
	v_cmpx_ne_u32_e32 0x7f, v82
	s_cbranch_execz .LBB307_97
; %bb.94:                               ;   in Loop: Header=BB307_11 Depth=1
	v_and_b32_e32 v80, 7, v8
	v_lshrrev_b32_e32 v81, 3, v82
	s_mov_b32 s19, exec_lo
	v_cmpx_gt_u32_e32 8, v82
; %bb.95:                               ;   in Loop: Header=BB307_11 Depth=1
	s_delay_alu instid0(VALU_DEP_3) | instskip(NEXT) | instid1(VALU_DEP_1)
	v_clz_i32_u32_e32 v80, v80
	v_min_u32_e32 v82, 32, v80
	s_delay_alu instid0(VALU_DEP_1) | instskip(NEXT) | instid1(VALU_DEP_1)
	v_subrev_nc_u32_e32 v80, 28, v82
	v_lshlrev_b64_e32 v[80:81], v80, v[8:9]
	v_sub_nc_u32_e32 v81, 29, v82
	s_delay_alu instid0(VALU_DEP_2)
	v_and_b32_e32 v80, 7, v80
; %bb.96:                               ;   in Loop: Header=BB307_11 Depth=1
	s_wait_alu 0xfffe
	s_or_b32 exec_lo, exec_lo, s19
	v_lshlrev_b32_e32 v8, 8, v8
	v_lshl_add_u32 v81, v81, 10, 0x2000
	v_lshlrev_b32_e32 v80, 7, v80
	s_delay_alu instid0(VALU_DEP_3) | instskip(NEXT) | instid1(VALU_DEP_3)
	v_and_b32_e32 v8, 0x8000, v8
	v_and_b32_e32 v81, 0xfc00, v81
	s_delay_alu instid0(VALU_DEP_1)
	v_or3_b32 v80, v8, v81, v80
.LBB307_97:                             ;   in Loop: Header=BB307_11 Depth=1
	s_wait_alu 0xfffe
	s_or_b32 exec_lo, exec_lo, s18
.LBB307_98:                             ;   in Loop: Header=BB307_11 Depth=1
	s_wait_alu 0xfffe
	s_or_b32 exec_lo, exec_lo, s17
.LBB307_99:                             ;   in Loop: Header=BB307_11 Depth=1
	s_wait_alu 0xfffe
	s_or_b32 exec_lo, exec_lo, s16
	v_dual_mov_b32 v81, 0 :: v_dual_mov_b32 v82, 0
	s_mov_b32 s16, exec_lo
	v_cmpx_lt_u32_e32 0xffffff, v28
	s_cbranch_execz .LBB307_107
; %bb.100:                              ;   in Loop: Header=BB307_11 Depth=1
	v_lshrrev_b32_e32 v8, 24, v28
	v_bfrev_b32_e32 v82, 1
	s_mov_b32 s17, exec_lo
	s_delay_alu instid0(VALU_DEP_2)
	v_cmpx_ne_u32_e32 0x80, v8
	s_cbranch_execz .LBB307_106
; %bb.101:                              ;   in Loop: Header=BB307_11 Depth=1
	v_and_b32_e32 v84, 0x7f, v8
	v_mov_b32_e32 v82, 0x7c010000
	s_mov_b32 s18, exec_lo
	s_delay_alu instid0(VALU_DEP_2)
	v_cmpx_ne_u32_e32 0x7f, v84
	s_cbranch_execz .LBB307_105
; %bb.102:                              ;   in Loop: Header=BB307_11 Depth=1
	v_and_b32_e32 v82, 7, v8
	v_lshrrev_b32_e32 v83, 3, v84
	s_mov_b32 s19, exec_lo
	v_cmpx_gt_u32_e32 8, v84
; %bb.103:                              ;   in Loop: Header=BB307_11 Depth=1
	s_delay_alu instid0(VALU_DEP_3) | instskip(NEXT) | instid1(VALU_DEP_1)
	v_clz_i32_u32_e32 v82, v82
	v_min_u32_e32 v84, 32, v82
	s_delay_alu instid0(VALU_DEP_1) | instskip(NEXT) | instid1(VALU_DEP_1)
	v_subrev_nc_u32_e32 v82, 28, v84
	v_lshlrev_b64_e32 v[82:83], v82, v[8:9]
	v_sub_nc_u32_e32 v83, 29, v84
	s_delay_alu instid0(VALU_DEP_2)
	v_and_b32_e32 v82, 7, v82
; %bb.104:                              ;   in Loop: Header=BB307_11 Depth=1
	s_wait_alu 0xfffe
	s_or_b32 exec_lo, exec_lo, s19
	v_lshlrev_b32_e32 v8, 8, v8
	v_lshl_add_u32 v83, v83, 10, 0x2000
	v_lshlrev_b32_e32 v82, 23, v82
	s_delay_alu instid0(VALU_DEP_2) | instskip(NEXT) | instid1(VALU_DEP_1)
	v_and_or_b32 v8, 0x8000, v8, v83
	v_lshl_or_b32 v82, v8, 16, v82
.LBB307_105:                            ;   in Loop: Header=BB307_11 Depth=1
	s_wait_alu 0xfffe
	s_or_b32 exec_lo, exec_lo, s18
.LBB307_106:                            ;   in Loop: Header=BB307_11 Depth=1
	s_wait_alu 0xfffe
	s_or_b32 exec_lo, exec_lo, s17
.LBB307_107:                            ;   in Loop: Header=BB307_11 Depth=1
	s_wait_alu 0xfffe
	s_or_b32 exec_lo, exec_lo, s16
	v_dual_mov_b32 v8, v29 :: v_dual_and_b32 v83, 0xff, v29
	s_mov_b32 s16, exec_lo
	s_delay_alu instid0(VALU_DEP_1)
	v_cmpx_ne_u16_e32 0, v83
	s_cbranch_execz .LBB307_115
; %bb.108:                              ;   in Loop: Header=BB307_11 Depth=1
	v_mov_b32_e32 v81, 0x8000
	s_mov_b32 s17, exec_lo
	v_cmpx_ne_u16_e32 0x80, v83
	s_cbranch_execz .LBB307_114
; %bb.109:                              ;   in Loop: Header=BB307_11 Depth=1
	v_and_b32_e32 v84, 0x7f, v29
	v_mov_b32_e32 v81, 0x7c01
	s_mov_b32 s18, exec_lo
	s_delay_alu instid0(VALU_DEP_2)
	v_cmpx_ne_u32_e32 0x7f, v84
	s_cbranch_execz .LBB307_113
; %bb.110:                              ;   in Loop: Header=BB307_11 Depth=1
	v_and_b32_e32 v81, 7, v29
	v_lshrrev_b32_e32 v83, 3, v84
	s_mov_b32 s19, exec_lo
	v_cmpx_gt_u32_e32 8, v84
; %bb.111:                              ;   in Loop: Header=BB307_11 Depth=1
	s_delay_alu instid0(VALU_DEP_3) | instskip(NEXT) | instid1(VALU_DEP_1)
	v_clz_i32_u32_e32 v81, v81
	v_min_u32_e32 v81, 32, v81
	s_delay_alu instid0(VALU_DEP_1) | instskip(NEXT) | instid1(VALU_DEP_1)
	v_subrev_nc_u32_e32 v83, 28, v81
	v_lshlrev_b64_e32 v[84:85], v83, v[8:9]
	v_sub_nc_u32_e32 v83, 29, v81
	s_delay_alu instid0(VALU_DEP_2)
	v_and_b32_e32 v81, 7, v84
; %bb.112:                              ;   in Loop: Header=BB307_11 Depth=1
	s_wait_alu 0xfffe
	s_or_b32 exec_lo, exec_lo, s19
	v_lshlrev_b32_e32 v84, 8, v29
	v_lshl_add_u32 v83, v83, 10, 0x2000
	v_lshlrev_b32_e32 v81, 7, v81
	s_delay_alu instid0(VALU_DEP_3) | instskip(NEXT) | instid1(VALU_DEP_3)
	v_and_b32_e32 v84, 0x8000, v84
	v_and_b32_e32 v83, 0xfc00, v83
	s_delay_alu instid0(VALU_DEP_1)
	v_or3_b32 v81, v84, v83, v81
.LBB307_113:                            ;   in Loop: Header=BB307_11 Depth=1
	s_wait_alu 0xfffe
	s_or_b32 exec_lo, exec_lo, s18
.LBB307_114:                            ;   in Loop: Header=BB307_11 Depth=1
	s_wait_alu 0xfffe
	s_or_b32 exec_lo, exec_lo, s17
.LBB307_115:                            ;   in Loop: Header=BB307_11 Depth=1
	s_wait_alu 0xfffe
	s_or_b32 exec_lo, exec_lo, s16
	v_lshrrev_b16 v8, 8, v8
	v_dual_mov_b32 v83, 0 :: v_dual_mov_b32 v84, 0
	s_mov_b32 s16, exec_lo
	s_delay_alu instid0(VALU_DEP_2)
	v_cmpx_ne_u16_e32 0, v8
	s_cbranch_execz .LBB307_123
; %bb.116:                              ;   in Loop: Header=BB307_11 Depth=1
	v_bfrev_b32_e32 v84, 1
	s_mov_b32 s17, exec_lo
	v_cmpx_ne_u16_e32 0x80, v8
	s_cbranch_execz .LBB307_122
; %bb.117:                              ;   in Loop: Header=BB307_11 Depth=1
	v_and_b32_e32 v85, 0xffff, v8
	v_mov_b32_e32 v84, 0x7c010000
	s_mov_b32 s18, exec_lo
	s_delay_alu instid0(VALU_DEP_2) | instskip(NEXT) | instid1(VALU_DEP_1)
	v_and_b32_e32 v87, 0x7f, v85
	v_cmpx_ne_u32_e32 0x7f, v87
	s_cbranch_execz .LBB307_121
; %bb.118:                              ;   in Loop: Header=BB307_11 Depth=1
	v_and_b32_e32 v84, 7, v85
	v_lshrrev_b32_e32 v86, 3, v87
	s_mov_b32 s19, exec_lo
	v_cmpx_gt_u32_e32 8, v87
; %bb.119:                              ;   in Loop: Header=BB307_11 Depth=1
	s_delay_alu instid0(VALU_DEP_3) | instskip(NEXT) | instid1(VALU_DEP_1)
	v_clz_i32_u32_e32 v84, v84
	v_min_u32_e32 v84, 32, v84
	s_delay_alu instid0(VALU_DEP_1) | instskip(NEXT) | instid1(VALU_DEP_1)
	v_subrev_nc_u32_e32 v86, 28, v84
	v_lshlrev_b64_e32 v[96:97], v86, v[8:9]
	v_sub_nc_u32_e32 v86, 29, v84
	s_delay_alu instid0(VALU_DEP_2)
	v_and_b32_e32 v84, 7, v96
; %bb.120:                              ;   in Loop: Header=BB307_11 Depth=1
	s_wait_alu 0xfffe
	s_or_b32 exec_lo, exec_lo, s19
	v_lshlrev_b32_e32 v8, 8, v85
	v_lshl_add_u32 v85, v86, 10, 0x2000
	v_lshlrev_b32_e32 v84, 23, v84
	s_delay_alu instid0(VALU_DEP_2) | instskip(NEXT) | instid1(VALU_DEP_1)
	v_and_or_b32 v8, 0x8000, v8, v85
	v_lshl_or_b32 v84, v8, 16, v84
.LBB307_121:                            ;   in Loop: Header=BB307_11 Depth=1
	s_wait_alu 0xfffe
	s_or_b32 exec_lo, exec_lo, s18
.LBB307_122:                            ;   in Loop: Header=BB307_11 Depth=1
	s_wait_alu 0xfffe
	s_or_b32 exec_lo, exec_lo, s17
.LBB307_123:                            ;   in Loop: Header=BB307_11 Depth=1
	s_wait_alu 0xfffe
	s_or_b32 exec_lo, exec_lo, s16
	v_lshrrev_b32_e32 v8, 16, v29
	s_mov_b32 s16, exec_lo
	s_delay_alu instid0(VALU_DEP_1) | instskip(NEXT) | instid1(VALU_DEP_1)
	v_and_b32_e32 v85, 0xff, v8
	v_cmpx_ne_u16_e32 0, v85
	s_cbranch_execz .LBB307_131
; %bb.124:                              ;   in Loop: Header=BB307_11 Depth=1
	v_mov_b32_e32 v83, 0x8000
	s_mov_b32 s17, exec_lo
	v_cmpx_ne_u16_e32 0x80, v85
	s_cbranch_execz .LBB307_130
; %bb.125:                              ;   in Loop: Header=BB307_11 Depth=1
	v_bfe_u32 v86, v29, 16, 7
	v_mov_b32_e32 v83, 0x7c01
	s_mov_b32 s18, exec_lo
	s_delay_alu instid0(VALU_DEP_2)
	v_cmpx_ne_u32_e32 0x7f, v86
	s_cbranch_execz .LBB307_129
; %bb.126:                              ;   in Loop: Header=BB307_11 Depth=1
	v_and_b32_e32 v83, 7, v8
	v_lshrrev_b32_e32 v85, 3, v86
	s_mov_b32 s19, exec_lo
	v_cmpx_gt_u32_e32 8, v86
; %bb.127:                              ;   in Loop: Header=BB307_11 Depth=1
	s_delay_alu instid0(VALU_DEP_3) | instskip(NEXT) | instid1(VALU_DEP_1)
	v_clz_i32_u32_e32 v83, v83
	v_min_u32_e32 v83, 32, v83
	s_delay_alu instid0(VALU_DEP_1) | instskip(NEXT) | instid1(VALU_DEP_1)
	v_subrev_nc_u32_e32 v85, 28, v83
	v_lshlrev_b64_e32 v[86:87], v85, v[8:9]
	v_sub_nc_u32_e32 v85, 29, v83
	s_delay_alu instid0(VALU_DEP_2)
	v_and_b32_e32 v83, 7, v86
; %bb.128:                              ;   in Loop: Header=BB307_11 Depth=1
	s_wait_alu 0xfffe
	s_or_b32 exec_lo, exec_lo, s19
	v_lshlrev_b32_e32 v8, 8, v8
	v_lshl_add_u32 v85, v85, 10, 0x2000
	v_lshlrev_b32_e32 v83, 7, v83
	s_delay_alu instid0(VALU_DEP_3) | instskip(NEXT) | instid1(VALU_DEP_3)
	v_and_b32_e32 v8, 0x8000, v8
	v_and_b32_e32 v85, 0xfc00, v85
	s_delay_alu instid0(VALU_DEP_1)
	v_or3_b32 v83, v8, v85, v83
.LBB307_129:                            ;   in Loop: Header=BB307_11 Depth=1
	s_wait_alu 0xfffe
	s_or_b32 exec_lo, exec_lo, s18
.LBB307_130:                            ;   in Loop: Header=BB307_11 Depth=1
	s_wait_alu 0xfffe
	s_or_b32 exec_lo, exec_lo, s17
.LBB307_131:                            ;   in Loop: Header=BB307_11 Depth=1
	s_wait_alu 0xfffe
	s_or_b32 exec_lo, exec_lo, s16
	v_dual_mov_b32 v86, 0 :: v_dual_mov_b32 v85, 0
	s_mov_b32 s16, exec_lo
	v_cmpx_lt_u64_e64 s[2:3], v[28:29]
	s_cbranch_execz .LBB307_139
; %bb.132:                              ;   in Loop: Header=BB307_11 Depth=1
	v_lshrrev_b32_e32 v8, 24, v29
	v_bfrev_b32_e32 v85, 1
	s_mov_b32 s17, exec_lo
	s_delay_alu instid0(VALU_DEP_2)
	v_cmpx_ne_u32_e32 0x80, v8
	s_cbranch_execz .LBB307_138
; %bb.133:                              ;   in Loop: Header=BB307_11 Depth=1
	v_and_b32_e32 v87, 0x7f, v8
	v_mov_b32_e32 v85, 0x7c010000
	s_mov_b32 s18, exec_lo
	s_delay_alu instid0(VALU_DEP_2)
	v_cmpx_ne_u32_e32 0x7f, v87
	s_cbranch_execz .LBB307_137
; %bb.134:                              ;   in Loop: Header=BB307_11 Depth=1
	v_and_b32_e32 v28, 7, v8
	v_lshrrev_b32_e32 v29, 3, v87
	s_mov_b32 s19, exec_lo
	v_cmpx_gt_u32_e32 8, v87
; %bb.135:                              ;   in Loop: Header=BB307_11 Depth=1
	s_delay_alu instid0(VALU_DEP_3) | instskip(NEXT) | instid1(VALU_DEP_1)
	v_clz_i32_u32_e32 v28, v28
	v_min_u32_e32 v85, 32, v28
	s_delay_alu instid0(VALU_DEP_1) | instskip(NEXT) | instid1(VALU_DEP_1)
	v_subrev_nc_u32_e32 v28, 28, v85
	v_lshlrev_b64_e32 v[28:29], v28, v[8:9]
	v_sub_nc_u32_e32 v29, 29, v85
	s_delay_alu instid0(VALU_DEP_2)
	v_and_b32_e32 v28, 7, v28
; %bb.136:                              ;   in Loop: Header=BB307_11 Depth=1
	s_wait_alu 0xfffe
	s_or_b32 exec_lo, exec_lo, s19
	v_lshlrev_b32_e32 v8, 8, v8
	v_lshl_add_u32 v29, v29, 10, 0x2000
	v_lshlrev_b32_e32 v28, 23, v28
	s_delay_alu instid0(VALU_DEP_2) | instskip(NEXT) | instid1(VALU_DEP_1)
	v_and_or_b32 v8, 0x8000, v8, v29
	v_lshl_or_b32 v85, v8, 16, v28
.LBB307_137:                            ;   in Loop: Header=BB307_11 Depth=1
	s_wait_alu 0xfffe
	s_or_b32 exec_lo, exec_lo, s18
.LBB307_138:                            ;   in Loop: Header=BB307_11 Depth=1
	s_wait_alu 0xfffe
	s_or_b32 exec_lo, exec_lo, s17
.LBB307_139:                            ;   in Loop: Header=BB307_11 Depth=1
	s_wait_alu 0xfffe
	s_or_b32 exec_lo, exec_lo, s16
	flat_load_b64 v[28:29], v[20:21] offset:512
	s_mov_b32 s16, exec_lo
	s_wait_loadcnt_dscnt 0x0
	v_and_b32_e32 v8, 0xff, v28
	s_delay_alu instid0(VALU_DEP_1)
	v_cmpx_ne_u16_e32 0, v8
	s_cbranch_execz .LBB307_147
; %bb.140:                              ;   in Loop: Header=BB307_11 Depth=1
	v_mov_b32_e32 v86, 0x8000
	s_mov_b32 s17, exec_lo
	v_cmpx_ne_u16_e32 0x80, v8
	s_cbranch_execz .LBB307_146
; %bb.141:                              ;   in Loop: Header=BB307_11 Depth=1
	v_and_b32_e32 v87, 0x7f, v28
	v_mov_b32_e32 v86, 0x7c01
	s_mov_b32 s18, exec_lo
	s_delay_alu instid0(VALU_DEP_2)
	v_cmpx_ne_u32_e32 0x7f, v87
	s_cbranch_execz .LBB307_145
; %bb.142:                              ;   in Loop: Header=BB307_11 Depth=1
	v_and_b32_e32 v8, 7, v28
	v_lshrrev_b32_e32 v86, 3, v87
	s_mov_b32 s19, exec_lo
	v_cmpx_gt_u32_e32 8, v87
; %bb.143:                              ;   in Loop: Header=BB307_11 Depth=1
	s_delay_alu instid0(VALU_DEP_3) | instskip(NEXT) | instid1(VALU_DEP_1)
	v_clz_i32_u32_e32 v8, v8
	v_min_u32_e32 v8, 32, v8
	s_delay_alu instid0(VALU_DEP_1) | instskip(NEXT) | instid1(VALU_DEP_1)
	v_subrev_nc_u32_e32 v86, 28, v8
	v_lshlrev_b64_e32 v[96:97], v86, v[28:29]
	v_sub_nc_u32_e32 v86, 29, v8
	s_delay_alu instid0(VALU_DEP_2)
	v_and_b32_e32 v8, 7, v96
; %bb.144:                              ;   in Loop: Header=BB307_11 Depth=1
	s_wait_alu 0xfffe
	s_or_b32 exec_lo, exec_lo, s19
	v_lshlrev_b32_e32 v87, 8, v28
	v_lshl_add_u32 v86, v86, 10, 0x2000
	v_lshlrev_b32_e32 v8, 7, v8
	s_delay_alu instid0(VALU_DEP_3) | instskip(NEXT) | instid1(VALU_DEP_3)
	v_and_b32_e32 v87, 0x8000, v87
	v_and_b32_e32 v86, 0xfc00, v86
	s_delay_alu instid0(VALU_DEP_1)
	v_or3_b32 v86, v87, v86, v8
.LBB307_145:                            ;   in Loop: Header=BB307_11 Depth=1
	s_wait_alu 0xfffe
	s_or_b32 exec_lo, exec_lo, s18
.LBB307_146:                            ;   in Loop: Header=BB307_11 Depth=1
	s_wait_alu 0xfffe
	s_or_b32 exec_lo, exec_lo, s17
.LBB307_147:                            ;   in Loop: Header=BB307_11 Depth=1
	s_wait_alu 0xfffe
	s_or_b32 exec_lo, exec_lo, s16
	v_lshrrev_b16 v8, 8, v28
	v_dual_mov_b32 v96, 0 :: v_dual_mov_b32 v87, 0
	s_mov_b32 s16, exec_lo
	s_delay_alu instid0(VALU_DEP_2)
	v_cmpx_ne_u16_e32 0, v8
	s_cbranch_execz .LBB307_155
; %bb.148:                              ;   in Loop: Header=BB307_11 Depth=1
	v_bfrev_b32_e32 v87, 1
	s_mov_b32 s17, exec_lo
	v_cmpx_ne_u16_e32 0x80, v8
	s_cbranch_execz .LBB307_154
; %bb.149:                              ;   in Loop: Header=BB307_11 Depth=1
	v_and_b32_e32 v97, 0xffff, v8
	v_mov_b32_e32 v87, 0x7c010000
	s_mov_b32 s18, exec_lo
	s_delay_alu instid0(VALU_DEP_2) | instskip(NEXT) | instid1(VALU_DEP_1)
	v_and_b32_e32 v99, 0x7f, v97
	v_cmpx_ne_u32_e32 0x7f, v99
	s_cbranch_execz .LBB307_153
; %bb.150:                              ;   in Loop: Header=BB307_11 Depth=1
	v_and_b32_e32 v87, 7, v97
	v_lshrrev_b32_e32 v98, 3, v99
	s_mov_b32 s19, exec_lo
	v_cmpx_gt_u32_e32 8, v99
; %bb.151:                              ;   in Loop: Header=BB307_11 Depth=1
	s_delay_alu instid0(VALU_DEP_3) | instskip(NEXT) | instid1(VALU_DEP_1)
	v_clz_i32_u32_e32 v87, v87
	v_min_u32_e32 v87, 32, v87
	s_delay_alu instid0(VALU_DEP_1) | instskip(NEXT) | instid1(VALU_DEP_1)
	v_subrev_nc_u32_e32 v98, 28, v87
	v_lshlrev_b64_e32 v[99:100], v98, v[8:9]
	v_sub_nc_u32_e32 v98, 29, v87
	s_delay_alu instid0(VALU_DEP_2)
	v_and_b32_e32 v87, 7, v99
; %bb.152:                              ;   in Loop: Header=BB307_11 Depth=1
	s_wait_alu 0xfffe
	s_or_b32 exec_lo, exec_lo, s19
	v_lshlrev_b32_e32 v8, 8, v97
	v_lshl_add_u32 v97, v98, 10, 0x2000
	v_lshlrev_b32_e32 v87, 23, v87
	s_delay_alu instid0(VALU_DEP_2) | instskip(NEXT) | instid1(VALU_DEP_1)
	v_and_or_b32 v8, 0x8000, v8, v97
	v_lshl_or_b32 v87, v8, 16, v87
.LBB307_153:                            ;   in Loop: Header=BB307_11 Depth=1
	s_wait_alu 0xfffe
	s_or_b32 exec_lo, exec_lo, s18
.LBB307_154:                            ;   in Loop: Header=BB307_11 Depth=1
	s_wait_alu 0xfffe
	s_or_b32 exec_lo, exec_lo, s17
.LBB307_155:                            ;   in Loop: Header=BB307_11 Depth=1
	s_wait_alu 0xfffe
	s_or_b32 exec_lo, exec_lo, s16
	v_lshrrev_b32_e32 v8, 16, v28
	s_mov_b32 s16, exec_lo
	s_delay_alu instid0(VALU_DEP_1) | instskip(NEXT) | instid1(VALU_DEP_1)
	v_and_b32_e32 v97, 0xff, v8
	v_cmpx_ne_u16_e32 0, v97
	s_cbranch_execz .LBB307_163
; %bb.156:                              ;   in Loop: Header=BB307_11 Depth=1
	v_mov_b32_e32 v96, 0x8000
	s_mov_b32 s17, exec_lo
	v_cmpx_ne_u16_e32 0x80, v97
	s_cbranch_execz .LBB307_162
; %bb.157:                              ;   in Loop: Header=BB307_11 Depth=1
	v_bfe_u32 v98, v28, 16, 7
	v_mov_b32_e32 v96, 0x7c01
	s_mov_b32 s18, exec_lo
	s_delay_alu instid0(VALU_DEP_2)
	v_cmpx_ne_u32_e32 0x7f, v98
	s_cbranch_execz .LBB307_161
; %bb.158:                              ;   in Loop: Header=BB307_11 Depth=1
	v_and_b32_e32 v96, 7, v8
	v_lshrrev_b32_e32 v97, 3, v98
	s_mov_b32 s19, exec_lo
	v_cmpx_gt_u32_e32 8, v98
; %bb.159:                              ;   in Loop: Header=BB307_11 Depth=1
	s_delay_alu instid0(VALU_DEP_3) | instskip(NEXT) | instid1(VALU_DEP_1)
	v_clz_i32_u32_e32 v96, v96
	v_min_u32_e32 v98, 32, v96
	s_delay_alu instid0(VALU_DEP_1) | instskip(NEXT) | instid1(VALU_DEP_1)
	v_subrev_nc_u32_e32 v96, 28, v98
	v_lshlrev_b64_e32 v[96:97], v96, v[8:9]
	v_sub_nc_u32_e32 v97, 29, v98
	s_delay_alu instid0(VALU_DEP_2)
	v_and_b32_e32 v96, 7, v96
; %bb.160:                              ;   in Loop: Header=BB307_11 Depth=1
	s_wait_alu 0xfffe
	s_or_b32 exec_lo, exec_lo, s19
	v_lshlrev_b32_e32 v8, 8, v8
	v_lshl_add_u32 v97, v97, 10, 0x2000
	v_lshlrev_b32_e32 v96, 7, v96
	s_delay_alu instid0(VALU_DEP_3) | instskip(NEXT) | instid1(VALU_DEP_3)
	v_and_b32_e32 v8, 0x8000, v8
	v_and_b32_e32 v97, 0xfc00, v97
	s_delay_alu instid0(VALU_DEP_1)
	v_or3_b32 v96, v8, v97, v96
.LBB307_161:                            ;   in Loop: Header=BB307_11 Depth=1
	s_wait_alu 0xfffe
	s_or_b32 exec_lo, exec_lo, s18
.LBB307_162:                            ;   in Loop: Header=BB307_11 Depth=1
	s_wait_alu 0xfffe
	s_or_b32 exec_lo, exec_lo, s17
.LBB307_163:                            ;   in Loop: Header=BB307_11 Depth=1
	s_wait_alu 0xfffe
	s_or_b32 exec_lo, exec_lo, s16
	v_dual_mov_b32 v97, 0 :: v_dual_mov_b32 v98, 0
	s_mov_b32 s16, exec_lo
	v_cmpx_lt_u32_e32 0xffffff, v28
	s_cbranch_execz .LBB307_171
; %bb.164:                              ;   in Loop: Header=BB307_11 Depth=1
	v_lshrrev_b32_e32 v8, 24, v28
	v_bfrev_b32_e32 v98, 1
	s_mov_b32 s17, exec_lo
	s_delay_alu instid0(VALU_DEP_2)
	v_cmpx_ne_u32_e32 0x80, v8
	s_cbranch_execz .LBB307_170
; %bb.165:                              ;   in Loop: Header=BB307_11 Depth=1
	v_and_b32_e32 v100, 0x7f, v8
	v_mov_b32_e32 v98, 0x7c010000
	s_mov_b32 s18, exec_lo
	s_delay_alu instid0(VALU_DEP_2)
	v_cmpx_ne_u32_e32 0x7f, v100
	s_cbranch_execz .LBB307_169
; %bb.166:                              ;   in Loop: Header=BB307_11 Depth=1
	v_and_b32_e32 v98, 7, v8
	v_lshrrev_b32_e32 v99, 3, v100
	s_mov_b32 s19, exec_lo
	v_cmpx_gt_u32_e32 8, v100
; %bb.167:                              ;   in Loop: Header=BB307_11 Depth=1
	s_delay_alu instid0(VALU_DEP_3) | instskip(NEXT) | instid1(VALU_DEP_1)
	v_clz_i32_u32_e32 v98, v98
	v_min_u32_e32 v100, 32, v98
	s_delay_alu instid0(VALU_DEP_1) | instskip(NEXT) | instid1(VALU_DEP_1)
	v_subrev_nc_u32_e32 v98, 28, v100
	v_lshlrev_b64_e32 v[98:99], v98, v[8:9]
	v_sub_nc_u32_e32 v99, 29, v100
	s_delay_alu instid0(VALU_DEP_2)
	v_and_b32_e32 v98, 7, v98
; %bb.168:                              ;   in Loop: Header=BB307_11 Depth=1
	s_wait_alu 0xfffe
	s_or_b32 exec_lo, exec_lo, s19
	v_lshlrev_b32_e32 v8, 8, v8
	v_lshl_add_u32 v99, v99, 10, 0x2000
	v_lshlrev_b32_e32 v98, 23, v98
	s_delay_alu instid0(VALU_DEP_2) | instskip(NEXT) | instid1(VALU_DEP_1)
	v_and_or_b32 v8, 0x8000, v8, v99
	v_lshl_or_b32 v98, v8, 16, v98
.LBB307_169:                            ;   in Loop: Header=BB307_11 Depth=1
	s_wait_alu 0xfffe
	s_or_b32 exec_lo, exec_lo, s18
.LBB307_170:                            ;   in Loop: Header=BB307_11 Depth=1
	s_wait_alu 0xfffe
	s_or_b32 exec_lo, exec_lo, s17
.LBB307_171:                            ;   in Loop: Header=BB307_11 Depth=1
	s_wait_alu 0xfffe
	s_or_b32 exec_lo, exec_lo, s16
	v_dual_mov_b32 v8, v29 :: v_dual_and_b32 v99, 0xff, v29
	s_mov_b32 s16, exec_lo
	s_delay_alu instid0(VALU_DEP_1)
	v_cmpx_ne_u16_e32 0, v99
	s_cbranch_execz .LBB307_179
; %bb.172:                              ;   in Loop: Header=BB307_11 Depth=1
	v_mov_b32_e32 v97, 0x8000
	s_mov_b32 s17, exec_lo
	v_cmpx_ne_u16_e32 0x80, v99
	s_cbranch_execz .LBB307_178
; %bb.173:                              ;   in Loop: Header=BB307_11 Depth=1
	v_and_b32_e32 v100, 0x7f, v29
	v_mov_b32_e32 v97, 0x7c01
	s_mov_b32 s18, exec_lo
	s_delay_alu instid0(VALU_DEP_2)
	v_cmpx_ne_u32_e32 0x7f, v100
	s_cbranch_execz .LBB307_177
; %bb.174:                              ;   in Loop: Header=BB307_11 Depth=1
	v_and_b32_e32 v97, 7, v29
	v_lshrrev_b32_e32 v99, 3, v100
	s_mov_b32 s19, exec_lo
	v_cmpx_gt_u32_e32 8, v100
; %bb.175:                              ;   in Loop: Header=BB307_11 Depth=1
	s_delay_alu instid0(VALU_DEP_3) | instskip(NEXT) | instid1(VALU_DEP_1)
	v_clz_i32_u32_e32 v97, v97
	v_min_u32_e32 v97, 32, v97
	s_delay_alu instid0(VALU_DEP_1) | instskip(NEXT) | instid1(VALU_DEP_1)
	v_subrev_nc_u32_e32 v99, 28, v97
	v_lshlrev_b64_e32 v[100:101], v99, v[8:9]
	v_sub_nc_u32_e32 v99, 29, v97
	s_delay_alu instid0(VALU_DEP_2)
	v_and_b32_e32 v97, 7, v100
; %bb.176:                              ;   in Loop: Header=BB307_11 Depth=1
	s_wait_alu 0xfffe
	s_or_b32 exec_lo, exec_lo, s19
	v_lshlrev_b32_e32 v100, 8, v29
	v_lshl_add_u32 v99, v99, 10, 0x2000
	v_lshlrev_b32_e32 v97, 7, v97
	s_delay_alu instid0(VALU_DEP_3) | instskip(NEXT) | instid1(VALU_DEP_3)
	v_and_b32_e32 v100, 0x8000, v100
	v_and_b32_e32 v99, 0xfc00, v99
	s_delay_alu instid0(VALU_DEP_1)
	v_or3_b32 v97, v100, v99, v97
.LBB307_177:                            ;   in Loop: Header=BB307_11 Depth=1
	s_wait_alu 0xfffe
	s_or_b32 exec_lo, exec_lo, s18
.LBB307_178:                            ;   in Loop: Header=BB307_11 Depth=1
	s_wait_alu 0xfffe
	s_or_b32 exec_lo, exec_lo, s17
.LBB307_179:                            ;   in Loop: Header=BB307_11 Depth=1
	s_wait_alu 0xfffe
	s_or_b32 exec_lo, exec_lo, s16
	v_lshrrev_b16 v8, 8, v8
	v_dual_mov_b32 v99, 0 :: v_dual_mov_b32 v100, 0
	s_mov_b32 s16, exec_lo
	s_delay_alu instid0(VALU_DEP_2)
	v_cmpx_ne_u16_e32 0, v8
	s_cbranch_execz .LBB307_187
; %bb.180:                              ;   in Loop: Header=BB307_11 Depth=1
	v_bfrev_b32_e32 v100, 1
	s_mov_b32 s17, exec_lo
	v_cmpx_ne_u16_e32 0x80, v8
	s_cbranch_execz .LBB307_186
; %bb.181:                              ;   in Loop: Header=BB307_11 Depth=1
	v_and_b32_e32 v101, 0xffff, v8
	v_mov_b32_e32 v100, 0x7c010000
	s_mov_b32 s18, exec_lo
	s_delay_alu instid0(VALU_DEP_2) | instskip(NEXT) | instid1(VALU_DEP_1)
	v_and_b32_e32 v103, 0x7f, v101
	v_cmpx_ne_u32_e32 0x7f, v103
	s_cbranch_execz .LBB307_185
; %bb.182:                              ;   in Loop: Header=BB307_11 Depth=1
	v_and_b32_e32 v100, 7, v101
	v_lshrrev_b32_e32 v102, 3, v103
	s_mov_b32 s19, exec_lo
	v_cmpx_gt_u32_e32 8, v103
; %bb.183:                              ;   in Loop: Header=BB307_11 Depth=1
	s_delay_alu instid0(VALU_DEP_3) | instskip(NEXT) | instid1(VALU_DEP_1)
	v_clz_i32_u32_e32 v100, v100
	v_min_u32_e32 v100, 32, v100
	s_delay_alu instid0(VALU_DEP_1) | instskip(NEXT) | instid1(VALU_DEP_1)
	v_subrev_nc_u32_e32 v102, 28, v100
	v_lshlrev_b64_e32 v[112:113], v102, v[8:9]
	v_sub_nc_u32_e32 v102, 29, v100
	s_delay_alu instid0(VALU_DEP_2)
	v_and_b32_e32 v100, 7, v112
; %bb.184:                              ;   in Loop: Header=BB307_11 Depth=1
	s_wait_alu 0xfffe
	s_or_b32 exec_lo, exec_lo, s19
	v_lshlrev_b32_e32 v8, 8, v101
	v_lshl_add_u32 v101, v102, 10, 0x2000
	v_lshlrev_b32_e32 v100, 23, v100
	s_delay_alu instid0(VALU_DEP_2) | instskip(NEXT) | instid1(VALU_DEP_1)
	v_and_or_b32 v8, 0x8000, v8, v101
	v_lshl_or_b32 v100, v8, 16, v100
.LBB307_185:                            ;   in Loop: Header=BB307_11 Depth=1
	s_wait_alu 0xfffe
	s_or_b32 exec_lo, exec_lo, s18
.LBB307_186:                            ;   in Loop: Header=BB307_11 Depth=1
	s_wait_alu 0xfffe
	s_or_b32 exec_lo, exec_lo, s17
.LBB307_187:                            ;   in Loop: Header=BB307_11 Depth=1
	s_wait_alu 0xfffe
	s_or_b32 exec_lo, exec_lo, s16
	v_lshrrev_b32_e32 v8, 16, v29
	s_mov_b32 s16, exec_lo
	s_delay_alu instid0(VALU_DEP_1) | instskip(NEXT) | instid1(VALU_DEP_1)
	v_and_b32_e32 v101, 0xff, v8
	v_cmpx_ne_u16_e32 0, v101
	s_cbranch_execz .LBB307_195
; %bb.188:                              ;   in Loop: Header=BB307_11 Depth=1
	v_mov_b32_e32 v99, 0x8000
	s_mov_b32 s17, exec_lo
	v_cmpx_ne_u16_e32 0x80, v101
	s_cbranch_execz .LBB307_194
; %bb.189:                              ;   in Loop: Header=BB307_11 Depth=1
	v_bfe_u32 v102, v29, 16, 7
	v_mov_b32_e32 v99, 0x7c01
	s_mov_b32 s18, exec_lo
	s_delay_alu instid0(VALU_DEP_2)
	v_cmpx_ne_u32_e32 0x7f, v102
	s_cbranch_execz .LBB307_193
; %bb.190:                              ;   in Loop: Header=BB307_11 Depth=1
	v_and_b32_e32 v99, 7, v8
	v_lshrrev_b32_e32 v101, 3, v102
	s_mov_b32 s19, exec_lo
	v_cmpx_gt_u32_e32 8, v102
; %bb.191:                              ;   in Loop: Header=BB307_11 Depth=1
	s_delay_alu instid0(VALU_DEP_3) | instskip(NEXT) | instid1(VALU_DEP_1)
	v_clz_i32_u32_e32 v99, v99
	v_min_u32_e32 v99, 32, v99
	s_delay_alu instid0(VALU_DEP_1) | instskip(NEXT) | instid1(VALU_DEP_1)
	v_subrev_nc_u32_e32 v101, 28, v99
	v_lshlrev_b64_e32 v[102:103], v101, v[8:9]
	v_sub_nc_u32_e32 v101, 29, v99
	s_delay_alu instid0(VALU_DEP_2)
	v_and_b32_e32 v99, 7, v102
; %bb.192:                              ;   in Loop: Header=BB307_11 Depth=1
	s_wait_alu 0xfffe
	s_or_b32 exec_lo, exec_lo, s19
	v_lshlrev_b32_e32 v8, 8, v8
	v_lshl_add_u32 v101, v101, 10, 0x2000
	v_lshlrev_b32_e32 v99, 7, v99
	s_delay_alu instid0(VALU_DEP_3) | instskip(NEXT) | instid1(VALU_DEP_3)
	v_and_b32_e32 v8, 0x8000, v8
	v_and_b32_e32 v101, 0xfc00, v101
	s_delay_alu instid0(VALU_DEP_1)
	v_or3_b32 v99, v8, v101, v99
.LBB307_193:                            ;   in Loop: Header=BB307_11 Depth=1
	s_wait_alu 0xfffe
	s_or_b32 exec_lo, exec_lo, s18
.LBB307_194:                            ;   in Loop: Header=BB307_11 Depth=1
	s_wait_alu 0xfffe
	s_or_b32 exec_lo, exec_lo, s17
.LBB307_195:                            ;   in Loop: Header=BB307_11 Depth=1
	s_wait_alu 0xfffe
	s_or_b32 exec_lo, exec_lo, s16
	v_dual_mov_b32 v102, 0 :: v_dual_mov_b32 v101, 0
	s_mov_b32 s16, exec_lo
	v_cmpx_lt_u64_e64 s[2:3], v[28:29]
	s_cbranch_execz .LBB307_203
; %bb.196:                              ;   in Loop: Header=BB307_11 Depth=1
	v_lshrrev_b32_e32 v8, 24, v29
	v_bfrev_b32_e32 v101, 1
	s_mov_b32 s17, exec_lo
	s_delay_alu instid0(VALU_DEP_2)
	v_cmpx_ne_u32_e32 0x80, v8
	s_cbranch_execz .LBB307_202
; %bb.197:                              ;   in Loop: Header=BB307_11 Depth=1
	v_and_b32_e32 v103, 0x7f, v8
	v_mov_b32_e32 v101, 0x7c010000
	s_mov_b32 s18, exec_lo
	s_delay_alu instid0(VALU_DEP_2)
	v_cmpx_ne_u32_e32 0x7f, v103
	s_cbranch_execz .LBB307_201
; %bb.198:                              ;   in Loop: Header=BB307_11 Depth=1
	v_and_b32_e32 v28, 7, v8
	v_lshrrev_b32_e32 v29, 3, v103
	s_mov_b32 s19, exec_lo
	v_cmpx_gt_u32_e32 8, v103
; %bb.199:                              ;   in Loop: Header=BB307_11 Depth=1
	s_delay_alu instid0(VALU_DEP_3) | instskip(NEXT) | instid1(VALU_DEP_1)
	v_clz_i32_u32_e32 v28, v28
	v_min_u32_e32 v101, 32, v28
	s_delay_alu instid0(VALU_DEP_1) | instskip(NEXT) | instid1(VALU_DEP_1)
	v_subrev_nc_u32_e32 v28, 28, v101
	v_lshlrev_b64_e32 v[28:29], v28, v[8:9]
	v_sub_nc_u32_e32 v29, 29, v101
	s_delay_alu instid0(VALU_DEP_2)
	v_and_b32_e32 v28, 7, v28
; %bb.200:                              ;   in Loop: Header=BB307_11 Depth=1
	s_wait_alu 0xfffe
	s_or_b32 exec_lo, exec_lo, s19
	v_lshlrev_b32_e32 v8, 8, v8
	v_lshl_add_u32 v29, v29, 10, 0x2000
	v_lshlrev_b32_e32 v28, 23, v28
	s_delay_alu instid0(VALU_DEP_2) | instskip(NEXT) | instid1(VALU_DEP_1)
	v_and_or_b32 v8, 0x8000, v8, v29
	v_lshl_or_b32 v101, v8, 16, v28
.LBB307_201:                            ;   in Loop: Header=BB307_11 Depth=1
	s_wait_alu 0xfffe
	s_or_b32 exec_lo, exec_lo, s18
.LBB307_202:                            ;   in Loop: Header=BB307_11 Depth=1
	s_wait_alu 0xfffe
	s_or_b32 exec_lo, exec_lo, s17
.LBB307_203:                            ;   in Loop: Header=BB307_11 Depth=1
	s_wait_alu 0xfffe
	s_or_b32 exec_lo, exec_lo, s16
	flat_load_b64 v[28:29], v[20:21] offset:520
	s_mov_b32 s16, exec_lo
	s_wait_loadcnt_dscnt 0x0
	v_and_b32_e32 v8, 0xff, v28
	s_delay_alu instid0(VALU_DEP_1)
	v_cmpx_ne_u16_e32 0, v8
	s_cbranch_execz .LBB307_211
; %bb.204:                              ;   in Loop: Header=BB307_11 Depth=1
	v_mov_b32_e32 v102, 0x8000
	s_mov_b32 s17, exec_lo
	v_cmpx_ne_u16_e32 0x80, v8
	s_cbranch_execz .LBB307_210
; %bb.205:                              ;   in Loop: Header=BB307_11 Depth=1
	v_and_b32_e32 v103, 0x7f, v28
	v_mov_b32_e32 v102, 0x7c01
	s_mov_b32 s18, exec_lo
	s_delay_alu instid0(VALU_DEP_2)
	v_cmpx_ne_u32_e32 0x7f, v103
	s_cbranch_execz .LBB307_209
; %bb.206:                              ;   in Loop: Header=BB307_11 Depth=1
	v_and_b32_e32 v8, 7, v28
	v_lshrrev_b32_e32 v102, 3, v103
	s_mov_b32 s19, exec_lo
	v_cmpx_gt_u32_e32 8, v103
; %bb.207:                              ;   in Loop: Header=BB307_11 Depth=1
	s_delay_alu instid0(VALU_DEP_3) | instskip(NEXT) | instid1(VALU_DEP_1)
	v_clz_i32_u32_e32 v8, v8
	v_min_u32_e32 v8, 32, v8
	s_delay_alu instid0(VALU_DEP_1) | instskip(NEXT) | instid1(VALU_DEP_1)
	v_subrev_nc_u32_e32 v102, 28, v8
	v_lshlrev_b64_e32 v[112:113], v102, v[28:29]
	v_sub_nc_u32_e32 v102, 29, v8
	s_delay_alu instid0(VALU_DEP_2)
	v_and_b32_e32 v8, 7, v112
; %bb.208:                              ;   in Loop: Header=BB307_11 Depth=1
	s_wait_alu 0xfffe
	s_or_b32 exec_lo, exec_lo, s19
	v_lshlrev_b32_e32 v103, 8, v28
	v_lshl_add_u32 v102, v102, 10, 0x2000
	v_lshlrev_b32_e32 v8, 7, v8
	s_delay_alu instid0(VALU_DEP_3) | instskip(NEXT) | instid1(VALU_DEP_3)
	v_and_b32_e32 v103, 0x8000, v103
	v_and_b32_e32 v102, 0xfc00, v102
	s_delay_alu instid0(VALU_DEP_1)
	v_or3_b32 v102, v103, v102, v8
.LBB307_209:                            ;   in Loop: Header=BB307_11 Depth=1
	s_wait_alu 0xfffe
	s_or_b32 exec_lo, exec_lo, s18
.LBB307_210:                            ;   in Loop: Header=BB307_11 Depth=1
	s_wait_alu 0xfffe
	s_or_b32 exec_lo, exec_lo, s17
.LBB307_211:                            ;   in Loop: Header=BB307_11 Depth=1
	s_wait_alu 0xfffe
	s_or_b32 exec_lo, exec_lo, s16
	v_lshrrev_b16 v8, 8, v28
	v_dual_mov_b32 v112, 0 :: v_dual_mov_b32 v103, 0
	s_mov_b32 s16, exec_lo
	s_delay_alu instid0(VALU_DEP_2)
	v_cmpx_ne_u16_e32 0, v8
	s_cbranch_execz .LBB307_219
; %bb.212:                              ;   in Loop: Header=BB307_11 Depth=1
	v_bfrev_b32_e32 v103, 1
	s_mov_b32 s17, exec_lo
	v_cmpx_ne_u16_e32 0x80, v8
	s_cbranch_execz .LBB307_218
; %bb.213:                              ;   in Loop: Header=BB307_11 Depth=1
	v_and_b32_e32 v113, 0xffff, v8
	v_mov_b32_e32 v103, 0x7c010000
	s_mov_b32 s18, exec_lo
	s_delay_alu instid0(VALU_DEP_2) | instskip(NEXT) | instid1(VALU_DEP_1)
	v_and_b32_e32 v115, 0x7f, v113
	v_cmpx_ne_u32_e32 0x7f, v115
	s_cbranch_execz .LBB307_217
; %bb.214:                              ;   in Loop: Header=BB307_11 Depth=1
	v_and_b32_e32 v103, 7, v113
	v_lshrrev_b32_e32 v114, 3, v115
	s_mov_b32 s19, exec_lo
	v_cmpx_gt_u32_e32 8, v115
; %bb.215:                              ;   in Loop: Header=BB307_11 Depth=1
	s_delay_alu instid0(VALU_DEP_3) | instskip(NEXT) | instid1(VALU_DEP_1)
	v_clz_i32_u32_e32 v103, v103
	v_min_u32_e32 v103, 32, v103
	s_delay_alu instid0(VALU_DEP_1) | instskip(NEXT) | instid1(VALU_DEP_1)
	v_subrev_nc_u32_e32 v114, 28, v103
	v_lshlrev_b64_e32 v[115:116], v114, v[8:9]
	v_sub_nc_u32_e32 v114, 29, v103
	s_delay_alu instid0(VALU_DEP_2)
	v_and_b32_e32 v103, 7, v115
; %bb.216:                              ;   in Loop: Header=BB307_11 Depth=1
	s_wait_alu 0xfffe
	s_or_b32 exec_lo, exec_lo, s19
	v_lshlrev_b32_e32 v8, 8, v113
	v_lshl_add_u32 v113, v114, 10, 0x2000
	v_lshlrev_b32_e32 v103, 23, v103
	s_delay_alu instid0(VALU_DEP_2) | instskip(NEXT) | instid1(VALU_DEP_1)
	v_and_or_b32 v8, 0x8000, v8, v113
	v_lshl_or_b32 v103, v8, 16, v103
.LBB307_217:                            ;   in Loop: Header=BB307_11 Depth=1
	s_wait_alu 0xfffe
	s_or_b32 exec_lo, exec_lo, s18
.LBB307_218:                            ;   in Loop: Header=BB307_11 Depth=1
	s_wait_alu 0xfffe
	s_or_b32 exec_lo, exec_lo, s17
.LBB307_219:                            ;   in Loop: Header=BB307_11 Depth=1
	s_wait_alu 0xfffe
	s_or_b32 exec_lo, exec_lo, s16
	v_lshrrev_b32_e32 v8, 16, v28
	s_mov_b32 s16, exec_lo
	s_delay_alu instid0(VALU_DEP_1) | instskip(NEXT) | instid1(VALU_DEP_1)
	v_and_b32_e32 v113, 0xff, v8
	v_cmpx_ne_u16_e32 0, v113
	s_cbranch_execz .LBB307_227
; %bb.220:                              ;   in Loop: Header=BB307_11 Depth=1
	v_mov_b32_e32 v112, 0x8000
	s_mov_b32 s17, exec_lo
	v_cmpx_ne_u16_e32 0x80, v113
	s_cbranch_execz .LBB307_226
; %bb.221:                              ;   in Loop: Header=BB307_11 Depth=1
	v_bfe_u32 v114, v28, 16, 7
	v_mov_b32_e32 v112, 0x7c01
	s_mov_b32 s18, exec_lo
	s_delay_alu instid0(VALU_DEP_2)
	v_cmpx_ne_u32_e32 0x7f, v114
	s_cbranch_execz .LBB307_225
; %bb.222:                              ;   in Loop: Header=BB307_11 Depth=1
	v_and_b32_e32 v112, 7, v8
	v_lshrrev_b32_e32 v113, 3, v114
	s_mov_b32 s19, exec_lo
	v_cmpx_gt_u32_e32 8, v114
; %bb.223:                              ;   in Loop: Header=BB307_11 Depth=1
	s_delay_alu instid0(VALU_DEP_3) | instskip(NEXT) | instid1(VALU_DEP_1)
	v_clz_i32_u32_e32 v112, v112
	v_min_u32_e32 v114, 32, v112
	s_delay_alu instid0(VALU_DEP_1) | instskip(NEXT) | instid1(VALU_DEP_1)
	v_subrev_nc_u32_e32 v112, 28, v114
	v_lshlrev_b64_e32 v[112:113], v112, v[8:9]
	v_sub_nc_u32_e32 v113, 29, v114
	s_delay_alu instid0(VALU_DEP_2)
	v_and_b32_e32 v112, 7, v112
; %bb.224:                              ;   in Loop: Header=BB307_11 Depth=1
	s_wait_alu 0xfffe
	s_or_b32 exec_lo, exec_lo, s19
	v_lshlrev_b32_e32 v8, 8, v8
	v_lshl_add_u32 v113, v113, 10, 0x2000
	v_lshlrev_b32_e32 v112, 7, v112
	s_delay_alu instid0(VALU_DEP_3) | instskip(NEXT) | instid1(VALU_DEP_3)
	v_and_b32_e32 v8, 0x8000, v8
	v_and_b32_e32 v113, 0xfc00, v113
	s_delay_alu instid0(VALU_DEP_1)
	v_or3_b32 v112, v8, v113, v112
.LBB307_225:                            ;   in Loop: Header=BB307_11 Depth=1
	s_wait_alu 0xfffe
	s_or_b32 exec_lo, exec_lo, s18
.LBB307_226:                            ;   in Loop: Header=BB307_11 Depth=1
	s_wait_alu 0xfffe
	s_or_b32 exec_lo, exec_lo, s17
.LBB307_227:                            ;   in Loop: Header=BB307_11 Depth=1
	s_wait_alu 0xfffe
	s_or_b32 exec_lo, exec_lo, s16
	v_dual_mov_b32 v113, 0 :: v_dual_mov_b32 v114, 0
	s_mov_b32 s16, exec_lo
	v_cmpx_lt_u32_e32 0xffffff, v28
	s_cbranch_execz .LBB307_235
; %bb.228:                              ;   in Loop: Header=BB307_11 Depth=1
	v_lshrrev_b32_e32 v8, 24, v28
	v_bfrev_b32_e32 v114, 1
	s_mov_b32 s17, exec_lo
	s_delay_alu instid0(VALU_DEP_2)
	v_cmpx_ne_u32_e32 0x80, v8
	s_cbranch_execz .LBB307_234
; %bb.229:                              ;   in Loop: Header=BB307_11 Depth=1
	v_and_b32_e32 v116, 0x7f, v8
	v_mov_b32_e32 v114, 0x7c010000
	s_mov_b32 s18, exec_lo
	s_delay_alu instid0(VALU_DEP_2)
	v_cmpx_ne_u32_e32 0x7f, v116
	s_cbranch_execz .LBB307_233
; %bb.230:                              ;   in Loop: Header=BB307_11 Depth=1
	v_and_b32_e32 v114, 7, v8
	v_lshrrev_b32_e32 v115, 3, v116
	s_mov_b32 s19, exec_lo
	v_cmpx_gt_u32_e32 8, v116
; %bb.231:                              ;   in Loop: Header=BB307_11 Depth=1
	s_delay_alu instid0(VALU_DEP_3) | instskip(NEXT) | instid1(VALU_DEP_1)
	v_clz_i32_u32_e32 v114, v114
	v_min_u32_e32 v116, 32, v114
	s_delay_alu instid0(VALU_DEP_1) | instskip(NEXT) | instid1(VALU_DEP_1)
	v_subrev_nc_u32_e32 v114, 28, v116
	v_lshlrev_b64_e32 v[114:115], v114, v[8:9]
	v_sub_nc_u32_e32 v115, 29, v116
	s_delay_alu instid0(VALU_DEP_2)
	v_and_b32_e32 v114, 7, v114
; %bb.232:                              ;   in Loop: Header=BB307_11 Depth=1
	s_wait_alu 0xfffe
	s_or_b32 exec_lo, exec_lo, s19
	v_lshlrev_b32_e32 v8, 8, v8
	v_lshl_add_u32 v115, v115, 10, 0x2000
	v_lshlrev_b32_e32 v114, 23, v114
	s_delay_alu instid0(VALU_DEP_2) | instskip(NEXT) | instid1(VALU_DEP_1)
	v_and_or_b32 v8, 0x8000, v8, v115
	v_lshl_or_b32 v114, v8, 16, v114
.LBB307_233:                            ;   in Loop: Header=BB307_11 Depth=1
	s_wait_alu 0xfffe
	s_or_b32 exec_lo, exec_lo, s18
.LBB307_234:                            ;   in Loop: Header=BB307_11 Depth=1
	s_wait_alu 0xfffe
	s_or_b32 exec_lo, exec_lo, s17
.LBB307_235:                            ;   in Loop: Header=BB307_11 Depth=1
	s_wait_alu 0xfffe
	s_or_b32 exec_lo, exec_lo, s16
	v_dual_mov_b32 v8, v29 :: v_dual_and_b32 v115, 0xff, v29
	s_mov_b32 s16, exec_lo
	s_delay_alu instid0(VALU_DEP_1)
	v_cmpx_ne_u16_e32 0, v115
	s_cbranch_execz .LBB307_243
; %bb.236:                              ;   in Loop: Header=BB307_11 Depth=1
	v_mov_b32_e32 v113, 0x8000
	s_mov_b32 s17, exec_lo
	v_cmpx_ne_u16_e32 0x80, v115
	s_cbranch_execz .LBB307_242
; %bb.237:                              ;   in Loop: Header=BB307_11 Depth=1
	v_and_b32_e32 v116, 0x7f, v29
	v_mov_b32_e32 v113, 0x7c01
	s_mov_b32 s18, exec_lo
	s_delay_alu instid0(VALU_DEP_2)
	v_cmpx_ne_u32_e32 0x7f, v116
	s_cbranch_execz .LBB307_241
; %bb.238:                              ;   in Loop: Header=BB307_11 Depth=1
	v_and_b32_e32 v113, 7, v29
	v_lshrrev_b32_e32 v115, 3, v116
	s_mov_b32 s19, exec_lo
	v_cmpx_gt_u32_e32 8, v116
; %bb.239:                              ;   in Loop: Header=BB307_11 Depth=1
	s_delay_alu instid0(VALU_DEP_3) | instskip(NEXT) | instid1(VALU_DEP_1)
	v_clz_i32_u32_e32 v113, v113
	v_min_u32_e32 v113, 32, v113
	s_delay_alu instid0(VALU_DEP_1) | instskip(NEXT) | instid1(VALU_DEP_1)
	v_subrev_nc_u32_e32 v115, 28, v113
	v_lshlrev_b64_e32 v[116:117], v115, v[8:9]
	v_sub_nc_u32_e32 v115, 29, v113
	s_delay_alu instid0(VALU_DEP_2)
	v_and_b32_e32 v113, 7, v116
; %bb.240:                              ;   in Loop: Header=BB307_11 Depth=1
	s_wait_alu 0xfffe
	s_or_b32 exec_lo, exec_lo, s19
	v_lshlrev_b32_e32 v116, 8, v29
	v_lshl_add_u32 v115, v115, 10, 0x2000
	v_lshlrev_b32_e32 v113, 7, v113
	s_delay_alu instid0(VALU_DEP_3) | instskip(NEXT) | instid1(VALU_DEP_3)
	v_and_b32_e32 v116, 0x8000, v116
	v_and_b32_e32 v115, 0xfc00, v115
	s_delay_alu instid0(VALU_DEP_1)
	v_or3_b32 v113, v116, v115, v113
.LBB307_241:                            ;   in Loop: Header=BB307_11 Depth=1
	s_wait_alu 0xfffe
	s_or_b32 exec_lo, exec_lo, s18
.LBB307_242:                            ;   in Loop: Header=BB307_11 Depth=1
	s_wait_alu 0xfffe
	s_or_b32 exec_lo, exec_lo, s17
.LBB307_243:                            ;   in Loop: Header=BB307_11 Depth=1
	s_wait_alu 0xfffe
	s_or_b32 exec_lo, exec_lo, s16
	v_lshrrev_b16 v8, 8, v8
	v_dual_mov_b32 v115, 0 :: v_dual_mov_b32 v116, 0
	s_mov_b32 s16, exec_lo
	s_delay_alu instid0(VALU_DEP_2)
	v_cmpx_ne_u16_e32 0, v8
	s_cbranch_execz .LBB307_251
; %bb.244:                              ;   in Loop: Header=BB307_11 Depth=1
	v_bfrev_b32_e32 v116, 1
	s_mov_b32 s17, exec_lo
	v_cmpx_ne_u16_e32 0x80, v8
	s_cbranch_execz .LBB307_250
; %bb.245:                              ;   in Loop: Header=BB307_11 Depth=1
	v_and_b32_e32 v117, 0xffff, v8
	v_mov_b32_e32 v116, 0x7c010000
	s_mov_b32 s18, exec_lo
	s_delay_alu instid0(VALU_DEP_2) | instskip(NEXT) | instid1(VALU_DEP_1)
	v_and_b32_e32 v119, 0x7f, v117
	v_cmpx_ne_u32_e32 0x7f, v119
	s_cbranch_execz .LBB307_249
; %bb.246:                              ;   in Loop: Header=BB307_11 Depth=1
	v_and_b32_e32 v116, 7, v117
	v_lshrrev_b32_e32 v118, 3, v119
	s_mov_b32 s19, exec_lo
	v_cmpx_gt_u32_e32 8, v119
; %bb.247:                              ;   in Loop: Header=BB307_11 Depth=1
	s_delay_alu instid0(VALU_DEP_3) | instskip(NEXT) | instid1(VALU_DEP_1)
	v_clz_i32_u32_e32 v116, v116
	v_min_u32_e32 v116, 32, v116
	s_delay_alu instid0(VALU_DEP_1) | instskip(NEXT) | instid1(VALU_DEP_1)
	v_subrev_nc_u32_e32 v118, 28, v116
	v_lshlrev_b64_e32 v[128:129], v118, v[8:9]
	v_sub_nc_u32_e32 v118, 29, v116
	s_delay_alu instid0(VALU_DEP_2)
	v_and_b32_e32 v116, 7, v128
; %bb.248:                              ;   in Loop: Header=BB307_11 Depth=1
	s_wait_alu 0xfffe
	s_or_b32 exec_lo, exec_lo, s19
	v_lshlrev_b32_e32 v8, 8, v117
	v_lshl_add_u32 v117, v118, 10, 0x2000
	v_lshlrev_b32_e32 v116, 23, v116
	s_delay_alu instid0(VALU_DEP_2) | instskip(NEXT) | instid1(VALU_DEP_1)
	v_and_or_b32 v8, 0x8000, v8, v117
	v_lshl_or_b32 v116, v8, 16, v116
.LBB307_249:                            ;   in Loop: Header=BB307_11 Depth=1
	s_wait_alu 0xfffe
	s_or_b32 exec_lo, exec_lo, s18
.LBB307_250:                            ;   in Loop: Header=BB307_11 Depth=1
	s_wait_alu 0xfffe
	s_or_b32 exec_lo, exec_lo, s17
.LBB307_251:                            ;   in Loop: Header=BB307_11 Depth=1
	s_wait_alu 0xfffe
	s_or_b32 exec_lo, exec_lo, s16
	v_lshrrev_b32_e32 v8, 16, v29
	s_mov_b32 s16, exec_lo
	s_delay_alu instid0(VALU_DEP_1) | instskip(NEXT) | instid1(VALU_DEP_1)
	v_and_b32_e32 v117, 0xff, v8
	v_cmpx_ne_u16_e32 0, v117
	s_cbranch_execz .LBB307_259
; %bb.252:                              ;   in Loop: Header=BB307_11 Depth=1
	v_mov_b32_e32 v115, 0x8000
	s_mov_b32 s17, exec_lo
	v_cmpx_ne_u16_e32 0x80, v117
	s_cbranch_execz .LBB307_258
; %bb.253:                              ;   in Loop: Header=BB307_11 Depth=1
	v_bfe_u32 v118, v29, 16, 7
	v_mov_b32_e32 v115, 0x7c01
	s_mov_b32 s18, exec_lo
	s_delay_alu instid0(VALU_DEP_2)
	v_cmpx_ne_u32_e32 0x7f, v118
	s_cbranch_execz .LBB307_257
; %bb.254:                              ;   in Loop: Header=BB307_11 Depth=1
	v_and_b32_e32 v115, 7, v8
	v_lshrrev_b32_e32 v117, 3, v118
	s_mov_b32 s19, exec_lo
	v_cmpx_gt_u32_e32 8, v118
; %bb.255:                              ;   in Loop: Header=BB307_11 Depth=1
	s_delay_alu instid0(VALU_DEP_3) | instskip(NEXT) | instid1(VALU_DEP_1)
	v_clz_i32_u32_e32 v115, v115
	v_min_u32_e32 v115, 32, v115
	s_delay_alu instid0(VALU_DEP_1) | instskip(NEXT) | instid1(VALU_DEP_1)
	v_subrev_nc_u32_e32 v117, 28, v115
	v_lshlrev_b64_e32 v[118:119], v117, v[8:9]
	v_sub_nc_u32_e32 v117, 29, v115
	s_delay_alu instid0(VALU_DEP_2)
	v_and_b32_e32 v115, 7, v118
; %bb.256:                              ;   in Loop: Header=BB307_11 Depth=1
	s_wait_alu 0xfffe
	s_or_b32 exec_lo, exec_lo, s19
	v_lshlrev_b32_e32 v8, 8, v8
	v_lshl_add_u32 v117, v117, 10, 0x2000
	v_lshlrev_b32_e32 v115, 7, v115
	s_delay_alu instid0(VALU_DEP_3) | instskip(NEXT) | instid1(VALU_DEP_3)
	v_and_b32_e32 v8, 0x8000, v8
	v_and_b32_e32 v117, 0xfc00, v117
	s_delay_alu instid0(VALU_DEP_1)
	v_or3_b32 v115, v8, v117, v115
.LBB307_257:                            ;   in Loop: Header=BB307_11 Depth=1
	s_wait_alu 0xfffe
	s_or_b32 exec_lo, exec_lo, s18
.LBB307_258:                            ;   in Loop: Header=BB307_11 Depth=1
	s_wait_alu 0xfffe
	s_or_b32 exec_lo, exec_lo, s17
.LBB307_259:                            ;   in Loop: Header=BB307_11 Depth=1
	s_wait_alu 0xfffe
	s_or_b32 exec_lo, exec_lo, s16
	v_dual_mov_b32 v118, 0 :: v_dual_mov_b32 v117, 0
	s_mov_b32 s16, exec_lo
	v_cmpx_lt_u64_e64 s[2:3], v[28:29]
	s_cbranch_execz .LBB307_267
; %bb.260:                              ;   in Loop: Header=BB307_11 Depth=1
	v_lshrrev_b32_e32 v8, 24, v29
	v_bfrev_b32_e32 v117, 1
	s_mov_b32 s17, exec_lo
	s_delay_alu instid0(VALU_DEP_2)
	v_cmpx_ne_u32_e32 0x80, v8
	s_cbranch_execz .LBB307_266
; %bb.261:                              ;   in Loop: Header=BB307_11 Depth=1
	v_and_b32_e32 v119, 0x7f, v8
	v_mov_b32_e32 v117, 0x7c010000
	s_mov_b32 s18, exec_lo
	s_delay_alu instid0(VALU_DEP_2)
	v_cmpx_ne_u32_e32 0x7f, v119
	s_cbranch_execz .LBB307_265
; %bb.262:                              ;   in Loop: Header=BB307_11 Depth=1
	v_and_b32_e32 v28, 7, v8
	v_lshrrev_b32_e32 v29, 3, v119
	s_mov_b32 s19, exec_lo
	v_cmpx_gt_u32_e32 8, v119
; %bb.263:                              ;   in Loop: Header=BB307_11 Depth=1
	s_delay_alu instid0(VALU_DEP_3) | instskip(NEXT) | instid1(VALU_DEP_1)
	v_clz_i32_u32_e32 v28, v28
	v_min_u32_e32 v117, 32, v28
	s_delay_alu instid0(VALU_DEP_1) | instskip(NEXT) | instid1(VALU_DEP_1)
	v_subrev_nc_u32_e32 v28, 28, v117
	v_lshlrev_b64_e32 v[28:29], v28, v[8:9]
	v_sub_nc_u32_e32 v29, 29, v117
	s_delay_alu instid0(VALU_DEP_2)
	v_and_b32_e32 v28, 7, v28
; %bb.264:                              ;   in Loop: Header=BB307_11 Depth=1
	s_wait_alu 0xfffe
	s_or_b32 exec_lo, exec_lo, s19
	v_lshlrev_b32_e32 v8, 8, v8
	v_lshl_add_u32 v29, v29, 10, 0x2000
	v_lshlrev_b32_e32 v28, 23, v28
	s_delay_alu instid0(VALU_DEP_2) | instskip(NEXT) | instid1(VALU_DEP_1)
	v_and_or_b32 v8, 0x8000, v8, v29
	v_lshl_or_b32 v117, v8, 16, v28
.LBB307_265:                            ;   in Loop: Header=BB307_11 Depth=1
	s_wait_alu 0xfffe
	s_or_b32 exec_lo, exec_lo, s18
.LBB307_266:                            ;   in Loop: Header=BB307_11 Depth=1
	s_wait_alu 0xfffe
	s_or_b32 exec_lo, exec_lo, s17
.LBB307_267:                            ;   in Loop: Header=BB307_11 Depth=1
	s_wait_alu 0xfffe
	s_or_b32 exec_lo, exec_lo, s16
	flat_load_b64 v[28:29], v[20:21] offset:1024
	s_mov_b32 s16, exec_lo
	s_wait_loadcnt_dscnt 0x0
	v_and_b32_e32 v8, 0xff, v28
	s_delay_alu instid0(VALU_DEP_1)
	v_cmpx_ne_u16_e32 0, v8
	s_cbranch_execz .LBB307_275
; %bb.268:                              ;   in Loop: Header=BB307_11 Depth=1
	v_mov_b32_e32 v118, 0x8000
	s_mov_b32 s17, exec_lo
	v_cmpx_ne_u16_e32 0x80, v8
	s_cbranch_execz .LBB307_274
; %bb.269:                              ;   in Loop: Header=BB307_11 Depth=1
	v_and_b32_e32 v119, 0x7f, v28
	v_mov_b32_e32 v118, 0x7c01
	s_mov_b32 s18, exec_lo
	s_delay_alu instid0(VALU_DEP_2)
	v_cmpx_ne_u32_e32 0x7f, v119
	s_cbranch_execz .LBB307_273
; %bb.270:                              ;   in Loop: Header=BB307_11 Depth=1
	v_and_b32_e32 v8, 7, v28
	v_lshrrev_b32_e32 v118, 3, v119
	s_mov_b32 s19, exec_lo
	v_cmpx_gt_u32_e32 8, v119
; %bb.271:                              ;   in Loop: Header=BB307_11 Depth=1
	s_delay_alu instid0(VALU_DEP_3) | instskip(NEXT) | instid1(VALU_DEP_1)
	v_clz_i32_u32_e32 v8, v8
	v_min_u32_e32 v8, 32, v8
	s_delay_alu instid0(VALU_DEP_1) | instskip(NEXT) | instid1(VALU_DEP_1)
	v_subrev_nc_u32_e32 v118, 28, v8
	v_lshlrev_b64_e32 v[128:129], v118, v[28:29]
	v_sub_nc_u32_e32 v118, 29, v8
	s_delay_alu instid0(VALU_DEP_2)
	v_and_b32_e32 v8, 7, v128
; %bb.272:                              ;   in Loop: Header=BB307_11 Depth=1
	s_wait_alu 0xfffe
	s_or_b32 exec_lo, exec_lo, s19
	v_lshlrev_b32_e32 v119, 8, v28
	v_lshl_add_u32 v118, v118, 10, 0x2000
	v_lshlrev_b32_e32 v8, 7, v8
	s_delay_alu instid0(VALU_DEP_3) | instskip(NEXT) | instid1(VALU_DEP_3)
	v_and_b32_e32 v119, 0x8000, v119
	v_and_b32_e32 v118, 0xfc00, v118
	s_delay_alu instid0(VALU_DEP_1)
	v_or3_b32 v118, v119, v118, v8
.LBB307_273:                            ;   in Loop: Header=BB307_11 Depth=1
	s_wait_alu 0xfffe
	s_or_b32 exec_lo, exec_lo, s18
.LBB307_274:                            ;   in Loop: Header=BB307_11 Depth=1
	s_wait_alu 0xfffe
	s_or_b32 exec_lo, exec_lo, s17
.LBB307_275:                            ;   in Loop: Header=BB307_11 Depth=1
	s_wait_alu 0xfffe
	s_or_b32 exec_lo, exec_lo, s16
	v_lshrrev_b16 v8, 8, v28
	v_dual_mov_b32 v128, 0 :: v_dual_mov_b32 v119, 0
	s_mov_b32 s16, exec_lo
	s_delay_alu instid0(VALU_DEP_2)
	v_cmpx_ne_u16_e32 0, v8
	s_cbranch_execz .LBB307_283
; %bb.276:                              ;   in Loop: Header=BB307_11 Depth=1
	v_bfrev_b32_e32 v119, 1
	s_mov_b32 s17, exec_lo
	v_cmpx_ne_u16_e32 0x80, v8
	s_cbranch_execz .LBB307_282
; %bb.277:                              ;   in Loop: Header=BB307_11 Depth=1
	v_and_b32_e32 v129, 0xffff, v8
	v_mov_b32_e32 v119, 0x7c010000
	s_mov_b32 s18, exec_lo
	s_delay_alu instid0(VALU_DEP_2) | instskip(NEXT) | instid1(VALU_DEP_1)
	v_and_b32_e32 v131, 0x7f, v129
	v_cmpx_ne_u32_e32 0x7f, v131
	s_cbranch_execz .LBB307_281
; %bb.278:                              ;   in Loop: Header=BB307_11 Depth=1
	v_and_b32_e32 v119, 7, v129
	v_lshrrev_b32_e32 v130, 3, v131
	s_mov_b32 s19, exec_lo
	v_cmpx_gt_u32_e32 8, v131
; %bb.279:                              ;   in Loop: Header=BB307_11 Depth=1
	s_delay_alu instid0(VALU_DEP_3) | instskip(NEXT) | instid1(VALU_DEP_1)
	v_clz_i32_u32_e32 v119, v119
	v_min_u32_e32 v119, 32, v119
	s_delay_alu instid0(VALU_DEP_1) | instskip(NEXT) | instid1(VALU_DEP_1)
	v_subrev_nc_u32_e32 v130, 28, v119
	v_lshlrev_b64_e32 v[131:132], v130, v[8:9]
	v_sub_nc_u32_e32 v130, 29, v119
	s_delay_alu instid0(VALU_DEP_2)
	v_and_b32_e32 v119, 7, v131
; %bb.280:                              ;   in Loop: Header=BB307_11 Depth=1
	s_wait_alu 0xfffe
	s_or_b32 exec_lo, exec_lo, s19
	v_lshlrev_b32_e32 v8, 8, v129
	v_lshl_add_u32 v129, v130, 10, 0x2000
	v_lshlrev_b32_e32 v119, 23, v119
	s_delay_alu instid0(VALU_DEP_2) | instskip(NEXT) | instid1(VALU_DEP_1)
	v_and_or_b32 v8, 0x8000, v8, v129
	v_lshl_or_b32 v119, v8, 16, v119
.LBB307_281:                            ;   in Loop: Header=BB307_11 Depth=1
	s_wait_alu 0xfffe
	s_or_b32 exec_lo, exec_lo, s18
.LBB307_282:                            ;   in Loop: Header=BB307_11 Depth=1
	s_wait_alu 0xfffe
	s_or_b32 exec_lo, exec_lo, s17
.LBB307_283:                            ;   in Loop: Header=BB307_11 Depth=1
	s_wait_alu 0xfffe
	s_or_b32 exec_lo, exec_lo, s16
	v_lshrrev_b32_e32 v8, 16, v28
	s_mov_b32 s16, exec_lo
	s_delay_alu instid0(VALU_DEP_1) | instskip(NEXT) | instid1(VALU_DEP_1)
	v_and_b32_e32 v129, 0xff, v8
	v_cmpx_ne_u16_e64 0, v129
	s_cbranch_execz .LBB307_291
; %bb.284:                              ;   in Loop: Header=BB307_11 Depth=1
	v_mov_b32_e32 v128, 0x8000
	s_mov_b32 s17, exec_lo
	v_cmpx_ne_u16_e64 0x80, v129
	s_cbranch_execz .LBB307_290
; %bb.285:                              ;   in Loop: Header=BB307_11 Depth=1
	v_bfe_u32 v130, v28, 16, 7
	v_mov_b32_e32 v128, 0x7c01
	s_mov_b32 s18, exec_lo
	s_delay_alu instid0(VALU_DEP_2)
	v_cmpx_ne_u32_e32 0x7f, v130
	s_cbranch_execz .LBB307_289
; %bb.286:                              ;   in Loop: Header=BB307_11 Depth=1
	v_and_b32_e32 v128, 7, v8
	v_lshrrev_b32_e32 v129, 3, v130
	s_mov_b32 s19, exec_lo
	v_cmpx_gt_u32_e32 8, v130
; %bb.287:                              ;   in Loop: Header=BB307_11 Depth=1
	s_delay_alu instid0(VALU_DEP_3) | instskip(NEXT) | instid1(VALU_DEP_1)
	v_clz_i32_u32_e32 v128, v128
	v_min_u32_e32 v130, 32, v128
	s_delay_alu instid0(VALU_DEP_1) | instskip(NEXT) | instid1(VALU_DEP_1)
	v_subrev_nc_u32_e32 v128, 28, v130
	v_lshlrev_b64_e32 v[128:129], v128, v[8:9]
	v_sub_nc_u32_e32 v129, 29, v130
	s_delay_alu instid0(VALU_DEP_2)
	v_and_b32_e32 v128, 7, v128
; %bb.288:                              ;   in Loop: Header=BB307_11 Depth=1
	s_wait_alu 0xfffe
	s_or_b32 exec_lo, exec_lo, s19
	v_lshlrev_b32_e32 v8, 8, v8
	v_lshl_add_u32 v129, v129, 10, 0x2000
	v_lshlrev_b32_e32 v128, 7, v128
	s_delay_alu instid0(VALU_DEP_3) | instskip(NEXT) | instid1(VALU_DEP_3)
	v_and_b32_e32 v8, 0x8000, v8
	v_and_b32_e32 v129, 0xfc00, v129
	s_delay_alu instid0(VALU_DEP_1)
	v_or3_b32 v128, v8, v129, v128
.LBB307_289:                            ;   in Loop: Header=BB307_11 Depth=1
	s_wait_alu 0xfffe
	s_or_b32 exec_lo, exec_lo, s18
.LBB307_290:                            ;   in Loop: Header=BB307_11 Depth=1
	s_wait_alu 0xfffe
	s_or_b32 exec_lo, exec_lo, s17
.LBB307_291:                            ;   in Loop: Header=BB307_11 Depth=1
	s_wait_alu 0xfffe
	s_or_b32 exec_lo, exec_lo, s16
	v_dual_mov_b32 v129, 0 :: v_dual_mov_b32 v130, 0
	s_mov_b32 s16, exec_lo
	v_cmpx_lt_u32_e32 0xffffff, v28
	s_cbranch_execz .LBB307_299
; %bb.292:                              ;   in Loop: Header=BB307_11 Depth=1
	v_lshrrev_b32_e32 v8, 24, v28
	v_bfrev_b32_e32 v130, 1
	s_mov_b32 s17, exec_lo
	s_delay_alu instid0(VALU_DEP_2)
	v_cmpx_ne_u32_e32 0x80, v8
	s_cbranch_execz .LBB307_298
; %bb.293:                              ;   in Loop: Header=BB307_11 Depth=1
	v_and_b32_e32 v132, 0x7f, v8
	v_mov_b32_e32 v130, 0x7c010000
	s_mov_b32 s18, exec_lo
	s_delay_alu instid0(VALU_DEP_2)
	v_cmpx_ne_u32_e32 0x7f, v132
	s_cbranch_execz .LBB307_297
; %bb.294:                              ;   in Loop: Header=BB307_11 Depth=1
	v_and_b32_e32 v130, 7, v8
	v_lshrrev_b32_e32 v131, 3, v132
	s_mov_b32 s19, exec_lo
	v_cmpx_gt_u32_e32 8, v132
; %bb.295:                              ;   in Loop: Header=BB307_11 Depth=1
	s_delay_alu instid0(VALU_DEP_3) | instskip(NEXT) | instid1(VALU_DEP_1)
	v_clz_i32_u32_e32 v130, v130
	v_min_u32_e32 v132, 32, v130
	s_delay_alu instid0(VALU_DEP_1) | instskip(NEXT) | instid1(VALU_DEP_1)
	v_subrev_nc_u32_e32 v130, 28, v132
	v_lshlrev_b64_e32 v[130:131], v130, v[8:9]
	v_sub_nc_u32_e32 v131, 29, v132
	s_delay_alu instid0(VALU_DEP_2)
	v_and_b32_e32 v130, 7, v130
; %bb.296:                              ;   in Loop: Header=BB307_11 Depth=1
	s_wait_alu 0xfffe
	s_or_b32 exec_lo, exec_lo, s19
	v_lshlrev_b32_e32 v8, 8, v8
	v_lshl_add_u32 v131, v131, 10, 0x2000
	v_lshlrev_b32_e32 v130, 23, v130
	s_delay_alu instid0(VALU_DEP_2) | instskip(NEXT) | instid1(VALU_DEP_1)
	v_and_or_b32 v8, 0x8000, v8, v131
	v_lshl_or_b32 v130, v8, 16, v130
.LBB307_297:                            ;   in Loop: Header=BB307_11 Depth=1
	s_wait_alu 0xfffe
	s_or_b32 exec_lo, exec_lo, s18
.LBB307_298:                            ;   in Loop: Header=BB307_11 Depth=1
	s_wait_alu 0xfffe
	s_or_b32 exec_lo, exec_lo, s17
.LBB307_299:                            ;   in Loop: Header=BB307_11 Depth=1
	s_wait_alu 0xfffe
	s_or_b32 exec_lo, exec_lo, s16
	v_dual_mov_b32 v8, v29 :: v_dual_and_b32 v131, 0xff, v29
	s_mov_b32 s16, exec_lo
	s_delay_alu instid0(VALU_DEP_1)
	v_cmpx_ne_u16_e64 0, v131
	s_cbranch_execz .LBB307_307
; %bb.300:                              ;   in Loop: Header=BB307_11 Depth=1
	v_mov_b32_e32 v129, 0x8000
	s_mov_b32 s17, exec_lo
	v_cmpx_ne_u16_e64 0x80, v131
	s_cbranch_execz .LBB307_306
; %bb.301:                              ;   in Loop: Header=BB307_11 Depth=1
	v_and_b32_e32 v132, 0x7f, v29
	v_mov_b32_e32 v129, 0x7c01
	s_mov_b32 s18, exec_lo
	s_delay_alu instid0(VALU_DEP_2)
	v_cmpx_ne_u32_e32 0x7f, v132
	s_cbranch_execz .LBB307_305
; %bb.302:                              ;   in Loop: Header=BB307_11 Depth=1
	v_and_b32_e32 v129, 7, v29
	v_lshrrev_b32_e32 v131, 3, v132
	s_mov_b32 s19, exec_lo
	v_cmpx_gt_u32_e32 8, v132
; %bb.303:                              ;   in Loop: Header=BB307_11 Depth=1
	s_delay_alu instid0(VALU_DEP_3) | instskip(NEXT) | instid1(VALU_DEP_1)
	v_clz_i32_u32_e32 v129, v129
	v_min_u32_e32 v129, 32, v129
	s_delay_alu instid0(VALU_DEP_1) | instskip(NEXT) | instid1(VALU_DEP_1)
	v_subrev_nc_u32_e32 v131, 28, v129
	v_lshlrev_b64_e32 v[132:133], v131, v[8:9]
	v_sub_nc_u32_e32 v131, 29, v129
	s_delay_alu instid0(VALU_DEP_2)
	v_and_b32_e32 v129, 7, v132
; %bb.304:                              ;   in Loop: Header=BB307_11 Depth=1
	s_wait_alu 0xfffe
	s_or_b32 exec_lo, exec_lo, s19
	v_lshlrev_b32_e32 v132, 8, v29
	v_lshl_add_u32 v131, v131, 10, 0x2000
	v_lshlrev_b32_e32 v129, 7, v129
	s_delay_alu instid0(VALU_DEP_3) | instskip(NEXT) | instid1(VALU_DEP_3)
	v_and_b32_e32 v132, 0x8000, v132
	v_and_b32_e32 v131, 0xfc00, v131
	s_delay_alu instid0(VALU_DEP_1)
	v_or3_b32 v129, v132, v131, v129
.LBB307_305:                            ;   in Loop: Header=BB307_11 Depth=1
	s_wait_alu 0xfffe
	s_or_b32 exec_lo, exec_lo, s18
.LBB307_306:                            ;   in Loop: Header=BB307_11 Depth=1
	s_wait_alu 0xfffe
	s_or_b32 exec_lo, exec_lo, s17
.LBB307_307:                            ;   in Loop: Header=BB307_11 Depth=1
	s_wait_alu 0xfffe
	s_or_b32 exec_lo, exec_lo, s16
	v_lshrrev_b16 v8, 8, v8
	v_dual_mov_b32 v131, 0 :: v_dual_mov_b32 v132, 0
	s_mov_b32 s16, exec_lo
	s_delay_alu instid0(VALU_DEP_2)
	v_cmpx_ne_u16_e32 0, v8
	s_cbranch_execz .LBB307_315
; %bb.308:                              ;   in Loop: Header=BB307_11 Depth=1
	v_bfrev_b32_e32 v132, 1
	s_mov_b32 s17, exec_lo
	v_cmpx_ne_u16_e32 0x80, v8
	s_cbranch_execz .LBB307_314
; %bb.309:                              ;   in Loop: Header=BB307_11 Depth=1
	v_and_b32_e32 v133, 0xffff, v8
	v_mov_b32_e32 v132, 0x7c010000
	s_mov_b32 s18, exec_lo
	s_delay_alu instid0(VALU_DEP_2) | instskip(NEXT) | instid1(VALU_DEP_1)
	v_and_b32_e32 v135, 0x7f, v133
	v_cmpx_ne_u32_e32 0x7f, v135
	s_cbranch_execz .LBB307_313
; %bb.310:                              ;   in Loop: Header=BB307_11 Depth=1
	v_and_b32_e32 v132, 7, v133
	v_lshrrev_b32_e32 v134, 3, v135
	s_mov_b32 s19, exec_lo
	v_cmpx_gt_u32_e32 8, v135
; %bb.311:                              ;   in Loop: Header=BB307_11 Depth=1
	s_delay_alu instid0(VALU_DEP_3) | instskip(NEXT) | instid1(VALU_DEP_1)
	v_clz_i32_u32_e32 v132, v132
	v_min_u32_e32 v132, 32, v132
	s_delay_alu instid0(VALU_DEP_1) | instskip(NEXT) | instid1(VALU_DEP_1)
	v_subrev_nc_u32_e32 v134, 28, v132
	v_lshlrev_b64_e32 v[144:145], v134, v[8:9]
	v_sub_nc_u32_e32 v134, 29, v132
	s_delay_alu instid0(VALU_DEP_2)
	v_and_b32_e32 v132, 7, v144
; %bb.312:                              ;   in Loop: Header=BB307_11 Depth=1
	s_wait_alu 0xfffe
	s_or_b32 exec_lo, exec_lo, s19
	v_lshlrev_b32_e32 v8, 8, v133
	v_lshl_add_u32 v133, v134, 10, 0x2000
	v_lshlrev_b32_e32 v132, 23, v132
	s_delay_alu instid0(VALU_DEP_2) | instskip(NEXT) | instid1(VALU_DEP_1)
	v_and_or_b32 v8, 0x8000, v8, v133
	v_lshl_or_b32 v132, v8, 16, v132
.LBB307_313:                            ;   in Loop: Header=BB307_11 Depth=1
	s_wait_alu 0xfffe
	s_or_b32 exec_lo, exec_lo, s18
.LBB307_314:                            ;   in Loop: Header=BB307_11 Depth=1
	s_wait_alu 0xfffe
	s_or_b32 exec_lo, exec_lo, s17
.LBB307_315:                            ;   in Loop: Header=BB307_11 Depth=1
	s_wait_alu 0xfffe
	s_or_b32 exec_lo, exec_lo, s16
	v_lshrrev_b32_e32 v8, 16, v29
	s_mov_b32 s16, exec_lo
	s_delay_alu instid0(VALU_DEP_1) | instskip(NEXT) | instid1(VALU_DEP_1)
	v_and_b32_e32 v133, 0xff, v8
	v_cmpx_ne_u16_e64 0, v133
	s_cbranch_execz .LBB307_323
; %bb.316:                              ;   in Loop: Header=BB307_11 Depth=1
	v_mov_b32_e32 v131, 0x8000
	s_mov_b32 s17, exec_lo
	v_cmpx_ne_u16_e64 0x80, v133
	s_cbranch_execz .LBB307_322
; %bb.317:                              ;   in Loop: Header=BB307_11 Depth=1
	v_bfe_u32 v134, v29, 16, 7
	v_mov_b32_e32 v131, 0x7c01
	s_mov_b32 s18, exec_lo
	s_delay_alu instid0(VALU_DEP_2)
	v_cmpx_ne_u32_e32 0x7f, v134
	s_cbranch_execz .LBB307_321
; %bb.318:                              ;   in Loop: Header=BB307_11 Depth=1
	v_and_b32_e32 v131, 7, v8
	v_lshrrev_b32_e32 v133, 3, v134
	s_mov_b32 s19, exec_lo
	v_cmpx_gt_u32_e32 8, v134
; %bb.319:                              ;   in Loop: Header=BB307_11 Depth=1
	s_delay_alu instid0(VALU_DEP_3) | instskip(NEXT) | instid1(VALU_DEP_1)
	v_clz_i32_u32_e32 v131, v131
	v_min_u32_e32 v131, 32, v131
	s_delay_alu instid0(VALU_DEP_1) | instskip(NEXT) | instid1(VALU_DEP_1)
	v_subrev_nc_u32_e32 v133, 28, v131
	v_lshlrev_b64_e32 v[134:135], v133, v[8:9]
	v_sub_nc_u32_e32 v133, 29, v131
	s_delay_alu instid0(VALU_DEP_2)
	v_and_b32_e32 v131, 7, v134
; %bb.320:                              ;   in Loop: Header=BB307_11 Depth=1
	s_wait_alu 0xfffe
	s_or_b32 exec_lo, exec_lo, s19
	v_lshlrev_b32_e32 v8, 8, v8
	v_lshl_add_u32 v133, v133, 10, 0x2000
	v_lshlrev_b32_e32 v131, 7, v131
	s_delay_alu instid0(VALU_DEP_3) | instskip(NEXT) | instid1(VALU_DEP_3)
	v_and_b32_e32 v8, 0x8000, v8
	v_and_b32_e32 v133, 0xfc00, v133
	s_delay_alu instid0(VALU_DEP_1)
	v_or3_b32 v131, v8, v133, v131
.LBB307_321:                            ;   in Loop: Header=BB307_11 Depth=1
	s_wait_alu 0xfffe
	s_or_b32 exec_lo, exec_lo, s18
.LBB307_322:                            ;   in Loop: Header=BB307_11 Depth=1
	s_wait_alu 0xfffe
	s_or_b32 exec_lo, exec_lo, s17
.LBB307_323:                            ;   in Loop: Header=BB307_11 Depth=1
	s_wait_alu 0xfffe
	s_or_b32 exec_lo, exec_lo, s16
	v_dual_mov_b32 v134, 0 :: v_dual_mov_b32 v133, 0
	s_mov_b32 s16, exec_lo
	v_cmpx_lt_u64_e64 s[2:3], v[28:29]
	s_cbranch_execz .LBB307_331
; %bb.324:                              ;   in Loop: Header=BB307_11 Depth=1
	v_lshrrev_b32_e32 v8, 24, v29
	v_bfrev_b32_e32 v133, 1
	s_mov_b32 s17, exec_lo
	s_delay_alu instid0(VALU_DEP_2)
	v_cmpx_ne_u32_e32 0x80, v8
	s_cbranch_execz .LBB307_330
; %bb.325:                              ;   in Loop: Header=BB307_11 Depth=1
	v_and_b32_e32 v135, 0x7f, v8
	v_mov_b32_e32 v133, 0x7c010000
	s_mov_b32 s18, exec_lo
	s_delay_alu instid0(VALU_DEP_2)
	v_cmpx_ne_u32_e32 0x7f, v135
	s_cbranch_execz .LBB307_329
; %bb.326:                              ;   in Loop: Header=BB307_11 Depth=1
	v_and_b32_e32 v28, 7, v8
	v_lshrrev_b32_e32 v29, 3, v135
	s_mov_b32 s19, exec_lo
	v_cmpx_gt_u32_e32 8, v135
; %bb.327:                              ;   in Loop: Header=BB307_11 Depth=1
	s_delay_alu instid0(VALU_DEP_3) | instskip(NEXT) | instid1(VALU_DEP_1)
	v_clz_i32_u32_e32 v28, v28
	v_min_u32_e32 v133, 32, v28
	s_delay_alu instid0(VALU_DEP_1) | instskip(NEXT) | instid1(VALU_DEP_1)
	v_subrev_nc_u32_e32 v28, 28, v133
	v_lshlrev_b64_e32 v[28:29], v28, v[8:9]
	v_sub_nc_u32_e32 v29, 29, v133
	s_delay_alu instid0(VALU_DEP_2)
	v_and_b32_e32 v28, 7, v28
; %bb.328:                              ;   in Loop: Header=BB307_11 Depth=1
	s_wait_alu 0xfffe
	s_or_b32 exec_lo, exec_lo, s19
	v_lshlrev_b32_e32 v8, 8, v8
	v_lshl_add_u32 v29, v29, 10, 0x2000
	v_lshlrev_b32_e32 v28, 23, v28
	s_delay_alu instid0(VALU_DEP_2) | instskip(NEXT) | instid1(VALU_DEP_1)
	v_and_or_b32 v8, 0x8000, v8, v29
	v_lshl_or_b32 v133, v8, 16, v28
.LBB307_329:                            ;   in Loop: Header=BB307_11 Depth=1
	s_wait_alu 0xfffe
	s_or_b32 exec_lo, exec_lo, s18
.LBB307_330:                            ;   in Loop: Header=BB307_11 Depth=1
	s_wait_alu 0xfffe
	s_or_b32 exec_lo, exec_lo, s17
.LBB307_331:                            ;   in Loop: Header=BB307_11 Depth=1
	s_wait_alu 0xfffe
	s_or_b32 exec_lo, exec_lo, s16
	flat_load_b64 v[28:29], v[20:21] offset:1032
	s_mov_b32 s16, exec_lo
	s_wait_loadcnt_dscnt 0x0
	v_and_b32_e32 v8, 0xff, v28
	s_delay_alu instid0(VALU_DEP_1)
	v_cmpx_ne_u16_e32 0, v8
	s_cbranch_execz .LBB307_339
; %bb.332:                              ;   in Loop: Header=BB307_11 Depth=1
	v_mov_b32_e32 v134, 0x8000
	s_mov_b32 s17, exec_lo
	v_cmpx_ne_u16_e32 0x80, v8
	s_cbranch_execz .LBB307_338
; %bb.333:                              ;   in Loop: Header=BB307_11 Depth=1
	v_and_b32_e32 v135, 0x7f, v28
	v_mov_b32_e32 v134, 0x7c01
	s_mov_b32 s18, exec_lo
	s_delay_alu instid0(VALU_DEP_2)
	v_cmpx_ne_u32_e32 0x7f, v135
	s_cbranch_execz .LBB307_337
; %bb.334:                              ;   in Loop: Header=BB307_11 Depth=1
	v_and_b32_e32 v8, 7, v28
	v_lshrrev_b32_e32 v134, 3, v135
	s_mov_b32 s19, exec_lo
	v_cmpx_gt_u32_e32 8, v135
; %bb.335:                              ;   in Loop: Header=BB307_11 Depth=1
	s_delay_alu instid0(VALU_DEP_3) | instskip(NEXT) | instid1(VALU_DEP_1)
	v_clz_i32_u32_e32 v8, v8
	v_min_u32_e32 v8, 32, v8
	s_delay_alu instid0(VALU_DEP_1) | instskip(NEXT) | instid1(VALU_DEP_1)
	v_subrev_nc_u32_e32 v134, 28, v8
	v_lshlrev_b64_e32 v[144:145], v134, v[28:29]
	v_sub_nc_u32_e32 v134, 29, v8
	s_delay_alu instid0(VALU_DEP_2)
	v_and_b32_e32 v8, 7, v144
; %bb.336:                              ;   in Loop: Header=BB307_11 Depth=1
	s_wait_alu 0xfffe
	s_or_b32 exec_lo, exec_lo, s19
	v_lshlrev_b32_e32 v135, 8, v28
	v_lshl_add_u32 v134, v134, 10, 0x2000
	v_lshlrev_b32_e32 v8, 7, v8
	s_delay_alu instid0(VALU_DEP_3) | instskip(NEXT) | instid1(VALU_DEP_3)
	v_and_b32_e32 v135, 0x8000, v135
	v_and_b32_e32 v134, 0xfc00, v134
	s_delay_alu instid0(VALU_DEP_1)
	v_or3_b32 v134, v135, v134, v8
.LBB307_337:                            ;   in Loop: Header=BB307_11 Depth=1
	s_wait_alu 0xfffe
	s_or_b32 exec_lo, exec_lo, s18
.LBB307_338:                            ;   in Loop: Header=BB307_11 Depth=1
	s_wait_alu 0xfffe
	s_or_b32 exec_lo, exec_lo, s17
.LBB307_339:                            ;   in Loop: Header=BB307_11 Depth=1
	s_wait_alu 0xfffe
	s_or_b32 exec_lo, exec_lo, s16
	v_lshrrev_b16 v8, 8, v28
	v_dual_mov_b32 v144, 0 :: v_dual_mov_b32 v135, 0
	s_mov_b32 s16, exec_lo
	s_delay_alu instid0(VALU_DEP_2)
	v_cmpx_ne_u16_e32 0, v8
	s_cbranch_execz .LBB307_347
; %bb.340:                              ;   in Loop: Header=BB307_11 Depth=1
	v_bfrev_b32_e32 v135, 1
	s_mov_b32 s17, exec_lo
	v_cmpx_ne_u16_e32 0x80, v8
	s_cbranch_execz .LBB307_346
; %bb.341:                              ;   in Loop: Header=BB307_11 Depth=1
	v_and_b32_e32 v145, 0xffff, v8
	v_mov_b32_e32 v135, 0x7c010000
	s_mov_b32 s18, exec_lo
	s_delay_alu instid0(VALU_DEP_2) | instskip(NEXT) | instid1(VALU_DEP_1)
	v_and_b32_e32 v147, 0x7f, v145
	v_cmpx_ne_u32_e32 0x7f, v147
	s_cbranch_execz .LBB307_345
; %bb.342:                              ;   in Loop: Header=BB307_11 Depth=1
	v_and_b32_e32 v135, 7, v145
	v_lshrrev_b32_e32 v146, 3, v147
	s_mov_b32 s19, exec_lo
	v_cmpx_gt_u32_e32 8, v147
; %bb.343:                              ;   in Loop: Header=BB307_11 Depth=1
	s_delay_alu instid0(VALU_DEP_3) | instskip(NEXT) | instid1(VALU_DEP_1)
	v_clz_i32_u32_e32 v135, v135
	v_min_u32_e32 v135, 32, v135
	s_delay_alu instid0(VALU_DEP_1) | instskip(NEXT) | instid1(VALU_DEP_1)
	v_subrev_nc_u32_e32 v146, 28, v135
	v_lshlrev_b64_e32 v[147:148], v146, v[8:9]
	v_sub_nc_u32_e32 v146, 29, v135
	s_delay_alu instid0(VALU_DEP_2)
	v_and_b32_e32 v135, 7, v147
; %bb.344:                              ;   in Loop: Header=BB307_11 Depth=1
	s_wait_alu 0xfffe
	s_or_b32 exec_lo, exec_lo, s19
	v_lshlrev_b32_e32 v8, 8, v145
	v_lshl_add_u32 v145, v146, 10, 0x2000
	v_lshlrev_b32_e32 v135, 23, v135
	s_delay_alu instid0(VALU_DEP_2) | instskip(NEXT) | instid1(VALU_DEP_1)
	v_and_or_b32 v8, 0x8000, v8, v145
	v_lshl_or_b32 v135, v8, 16, v135
.LBB307_345:                            ;   in Loop: Header=BB307_11 Depth=1
	s_wait_alu 0xfffe
	s_or_b32 exec_lo, exec_lo, s18
.LBB307_346:                            ;   in Loop: Header=BB307_11 Depth=1
	s_wait_alu 0xfffe
	s_or_b32 exec_lo, exec_lo, s17
.LBB307_347:                            ;   in Loop: Header=BB307_11 Depth=1
	s_wait_alu 0xfffe
	s_or_b32 exec_lo, exec_lo, s16
	v_lshrrev_b32_e32 v8, 16, v28
	s_mov_b32 s16, exec_lo
	s_delay_alu instid0(VALU_DEP_1) | instskip(NEXT) | instid1(VALU_DEP_1)
	v_and_b32_e32 v145, 0xff, v8
	v_cmpx_ne_u16_e64 0, v145
	s_cbranch_execz .LBB307_355
; %bb.348:                              ;   in Loop: Header=BB307_11 Depth=1
	v_mov_b32_e32 v144, 0x8000
	s_mov_b32 s17, exec_lo
	v_cmpx_ne_u16_e64 0x80, v145
	s_cbranch_execz .LBB307_354
; %bb.349:                              ;   in Loop: Header=BB307_11 Depth=1
	v_bfe_u32 v146, v28, 16, 7
	v_mov_b32_e32 v144, 0x7c01
	s_mov_b32 s18, exec_lo
	s_delay_alu instid0(VALU_DEP_2)
	v_cmpx_ne_u32_e32 0x7f, v146
	s_cbranch_execz .LBB307_353
; %bb.350:                              ;   in Loop: Header=BB307_11 Depth=1
	v_and_b32_e32 v144, 7, v8
	v_lshrrev_b32_e32 v145, 3, v146
	s_mov_b32 s19, exec_lo
	v_cmpx_gt_u32_e32 8, v146
; %bb.351:                              ;   in Loop: Header=BB307_11 Depth=1
	s_delay_alu instid0(VALU_DEP_3) | instskip(NEXT) | instid1(VALU_DEP_1)
	v_clz_i32_u32_e32 v144, v144
	v_min_u32_e32 v146, 32, v144
	s_delay_alu instid0(VALU_DEP_1) | instskip(NEXT) | instid1(VALU_DEP_1)
	v_subrev_nc_u32_e32 v144, 28, v146
	v_lshlrev_b64_e32 v[144:145], v144, v[8:9]
	v_sub_nc_u32_e32 v145, 29, v146
	s_delay_alu instid0(VALU_DEP_2)
	v_and_b32_e32 v144, 7, v144
; %bb.352:                              ;   in Loop: Header=BB307_11 Depth=1
	s_wait_alu 0xfffe
	s_or_b32 exec_lo, exec_lo, s19
	v_lshlrev_b32_e32 v8, 8, v8
	v_lshl_add_u32 v145, v145, 10, 0x2000
	v_lshlrev_b32_e32 v144, 7, v144
	s_delay_alu instid0(VALU_DEP_3) | instskip(NEXT) | instid1(VALU_DEP_3)
	v_and_b32_e32 v8, 0x8000, v8
	v_and_b32_e32 v145, 0xfc00, v145
	s_delay_alu instid0(VALU_DEP_1)
	v_or3_b32 v144, v8, v145, v144
.LBB307_353:                            ;   in Loop: Header=BB307_11 Depth=1
	s_wait_alu 0xfffe
	s_or_b32 exec_lo, exec_lo, s18
.LBB307_354:                            ;   in Loop: Header=BB307_11 Depth=1
	s_wait_alu 0xfffe
	s_or_b32 exec_lo, exec_lo, s17
.LBB307_355:                            ;   in Loop: Header=BB307_11 Depth=1
	s_wait_alu 0xfffe
	s_or_b32 exec_lo, exec_lo, s16
	v_dual_mov_b32 v145, 0 :: v_dual_mov_b32 v146, 0
	s_mov_b32 s16, exec_lo
	v_cmpx_lt_u32_e32 0xffffff, v28
	s_cbranch_execz .LBB307_363
; %bb.356:                              ;   in Loop: Header=BB307_11 Depth=1
	v_lshrrev_b32_e32 v8, 24, v28
	v_bfrev_b32_e32 v146, 1
	s_mov_b32 s17, exec_lo
	s_delay_alu instid0(VALU_DEP_2)
	v_cmpx_ne_u32_e32 0x80, v8
	s_cbranch_execz .LBB307_362
; %bb.357:                              ;   in Loop: Header=BB307_11 Depth=1
	v_and_b32_e32 v148, 0x7f, v8
	v_mov_b32_e32 v146, 0x7c010000
	s_mov_b32 s18, exec_lo
	s_delay_alu instid0(VALU_DEP_2)
	v_cmpx_ne_u32_e32 0x7f, v148
	s_cbranch_execz .LBB307_361
; %bb.358:                              ;   in Loop: Header=BB307_11 Depth=1
	v_and_b32_e32 v146, 7, v8
	v_lshrrev_b32_e32 v147, 3, v148
	s_mov_b32 s19, exec_lo
	v_cmpx_gt_u32_e32 8, v148
; %bb.359:                              ;   in Loop: Header=BB307_11 Depth=1
	s_delay_alu instid0(VALU_DEP_3) | instskip(NEXT) | instid1(VALU_DEP_1)
	v_clz_i32_u32_e32 v146, v146
	v_min_u32_e32 v148, 32, v146
	s_delay_alu instid0(VALU_DEP_1) | instskip(NEXT) | instid1(VALU_DEP_1)
	v_subrev_nc_u32_e32 v146, 28, v148
	v_lshlrev_b64_e32 v[146:147], v146, v[8:9]
	v_sub_nc_u32_e32 v147, 29, v148
	s_delay_alu instid0(VALU_DEP_2)
	v_and_b32_e32 v146, 7, v146
; %bb.360:                              ;   in Loop: Header=BB307_11 Depth=1
	s_wait_alu 0xfffe
	s_or_b32 exec_lo, exec_lo, s19
	v_lshlrev_b32_e32 v8, 8, v8
	v_lshl_add_u32 v147, v147, 10, 0x2000
	v_lshlrev_b32_e32 v146, 23, v146
	s_delay_alu instid0(VALU_DEP_2) | instskip(NEXT) | instid1(VALU_DEP_1)
	v_and_or_b32 v8, 0x8000, v8, v147
	v_lshl_or_b32 v146, v8, 16, v146
.LBB307_361:                            ;   in Loop: Header=BB307_11 Depth=1
	s_wait_alu 0xfffe
	s_or_b32 exec_lo, exec_lo, s18
.LBB307_362:                            ;   in Loop: Header=BB307_11 Depth=1
	s_wait_alu 0xfffe
	s_or_b32 exec_lo, exec_lo, s17
.LBB307_363:                            ;   in Loop: Header=BB307_11 Depth=1
	s_wait_alu 0xfffe
	s_or_b32 exec_lo, exec_lo, s16
	v_dual_mov_b32 v8, v29 :: v_dual_and_b32 v147, 0xff, v29
	s_mov_b32 s16, exec_lo
	s_delay_alu instid0(VALU_DEP_1)
	v_cmpx_ne_u16_e64 0, v147
	s_cbranch_execz .LBB307_371
; %bb.364:                              ;   in Loop: Header=BB307_11 Depth=1
	v_mov_b32_e32 v145, 0x8000
	s_mov_b32 s17, exec_lo
	v_cmpx_ne_u16_e64 0x80, v147
	s_cbranch_execz .LBB307_370
; %bb.365:                              ;   in Loop: Header=BB307_11 Depth=1
	v_and_b32_e32 v148, 0x7f, v29
	v_mov_b32_e32 v145, 0x7c01
	s_mov_b32 s18, exec_lo
	s_delay_alu instid0(VALU_DEP_2)
	v_cmpx_ne_u32_e32 0x7f, v148
	s_cbranch_execz .LBB307_369
; %bb.366:                              ;   in Loop: Header=BB307_11 Depth=1
	v_and_b32_e32 v145, 7, v29
	v_lshrrev_b32_e32 v147, 3, v148
	s_mov_b32 s19, exec_lo
	v_cmpx_gt_u32_e32 8, v148
; %bb.367:                              ;   in Loop: Header=BB307_11 Depth=1
	s_delay_alu instid0(VALU_DEP_3) | instskip(NEXT) | instid1(VALU_DEP_1)
	v_clz_i32_u32_e32 v145, v145
	v_min_u32_e32 v145, 32, v145
	s_delay_alu instid0(VALU_DEP_1) | instskip(NEXT) | instid1(VALU_DEP_1)
	v_subrev_nc_u32_e32 v147, 28, v145
	v_lshlrev_b64_e32 v[148:149], v147, v[8:9]
	v_sub_nc_u32_e32 v147, 29, v145
	s_delay_alu instid0(VALU_DEP_2)
	v_and_b32_e32 v145, 7, v148
; %bb.368:                              ;   in Loop: Header=BB307_11 Depth=1
	s_wait_alu 0xfffe
	s_or_b32 exec_lo, exec_lo, s19
	v_lshlrev_b32_e32 v148, 8, v29
	v_lshl_add_u32 v147, v147, 10, 0x2000
	v_lshlrev_b32_e32 v145, 7, v145
	s_delay_alu instid0(VALU_DEP_3) | instskip(NEXT) | instid1(VALU_DEP_3)
	v_and_b32_e32 v148, 0x8000, v148
	v_and_b32_e32 v147, 0xfc00, v147
	s_delay_alu instid0(VALU_DEP_1)
	v_or3_b32 v145, v148, v147, v145
.LBB307_369:                            ;   in Loop: Header=BB307_11 Depth=1
	s_wait_alu 0xfffe
	s_or_b32 exec_lo, exec_lo, s18
.LBB307_370:                            ;   in Loop: Header=BB307_11 Depth=1
	s_wait_alu 0xfffe
	s_or_b32 exec_lo, exec_lo, s17
.LBB307_371:                            ;   in Loop: Header=BB307_11 Depth=1
	s_wait_alu 0xfffe
	s_or_b32 exec_lo, exec_lo, s16
	v_lshrrev_b16 v8, 8, v8
	v_dual_mov_b32 v147, 0 :: v_dual_mov_b32 v148, 0
	s_mov_b32 s16, exec_lo
	s_delay_alu instid0(VALU_DEP_2)
	v_cmpx_ne_u16_e32 0, v8
	s_cbranch_execz .LBB307_379
; %bb.372:                              ;   in Loop: Header=BB307_11 Depth=1
	v_bfrev_b32_e32 v148, 1
	s_mov_b32 s17, exec_lo
	v_cmpx_ne_u16_e32 0x80, v8
	s_cbranch_execz .LBB307_378
; %bb.373:                              ;   in Loop: Header=BB307_11 Depth=1
	v_and_b32_e32 v149, 0xffff, v8
	v_mov_b32_e32 v148, 0x7c010000
	s_mov_b32 s18, exec_lo
	s_delay_alu instid0(VALU_DEP_2) | instskip(NEXT) | instid1(VALU_DEP_1)
	v_and_b32_e32 v151, 0x7f, v149
	v_cmpx_ne_u32_e32 0x7f, v151
	s_cbranch_execz .LBB307_377
; %bb.374:                              ;   in Loop: Header=BB307_11 Depth=1
	v_and_b32_e32 v148, 7, v149
	v_lshrrev_b32_e32 v150, 3, v151
	s_mov_b32 s19, exec_lo
	v_cmpx_gt_u32_e32 8, v151
; %bb.375:                              ;   in Loop: Header=BB307_11 Depth=1
	s_delay_alu instid0(VALU_DEP_3) | instskip(NEXT) | instid1(VALU_DEP_1)
	v_clz_i32_u32_e32 v148, v148
	v_min_u32_e32 v148, 32, v148
	s_delay_alu instid0(VALU_DEP_1) | instskip(NEXT) | instid1(VALU_DEP_1)
	v_subrev_nc_u32_e32 v150, 28, v148
	v_lshlrev_b64_e32 v[160:161], v150, v[8:9]
	v_sub_nc_u32_e32 v150, 29, v148
	s_delay_alu instid0(VALU_DEP_2)
	v_and_b32_e32 v148, 7, v160
; %bb.376:                              ;   in Loop: Header=BB307_11 Depth=1
	s_wait_alu 0xfffe
	s_or_b32 exec_lo, exec_lo, s19
	v_lshlrev_b32_e32 v8, 8, v149
	v_lshl_add_u32 v149, v150, 10, 0x2000
	v_lshlrev_b32_e32 v148, 23, v148
	s_delay_alu instid0(VALU_DEP_2) | instskip(NEXT) | instid1(VALU_DEP_1)
	v_and_or_b32 v8, 0x8000, v8, v149
	v_lshl_or_b32 v148, v8, 16, v148
.LBB307_377:                            ;   in Loop: Header=BB307_11 Depth=1
	s_wait_alu 0xfffe
	s_or_b32 exec_lo, exec_lo, s18
.LBB307_378:                            ;   in Loop: Header=BB307_11 Depth=1
	s_wait_alu 0xfffe
	s_or_b32 exec_lo, exec_lo, s17
.LBB307_379:                            ;   in Loop: Header=BB307_11 Depth=1
	s_wait_alu 0xfffe
	s_or_b32 exec_lo, exec_lo, s16
	v_lshrrev_b32_e32 v8, 16, v29
	s_mov_b32 s16, exec_lo
	s_delay_alu instid0(VALU_DEP_1) | instskip(NEXT) | instid1(VALU_DEP_1)
	v_and_b32_e32 v149, 0xff, v8
	v_cmpx_ne_u16_e64 0, v149
	s_cbranch_execz .LBB307_387
; %bb.380:                              ;   in Loop: Header=BB307_11 Depth=1
	v_mov_b32_e32 v147, 0x8000
	s_mov_b32 s17, exec_lo
	v_cmpx_ne_u16_e64 0x80, v149
	s_cbranch_execz .LBB307_386
; %bb.381:                              ;   in Loop: Header=BB307_11 Depth=1
	v_bfe_u32 v150, v29, 16, 7
	v_mov_b32_e32 v147, 0x7c01
	s_mov_b32 s18, exec_lo
	s_delay_alu instid0(VALU_DEP_2)
	v_cmpx_ne_u32_e32 0x7f, v150
	s_cbranch_execz .LBB307_385
; %bb.382:                              ;   in Loop: Header=BB307_11 Depth=1
	v_and_b32_e32 v147, 7, v8
	v_lshrrev_b32_e32 v149, 3, v150
	s_mov_b32 s19, exec_lo
	v_cmpx_gt_u32_e32 8, v150
; %bb.383:                              ;   in Loop: Header=BB307_11 Depth=1
	s_delay_alu instid0(VALU_DEP_3) | instskip(NEXT) | instid1(VALU_DEP_1)
	v_clz_i32_u32_e32 v147, v147
	v_min_u32_e32 v147, 32, v147
	s_delay_alu instid0(VALU_DEP_1) | instskip(NEXT) | instid1(VALU_DEP_1)
	v_subrev_nc_u32_e32 v149, 28, v147
	v_lshlrev_b64_e32 v[150:151], v149, v[8:9]
	v_sub_nc_u32_e32 v149, 29, v147
	s_delay_alu instid0(VALU_DEP_2)
	v_and_b32_e32 v147, 7, v150
; %bb.384:                              ;   in Loop: Header=BB307_11 Depth=1
	s_wait_alu 0xfffe
	s_or_b32 exec_lo, exec_lo, s19
	v_lshlrev_b32_e32 v8, 8, v8
	v_lshl_add_u32 v149, v149, 10, 0x2000
	v_lshlrev_b32_e32 v147, 7, v147
	s_delay_alu instid0(VALU_DEP_3) | instskip(NEXT) | instid1(VALU_DEP_3)
	v_and_b32_e32 v8, 0x8000, v8
	v_and_b32_e32 v149, 0xfc00, v149
	s_delay_alu instid0(VALU_DEP_1)
	v_or3_b32 v147, v8, v149, v147
.LBB307_385:                            ;   in Loop: Header=BB307_11 Depth=1
	s_wait_alu 0xfffe
	s_or_b32 exec_lo, exec_lo, s18
.LBB307_386:                            ;   in Loop: Header=BB307_11 Depth=1
	s_wait_alu 0xfffe
	s_or_b32 exec_lo, exec_lo, s17
.LBB307_387:                            ;   in Loop: Header=BB307_11 Depth=1
	s_wait_alu 0xfffe
	s_or_b32 exec_lo, exec_lo, s16
	v_dual_mov_b32 v150, 0 :: v_dual_mov_b32 v149, 0
	s_mov_b32 s16, exec_lo
	v_cmpx_lt_u64_e64 s[2:3], v[28:29]
	s_cbranch_execz .LBB307_395
; %bb.388:                              ;   in Loop: Header=BB307_11 Depth=1
	v_lshrrev_b32_e32 v8, 24, v29
	v_bfrev_b32_e32 v149, 1
	s_mov_b32 s17, exec_lo
	s_delay_alu instid0(VALU_DEP_2)
	v_cmpx_ne_u32_e32 0x80, v8
	s_cbranch_execz .LBB307_394
; %bb.389:                              ;   in Loop: Header=BB307_11 Depth=1
	v_and_b32_e32 v151, 0x7f, v8
	v_mov_b32_e32 v149, 0x7c010000
	s_mov_b32 s18, exec_lo
	s_delay_alu instid0(VALU_DEP_2)
	v_cmpx_ne_u32_e32 0x7f, v151
	s_cbranch_execz .LBB307_393
; %bb.390:                              ;   in Loop: Header=BB307_11 Depth=1
	v_and_b32_e32 v28, 7, v8
	v_lshrrev_b32_e32 v29, 3, v151
	s_mov_b32 s19, exec_lo
	v_cmpx_gt_u32_e32 8, v151
; %bb.391:                              ;   in Loop: Header=BB307_11 Depth=1
	s_delay_alu instid0(VALU_DEP_3) | instskip(NEXT) | instid1(VALU_DEP_1)
	v_clz_i32_u32_e32 v28, v28
	v_min_u32_e32 v149, 32, v28
	s_delay_alu instid0(VALU_DEP_1) | instskip(NEXT) | instid1(VALU_DEP_1)
	v_subrev_nc_u32_e32 v28, 28, v149
	v_lshlrev_b64_e32 v[28:29], v28, v[8:9]
	v_sub_nc_u32_e32 v29, 29, v149
	s_delay_alu instid0(VALU_DEP_2)
	v_and_b32_e32 v28, 7, v28
; %bb.392:                              ;   in Loop: Header=BB307_11 Depth=1
	s_wait_alu 0xfffe
	s_or_b32 exec_lo, exec_lo, s19
	v_lshlrev_b32_e32 v8, 8, v8
	v_lshl_add_u32 v29, v29, 10, 0x2000
	v_lshlrev_b32_e32 v28, 23, v28
	s_delay_alu instid0(VALU_DEP_2) | instskip(NEXT) | instid1(VALU_DEP_1)
	v_and_or_b32 v8, 0x8000, v8, v29
	v_lshl_or_b32 v149, v8, 16, v28
.LBB307_393:                            ;   in Loop: Header=BB307_11 Depth=1
	s_wait_alu 0xfffe
	s_or_b32 exec_lo, exec_lo, s18
.LBB307_394:                            ;   in Loop: Header=BB307_11 Depth=1
	s_wait_alu 0xfffe
	s_or_b32 exec_lo, exec_lo, s17
.LBB307_395:                            ;   in Loop: Header=BB307_11 Depth=1
	s_wait_alu 0xfffe
	s_or_b32 exec_lo, exec_lo, s16
	flat_load_b64 v[28:29], v[20:21] offset:1536
	s_mov_b32 s16, exec_lo
	s_wait_loadcnt_dscnt 0x0
	v_and_b32_e32 v8, 0xff, v28
	s_delay_alu instid0(VALU_DEP_1)
	v_cmpx_ne_u16_e32 0, v8
	s_cbranch_execz .LBB307_403
; %bb.396:                              ;   in Loop: Header=BB307_11 Depth=1
	v_mov_b32_e32 v150, 0x8000
	s_mov_b32 s17, exec_lo
	v_cmpx_ne_u16_e32 0x80, v8
	s_cbranch_execz .LBB307_402
; %bb.397:                              ;   in Loop: Header=BB307_11 Depth=1
	v_and_b32_e32 v151, 0x7f, v28
	v_mov_b32_e32 v150, 0x7c01
	s_mov_b32 s18, exec_lo
	s_delay_alu instid0(VALU_DEP_2)
	v_cmpx_ne_u32_e32 0x7f, v151
	s_cbranch_execz .LBB307_401
; %bb.398:                              ;   in Loop: Header=BB307_11 Depth=1
	v_and_b32_e32 v8, 7, v28
	v_lshrrev_b32_e32 v150, 3, v151
	s_mov_b32 s19, exec_lo
	v_cmpx_gt_u32_e32 8, v151
; %bb.399:                              ;   in Loop: Header=BB307_11 Depth=1
	s_delay_alu instid0(VALU_DEP_3) | instskip(NEXT) | instid1(VALU_DEP_1)
	v_clz_i32_u32_e32 v8, v8
	v_min_u32_e32 v8, 32, v8
	s_delay_alu instid0(VALU_DEP_1) | instskip(NEXT) | instid1(VALU_DEP_1)
	v_subrev_nc_u32_e32 v150, 28, v8
	v_lshlrev_b64_e32 v[160:161], v150, v[28:29]
	v_sub_nc_u32_e32 v150, 29, v8
	s_delay_alu instid0(VALU_DEP_2)
	v_and_b32_e32 v8, 7, v160
; %bb.400:                              ;   in Loop: Header=BB307_11 Depth=1
	s_wait_alu 0xfffe
	s_or_b32 exec_lo, exec_lo, s19
	v_lshlrev_b32_e32 v151, 8, v28
	v_lshl_add_u32 v150, v150, 10, 0x2000
	v_lshlrev_b32_e32 v8, 7, v8
	s_delay_alu instid0(VALU_DEP_3) | instskip(NEXT) | instid1(VALU_DEP_3)
	v_and_b32_e32 v151, 0x8000, v151
	v_and_b32_e32 v150, 0xfc00, v150
	s_delay_alu instid0(VALU_DEP_1)
	v_or3_b32 v150, v151, v150, v8
.LBB307_401:                            ;   in Loop: Header=BB307_11 Depth=1
	s_wait_alu 0xfffe
	s_or_b32 exec_lo, exec_lo, s18
.LBB307_402:                            ;   in Loop: Header=BB307_11 Depth=1
	s_wait_alu 0xfffe
	s_or_b32 exec_lo, exec_lo, s17
.LBB307_403:                            ;   in Loop: Header=BB307_11 Depth=1
	s_wait_alu 0xfffe
	s_or_b32 exec_lo, exec_lo, s16
	v_lshrrev_b16 v8, 8, v28
	v_dual_mov_b32 v160, 0 :: v_dual_mov_b32 v151, 0
	s_mov_b32 s16, exec_lo
	s_delay_alu instid0(VALU_DEP_2)
	v_cmpx_ne_u16_e32 0, v8
	s_cbranch_execz .LBB307_411
; %bb.404:                              ;   in Loop: Header=BB307_11 Depth=1
	v_bfrev_b32_e32 v151, 1
	s_mov_b32 s17, exec_lo
	v_cmpx_ne_u16_e32 0x80, v8
	s_cbranch_execz .LBB307_410
; %bb.405:                              ;   in Loop: Header=BB307_11 Depth=1
	v_and_b32_e32 v161, 0xffff, v8
	v_mov_b32_e32 v151, 0x7c010000
	s_mov_b32 s18, exec_lo
	s_delay_alu instid0(VALU_DEP_2) | instskip(NEXT) | instid1(VALU_DEP_1)
	v_and_b32_e32 v163, 0x7f, v161
	v_cmpx_ne_u32_e32 0x7f, v163
	s_cbranch_execz .LBB307_409
; %bb.406:                              ;   in Loop: Header=BB307_11 Depth=1
	v_and_b32_e32 v151, 7, v161
	v_lshrrev_b32_e32 v162, 3, v163
	s_mov_b32 s19, exec_lo
	v_cmpx_gt_u32_e32 8, v163
; %bb.407:                              ;   in Loop: Header=BB307_11 Depth=1
	s_delay_alu instid0(VALU_DEP_3) | instskip(NEXT) | instid1(VALU_DEP_1)
	v_clz_i32_u32_e32 v151, v151
	v_min_u32_e32 v151, 32, v151
	s_delay_alu instid0(VALU_DEP_1) | instskip(NEXT) | instid1(VALU_DEP_1)
	v_subrev_nc_u32_e32 v162, 28, v151
	v_lshlrev_b64_e32 v[163:164], v162, v[8:9]
	v_sub_nc_u32_e32 v162, 29, v151
	s_delay_alu instid0(VALU_DEP_2)
	v_and_b32_e32 v151, 7, v163
; %bb.408:                              ;   in Loop: Header=BB307_11 Depth=1
	s_wait_alu 0xfffe
	s_or_b32 exec_lo, exec_lo, s19
	v_lshlrev_b32_e32 v8, 8, v161
	v_lshl_add_u32 v161, v162, 10, 0x2000
	v_lshlrev_b32_e32 v151, 23, v151
	s_delay_alu instid0(VALU_DEP_2) | instskip(NEXT) | instid1(VALU_DEP_1)
	v_and_or_b32 v8, 0x8000, v8, v161
	v_lshl_or_b32 v151, v8, 16, v151
.LBB307_409:                            ;   in Loop: Header=BB307_11 Depth=1
	s_wait_alu 0xfffe
	s_or_b32 exec_lo, exec_lo, s18
.LBB307_410:                            ;   in Loop: Header=BB307_11 Depth=1
	s_wait_alu 0xfffe
	s_or_b32 exec_lo, exec_lo, s17
.LBB307_411:                            ;   in Loop: Header=BB307_11 Depth=1
	s_wait_alu 0xfffe
	s_or_b32 exec_lo, exec_lo, s16
	v_lshrrev_b32_e32 v8, 16, v28
	s_mov_b32 s16, exec_lo
	s_delay_alu instid0(VALU_DEP_1) | instskip(NEXT) | instid1(VALU_DEP_1)
	v_and_b32_e32 v161, 0xff, v8
	v_cmpx_ne_u16_e64 0, v161
	s_cbranch_execz .LBB307_419
; %bb.412:                              ;   in Loop: Header=BB307_11 Depth=1
	v_mov_b32_e32 v160, 0x8000
	s_mov_b32 s17, exec_lo
	v_cmpx_ne_u16_e64 0x80, v161
	s_cbranch_execz .LBB307_418
; %bb.413:                              ;   in Loop: Header=BB307_11 Depth=1
	v_bfe_u32 v162, v28, 16, 7
	v_mov_b32_e32 v160, 0x7c01
	s_mov_b32 s18, exec_lo
	s_delay_alu instid0(VALU_DEP_2)
	v_cmpx_ne_u32_e32 0x7f, v162
	s_cbranch_execz .LBB307_417
; %bb.414:                              ;   in Loop: Header=BB307_11 Depth=1
	v_and_b32_e32 v160, 7, v8
	v_lshrrev_b32_e32 v161, 3, v162
	s_mov_b32 s19, exec_lo
	v_cmpx_gt_u32_e32 8, v162
; %bb.415:                              ;   in Loop: Header=BB307_11 Depth=1
	s_delay_alu instid0(VALU_DEP_3) | instskip(NEXT) | instid1(VALU_DEP_1)
	v_clz_i32_u32_e32 v160, v160
	v_min_u32_e32 v162, 32, v160
	s_delay_alu instid0(VALU_DEP_1) | instskip(NEXT) | instid1(VALU_DEP_1)
	v_subrev_nc_u32_e32 v160, 28, v162
	v_lshlrev_b64_e32 v[160:161], v160, v[8:9]
	v_sub_nc_u32_e32 v161, 29, v162
	s_delay_alu instid0(VALU_DEP_2)
	v_and_b32_e32 v160, 7, v160
; %bb.416:                              ;   in Loop: Header=BB307_11 Depth=1
	s_wait_alu 0xfffe
	s_or_b32 exec_lo, exec_lo, s19
	v_lshlrev_b32_e32 v8, 8, v8
	v_lshl_add_u32 v161, v161, 10, 0x2000
	v_lshlrev_b32_e32 v160, 7, v160
	s_delay_alu instid0(VALU_DEP_3) | instskip(NEXT) | instid1(VALU_DEP_3)
	v_and_b32_e32 v8, 0x8000, v8
	v_and_b32_e32 v161, 0xfc00, v161
	s_delay_alu instid0(VALU_DEP_1)
	v_or3_b32 v160, v8, v161, v160
.LBB307_417:                            ;   in Loop: Header=BB307_11 Depth=1
	s_wait_alu 0xfffe
	s_or_b32 exec_lo, exec_lo, s18
.LBB307_418:                            ;   in Loop: Header=BB307_11 Depth=1
	s_wait_alu 0xfffe
	s_or_b32 exec_lo, exec_lo, s17
.LBB307_419:                            ;   in Loop: Header=BB307_11 Depth=1
	s_wait_alu 0xfffe
	s_or_b32 exec_lo, exec_lo, s16
	v_dual_mov_b32 v161, 0 :: v_dual_mov_b32 v162, 0
	s_mov_b32 s16, exec_lo
	v_cmpx_lt_u32_e32 0xffffff, v28
	s_cbranch_execz .LBB307_427
; %bb.420:                              ;   in Loop: Header=BB307_11 Depth=1
	v_lshrrev_b32_e32 v8, 24, v28
	v_bfrev_b32_e32 v162, 1
	s_mov_b32 s17, exec_lo
	s_delay_alu instid0(VALU_DEP_2)
	v_cmpx_ne_u32_e32 0x80, v8
	s_cbranch_execz .LBB307_426
; %bb.421:                              ;   in Loop: Header=BB307_11 Depth=1
	v_and_b32_e32 v164, 0x7f, v8
	v_mov_b32_e32 v162, 0x7c010000
	s_mov_b32 s18, exec_lo
	s_delay_alu instid0(VALU_DEP_2)
	v_cmpx_ne_u32_e32 0x7f, v164
	s_cbranch_execz .LBB307_425
; %bb.422:                              ;   in Loop: Header=BB307_11 Depth=1
	v_and_b32_e32 v162, 7, v8
	v_lshrrev_b32_e32 v163, 3, v164
	s_mov_b32 s19, exec_lo
	v_cmpx_gt_u32_e32 8, v164
; %bb.423:                              ;   in Loop: Header=BB307_11 Depth=1
	s_delay_alu instid0(VALU_DEP_3) | instskip(NEXT) | instid1(VALU_DEP_1)
	v_clz_i32_u32_e32 v162, v162
	v_min_u32_e32 v164, 32, v162
	s_delay_alu instid0(VALU_DEP_1) | instskip(NEXT) | instid1(VALU_DEP_1)
	v_subrev_nc_u32_e32 v162, 28, v164
	v_lshlrev_b64_e32 v[162:163], v162, v[8:9]
	v_sub_nc_u32_e32 v163, 29, v164
	s_delay_alu instid0(VALU_DEP_2)
	v_and_b32_e32 v162, 7, v162
; %bb.424:                              ;   in Loop: Header=BB307_11 Depth=1
	s_wait_alu 0xfffe
	s_or_b32 exec_lo, exec_lo, s19
	v_lshlrev_b32_e32 v8, 8, v8
	v_lshl_add_u32 v163, v163, 10, 0x2000
	v_lshlrev_b32_e32 v162, 23, v162
	s_delay_alu instid0(VALU_DEP_2) | instskip(NEXT) | instid1(VALU_DEP_1)
	v_and_or_b32 v8, 0x8000, v8, v163
	v_lshl_or_b32 v162, v8, 16, v162
.LBB307_425:                            ;   in Loop: Header=BB307_11 Depth=1
	s_wait_alu 0xfffe
	s_or_b32 exec_lo, exec_lo, s18
.LBB307_426:                            ;   in Loop: Header=BB307_11 Depth=1
	s_wait_alu 0xfffe
	s_or_b32 exec_lo, exec_lo, s17
.LBB307_427:                            ;   in Loop: Header=BB307_11 Depth=1
	s_wait_alu 0xfffe
	s_or_b32 exec_lo, exec_lo, s16
	v_dual_mov_b32 v8, v29 :: v_dual_and_b32 v163, 0xff, v29
	s_mov_b32 s16, exec_lo
	s_delay_alu instid0(VALU_DEP_1)
	v_cmpx_ne_u16_e64 0, v163
	s_cbranch_execz .LBB307_435
; %bb.428:                              ;   in Loop: Header=BB307_11 Depth=1
	v_mov_b32_e32 v161, 0x8000
	s_mov_b32 s17, exec_lo
	v_cmpx_ne_u16_e64 0x80, v163
	s_cbranch_execz .LBB307_434
; %bb.429:                              ;   in Loop: Header=BB307_11 Depth=1
	v_and_b32_e32 v164, 0x7f, v29
	v_mov_b32_e32 v161, 0x7c01
	s_mov_b32 s18, exec_lo
	s_delay_alu instid0(VALU_DEP_2)
	v_cmpx_ne_u32_e32 0x7f, v164
	s_cbranch_execz .LBB307_433
; %bb.430:                              ;   in Loop: Header=BB307_11 Depth=1
	v_and_b32_e32 v161, 7, v29
	v_lshrrev_b32_e32 v163, 3, v164
	s_mov_b32 s19, exec_lo
	v_cmpx_gt_u32_e32 8, v164
; %bb.431:                              ;   in Loop: Header=BB307_11 Depth=1
	s_delay_alu instid0(VALU_DEP_3) | instskip(NEXT) | instid1(VALU_DEP_1)
	v_clz_i32_u32_e32 v161, v161
	v_min_u32_e32 v161, 32, v161
	s_delay_alu instid0(VALU_DEP_1) | instskip(NEXT) | instid1(VALU_DEP_1)
	v_subrev_nc_u32_e32 v163, 28, v161
	v_lshlrev_b64_e32 v[164:165], v163, v[8:9]
	v_sub_nc_u32_e32 v163, 29, v161
	s_delay_alu instid0(VALU_DEP_2)
	v_and_b32_e32 v161, 7, v164
; %bb.432:                              ;   in Loop: Header=BB307_11 Depth=1
	s_wait_alu 0xfffe
	s_or_b32 exec_lo, exec_lo, s19
	v_lshlrev_b32_e32 v164, 8, v29
	v_lshl_add_u32 v163, v163, 10, 0x2000
	v_lshlrev_b32_e32 v161, 7, v161
	s_delay_alu instid0(VALU_DEP_3) | instskip(NEXT) | instid1(VALU_DEP_3)
	v_and_b32_e32 v164, 0x8000, v164
	v_and_b32_e32 v163, 0xfc00, v163
	s_delay_alu instid0(VALU_DEP_1)
	v_or3_b32 v161, v164, v163, v161
.LBB307_433:                            ;   in Loop: Header=BB307_11 Depth=1
	s_wait_alu 0xfffe
	s_or_b32 exec_lo, exec_lo, s18
.LBB307_434:                            ;   in Loop: Header=BB307_11 Depth=1
	s_wait_alu 0xfffe
	s_or_b32 exec_lo, exec_lo, s17
.LBB307_435:                            ;   in Loop: Header=BB307_11 Depth=1
	s_wait_alu 0xfffe
	s_or_b32 exec_lo, exec_lo, s16
	v_lshrrev_b16 v8, 8, v8
	v_dual_mov_b32 v163, 0 :: v_dual_mov_b32 v164, 0
	s_mov_b32 s16, exec_lo
	s_delay_alu instid0(VALU_DEP_2)
	v_cmpx_ne_u16_e32 0, v8
	s_cbranch_execz .LBB307_443
; %bb.436:                              ;   in Loop: Header=BB307_11 Depth=1
	v_bfrev_b32_e32 v164, 1
	s_mov_b32 s17, exec_lo
	v_cmpx_ne_u16_e32 0x80, v8
	s_cbranch_execz .LBB307_442
; %bb.437:                              ;   in Loop: Header=BB307_11 Depth=1
	v_and_b32_e32 v165, 0xffff, v8
	v_mov_b32_e32 v164, 0x7c010000
	s_mov_b32 s18, exec_lo
	s_delay_alu instid0(VALU_DEP_2) | instskip(NEXT) | instid1(VALU_DEP_1)
	v_and_b32_e32 v167, 0x7f, v165
	v_cmpx_ne_u32_e32 0x7f, v167
	s_cbranch_execz .LBB307_441
; %bb.438:                              ;   in Loop: Header=BB307_11 Depth=1
	v_and_b32_e32 v164, 7, v165
	v_lshrrev_b32_e32 v166, 3, v167
	s_mov_b32 s19, exec_lo
	v_cmpx_gt_u32_e32 8, v167
; %bb.439:                              ;   in Loop: Header=BB307_11 Depth=1
	s_delay_alu instid0(VALU_DEP_3) | instskip(NEXT) | instid1(VALU_DEP_1)
	v_clz_i32_u32_e32 v164, v164
	v_min_u32_e32 v164, 32, v164
	s_delay_alu instid0(VALU_DEP_1) | instskip(NEXT) | instid1(VALU_DEP_1)
	v_subrev_nc_u32_e32 v166, 28, v164
	v_lshlrev_b64_e32 v[176:177], v166, v[8:9]
	v_sub_nc_u32_e32 v166, 29, v164
	s_delay_alu instid0(VALU_DEP_2)
	v_and_b32_e32 v164, 7, v176
; %bb.440:                              ;   in Loop: Header=BB307_11 Depth=1
	s_wait_alu 0xfffe
	s_or_b32 exec_lo, exec_lo, s19
	v_lshlrev_b32_e32 v8, 8, v165
	v_lshl_add_u32 v165, v166, 10, 0x2000
	v_lshlrev_b32_e32 v164, 23, v164
	s_delay_alu instid0(VALU_DEP_2) | instskip(NEXT) | instid1(VALU_DEP_1)
	v_and_or_b32 v8, 0x8000, v8, v165
	v_lshl_or_b32 v164, v8, 16, v164
.LBB307_441:                            ;   in Loop: Header=BB307_11 Depth=1
	s_wait_alu 0xfffe
	s_or_b32 exec_lo, exec_lo, s18
.LBB307_442:                            ;   in Loop: Header=BB307_11 Depth=1
	s_wait_alu 0xfffe
	s_or_b32 exec_lo, exec_lo, s17
.LBB307_443:                            ;   in Loop: Header=BB307_11 Depth=1
	s_wait_alu 0xfffe
	s_or_b32 exec_lo, exec_lo, s16
	v_lshrrev_b32_e32 v8, 16, v29
	s_mov_b32 s16, exec_lo
	s_delay_alu instid0(VALU_DEP_1) | instskip(NEXT) | instid1(VALU_DEP_1)
	v_and_b32_e32 v165, 0xff, v8
	v_cmpx_ne_u16_e64 0, v165
	s_cbranch_execz .LBB307_451
; %bb.444:                              ;   in Loop: Header=BB307_11 Depth=1
	v_mov_b32_e32 v163, 0x8000
	s_mov_b32 s17, exec_lo
	v_cmpx_ne_u16_e64 0x80, v165
	s_cbranch_execz .LBB307_450
; %bb.445:                              ;   in Loop: Header=BB307_11 Depth=1
	v_bfe_u32 v166, v29, 16, 7
	v_mov_b32_e32 v163, 0x7c01
	s_mov_b32 s18, exec_lo
	s_delay_alu instid0(VALU_DEP_2)
	v_cmpx_ne_u32_e32 0x7f, v166
	s_cbranch_execz .LBB307_449
; %bb.446:                              ;   in Loop: Header=BB307_11 Depth=1
	v_and_b32_e32 v163, 7, v8
	v_lshrrev_b32_e32 v165, 3, v166
	s_mov_b32 s19, exec_lo
	v_cmpx_gt_u32_e32 8, v166
; %bb.447:                              ;   in Loop: Header=BB307_11 Depth=1
	s_delay_alu instid0(VALU_DEP_3) | instskip(NEXT) | instid1(VALU_DEP_1)
	v_clz_i32_u32_e32 v163, v163
	v_min_u32_e32 v163, 32, v163
	s_delay_alu instid0(VALU_DEP_1) | instskip(NEXT) | instid1(VALU_DEP_1)
	v_subrev_nc_u32_e32 v165, 28, v163
	v_lshlrev_b64_e32 v[166:167], v165, v[8:9]
	v_sub_nc_u32_e32 v165, 29, v163
	s_delay_alu instid0(VALU_DEP_2)
	v_and_b32_e32 v163, 7, v166
; %bb.448:                              ;   in Loop: Header=BB307_11 Depth=1
	s_wait_alu 0xfffe
	s_or_b32 exec_lo, exec_lo, s19
	v_lshlrev_b32_e32 v8, 8, v8
	v_lshl_add_u32 v165, v165, 10, 0x2000
	v_lshlrev_b32_e32 v163, 7, v163
	s_delay_alu instid0(VALU_DEP_3) | instskip(NEXT) | instid1(VALU_DEP_3)
	v_and_b32_e32 v8, 0x8000, v8
	v_and_b32_e32 v165, 0xfc00, v165
	s_delay_alu instid0(VALU_DEP_1)
	v_or3_b32 v163, v8, v165, v163
.LBB307_449:                            ;   in Loop: Header=BB307_11 Depth=1
	s_wait_alu 0xfffe
	s_or_b32 exec_lo, exec_lo, s18
.LBB307_450:                            ;   in Loop: Header=BB307_11 Depth=1
	s_wait_alu 0xfffe
	s_or_b32 exec_lo, exec_lo, s17
.LBB307_451:                            ;   in Loop: Header=BB307_11 Depth=1
	s_wait_alu 0xfffe
	s_or_b32 exec_lo, exec_lo, s16
	v_dual_mov_b32 v166, 0 :: v_dual_mov_b32 v165, 0
	s_mov_b32 s16, exec_lo
	v_cmpx_lt_u64_e64 s[2:3], v[28:29]
	s_cbranch_execz .LBB307_459
; %bb.452:                              ;   in Loop: Header=BB307_11 Depth=1
	v_lshrrev_b32_e32 v8, 24, v29
	v_bfrev_b32_e32 v165, 1
	s_mov_b32 s17, exec_lo
	s_delay_alu instid0(VALU_DEP_2)
	v_cmpx_ne_u32_e32 0x80, v8
	s_cbranch_execz .LBB307_458
; %bb.453:                              ;   in Loop: Header=BB307_11 Depth=1
	v_and_b32_e32 v167, 0x7f, v8
	v_mov_b32_e32 v165, 0x7c010000
	s_mov_b32 s18, exec_lo
	s_delay_alu instid0(VALU_DEP_2)
	v_cmpx_ne_u32_e32 0x7f, v167
	s_cbranch_execz .LBB307_457
; %bb.454:                              ;   in Loop: Header=BB307_11 Depth=1
	v_and_b32_e32 v28, 7, v8
	v_lshrrev_b32_e32 v29, 3, v167
	s_mov_b32 s19, exec_lo
	v_cmpx_gt_u32_e32 8, v167
; %bb.455:                              ;   in Loop: Header=BB307_11 Depth=1
	s_delay_alu instid0(VALU_DEP_3) | instskip(NEXT) | instid1(VALU_DEP_1)
	v_clz_i32_u32_e32 v28, v28
	v_min_u32_e32 v165, 32, v28
	s_delay_alu instid0(VALU_DEP_1) | instskip(NEXT) | instid1(VALU_DEP_1)
	v_subrev_nc_u32_e32 v28, 28, v165
	v_lshlrev_b64_e32 v[28:29], v28, v[8:9]
	v_sub_nc_u32_e32 v29, 29, v165
	s_delay_alu instid0(VALU_DEP_2)
	v_and_b32_e32 v28, 7, v28
; %bb.456:                              ;   in Loop: Header=BB307_11 Depth=1
	s_wait_alu 0xfffe
	s_or_b32 exec_lo, exec_lo, s19
	v_lshlrev_b32_e32 v8, 8, v8
	v_lshl_add_u32 v29, v29, 10, 0x2000
	v_lshlrev_b32_e32 v28, 23, v28
	s_delay_alu instid0(VALU_DEP_2) | instskip(NEXT) | instid1(VALU_DEP_1)
	v_and_or_b32 v8, 0x8000, v8, v29
	v_lshl_or_b32 v165, v8, 16, v28
.LBB307_457:                            ;   in Loop: Header=BB307_11 Depth=1
	s_wait_alu 0xfffe
	s_or_b32 exec_lo, exec_lo, s18
.LBB307_458:                            ;   in Loop: Header=BB307_11 Depth=1
	s_wait_alu 0xfffe
	s_or_b32 exec_lo, exec_lo, s17
.LBB307_459:                            ;   in Loop: Header=BB307_11 Depth=1
	s_wait_alu 0xfffe
	s_or_b32 exec_lo, exec_lo, s16
	flat_load_b64 v[28:29], v[20:21] offset:1544
	s_mov_b32 s16, exec_lo
	s_wait_loadcnt_dscnt 0x0
	v_and_b32_e32 v8, 0xff, v28
	s_delay_alu instid0(VALU_DEP_1)
	v_cmpx_ne_u16_e32 0, v8
	s_cbranch_execz .LBB307_467
; %bb.460:                              ;   in Loop: Header=BB307_11 Depth=1
	v_mov_b32_e32 v166, 0x8000
	s_mov_b32 s17, exec_lo
	v_cmpx_ne_u16_e32 0x80, v8
	s_cbranch_execz .LBB307_466
; %bb.461:                              ;   in Loop: Header=BB307_11 Depth=1
	v_and_b32_e32 v167, 0x7f, v28
	v_mov_b32_e32 v166, 0x7c01
	s_mov_b32 s18, exec_lo
	s_delay_alu instid0(VALU_DEP_2)
	v_cmpx_ne_u32_e32 0x7f, v167
	s_cbranch_execz .LBB307_465
; %bb.462:                              ;   in Loop: Header=BB307_11 Depth=1
	v_and_b32_e32 v8, 7, v28
	v_lshrrev_b32_e32 v166, 3, v167
	s_mov_b32 s19, exec_lo
	v_cmpx_gt_u32_e32 8, v167
; %bb.463:                              ;   in Loop: Header=BB307_11 Depth=1
	s_delay_alu instid0(VALU_DEP_3) | instskip(NEXT) | instid1(VALU_DEP_1)
	v_clz_i32_u32_e32 v8, v8
	v_min_u32_e32 v8, 32, v8
	s_delay_alu instid0(VALU_DEP_1) | instskip(NEXT) | instid1(VALU_DEP_1)
	v_subrev_nc_u32_e32 v166, 28, v8
	v_lshlrev_b64_e32 v[176:177], v166, v[28:29]
	v_sub_nc_u32_e32 v166, 29, v8
	s_delay_alu instid0(VALU_DEP_2)
	v_and_b32_e32 v8, 7, v176
; %bb.464:                              ;   in Loop: Header=BB307_11 Depth=1
	s_wait_alu 0xfffe
	s_or_b32 exec_lo, exec_lo, s19
	v_lshlrev_b32_e32 v167, 8, v28
	v_lshl_add_u32 v166, v166, 10, 0x2000
	v_lshlrev_b32_e32 v8, 7, v8
	s_delay_alu instid0(VALU_DEP_3) | instskip(NEXT) | instid1(VALU_DEP_3)
	v_and_b32_e32 v167, 0x8000, v167
	v_and_b32_e32 v166, 0xfc00, v166
	s_delay_alu instid0(VALU_DEP_1)
	v_or3_b32 v166, v167, v166, v8
.LBB307_465:                            ;   in Loop: Header=BB307_11 Depth=1
	s_wait_alu 0xfffe
	s_or_b32 exec_lo, exec_lo, s18
.LBB307_466:                            ;   in Loop: Header=BB307_11 Depth=1
	s_wait_alu 0xfffe
	s_or_b32 exec_lo, exec_lo, s17
.LBB307_467:                            ;   in Loop: Header=BB307_11 Depth=1
	s_wait_alu 0xfffe
	s_or_b32 exec_lo, exec_lo, s16
	v_lshrrev_b16 v8, 8, v28
	v_dual_mov_b32 v176, 0 :: v_dual_mov_b32 v167, 0
	s_mov_b32 s16, exec_lo
	s_delay_alu instid0(VALU_DEP_2)
	v_cmpx_ne_u16_e32 0, v8
	s_cbranch_execz .LBB307_475
; %bb.468:                              ;   in Loop: Header=BB307_11 Depth=1
	v_bfrev_b32_e32 v167, 1
	s_mov_b32 s17, exec_lo
	v_cmpx_ne_u16_e32 0x80, v8
	s_cbranch_execz .LBB307_474
; %bb.469:                              ;   in Loop: Header=BB307_11 Depth=1
	v_and_b32_e32 v177, 0xffff, v8
	v_mov_b32_e32 v167, 0x7c010000
	s_mov_b32 s18, exec_lo
	s_delay_alu instid0(VALU_DEP_2) | instskip(NEXT) | instid1(VALU_DEP_1)
	v_and_b32_e32 v179, 0x7f, v177
	v_cmpx_ne_u32_e32 0x7f, v179
	s_cbranch_execz .LBB307_473
; %bb.470:                              ;   in Loop: Header=BB307_11 Depth=1
	v_and_b32_e32 v167, 7, v177
	v_lshrrev_b32_e32 v178, 3, v179
	s_mov_b32 s19, exec_lo
	v_cmpx_gt_u32_e32 8, v179
; %bb.471:                              ;   in Loop: Header=BB307_11 Depth=1
	s_delay_alu instid0(VALU_DEP_3) | instskip(NEXT) | instid1(VALU_DEP_1)
	v_clz_i32_u32_e32 v167, v167
	v_min_u32_e32 v167, 32, v167
	s_delay_alu instid0(VALU_DEP_1) | instskip(NEXT) | instid1(VALU_DEP_1)
	v_subrev_nc_u32_e32 v178, 28, v167
	v_lshlrev_b64_e32 v[179:180], v178, v[8:9]
	v_sub_nc_u32_e32 v178, 29, v167
	s_delay_alu instid0(VALU_DEP_2)
	v_and_b32_e32 v167, 7, v179
; %bb.472:                              ;   in Loop: Header=BB307_11 Depth=1
	s_wait_alu 0xfffe
	s_or_b32 exec_lo, exec_lo, s19
	v_lshlrev_b32_e32 v8, 8, v177
	v_lshl_add_u32 v177, v178, 10, 0x2000
	v_lshlrev_b32_e32 v167, 23, v167
	s_delay_alu instid0(VALU_DEP_2) | instskip(NEXT) | instid1(VALU_DEP_1)
	v_and_or_b32 v8, 0x8000, v8, v177
	v_lshl_or_b32 v167, v8, 16, v167
.LBB307_473:                            ;   in Loop: Header=BB307_11 Depth=1
	s_wait_alu 0xfffe
	s_or_b32 exec_lo, exec_lo, s18
.LBB307_474:                            ;   in Loop: Header=BB307_11 Depth=1
	s_wait_alu 0xfffe
	s_or_b32 exec_lo, exec_lo, s17
.LBB307_475:                            ;   in Loop: Header=BB307_11 Depth=1
	s_wait_alu 0xfffe
	s_or_b32 exec_lo, exec_lo, s16
	v_lshrrev_b32_e32 v8, 16, v28
	s_mov_b32 s16, exec_lo
	s_delay_alu instid0(VALU_DEP_1) | instskip(NEXT) | instid1(VALU_DEP_1)
	v_and_b32_e32 v177, 0xff, v8
	v_cmpx_ne_u16_e64 0, v177
	s_cbranch_execz .LBB307_483
; %bb.476:                              ;   in Loop: Header=BB307_11 Depth=1
	v_mov_b32_e32 v176, 0x8000
	s_mov_b32 s17, exec_lo
	v_cmpx_ne_u16_e64 0x80, v177
	s_cbranch_execz .LBB307_482
; %bb.477:                              ;   in Loop: Header=BB307_11 Depth=1
	v_bfe_u32 v178, v28, 16, 7
	v_mov_b32_e32 v176, 0x7c01
	s_mov_b32 s18, exec_lo
	s_delay_alu instid0(VALU_DEP_2)
	v_cmpx_ne_u32_e32 0x7f, v178
	s_cbranch_execz .LBB307_481
; %bb.478:                              ;   in Loop: Header=BB307_11 Depth=1
	v_and_b32_e32 v176, 7, v8
	v_lshrrev_b32_e32 v177, 3, v178
	s_mov_b32 s19, exec_lo
	v_cmpx_gt_u32_e32 8, v178
; %bb.479:                              ;   in Loop: Header=BB307_11 Depth=1
	s_delay_alu instid0(VALU_DEP_3) | instskip(NEXT) | instid1(VALU_DEP_1)
	v_clz_i32_u32_e32 v176, v176
	v_min_u32_e32 v178, 32, v176
	s_delay_alu instid0(VALU_DEP_1) | instskip(NEXT) | instid1(VALU_DEP_1)
	v_subrev_nc_u32_e32 v176, 28, v178
	v_lshlrev_b64_e32 v[176:177], v176, v[8:9]
	v_sub_nc_u32_e32 v177, 29, v178
	s_delay_alu instid0(VALU_DEP_2)
	v_and_b32_e32 v176, 7, v176
; %bb.480:                              ;   in Loop: Header=BB307_11 Depth=1
	s_wait_alu 0xfffe
	s_or_b32 exec_lo, exec_lo, s19
	v_lshlrev_b32_e32 v8, 8, v8
	v_lshl_add_u32 v177, v177, 10, 0x2000
	v_lshlrev_b32_e32 v176, 7, v176
	s_delay_alu instid0(VALU_DEP_3) | instskip(NEXT) | instid1(VALU_DEP_3)
	v_and_b32_e32 v8, 0x8000, v8
	v_and_b32_e32 v177, 0xfc00, v177
	s_delay_alu instid0(VALU_DEP_1)
	v_or3_b32 v176, v8, v177, v176
.LBB307_481:                            ;   in Loop: Header=BB307_11 Depth=1
	s_wait_alu 0xfffe
	s_or_b32 exec_lo, exec_lo, s18
.LBB307_482:                            ;   in Loop: Header=BB307_11 Depth=1
	s_wait_alu 0xfffe
	s_or_b32 exec_lo, exec_lo, s17
.LBB307_483:                            ;   in Loop: Header=BB307_11 Depth=1
	s_wait_alu 0xfffe
	s_or_b32 exec_lo, exec_lo, s16
	v_dual_mov_b32 v177, 0 :: v_dual_mov_b32 v178, 0
	s_mov_b32 s16, exec_lo
	v_cmpx_lt_u32_e32 0xffffff, v28
	s_cbranch_execz .LBB307_491
; %bb.484:                              ;   in Loop: Header=BB307_11 Depth=1
	v_lshrrev_b32_e32 v8, 24, v28
	v_bfrev_b32_e32 v178, 1
	s_mov_b32 s17, exec_lo
	s_delay_alu instid0(VALU_DEP_2)
	v_cmpx_ne_u32_e32 0x80, v8
	s_cbranch_execz .LBB307_490
; %bb.485:                              ;   in Loop: Header=BB307_11 Depth=1
	v_and_b32_e32 v180, 0x7f, v8
	v_mov_b32_e32 v178, 0x7c010000
	s_mov_b32 s18, exec_lo
	s_delay_alu instid0(VALU_DEP_2)
	v_cmpx_ne_u32_e32 0x7f, v180
	s_cbranch_execz .LBB307_489
; %bb.486:                              ;   in Loop: Header=BB307_11 Depth=1
	v_and_b32_e32 v178, 7, v8
	v_lshrrev_b32_e32 v179, 3, v180
	s_mov_b32 s19, exec_lo
	v_cmpx_gt_u32_e32 8, v180
; %bb.487:                              ;   in Loop: Header=BB307_11 Depth=1
	s_delay_alu instid0(VALU_DEP_3) | instskip(NEXT) | instid1(VALU_DEP_1)
	v_clz_i32_u32_e32 v178, v178
	v_min_u32_e32 v180, 32, v178
	s_delay_alu instid0(VALU_DEP_1) | instskip(NEXT) | instid1(VALU_DEP_1)
	v_subrev_nc_u32_e32 v178, 28, v180
	v_lshlrev_b64_e32 v[178:179], v178, v[8:9]
	v_sub_nc_u32_e32 v179, 29, v180
	s_delay_alu instid0(VALU_DEP_2)
	v_and_b32_e32 v178, 7, v178
; %bb.488:                              ;   in Loop: Header=BB307_11 Depth=1
	s_wait_alu 0xfffe
	s_or_b32 exec_lo, exec_lo, s19
	v_lshlrev_b32_e32 v8, 8, v8
	v_lshl_add_u32 v179, v179, 10, 0x2000
	v_lshlrev_b32_e32 v178, 23, v178
	s_delay_alu instid0(VALU_DEP_2) | instskip(NEXT) | instid1(VALU_DEP_1)
	v_and_or_b32 v8, 0x8000, v8, v179
	v_lshl_or_b32 v178, v8, 16, v178
.LBB307_489:                            ;   in Loop: Header=BB307_11 Depth=1
	s_wait_alu 0xfffe
	s_or_b32 exec_lo, exec_lo, s18
.LBB307_490:                            ;   in Loop: Header=BB307_11 Depth=1
	s_wait_alu 0xfffe
	s_or_b32 exec_lo, exec_lo, s17
.LBB307_491:                            ;   in Loop: Header=BB307_11 Depth=1
	s_wait_alu 0xfffe
	s_or_b32 exec_lo, exec_lo, s16
	v_dual_mov_b32 v8, v29 :: v_dual_and_b32 v179, 0xff, v29
	s_mov_b32 s16, exec_lo
	s_delay_alu instid0(VALU_DEP_1)
	v_cmpx_ne_u16_e64 0, v179
	s_cbranch_execz .LBB307_499
; %bb.492:                              ;   in Loop: Header=BB307_11 Depth=1
	v_mov_b32_e32 v177, 0x8000
	s_mov_b32 s17, exec_lo
	v_cmpx_ne_u16_e64 0x80, v179
	s_cbranch_execz .LBB307_498
; %bb.493:                              ;   in Loop: Header=BB307_11 Depth=1
	v_and_b32_e32 v180, 0x7f, v29
	v_mov_b32_e32 v177, 0x7c01
	s_mov_b32 s18, exec_lo
	s_delay_alu instid0(VALU_DEP_2)
	v_cmpx_ne_u32_e32 0x7f, v180
	s_cbranch_execz .LBB307_497
; %bb.494:                              ;   in Loop: Header=BB307_11 Depth=1
	v_and_b32_e32 v177, 7, v29
	v_lshrrev_b32_e32 v179, 3, v180
	s_mov_b32 s19, exec_lo
	v_cmpx_gt_u32_e32 8, v180
; %bb.495:                              ;   in Loop: Header=BB307_11 Depth=1
	s_delay_alu instid0(VALU_DEP_3) | instskip(NEXT) | instid1(VALU_DEP_1)
	v_clz_i32_u32_e32 v177, v177
	v_min_u32_e32 v177, 32, v177
	s_delay_alu instid0(VALU_DEP_1) | instskip(NEXT) | instid1(VALU_DEP_1)
	v_subrev_nc_u32_e32 v179, 28, v177
	v_lshlrev_b64_e32 v[180:181], v179, v[8:9]
	v_sub_nc_u32_e32 v179, 29, v177
	s_delay_alu instid0(VALU_DEP_2)
	v_and_b32_e32 v177, 7, v180
; %bb.496:                              ;   in Loop: Header=BB307_11 Depth=1
	s_wait_alu 0xfffe
	s_or_b32 exec_lo, exec_lo, s19
	v_lshlrev_b32_e32 v180, 8, v29
	v_lshl_add_u32 v179, v179, 10, 0x2000
	v_lshlrev_b32_e32 v177, 7, v177
	s_delay_alu instid0(VALU_DEP_3) | instskip(NEXT) | instid1(VALU_DEP_3)
	v_and_b32_e32 v180, 0x8000, v180
	v_and_b32_e32 v179, 0xfc00, v179
	s_delay_alu instid0(VALU_DEP_1)
	v_or3_b32 v177, v180, v179, v177
.LBB307_497:                            ;   in Loop: Header=BB307_11 Depth=1
	s_wait_alu 0xfffe
	s_or_b32 exec_lo, exec_lo, s18
.LBB307_498:                            ;   in Loop: Header=BB307_11 Depth=1
	s_wait_alu 0xfffe
	s_or_b32 exec_lo, exec_lo, s17
.LBB307_499:                            ;   in Loop: Header=BB307_11 Depth=1
	s_wait_alu 0xfffe
	s_or_b32 exec_lo, exec_lo, s16
	v_lshrrev_b16 v8, 8, v8
	v_dual_mov_b32 v179, 0 :: v_dual_mov_b32 v180, 0
	s_mov_b32 s16, exec_lo
	s_delay_alu instid0(VALU_DEP_2)
	v_cmpx_ne_u16_e32 0, v8
	s_cbranch_execz .LBB307_507
; %bb.500:                              ;   in Loop: Header=BB307_11 Depth=1
	v_bfrev_b32_e32 v180, 1
	s_mov_b32 s17, exec_lo
	v_cmpx_ne_u16_e32 0x80, v8
	s_cbranch_execz .LBB307_506
; %bb.501:                              ;   in Loop: Header=BB307_11 Depth=1
	v_and_b32_e32 v181, 0xffff, v8
	v_mov_b32_e32 v180, 0x7c010000
	s_mov_b32 s18, exec_lo
	s_delay_alu instid0(VALU_DEP_2) | instskip(NEXT) | instid1(VALU_DEP_1)
	v_and_b32_e32 v183, 0x7f, v181
	v_cmpx_ne_u32_e32 0x7f, v183
	s_cbranch_execz .LBB307_505
; %bb.502:                              ;   in Loop: Header=BB307_11 Depth=1
	v_and_b32_e32 v180, 7, v181
	v_lshrrev_b32_e32 v182, 3, v183
	s_mov_b32 s19, exec_lo
	v_cmpx_gt_u32_e32 8, v183
; %bb.503:                              ;   in Loop: Header=BB307_11 Depth=1
	s_delay_alu instid0(VALU_DEP_3) | instskip(NEXT) | instid1(VALU_DEP_1)
	v_clz_i32_u32_e32 v180, v180
	v_min_u32_e32 v180, 32, v180
	s_delay_alu instid0(VALU_DEP_1) | instskip(NEXT) | instid1(VALU_DEP_1)
	v_subrev_nc_u32_e32 v182, 28, v180
	v_lshlrev_b64_e32 v[40:41], v182, v[8:9]
	v_sub_nc_u32_e32 v182, 29, v180
	s_delay_alu instid0(VALU_DEP_2)
	v_and_b32_e32 v180, 7, v40
; %bb.504:                              ;   in Loop: Header=BB307_11 Depth=1
	s_wait_alu 0xfffe
	s_or_b32 exec_lo, exec_lo, s19
	v_lshlrev_b32_e32 v8, 8, v181
	v_lshl_add_u32 v181, v182, 10, 0x2000
	v_lshlrev_b32_e32 v180, 23, v180
	s_delay_alu instid0(VALU_DEP_2) | instskip(NEXT) | instid1(VALU_DEP_1)
	v_and_or_b32 v8, 0x8000, v8, v181
	v_lshl_or_b32 v180, v8, 16, v180
.LBB307_505:                            ;   in Loop: Header=BB307_11 Depth=1
	s_wait_alu 0xfffe
	s_or_b32 exec_lo, exec_lo, s18
.LBB307_506:                            ;   in Loop: Header=BB307_11 Depth=1
	s_wait_alu 0xfffe
	s_or_b32 exec_lo, exec_lo, s17
.LBB307_507:                            ;   in Loop: Header=BB307_11 Depth=1
	s_wait_alu 0xfffe
	s_or_b32 exec_lo, exec_lo, s16
	v_lshrrev_b32_e32 v8, 16, v29
	s_mov_b32 s16, exec_lo
	s_delay_alu instid0(VALU_DEP_1) | instskip(NEXT) | instid1(VALU_DEP_1)
	v_and_b32_e32 v181, 0xff, v8
	v_cmpx_ne_u16_e64 0, v181
	s_cbranch_execz .LBB307_515
; %bb.508:                              ;   in Loop: Header=BB307_11 Depth=1
	v_mov_b32_e32 v179, 0x8000
	s_mov_b32 s17, exec_lo
	v_cmpx_ne_u16_e64 0x80, v181
	s_cbranch_execz .LBB307_514
; %bb.509:                              ;   in Loop: Header=BB307_11 Depth=1
	v_bfe_u32 v182, v29, 16, 7
	v_mov_b32_e32 v179, 0x7c01
	s_mov_b32 s18, exec_lo
	s_delay_alu instid0(VALU_DEP_2)
	v_cmpx_ne_u32_e32 0x7f, v182
	s_cbranch_execz .LBB307_513
; %bb.510:                              ;   in Loop: Header=BB307_11 Depth=1
	v_and_b32_e32 v179, 7, v8
	v_lshrrev_b32_e32 v181, 3, v182
	s_mov_b32 s19, exec_lo
	v_cmpx_gt_u32_e32 8, v182
; %bb.511:                              ;   in Loop: Header=BB307_11 Depth=1
	s_delay_alu instid0(VALU_DEP_3) | instskip(NEXT) | instid1(VALU_DEP_1)
	v_clz_i32_u32_e32 v179, v179
	v_min_u32_e32 v179, 32, v179
	s_delay_alu instid0(VALU_DEP_1) | instskip(NEXT) | instid1(VALU_DEP_1)
	v_subrev_nc_u32_e32 v181, 28, v179
	v_lshlrev_b64_e32 v[182:183], v181, v[8:9]
	v_sub_nc_u32_e32 v181, 29, v179
	s_delay_alu instid0(VALU_DEP_2)
	v_and_b32_e32 v179, 7, v182
; %bb.512:                              ;   in Loop: Header=BB307_11 Depth=1
	s_wait_alu 0xfffe
	s_or_b32 exec_lo, exec_lo, s19
	v_lshlrev_b32_e32 v8, 8, v8
	v_lshl_add_u32 v181, v181, 10, 0x2000
	v_lshlrev_b32_e32 v179, 7, v179
	s_delay_alu instid0(VALU_DEP_3) | instskip(NEXT) | instid1(VALU_DEP_3)
	v_and_b32_e32 v8, 0x8000, v8
	v_and_b32_e32 v181, 0xfc00, v181
	s_delay_alu instid0(VALU_DEP_1)
	v_or3_b32 v179, v8, v181, v179
.LBB307_513:                            ;   in Loop: Header=BB307_11 Depth=1
	s_wait_alu 0xfffe
	s_or_b32 exec_lo, exec_lo, s18
.LBB307_514:                            ;   in Loop: Header=BB307_11 Depth=1
	s_wait_alu 0xfffe
	s_or_b32 exec_lo, exec_lo, s17
.LBB307_515:                            ;   in Loop: Header=BB307_11 Depth=1
	s_wait_alu 0xfffe
	s_or_b32 exec_lo, exec_lo, s16
	v_dual_mov_b32 v182, 0 :: v_dual_mov_b32 v181, 0
	s_mov_b32 s16, exec_lo
	v_cmpx_lt_u64_e64 s[2:3], v[28:29]
	s_cbranch_execz .LBB307_523
; %bb.516:                              ;   in Loop: Header=BB307_11 Depth=1
	v_lshrrev_b32_e32 v8, 24, v29
	v_bfrev_b32_e32 v181, 1
	s_mov_b32 s17, exec_lo
	s_delay_alu instid0(VALU_DEP_2)
	v_cmpx_ne_u32_e32 0x80, v8
	s_cbranch_execz .LBB307_522
; %bb.517:                              ;   in Loop: Header=BB307_11 Depth=1
	v_and_b32_e32 v183, 0x7f, v8
	v_mov_b32_e32 v181, 0x7c010000
	s_mov_b32 s18, exec_lo
	s_delay_alu instid0(VALU_DEP_2)
	v_cmpx_ne_u32_e32 0x7f, v183
	s_cbranch_execz .LBB307_521
; %bb.518:                              ;   in Loop: Header=BB307_11 Depth=1
	v_and_b32_e32 v28, 7, v8
	v_lshrrev_b32_e32 v29, 3, v183
	s_mov_b32 s19, exec_lo
	v_cmpx_gt_u32_e32 8, v183
; %bb.519:                              ;   in Loop: Header=BB307_11 Depth=1
	s_delay_alu instid0(VALU_DEP_3) | instskip(NEXT) | instid1(VALU_DEP_1)
	v_clz_i32_u32_e32 v28, v28
	v_min_u32_e32 v181, 32, v28
	s_delay_alu instid0(VALU_DEP_1) | instskip(NEXT) | instid1(VALU_DEP_1)
	v_subrev_nc_u32_e32 v28, 28, v181
	v_lshlrev_b64_e32 v[28:29], v28, v[8:9]
	v_sub_nc_u32_e32 v29, 29, v181
	s_delay_alu instid0(VALU_DEP_2)
	v_and_b32_e32 v28, 7, v28
; %bb.520:                              ;   in Loop: Header=BB307_11 Depth=1
	s_wait_alu 0xfffe
	s_or_b32 exec_lo, exec_lo, s19
	v_lshlrev_b32_e32 v8, 8, v8
	v_lshl_add_u32 v29, v29, 10, 0x2000
	v_lshlrev_b32_e32 v28, 23, v28
	s_delay_alu instid0(VALU_DEP_2) | instskip(NEXT) | instid1(VALU_DEP_1)
	v_and_or_b32 v8, 0x8000, v8, v29
	v_lshl_or_b32 v181, v8, 16, v28
.LBB307_521:                            ;   in Loop: Header=BB307_11 Depth=1
	s_wait_alu 0xfffe
	s_or_b32 exec_lo, exec_lo, s18
.LBB307_522:                            ;   in Loop: Header=BB307_11 Depth=1
	s_wait_alu 0xfffe
	s_or_b32 exec_lo, exec_lo, s17
.LBB307_523:                            ;   in Loop: Header=BB307_11 Depth=1
	s_wait_alu 0xfffe
	s_or_b32 exec_lo, exec_lo, s16
	flat_load_b64 v[28:29], v[20:21] offset:2048
	s_mov_b32 s16, exec_lo
	s_wait_loadcnt_dscnt 0x0
	v_and_b32_e32 v8, 0xff, v28
	s_delay_alu instid0(VALU_DEP_1)
	v_cmpx_ne_u16_e32 0, v8
	s_cbranch_execz .LBB307_531
; %bb.524:                              ;   in Loop: Header=BB307_11 Depth=1
	v_mov_b32_e32 v182, 0x8000
	s_mov_b32 s17, exec_lo
	v_cmpx_ne_u16_e32 0x80, v8
	s_cbranch_execz .LBB307_530
; %bb.525:                              ;   in Loop: Header=BB307_11 Depth=1
	v_and_b32_e32 v183, 0x7f, v28
	v_mov_b32_e32 v182, 0x7c01
	s_mov_b32 s18, exec_lo
	s_delay_alu instid0(VALU_DEP_2)
	v_cmpx_ne_u32_e32 0x7f, v183
	s_cbranch_execz .LBB307_529
; %bb.526:                              ;   in Loop: Header=BB307_11 Depth=1
	v_and_b32_e32 v8, 7, v28
	v_lshrrev_b32_e32 v182, 3, v183
	s_mov_b32 s19, exec_lo
	v_cmpx_gt_u32_e32 8, v183
; %bb.527:                              ;   in Loop: Header=BB307_11 Depth=1
	s_delay_alu instid0(VALU_DEP_3) | instskip(NEXT) | instid1(VALU_DEP_1)
	v_clz_i32_u32_e32 v8, v8
	v_min_u32_e32 v8, 32, v8
	s_delay_alu instid0(VALU_DEP_1) | instskip(NEXT) | instid1(VALU_DEP_1)
	v_subrev_nc_u32_e32 v182, 28, v8
	v_lshlrev_b64_e32 v[40:41], v182, v[28:29]
	v_sub_nc_u32_e32 v182, 29, v8
	s_delay_alu instid0(VALU_DEP_2)
	v_and_b32_e32 v8, 7, v40
; %bb.528:                              ;   in Loop: Header=BB307_11 Depth=1
	s_wait_alu 0xfffe
	s_or_b32 exec_lo, exec_lo, s19
	v_lshlrev_b32_e32 v183, 8, v28
	v_lshl_add_u32 v182, v182, 10, 0x2000
	v_lshlrev_b32_e32 v8, 7, v8
	s_delay_alu instid0(VALU_DEP_3) | instskip(NEXT) | instid1(VALU_DEP_3)
	v_and_b32_e32 v183, 0x8000, v183
	v_and_b32_e32 v182, 0xfc00, v182
	s_delay_alu instid0(VALU_DEP_1)
	v_or3_b32 v182, v183, v182, v8
.LBB307_529:                            ;   in Loop: Header=BB307_11 Depth=1
	s_wait_alu 0xfffe
	s_or_b32 exec_lo, exec_lo, s18
.LBB307_530:                            ;   in Loop: Header=BB307_11 Depth=1
	s_wait_alu 0xfffe
	s_or_b32 exec_lo, exec_lo, s17
.LBB307_531:                            ;   in Loop: Header=BB307_11 Depth=1
	s_wait_alu 0xfffe
	s_or_b32 exec_lo, exec_lo, s16
	v_lshrrev_b16 v8, 8, v28
	v_dual_mov_b32 v40, 0 :: v_dual_mov_b32 v183, 0
	s_mov_b32 s16, exec_lo
	s_delay_alu instid0(VALU_DEP_2)
	v_cmpx_ne_u16_e32 0, v8
	s_cbranch_execz .LBB307_539
; %bb.532:                              ;   in Loop: Header=BB307_11 Depth=1
	v_bfrev_b32_e32 v183, 1
	s_mov_b32 s17, exec_lo
	v_cmpx_ne_u16_e32 0x80, v8
	s_cbranch_execz .LBB307_538
; %bb.533:                              ;   in Loop: Header=BB307_11 Depth=1
	v_and_b32_e32 v41, 0xffff, v8
	v_mov_b32_e32 v183, 0x7c010000
	s_mov_b32 s18, exec_lo
	s_delay_alu instid0(VALU_DEP_2) | instskip(NEXT) | instid1(VALU_DEP_1)
	v_and_b32_e32 v43, 0x7f, v41
	v_cmpx_ne_u32_e32 0x7f, v43
	s_cbranch_execz .LBB307_537
; %bb.534:                              ;   in Loop: Header=BB307_11 Depth=1
	v_and_b32_e32 v183, 7, v41
	v_lshrrev_b32_e32 v42, 3, v43
	s_mov_b32 s19, exec_lo
	v_cmpx_gt_u32_e32 8, v43
; %bb.535:                              ;   in Loop: Header=BB307_11 Depth=1
	s_delay_alu instid0(VALU_DEP_3) | instskip(NEXT) | instid1(VALU_DEP_1)
	v_clz_i32_u32_e32 v183, v183
	v_min_u32_e32 v183, 32, v183
	s_delay_alu instid0(VALU_DEP_1) | instskip(NEXT) | instid1(VALU_DEP_1)
	v_subrev_nc_u32_e32 v42, 28, v183
	v_lshlrev_b64_e32 v[43:44], v42, v[8:9]
	v_sub_nc_u32_e32 v42, 29, v183
	s_delay_alu instid0(VALU_DEP_2)
	v_and_b32_e32 v183, 7, v43
; %bb.536:                              ;   in Loop: Header=BB307_11 Depth=1
	s_wait_alu 0xfffe
	s_or_b32 exec_lo, exec_lo, s19
	v_lshlrev_b32_e32 v8, 8, v41
	v_lshl_add_u32 v41, v42, 10, 0x2000
	v_lshlrev_b32_e32 v183, 23, v183
	s_delay_alu instid0(VALU_DEP_2) | instskip(NEXT) | instid1(VALU_DEP_1)
	v_and_or_b32 v8, 0x8000, v8, v41
	v_lshl_or_b32 v183, v8, 16, v183
.LBB307_537:                            ;   in Loop: Header=BB307_11 Depth=1
	s_wait_alu 0xfffe
	s_or_b32 exec_lo, exec_lo, s18
.LBB307_538:                            ;   in Loop: Header=BB307_11 Depth=1
	s_wait_alu 0xfffe
	s_or_b32 exec_lo, exec_lo, s17
.LBB307_539:                            ;   in Loop: Header=BB307_11 Depth=1
	s_wait_alu 0xfffe
	s_or_b32 exec_lo, exec_lo, s16
	v_lshrrev_b32_e32 v8, 16, v28
	s_mov_b32 s16, exec_lo
	s_delay_alu instid0(VALU_DEP_1) | instskip(NEXT) | instid1(VALU_DEP_1)
	v_and_b32_e32 v41, 0xff, v8
	v_cmpx_ne_u16_e32 0, v41
	s_cbranch_execz .LBB307_547
; %bb.540:                              ;   in Loop: Header=BB307_11 Depth=1
	v_mov_b32_e32 v40, 0x8000
	s_mov_b32 s17, exec_lo
	v_cmpx_ne_u16_e32 0x80, v41
	s_cbranch_execz .LBB307_546
; %bb.541:                              ;   in Loop: Header=BB307_11 Depth=1
	v_bfe_u32 v42, v28, 16, 7
	v_mov_b32_e32 v40, 0x7c01
	s_mov_b32 s18, exec_lo
	s_delay_alu instid0(VALU_DEP_2)
	v_cmpx_ne_u32_e32 0x7f, v42
	s_cbranch_execz .LBB307_545
; %bb.542:                              ;   in Loop: Header=BB307_11 Depth=1
	v_and_b32_e32 v40, 7, v8
	v_lshrrev_b32_e32 v41, 3, v42
	s_mov_b32 s19, exec_lo
	v_cmpx_gt_u32_e32 8, v42
; %bb.543:                              ;   in Loop: Header=BB307_11 Depth=1
	s_delay_alu instid0(VALU_DEP_3) | instskip(NEXT) | instid1(VALU_DEP_1)
	v_clz_i32_u32_e32 v40, v40
	v_min_u32_e32 v42, 32, v40
	s_delay_alu instid0(VALU_DEP_1) | instskip(NEXT) | instid1(VALU_DEP_1)
	v_subrev_nc_u32_e32 v40, 28, v42
	v_lshlrev_b64_e32 v[40:41], v40, v[8:9]
	v_sub_nc_u32_e32 v41, 29, v42
	s_delay_alu instid0(VALU_DEP_2)
	v_and_b32_e32 v40, 7, v40
; %bb.544:                              ;   in Loop: Header=BB307_11 Depth=1
	s_wait_alu 0xfffe
	s_or_b32 exec_lo, exec_lo, s19
	v_lshlrev_b32_e32 v8, 8, v8
	v_lshl_add_u32 v41, v41, 10, 0x2000
	v_lshlrev_b32_e32 v40, 7, v40
	s_delay_alu instid0(VALU_DEP_3) | instskip(NEXT) | instid1(VALU_DEP_3)
	v_and_b32_e32 v8, 0x8000, v8
	v_and_b32_e32 v41, 0xfc00, v41
	s_delay_alu instid0(VALU_DEP_1)
	v_or3_b32 v40, v8, v41, v40
.LBB307_545:                            ;   in Loop: Header=BB307_11 Depth=1
	s_wait_alu 0xfffe
	s_or_b32 exec_lo, exec_lo, s18
.LBB307_546:                            ;   in Loop: Header=BB307_11 Depth=1
	s_wait_alu 0xfffe
	s_or_b32 exec_lo, exec_lo, s17
.LBB307_547:                            ;   in Loop: Header=BB307_11 Depth=1
	s_wait_alu 0xfffe
	s_or_b32 exec_lo, exec_lo, s16
	v_dual_mov_b32 v41, 0 :: v_dual_mov_b32 v42, 0
	s_mov_b32 s16, exec_lo
	v_cmpx_lt_u32_e32 0xffffff, v28
	s_cbranch_execz .LBB307_555
; %bb.548:                              ;   in Loop: Header=BB307_11 Depth=1
	v_lshrrev_b32_e32 v8, 24, v28
	v_bfrev_b32_e32 v42, 1
	s_mov_b32 s17, exec_lo
	s_delay_alu instid0(VALU_DEP_2)
	v_cmpx_ne_u32_e32 0x80, v8
	s_cbranch_execz .LBB307_554
; %bb.549:                              ;   in Loop: Header=BB307_11 Depth=1
	v_and_b32_e32 v44, 0x7f, v8
	v_mov_b32_e32 v42, 0x7c010000
	s_mov_b32 s18, exec_lo
	s_delay_alu instid0(VALU_DEP_2)
	v_cmpx_ne_u32_e32 0x7f, v44
	s_cbranch_execz .LBB307_553
; %bb.550:                              ;   in Loop: Header=BB307_11 Depth=1
	v_and_b32_e32 v42, 7, v8
	v_lshrrev_b32_e32 v43, 3, v44
	s_mov_b32 s19, exec_lo
	v_cmpx_gt_u32_e32 8, v44
; %bb.551:                              ;   in Loop: Header=BB307_11 Depth=1
	s_delay_alu instid0(VALU_DEP_3) | instskip(NEXT) | instid1(VALU_DEP_1)
	v_clz_i32_u32_e32 v42, v42
	v_min_u32_e32 v44, 32, v42
	s_delay_alu instid0(VALU_DEP_1) | instskip(NEXT) | instid1(VALU_DEP_1)
	v_subrev_nc_u32_e32 v42, 28, v44
	v_lshlrev_b64_e32 v[42:43], v42, v[8:9]
	v_sub_nc_u32_e32 v43, 29, v44
	s_delay_alu instid0(VALU_DEP_2)
	v_and_b32_e32 v42, 7, v42
; %bb.552:                              ;   in Loop: Header=BB307_11 Depth=1
	s_wait_alu 0xfffe
	s_or_b32 exec_lo, exec_lo, s19
	v_lshlrev_b32_e32 v8, 8, v8
	v_lshl_add_u32 v43, v43, 10, 0x2000
	v_lshlrev_b32_e32 v42, 23, v42
	s_delay_alu instid0(VALU_DEP_2) | instskip(NEXT) | instid1(VALU_DEP_1)
	v_and_or_b32 v8, 0x8000, v8, v43
	v_lshl_or_b32 v42, v8, 16, v42
.LBB307_553:                            ;   in Loop: Header=BB307_11 Depth=1
	s_wait_alu 0xfffe
	s_or_b32 exec_lo, exec_lo, s18
.LBB307_554:                            ;   in Loop: Header=BB307_11 Depth=1
	s_wait_alu 0xfffe
	s_or_b32 exec_lo, exec_lo, s17
.LBB307_555:                            ;   in Loop: Header=BB307_11 Depth=1
	s_wait_alu 0xfffe
	s_or_b32 exec_lo, exec_lo, s16
	v_dual_mov_b32 v8, v29 :: v_dual_and_b32 v43, 0xff, v29
	s_mov_b32 s16, exec_lo
	s_delay_alu instid0(VALU_DEP_1)
	v_cmpx_ne_u16_e32 0, v43
	s_cbranch_execz .LBB307_563
; %bb.556:                              ;   in Loop: Header=BB307_11 Depth=1
	v_mov_b32_e32 v41, 0x8000
	s_mov_b32 s17, exec_lo
	v_cmpx_ne_u16_e32 0x80, v43
	s_cbranch_execz .LBB307_562
; %bb.557:                              ;   in Loop: Header=BB307_11 Depth=1
	v_and_b32_e32 v44, 0x7f, v29
	v_mov_b32_e32 v41, 0x7c01
	s_mov_b32 s18, exec_lo
	s_delay_alu instid0(VALU_DEP_2)
	v_cmpx_ne_u32_e32 0x7f, v44
	s_cbranch_execz .LBB307_561
; %bb.558:                              ;   in Loop: Header=BB307_11 Depth=1
	v_and_b32_e32 v41, 7, v29
	v_lshrrev_b32_e32 v43, 3, v44
	s_mov_b32 s19, exec_lo
	v_cmpx_gt_u32_e32 8, v44
; %bb.559:                              ;   in Loop: Header=BB307_11 Depth=1
	s_delay_alu instid0(VALU_DEP_3) | instskip(NEXT) | instid1(VALU_DEP_1)
	v_clz_i32_u32_e32 v41, v41
	v_min_u32_e32 v41, 32, v41
	s_delay_alu instid0(VALU_DEP_1) | instskip(NEXT) | instid1(VALU_DEP_1)
	v_subrev_nc_u32_e32 v43, 28, v41
	v_lshlrev_b64_e32 v[44:45], v43, v[8:9]
	v_sub_nc_u32_e32 v43, 29, v41
	s_delay_alu instid0(VALU_DEP_2)
	v_and_b32_e32 v41, 7, v44
; %bb.560:                              ;   in Loop: Header=BB307_11 Depth=1
	s_wait_alu 0xfffe
	s_or_b32 exec_lo, exec_lo, s19
	v_lshlrev_b32_e32 v44, 8, v29
	v_lshl_add_u32 v43, v43, 10, 0x2000
	v_lshlrev_b32_e32 v41, 7, v41
	s_delay_alu instid0(VALU_DEP_3) | instskip(NEXT) | instid1(VALU_DEP_3)
	v_and_b32_e32 v44, 0x8000, v44
	v_and_b32_e32 v43, 0xfc00, v43
	s_delay_alu instid0(VALU_DEP_1)
	v_or3_b32 v41, v44, v43, v41
.LBB307_561:                            ;   in Loop: Header=BB307_11 Depth=1
	s_wait_alu 0xfffe
	s_or_b32 exec_lo, exec_lo, s18
.LBB307_562:                            ;   in Loop: Header=BB307_11 Depth=1
	s_wait_alu 0xfffe
	s_or_b32 exec_lo, exec_lo, s17
.LBB307_563:                            ;   in Loop: Header=BB307_11 Depth=1
	s_wait_alu 0xfffe
	s_or_b32 exec_lo, exec_lo, s16
	v_lshrrev_b16 v8, 8, v8
	v_dual_mov_b32 v43, 0 :: v_dual_mov_b32 v44, 0
	s_mov_b32 s16, exec_lo
	s_delay_alu instid0(VALU_DEP_2)
	v_cmpx_ne_u16_e32 0, v8
	s_cbranch_execz .LBB307_571
; %bb.564:                              ;   in Loop: Header=BB307_11 Depth=1
	v_bfrev_b32_e32 v44, 1
	s_mov_b32 s17, exec_lo
	v_cmpx_ne_u16_e32 0x80, v8
	s_cbranch_execz .LBB307_570
; %bb.565:                              ;   in Loop: Header=BB307_11 Depth=1
	v_and_b32_e32 v45, 0xffff, v8
	v_mov_b32_e32 v44, 0x7c010000
	s_mov_b32 s18, exec_lo
	s_delay_alu instid0(VALU_DEP_2) | instskip(NEXT) | instid1(VALU_DEP_1)
	v_and_b32_e32 v47, 0x7f, v45
	v_cmpx_ne_u32_e32 0x7f, v47
	s_cbranch_execz .LBB307_569
; %bb.566:                              ;   in Loop: Header=BB307_11 Depth=1
	v_and_b32_e32 v44, 7, v45
	v_lshrrev_b32_e32 v46, 3, v47
	s_mov_b32 s19, exec_lo
	v_cmpx_gt_u32_e32 8, v47
; %bb.567:                              ;   in Loop: Header=BB307_11 Depth=1
	s_delay_alu instid0(VALU_DEP_3) | instskip(NEXT) | instid1(VALU_DEP_1)
	v_clz_i32_u32_e32 v44, v44
	v_min_u32_e32 v44, 32, v44
	s_delay_alu instid0(VALU_DEP_1) | instskip(NEXT) | instid1(VALU_DEP_1)
	v_subrev_nc_u32_e32 v46, 28, v44
	v_lshlrev_b64_e32 v[56:57], v46, v[8:9]
	v_sub_nc_u32_e32 v46, 29, v44
	s_delay_alu instid0(VALU_DEP_2)
	v_and_b32_e32 v44, 7, v56
; %bb.568:                              ;   in Loop: Header=BB307_11 Depth=1
	s_wait_alu 0xfffe
	s_or_b32 exec_lo, exec_lo, s19
	v_lshlrev_b32_e32 v8, 8, v45
	v_lshl_add_u32 v45, v46, 10, 0x2000
	v_lshlrev_b32_e32 v44, 23, v44
	s_delay_alu instid0(VALU_DEP_2) | instskip(NEXT) | instid1(VALU_DEP_1)
	v_and_or_b32 v8, 0x8000, v8, v45
	v_lshl_or_b32 v44, v8, 16, v44
.LBB307_569:                            ;   in Loop: Header=BB307_11 Depth=1
	s_wait_alu 0xfffe
	s_or_b32 exec_lo, exec_lo, s18
.LBB307_570:                            ;   in Loop: Header=BB307_11 Depth=1
	s_wait_alu 0xfffe
	s_or_b32 exec_lo, exec_lo, s17
.LBB307_571:                            ;   in Loop: Header=BB307_11 Depth=1
	s_wait_alu 0xfffe
	s_or_b32 exec_lo, exec_lo, s16
	v_lshrrev_b32_e32 v8, 16, v29
	s_mov_b32 s16, exec_lo
	s_delay_alu instid0(VALU_DEP_1) | instskip(NEXT) | instid1(VALU_DEP_1)
	v_and_b32_e32 v45, 0xff, v8
	v_cmpx_ne_u16_e32 0, v45
	s_cbranch_execz .LBB307_579
; %bb.572:                              ;   in Loop: Header=BB307_11 Depth=1
	v_mov_b32_e32 v43, 0x8000
	s_mov_b32 s17, exec_lo
	v_cmpx_ne_u16_e32 0x80, v45
	s_cbranch_execz .LBB307_578
; %bb.573:                              ;   in Loop: Header=BB307_11 Depth=1
	v_bfe_u32 v46, v29, 16, 7
	v_mov_b32_e32 v43, 0x7c01
	s_mov_b32 s18, exec_lo
	s_delay_alu instid0(VALU_DEP_2)
	v_cmpx_ne_u32_e32 0x7f, v46
	s_cbranch_execz .LBB307_577
; %bb.574:                              ;   in Loop: Header=BB307_11 Depth=1
	v_and_b32_e32 v43, 7, v8
	v_lshrrev_b32_e32 v45, 3, v46
	s_mov_b32 s19, exec_lo
	v_cmpx_gt_u32_e32 8, v46
; %bb.575:                              ;   in Loop: Header=BB307_11 Depth=1
	s_delay_alu instid0(VALU_DEP_3) | instskip(NEXT) | instid1(VALU_DEP_1)
	v_clz_i32_u32_e32 v43, v43
	v_min_u32_e32 v43, 32, v43
	s_delay_alu instid0(VALU_DEP_1) | instskip(NEXT) | instid1(VALU_DEP_1)
	v_subrev_nc_u32_e32 v45, 28, v43
	v_lshlrev_b64_e32 v[46:47], v45, v[8:9]
	v_sub_nc_u32_e32 v45, 29, v43
	s_delay_alu instid0(VALU_DEP_2)
	v_and_b32_e32 v43, 7, v46
; %bb.576:                              ;   in Loop: Header=BB307_11 Depth=1
	s_wait_alu 0xfffe
	s_or_b32 exec_lo, exec_lo, s19
	v_lshlrev_b32_e32 v8, 8, v8
	v_lshl_add_u32 v45, v45, 10, 0x2000
	v_lshlrev_b32_e32 v43, 7, v43
	s_delay_alu instid0(VALU_DEP_3) | instskip(NEXT) | instid1(VALU_DEP_3)
	v_and_b32_e32 v8, 0x8000, v8
	v_and_b32_e32 v45, 0xfc00, v45
	s_delay_alu instid0(VALU_DEP_1)
	v_or3_b32 v43, v8, v45, v43
.LBB307_577:                            ;   in Loop: Header=BB307_11 Depth=1
	s_wait_alu 0xfffe
	s_or_b32 exec_lo, exec_lo, s18
.LBB307_578:                            ;   in Loop: Header=BB307_11 Depth=1
	s_wait_alu 0xfffe
	s_or_b32 exec_lo, exec_lo, s17
.LBB307_579:                            ;   in Loop: Header=BB307_11 Depth=1
	s_wait_alu 0xfffe
	s_or_b32 exec_lo, exec_lo, s16
	v_dual_mov_b32 v46, 0 :: v_dual_mov_b32 v45, 0
	s_mov_b32 s16, exec_lo
	v_cmpx_lt_u64_e64 s[2:3], v[28:29]
	s_cbranch_execz .LBB307_587
; %bb.580:                              ;   in Loop: Header=BB307_11 Depth=1
	v_lshrrev_b32_e32 v8, 24, v29
	v_bfrev_b32_e32 v45, 1
	s_mov_b32 s17, exec_lo
	s_delay_alu instid0(VALU_DEP_2)
	v_cmpx_ne_u32_e32 0x80, v8
	s_cbranch_execz .LBB307_586
; %bb.581:                              ;   in Loop: Header=BB307_11 Depth=1
	v_and_b32_e32 v47, 0x7f, v8
	v_mov_b32_e32 v45, 0x7c010000
	s_mov_b32 s18, exec_lo
	s_delay_alu instid0(VALU_DEP_2)
	v_cmpx_ne_u32_e32 0x7f, v47
	s_cbranch_execz .LBB307_585
; %bb.582:                              ;   in Loop: Header=BB307_11 Depth=1
	v_and_b32_e32 v28, 7, v8
	v_lshrrev_b32_e32 v29, 3, v47
	s_mov_b32 s19, exec_lo
	v_cmpx_gt_u32_e32 8, v47
; %bb.583:                              ;   in Loop: Header=BB307_11 Depth=1
	s_delay_alu instid0(VALU_DEP_3) | instskip(NEXT) | instid1(VALU_DEP_1)
	v_clz_i32_u32_e32 v28, v28
	v_min_u32_e32 v45, 32, v28
	s_delay_alu instid0(VALU_DEP_1) | instskip(NEXT) | instid1(VALU_DEP_1)
	v_subrev_nc_u32_e32 v28, 28, v45
	v_lshlrev_b64_e32 v[28:29], v28, v[8:9]
	v_sub_nc_u32_e32 v29, 29, v45
	s_delay_alu instid0(VALU_DEP_2)
	v_and_b32_e32 v28, 7, v28
; %bb.584:                              ;   in Loop: Header=BB307_11 Depth=1
	s_wait_alu 0xfffe
	s_or_b32 exec_lo, exec_lo, s19
	v_lshlrev_b32_e32 v8, 8, v8
	v_lshl_add_u32 v29, v29, 10, 0x2000
	v_lshlrev_b32_e32 v28, 23, v28
	s_delay_alu instid0(VALU_DEP_2) | instskip(NEXT) | instid1(VALU_DEP_1)
	v_and_or_b32 v8, 0x8000, v8, v29
	v_lshl_or_b32 v45, v8, 16, v28
.LBB307_585:                            ;   in Loop: Header=BB307_11 Depth=1
	s_wait_alu 0xfffe
	s_or_b32 exec_lo, exec_lo, s18
.LBB307_586:                            ;   in Loop: Header=BB307_11 Depth=1
	s_wait_alu 0xfffe
	s_or_b32 exec_lo, exec_lo, s17
.LBB307_587:                            ;   in Loop: Header=BB307_11 Depth=1
	s_wait_alu 0xfffe
	s_or_b32 exec_lo, exec_lo, s16
	flat_load_b64 v[28:29], v[20:21] offset:2056
	s_mov_b32 s16, exec_lo
	s_wait_loadcnt_dscnt 0x0
	v_and_b32_e32 v8, 0xff, v28
	s_delay_alu instid0(VALU_DEP_1)
	v_cmpx_ne_u16_e32 0, v8
	s_cbranch_execz .LBB307_595
; %bb.588:                              ;   in Loop: Header=BB307_11 Depth=1
	v_mov_b32_e32 v46, 0x8000
	s_mov_b32 s17, exec_lo
	v_cmpx_ne_u16_e32 0x80, v8
	s_cbranch_execz .LBB307_594
; %bb.589:                              ;   in Loop: Header=BB307_11 Depth=1
	v_and_b32_e32 v47, 0x7f, v28
	v_mov_b32_e32 v46, 0x7c01
	s_mov_b32 s18, exec_lo
	s_delay_alu instid0(VALU_DEP_2)
	v_cmpx_ne_u32_e32 0x7f, v47
	s_cbranch_execz .LBB307_593
; %bb.590:                              ;   in Loop: Header=BB307_11 Depth=1
	v_and_b32_e32 v8, 7, v28
	v_lshrrev_b32_e32 v46, 3, v47
	s_mov_b32 s19, exec_lo
	v_cmpx_gt_u32_e32 8, v47
; %bb.591:                              ;   in Loop: Header=BB307_11 Depth=1
	s_delay_alu instid0(VALU_DEP_3) | instskip(NEXT) | instid1(VALU_DEP_1)
	v_clz_i32_u32_e32 v8, v8
	v_min_u32_e32 v8, 32, v8
	s_delay_alu instid0(VALU_DEP_1) | instskip(NEXT) | instid1(VALU_DEP_1)
	v_subrev_nc_u32_e32 v46, 28, v8
	v_lshlrev_b64_e32 v[56:57], v46, v[28:29]
	v_sub_nc_u32_e32 v46, 29, v8
	s_delay_alu instid0(VALU_DEP_2)
	v_and_b32_e32 v8, 7, v56
; %bb.592:                              ;   in Loop: Header=BB307_11 Depth=1
	s_wait_alu 0xfffe
	s_or_b32 exec_lo, exec_lo, s19
	v_lshlrev_b32_e32 v47, 8, v28
	v_lshl_add_u32 v46, v46, 10, 0x2000
	v_lshlrev_b32_e32 v8, 7, v8
	s_delay_alu instid0(VALU_DEP_3) | instskip(NEXT) | instid1(VALU_DEP_3)
	v_and_b32_e32 v47, 0x8000, v47
	v_and_b32_e32 v46, 0xfc00, v46
	s_delay_alu instid0(VALU_DEP_1)
	v_or3_b32 v46, v47, v46, v8
.LBB307_593:                            ;   in Loop: Header=BB307_11 Depth=1
	s_wait_alu 0xfffe
	s_or_b32 exec_lo, exec_lo, s18
.LBB307_594:                            ;   in Loop: Header=BB307_11 Depth=1
	s_wait_alu 0xfffe
	s_or_b32 exec_lo, exec_lo, s17
.LBB307_595:                            ;   in Loop: Header=BB307_11 Depth=1
	s_wait_alu 0xfffe
	s_or_b32 exec_lo, exec_lo, s16
	v_lshrrev_b16 v8, 8, v28
	v_dual_mov_b32 v62, 0 :: v_dual_mov_b32 v61, 0
	s_mov_b32 s16, exec_lo
	s_delay_alu instid0(VALU_DEP_2)
	v_cmpx_ne_u16_e32 0, v8
	s_cbranch_execz .LBB307_603
; %bb.596:                              ;   in Loop: Header=BB307_11 Depth=1
	v_bfrev_b32_e32 v61, 1
	s_mov_b32 s17, exec_lo
	v_cmpx_ne_u16_e32 0x80, v8
	s_cbranch_execz .LBB307_602
; %bb.597:                              ;   in Loop: Header=BB307_11 Depth=1
	v_and_b32_e32 v47, 0xffff, v8
	v_mov_b32_e32 v61, 0x7c010000
	s_mov_b32 s18, exec_lo
	s_delay_alu instid0(VALU_DEP_2) | instskip(NEXT) | instid1(VALU_DEP_1)
	v_and_b32_e32 v58, 0x7f, v47
	v_cmpx_ne_u32_e32 0x7f, v58
	s_cbranch_execz .LBB307_601
; %bb.598:                              ;   in Loop: Header=BB307_11 Depth=1
	v_and_b32_e32 v56, 7, v47
	v_lshrrev_b32_e32 v57, 3, v58
	s_mov_b32 s19, exec_lo
	v_cmpx_gt_u32_e32 8, v58
; %bb.599:                              ;   in Loop: Header=BB307_11 Depth=1
	s_delay_alu instid0(VALU_DEP_3) | instskip(NEXT) | instid1(VALU_DEP_1)
	v_clz_i32_u32_e32 v56, v56
	v_min_u32_e32 v58, 32, v56
	s_delay_alu instid0(VALU_DEP_1) | instskip(NEXT) | instid1(VALU_DEP_1)
	v_subrev_nc_u32_e32 v56, 28, v58
	v_lshlrev_b64_e32 v[56:57], v56, v[8:9]
	v_sub_nc_u32_e32 v57, 29, v58
	s_delay_alu instid0(VALU_DEP_2)
	v_and_b32_e32 v56, 7, v56
; %bb.600:                              ;   in Loop: Header=BB307_11 Depth=1
	s_wait_alu 0xfffe
	s_or_b32 exec_lo, exec_lo, s19
	v_lshlrev_b32_e32 v8, 8, v47
	v_lshl_add_u32 v47, v57, 10, 0x2000
	s_delay_alu instid0(VALU_DEP_1) | instskip(SKIP_1) | instid1(VALU_DEP_1)
	v_and_or_b32 v8, 0x8000, v8, v47
	v_lshlrev_b32_e32 v47, 23, v56
	v_lshl_or_b32 v61, v8, 16, v47
.LBB307_601:                            ;   in Loop: Header=BB307_11 Depth=1
	s_wait_alu 0xfffe
	s_or_b32 exec_lo, exec_lo, s18
.LBB307_602:                            ;   in Loop: Header=BB307_11 Depth=1
	s_wait_alu 0xfffe
	s_or_b32 exec_lo, exec_lo, s17
.LBB307_603:                            ;   in Loop: Header=BB307_11 Depth=1
	s_wait_alu 0xfffe
	s_or_b32 exec_lo, exec_lo, s16
	v_lshrrev_b32_e32 v8, 16, v28
	s_mov_b32 s16, exec_lo
	s_delay_alu instid0(VALU_DEP_1) | instskip(NEXT) | instid1(VALU_DEP_1)
	v_and_b32_e32 v47, 0xff, v8
	v_cmpx_ne_u16_e32 0, v47
	s_cbranch_execz .LBB307_611
; %bb.604:                              ;   in Loop: Header=BB307_11 Depth=1
	v_mov_b32_e32 v62, 0x8000
	s_mov_b32 s17, exec_lo
	v_cmpx_ne_u16_e32 0x80, v47
	s_cbranch_execz .LBB307_610
; %bb.605:                              ;   in Loop: Header=BB307_11 Depth=1
	v_bfe_u32 v57, v28, 16, 7
	v_mov_b32_e32 v62, 0x7c01
	s_mov_b32 s18, exec_lo
	s_delay_alu instid0(VALU_DEP_2)
	v_cmpx_ne_u32_e32 0x7f, v57
	s_cbranch_execz .LBB307_609
; %bb.606:                              ;   in Loop: Header=BB307_11 Depth=1
	v_and_b32_e32 v47, 7, v8
	v_lshrrev_b32_e32 v56, 3, v57
	s_mov_b32 s19, exec_lo
	v_cmpx_gt_u32_e32 8, v57
; %bb.607:                              ;   in Loop: Header=BB307_11 Depth=1
	s_delay_alu instid0(VALU_DEP_3) | instskip(NEXT) | instid1(VALU_DEP_1)
	v_clz_i32_u32_e32 v47, v47
	v_min_u32_e32 v47, 32, v47
	s_delay_alu instid0(VALU_DEP_1) | instskip(NEXT) | instid1(VALU_DEP_1)
	v_subrev_nc_u32_e32 v56, 28, v47
	v_lshlrev_b64_e32 v[57:58], v56, v[8:9]
	v_sub_nc_u32_e32 v56, 29, v47
	s_delay_alu instid0(VALU_DEP_2)
	v_and_b32_e32 v47, 7, v57
; %bb.608:                              ;   in Loop: Header=BB307_11 Depth=1
	s_wait_alu 0xfffe
	s_or_b32 exec_lo, exec_lo, s19
	v_lshlrev_b32_e32 v8, 8, v8
	v_lshl_add_u32 v56, v56, 10, 0x2000
	v_lshlrev_b32_e32 v47, 7, v47
	s_delay_alu instid0(VALU_DEP_3) | instskip(NEXT) | instid1(VALU_DEP_3)
	v_and_b32_e32 v8, 0x8000, v8
	v_and_b32_e32 v56, 0xfc00, v56
	s_delay_alu instid0(VALU_DEP_1)
	v_or3_b32 v62, v8, v56, v47
.LBB307_609:                            ;   in Loop: Header=BB307_11 Depth=1
	s_wait_alu 0xfffe
	s_or_b32 exec_lo, exec_lo, s18
.LBB307_610:                            ;   in Loop: Header=BB307_11 Depth=1
	s_wait_alu 0xfffe
	s_or_b32 exec_lo, exec_lo, s17
.LBB307_611:                            ;   in Loop: Header=BB307_11 Depth=1
	s_wait_alu 0xfffe
	s_or_b32 exec_lo, exec_lo, s16
	v_dual_mov_b32 v73, 0 :: v_dual_mov_b32 v74, 0
	s_mov_b32 s16, exec_lo
	v_cmpx_lt_u32_e32 0xffffff, v28
	s_cbranch_execz .LBB307_619
; %bb.612:                              ;   in Loop: Header=BB307_11 Depth=1
	v_lshrrev_b32_e32 v8, 24, v28
	v_bfrev_b32_e32 v74, 1
	s_mov_b32 s17, exec_lo
	s_delay_alu instid0(VALU_DEP_2)
	v_cmpx_ne_u32_e32 0x80, v8
	s_cbranch_execz .LBB307_618
; %bb.613:                              ;   in Loop: Header=BB307_11 Depth=1
	v_and_b32_e32 v57, 0x7f, v8
	v_mov_b32_e32 v74, 0x7c010000
	s_mov_b32 s18, exec_lo
	s_delay_alu instid0(VALU_DEP_2)
	v_cmpx_ne_u32_e32 0x7f, v57
	s_cbranch_execz .LBB307_617
; %bb.614:                              ;   in Loop: Header=BB307_11 Depth=1
	v_and_b32_e32 v47, 7, v8
	v_lshrrev_b32_e32 v56, 3, v57
	s_mov_b32 s19, exec_lo
	v_cmpx_gt_u32_e32 8, v57
; %bb.615:                              ;   in Loop: Header=BB307_11 Depth=1
	s_delay_alu instid0(VALU_DEP_3) | instskip(NEXT) | instid1(VALU_DEP_1)
	v_clz_i32_u32_e32 v47, v47
	v_min_u32_e32 v47, 32, v47
	s_delay_alu instid0(VALU_DEP_1) | instskip(NEXT) | instid1(VALU_DEP_1)
	v_subrev_nc_u32_e32 v56, 28, v47
	v_lshlrev_b64_e32 v[57:58], v56, v[8:9]
	v_sub_nc_u32_e32 v56, 29, v47
	s_delay_alu instid0(VALU_DEP_2)
	v_and_b32_e32 v47, 7, v57
; %bb.616:                              ;   in Loop: Header=BB307_11 Depth=1
	s_wait_alu 0xfffe
	s_or_b32 exec_lo, exec_lo, s19
	v_lshlrev_b32_e32 v8, 8, v8
	v_lshl_add_u32 v56, v56, 10, 0x2000
	v_lshlrev_b32_e32 v47, 23, v47
	s_delay_alu instid0(VALU_DEP_2) | instskip(NEXT) | instid1(VALU_DEP_1)
	v_and_or_b32 v8, 0x8000, v8, v56
	v_lshl_or_b32 v74, v8, 16, v47
.LBB307_617:                            ;   in Loop: Header=BB307_11 Depth=1
	s_wait_alu 0xfffe
	s_or_b32 exec_lo, exec_lo, s18
.LBB307_618:                            ;   in Loop: Header=BB307_11 Depth=1
	s_wait_alu 0xfffe
	s_or_b32 exec_lo, exec_lo, s17
.LBB307_619:                            ;   in Loop: Header=BB307_11 Depth=1
	s_wait_alu 0xfffe
	s_or_b32 exec_lo, exec_lo, s16
	v_dual_mov_b32 v8, v29 :: v_dual_and_b32 v47, 0xff, v29
	s_mov_b32 s16, exec_lo
	s_delay_alu instid0(VALU_DEP_1)
	v_cmpx_ne_u16_e32 0, v47
	s_cbranch_execz .LBB307_627
; %bb.620:                              ;   in Loop: Header=BB307_11 Depth=1
	v_mov_b32_e32 v73, 0x8000
	s_mov_b32 s17, exec_lo
	v_cmpx_ne_u16_e32 0x80, v47
	s_cbranch_execz .LBB307_626
; %bb.621:                              ;   in Loop: Header=BB307_11 Depth=1
	v_and_b32_e32 v57, 0x7f, v29
	v_mov_b32_e32 v73, 0x7c01
	s_mov_b32 s18, exec_lo
	s_delay_alu instid0(VALU_DEP_2)
	v_cmpx_ne_u32_e32 0x7f, v57
	s_cbranch_execz .LBB307_625
; %bb.622:                              ;   in Loop: Header=BB307_11 Depth=1
	v_and_b32_e32 v47, 7, v29
	v_lshrrev_b32_e32 v56, 3, v57
	s_mov_b32 s19, exec_lo
	v_cmpx_gt_u32_e32 8, v57
; %bb.623:                              ;   in Loop: Header=BB307_11 Depth=1
	s_delay_alu instid0(VALU_DEP_3) | instskip(NEXT) | instid1(VALU_DEP_1)
	v_clz_i32_u32_e32 v47, v47
	v_min_u32_e32 v47, 32, v47
	s_delay_alu instid0(VALU_DEP_1) | instskip(NEXT) | instid1(VALU_DEP_1)
	v_subrev_nc_u32_e32 v56, 28, v47
	v_lshlrev_b64_e32 v[57:58], v56, v[8:9]
	v_sub_nc_u32_e32 v56, 29, v47
	s_delay_alu instid0(VALU_DEP_2)
	v_and_b32_e32 v47, 7, v57
; %bb.624:                              ;   in Loop: Header=BB307_11 Depth=1
	s_wait_alu 0xfffe
	s_or_b32 exec_lo, exec_lo, s19
	v_lshlrev_b32_e32 v57, 8, v29
	v_lshl_add_u32 v56, v56, 10, 0x2000
	v_lshlrev_b32_e32 v47, 7, v47
	s_delay_alu instid0(VALU_DEP_3) | instskip(NEXT) | instid1(VALU_DEP_3)
	v_and_b32_e32 v57, 0x8000, v57
	v_and_b32_e32 v56, 0xfc00, v56
	s_delay_alu instid0(VALU_DEP_1)
	v_or3_b32 v73, v57, v56, v47
.LBB307_625:                            ;   in Loop: Header=BB307_11 Depth=1
	s_wait_alu 0xfffe
	s_or_b32 exec_lo, exec_lo, s18
.LBB307_626:                            ;   in Loop: Header=BB307_11 Depth=1
	s_wait_alu 0xfffe
	s_or_b32 exec_lo, exec_lo, s17
.LBB307_627:                            ;   in Loop: Header=BB307_11 Depth=1
	s_wait_alu 0xfffe
	s_or_b32 exec_lo, exec_lo, s16
	v_lshrrev_b16 v8, 8, v8
	v_dual_mov_b32 v89, 0 :: v_dual_mov_b32 v90, 0
	s_mov_b32 s16, exec_lo
	s_delay_alu instid0(VALU_DEP_2)
	v_cmpx_ne_u16_e32 0, v8
	s_cbranch_execz .LBB307_635
; %bb.628:                              ;   in Loop: Header=BB307_11 Depth=1
	v_bfrev_b32_e32 v90, 1
	s_mov_b32 s17, exec_lo
	v_cmpx_ne_u16_e32 0x80, v8
	s_cbranch_execz .LBB307_634
; %bb.629:                              ;   in Loop: Header=BB307_11 Depth=1
	v_and_b32_e32 v47, 0xffff, v8
	v_mov_b32_e32 v90, 0x7c010000
	s_mov_b32 s18, exec_lo
	s_delay_alu instid0(VALU_DEP_2) | instskip(NEXT) | instid1(VALU_DEP_1)
	v_and_b32_e32 v58, 0x7f, v47
	v_cmpx_ne_u32_e32 0x7f, v58
	s_cbranch_execz .LBB307_633
; %bb.630:                              ;   in Loop: Header=BB307_11 Depth=1
	v_and_b32_e32 v56, 7, v47
	v_lshrrev_b32_e32 v57, 3, v58
	s_mov_b32 s19, exec_lo
	v_cmpx_gt_u32_e32 8, v58
; %bb.631:                              ;   in Loop: Header=BB307_11 Depth=1
	s_delay_alu instid0(VALU_DEP_3) | instskip(NEXT) | instid1(VALU_DEP_1)
	v_clz_i32_u32_e32 v56, v56
	v_min_u32_e32 v58, 32, v56
	s_delay_alu instid0(VALU_DEP_1) | instskip(NEXT) | instid1(VALU_DEP_1)
	v_subrev_nc_u32_e32 v56, 28, v58
	v_lshlrev_b64_e32 v[56:57], v56, v[8:9]
	v_sub_nc_u32_e32 v57, 29, v58
	s_delay_alu instid0(VALU_DEP_2)
	v_and_b32_e32 v56, 7, v56
; %bb.632:                              ;   in Loop: Header=BB307_11 Depth=1
	s_wait_alu 0xfffe
	s_or_b32 exec_lo, exec_lo, s19
	v_lshlrev_b32_e32 v8, 8, v47
	v_lshl_add_u32 v47, v57, 10, 0x2000
	s_delay_alu instid0(VALU_DEP_1) | instskip(SKIP_1) | instid1(VALU_DEP_1)
	v_and_or_b32 v8, 0x8000, v8, v47
	v_lshlrev_b32_e32 v47, 23, v56
	v_lshl_or_b32 v90, v8, 16, v47
.LBB307_633:                            ;   in Loop: Header=BB307_11 Depth=1
	s_wait_alu 0xfffe
	s_or_b32 exec_lo, exec_lo, s18
.LBB307_634:                            ;   in Loop: Header=BB307_11 Depth=1
	s_wait_alu 0xfffe
	s_or_b32 exec_lo, exec_lo, s17
.LBB307_635:                            ;   in Loop: Header=BB307_11 Depth=1
	s_wait_alu 0xfffe
	s_or_b32 exec_lo, exec_lo, s16
	v_lshrrev_b32_e32 v8, 16, v29
	s_mov_b32 s16, exec_lo
	s_delay_alu instid0(VALU_DEP_1) | instskip(NEXT) | instid1(VALU_DEP_1)
	v_and_b32_e32 v47, 0xff, v8
	v_cmpx_ne_u16_e32 0, v47
	s_cbranch_execz .LBB307_643
; %bb.636:                              ;   in Loop: Header=BB307_11 Depth=1
	v_mov_b32_e32 v89, 0x8000
	s_mov_b32 s17, exec_lo
	v_cmpx_ne_u16_e32 0x80, v47
	s_cbranch_execz .LBB307_642
; %bb.637:                              ;   in Loop: Header=BB307_11 Depth=1
	v_bfe_u32 v57, v29, 16, 7
	v_mov_b32_e32 v89, 0x7c01
	s_mov_b32 s18, exec_lo
	s_delay_alu instid0(VALU_DEP_2)
	v_cmpx_ne_u32_e32 0x7f, v57
	s_cbranch_execz .LBB307_641
; %bb.638:                              ;   in Loop: Header=BB307_11 Depth=1
	v_and_b32_e32 v47, 7, v8
	v_lshrrev_b32_e32 v56, 3, v57
	s_mov_b32 s19, exec_lo
	v_cmpx_gt_u32_e32 8, v57
; %bb.639:                              ;   in Loop: Header=BB307_11 Depth=1
	s_delay_alu instid0(VALU_DEP_3) | instskip(NEXT) | instid1(VALU_DEP_1)
	v_clz_i32_u32_e32 v47, v47
	v_min_u32_e32 v47, 32, v47
	s_delay_alu instid0(VALU_DEP_1) | instskip(NEXT) | instid1(VALU_DEP_1)
	v_subrev_nc_u32_e32 v56, 28, v47
	v_lshlrev_b64_e32 v[57:58], v56, v[8:9]
	v_sub_nc_u32_e32 v56, 29, v47
	s_delay_alu instid0(VALU_DEP_2)
	v_and_b32_e32 v47, 7, v57
; %bb.640:                              ;   in Loop: Header=BB307_11 Depth=1
	s_wait_alu 0xfffe
	s_or_b32 exec_lo, exec_lo, s19
	v_lshlrev_b32_e32 v8, 8, v8
	v_lshl_add_u32 v56, v56, 10, 0x2000
	v_lshlrev_b32_e32 v47, 7, v47
	s_delay_alu instid0(VALU_DEP_3) | instskip(NEXT) | instid1(VALU_DEP_3)
	v_and_b32_e32 v8, 0x8000, v8
	v_and_b32_e32 v56, 0xfc00, v56
	s_delay_alu instid0(VALU_DEP_1)
	v_or3_b32 v89, v8, v56, v47
.LBB307_641:                            ;   in Loop: Header=BB307_11 Depth=1
	s_wait_alu 0xfffe
	s_or_b32 exec_lo, exec_lo, s18
.LBB307_642:                            ;   in Loop: Header=BB307_11 Depth=1
	s_wait_alu 0xfffe
	s_or_b32 exec_lo, exec_lo, s17
.LBB307_643:                            ;   in Loop: Header=BB307_11 Depth=1
	s_wait_alu 0xfffe
	s_or_b32 exec_lo, exec_lo, s16
	v_dual_mov_b32 v106, 0 :: v_dual_mov_b32 v95, 0
	s_mov_b32 s16, exec_lo
	v_cmpx_lt_u64_e64 s[2:3], v[28:29]
	s_cbranch_execz .LBB307_651
; %bb.644:                              ;   in Loop: Header=BB307_11 Depth=1
	v_lshrrev_b32_e32 v8, 24, v29
	v_bfrev_b32_e32 v95, 1
	s_mov_b32 s17, exec_lo
	s_delay_alu instid0(VALU_DEP_2)
	v_cmpx_ne_u32_e32 0x80, v8
	s_cbranch_execz .LBB307_650
; %bb.645:                              ;   in Loop: Header=BB307_11 Depth=1
	v_and_b32_e32 v47, 0x7f, v8
	v_mov_b32_e32 v95, 0x7c010000
	s_mov_b32 s18, exec_lo
	s_delay_alu instid0(VALU_DEP_2)
	v_cmpx_ne_u32_e32 0x7f, v47
	s_cbranch_execz .LBB307_649
; %bb.646:                              ;   in Loop: Header=BB307_11 Depth=1
	v_and_b32_e32 v28, 7, v8
	v_lshrrev_b32_e32 v29, 3, v47
	s_mov_b32 s19, exec_lo
	v_cmpx_gt_u32_e32 8, v47
; %bb.647:                              ;   in Loop: Header=BB307_11 Depth=1
	s_delay_alu instid0(VALU_DEP_3) | instskip(NEXT) | instid1(VALU_DEP_1)
	v_clz_i32_u32_e32 v28, v28
	v_min_u32_e32 v47, 32, v28
	s_delay_alu instid0(VALU_DEP_1) | instskip(NEXT) | instid1(VALU_DEP_1)
	v_subrev_nc_u32_e32 v28, 28, v47
	v_lshlrev_b64_e32 v[28:29], v28, v[8:9]
	v_sub_nc_u32_e32 v29, 29, v47
	s_delay_alu instid0(VALU_DEP_2)
	v_and_b32_e32 v28, 7, v28
; %bb.648:                              ;   in Loop: Header=BB307_11 Depth=1
	s_wait_alu 0xfffe
	s_or_b32 exec_lo, exec_lo, s19
	v_lshlrev_b32_e32 v8, 8, v8
	v_lshl_add_u32 v29, v29, 10, 0x2000
	v_lshlrev_b32_e32 v28, 23, v28
	s_delay_alu instid0(VALU_DEP_2) | instskip(NEXT) | instid1(VALU_DEP_1)
	v_and_or_b32 v8, 0x8000, v8, v29
	v_lshl_or_b32 v95, v8, 16, v28
.LBB307_649:                            ;   in Loop: Header=BB307_11 Depth=1
	s_wait_alu 0xfffe
	s_or_b32 exec_lo, exec_lo, s18
.LBB307_650:                            ;   in Loop: Header=BB307_11 Depth=1
	s_wait_alu 0xfffe
	s_or_b32 exec_lo, exec_lo, s17
.LBB307_651:                            ;   in Loop: Header=BB307_11 Depth=1
	s_wait_alu 0xfffe
	s_or_b32 exec_lo, exec_lo, s16
	flat_load_b64 v[28:29], v[20:21] offset:2560
	s_mov_b32 s16, exec_lo
	s_wait_loadcnt_dscnt 0x0
	v_and_b32_e32 v8, 0xff, v28
	s_delay_alu instid0(VALU_DEP_1)
	v_cmpx_ne_u16_e32 0, v8
	s_cbranch_execz .LBB307_659
; %bb.652:                              ;   in Loop: Header=BB307_11 Depth=1
	v_mov_b32_e32 v106, 0x8000
	s_mov_b32 s17, exec_lo
	v_cmpx_ne_u16_e32 0x80, v8
	s_cbranch_execz .LBB307_658
; %bb.653:                              ;   in Loop: Header=BB307_11 Depth=1
	v_and_b32_e32 v56, 0x7f, v28
	v_mov_b32_e32 v106, 0x7c01
	s_mov_b32 s18, exec_lo
	s_delay_alu instid0(VALU_DEP_2)
	v_cmpx_ne_u32_e32 0x7f, v56
	s_cbranch_execz .LBB307_657
; %bb.654:                              ;   in Loop: Header=BB307_11 Depth=1
	v_and_b32_e32 v8, 7, v28
	v_lshrrev_b32_e32 v47, 3, v56
	s_mov_b32 s19, exec_lo
	v_cmpx_gt_u32_e32 8, v56
; %bb.655:                              ;   in Loop: Header=BB307_11 Depth=1
	s_delay_alu instid0(VALU_DEP_3) | instskip(NEXT) | instid1(VALU_DEP_1)
	v_clz_i32_u32_e32 v8, v8
	v_min_u32_e32 v8, 32, v8
	s_delay_alu instid0(VALU_DEP_1) | instskip(NEXT) | instid1(VALU_DEP_1)
	v_subrev_nc_u32_e32 v47, 28, v8
	v_lshlrev_b64_e32 v[56:57], v47, v[28:29]
	v_sub_nc_u32_e32 v47, 29, v8
	s_delay_alu instid0(VALU_DEP_2)
	v_and_b32_e32 v8, 7, v56
; %bb.656:                              ;   in Loop: Header=BB307_11 Depth=1
	s_wait_alu 0xfffe
	s_or_b32 exec_lo, exec_lo, s19
	v_lshlrev_b32_e32 v56, 8, v28
	v_lshl_add_u32 v47, v47, 10, 0x2000
	v_lshlrev_b32_e32 v8, 7, v8
	s_delay_alu instid0(VALU_DEP_3) | instskip(NEXT) | instid1(VALU_DEP_3)
	v_and_b32_e32 v56, 0x8000, v56
	v_and_b32_e32 v47, 0xfc00, v47
	s_delay_alu instid0(VALU_DEP_1)
	v_or3_b32 v106, v56, v47, v8
.LBB307_657:                            ;   in Loop: Header=BB307_11 Depth=1
	s_wait_alu 0xfffe
	s_or_b32 exec_lo, exec_lo, s18
.LBB307_658:                            ;   in Loop: Header=BB307_11 Depth=1
	s_wait_alu 0xfffe
	s_or_b32 exec_lo, exec_lo, s17
.LBB307_659:                            ;   in Loop: Header=BB307_11 Depth=1
	s_wait_alu 0xfffe
	s_or_b32 exec_lo, exec_lo, s16
	v_lshrrev_b16 v8, 8, v28
	v_dual_mov_b32 v120, 0 :: v_dual_mov_b32 v111, 0
	s_mov_b32 s16, exec_lo
	s_delay_alu instid0(VALU_DEP_2)
	v_cmpx_ne_u16_e32 0, v8
	s_cbranch_execz .LBB307_667
; %bb.660:                              ;   in Loop: Header=BB307_11 Depth=1
	v_bfrev_b32_e32 v111, 1
	s_mov_b32 s17, exec_lo
	v_cmpx_ne_u16_e32 0x80, v8
	s_cbranch_execz .LBB307_666
; %bb.661:                              ;   in Loop: Header=BB307_11 Depth=1
	v_and_b32_e32 v47, 0xffff, v8
	v_mov_b32_e32 v111, 0x7c010000
	s_mov_b32 s18, exec_lo
	s_delay_alu instid0(VALU_DEP_2) | instskip(NEXT) | instid1(VALU_DEP_1)
	v_and_b32_e32 v58, 0x7f, v47
	v_cmpx_ne_u32_e32 0x7f, v58
	s_cbranch_execz .LBB307_665
; %bb.662:                              ;   in Loop: Header=BB307_11 Depth=1
	v_and_b32_e32 v56, 7, v47
	v_lshrrev_b32_e32 v57, 3, v58
	s_mov_b32 s19, exec_lo
	v_cmpx_gt_u32_e32 8, v58
; %bb.663:                              ;   in Loop: Header=BB307_11 Depth=1
	s_delay_alu instid0(VALU_DEP_3) | instskip(NEXT) | instid1(VALU_DEP_1)
	v_clz_i32_u32_e32 v56, v56
	v_min_u32_e32 v58, 32, v56
	s_delay_alu instid0(VALU_DEP_1) | instskip(NEXT) | instid1(VALU_DEP_1)
	v_subrev_nc_u32_e32 v56, 28, v58
	v_lshlrev_b64_e32 v[56:57], v56, v[8:9]
	v_sub_nc_u32_e32 v57, 29, v58
	s_delay_alu instid0(VALU_DEP_2)
	v_and_b32_e32 v56, 7, v56
; %bb.664:                              ;   in Loop: Header=BB307_11 Depth=1
	s_wait_alu 0xfffe
	s_or_b32 exec_lo, exec_lo, s19
	v_lshlrev_b32_e32 v8, 8, v47
	v_lshl_add_u32 v47, v57, 10, 0x2000
	s_delay_alu instid0(VALU_DEP_1) | instskip(SKIP_1) | instid1(VALU_DEP_1)
	v_and_or_b32 v8, 0x8000, v8, v47
	v_lshlrev_b32_e32 v47, 23, v56
	v_lshl_or_b32 v111, v8, 16, v47
.LBB307_665:                            ;   in Loop: Header=BB307_11 Depth=1
	s_wait_alu 0xfffe
	s_or_b32 exec_lo, exec_lo, s18
.LBB307_666:                            ;   in Loop: Header=BB307_11 Depth=1
	s_wait_alu 0xfffe
	s_or_b32 exec_lo, exec_lo, s17
.LBB307_667:                            ;   in Loop: Header=BB307_11 Depth=1
	s_wait_alu 0xfffe
	s_or_b32 exec_lo, exec_lo, s16
	v_lshrrev_b32_e32 v8, 16, v28
	s_mov_b32 s16, exec_lo
	s_delay_alu instid0(VALU_DEP_1) | instskip(NEXT) | instid1(VALU_DEP_1)
	v_and_b32_e32 v47, 0xff, v8
	v_cmpx_ne_u16_e32 0, v47
	s_cbranch_execz .LBB307_675
; %bb.668:                              ;   in Loop: Header=BB307_11 Depth=1
	v_mov_b32_e32 v120, 0x8000
	s_mov_b32 s17, exec_lo
	v_cmpx_ne_u16_e32 0x80, v47
	s_cbranch_execz .LBB307_674
; %bb.669:                              ;   in Loop: Header=BB307_11 Depth=1
	v_bfe_u32 v57, v28, 16, 7
	v_mov_b32_e32 v120, 0x7c01
	s_mov_b32 s18, exec_lo
	s_delay_alu instid0(VALU_DEP_2)
	v_cmpx_ne_u32_e32 0x7f, v57
	s_cbranch_execz .LBB307_673
; %bb.670:                              ;   in Loop: Header=BB307_11 Depth=1
	v_and_b32_e32 v47, 7, v8
	v_lshrrev_b32_e32 v56, 3, v57
	s_mov_b32 s19, exec_lo
	v_cmpx_gt_u32_e32 8, v57
; %bb.671:                              ;   in Loop: Header=BB307_11 Depth=1
	s_delay_alu instid0(VALU_DEP_3) | instskip(NEXT) | instid1(VALU_DEP_1)
	v_clz_i32_u32_e32 v47, v47
	v_min_u32_e32 v47, 32, v47
	s_delay_alu instid0(VALU_DEP_1) | instskip(NEXT) | instid1(VALU_DEP_1)
	v_subrev_nc_u32_e32 v56, 28, v47
	v_lshlrev_b64_e32 v[57:58], v56, v[8:9]
	v_sub_nc_u32_e32 v56, 29, v47
	s_delay_alu instid0(VALU_DEP_2)
	v_and_b32_e32 v47, 7, v57
; %bb.672:                              ;   in Loop: Header=BB307_11 Depth=1
	s_wait_alu 0xfffe
	s_or_b32 exec_lo, exec_lo, s19
	v_lshlrev_b32_e32 v8, 8, v8
	v_lshl_add_u32 v56, v56, 10, 0x2000
	v_lshlrev_b32_e32 v47, 7, v47
	s_delay_alu instid0(VALU_DEP_3) | instskip(NEXT) | instid1(VALU_DEP_3)
	v_and_b32_e32 v8, 0x8000, v8
	v_and_b32_e32 v56, 0xfc00, v56
	s_delay_alu instid0(VALU_DEP_1)
	v_or3_b32 v120, v8, v56, v47
.LBB307_673:                            ;   in Loop: Header=BB307_11 Depth=1
	s_wait_alu 0xfffe
	s_or_b32 exec_lo, exec_lo, s18
.LBB307_674:                            ;   in Loop: Header=BB307_11 Depth=1
	s_wait_alu 0xfffe
	s_or_b32 exec_lo, exec_lo, s17
.LBB307_675:                            ;   in Loop: Header=BB307_11 Depth=1
	s_wait_alu 0xfffe
	s_or_b32 exec_lo, exec_lo, s16
	v_dual_mov_b32 v127, 0 :: v_dual_mov_b32 v136, 0
	s_mov_b32 s16, exec_lo
	v_cmpx_lt_u32_e32 0xffffff, v28
	s_cbranch_execz .LBB307_683
; %bb.676:                              ;   in Loop: Header=BB307_11 Depth=1
	v_lshrrev_b32_e32 v8, 24, v28
	v_bfrev_b32_e32 v136, 1
	s_mov_b32 s17, exec_lo
	s_delay_alu instid0(VALU_DEP_2)
	v_cmpx_ne_u32_e32 0x80, v8
	s_cbranch_execz .LBB307_682
; %bb.677:                              ;   in Loop: Header=BB307_11 Depth=1
	v_and_b32_e32 v57, 0x7f, v8
	v_mov_b32_e32 v136, 0x7c010000
	s_mov_b32 s18, exec_lo
	s_delay_alu instid0(VALU_DEP_2)
	v_cmpx_ne_u32_e32 0x7f, v57
	s_cbranch_execz .LBB307_681
; %bb.678:                              ;   in Loop: Header=BB307_11 Depth=1
	v_and_b32_e32 v47, 7, v8
	v_lshrrev_b32_e32 v56, 3, v57
	s_mov_b32 s19, exec_lo
	v_cmpx_gt_u32_e32 8, v57
; %bb.679:                              ;   in Loop: Header=BB307_11 Depth=1
	s_delay_alu instid0(VALU_DEP_3) | instskip(NEXT) | instid1(VALU_DEP_1)
	v_clz_i32_u32_e32 v47, v47
	v_min_u32_e32 v47, 32, v47
	s_delay_alu instid0(VALU_DEP_1) | instskip(NEXT) | instid1(VALU_DEP_1)
	v_subrev_nc_u32_e32 v56, 28, v47
	v_lshlrev_b64_e32 v[57:58], v56, v[8:9]
	v_sub_nc_u32_e32 v56, 29, v47
	s_delay_alu instid0(VALU_DEP_2)
	v_and_b32_e32 v47, 7, v57
; %bb.680:                              ;   in Loop: Header=BB307_11 Depth=1
	s_wait_alu 0xfffe
	s_or_b32 exec_lo, exec_lo, s19
	v_lshlrev_b32_e32 v8, 8, v8
	v_lshl_add_u32 v56, v56, 10, 0x2000
	v_lshlrev_b32_e32 v47, 23, v47
	s_delay_alu instid0(VALU_DEP_2) | instskip(NEXT) | instid1(VALU_DEP_1)
	v_and_or_b32 v8, 0x8000, v8, v56
	v_lshl_or_b32 v136, v8, 16, v47
.LBB307_681:                            ;   in Loop: Header=BB307_11 Depth=1
	s_wait_alu 0xfffe
	s_or_b32 exec_lo, exec_lo, s18
.LBB307_682:                            ;   in Loop: Header=BB307_11 Depth=1
	s_wait_alu 0xfffe
	s_or_b32 exec_lo, exec_lo, s17
.LBB307_683:                            ;   in Loop: Header=BB307_11 Depth=1
	s_wait_alu 0xfffe
	s_or_b32 exec_lo, exec_lo, s16
	v_dual_mov_b32 v8, v29 :: v_dual_and_b32 v47, 0xff, v29
	s_mov_b32 s16, exec_lo
	s_delay_alu instid0(VALU_DEP_1)
	v_cmpx_ne_u16_e32 0, v47
	s_cbranch_execz .LBB307_691
; %bb.684:                              ;   in Loop: Header=BB307_11 Depth=1
	v_mov_b32_e32 v127, 0x8000
	s_mov_b32 s17, exec_lo
	v_cmpx_ne_u16_e32 0x80, v47
	s_cbranch_execz .LBB307_690
; %bb.685:                              ;   in Loop: Header=BB307_11 Depth=1
	v_and_b32_e32 v57, 0x7f, v29
	v_mov_b32_e32 v127, 0x7c01
	s_mov_b32 s18, exec_lo
	s_delay_alu instid0(VALU_DEP_2)
	v_cmpx_ne_u32_e32 0x7f, v57
	s_cbranch_execz .LBB307_689
; %bb.686:                              ;   in Loop: Header=BB307_11 Depth=1
	v_and_b32_e32 v47, 7, v29
	v_lshrrev_b32_e32 v56, 3, v57
	s_mov_b32 s19, exec_lo
	v_cmpx_gt_u32_e32 8, v57
; %bb.687:                              ;   in Loop: Header=BB307_11 Depth=1
	s_delay_alu instid0(VALU_DEP_3) | instskip(NEXT) | instid1(VALU_DEP_1)
	v_clz_i32_u32_e32 v47, v47
	v_min_u32_e32 v47, 32, v47
	s_delay_alu instid0(VALU_DEP_1) | instskip(NEXT) | instid1(VALU_DEP_1)
	v_subrev_nc_u32_e32 v56, 28, v47
	v_lshlrev_b64_e32 v[57:58], v56, v[8:9]
	v_sub_nc_u32_e32 v56, 29, v47
	s_delay_alu instid0(VALU_DEP_2)
	v_and_b32_e32 v47, 7, v57
; %bb.688:                              ;   in Loop: Header=BB307_11 Depth=1
	s_wait_alu 0xfffe
	s_or_b32 exec_lo, exec_lo, s19
	v_lshlrev_b32_e32 v57, 8, v29
	v_lshl_add_u32 v56, v56, 10, 0x2000
	v_lshlrev_b32_e32 v47, 7, v47
	s_delay_alu instid0(VALU_DEP_3) | instskip(NEXT) | instid1(VALU_DEP_3)
	v_and_b32_e32 v57, 0x8000, v57
	v_and_b32_e32 v56, 0xfc00, v56
	s_delay_alu instid0(VALU_DEP_1)
	v_or3_b32 v127, v57, v56, v47
.LBB307_689:                            ;   in Loop: Header=BB307_11 Depth=1
	s_wait_alu 0xfffe
	s_or_b32 exec_lo, exec_lo, s18
.LBB307_690:                            ;   in Loop: Header=BB307_11 Depth=1
	s_wait_alu 0xfffe
	s_or_b32 exec_lo, exec_lo, s17
.LBB307_691:                            ;   in Loop: Header=BB307_11 Depth=1
	s_wait_alu 0xfffe
	s_or_b32 exec_lo, exec_lo, s16
	v_lshrrev_b16 v8, 8, v8
	v_dual_mov_b32 v137, 0 :: v_dual_mov_b32 v138, 0
	s_mov_b32 s16, exec_lo
	s_delay_alu instid0(VALU_DEP_2)
	v_cmpx_ne_u16_e32 0, v8
	s_cbranch_execz .LBB307_699
; %bb.692:                              ;   in Loop: Header=BB307_11 Depth=1
	v_bfrev_b32_e32 v138, 1
	s_mov_b32 s17, exec_lo
	v_cmpx_ne_u16_e32 0x80, v8
	s_cbranch_execz .LBB307_698
; %bb.693:                              ;   in Loop: Header=BB307_11 Depth=1
	v_and_b32_e32 v47, 0xffff, v8
	v_mov_b32_e32 v138, 0x7c010000
	s_mov_b32 s18, exec_lo
	s_delay_alu instid0(VALU_DEP_2) | instskip(NEXT) | instid1(VALU_DEP_1)
	v_and_b32_e32 v58, 0x7f, v47
	v_cmpx_ne_u32_e32 0x7f, v58
	s_cbranch_execz .LBB307_697
; %bb.694:                              ;   in Loop: Header=BB307_11 Depth=1
	v_and_b32_e32 v56, 7, v47
	v_lshrrev_b32_e32 v57, 3, v58
	s_mov_b32 s19, exec_lo
	v_cmpx_gt_u32_e32 8, v58
; %bb.695:                              ;   in Loop: Header=BB307_11 Depth=1
	s_delay_alu instid0(VALU_DEP_3) | instskip(NEXT) | instid1(VALU_DEP_1)
	v_clz_i32_u32_e32 v56, v56
	v_min_u32_e32 v58, 32, v56
	s_delay_alu instid0(VALU_DEP_1) | instskip(NEXT) | instid1(VALU_DEP_1)
	v_subrev_nc_u32_e32 v56, 28, v58
	v_lshlrev_b64_e32 v[56:57], v56, v[8:9]
	v_sub_nc_u32_e32 v57, 29, v58
	s_delay_alu instid0(VALU_DEP_2)
	v_and_b32_e32 v56, 7, v56
; %bb.696:                              ;   in Loop: Header=BB307_11 Depth=1
	s_wait_alu 0xfffe
	s_or_b32 exec_lo, exec_lo, s19
	v_lshlrev_b32_e32 v8, 8, v47
	v_lshl_add_u32 v47, v57, 10, 0x2000
	s_delay_alu instid0(VALU_DEP_1) | instskip(SKIP_1) | instid1(VALU_DEP_1)
	v_and_or_b32 v8, 0x8000, v8, v47
	v_lshlrev_b32_e32 v47, 23, v56
	v_lshl_or_b32 v138, v8, 16, v47
.LBB307_697:                            ;   in Loop: Header=BB307_11 Depth=1
	s_wait_alu 0xfffe
	s_or_b32 exec_lo, exec_lo, s18
.LBB307_698:                            ;   in Loop: Header=BB307_11 Depth=1
	s_wait_alu 0xfffe
	s_or_b32 exec_lo, exec_lo, s17
.LBB307_699:                            ;   in Loop: Header=BB307_11 Depth=1
	s_wait_alu 0xfffe
	s_or_b32 exec_lo, exec_lo, s16
	v_lshrrev_b32_e32 v8, 16, v29
	s_mov_b32 s16, exec_lo
	s_delay_alu instid0(VALU_DEP_1) | instskip(NEXT) | instid1(VALU_DEP_1)
	v_and_b32_e32 v47, 0xff, v8
	v_cmpx_ne_u16_e32 0, v47
	s_cbranch_execz .LBB307_707
; %bb.700:                              ;   in Loop: Header=BB307_11 Depth=1
	v_mov_b32_e32 v137, 0x8000
	s_mov_b32 s17, exec_lo
	v_cmpx_ne_u16_e32 0x80, v47
	s_cbranch_execz .LBB307_706
; %bb.701:                              ;   in Loop: Header=BB307_11 Depth=1
	v_bfe_u32 v57, v29, 16, 7
	v_mov_b32_e32 v137, 0x7c01
	s_mov_b32 s18, exec_lo
	s_delay_alu instid0(VALU_DEP_2)
	v_cmpx_ne_u32_e32 0x7f, v57
	s_cbranch_execz .LBB307_705
; %bb.702:                              ;   in Loop: Header=BB307_11 Depth=1
	v_and_b32_e32 v47, 7, v8
	v_lshrrev_b32_e32 v56, 3, v57
	s_mov_b32 s19, exec_lo
	v_cmpx_gt_u32_e32 8, v57
; %bb.703:                              ;   in Loop: Header=BB307_11 Depth=1
	s_delay_alu instid0(VALU_DEP_3) | instskip(NEXT) | instid1(VALU_DEP_1)
	v_clz_i32_u32_e32 v47, v47
	v_min_u32_e32 v47, 32, v47
	s_delay_alu instid0(VALU_DEP_1) | instskip(NEXT) | instid1(VALU_DEP_1)
	v_subrev_nc_u32_e32 v56, 28, v47
	v_lshlrev_b64_e32 v[57:58], v56, v[8:9]
	v_sub_nc_u32_e32 v56, 29, v47
	s_delay_alu instid0(VALU_DEP_2)
	v_and_b32_e32 v47, 7, v57
; %bb.704:                              ;   in Loop: Header=BB307_11 Depth=1
	s_wait_alu 0xfffe
	s_or_b32 exec_lo, exec_lo, s19
	v_lshlrev_b32_e32 v8, 8, v8
	v_lshl_add_u32 v56, v56, 10, 0x2000
	v_lshlrev_b32_e32 v47, 7, v47
	s_delay_alu instid0(VALU_DEP_3) | instskip(NEXT) | instid1(VALU_DEP_3)
	v_and_b32_e32 v8, 0x8000, v8
	v_and_b32_e32 v56, 0xfc00, v56
	s_delay_alu instid0(VALU_DEP_1)
	v_or3_b32 v137, v8, v56, v47
.LBB307_705:                            ;   in Loop: Header=BB307_11 Depth=1
	s_wait_alu 0xfffe
	s_or_b32 exec_lo, exec_lo, s18
.LBB307_706:                            ;   in Loop: Header=BB307_11 Depth=1
	s_wait_alu 0xfffe
	s_or_b32 exec_lo, exec_lo, s17
.LBB307_707:                            ;   in Loop: Header=BB307_11 Depth=1
	s_wait_alu 0xfffe
	s_or_b32 exec_lo, exec_lo, s16
	v_dual_mov_b32 v109, 0 :: v_dual_mov_b32 v142, 0
	s_mov_b32 s16, exec_lo
	v_cmpx_lt_u64_e64 s[2:3], v[28:29]
	s_cbranch_execz .LBB307_715
; %bb.708:                              ;   in Loop: Header=BB307_11 Depth=1
	v_lshrrev_b32_e32 v8, 24, v29
	v_bfrev_b32_e32 v142, 1
	s_mov_b32 s17, exec_lo
	s_delay_alu instid0(VALU_DEP_2)
	v_cmpx_ne_u32_e32 0x80, v8
	s_cbranch_execz .LBB307_714
; %bb.709:                              ;   in Loop: Header=BB307_11 Depth=1
	v_and_b32_e32 v47, 0x7f, v8
	v_mov_b32_e32 v142, 0x7c010000
	s_mov_b32 s18, exec_lo
	s_delay_alu instid0(VALU_DEP_2)
	v_cmpx_ne_u32_e32 0x7f, v47
	s_cbranch_execz .LBB307_713
; %bb.710:                              ;   in Loop: Header=BB307_11 Depth=1
	v_and_b32_e32 v28, 7, v8
	v_lshrrev_b32_e32 v29, 3, v47
	s_mov_b32 s19, exec_lo
	v_cmpx_gt_u32_e32 8, v47
; %bb.711:                              ;   in Loop: Header=BB307_11 Depth=1
	s_delay_alu instid0(VALU_DEP_3) | instskip(NEXT) | instid1(VALU_DEP_1)
	v_clz_i32_u32_e32 v28, v28
	v_min_u32_e32 v47, 32, v28
	s_delay_alu instid0(VALU_DEP_1) | instskip(NEXT) | instid1(VALU_DEP_1)
	v_subrev_nc_u32_e32 v28, 28, v47
	v_lshlrev_b64_e32 v[28:29], v28, v[8:9]
	v_sub_nc_u32_e32 v29, 29, v47
	s_delay_alu instid0(VALU_DEP_2)
	v_and_b32_e32 v28, 7, v28
; %bb.712:                              ;   in Loop: Header=BB307_11 Depth=1
	s_wait_alu 0xfffe
	s_or_b32 exec_lo, exec_lo, s19
	v_lshlrev_b32_e32 v8, 8, v8
	v_lshl_add_u32 v29, v29, 10, 0x2000
	v_lshlrev_b32_e32 v28, 23, v28
	s_delay_alu instid0(VALU_DEP_2) | instskip(NEXT) | instid1(VALU_DEP_1)
	v_and_or_b32 v8, 0x8000, v8, v29
	v_lshl_or_b32 v142, v8, 16, v28
.LBB307_713:                            ;   in Loop: Header=BB307_11 Depth=1
	s_wait_alu 0xfffe
	s_or_b32 exec_lo, exec_lo, s18
.LBB307_714:                            ;   in Loop: Header=BB307_11 Depth=1
	s_wait_alu 0xfffe
	s_or_b32 exec_lo, exec_lo, s17
.LBB307_715:                            ;   in Loop: Header=BB307_11 Depth=1
	s_wait_alu 0xfffe
	s_or_b32 exec_lo, exec_lo, s16
	flat_load_b64 v[28:29], v[20:21] offset:2568
	s_mov_b32 s16, exec_lo
	s_wait_loadcnt_dscnt 0x0
	v_and_b32_e32 v8, 0xff, v28
	s_delay_alu instid0(VALU_DEP_1)
	v_cmpx_ne_u16_e32 0, v8
	s_cbranch_execz .LBB307_723
; %bb.716:                              ;   in Loop: Header=BB307_11 Depth=1
	v_mov_b32_e32 v109, 0x8000
	s_mov_b32 s17, exec_lo
	v_cmpx_ne_u16_e32 0x80, v8
	s_cbranch_execz .LBB307_722
; %bb.717:                              ;   in Loop: Header=BB307_11 Depth=1
	v_and_b32_e32 v56, 0x7f, v28
	v_mov_b32_e32 v109, 0x7c01
	s_mov_b32 s18, exec_lo
	s_delay_alu instid0(VALU_DEP_2)
	v_cmpx_ne_u32_e32 0x7f, v56
	s_cbranch_execz .LBB307_721
; %bb.718:                              ;   in Loop: Header=BB307_11 Depth=1
	v_and_b32_e32 v8, 7, v28
	v_lshrrev_b32_e32 v47, 3, v56
	s_mov_b32 s19, exec_lo
	v_cmpx_gt_u32_e32 8, v56
; %bb.719:                              ;   in Loop: Header=BB307_11 Depth=1
	s_delay_alu instid0(VALU_DEP_3) | instskip(NEXT) | instid1(VALU_DEP_1)
	v_clz_i32_u32_e32 v8, v8
	v_min_u32_e32 v8, 32, v8
	s_delay_alu instid0(VALU_DEP_1) | instskip(NEXT) | instid1(VALU_DEP_1)
	v_subrev_nc_u32_e32 v47, 28, v8
	v_lshlrev_b64_e32 v[56:57], v47, v[28:29]
	v_sub_nc_u32_e32 v47, 29, v8
	s_delay_alu instid0(VALU_DEP_2)
	v_and_b32_e32 v8, 7, v56
; %bb.720:                              ;   in Loop: Header=BB307_11 Depth=1
	s_wait_alu 0xfffe
	s_or_b32 exec_lo, exec_lo, s19
	v_lshlrev_b32_e32 v56, 8, v28
	v_lshl_add_u32 v47, v47, 10, 0x2000
	v_lshlrev_b32_e32 v8, 7, v8
	s_delay_alu instid0(VALU_DEP_3) | instskip(NEXT) | instid1(VALU_DEP_3)
	v_and_b32_e32 v56, 0x8000, v56
	v_and_b32_e32 v47, 0xfc00, v47
	s_delay_alu instid0(VALU_DEP_1)
	v_or3_b32 v109, v56, v47, v8
.LBB307_721:                            ;   in Loop: Header=BB307_11 Depth=1
	s_wait_alu 0xfffe
	s_or_b32 exec_lo, exec_lo, s18
.LBB307_722:                            ;   in Loop: Header=BB307_11 Depth=1
	s_wait_alu 0xfffe
	s_or_b32 exec_lo, exec_lo, s17
.LBB307_723:                            ;   in Loop: Header=BB307_11 Depth=1
	s_wait_alu 0xfffe
	s_or_b32 exec_lo, exec_lo, s16
	v_lshrrev_b16 v8, 8, v28
	v_dual_mov_b32 v121, 0 :: v_dual_mov_b32 v110, 0
	s_mov_b32 s16, exec_lo
	s_delay_alu instid0(VALU_DEP_2)
	v_cmpx_ne_u16_e32 0, v8
	s_cbranch_execz .LBB307_731
; %bb.724:                              ;   in Loop: Header=BB307_11 Depth=1
	v_bfrev_b32_e32 v110, 1
	s_mov_b32 s17, exec_lo
	v_cmpx_ne_u16_e32 0x80, v8
	s_cbranch_execz .LBB307_730
; %bb.725:                              ;   in Loop: Header=BB307_11 Depth=1
	v_and_b32_e32 v47, 0xffff, v8
	v_mov_b32_e32 v110, 0x7c010000
	s_mov_b32 s18, exec_lo
	s_delay_alu instid0(VALU_DEP_2) | instskip(NEXT) | instid1(VALU_DEP_1)
	v_and_b32_e32 v58, 0x7f, v47
	v_cmpx_ne_u32_e32 0x7f, v58
	s_cbranch_execz .LBB307_729
; %bb.726:                              ;   in Loop: Header=BB307_11 Depth=1
	v_and_b32_e32 v56, 7, v47
	v_lshrrev_b32_e32 v57, 3, v58
	s_mov_b32 s19, exec_lo
	v_cmpx_gt_u32_e32 8, v58
; %bb.727:                              ;   in Loop: Header=BB307_11 Depth=1
	s_delay_alu instid0(VALU_DEP_3) | instskip(NEXT) | instid1(VALU_DEP_1)
	v_clz_i32_u32_e32 v56, v56
	v_min_u32_e32 v58, 32, v56
	s_delay_alu instid0(VALU_DEP_1) | instskip(NEXT) | instid1(VALU_DEP_1)
	v_subrev_nc_u32_e32 v56, 28, v58
	v_lshlrev_b64_e32 v[56:57], v56, v[8:9]
	v_sub_nc_u32_e32 v57, 29, v58
	s_delay_alu instid0(VALU_DEP_2)
	v_and_b32_e32 v56, 7, v56
; %bb.728:                              ;   in Loop: Header=BB307_11 Depth=1
	s_wait_alu 0xfffe
	s_or_b32 exec_lo, exec_lo, s19
	v_lshlrev_b32_e32 v8, 8, v47
	v_lshl_add_u32 v47, v57, 10, 0x2000
	s_delay_alu instid0(VALU_DEP_1) | instskip(SKIP_1) | instid1(VALU_DEP_1)
	v_and_or_b32 v8, 0x8000, v8, v47
	v_lshlrev_b32_e32 v47, 23, v56
	v_lshl_or_b32 v110, v8, 16, v47
.LBB307_729:                            ;   in Loop: Header=BB307_11 Depth=1
	s_wait_alu 0xfffe
	s_or_b32 exec_lo, exec_lo, s18
.LBB307_730:                            ;   in Loop: Header=BB307_11 Depth=1
	s_wait_alu 0xfffe
	s_or_b32 exec_lo, exec_lo, s17
.LBB307_731:                            ;   in Loop: Header=BB307_11 Depth=1
	s_wait_alu 0xfffe
	s_or_b32 exec_lo, exec_lo, s16
	v_lshrrev_b32_e32 v8, 16, v28
	s_mov_b32 s16, exec_lo
	s_delay_alu instid0(VALU_DEP_1) | instskip(NEXT) | instid1(VALU_DEP_1)
	v_and_b32_e32 v47, 0xff, v8
	v_cmpx_ne_u16_e32 0, v47
	s_cbranch_execz .LBB307_739
; %bb.732:                              ;   in Loop: Header=BB307_11 Depth=1
	v_mov_b32_e32 v121, 0x8000
	s_mov_b32 s17, exec_lo
	v_cmpx_ne_u16_e32 0x80, v47
	s_cbranch_execz .LBB307_738
; %bb.733:                              ;   in Loop: Header=BB307_11 Depth=1
	v_bfe_u32 v57, v28, 16, 7
	v_mov_b32_e32 v121, 0x7c01
	s_mov_b32 s18, exec_lo
	s_delay_alu instid0(VALU_DEP_2)
	v_cmpx_ne_u32_e32 0x7f, v57
	s_cbranch_execz .LBB307_737
; %bb.734:                              ;   in Loop: Header=BB307_11 Depth=1
	v_and_b32_e32 v47, 7, v8
	v_lshrrev_b32_e32 v56, 3, v57
	s_mov_b32 s19, exec_lo
	v_cmpx_gt_u32_e32 8, v57
; %bb.735:                              ;   in Loop: Header=BB307_11 Depth=1
	s_delay_alu instid0(VALU_DEP_3) | instskip(NEXT) | instid1(VALU_DEP_1)
	v_clz_i32_u32_e32 v47, v47
	v_min_u32_e32 v47, 32, v47
	s_delay_alu instid0(VALU_DEP_1) | instskip(NEXT) | instid1(VALU_DEP_1)
	v_subrev_nc_u32_e32 v56, 28, v47
	v_lshlrev_b64_e32 v[57:58], v56, v[8:9]
	v_sub_nc_u32_e32 v56, 29, v47
	s_delay_alu instid0(VALU_DEP_2)
	v_and_b32_e32 v47, 7, v57
; %bb.736:                              ;   in Loop: Header=BB307_11 Depth=1
	s_wait_alu 0xfffe
	s_or_b32 exec_lo, exec_lo, s19
	v_lshlrev_b32_e32 v8, 8, v8
	v_lshl_add_u32 v56, v56, 10, 0x2000
	v_lshlrev_b32_e32 v47, 7, v47
	s_delay_alu instid0(VALU_DEP_3) | instskip(NEXT) | instid1(VALU_DEP_3)
	v_and_b32_e32 v8, 0x8000, v8
	v_and_b32_e32 v56, 0xfc00, v56
	s_delay_alu instid0(VALU_DEP_1)
	v_or3_b32 v121, v8, v56, v47
.LBB307_737:                            ;   in Loop: Header=BB307_11 Depth=1
	s_wait_alu 0xfffe
	s_or_b32 exec_lo, exec_lo, s18
.LBB307_738:                            ;   in Loop: Header=BB307_11 Depth=1
	s_wait_alu 0xfffe
	s_or_b32 exec_lo, exec_lo, s17
.LBB307_739:                            ;   in Loop: Header=BB307_11 Depth=1
	s_wait_alu 0xfffe
	s_or_b32 exec_lo, exec_lo, s16
	v_dual_mov_b32 v122, 0 :: v_dual_mov_b32 v123, 0
	s_mov_b32 s16, exec_lo
	v_cmpx_lt_u32_e32 0xffffff, v28
	s_cbranch_execz .LBB307_747
; %bb.740:                              ;   in Loop: Header=BB307_11 Depth=1
	v_lshrrev_b32_e32 v8, 24, v28
	v_bfrev_b32_e32 v123, 1
	s_mov_b32 s17, exec_lo
	s_delay_alu instid0(VALU_DEP_2)
	v_cmpx_ne_u32_e32 0x80, v8
	s_cbranch_execz .LBB307_746
; %bb.741:                              ;   in Loop: Header=BB307_11 Depth=1
	v_and_b32_e32 v57, 0x7f, v8
	v_mov_b32_e32 v123, 0x7c010000
	s_mov_b32 s18, exec_lo
	s_delay_alu instid0(VALU_DEP_2)
	v_cmpx_ne_u32_e32 0x7f, v57
	s_cbranch_execz .LBB307_745
; %bb.742:                              ;   in Loop: Header=BB307_11 Depth=1
	v_and_b32_e32 v47, 7, v8
	v_lshrrev_b32_e32 v56, 3, v57
	s_mov_b32 s19, exec_lo
	v_cmpx_gt_u32_e32 8, v57
; %bb.743:                              ;   in Loop: Header=BB307_11 Depth=1
	s_delay_alu instid0(VALU_DEP_3) | instskip(NEXT) | instid1(VALU_DEP_1)
	v_clz_i32_u32_e32 v47, v47
	v_min_u32_e32 v47, 32, v47
	s_delay_alu instid0(VALU_DEP_1) | instskip(NEXT) | instid1(VALU_DEP_1)
	v_subrev_nc_u32_e32 v56, 28, v47
	v_lshlrev_b64_e32 v[57:58], v56, v[8:9]
	v_sub_nc_u32_e32 v56, 29, v47
	s_delay_alu instid0(VALU_DEP_2)
	v_and_b32_e32 v47, 7, v57
; %bb.744:                              ;   in Loop: Header=BB307_11 Depth=1
	s_wait_alu 0xfffe
	s_or_b32 exec_lo, exec_lo, s19
	v_lshlrev_b32_e32 v8, 8, v8
	v_lshl_add_u32 v56, v56, 10, 0x2000
	v_lshlrev_b32_e32 v47, 23, v47
	s_delay_alu instid0(VALU_DEP_2) | instskip(NEXT) | instid1(VALU_DEP_1)
	v_and_or_b32 v8, 0x8000, v8, v56
	v_lshl_or_b32 v123, v8, 16, v47
.LBB307_745:                            ;   in Loop: Header=BB307_11 Depth=1
	s_wait_alu 0xfffe
	s_or_b32 exec_lo, exec_lo, s18
.LBB307_746:                            ;   in Loop: Header=BB307_11 Depth=1
	s_wait_alu 0xfffe
	s_or_b32 exec_lo, exec_lo, s17
.LBB307_747:                            ;   in Loop: Header=BB307_11 Depth=1
	s_wait_alu 0xfffe
	s_or_b32 exec_lo, exec_lo, s16
	v_dual_mov_b32 v8, v29 :: v_dual_and_b32 v47, 0xff, v29
	s_mov_b32 s16, exec_lo
	s_delay_alu instid0(VALU_DEP_1)
	v_cmpx_ne_u16_e32 0, v47
	s_cbranch_execz .LBB307_755
; %bb.748:                              ;   in Loop: Header=BB307_11 Depth=1
	v_mov_b32_e32 v122, 0x8000
	s_mov_b32 s17, exec_lo
	v_cmpx_ne_u16_e32 0x80, v47
	s_cbranch_execz .LBB307_754
; %bb.749:                              ;   in Loop: Header=BB307_11 Depth=1
	v_and_b32_e32 v57, 0x7f, v29
	v_mov_b32_e32 v122, 0x7c01
	s_mov_b32 s18, exec_lo
	s_delay_alu instid0(VALU_DEP_2)
	v_cmpx_ne_u32_e32 0x7f, v57
	s_cbranch_execz .LBB307_753
; %bb.750:                              ;   in Loop: Header=BB307_11 Depth=1
	v_and_b32_e32 v47, 7, v29
	v_lshrrev_b32_e32 v56, 3, v57
	s_mov_b32 s19, exec_lo
	v_cmpx_gt_u32_e32 8, v57
; %bb.751:                              ;   in Loop: Header=BB307_11 Depth=1
	s_delay_alu instid0(VALU_DEP_3) | instskip(NEXT) | instid1(VALU_DEP_1)
	v_clz_i32_u32_e32 v47, v47
	v_min_u32_e32 v47, 32, v47
	s_delay_alu instid0(VALU_DEP_1) | instskip(NEXT) | instid1(VALU_DEP_1)
	v_subrev_nc_u32_e32 v56, 28, v47
	v_lshlrev_b64_e32 v[57:58], v56, v[8:9]
	v_sub_nc_u32_e32 v56, 29, v47
	s_delay_alu instid0(VALU_DEP_2)
	v_and_b32_e32 v47, 7, v57
; %bb.752:                              ;   in Loop: Header=BB307_11 Depth=1
	s_wait_alu 0xfffe
	s_or_b32 exec_lo, exec_lo, s19
	v_lshlrev_b32_e32 v57, 8, v29
	v_lshl_add_u32 v56, v56, 10, 0x2000
	v_lshlrev_b32_e32 v47, 7, v47
	s_delay_alu instid0(VALU_DEP_3) | instskip(NEXT) | instid1(VALU_DEP_3)
	v_and_b32_e32 v57, 0x8000, v57
	v_and_b32_e32 v56, 0xfc00, v56
	s_delay_alu instid0(VALU_DEP_1)
	v_or3_b32 v122, v57, v56, v47
.LBB307_753:                            ;   in Loop: Header=BB307_11 Depth=1
	s_wait_alu 0xfffe
	s_or_b32 exec_lo, exec_lo, s18
.LBB307_754:                            ;   in Loop: Header=BB307_11 Depth=1
	s_wait_alu 0xfffe
	s_or_b32 exec_lo, exec_lo, s17
.LBB307_755:                            ;   in Loop: Header=BB307_11 Depth=1
	s_wait_alu 0xfffe
	s_or_b32 exec_lo, exec_lo, s16
	v_lshrrev_b16 v8, 8, v8
	v_dual_mov_b32 v139, 0 :: v_dual_mov_b32 v140, 0
	s_mov_b32 s16, exec_lo
	s_delay_alu instid0(VALU_DEP_2)
	v_cmpx_ne_u16_e32 0, v8
	s_cbranch_execz .LBB307_763
; %bb.756:                              ;   in Loop: Header=BB307_11 Depth=1
	v_bfrev_b32_e32 v140, 1
	s_mov_b32 s17, exec_lo
	v_cmpx_ne_u16_e32 0x80, v8
	s_cbranch_execz .LBB307_762
; %bb.757:                              ;   in Loop: Header=BB307_11 Depth=1
	v_and_b32_e32 v47, 0xffff, v8
	v_mov_b32_e32 v140, 0x7c010000
	s_mov_b32 s18, exec_lo
	s_delay_alu instid0(VALU_DEP_2) | instskip(NEXT) | instid1(VALU_DEP_1)
	v_and_b32_e32 v58, 0x7f, v47
	v_cmpx_ne_u32_e32 0x7f, v58
	s_cbranch_execz .LBB307_761
; %bb.758:                              ;   in Loop: Header=BB307_11 Depth=1
	v_and_b32_e32 v56, 7, v47
	v_lshrrev_b32_e32 v57, 3, v58
	s_mov_b32 s19, exec_lo
	v_cmpx_gt_u32_e32 8, v58
; %bb.759:                              ;   in Loop: Header=BB307_11 Depth=1
	s_delay_alu instid0(VALU_DEP_3) | instskip(NEXT) | instid1(VALU_DEP_1)
	v_clz_i32_u32_e32 v56, v56
	v_min_u32_e32 v58, 32, v56
	s_delay_alu instid0(VALU_DEP_1) | instskip(NEXT) | instid1(VALU_DEP_1)
	v_subrev_nc_u32_e32 v56, 28, v58
	v_lshlrev_b64_e32 v[56:57], v56, v[8:9]
	v_sub_nc_u32_e32 v57, 29, v58
	s_delay_alu instid0(VALU_DEP_2)
	v_and_b32_e32 v56, 7, v56
; %bb.760:                              ;   in Loop: Header=BB307_11 Depth=1
	s_wait_alu 0xfffe
	s_or_b32 exec_lo, exec_lo, s19
	v_lshlrev_b32_e32 v8, 8, v47
	v_lshl_add_u32 v47, v57, 10, 0x2000
	s_delay_alu instid0(VALU_DEP_1) | instskip(SKIP_1) | instid1(VALU_DEP_1)
	v_and_or_b32 v8, 0x8000, v8, v47
	v_lshlrev_b32_e32 v47, 23, v56
	v_lshl_or_b32 v140, v8, 16, v47
.LBB307_761:                            ;   in Loop: Header=BB307_11 Depth=1
	s_wait_alu 0xfffe
	s_or_b32 exec_lo, exec_lo, s18
.LBB307_762:                            ;   in Loop: Header=BB307_11 Depth=1
	s_wait_alu 0xfffe
	s_or_b32 exec_lo, exec_lo, s17
.LBB307_763:                            ;   in Loop: Header=BB307_11 Depth=1
	s_wait_alu 0xfffe
	s_or_b32 exec_lo, exec_lo, s16
	v_lshrrev_b32_e32 v8, 16, v29
	s_mov_b32 s16, exec_lo
	s_delay_alu instid0(VALU_DEP_1) | instskip(NEXT) | instid1(VALU_DEP_1)
	v_and_b32_e32 v47, 0xff, v8
	v_cmpx_ne_u16_e32 0, v47
	s_cbranch_execz .LBB307_771
; %bb.764:                              ;   in Loop: Header=BB307_11 Depth=1
	v_mov_b32_e32 v139, 0x8000
	s_mov_b32 s17, exec_lo
	v_cmpx_ne_u16_e32 0x80, v47
	s_cbranch_execz .LBB307_770
; %bb.765:                              ;   in Loop: Header=BB307_11 Depth=1
	v_bfe_u32 v57, v29, 16, 7
	v_mov_b32_e32 v139, 0x7c01
	s_mov_b32 s18, exec_lo
	s_delay_alu instid0(VALU_DEP_2)
	v_cmpx_ne_u32_e32 0x7f, v57
	s_cbranch_execz .LBB307_769
; %bb.766:                              ;   in Loop: Header=BB307_11 Depth=1
	v_and_b32_e32 v47, 7, v8
	v_lshrrev_b32_e32 v56, 3, v57
	s_mov_b32 s19, exec_lo
	v_cmpx_gt_u32_e32 8, v57
; %bb.767:                              ;   in Loop: Header=BB307_11 Depth=1
	s_delay_alu instid0(VALU_DEP_3) | instskip(NEXT) | instid1(VALU_DEP_1)
	v_clz_i32_u32_e32 v47, v47
	v_min_u32_e32 v47, 32, v47
	s_delay_alu instid0(VALU_DEP_1) | instskip(NEXT) | instid1(VALU_DEP_1)
	v_subrev_nc_u32_e32 v56, 28, v47
	v_lshlrev_b64_e32 v[57:58], v56, v[8:9]
	v_sub_nc_u32_e32 v56, 29, v47
	s_delay_alu instid0(VALU_DEP_2)
	v_and_b32_e32 v47, 7, v57
; %bb.768:                              ;   in Loop: Header=BB307_11 Depth=1
	s_wait_alu 0xfffe
	s_or_b32 exec_lo, exec_lo, s19
	v_lshlrev_b32_e32 v8, 8, v8
	v_lshl_add_u32 v56, v56, 10, 0x2000
	v_lshlrev_b32_e32 v47, 7, v47
	s_delay_alu instid0(VALU_DEP_3) | instskip(NEXT) | instid1(VALU_DEP_3)
	v_and_b32_e32 v8, 0x8000, v8
	v_and_b32_e32 v56, 0xfc00, v56
	s_delay_alu instid0(VALU_DEP_1)
	v_or3_b32 v139, v8, v56, v47
.LBB307_769:                            ;   in Loop: Header=BB307_11 Depth=1
	s_wait_alu 0xfffe
	s_or_b32 exec_lo, exec_lo, s18
.LBB307_770:                            ;   in Loop: Header=BB307_11 Depth=1
	s_wait_alu 0xfffe
	s_or_b32 exec_lo, exec_lo, s17
.LBB307_771:                            ;   in Loop: Header=BB307_11 Depth=1
	s_wait_alu 0xfffe
	s_or_b32 exec_lo, exec_lo, s16
	v_mov_b32_e32 v91, 0
	v_mov_b32_e32 v141, 0
	s_mov_b32 s16, exec_lo
	v_cmpx_lt_u64_e64 s[2:3], v[28:29]
	s_cbranch_execz .LBB307_779
; %bb.772:                              ;   in Loop: Header=BB307_11 Depth=1
	v_lshrrev_b32_e32 v8, 24, v29
	v_bfrev_b32_e32 v141, 1
	s_mov_b32 s17, exec_lo
	s_delay_alu instid0(VALU_DEP_2)
	v_cmpx_ne_u32_e32 0x80, v8
	s_cbranch_execz .LBB307_778
; %bb.773:                              ;   in Loop: Header=BB307_11 Depth=1
	v_and_b32_e32 v47, 0x7f, v8
	v_mov_b32_e32 v141, 0x7c010000
	s_mov_b32 s18, exec_lo
	s_delay_alu instid0(VALU_DEP_2)
	v_cmpx_ne_u32_e32 0x7f, v47
	s_cbranch_execz .LBB307_777
; %bb.774:                              ;   in Loop: Header=BB307_11 Depth=1
	v_and_b32_e32 v28, 7, v8
	v_lshrrev_b32_e32 v29, 3, v47
	s_mov_b32 s19, exec_lo
	v_cmpx_gt_u32_e32 8, v47
; %bb.775:                              ;   in Loop: Header=BB307_11 Depth=1
	s_delay_alu instid0(VALU_DEP_3) | instskip(NEXT) | instid1(VALU_DEP_1)
	v_clz_i32_u32_e32 v28, v28
	v_min_u32_e32 v47, 32, v28
	s_delay_alu instid0(VALU_DEP_1) | instskip(NEXT) | instid1(VALU_DEP_1)
	v_subrev_nc_u32_e32 v28, 28, v47
	v_lshlrev_b64_e32 v[28:29], v28, v[8:9]
	v_sub_nc_u32_e32 v29, 29, v47
	s_delay_alu instid0(VALU_DEP_2)
	v_and_b32_e32 v28, 7, v28
; %bb.776:                              ;   in Loop: Header=BB307_11 Depth=1
	s_wait_alu 0xfffe
	s_or_b32 exec_lo, exec_lo, s19
	v_lshlrev_b32_e32 v8, 8, v8
	v_lshl_add_u32 v29, v29, 10, 0x2000
	v_lshlrev_b32_e32 v28, 23, v28
	s_delay_alu instid0(VALU_DEP_2) | instskip(NEXT) | instid1(VALU_DEP_1)
	v_and_or_b32 v8, 0x8000, v8, v29
	v_lshl_or_b32 v141, v8, 16, v28
.LBB307_777:                            ;   in Loop: Header=BB307_11 Depth=1
	s_wait_alu 0xfffe
	s_or_b32 exec_lo, exec_lo, s18
.LBB307_778:                            ;   in Loop: Header=BB307_11 Depth=1
	s_wait_alu 0xfffe
	s_or_b32 exec_lo, exec_lo, s17
.LBB307_779:                            ;   in Loop: Header=BB307_11 Depth=1
	s_wait_alu 0xfffe
	s_or_b32 exec_lo, exec_lo, s16
	flat_load_b64 v[28:29], v[20:21] offset:3072
	s_mov_b32 s16, exec_lo
	s_wait_loadcnt_dscnt 0x0
	v_and_b32_e32 v8, 0xff, v28
	s_delay_alu instid0(VALU_DEP_1)
	v_cmpx_ne_u16_e32 0, v8
	s_cbranch_execz .LBB307_787
; %bb.780:                              ;   in Loop: Header=BB307_11 Depth=1
	v_mov_b32_e32 v91, 0x8000
	s_mov_b32 s17, exec_lo
	v_cmpx_ne_u16_e32 0x80, v8
	s_cbranch_execz .LBB307_786
; %bb.781:                              ;   in Loop: Header=BB307_11 Depth=1
	v_and_b32_e32 v56, 0x7f, v28
	v_mov_b32_e32 v91, 0x7c01
	s_mov_b32 s18, exec_lo
	s_delay_alu instid0(VALU_DEP_2)
	v_cmpx_ne_u32_e32 0x7f, v56
	s_cbranch_execz .LBB307_785
; %bb.782:                              ;   in Loop: Header=BB307_11 Depth=1
	v_and_b32_e32 v8, 7, v28
	v_lshrrev_b32_e32 v47, 3, v56
	s_mov_b32 s19, exec_lo
	v_cmpx_gt_u32_e32 8, v56
; %bb.783:                              ;   in Loop: Header=BB307_11 Depth=1
	s_delay_alu instid0(VALU_DEP_3) | instskip(NEXT) | instid1(VALU_DEP_1)
	v_clz_i32_u32_e32 v8, v8
	v_min_u32_e32 v8, 32, v8
	s_delay_alu instid0(VALU_DEP_1) | instskip(NEXT) | instid1(VALU_DEP_1)
	v_subrev_nc_u32_e32 v47, 28, v8
	v_lshlrev_b64_e32 v[56:57], v47, v[28:29]
	v_sub_nc_u32_e32 v47, 29, v8
	s_delay_alu instid0(VALU_DEP_2)
	v_and_b32_e32 v8, 7, v56
; %bb.784:                              ;   in Loop: Header=BB307_11 Depth=1
	s_wait_alu 0xfffe
	s_or_b32 exec_lo, exec_lo, s19
	v_lshlrev_b32_e32 v56, 8, v28
	v_lshl_add_u32 v47, v47, 10, 0x2000
	v_lshlrev_b32_e32 v8, 7, v8
	s_delay_alu instid0(VALU_DEP_3) | instskip(NEXT) | instid1(VALU_DEP_3)
	v_and_b32_e32 v56, 0x8000, v56
	v_and_b32_e32 v47, 0xfc00, v47
	s_delay_alu instid0(VALU_DEP_1)
	v_or3_b32 v91, v56, v47, v8
.LBB307_785:                            ;   in Loop: Header=BB307_11 Depth=1
	s_wait_alu 0xfffe
	s_or_b32 exec_lo, exec_lo, s18
.LBB307_786:                            ;   in Loop: Header=BB307_11 Depth=1
	s_wait_alu 0xfffe
	s_or_b32 exec_lo, exec_lo, s17
.LBB307_787:                            ;   in Loop: Header=BB307_11 Depth=1
	s_wait_alu 0xfffe
	s_or_b32 exec_lo, exec_lo, s16
	v_lshrrev_b16 v8, 8, v28
	v_dual_mov_b32 v93, 0 :: v_dual_mov_b32 v92, 0
	s_mov_b32 s16, exec_lo
	s_delay_alu instid0(VALU_DEP_2)
	v_cmpx_ne_u16_e32 0, v8
	s_cbranch_execz .LBB307_795
; %bb.788:                              ;   in Loop: Header=BB307_11 Depth=1
	v_bfrev_b32_e32 v92, 1
	s_mov_b32 s17, exec_lo
	v_cmpx_ne_u16_e32 0x80, v8
	s_cbranch_execz .LBB307_794
; %bb.789:                              ;   in Loop: Header=BB307_11 Depth=1
	v_and_b32_e32 v47, 0xffff, v8
	v_mov_b32_e32 v92, 0x7c010000
	s_mov_b32 s18, exec_lo
	s_delay_alu instid0(VALU_DEP_2) | instskip(NEXT) | instid1(VALU_DEP_1)
	v_and_b32_e32 v58, 0x7f, v47
	v_cmpx_ne_u32_e32 0x7f, v58
	s_cbranch_execz .LBB307_793
; %bb.790:                              ;   in Loop: Header=BB307_11 Depth=1
	v_and_b32_e32 v56, 7, v47
	v_lshrrev_b32_e32 v57, 3, v58
	s_mov_b32 s19, exec_lo
	v_cmpx_gt_u32_e32 8, v58
; %bb.791:                              ;   in Loop: Header=BB307_11 Depth=1
	s_delay_alu instid0(VALU_DEP_3) | instskip(NEXT) | instid1(VALU_DEP_1)
	v_clz_i32_u32_e32 v56, v56
	v_min_u32_e32 v58, 32, v56
	s_delay_alu instid0(VALU_DEP_1) | instskip(NEXT) | instid1(VALU_DEP_1)
	v_subrev_nc_u32_e32 v56, 28, v58
	v_lshlrev_b64_e32 v[56:57], v56, v[8:9]
	v_sub_nc_u32_e32 v57, 29, v58
	s_delay_alu instid0(VALU_DEP_2)
	v_and_b32_e32 v56, 7, v56
; %bb.792:                              ;   in Loop: Header=BB307_11 Depth=1
	s_wait_alu 0xfffe
	s_or_b32 exec_lo, exec_lo, s19
	v_lshlrev_b32_e32 v8, 8, v47
	v_lshl_add_u32 v47, v57, 10, 0x2000
	s_delay_alu instid0(VALU_DEP_1) | instskip(SKIP_1) | instid1(VALU_DEP_1)
	v_and_or_b32 v8, 0x8000, v8, v47
	v_lshlrev_b32_e32 v47, 23, v56
	v_lshl_or_b32 v92, v8, 16, v47
.LBB307_793:                            ;   in Loop: Header=BB307_11 Depth=1
	s_wait_alu 0xfffe
	s_or_b32 exec_lo, exec_lo, s18
.LBB307_794:                            ;   in Loop: Header=BB307_11 Depth=1
	s_wait_alu 0xfffe
	s_or_b32 exec_lo, exec_lo, s17
.LBB307_795:                            ;   in Loop: Header=BB307_11 Depth=1
	s_wait_alu 0xfffe
	s_or_b32 exec_lo, exec_lo, s16
	v_lshrrev_b32_e32 v8, 16, v28
	s_mov_b32 s16, exec_lo
	s_delay_alu instid0(VALU_DEP_1) | instskip(NEXT) | instid1(VALU_DEP_1)
	v_and_b32_e32 v47, 0xff, v8
	v_cmpx_ne_u16_e32 0, v47
	s_cbranch_execz .LBB307_803
; %bb.796:                              ;   in Loop: Header=BB307_11 Depth=1
	v_mov_b32_e32 v93, 0x8000
	s_mov_b32 s17, exec_lo
	v_cmpx_ne_u16_e32 0x80, v47
	s_cbranch_execz .LBB307_802
; %bb.797:                              ;   in Loop: Header=BB307_11 Depth=1
	v_bfe_u32 v57, v28, 16, 7
	v_mov_b32_e32 v93, 0x7c01
	s_mov_b32 s18, exec_lo
	s_delay_alu instid0(VALU_DEP_2)
	v_cmpx_ne_u32_e32 0x7f, v57
	s_cbranch_execz .LBB307_801
; %bb.798:                              ;   in Loop: Header=BB307_11 Depth=1
	v_and_b32_e32 v47, 7, v8
	v_lshrrev_b32_e32 v56, 3, v57
	s_mov_b32 s19, exec_lo
	v_cmpx_gt_u32_e32 8, v57
; %bb.799:                              ;   in Loop: Header=BB307_11 Depth=1
	s_delay_alu instid0(VALU_DEP_3) | instskip(NEXT) | instid1(VALU_DEP_1)
	v_clz_i32_u32_e32 v47, v47
	v_min_u32_e32 v47, 32, v47
	s_delay_alu instid0(VALU_DEP_1) | instskip(NEXT) | instid1(VALU_DEP_1)
	v_subrev_nc_u32_e32 v56, 28, v47
	v_lshlrev_b64_e32 v[57:58], v56, v[8:9]
	v_sub_nc_u32_e32 v56, 29, v47
	s_delay_alu instid0(VALU_DEP_2)
	v_and_b32_e32 v47, 7, v57
; %bb.800:                              ;   in Loop: Header=BB307_11 Depth=1
	s_wait_alu 0xfffe
	s_or_b32 exec_lo, exec_lo, s19
	v_lshlrev_b32_e32 v8, 8, v8
	v_lshl_add_u32 v56, v56, 10, 0x2000
	v_lshlrev_b32_e32 v47, 7, v47
	s_delay_alu instid0(VALU_DEP_3) | instskip(NEXT) | instid1(VALU_DEP_3)
	v_and_b32_e32 v8, 0x8000, v8
	v_and_b32_e32 v56, 0xfc00, v56
	s_delay_alu instid0(VALU_DEP_1)
	v_or3_b32 v93, v8, v56, v47
.LBB307_801:                            ;   in Loop: Header=BB307_11 Depth=1
	s_wait_alu 0xfffe
	s_or_b32 exec_lo, exec_lo, s18
.LBB307_802:                            ;   in Loop: Header=BB307_11 Depth=1
	s_wait_alu 0xfffe
	s_or_b32 exec_lo, exec_lo, s17
.LBB307_803:                            ;   in Loop: Header=BB307_11 Depth=1
	s_wait_alu 0xfffe
	s_or_b32 exec_lo, exec_lo, s16
	v_mov_b32_e32 v94, 0
	v_mov_b32_e32 v104, 0
	s_mov_b32 s16, exec_lo
	v_cmpx_lt_u32_e32 0xffffff, v28
	s_cbranch_execz .LBB307_811
; %bb.804:                              ;   in Loop: Header=BB307_11 Depth=1
	v_lshrrev_b32_e32 v8, 24, v28
	v_bfrev_b32_e32 v104, 1
	s_mov_b32 s17, exec_lo
	s_delay_alu instid0(VALU_DEP_2)
	v_cmpx_ne_u32_e32 0x80, v8
	s_cbranch_execz .LBB307_810
; %bb.805:                              ;   in Loop: Header=BB307_11 Depth=1
	v_and_b32_e32 v57, 0x7f, v8
	v_mov_b32_e32 v104, 0x7c010000
	s_mov_b32 s18, exec_lo
	s_delay_alu instid0(VALU_DEP_2)
	v_cmpx_ne_u32_e32 0x7f, v57
	s_cbranch_execz .LBB307_809
; %bb.806:                              ;   in Loop: Header=BB307_11 Depth=1
	v_and_b32_e32 v47, 7, v8
	v_lshrrev_b32_e32 v56, 3, v57
	s_mov_b32 s19, exec_lo
	v_cmpx_gt_u32_e32 8, v57
; %bb.807:                              ;   in Loop: Header=BB307_11 Depth=1
	s_delay_alu instid0(VALU_DEP_3) | instskip(NEXT) | instid1(VALU_DEP_1)
	v_clz_i32_u32_e32 v47, v47
	v_min_u32_e32 v47, 32, v47
	s_delay_alu instid0(VALU_DEP_1) | instskip(NEXT) | instid1(VALU_DEP_1)
	v_subrev_nc_u32_e32 v56, 28, v47
	v_lshlrev_b64_e32 v[57:58], v56, v[8:9]
	v_sub_nc_u32_e32 v56, 29, v47
	s_delay_alu instid0(VALU_DEP_2)
	v_and_b32_e32 v47, 7, v57
; %bb.808:                              ;   in Loop: Header=BB307_11 Depth=1
	s_wait_alu 0xfffe
	s_or_b32 exec_lo, exec_lo, s19
	v_lshlrev_b32_e32 v8, 8, v8
	v_lshl_add_u32 v56, v56, 10, 0x2000
	v_lshlrev_b32_e32 v47, 23, v47
	s_delay_alu instid0(VALU_DEP_2) | instskip(NEXT) | instid1(VALU_DEP_1)
	v_and_or_b32 v8, 0x8000, v8, v56
	v_lshl_or_b32 v104, v8, 16, v47
.LBB307_809:                            ;   in Loop: Header=BB307_11 Depth=1
	s_wait_alu 0xfffe
	s_or_b32 exec_lo, exec_lo, s18
.LBB307_810:                            ;   in Loop: Header=BB307_11 Depth=1
	s_wait_alu 0xfffe
	s_or_b32 exec_lo, exec_lo, s17
.LBB307_811:                            ;   in Loop: Header=BB307_11 Depth=1
	s_wait_alu 0xfffe
	s_or_b32 exec_lo, exec_lo, s16
	v_dual_mov_b32 v8, v29 :: v_dual_and_b32 v47, 0xff, v29
	s_mov_b32 s16, exec_lo
	s_delay_alu instid0(VALU_DEP_1)
	v_cmpx_ne_u16_e32 0, v47
	s_cbranch_execz .LBB307_819
; %bb.812:                              ;   in Loop: Header=BB307_11 Depth=1
	v_mov_b32_e32 v94, 0x8000
	s_mov_b32 s17, exec_lo
	v_cmpx_ne_u16_e32 0x80, v47
	s_cbranch_execz .LBB307_818
; %bb.813:                              ;   in Loop: Header=BB307_11 Depth=1
	v_and_b32_e32 v57, 0x7f, v29
	v_mov_b32_e32 v94, 0x7c01
	s_mov_b32 s18, exec_lo
	s_delay_alu instid0(VALU_DEP_2)
	v_cmpx_ne_u32_e32 0x7f, v57
	s_cbranch_execz .LBB307_817
; %bb.814:                              ;   in Loop: Header=BB307_11 Depth=1
	v_and_b32_e32 v47, 7, v29
	v_lshrrev_b32_e32 v56, 3, v57
	s_mov_b32 s19, exec_lo
	v_cmpx_gt_u32_e32 8, v57
; %bb.815:                              ;   in Loop: Header=BB307_11 Depth=1
	s_delay_alu instid0(VALU_DEP_3) | instskip(NEXT) | instid1(VALU_DEP_1)
	v_clz_i32_u32_e32 v47, v47
	v_min_u32_e32 v47, 32, v47
	s_delay_alu instid0(VALU_DEP_1) | instskip(NEXT) | instid1(VALU_DEP_1)
	v_subrev_nc_u32_e32 v56, 28, v47
	v_lshlrev_b64_e32 v[57:58], v56, v[8:9]
	v_sub_nc_u32_e32 v56, 29, v47
	s_delay_alu instid0(VALU_DEP_2)
	v_and_b32_e32 v47, 7, v57
; %bb.816:                              ;   in Loop: Header=BB307_11 Depth=1
	s_wait_alu 0xfffe
	s_or_b32 exec_lo, exec_lo, s19
	v_lshlrev_b32_e32 v57, 8, v29
	v_lshl_add_u32 v56, v56, 10, 0x2000
	v_lshlrev_b32_e32 v47, 7, v47
	s_delay_alu instid0(VALU_DEP_3) | instskip(NEXT) | instid1(VALU_DEP_3)
	v_and_b32_e32 v57, 0x8000, v57
	v_and_b32_e32 v56, 0xfc00, v56
	s_delay_alu instid0(VALU_DEP_1)
	v_or3_b32 v94, v57, v56, v47
.LBB307_817:                            ;   in Loop: Header=BB307_11 Depth=1
	s_wait_alu 0xfffe
	s_or_b32 exec_lo, exec_lo, s18
.LBB307_818:                            ;   in Loop: Header=BB307_11 Depth=1
	s_wait_alu 0xfffe
	s_or_b32 exec_lo, exec_lo, s17
.LBB307_819:                            ;   in Loop: Header=BB307_11 Depth=1
	s_wait_alu 0xfffe
	s_or_b32 exec_lo, exec_lo, s16
	v_lshrrev_b16 v8, 8, v8
	v_dual_mov_b32 v124, 0 :: v_dual_mov_b32 v125, 0
	s_mov_b32 s16, exec_lo
	s_delay_alu instid0(VALU_DEP_2)
	v_cmpx_ne_u16_e32 0, v8
	s_cbranch_execz .LBB307_827
; %bb.820:                              ;   in Loop: Header=BB307_11 Depth=1
	v_bfrev_b32_e32 v125, 1
	s_mov_b32 s17, exec_lo
	v_cmpx_ne_u16_e32 0x80, v8
	s_cbranch_execz .LBB307_826
; %bb.821:                              ;   in Loop: Header=BB307_11 Depth=1
	v_and_b32_e32 v47, 0xffff, v8
	v_mov_b32_e32 v125, 0x7c010000
	s_mov_b32 s18, exec_lo
	s_delay_alu instid0(VALU_DEP_2) | instskip(NEXT) | instid1(VALU_DEP_1)
	v_and_b32_e32 v58, 0x7f, v47
	v_cmpx_ne_u32_e32 0x7f, v58
	s_cbranch_execz .LBB307_825
; %bb.822:                              ;   in Loop: Header=BB307_11 Depth=1
	v_and_b32_e32 v56, 7, v47
	v_lshrrev_b32_e32 v57, 3, v58
	s_mov_b32 s19, exec_lo
	v_cmpx_gt_u32_e32 8, v58
; %bb.823:                              ;   in Loop: Header=BB307_11 Depth=1
	s_delay_alu instid0(VALU_DEP_3) | instskip(NEXT) | instid1(VALU_DEP_1)
	v_clz_i32_u32_e32 v56, v56
	v_min_u32_e32 v58, 32, v56
	s_delay_alu instid0(VALU_DEP_1) | instskip(NEXT) | instid1(VALU_DEP_1)
	v_subrev_nc_u32_e32 v56, 28, v58
	v_lshlrev_b64_e32 v[56:57], v56, v[8:9]
	v_sub_nc_u32_e32 v57, 29, v58
	s_delay_alu instid0(VALU_DEP_2)
	v_and_b32_e32 v56, 7, v56
; %bb.824:                              ;   in Loop: Header=BB307_11 Depth=1
	s_wait_alu 0xfffe
	s_or_b32 exec_lo, exec_lo, s19
	v_lshlrev_b32_e32 v8, 8, v47
	v_lshl_add_u32 v47, v57, 10, 0x2000
	s_delay_alu instid0(VALU_DEP_1) | instskip(SKIP_1) | instid1(VALU_DEP_1)
	v_and_or_b32 v8, 0x8000, v8, v47
	v_lshlrev_b32_e32 v47, 23, v56
	v_lshl_or_b32 v125, v8, 16, v47
.LBB307_825:                            ;   in Loop: Header=BB307_11 Depth=1
	s_wait_alu 0xfffe
	s_or_b32 exec_lo, exec_lo, s18
.LBB307_826:                            ;   in Loop: Header=BB307_11 Depth=1
	s_wait_alu 0xfffe
	s_or_b32 exec_lo, exec_lo, s17
.LBB307_827:                            ;   in Loop: Header=BB307_11 Depth=1
	s_wait_alu 0xfffe
	s_or_b32 exec_lo, exec_lo, s16
	v_lshrrev_b32_e32 v8, 16, v29
	s_mov_b32 s16, exec_lo
	s_delay_alu instid0(VALU_DEP_1) | instskip(NEXT) | instid1(VALU_DEP_1)
	v_and_b32_e32 v47, 0xff, v8
	v_cmpx_ne_u16_e32 0, v47
	s_cbranch_execz .LBB307_835
; %bb.828:                              ;   in Loop: Header=BB307_11 Depth=1
	v_mov_b32_e32 v124, 0x8000
	s_mov_b32 s17, exec_lo
	v_cmpx_ne_u16_e32 0x80, v47
	s_cbranch_execz .LBB307_834
; %bb.829:                              ;   in Loop: Header=BB307_11 Depth=1
	v_bfe_u32 v57, v29, 16, 7
	v_mov_b32_e32 v124, 0x7c01
	s_mov_b32 s18, exec_lo
	s_delay_alu instid0(VALU_DEP_2)
	v_cmpx_ne_u32_e32 0x7f, v57
	s_cbranch_execz .LBB307_833
; %bb.830:                              ;   in Loop: Header=BB307_11 Depth=1
	v_and_b32_e32 v47, 7, v8
	v_lshrrev_b32_e32 v56, 3, v57
	s_mov_b32 s19, exec_lo
	v_cmpx_gt_u32_e32 8, v57
; %bb.831:                              ;   in Loop: Header=BB307_11 Depth=1
	s_delay_alu instid0(VALU_DEP_3) | instskip(NEXT) | instid1(VALU_DEP_1)
	v_clz_i32_u32_e32 v47, v47
	v_min_u32_e32 v47, 32, v47
	s_delay_alu instid0(VALU_DEP_1) | instskip(NEXT) | instid1(VALU_DEP_1)
	v_subrev_nc_u32_e32 v56, 28, v47
	v_lshlrev_b64_e32 v[57:58], v56, v[8:9]
	v_sub_nc_u32_e32 v56, 29, v47
	s_delay_alu instid0(VALU_DEP_2)
	v_and_b32_e32 v47, 7, v57
; %bb.832:                              ;   in Loop: Header=BB307_11 Depth=1
	s_wait_alu 0xfffe
	s_or_b32 exec_lo, exec_lo, s19
	v_lshlrev_b32_e32 v8, 8, v8
	v_lshl_add_u32 v56, v56, 10, 0x2000
	v_lshlrev_b32_e32 v47, 7, v47
	s_delay_alu instid0(VALU_DEP_3) | instskip(NEXT) | instid1(VALU_DEP_3)
	v_and_b32_e32 v8, 0x8000, v8
	v_and_b32_e32 v56, 0xfc00, v56
	s_delay_alu instid0(VALU_DEP_1)
	v_or3_b32 v124, v8, v56, v47
.LBB307_833:                            ;   in Loop: Header=BB307_11 Depth=1
	s_wait_alu 0xfffe
	s_or_b32 exec_lo, exec_lo, s18
.LBB307_834:                            ;   in Loop: Header=BB307_11 Depth=1
	s_wait_alu 0xfffe
	s_or_b32 exec_lo, exec_lo, s17
.LBB307_835:                            ;   in Loop: Header=BB307_11 Depth=1
	s_wait_alu 0xfffe
	s_or_b32 exec_lo, exec_lo, s16
	v_dual_mov_b32 v63, 0 :: v_dual_mov_b32 v126, 0
	s_mov_b32 s16, exec_lo
	v_cmpx_lt_u64_e64 s[2:3], v[28:29]
	s_cbranch_execz .LBB307_843
; %bb.836:                              ;   in Loop: Header=BB307_11 Depth=1
	v_lshrrev_b32_e32 v8, 24, v29
	v_bfrev_b32_e32 v126, 1
	s_mov_b32 s17, exec_lo
	s_delay_alu instid0(VALU_DEP_2)
	v_cmpx_ne_u32_e32 0x80, v8
	s_cbranch_execz .LBB307_842
; %bb.837:                              ;   in Loop: Header=BB307_11 Depth=1
	v_and_b32_e32 v47, 0x7f, v8
	v_mov_b32_e32 v126, 0x7c010000
	s_mov_b32 s18, exec_lo
	s_delay_alu instid0(VALU_DEP_2)
	v_cmpx_ne_u32_e32 0x7f, v47
	s_cbranch_execz .LBB307_841
; %bb.838:                              ;   in Loop: Header=BB307_11 Depth=1
	v_and_b32_e32 v28, 7, v8
	v_lshrrev_b32_e32 v29, 3, v47
	s_mov_b32 s19, exec_lo
	v_cmpx_gt_u32_e32 8, v47
; %bb.839:                              ;   in Loop: Header=BB307_11 Depth=1
	s_delay_alu instid0(VALU_DEP_3) | instskip(NEXT) | instid1(VALU_DEP_1)
	v_clz_i32_u32_e32 v28, v28
	v_min_u32_e32 v47, 32, v28
	s_delay_alu instid0(VALU_DEP_1) | instskip(NEXT) | instid1(VALU_DEP_1)
	v_subrev_nc_u32_e32 v28, 28, v47
	v_lshlrev_b64_e32 v[28:29], v28, v[8:9]
	v_sub_nc_u32_e32 v29, 29, v47
	s_delay_alu instid0(VALU_DEP_2)
	v_and_b32_e32 v28, 7, v28
; %bb.840:                              ;   in Loop: Header=BB307_11 Depth=1
	s_wait_alu 0xfffe
	s_or_b32 exec_lo, exec_lo, s19
	v_lshlrev_b32_e32 v8, 8, v8
	v_lshl_add_u32 v29, v29, 10, 0x2000
	v_lshlrev_b32_e32 v28, 23, v28
	s_delay_alu instid0(VALU_DEP_2) | instskip(NEXT) | instid1(VALU_DEP_1)
	v_and_or_b32 v8, 0x8000, v8, v29
	v_lshl_or_b32 v126, v8, 16, v28
.LBB307_841:                            ;   in Loop: Header=BB307_11 Depth=1
	s_wait_alu 0xfffe
	s_or_b32 exec_lo, exec_lo, s18
.LBB307_842:                            ;   in Loop: Header=BB307_11 Depth=1
	s_wait_alu 0xfffe
	s_or_b32 exec_lo, exec_lo, s17
.LBB307_843:                            ;   in Loop: Header=BB307_11 Depth=1
	s_wait_alu 0xfffe
	s_or_b32 exec_lo, exec_lo, s16
	flat_load_b64 v[28:29], v[20:21] offset:3080
	s_mov_b32 s16, exec_lo
	s_wait_loadcnt_dscnt 0x0
	v_and_b32_e32 v8, 0xff, v28
	s_delay_alu instid0(VALU_DEP_1)
	v_cmpx_ne_u16_e32 0, v8
	s_cbranch_execz .LBB307_851
; %bb.844:                              ;   in Loop: Header=BB307_11 Depth=1
	v_mov_b32_e32 v63, 0x8000
	s_mov_b32 s17, exec_lo
	v_cmpx_ne_u16_e32 0x80, v8
	s_cbranch_execz .LBB307_850
; %bb.845:                              ;   in Loop: Header=BB307_11 Depth=1
	v_and_b32_e32 v56, 0x7f, v28
	v_mov_b32_e32 v63, 0x7c01
	s_mov_b32 s18, exec_lo
	s_delay_alu instid0(VALU_DEP_2)
	v_cmpx_ne_u32_e32 0x7f, v56
	s_cbranch_execz .LBB307_849
; %bb.846:                              ;   in Loop: Header=BB307_11 Depth=1
	v_and_b32_e32 v8, 7, v28
	v_lshrrev_b32_e32 v47, 3, v56
	s_mov_b32 s19, exec_lo
	v_cmpx_gt_u32_e32 8, v56
; %bb.847:                              ;   in Loop: Header=BB307_11 Depth=1
	s_delay_alu instid0(VALU_DEP_3) | instskip(NEXT) | instid1(VALU_DEP_1)
	v_clz_i32_u32_e32 v8, v8
	v_min_u32_e32 v8, 32, v8
	s_delay_alu instid0(VALU_DEP_1) | instskip(NEXT) | instid1(VALU_DEP_1)
	v_subrev_nc_u32_e32 v47, 28, v8
	v_lshlrev_b64_e32 v[56:57], v47, v[28:29]
	v_sub_nc_u32_e32 v47, 29, v8
	s_delay_alu instid0(VALU_DEP_2)
	v_and_b32_e32 v8, 7, v56
; %bb.848:                              ;   in Loop: Header=BB307_11 Depth=1
	s_wait_alu 0xfffe
	s_or_b32 exec_lo, exec_lo, s19
	v_lshlrev_b32_e32 v56, 8, v28
	v_lshl_add_u32 v47, v47, 10, 0x2000
	v_lshlrev_b32_e32 v8, 7, v8
	s_delay_alu instid0(VALU_DEP_3) | instskip(NEXT) | instid1(VALU_DEP_3)
	v_and_b32_e32 v56, 0x8000, v56
	v_and_b32_e32 v47, 0xfc00, v47
	s_delay_alu instid0(VALU_DEP_1)
	v_or3_b32 v63, v56, v47, v8
.LBB307_849:                            ;   in Loop: Header=BB307_11 Depth=1
	s_wait_alu 0xfffe
	s_or_b32 exec_lo, exec_lo, s18
.LBB307_850:                            ;   in Loop: Header=BB307_11 Depth=1
	s_wait_alu 0xfffe
	s_or_b32 exec_lo, exec_lo, s17
.LBB307_851:                            ;   in Loop: Header=BB307_11 Depth=1
	s_wait_alu 0xfffe
	s_or_b32 exec_lo, exec_lo, s16
	v_lshrrev_b16 v8, 8, v28
	v_dual_mov_b32 v75, 0 :: v_dual_mov_b32 v72, 0
	s_mov_b32 s16, exec_lo
	s_delay_alu instid0(VALU_DEP_2)
	v_cmpx_ne_u16_e32 0, v8
	s_cbranch_execz .LBB307_859
; %bb.852:                              ;   in Loop: Header=BB307_11 Depth=1
	v_bfrev_b32_e32 v72, 1
	s_mov_b32 s17, exec_lo
	v_cmpx_ne_u16_e32 0x80, v8
	s_cbranch_execz .LBB307_858
; %bb.853:                              ;   in Loop: Header=BB307_11 Depth=1
	v_and_b32_e32 v47, 0xffff, v8
	v_mov_b32_e32 v72, 0x7c010000
	s_mov_b32 s18, exec_lo
	s_delay_alu instid0(VALU_DEP_2) | instskip(NEXT) | instid1(VALU_DEP_1)
	v_and_b32_e32 v58, 0x7f, v47
	v_cmpx_ne_u32_e32 0x7f, v58
	s_cbranch_execz .LBB307_857
; %bb.854:                              ;   in Loop: Header=BB307_11 Depth=1
	v_and_b32_e32 v56, 7, v47
	v_lshrrev_b32_e32 v57, 3, v58
	s_mov_b32 s19, exec_lo
	v_cmpx_gt_u32_e32 8, v58
; %bb.855:                              ;   in Loop: Header=BB307_11 Depth=1
	s_delay_alu instid0(VALU_DEP_3) | instskip(NEXT) | instid1(VALU_DEP_1)
	v_clz_i32_u32_e32 v56, v56
	v_min_u32_e32 v58, 32, v56
	s_delay_alu instid0(VALU_DEP_1) | instskip(NEXT) | instid1(VALU_DEP_1)
	v_subrev_nc_u32_e32 v56, 28, v58
	v_lshlrev_b64_e32 v[56:57], v56, v[8:9]
	v_sub_nc_u32_e32 v57, 29, v58
	s_delay_alu instid0(VALU_DEP_2)
	v_and_b32_e32 v56, 7, v56
; %bb.856:                              ;   in Loop: Header=BB307_11 Depth=1
	s_wait_alu 0xfffe
	s_or_b32 exec_lo, exec_lo, s19
	v_lshlrev_b32_e32 v8, 8, v47
	v_lshl_add_u32 v47, v57, 10, 0x2000
	s_delay_alu instid0(VALU_DEP_1) | instskip(SKIP_1) | instid1(VALU_DEP_1)
	v_and_or_b32 v8, 0x8000, v8, v47
	v_lshlrev_b32_e32 v47, 23, v56
	v_lshl_or_b32 v72, v8, 16, v47
.LBB307_857:                            ;   in Loop: Header=BB307_11 Depth=1
	s_wait_alu 0xfffe
	s_or_b32 exec_lo, exec_lo, s18
.LBB307_858:                            ;   in Loop: Header=BB307_11 Depth=1
	s_wait_alu 0xfffe
	s_or_b32 exec_lo, exec_lo, s17
.LBB307_859:                            ;   in Loop: Header=BB307_11 Depth=1
	s_wait_alu 0xfffe
	s_or_b32 exec_lo, exec_lo, s16
	v_lshrrev_b32_e32 v8, 16, v28
	s_mov_b32 s16, exec_lo
	s_delay_alu instid0(VALU_DEP_1) | instskip(NEXT) | instid1(VALU_DEP_1)
	v_and_b32_e32 v47, 0xff, v8
	v_cmpx_ne_u16_e32 0, v47
	s_cbranch_execz .LBB307_867
; %bb.860:                              ;   in Loop: Header=BB307_11 Depth=1
	v_mov_b32_e32 v75, 0x8000
	s_mov_b32 s17, exec_lo
	v_cmpx_ne_u16_e32 0x80, v47
	s_cbranch_execz .LBB307_866
; %bb.861:                              ;   in Loop: Header=BB307_11 Depth=1
	v_bfe_u32 v57, v28, 16, 7
	v_mov_b32_e32 v75, 0x7c01
	s_mov_b32 s18, exec_lo
	s_delay_alu instid0(VALU_DEP_2)
	v_cmpx_ne_u32_e32 0x7f, v57
	s_cbranch_execz .LBB307_865
; %bb.862:                              ;   in Loop: Header=BB307_11 Depth=1
	v_and_b32_e32 v47, 7, v8
	v_lshrrev_b32_e32 v56, 3, v57
	s_mov_b32 s19, exec_lo
	v_cmpx_gt_u32_e32 8, v57
; %bb.863:                              ;   in Loop: Header=BB307_11 Depth=1
	s_delay_alu instid0(VALU_DEP_3) | instskip(NEXT) | instid1(VALU_DEP_1)
	v_clz_i32_u32_e32 v47, v47
	v_min_u32_e32 v47, 32, v47
	s_delay_alu instid0(VALU_DEP_1) | instskip(NEXT) | instid1(VALU_DEP_1)
	v_subrev_nc_u32_e32 v56, 28, v47
	v_lshlrev_b64_e32 v[57:58], v56, v[8:9]
	v_sub_nc_u32_e32 v56, 29, v47
	s_delay_alu instid0(VALU_DEP_2)
	v_and_b32_e32 v47, 7, v57
; %bb.864:                              ;   in Loop: Header=BB307_11 Depth=1
	s_wait_alu 0xfffe
	s_or_b32 exec_lo, exec_lo, s19
	v_lshlrev_b32_e32 v8, 8, v8
	v_lshl_add_u32 v56, v56, 10, 0x2000
	v_lshlrev_b32_e32 v47, 7, v47
	s_delay_alu instid0(VALU_DEP_3) | instskip(NEXT) | instid1(VALU_DEP_3)
	v_and_b32_e32 v8, 0x8000, v8
	v_and_b32_e32 v56, 0xfc00, v56
	s_delay_alu instid0(VALU_DEP_1)
	v_or3_b32 v75, v8, v56, v47
.LBB307_865:                            ;   in Loop: Header=BB307_11 Depth=1
	s_wait_alu 0xfffe
	s_or_b32 exec_lo, exec_lo, s18
.LBB307_866:                            ;   in Loop: Header=BB307_11 Depth=1
	s_wait_alu 0xfffe
	s_or_b32 exec_lo, exec_lo, s17
.LBB307_867:                            ;   in Loop: Header=BB307_11 Depth=1
	s_wait_alu 0xfffe
	s_or_b32 exec_lo, exec_lo, s16
	v_dual_mov_b32 v76, 0 :: v_dual_mov_b32 v77, 0
	s_mov_b32 s16, exec_lo
	v_cmpx_lt_u32_e32 0xffffff, v28
	s_cbranch_execz .LBB307_875
; %bb.868:                              ;   in Loop: Header=BB307_11 Depth=1
	v_lshrrev_b32_e32 v8, 24, v28
	v_bfrev_b32_e32 v77, 1
	s_mov_b32 s17, exec_lo
	s_delay_alu instid0(VALU_DEP_2)
	v_cmpx_ne_u32_e32 0x80, v8
	s_cbranch_execz .LBB307_874
; %bb.869:                              ;   in Loop: Header=BB307_11 Depth=1
	v_and_b32_e32 v57, 0x7f, v8
	v_mov_b32_e32 v77, 0x7c010000
	s_mov_b32 s18, exec_lo
	s_delay_alu instid0(VALU_DEP_2)
	v_cmpx_ne_u32_e32 0x7f, v57
	s_cbranch_execz .LBB307_873
; %bb.870:                              ;   in Loop: Header=BB307_11 Depth=1
	v_and_b32_e32 v47, 7, v8
	v_lshrrev_b32_e32 v56, 3, v57
	s_mov_b32 s19, exec_lo
	v_cmpx_gt_u32_e32 8, v57
; %bb.871:                              ;   in Loop: Header=BB307_11 Depth=1
	s_delay_alu instid0(VALU_DEP_3) | instskip(NEXT) | instid1(VALU_DEP_1)
	v_clz_i32_u32_e32 v47, v47
	v_min_u32_e32 v47, 32, v47
	s_delay_alu instid0(VALU_DEP_1) | instskip(NEXT) | instid1(VALU_DEP_1)
	v_subrev_nc_u32_e32 v56, 28, v47
	v_lshlrev_b64_e32 v[57:58], v56, v[8:9]
	v_sub_nc_u32_e32 v56, 29, v47
	s_delay_alu instid0(VALU_DEP_2)
	v_and_b32_e32 v47, 7, v57
; %bb.872:                              ;   in Loop: Header=BB307_11 Depth=1
	s_wait_alu 0xfffe
	s_or_b32 exec_lo, exec_lo, s19
	v_lshlrev_b32_e32 v8, 8, v8
	v_lshl_add_u32 v56, v56, 10, 0x2000
	v_lshlrev_b32_e32 v47, 23, v47
	s_delay_alu instid0(VALU_DEP_2) | instskip(NEXT) | instid1(VALU_DEP_1)
	v_and_or_b32 v8, 0x8000, v8, v56
	v_lshl_or_b32 v77, v8, 16, v47
.LBB307_873:                            ;   in Loop: Header=BB307_11 Depth=1
	s_wait_alu 0xfffe
	s_or_b32 exec_lo, exec_lo, s18
.LBB307_874:                            ;   in Loop: Header=BB307_11 Depth=1
	s_wait_alu 0xfffe
	s_or_b32 exec_lo, exec_lo, s17
.LBB307_875:                            ;   in Loop: Header=BB307_11 Depth=1
	s_wait_alu 0xfffe
	s_or_b32 exec_lo, exec_lo, s16
	v_dual_mov_b32 v8, v29 :: v_dual_and_b32 v47, 0xff, v29
	s_mov_b32 s16, exec_lo
	s_delay_alu instid0(VALU_DEP_1)
	v_cmpx_ne_u16_e32 0, v47
	s_cbranch_execz .LBB307_883
; %bb.876:                              ;   in Loop: Header=BB307_11 Depth=1
	v_mov_b32_e32 v76, 0x8000
	s_mov_b32 s17, exec_lo
	v_cmpx_ne_u16_e32 0x80, v47
	s_cbranch_execz .LBB307_882
; %bb.877:                              ;   in Loop: Header=BB307_11 Depth=1
	v_and_b32_e32 v57, 0x7f, v29
	v_mov_b32_e32 v76, 0x7c01
	s_mov_b32 s18, exec_lo
	s_delay_alu instid0(VALU_DEP_2)
	v_cmpx_ne_u32_e32 0x7f, v57
	s_cbranch_execz .LBB307_881
; %bb.878:                              ;   in Loop: Header=BB307_11 Depth=1
	v_and_b32_e32 v47, 7, v29
	v_lshrrev_b32_e32 v56, 3, v57
	s_mov_b32 s19, exec_lo
	v_cmpx_gt_u32_e32 8, v57
; %bb.879:                              ;   in Loop: Header=BB307_11 Depth=1
	s_delay_alu instid0(VALU_DEP_3) | instskip(NEXT) | instid1(VALU_DEP_1)
	v_clz_i32_u32_e32 v47, v47
	v_min_u32_e32 v47, 32, v47
	s_delay_alu instid0(VALU_DEP_1) | instskip(NEXT) | instid1(VALU_DEP_1)
	v_subrev_nc_u32_e32 v56, 28, v47
	v_lshlrev_b64_e32 v[57:58], v56, v[8:9]
	v_sub_nc_u32_e32 v56, 29, v47
	s_delay_alu instid0(VALU_DEP_2)
	v_and_b32_e32 v47, 7, v57
; %bb.880:                              ;   in Loop: Header=BB307_11 Depth=1
	s_wait_alu 0xfffe
	s_or_b32 exec_lo, exec_lo, s19
	v_lshlrev_b32_e32 v57, 8, v29
	v_lshl_add_u32 v56, v56, 10, 0x2000
	v_lshlrev_b32_e32 v47, 7, v47
	s_delay_alu instid0(VALU_DEP_3) | instskip(NEXT) | instid1(VALU_DEP_3)
	v_and_b32_e32 v57, 0x8000, v57
	v_and_b32_e32 v56, 0xfc00, v56
	s_delay_alu instid0(VALU_DEP_1)
	v_or3_b32 v76, v57, v56, v47
.LBB307_881:                            ;   in Loop: Header=BB307_11 Depth=1
	s_wait_alu 0xfffe
	s_or_b32 exec_lo, exec_lo, s18
.LBB307_882:                            ;   in Loop: Header=BB307_11 Depth=1
	s_wait_alu 0xfffe
	s_or_b32 exec_lo, exec_lo, s17
.LBB307_883:                            ;   in Loop: Header=BB307_11 Depth=1
	s_wait_alu 0xfffe
	s_or_b32 exec_lo, exec_lo, s16
	v_lshrrev_b16 v8, 8, v8
	v_mov_b32_e32 v105, 0
	v_mov_b32_e32 v107, 0
	s_mov_b32 s16, exec_lo
	s_delay_alu instid0(VALU_DEP_3)
	v_cmpx_ne_u16_e32 0, v8
	s_cbranch_execz .LBB307_891
; %bb.884:                              ;   in Loop: Header=BB307_11 Depth=1
	v_bfrev_b32_e32 v107, 1
	s_mov_b32 s17, exec_lo
	v_cmpx_ne_u16_e32 0x80, v8
	s_cbranch_execz .LBB307_890
; %bb.885:                              ;   in Loop: Header=BB307_11 Depth=1
	v_and_b32_e32 v47, 0xffff, v8
	v_mov_b32_e32 v107, 0x7c010000
	s_mov_b32 s18, exec_lo
	s_delay_alu instid0(VALU_DEP_2) | instskip(NEXT) | instid1(VALU_DEP_1)
	v_and_b32_e32 v58, 0x7f, v47
	v_cmpx_ne_u32_e32 0x7f, v58
	s_cbranch_execz .LBB307_889
; %bb.886:                              ;   in Loop: Header=BB307_11 Depth=1
	v_and_b32_e32 v56, 7, v47
	v_lshrrev_b32_e32 v57, 3, v58
	s_mov_b32 s19, exec_lo
	v_cmpx_gt_u32_e32 8, v58
; %bb.887:                              ;   in Loop: Header=BB307_11 Depth=1
	s_delay_alu instid0(VALU_DEP_3) | instskip(NEXT) | instid1(VALU_DEP_1)
	v_clz_i32_u32_e32 v56, v56
	v_min_u32_e32 v58, 32, v56
	s_delay_alu instid0(VALU_DEP_1) | instskip(NEXT) | instid1(VALU_DEP_1)
	v_subrev_nc_u32_e32 v56, 28, v58
	v_lshlrev_b64_e32 v[56:57], v56, v[8:9]
	v_sub_nc_u32_e32 v57, 29, v58
	s_delay_alu instid0(VALU_DEP_2)
	v_and_b32_e32 v56, 7, v56
; %bb.888:                              ;   in Loop: Header=BB307_11 Depth=1
	s_wait_alu 0xfffe
	s_or_b32 exec_lo, exec_lo, s19
	v_lshlrev_b32_e32 v8, 8, v47
	v_lshl_add_u32 v47, v57, 10, 0x2000
	s_delay_alu instid0(VALU_DEP_1) | instskip(SKIP_1) | instid1(VALU_DEP_1)
	v_and_or_b32 v8, 0x8000, v8, v47
	v_lshlrev_b32_e32 v47, 23, v56
	v_lshl_or_b32 v107, v8, 16, v47
.LBB307_889:                            ;   in Loop: Header=BB307_11 Depth=1
	s_wait_alu 0xfffe
	s_or_b32 exec_lo, exec_lo, s18
.LBB307_890:                            ;   in Loop: Header=BB307_11 Depth=1
	s_wait_alu 0xfffe
	s_or_b32 exec_lo, exec_lo, s17
.LBB307_891:                            ;   in Loop: Header=BB307_11 Depth=1
	s_wait_alu 0xfffe
	s_or_b32 exec_lo, exec_lo, s16
	v_lshrrev_b32_e32 v8, 16, v29
	s_mov_b32 s16, exec_lo
	s_delay_alu instid0(VALU_DEP_1) | instskip(NEXT) | instid1(VALU_DEP_1)
	v_and_b32_e32 v47, 0xff, v8
	v_cmpx_ne_u16_e32 0, v47
	s_cbranch_execz .LBB307_899
; %bb.892:                              ;   in Loop: Header=BB307_11 Depth=1
	v_mov_b32_e32 v105, 0x8000
	s_mov_b32 s17, exec_lo
	v_cmpx_ne_u16_e32 0x80, v47
	s_cbranch_execz .LBB307_898
; %bb.893:                              ;   in Loop: Header=BB307_11 Depth=1
	v_bfe_u32 v57, v29, 16, 7
	v_mov_b32_e32 v105, 0x7c01
	s_mov_b32 s18, exec_lo
	s_delay_alu instid0(VALU_DEP_2)
	v_cmpx_ne_u32_e32 0x7f, v57
	s_cbranch_execz .LBB307_897
; %bb.894:                              ;   in Loop: Header=BB307_11 Depth=1
	v_and_b32_e32 v47, 7, v8
	v_lshrrev_b32_e32 v56, 3, v57
	s_mov_b32 s19, exec_lo
	v_cmpx_gt_u32_e32 8, v57
; %bb.895:                              ;   in Loop: Header=BB307_11 Depth=1
	s_delay_alu instid0(VALU_DEP_3) | instskip(NEXT) | instid1(VALU_DEP_1)
	v_clz_i32_u32_e32 v47, v47
	v_min_u32_e32 v47, 32, v47
	s_delay_alu instid0(VALU_DEP_1) | instskip(NEXT) | instid1(VALU_DEP_1)
	v_subrev_nc_u32_e32 v56, 28, v47
	v_lshlrev_b64_e32 v[57:58], v56, v[8:9]
	v_sub_nc_u32_e32 v56, 29, v47
	s_delay_alu instid0(VALU_DEP_2)
	v_and_b32_e32 v47, 7, v57
; %bb.896:                              ;   in Loop: Header=BB307_11 Depth=1
	s_wait_alu 0xfffe
	s_or_b32 exec_lo, exec_lo, s19
	v_lshlrev_b32_e32 v8, 8, v8
	v_lshl_add_u32 v56, v56, 10, 0x2000
	v_lshlrev_b32_e32 v47, 7, v47
	s_delay_alu instid0(VALU_DEP_3) | instskip(NEXT) | instid1(VALU_DEP_3)
	v_and_b32_e32 v8, 0x8000, v8
	v_and_b32_e32 v56, 0xfc00, v56
	s_delay_alu instid0(VALU_DEP_1)
	v_or3_b32 v105, v8, v56, v47
.LBB307_897:                            ;   in Loop: Header=BB307_11 Depth=1
	s_wait_alu 0xfffe
	s_or_b32 exec_lo, exec_lo, s18
.LBB307_898:                            ;   in Loop: Header=BB307_11 Depth=1
	s_wait_alu 0xfffe
	s_or_b32 exec_lo, exec_lo, s17
.LBB307_899:                            ;   in Loop: Header=BB307_11 Depth=1
	s_wait_alu 0xfffe
	s_or_b32 exec_lo, exec_lo, s16
	v_dual_mov_b32 v47, 0 :: v_dual_mov_b32 v108, 0
	s_mov_b32 s16, exec_lo
	v_cmpx_lt_u64_e64 s[2:3], v[28:29]
	s_cbranch_execz .LBB307_907
; %bb.900:                              ;   in Loop: Header=BB307_11 Depth=1
	v_lshrrev_b32_e32 v8, 24, v29
	v_bfrev_b32_e32 v108, 1
	s_mov_b32 s17, exec_lo
	s_delay_alu instid0(VALU_DEP_2)
	v_cmpx_ne_u32_e32 0x80, v8
	s_cbranch_execz .LBB307_906
; %bb.901:                              ;   in Loop: Header=BB307_11 Depth=1
	v_and_b32_e32 v56, 0x7f, v8
	v_mov_b32_e32 v108, 0x7c010000
	s_mov_b32 s18, exec_lo
	s_delay_alu instid0(VALU_DEP_2)
	v_cmpx_ne_u32_e32 0x7f, v56
	s_cbranch_execz .LBB307_905
; %bb.902:                              ;   in Loop: Header=BB307_11 Depth=1
	v_and_b32_e32 v28, 7, v8
	v_lshrrev_b32_e32 v29, 3, v56
	s_mov_b32 s19, exec_lo
	v_cmpx_gt_u32_e32 8, v56
; %bb.903:                              ;   in Loop: Header=BB307_11 Depth=1
	s_delay_alu instid0(VALU_DEP_3) | instskip(NEXT) | instid1(VALU_DEP_1)
	v_clz_i32_u32_e32 v28, v28
	v_min_u32_e32 v56, 32, v28
	s_delay_alu instid0(VALU_DEP_1) | instskip(NEXT) | instid1(VALU_DEP_1)
	v_subrev_nc_u32_e32 v28, 28, v56
	v_lshlrev_b64_e32 v[28:29], v28, v[8:9]
	v_sub_nc_u32_e32 v29, 29, v56
	s_delay_alu instid0(VALU_DEP_2)
	v_and_b32_e32 v28, 7, v28
; %bb.904:                              ;   in Loop: Header=BB307_11 Depth=1
	s_wait_alu 0xfffe
	s_or_b32 exec_lo, exec_lo, s19
	v_lshlrev_b32_e32 v8, 8, v8
	v_lshl_add_u32 v29, v29, 10, 0x2000
	v_lshlrev_b32_e32 v28, 23, v28
	s_delay_alu instid0(VALU_DEP_2) | instskip(NEXT) | instid1(VALU_DEP_1)
	v_and_or_b32 v8, 0x8000, v8, v29
	v_lshl_or_b32 v108, v8, 16, v28
.LBB307_905:                            ;   in Loop: Header=BB307_11 Depth=1
	s_wait_alu 0xfffe
	s_or_b32 exec_lo, exec_lo, s18
.LBB307_906:                            ;   in Loop: Header=BB307_11 Depth=1
	s_wait_alu 0xfffe
	s_or_b32 exec_lo, exec_lo, s17
.LBB307_907:                            ;   in Loop: Header=BB307_11 Depth=1
	s_wait_alu 0xfffe
	s_or_b32 exec_lo, exec_lo, s16
	flat_load_b64 v[28:29], v[20:21] offset:3584
	s_mov_b32 s16, exec_lo
	s_wait_loadcnt_dscnt 0x0
	v_and_b32_e32 v8, 0xff, v28
	s_delay_alu instid0(VALU_DEP_1)
	v_cmpx_ne_u16_e32 0, v8
	s_cbranch_execz .LBB307_915
; %bb.908:                              ;   in Loop: Header=BB307_11 Depth=1
	v_mov_b32_e32 v47, 0x8000
	s_mov_b32 s17, exec_lo
	v_cmpx_ne_u16_e32 0x80, v8
	s_cbranch_execz .LBB307_914
; %bb.909:                              ;   in Loop: Header=BB307_11 Depth=1
	v_and_b32_e32 v56, 0x7f, v28
	v_mov_b32_e32 v47, 0x7c01
	s_mov_b32 s18, exec_lo
	s_delay_alu instid0(VALU_DEP_2)
	v_cmpx_ne_u32_e32 0x7f, v56
	s_cbranch_execz .LBB307_913
; %bb.910:                              ;   in Loop: Header=BB307_11 Depth=1
	v_and_b32_e32 v8, 7, v28
	v_lshrrev_b32_e32 v47, 3, v56
	s_mov_b32 s19, exec_lo
	v_cmpx_gt_u32_e32 8, v56
; %bb.911:                              ;   in Loop: Header=BB307_11 Depth=1
	s_delay_alu instid0(VALU_DEP_3) | instskip(NEXT) | instid1(VALU_DEP_1)
	v_clz_i32_u32_e32 v8, v8
	v_min_u32_e32 v8, 32, v8
	s_delay_alu instid0(VALU_DEP_1) | instskip(NEXT) | instid1(VALU_DEP_1)
	v_subrev_nc_u32_e32 v47, 28, v8
	v_lshlrev_b64_e32 v[56:57], v47, v[28:29]
	v_sub_nc_u32_e32 v47, 29, v8
	s_delay_alu instid0(VALU_DEP_2)
	v_and_b32_e32 v8, 7, v56
; %bb.912:                              ;   in Loop: Header=BB307_11 Depth=1
	s_wait_alu 0xfffe
	s_or_b32 exec_lo, exec_lo, s19
	v_lshlrev_b32_e32 v56, 8, v28
	v_lshl_add_u32 v47, v47, 10, 0x2000
	v_lshlrev_b32_e32 v8, 7, v8
	s_delay_alu instid0(VALU_DEP_3) | instskip(NEXT) | instid1(VALU_DEP_3)
	v_and_b32_e32 v56, 0x8000, v56
	v_and_b32_e32 v47, 0xfc00, v47
	s_delay_alu instid0(VALU_DEP_1)
	v_or3_b32 v47, v56, v47, v8
.LBB307_913:                            ;   in Loop: Header=BB307_11 Depth=1
	s_wait_alu 0xfffe
	s_or_b32 exec_lo, exec_lo, s18
.LBB307_914:                            ;   in Loop: Header=BB307_11 Depth=1
	s_wait_alu 0xfffe
	s_or_b32 exec_lo, exec_lo, s17
.LBB307_915:                            ;   in Loop: Header=BB307_11 Depth=1
	s_wait_alu 0xfffe
	s_or_b32 exec_lo, exec_lo, s16
	v_lshrrev_b16 v8, 8, v28
	v_dual_mov_b32 v57, 0 :: v_dual_mov_b32 v56, 0
	s_mov_b32 s16, exec_lo
	s_delay_alu instid0(VALU_DEP_2)
	v_cmpx_ne_u16_e32 0, v8
	s_cbranch_execz .LBB307_923
; %bb.916:                              ;   in Loop: Header=BB307_11 Depth=1
	v_bfrev_b32_e32 v56, 1
	s_mov_b32 s17, exec_lo
	v_cmpx_ne_u16_e32 0x80, v8
	s_cbranch_execz .LBB307_922
; %bb.917:                              ;   in Loop: Header=BB307_11 Depth=1
	v_and_b32_e32 v58, 0xffff, v8
	v_mov_b32_e32 v56, 0x7c010000
	s_mov_b32 s18, exec_lo
	s_delay_alu instid0(VALU_DEP_2) | instskip(NEXT) | instid1(VALU_DEP_1)
	v_and_b32_e32 v60, 0x7f, v58
	v_cmpx_ne_u32_e32 0x7f, v60
	s_cbranch_execz .LBB307_921
; %bb.918:                              ;   in Loop: Header=BB307_11 Depth=1
	v_and_b32_e32 v56, 7, v58
	v_lshrrev_b32_e32 v59, 3, v60
	s_mov_b32 s19, exec_lo
	v_cmpx_gt_u32_e32 8, v60
; %bb.919:                              ;   in Loop: Header=BB307_11 Depth=1
	s_delay_alu instid0(VALU_DEP_3) | instskip(NEXT) | instid1(VALU_DEP_1)
	v_clz_i32_u32_e32 v56, v56
	v_min_u32_e32 v56, 32, v56
	s_delay_alu instid0(VALU_DEP_1) | instskip(NEXT) | instid1(VALU_DEP_1)
	v_subrev_nc_u32_e32 v59, 28, v56
	v_lshlrev_b64_e32 v[78:79], v59, v[8:9]
	v_sub_nc_u32_e32 v59, 29, v56
	s_delay_alu instid0(VALU_DEP_2)
	v_and_b32_e32 v56, 7, v78
; %bb.920:                              ;   in Loop: Header=BB307_11 Depth=1
	s_wait_alu 0xfffe
	s_or_b32 exec_lo, exec_lo, s19
	v_lshlrev_b32_e32 v8, 8, v58
	v_lshl_add_u32 v58, v59, 10, 0x2000
	v_lshlrev_b32_e32 v56, 23, v56
	s_delay_alu instid0(VALU_DEP_2) | instskip(NEXT) | instid1(VALU_DEP_1)
	v_and_or_b32 v8, 0x8000, v8, v58
	v_lshl_or_b32 v56, v8, 16, v56
.LBB307_921:                            ;   in Loop: Header=BB307_11 Depth=1
	s_wait_alu 0xfffe
	s_or_b32 exec_lo, exec_lo, s18
.LBB307_922:                            ;   in Loop: Header=BB307_11 Depth=1
	s_wait_alu 0xfffe
	s_or_b32 exec_lo, exec_lo, s17
.LBB307_923:                            ;   in Loop: Header=BB307_11 Depth=1
	s_wait_alu 0xfffe
	s_or_b32 exec_lo, exec_lo, s16
	v_lshrrev_b32_e32 v8, 16, v28
	s_mov_b32 s16, exec_lo
	s_delay_alu instid0(VALU_DEP_1) | instskip(NEXT) | instid1(VALU_DEP_1)
	v_and_b32_e32 v58, 0xff, v8
	v_cmpx_ne_u16_e32 0, v58
	s_cbranch_execz .LBB307_931
; %bb.924:                              ;   in Loop: Header=BB307_11 Depth=1
	v_mov_b32_e32 v57, 0x8000
	s_mov_b32 s17, exec_lo
	v_cmpx_ne_u16_e32 0x80, v58
	s_cbranch_execz .LBB307_930
; %bb.925:                              ;   in Loop: Header=BB307_11 Depth=1
	v_bfe_u32 v59, v28, 16, 7
	v_mov_b32_e32 v57, 0x7c01
	s_mov_b32 s18, exec_lo
	s_delay_alu instid0(VALU_DEP_2)
	v_cmpx_ne_u32_e32 0x7f, v59
	s_cbranch_execz .LBB307_929
; %bb.926:                              ;   in Loop: Header=BB307_11 Depth=1
	v_and_b32_e32 v57, 7, v8
	v_lshrrev_b32_e32 v58, 3, v59
	s_mov_b32 s19, exec_lo
	v_cmpx_gt_u32_e32 8, v59
; %bb.927:                              ;   in Loop: Header=BB307_11 Depth=1
	s_delay_alu instid0(VALU_DEP_3) | instskip(NEXT) | instid1(VALU_DEP_1)
	v_clz_i32_u32_e32 v57, v57
	v_min_u32_e32 v59, 32, v57
	s_delay_alu instid0(VALU_DEP_1) | instskip(NEXT) | instid1(VALU_DEP_1)
	v_subrev_nc_u32_e32 v57, 28, v59
	v_lshlrev_b64_e32 v[57:58], v57, v[8:9]
	v_sub_nc_u32_e32 v58, 29, v59
	s_delay_alu instid0(VALU_DEP_2)
	v_and_b32_e32 v57, 7, v57
; %bb.928:                              ;   in Loop: Header=BB307_11 Depth=1
	s_wait_alu 0xfffe
	s_or_b32 exec_lo, exec_lo, s19
	v_lshlrev_b32_e32 v8, 8, v8
	v_lshl_add_u32 v58, v58, 10, 0x2000
	v_lshlrev_b32_e32 v57, 7, v57
	s_delay_alu instid0(VALU_DEP_3) | instskip(NEXT) | instid1(VALU_DEP_3)
	v_and_b32_e32 v8, 0x8000, v8
	v_and_b32_e32 v58, 0xfc00, v58
	s_delay_alu instid0(VALU_DEP_1)
	v_or3_b32 v57, v8, v58, v57
.LBB307_929:                            ;   in Loop: Header=BB307_11 Depth=1
	s_wait_alu 0xfffe
	s_or_b32 exec_lo, exec_lo, s18
.LBB307_930:                            ;   in Loop: Header=BB307_11 Depth=1
	s_wait_alu 0xfffe
	s_or_b32 exec_lo, exec_lo, s17
.LBB307_931:                            ;   in Loop: Header=BB307_11 Depth=1
	s_wait_alu 0xfffe
	s_or_b32 exec_lo, exec_lo, s16
	v_mov_b32_e32 v78, 0
	v_mov_b32_e32 v58, 0
	s_mov_b32 s16, exec_lo
	v_cmpx_lt_u32_e32 0xffffff, v28
	s_cbranch_execz .LBB307_939
; %bb.932:                              ;   in Loop: Header=BB307_11 Depth=1
	v_lshrrev_b32_e32 v8, 24, v28
	v_bfrev_b32_e32 v58, 1
	s_mov_b32 s17, exec_lo
	s_delay_alu instid0(VALU_DEP_2)
	v_cmpx_ne_u32_e32 0x80, v8
	s_cbranch_execz .LBB307_938
; %bb.933:                              ;   in Loop: Header=BB307_11 Depth=1
	v_and_b32_e32 v60, 0x7f, v8
	v_mov_b32_e32 v58, 0x7c010000
	s_mov_b32 s18, exec_lo
	s_delay_alu instid0(VALU_DEP_2)
	v_cmpx_ne_u32_e32 0x7f, v60
	s_cbranch_execz .LBB307_937
; %bb.934:                              ;   in Loop: Header=BB307_11 Depth=1
	v_and_b32_e32 v58, 7, v8
	v_lshrrev_b32_e32 v59, 3, v60
	s_mov_b32 s19, exec_lo
	v_cmpx_gt_u32_e32 8, v60
; %bb.935:                              ;   in Loop: Header=BB307_11 Depth=1
	s_delay_alu instid0(VALU_DEP_3) | instskip(NEXT) | instid1(VALU_DEP_1)
	v_clz_i32_u32_e32 v58, v58
	v_min_u32_e32 v60, 32, v58
	s_delay_alu instid0(VALU_DEP_1) | instskip(NEXT) | instid1(VALU_DEP_1)
	v_subrev_nc_u32_e32 v58, 28, v60
	v_lshlrev_b64_e32 v[58:59], v58, v[8:9]
	v_sub_nc_u32_e32 v59, 29, v60
	s_delay_alu instid0(VALU_DEP_2)
	v_and_b32_e32 v58, 7, v58
; %bb.936:                              ;   in Loop: Header=BB307_11 Depth=1
	s_wait_alu 0xfffe
	s_or_b32 exec_lo, exec_lo, s19
	v_lshlrev_b32_e32 v8, 8, v8
	v_lshl_add_u32 v59, v59, 10, 0x2000
	v_lshlrev_b32_e32 v58, 23, v58
	s_delay_alu instid0(VALU_DEP_2) | instskip(NEXT) | instid1(VALU_DEP_1)
	v_and_or_b32 v8, 0x8000, v8, v59
	v_lshl_or_b32 v58, v8, 16, v58
.LBB307_937:                            ;   in Loop: Header=BB307_11 Depth=1
	s_wait_alu 0xfffe
	s_or_b32 exec_lo, exec_lo, s18
.LBB307_938:                            ;   in Loop: Header=BB307_11 Depth=1
	s_wait_alu 0xfffe
	s_or_b32 exec_lo, exec_lo, s17
.LBB307_939:                            ;   in Loop: Header=BB307_11 Depth=1
	s_wait_alu 0xfffe
	s_or_b32 exec_lo, exec_lo, s16
	v_dual_mov_b32 v8, v29 :: v_dual_and_b32 v59, 0xff, v29
	s_mov_b32 s16, exec_lo
	s_delay_alu instid0(VALU_DEP_1)
	v_cmpx_ne_u16_e32 0, v59
	s_cbranch_execz .LBB307_947
; %bb.940:                              ;   in Loop: Header=BB307_11 Depth=1
	v_mov_b32_e32 v78, 0x8000
	s_mov_b32 s17, exec_lo
	v_cmpx_ne_u16_e32 0x80, v59
	s_cbranch_execz .LBB307_946
; %bb.941:                              ;   in Loop: Header=BB307_11 Depth=1
	v_and_b32_e32 v79, 0x7f, v29
	v_mov_b32_e32 v78, 0x7c01
	s_mov_b32 s18, exec_lo
	s_delay_alu instid0(VALU_DEP_2)
	v_cmpx_ne_u32_e32 0x7f, v79
	s_cbranch_execz .LBB307_945
; %bb.942:                              ;   in Loop: Header=BB307_11 Depth=1
	v_and_b32_e32 v59, 7, v29
	v_lshrrev_b32_e32 v60, 3, v79
	s_mov_b32 s19, exec_lo
	v_cmpx_gt_u32_e32 8, v79
; %bb.943:                              ;   in Loop: Header=BB307_11 Depth=1
	s_delay_alu instid0(VALU_DEP_3) | instskip(NEXT) | instid1(VALU_DEP_1)
	v_clz_i32_u32_e32 v59, v59
	v_min_u32_e32 v78, 32, v59
	s_delay_alu instid0(VALU_DEP_1) | instskip(NEXT) | instid1(VALU_DEP_1)
	v_subrev_nc_u32_e32 v59, 28, v78
	v_lshlrev_b64_e32 v[59:60], v59, v[8:9]
	v_sub_nc_u32_e32 v60, 29, v78
	s_delay_alu instid0(VALU_DEP_2)
	v_and_b32_e32 v59, 7, v59
; %bb.944:                              ;   in Loop: Header=BB307_11 Depth=1
	s_wait_alu 0xfffe
	s_or_b32 exec_lo, exec_lo, s19
	v_lshlrev_b32_e32 v78, 8, v29
	v_lshl_add_u32 v60, v60, 10, 0x2000
	v_lshlrev_b32_e32 v59, 7, v59
	s_delay_alu instid0(VALU_DEP_3) | instskip(NEXT) | instid1(VALU_DEP_3)
	v_and_b32_e32 v78, 0x8000, v78
	v_and_b32_e32 v60, 0xfc00, v60
	s_delay_alu instid0(VALU_DEP_1)
	v_or3_b32 v78, v78, v60, v59
.LBB307_945:                            ;   in Loop: Header=BB307_11 Depth=1
	s_wait_alu 0xfffe
	s_or_b32 exec_lo, exec_lo, s18
.LBB307_946:                            ;   in Loop: Header=BB307_11 Depth=1
	s_wait_alu 0xfffe
	s_or_b32 exec_lo, exec_lo, s17
.LBB307_947:                            ;   in Loop: Header=BB307_11 Depth=1
	s_wait_alu 0xfffe
	s_or_b32 exec_lo, exec_lo, s16
	v_lshrrev_b16 v8, 8, v8
	v_dual_mov_b32 v79, 0 :: v_dual_mov_b32 v88, 0
	s_mov_b32 s16, exec_lo
	s_delay_alu instid0(VALU_DEP_2)
	v_cmpx_ne_u16_e32 0, v8
	s_cbranch_execz .LBB307_955
; %bb.948:                              ;   in Loop: Header=BB307_11 Depth=1
	v_bfrev_b32_e32 v88, 1
	s_mov_b32 s17, exec_lo
	v_cmpx_ne_u16_e32 0x80, v8
	s_cbranch_execz .LBB307_954
; %bb.949:                              ;   in Loop: Header=BB307_11 Depth=1
	v_and_b32_e32 v59, 0xffff, v8
	v_mov_b32_e32 v88, 0x7c010000
	s_mov_b32 s18, exec_lo
	s_delay_alu instid0(VALU_DEP_2) | instskip(NEXT) | instid1(VALU_DEP_1)
	v_and_b32_e32 v143, 0x7f, v59
	v_cmpx_ne_u32_e32 0x7f, v143
	s_cbranch_execz .LBB307_953
; %bb.950:                              ;   in Loop: Header=BB307_11 Depth=1
	v_and_b32_e32 v60, 7, v59
	v_lshrrev_b32_e32 v88, 3, v143
	s_mov_b32 s19, exec_lo
	v_cmpx_gt_u32_e32 8, v143
; %bb.951:                              ;   in Loop: Header=BB307_11 Depth=1
	s_delay_alu instid0(VALU_DEP_3) | instskip(NEXT) | instid1(VALU_DEP_1)
	v_clz_i32_u32_e32 v60, v60
	v_min_u32_e32 v60, 32, v60
	s_delay_alu instid0(VALU_DEP_1) | instskip(NEXT) | instid1(VALU_DEP_1)
	v_subrev_nc_u32_e32 v88, 28, v60
	v_lshlrev_b64_e32 v[152:153], v88, v[8:9]
	v_sub_nc_u32_e32 v88, 29, v60
	s_delay_alu instid0(VALU_DEP_2)
	v_and_b32_e32 v60, 7, v152
; %bb.952:                              ;   in Loop: Header=BB307_11 Depth=1
	s_wait_alu 0xfffe
	s_or_b32 exec_lo, exec_lo, s19
	v_lshlrev_b32_e32 v8, 8, v59
	v_lshl_add_u32 v59, v88, 10, 0x2000
	s_delay_alu instid0(VALU_DEP_1) | instskip(SKIP_1) | instid1(VALU_DEP_1)
	v_and_or_b32 v8, 0x8000, v8, v59
	v_lshlrev_b32_e32 v59, 23, v60
	v_lshl_or_b32 v88, v8, 16, v59
.LBB307_953:                            ;   in Loop: Header=BB307_11 Depth=1
	s_wait_alu 0xfffe
	s_or_b32 exec_lo, exec_lo, s18
.LBB307_954:                            ;   in Loop: Header=BB307_11 Depth=1
	s_wait_alu 0xfffe
	s_or_b32 exec_lo, exec_lo, s17
.LBB307_955:                            ;   in Loop: Header=BB307_11 Depth=1
	s_wait_alu 0xfffe
	s_or_b32 exec_lo, exec_lo, s16
	v_lshrrev_b32_e32 v8, 16, v29
	s_mov_b32 s16, exec_lo
	s_delay_alu instid0(VALU_DEP_1) | instskip(NEXT) | instid1(VALU_DEP_1)
	v_and_b32_e32 v59, 0xff, v8
	v_cmpx_ne_u16_e32 0, v59
	s_cbranch_execz .LBB307_963
; %bb.956:                              ;   in Loop: Header=BB307_11 Depth=1
	v_mov_b32_e32 v79, 0x8000
	s_mov_b32 s17, exec_lo
	v_cmpx_ne_u16_e32 0x80, v59
	s_cbranch_execz .LBB307_962
; %bb.957:                              ;   in Loop: Header=BB307_11 Depth=1
	v_bfe_u32 v143, v29, 16, 7
	v_mov_b32_e32 v79, 0x7c01
	s_mov_b32 s18, exec_lo
	s_delay_alu instid0(VALU_DEP_2)
	v_cmpx_ne_u32_e32 0x7f, v143
	s_cbranch_execz .LBB307_961
; %bb.958:                              ;   in Loop: Header=BB307_11 Depth=1
	v_and_b32_e32 v59, 7, v8
	v_lshrrev_b32_e32 v60, 3, v143
	s_mov_b32 s19, exec_lo
	v_cmpx_gt_u32_e32 8, v143
; %bb.959:                              ;   in Loop: Header=BB307_11 Depth=1
	s_delay_alu instid0(VALU_DEP_3) | instskip(NEXT) | instid1(VALU_DEP_1)
	v_clz_i32_u32_e32 v59, v59
	v_min_u32_e32 v79, 32, v59
	s_delay_alu instid0(VALU_DEP_1) | instskip(NEXT) | instid1(VALU_DEP_1)
	v_subrev_nc_u32_e32 v59, 28, v79
	v_lshlrev_b64_e32 v[59:60], v59, v[8:9]
	v_sub_nc_u32_e32 v60, 29, v79
	s_delay_alu instid0(VALU_DEP_2)
	v_and_b32_e32 v59, 7, v59
; %bb.960:                              ;   in Loop: Header=BB307_11 Depth=1
	s_wait_alu 0xfffe
	s_or_b32 exec_lo, exec_lo, s19
	v_lshlrev_b32_e32 v8, 8, v8
	v_lshl_add_u32 v60, v60, 10, 0x2000
	v_lshlrev_b32_e32 v59, 7, v59
	s_delay_alu instid0(VALU_DEP_3) | instskip(NEXT) | instid1(VALU_DEP_3)
	v_and_b32_e32 v8, 0x8000, v8
	v_and_b32_e32 v60, 0xfc00, v60
	s_delay_alu instid0(VALU_DEP_1)
	v_or3_b32 v79, v8, v60, v59
.LBB307_961:                            ;   in Loop: Header=BB307_11 Depth=1
	s_wait_alu 0xfffe
	s_or_b32 exec_lo, exec_lo, s18
.LBB307_962:                            ;   in Loop: Header=BB307_11 Depth=1
	s_wait_alu 0xfffe
	s_or_b32 exec_lo, exec_lo, s17
.LBB307_963:                            ;   in Loop: Header=BB307_11 Depth=1
	s_wait_alu 0xfffe
	s_or_b32 exec_lo, exec_lo, s16
	v_cmp_lt_u64_e64 s1, s[2:3], v[28:29]
	v_dual_mov_b32 v143, 0 :: v_dual_mov_b32 v28, 0
	s_and_saveexec_b32 s16, s1
	s_cbranch_execz .LBB307_971
; %bb.964:                              ;   in Loop: Header=BB307_11 Depth=1
	v_lshrrev_b32_e32 v8, 24, v29
	v_bfrev_b32_e32 v28, 1
	s_mov_b32 s17, exec_lo
	s_delay_alu instid0(VALU_DEP_2)
	v_cmpx_ne_u32_e32 0x80, v8
	s_cbranch_execz .LBB307_970
; %bb.965:                              ;   in Loop: Header=BB307_11 Depth=1
	v_and_b32_e32 v59, 0x7f, v8
	v_mov_b32_e32 v28, 0x7c010000
	s_mov_b32 s18, exec_lo
	s_delay_alu instid0(VALU_DEP_2)
	v_cmpx_ne_u32_e32 0x7f, v59
	s_cbranch_execz .LBB307_969
; %bb.966:                              ;   in Loop: Header=BB307_11 Depth=1
	v_and_b32_e32 v28, 7, v8
	v_lshrrev_b32_e32 v29, 3, v59
	s_mov_b32 s19, exec_lo
	v_cmpx_gt_u32_e32 8, v59
; %bb.967:                              ;   in Loop: Header=BB307_11 Depth=1
	s_delay_alu instid0(VALU_DEP_3) | instskip(NEXT) | instid1(VALU_DEP_1)
	v_clz_i32_u32_e32 v28, v28
	v_min_u32_e32 v59, 32, v28
	s_delay_alu instid0(VALU_DEP_1) | instskip(NEXT) | instid1(VALU_DEP_1)
	v_subrev_nc_u32_e32 v28, 28, v59
	v_lshlrev_b64_e32 v[28:29], v28, v[8:9]
	v_sub_nc_u32_e32 v29, 29, v59
	s_delay_alu instid0(VALU_DEP_2)
	v_and_b32_e32 v28, 7, v28
; %bb.968:                              ;   in Loop: Header=BB307_11 Depth=1
	s_wait_alu 0xfffe
	s_or_b32 exec_lo, exec_lo, s19
	v_lshlrev_b32_e32 v8, 8, v8
	v_lshl_add_u32 v29, v29, 10, 0x2000
	v_lshlrev_b32_e32 v28, 23, v28
	s_delay_alu instid0(VALU_DEP_2) | instskip(NEXT) | instid1(VALU_DEP_1)
	v_and_or_b32 v8, 0x8000, v8, v29
	v_lshl_or_b32 v28, v8, 16, v28
.LBB307_969:                            ;   in Loop: Header=BB307_11 Depth=1
	s_wait_alu 0xfffe
	s_or_b32 exec_lo, exec_lo, s18
.LBB307_970:                            ;   in Loop: Header=BB307_11 Depth=1
	s_wait_alu 0xfffe
	s_or_b32 exec_lo, exec_lo, s17
.LBB307_971:                            ;   in Loop: Header=BB307_11 Depth=1
	s_wait_alu 0xfffe
	s_or_b32 exec_lo, exec_lo, s16
	flat_load_b64 v[20:21], v[20:21] offset:3592
	s_mov_b32 s16, exec_lo
	s_wait_loadcnt_dscnt 0x0
	v_and_b32_e32 v8, 0xff, v20
	s_delay_alu instid0(VALU_DEP_1)
	v_cmpx_ne_u16_e32 0, v8
	s_cbranch_execz .LBB307_979
; %bb.972:                              ;   in Loop: Header=BB307_11 Depth=1
	v_mov_b32_e32 v143, 0x8000
	s_mov_b32 s17, exec_lo
	v_cmpx_ne_u16_e32 0x80, v8
	s_cbranch_execz .LBB307_978
; %bb.973:                              ;   in Loop: Header=BB307_11 Depth=1
	v_and_b32_e32 v59, 0x7f, v20
	v_mov_b32_e32 v143, 0x7c01
	s_mov_b32 s18, exec_lo
	s_delay_alu instid0(VALU_DEP_2)
	v_cmpx_ne_u32_e32 0x7f, v59
	s_cbranch_execz .LBB307_977
; %bb.974:                              ;   in Loop: Header=BB307_11 Depth=1
	v_and_b32_e32 v8, 7, v20
	v_lshrrev_b32_e32 v29, 3, v59
	s_mov_b32 s19, exec_lo
	v_cmpx_gt_u32_e32 8, v59
; %bb.975:                              ;   in Loop: Header=BB307_11 Depth=1
	s_delay_alu instid0(VALU_DEP_3) | instskip(NEXT) | instid1(VALU_DEP_1)
	v_clz_i32_u32_e32 v8, v8
	v_min_u32_e32 v8, 32, v8
	s_delay_alu instid0(VALU_DEP_1) | instskip(NEXT) | instid1(VALU_DEP_1)
	v_subrev_nc_u32_e32 v29, 28, v8
	v_lshlrev_b64_e32 v[59:60], v29, v[20:21]
	v_sub_nc_u32_e32 v29, 29, v8
	s_delay_alu instid0(VALU_DEP_2)
	v_and_b32_e32 v8, 7, v59
; %bb.976:                              ;   in Loop: Header=BB307_11 Depth=1
	s_wait_alu 0xfffe
	s_or_b32 exec_lo, exec_lo, s19
	v_lshlrev_b32_e32 v59, 8, v20
	v_lshl_add_u32 v29, v29, 10, 0x2000
	v_lshlrev_b32_e32 v8, 7, v8
	s_delay_alu instid0(VALU_DEP_3) | instskip(NEXT) | instid1(VALU_DEP_3)
	v_and_b32_e32 v59, 0x8000, v59
	v_and_b32_e32 v29, 0xfc00, v29
	s_delay_alu instid0(VALU_DEP_1)
	v_or3_b32 v143, v59, v29, v8
.LBB307_977:                            ;   in Loop: Header=BB307_11 Depth=1
	s_wait_alu 0xfffe
	s_or_b32 exec_lo, exec_lo, s18
.LBB307_978:                            ;   in Loop: Header=BB307_11 Depth=1
	s_wait_alu 0xfffe
	s_or_b32 exec_lo, exec_lo, s17
.LBB307_979:                            ;   in Loop: Header=BB307_11 Depth=1
	s_wait_alu 0xfffe
	s_or_b32 exec_lo, exec_lo, s16
	v_lshrrev_b16 v8, 8, v20
	v_dual_mov_b32 v153, 0 :: v_dual_mov_b32 v152, 0
	s_mov_b32 s16, exec_lo
	s_delay_alu instid0(VALU_DEP_2)
	v_cmpx_ne_u16_e32 0, v8
	s_cbranch_execz .LBB307_987
; %bb.980:                              ;   in Loop: Header=BB307_11 Depth=1
	v_bfrev_b32_e32 v152, 1
	s_mov_b32 s17, exec_lo
	v_cmpx_ne_u16_e32 0x80, v8
	s_cbranch_execz .LBB307_986
; %bb.981:                              ;   in Loop: Header=BB307_11 Depth=1
	v_and_b32_e32 v29, 0xffff, v8
	v_mov_b32_e32 v152, 0x7c010000
	s_mov_b32 s18, exec_lo
	s_delay_alu instid0(VALU_DEP_2) | instskip(NEXT) | instid1(VALU_DEP_1)
	v_and_b32_e32 v154, 0x7f, v29
	v_cmpx_ne_u32_e32 0x7f, v154
	s_cbranch_execz .LBB307_985
; %bb.982:                              ;   in Loop: Header=BB307_11 Depth=1
	v_and_b32_e32 v59, 7, v29
	v_lshrrev_b32_e32 v60, 3, v154
	s_mov_b32 s19, exec_lo
	v_cmpx_gt_u32_e32 8, v154
; %bb.983:                              ;   in Loop: Header=BB307_11 Depth=1
	s_delay_alu instid0(VALU_DEP_3) | instskip(NEXT) | instid1(VALU_DEP_1)
	v_clz_i32_u32_e32 v59, v59
	v_min_u32_e32 v152, 32, v59
	s_delay_alu instid0(VALU_DEP_1) | instskip(NEXT) | instid1(VALU_DEP_1)
	v_subrev_nc_u32_e32 v59, 28, v152
	v_lshlrev_b64_e32 v[59:60], v59, v[8:9]
	v_sub_nc_u32_e32 v60, 29, v152
	s_delay_alu instid0(VALU_DEP_2)
	v_and_b32_e32 v59, 7, v59
; %bb.984:                              ;   in Loop: Header=BB307_11 Depth=1
	s_wait_alu 0xfffe
	s_or_b32 exec_lo, exec_lo, s19
	v_lshlrev_b32_e32 v8, 8, v29
	v_lshl_add_u32 v29, v60, 10, 0x2000
	s_delay_alu instid0(VALU_DEP_1) | instskip(SKIP_1) | instid1(VALU_DEP_1)
	v_and_or_b32 v8, 0x8000, v8, v29
	v_lshlrev_b32_e32 v29, 23, v59
	v_lshl_or_b32 v152, v8, 16, v29
.LBB307_985:                            ;   in Loop: Header=BB307_11 Depth=1
	s_wait_alu 0xfffe
	s_or_b32 exec_lo, exec_lo, s18
.LBB307_986:                            ;   in Loop: Header=BB307_11 Depth=1
	s_wait_alu 0xfffe
	s_or_b32 exec_lo, exec_lo, s17
.LBB307_987:                            ;   in Loop: Header=BB307_11 Depth=1
	s_wait_alu 0xfffe
	s_or_b32 exec_lo, exec_lo, s16
	v_lshrrev_b32_e32 v8, 16, v20
	s_mov_b32 s16, exec_lo
	s_delay_alu instid0(VALU_DEP_1) | instskip(NEXT) | instid1(VALU_DEP_1)
	v_and_b32_e32 v29, 0xff, v8
	v_cmpx_ne_u16_e32 0, v29
	s_cbranch_execz .LBB307_995
; %bb.988:                              ;   in Loop: Header=BB307_11 Depth=1
	v_mov_b32_e32 v153, 0x8000
	s_mov_b32 s17, exec_lo
	v_cmpx_ne_u16_e32 0x80, v29
	s_cbranch_execz .LBB307_994
; %bb.989:                              ;   in Loop: Header=BB307_11 Depth=1
	v_bfe_u32 v60, v20, 16, 7
	v_mov_b32_e32 v153, 0x7c01
	s_mov_b32 s18, exec_lo
	s_delay_alu instid0(VALU_DEP_2)
	v_cmpx_ne_u32_e32 0x7f, v60
	s_cbranch_execz .LBB307_993
; %bb.990:                              ;   in Loop: Header=BB307_11 Depth=1
	v_and_b32_e32 v29, 7, v8
	v_lshrrev_b32_e32 v59, 3, v60
	s_mov_b32 s19, exec_lo
	v_cmpx_gt_u32_e32 8, v60
; %bb.991:                              ;   in Loop: Header=BB307_11 Depth=1
	s_delay_alu instid0(VALU_DEP_3) | instskip(NEXT) | instid1(VALU_DEP_1)
	v_clz_i32_u32_e32 v29, v29
	v_min_u32_e32 v29, 32, v29
	s_delay_alu instid0(VALU_DEP_1) | instskip(NEXT) | instid1(VALU_DEP_1)
	v_subrev_nc_u32_e32 v59, 28, v29
	v_lshlrev_b64_e32 v[153:154], v59, v[8:9]
	v_sub_nc_u32_e32 v59, 29, v29
	s_delay_alu instid0(VALU_DEP_2)
	v_and_b32_e32 v29, 7, v153
; %bb.992:                              ;   in Loop: Header=BB307_11 Depth=1
	s_wait_alu 0xfffe
	s_or_b32 exec_lo, exec_lo, s19
	v_lshlrev_b32_e32 v8, 8, v8
	v_lshl_add_u32 v59, v59, 10, 0x2000
	v_lshlrev_b32_e32 v29, 7, v29
	s_delay_alu instid0(VALU_DEP_3) | instskip(NEXT) | instid1(VALU_DEP_3)
	v_and_b32_e32 v8, 0x8000, v8
	v_and_b32_e32 v59, 0xfc00, v59
	s_delay_alu instid0(VALU_DEP_1)
	v_or3_b32 v153, v8, v59, v29
.LBB307_993:                            ;   in Loop: Header=BB307_11 Depth=1
	s_wait_alu 0xfffe
	s_or_b32 exec_lo, exec_lo, s18
.LBB307_994:                            ;   in Loop: Header=BB307_11 Depth=1
	s_wait_alu 0xfffe
	s_or_b32 exec_lo, exec_lo, s17
.LBB307_995:                            ;   in Loop: Header=BB307_11 Depth=1
	s_wait_alu 0xfffe
	s_or_b32 exec_lo, exec_lo, s16
	v_dual_mov_b32 v158, 0 :: v_dual_mov_b32 v159, 0
	s_mov_b32 s16, exec_lo
	v_cmpx_lt_u32_e32 0xffffff, v20
	s_cbranch_execz .LBB307_1003
; %bb.996:                              ;   in Loop: Header=BB307_11 Depth=1
	v_lshrrev_b32_e32 v8, 24, v20
	v_bfrev_b32_e32 v159, 1
	s_mov_b32 s17, exec_lo
	s_delay_alu instid0(VALU_DEP_2)
	v_cmpx_ne_u32_e32 0x80, v8
	s_cbranch_execz .LBB307_1002
; %bb.997:                              ;   in Loop: Header=BB307_11 Depth=1
	v_and_b32_e32 v60, 0x7f, v8
	v_mov_b32_e32 v159, 0x7c010000
	s_mov_b32 s18, exec_lo
	s_delay_alu instid0(VALU_DEP_2)
	v_cmpx_ne_u32_e32 0x7f, v60
	s_cbranch_execz .LBB307_1001
; %bb.998:                              ;   in Loop: Header=BB307_11 Depth=1
	v_and_b32_e32 v29, 7, v8
	v_lshrrev_b32_e32 v59, 3, v60
	s_mov_b32 s19, exec_lo
	v_cmpx_gt_u32_e32 8, v60
; %bb.999:                              ;   in Loop: Header=BB307_11 Depth=1
	s_delay_alu instid0(VALU_DEP_3) | instskip(NEXT) | instid1(VALU_DEP_1)
	v_clz_i32_u32_e32 v29, v29
	v_min_u32_e32 v29, 32, v29
	s_delay_alu instid0(VALU_DEP_1) | instskip(NEXT) | instid1(VALU_DEP_1)
	v_subrev_nc_u32_e32 v59, 28, v29
	v_lshlrev_b64_e32 v[154:155], v59, v[8:9]
	v_sub_nc_u32_e32 v59, 29, v29
	s_delay_alu instid0(VALU_DEP_2)
	v_and_b32_e32 v29, 7, v154
; %bb.1000:                             ;   in Loop: Header=BB307_11 Depth=1
	s_wait_alu 0xfffe
	s_or_b32 exec_lo, exec_lo, s19
	v_lshlrev_b32_e32 v8, 8, v8
	v_lshl_add_u32 v59, v59, 10, 0x2000
	v_lshlrev_b32_e32 v29, 23, v29
	s_delay_alu instid0(VALU_DEP_2) | instskip(NEXT) | instid1(VALU_DEP_1)
	v_and_or_b32 v8, 0x8000, v8, v59
	v_lshl_or_b32 v159, v8, 16, v29
.LBB307_1001:                           ;   in Loop: Header=BB307_11 Depth=1
	s_wait_alu 0xfffe
	s_or_b32 exec_lo, exec_lo, s18
.LBB307_1002:                           ;   in Loop: Header=BB307_11 Depth=1
	s_wait_alu 0xfffe
	s_or_b32 exec_lo, exec_lo, s17
.LBB307_1003:                           ;   in Loop: Header=BB307_11 Depth=1
	s_wait_alu 0xfffe
	s_or_b32 exec_lo, exec_lo, s16
	v_dual_mov_b32 v8, v21 :: v_dual_and_b32 v29, 0xff, v21
	s_mov_b32 s16, exec_lo
	s_delay_alu instid0(VALU_DEP_1)
	v_cmpx_ne_u16_e32 0, v29
	s_cbranch_execz .LBB307_1011
; %bb.1004:                             ;   in Loop: Header=BB307_11 Depth=1
	v_mov_b32_e32 v158, 0x8000
	s_mov_b32 s17, exec_lo
	v_cmpx_ne_u16_e32 0x80, v29
	s_cbranch_execz .LBB307_1010
; %bb.1005:                             ;   in Loop: Header=BB307_11 Depth=1
	v_and_b32_e32 v60, 0x7f, v21
	v_mov_b32_e32 v158, 0x7c01
	s_mov_b32 s18, exec_lo
	s_delay_alu instid0(VALU_DEP_2)
	v_cmpx_ne_u32_e32 0x7f, v60
	s_cbranch_execz .LBB307_1009
; %bb.1006:                             ;   in Loop: Header=BB307_11 Depth=1
	v_and_b32_e32 v29, 7, v21
	v_lshrrev_b32_e32 v59, 3, v60
	s_mov_b32 s19, exec_lo
	v_cmpx_gt_u32_e32 8, v60
; %bb.1007:                             ;   in Loop: Header=BB307_11 Depth=1
	s_delay_alu instid0(VALU_DEP_3) | instskip(NEXT) | instid1(VALU_DEP_1)
	v_clz_i32_u32_e32 v29, v29
	v_min_u32_e32 v29, 32, v29
	s_delay_alu instid0(VALU_DEP_1) | instskip(NEXT) | instid1(VALU_DEP_1)
	v_subrev_nc_u32_e32 v59, 28, v29
	v_lshlrev_b64_e32 v[154:155], v59, v[8:9]
	v_sub_nc_u32_e32 v59, 29, v29
	s_delay_alu instid0(VALU_DEP_2)
	v_and_b32_e32 v29, 7, v154
; %bb.1008:                             ;   in Loop: Header=BB307_11 Depth=1
	s_wait_alu 0xfffe
	s_or_b32 exec_lo, exec_lo, s19
	v_lshlrev_b32_e32 v60, 8, v21
	v_lshl_add_u32 v59, v59, 10, 0x2000
	v_lshlrev_b32_e32 v29, 7, v29
	s_delay_alu instid0(VALU_DEP_3) | instskip(NEXT) | instid1(VALU_DEP_3)
	v_and_b32_e32 v60, 0x8000, v60
	v_and_b32_e32 v59, 0xfc00, v59
	s_delay_alu instid0(VALU_DEP_1)
	v_or3_b32 v158, v60, v59, v29
.LBB307_1009:                           ;   in Loop: Header=BB307_11 Depth=1
	s_wait_alu 0xfffe
	s_or_b32 exec_lo, exec_lo, s18
.LBB307_1010:                           ;   in Loop: Header=BB307_11 Depth=1
	s_wait_alu 0xfffe
	s_or_b32 exec_lo, exec_lo, s17
.LBB307_1011:                           ;   in Loop: Header=BB307_11 Depth=1
	s_wait_alu 0xfffe
	s_or_b32 exec_lo, exec_lo, s16
	v_lshrrev_b16 v8, 8, v8
	v_dual_mov_b32 v168, 0 :: v_dual_mov_b32 v169, 0
	s_mov_b32 s16, exec_lo
	s_delay_alu instid0(VALU_DEP_2)
	v_cmpx_ne_u16_e32 0, v8
	s_cbranch_execz .LBB307_1019
; %bb.1012:                             ;   in Loop: Header=BB307_11 Depth=1
	v_bfrev_b32_e32 v169, 1
	s_mov_b32 s17, exec_lo
	v_cmpx_ne_u16_e32 0x80, v8
	s_cbranch_execz .LBB307_1018
; %bb.1013:                             ;   in Loop: Header=BB307_11 Depth=1
	v_and_b32_e32 v29, 0xffff, v8
	v_mov_b32_e32 v169, 0x7c010000
	s_mov_b32 s18, exec_lo
	s_delay_alu instid0(VALU_DEP_2) | instskip(NEXT) | instid1(VALU_DEP_1)
	v_and_b32_e32 v154, 0x7f, v29
	v_cmpx_ne_u32_e32 0x7f, v154
	s_cbranch_execz .LBB307_1017
; %bb.1014:                             ;   in Loop: Header=BB307_11 Depth=1
	v_and_b32_e32 v59, 7, v29
	v_lshrrev_b32_e32 v60, 3, v154
	s_mov_b32 s19, exec_lo
	v_cmpx_gt_u32_e32 8, v154
; %bb.1015:                             ;   in Loop: Header=BB307_11 Depth=1
	s_delay_alu instid0(VALU_DEP_3) | instskip(NEXT) | instid1(VALU_DEP_1)
	v_clz_i32_u32_e32 v59, v59
	v_min_u32_e32 v154, 32, v59
	s_delay_alu instid0(VALU_DEP_1) | instskip(NEXT) | instid1(VALU_DEP_1)
	v_subrev_nc_u32_e32 v59, 28, v154
	v_lshlrev_b64_e32 v[59:60], v59, v[8:9]
	v_sub_nc_u32_e32 v60, 29, v154
	s_delay_alu instid0(VALU_DEP_2)
	v_and_b32_e32 v59, 7, v59
; %bb.1016:                             ;   in Loop: Header=BB307_11 Depth=1
	s_wait_alu 0xfffe
	s_or_b32 exec_lo, exec_lo, s19
	v_lshlrev_b32_e32 v8, 8, v29
	v_lshl_add_u32 v29, v60, 10, 0x2000
	s_delay_alu instid0(VALU_DEP_1) | instskip(SKIP_1) | instid1(VALU_DEP_1)
	v_and_or_b32 v8, 0x8000, v8, v29
	v_lshlrev_b32_e32 v29, 23, v59
	v_lshl_or_b32 v169, v8, 16, v29
.LBB307_1017:                           ;   in Loop: Header=BB307_11 Depth=1
	s_wait_alu 0xfffe
	s_or_b32 exec_lo, exec_lo, s18
.LBB307_1018:                           ;   in Loop: Header=BB307_11 Depth=1
	s_wait_alu 0xfffe
	s_or_b32 exec_lo, exec_lo, s17
.LBB307_1019:                           ;   in Loop: Header=BB307_11 Depth=1
	s_wait_alu 0xfffe
	s_or_b32 exec_lo, exec_lo, s16
	v_lshrrev_b32_e32 v8, 16, v21
	s_mov_b32 s16, exec_lo
	s_delay_alu instid0(VALU_DEP_1) | instskip(NEXT) | instid1(VALU_DEP_1)
	v_and_b32_e32 v29, 0xff, v8
	v_cmpx_ne_u16_e32 0, v29
	s_cbranch_execz .LBB307_1027
; %bb.1020:                             ;   in Loop: Header=BB307_11 Depth=1
	v_mov_b32_e32 v168, 0x8000
	s_mov_b32 s17, exec_lo
	v_cmpx_ne_u16_e32 0x80, v29
	s_cbranch_execz .LBB307_1026
; %bb.1021:                             ;   in Loop: Header=BB307_11 Depth=1
	v_bfe_u32 v60, v21, 16, 7
	v_mov_b32_e32 v168, 0x7c01
	s_mov_b32 s18, exec_lo
	s_delay_alu instid0(VALU_DEP_2)
	v_cmpx_ne_u32_e32 0x7f, v60
	s_cbranch_execz .LBB307_1025
; %bb.1022:                             ;   in Loop: Header=BB307_11 Depth=1
	v_and_b32_e32 v29, 7, v8
	v_lshrrev_b32_e32 v59, 3, v60
	s_mov_b32 s19, exec_lo
	v_cmpx_gt_u32_e32 8, v60
; %bb.1023:                             ;   in Loop: Header=BB307_11 Depth=1
	s_delay_alu instid0(VALU_DEP_3) | instskip(NEXT) | instid1(VALU_DEP_1)
	v_clz_i32_u32_e32 v29, v29
	v_min_u32_e32 v29, 32, v29
	s_delay_alu instid0(VALU_DEP_1) | instskip(NEXT) | instid1(VALU_DEP_1)
	v_subrev_nc_u32_e32 v59, 28, v29
	v_lshlrev_b64_e32 v[154:155], v59, v[8:9]
	v_sub_nc_u32_e32 v59, 29, v29
	s_delay_alu instid0(VALU_DEP_2)
	v_and_b32_e32 v29, 7, v154
; %bb.1024:                             ;   in Loop: Header=BB307_11 Depth=1
	s_wait_alu 0xfffe
	s_or_b32 exec_lo, exec_lo, s19
	v_lshlrev_b32_e32 v8, 8, v8
	v_lshl_add_u32 v59, v59, 10, 0x2000
	v_lshlrev_b32_e32 v29, 7, v29
	s_delay_alu instid0(VALU_DEP_3) | instskip(NEXT) | instid1(VALU_DEP_3)
	v_and_b32_e32 v8, 0x8000, v8
	v_and_b32_e32 v59, 0xfc00, v59
	s_delay_alu instid0(VALU_DEP_1)
	v_or3_b32 v168, v8, v59, v29
.LBB307_1025:                           ;   in Loop: Header=BB307_11 Depth=1
	s_wait_alu 0xfffe
	s_or_b32 exec_lo, exec_lo, s18
.LBB307_1026:                           ;   in Loop: Header=BB307_11 Depth=1
	s_wait_alu 0xfffe
	s_or_b32 exec_lo, exec_lo, s17
.LBB307_1027:                           ;   in Loop: Header=BB307_11 Depth=1
	s_wait_alu 0xfffe
	s_or_b32 exec_lo, exec_lo, s16
	v_cmp_lt_u64_e64 s1, s[2:3], v[20:21]
	v_mov_b32_e32 v20, 0
	s_and_saveexec_b32 s16, s1
	s_cbranch_execz .LBB307_10
; %bb.1028:                             ;   in Loop: Header=BB307_11 Depth=1
	v_lshrrev_b32_e32 v8, 24, v21
	v_bfrev_b32_e32 v20, 1
	s_mov_b32 s17, exec_lo
	s_delay_alu instid0(VALU_DEP_2)
	v_cmpx_ne_u32_e32 0x80, v8
	s_cbranch_execz .LBB307_9
; %bb.1029:                             ;   in Loop: Header=BB307_11 Depth=1
	v_and_b32_e32 v29, 0x7f, v8
	v_mov_b32_e32 v20, 0x7c010000
	s_mov_b32 s18, exec_lo
	s_delay_alu instid0(VALU_DEP_2)
	v_cmpx_ne_u32_e32 0x7f, v29
	s_cbranch_execz .LBB307_8
; %bb.1030:                             ;   in Loop: Header=BB307_11 Depth=1
	v_and_b32_e32 v20, 7, v8
	v_lshrrev_b32_e32 v21, 3, v29
	s_mov_b32 s19, exec_lo
	v_cmpx_gt_u32_e32 8, v29
	s_cbranch_execz .LBB307_7
; %bb.1031:                             ;   in Loop: Header=BB307_11 Depth=1
	v_clz_i32_u32_e32 v20, v20
	s_delay_alu instid0(VALU_DEP_1) | instskip(NEXT) | instid1(VALU_DEP_1)
	v_min_u32_e32 v29, 32, v20
	v_subrev_nc_u32_e32 v20, 28, v29
	s_delay_alu instid0(VALU_DEP_1) | instskip(SKIP_1) | instid1(VALU_DEP_2)
	v_lshlrev_b64_e32 v[20:21], v20, v[8:9]
	v_sub_nc_u32_e32 v21, 29, v29
	v_and_b32_e32 v20, 7, v20
	s_branch .LBB307_7
.LBB307_1032:
	s_or_b32 exec_lo, exec_lo, s7
.LBB307_1033:
	s_delay_alu instid0(SALU_CYCLE_1) | instskip(SKIP_2) | instid1(VALU_DEP_2)
	s_or_b32 exec_lo, exec_lo, s9
	v_mbcnt_lo_u32_b32 v8, -1, 0
	v_max_num_f32_e32 v16, v48, v48
	v_xor_b32_e32 v9, 16, v8
	v_xor_b32_e32 v13, 8, v8
	;; [unrolled: 1-line block ×3, first 2 shown]
	s_delay_alu instid0(VALU_DEP_3) | instskip(SKIP_3) | instid1(VALU_DEP_2)
	v_cmp_gt_i32_e32 vcc_lo, 32, v9
	s_wait_alu 0xfffd
	v_cndmask_b32_e32 v9, v8, v9, vcc_lo
	v_cmp_gt_i32_e32 vcc_lo, 32, v13
	v_lshlrev_b32_e32 v17, 2, v9
	s_wait_alu 0xfffd
	v_cndmask_b32_e32 v13, v8, v13, vcc_lo
	ds_bpermute_b32 v9, v17, v48
	v_lshlrev_b32_e32 v18, 2, v13
	s_wait_dscnt 0x0
	v_max_num_f32_e32 v9, v9, v9
	s_delay_alu instid0(VALU_DEP_1)
	v_max_num_f32_e32 v9, v16, v9
	v_xor_b32_e32 v16, 4, v8
	ds_bpermute_b32 v13, v18, v9
	v_cmp_gt_i32_e32 vcc_lo, 32, v16
	s_wait_alu 0xfffd
	v_cndmask_b32_e32 v16, v8, v16, vcc_lo
	s_delay_alu instid0(VALU_DEP_1) | instskip(SKIP_1) | instid1(VALU_DEP_1)
	v_lshlrev_b32_e32 v19, 2, v16
	v_xor_b32_e32 v16, 2, v8
	v_cmp_gt_i32_e32 vcc_lo, 32, v16
	s_wait_dscnt 0x0
	s_wait_alu 0xfffd
	v_dual_max_num_f32 v13, v13, v13 :: v_dual_cndmask_b32 v16, v8, v16
	v_cmp_gt_i32_e32 vcc_lo, 32, v20
	s_delay_alu instid0(VALU_DEP_2)
	v_dual_max_num_f32 v9, v9, v13 :: v_dual_lshlrev_b32 v16, 2, v16
	s_wait_alu 0xfffd
	v_cndmask_b32_e32 v20, v8, v20, vcc_lo
	v_cmp_eq_u32_e32 vcc_lo, 0, v23
	ds_bpermute_b32 v13, v19, v9
	s_wait_dscnt 0x0
	v_max_num_f32_e32 v13, v13, v13
	s_delay_alu instid0(VALU_DEP_1) | instskip(SKIP_3) | instid1(VALU_DEP_1)
	v_max_num_f32_e32 v9, v9, v13
	ds_bpermute_b32 v13, v16, v9
	s_wait_dscnt 0x0
	v_max_num_f32_e32 v13, v13, v13
	v_dual_max_num_f32 v8, v9, v13 :: v_dual_lshlrev_b32 v13, 2, v20
	v_lshlrev_b32_e32 v20, 2, v30
	ds_bpermute_b32 v9, v13, v8
	s_and_saveexec_b32 s1, vcc_lo
	s_cbranch_execz .LBB307_1035
; %bb.1034:
	s_wait_dscnt 0x0
	v_dual_max_num_f32 v9, v9, v9 :: v_dual_max_num_f32 v8, v8, v8
	s_delay_alu instid0(VALU_DEP_1)
	v_max_num_f32_e32 v8, v8, v9
	ds_store_b32 v20, v8 offset:256
.LBB307_1035:
	s_wait_alu 0xfffe
	s_or_b32 exec_lo, exec_lo, s1
	v_cmp_gt_u32_e64 s1, 4, v23
	v_mov_b32_e32 v8, 0xff7fffff
	s_wait_loadcnt_dscnt 0x0
	s_barrier_signal -1
	s_barrier_wait -1
	global_inv scope:SCOPE_SE
	s_and_saveexec_b32 s2, s1
; %bb.1036:
	ds_load_b32 v8, v38 offset:256
; %bb.1037:
	s_wait_alu 0xfffe
	s_or_b32 exec_lo, exec_lo, s2
	s_wait_dscnt 0x0
	ds_bpermute_b32 v9, v16, v8
	v_max_num_f32_e32 v8, v8, v8
	v_subrev_nc_u32_e32 v24, s8, v33
	v_mov_b32_e32 v21, 0
	s_wait_dscnt 0x0
	v_max_num_f32_e32 v9, v9, v9
	s_delay_alu instid0(VALU_DEP_1) | instskip(SKIP_3) | instid1(VALU_DEP_1)
	v_max_num_f32_e32 v8, v8, v9
	ds_bpermute_b32 v9, v13, v8
	s_wait_dscnt 0x0
	v_max_num_f32_e32 v9, v9, v9
	v_max_num_f32_e32 v8, v8, v9
	v_lshl_add_u32 v9, v24, 5, s12
	ds_bpermute_b32 v8, v21, v8
	v_min_i32_e32 v9, v9, v32
	s_delay_alu instid0(VALU_DEP_1) | instskip(NEXT) | instid1(VALU_DEP_1)
	v_subrev_nc_u32_e32 v9, s12, v9
	v_cmp_lt_i32_e64 s2, v12, v9
	s_and_saveexec_b32 s8, s2
	s_cbranch_execz .LBB307_1041
; %bb.1038:
	s_getpc_b64 s[16:17]
	s_wait_alu 0xfffe
	s_sext_i32_i16 s17, s17
	s_add_co_u32 s16, s16, llvm.amdgcn.dynlds.offset.table@rel32@lo+12
	s_wait_alu 0xfffe
	s_add_co_ci_u32 s17, s17, llvm.amdgcn.dynlds.offset.table@rel32@hi+24
	s_ashr_i32 s7, s6, 31
	v_mov_b32_e32 v21, 0
	s_wait_alu 0xfffe
	s_lshl_b64 s[18:19], s[6:7], 2
	v_mov_b32_e32 v25, v12
	s_wait_alu 0xfffe
	s_add_nc_u64 s[16:17], s[16:17], s[18:19]
	s_mov_b32 s7, 0
	s_load_b32 s3, s[16:17], 0x0
	s_wait_kmcnt 0x0
	v_lshl_add_u32 v24, v12, 2, s3
.LBB307_1039:                           ; =>This Inner Loop Header: Depth=1
	ds_load_b32 v28, v24
	v_add_nc_u32_e32 v25, 0x80, v25
	s_delay_alu instid0(VALU_DEP_1) | instskip(SKIP_3) | instid1(VALU_DEP_1)
	v_cmp_ge_i32_e64 s3, v25, v9
	s_or_b32 s7, s3, s7
	s_wait_dscnt 0x0
	v_sub_f32_e32 v28, v28, v8
	v_mul_f32_e32 v28, 0x3fb8aa3b, v28
	s_delay_alu instid0(VALU_DEP_1)
	v_exp_f32_e32 v28, v28
	ds_store_b32 v24, v28
	v_add_f32_e32 v21, v21, v28
	v_add_nc_u32_e32 v24, 0x200, v24
	s_wait_alu 0xfffe
	s_and_not1_b32 exec_lo, exec_lo, s7
	s_cbranch_execnz .LBB307_1039
; %bb.1040:
	s_or_b32 exec_lo, exec_lo, s7
.LBB307_1041:
	s_wait_alu 0xfffe
	s_or_b32 exec_lo, exec_lo, s8
	ds_bpermute_b32 v17, v17, v21
	s_wait_dscnt 0x0
	v_add_f32_e32 v17, v21, v17
	ds_bpermute_b32 v18, v18, v17
	s_wait_dscnt 0x0
	v_add_f32_e32 v17, v17, v18
	;; [unrolled: 3-line block ×5, first 2 shown]
	s_and_saveexec_b32 s3, vcc_lo
; %bb.1042:
	ds_store_b32 v20, v17 offset:272
; %bb.1043:
	s_wait_alu 0xfffe
	s_or_b32 exec_lo, exec_lo, s3
	s_wait_loadcnt_dscnt 0x0
	s_barrier_signal -1
	s_barrier_wait -1
	global_inv scope:SCOPE_SE
	s_and_saveexec_b32 s3, s1
; %bb.1044:
	ds_load_b32 v17, v38 offset:272
; %bb.1045:
	s_wait_alu 0xfffe
	s_or_b32 exec_lo, exec_lo, s3
	s_wait_dscnt 0x0
	ds_bpermute_b32 v18, v16, v17
	s_wait_dscnt 0x0
	v_add_f32_e32 v17, v17, v18
	ds_bpermute_b32 v18, v13, v17
	s_wait_dscnt 0x0
	v_dual_add_f32 v17, v17, v18 :: v_dual_mov_b32 v18, 0
	ds_bpermute_b32 v17, v18, v17
	s_and_saveexec_b32 s1, s2
	s_cbranch_execz .LBB307_1048
; %bb.1046:
	s_wait_dscnt 0x0
	v_add_f32_e32 v19, 0x358637bd, v17
	s_ashr_i32 s7, s6, 31
	s_getpc_b64 s[2:3]
	s_wait_alu 0xfffe
	s_sext_i32_i16 s3, s3
	s_add_co_u32 s2, s2, llvm.amdgcn.dynlds.offset.table@rel32@lo+12
	s_wait_alu 0xfffe
	s_add_co_ci_u32 s3, s3, llvm.amdgcn.dynlds.offset.table@rel32@hi+24
	s_lshl_b64 s[8:9], s[6:7], 2
	s_wait_alu 0xfffe
	s_add_nc_u64 s[2:3], s[2:3], s[8:9]
	v_div_scale_f32 v18, null, v19, v19, 1.0
	s_load_b32 s2, s[2:3], 0x0
	v_rcp_f32_e32 v20, v18
	s_delay_alu instid0(TRANS32_DEP_1) | instskip(NEXT) | instid1(VALU_DEP_1)
	v_fma_f32 v21, -v18, v20, 1.0
	v_fmac_f32_e32 v20, v21, v20
	v_div_scale_f32 v24, vcc_lo, 1.0, v19, 1.0
	s_delay_alu instid0(VALU_DEP_1) | instskip(NEXT) | instid1(VALU_DEP_1)
	v_mul_f32_e32 v21, v24, v20
	v_fma_f32 v25, -v18, v21, v24
	s_delay_alu instid0(VALU_DEP_1) | instskip(NEXT) | instid1(VALU_DEP_1)
	v_fmac_f32_e32 v21, v25, v20
	v_fma_f32 v18, -v18, v21, v24
	s_wait_alu 0xfffd
	s_delay_alu instid0(VALU_DEP_1) | instskip(SKIP_3) | instid1(VALU_DEP_2)
	v_div_fmas_f32 v20, v18, v20, v21
	s_wait_kmcnt 0x0
	v_lshl_add_u32 v18, v12, 2, s2
	s_mov_b32 s2, 0
	v_div_fixup_f32 v19, v20, v19, 1.0
	v_mov_b32_e32 v20, v12
.LBB307_1047:                           ; =>This Inner Loop Header: Depth=1
	ds_load_b32 v21, v18
	s_wait_dscnt 0x0
	v_dual_mul_f32 v21, v19, v21 :: v_dual_add_nc_u32 v20, 0x80, v20
	s_delay_alu instid0(VALU_DEP_1)
	v_cmp_ge_i32_e32 vcc_lo, v20, v9
	ds_store_b32 v18, v21
	v_add_nc_u32_e32 v18, 0x200, v18
	s_wait_alu 0xfffe
	s_or_b32 s2, vcc_lo, s2
	s_wait_alu 0xfffe
	s_and_not1_b32 exec_lo, exec_lo, s2
	s_cbranch_execnz .LBB307_1047
.LBB307_1048:
	s_wait_alu 0xfffe
	s_or_b32 exec_lo, exec_lo, s1
	s_and_b32 s1, 0xffff, s15
	s_wait_loadcnt_dscnt 0x0
	s_wait_alu 0xfffe
	s_cmp_lg_u32 s1, 0
	s_barrier_signal -1
	s_cselect_b32 s1, -1, 0
	s_barrier_wait -1
	s_wait_alu 0xfffe
	s_cmp_lg_u32 s1, 0
	global_inv scope:SCOPE_SE
	s_wait_kmcnt 0x0
	s_add_co_ci_u32 s1, s5, 0
	s_mov_b32 s5, exec_lo
	s_wait_alu 0xfffe
	s_mul_i32 s2, s1, s13
	s_wait_alu 0xfffe
	s_mul_i32 s2, s2, s14
	v_cmpx_eq_u32_e32 0, v12
	s_cbranch_execz .LBB307_1050
; %bb.1049:
	s_wait_alu 0xfffe
	s_ashr_i32 s3, s2, 31
	s_mul_i32 s8, s1, ttmp9
	s_wait_alu 0xfffe
	s_lshl_b64 s[14:15], s[2:3], 2
	s_ashr_i32 s9, s8, 31
	s_wait_alu 0xfffe
	v_add_co_u32 v2, vcc_lo, v2, s14
	s_wait_alu 0xfffd
	v_add_co_ci_u32_e64 v3, null, s15, v3, vcc_lo
	s_lshl_b64 s[8:9], s[8:9], 2
	s_lshl_b32 s3, s11, 2
	s_wait_alu 0xfffe
	v_add_co_u32 v2, vcc_lo, v2, s8
	s_wait_alu 0xfffd
	v_add_co_ci_u32_e64 v3, null, s9, v3, vcc_lo
	v_add_co_u32 v0, vcc_lo, v0, s14
	s_wait_alu 0xfffd
	v_add_co_ci_u32_e64 v1, null, s15, v1, vcc_lo
	s_delay_alu instid0(VALU_DEP_2) | instskip(SKIP_1) | instid1(VALU_DEP_2)
	v_add_co_u32 v9, vcc_lo, v0, s8
	s_wait_alu 0xfffd
	v_add_co_ci_u32_e64 v18, null, s9, v1, vcc_lo
	v_add_co_u32 v0, vcc_lo, v2, s3
	s_wait_alu 0xfffd
	v_add_co_ci_u32_e64 v1, null, 0, v3, vcc_lo
	;; [unrolled: 3-line block ×3, first 2 shown]
	flat_store_b32 v[0:1], v8
	flat_store_b32 v[2:3], v17
.LBB307_1050:
	s_or_b32 exec_lo, exec_lo, s5
	s_and_saveexec_b32 s3, s0
	s_wait_alu 0xfffe
	s_xor_b32 s0, exec_lo, s3
; %bb.1051:
	s_ashr_i32 s7, s6, 31
                                        ; implicit-def: $vgpr32
                                        ; implicit-def: $vgpr34
                                        ; implicit-def: $vgpr33
                                        ; implicit-def: $vgpr31
                                        ; implicit-def: $vgpr10
                                        ; implicit-def: $vgpr11
                                        ; implicit-def: $vgpr14
                                        ; implicit-def: $vgpr15
                                        ; implicit-def: $vgpr22
                                        ; implicit-def: $vgpr26_vgpr27
                                        ; implicit-def: $vgpr36
                                        ; implicit-def: $vgpr37
                                        ; implicit-def: $vgpr6_vgpr7
                                        ; implicit-def: $vgpr35
; %bb.1052:
	s_wait_alu 0xfffe
	s_or_saveexec_b32 s3, s0
	v_dual_mov_b32 v0, s6 :: v_dual_and_b32 v17, 3, v12
	v_dual_mov_b32 v50, 0 :: v_dual_mov_b32 v1, s7
	v_dual_mov_b32 v53, 0 :: v_dual_mov_b32 v52, 0
	;; [unrolled: 1-line block ×8, first 2 shown]
	v_mov_b32_e32 v19, 0
	s_wait_alu 0xfffe
	s_xor_b32 exec_lo, exec_lo, s3
	s_cbranch_execz .LBB307_2112
; %bb.1053:
	s_getpc_b64 s[8:9]
	s_wait_alu 0xfffe
	s_sext_i32_i16 s9, s9
	s_add_co_u32 s8, s8, llvm.amdgcn.dynlds.offset.table@rel32@lo+12
	s_wait_alu 0xfffe
	s_add_co_ci_u32 s9, s9, llvm.amdgcn.dynlds.offset.table@rel32@hi+24
	s_ashr_i32 s7, s6, 31
	v_dual_mov_b32 v1, 0 :: v_dual_lshlrev_b32 v0, 3, v12
	s_wait_alu 0xfffe
	s_lshl_b64 s[14:15], s[6:7], 2
	v_add_co_u32 v2, vcc_lo, v10, v36
	s_wait_alu 0xfffe
	s_add_nc_u64 s[8:9], s[8:9], s[14:15]
	v_dual_mov_b32 v19, 0 :: v_dual_and_b32 v8, 24, v0
	s_load_b32 s0, s[8:9], 0x0
	v_dual_mov_b32 v21, 0 :: v_dual_and_b32 v0, 0xf8, v0
	v_add_co_ci_u32_e64 v3, null, v11, v37, vcc_lo
	v_lshl_add_u32 v9, v30, 5, s12
	s_delay_alu instid0(VALU_DEP_3)
	v_add_co_u32 v2, vcc_lo, v2, v0
	v_dual_mov_b32 v29, 0 :: v_dual_lshlrev_b32 v0, 5, v17
	s_wait_alu 0xfffd
	v_add_co_ci_u32_e64 v3, null, 0, v3, vcc_lo
	v_add_co_u32 v6, vcc_lo, v6, v35
	s_wait_alu 0xfffd
	v_add_co_ci_u32_e64 v7, null, 0, v7, vcc_lo
	v_lshl_or_b32 v0, v30, 7, v0
	s_delay_alu instid0(VALU_DEP_3)
	v_add_co_u32 v6, vcc_lo, v14, v6
	v_dual_mov_b32 v25, 0 :: v_dual_add_nc_u32 v34, -1, v34
	s_wait_alu 0xfffd
	v_add_co_ci_u32_e64 v7, null, v15, v7, vcc_lo
	v_add3_u32 v14, v9, v8, 7
	s_wait_kmcnt 0x0
	v_dual_mov_b32 v18, 0 :: v_dual_add_nc_u32 v15, s0, v0
	v_dual_mov_b32 v20, 0 :: v_dual_mov_b32 v39, 0
	v_dual_mov_b32 v24, 0 :: v_dual_mov_b32 v49, 0
	;; [unrolled: 1-line block ×4, first 2 shown]
	v_mov_b32_e32 v48, 0
	v_mov_b32_e32 v52, 0
	;; [unrolled: 1-line block ×3, first 2 shown]
	s_mov_b32 s8, -1
	s_mov_b32 s9, 0xffffff
	s_mov_b32 s5, 0
	s_branch .LBB307_1055
.LBB307_1054:                           ;   in Loop: Header=BB307_1055 Depth=1
	s_wait_alu 0xfffe
	s_or_b32 exec_lo, exec_lo, s0
	v_dual_add_f32 v10, v10, v11 :: v_dual_add_f32 v11, v128, v129
	v_dual_add_f32 v35, v118, v119 :: v_dual_add_f32 v66, v116, v117
	v_add_f32_e32 v67, v102, v103
	s_delay_alu instid0(VALU_DEP_3) | instskip(SKIP_1) | instid1(VALU_DEP_4)
	v_dual_add_f32 v19, v19, v10 :: v_dual_add_f32 v20, v20, v11
	v_dual_add_f32 v10, v114, v115 :: v_dual_add_f32 v11, v112, v113
	;; [unrolled: 1-line block ×4, first 2 shown]
	s_delay_alu instid0(VALU_DEP_3) | instskip(SKIP_3) | instid1(VALU_DEP_3)
	v_dual_add_f32 v25, v25, v10 :: v_dual_add_f32 v28, v28, v11
	v_dual_add_f32 v10, v100, v101 :: v_dual_add_f32 v29, v29, v67
	v_add_f32_e32 v67, v84, v85
	v_add_co_u32 v6, s0, v6, 16
	v_add_f32_e32 v38, v38, v10
	;;#ASMSTART
	v_pk_mul_f16 v10, v64, v130;

	;;#ASMEND
	;;#ASMSTART
	v_pk_mul_f16 v0, v54, v0;

	;;#ASMEND
	;;#ASMSTART
	v_pk_mul_f16 v9, v37, v9;

	;;#ASMEND
	;;#ASMSTART
	v_pk_mul_f16 v8, v36, v8;

	;;#ASMEND
	;;#ASMSTART
	v_pk_add_f16 v0, v10, v0;

	;;#ASMEND
	;;#ASMSTART
	v_pk_add_f16 v0, v0, v9;

	;;#ASMEND
	;; [unrolled: 4-line block ×3, first 2 shown]
	v_dual_add_f32 v11, v98, v99 :: v_dual_and_b32 v10, 0xffff, v0
	;;#ASMSTART
	v_cvt_f32_f16 v10, v10;
	;;#ASMEND
	v_add_f32_e32 v8, v80, v81
	v_dual_add_f32 v48, v48, v35 :: v_dual_add_f32 v49, v49, v66
	s_delay_alu instid0(VALU_DEP_3) | instskip(SKIP_2) | instid1(VALU_DEP_1)
	v_add_f32_e32 v39, v39, v11
	v_lshrrev_b32_e32 v11, 16, v0
	;;#ASMSTART
	v_cvt_f32_f16 v11, v11;
	;;#ASMEND
	v_dual_add_f32 v9, v55, v65 :: v_dual_add_f32 v10, v10, v11
	v_add_nc_u32_e32 v31, 4, v31
	v_add_f32_e32 v0, v82, v83
	s_delay_alu instid0(VALU_DEP_3) | instskip(NEXT) | instid1(VALU_DEP_4)
	v_dual_add_f32 v51, v51, v67 :: v_dual_add_f32 v50, v50, v9
	v_dual_add_f32 v53, v53, v8 :: v_dual_add_f32 v18, v18, v10
	s_delay_alu instid0(VALU_DEP_4) | instskip(NEXT) | instid1(VALU_DEP_4)
	v_cmp_ge_i32_e32 vcc_lo, v31, v33
	v_add_f32_e32 v52, v52, v0
	s_wait_alu 0xf1ff
	v_add_co_ci_u32_e64 v7, null, 0, v7, s0
	v_add_nc_u32_e32 v14, 0x80, v14
	v_add_nc_u32_e32 v15, 0x200, v15
	s_or_b32 s5, vcc_lo, s5
	s_wait_alu 0xfffe
	s_and_not1_b32 exec_lo, exec_lo, s5
	s_cbranch_execz .LBB307_2111
.LBB307_1055:                           ; =>This Inner Loop Header: Depth=1
	flat_load_b32 v0, v[6:7]
	ds_load_2addr_b64 v[64:67], v15 offset1:1
	ds_load_2addr_b64 v[68:71], v15 offset0:2 offset1:3
	s_mov_b32 s0, exec_lo
	s_wait_dscnt 0x1
	;;#ASMSTART
	v_cvt_f16_f32 v36, v64;

	;;#ASMEND
	;;#ASMSTART
	v_cvt_f16_f32 v37, v65;

	;;#ASMEND
	;; [unrolled: 4-line block ×4, first 2 shown]
	s_wait_dscnt 0x0
	;;#ASMSTART
	v_cvt_f16_f32 v80, v68;

	;;#ASMEND
	;;#ASMSTART
	v_cvt_f16_f32 v55, v69;

	;;#ASMEND
	;; [unrolled: 4-line block ×4, first 2 shown]
	v_mov_b32_e32 v67, 0
	s_wait_loadcnt 0x0
	v_mad_co_i64_i32 v[8:9], null, v0, v22, v[2:3]
	flat_load_b64 v[10:11], v[8:9]
	flat_load_b32 v66, v[26:27]
	s_wait_loadcnt_dscnt 0x101
	v_and_b32_e32 v0, 0xff, v10
	s_delay_alu instid0(VALU_DEP_1)
	v_cmpx_ne_u16_e32 0, v0
	s_cbranch_execz .LBB307_1063
; %bb.1056:                             ;   in Loop: Header=BB307_1055 Depth=1
	v_mov_b32_e32 v67, 0x8000
	s_mov_b32 s12, exec_lo
	v_cmpx_ne_u16_e32 0x80, v0
	s_cbranch_execz .LBB307_1062
; %bb.1057:                             ;   in Loop: Header=BB307_1055 Depth=1
	v_and_b32_e32 v68, 0x7f, v10
	v_mov_b32_e32 v67, 0x7c01
	s_mov_b32 s13, exec_lo
	s_delay_alu instid0(VALU_DEP_2)
	v_cmpx_ne_u32_e32 0x7f, v68
	s_cbranch_execz .LBB307_1061
; %bb.1058:                             ;   in Loop: Header=BB307_1055 Depth=1
	v_and_b32_e32 v0, 7, v10
	v_lshrrev_b32_e32 v35, 3, v68
	s_mov_b32 s14, exec_lo
	v_cmpx_gt_u32_e32 8, v68
; %bb.1059:                             ;   in Loop: Header=BB307_1055 Depth=1
	s_delay_alu instid0(VALU_DEP_3) | instskip(NEXT) | instid1(VALU_DEP_1)
	v_clz_i32_u32_e32 v0, v0
	v_min_u32_e32 v0, 32, v0
	s_delay_alu instid0(VALU_DEP_1) | instskip(NEXT) | instid1(VALU_DEP_1)
	v_subrev_nc_u32_e32 v35, 28, v0
	v_lshlrev_b64_e32 v[67:68], v35, v[10:11]
	v_sub_nc_u32_e32 v35, 29, v0
	s_delay_alu instid0(VALU_DEP_2)
	v_and_b32_e32 v0, 7, v67
; %bb.1060:                             ;   in Loop: Header=BB307_1055 Depth=1
	s_wait_alu 0xfffe
	s_or_b32 exec_lo, exec_lo, s14
	v_lshlrev_b32_e32 v67, 8, v10
	v_lshl_add_u32 v35, v35, 10, 0x2000
	v_lshlrev_b32_e32 v0, 7, v0
	s_delay_alu instid0(VALU_DEP_3) | instskip(NEXT) | instid1(VALU_DEP_3)
	v_and_b32_e32 v67, 0x8000, v67
	v_and_b32_e32 v35, 0xfc00, v35
	s_delay_alu instid0(VALU_DEP_1)
	v_or3_b32 v67, v67, v35, v0
.LBB307_1061:                           ;   in Loop: Header=BB307_1055 Depth=1
	s_wait_alu 0xfffe
	s_or_b32 exec_lo, exec_lo, s13
.LBB307_1062:                           ;   in Loop: Header=BB307_1055 Depth=1
	s_wait_alu 0xfffe
	s_or_b32 exec_lo, exec_lo, s12
.LBB307_1063:                           ;   in Loop: Header=BB307_1055 Depth=1
	s_wait_alu 0xfffe
	s_or_b32 exec_lo, exec_lo, s0
	v_lshrrev_b16 v0, 8, v10
	v_dual_mov_b32 v35, 0 :: v_dual_mov_b32 v68, 0
	s_mov_b32 s0, exec_lo
	s_delay_alu instid0(VALU_DEP_2)
	v_cmpx_ne_u16_e32 0, v0
	s_cbranch_execz .LBB307_1071
; %bb.1064:                             ;   in Loop: Header=BB307_1055 Depth=1
	v_bfrev_b32_e32 v68, 1
	s_mov_b32 s12, exec_lo
	v_cmpx_ne_u16_e32 0x80, v0
	s_cbranch_execz .LBB307_1070
; %bb.1065:                             ;   in Loop: Header=BB307_1055 Depth=1
	v_and_b32_e32 v69, 0xffff, v0
	v_mov_b32_e32 v68, 0x7c010000
	s_mov_b32 s13, exec_lo
	s_delay_alu instid0(VALU_DEP_2) | instskip(NEXT) | instid1(VALU_DEP_1)
	v_and_b32_e32 v71, 0x7f, v69
	v_cmpx_ne_u32_e32 0x7f, v71
	s_cbranch_execz .LBB307_1069
; %bb.1066:                             ;   in Loop: Header=BB307_1055 Depth=1
	v_and_b32_e32 v68, 7, v69
	v_lshrrev_b32_e32 v70, 3, v71
	s_mov_b32 s14, exec_lo
	v_cmpx_gt_u32_e32 8, v71
; %bb.1067:                             ;   in Loop: Header=BB307_1055 Depth=1
	s_delay_alu instid0(VALU_DEP_3) | instskip(NEXT) | instid1(VALU_DEP_1)
	v_clz_i32_u32_e32 v68, v68
	v_min_u32_e32 v68, 32, v68
	s_delay_alu instid0(VALU_DEP_1) | instskip(NEXT) | instid1(VALU_DEP_1)
	v_subrev_nc_u32_e32 v70, 28, v68
	v_lshlrev_b64_e32 v[82:83], v70, v[0:1]
	v_sub_nc_u32_e32 v70, 29, v68
	s_delay_alu instid0(VALU_DEP_2)
	v_and_b32_e32 v68, 7, v82
; %bb.1068:                             ;   in Loop: Header=BB307_1055 Depth=1
	s_wait_alu 0xfffe
	s_or_b32 exec_lo, exec_lo, s14
	v_lshlrev_b32_e32 v0, 8, v69
	v_lshl_add_u32 v69, v70, 10, 0x2000
	v_lshlrev_b32_e32 v68, 23, v68
	s_delay_alu instid0(VALU_DEP_2) | instskip(NEXT) | instid1(VALU_DEP_1)
	v_and_or_b32 v0, 0x8000, v0, v69
	v_lshl_or_b32 v68, v0, 16, v68
.LBB307_1069:                           ;   in Loop: Header=BB307_1055 Depth=1
	s_wait_alu 0xfffe
	s_or_b32 exec_lo, exec_lo, s13
.LBB307_1070:                           ;   in Loop: Header=BB307_1055 Depth=1
	s_wait_alu 0xfffe
	s_or_b32 exec_lo, exec_lo, s12
.LBB307_1071:                           ;   in Loop: Header=BB307_1055 Depth=1
	s_wait_alu 0xfffe
	s_or_b32 exec_lo, exec_lo, s0
	v_lshrrev_b32_e32 v0, 16, v10
	s_mov_b32 s0, exec_lo
	s_delay_alu instid0(VALU_DEP_1) | instskip(NEXT) | instid1(VALU_DEP_1)
	v_and_b32_e32 v69, 0xff, v0
	v_cmpx_ne_u16_e32 0, v69
	s_cbranch_execz .LBB307_1079
; %bb.1072:                             ;   in Loop: Header=BB307_1055 Depth=1
	v_mov_b32_e32 v35, 0x8000
	s_mov_b32 s12, exec_lo
	v_cmpx_ne_u16_e32 0x80, v69
	s_cbranch_execz .LBB307_1078
; %bb.1073:                             ;   in Loop: Header=BB307_1055 Depth=1
	v_bfe_u32 v70, v10, 16, 7
	v_mov_b32_e32 v35, 0x7c01
	s_mov_b32 s13, exec_lo
	s_delay_alu instid0(VALU_DEP_2)
	v_cmpx_ne_u32_e32 0x7f, v70
	s_cbranch_execz .LBB307_1077
; %bb.1074:                             ;   in Loop: Header=BB307_1055 Depth=1
	v_and_b32_e32 v35, 7, v0
	v_lshrrev_b32_e32 v69, 3, v70
	s_mov_b32 s14, exec_lo
	v_cmpx_gt_u32_e32 8, v70
; %bb.1075:                             ;   in Loop: Header=BB307_1055 Depth=1
	s_delay_alu instid0(VALU_DEP_3) | instskip(NEXT) | instid1(VALU_DEP_1)
	v_clz_i32_u32_e32 v35, v35
	v_min_u32_e32 v35, 32, v35
	s_delay_alu instid0(VALU_DEP_1) | instskip(NEXT) | instid1(VALU_DEP_1)
	v_subrev_nc_u32_e32 v69, 28, v35
	v_lshlrev_b64_e32 v[70:71], v69, v[0:1]
	v_sub_nc_u32_e32 v69, 29, v35
	s_delay_alu instid0(VALU_DEP_2)
	v_and_b32_e32 v35, 7, v70
; %bb.1076:                             ;   in Loop: Header=BB307_1055 Depth=1
	s_wait_alu 0xfffe
	s_or_b32 exec_lo, exec_lo, s14
	v_lshlrev_b32_e32 v0, 8, v0
	v_lshl_add_u32 v69, v69, 10, 0x2000
	v_lshlrev_b32_e32 v35, 7, v35
	s_delay_alu instid0(VALU_DEP_3) | instskip(NEXT) | instid1(VALU_DEP_3)
	v_and_b32_e32 v0, 0x8000, v0
	v_and_b32_e32 v69, 0xfc00, v69
	s_delay_alu instid0(VALU_DEP_1)
	v_or3_b32 v35, v0, v69, v35
.LBB307_1077:                           ;   in Loop: Header=BB307_1055 Depth=1
	s_wait_alu 0xfffe
	s_or_b32 exec_lo, exec_lo, s13
.LBB307_1078:                           ;   in Loop: Header=BB307_1055 Depth=1
	s_wait_alu 0xfffe
	s_or_b32 exec_lo, exec_lo, s12
.LBB307_1079:                           ;   in Loop: Header=BB307_1055 Depth=1
	s_wait_alu 0xfffe
	s_or_b32 exec_lo, exec_lo, s0
	v_dual_mov_b32 v69, 0 :: v_dual_mov_b32 v70, 0
	s_mov_b32 s0, exec_lo
	v_cmpx_lt_u32_e32 0xffffff, v10
	s_cbranch_execz .LBB307_1087
; %bb.1080:                             ;   in Loop: Header=BB307_1055 Depth=1
	v_lshrrev_b32_e32 v0, 24, v10
	v_bfrev_b32_e32 v70, 1
	s_mov_b32 s12, exec_lo
	s_delay_alu instid0(VALU_DEP_2)
	v_cmpx_ne_u32_e32 0x80, v0
	s_cbranch_execz .LBB307_1086
; %bb.1081:                             ;   in Loop: Header=BB307_1055 Depth=1
	v_and_b32_e32 v82, 0x7f, v0
	v_mov_b32_e32 v70, 0x7c010000
	s_mov_b32 s13, exec_lo
	s_delay_alu instid0(VALU_DEP_2)
	v_cmpx_ne_u32_e32 0x7f, v82
	s_cbranch_execz .LBB307_1085
; %bb.1082:                             ;   in Loop: Header=BB307_1055 Depth=1
	v_and_b32_e32 v70, 7, v0
	v_lshrrev_b32_e32 v71, 3, v82
	s_mov_b32 s14, exec_lo
	v_cmpx_gt_u32_e32 8, v82
; %bb.1083:                             ;   in Loop: Header=BB307_1055 Depth=1
	s_delay_alu instid0(VALU_DEP_3) | instskip(NEXT) | instid1(VALU_DEP_1)
	v_clz_i32_u32_e32 v70, v70
	v_min_u32_e32 v82, 32, v70
	s_delay_alu instid0(VALU_DEP_1) | instskip(NEXT) | instid1(VALU_DEP_1)
	v_subrev_nc_u32_e32 v70, 28, v82
	v_lshlrev_b64_e32 v[70:71], v70, v[0:1]
	v_sub_nc_u32_e32 v71, 29, v82
	s_delay_alu instid0(VALU_DEP_2)
	v_and_b32_e32 v70, 7, v70
; %bb.1084:                             ;   in Loop: Header=BB307_1055 Depth=1
	s_wait_alu 0xfffe
	s_or_b32 exec_lo, exec_lo, s14
	v_lshlrev_b32_e32 v0, 8, v0
	v_lshl_add_u32 v71, v71, 10, 0x2000
	v_lshlrev_b32_e32 v70, 23, v70
	s_delay_alu instid0(VALU_DEP_2) | instskip(NEXT) | instid1(VALU_DEP_1)
	v_and_or_b32 v0, 0x8000, v0, v71
	v_lshl_or_b32 v70, v0, 16, v70
.LBB307_1085:                           ;   in Loop: Header=BB307_1055 Depth=1
	s_wait_alu 0xfffe
	s_or_b32 exec_lo, exec_lo, s13
.LBB307_1086:                           ;   in Loop: Header=BB307_1055 Depth=1
	s_wait_alu 0xfffe
	s_or_b32 exec_lo, exec_lo, s12
.LBB307_1087:                           ;   in Loop: Header=BB307_1055 Depth=1
	s_wait_alu 0xfffe
	s_or_b32 exec_lo, exec_lo, s0
	v_dual_mov_b32 v0, v11 :: v_dual_and_b32 v71, 0xff, v11
	s_mov_b32 s0, exec_lo
	s_delay_alu instid0(VALU_DEP_1)
	v_cmpx_ne_u16_e32 0, v71
	s_cbranch_execz .LBB307_1095
; %bb.1088:                             ;   in Loop: Header=BB307_1055 Depth=1
	v_mov_b32_e32 v69, 0x8000
	s_mov_b32 s12, exec_lo
	v_cmpx_ne_u16_e32 0x80, v71
	s_cbranch_execz .LBB307_1094
; %bb.1089:                             ;   in Loop: Header=BB307_1055 Depth=1
	v_and_b32_e32 v82, 0x7f, v11
	v_mov_b32_e32 v69, 0x7c01
	s_mov_b32 s13, exec_lo
	s_delay_alu instid0(VALU_DEP_2)
	v_cmpx_ne_u32_e32 0x7f, v82
	s_cbranch_execz .LBB307_1093
; %bb.1090:                             ;   in Loop: Header=BB307_1055 Depth=1
	v_and_b32_e32 v69, 7, v11
	v_lshrrev_b32_e32 v71, 3, v82
	s_mov_b32 s14, exec_lo
	v_cmpx_gt_u32_e32 8, v82
; %bb.1091:                             ;   in Loop: Header=BB307_1055 Depth=1
	s_delay_alu instid0(VALU_DEP_3) | instskip(NEXT) | instid1(VALU_DEP_1)
	v_clz_i32_u32_e32 v69, v69
	v_min_u32_e32 v69, 32, v69
	s_delay_alu instid0(VALU_DEP_1) | instskip(NEXT) | instid1(VALU_DEP_1)
	v_subrev_nc_u32_e32 v71, 28, v69
	v_lshlrev_b64_e32 v[82:83], v71, v[0:1]
	v_sub_nc_u32_e32 v71, 29, v69
	s_delay_alu instid0(VALU_DEP_2)
	v_and_b32_e32 v69, 7, v82
; %bb.1092:                             ;   in Loop: Header=BB307_1055 Depth=1
	s_wait_alu 0xfffe
	s_or_b32 exec_lo, exec_lo, s14
	v_lshlrev_b32_e32 v82, 8, v11
	v_lshl_add_u32 v71, v71, 10, 0x2000
	v_lshlrev_b32_e32 v69, 7, v69
	s_delay_alu instid0(VALU_DEP_3) | instskip(NEXT) | instid1(VALU_DEP_3)
	v_and_b32_e32 v82, 0x8000, v82
	v_and_b32_e32 v71, 0xfc00, v71
	s_delay_alu instid0(VALU_DEP_1)
	v_or3_b32 v69, v82, v71, v69
.LBB307_1093:                           ;   in Loop: Header=BB307_1055 Depth=1
	s_wait_alu 0xfffe
	s_or_b32 exec_lo, exec_lo, s13
.LBB307_1094:                           ;   in Loop: Header=BB307_1055 Depth=1
	s_wait_alu 0xfffe
	s_or_b32 exec_lo, exec_lo, s12
.LBB307_1095:                           ;   in Loop: Header=BB307_1055 Depth=1
	s_wait_alu 0xfffe
	s_or_b32 exec_lo, exec_lo, s0
	v_lshrrev_b16 v0, 8, v0
	v_dual_mov_b32 v82, 0 :: v_dual_mov_b32 v71, 0
	s_mov_b32 s0, exec_lo
	s_delay_alu instid0(VALU_DEP_2)
	v_cmpx_ne_u16_e32 0, v0
	s_cbranch_execz .LBB307_1103
; %bb.1096:                             ;   in Loop: Header=BB307_1055 Depth=1
	v_bfrev_b32_e32 v71, 1
	s_mov_b32 s12, exec_lo
	v_cmpx_ne_u16_e32 0x80, v0
	s_cbranch_execz .LBB307_1102
; %bb.1097:                             ;   in Loop: Header=BB307_1055 Depth=1
	v_and_b32_e32 v83, 0xffff, v0
	v_mov_b32_e32 v71, 0x7c010000
	s_mov_b32 s13, exec_lo
	s_delay_alu instid0(VALU_DEP_2) | instskip(NEXT) | instid1(VALU_DEP_1)
	v_and_b32_e32 v85, 0x7f, v83
	v_cmpx_ne_u32_e32 0x7f, v85
	s_cbranch_execz .LBB307_1101
; %bb.1098:                             ;   in Loop: Header=BB307_1055 Depth=1
	v_and_b32_e32 v71, 7, v83
	v_lshrrev_b32_e32 v84, 3, v85
	s_mov_b32 s14, exec_lo
	v_cmpx_gt_u32_e32 8, v85
; %bb.1099:                             ;   in Loop: Header=BB307_1055 Depth=1
	s_delay_alu instid0(VALU_DEP_3) | instskip(NEXT) | instid1(VALU_DEP_1)
	v_clz_i32_u32_e32 v71, v71
	v_min_u32_e32 v71, 32, v71
	s_delay_alu instid0(VALU_DEP_1) | instskip(NEXT) | instid1(VALU_DEP_1)
	v_subrev_nc_u32_e32 v84, 28, v71
	v_lshlrev_b64_e32 v[85:86], v84, v[0:1]
	v_sub_nc_u32_e32 v84, 29, v71
	s_delay_alu instid0(VALU_DEP_2)
	v_and_b32_e32 v71, 7, v85
; %bb.1100:                             ;   in Loop: Header=BB307_1055 Depth=1
	s_wait_alu 0xfffe
	s_or_b32 exec_lo, exec_lo, s14
	v_lshlrev_b32_e32 v0, 8, v83
	v_lshl_add_u32 v83, v84, 10, 0x2000
	v_lshlrev_b32_e32 v71, 23, v71
	s_delay_alu instid0(VALU_DEP_2) | instskip(NEXT) | instid1(VALU_DEP_1)
	v_and_or_b32 v0, 0x8000, v0, v83
	v_lshl_or_b32 v71, v0, 16, v71
.LBB307_1101:                           ;   in Loop: Header=BB307_1055 Depth=1
	s_wait_alu 0xfffe
	s_or_b32 exec_lo, exec_lo, s13
.LBB307_1102:                           ;   in Loop: Header=BB307_1055 Depth=1
	s_wait_alu 0xfffe
	s_or_b32 exec_lo, exec_lo, s12
.LBB307_1103:                           ;   in Loop: Header=BB307_1055 Depth=1
	s_wait_alu 0xfffe
	s_or_b32 exec_lo, exec_lo, s0
	v_lshrrev_b32_e32 v0, 16, v11
	s_mov_b32 s0, exec_lo
	s_delay_alu instid0(VALU_DEP_1) | instskip(NEXT) | instid1(VALU_DEP_1)
	v_and_b32_e32 v83, 0xff, v0
	v_cmpx_ne_u16_e32 0, v83
	s_cbranch_execz .LBB307_1111
; %bb.1104:                             ;   in Loop: Header=BB307_1055 Depth=1
	v_mov_b32_e32 v82, 0x8000
	s_mov_b32 s12, exec_lo
	v_cmpx_ne_u16_e32 0x80, v83
	s_cbranch_execz .LBB307_1110
; %bb.1105:                             ;   in Loop: Header=BB307_1055 Depth=1
	v_bfe_u32 v84, v11, 16, 7
	v_mov_b32_e32 v82, 0x7c01
	s_mov_b32 s13, exec_lo
	s_delay_alu instid0(VALU_DEP_2)
	v_cmpx_ne_u32_e32 0x7f, v84
	s_cbranch_execz .LBB307_1109
; %bb.1106:                             ;   in Loop: Header=BB307_1055 Depth=1
	v_and_b32_e32 v82, 7, v0
	v_lshrrev_b32_e32 v83, 3, v84
	s_mov_b32 s14, exec_lo
	v_cmpx_gt_u32_e32 8, v84
; %bb.1107:                             ;   in Loop: Header=BB307_1055 Depth=1
	s_delay_alu instid0(VALU_DEP_3) | instskip(NEXT) | instid1(VALU_DEP_1)
	v_clz_i32_u32_e32 v82, v82
	v_min_u32_e32 v84, 32, v82
	s_delay_alu instid0(VALU_DEP_1) | instskip(NEXT) | instid1(VALU_DEP_1)
	v_subrev_nc_u32_e32 v82, 28, v84
	v_lshlrev_b64_e32 v[82:83], v82, v[0:1]
	v_sub_nc_u32_e32 v83, 29, v84
	s_delay_alu instid0(VALU_DEP_2)
	v_and_b32_e32 v82, 7, v82
; %bb.1108:                             ;   in Loop: Header=BB307_1055 Depth=1
	s_wait_alu 0xfffe
	s_or_b32 exec_lo, exec_lo, s14
	v_lshlrev_b32_e32 v0, 8, v0
	v_lshl_add_u32 v83, v83, 10, 0x2000
	v_lshlrev_b32_e32 v82, 7, v82
	s_delay_alu instid0(VALU_DEP_3) | instskip(NEXT) | instid1(VALU_DEP_3)
	v_and_b32_e32 v0, 0x8000, v0
	v_and_b32_e32 v83, 0xfc00, v83
	s_delay_alu instid0(VALU_DEP_1)
	v_or3_b32 v82, v0, v83, v82
.LBB307_1109:                           ;   in Loop: Header=BB307_1055 Depth=1
	s_wait_alu 0xfffe
	s_or_b32 exec_lo, exec_lo, s13
.LBB307_1110:                           ;   in Loop: Header=BB307_1055 Depth=1
	s_wait_alu 0xfffe
	s_or_b32 exec_lo, exec_lo, s12
.LBB307_1111:                           ;   in Loop: Header=BB307_1055 Depth=1
	s_wait_alu 0xfffe
	s_or_b32 exec_lo, exec_lo, s0
	v_cmp_lt_u64_e32 vcc_lo, s[8:9], v[10:11]
	v_mov_b32_e32 v10, 0
	s_and_saveexec_b32 s0, vcc_lo
	s_cbranch_execz .LBB307_1119
; %bb.1112:                             ;   in Loop: Header=BB307_1055 Depth=1
	v_lshrrev_b32_e32 v0, 24, v11
	v_bfrev_b32_e32 v10, 1
	s_mov_b32 s12, exec_lo
	s_delay_alu instid0(VALU_DEP_2)
	v_cmpx_ne_u32_e32 0x80, v0
	s_cbranch_execz .LBB307_1118
; %bb.1113:                             ;   in Loop: Header=BB307_1055 Depth=1
	v_and_b32_e32 v83, 0x7f, v0
	v_mov_b32_e32 v10, 0x7c010000
	s_mov_b32 s13, exec_lo
	s_delay_alu instid0(VALU_DEP_2)
	v_cmpx_ne_u32_e32 0x7f, v83
	s_cbranch_execz .LBB307_1117
; %bb.1114:                             ;   in Loop: Header=BB307_1055 Depth=1
	v_and_b32_e32 v10, 7, v0
	v_lshrrev_b32_e32 v11, 3, v83
	s_mov_b32 s14, exec_lo
	v_cmpx_gt_u32_e32 8, v83
; %bb.1115:                             ;   in Loop: Header=BB307_1055 Depth=1
	s_delay_alu instid0(VALU_DEP_3) | instskip(NEXT) | instid1(VALU_DEP_1)
	v_clz_i32_u32_e32 v10, v10
	v_min_u32_e32 v83, 32, v10
	s_delay_alu instid0(VALU_DEP_1) | instskip(NEXT) | instid1(VALU_DEP_1)
	v_subrev_nc_u32_e32 v10, 28, v83
	v_lshlrev_b64_e32 v[10:11], v10, v[0:1]
	v_sub_nc_u32_e32 v11, 29, v83
	s_delay_alu instid0(VALU_DEP_2)
	v_and_b32_e32 v10, 7, v10
; %bb.1116:                             ;   in Loop: Header=BB307_1055 Depth=1
	s_wait_alu 0xfffe
	s_or_b32 exec_lo, exec_lo, s14
	v_lshlrev_b32_e32 v0, 8, v0
	v_lshl_add_u32 v11, v11, 10, 0x2000
	v_lshlrev_b32_e32 v10, 23, v10
	s_delay_alu instid0(VALU_DEP_2) | instskip(NEXT) | instid1(VALU_DEP_1)
	v_and_or_b32 v0, 0x8000, v0, v11
	v_lshl_or_b32 v10, v0, 16, v10
.LBB307_1117:                           ;   in Loop: Header=BB307_1055 Depth=1
	s_wait_alu 0xfffe
	s_or_b32 exec_lo, exec_lo, s13
.LBB307_1118:                           ;   in Loop: Header=BB307_1055 Depth=1
	s_wait_alu 0xfffe
	s_or_b32 exec_lo, exec_lo, s12
.LBB307_1119:                           ;   in Loop: Header=BB307_1055 Depth=1
	s_wait_alu 0xfffe
	s_or_b32 exec_lo, exec_lo, s0
	v_or_b32_e32 v0, v70, v35
	s_wait_loadcnt_dscnt 0x0
	v_fma_mixlo_f16 v11, v66, v70, 0 op_sel:[0,1,0] op_sel_hi:[0,1,0]
	v_or_b32_e32 v67, v68, v67
	v_fma_mixlo_f16 v68, v66, v68, 0 op_sel:[0,1,0] op_sel_hi:[0,1,0]
	v_or_b32_e32 v69, v71, v69
	v_fma_mixlo_f16 v0, v66, v0, 0 op_sel_hi:[0,1,0]
	v_or_b32_e32 v70, v10, v82
	v_fma_mixlo_f16 v10, v66, v10, 0 op_sel:[0,1,0] op_sel_hi:[0,1,0]
	v_lshlrev_b32_e32 v96, 16, v68
	v_fma_mixlo_f16 v68, v66, v69, 0 op_sel_hi:[0,1,0]
	v_and_b32_e32 v85, 0xffff, v0
	v_fma_mixlo_f16 v0, v66, v67, 0 op_sel_hi:[0,1,0]
	v_fma_mixlo_f16 v67, v66, v71, 0 op_sel:[0,1,0] op_sel_hi:[0,1,0]
	v_fma_mixlo_f16 v66, v66, v70, 0 op_sel_hi:[0,1,0]
	v_lshlrev_b32_e32 v11, 16, v11
	v_and_b32_e32 v97, 0xffff, v68
	v_and_b32_e32 v98, 0xffff, v0
	v_lshlrev_b32_e32 v86, 16, v67
	v_lshlrev_b32_e32 v83, 16, v10
	v_and_b32_e32 v87, 0xffff, v66
	v_add_nc_u32_e32 v35, -7, v14
	v_cmp_eq_u32_e32 vcc_lo, v34, v31
	v_or_b32_e32 v0, v11, v85
	v_or_b32_e32 v10, v96, v98
	;; [unrolled: 1-line block ×4, first 2 shown]
	v_add_nc_u32_e32 v71, -6, v14
	v_add_nc_u32_e32 v70, -5, v14
	;; [unrolled: 1-line block ×6, first 2 shown]
	s_and_saveexec_b32 s12, vcc_lo
	s_cbranch_execz .LBB307_1121
; %bb.1120:                             ;   in Loop: Header=BB307_1055 Depth=1
	v_cmp_lt_i32_e64 s0, v35, v32
	s_wait_alu 0xf1ff
	s_delay_alu instid0(VALU_DEP_1) | instskip(SKIP_2) | instid1(VALU_DEP_1)
	v_cndmask_b32_e64 v0, 0, v98, s0
	v_cmp_lt_i32_e64 s0, v71, v32
	s_wait_alu 0xf1ff
	v_cndmask_b32_e64 v10, 0, v96, s0
	v_cmp_lt_i32_e64 s0, v70, v32
	s_delay_alu instid0(VALU_DEP_2) | instskip(SKIP_1) | instid1(VALU_DEP_2)
	v_or_b32_e32 v10, v0, v10
	s_wait_alu 0xf1ff
	v_cndmask_b32_e64 v82, 0, v85, s0
	v_cmp_lt_i32_e64 s0, v69, v32
	s_wait_alu 0xf1ff
	s_delay_alu instid0(VALU_DEP_1) | instskip(SKIP_1) | instid1(VALU_DEP_2)
	v_cndmask_b32_e64 v11, 0, v11, s0
	v_cmp_lt_i32_e64 s0, v68, v32
	v_or_b32_e32 v0, v82, v11
	s_wait_alu 0xf1ff
	s_delay_alu instid0(VALU_DEP_2) | instskip(SKIP_2) | instid1(VALU_DEP_1)
	v_cndmask_b32_e64 v84, 0, v97, s0
	v_cmp_lt_i32_e64 s0, v67, v32
	s_wait_alu 0xf1ff
	v_cndmask_b32_e64 v85, 0, v86, s0
	v_cmp_lt_i32_e64 s0, v66, v32
	s_delay_alu instid0(VALU_DEP_2) | instskip(SKIP_1) | instid1(VALU_DEP_2)
	v_or_b32_e32 v82, v84, v85
	s_wait_alu 0xf1ff
	v_cndmask_b32_e64 v86, 0, v87, s0
	v_cmp_lt_i32_e64 s0, v14, v32
	s_wait_alu 0xf1ff
	s_delay_alu instid0(VALU_DEP_1) | instskip(NEXT) | instid1(VALU_DEP_1)
	v_cndmask_b32_e64 v83, 0, v83, s0
	v_or_b32_e32 v84, v86, v83
.LBB307_1121:                           ;   in Loop: Header=BB307_1055 Depth=1
	s_wait_alu 0xfffe
	s_or_b32 exec_lo, exec_lo, s12
	v_and_b32_e32 v11, 0xffff, v36
	v_and_b32_e32 v36, 0xffff, v64
	;; [unrolled: 1-line block ×4, first 2 shown]
	s_mov_b32 s12, exec_lo
	v_lshl_or_b32 v64, v37, 16, v11
	v_lshl_or_b32 v54, v54, 16, v36
	;;#ASMSTART
	v_pk_mul_f16 v10, v64, v10;

	;;#ASMEND
	;;#ASMSTART
	v_pk_mul_f16 v0, v54, v0;

	;;#ASMEND
	v_lshl_or_b32 v37, v55, 16, v80
	v_lshl_or_b32 v36, v65, 16, v81
	;;#ASMSTART
	v_pk_mul_f16 v11, v37, v82;

	;;#ASMEND
	;;#ASMSTART
	v_pk_mul_f16 v55, v36, v84;

	;;#ASMEND
	;;#ASMSTART
	v_pk_add_f16 v0, v10, v0;

	;;#ASMEND
	;;#ASMSTART
	v_pk_add_f16 v0, v0, v11;
	;; [unrolled: 4-line block ×3, first 2 shown]

	;;#ASMEND
	v_and_b32_e32 v10, 0xffff, v0
	v_lshrrev_b32_e32 v0, 16, v0
	;;#ASMSTART
	v_cvt_f32_f16 v55, v10;
	;;#ASMEND
	;;#ASMSTART
	v_cvt_f32_f16 v65, v0;
	;;#ASMEND
	flat_load_b64 v[10:11], v[8:9] offset:256
	flat_load_b32 v80, v[26:27]
	v_dual_mov_b32 v81, 0 :: v_dual_mov_b32 v82, 0
	s_wait_loadcnt_dscnt 0x101
	v_and_b32_e32 v0, 0xff, v10
	s_delay_alu instid0(VALU_DEP_1)
	v_cmpx_ne_u16_e32 0, v0
	s_cbranch_execz .LBB307_1129
; %bb.1122:                             ;   in Loop: Header=BB307_1055 Depth=1
	v_mov_b32_e32 v82, 0x8000
	s_mov_b32 s13, exec_lo
	v_cmpx_ne_u16_e32 0x80, v0
	s_cbranch_execz .LBB307_1128
; %bb.1123:                             ;   in Loop: Header=BB307_1055 Depth=1
	v_and_b32_e32 v83, 0x7f, v10
	v_mov_b32_e32 v82, 0x7c01
	s_mov_b32 s14, exec_lo
	s_delay_alu instid0(VALU_DEP_2)
	v_cmpx_ne_u32_e32 0x7f, v83
	s_cbranch_execz .LBB307_1127
; %bb.1124:                             ;   in Loop: Header=BB307_1055 Depth=1
	v_and_b32_e32 v0, 7, v10
	v_lshrrev_b32_e32 v82, 3, v83
	s_mov_b32 s15, exec_lo
	v_cmpx_gt_u32_e32 8, v83
; %bb.1125:                             ;   in Loop: Header=BB307_1055 Depth=1
	s_delay_alu instid0(VALU_DEP_3) | instskip(NEXT) | instid1(VALU_DEP_1)
	v_clz_i32_u32_e32 v0, v0
	v_min_u32_e32 v0, 32, v0
	s_delay_alu instid0(VALU_DEP_1) | instskip(NEXT) | instid1(VALU_DEP_1)
	v_subrev_nc_u32_e32 v82, 28, v0
	v_lshlrev_b64_e32 v[83:84], v82, v[10:11]
	v_sub_nc_u32_e32 v82, 29, v0
	s_delay_alu instid0(VALU_DEP_2)
	v_and_b32_e32 v0, 7, v83
; %bb.1126:                             ;   in Loop: Header=BB307_1055 Depth=1
	s_wait_alu 0xfffe
	s_or_b32 exec_lo, exec_lo, s15
	v_lshlrev_b32_e32 v83, 8, v10
	v_lshl_add_u32 v82, v82, 10, 0x2000
	v_lshlrev_b32_e32 v0, 7, v0
	s_delay_alu instid0(VALU_DEP_3) | instskip(NEXT) | instid1(VALU_DEP_3)
	v_and_b32_e32 v83, 0x8000, v83
	v_and_b32_e32 v82, 0xfc00, v82
	s_delay_alu instid0(VALU_DEP_1)
	v_or3_b32 v82, v83, v82, v0
.LBB307_1127:                           ;   in Loop: Header=BB307_1055 Depth=1
	s_wait_alu 0xfffe
	s_or_b32 exec_lo, exec_lo, s14
.LBB307_1128:                           ;   in Loop: Header=BB307_1055 Depth=1
	s_wait_alu 0xfffe
	s_or_b32 exec_lo, exec_lo, s13
.LBB307_1129:                           ;   in Loop: Header=BB307_1055 Depth=1
	s_wait_alu 0xfffe
	s_or_b32 exec_lo, exec_lo, s12
	v_lshrrev_b16 v0, 8, v10
	s_mov_b32 s12, exec_lo
	s_delay_alu instid0(VALU_DEP_1)
	v_cmpx_ne_u16_e32 0, v0
	s_cbranch_execz .LBB307_1137
; %bb.1130:                             ;   in Loop: Header=BB307_1055 Depth=1
	v_bfrev_b32_e32 v81, 1
	s_mov_b32 s13, exec_lo
	v_cmpx_ne_u16_e32 0x80, v0
	s_cbranch_execz .LBB307_1136
; %bb.1131:                             ;   in Loop: Header=BB307_1055 Depth=1
	v_and_b32_e32 v83, 0xffff, v0
	v_mov_b32_e32 v81, 0x7c010000
	s_mov_b32 s14, exec_lo
	s_delay_alu instid0(VALU_DEP_2) | instskip(NEXT) | instid1(VALU_DEP_1)
	v_and_b32_e32 v85, 0x7f, v83
	v_cmpx_ne_u32_e32 0x7f, v85
	s_cbranch_execz .LBB307_1135
; %bb.1132:                             ;   in Loop: Header=BB307_1055 Depth=1
	v_and_b32_e32 v81, 7, v83
	v_lshrrev_b32_e32 v84, 3, v85
	s_mov_b32 s15, exec_lo
	v_cmpx_gt_u32_e32 8, v85
; %bb.1133:                             ;   in Loop: Header=BB307_1055 Depth=1
	s_delay_alu instid0(VALU_DEP_3) | instskip(NEXT) | instid1(VALU_DEP_1)
	v_clz_i32_u32_e32 v81, v81
	v_min_u32_e32 v81, 32, v81
	s_delay_alu instid0(VALU_DEP_1) | instskip(NEXT) | instid1(VALU_DEP_1)
	v_subrev_nc_u32_e32 v84, 28, v81
	v_lshlrev_b64_e32 v[85:86], v84, v[0:1]
	v_sub_nc_u32_e32 v84, 29, v81
	s_delay_alu instid0(VALU_DEP_2)
	v_and_b32_e32 v81, 7, v85
; %bb.1134:                             ;   in Loop: Header=BB307_1055 Depth=1
	s_wait_alu 0xfffe
	s_or_b32 exec_lo, exec_lo, s15
	v_lshlrev_b32_e32 v0, 8, v83
	v_lshl_add_u32 v83, v84, 10, 0x2000
	v_lshlrev_b32_e32 v81, 23, v81
	s_delay_alu instid0(VALU_DEP_2) | instskip(NEXT) | instid1(VALU_DEP_1)
	v_and_or_b32 v0, 0x8000, v0, v83
	v_lshl_or_b32 v81, v0, 16, v81
.LBB307_1135:                           ;   in Loop: Header=BB307_1055 Depth=1
	s_wait_alu 0xfffe
	s_or_b32 exec_lo, exec_lo, s14
.LBB307_1136:                           ;   in Loop: Header=BB307_1055 Depth=1
	s_wait_alu 0xfffe
	s_or_b32 exec_lo, exec_lo, s13
.LBB307_1137:                           ;   in Loop: Header=BB307_1055 Depth=1
	s_wait_alu 0xfffe
	s_or_b32 exec_lo, exec_lo, s12
	v_lshrrev_b32_e32 v0, 16, v10
	v_mov_b32_e32 v83, 0
	s_mov_b32 s12, exec_lo
	s_delay_alu instid0(VALU_DEP_2) | instskip(NEXT) | instid1(VALU_DEP_1)
	v_dual_mov_b32 v84, 0 :: v_dual_and_b32 v85, 0xff, v0
	v_cmpx_ne_u16_e32 0, v85
	s_cbranch_execz .LBB307_1145
; %bb.1138:                             ;   in Loop: Header=BB307_1055 Depth=1
	v_mov_b32_e32 v84, 0x8000
	s_mov_b32 s13, exec_lo
	v_cmpx_ne_u16_e32 0x80, v85
	s_cbranch_execz .LBB307_1144
; %bb.1139:                             ;   in Loop: Header=BB307_1055 Depth=1
	v_bfe_u32 v86, v10, 16, 7
	v_mov_b32_e32 v84, 0x7c01
	s_mov_b32 s14, exec_lo
	s_delay_alu instid0(VALU_DEP_2)
	v_cmpx_ne_u32_e32 0x7f, v86
	s_cbranch_execz .LBB307_1143
; %bb.1140:                             ;   in Loop: Header=BB307_1055 Depth=1
	v_and_b32_e32 v84, 7, v0
	v_lshrrev_b32_e32 v85, 3, v86
	s_mov_b32 s15, exec_lo
	v_cmpx_gt_u32_e32 8, v86
; %bb.1141:                             ;   in Loop: Header=BB307_1055 Depth=1
	s_delay_alu instid0(VALU_DEP_3) | instskip(NEXT) | instid1(VALU_DEP_1)
	v_clz_i32_u32_e32 v84, v84
	v_min_u32_e32 v86, 32, v84
	s_delay_alu instid0(VALU_DEP_1) | instskip(NEXT) | instid1(VALU_DEP_1)
	v_subrev_nc_u32_e32 v84, 28, v86
	v_lshlrev_b64_e32 v[84:85], v84, v[0:1]
	v_sub_nc_u32_e32 v85, 29, v86
	s_delay_alu instid0(VALU_DEP_2)
	v_and_b32_e32 v84, 7, v84
; %bb.1142:                             ;   in Loop: Header=BB307_1055 Depth=1
	s_wait_alu 0xfffe
	s_or_b32 exec_lo, exec_lo, s15
	v_lshlrev_b32_e32 v0, 8, v0
	v_lshl_add_u32 v85, v85, 10, 0x2000
	v_lshlrev_b32_e32 v84, 7, v84
	s_delay_alu instid0(VALU_DEP_3) | instskip(NEXT) | instid1(VALU_DEP_3)
	v_and_b32_e32 v0, 0x8000, v0
	v_and_b32_e32 v85, 0xfc00, v85
	s_delay_alu instid0(VALU_DEP_1)
	v_or3_b32 v84, v0, v85, v84
.LBB307_1143:                           ;   in Loop: Header=BB307_1055 Depth=1
	s_wait_alu 0xfffe
	s_or_b32 exec_lo, exec_lo, s14
.LBB307_1144:                           ;   in Loop: Header=BB307_1055 Depth=1
	s_wait_alu 0xfffe
	s_or_b32 exec_lo, exec_lo, s13
.LBB307_1145:                           ;   in Loop: Header=BB307_1055 Depth=1
	s_wait_alu 0xfffe
	s_or_b32 exec_lo, exec_lo, s12
	s_delay_alu instid0(SALU_CYCLE_1)
	s_mov_b32 s12, exec_lo
	v_cmpx_lt_u32_e32 0xffffff, v10
	s_cbranch_execz .LBB307_1153
; %bb.1146:                             ;   in Loop: Header=BB307_1055 Depth=1
	v_lshrrev_b32_e32 v0, 24, v10
	v_bfrev_b32_e32 v83, 1
	s_mov_b32 s13, exec_lo
	s_delay_alu instid0(VALU_DEP_2)
	v_cmpx_ne_u32_e32 0x80, v0
	s_cbranch_execz .LBB307_1152
; %bb.1147:                             ;   in Loop: Header=BB307_1055 Depth=1
	v_and_b32_e32 v86, 0x7f, v0
	v_mov_b32_e32 v83, 0x7c010000
	s_mov_b32 s14, exec_lo
	s_delay_alu instid0(VALU_DEP_2)
	v_cmpx_ne_u32_e32 0x7f, v86
	s_cbranch_execz .LBB307_1151
; %bb.1148:                             ;   in Loop: Header=BB307_1055 Depth=1
	v_and_b32_e32 v83, 7, v0
	v_lshrrev_b32_e32 v85, 3, v86
	s_mov_b32 s15, exec_lo
	v_cmpx_gt_u32_e32 8, v86
; %bb.1149:                             ;   in Loop: Header=BB307_1055 Depth=1
	s_delay_alu instid0(VALU_DEP_3) | instskip(NEXT) | instid1(VALU_DEP_1)
	v_clz_i32_u32_e32 v83, v83
	v_min_u32_e32 v83, 32, v83
	s_delay_alu instid0(VALU_DEP_1) | instskip(NEXT) | instid1(VALU_DEP_1)
	v_subrev_nc_u32_e32 v85, 28, v83
	v_lshlrev_b64_e32 v[86:87], v85, v[0:1]
	v_sub_nc_u32_e32 v85, 29, v83
	s_delay_alu instid0(VALU_DEP_2)
	v_and_b32_e32 v83, 7, v86
; %bb.1150:                             ;   in Loop: Header=BB307_1055 Depth=1
	s_wait_alu 0xfffe
	s_or_b32 exec_lo, exec_lo, s15
	v_lshlrev_b32_e32 v0, 8, v0
	v_lshl_add_u32 v85, v85, 10, 0x2000
	v_lshlrev_b32_e32 v83, 23, v83
	s_delay_alu instid0(VALU_DEP_2) | instskip(NEXT) | instid1(VALU_DEP_1)
	v_and_or_b32 v0, 0x8000, v0, v85
	v_lshl_or_b32 v83, v0, 16, v83
.LBB307_1151:                           ;   in Loop: Header=BB307_1055 Depth=1
	s_wait_alu 0xfffe
	s_or_b32 exec_lo, exec_lo, s14
.LBB307_1152:                           ;   in Loop: Header=BB307_1055 Depth=1
	s_wait_alu 0xfffe
	s_or_b32 exec_lo, exec_lo, s13
.LBB307_1153:                           ;   in Loop: Header=BB307_1055 Depth=1
	s_wait_alu 0xfffe
	s_or_b32 exec_lo, exec_lo, s12
	v_dual_mov_b32 v0, v11 :: v_dual_and_b32 v87, 0xff, v11
	v_dual_mov_b32 v85, 0 :: v_dual_mov_b32 v86, 0
	s_mov_b32 s12, exec_lo
	s_delay_alu instid0(VALU_DEP_2)
	v_cmpx_ne_u16_e32 0, v87
	s_cbranch_execz .LBB307_1161
; %bb.1154:                             ;   in Loop: Header=BB307_1055 Depth=1
	v_mov_b32_e32 v86, 0x8000
	s_mov_b32 s13, exec_lo
	v_cmpx_ne_u16_e32 0x80, v87
	s_cbranch_execz .LBB307_1160
; %bb.1155:                             ;   in Loop: Header=BB307_1055 Depth=1
	v_and_b32_e32 v96, 0x7f, v11
	v_mov_b32_e32 v86, 0x7c01
	s_mov_b32 s14, exec_lo
	s_delay_alu instid0(VALU_DEP_2)
	v_cmpx_ne_u32_e32 0x7f, v96
	s_cbranch_execz .LBB307_1159
; %bb.1156:                             ;   in Loop: Header=BB307_1055 Depth=1
	v_and_b32_e32 v86, 7, v11
	v_lshrrev_b32_e32 v87, 3, v96
	s_mov_b32 s15, exec_lo
	v_cmpx_gt_u32_e32 8, v96
; %bb.1157:                             ;   in Loop: Header=BB307_1055 Depth=1
	s_delay_alu instid0(VALU_DEP_3) | instskip(NEXT) | instid1(VALU_DEP_1)
	v_clz_i32_u32_e32 v86, v86
	v_min_u32_e32 v96, 32, v86
	s_delay_alu instid0(VALU_DEP_1) | instskip(NEXT) | instid1(VALU_DEP_1)
	v_subrev_nc_u32_e32 v86, 28, v96
	v_lshlrev_b64_e32 v[86:87], v86, v[0:1]
	v_sub_nc_u32_e32 v87, 29, v96
	s_delay_alu instid0(VALU_DEP_2)
	v_and_b32_e32 v86, 7, v86
; %bb.1158:                             ;   in Loop: Header=BB307_1055 Depth=1
	s_wait_alu 0xfffe
	s_or_b32 exec_lo, exec_lo, s15
	v_lshlrev_b32_e32 v96, 8, v11
	v_lshl_add_u32 v87, v87, 10, 0x2000
	v_lshlrev_b32_e32 v86, 7, v86
	s_delay_alu instid0(VALU_DEP_3) | instskip(NEXT) | instid1(VALU_DEP_3)
	v_and_b32_e32 v96, 0x8000, v96
	v_and_b32_e32 v87, 0xfc00, v87
	s_delay_alu instid0(VALU_DEP_1)
	v_or3_b32 v86, v96, v87, v86
.LBB307_1159:                           ;   in Loop: Header=BB307_1055 Depth=1
	s_wait_alu 0xfffe
	s_or_b32 exec_lo, exec_lo, s14
.LBB307_1160:                           ;   in Loop: Header=BB307_1055 Depth=1
	s_wait_alu 0xfffe
	s_or_b32 exec_lo, exec_lo, s13
.LBB307_1161:                           ;   in Loop: Header=BB307_1055 Depth=1
	s_wait_alu 0xfffe
	s_or_b32 exec_lo, exec_lo, s12
	v_lshrrev_b16 v0, 8, v0
	v_mov_b32_e32 v87, 0
	s_mov_b32 s12, exec_lo
	s_delay_alu instid0(VALU_DEP_2)
	v_cmpx_ne_u16_e32 0, v0
	s_cbranch_execz .LBB307_1169
; %bb.1162:                             ;   in Loop: Header=BB307_1055 Depth=1
	v_bfrev_b32_e32 v87, 1
	s_mov_b32 s13, exec_lo
	v_cmpx_ne_u16_e32 0x80, v0
	s_cbranch_execz .LBB307_1168
; %bb.1163:                             ;   in Loop: Header=BB307_1055 Depth=1
	v_and_b32_e32 v96, 0xffff, v0
	v_mov_b32_e32 v87, 0x7c010000
	s_mov_b32 s14, exec_lo
	s_delay_alu instid0(VALU_DEP_2) | instskip(NEXT) | instid1(VALU_DEP_1)
	v_and_b32_e32 v98, 0x7f, v96
	v_cmpx_ne_u32_e32 0x7f, v98
	s_cbranch_execz .LBB307_1167
; %bb.1164:                             ;   in Loop: Header=BB307_1055 Depth=1
	v_and_b32_e32 v87, 7, v96
	v_lshrrev_b32_e32 v97, 3, v98
	s_mov_b32 s15, exec_lo
	v_cmpx_gt_u32_e32 8, v98
; %bb.1165:                             ;   in Loop: Header=BB307_1055 Depth=1
	s_delay_alu instid0(VALU_DEP_3) | instskip(NEXT) | instid1(VALU_DEP_1)
	v_clz_i32_u32_e32 v87, v87
	v_min_u32_e32 v87, 32, v87
	s_delay_alu instid0(VALU_DEP_1) | instskip(NEXT) | instid1(VALU_DEP_1)
	v_subrev_nc_u32_e32 v97, 28, v87
	v_lshlrev_b64_e32 v[98:99], v97, v[0:1]
	v_sub_nc_u32_e32 v97, 29, v87
	s_delay_alu instid0(VALU_DEP_2)
	v_and_b32_e32 v87, 7, v98
; %bb.1166:                             ;   in Loop: Header=BB307_1055 Depth=1
	s_wait_alu 0xfffe
	s_or_b32 exec_lo, exec_lo, s15
	v_lshlrev_b32_e32 v0, 8, v96
	v_lshl_add_u32 v96, v97, 10, 0x2000
	v_lshlrev_b32_e32 v87, 23, v87
	s_delay_alu instid0(VALU_DEP_2) | instskip(NEXT) | instid1(VALU_DEP_1)
	v_and_or_b32 v0, 0x8000, v0, v96
	v_lshl_or_b32 v87, v0, 16, v87
.LBB307_1167:                           ;   in Loop: Header=BB307_1055 Depth=1
	s_wait_alu 0xfffe
	s_or_b32 exec_lo, exec_lo, s14
.LBB307_1168:                           ;   in Loop: Header=BB307_1055 Depth=1
	s_wait_alu 0xfffe
	s_or_b32 exec_lo, exec_lo, s13
.LBB307_1169:                           ;   in Loop: Header=BB307_1055 Depth=1
	s_wait_alu 0xfffe
	s_or_b32 exec_lo, exec_lo, s12
	v_lshrrev_b32_e32 v0, 16, v11
	s_mov_b32 s12, exec_lo
	s_delay_alu instid0(VALU_DEP_1) | instskip(NEXT) | instid1(VALU_DEP_1)
	v_and_b32_e32 v96, 0xff, v0
	v_cmpx_ne_u16_e32 0, v96
	s_cbranch_execz .LBB307_1177
; %bb.1170:                             ;   in Loop: Header=BB307_1055 Depth=1
	v_mov_b32_e32 v85, 0x8000
	s_mov_b32 s13, exec_lo
	v_cmpx_ne_u16_e32 0x80, v96
	s_cbranch_execz .LBB307_1176
; %bb.1171:                             ;   in Loop: Header=BB307_1055 Depth=1
	v_bfe_u32 v97, v11, 16, 7
	v_mov_b32_e32 v85, 0x7c01
	s_mov_b32 s14, exec_lo
	s_delay_alu instid0(VALU_DEP_2)
	v_cmpx_ne_u32_e32 0x7f, v97
	s_cbranch_execz .LBB307_1175
; %bb.1172:                             ;   in Loop: Header=BB307_1055 Depth=1
	v_and_b32_e32 v85, 7, v0
	v_lshrrev_b32_e32 v96, 3, v97
	s_mov_b32 s15, exec_lo
	v_cmpx_gt_u32_e32 8, v97
; %bb.1173:                             ;   in Loop: Header=BB307_1055 Depth=1
	s_delay_alu instid0(VALU_DEP_3) | instskip(NEXT) | instid1(VALU_DEP_1)
	v_clz_i32_u32_e32 v85, v85
	v_min_u32_e32 v85, 32, v85
	s_delay_alu instid0(VALU_DEP_1) | instskip(NEXT) | instid1(VALU_DEP_1)
	v_subrev_nc_u32_e32 v96, 28, v85
	v_lshlrev_b64_e32 v[97:98], v96, v[0:1]
	v_sub_nc_u32_e32 v96, 29, v85
	s_delay_alu instid0(VALU_DEP_2)
	v_and_b32_e32 v85, 7, v97
; %bb.1174:                             ;   in Loop: Header=BB307_1055 Depth=1
	s_wait_alu 0xfffe
	s_or_b32 exec_lo, exec_lo, s15
	v_lshlrev_b32_e32 v0, 8, v0
	v_lshl_add_u32 v96, v96, 10, 0x2000
	v_lshlrev_b32_e32 v85, 7, v85
	s_delay_alu instid0(VALU_DEP_3) | instskip(NEXT) | instid1(VALU_DEP_3)
	v_and_b32_e32 v0, 0x8000, v0
	v_and_b32_e32 v96, 0xfc00, v96
	s_delay_alu instid0(VALU_DEP_1)
	v_or3_b32 v85, v0, v96, v85
.LBB307_1175:                           ;   in Loop: Header=BB307_1055 Depth=1
	s_wait_alu 0xfffe
	s_or_b32 exec_lo, exec_lo, s14
.LBB307_1176:                           ;   in Loop: Header=BB307_1055 Depth=1
	s_wait_alu 0xfffe
	s_or_b32 exec_lo, exec_lo, s13
.LBB307_1177:                           ;   in Loop: Header=BB307_1055 Depth=1
	s_wait_alu 0xfffe
	s_or_b32 exec_lo, exec_lo, s12
	v_cmp_lt_u64_e64 s0, s[8:9], v[10:11]
	v_mov_b32_e32 v10, 0
	s_and_saveexec_b32 s12, s0
	s_cbranch_execz .LBB307_1185
; %bb.1178:                             ;   in Loop: Header=BB307_1055 Depth=1
	v_lshrrev_b32_e32 v0, 24, v11
	v_bfrev_b32_e32 v10, 1
	s_mov_b32 s13, exec_lo
	s_delay_alu instid0(VALU_DEP_2)
	v_cmpx_ne_u32_e32 0x80, v0
	s_cbranch_execz .LBB307_1184
; %bb.1179:                             ;   in Loop: Header=BB307_1055 Depth=1
	v_and_b32_e32 v96, 0x7f, v0
	v_mov_b32_e32 v10, 0x7c010000
	s_mov_b32 s14, exec_lo
	s_delay_alu instid0(VALU_DEP_2)
	v_cmpx_ne_u32_e32 0x7f, v96
	s_cbranch_execz .LBB307_1183
; %bb.1180:                             ;   in Loop: Header=BB307_1055 Depth=1
	v_and_b32_e32 v10, 7, v0
	v_lshrrev_b32_e32 v11, 3, v96
	s_mov_b32 s15, exec_lo
	v_cmpx_gt_u32_e32 8, v96
; %bb.1181:                             ;   in Loop: Header=BB307_1055 Depth=1
	s_delay_alu instid0(VALU_DEP_3) | instskip(NEXT) | instid1(VALU_DEP_1)
	v_clz_i32_u32_e32 v10, v10
	v_min_u32_e32 v96, 32, v10
	s_delay_alu instid0(VALU_DEP_1) | instskip(NEXT) | instid1(VALU_DEP_1)
	v_subrev_nc_u32_e32 v10, 28, v96
	v_lshlrev_b64_e32 v[10:11], v10, v[0:1]
	v_sub_nc_u32_e32 v11, 29, v96
	s_delay_alu instid0(VALU_DEP_2)
	v_and_b32_e32 v10, 7, v10
; %bb.1182:                             ;   in Loop: Header=BB307_1055 Depth=1
	s_wait_alu 0xfffe
	s_or_b32 exec_lo, exec_lo, s15
	v_lshlrev_b32_e32 v0, 8, v0
	v_lshl_add_u32 v11, v11, 10, 0x2000
	v_lshlrev_b32_e32 v10, 23, v10
	s_delay_alu instid0(VALU_DEP_2) | instskip(NEXT) | instid1(VALU_DEP_1)
	v_and_or_b32 v0, 0x8000, v0, v11
	v_lshl_or_b32 v10, v0, 16, v10
.LBB307_1183:                           ;   in Loop: Header=BB307_1055 Depth=1
	s_wait_alu 0xfffe
	s_or_b32 exec_lo, exec_lo, s14
.LBB307_1184:                           ;   in Loop: Header=BB307_1055 Depth=1
	s_wait_alu 0xfffe
	s_or_b32 exec_lo, exec_lo, s13
.LBB307_1185:                           ;   in Loop: Header=BB307_1055 Depth=1
	s_wait_alu 0xfffe
	s_or_b32 exec_lo, exec_lo, s12
	v_or_b32_e32 v0, v83, v84
	s_wait_loadcnt_dscnt 0x0
	v_fma_mixlo_f16 v11, v80, v83, 0 op_sel:[0,1,0] op_sel_hi:[0,1,0]
	v_or_b32_e32 v83, v81, v82
	v_fma_mixlo_f16 v81, v80, v81, 0 op_sel:[0,1,0] op_sel_hi:[0,1,0]
	v_or_b32_e32 v84, v87, v86
	v_or_b32_e32 v85, v10, v85
	v_fma_mixlo_f16 v86, v80, v0, 0 op_sel_hi:[0,1,0]
	v_fma_mixlo_f16 v10, v80, v10, 0 op_sel:[0,1,0] op_sel_hi:[0,1,0]
	v_lshlrev_b32_e32 v82, 16, v81
	v_fma_mixlo_f16 v81, v80, v83, 0 op_sel_hi:[0,1,0]
	v_fma_mixlo_f16 v83, v80, v87, 0 op_sel:[0,1,0] op_sel_hi:[0,1,0]
	v_fma_mixlo_f16 v84, v80, v84, 0 op_sel_hi:[0,1,0]
	v_fma_mixlo_f16 v85, v80, v85, 0 op_sel_hi:[0,1,0]
	v_lshlrev_b32_e32 v0, 16, v11
	v_and_b32_e32 v11, 0xffff, v86
	v_and_b32_e32 v96, 0xffff, v81
	v_lshlrev_b32_e32 v80, 16, v83
	v_and_b32_e32 v84, 0xffff, v84
	v_lshlrev_b32_e32 v10, 16, v10
	v_and_b32_e32 v81, 0xffff, v85
	v_or_b32_e32 v83, v0, v11
	v_or_b32_e32 v87, v82, v96
	;; [unrolled: 1-line block ×3, first 2 shown]
	s_delay_alu instid0(VALU_DEP_4)
	v_or_b32_e32 v85, v10, v81
	s_and_saveexec_b32 s12, vcc_lo
	s_cbranch_execz .LBB307_1187
; %bb.1186:                             ;   in Loop: Header=BB307_1055 Depth=1
	v_cmp_lt_i32_e64 s0, v35, v32
	s_wait_alu 0xf1ff
	s_delay_alu instid0(VALU_DEP_1) | instskip(SKIP_2) | instid1(VALU_DEP_1)
	v_cndmask_b32_e64 v83, 0, v96, s0
	v_cmp_lt_i32_e64 s0, v71, v32
	s_wait_alu 0xf1ff
	v_cndmask_b32_e64 v82, 0, v82, s0
	v_cmp_lt_i32_e64 s0, v70, v32
	s_delay_alu instid0(VALU_DEP_2) | instskip(SKIP_1) | instid1(VALU_DEP_2)
	v_or_b32_e32 v87, v83, v82
	s_wait_alu 0xf1ff
	v_cndmask_b32_e64 v11, 0, v11, s0
	v_cmp_lt_i32_e64 s0, v69, v32
	s_wait_alu 0xf1ff
	s_delay_alu instid0(VALU_DEP_1) | instskip(SKIP_1) | instid1(VALU_DEP_2)
	v_cndmask_b32_e64 v0, 0, v0, s0
	v_cmp_lt_i32_e64 s0, v68, v32
	v_or_b32_e32 v83, v11, v0
	s_wait_alu 0xf1ff
	s_delay_alu instid0(VALU_DEP_2) | instskip(SKIP_2) | instid1(VALU_DEP_1)
	v_cndmask_b32_e64 v84, 0, v84, s0
	v_cmp_lt_i32_e64 s0, v67, v32
	s_wait_alu 0xf1ff
	v_cndmask_b32_e64 v80, 0, v80, s0
	v_cmp_lt_i32_e64 s0, v66, v32
	s_delay_alu instid0(VALU_DEP_2) | instskip(SKIP_1) | instid1(VALU_DEP_2)
	v_or_b32_e32 v86, v84, v80
	s_wait_alu 0xf1ff
	v_cndmask_b32_e64 v81, 0, v81, s0
	v_cmp_lt_i32_e64 s0, v14, v32
	s_wait_alu 0xf1ff
	s_delay_alu instid0(VALU_DEP_1) | instskip(NEXT) | instid1(VALU_DEP_1)
	v_cndmask_b32_e64 v10, 0, v10, s0
	v_or_b32_e32 v85, v81, v10
.LBB307_1187:                           ;   in Loop: Header=BB307_1055 Depth=1
	s_wait_alu 0xfffe
	s_or_b32 exec_lo, exec_lo, s12
	;;#ASMSTART
	v_pk_mul_f16 v0, v64, v87;

	;;#ASMEND
	;;#ASMSTART
	v_pk_mul_f16 v10, v54, v83;

	;;#ASMEND
	;; [unrolled: 4-line block ×4, first 2 shown]
	;;#ASMSTART
	v_pk_add_f16 v0, v0, v10;

	;;#ASMEND
	;;#ASMSTART
	v_pk_add_f16 v0, v0, v11;

	;;#ASMEND
	;;#ASMSTART
	v_pk_add_f16 v0, v0, v80;

	;;#ASMEND
	v_dual_mov_b32 v83, 0 :: v_dual_and_b32 v10, 0xffff, v0
	v_lshrrev_b32_e32 v0, 16, v0
	;;#ASMSTART
	v_cvt_f32_f16 v80, v10;
	;;#ASMEND
	;;#ASMSTART
	v_cvt_f32_f16 v81, v0;
	;;#ASMEND
	flat_load_b64 v[10:11], v[8:9] offset:512
	flat_load_b32 v82, v[26:27]
	v_mov_b32_e32 v84, 0
	s_mov_b32 s12, exec_lo
	s_wait_loadcnt_dscnt 0x101
	v_and_b32_e32 v0, 0xff, v10
	s_delay_alu instid0(VALU_DEP_1)
	v_cmpx_ne_u16_e32 0, v0
	s_cbranch_execz .LBB307_1195
; %bb.1188:                             ;   in Loop: Header=BB307_1055 Depth=1
	v_mov_b32_e32 v84, 0x8000
	s_mov_b32 s13, exec_lo
	v_cmpx_ne_u16_e32 0x80, v0
	s_cbranch_execz .LBB307_1194
; %bb.1189:                             ;   in Loop: Header=BB307_1055 Depth=1
	v_and_b32_e32 v85, 0x7f, v10
	v_mov_b32_e32 v84, 0x7c01
	s_mov_b32 s14, exec_lo
	s_delay_alu instid0(VALU_DEP_2)
	v_cmpx_ne_u32_e32 0x7f, v85
	s_cbranch_execz .LBB307_1193
; %bb.1190:                             ;   in Loop: Header=BB307_1055 Depth=1
	v_and_b32_e32 v0, 7, v10
	v_lshrrev_b32_e32 v84, 3, v85
	s_mov_b32 s15, exec_lo
	v_cmpx_gt_u32_e32 8, v85
; %bb.1191:                             ;   in Loop: Header=BB307_1055 Depth=1
	s_delay_alu instid0(VALU_DEP_3) | instskip(NEXT) | instid1(VALU_DEP_1)
	v_clz_i32_u32_e32 v0, v0
	v_min_u32_e32 v0, 32, v0
	s_delay_alu instid0(VALU_DEP_1) | instskip(NEXT) | instid1(VALU_DEP_1)
	v_subrev_nc_u32_e32 v84, 28, v0
	v_lshlrev_b64_e32 v[85:86], v84, v[10:11]
	v_sub_nc_u32_e32 v84, 29, v0
	s_delay_alu instid0(VALU_DEP_2)
	v_and_b32_e32 v0, 7, v85
; %bb.1192:                             ;   in Loop: Header=BB307_1055 Depth=1
	s_wait_alu 0xfffe
	s_or_b32 exec_lo, exec_lo, s15
	v_lshlrev_b32_e32 v85, 8, v10
	v_lshl_add_u32 v84, v84, 10, 0x2000
	v_lshlrev_b32_e32 v0, 7, v0
	s_delay_alu instid0(VALU_DEP_3) | instskip(NEXT) | instid1(VALU_DEP_3)
	v_and_b32_e32 v85, 0x8000, v85
	v_and_b32_e32 v84, 0xfc00, v84
	s_delay_alu instid0(VALU_DEP_1)
	v_or3_b32 v84, v85, v84, v0
.LBB307_1193:                           ;   in Loop: Header=BB307_1055 Depth=1
	s_wait_alu 0xfffe
	s_or_b32 exec_lo, exec_lo, s14
.LBB307_1194:                           ;   in Loop: Header=BB307_1055 Depth=1
	s_wait_alu 0xfffe
	s_or_b32 exec_lo, exec_lo, s13
.LBB307_1195:                           ;   in Loop: Header=BB307_1055 Depth=1
	s_wait_alu 0xfffe
	s_or_b32 exec_lo, exec_lo, s12
	v_lshrrev_b16 v0, 8, v10
	s_mov_b32 s12, exec_lo
	s_delay_alu instid0(VALU_DEP_1)
	v_cmpx_ne_u16_e32 0, v0
	s_cbranch_execz .LBB307_1203
; %bb.1196:                             ;   in Loop: Header=BB307_1055 Depth=1
	v_bfrev_b32_e32 v83, 1
	s_mov_b32 s13, exec_lo
	v_cmpx_ne_u16_e32 0x80, v0
	s_cbranch_execz .LBB307_1202
; %bb.1197:                             ;   in Loop: Header=BB307_1055 Depth=1
	v_and_b32_e32 v85, 0xffff, v0
	v_mov_b32_e32 v83, 0x7c010000
	s_mov_b32 s14, exec_lo
	s_delay_alu instid0(VALU_DEP_2) | instskip(NEXT) | instid1(VALU_DEP_1)
	v_and_b32_e32 v87, 0x7f, v85
	v_cmpx_ne_u32_e32 0x7f, v87
	s_cbranch_execz .LBB307_1201
; %bb.1198:                             ;   in Loop: Header=BB307_1055 Depth=1
	v_and_b32_e32 v83, 7, v85
	v_lshrrev_b32_e32 v86, 3, v87
	s_mov_b32 s15, exec_lo
	v_cmpx_gt_u32_e32 8, v87
; %bb.1199:                             ;   in Loop: Header=BB307_1055 Depth=1
	s_delay_alu instid0(VALU_DEP_3) | instskip(NEXT) | instid1(VALU_DEP_1)
	v_clz_i32_u32_e32 v83, v83
	v_min_u32_e32 v83, 32, v83
	s_delay_alu instid0(VALU_DEP_1) | instskip(NEXT) | instid1(VALU_DEP_1)
	v_subrev_nc_u32_e32 v86, 28, v83
	v_lshlrev_b64_e32 v[96:97], v86, v[0:1]
	v_sub_nc_u32_e32 v86, 29, v83
	s_delay_alu instid0(VALU_DEP_2)
	v_and_b32_e32 v83, 7, v96
; %bb.1200:                             ;   in Loop: Header=BB307_1055 Depth=1
	s_wait_alu 0xfffe
	s_or_b32 exec_lo, exec_lo, s15
	v_lshlrev_b32_e32 v0, 8, v85
	v_lshl_add_u32 v85, v86, 10, 0x2000
	v_lshlrev_b32_e32 v83, 23, v83
	s_delay_alu instid0(VALU_DEP_2) | instskip(NEXT) | instid1(VALU_DEP_1)
	v_and_or_b32 v0, 0x8000, v0, v85
	v_lshl_or_b32 v83, v0, 16, v83
.LBB307_1201:                           ;   in Loop: Header=BB307_1055 Depth=1
	s_wait_alu 0xfffe
	s_or_b32 exec_lo, exec_lo, s14
.LBB307_1202:                           ;   in Loop: Header=BB307_1055 Depth=1
	s_wait_alu 0xfffe
	s_or_b32 exec_lo, exec_lo, s13
.LBB307_1203:                           ;   in Loop: Header=BB307_1055 Depth=1
	s_wait_alu 0xfffe
	s_or_b32 exec_lo, exec_lo, s12
	v_lshrrev_b32_e32 v0, 16, v10
	v_mov_b32_e32 v85, 0
	s_mov_b32 s12, exec_lo
	s_delay_alu instid0(VALU_DEP_2) | instskip(NEXT) | instid1(VALU_DEP_1)
	v_dual_mov_b32 v86, 0 :: v_dual_and_b32 v87, 0xff, v0
	v_cmpx_ne_u16_e32 0, v87
	s_cbranch_execz .LBB307_1211
; %bb.1204:                             ;   in Loop: Header=BB307_1055 Depth=1
	v_mov_b32_e32 v86, 0x8000
	s_mov_b32 s13, exec_lo
	v_cmpx_ne_u16_e32 0x80, v87
	s_cbranch_execz .LBB307_1210
; %bb.1205:                             ;   in Loop: Header=BB307_1055 Depth=1
	v_bfe_u32 v96, v10, 16, 7
	v_mov_b32_e32 v86, 0x7c01
	s_mov_b32 s14, exec_lo
	s_delay_alu instid0(VALU_DEP_2)
	v_cmpx_ne_u32_e32 0x7f, v96
	s_cbranch_execz .LBB307_1209
; %bb.1206:                             ;   in Loop: Header=BB307_1055 Depth=1
	v_and_b32_e32 v86, 7, v0
	v_lshrrev_b32_e32 v87, 3, v96
	s_mov_b32 s15, exec_lo
	v_cmpx_gt_u32_e32 8, v96
; %bb.1207:                             ;   in Loop: Header=BB307_1055 Depth=1
	s_delay_alu instid0(VALU_DEP_3) | instskip(NEXT) | instid1(VALU_DEP_1)
	v_clz_i32_u32_e32 v86, v86
	v_min_u32_e32 v96, 32, v86
	s_delay_alu instid0(VALU_DEP_1) | instskip(NEXT) | instid1(VALU_DEP_1)
	v_subrev_nc_u32_e32 v86, 28, v96
	v_lshlrev_b64_e32 v[86:87], v86, v[0:1]
	v_sub_nc_u32_e32 v87, 29, v96
	s_delay_alu instid0(VALU_DEP_2)
	v_and_b32_e32 v86, 7, v86
; %bb.1208:                             ;   in Loop: Header=BB307_1055 Depth=1
	s_wait_alu 0xfffe
	s_or_b32 exec_lo, exec_lo, s15
	v_lshlrev_b32_e32 v0, 8, v0
	v_lshl_add_u32 v87, v87, 10, 0x2000
	v_lshlrev_b32_e32 v86, 7, v86
	s_delay_alu instid0(VALU_DEP_3) | instskip(NEXT) | instid1(VALU_DEP_3)
	v_and_b32_e32 v0, 0x8000, v0
	v_and_b32_e32 v87, 0xfc00, v87
	s_delay_alu instid0(VALU_DEP_1)
	v_or3_b32 v86, v0, v87, v86
.LBB307_1209:                           ;   in Loop: Header=BB307_1055 Depth=1
	s_wait_alu 0xfffe
	s_or_b32 exec_lo, exec_lo, s14
.LBB307_1210:                           ;   in Loop: Header=BB307_1055 Depth=1
	s_wait_alu 0xfffe
	s_or_b32 exec_lo, exec_lo, s13
.LBB307_1211:                           ;   in Loop: Header=BB307_1055 Depth=1
	s_wait_alu 0xfffe
	s_or_b32 exec_lo, exec_lo, s12
	s_delay_alu instid0(SALU_CYCLE_1)
	s_mov_b32 s12, exec_lo
	v_cmpx_lt_u32_e32 0xffffff, v10
	s_cbranch_execz .LBB307_1219
; %bb.1212:                             ;   in Loop: Header=BB307_1055 Depth=1
	v_lshrrev_b32_e32 v0, 24, v10
	v_bfrev_b32_e32 v85, 1
	s_mov_b32 s13, exec_lo
	s_delay_alu instid0(VALU_DEP_2)
	v_cmpx_ne_u32_e32 0x80, v0
	s_cbranch_execz .LBB307_1218
; %bb.1213:                             ;   in Loop: Header=BB307_1055 Depth=1
	v_and_b32_e32 v96, 0x7f, v0
	v_mov_b32_e32 v85, 0x7c010000
	s_mov_b32 s14, exec_lo
	s_delay_alu instid0(VALU_DEP_2)
	v_cmpx_ne_u32_e32 0x7f, v96
	s_cbranch_execz .LBB307_1217
; %bb.1214:                             ;   in Loop: Header=BB307_1055 Depth=1
	v_and_b32_e32 v85, 7, v0
	v_lshrrev_b32_e32 v87, 3, v96
	s_mov_b32 s15, exec_lo
	v_cmpx_gt_u32_e32 8, v96
; %bb.1215:                             ;   in Loop: Header=BB307_1055 Depth=1
	s_delay_alu instid0(VALU_DEP_3) | instskip(NEXT) | instid1(VALU_DEP_1)
	v_clz_i32_u32_e32 v85, v85
	v_min_u32_e32 v85, 32, v85
	s_delay_alu instid0(VALU_DEP_1) | instskip(NEXT) | instid1(VALU_DEP_1)
	v_subrev_nc_u32_e32 v87, 28, v85
	v_lshlrev_b64_e32 v[96:97], v87, v[0:1]
	v_sub_nc_u32_e32 v87, 29, v85
	s_delay_alu instid0(VALU_DEP_2)
	v_and_b32_e32 v85, 7, v96
; %bb.1216:                             ;   in Loop: Header=BB307_1055 Depth=1
	s_wait_alu 0xfffe
	s_or_b32 exec_lo, exec_lo, s15
	v_lshlrev_b32_e32 v0, 8, v0
	v_lshl_add_u32 v87, v87, 10, 0x2000
	v_lshlrev_b32_e32 v85, 23, v85
	s_delay_alu instid0(VALU_DEP_2) | instskip(NEXT) | instid1(VALU_DEP_1)
	v_and_or_b32 v0, 0x8000, v0, v87
	v_lshl_or_b32 v85, v0, 16, v85
.LBB307_1217:                           ;   in Loop: Header=BB307_1055 Depth=1
	s_wait_alu 0xfffe
	s_or_b32 exec_lo, exec_lo, s14
.LBB307_1218:                           ;   in Loop: Header=BB307_1055 Depth=1
	s_wait_alu 0xfffe
	s_or_b32 exec_lo, exec_lo, s13
.LBB307_1219:                           ;   in Loop: Header=BB307_1055 Depth=1
	s_wait_alu 0xfffe
	s_or_b32 exec_lo, exec_lo, s12
	v_dual_mov_b32 v0, v11 :: v_dual_and_b32 v97, 0xff, v11
	v_dual_mov_b32 v87, 0 :: v_dual_mov_b32 v96, 0
	s_mov_b32 s12, exec_lo
	s_delay_alu instid0(VALU_DEP_2)
	v_cmpx_ne_u16_e32 0, v97
	s_cbranch_execz .LBB307_1227
; %bb.1220:                             ;   in Loop: Header=BB307_1055 Depth=1
	v_mov_b32_e32 v96, 0x8000
	s_mov_b32 s13, exec_lo
	v_cmpx_ne_u16_e32 0x80, v97
	s_cbranch_execz .LBB307_1226
; %bb.1221:                             ;   in Loop: Header=BB307_1055 Depth=1
	v_and_b32_e32 v98, 0x7f, v11
	v_mov_b32_e32 v96, 0x7c01
	s_mov_b32 s14, exec_lo
	s_delay_alu instid0(VALU_DEP_2)
	v_cmpx_ne_u32_e32 0x7f, v98
	s_cbranch_execz .LBB307_1225
; %bb.1222:                             ;   in Loop: Header=BB307_1055 Depth=1
	v_and_b32_e32 v96, 7, v11
	v_lshrrev_b32_e32 v97, 3, v98
	s_mov_b32 s15, exec_lo
	v_cmpx_gt_u32_e32 8, v98
; %bb.1223:                             ;   in Loop: Header=BB307_1055 Depth=1
	s_delay_alu instid0(VALU_DEP_3) | instskip(NEXT) | instid1(VALU_DEP_1)
	v_clz_i32_u32_e32 v96, v96
	v_min_u32_e32 v98, 32, v96
	s_delay_alu instid0(VALU_DEP_1) | instskip(NEXT) | instid1(VALU_DEP_1)
	v_subrev_nc_u32_e32 v96, 28, v98
	v_lshlrev_b64_e32 v[96:97], v96, v[0:1]
	v_sub_nc_u32_e32 v97, 29, v98
	s_delay_alu instid0(VALU_DEP_2)
	v_and_b32_e32 v96, 7, v96
; %bb.1224:                             ;   in Loop: Header=BB307_1055 Depth=1
	s_wait_alu 0xfffe
	s_or_b32 exec_lo, exec_lo, s15
	v_lshlrev_b32_e32 v98, 8, v11
	v_lshl_add_u32 v97, v97, 10, 0x2000
	v_lshlrev_b32_e32 v96, 7, v96
	s_delay_alu instid0(VALU_DEP_3) | instskip(NEXT) | instid1(VALU_DEP_3)
	v_and_b32_e32 v98, 0x8000, v98
	v_and_b32_e32 v97, 0xfc00, v97
	s_delay_alu instid0(VALU_DEP_1)
	v_or3_b32 v96, v98, v97, v96
.LBB307_1225:                           ;   in Loop: Header=BB307_1055 Depth=1
	s_wait_alu 0xfffe
	s_or_b32 exec_lo, exec_lo, s14
.LBB307_1226:                           ;   in Loop: Header=BB307_1055 Depth=1
	s_wait_alu 0xfffe
	s_or_b32 exec_lo, exec_lo, s13
.LBB307_1227:                           ;   in Loop: Header=BB307_1055 Depth=1
	s_wait_alu 0xfffe
	s_or_b32 exec_lo, exec_lo, s12
	v_lshrrev_b16 v0, 8, v0
	v_mov_b32_e32 v97, 0
	s_mov_b32 s12, exec_lo
	s_delay_alu instid0(VALU_DEP_2)
	v_cmpx_ne_u16_e32 0, v0
	s_cbranch_execz .LBB307_1235
; %bb.1228:                             ;   in Loop: Header=BB307_1055 Depth=1
	v_bfrev_b32_e32 v97, 1
	s_mov_b32 s13, exec_lo
	v_cmpx_ne_u16_e32 0x80, v0
	s_cbranch_execz .LBB307_1234
; %bb.1229:                             ;   in Loop: Header=BB307_1055 Depth=1
	v_and_b32_e32 v98, 0xffff, v0
	v_mov_b32_e32 v97, 0x7c010000
	s_mov_b32 s14, exec_lo
	s_delay_alu instid0(VALU_DEP_2) | instskip(NEXT) | instid1(VALU_DEP_1)
	v_and_b32_e32 v100, 0x7f, v98
	v_cmpx_ne_u32_e32 0x7f, v100
	s_cbranch_execz .LBB307_1233
; %bb.1230:                             ;   in Loop: Header=BB307_1055 Depth=1
	v_and_b32_e32 v97, 7, v98
	v_lshrrev_b32_e32 v99, 3, v100
	s_mov_b32 s15, exec_lo
	v_cmpx_gt_u32_e32 8, v100
; %bb.1231:                             ;   in Loop: Header=BB307_1055 Depth=1
	s_delay_alu instid0(VALU_DEP_3) | instskip(NEXT) | instid1(VALU_DEP_1)
	v_clz_i32_u32_e32 v97, v97
	v_min_u32_e32 v97, 32, v97
	s_delay_alu instid0(VALU_DEP_1) | instskip(NEXT) | instid1(VALU_DEP_1)
	v_subrev_nc_u32_e32 v99, 28, v97
	v_lshlrev_b64_e32 v[100:101], v99, v[0:1]
	v_sub_nc_u32_e32 v99, 29, v97
	s_delay_alu instid0(VALU_DEP_2)
	v_and_b32_e32 v97, 7, v100
; %bb.1232:                             ;   in Loop: Header=BB307_1055 Depth=1
	s_wait_alu 0xfffe
	s_or_b32 exec_lo, exec_lo, s15
	v_lshlrev_b32_e32 v0, 8, v98
	v_lshl_add_u32 v98, v99, 10, 0x2000
	v_lshlrev_b32_e32 v97, 23, v97
	s_delay_alu instid0(VALU_DEP_2) | instskip(NEXT) | instid1(VALU_DEP_1)
	v_and_or_b32 v0, 0x8000, v0, v98
	v_lshl_or_b32 v97, v0, 16, v97
.LBB307_1233:                           ;   in Loop: Header=BB307_1055 Depth=1
	s_wait_alu 0xfffe
	s_or_b32 exec_lo, exec_lo, s14
.LBB307_1234:                           ;   in Loop: Header=BB307_1055 Depth=1
	s_wait_alu 0xfffe
	s_or_b32 exec_lo, exec_lo, s13
.LBB307_1235:                           ;   in Loop: Header=BB307_1055 Depth=1
	s_wait_alu 0xfffe
	s_or_b32 exec_lo, exec_lo, s12
	v_lshrrev_b32_e32 v0, 16, v11
	s_mov_b32 s12, exec_lo
	s_delay_alu instid0(VALU_DEP_1) | instskip(NEXT) | instid1(VALU_DEP_1)
	v_and_b32_e32 v98, 0xff, v0
	v_cmpx_ne_u16_e32 0, v98
	s_cbranch_execz .LBB307_1243
; %bb.1236:                             ;   in Loop: Header=BB307_1055 Depth=1
	v_mov_b32_e32 v87, 0x8000
	s_mov_b32 s13, exec_lo
	v_cmpx_ne_u16_e32 0x80, v98
	s_cbranch_execz .LBB307_1242
; %bb.1237:                             ;   in Loop: Header=BB307_1055 Depth=1
	v_bfe_u32 v99, v11, 16, 7
	v_mov_b32_e32 v87, 0x7c01
	s_mov_b32 s14, exec_lo
	s_delay_alu instid0(VALU_DEP_2)
	v_cmpx_ne_u32_e32 0x7f, v99
	s_cbranch_execz .LBB307_1241
; %bb.1238:                             ;   in Loop: Header=BB307_1055 Depth=1
	v_and_b32_e32 v87, 7, v0
	v_lshrrev_b32_e32 v98, 3, v99
	s_mov_b32 s15, exec_lo
	v_cmpx_gt_u32_e32 8, v99
; %bb.1239:                             ;   in Loop: Header=BB307_1055 Depth=1
	s_delay_alu instid0(VALU_DEP_3) | instskip(NEXT) | instid1(VALU_DEP_1)
	v_clz_i32_u32_e32 v87, v87
	v_min_u32_e32 v87, 32, v87
	s_delay_alu instid0(VALU_DEP_1) | instskip(NEXT) | instid1(VALU_DEP_1)
	v_subrev_nc_u32_e32 v98, 28, v87
	v_lshlrev_b64_e32 v[99:100], v98, v[0:1]
	v_sub_nc_u32_e32 v98, 29, v87
	s_delay_alu instid0(VALU_DEP_2)
	v_and_b32_e32 v87, 7, v99
; %bb.1240:                             ;   in Loop: Header=BB307_1055 Depth=1
	s_wait_alu 0xfffe
	s_or_b32 exec_lo, exec_lo, s15
	v_lshlrev_b32_e32 v0, 8, v0
	v_lshl_add_u32 v98, v98, 10, 0x2000
	v_lshlrev_b32_e32 v87, 7, v87
	s_delay_alu instid0(VALU_DEP_3) | instskip(NEXT) | instid1(VALU_DEP_3)
	v_and_b32_e32 v0, 0x8000, v0
	v_and_b32_e32 v98, 0xfc00, v98
	s_delay_alu instid0(VALU_DEP_1)
	v_or3_b32 v87, v0, v98, v87
.LBB307_1241:                           ;   in Loop: Header=BB307_1055 Depth=1
	s_wait_alu 0xfffe
	s_or_b32 exec_lo, exec_lo, s14
.LBB307_1242:                           ;   in Loop: Header=BB307_1055 Depth=1
	s_wait_alu 0xfffe
	s_or_b32 exec_lo, exec_lo, s13
.LBB307_1243:                           ;   in Loop: Header=BB307_1055 Depth=1
	s_wait_alu 0xfffe
	s_or_b32 exec_lo, exec_lo, s12
	v_cmp_lt_u64_e64 s0, s[8:9], v[10:11]
	v_mov_b32_e32 v10, 0
	s_and_saveexec_b32 s12, s0
	s_cbranch_execz .LBB307_1251
; %bb.1244:                             ;   in Loop: Header=BB307_1055 Depth=1
	v_lshrrev_b32_e32 v0, 24, v11
	v_bfrev_b32_e32 v10, 1
	s_mov_b32 s13, exec_lo
	s_delay_alu instid0(VALU_DEP_2)
	v_cmpx_ne_u32_e32 0x80, v0
	s_cbranch_execz .LBB307_1250
; %bb.1245:                             ;   in Loop: Header=BB307_1055 Depth=1
	v_and_b32_e32 v98, 0x7f, v0
	v_mov_b32_e32 v10, 0x7c010000
	s_mov_b32 s14, exec_lo
	s_delay_alu instid0(VALU_DEP_2)
	v_cmpx_ne_u32_e32 0x7f, v98
	s_cbranch_execz .LBB307_1249
; %bb.1246:                             ;   in Loop: Header=BB307_1055 Depth=1
	v_and_b32_e32 v10, 7, v0
	v_lshrrev_b32_e32 v11, 3, v98
	s_mov_b32 s15, exec_lo
	v_cmpx_gt_u32_e32 8, v98
; %bb.1247:                             ;   in Loop: Header=BB307_1055 Depth=1
	s_delay_alu instid0(VALU_DEP_3) | instskip(NEXT) | instid1(VALU_DEP_1)
	v_clz_i32_u32_e32 v10, v10
	v_min_u32_e32 v98, 32, v10
	s_delay_alu instid0(VALU_DEP_1) | instskip(NEXT) | instid1(VALU_DEP_1)
	v_subrev_nc_u32_e32 v10, 28, v98
	v_lshlrev_b64_e32 v[10:11], v10, v[0:1]
	v_sub_nc_u32_e32 v11, 29, v98
	s_delay_alu instid0(VALU_DEP_2)
	v_and_b32_e32 v10, 7, v10
; %bb.1248:                             ;   in Loop: Header=BB307_1055 Depth=1
	s_wait_alu 0xfffe
	s_or_b32 exec_lo, exec_lo, s15
	v_lshlrev_b32_e32 v0, 8, v0
	v_lshl_add_u32 v11, v11, 10, 0x2000
	v_lshlrev_b32_e32 v10, 23, v10
	s_delay_alu instid0(VALU_DEP_2) | instskip(NEXT) | instid1(VALU_DEP_1)
	v_and_or_b32 v0, 0x8000, v0, v11
	v_lshl_or_b32 v10, v0, 16, v10
.LBB307_1249:                           ;   in Loop: Header=BB307_1055 Depth=1
	s_wait_alu 0xfffe
	s_or_b32 exec_lo, exec_lo, s14
.LBB307_1250:                           ;   in Loop: Header=BB307_1055 Depth=1
	s_wait_alu 0xfffe
	s_or_b32 exec_lo, exec_lo, s13
.LBB307_1251:                           ;   in Loop: Header=BB307_1055 Depth=1
	s_wait_alu 0xfffe
	s_or_b32 exec_lo, exec_lo, s12
	v_or_b32_e32 v0, v85, v86
	s_wait_loadcnt_dscnt 0x0
	v_fma_mixlo_f16 v11, v82, v85, 0 op_sel:[0,1,0] op_sel_hi:[0,1,0]
	v_or_b32_e32 v85, v83, v84
	v_fma_mixlo_f16 v83, v82, v83, 0 op_sel:[0,1,0] op_sel_hi:[0,1,0]
	v_or_b32_e32 v86, v97, v96
	v_or_b32_e32 v87, v10, v87
	v_fma_mixlo_f16 v96, v82, v0, 0 op_sel_hi:[0,1,0]
	v_fma_mixlo_f16 v10, v82, v10, 0 op_sel:[0,1,0] op_sel_hi:[0,1,0]
	v_lshlrev_b32_e32 v84, 16, v83
	v_fma_mixlo_f16 v83, v82, v85, 0 op_sel_hi:[0,1,0]
	v_fma_mixlo_f16 v85, v82, v97, 0 op_sel:[0,1,0] op_sel_hi:[0,1,0]
	v_fma_mixlo_f16 v86, v82, v86, 0 op_sel_hi:[0,1,0]
	v_fma_mixlo_f16 v87, v82, v87, 0 op_sel_hi:[0,1,0]
	v_lshlrev_b32_e32 v0, 16, v11
	v_and_b32_e32 v11, 0xffff, v96
	v_and_b32_e32 v98, 0xffff, v83
	v_lshlrev_b32_e32 v82, 16, v85
	v_and_b32_e32 v86, 0xffff, v86
	v_lshlrev_b32_e32 v10, 16, v10
	v_and_b32_e32 v83, 0xffff, v87
	v_or_b32_e32 v85, v0, v11
	v_or_b32_e32 v97, v84, v98
	;; [unrolled: 1-line block ×3, first 2 shown]
	s_delay_alu instid0(VALU_DEP_4)
	v_or_b32_e32 v87, v10, v83
	s_and_saveexec_b32 s12, vcc_lo
	s_cbranch_execz .LBB307_1253
; %bb.1252:                             ;   in Loop: Header=BB307_1055 Depth=1
	v_cmp_lt_i32_e64 s0, v35, v32
	s_wait_alu 0xf1ff
	s_delay_alu instid0(VALU_DEP_1) | instskip(SKIP_2) | instid1(VALU_DEP_1)
	v_cndmask_b32_e64 v85, 0, v98, s0
	v_cmp_lt_i32_e64 s0, v71, v32
	s_wait_alu 0xf1ff
	v_cndmask_b32_e64 v84, 0, v84, s0
	v_cmp_lt_i32_e64 s0, v70, v32
	s_delay_alu instid0(VALU_DEP_2) | instskip(SKIP_1) | instid1(VALU_DEP_2)
	v_or_b32_e32 v97, v85, v84
	s_wait_alu 0xf1ff
	v_cndmask_b32_e64 v11, 0, v11, s0
	v_cmp_lt_i32_e64 s0, v69, v32
	s_wait_alu 0xf1ff
	s_delay_alu instid0(VALU_DEP_1) | instskip(SKIP_1) | instid1(VALU_DEP_2)
	v_cndmask_b32_e64 v0, 0, v0, s0
	v_cmp_lt_i32_e64 s0, v68, v32
	v_or_b32_e32 v85, v11, v0
	s_wait_alu 0xf1ff
	s_delay_alu instid0(VALU_DEP_2) | instskip(SKIP_2) | instid1(VALU_DEP_1)
	v_cndmask_b32_e64 v86, 0, v86, s0
	v_cmp_lt_i32_e64 s0, v67, v32
	s_wait_alu 0xf1ff
	v_cndmask_b32_e64 v82, 0, v82, s0
	v_cmp_lt_i32_e64 s0, v66, v32
	s_delay_alu instid0(VALU_DEP_2) | instskip(SKIP_1) | instid1(VALU_DEP_2)
	v_or_b32_e32 v96, v86, v82
	s_wait_alu 0xf1ff
	v_cndmask_b32_e64 v83, 0, v83, s0
	v_cmp_lt_i32_e64 s0, v14, v32
	s_wait_alu 0xf1ff
	s_delay_alu instid0(VALU_DEP_1) | instskip(NEXT) | instid1(VALU_DEP_1)
	v_cndmask_b32_e64 v10, 0, v10, s0
	v_or_b32_e32 v87, v83, v10
.LBB307_1253:                           ;   in Loop: Header=BB307_1055 Depth=1
	s_wait_alu 0xfffe
	s_or_b32 exec_lo, exec_lo, s12
	;;#ASMSTART
	v_pk_mul_f16 v0, v64, v97;

	;;#ASMEND
	;;#ASMSTART
	v_pk_mul_f16 v10, v54, v85;

	;;#ASMEND
	;; [unrolled: 4-line block ×4, first 2 shown]
	;;#ASMSTART
	v_pk_add_f16 v0, v0, v10;

	;;#ASMEND
	;;#ASMSTART
	v_pk_add_f16 v0, v0, v11;

	;;#ASMEND
	;; [unrolled: 4-line block ×3, first 2 shown]
	v_dual_mov_b32 v85, 0 :: v_dual_and_b32 v10, 0xffff, v0
	v_lshrrev_b32_e32 v0, 16, v0
	;;#ASMSTART
	v_cvt_f32_f16 v82, v10;
	;;#ASMEND
	;;#ASMSTART
	v_cvt_f32_f16 v83, v0;
	;;#ASMEND
	flat_load_b64 v[10:11], v[8:9] offset:768
	flat_load_b32 v84, v[26:27]
	v_mov_b32_e32 v86, 0
	s_mov_b32 s12, exec_lo
	s_wait_loadcnt_dscnt 0x101
	v_and_b32_e32 v0, 0xff, v10
	s_delay_alu instid0(VALU_DEP_1)
	v_cmpx_ne_u16_e32 0, v0
	s_cbranch_execz .LBB307_1261
; %bb.1254:                             ;   in Loop: Header=BB307_1055 Depth=1
	v_mov_b32_e32 v86, 0x8000
	s_mov_b32 s13, exec_lo
	v_cmpx_ne_u16_e32 0x80, v0
	s_cbranch_execz .LBB307_1260
; %bb.1255:                             ;   in Loop: Header=BB307_1055 Depth=1
	v_and_b32_e32 v87, 0x7f, v10
	v_mov_b32_e32 v86, 0x7c01
	s_mov_b32 s14, exec_lo
	s_delay_alu instid0(VALU_DEP_2)
	v_cmpx_ne_u32_e32 0x7f, v87
	s_cbranch_execz .LBB307_1259
; %bb.1256:                             ;   in Loop: Header=BB307_1055 Depth=1
	v_and_b32_e32 v0, 7, v10
	v_lshrrev_b32_e32 v86, 3, v87
	s_mov_b32 s15, exec_lo
	v_cmpx_gt_u32_e32 8, v87
; %bb.1257:                             ;   in Loop: Header=BB307_1055 Depth=1
	s_delay_alu instid0(VALU_DEP_3) | instskip(NEXT) | instid1(VALU_DEP_1)
	v_clz_i32_u32_e32 v0, v0
	v_min_u32_e32 v0, 32, v0
	s_delay_alu instid0(VALU_DEP_1) | instskip(NEXT) | instid1(VALU_DEP_1)
	v_subrev_nc_u32_e32 v86, 28, v0
	v_lshlrev_b64_e32 v[96:97], v86, v[10:11]
	v_sub_nc_u32_e32 v86, 29, v0
	s_delay_alu instid0(VALU_DEP_2)
	v_and_b32_e32 v0, 7, v96
; %bb.1258:                             ;   in Loop: Header=BB307_1055 Depth=1
	s_wait_alu 0xfffe
	s_or_b32 exec_lo, exec_lo, s15
	v_lshlrev_b32_e32 v87, 8, v10
	v_lshl_add_u32 v86, v86, 10, 0x2000
	v_lshlrev_b32_e32 v0, 7, v0
	s_delay_alu instid0(VALU_DEP_3) | instskip(NEXT) | instid1(VALU_DEP_3)
	v_and_b32_e32 v87, 0x8000, v87
	v_and_b32_e32 v86, 0xfc00, v86
	s_delay_alu instid0(VALU_DEP_1)
	v_or3_b32 v86, v87, v86, v0
.LBB307_1259:                           ;   in Loop: Header=BB307_1055 Depth=1
	s_wait_alu 0xfffe
	s_or_b32 exec_lo, exec_lo, s14
.LBB307_1260:                           ;   in Loop: Header=BB307_1055 Depth=1
	s_wait_alu 0xfffe
	s_or_b32 exec_lo, exec_lo, s13
.LBB307_1261:                           ;   in Loop: Header=BB307_1055 Depth=1
	s_wait_alu 0xfffe
	s_or_b32 exec_lo, exec_lo, s12
	v_lshrrev_b16 v0, 8, v10
	s_mov_b32 s12, exec_lo
	s_delay_alu instid0(VALU_DEP_1)
	v_cmpx_ne_u16_e32 0, v0
	s_cbranch_execz .LBB307_1269
; %bb.1262:                             ;   in Loop: Header=BB307_1055 Depth=1
	v_bfrev_b32_e32 v85, 1
	s_mov_b32 s13, exec_lo
	v_cmpx_ne_u16_e32 0x80, v0
	s_cbranch_execz .LBB307_1268
; %bb.1263:                             ;   in Loop: Header=BB307_1055 Depth=1
	v_and_b32_e32 v87, 0xffff, v0
	v_mov_b32_e32 v85, 0x7c010000
	s_mov_b32 s14, exec_lo
	s_delay_alu instid0(VALU_DEP_2) | instskip(NEXT) | instid1(VALU_DEP_1)
	v_and_b32_e32 v97, 0x7f, v87
	v_cmpx_ne_u32_e32 0x7f, v97
	s_cbranch_execz .LBB307_1267
; %bb.1264:                             ;   in Loop: Header=BB307_1055 Depth=1
	v_and_b32_e32 v85, 7, v87
	v_lshrrev_b32_e32 v96, 3, v97
	s_mov_b32 s15, exec_lo
	v_cmpx_gt_u32_e32 8, v97
; %bb.1265:                             ;   in Loop: Header=BB307_1055 Depth=1
	s_delay_alu instid0(VALU_DEP_3) | instskip(NEXT) | instid1(VALU_DEP_1)
	v_clz_i32_u32_e32 v85, v85
	v_min_u32_e32 v85, 32, v85
	s_delay_alu instid0(VALU_DEP_1) | instskip(NEXT) | instid1(VALU_DEP_1)
	v_subrev_nc_u32_e32 v96, 28, v85
	v_lshlrev_b64_e32 v[97:98], v96, v[0:1]
	v_sub_nc_u32_e32 v96, 29, v85
	s_delay_alu instid0(VALU_DEP_2)
	v_and_b32_e32 v85, 7, v97
; %bb.1266:                             ;   in Loop: Header=BB307_1055 Depth=1
	s_wait_alu 0xfffe
	s_or_b32 exec_lo, exec_lo, s15
	v_lshlrev_b32_e32 v0, 8, v87
	v_lshl_add_u32 v87, v96, 10, 0x2000
	v_lshlrev_b32_e32 v85, 23, v85
	s_delay_alu instid0(VALU_DEP_2) | instskip(NEXT) | instid1(VALU_DEP_1)
	v_and_or_b32 v0, 0x8000, v0, v87
	v_lshl_or_b32 v85, v0, 16, v85
.LBB307_1267:                           ;   in Loop: Header=BB307_1055 Depth=1
	s_wait_alu 0xfffe
	s_or_b32 exec_lo, exec_lo, s14
.LBB307_1268:                           ;   in Loop: Header=BB307_1055 Depth=1
	s_wait_alu 0xfffe
	s_or_b32 exec_lo, exec_lo, s13
.LBB307_1269:                           ;   in Loop: Header=BB307_1055 Depth=1
	s_wait_alu 0xfffe
	s_or_b32 exec_lo, exec_lo, s12
	v_lshrrev_b32_e32 v0, 16, v10
	v_mov_b32_e32 v87, 0
	s_mov_b32 s12, exec_lo
	s_delay_alu instid0(VALU_DEP_2) | instskip(NEXT) | instid1(VALU_DEP_1)
	v_dual_mov_b32 v96, 0 :: v_dual_and_b32 v97, 0xff, v0
	v_cmpx_ne_u16_e32 0, v97
	s_cbranch_execz .LBB307_1277
; %bb.1270:                             ;   in Loop: Header=BB307_1055 Depth=1
	v_mov_b32_e32 v96, 0x8000
	s_mov_b32 s13, exec_lo
	v_cmpx_ne_u16_e32 0x80, v97
	s_cbranch_execz .LBB307_1276
; %bb.1271:                             ;   in Loop: Header=BB307_1055 Depth=1
	v_bfe_u32 v98, v10, 16, 7
	v_mov_b32_e32 v96, 0x7c01
	s_mov_b32 s14, exec_lo
	s_delay_alu instid0(VALU_DEP_2)
	v_cmpx_ne_u32_e32 0x7f, v98
	s_cbranch_execz .LBB307_1275
; %bb.1272:                             ;   in Loop: Header=BB307_1055 Depth=1
	v_and_b32_e32 v96, 7, v0
	v_lshrrev_b32_e32 v97, 3, v98
	s_mov_b32 s15, exec_lo
	v_cmpx_gt_u32_e32 8, v98
; %bb.1273:                             ;   in Loop: Header=BB307_1055 Depth=1
	s_delay_alu instid0(VALU_DEP_3) | instskip(NEXT) | instid1(VALU_DEP_1)
	v_clz_i32_u32_e32 v96, v96
	v_min_u32_e32 v98, 32, v96
	s_delay_alu instid0(VALU_DEP_1) | instskip(NEXT) | instid1(VALU_DEP_1)
	v_subrev_nc_u32_e32 v96, 28, v98
	v_lshlrev_b64_e32 v[96:97], v96, v[0:1]
	v_sub_nc_u32_e32 v97, 29, v98
	s_delay_alu instid0(VALU_DEP_2)
	v_and_b32_e32 v96, 7, v96
; %bb.1274:                             ;   in Loop: Header=BB307_1055 Depth=1
	s_wait_alu 0xfffe
	s_or_b32 exec_lo, exec_lo, s15
	v_lshlrev_b32_e32 v0, 8, v0
	v_lshl_add_u32 v97, v97, 10, 0x2000
	v_lshlrev_b32_e32 v96, 7, v96
	s_delay_alu instid0(VALU_DEP_3) | instskip(NEXT) | instid1(VALU_DEP_3)
	v_and_b32_e32 v0, 0x8000, v0
	v_and_b32_e32 v97, 0xfc00, v97
	s_delay_alu instid0(VALU_DEP_1)
	v_or3_b32 v96, v0, v97, v96
.LBB307_1275:                           ;   in Loop: Header=BB307_1055 Depth=1
	s_wait_alu 0xfffe
	s_or_b32 exec_lo, exec_lo, s14
.LBB307_1276:                           ;   in Loop: Header=BB307_1055 Depth=1
	s_wait_alu 0xfffe
	s_or_b32 exec_lo, exec_lo, s13
.LBB307_1277:                           ;   in Loop: Header=BB307_1055 Depth=1
	s_wait_alu 0xfffe
	s_or_b32 exec_lo, exec_lo, s12
	s_delay_alu instid0(SALU_CYCLE_1)
	s_mov_b32 s12, exec_lo
	v_cmpx_lt_u32_e32 0xffffff, v10
	s_cbranch_execz .LBB307_1285
; %bb.1278:                             ;   in Loop: Header=BB307_1055 Depth=1
	v_lshrrev_b32_e32 v0, 24, v10
	v_bfrev_b32_e32 v87, 1
	s_mov_b32 s13, exec_lo
	s_delay_alu instid0(VALU_DEP_2)
	v_cmpx_ne_u32_e32 0x80, v0
	s_cbranch_execz .LBB307_1284
; %bb.1279:                             ;   in Loop: Header=BB307_1055 Depth=1
	v_and_b32_e32 v98, 0x7f, v0
	v_mov_b32_e32 v87, 0x7c010000
	s_mov_b32 s14, exec_lo
	s_delay_alu instid0(VALU_DEP_2)
	v_cmpx_ne_u32_e32 0x7f, v98
	s_cbranch_execz .LBB307_1283
; %bb.1280:                             ;   in Loop: Header=BB307_1055 Depth=1
	v_and_b32_e32 v87, 7, v0
	v_lshrrev_b32_e32 v97, 3, v98
	s_mov_b32 s15, exec_lo
	v_cmpx_gt_u32_e32 8, v98
; %bb.1281:                             ;   in Loop: Header=BB307_1055 Depth=1
	s_delay_alu instid0(VALU_DEP_3) | instskip(NEXT) | instid1(VALU_DEP_1)
	v_clz_i32_u32_e32 v87, v87
	v_min_u32_e32 v87, 32, v87
	s_delay_alu instid0(VALU_DEP_1) | instskip(NEXT) | instid1(VALU_DEP_1)
	v_subrev_nc_u32_e32 v97, 28, v87
	v_lshlrev_b64_e32 v[98:99], v97, v[0:1]
	v_sub_nc_u32_e32 v97, 29, v87
	s_delay_alu instid0(VALU_DEP_2)
	v_and_b32_e32 v87, 7, v98
; %bb.1282:                             ;   in Loop: Header=BB307_1055 Depth=1
	s_wait_alu 0xfffe
	s_or_b32 exec_lo, exec_lo, s15
	v_lshlrev_b32_e32 v0, 8, v0
	v_lshl_add_u32 v97, v97, 10, 0x2000
	v_lshlrev_b32_e32 v87, 23, v87
	s_delay_alu instid0(VALU_DEP_2) | instskip(NEXT) | instid1(VALU_DEP_1)
	v_and_or_b32 v0, 0x8000, v0, v97
	v_lshl_or_b32 v87, v0, 16, v87
.LBB307_1283:                           ;   in Loop: Header=BB307_1055 Depth=1
	s_wait_alu 0xfffe
	s_or_b32 exec_lo, exec_lo, s14
.LBB307_1284:                           ;   in Loop: Header=BB307_1055 Depth=1
	s_wait_alu 0xfffe
	s_or_b32 exec_lo, exec_lo, s13
.LBB307_1285:                           ;   in Loop: Header=BB307_1055 Depth=1
	s_wait_alu 0xfffe
	s_or_b32 exec_lo, exec_lo, s12
	v_dual_mov_b32 v0, v11 :: v_dual_and_b32 v99, 0xff, v11
	v_dual_mov_b32 v97, 0 :: v_dual_mov_b32 v98, 0
	s_mov_b32 s12, exec_lo
	s_delay_alu instid0(VALU_DEP_2)
	v_cmpx_ne_u16_e32 0, v99
	s_cbranch_execz .LBB307_1293
; %bb.1286:                             ;   in Loop: Header=BB307_1055 Depth=1
	v_mov_b32_e32 v98, 0x8000
	s_mov_b32 s13, exec_lo
	v_cmpx_ne_u16_e32 0x80, v99
	s_cbranch_execz .LBB307_1292
; %bb.1287:                             ;   in Loop: Header=BB307_1055 Depth=1
	v_and_b32_e32 v100, 0x7f, v11
	v_mov_b32_e32 v98, 0x7c01
	s_mov_b32 s14, exec_lo
	s_delay_alu instid0(VALU_DEP_2)
	v_cmpx_ne_u32_e32 0x7f, v100
	s_cbranch_execz .LBB307_1291
; %bb.1288:                             ;   in Loop: Header=BB307_1055 Depth=1
	v_and_b32_e32 v98, 7, v11
	v_lshrrev_b32_e32 v99, 3, v100
	s_mov_b32 s15, exec_lo
	v_cmpx_gt_u32_e32 8, v100
; %bb.1289:                             ;   in Loop: Header=BB307_1055 Depth=1
	s_delay_alu instid0(VALU_DEP_3) | instskip(NEXT) | instid1(VALU_DEP_1)
	v_clz_i32_u32_e32 v98, v98
	v_min_u32_e32 v100, 32, v98
	s_delay_alu instid0(VALU_DEP_1) | instskip(NEXT) | instid1(VALU_DEP_1)
	v_subrev_nc_u32_e32 v98, 28, v100
	v_lshlrev_b64_e32 v[98:99], v98, v[0:1]
	v_sub_nc_u32_e32 v99, 29, v100
	s_delay_alu instid0(VALU_DEP_2)
	v_and_b32_e32 v98, 7, v98
; %bb.1290:                             ;   in Loop: Header=BB307_1055 Depth=1
	s_wait_alu 0xfffe
	s_or_b32 exec_lo, exec_lo, s15
	v_lshlrev_b32_e32 v100, 8, v11
	v_lshl_add_u32 v99, v99, 10, 0x2000
	v_lshlrev_b32_e32 v98, 7, v98
	s_delay_alu instid0(VALU_DEP_3) | instskip(NEXT) | instid1(VALU_DEP_3)
	v_and_b32_e32 v100, 0x8000, v100
	v_and_b32_e32 v99, 0xfc00, v99
	s_delay_alu instid0(VALU_DEP_1)
	v_or3_b32 v98, v100, v99, v98
.LBB307_1291:                           ;   in Loop: Header=BB307_1055 Depth=1
	s_wait_alu 0xfffe
	s_or_b32 exec_lo, exec_lo, s14
.LBB307_1292:                           ;   in Loop: Header=BB307_1055 Depth=1
	s_wait_alu 0xfffe
	s_or_b32 exec_lo, exec_lo, s13
.LBB307_1293:                           ;   in Loop: Header=BB307_1055 Depth=1
	s_wait_alu 0xfffe
	s_or_b32 exec_lo, exec_lo, s12
	v_lshrrev_b16 v0, 8, v0
	v_mov_b32_e32 v99, 0
	s_mov_b32 s12, exec_lo
	s_delay_alu instid0(VALU_DEP_2)
	v_cmpx_ne_u16_e32 0, v0
	s_cbranch_execz .LBB307_1301
; %bb.1294:                             ;   in Loop: Header=BB307_1055 Depth=1
	v_bfrev_b32_e32 v99, 1
	s_mov_b32 s13, exec_lo
	v_cmpx_ne_u16_e32 0x80, v0
	s_cbranch_execz .LBB307_1300
; %bb.1295:                             ;   in Loop: Header=BB307_1055 Depth=1
	v_and_b32_e32 v100, 0xffff, v0
	v_mov_b32_e32 v99, 0x7c010000
	s_mov_b32 s14, exec_lo
	s_delay_alu instid0(VALU_DEP_2) | instskip(NEXT) | instid1(VALU_DEP_1)
	v_and_b32_e32 v102, 0x7f, v100
	v_cmpx_ne_u32_e32 0x7f, v102
	s_cbranch_execz .LBB307_1299
; %bb.1296:                             ;   in Loop: Header=BB307_1055 Depth=1
	v_and_b32_e32 v99, 7, v100
	v_lshrrev_b32_e32 v101, 3, v102
	s_mov_b32 s15, exec_lo
	v_cmpx_gt_u32_e32 8, v102
; %bb.1297:                             ;   in Loop: Header=BB307_1055 Depth=1
	s_delay_alu instid0(VALU_DEP_3) | instskip(NEXT) | instid1(VALU_DEP_1)
	v_clz_i32_u32_e32 v99, v99
	v_min_u32_e32 v99, 32, v99
	s_delay_alu instid0(VALU_DEP_1) | instskip(NEXT) | instid1(VALU_DEP_1)
	v_subrev_nc_u32_e32 v101, 28, v99
	v_lshlrev_b64_e32 v[102:103], v101, v[0:1]
	v_sub_nc_u32_e32 v101, 29, v99
	s_delay_alu instid0(VALU_DEP_2)
	v_and_b32_e32 v99, 7, v102
; %bb.1298:                             ;   in Loop: Header=BB307_1055 Depth=1
	s_wait_alu 0xfffe
	s_or_b32 exec_lo, exec_lo, s15
	v_lshlrev_b32_e32 v0, 8, v100
	v_lshl_add_u32 v100, v101, 10, 0x2000
	v_lshlrev_b32_e32 v99, 23, v99
	s_delay_alu instid0(VALU_DEP_2) | instskip(NEXT) | instid1(VALU_DEP_1)
	v_and_or_b32 v0, 0x8000, v0, v100
	v_lshl_or_b32 v99, v0, 16, v99
.LBB307_1299:                           ;   in Loop: Header=BB307_1055 Depth=1
	s_wait_alu 0xfffe
	s_or_b32 exec_lo, exec_lo, s14
.LBB307_1300:                           ;   in Loop: Header=BB307_1055 Depth=1
	s_wait_alu 0xfffe
	s_or_b32 exec_lo, exec_lo, s13
.LBB307_1301:                           ;   in Loop: Header=BB307_1055 Depth=1
	s_wait_alu 0xfffe
	s_or_b32 exec_lo, exec_lo, s12
	v_lshrrev_b32_e32 v0, 16, v11
	s_mov_b32 s12, exec_lo
	s_delay_alu instid0(VALU_DEP_1) | instskip(NEXT) | instid1(VALU_DEP_1)
	v_and_b32_e32 v100, 0xff, v0
	v_cmpx_ne_u16_e32 0, v100
	s_cbranch_execz .LBB307_1309
; %bb.1302:                             ;   in Loop: Header=BB307_1055 Depth=1
	v_mov_b32_e32 v97, 0x8000
	s_mov_b32 s13, exec_lo
	v_cmpx_ne_u16_e32 0x80, v100
	s_cbranch_execz .LBB307_1308
; %bb.1303:                             ;   in Loop: Header=BB307_1055 Depth=1
	v_bfe_u32 v101, v11, 16, 7
	v_mov_b32_e32 v97, 0x7c01
	s_mov_b32 s14, exec_lo
	s_delay_alu instid0(VALU_DEP_2)
	v_cmpx_ne_u32_e32 0x7f, v101
	s_cbranch_execz .LBB307_1307
; %bb.1304:                             ;   in Loop: Header=BB307_1055 Depth=1
	v_and_b32_e32 v97, 7, v0
	v_lshrrev_b32_e32 v100, 3, v101
	s_mov_b32 s15, exec_lo
	v_cmpx_gt_u32_e32 8, v101
; %bb.1305:                             ;   in Loop: Header=BB307_1055 Depth=1
	s_delay_alu instid0(VALU_DEP_3) | instskip(NEXT) | instid1(VALU_DEP_1)
	v_clz_i32_u32_e32 v97, v97
	v_min_u32_e32 v97, 32, v97
	s_delay_alu instid0(VALU_DEP_1) | instskip(NEXT) | instid1(VALU_DEP_1)
	v_subrev_nc_u32_e32 v100, 28, v97
	v_lshlrev_b64_e32 v[101:102], v100, v[0:1]
	v_sub_nc_u32_e32 v100, 29, v97
	s_delay_alu instid0(VALU_DEP_2)
	v_and_b32_e32 v97, 7, v101
; %bb.1306:                             ;   in Loop: Header=BB307_1055 Depth=1
	s_wait_alu 0xfffe
	s_or_b32 exec_lo, exec_lo, s15
	v_lshlrev_b32_e32 v0, 8, v0
	v_lshl_add_u32 v100, v100, 10, 0x2000
	v_lshlrev_b32_e32 v97, 7, v97
	s_delay_alu instid0(VALU_DEP_3) | instskip(NEXT) | instid1(VALU_DEP_3)
	v_and_b32_e32 v0, 0x8000, v0
	v_and_b32_e32 v100, 0xfc00, v100
	s_delay_alu instid0(VALU_DEP_1)
	v_or3_b32 v97, v0, v100, v97
.LBB307_1307:                           ;   in Loop: Header=BB307_1055 Depth=1
	s_wait_alu 0xfffe
	s_or_b32 exec_lo, exec_lo, s14
.LBB307_1308:                           ;   in Loop: Header=BB307_1055 Depth=1
	s_wait_alu 0xfffe
	s_or_b32 exec_lo, exec_lo, s13
.LBB307_1309:                           ;   in Loop: Header=BB307_1055 Depth=1
	s_wait_alu 0xfffe
	s_or_b32 exec_lo, exec_lo, s12
	v_cmp_lt_u64_e64 s0, s[8:9], v[10:11]
	v_mov_b32_e32 v10, 0
	s_and_saveexec_b32 s12, s0
	s_cbranch_execz .LBB307_1317
; %bb.1310:                             ;   in Loop: Header=BB307_1055 Depth=1
	v_lshrrev_b32_e32 v0, 24, v11
	v_bfrev_b32_e32 v10, 1
	s_mov_b32 s13, exec_lo
	s_delay_alu instid0(VALU_DEP_2)
	v_cmpx_ne_u32_e32 0x80, v0
	s_cbranch_execz .LBB307_1316
; %bb.1311:                             ;   in Loop: Header=BB307_1055 Depth=1
	v_and_b32_e32 v100, 0x7f, v0
	v_mov_b32_e32 v10, 0x7c010000
	s_mov_b32 s14, exec_lo
	s_delay_alu instid0(VALU_DEP_2)
	v_cmpx_ne_u32_e32 0x7f, v100
	s_cbranch_execz .LBB307_1315
; %bb.1312:                             ;   in Loop: Header=BB307_1055 Depth=1
	v_and_b32_e32 v10, 7, v0
	v_lshrrev_b32_e32 v11, 3, v100
	s_mov_b32 s15, exec_lo
	v_cmpx_gt_u32_e32 8, v100
; %bb.1313:                             ;   in Loop: Header=BB307_1055 Depth=1
	s_delay_alu instid0(VALU_DEP_3) | instskip(NEXT) | instid1(VALU_DEP_1)
	v_clz_i32_u32_e32 v10, v10
	v_min_u32_e32 v100, 32, v10
	s_delay_alu instid0(VALU_DEP_1) | instskip(NEXT) | instid1(VALU_DEP_1)
	v_subrev_nc_u32_e32 v10, 28, v100
	v_lshlrev_b64_e32 v[10:11], v10, v[0:1]
	v_sub_nc_u32_e32 v11, 29, v100
	s_delay_alu instid0(VALU_DEP_2)
	v_and_b32_e32 v10, 7, v10
; %bb.1314:                             ;   in Loop: Header=BB307_1055 Depth=1
	s_wait_alu 0xfffe
	s_or_b32 exec_lo, exec_lo, s15
	v_lshlrev_b32_e32 v0, 8, v0
	v_lshl_add_u32 v11, v11, 10, 0x2000
	v_lshlrev_b32_e32 v10, 23, v10
	s_delay_alu instid0(VALU_DEP_2) | instskip(NEXT) | instid1(VALU_DEP_1)
	v_and_or_b32 v0, 0x8000, v0, v11
	v_lshl_or_b32 v10, v0, 16, v10
.LBB307_1315:                           ;   in Loop: Header=BB307_1055 Depth=1
	s_wait_alu 0xfffe
	s_or_b32 exec_lo, exec_lo, s14
.LBB307_1316:                           ;   in Loop: Header=BB307_1055 Depth=1
	s_wait_alu 0xfffe
	s_or_b32 exec_lo, exec_lo, s13
.LBB307_1317:                           ;   in Loop: Header=BB307_1055 Depth=1
	s_wait_alu 0xfffe
	s_or_b32 exec_lo, exec_lo, s12
	v_or_b32_e32 v0, v87, v96
	s_wait_loadcnt_dscnt 0x0
	v_fma_mixlo_f16 v11, v84, v87, 0 op_sel:[0,1,0] op_sel_hi:[0,1,0]
	v_or_b32_e32 v87, v85, v86
	v_fma_mixlo_f16 v85, v84, v85, 0 op_sel:[0,1,0] op_sel_hi:[0,1,0]
	v_or_b32_e32 v96, v99, v98
	v_or_b32_e32 v97, v10, v97
	v_fma_mixlo_f16 v98, v84, v0, 0 op_sel_hi:[0,1,0]
	v_fma_mixlo_f16 v10, v84, v10, 0 op_sel:[0,1,0] op_sel_hi:[0,1,0]
	v_lshlrev_b32_e32 v86, 16, v85
	v_fma_mixlo_f16 v85, v84, v87, 0 op_sel_hi:[0,1,0]
	v_fma_mixlo_f16 v87, v84, v99, 0 op_sel:[0,1,0] op_sel_hi:[0,1,0]
	v_fma_mixlo_f16 v96, v84, v96, 0 op_sel_hi:[0,1,0]
	v_fma_mixlo_f16 v97, v84, v97, 0 op_sel_hi:[0,1,0]
	v_lshlrev_b32_e32 v0, 16, v11
	v_and_b32_e32 v11, 0xffff, v98
	v_and_b32_e32 v100, 0xffff, v85
	v_lshlrev_b32_e32 v84, 16, v87
	v_and_b32_e32 v96, 0xffff, v96
	v_lshlrev_b32_e32 v10, 16, v10
	v_and_b32_e32 v85, 0xffff, v97
	v_or_b32_e32 v87, v0, v11
	v_or_b32_e32 v99, v86, v100
	;; [unrolled: 1-line block ×3, first 2 shown]
	s_delay_alu instid0(VALU_DEP_4)
	v_or_b32_e32 v97, v10, v85
	s_and_saveexec_b32 s12, vcc_lo
	s_cbranch_execz .LBB307_1319
; %bb.1318:                             ;   in Loop: Header=BB307_1055 Depth=1
	v_cmp_lt_i32_e64 s0, v35, v32
	s_wait_alu 0xf1ff
	s_delay_alu instid0(VALU_DEP_1) | instskip(SKIP_2) | instid1(VALU_DEP_1)
	v_cndmask_b32_e64 v87, 0, v100, s0
	v_cmp_lt_i32_e64 s0, v71, v32
	s_wait_alu 0xf1ff
	v_cndmask_b32_e64 v86, 0, v86, s0
	v_cmp_lt_i32_e64 s0, v70, v32
	s_delay_alu instid0(VALU_DEP_2) | instskip(SKIP_1) | instid1(VALU_DEP_2)
	v_or_b32_e32 v99, v87, v86
	s_wait_alu 0xf1ff
	v_cndmask_b32_e64 v11, 0, v11, s0
	v_cmp_lt_i32_e64 s0, v69, v32
	s_wait_alu 0xf1ff
	s_delay_alu instid0(VALU_DEP_1) | instskip(SKIP_1) | instid1(VALU_DEP_2)
	v_cndmask_b32_e64 v0, 0, v0, s0
	v_cmp_lt_i32_e64 s0, v68, v32
	v_or_b32_e32 v87, v11, v0
	s_wait_alu 0xf1ff
	s_delay_alu instid0(VALU_DEP_2) | instskip(SKIP_2) | instid1(VALU_DEP_1)
	v_cndmask_b32_e64 v96, 0, v96, s0
	v_cmp_lt_i32_e64 s0, v67, v32
	s_wait_alu 0xf1ff
	v_cndmask_b32_e64 v84, 0, v84, s0
	v_cmp_lt_i32_e64 s0, v66, v32
	s_delay_alu instid0(VALU_DEP_2) | instskip(SKIP_1) | instid1(VALU_DEP_2)
	v_or_b32_e32 v98, v96, v84
	s_wait_alu 0xf1ff
	v_cndmask_b32_e64 v85, 0, v85, s0
	v_cmp_lt_i32_e64 s0, v14, v32
	s_wait_alu 0xf1ff
	s_delay_alu instid0(VALU_DEP_1) | instskip(NEXT) | instid1(VALU_DEP_1)
	v_cndmask_b32_e64 v10, 0, v10, s0
	v_or_b32_e32 v97, v85, v10
.LBB307_1319:                           ;   in Loop: Header=BB307_1055 Depth=1
	s_wait_alu 0xfffe
	s_or_b32 exec_lo, exec_lo, s12
	;;#ASMSTART
	v_pk_mul_f16 v0, v64, v99;

	;;#ASMEND
	;;#ASMSTART
	v_pk_mul_f16 v10, v54, v87;

	;;#ASMEND
	;; [unrolled: 4-line block ×4, first 2 shown]
	;;#ASMSTART
	v_pk_add_f16 v0, v0, v10;

	;;#ASMEND
	;;#ASMSTART
	v_pk_add_f16 v0, v0, v11;

	;;#ASMEND
	;; [unrolled: 4-line block ×3, first 2 shown]
	v_dual_mov_b32 v87, 0 :: v_dual_and_b32 v10, 0xffff, v0
	v_lshrrev_b32_e32 v0, 16, v0
	;;#ASMSTART
	v_cvt_f32_f16 v84, v10;
	;;#ASMEND
	;;#ASMSTART
	v_cvt_f32_f16 v85, v0;
	;;#ASMEND
	flat_load_b64 v[10:11], v[8:9] offset:1024
	flat_load_b32 v86, v[26:27]
	v_mov_b32_e32 v96, 0
	s_mov_b32 s12, exec_lo
	s_wait_loadcnt_dscnt 0x101
	v_and_b32_e32 v0, 0xff, v10
	s_delay_alu instid0(VALU_DEP_1)
	v_cmpx_ne_u16_e32 0, v0
	s_cbranch_execz .LBB307_1327
; %bb.1320:                             ;   in Loop: Header=BB307_1055 Depth=1
	v_mov_b32_e32 v96, 0x8000
	s_mov_b32 s13, exec_lo
	v_cmpx_ne_u16_e32 0x80, v0
	s_cbranch_execz .LBB307_1326
; %bb.1321:                             ;   in Loop: Header=BB307_1055 Depth=1
	v_and_b32_e32 v97, 0x7f, v10
	v_mov_b32_e32 v96, 0x7c01
	s_mov_b32 s14, exec_lo
	s_delay_alu instid0(VALU_DEP_2)
	v_cmpx_ne_u32_e32 0x7f, v97
	s_cbranch_execz .LBB307_1325
; %bb.1322:                             ;   in Loop: Header=BB307_1055 Depth=1
	v_and_b32_e32 v0, 7, v10
	v_lshrrev_b32_e32 v96, 3, v97
	s_mov_b32 s15, exec_lo
	v_cmpx_gt_u32_e32 8, v97
; %bb.1323:                             ;   in Loop: Header=BB307_1055 Depth=1
	s_delay_alu instid0(VALU_DEP_3) | instskip(NEXT) | instid1(VALU_DEP_1)
	v_clz_i32_u32_e32 v0, v0
	v_min_u32_e32 v0, 32, v0
	s_delay_alu instid0(VALU_DEP_1) | instskip(NEXT) | instid1(VALU_DEP_1)
	v_subrev_nc_u32_e32 v96, 28, v0
	v_lshlrev_b64_e32 v[97:98], v96, v[10:11]
	v_sub_nc_u32_e32 v96, 29, v0
	s_delay_alu instid0(VALU_DEP_2)
	v_and_b32_e32 v0, 7, v97
; %bb.1324:                             ;   in Loop: Header=BB307_1055 Depth=1
	s_wait_alu 0xfffe
	s_or_b32 exec_lo, exec_lo, s15
	v_lshlrev_b32_e32 v97, 8, v10
	v_lshl_add_u32 v96, v96, 10, 0x2000
	v_lshlrev_b32_e32 v0, 7, v0
	s_delay_alu instid0(VALU_DEP_3) | instskip(NEXT) | instid1(VALU_DEP_3)
	v_and_b32_e32 v97, 0x8000, v97
	v_and_b32_e32 v96, 0xfc00, v96
	s_delay_alu instid0(VALU_DEP_1)
	v_or3_b32 v96, v97, v96, v0
.LBB307_1325:                           ;   in Loop: Header=BB307_1055 Depth=1
	s_wait_alu 0xfffe
	s_or_b32 exec_lo, exec_lo, s14
.LBB307_1326:                           ;   in Loop: Header=BB307_1055 Depth=1
	s_wait_alu 0xfffe
	s_or_b32 exec_lo, exec_lo, s13
.LBB307_1327:                           ;   in Loop: Header=BB307_1055 Depth=1
	s_wait_alu 0xfffe
	s_or_b32 exec_lo, exec_lo, s12
	v_lshrrev_b16 v0, 8, v10
	s_mov_b32 s12, exec_lo
	s_delay_alu instid0(VALU_DEP_1)
	v_cmpx_ne_u16_e32 0, v0
	s_cbranch_execz .LBB307_1335
; %bb.1328:                             ;   in Loop: Header=BB307_1055 Depth=1
	v_bfrev_b32_e32 v87, 1
	s_mov_b32 s13, exec_lo
	v_cmpx_ne_u16_e32 0x80, v0
	s_cbranch_execz .LBB307_1334
; %bb.1329:                             ;   in Loop: Header=BB307_1055 Depth=1
	v_and_b32_e32 v97, 0xffff, v0
	v_mov_b32_e32 v87, 0x7c010000
	s_mov_b32 s14, exec_lo
	s_delay_alu instid0(VALU_DEP_2) | instskip(NEXT) | instid1(VALU_DEP_1)
	v_and_b32_e32 v99, 0x7f, v97
	v_cmpx_ne_u32_e32 0x7f, v99
	s_cbranch_execz .LBB307_1333
; %bb.1330:                             ;   in Loop: Header=BB307_1055 Depth=1
	v_and_b32_e32 v87, 7, v97
	v_lshrrev_b32_e32 v98, 3, v99
	s_mov_b32 s15, exec_lo
	v_cmpx_gt_u32_e32 8, v99
; %bb.1331:                             ;   in Loop: Header=BB307_1055 Depth=1
	s_delay_alu instid0(VALU_DEP_3) | instskip(NEXT) | instid1(VALU_DEP_1)
	v_clz_i32_u32_e32 v87, v87
	v_min_u32_e32 v87, 32, v87
	s_delay_alu instid0(VALU_DEP_1) | instskip(NEXT) | instid1(VALU_DEP_1)
	v_subrev_nc_u32_e32 v98, 28, v87
	v_lshlrev_b64_e32 v[99:100], v98, v[0:1]
	v_sub_nc_u32_e32 v98, 29, v87
	s_delay_alu instid0(VALU_DEP_2)
	v_and_b32_e32 v87, 7, v99
; %bb.1332:                             ;   in Loop: Header=BB307_1055 Depth=1
	s_wait_alu 0xfffe
	s_or_b32 exec_lo, exec_lo, s15
	v_lshlrev_b32_e32 v0, 8, v97
	v_lshl_add_u32 v97, v98, 10, 0x2000
	v_lshlrev_b32_e32 v87, 23, v87
	s_delay_alu instid0(VALU_DEP_2) | instskip(NEXT) | instid1(VALU_DEP_1)
	v_and_or_b32 v0, 0x8000, v0, v97
	v_lshl_or_b32 v87, v0, 16, v87
.LBB307_1333:                           ;   in Loop: Header=BB307_1055 Depth=1
	s_wait_alu 0xfffe
	s_or_b32 exec_lo, exec_lo, s14
.LBB307_1334:                           ;   in Loop: Header=BB307_1055 Depth=1
	s_wait_alu 0xfffe
	s_or_b32 exec_lo, exec_lo, s13
.LBB307_1335:                           ;   in Loop: Header=BB307_1055 Depth=1
	s_wait_alu 0xfffe
	s_or_b32 exec_lo, exec_lo, s12
	v_lshrrev_b32_e32 v0, 16, v10
	v_mov_b32_e32 v97, 0
	s_mov_b32 s12, exec_lo
	s_delay_alu instid0(VALU_DEP_2) | instskip(NEXT) | instid1(VALU_DEP_1)
	v_dual_mov_b32 v98, 0 :: v_dual_and_b32 v99, 0xff, v0
	v_cmpx_ne_u16_e32 0, v99
	s_cbranch_execz .LBB307_1343
; %bb.1336:                             ;   in Loop: Header=BB307_1055 Depth=1
	v_mov_b32_e32 v98, 0x8000
	s_mov_b32 s13, exec_lo
	v_cmpx_ne_u16_e32 0x80, v99
	s_cbranch_execz .LBB307_1342
; %bb.1337:                             ;   in Loop: Header=BB307_1055 Depth=1
	v_bfe_u32 v100, v10, 16, 7
	v_mov_b32_e32 v98, 0x7c01
	s_mov_b32 s14, exec_lo
	s_delay_alu instid0(VALU_DEP_2)
	v_cmpx_ne_u32_e32 0x7f, v100
	s_cbranch_execz .LBB307_1341
; %bb.1338:                             ;   in Loop: Header=BB307_1055 Depth=1
	v_and_b32_e32 v98, 7, v0
	v_lshrrev_b32_e32 v99, 3, v100
	s_mov_b32 s15, exec_lo
	v_cmpx_gt_u32_e32 8, v100
; %bb.1339:                             ;   in Loop: Header=BB307_1055 Depth=1
	s_delay_alu instid0(VALU_DEP_3) | instskip(NEXT) | instid1(VALU_DEP_1)
	v_clz_i32_u32_e32 v98, v98
	v_min_u32_e32 v100, 32, v98
	s_delay_alu instid0(VALU_DEP_1) | instskip(NEXT) | instid1(VALU_DEP_1)
	v_subrev_nc_u32_e32 v98, 28, v100
	v_lshlrev_b64_e32 v[98:99], v98, v[0:1]
	v_sub_nc_u32_e32 v99, 29, v100
	s_delay_alu instid0(VALU_DEP_2)
	v_and_b32_e32 v98, 7, v98
; %bb.1340:                             ;   in Loop: Header=BB307_1055 Depth=1
	s_wait_alu 0xfffe
	s_or_b32 exec_lo, exec_lo, s15
	v_lshlrev_b32_e32 v0, 8, v0
	v_lshl_add_u32 v99, v99, 10, 0x2000
	v_lshlrev_b32_e32 v98, 7, v98
	s_delay_alu instid0(VALU_DEP_3) | instskip(NEXT) | instid1(VALU_DEP_3)
	v_and_b32_e32 v0, 0x8000, v0
	v_and_b32_e32 v99, 0xfc00, v99
	s_delay_alu instid0(VALU_DEP_1)
	v_or3_b32 v98, v0, v99, v98
.LBB307_1341:                           ;   in Loop: Header=BB307_1055 Depth=1
	s_wait_alu 0xfffe
	s_or_b32 exec_lo, exec_lo, s14
.LBB307_1342:                           ;   in Loop: Header=BB307_1055 Depth=1
	s_wait_alu 0xfffe
	s_or_b32 exec_lo, exec_lo, s13
.LBB307_1343:                           ;   in Loop: Header=BB307_1055 Depth=1
	s_wait_alu 0xfffe
	s_or_b32 exec_lo, exec_lo, s12
	s_delay_alu instid0(SALU_CYCLE_1)
	s_mov_b32 s12, exec_lo
	v_cmpx_lt_u32_e32 0xffffff, v10
	s_cbranch_execz .LBB307_1351
; %bb.1344:                             ;   in Loop: Header=BB307_1055 Depth=1
	v_lshrrev_b32_e32 v0, 24, v10
	v_bfrev_b32_e32 v97, 1
	s_mov_b32 s13, exec_lo
	s_delay_alu instid0(VALU_DEP_2)
	v_cmpx_ne_u32_e32 0x80, v0
	s_cbranch_execz .LBB307_1350
; %bb.1345:                             ;   in Loop: Header=BB307_1055 Depth=1
	v_and_b32_e32 v100, 0x7f, v0
	v_mov_b32_e32 v97, 0x7c010000
	s_mov_b32 s14, exec_lo
	s_delay_alu instid0(VALU_DEP_2)
	v_cmpx_ne_u32_e32 0x7f, v100
	s_cbranch_execz .LBB307_1349
; %bb.1346:                             ;   in Loop: Header=BB307_1055 Depth=1
	v_and_b32_e32 v97, 7, v0
	v_lshrrev_b32_e32 v99, 3, v100
	s_mov_b32 s15, exec_lo
	v_cmpx_gt_u32_e32 8, v100
; %bb.1347:                             ;   in Loop: Header=BB307_1055 Depth=1
	s_delay_alu instid0(VALU_DEP_3) | instskip(NEXT) | instid1(VALU_DEP_1)
	v_clz_i32_u32_e32 v97, v97
	v_min_u32_e32 v97, 32, v97
	s_delay_alu instid0(VALU_DEP_1) | instskip(NEXT) | instid1(VALU_DEP_1)
	v_subrev_nc_u32_e32 v99, 28, v97
	v_lshlrev_b64_e32 v[100:101], v99, v[0:1]
	v_sub_nc_u32_e32 v99, 29, v97
	s_delay_alu instid0(VALU_DEP_2)
	v_and_b32_e32 v97, 7, v100
; %bb.1348:                             ;   in Loop: Header=BB307_1055 Depth=1
	s_wait_alu 0xfffe
	s_or_b32 exec_lo, exec_lo, s15
	v_lshlrev_b32_e32 v0, 8, v0
	v_lshl_add_u32 v99, v99, 10, 0x2000
	v_lshlrev_b32_e32 v97, 23, v97
	s_delay_alu instid0(VALU_DEP_2) | instskip(NEXT) | instid1(VALU_DEP_1)
	v_and_or_b32 v0, 0x8000, v0, v99
	v_lshl_or_b32 v97, v0, 16, v97
.LBB307_1349:                           ;   in Loop: Header=BB307_1055 Depth=1
	s_wait_alu 0xfffe
	s_or_b32 exec_lo, exec_lo, s14
.LBB307_1350:                           ;   in Loop: Header=BB307_1055 Depth=1
	s_wait_alu 0xfffe
	s_or_b32 exec_lo, exec_lo, s13
.LBB307_1351:                           ;   in Loop: Header=BB307_1055 Depth=1
	s_wait_alu 0xfffe
	s_or_b32 exec_lo, exec_lo, s12
	v_dual_mov_b32 v0, v11 :: v_dual_and_b32 v101, 0xff, v11
	v_dual_mov_b32 v99, 0 :: v_dual_mov_b32 v100, 0
	s_mov_b32 s12, exec_lo
	s_delay_alu instid0(VALU_DEP_2)
	v_cmpx_ne_u16_e32 0, v101
	s_cbranch_execz .LBB307_1359
; %bb.1352:                             ;   in Loop: Header=BB307_1055 Depth=1
	v_mov_b32_e32 v100, 0x8000
	s_mov_b32 s13, exec_lo
	v_cmpx_ne_u16_e32 0x80, v101
	s_cbranch_execz .LBB307_1358
; %bb.1353:                             ;   in Loop: Header=BB307_1055 Depth=1
	v_and_b32_e32 v102, 0x7f, v11
	v_mov_b32_e32 v100, 0x7c01
	s_mov_b32 s14, exec_lo
	s_delay_alu instid0(VALU_DEP_2)
	v_cmpx_ne_u32_e32 0x7f, v102
	s_cbranch_execz .LBB307_1357
; %bb.1354:                             ;   in Loop: Header=BB307_1055 Depth=1
	v_and_b32_e32 v100, 7, v11
	v_lshrrev_b32_e32 v101, 3, v102
	s_mov_b32 s15, exec_lo
	v_cmpx_gt_u32_e32 8, v102
; %bb.1355:                             ;   in Loop: Header=BB307_1055 Depth=1
	s_delay_alu instid0(VALU_DEP_3) | instskip(NEXT) | instid1(VALU_DEP_1)
	v_clz_i32_u32_e32 v100, v100
	v_min_u32_e32 v102, 32, v100
	s_delay_alu instid0(VALU_DEP_1) | instskip(NEXT) | instid1(VALU_DEP_1)
	v_subrev_nc_u32_e32 v100, 28, v102
	v_lshlrev_b64_e32 v[100:101], v100, v[0:1]
	v_sub_nc_u32_e32 v101, 29, v102
	s_delay_alu instid0(VALU_DEP_2)
	v_and_b32_e32 v100, 7, v100
; %bb.1356:                             ;   in Loop: Header=BB307_1055 Depth=1
	s_wait_alu 0xfffe
	s_or_b32 exec_lo, exec_lo, s15
	v_lshlrev_b32_e32 v102, 8, v11
	v_lshl_add_u32 v101, v101, 10, 0x2000
	v_lshlrev_b32_e32 v100, 7, v100
	s_delay_alu instid0(VALU_DEP_3) | instskip(NEXT) | instid1(VALU_DEP_3)
	v_and_b32_e32 v102, 0x8000, v102
	v_and_b32_e32 v101, 0xfc00, v101
	s_delay_alu instid0(VALU_DEP_1)
	v_or3_b32 v100, v102, v101, v100
.LBB307_1357:                           ;   in Loop: Header=BB307_1055 Depth=1
	s_wait_alu 0xfffe
	s_or_b32 exec_lo, exec_lo, s14
.LBB307_1358:                           ;   in Loop: Header=BB307_1055 Depth=1
	s_wait_alu 0xfffe
	s_or_b32 exec_lo, exec_lo, s13
.LBB307_1359:                           ;   in Loop: Header=BB307_1055 Depth=1
	s_wait_alu 0xfffe
	s_or_b32 exec_lo, exec_lo, s12
	v_lshrrev_b16 v0, 8, v0
	v_mov_b32_e32 v101, 0
	s_mov_b32 s12, exec_lo
	s_delay_alu instid0(VALU_DEP_2)
	v_cmpx_ne_u16_e32 0, v0
	s_cbranch_execz .LBB307_1367
; %bb.1360:                             ;   in Loop: Header=BB307_1055 Depth=1
	v_bfrev_b32_e32 v101, 1
	s_mov_b32 s13, exec_lo
	v_cmpx_ne_u16_e32 0x80, v0
	s_cbranch_execz .LBB307_1366
; %bb.1361:                             ;   in Loop: Header=BB307_1055 Depth=1
	v_and_b32_e32 v102, 0xffff, v0
	v_mov_b32_e32 v101, 0x7c010000
	s_mov_b32 s14, exec_lo
	s_delay_alu instid0(VALU_DEP_2) | instskip(NEXT) | instid1(VALU_DEP_1)
	v_and_b32_e32 v112, 0x7f, v102
	v_cmpx_ne_u32_e32 0x7f, v112
	s_cbranch_execz .LBB307_1365
; %bb.1362:                             ;   in Loop: Header=BB307_1055 Depth=1
	v_and_b32_e32 v101, 7, v102
	v_lshrrev_b32_e32 v103, 3, v112
	s_mov_b32 s15, exec_lo
	v_cmpx_gt_u32_e32 8, v112
; %bb.1363:                             ;   in Loop: Header=BB307_1055 Depth=1
	s_delay_alu instid0(VALU_DEP_3) | instskip(NEXT) | instid1(VALU_DEP_1)
	v_clz_i32_u32_e32 v101, v101
	v_min_u32_e32 v101, 32, v101
	s_delay_alu instid0(VALU_DEP_1) | instskip(NEXT) | instid1(VALU_DEP_1)
	v_subrev_nc_u32_e32 v103, 28, v101
	v_lshlrev_b64_e32 v[112:113], v103, v[0:1]
	v_sub_nc_u32_e32 v103, 29, v101
	s_delay_alu instid0(VALU_DEP_2)
	v_and_b32_e32 v101, 7, v112
; %bb.1364:                             ;   in Loop: Header=BB307_1055 Depth=1
	s_wait_alu 0xfffe
	s_or_b32 exec_lo, exec_lo, s15
	v_lshlrev_b32_e32 v0, 8, v102
	v_lshl_add_u32 v102, v103, 10, 0x2000
	v_lshlrev_b32_e32 v101, 23, v101
	s_delay_alu instid0(VALU_DEP_2) | instskip(NEXT) | instid1(VALU_DEP_1)
	v_and_or_b32 v0, 0x8000, v0, v102
	v_lshl_or_b32 v101, v0, 16, v101
.LBB307_1365:                           ;   in Loop: Header=BB307_1055 Depth=1
	s_wait_alu 0xfffe
	s_or_b32 exec_lo, exec_lo, s14
.LBB307_1366:                           ;   in Loop: Header=BB307_1055 Depth=1
	s_wait_alu 0xfffe
	s_or_b32 exec_lo, exec_lo, s13
.LBB307_1367:                           ;   in Loop: Header=BB307_1055 Depth=1
	s_wait_alu 0xfffe
	s_or_b32 exec_lo, exec_lo, s12
	v_lshrrev_b32_e32 v0, 16, v11
	s_mov_b32 s12, exec_lo
	s_delay_alu instid0(VALU_DEP_1) | instskip(NEXT) | instid1(VALU_DEP_1)
	v_and_b32_e32 v102, 0xff, v0
	v_cmpx_ne_u16_e32 0, v102
	s_cbranch_execz .LBB307_1375
; %bb.1368:                             ;   in Loop: Header=BB307_1055 Depth=1
	v_mov_b32_e32 v99, 0x8000
	s_mov_b32 s13, exec_lo
	v_cmpx_ne_u16_e32 0x80, v102
	s_cbranch_execz .LBB307_1374
; %bb.1369:                             ;   in Loop: Header=BB307_1055 Depth=1
	v_bfe_u32 v103, v11, 16, 7
	v_mov_b32_e32 v99, 0x7c01
	s_mov_b32 s14, exec_lo
	s_delay_alu instid0(VALU_DEP_2)
	v_cmpx_ne_u32_e32 0x7f, v103
	s_cbranch_execz .LBB307_1373
; %bb.1370:                             ;   in Loop: Header=BB307_1055 Depth=1
	v_and_b32_e32 v99, 7, v0
	v_lshrrev_b32_e32 v102, 3, v103
	s_mov_b32 s15, exec_lo
	v_cmpx_gt_u32_e32 8, v103
; %bb.1371:                             ;   in Loop: Header=BB307_1055 Depth=1
	s_delay_alu instid0(VALU_DEP_3) | instskip(NEXT) | instid1(VALU_DEP_1)
	v_clz_i32_u32_e32 v99, v99
	v_min_u32_e32 v99, 32, v99
	s_delay_alu instid0(VALU_DEP_1) | instskip(NEXT) | instid1(VALU_DEP_1)
	v_subrev_nc_u32_e32 v102, 28, v99
	v_lshlrev_b64_e32 v[112:113], v102, v[0:1]
	v_sub_nc_u32_e32 v102, 29, v99
	s_delay_alu instid0(VALU_DEP_2)
	v_and_b32_e32 v99, 7, v112
; %bb.1372:                             ;   in Loop: Header=BB307_1055 Depth=1
	s_wait_alu 0xfffe
	s_or_b32 exec_lo, exec_lo, s15
	v_lshlrev_b32_e32 v0, 8, v0
	v_lshl_add_u32 v102, v102, 10, 0x2000
	v_lshlrev_b32_e32 v99, 7, v99
	s_delay_alu instid0(VALU_DEP_3) | instskip(NEXT) | instid1(VALU_DEP_3)
	v_and_b32_e32 v0, 0x8000, v0
	v_and_b32_e32 v102, 0xfc00, v102
	s_delay_alu instid0(VALU_DEP_1)
	v_or3_b32 v99, v0, v102, v99
.LBB307_1373:                           ;   in Loop: Header=BB307_1055 Depth=1
	s_wait_alu 0xfffe
	s_or_b32 exec_lo, exec_lo, s14
.LBB307_1374:                           ;   in Loop: Header=BB307_1055 Depth=1
	s_wait_alu 0xfffe
	s_or_b32 exec_lo, exec_lo, s13
.LBB307_1375:                           ;   in Loop: Header=BB307_1055 Depth=1
	s_wait_alu 0xfffe
	s_or_b32 exec_lo, exec_lo, s12
	v_cmp_lt_u64_e64 s0, s[8:9], v[10:11]
	v_mov_b32_e32 v10, 0
	s_and_saveexec_b32 s12, s0
	s_cbranch_execz .LBB307_1383
; %bb.1376:                             ;   in Loop: Header=BB307_1055 Depth=1
	v_lshrrev_b32_e32 v0, 24, v11
	v_bfrev_b32_e32 v10, 1
	s_mov_b32 s13, exec_lo
	s_delay_alu instid0(VALU_DEP_2)
	v_cmpx_ne_u32_e32 0x80, v0
	s_cbranch_execz .LBB307_1382
; %bb.1377:                             ;   in Loop: Header=BB307_1055 Depth=1
	v_and_b32_e32 v102, 0x7f, v0
	v_mov_b32_e32 v10, 0x7c010000
	s_mov_b32 s14, exec_lo
	s_delay_alu instid0(VALU_DEP_2)
	v_cmpx_ne_u32_e32 0x7f, v102
	s_cbranch_execz .LBB307_1381
; %bb.1378:                             ;   in Loop: Header=BB307_1055 Depth=1
	v_and_b32_e32 v10, 7, v0
	v_lshrrev_b32_e32 v11, 3, v102
	s_mov_b32 s15, exec_lo
	v_cmpx_gt_u32_e32 8, v102
; %bb.1379:                             ;   in Loop: Header=BB307_1055 Depth=1
	s_delay_alu instid0(VALU_DEP_3) | instskip(NEXT) | instid1(VALU_DEP_1)
	v_clz_i32_u32_e32 v10, v10
	v_min_u32_e32 v102, 32, v10
	s_delay_alu instid0(VALU_DEP_1) | instskip(NEXT) | instid1(VALU_DEP_1)
	v_subrev_nc_u32_e32 v10, 28, v102
	v_lshlrev_b64_e32 v[10:11], v10, v[0:1]
	v_sub_nc_u32_e32 v11, 29, v102
	s_delay_alu instid0(VALU_DEP_2)
	v_and_b32_e32 v10, 7, v10
; %bb.1380:                             ;   in Loop: Header=BB307_1055 Depth=1
	s_wait_alu 0xfffe
	s_or_b32 exec_lo, exec_lo, s15
	v_lshlrev_b32_e32 v0, 8, v0
	v_lshl_add_u32 v11, v11, 10, 0x2000
	v_lshlrev_b32_e32 v10, 23, v10
	s_delay_alu instid0(VALU_DEP_2) | instskip(NEXT) | instid1(VALU_DEP_1)
	v_and_or_b32 v0, 0x8000, v0, v11
	v_lshl_or_b32 v10, v0, 16, v10
.LBB307_1381:                           ;   in Loop: Header=BB307_1055 Depth=1
	s_wait_alu 0xfffe
	s_or_b32 exec_lo, exec_lo, s14
.LBB307_1382:                           ;   in Loop: Header=BB307_1055 Depth=1
	s_wait_alu 0xfffe
	s_or_b32 exec_lo, exec_lo, s13
.LBB307_1383:                           ;   in Loop: Header=BB307_1055 Depth=1
	s_wait_alu 0xfffe
	s_or_b32 exec_lo, exec_lo, s12
	v_or_b32_e32 v0, v97, v98
	s_wait_loadcnt_dscnt 0x0
	v_fma_mixlo_f16 v11, v86, v97, 0 op_sel:[0,1,0] op_sel_hi:[0,1,0]
	v_or_b32_e32 v97, v87, v96
	v_fma_mixlo_f16 v87, v86, v87, 0 op_sel:[0,1,0] op_sel_hi:[0,1,0]
	v_or_b32_e32 v98, v101, v100
	v_or_b32_e32 v99, v10, v99
	v_fma_mixlo_f16 v100, v86, v0, 0 op_sel_hi:[0,1,0]
	v_fma_mixlo_f16 v10, v86, v10, 0 op_sel:[0,1,0] op_sel_hi:[0,1,0]
	v_lshlrev_b32_e32 v96, 16, v87
	v_fma_mixlo_f16 v87, v86, v97, 0 op_sel_hi:[0,1,0]
	v_fma_mixlo_f16 v97, v86, v101, 0 op_sel:[0,1,0] op_sel_hi:[0,1,0]
	v_fma_mixlo_f16 v98, v86, v98, 0 op_sel_hi:[0,1,0]
	v_fma_mixlo_f16 v99, v86, v99, 0 op_sel_hi:[0,1,0]
	v_lshlrev_b32_e32 v0, 16, v11
	v_and_b32_e32 v11, 0xffff, v100
	v_and_b32_e32 v102, 0xffff, v87
	v_lshlrev_b32_e32 v86, 16, v97
	v_and_b32_e32 v98, 0xffff, v98
	v_lshlrev_b32_e32 v10, 16, v10
	v_and_b32_e32 v87, 0xffff, v99
	v_or_b32_e32 v97, v0, v11
	v_or_b32_e32 v101, v96, v102
	;; [unrolled: 1-line block ×3, first 2 shown]
	s_delay_alu instid0(VALU_DEP_4)
	v_or_b32_e32 v99, v10, v87
	s_and_saveexec_b32 s12, vcc_lo
	s_cbranch_execz .LBB307_1385
; %bb.1384:                             ;   in Loop: Header=BB307_1055 Depth=1
	v_cmp_lt_i32_e64 s0, v35, v32
	s_wait_alu 0xf1ff
	s_delay_alu instid0(VALU_DEP_1) | instskip(SKIP_2) | instid1(VALU_DEP_1)
	v_cndmask_b32_e64 v97, 0, v102, s0
	v_cmp_lt_i32_e64 s0, v71, v32
	s_wait_alu 0xf1ff
	v_cndmask_b32_e64 v96, 0, v96, s0
	v_cmp_lt_i32_e64 s0, v70, v32
	s_delay_alu instid0(VALU_DEP_2) | instskip(SKIP_1) | instid1(VALU_DEP_2)
	v_or_b32_e32 v101, v97, v96
	s_wait_alu 0xf1ff
	v_cndmask_b32_e64 v11, 0, v11, s0
	v_cmp_lt_i32_e64 s0, v69, v32
	s_wait_alu 0xf1ff
	s_delay_alu instid0(VALU_DEP_1) | instskip(SKIP_1) | instid1(VALU_DEP_2)
	v_cndmask_b32_e64 v0, 0, v0, s0
	v_cmp_lt_i32_e64 s0, v68, v32
	v_or_b32_e32 v97, v11, v0
	s_wait_alu 0xf1ff
	s_delay_alu instid0(VALU_DEP_2) | instskip(SKIP_2) | instid1(VALU_DEP_1)
	v_cndmask_b32_e64 v98, 0, v98, s0
	v_cmp_lt_i32_e64 s0, v67, v32
	s_wait_alu 0xf1ff
	v_cndmask_b32_e64 v86, 0, v86, s0
	v_cmp_lt_i32_e64 s0, v66, v32
	s_delay_alu instid0(VALU_DEP_2) | instskip(SKIP_1) | instid1(VALU_DEP_2)
	v_or_b32_e32 v100, v98, v86
	s_wait_alu 0xf1ff
	v_cndmask_b32_e64 v87, 0, v87, s0
	v_cmp_lt_i32_e64 s0, v14, v32
	s_wait_alu 0xf1ff
	s_delay_alu instid0(VALU_DEP_1) | instskip(NEXT) | instid1(VALU_DEP_1)
	v_cndmask_b32_e64 v10, 0, v10, s0
	v_or_b32_e32 v99, v87, v10
.LBB307_1385:                           ;   in Loop: Header=BB307_1055 Depth=1
	s_wait_alu 0xfffe
	s_or_b32 exec_lo, exec_lo, s12
	;;#ASMSTART
	v_pk_mul_f16 v0, v64, v101;

	;;#ASMEND
	;;#ASMSTART
	v_pk_mul_f16 v10, v54, v97;

	;;#ASMEND
	;; [unrolled: 4-line block ×4, first 2 shown]
	;;#ASMSTART
	v_pk_add_f16 v0, v0, v10;

	;;#ASMEND
	;;#ASMSTART
	v_pk_add_f16 v0, v0, v11;

	;;#ASMEND
	;; [unrolled: 4-line block ×3, first 2 shown]
	v_dual_mov_b32 v97, 0 :: v_dual_and_b32 v10, 0xffff, v0
	v_lshrrev_b32_e32 v0, 16, v0
	;;#ASMSTART
	v_cvt_f32_f16 v86, v10;
	;;#ASMEND
	;;#ASMSTART
	v_cvt_f32_f16 v87, v0;
	;;#ASMEND
	flat_load_b64 v[10:11], v[8:9] offset:1280
	flat_load_b32 v96, v[26:27]
	v_mov_b32_e32 v98, 0
	s_mov_b32 s12, exec_lo
	s_wait_loadcnt_dscnt 0x101
	v_and_b32_e32 v0, 0xff, v10
	s_delay_alu instid0(VALU_DEP_1)
	v_cmpx_ne_u16_e32 0, v0
	s_cbranch_execz .LBB307_1393
; %bb.1386:                             ;   in Loop: Header=BB307_1055 Depth=1
	v_mov_b32_e32 v98, 0x8000
	s_mov_b32 s13, exec_lo
	v_cmpx_ne_u16_e32 0x80, v0
	s_cbranch_execz .LBB307_1392
; %bb.1387:                             ;   in Loop: Header=BB307_1055 Depth=1
	v_and_b32_e32 v99, 0x7f, v10
	v_mov_b32_e32 v98, 0x7c01
	s_mov_b32 s14, exec_lo
	s_delay_alu instid0(VALU_DEP_2)
	v_cmpx_ne_u32_e32 0x7f, v99
	s_cbranch_execz .LBB307_1391
; %bb.1388:                             ;   in Loop: Header=BB307_1055 Depth=1
	v_and_b32_e32 v0, 7, v10
	v_lshrrev_b32_e32 v98, 3, v99
	s_mov_b32 s15, exec_lo
	v_cmpx_gt_u32_e32 8, v99
; %bb.1389:                             ;   in Loop: Header=BB307_1055 Depth=1
	s_delay_alu instid0(VALU_DEP_3) | instskip(NEXT) | instid1(VALU_DEP_1)
	v_clz_i32_u32_e32 v0, v0
	v_min_u32_e32 v0, 32, v0
	s_delay_alu instid0(VALU_DEP_1) | instskip(NEXT) | instid1(VALU_DEP_1)
	v_subrev_nc_u32_e32 v98, 28, v0
	v_lshlrev_b64_e32 v[99:100], v98, v[10:11]
	v_sub_nc_u32_e32 v98, 29, v0
	s_delay_alu instid0(VALU_DEP_2)
	v_and_b32_e32 v0, 7, v99
; %bb.1390:                             ;   in Loop: Header=BB307_1055 Depth=1
	s_wait_alu 0xfffe
	s_or_b32 exec_lo, exec_lo, s15
	v_lshlrev_b32_e32 v99, 8, v10
	v_lshl_add_u32 v98, v98, 10, 0x2000
	v_lshlrev_b32_e32 v0, 7, v0
	s_delay_alu instid0(VALU_DEP_3) | instskip(NEXT) | instid1(VALU_DEP_3)
	v_and_b32_e32 v99, 0x8000, v99
	v_and_b32_e32 v98, 0xfc00, v98
	s_delay_alu instid0(VALU_DEP_1)
	v_or3_b32 v98, v99, v98, v0
.LBB307_1391:                           ;   in Loop: Header=BB307_1055 Depth=1
	s_wait_alu 0xfffe
	s_or_b32 exec_lo, exec_lo, s14
.LBB307_1392:                           ;   in Loop: Header=BB307_1055 Depth=1
	s_wait_alu 0xfffe
	s_or_b32 exec_lo, exec_lo, s13
.LBB307_1393:                           ;   in Loop: Header=BB307_1055 Depth=1
	s_wait_alu 0xfffe
	s_or_b32 exec_lo, exec_lo, s12
	v_lshrrev_b16 v0, 8, v10
	s_mov_b32 s12, exec_lo
	s_delay_alu instid0(VALU_DEP_1)
	v_cmpx_ne_u16_e32 0, v0
	s_cbranch_execz .LBB307_1401
; %bb.1394:                             ;   in Loop: Header=BB307_1055 Depth=1
	v_bfrev_b32_e32 v97, 1
	s_mov_b32 s13, exec_lo
	v_cmpx_ne_u16_e32 0x80, v0
	s_cbranch_execz .LBB307_1400
; %bb.1395:                             ;   in Loop: Header=BB307_1055 Depth=1
	v_and_b32_e32 v99, 0xffff, v0
	v_mov_b32_e32 v97, 0x7c010000
	s_mov_b32 s14, exec_lo
	s_delay_alu instid0(VALU_DEP_2) | instskip(NEXT) | instid1(VALU_DEP_1)
	v_and_b32_e32 v101, 0x7f, v99
	v_cmpx_ne_u32_e32 0x7f, v101
	s_cbranch_execz .LBB307_1399
; %bb.1396:                             ;   in Loop: Header=BB307_1055 Depth=1
	v_and_b32_e32 v97, 7, v99
	v_lshrrev_b32_e32 v100, 3, v101
	s_mov_b32 s15, exec_lo
	v_cmpx_gt_u32_e32 8, v101
; %bb.1397:                             ;   in Loop: Header=BB307_1055 Depth=1
	s_delay_alu instid0(VALU_DEP_3) | instskip(NEXT) | instid1(VALU_DEP_1)
	v_clz_i32_u32_e32 v97, v97
	v_min_u32_e32 v97, 32, v97
	s_delay_alu instid0(VALU_DEP_1) | instskip(NEXT) | instid1(VALU_DEP_1)
	v_subrev_nc_u32_e32 v100, 28, v97
	v_lshlrev_b64_e32 v[101:102], v100, v[0:1]
	v_sub_nc_u32_e32 v100, 29, v97
	s_delay_alu instid0(VALU_DEP_2)
	v_and_b32_e32 v97, 7, v101
; %bb.1398:                             ;   in Loop: Header=BB307_1055 Depth=1
	s_wait_alu 0xfffe
	s_or_b32 exec_lo, exec_lo, s15
	v_lshlrev_b32_e32 v0, 8, v99
	v_lshl_add_u32 v99, v100, 10, 0x2000
	v_lshlrev_b32_e32 v97, 23, v97
	s_delay_alu instid0(VALU_DEP_2) | instskip(NEXT) | instid1(VALU_DEP_1)
	v_and_or_b32 v0, 0x8000, v0, v99
	v_lshl_or_b32 v97, v0, 16, v97
.LBB307_1399:                           ;   in Loop: Header=BB307_1055 Depth=1
	s_wait_alu 0xfffe
	s_or_b32 exec_lo, exec_lo, s14
.LBB307_1400:                           ;   in Loop: Header=BB307_1055 Depth=1
	s_wait_alu 0xfffe
	s_or_b32 exec_lo, exec_lo, s13
.LBB307_1401:                           ;   in Loop: Header=BB307_1055 Depth=1
	s_wait_alu 0xfffe
	s_or_b32 exec_lo, exec_lo, s12
	v_lshrrev_b32_e32 v0, 16, v10
	v_mov_b32_e32 v99, 0
	s_mov_b32 s12, exec_lo
	s_delay_alu instid0(VALU_DEP_2) | instskip(NEXT) | instid1(VALU_DEP_1)
	v_dual_mov_b32 v100, 0 :: v_dual_and_b32 v101, 0xff, v0
	v_cmpx_ne_u16_e32 0, v101
	s_cbranch_execz .LBB307_1409
; %bb.1402:                             ;   in Loop: Header=BB307_1055 Depth=1
	v_mov_b32_e32 v100, 0x8000
	s_mov_b32 s13, exec_lo
	v_cmpx_ne_u16_e32 0x80, v101
	s_cbranch_execz .LBB307_1408
; %bb.1403:                             ;   in Loop: Header=BB307_1055 Depth=1
	v_bfe_u32 v102, v10, 16, 7
	v_mov_b32_e32 v100, 0x7c01
	s_mov_b32 s14, exec_lo
	s_delay_alu instid0(VALU_DEP_2)
	v_cmpx_ne_u32_e32 0x7f, v102
	s_cbranch_execz .LBB307_1407
; %bb.1404:                             ;   in Loop: Header=BB307_1055 Depth=1
	v_and_b32_e32 v100, 7, v0
	v_lshrrev_b32_e32 v101, 3, v102
	s_mov_b32 s15, exec_lo
	v_cmpx_gt_u32_e32 8, v102
; %bb.1405:                             ;   in Loop: Header=BB307_1055 Depth=1
	s_delay_alu instid0(VALU_DEP_3) | instskip(NEXT) | instid1(VALU_DEP_1)
	v_clz_i32_u32_e32 v100, v100
	v_min_u32_e32 v102, 32, v100
	s_delay_alu instid0(VALU_DEP_1) | instskip(NEXT) | instid1(VALU_DEP_1)
	v_subrev_nc_u32_e32 v100, 28, v102
	v_lshlrev_b64_e32 v[100:101], v100, v[0:1]
	v_sub_nc_u32_e32 v101, 29, v102
	s_delay_alu instid0(VALU_DEP_2)
	v_and_b32_e32 v100, 7, v100
; %bb.1406:                             ;   in Loop: Header=BB307_1055 Depth=1
	s_wait_alu 0xfffe
	s_or_b32 exec_lo, exec_lo, s15
	v_lshlrev_b32_e32 v0, 8, v0
	v_lshl_add_u32 v101, v101, 10, 0x2000
	v_lshlrev_b32_e32 v100, 7, v100
	s_delay_alu instid0(VALU_DEP_3) | instskip(NEXT) | instid1(VALU_DEP_3)
	v_and_b32_e32 v0, 0x8000, v0
	v_and_b32_e32 v101, 0xfc00, v101
	s_delay_alu instid0(VALU_DEP_1)
	v_or3_b32 v100, v0, v101, v100
.LBB307_1407:                           ;   in Loop: Header=BB307_1055 Depth=1
	s_wait_alu 0xfffe
	s_or_b32 exec_lo, exec_lo, s14
.LBB307_1408:                           ;   in Loop: Header=BB307_1055 Depth=1
	s_wait_alu 0xfffe
	s_or_b32 exec_lo, exec_lo, s13
.LBB307_1409:                           ;   in Loop: Header=BB307_1055 Depth=1
	s_wait_alu 0xfffe
	s_or_b32 exec_lo, exec_lo, s12
	s_delay_alu instid0(SALU_CYCLE_1)
	s_mov_b32 s12, exec_lo
	v_cmpx_lt_u32_e32 0xffffff, v10
	s_cbranch_execz .LBB307_1417
; %bb.1410:                             ;   in Loop: Header=BB307_1055 Depth=1
	v_lshrrev_b32_e32 v0, 24, v10
	v_bfrev_b32_e32 v99, 1
	s_mov_b32 s13, exec_lo
	s_delay_alu instid0(VALU_DEP_2)
	v_cmpx_ne_u32_e32 0x80, v0
	s_cbranch_execz .LBB307_1416
; %bb.1411:                             ;   in Loop: Header=BB307_1055 Depth=1
	v_and_b32_e32 v102, 0x7f, v0
	v_mov_b32_e32 v99, 0x7c010000
	s_mov_b32 s14, exec_lo
	s_delay_alu instid0(VALU_DEP_2)
	v_cmpx_ne_u32_e32 0x7f, v102
	s_cbranch_execz .LBB307_1415
; %bb.1412:                             ;   in Loop: Header=BB307_1055 Depth=1
	v_and_b32_e32 v99, 7, v0
	v_lshrrev_b32_e32 v101, 3, v102
	s_mov_b32 s15, exec_lo
	v_cmpx_gt_u32_e32 8, v102
; %bb.1413:                             ;   in Loop: Header=BB307_1055 Depth=1
	s_delay_alu instid0(VALU_DEP_3) | instskip(NEXT) | instid1(VALU_DEP_1)
	v_clz_i32_u32_e32 v99, v99
	v_min_u32_e32 v99, 32, v99
	s_delay_alu instid0(VALU_DEP_1) | instskip(NEXT) | instid1(VALU_DEP_1)
	v_subrev_nc_u32_e32 v101, 28, v99
	v_lshlrev_b64_e32 v[102:103], v101, v[0:1]
	v_sub_nc_u32_e32 v101, 29, v99
	s_delay_alu instid0(VALU_DEP_2)
	v_and_b32_e32 v99, 7, v102
; %bb.1414:                             ;   in Loop: Header=BB307_1055 Depth=1
	s_wait_alu 0xfffe
	s_or_b32 exec_lo, exec_lo, s15
	v_lshlrev_b32_e32 v0, 8, v0
	v_lshl_add_u32 v101, v101, 10, 0x2000
	v_lshlrev_b32_e32 v99, 23, v99
	s_delay_alu instid0(VALU_DEP_2) | instskip(NEXT) | instid1(VALU_DEP_1)
	v_and_or_b32 v0, 0x8000, v0, v101
	v_lshl_or_b32 v99, v0, 16, v99
.LBB307_1415:                           ;   in Loop: Header=BB307_1055 Depth=1
	s_wait_alu 0xfffe
	s_or_b32 exec_lo, exec_lo, s14
.LBB307_1416:                           ;   in Loop: Header=BB307_1055 Depth=1
	s_wait_alu 0xfffe
	s_or_b32 exec_lo, exec_lo, s13
.LBB307_1417:                           ;   in Loop: Header=BB307_1055 Depth=1
	s_wait_alu 0xfffe
	s_or_b32 exec_lo, exec_lo, s12
	v_dual_mov_b32 v0, v11 :: v_dual_and_b32 v103, 0xff, v11
	v_dual_mov_b32 v101, 0 :: v_dual_mov_b32 v102, 0
	s_mov_b32 s12, exec_lo
	s_delay_alu instid0(VALU_DEP_2)
	v_cmpx_ne_u16_e32 0, v103
	s_cbranch_execz .LBB307_1425
; %bb.1418:                             ;   in Loop: Header=BB307_1055 Depth=1
	v_mov_b32_e32 v102, 0x8000
	s_mov_b32 s13, exec_lo
	v_cmpx_ne_u16_e32 0x80, v103
	s_cbranch_execz .LBB307_1424
; %bb.1419:                             ;   in Loop: Header=BB307_1055 Depth=1
	v_and_b32_e32 v112, 0x7f, v11
	v_mov_b32_e32 v102, 0x7c01
	s_mov_b32 s14, exec_lo
	s_delay_alu instid0(VALU_DEP_2)
	v_cmpx_ne_u32_e32 0x7f, v112
	s_cbranch_execz .LBB307_1423
; %bb.1420:                             ;   in Loop: Header=BB307_1055 Depth=1
	v_and_b32_e32 v102, 7, v11
	v_lshrrev_b32_e32 v103, 3, v112
	s_mov_b32 s15, exec_lo
	v_cmpx_gt_u32_e32 8, v112
; %bb.1421:                             ;   in Loop: Header=BB307_1055 Depth=1
	s_delay_alu instid0(VALU_DEP_3) | instskip(NEXT) | instid1(VALU_DEP_1)
	v_clz_i32_u32_e32 v102, v102
	v_min_u32_e32 v112, 32, v102
	s_delay_alu instid0(VALU_DEP_1) | instskip(NEXT) | instid1(VALU_DEP_1)
	v_subrev_nc_u32_e32 v102, 28, v112
	v_lshlrev_b64_e32 v[102:103], v102, v[0:1]
	v_sub_nc_u32_e32 v103, 29, v112
	s_delay_alu instid0(VALU_DEP_2)
	v_and_b32_e32 v102, 7, v102
; %bb.1422:                             ;   in Loop: Header=BB307_1055 Depth=1
	s_wait_alu 0xfffe
	s_or_b32 exec_lo, exec_lo, s15
	v_lshlrev_b32_e32 v112, 8, v11
	v_lshl_add_u32 v103, v103, 10, 0x2000
	v_lshlrev_b32_e32 v102, 7, v102
	s_delay_alu instid0(VALU_DEP_3) | instskip(NEXT) | instid1(VALU_DEP_3)
	v_and_b32_e32 v112, 0x8000, v112
	v_and_b32_e32 v103, 0xfc00, v103
	s_delay_alu instid0(VALU_DEP_1)
	v_or3_b32 v102, v112, v103, v102
.LBB307_1423:                           ;   in Loop: Header=BB307_1055 Depth=1
	s_wait_alu 0xfffe
	s_or_b32 exec_lo, exec_lo, s14
.LBB307_1424:                           ;   in Loop: Header=BB307_1055 Depth=1
	s_wait_alu 0xfffe
	s_or_b32 exec_lo, exec_lo, s13
.LBB307_1425:                           ;   in Loop: Header=BB307_1055 Depth=1
	s_wait_alu 0xfffe
	s_or_b32 exec_lo, exec_lo, s12
	v_lshrrev_b16 v0, 8, v0
	v_mov_b32_e32 v103, 0
	s_mov_b32 s12, exec_lo
	s_delay_alu instid0(VALU_DEP_2)
	v_cmpx_ne_u16_e32 0, v0
	s_cbranch_execz .LBB307_1433
; %bb.1426:                             ;   in Loop: Header=BB307_1055 Depth=1
	v_bfrev_b32_e32 v103, 1
	s_mov_b32 s13, exec_lo
	v_cmpx_ne_u16_e32 0x80, v0
	s_cbranch_execz .LBB307_1432
; %bb.1427:                             ;   in Loop: Header=BB307_1055 Depth=1
	v_and_b32_e32 v112, 0xffff, v0
	v_mov_b32_e32 v103, 0x7c010000
	s_mov_b32 s14, exec_lo
	s_delay_alu instid0(VALU_DEP_2) | instskip(NEXT) | instid1(VALU_DEP_1)
	v_and_b32_e32 v114, 0x7f, v112
	v_cmpx_ne_u32_e32 0x7f, v114
	s_cbranch_execz .LBB307_1431
; %bb.1428:                             ;   in Loop: Header=BB307_1055 Depth=1
	v_and_b32_e32 v103, 7, v112
	v_lshrrev_b32_e32 v113, 3, v114
	s_mov_b32 s15, exec_lo
	v_cmpx_gt_u32_e32 8, v114
; %bb.1429:                             ;   in Loop: Header=BB307_1055 Depth=1
	s_delay_alu instid0(VALU_DEP_3) | instskip(NEXT) | instid1(VALU_DEP_1)
	v_clz_i32_u32_e32 v103, v103
	v_min_u32_e32 v103, 32, v103
	s_delay_alu instid0(VALU_DEP_1) | instskip(NEXT) | instid1(VALU_DEP_1)
	v_subrev_nc_u32_e32 v113, 28, v103
	v_lshlrev_b64_e32 v[114:115], v113, v[0:1]
	v_sub_nc_u32_e32 v113, 29, v103
	s_delay_alu instid0(VALU_DEP_2)
	v_and_b32_e32 v103, 7, v114
; %bb.1430:                             ;   in Loop: Header=BB307_1055 Depth=1
	s_wait_alu 0xfffe
	s_or_b32 exec_lo, exec_lo, s15
	v_lshlrev_b32_e32 v0, 8, v112
	v_lshl_add_u32 v112, v113, 10, 0x2000
	v_lshlrev_b32_e32 v103, 23, v103
	s_delay_alu instid0(VALU_DEP_2) | instskip(NEXT) | instid1(VALU_DEP_1)
	v_and_or_b32 v0, 0x8000, v0, v112
	v_lshl_or_b32 v103, v0, 16, v103
.LBB307_1431:                           ;   in Loop: Header=BB307_1055 Depth=1
	s_wait_alu 0xfffe
	s_or_b32 exec_lo, exec_lo, s14
.LBB307_1432:                           ;   in Loop: Header=BB307_1055 Depth=1
	s_wait_alu 0xfffe
	s_or_b32 exec_lo, exec_lo, s13
.LBB307_1433:                           ;   in Loop: Header=BB307_1055 Depth=1
	s_wait_alu 0xfffe
	s_or_b32 exec_lo, exec_lo, s12
	v_lshrrev_b32_e32 v0, 16, v11
	s_mov_b32 s12, exec_lo
	s_delay_alu instid0(VALU_DEP_1) | instskip(NEXT) | instid1(VALU_DEP_1)
	v_and_b32_e32 v112, 0xff, v0
	v_cmpx_ne_u16_e32 0, v112
	s_cbranch_execz .LBB307_1441
; %bb.1434:                             ;   in Loop: Header=BB307_1055 Depth=1
	v_mov_b32_e32 v101, 0x8000
	s_mov_b32 s13, exec_lo
	v_cmpx_ne_u16_e32 0x80, v112
	s_cbranch_execz .LBB307_1440
; %bb.1435:                             ;   in Loop: Header=BB307_1055 Depth=1
	v_bfe_u32 v113, v11, 16, 7
	v_mov_b32_e32 v101, 0x7c01
	s_mov_b32 s14, exec_lo
	s_delay_alu instid0(VALU_DEP_2)
	v_cmpx_ne_u32_e32 0x7f, v113
	s_cbranch_execz .LBB307_1439
; %bb.1436:                             ;   in Loop: Header=BB307_1055 Depth=1
	v_and_b32_e32 v101, 7, v0
	v_lshrrev_b32_e32 v112, 3, v113
	s_mov_b32 s15, exec_lo
	v_cmpx_gt_u32_e32 8, v113
; %bb.1437:                             ;   in Loop: Header=BB307_1055 Depth=1
	s_delay_alu instid0(VALU_DEP_3) | instskip(NEXT) | instid1(VALU_DEP_1)
	v_clz_i32_u32_e32 v101, v101
	v_min_u32_e32 v101, 32, v101
	s_delay_alu instid0(VALU_DEP_1) | instskip(NEXT) | instid1(VALU_DEP_1)
	v_subrev_nc_u32_e32 v112, 28, v101
	v_lshlrev_b64_e32 v[113:114], v112, v[0:1]
	v_sub_nc_u32_e32 v112, 29, v101
	s_delay_alu instid0(VALU_DEP_2)
	v_and_b32_e32 v101, 7, v113
; %bb.1438:                             ;   in Loop: Header=BB307_1055 Depth=1
	s_wait_alu 0xfffe
	s_or_b32 exec_lo, exec_lo, s15
	v_lshlrev_b32_e32 v0, 8, v0
	v_lshl_add_u32 v112, v112, 10, 0x2000
	v_lshlrev_b32_e32 v101, 7, v101
	s_delay_alu instid0(VALU_DEP_3) | instskip(NEXT) | instid1(VALU_DEP_3)
	v_and_b32_e32 v0, 0x8000, v0
	v_and_b32_e32 v112, 0xfc00, v112
	s_delay_alu instid0(VALU_DEP_1)
	v_or3_b32 v101, v0, v112, v101
.LBB307_1439:                           ;   in Loop: Header=BB307_1055 Depth=1
	s_wait_alu 0xfffe
	s_or_b32 exec_lo, exec_lo, s14
.LBB307_1440:                           ;   in Loop: Header=BB307_1055 Depth=1
	s_wait_alu 0xfffe
	s_or_b32 exec_lo, exec_lo, s13
.LBB307_1441:                           ;   in Loop: Header=BB307_1055 Depth=1
	s_wait_alu 0xfffe
	s_or_b32 exec_lo, exec_lo, s12
	v_cmp_lt_u64_e64 s0, s[8:9], v[10:11]
	v_mov_b32_e32 v10, 0
	s_and_saveexec_b32 s12, s0
	s_cbranch_execz .LBB307_1449
; %bb.1442:                             ;   in Loop: Header=BB307_1055 Depth=1
	v_lshrrev_b32_e32 v0, 24, v11
	v_bfrev_b32_e32 v10, 1
	s_mov_b32 s13, exec_lo
	s_delay_alu instid0(VALU_DEP_2)
	v_cmpx_ne_u32_e32 0x80, v0
	s_cbranch_execz .LBB307_1448
; %bb.1443:                             ;   in Loop: Header=BB307_1055 Depth=1
	v_and_b32_e32 v112, 0x7f, v0
	v_mov_b32_e32 v10, 0x7c010000
	s_mov_b32 s14, exec_lo
	s_delay_alu instid0(VALU_DEP_2)
	v_cmpx_ne_u32_e32 0x7f, v112
	s_cbranch_execz .LBB307_1447
; %bb.1444:                             ;   in Loop: Header=BB307_1055 Depth=1
	v_and_b32_e32 v10, 7, v0
	v_lshrrev_b32_e32 v11, 3, v112
	s_mov_b32 s15, exec_lo
	v_cmpx_gt_u32_e32 8, v112
; %bb.1445:                             ;   in Loop: Header=BB307_1055 Depth=1
	s_delay_alu instid0(VALU_DEP_3) | instskip(NEXT) | instid1(VALU_DEP_1)
	v_clz_i32_u32_e32 v10, v10
	v_min_u32_e32 v112, 32, v10
	s_delay_alu instid0(VALU_DEP_1) | instskip(NEXT) | instid1(VALU_DEP_1)
	v_subrev_nc_u32_e32 v10, 28, v112
	v_lshlrev_b64_e32 v[10:11], v10, v[0:1]
	v_sub_nc_u32_e32 v11, 29, v112
	s_delay_alu instid0(VALU_DEP_2)
	v_and_b32_e32 v10, 7, v10
; %bb.1446:                             ;   in Loop: Header=BB307_1055 Depth=1
	s_wait_alu 0xfffe
	s_or_b32 exec_lo, exec_lo, s15
	v_lshlrev_b32_e32 v0, 8, v0
	v_lshl_add_u32 v11, v11, 10, 0x2000
	v_lshlrev_b32_e32 v10, 23, v10
	s_delay_alu instid0(VALU_DEP_2) | instskip(NEXT) | instid1(VALU_DEP_1)
	v_and_or_b32 v0, 0x8000, v0, v11
	v_lshl_or_b32 v10, v0, 16, v10
.LBB307_1447:                           ;   in Loop: Header=BB307_1055 Depth=1
	s_wait_alu 0xfffe
	s_or_b32 exec_lo, exec_lo, s14
.LBB307_1448:                           ;   in Loop: Header=BB307_1055 Depth=1
	s_wait_alu 0xfffe
	s_or_b32 exec_lo, exec_lo, s13
.LBB307_1449:                           ;   in Loop: Header=BB307_1055 Depth=1
	s_wait_alu 0xfffe
	s_or_b32 exec_lo, exec_lo, s12
	v_or_b32_e32 v0, v99, v100
	s_wait_loadcnt_dscnt 0x0
	v_fma_mixlo_f16 v11, v96, v99, 0 op_sel:[0,1,0] op_sel_hi:[0,1,0]
	v_or_b32_e32 v99, v97, v98
	v_fma_mixlo_f16 v97, v96, v97, 0 op_sel:[0,1,0] op_sel_hi:[0,1,0]
	v_or_b32_e32 v100, v103, v102
	v_or_b32_e32 v101, v10, v101
	v_fma_mixlo_f16 v102, v96, v0, 0 op_sel_hi:[0,1,0]
	v_fma_mixlo_f16 v10, v96, v10, 0 op_sel:[0,1,0] op_sel_hi:[0,1,0]
	v_lshlrev_b32_e32 v98, 16, v97
	v_fma_mixlo_f16 v97, v96, v99, 0 op_sel_hi:[0,1,0]
	v_fma_mixlo_f16 v99, v96, v103, 0 op_sel:[0,1,0] op_sel_hi:[0,1,0]
	v_fma_mixlo_f16 v100, v96, v100, 0 op_sel_hi:[0,1,0]
	v_fma_mixlo_f16 v101, v96, v101, 0 op_sel_hi:[0,1,0]
	v_lshlrev_b32_e32 v0, 16, v11
	v_and_b32_e32 v11, 0xffff, v102
	v_and_b32_e32 v112, 0xffff, v97
	v_lshlrev_b32_e32 v96, 16, v99
	v_and_b32_e32 v100, 0xffff, v100
	v_lshlrev_b32_e32 v10, 16, v10
	v_and_b32_e32 v97, 0xffff, v101
	v_or_b32_e32 v99, v0, v11
	v_or_b32_e32 v103, v98, v112
	v_or_b32_e32 v102, v96, v100
	s_delay_alu instid0(VALU_DEP_4)
	v_or_b32_e32 v101, v10, v97
	s_and_saveexec_b32 s12, vcc_lo
	s_cbranch_execz .LBB307_1451
; %bb.1450:                             ;   in Loop: Header=BB307_1055 Depth=1
	v_cmp_lt_i32_e64 s0, v35, v32
	s_wait_alu 0xf1ff
	s_delay_alu instid0(VALU_DEP_1) | instskip(SKIP_2) | instid1(VALU_DEP_1)
	v_cndmask_b32_e64 v99, 0, v112, s0
	v_cmp_lt_i32_e64 s0, v71, v32
	s_wait_alu 0xf1ff
	v_cndmask_b32_e64 v98, 0, v98, s0
	v_cmp_lt_i32_e64 s0, v70, v32
	s_delay_alu instid0(VALU_DEP_2) | instskip(SKIP_1) | instid1(VALU_DEP_2)
	v_or_b32_e32 v103, v99, v98
	s_wait_alu 0xf1ff
	v_cndmask_b32_e64 v11, 0, v11, s0
	v_cmp_lt_i32_e64 s0, v69, v32
	s_wait_alu 0xf1ff
	s_delay_alu instid0(VALU_DEP_1) | instskip(SKIP_1) | instid1(VALU_DEP_2)
	v_cndmask_b32_e64 v0, 0, v0, s0
	v_cmp_lt_i32_e64 s0, v68, v32
	v_or_b32_e32 v99, v11, v0
	s_wait_alu 0xf1ff
	s_delay_alu instid0(VALU_DEP_2) | instskip(SKIP_2) | instid1(VALU_DEP_1)
	v_cndmask_b32_e64 v100, 0, v100, s0
	v_cmp_lt_i32_e64 s0, v67, v32
	s_wait_alu 0xf1ff
	v_cndmask_b32_e64 v96, 0, v96, s0
	v_cmp_lt_i32_e64 s0, v66, v32
	s_delay_alu instid0(VALU_DEP_2) | instskip(SKIP_1) | instid1(VALU_DEP_2)
	v_or_b32_e32 v102, v100, v96
	s_wait_alu 0xf1ff
	v_cndmask_b32_e64 v97, 0, v97, s0
	v_cmp_lt_i32_e64 s0, v14, v32
	s_wait_alu 0xf1ff
	s_delay_alu instid0(VALU_DEP_1) | instskip(NEXT) | instid1(VALU_DEP_1)
	v_cndmask_b32_e64 v10, 0, v10, s0
	v_or_b32_e32 v101, v97, v10
.LBB307_1451:                           ;   in Loop: Header=BB307_1055 Depth=1
	s_wait_alu 0xfffe
	s_or_b32 exec_lo, exec_lo, s12
	;;#ASMSTART
	v_pk_mul_f16 v0, v64, v103;

	;;#ASMEND
	;;#ASMSTART
	v_pk_mul_f16 v10, v54, v99;

	;;#ASMEND
	;; [unrolled: 4-line block ×4, first 2 shown]
	;;#ASMSTART
	v_pk_add_f16 v0, v0, v10;

	;;#ASMEND
	;;#ASMSTART
	v_pk_add_f16 v0, v0, v11;

	;;#ASMEND
	;; [unrolled: 4-line block ×3, first 2 shown]
	v_dual_mov_b32 v99, 0 :: v_dual_and_b32 v10, 0xffff, v0
	v_lshrrev_b32_e32 v0, 16, v0
	;;#ASMSTART
	v_cvt_f32_f16 v96, v10;
	;;#ASMEND
	;;#ASMSTART
	v_cvt_f32_f16 v97, v0;
	;;#ASMEND
	flat_load_b64 v[10:11], v[8:9] offset:1536
	flat_load_b32 v98, v[26:27]
	v_mov_b32_e32 v100, 0
	s_mov_b32 s12, exec_lo
	s_wait_loadcnt_dscnt 0x101
	v_and_b32_e32 v0, 0xff, v10
	s_delay_alu instid0(VALU_DEP_1)
	v_cmpx_ne_u16_e32 0, v0
	s_cbranch_execz .LBB307_1459
; %bb.1452:                             ;   in Loop: Header=BB307_1055 Depth=1
	v_mov_b32_e32 v100, 0x8000
	s_mov_b32 s13, exec_lo
	v_cmpx_ne_u16_e32 0x80, v0
	s_cbranch_execz .LBB307_1458
; %bb.1453:                             ;   in Loop: Header=BB307_1055 Depth=1
	v_and_b32_e32 v101, 0x7f, v10
	v_mov_b32_e32 v100, 0x7c01
	s_mov_b32 s14, exec_lo
	s_delay_alu instid0(VALU_DEP_2)
	v_cmpx_ne_u32_e32 0x7f, v101
	s_cbranch_execz .LBB307_1457
; %bb.1454:                             ;   in Loop: Header=BB307_1055 Depth=1
	v_and_b32_e32 v0, 7, v10
	v_lshrrev_b32_e32 v100, 3, v101
	s_mov_b32 s15, exec_lo
	v_cmpx_gt_u32_e32 8, v101
; %bb.1455:                             ;   in Loop: Header=BB307_1055 Depth=1
	s_delay_alu instid0(VALU_DEP_3) | instskip(NEXT) | instid1(VALU_DEP_1)
	v_clz_i32_u32_e32 v0, v0
	v_min_u32_e32 v0, 32, v0
	s_delay_alu instid0(VALU_DEP_1) | instskip(NEXT) | instid1(VALU_DEP_1)
	v_subrev_nc_u32_e32 v100, 28, v0
	v_lshlrev_b64_e32 v[101:102], v100, v[10:11]
	v_sub_nc_u32_e32 v100, 29, v0
	s_delay_alu instid0(VALU_DEP_2)
	v_and_b32_e32 v0, 7, v101
; %bb.1456:                             ;   in Loop: Header=BB307_1055 Depth=1
	s_wait_alu 0xfffe
	s_or_b32 exec_lo, exec_lo, s15
	v_lshlrev_b32_e32 v101, 8, v10
	v_lshl_add_u32 v100, v100, 10, 0x2000
	v_lshlrev_b32_e32 v0, 7, v0
	s_delay_alu instid0(VALU_DEP_3) | instskip(NEXT) | instid1(VALU_DEP_3)
	v_and_b32_e32 v101, 0x8000, v101
	v_and_b32_e32 v100, 0xfc00, v100
	s_delay_alu instid0(VALU_DEP_1)
	v_or3_b32 v100, v101, v100, v0
.LBB307_1457:                           ;   in Loop: Header=BB307_1055 Depth=1
	s_wait_alu 0xfffe
	s_or_b32 exec_lo, exec_lo, s14
.LBB307_1458:                           ;   in Loop: Header=BB307_1055 Depth=1
	s_wait_alu 0xfffe
	s_or_b32 exec_lo, exec_lo, s13
.LBB307_1459:                           ;   in Loop: Header=BB307_1055 Depth=1
	s_wait_alu 0xfffe
	s_or_b32 exec_lo, exec_lo, s12
	v_lshrrev_b16 v0, 8, v10
	s_mov_b32 s12, exec_lo
	s_delay_alu instid0(VALU_DEP_1)
	v_cmpx_ne_u16_e32 0, v0
	s_cbranch_execz .LBB307_1467
; %bb.1460:                             ;   in Loop: Header=BB307_1055 Depth=1
	v_bfrev_b32_e32 v99, 1
	s_mov_b32 s13, exec_lo
	v_cmpx_ne_u16_e32 0x80, v0
	s_cbranch_execz .LBB307_1466
; %bb.1461:                             ;   in Loop: Header=BB307_1055 Depth=1
	v_and_b32_e32 v101, 0xffff, v0
	v_mov_b32_e32 v99, 0x7c010000
	s_mov_b32 s14, exec_lo
	s_delay_alu instid0(VALU_DEP_2) | instskip(NEXT) | instid1(VALU_DEP_1)
	v_and_b32_e32 v103, 0x7f, v101
	v_cmpx_ne_u32_e32 0x7f, v103
	s_cbranch_execz .LBB307_1465
; %bb.1462:                             ;   in Loop: Header=BB307_1055 Depth=1
	v_and_b32_e32 v99, 7, v101
	v_lshrrev_b32_e32 v102, 3, v103
	s_mov_b32 s15, exec_lo
	v_cmpx_gt_u32_e32 8, v103
; %bb.1463:                             ;   in Loop: Header=BB307_1055 Depth=1
	s_delay_alu instid0(VALU_DEP_3) | instskip(NEXT) | instid1(VALU_DEP_1)
	v_clz_i32_u32_e32 v99, v99
	v_min_u32_e32 v99, 32, v99
	s_delay_alu instid0(VALU_DEP_1) | instskip(NEXT) | instid1(VALU_DEP_1)
	v_subrev_nc_u32_e32 v102, 28, v99
	v_lshlrev_b64_e32 v[112:113], v102, v[0:1]
	v_sub_nc_u32_e32 v102, 29, v99
	s_delay_alu instid0(VALU_DEP_2)
	v_and_b32_e32 v99, 7, v112
; %bb.1464:                             ;   in Loop: Header=BB307_1055 Depth=1
	s_wait_alu 0xfffe
	s_or_b32 exec_lo, exec_lo, s15
	v_lshlrev_b32_e32 v0, 8, v101
	v_lshl_add_u32 v101, v102, 10, 0x2000
	v_lshlrev_b32_e32 v99, 23, v99
	s_delay_alu instid0(VALU_DEP_2) | instskip(NEXT) | instid1(VALU_DEP_1)
	v_and_or_b32 v0, 0x8000, v0, v101
	v_lshl_or_b32 v99, v0, 16, v99
.LBB307_1465:                           ;   in Loop: Header=BB307_1055 Depth=1
	s_wait_alu 0xfffe
	s_or_b32 exec_lo, exec_lo, s14
.LBB307_1466:                           ;   in Loop: Header=BB307_1055 Depth=1
	s_wait_alu 0xfffe
	s_or_b32 exec_lo, exec_lo, s13
.LBB307_1467:                           ;   in Loop: Header=BB307_1055 Depth=1
	s_wait_alu 0xfffe
	s_or_b32 exec_lo, exec_lo, s12
	v_lshrrev_b32_e32 v0, 16, v10
	v_mov_b32_e32 v101, 0
	s_mov_b32 s12, exec_lo
	s_delay_alu instid0(VALU_DEP_2) | instskip(NEXT) | instid1(VALU_DEP_1)
	v_dual_mov_b32 v102, 0 :: v_dual_and_b32 v103, 0xff, v0
	v_cmpx_ne_u16_e32 0, v103
	s_cbranch_execz .LBB307_1475
; %bb.1468:                             ;   in Loop: Header=BB307_1055 Depth=1
	v_mov_b32_e32 v102, 0x8000
	s_mov_b32 s13, exec_lo
	v_cmpx_ne_u16_e32 0x80, v103
	s_cbranch_execz .LBB307_1474
; %bb.1469:                             ;   in Loop: Header=BB307_1055 Depth=1
	v_bfe_u32 v112, v10, 16, 7
	v_mov_b32_e32 v102, 0x7c01
	s_mov_b32 s14, exec_lo
	s_delay_alu instid0(VALU_DEP_2)
	v_cmpx_ne_u32_e32 0x7f, v112
	s_cbranch_execz .LBB307_1473
; %bb.1470:                             ;   in Loop: Header=BB307_1055 Depth=1
	v_and_b32_e32 v102, 7, v0
	v_lshrrev_b32_e32 v103, 3, v112
	s_mov_b32 s15, exec_lo
	v_cmpx_gt_u32_e32 8, v112
; %bb.1471:                             ;   in Loop: Header=BB307_1055 Depth=1
	s_delay_alu instid0(VALU_DEP_3) | instskip(NEXT) | instid1(VALU_DEP_1)
	v_clz_i32_u32_e32 v102, v102
	v_min_u32_e32 v112, 32, v102
	s_delay_alu instid0(VALU_DEP_1) | instskip(NEXT) | instid1(VALU_DEP_1)
	v_subrev_nc_u32_e32 v102, 28, v112
	v_lshlrev_b64_e32 v[102:103], v102, v[0:1]
	v_sub_nc_u32_e32 v103, 29, v112
	s_delay_alu instid0(VALU_DEP_2)
	v_and_b32_e32 v102, 7, v102
; %bb.1472:                             ;   in Loop: Header=BB307_1055 Depth=1
	s_wait_alu 0xfffe
	s_or_b32 exec_lo, exec_lo, s15
	v_lshlrev_b32_e32 v0, 8, v0
	v_lshl_add_u32 v103, v103, 10, 0x2000
	v_lshlrev_b32_e32 v102, 7, v102
	s_delay_alu instid0(VALU_DEP_3) | instskip(NEXT) | instid1(VALU_DEP_3)
	v_and_b32_e32 v0, 0x8000, v0
	v_and_b32_e32 v103, 0xfc00, v103
	s_delay_alu instid0(VALU_DEP_1)
	v_or3_b32 v102, v0, v103, v102
.LBB307_1473:                           ;   in Loop: Header=BB307_1055 Depth=1
	s_wait_alu 0xfffe
	s_or_b32 exec_lo, exec_lo, s14
.LBB307_1474:                           ;   in Loop: Header=BB307_1055 Depth=1
	s_wait_alu 0xfffe
	s_or_b32 exec_lo, exec_lo, s13
.LBB307_1475:                           ;   in Loop: Header=BB307_1055 Depth=1
	s_wait_alu 0xfffe
	s_or_b32 exec_lo, exec_lo, s12
	s_delay_alu instid0(SALU_CYCLE_1)
	s_mov_b32 s12, exec_lo
	v_cmpx_lt_u32_e32 0xffffff, v10
	s_cbranch_execz .LBB307_1483
; %bb.1476:                             ;   in Loop: Header=BB307_1055 Depth=1
	v_lshrrev_b32_e32 v0, 24, v10
	v_bfrev_b32_e32 v101, 1
	s_mov_b32 s13, exec_lo
	s_delay_alu instid0(VALU_DEP_2)
	v_cmpx_ne_u32_e32 0x80, v0
	s_cbranch_execz .LBB307_1482
; %bb.1477:                             ;   in Loop: Header=BB307_1055 Depth=1
	v_and_b32_e32 v112, 0x7f, v0
	v_mov_b32_e32 v101, 0x7c010000
	s_mov_b32 s14, exec_lo
	s_delay_alu instid0(VALU_DEP_2)
	v_cmpx_ne_u32_e32 0x7f, v112
	s_cbranch_execz .LBB307_1481
; %bb.1478:                             ;   in Loop: Header=BB307_1055 Depth=1
	v_and_b32_e32 v101, 7, v0
	v_lshrrev_b32_e32 v103, 3, v112
	s_mov_b32 s15, exec_lo
	v_cmpx_gt_u32_e32 8, v112
; %bb.1479:                             ;   in Loop: Header=BB307_1055 Depth=1
	s_delay_alu instid0(VALU_DEP_3) | instskip(NEXT) | instid1(VALU_DEP_1)
	v_clz_i32_u32_e32 v101, v101
	v_min_u32_e32 v101, 32, v101
	s_delay_alu instid0(VALU_DEP_1) | instskip(NEXT) | instid1(VALU_DEP_1)
	v_subrev_nc_u32_e32 v103, 28, v101
	v_lshlrev_b64_e32 v[112:113], v103, v[0:1]
	v_sub_nc_u32_e32 v103, 29, v101
	s_delay_alu instid0(VALU_DEP_2)
	v_and_b32_e32 v101, 7, v112
; %bb.1480:                             ;   in Loop: Header=BB307_1055 Depth=1
	s_wait_alu 0xfffe
	s_or_b32 exec_lo, exec_lo, s15
	v_lshlrev_b32_e32 v0, 8, v0
	v_lshl_add_u32 v103, v103, 10, 0x2000
	v_lshlrev_b32_e32 v101, 23, v101
	s_delay_alu instid0(VALU_DEP_2) | instskip(NEXT) | instid1(VALU_DEP_1)
	v_and_or_b32 v0, 0x8000, v0, v103
	v_lshl_or_b32 v101, v0, 16, v101
.LBB307_1481:                           ;   in Loop: Header=BB307_1055 Depth=1
	s_wait_alu 0xfffe
	s_or_b32 exec_lo, exec_lo, s14
.LBB307_1482:                           ;   in Loop: Header=BB307_1055 Depth=1
	s_wait_alu 0xfffe
	s_or_b32 exec_lo, exec_lo, s13
.LBB307_1483:                           ;   in Loop: Header=BB307_1055 Depth=1
	s_wait_alu 0xfffe
	s_or_b32 exec_lo, exec_lo, s12
	v_dual_mov_b32 v0, v11 :: v_dual_and_b32 v113, 0xff, v11
	v_dual_mov_b32 v103, 0 :: v_dual_mov_b32 v112, 0
	s_mov_b32 s12, exec_lo
	s_delay_alu instid0(VALU_DEP_2)
	v_cmpx_ne_u16_e32 0, v113
	s_cbranch_execz .LBB307_1491
; %bb.1484:                             ;   in Loop: Header=BB307_1055 Depth=1
	v_mov_b32_e32 v112, 0x8000
	s_mov_b32 s13, exec_lo
	v_cmpx_ne_u16_e32 0x80, v113
	s_cbranch_execz .LBB307_1490
; %bb.1485:                             ;   in Loop: Header=BB307_1055 Depth=1
	v_and_b32_e32 v114, 0x7f, v11
	v_mov_b32_e32 v112, 0x7c01
	s_mov_b32 s14, exec_lo
	s_delay_alu instid0(VALU_DEP_2)
	v_cmpx_ne_u32_e32 0x7f, v114
	s_cbranch_execz .LBB307_1489
; %bb.1486:                             ;   in Loop: Header=BB307_1055 Depth=1
	v_and_b32_e32 v112, 7, v11
	v_lshrrev_b32_e32 v113, 3, v114
	s_mov_b32 s15, exec_lo
	v_cmpx_gt_u32_e32 8, v114
; %bb.1487:                             ;   in Loop: Header=BB307_1055 Depth=1
	s_delay_alu instid0(VALU_DEP_3) | instskip(NEXT) | instid1(VALU_DEP_1)
	v_clz_i32_u32_e32 v112, v112
	v_min_u32_e32 v114, 32, v112
	s_delay_alu instid0(VALU_DEP_1) | instskip(NEXT) | instid1(VALU_DEP_1)
	v_subrev_nc_u32_e32 v112, 28, v114
	v_lshlrev_b64_e32 v[112:113], v112, v[0:1]
	v_sub_nc_u32_e32 v113, 29, v114
	s_delay_alu instid0(VALU_DEP_2)
	v_and_b32_e32 v112, 7, v112
; %bb.1488:                             ;   in Loop: Header=BB307_1055 Depth=1
	s_wait_alu 0xfffe
	s_or_b32 exec_lo, exec_lo, s15
	v_lshlrev_b32_e32 v114, 8, v11
	v_lshl_add_u32 v113, v113, 10, 0x2000
	v_lshlrev_b32_e32 v112, 7, v112
	s_delay_alu instid0(VALU_DEP_3) | instskip(NEXT) | instid1(VALU_DEP_3)
	v_and_b32_e32 v114, 0x8000, v114
	v_and_b32_e32 v113, 0xfc00, v113
	s_delay_alu instid0(VALU_DEP_1)
	v_or3_b32 v112, v114, v113, v112
.LBB307_1489:                           ;   in Loop: Header=BB307_1055 Depth=1
	s_wait_alu 0xfffe
	s_or_b32 exec_lo, exec_lo, s14
.LBB307_1490:                           ;   in Loop: Header=BB307_1055 Depth=1
	s_wait_alu 0xfffe
	s_or_b32 exec_lo, exec_lo, s13
.LBB307_1491:                           ;   in Loop: Header=BB307_1055 Depth=1
	s_wait_alu 0xfffe
	s_or_b32 exec_lo, exec_lo, s12
	v_lshrrev_b16 v0, 8, v0
	v_mov_b32_e32 v113, 0
	s_mov_b32 s12, exec_lo
	s_delay_alu instid0(VALU_DEP_2)
	v_cmpx_ne_u16_e32 0, v0
	s_cbranch_execz .LBB307_1499
; %bb.1492:                             ;   in Loop: Header=BB307_1055 Depth=1
	v_bfrev_b32_e32 v113, 1
	s_mov_b32 s13, exec_lo
	v_cmpx_ne_u16_e32 0x80, v0
	s_cbranch_execz .LBB307_1498
; %bb.1493:                             ;   in Loop: Header=BB307_1055 Depth=1
	v_and_b32_e32 v114, 0xffff, v0
	v_mov_b32_e32 v113, 0x7c010000
	s_mov_b32 s14, exec_lo
	s_delay_alu instid0(VALU_DEP_2) | instskip(NEXT) | instid1(VALU_DEP_1)
	v_and_b32_e32 v116, 0x7f, v114
	v_cmpx_ne_u32_e32 0x7f, v116
	s_cbranch_execz .LBB307_1497
; %bb.1494:                             ;   in Loop: Header=BB307_1055 Depth=1
	v_and_b32_e32 v113, 7, v114
	v_lshrrev_b32_e32 v115, 3, v116
	s_mov_b32 s15, exec_lo
	v_cmpx_gt_u32_e32 8, v116
; %bb.1495:                             ;   in Loop: Header=BB307_1055 Depth=1
	s_delay_alu instid0(VALU_DEP_3) | instskip(NEXT) | instid1(VALU_DEP_1)
	v_clz_i32_u32_e32 v113, v113
	v_min_u32_e32 v113, 32, v113
	s_delay_alu instid0(VALU_DEP_1) | instskip(NEXT) | instid1(VALU_DEP_1)
	v_subrev_nc_u32_e32 v115, 28, v113
	v_lshlrev_b64_e32 v[116:117], v115, v[0:1]
	v_sub_nc_u32_e32 v115, 29, v113
	s_delay_alu instid0(VALU_DEP_2)
	v_and_b32_e32 v113, 7, v116
; %bb.1496:                             ;   in Loop: Header=BB307_1055 Depth=1
	s_wait_alu 0xfffe
	s_or_b32 exec_lo, exec_lo, s15
	v_lshlrev_b32_e32 v0, 8, v114
	v_lshl_add_u32 v114, v115, 10, 0x2000
	v_lshlrev_b32_e32 v113, 23, v113
	s_delay_alu instid0(VALU_DEP_2) | instskip(NEXT) | instid1(VALU_DEP_1)
	v_and_or_b32 v0, 0x8000, v0, v114
	v_lshl_or_b32 v113, v0, 16, v113
.LBB307_1497:                           ;   in Loop: Header=BB307_1055 Depth=1
	s_wait_alu 0xfffe
	s_or_b32 exec_lo, exec_lo, s14
.LBB307_1498:                           ;   in Loop: Header=BB307_1055 Depth=1
	s_wait_alu 0xfffe
	s_or_b32 exec_lo, exec_lo, s13
.LBB307_1499:                           ;   in Loop: Header=BB307_1055 Depth=1
	s_wait_alu 0xfffe
	s_or_b32 exec_lo, exec_lo, s12
	v_lshrrev_b32_e32 v0, 16, v11
	s_mov_b32 s12, exec_lo
	s_delay_alu instid0(VALU_DEP_1) | instskip(NEXT) | instid1(VALU_DEP_1)
	v_and_b32_e32 v114, 0xff, v0
	v_cmpx_ne_u16_e32 0, v114
	s_cbranch_execz .LBB307_1507
; %bb.1500:                             ;   in Loop: Header=BB307_1055 Depth=1
	v_mov_b32_e32 v103, 0x8000
	s_mov_b32 s13, exec_lo
	v_cmpx_ne_u16_e32 0x80, v114
	s_cbranch_execz .LBB307_1506
; %bb.1501:                             ;   in Loop: Header=BB307_1055 Depth=1
	v_bfe_u32 v115, v11, 16, 7
	v_mov_b32_e32 v103, 0x7c01
	s_mov_b32 s14, exec_lo
	s_delay_alu instid0(VALU_DEP_2)
	v_cmpx_ne_u32_e32 0x7f, v115
	s_cbranch_execz .LBB307_1505
; %bb.1502:                             ;   in Loop: Header=BB307_1055 Depth=1
	v_and_b32_e32 v103, 7, v0
	v_lshrrev_b32_e32 v114, 3, v115
	s_mov_b32 s15, exec_lo
	v_cmpx_gt_u32_e32 8, v115
; %bb.1503:                             ;   in Loop: Header=BB307_1055 Depth=1
	s_delay_alu instid0(VALU_DEP_3) | instskip(NEXT) | instid1(VALU_DEP_1)
	v_clz_i32_u32_e32 v103, v103
	v_min_u32_e32 v103, 32, v103
	s_delay_alu instid0(VALU_DEP_1) | instskip(NEXT) | instid1(VALU_DEP_1)
	v_subrev_nc_u32_e32 v114, 28, v103
	v_lshlrev_b64_e32 v[115:116], v114, v[0:1]
	v_sub_nc_u32_e32 v114, 29, v103
	s_delay_alu instid0(VALU_DEP_2)
	v_and_b32_e32 v103, 7, v115
; %bb.1504:                             ;   in Loop: Header=BB307_1055 Depth=1
	s_wait_alu 0xfffe
	s_or_b32 exec_lo, exec_lo, s15
	v_lshlrev_b32_e32 v0, 8, v0
	v_lshl_add_u32 v114, v114, 10, 0x2000
	v_lshlrev_b32_e32 v103, 7, v103
	s_delay_alu instid0(VALU_DEP_3) | instskip(NEXT) | instid1(VALU_DEP_3)
	v_and_b32_e32 v0, 0x8000, v0
	v_and_b32_e32 v114, 0xfc00, v114
	s_delay_alu instid0(VALU_DEP_1)
	v_or3_b32 v103, v0, v114, v103
.LBB307_1505:                           ;   in Loop: Header=BB307_1055 Depth=1
	s_wait_alu 0xfffe
	s_or_b32 exec_lo, exec_lo, s14
.LBB307_1506:                           ;   in Loop: Header=BB307_1055 Depth=1
	s_wait_alu 0xfffe
	s_or_b32 exec_lo, exec_lo, s13
.LBB307_1507:                           ;   in Loop: Header=BB307_1055 Depth=1
	s_wait_alu 0xfffe
	s_or_b32 exec_lo, exec_lo, s12
	v_cmp_lt_u64_e64 s0, s[8:9], v[10:11]
	v_mov_b32_e32 v10, 0
	s_and_saveexec_b32 s12, s0
	s_cbranch_execz .LBB307_1515
; %bb.1508:                             ;   in Loop: Header=BB307_1055 Depth=1
	v_lshrrev_b32_e32 v0, 24, v11
	v_bfrev_b32_e32 v10, 1
	s_mov_b32 s13, exec_lo
	s_delay_alu instid0(VALU_DEP_2)
	v_cmpx_ne_u32_e32 0x80, v0
	s_cbranch_execz .LBB307_1514
; %bb.1509:                             ;   in Loop: Header=BB307_1055 Depth=1
	v_and_b32_e32 v114, 0x7f, v0
	v_mov_b32_e32 v10, 0x7c010000
	s_mov_b32 s14, exec_lo
	s_delay_alu instid0(VALU_DEP_2)
	v_cmpx_ne_u32_e32 0x7f, v114
	s_cbranch_execz .LBB307_1513
; %bb.1510:                             ;   in Loop: Header=BB307_1055 Depth=1
	v_and_b32_e32 v10, 7, v0
	v_lshrrev_b32_e32 v11, 3, v114
	s_mov_b32 s15, exec_lo
	v_cmpx_gt_u32_e32 8, v114
; %bb.1511:                             ;   in Loop: Header=BB307_1055 Depth=1
	s_delay_alu instid0(VALU_DEP_3) | instskip(NEXT) | instid1(VALU_DEP_1)
	v_clz_i32_u32_e32 v10, v10
	v_min_u32_e32 v114, 32, v10
	s_delay_alu instid0(VALU_DEP_1) | instskip(NEXT) | instid1(VALU_DEP_1)
	v_subrev_nc_u32_e32 v10, 28, v114
	v_lshlrev_b64_e32 v[10:11], v10, v[0:1]
	v_sub_nc_u32_e32 v11, 29, v114
	s_delay_alu instid0(VALU_DEP_2)
	v_and_b32_e32 v10, 7, v10
; %bb.1512:                             ;   in Loop: Header=BB307_1055 Depth=1
	s_wait_alu 0xfffe
	s_or_b32 exec_lo, exec_lo, s15
	v_lshlrev_b32_e32 v0, 8, v0
	v_lshl_add_u32 v11, v11, 10, 0x2000
	v_lshlrev_b32_e32 v10, 23, v10
	s_delay_alu instid0(VALU_DEP_2) | instskip(NEXT) | instid1(VALU_DEP_1)
	v_and_or_b32 v0, 0x8000, v0, v11
	v_lshl_or_b32 v10, v0, 16, v10
.LBB307_1513:                           ;   in Loop: Header=BB307_1055 Depth=1
	s_wait_alu 0xfffe
	s_or_b32 exec_lo, exec_lo, s14
.LBB307_1514:                           ;   in Loop: Header=BB307_1055 Depth=1
	s_wait_alu 0xfffe
	s_or_b32 exec_lo, exec_lo, s13
.LBB307_1515:                           ;   in Loop: Header=BB307_1055 Depth=1
	s_wait_alu 0xfffe
	s_or_b32 exec_lo, exec_lo, s12
	v_or_b32_e32 v0, v101, v102
	s_wait_loadcnt_dscnt 0x0
	v_fma_mixlo_f16 v11, v98, v101, 0 op_sel:[0,1,0] op_sel_hi:[0,1,0]
	v_or_b32_e32 v101, v99, v100
	v_fma_mixlo_f16 v99, v98, v99, 0 op_sel:[0,1,0] op_sel_hi:[0,1,0]
	v_or_b32_e32 v102, v113, v112
	v_or_b32_e32 v103, v10, v103
	v_fma_mixlo_f16 v112, v98, v0, 0 op_sel_hi:[0,1,0]
	v_fma_mixlo_f16 v10, v98, v10, 0 op_sel:[0,1,0] op_sel_hi:[0,1,0]
	v_lshlrev_b32_e32 v100, 16, v99
	v_fma_mixlo_f16 v99, v98, v101, 0 op_sel_hi:[0,1,0]
	v_fma_mixlo_f16 v101, v98, v113, 0 op_sel:[0,1,0] op_sel_hi:[0,1,0]
	v_fma_mixlo_f16 v102, v98, v102, 0 op_sel_hi:[0,1,0]
	v_fma_mixlo_f16 v103, v98, v103, 0 op_sel_hi:[0,1,0]
	v_lshlrev_b32_e32 v0, 16, v11
	v_and_b32_e32 v11, 0xffff, v112
	v_and_b32_e32 v114, 0xffff, v99
	v_lshlrev_b32_e32 v98, 16, v101
	v_and_b32_e32 v102, 0xffff, v102
	v_lshlrev_b32_e32 v10, 16, v10
	v_and_b32_e32 v99, 0xffff, v103
	v_or_b32_e32 v101, v0, v11
	v_or_b32_e32 v113, v100, v114
	;; [unrolled: 1-line block ×3, first 2 shown]
	s_delay_alu instid0(VALU_DEP_4)
	v_or_b32_e32 v103, v10, v99
	s_and_saveexec_b32 s12, vcc_lo
	s_cbranch_execz .LBB307_1517
; %bb.1516:                             ;   in Loop: Header=BB307_1055 Depth=1
	v_cmp_lt_i32_e64 s0, v35, v32
	s_wait_alu 0xf1ff
	s_delay_alu instid0(VALU_DEP_1) | instskip(SKIP_2) | instid1(VALU_DEP_1)
	v_cndmask_b32_e64 v101, 0, v114, s0
	v_cmp_lt_i32_e64 s0, v71, v32
	s_wait_alu 0xf1ff
	v_cndmask_b32_e64 v100, 0, v100, s0
	v_cmp_lt_i32_e64 s0, v70, v32
	s_delay_alu instid0(VALU_DEP_2) | instskip(SKIP_1) | instid1(VALU_DEP_2)
	v_or_b32_e32 v113, v101, v100
	s_wait_alu 0xf1ff
	v_cndmask_b32_e64 v11, 0, v11, s0
	v_cmp_lt_i32_e64 s0, v69, v32
	s_wait_alu 0xf1ff
	s_delay_alu instid0(VALU_DEP_1) | instskip(SKIP_1) | instid1(VALU_DEP_2)
	v_cndmask_b32_e64 v0, 0, v0, s0
	v_cmp_lt_i32_e64 s0, v68, v32
	v_or_b32_e32 v101, v11, v0
	s_wait_alu 0xf1ff
	s_delay_alu instid0(VALU_DEP_2) | instskip(SKIP_2) | instid1(VALU_DEP_1)
	v_cndmask_b32_e64 v102, 0, v102, s0
	v_cmp_lt_i32_e64 s0, v67, v32
	s_wait_alu 0xf1ff
	v_cndmask_b32_e64 v98, 0, v98, s0
	v_cmp_lt_i32_e64 s0, v66, v32
	s_delay_alu instid0(VALU_DEP_2) | instskip(SKIP_1) | instid1(VALU_DEP_2)
	v_or_b32_e32 v112, v102, v98
	s_wait_alu 0xf1ff
	v_cndmask_b32_e64 v99, 0, v99, s0
	v_cmp_lt_i32_e64 s0, v14, v32
	s_wait_alu 0xf1ff
	s_delay_alu instid0(VALU_DEP_1) | instskip(NEXT) | instid1(VALU_DEP_1)
	v_cndmask_b32_e64 v10, 0, v10, s0
	v_or_b32_e32 v103, v99, v10
.LBB307_1517:                           ;   in Loop: Header=BB307_1055 Depth=1
	s_wait_alu 0xfffe
	s_or_b32 exec_lo, exec_lo, s12
	;;#ASMSTART
	v_pk_mul_f16 v0, v64, v113;

	;;#ASMEND
	;;#ASMSTART
	v_pk_mul_f16 v10, v54, v101;

	;;#ASMEND
	;; [unrolled: 4-line block ×4, first 2 shown]
	;;#ASMSTART
	v_pk_add_f16 v0, v0, v10;

	;;#ASMEND
	;;#ASMSTART
	v_pk_add_f16 v0, v0, v11;

	;;#ASMEND
	;; [unrolled: 4-line block ×3, first 2 shown]
	v_dual_mov_b32 v101, 0 :: v_dual_and_b32 v10, 0xffff, v0
	v_lshrrev_b32_e32 v0, 16, v0
	;;#ASMSTART
	v_cvt_f32_f16 v98, v10;
	;;#ASMEND
	;;#ASMSTART
	v_cvt_f32_f16 v99, v0;
	;;#ASMEND
	flat_load_b64 v[10:11], v[8:9] offset:1792
	flat_load_b32 v100, v[26:27]
	v_mov_b32_e32 v102, 0
	s_mov_b32 s12, exec_lo
	s_wait_loadcnt_dscnt 0x101
	v_and_b32_e32 v0, 0xff, v10
	s_delay_alu instid0(VALU_DEP_1)
	v_cmpx_ne_u16_e32 0, v0
	s_cbranch_execz .LBB307_1525
; %bb.1518:                             ;   in Loop: Header=BB307_1055 Depth=1
	v_mov_b32_e32 v102, 0x8000
	s_mov_b32 s13, exec_lo
	v_cmpx_ne_u16_e32 0x80, v0
	s_cbranch_execz .LBB307_1524
; %bb.1519:                             ;   in Loop: Header=BB307_1055 Depth=1
	v_and_b32_e32 v103, 0x7f, v10
	v_mov_b32_e32 v102, 0x7c01
	s_mov_b32 s14, exec_lo
	s_delay_alu instid0(VALU_DEP_2)
	v_cmpx_ne_u32_e32 0x7f, v103
	s_cbranch_execz .LBB307_1523
; %bb.1520:                             ;   in Loop: Header=BB307_1055 Depth=1
	v_and_b32_e32 v0, 7, v10
	v_lshrrev_b32_e32 v102, 3, v103
	s_mov_b32 s15, exec_lo
	v_cmpx_gt_u32_e32 8, v103
; %bb.1521:                             ;   in Loop: Header=BB307_1055 Depth=1
	s_delay_alu instid0(VALU_DEP_3) | instskip(NEXT) | instid1(VALU_DEP_1)
	v_clz_i32_u32_e32 v0, v0
	v_min_u32_e32 v0, 32, v0
	s_delay_alu instid0(VALU_DEP_1) | instskip(NEXT) | instid1(VALU_DEP_1)
	v_subrev_nc_u32_e32 v102, 28, v0
	v_lshlrev_b64_e32 v[112:113], v102, v[10:11]
	v_sub_nc_u32_e32 v102, 29, v0
	s_delay_alu instid0(VALU_DEP_2)
	v_and_b32_e32 v0, 7, v112
; %bb.1522:                             ;   in Loop: Header=BB307_1055 Depth=1
	s_wait_alu 0xfffe
	s_or_b32 exec_lo, exec_lo, s15
	v_lshlrev_b32_e32 v103, 8, v10
	v_lshl_add_u32 v102, v102, 10, 0x2000
	v_lshlrev_b32_e32 v0, 7, v0
	s_delay_alu instid0(VALU_DEP_3) | instskip(NEXT) | instid1(VALU_DEP_3)
	v_and_b32_e32 v103, 0x8000, v103
	v_and_b32_e32 v102, 0xfc00, v102
	s_delay_alu instid0(VALU_DEP_1)
	v_or3_b32 v102, v103, v102, v0
.LBB307_1523:                           ;   in Loop: Header=BB307_1055 Depth=1
	s_wait_alu 0xfffe
	s_or_b32 exec_lo, exec_lo, s14
.LBB307_1524:                           ;   in Loop: Header=BB307_1055 Depth=1
	s_wait_alu 0xfffe
	s_or_b32 exec_lo, exec_lo, s13
.LBB307_1525:                           ;   in Loop: Header=BB307_1055 Depth=1
	s_wait_alu 0xfffe
	s_or_b32 exec_lo, exec_lo, s12
	v_lshrrev_b16 v0, 8, v10
	s_mov_b32 s12, exec_lo
	s_delay_alu instid0(VALU_DEP_1)
	v_cmpx_ne_u16_e32 0, v0
	s_cbranch_execz .LBB307_1533
; %bb.1526:                             ;   in Loop: Header=BB307_1055 Depth=1
	v_bfrev_b32_e32 v101, 1
	s_mov_b32 s13, exec_lo
	v_cmpx_ne_u16_e32 0x80, v0
	s_cbranch_execz .LBB307_1532
; %bb.1527:                             ;   in Loop: Header=BB307_1055 Depth=1
	v_and_b32_e32 v103, 0xffff, v0
	v_mov_b32_e32 v101, 0x7c010000
	s_mov_b32 s14, exec_lo
	s_delay_alu instid0(VALU_DEP_2) | instskip(NEXT) | instid1(VALU_DEP_1)
	v_and_b32_e32 v113, 0x7f, v103
	v_cmpx_ne_u32_e32 0x7f, v113
	s_cbranch_execz .LBB307_1531
; %bb.1528:                             ;   in Loop: Header=BB307_1055 Depth=1
	v_and_b32_e32 v101, 7, v103
	v_lshrrev_b32_e32 v112, 3, v113
	s_mov_b32 s15, exec_lo
	v_cmpx_gt_u32_e32 8, v113
; %bb.1529:                             ;   in Loop: Header=BB307_1055 Depth=1
	s_delay_alu instid0(VALU_DEP_3) | instskip(NEXT) | instid1(VALU_DEP_1)
	v_clz_i32_u32_e32 v101, v101
	v_min_u32_e32 v101, 32, v101
	s_delay_alu instid0(VALU_DEP_1) | instskip(NEXT) | instid1(VALU_DEP_1)
	v_subrev_nc_u32_e32 v112, 28, v101
	v_lshlrev_b64_e32 v[113:114], v112, v[0:1]
	v_sub_nc_u32_e32 v112, 29, v101
	s_delay_alu instid0(VALU_DEP_2)
	v_and_b32_e32 v101, 7, v113
; %bb.1530:                             ;   in Loop: Header=BB307_1055 Depth=1
	s_wait_alu 0xfffe
	s_or_b32 exec_lo, exec_lo, s15
	v_lshlrev_b32_e32 v0, 8, v103
	v_lshl_add_u32 v103, v112, 10, 0x2000
	v_lshlrev_b32_e32 v101, 23, v101
	s_delay_alu instid0(VALU_DEP_2) | instskip(NEXT) | instid1(VALU_DEP_1)
	v_and_or_b32 v0, 0x8000, v0, v103
	v_lshl_or_b32 v101, v0, 16, v101
.LBB307_1531:                           ;   in Loop: Header=BB307_1055 Depth=1
	s_wait_alu 0xfffe
	s_or_b32 exec_lo, exec_lo, s14
.LBB307_1532:                           ;   in Loop: Header=BB307_1055 Depth=1
	s_wait_alu 0xfffe
	s_or_b32 exec_lo, exec_lo, s13
.LBB307_1533:                           ;   in Loop: Header=BB307_1055 Depth=1
	s_wait_alu 0xfffe
	s_or_b32 exec_lo, exec_lo, s12
	v_lshrrev_b32_e32 v0, 16, v10
	v_mov_b32_e32 v103, 0
	s_mov_b32 s12, exec_lo
	s_delay_alu instid0(VALU_DEP_2) | instskip(NEXT) | instid1(VALU_DEP_1)
	v_dual_mov_b32 v112, 0 :: v_dual_and_b32 v113, 0xff, v0
	v_cmpx_ne_u16_e32 0, v113
	s_cbranch_execz .LBB307_1541
; %bb.1534:                             ;   in Loop: Header=BB307_1055 Depth=1
	v_mov_b32_e32 v112, 0x8000
	s_mov_b32 s13, exec_lo
	v_cmpx_ne_u16_e32 0x80, v113
	s_cbranch_execz .LBB307_1540
; %bb.1535:                             ;   in Loop: Header=BB307_1055 Depth=1
	v_bfe_u32 v114, v10, 16, 7
	v_mov_b32_e32 v112, 0x7c01
	s_mov_b32 s14, exec_lo
	s_delay_alu instid0(VALU_DEP_2)
	v_cmpx_ne_u32_e32 0x7f, v114
	s_cbranch_execz .LBB307_1539
; %bb.1536:                             ;   in Loop: Header=BB307_1055 Depth=1
	v_and_b32_e32 v112, 7, v0
	v_lshrrev_b32_e32 v113, 3, v114
	s_mov_b32 s15, exec_lo
	v_cmpx_gt_u32_e32 8, v114
; %bb.1537:                             ;   in Loop: Header=BB307_1055 Depth=1
	s_delay_alu instid0(VALU_DEP_3) | instskip(NEXT) | instid1(VALU_DEP_1)
	v_clz_i32_u32_e32 v112, v112
	v_min_u32_e32 v114, 32, v112
	s_delay_alu instid0(VALU_DEP_1) | instskip(NEXT) | instid1(VALU_DEP_1)
	v_subrev_nc_u32_e32 v112, 28, v114
	v_lshlrev_b64_e32 v[112:113], v112, v[0:1]
	v_sub_nc_u32_e32 v113, 29, v114
	s_delay_alu instid0(VALU_DEP_2)
	v_and_b32_e32 v112, 7, v112
; %bb.1538:                             ;   in Loop: Header=BB307_1055 Depth=1
	s_wait_alu 0xfffe
	s_or_b32 exec_lo, exec_lo, s15
	v_lshlrev_b32_e32 v0, 8, v0
	v_lshl_add_u32 v113, v113, 10, 0x2000
	v_lshlrev_b32_e32 v112, 7, v112
	s_delay_alu instid0(VALU_DEP_3) | instskip(NEXT) | instid1(VALU_DEP_3)
	v_and_b32_e32 v0, 0x8000, v0
	v_and_b32_e32 v113, 0xfc00, v113
	s_delay_alu instid0(VALU_DEP_1)
	v_or3_b32 v112, v0, v113, v112
.LBB307_1539:                           ;   in Loop: Header=BB307_1055 Depth=1
	s_wait_alu 0xfffe
	s_or_b32 exec_lo, exec_lo, s14
.LBB307_1540:                           ;   in Loop: Header=BB307_1055 Depth=1
	s_wait_alu 0xfffe
	s_or_b32 exec_lo, exec_lo, s13
.LBB307_1541:                           ;   in Loop: Header=BB307_1055 Depth=1
	s_wait_alu 0xfffe
	s_or_b32 exec_lo, exec_lo, s12
	s_delay_alu instid0(SALU_CYCLE_1)
	s_mov_b32 s12, exec_lo
	v_cmpx_lt_u32_e32 0xffffff, v10
	s_cbranch_execz .LBB307_1549
; %bb.1542:                             ;   in Loop: Header=BB307_1055 Depth=1
	v_lshrrev_b32_e32 v0, 24, v10
	v_bfrev_b32_e32 v103, 1
	s_mov_b32 s13, exec_lo
	s_delay_alu instid0(VALU_DEP_2)
	v_cmpx_ne_u32_e32 0x80, v0
	s_cbranch_execz .LBB307_1548
; %bb.1543:                             ;   in Loop: Header=BB307_1055 Depth=1
	v_and_b32_e32 v114, 0x7f, v0
	v_mov_b32_e32 v103, 0x7c010000
	s_mov_b32 s14, exec_lo
	s_delay_alu instid0(VALU_DEP_2)
	v_cmpx_ne_u32_e32 0x7f, v114
	s_cbranch_execz .LBB307_1547
; %bb.1544:                             ;   in Loop: Header=BB307_1055 Depth=1
	v_and_b32_e32 v103, 7, v0
	v_lshrrev_b32_e32 v113, 3, v114
	s_mov_b32 s15, exec_lo
	v_cmpx_gt_u32_e32 8, v114
; %bb.1545:                             ;   in Loop: Header=BB307_1055 Depth=1
	s_delay_alu instid0(VALU_DEP_3) | instskip(NEXT) | instid1(VALU_DEP_1)
	v_clz_i32_u32_e32 v103, v103
	v_min_u32_e32 v103, 32, v103
	s_delay_alu instid0(VALU_DEP_1) | instskip(NEXT) | instid1(VALU_DEP_1)
	v_subrev_nc_u32_e32 v113, 28, v103
	v_lshlrev_b64_e32 v[114:115], v113, v[0:1]
	v_sub_nc_u32_e32 v113, 29, v103
	s_delay_alu instid0(VALU_DEP_2)
	v_and_b32_e32 v103, 7, v114
; %bb.1546:                             ;   in Loop: Header=BB307_1055 Depth=1
	s_wait_alu 0xfffe
	s_or_b32 exec_lo, exec_lo, s15
	v_lshlrev_b32_e32 v0, 8, v0
	v_lshl_add_u32 v113, v113, 10, 0x2000
	v_lshlrev_b32_e32 v103, 23, v103
	s_delay_alu instid0(VALU_DEP_2) | instskip(NEXT) | instid1(VALU_DEP_1)
	v_and_or_b32 v0, 0x8000, v0, v113
	v_lshl_or_b32 v103, v0, 16, v103
.LBB307_1547:                           ;   in Loop: Header=BB307_1055 Depth=1
	s_wait_alu 0xfffe
	s_or_b32 exec_lo, exec_lo, s14
.LBB307_1548:                           ;   in Loop: Header=BB307_1055 Depth=1
	s_wait_alu 0xfffe
	s_or_b32 exec_lo, exec_lo, s13
.LBB307_1549:                           ;   in Loop: Header=BB307_1055 Depth=1
	s_wait_alu 0xfffe
	s_or_b32 exec_lo, exec_lo, s12
	v_dual_mov_b32 v0, v11 :: v_dual_and_b32 v115, 0xff, v11
	v_dual_mov_b32 v113, 0 :: v_dual_mov_b32 v114, 0
	s_mov_b32 s12, exec_lo
	s_delay_alu instid0(VALU_DEP_2)
	v_cmpx_ne_u16_e32 0, v115
	s_cbranch_execz .LBB307_1557
; %bb.1550:                             ;   in Loop: Header=BB307_1055 Depth=1
	v_mov_b32_e32 v114, 0x8000
	s_mov_b32 s13, exec_lo
	v_cmpx_ne_u16_e32 0x80, v115
	s_cbranch_execz .LBB307_1556
; %bb.1551:                             ;   in Loop: Header=BB307_1055 Depth=1
	v_and_b32_e32 v116, 0x7f, v11
	v_mov_b32_e32 v114, 0x7c01
	s_mov_b32 s14, exec_lo
	s_delay_alu instid0(VALU_DEP_2)
	v_cmpx_ne_u32_e32 0x7f, v116
	s_cbranch_execz .LBB307_1555
; %bb.1552:                             ;   in Loop: Header=BB307_1055 Depth=1
	v_and_b32_e32 v114, 7, v11
	v_lshrrev_b32_e32 v115, 3, v116
	s_mov_b32 s15, exec_lo
	v_cmpx_gt_u32_e32 8, v116
; %bb.1553:                             ;   in Loop: Header=BB307_1055 Depth=1
	s_delay_alu instid0(VALU_DEP_3) | instskip(NEXT) | instid1(VALU_DEP_1)
	v_clz_i32_u32_e32 v114, v114
	v_min_u32_e32 v116, 32, v114
	s_delay_alu instid0(VALU_DEP_1) | instskip(NEXT) | instid1(VALU_DEP_1)
	v_subrev_nc_u32_e32 v114, 28, v116
	v_lshlrev_b64_e32 v[114:115], v114, v[0:1]
	v_sub_nc_u32_e32 v115, 29, v116
	s_delay_alu instid0(VALU_DEP_2)
	v_and_b32_e32 v114, 7, v114
; %bb.1554:                             ;   in Loop: Header=BB307_1055 Depth=1
	s_wait_alu 0xfffe
	s_or_b32 exec_lo, exec_lo, s15
	v_lshlrev_b32_e32 v116, 8, v11
	v_lshl_add_u32 v115, v115, 10, 0x2000
	v_lshlrev_b32_e32 v114, 7, v114
	s_delay_alu instid0(VALU_DEP_3) | instskip(NEXT) | instid1(VALU_DEP_3)
	v_and_b32_e32 v116, 0x8000, v116
	v_and_b32_e32 v115, 0xfc00, v115
	s_delay_alu instid0(VALU_DEP_1)
	v_or3_b32 v114, v116, v115, v114
.LBB307_1555:                           ;   in Loop: Header=BB307_1055 Depth=1
	s_wait_alu 0xfffe
	s_or_b32 exec_lo, exec_lo, s14
.LBB307_1556:                           ;   in Loop: Header=BB307_1055 Depth=1
	s_wait_alu 0xfffe
	s_or_b32 exec_lo, exec_lo, s13
.LBB307_1557:                           ;   in Loop: Header=BB307_1055 Depth=1
	s_wait_alu 0xfffe
	s_or_b32 exec_lo, exec_lo, s12
	v_lshrrev_b16 v0, 8, v0
	v_mov_b32_e32 v115, 0
	s_mov_b32 s12, exec_lo
	s_delay_alu instid0(VALU_DEP_2)
	v_cmpx_ne_u16_e32 0, v0
	s_cbranch_execz .LBB307_1565
; %bb.1558:                             ;   in Loop: Header=BB307_1055 Depth=1
	v_bfrev_b32_e32 v115, 1
	s_mov_b32 s13, exec_lo
	v_cmpx_ne_u16_e32 0x80, v0
	s_cbranch_execz .LBB307_1564
; %bb.1559:                             ;   in Loop: Header=BB307_1055 Depth=1
	v_and_b32_e32 v116, 0xffff, v0
	v_mov_b32_e32 v115, 0x7c010000
	s_mov_b32 s14, exec_lo
	s_delay_alu instid0(VALU_DEP_2) | instskip(NEXT) | instid1(VALU_DEP_1)
	v_and_b32_e32 v118, 0x7f, v116
	v_cmpx_ne_u32_e32 0x7f, v118
	s_cbranch_execz .LBB307_1563
; %bb.1560:                             ;   in Loop: Header=BB307_1055 Depth=1
	v_and_b32_e32 v115, 7, v116
	v_lshrrev_b32_e32 v117, 3, v118
	s_mov_b32 s15, exec_lo
	v_cmpx_gt_u32_e32 8, v118
; %bb.1561:                             ;   in Loop: Header=BB307_1055 Depth=1
	s_delay_alu instid0(VALU_DEP_3) | instskip(NEXT) | instid1(VALU_DEP_1)
	v_clz_i32_u32_e32 v115, v115
	v_min_u32_e32 v115, 32, v115
	s_delay_alu instid0(VALU_DEP_1) | instskip(NEXT) | instid1(VALU_DEP_1)
	v_subrev_nc_u32_e32 v117, 28, v115
	v_lshlrev_b64_e32 v[118:119], v117, v[0:1]
	v_sub_nc_u32_e32 v117, 29, v115
	s_delay_alu instid0(VALU_DEP_2)
	v_and_b32_e32 v115, 7, v118
; %bb.1562:                             ;   in Loop: Header=BB307_1055 Depth=1
	s_wait_alu 0xfffe
	s_or_b32 exec_lo, exec_lo, s15
	v_lshlrev_b32_e32 v0, 8, v116
	v_lshl_add_u32 v116, v117, 10, 0x2000
	v_lshlrev_b32_e32 v115, 23, v115
	s_delay_alu instid0(VALU_DEP_2) | instskip(NEXT) | instid1(VALU_DEP_1)
	v_and_or_b32 v0, 0x8000, v0, v116
	v_lshl_or_b32 v115, v0, 16, v115
.LBB307_1563:                           ;   in Loop: Header=BB307_1055 Depth=1
	s_wait_alu 0xfffe
	s_or_b32 exec_lo, exec_lo, s14
.LBB307_1564:                           ;   in Loop: Header=BB307_1055 Depth=1
	s_wait_alu 0xfffe
	s_or_b32 exec_lo, exec_lo, s13
.LBB307_1565:                           ;   in Loop: Header=BB307_1055 Depth=1
	s_wait_alu 0xfffe
	s_or_b32 exec_lo, exec_lo, s12
	v_lshrrev_b32_e32 v0, 16, v11
	s_mov_b32 s12, exec_lo
	s_delay_alu instid0(VALU_DEP_1) | instskip(NEXT) | instid1(VALU_DEP_1)
	v_and_b32_e32 v116, 0xff, v0
	v_cmpx_ne_u16_e32 0, v116
	s_cbranch_execz .LBB307_1573
; %bb.1566:                             ;   in Loop: Header=BB307_1055 Depth=1
	v_mov_b32_e32 v113, 0x8000
	s_mov_b32 s13, exec_lo
	v_cmpx_ne_u16_e32 0x80, v116
	s_cbranch_execz .LBB307_1572
; %bb.1567:                             ;   in Loop: Header=BB307_1055 Depth=1
	v_bfe_u32 v117, v11, 16, 7
	v_mov_b32_e32 v113, 0x7c01
	s_mov_b32 s14, exec_lo
	s_delay_alu instid0(VALU_DEP_2)
	v_cmpx_ne_u32_e32 0x7f, v117
	s_cbranch_execz .LBB307_1571
; %bb.1568:                             ;   in Loop: Header=BB307_1055 Depth=1
	v_and_b32_e32 v113, 7, v0
	v_lshrrev_b32_e32 v116, 3, v117
	s_mov_b32 s15, exec_lo
	v_cmpx_gt_u32_e32 8, v117
; %bb.1569:                             ;   in Loop: Header=BB307_1055 Depth=1
	s_delay_alu instid0(VALU_DEP_3) | instskip(NEXT) | instid1(VALU_DEP_1)
	v_clz_i32_u32_e32 v113, v113
	v_min_u32_e32 v113, 32, v113
	s_delay_alu instid0(VALU_DEP_1) | instskip(NEXT) | instid1(VALU_DEP_1)
	v_subrev_nc_u32_e32 v116, 28, v113
	v_lshlrev_b64_e32 v[117:118], v116, v[0:1]
	v_sub_nc_u32_e32 v116, 29, v113
	s_delay_alu instid0(VALU_DEP_2)
	v_and_b32_e32 v113, 7, v117
; %bb.1570:                             ;   in Loop: Header=BB307_1055 Depth=1
	s_wait_alu 0xfffe
	s_or_b32 exec_lo, exec_lo, s15
	v_lshlrev_b32_e32 v0, 8, v0
	v_lshl_add_u32 v116, v116, 10, 0x2000
	v_lshlrev_b32_e32 v113, 7, v113
	s_delay_alu instid0(VALU_DEP_3) | instskip(NEXT) | instid1(VALU_DEP_3)
	v_and_b32_e32 v0, 0x8000, v0
	v_and_b32_e32 v116, 0xfc00, v116
	s_delay_alu instid0(VALU_DEP_1)
	v_or3_b32 v113, v0, v116, v113
.LBB307_1571:                           ;   in Loop: Header=BB307_1055 Depth=1
	s_wait_alu 0xfffe
	s_or_b32 exec_lo, exec_lo, s14
.LBB307_1572:                           ;   in Loop: Header=BB307_1055 Depth=1
	s_wait_alu 0xfffe
	s_or_b32 exec_lo, exec_lo, s13
.LBB307_1573:                           ;   in Loop: Header=BB307_1055 Depth=1
	s_wait_alu 0xfffe
	s_or_b32 exec_lo, exec_lo, s12
	v_cmp_lt_u64_e64 s0, s[8:9], v[10:11]
	v_mov_b32_e32 v10, 0
	s_and_saveexec_b32 s12, s0
	s_cbranch_execz .LBB307_1581
; %bb.1574:                             ;   in Loop: Header=BB307_1055 Depth=1
	v_lshrrev_b32_e32 v0, 24, v11
	v_bfrev_b32_e32 v10, 1
	s_mov_b32 s13, exec_lo
	s_delay_alu instid0(VALU_DEP_2)
	v_cmpx_ne_u32_e32 0x80, v0
	s_cbranch_execz .LBB307_1580
; %bb.1575:                             ;   in Loop: Header=BB307_1055 Depth=1
	v_and_b32_e32 v116, 0x7f, v0
	v_mov_b32_e32 v10, 0x7c010000
	s_mov_b32 s14, exec_lo
	s_delay_alu instid0(VALU_DEP_2)
	v_cmpx_ne_u32_e32 0x7f, v116
	s_cbranch_execz .LBB307_1579
; %bb.1576:                             ;   in Loop: Header=BB307_1055 Depth=1
	v_and_b32_e32 v10, 7, v0
	v_lshrrev_b32_e32 v11, 3, v116
	s_mov_b32 s15, exec_lo
	v_cmpx_gt_u32_e32 8, v116
; %bb.1577:                             ;   in Loop: Header=BB307_1055 Depth=1
	s_delay_alu instid0(VALU_DEP_3) | instskip(NEXT) | instid1(VALU_DEP_1)
	v_clz_i32_u32_e32 v10, v10
	v_min_u32_e32 v116, 32, v10
	s_delay_alu instid0(VALU_DEP_1) | instskip(NEXT) | instid1(VALU_DEP_1)
	v_subrev_nc_u32_e32 v10, 28, v116
	v_lshlrev_b64_e32 v[10:11], v10, v[0:1]
	v_sub_nc_u32_e32 v11, 29, v116
	s_delay_alu instid0(VALU_DEP_2)
	v_and_b32_e32 v10, 7, v10
; %bb.1578:                             ;   in Loop: Header=BB307_1055 Depth=1
	s_wait_alu 0xfffe
	s_or_b32 exec_lo, exec_lo, s15
	v_lshlrev_b32_e32 v0, 8, v0
	v_lshl_add_u32 v11, v11, 10, 0x2000
	v_lshlrev_b32_e32 v10, 23, v10
	s_delay_alu instid0(VALU_DEP_2) | instskip(NEXT) | instid1(VALU_DEP_1)
	v_and_or_b32 v0, 0x8000, v0, v11
	v_lshl_or_b32 v10, v0, 16, v10
.LBB307_1579:                           ;   in Loop: Header=BB307_1055 Depth=1
	s_wait_alu 0xfffe
	s_or_b32 exec_lo, exec_lo, s14
.LBB307_1580:                           ;   in Loop: Header=BB307_1055 Depth=1
	s_wait_alu 0xfffe
	s_or_b32 exec_lo, exec_lo, s13
.LBB307_1581:                           ;   in Loop: Header=BB307_1055 Depth=1
	s_wait_alu 0xfffe
	s_or_b32 exec_lo, exec_lo, s12
	v_or_b32_e32 v0, v103, v112
	s_wait_loadcnt_dscnt 0x0
	v_fma_mixlo_f16 v11, v100, v103, 0 op_sel:[0,1,0] op_sel_hi:[0,1,0]
	v_or_b32_e32 v103, v101, v102
	v_fma_mixlo_f16 v101, v100, v101, 0 op_sel:[0,1,0] op_sel_hi:[0,1,0]
	v_or_b32_e32 v112, v115, v114
	v_or_b32_e32 v113, v10, v113
	v_fma_mixlo_f16 v114, v100, v0, 0 op_sel_hi:[0,1,0]
	v_fma_mixlo_f16 v10, v100, v10, 0 op_sel:[0,1,0] op_sel_hi:[0,1,0]
	v_lshlrev_b32_e32 v102, 16, v101
	v_fma_mixlo_f16 v101, v100, v103, 0 op_sel_hi:[0,1,0]
	v_fma_mixlo_f16 v103, v100, v115, 0 op_sel:[0,1,0] op_sel_hi:[0,1,0]
	v_fma_mixlo_f16 v112, v100, v112, 0 op_sel_hi:[0,1,0]
	v_fma_mixlo_f16 v113, v100, v113, 0 op_sel_hi:[0,1,0]
	v_lshlrev_b32_e32 v0, 16, v11
	v_and_b32_e32 v11, 0xffff, v114
	v_and_b32_e32 v116, 0xffff, v101
	v_lshlrev_b32_e32 v100, 16, v103
	v_and_b32_e32 v112, 0xffff, v112
	v_lshlrev_b32_e32 v10, 16, v10
	v_and_b32_e32 v101, 0xffff, v113
	v_or_b32_e32 v103, v0, v11
	v_or_b32_e32 v115, v102, v116
	;; [unrolled: 1-line block ×3, first 2 shown]
	s_delay_alu instid0(VALU_DEP_4)
	v_or_b32_e32 v113, v10, v101
	s_and_saveexec_b32 s12, vcc_lo
	s_cbranch_execz .LBB307_1583
; %bb.1582:                             ;   in Loop: Header=BB307_1055 Depth=1
	v_cmp_lt_i32_e64 s0, v35, v32
	s_wait_alu 0xf1ff
	s_delay_alu instid0(VALU_DEP_1) | instskip(SKIP_2) | instid1(VALU_DEP_1)
	v_cndmask_b32_e64 v103, 0, v116, s0
	v_cmp_lt_i32_e64 s0, v71, v32
	s_wait_alu 0xf1ff
	v_cndmask_b32_e64 v102, 0, v102, s0
	v_cmp_lt_i32_e64 s0, v70, v32
	s_delay_alu instid0(VALU_DEP_2) | instskip(SKIP_1) | instid1(VALU_DEP_2)
	v_or_b32_e32 v115, v103, v102
	s_wait_alu 0xf1ff
	v_cndmask_b32_e64 v11, 0, v11, s0
	v_cmp_lt_i32_e64 s0, v69, v32
	s_wait_alu 0xf1ff
	s_delay_alu instid0(VALU_DEP_1) | instskip(SKIP_1) | instid1(VALU_DEP_2)
	v_cndmask_b32_e64 v0, 0, v0, s0
	v_cmp_lt_i32_e64 s0, v68, v32
	v_or_b32_e32 v103, v11, v0
	s_wait_alu 0xf1ff
	s_delay_alu instid0(VALU_DEP_2) | instskip(SKIP_2) | instid1(VALU_DEP_1)
	v_cndmask_b32_e64 v112, 0, v112, s0
	v_cmp_lt_i32_e64 s0, v67, v32
	s_wait_alu 0xf1ff
	v_cndmask_b32_e64 v100, 0, v100, s0
	v_cmp_lt_i32_e64 s0, v66, v32
	s_delay_alu instid0(VALU_DEP_2) | instskip(SKIP_1) | instid1(VALU_DEP_2)
	v_or_b32_e32 v114, v112, v100
	s_wait_alu 0xf1ff
	v_cndmask_b32_e64 v101, 0, v101, s0
	v_cmp_lt_i32_e64 s0, v14, v32
	s_wait_alu 0xf1ff
	s_delay_alu instid0(VALU_DEP_1) | instskip(NEXT) | instid1(VALU_DEP_1)
	v_cndmask_b32_e64 v10, 0, v10, s0
	v_or_b32_e32 v113, v101, v10
.LBB307_1583:                           ;   in Loop: Header=BB307_1055 Depth=1
	s_wait_alu 0xfffe
	s_or_b32 exec_lo, exec_lo, s12
	;;#ASMSTART
	v_pk_mul_f16 v0, v64, v115;

	;;#ASMEND
	;;#ASMSTART
	v_pk_mul_f16 v10, v54, v103;

	;;#ASMEND
	;; [unrolled: 4-line block ×4, first 2 shown]
	;;#ASMSTART
	v_pk_add_f16 v0, v0, v10;

	;;#ASMEND
	;;#ASMSTART
	v_pk_add_f16 v0, v0, v11;

	;;#ASMEND
	;; [unrolled: 4-line block ×3, first 2 shown]
	v_dual_mov_b32 v103, 0 :: v_dual_and_b32 v10, 0xffff, v0
	v_lshrrev_b32_e32 v0, 16, v0
	;;#ASMSTART
	v_cvt_f32_f16 v100, v10;
	;;#ASMEND
	;;#ASMSTART
	v_cvt_f32_f16 v101, v0;
	;;#ASMEND
	flat_load_b64 v[10:11], v[8:9] offset:2048
	flat_load_b32 v102, v[26:27]
	v_mov_b32_e32 v112, 0
	s_mov_b32 s12, exec_lo
	s_wait_loadcnt_dscnt 0x101
	v_and_b32_e32 v0, 0xff, v10
	s_delay_alu instid0(VALU_DEP_1)
	v_cmpx_ne_u16_e32 0, v0
	s_cbranch_execz .LBB307_1591
; %bb.1584:                             ;   in Loop: Header=BB307_1055 Depth=1
	v_mov_b32_e32 v112, 0x8000
	s_mov_b32 s13, exec_lo
	v_cmpx_ne_u16_e32 0x80, v0
	s_cbranch_execz .LBB307_1590
; %bb.1585:                             ;   in Loop: Header=BB307_1055 Depth=1
	v_and_b32_e32 v113, 0x7f, v10
	v_mov_b32_e32 v112, 0x7c01
	s_mov_b32 s14, exec_lo
	s_delay_alu instid0(VALU_DEP_2)
	v_cmpx_ne_u32_e32 0x7f, v113
	s_cbranch_execz .LBB307_1589
; %bb.1586:                             ;   in Loop: Header=BB307_1055 Depth=1
	v_and_b32_e32 v0, 7, v10
	v_lshrrev_b32_e32 v112, 3, v113
	s_mov_b32 s15, exec_lo
	v_cmpx_gt_u32_e32 8, v113
; %bb.1587:                             ;   in Loop: Header=BB307_1055 Depth=1
	s_delay_alu instid0(VALU_DEP_3) | instskip(NEXT) | instid1(VALU_DEP_1)
	v_clz_i32_u32_e32 v0, v0
	v_min_u32_e32 v0, 32, v0
	s_delay_alu instid0(VALU_DEP_1) | instskip(NEXT) | instid1(VALU_DEP_1)
	v_subrev_nc_u32_e32 v112, 28, v0
	v_lshlrev_b64_e32 v[113:114], v112, v[10:11]
	v_sub_nc_u32_e32 v112, 29, v0
	s_delay_alu instid0(VALU_DEP_2)
	v_and_b32_e32 v0, 7, v113
; %bb.1588:                             ;   in Loop: Header=BB307_1055 Depth=1
	s_wait_alu 0xfffe
	s_or_b32 exec_lo, exec_lo, s15
	v_lshlrev_b32_e32 v113, 8, v10
	v_lshl_add_u32 v112, v112, 10, 0x2000
	v_lshlrev_b32_e32 v0, 7, v0
	s_delay_alu instid0(VALU_DEP_3) | instskip(NEXT) | instid1(VALU_DEP_3)
	v_and_b32_e32 v113, 0x8000, v113
	v_and_b32_e32 v112, 0xfc00, v112
	s_delay_alu instid0(VALU_DEP_1)
	v_or3_b32 v112, v113, v112, v0
.LBB307_1589:                           ;   in Loop: Header=BB307_1055 Depth=1
	s_wait_alu 0xfffe
	s_or_b32 exec_lo, exec_lo, s14
.LBB307_1590:                           ;   in Loop: Header=BB307_1055 Depth=1
	s_wait_alu 0xfffe
	s_or_b32 exec_lo, exec_lo, s13
.LBB307_1591:                           ;   in Loop: Header=BB307_1055 Depth=1
	s_wait_alu 0xfffe
	s_or_b32 exec_lo, exec_lo, s12
	v_lshrrev_b16 v0, 8, v10
	s_mov_b32 s12, exec_lo
	s_delay_alu instid0(VALU_DEP_1)
	v_cmpx_ne_u16_e32 0, v0
	s_cbranch_execz .LBB307_1599
; %bb.1592:                             ;   in Loop: Header=BB307_1055 Depth=1
	v_bfrev_b32_e32 v103, 1
	s_mov_b32 s13, exec_lo
	v_cmpx_ne_u16_e32 0x80, v0
	s_cbranch_execz .LBB307_1598
; %bb.1593:                             ;   in Loop: Header=BB307_1055 Depth=1
	v_and_b32_e32 v113, 0xffff, v0
	v_mov_b32_e32 v103, 0x7c010000
	s_mov_b32 s14, exec_lo
	s_delay_alu instid0(VALU_DEP_2) | instskip(NEXT) | instid1(VALU_DEP_1)
	v_and_b32_e32 v115, 0x7f, v113
	v_cmpx_ne_u32_e32 0x7f, v115
	s_cbranch_execz .LBB307_1597
; %bb.1594:                             ;   in Loop: Header=BB307_1055 Depth=1
	v_and_b32_e32 v103, 7, v113
	v_lshrrev_b32_e32 v114, 3, v115
	s_mov_b32 s15, exec_lo
	v_cmpx_gt_u32_e32 8, v115
; %bb.1595:                             ;   in Loop: Header=BB307_1055 Depth=1
	s_delay_alu instid0(VALU_DEP_3) | instskip(NEXT) | instid1(VALU_DEP_1)
	v_clz_i32_u32_e32 v103, v103
	v_min_u32_e32 v103, 32, v103
	s_delay_alu instid0(VALU_DEP_1) | instskip(NEXT) | instid1(VALU_DEP_1)
	v_subrev_nc_u32_e32 v114, 28, v103
	v_lshlrev_b64_e32 v[115:116], v114, v[0:1]
	v_sub_nc_u32_e32 v114, 29, v103
	s_delay_alu instid0(VALU_DEP_2)
	v_and_b32_e32 v103, 7, v115
; %bb.1596:                             ;   in Loop: Header=BB307_1055 Depth=1
	s_wait_alu 0xfffe
	s_or_b32 exec_lo, exec_lo, s15
	v_lshlrev_b32_e32 v0, 8, v113
	v_lshl_add_u32 v113, v114, 10, 0x2000
	v_lshlrev_b32_e32 v103, 23, v103
	s_delay_alu instid0(VALU_DEP_2) | instskip(NEXT) | instid1(VALU_DEP_1)
	v_and_or_b32 v0, 0x8000, v0, v113
	v_lshl_or_b32 v103, v0, 16, v103
.LBB307_1597:                           ;   in Loop: Header=BB307_1055 Depth=1
	s_wait_alu 0xfffe
	s_or_b32 exec_lo, exec_lo, s14
.LBB307_1598:                           ;   in Loop: Header=BB307_1055 Depth=1
	s_wait_alu 0xfffe
	s_or_b32 exec_lo, exec_lo, s13
.LBB307_1599:                           ;   in Loop: Header=BB307_1055 Depth=1
	s_wait_alu 0xfffe
	s_or_b32 exec_lo, exec_lo, s12
	v_lshrrev_b32_e32 v0, 16, v10
	v_mov_b32_e32 v113, 0
	s_mov_b32 s12, exec_lo
	s_delay_alu instid0(VALU_DEP_2) | instskip(NEXT) | instid1(VALU_DEP_1)
	v_dual_mov_b32 v114, 0 :: v_dual_and_b32 v115, 0xff, v0
	v_cmpx_ne_u16_e32 0, v115
	s_cbranch_execz .LBB307_1607
; %bb.1600:                             ;   in Loop: Header=BB307_1055 Depth=1
	v_mov_b32_e32 v114, 0x8000
	s_mov_b32 s13, exec_lo
	v_cmpx_ne_u16_e32 0x80, v115
	s_cbranch_execz .LBB307_1606
; %bb.1601:                             ;   in Loop: Header=BB307_1055 Depth=1
	v_bfe_u32 v116, v10, 16, 7
	v_mov_b32_e32 v114, 0x7c01
	s_mov_b32 s14, exec_lo
	s_delay_alu instid0(VALU_DEP_2)
	v_cmpx_ne_u32_e32 0x7f, v116
	s_cbranch_execz .LBB307_1605
; %bb.1602:                             ;   in Loop: Header=BB307_1055 Depth=1
	v_and_b32_e32 v114, 7, v0
	v_lshrrev_b32_e32 v115, 3, v116
	s_mov_b32 s15, exec_lo
	v_cmpx_gt_u32_e32 8, v116
; %bb.1603:                             ;   in Loop: Header=BB307_1055 Depth=1
	s_delay_alu instid0(VALU_DEP_3) | instskip(NEXT) | instid1(VALU_DEP_1)
	v_clz_i32_u32_e32 v114, v114
	v_min_u32_e32 v116, 32, v114
	s_delay_alu instid0(VALU_DEP_1) | instskip(NEXT) | instid1(VALU_DEP_1)
	v_subrev_nc_u32_e32 v114, 28, v116
	v_lshlrev_b64_e32 v[114:115], v114, v[0:1]
	v_sub_nc_u32_e32 v115, 29, v116
	s_delay_alu instid0(VALU_DEP_2)
	v_and_b32_e32 v114, 7, v114
; %bb.1604:                             ;   in Loop: Header=BB307_1055 Depth=1
	s_wait_alu 0xfffe
	s_or_b32 exec_lo, exec_lo, s15
	v_lshlrev_b32_e32 v0, 8, v0
	v_lshl_add_u32 v115, v115, 10, 0x2000
	v_lshlrev_b32_e32 v114, 7, v114
	s_delay_alu instid0(VALU_DEP_3) | instskip(NEXT) | instid1(VALU_DEP_3)
	v_and_b32_e32 v0, 0x8000, v0
	v_and_b32_e32 v115, 0xfc00, v115
	s_delay_alu instid0(VALU_DEP_1)
	v_or3_b32 v114, v0, v115, v114
.LBB307_1605:                           ;   in Loop: Header=BB307_1055 Depth=1
	s_wait_alu 0xfffe
	s_or_b32 exec_lo, exec_lo, s14
.LBB307_1606:                           ;   in Loop: Header=BB307_1055 Depth=1
	s_wait_alu 0xfffe
	s_or_b32 exec_lo, exec_lo, s13
.LBB307_1607:                           ;   in Loop: Header=BB307_1055 Depth=1
	s_wait_alu 0xfffe
	s_or_b32 exec_lo, exec_lo, s12
	s_delay_alu instid0(SALU_CYCLE_1)
	s_mov_b32 s12, exec_lo
	v_cmpx_lt_u32_e32 0xffffff, v10
	s_cbranch_execz .LBB307_1615
; %bb.1608:                             ;   in Loop: Header=BB307_1055 Depth=1
	v_lshrrev_b32_e32 v0, 24, v10
	v_bfrev_b32_e32 v113, 1
	s_mov_b32 s13, exec_lo
	s_delay_alu instid0(VALU_DEP_2)
	v_cmpx_ne_u32_e32 0x80, v0
	s_cbranch_execz .LBB307_1614
; %bb.1609:                             ;   in Loop: Header=BB307_1055 Depth=1
	v_and_b32_e32 v116, 0x7f, v0
	v_mov_b32_e32 v113, 0x7c010000
	s_mov_b32 s14, exec_lo
	s_delay_alu instid0(VALU_DEP_2)
	v_cmpx_ne_u32_e32 0x7f, v116
	s_cbranch_execz .LBB307_1613
; %bb.1610:                             ;   in Loop: Header=BB307_1055 Depth=1
	v_and_b32_e32 v113, 7, v0
	v_lshrrev_b32_e32 v115, 3, v116
	s_mov_b32 s15, exec_lo
	v_cmpx_gt_u32_e32 8, v116
; %bb.1611:                             ;   in Loop: Header=BB307_1055 Depth=1
	s_delay_alu instid0(VALU_DEP_3) | instskip(NEXT) | instid1(VALU_DEP_1)
	v_clz_i32_u32_e32 v113, v113
	v_min_u32_e32 v113, 32, v113
	s_delay_alu instid0(VALU_DEP_1) | instskip(NEXT) | instid1(VALU_DEP_1)
	v_subrev_nc_u32_e32 v115, 28, v113
	v_lshlrev_b64_e32 v[116:117], v115, v[0:1]
	v_sub_nc_u32_e32 v115, 29, v113
	s_delay_alu instid0(VALU_DEP_2)
	v_and_b32_e32 v113, 7, v116
; %bb.1612:                             ;   in Loop: Header=BB307_1055 Depth=1
	s_wait_alu 0xfffe
	s_or_b32 exec_lo, exec_lo, s15
	v_lshlrev_b32_e32 v0, 8, v0
	v_lshl_add_u32 v115, v115, 10, 0x2000
	v_lshlrev_b32_e32 v113, 23, v113
	s_delay_alu instid0(VALU_DEP_2) | instskip(NEXT) | instid1(VALU_DEP_1)
	v_and_or_b32 v0, 0x8000, v0, v115
	v_lshl_or_b32 v113, v0, 16, v113
.LBB307_1613:                           ;   in Loop: Header=BB307_1055 Depth=1
	s_wait_alu 0xfffe
	s_or_b32 exec_lo, exec_lo, s14
.LBB307_1614:                           ;   in Loop: Header=BB307_1055 Depth=1
	s_wait_alu 0xfffe
	s_or_b32 exec_lo, exec_lo, s13
.LBB307_1615:                           ;   in Loop: Header=BB307_1055 Depth=1
	s_wait_alu 0xfffe
	s_or_b32 exec_lo, exec_lo, s12
	v_dual_mov_b32 v0, v11 :: v_dual_and_b32 v117, 0xff, v11
	v_dual_mov_b32 v115, 0 :: v_dual_mov_b32 v116, 0
	s_mov_b32 s12, exec_lo
	s_delay_alu instid0(VALU_DEP_2)
	v_cmpx_ne_u16_e32 0, v117
	s_cbranch_execz .LBB307_1623
; %bb.1616:                             ;   in Loop: Header=BB307_1055 Depth=1
	v_mov_b32_e32 v116, 0x8000
	s_mov_b32 s13, exec_lo
	v_cmpx_ne_u16_e32 0x80, v117
	s_cbranch_execz .LBB307_1622
; %bb.1617:                             ;   in Loop: Header=BB307_1055 Depth=1
	v_and_b32_e32 v118, 0x7f, v11
	v_mov_b32_e32 v116, 0x7c01
	s_mov_b32 s14, exec_lo
	s_delay_alu instid0(VALU_DEP_2)
	v_cmpx_ne_u32_e32 0x7f, v118
	s_cbranch_execz .LBB307_1621
; %bb.1618:                             ;   in Loop: Header=BB307_1055 Depth=1
	v_and_b32_e32 v116, 7, v11
	v_lshrrev_b32_e32 v117, 3, v118
	s_mov_b32 s15, exec_lo
	v_cmpx_gt_u32_e32 8, v118
; %bb.1619:                             ;   in Loop: Header=BB307_1055 Depth=1
	s_delay_alu instid0(VALU_DEP_3) | instskip(NEXT) | instid1(VALU_DEP_1)
	v_clz_i32_u32_e32 v116, v116
	v_min_u32_e32 v118, 32, v116
	s_delay_alu instid0(VALU_DEP_1) | instskip(NEXT) | instid1(VALU_DEP_1)
	v_subrev_nc_u32_e32 v116, 28, v118
	v_lshlrev_b64_e32 v[116:117], v116, v[0:1]
	v_sub_nc_u32_e32 v117, 29, v118
	s_delay_alu instid0(VALU_DEP_2)
	v_and_b32_e32 v116, 7, v116
; %bb.1620:                             ;   in Loop: Header=BB307_1055 Depth=1
	s_wait_alu 0xfffe
	s_or_b32 exec_lo, exec_lo, s15
	v_lshlrev_b32_e32 v118, 8, v11
	v_lshl_add_u32 v117, v117, 10, 0x2000
	v_lshlrev_b32_e32 v116, 7, v116
	s_delay_alu instid0(VALU_DEP_3) | instskip(NEXT) | instid1(VALU_DEP_3)
	v_and_b32_e32 v118, 0x8000, v118
	v_and_b32_e32 v117, 0xfc00, v117
	s_delay_alu instid0(VALU_DEP_1)
	v_or3_b32 v116, v118, v117, v116
.LBB307_1621:                           ;   in Loop: Header=BB307_1055 Depth=1
	s_wait_alu 0xfffe
	s_or_b32 exec_lo, exec_lo, s14
.LBB307_1622:                           ;   in Loop: Header=BB307_1055 Depth=1
	s_wait_alu 0xfffe
	s_or_b32 exec_lo, exec_lo, s13
.LBB307_1623:                           ;   in Loop: Header=BB307_1055 Depth=1
	s_wait_alu 0xfffe
	s_or_b32 exec_lo, exec_lo, s12
	v_lshrrev_b16 v0, 8, v0
	v_mov_b32_e32 v117, 0
	s_mov_b32 s12, exec_lo
	s_delay_alu instid0(VALU_DEP_2)
	v_cmpx_ne_u16_e32 0, v0
	s_cbranch_execz .LBB307_1631
; %bb.1624:                             ;   in Loop: Header=BB307_1055 Depth=1
	v_bfrev_b32_e32 v117, 1
	s_mov_b32 s13, exec_lo
	v_cmpx_ne_u16_e32 0x80, v0
	s_cbranch_execz .LBB307_1630
; %bb.1625:                             ;   in Loop: Header=BB307_1055 Depth=1
	v_and_b32_e32 v118, 0xffff, v0
	v_mov_b32_e32 v117, 0x7c010000
	s_mov_b32 s14, exec_lo
	s_delay_alu instid0(VALU_DEP_2) | instskip(NEXT) | instid1(VALU_DEP_1)
	v_and_b32_e32 v128, 0x7f, v118
	v_cmpx_ne_u32_e32 0x7f, v128
	s_cbranch_execz .LBB307_1629
; %bb.1626:                             ;   in Loop: Header=BB307_1055 Depth=1
	v_and_b32_e32 v117, 7, v118
	v_lshrrev_b32_e32 v119, 3, v128
	s_mov_b32 s15, exec_lo
	v_cmpx_gt_u32_e32 8, v128
; %bb.1627:                             ;   in Loop: Header=BB307_1055 Depth=1
	s_delay_alu instid0(VALU_DEP_3) | instskip(NEXT) | instid1(VALU_DEP_1)
	v_clz_i32_u32_e32 v117, v117
	v_min_u32_e32 v117, 32, v117
	s_delay_alu instid0(VALU_DEP_1) | instskip(NEXT) | instid1(VALU_DEP_1)
	v_subrev_nc_u32_e32 v119, 28, v117
	v_lshlrev_b64_e32 v[128:129], v119, v[0:1]
	v_sub_nc_u32_e32 v119, 29, v117
	s_delay_alu instid0(VALU_DEP_2)
	v_and_b32_e32 v117, 7, v128
; %bb.1628:                             ;   in Loop: Header=BB307_1055 Depth=1
	s_wait_alu 0xfffe
	s_or_b32 exec_lo, exec_lo, s15
	v_lshlrev_b32_e32 v0, 8, v118
	v_lshl_add_u32 v118, v119, 10, 0x2000
	v_lshlrev_b32_e32 v117, 23, v117
	s_delay_alu instid0(VALU_DEP_2) | instskip(NEXT) | instid1(VALU_DEP_1)
	v_and_or_b32 v0, 0x8000, v0, v118
	v_lshl_or_b32 v117, v0, 16, v117
.LBB307_1629:                           ;   in Loop: Header=BB307_1055 Depth=1
	s_wait_alu 0xfffe
	s_or_b32 exec_lo, exec_lo, s14
.LBB307_1630:                           ;   in Loop: Header=BB307_1055 Depth=1
	s_wait_alu 0xfffe
	s_or_b32 exec_lo, exec_lo, s13
.LBB307_1631:                           ;   in Loop: Header=BB307_1055 Depth=1
	s_wait_alu 0xfffe
	s_or_b32 exec_lo, exec_lo, s12
	v_lshrrev_b32_e32 v0, 16, v11
	s_mov_b32 s12, exec_lo
	s_delay_alu instid0(VALU_DEP_1) | instskip(NEXT) | instid1(VALU_DEP_1)
	v_and_b32_e32 v118, 0xff, v0
	v_cmpx_ne_u16_e32 0, v118
	s_cbranch_execz .LBB307_1639
; %bb.1632:                             ;   in Loop: Header=BB307_1055 Depth=1
	v_mov_b32_e32 v115, 0x8000
	s_mov_b32 s13, exec_lo
	v_cmpx_ne_u16_e32 0x80, v118
	s_cbranch_execz .LBB307_1638
; %bb.1633:                             ;   in Loop: Header=BB307_1055 Depth=1
	v_bfe_u32 v119, v11, 16, 7
	v_mov_b32_e32 v115, 0x7c01
	s_mov_b32 s14, exec_lo
	s_delay_alu instid0(VALU_DEP_2)
	v_cmpx_ne_u32_e32 0x7f, v119
	s_cbranch_execz .LBB307_1637
; %bb.1634:                             ;   in Loop: Header=BB307_1055 Depth=1
	v_and_b32_e32 v115, 7, v0
	v_lshrrev_b32_e32 v118, 3, v119
	s_mov_b32 s15, exec_lo
	v_cmpx_gt_u32_e32 8, v119
; %bb.1635:                             ;   in Loop: Header=BB307_1055 Depth=1
	s_delay_alu instid0(VALU_DEP_3) | instskip(NEXT) | instid1(VALU_DEP_1)
	v_clz_i32_u32_e32 v115, v115
	v_min_u32_e32 v115, 32, v115
	s_delay_alu instid0(VALU_DEP_1) | instskip(NEXT) | instid1(VALU_DEP_1)
	v_subrev_nc_u32_e32 v118, 28, v115
	v_lshlrev_b64_e32 v[128:129], v118, v[0:1]
	v_sub_nc_u32_e32 v118, 29, v115
	s_delay_alu instid0(VALU_DEP_2)
	v_and_b32_e32 v115, 7, v128
; %bb.1636:                             ;   in Loop: Header=BB307_1055 Depth=1
	s_wait_alu 0xfffe
	s_or_b32 exec_lo, exec_lo, s15
	v_lshlrev_b32_e32 v0, 8, v0
	v_lshl_add_u32 v118, v118, 10, 0x2000
	v_lshlrev_b32_e32 v115, 7, v115
	s_delay_alu instid0(VALU_DEP_3) | instskip(NEXT) | instid1(VALU_DEP_3)
	v_and_b32_e32 v0, 0x8000, v0
	v_and_b32_e32 v118, 0xfc00, v118
	s_delay_alu instid0(VALU_DEP_1)
	v_or3_b32 v115, v0, v118, v115
.LBB307_1637:                           ;   in Loop: Header=BB307_1055 Depth=1
	s_wait_alu 0xfffe
	s_or_b32 exec_lo, exec_lo, s14
.LBB307_1638:                           ;   in Loop: Header=BB307_1055 Depth=1
	s_wait_alu 0xfffe
	s_or_b32 exec_lo, exec_lo, s13
.LBB307_1639:                           ;   in Loop: Header=BB307_1055 Depth=1
	s_wait_alu 0xfffe
	s_or_b32 exec_lo, exec_lo, s12
	v_cmp_lt_u64_e64 s0, s[8:9], v[10:11]
	v_mov_b32_e32 v10, 0
	s_and_saveexec_b32 s12, s0
	s_cbranch_execz .LBB307_1647
; %bb.1640:                             ;   in Loop: Header=BB307_1055 Depth=1
	v_lshrrev_b32_e32 v0, 24, v11
	v_bfrev_b32_e32 v10, 1
	s_mov_b32 s13, exec_lo
	s_delay_alu instid0(VALU_DEP_2)
	v_cmpx_ne_u32_e32 0x80, v0
	s_cbranch_execz .LBB307_1646
; %bb.1641:                             ;   in Loop: Header=BB307_1055 Depth=1
	v_and_b32_e32 v118, 0x7f, v0
	v_mov_b32_e32 v10, 0x7c010000
	s_mov_b32 s14, exec_lo
	s_delay_alu instid0(VALU_DEP_2)
	v_cmpx_ne_u32_e32 0x7f, v118
	s_cbranch_execz .LBB307_1645
; %bb.1642:                             ;   in Loop: Header=BB307_1055 Depth=1
	v_and_b32_e32 v10, 7, v0
	v_lshrrev_b32_e32 v11, 3, v118
	s_mov_b32 s15, exec_lo
	v_cmpx_gt_u32_e32 8, v118
; %bb.1643:                             ;   in Loop: Header=BB307_1055 Depth=1
	s_delay_alu instid0(VALU_DEP_3) | instskip(NEXT) | instid1(VALU_DEP_1)
	v_clz_i32_u32_e32 v10, v10
	v_min_u32_e32 v118, 32, v10
	s_delay_alu instid0(VALU_DEP_1) | instskip(NEXT) | instid1(VALU_DEP_1)
	v_subrev_nc_u32_e32 v10, 28, v118
	v_lshlrev_b64_e32 v[10:11], v10, v[0:1]
	v_sub_nc_u32_e32 v11, 29, v118
	s_delay_alu instid0(VALU_DEP_2)
	v_and_b32_e32 v10, 7, v10
; %bb.1644:                             ;   in Loop: Header=BB307_1055 Depth=1
	s_wait_alu 0xfffe
	s_or_b32 exec_lo, exec_lo, s15
	v_lshlrev_b32_e32 v0, 8, v0
	v_lshl_add_u32 v11, v11, 10, 0x2000
	v_lshlrev_b32_e32 v10, 23, v10
	s_delay_alu instid0(VALU_DEP_2) | instskip(NEXT) | instid1(VALU_DEP_1)
	v_and_or_b32 v0, 0x8000, v0, v11
	v_lshl_or_b32 v10, v0, 16, v10
.LBB307_1645:                           ;   in Loop: Header=BB307_1055 Depth=1
	s_wait_alu 0xfffe
	s_or_b32 exec_lo, exec_lo, s14
.LBB307_1646:                           ;   in Loop: Header=BB307_1055 Depth=1
	s_wait_alu 0xfffe
	s_or_b32 exec_lo, exec_lo, s13
.LBB307_1647:                           ;   in Loop: Header=BB307_1055 Depth=1
	s_wait_alu 0xfffe
	s_or_b32 exec_lo, exec_lo, s12
	v_or_b32_e32 v0, v113, v114
	s_wait_loadcnt_dscnt 0x0
	v_fma_mixlo_f16 v11, v102, v113, 0 op_sel:[0,1,0] op_sel_hi:[0,1,0]
	v_or_b32_e32 v113, v103, v112
	v_fma_mixlo_f16 v103, v102, v103, 0 op_sel:[0,1,0] op_sel_hi:[0,1,0]
	v_or_b32_e32 v114, v117, v116
	v_or_b32_e32 v115, v10, v115
	v_fma_mixlo_f16 v116, v102, v0, 0 op_sel_hi:[0,1,0]
	v_fma_mixlo_f16 v10, v102, v10, 0 op_sel:[0,1,0] op_sel_hi:[0,1,0]
	v_lshlrev_b32_e32 v112, 16, v103
	v_fma_mixlo_f16 v103, v102, v113, 0 op_sel_hi:[0,1,0]
	v_fma_mixlo_f16 v113, v102, v117, 0 op_sel:[0,1,0] op_sel_hi:[0,1,0]
	v_fma_mixlo_f16 v114, v102, v114, 0 op_sel_hi:[0,1,0]
	v_fma_mixlo_f16 v115, v102, v115, 0 op_sel_hi:[0,1,0]
	v_lshlrev_b32_e32 v0, 16, v11
	v_and_b32_e32 v11, 0xffff, v116
	v_and_b32_e32 v118, 0xffff, v103
	v_lshlrev_b32_e32 v102, 16, v113
	v_and_b32_e32 v114, 0xffff, v114
	v_lshlrev_b32_e32 v10, 16, v10
	v_and_b32_e32 v103, 0xffff, v115
	v_or_b32_e32 v113, v0, v11
	v_or_b32_e32 v117, v112, v118
	;; [unrolled: 1-line block ×3, first 2 shown]
	s_delay_alu instid0(VALU_DEP_4)
	v_or_b32_e32 v115, v10, v103
	s_and_saveexec_b32 s12, vcc_lo
	s_cbranch_execz .LBB307_1649
; %bb.1648:                             ;   in Loop: Header=BB307_1055 Depth=1
	v_cmp_lt_i32_e64 s0, v35, v32
	s_wait_alu 0xf1ff
	s_delay_alu instid0(VALU_DEP_1) | instskip(SKIP_2) | instid1(VALU_DEP_1)
	v_cndmask_b32_e64 v113, 0, v118, s0
	v_cmp_lt_i32_e64 s0, v71, v32
	s_wait_alu 0xf1ff
	v_cndmask_b32_e64 v112, 0, v112, s0
	v_cmp_lt_i32_e64 s0, v70, v32
	s_delay_alu instid0(VALU_DEP_2) | instskip(SKIP_1) | instid1(VALU_DEP_2)
	v_or_b32_e32 v117, v113, v112
	s_wait_alu 0xf1ff
	v_cndmask_b32_e64 v11, 0, v11, s0
	v_cmp_lt_i32_e64 s0, v69, v32
	s_wait_alu 0xf1ff
	s_delay_alu instid0(VALU_DEP_1) | instskip(SKIP_1) | instid1(VALU_DEP_2)
	v_cndmask_b32_e64 v0, 0, v0, s0
	v_cmp_lt_i32_e64 s0, v68, v32
	v_or_b32_e32 v113, v11, v0
	s_wait_alu 0xf1ff
	s_delay_alu instid0(VALU_DEP_2) | instskip(SKIP_2) | instid1(VALU_DEP_1)
	v_cndmask_b32_e64 v114, 0, v114, s0
	v_cmp_lt_i32_e64 s0, v67, v32
	s_wait_alu 0xf1ff
	v_cndmask_b32_e64 v102, 0, v102, s0
	v_cmp_lt_i32_e64 s0, v66, v32
	s_delay_alu instid0(VALU_DEP_2) | instskip(SKIP_1) | instid1(VALU_DEP_2)
	v_or_b32_e32 v116, v114, v102
	s_wait_alu 0xf1ff
	v_cndmask_b32_e64 v103, 0, v103, s0
	v_cmp_lt_i32_e64 s0, v14, v32
	s_wait_alu 0xf1ff
	s_delay_alu instid0(VALU_DEP_1) | instskip(NEXT) | instid1(VALU_DEP_1)
	v_cndmask_b32_e64 v10, 0, v10, s0
	v_or_b32_e32 v115, v103, v10
.LBB307_1649:                           ;   in Loop: Header=BB307_1055 Depth=1
	s_wait_alu 0xfffe
	s_or_b32 exec_lo, exec_lo, s12
	;;#ASMSTART
	v_pk_mul_f16 v0, v64, v117;

	;;#ASMEND
	;;#ASMSTART
	v_pk_mul_f16 v10, v54, v113;

	;;#ASMEND
	;; [unrolled: 4-line block ×4, first 2 shown]
	;;#ASMSTART
	v_pk_add_f16 v0, v0, v10;

	;;#ASMEND
	;;#ASMSTART
	v_pk_add_f16 v0, v0, v11;

	;;#ASMEND
	;; [unrolled: 4-line block ×3, first 2 shown]
	v_dual_mov_b32 v113, 0 :: v_dual_and_b32 v10, 0xffff, v0
	v_lshrrev_b32_e32 v0, 16, v0
	;;#ASMSTART
	v_cvt_f32_f16 v102, v10;
	;;#ASMEND
	;;#ASMSTART
	v_cvt_f32_f16 v103, v0;
	;;#ASMEND
	flat_load_b64 v[10:11], v[8:9] offset:2304
	flat_load_b32 v112, v[26:27]
	v_mov_b32_e32 v114, 0
	s_mov_b32 s12, exec_lo
	s_wait_loadcnt_dscnt 0x101
	v_and_b32_e32 v0, 0xff, v10
	s_delay_alu instid0(VALU_DEP_1)
	v_cmpx_ne_u16_e32 0, v0
	s_cbranch_execz .LBB307_1657
; %bb.1650:                             ;   in Loop: Header=BB307_1055 Depth=1
	v_mov_b32_e32 v114, 0x8000
	s_mov_b32 s13, exec_lo
	v_cmpx_ne_u16_e32 0x80, v0
	s_cbranch_execz .LBB307_1656
; %bb.1651:                             ;   in Loop: Header=BB307_1055 Depth=1
	v_and_b32_e32 v115, 0x7f, v10
	v_mov_b32_e32 v114, 0x7c01
	s_mov_b32 s14, exec_lo
	s_delay_alu instid0(VALU_DEP_2)
	v_cmpx_ne_u32_e32 0x7f, v115
	s_cbranch_execz .LBB307_1655
; %bb.1652:                             ;   in Loop: Header=BB307_1055 Depth=1
	v_and_b32_e32 v0, 7, v10
	v_lshrrev_b32_e32 v114, 3, v115
	s_mov_b32 s15, exec_lo
	v_cmpx_gt_u32_e32 8, v115
; %bb.1653:                             ;   in Loop: Header=BB307_1055 Depth=1
	s_delay_alu instid0(VALU_DEP_3) | instskip(NEXT) | instid1(VALU_DEP_1)
	v_clz_i32_u32_e32 v0, v0
	v_min_u32_e32 v0, 32, v0
	s_delay_alu instid0(VALU_DEP_1) | instskip(NEXT) | instid1(VALU_DEP_1)
	v_subrev_nc_u32_e32 v114, 28, v0
	v_lshlrev_b64_e32 v[115:116], v114, v[10:11]
	v_sub_nc_u32_e32 v114, 29, v0
	s_delay_alu instid0(VALU_DEP_2)
	v_and_b32_e32 v0, 7, v115
; %bb.1654:                             ;   in Loop: Header=BB307_1055 Depth=1
	s_wait_alu 0xfffe
	s_or_b32 exec_lo, exec_lo, s15
	v_lshlrev_b32_e32 v115, 8, v10
	v_lshl_add_u32 v114, v114, 10, 0x2000
	v_lshlrev_b32_e32 v0, 7, v0
	s_delay_alu instid0(VALU_DEP_3) | instskip(NEXT) | instid1(VALU_DEP_3)
	v_and_b32_e32 v115, 0x8000, v115
	v_and_b32_e32 v114, 0xfc00, v114
	s_delay_alu instid0(VALU_DEP_1)
	v_or3_b32 v114, v115, v114, v0
.LBB307_1655:                           ;   in Loop: Header=BB307_1055 Depth=1
	s_wait_alu 0xfffe
	s_or_b32 exec_lo, exec_lo, s14
.LBB307_1656:                           ;   in Loop: Header=BB307_1055 Depth=1
	s_wait_alu 0xfffe
	s_or_b32 exec_lo, exec_lo, s13
.LBB307_1657:                           ;   in Loop: Header=BB307_1055 Depth=1
	s_wait_alu 0xfffe
	s_or_b32 exec_lo, exec_lo, s12
	v_lshrrev_b16 v0, 8, v10
	s_mov_b32 s12, exec_lo
	s_delay_alu instid0(VALU_DEP_1)
	v_cmpx_ne_u16_e32 0, v0
	s_cbranch_execz .LBB307_1665
; %bb.1658:                             ;   in Loop: Header=BB307_1055 Depth=1
	v_bfrev_b32_e32 v113, 1
	s_mov_b32 s13, exec_lo
	v_cmpx_ne_u16_e32 0x80, v0
	s_cbranch_execz .LBB307_1664
; %bb.1659:                             ;   in Loop: Header=BB307_1055 Depth=1
	v_and_b32_e32 v115, 0xffff, v0
	v_mov_b32_e32 v113, 0x7c010000
	s_mov_b32 s14, exec_lo
	s_delay_alu instid0(VALU_DEP_2) | instskip(NEXT) | instid1(VALU_DEP_1)
	v_and_b32_e32 v117, 0x7f, v115
	v_cmpx_ne_u32_e32 0x7f, v117
	s_cbranch_execz .LBB307_1663
; %bb.1660:                             ;   in Loop: Header=BB307_1055 Depth=1
	v_and_b32_e32 v113, 7, v115
	v_lshrrev_b32_e32 v116, 3, v117
	s_mov_b32 s15, exec_lo
	v_cmpx_gt_u32_e32 8, v117
; %bb.1661:                             ;   in Loop: Header=BB307_1055 Depth=1
	s_delay_alu instid0(VALU_DEP_3) | instskip(NEXT) | instid1(VALU_DEP_1)
	v_clz_i32_u32_e32 v113, v113
	v_min_u32_e32 v113, 32, v113
	s_delay_alu instid0(VALU_DEP_1) | instskip(NEXT) | instid1(VALU_DEP_1)
	v_subrev_nc_u32_e32 v116, 28, v113
	v_lshlrev_b64_e32 v[117:118], v116, v[0:1]
	v_sub_nc_u32_e32 v116, 29, v113
	s_delay_alu instid0(VALU_DEP_2)
	v_and_b32_e32 v113, 7, v117
; %bb.1662:                             ;   in Loop: Header=BB307_1055 Depth=1
	s_wait_alu 0xfffe
	s_or_b32 exec_lo, exec_lo, s15
	v_lshlrev_b32_e32 v0, 8, v115
	v_lshl_add_u32 v115, v116, 10, 0x2000
	v_lshlrev_b32_e32 v113, 23, v113
	s_delay_alu instid0(VALU_DEP_2) | instskip(NEXT) | instid1(VALU_DEP_1)
	v_and_or_b32 v0, 0x8000, v0, v115
	v_lshl_or_b32 v113, v0, 16, v113
.LBB307_1663:                           ;   in Loop: Header=BB307_1055 Depth=1
	s_wait_alu 0xfffe
	s_or_b32 exec_lo, exec_lo, s14
.LBB307_1664:                           ;   in Loop: Header=BB307_1055 Depth=1
	s_wait_alu 0xfffe
	s_or_b32 exec_lo, exec_lo, s13
.LBB307_1665:                           ;   in Loop: Header=BB307_1055 Depth=1
	s_wait_alu 0xfffe
	s_or_b32 exec_lo, exec_lo, s12
	v_lshrrev_b32_e32 v0, 16, v10
	v_mov_b32_e32 v115, 0
	s_mov_b32 s12, exec_lo
	s_delay_alu instid0(VALU_DEP_2) | instskip(NEXT) | instid1(VALU_DEP_1)
	v_dual_mov_b32 v116, 0 :: v_dual_and_b32 v117, 0xff, v0
	v_cmpx_ne_u16_e32 0, v117
	s_cbranch_execz .LBB307_1673
; %bb.1666:                             ;   in Loop: Header=BB307_1055 Depth=1
	v_mov_b32_e32 v116, 0x8000
	s_mov_b32 s13, exec_lo
	v_cmpx_ne_u16_e32 0x80, v117
	s_cbranch_execz .LBB307_1672
; %bb.1667:                             ;   in Loop: Header=BB307_1055 Depth=1
	v_bfe_u32 v118, v10, 16, 7
	v_mov_b32_e32 v116, 0x7c01
	s_mov_b32 s14, exec_lo
	s_delay_alu instid0(VALU_DEP_2)
	v_cmpx_ne_u32_e32 0x7f, v118
	s_cbranch_execz .LBB307_1671
; %bb.1668:                             ;   in Loop: Header=BB307_1055 Depth=1
	v_and_b32_e32 v116, 7, v0
	v_lshrrev_b32_e32 v117, 3, v118
	s_mov_b32 s15, exec_lo
	v_cmpx_gt_u32_e32 8, v118
; %bb.1669:                             ;   in Loop: Header=BB307_1055 Depth=1
	s_delay_alu instid0(VALU_DEP_3) | instskip(NEXT) | instid1(VALU_DEP_1)
	v_clz_i32_u32_e32 v116, v116
	v_min_u32_e32 v118, 32, v116
	s_delay_alu instid0(VALU_DEP_1) | instskip(NEXT) | instid1(VALU_DEP_1)
	v_subrev_nc_u32_e32 v116, 28, v118
	v_lshlrev_b64_e32 v[116:117], v116, v[0:1]
	v_sub_nc_u32_e32 v117, 29, v118
	s_delay_alu instid0(VALU_DEP_2)
	v_and_b32_e32 v116, 7, v116
; %bb.1670:                             ;   in Loop: Header=BB307_1055 Depth=1
	s_wait_alu 0xfffe
	s_or_b32 exec_lo, exec_lo, s15
	v_lshlrev_b32_e32 v0, 8, v0
	v_lshl_add_u32 v117, v117, 10, 0x2000
	v_lshlrev_b32_e32 v116, 7, v116
	s_delay_alu instid0(VALU_DEP_3) | instskip(NEXT) | instid1(VALU_DEP_3)
	v_and_b32_e32 v0, 0x8000, v0
	v_and_b32_e32 v117, 0xfc00, v117
	s_delay_alu instid0(VALU_DEP_1)
	v_or3_b32 v116, v0, v117, v116
.LBB307_1671:                           ;   in Loop: Header=BB307_1055 Depth=1
	s_wait_alu 0xfffe
	s_or_b32 exec_lo, exec_lo, s14
.LBB307_1672:                           ;   in Loop: Header=BB307_1055 Depth=1
	s_wait_alu 0xfffe
	s_or_b32 exec_lo, exec_lo, s13
.LBB307_1673:                           ;   in Loop: Header=BB307_1055 Depth=1
	s_wait_alu 0xfffe
	s_or_b32 exec_lo, exec_lo, s12
	s_delay_alu instid0(SALU_CYCLE_1)
	s_mov_b32 s12, exec_lo
	v_cmpx_lt_u32_e32 0xffffff, v10
	s_cbranch_execz .LBB307_1681
; %bb.1674:                             ;   in Loop: Header=BB307_1055 Depth=1
	v_lshrrev_b32_e32 v0, 24, v10
	v_bfrev_b32_e32 v115, 1
	s_mov_b32 s13, exec_lo
	s_delay_alu instid0(VALU_DEP_2)
	v_cmpx_ne_u32_e32 0x80, v0
	s_cbranch_execz .LBB307_1680
; %bb.1675:                             ;   in Loop: Header=BB307_1055 Depth=1
	v_and_b32_e32 v118, 0x7f, v0
	v_mov_b32_e32 v115, 0x7c010000
	s_mov_b32 s14, exec_lo
	s_delay_alu instid0(VALU_DEP_2)
	v_cmpx_ne_u32_e32 0x7f, v118
	s_cbranch_execz .LBB307_1679
; %bb.1676:                             ;   in Loop: Header=BB307_1055 Depth=1
	v_and_b32_e32 v115, 7, v0
	v_lshrrev_b32_e32 v117, 3, v118
	s_mov_b32 s15, exec_lo
	v_cmpx_gt_u32_e32 8, v118
; %bb.1677:                             ;   in Loop: Header=BB307_1055 Depth=1
	s_delay_alu instid0(VALU_DEP_3) | instskip(NEXT) | instid1(VALU_DEP_1)
	v_clz_i32_u32_e32 v115, v115
	v_min_u32_e32 v115, 32, v115
	s_delay_alu instid0(VALU_DEP_1) | instskip(NEXT) | instid1(VALU_DEP_1)
	v_subrev_nc_u32_e32 v117, 28, v115
	v_lshlrev_b64_e32 v[118:119], v117, v[0:1]
	v_sub_nc_u32_e32 v117, 29, v115
	s_delay_alu instid0(VALU_DEP_2)
	v_and_b32_e32 v115, 7, v118
; %bb.1678:                             ;   in Loop: Header=BB307_1055 Depth=1
	s_wait_alu 0xfffe
	s_or_b32 exec_lo, exec_lo, s15
	v_lshlrev_b32_e32 v0, 8, v0
	v_lshl_add_u32 v117, v117, 10, 0x2000
	v_lshlrev_b32_e32 v115, 23, v115
	s_delay_alu instid0(VALU_DEP_2) | instskip(NEXT) | instid1(VALU_DEP_1)
	v_and_or_b32 v0, 0x8000, v0, v117
	v_lshl_or_b32 v115, v0, 16, v115
.LBB307_1679:                           ;   in Loop: Header=BB307_1055 Depth=1
	s_wait_alu 0xfffe
	s_or_b32 exec_lo, exec_lo, s14
.LBB307_1680:                           ;   in Loop: Header=BB307_1055 Depth=1
	s_wait_alu 0xfffe
	s_or_b32 exec_lo, exec_lo, s13
.LBB307_1681:                           ;   in Loop: Header=BB307_1055 Depth=1
	s_wait_alu 0xfffe
	s_or_b32 exec_lo, exec_lo, s12
	v_dual_mov_b32 v0, v11 :: v_dual_and_b32 v119, 0xff, v11
	v_dual_mov_b32 v117, 0 :: v_dual_mov_b32 v118, 0
	s_mov_b32 s12, exec_lo
	s_delay_alu instid0(VALU_DEP_2)
	v_cmpx_ne_u16_e32 0, v119
	s_cbranch_execz .LBB307_1689
; %bb.1682:                             ;   in Loop: Header=BB307_1055 Depth=1
	v_mov_b32_e32 v118, 0x8000
	s_mov_b32 s13, exec_lo
	v_cmpx_ne_u16_e32 0x80, v119
	s_cbranch_execz .LBB307_1688
; %bb.1683:                             ;   in Loop: Header=BB307_1055 Depth=1
	v_and_b32_e32 v128, 0x7f, v11
	v_mov_b32_e32 v118, 0x7c01
	s_mov_b32 s14, exec_lo
	s_delay_alu instid0(VALU_DEP_2)
	v_cmpx_ne_u32_e32 0x7f, v128
	s_cbranch_execz .LBB307_1687
; %bb.1684:                             ;   in Loop: Header=BB307_1055 Depth=1
	v_and_b32_e32 v118, 7, v11
	v_lshrrev_b32_e32 v119, 3, v128
	s_mov_b32 s15, exec_lo
	v_cmpx_gt_u32_e32 8, v128
; %bb.1685:                             ;   in Loop: Header=BB307_1055 Depth=1
	s_delay_alu instid0(VALU_DEP_3) | instskip(NEXT) | instid1(VALU_DEP_1)
	v_clz_i32_u32_e32 v118, v118
	v_min_u32_e32 v128, 32, v118
	s_delay_alu instid0(VALU_DEP_1) | instskip(NEXT) | instid1(VALU_DEP_1)
	v_subrev_nc_u32_e32 v118, 28, v128
	v_lshlrev_b64_e32 v[118:119], v118, v[0:1]
	v_sub_nc_u32_e32 v119, 29, v128
	s_delay_alu instid0(VALU_DEP_2)
	v_and_b32_e32 v118, 7, v118
; %bb.1686:                             ;   in Loop: Header=BB307_1055 Depth=1
	s_wait_alu 0xfffe
	s_or_b32 exec_lo, exec_lo, s15
	v_lshlrev_b32_e32 v128, 8, v11
	v_lshl_add_u32 v119, v119, 10, 0x2000
	v_lshlrev_b32_e32 v118, 7, v118
	s_delay_alu instid0(VALU_DEP_3) | instskip(NEXT) | instid1(VALU_DEP_3)
	v_and_b32_e32 v128, 0x8000, v128
	v_and_b32_e32 v119, 0xfc00, v119
	s_delay_alu instid0(VALU_DEP_1)
	v_or3_b32 v118, v128, v119, v118
.LBB307_1687:                           ;   in Loop: Header=BB307_1055 Depth=1
	s_wait_alu 0xfffe
	s_or_b32 exec_lo, exec_lo, s14
.LBB307_1688:                           ;   in Loop: Header=BB307_1055 Depth=1
	s_wait_alu 0xfffe
	s_or_b32 exec_lo, exec_lo, s13
.LBB307_1689:                           ;   in Loop: Header=BB307_1055 Depth=1
	s_wait_alu 0xfffe
	s_or_b32 exec_lo, exec_lo, s12
	v_lshrrev_b16 v0, 8, v0
	v_mov_b32_e32 v119, 0
	s_mov_b32 s12, exec_lo
	s_delay_alu instid0(VALU_DEP_2)
	v_cmpx_ne_u16_e32 0, v0
	s_cbranch_execz .LBB307_1697
; %bb.1690:                             ;   in Loop: Header=BB307_1055 Depth=1
	v_bfrev_b32_e32 v119, 1
	s_mov_b32 s13, exec_lo
	v_cmpx_ne_u16_e32 0x80, v0
	s_cbranch_execz .LBB307_1696
; %bb.1691:                             ;   in Loop: Header=BB307_1055 Depth=1
	v_and_b32_e32 v128, 0xffff, v0
	v_mov_b32_e32 v119, 0x7c010000
	s_mov_b32 s14, exec_lo
	s_delay_alu instid0(VALU_DEP_2) | instskip(NEXT) | instid1(VALU_DEP_1)
	v_and_b32_e32 v130, 0x7f, v128
	v_cmpx_ne_u32_e32 0x7f, v130
	s_cbranch_execz .LBB307_1695
; %bb.1692:                             ;   in Loop: Header=BB307_1055 Depth=1
	v_and_b32_e32 v119, 7, v128
	v_lshrrev_b32_e32 v129, 3, v130
	s_mov_b32 s15, exec_lo
	v_cmpx_gt_u32_e32 8, v130
; %bb.1693:                             ;   in Loop: Header=BB307_1055 Depth=1
	s_delay_alu instid0(VALU_DEP_3) | instskip(NEXT) | instid1(VALU_DEP_1)
	v_clz_i32_u32_e32 v119, v119
	v_min_u32_e32 v119, 32, v119
	s_delay_alu instid0(VALU_DEP_1) | instskip(NEXT) | instid1(VALU_DEP_1)
	v_subrev_nc_u32_e32 v129, 28, v119
	v_lshlrev_b64_e32 v[130:131], v129, v[0:1]
	v_sub_nc_u32_e32 v129, 29, v119
	s_delay_alu instid0(VALU_DEP_2)
	v_and_b32_e32 v119, 7, v130
; %bb.1694:                             ;   in Loop: Header=BB307_1055 Depth=1
	s_wait_alu 0xfffe
	s_or_b32 exec_lo, exec_lo, s15
	v_lshlrev_b32_e32 v0, 8, v128
	v_lshl_add_u32 v128, v129, 10, 0x2000
	v_lshlrev_b32_e32 v119, 23, v119
	s_delay_alu instid0(VALU_DEP_2) | instskip(NEXT) | instid1(VALU_DEP_1)
	v_and_or_b32 v0, 0x8000, v0, v128
	v_lshl_or_b32 v119, v0, 16, v119
.LBB307_1695:                           ;   in Loop: Header=BB307_1055 Depth=1
	s_wait_alu 0xfffe
	s_or_b32 exec_lo, exec_lo, s14
.LBB307_1696:                           ;   in Loop: Header=BB307_1055 Depth=1
	s_wait_alu 0xfffe
	s_or_b32 exec_lo, exec_lo, s13
.LBB307_1697:                           ;   in Loop: Header=BB307_1055 Depth=1
	s_wait_alu 0xfffe
	s_or_b32 exec_lo, exec_lo, s12
	v_lshrrev_b32_e32 v0, 16, v11
	s_mov_b32 s12, exec_lo
	s_delay_alu instid0(VALU_DEP_1) | instskip(NEXT) | instid1(VALU_DEP_1)
	v_and_b32_e32 v128, 0xff, v0
	v_cmpx_ne_u16_e64 0, v128
	s_cbranch_execz .LBB307_1705
; %bb.1698:                             ;   in Loop: Header=BB307_1055 Depth=1
	v_mov_b32_e32 v117, 0x8000
	s_mov_b32 s13, exec_lo
	v_cmpx_ne_u16_e64 0x80, v128
	s_cbranch_execz .LBB307_1704
; %bb.1699:                             ;   in Loop: Header=BB307_1055 Depth=1
	v_bfe_u32 v129, v11, 16, 7
	v_mov_b32_e32 v117, 0x7c01
	s_mov_b32 s14, exec_lo
	s_delay_alu instid0(VALU_DEP_2)
	v_cmpx_ne_u32_e32 0x7f, v129
	s_cbranch_execz .LBB307_1703
; %bb.1700:                             ;   in Loop: Header=BB307_1055 Depth=1
	v_and_b32_e32 v117, 7, v0
	v_lshrrev_b32_e32 v128, 3, v129
	s_mov_b32 s15, exec_lo
	v_cmpx_gt_u32_e32 8, v129
; %bb.1701:                             ;   in Loop: Header=BB307_1055 Depth=1
	s_delay_alu instid0(VALU_DEP_3) | instskip(NEXT) | instid1(VALU_DEP_1)
	v_clz_i32_u32_e32 v117, v117
	v_min_u32_e32 v117, 32, v117
	s_delay_alu instid0(VALU_DEP_1) | instskip(NEXT) | instid1(VALU_DEP_1)
	v_subrev_nc_u32_e32 v128, 28, v117
	v_lshlrev_b64_e32 v[129:130], v128, v[0:1]
	v_sub_nc_u32_e32 v128, 29, v117
	s_delay_alu instid0(VALU_DEP_2)
	v_and_b32_e32 v117, 7, v129
; %bb.1702:                             ;   in Loop: Header=BB307_1055 Depth=1
	s_wait_alu 0xfffe
	s_or_b32 exec_lo, exec_lo, s15
	v_lshlrev_b32_e32 v0, 8, v0
	v_lshl_add_u32 v128, v128, 10, 0x2000
	v_lshlrev_b32_e32 v117, 7, v117
	s_delay_alu instid0(VALU_DEP_3) | instskip(NEXT) | instid1(VALU_DEP_3)
	v_and_b32_e32 v0, 0x8000, v0
	v_and_b32_e32 v128, 0xfc00, v128
	s_delay_alu instid0(VALU_DEP_1)
	v_or3_b32 v117, v0, v128, v117
.LBB307_1703:                           ;   in Loop: Header=BB307_1055 Depth=1
	s_wait_alu 0xfffe
	s_or_b32 exec_lo, exec_lo, s14
.LBB307_1704:                           ;   in Loop: Header=BB307_1055 Depth=1
	s_wait_alu 0xfffe
	s_or_b32 exec_lo, exec_lo, s13
.LBB307_1705:                           ;   in Loop: Header=BB307_1055 Depth=1
	s_wait_alu 0xfffe
	s_or_b32 exec_lo, exec_lo, s12
	v_cmp_lt_u64_e64 s0, s[8:9], v[10:11]
	v_mov_b32_e32 v10, 0
	s_and_saveexec_b32 s12, s0
	s_cbranch_execz .LBB307_1713
; %bb.1706:                             ;   in Loop: Header=BB307_1055 Depth=1
	v_lshrrev_b32_e32 v0, 24, v11
	v_bfrev_b32_e32 v10, 1
	s_mov_b32 s13, exec_lo
	s_delay_alu instid0(VALU_DEP_2)
	v_cmpx_ne_u32_e32 0x80, v0
	s_cbranch_execz .LBB307_1712
; %bb.1707:                             ;   in Loop: Header=BB307_1055 Depth=1
	v_and_b32_e32 v128, 0x7f, v0
	v_mov_b32_e32 v10, 0x7c010000
	s_mov_b32 s14, exec_lo
	s_delay_alu instid0(VALU_DEP_2)
	v_cmpx_ne_u32_e32 0x7f, v128
	s_cbranch_execz .LBB307_1711
; %bb.1708:                             ;   in Loop: Header=BB307_1055 Depth=1
	v_and_b32_e32 v10, 7, v0
	v_lshrrev_b32_e32 v11, 3, v128
	s_mov_b32 s15, exec_lo
	v_cmpx_gt_u32_e32 8, v128
; %bb.1709:                             ;   in Loop: Header=BB307_1055 Depth=1
	s_delay_alu instid0(VALU_DEP_3) | instskip(NEXT) | instid1(VALU_DEP_1)
	v_clz_i32_u32_e32 v10, v10
	v_min_u32_e32 v128, 32, v10
	s_delay_alu instid0(VALU_DEP_1) | instskip(NEXT) | instid1(VALU_DEP_1)
	v_subrev_nc_u32_e32 v10, 28, v128
	v_lshlrev_b64_e32 v[10:11], v10, v[0:1]
	v_sub_nc_u32_e32 v11, 29, v128
	s_delay_alu instid0(VALU_DEP_2)
	v_and_b32_e32 v10, 7, v10
; %bb.1710:                             ;   in Loop: Header=BB307_1055 Depth=1
	s_wait_alu 0xfffe
	s_or_b32 exec_lo, exec_lo, s15
	v_lshlrev_b32_e32 v0, 8, v0
	v_lshl_add_u32 v11, v11, 10, 0x2000
	v_lshlrev_b32_e32 v10, 23, v10
	s_delay_alu instid0(VALU_DEP_2) | instskip(NEXT) | instid1(VALU_DEP_1)
	v_and_or_b32 v0, 0x8000, v0, v11
	v_lshl_or_b32 v10, v0, 16, v10
.LBB307_1711:                           ;   in Loop: Header=BB307_1055 Depth=1
	s_wait_alu 0xfffe
	s_or_b32 exec_lo, exec_lo, s14
.LBB307_1712:                           ;   in Loop: Header=BB307_1055 Depth=1
	s_wait_alu 0xfffe
	s_or_b32 exec_lo, exec_lo, s13
.LBB307_1713:                           ;   in Loop: Header=BB307_1055 Depth=1
	s_wait_alu 0xfffe
	s_or_b32 exec_lo, exec_lo, s12
	v_or_b32_e32 v0, v115, v116
	s_wait_loadcnt_dscnt 0x0
	v_fma_mixlo_f16 v11, v112, v115, 0 op_sel:[0,1,0] op_sel_hi:[0,1,0]
	v_or_b32_e32 v115, v113, v114
	v_fma_mixlo_f16 v113, v112, v113, 0 op_sel:[0,1,0] op_sel_hi:[0,1,0]
	v_or_b32_e32 v116, v119, v118
	v_or_b32_e32 v117, v10, v117
	v_fma_mixlo_f16 v118, v112, v0, 0 op_sel_hi:[0,1,0]
	v_fma_mixlo_f16 v10, v112, v10, 0 op_sel:[0,1,0] op_sel_hi:[0,1,0]
	v_lshlrev_b32_e32 v114, 16, v113
	v_fma_mixlo_f16 v113, v112, v115, 0 op_sel_hi:[0,1,0]
	v_fma_mixlo_f16 v115, v112, v119, 0 op_sel:[0,1,0] op_sel_hi:[0,1,0]
	v_fma_mixlo_f16 v116, v112, v116, 0 op_sel_hi:[0,1,0]
	v_fma_mixlo_f16 v117, v112, v117, 0 op_sel_hi:[0,1,0]
	v_lshlrev_b32_e32 v0, 16, v11
	v_and_b32_e32 v11, 0xffff, v118
	v_and_b32_e32 v128, 0xffff, v113
	v_lshlrev_b32_e32 v112, 16, v115
	v_and_b32_e32 v116, 0xffff, v116
	v_lshlrev_b32_e32 v10, 16, v10
	v_and_b32_e32 v113, 0xffff, v117
	v_or_b32_e32 v115, v0, v11
	v_or_b32_e32 v119, v114, v128
	;; [unrolled: 1-line block ×3, first 2 shown]
	s_delay_alu instid0(VALU_DEP_4)
	v_or_b32_e32 v117, v10, v113
	s_and_saveexec_b32 s12, vcc_lo
	s_cbranch_execz .LBB307_1715
; %bb.1714:                             ;   in Loop: Header=BB307_1055 Depth=1
	v_cmp_lt_i32_e64 s0, v35, v32
	s_wait_alu 0xf1ff
	s_delay_alu instid0(VALU_DEP_1) | instskip(SKIP_2) | instid1(VALU_DEP_1)
	v_cndmask_b32_e64 v115, 0, v128, s0
	v_cmp_lt_i32_e64 s0, v71, v32
	s_wait_alu 0xf1ff
	v_cndmask_b32_e64 v114, 0, v114, s0
	v_cmp_lt_i32_e64 s0, v70, v32
	s_delay_alu instid0(VALU_DEP_2) | instskip(SKIP_1) | instid1(VALU_DEP_2)
	v_or_b32_e32 v119, v115, v114
	s_wait_alu 0xf1ff
	v_cndmask_b32_e64 v11, 0, v11, s0
	v_cmp_lt_i32_e64 s0, v69, v32
	s_wait_alu 0xf1ff
	s_delay_alu instid0(VALU_DEP_1) | instskip(SKIP_1) | instid1(VALU_DEP_2)
	v_cndmask_b32_e64 v0, 0, v0, s0
	v_cmp_lt_i32_e64 s0, v68, v32
	v_or_b32_e32 v115, v11, v0
	s_wait_alu 0xf1ff
	s_delay_alu instid0(VALU_DEP_2) | instskip(SKIP_2) | instid1(VALU_DEP_1)
	v_cndmask_b32_e64 v116, 0, v116, s0
	v_cmp_lt_i32_e64 s0, v67, v32
	s_wait_alu 0xf1ff
	v_cndmask_b32_e64 v112, 0, v112, s0
	v_cmp_lt_i32_e64 s0, v66, v32
	s_delay_alu instid0(VALU_DEP_2) | instskip(SKIP_1) | instid1(VALU_DEP_2)
	v_or_b32_e32 v118, v116, v112
	s_wait_alu 0xf1ff
	v_cndmask_b32_e64 v113, 0, v113, s0
	v_cmp_lt_i32_e64 s0, v14, v32
	s_wait_alu 0xf1ff
	s_delay_alu instid0(VALU_DEP_1) | instskip(NEXT) | instid1(VALU_DEP_1)
	v_cndmask_b32_e64 v10, 0, v10, s0
	v_or_b32_e32 v117, v113, v10
.LBB307_1715:                           ;   in Loop: Header=BB307_1055 Depth=1
	s_wait_alu 0xfffe
	s_or_b32 exec_lo, exec_lo, s12
	;;#ASMSTART
	v_pk_mul_f16 v0, v64, v119;

	;;#ASMEND
	;;#ASMSTART
	v_pk_mul_f16 v10, v54, v115;

	;;#ASMEND
	;;#ASMSTART
	v_pk_mul_f16 v11, v37, v118;

	;;#ASMEND
	;;#ASMSTART
	v_pk_mul_f16 v112, v36, v117;

	;;#ASMEND
	;;#ASMSTART
	v_pk_add_f16 v0, v0, v10;

	;;#ASMEND
	;;#ASMSTART
	v_pk_add_f16 v0, v0, v11;

	;;#ASMEND
	;; [unrolled: 4-line block ×3, first 2 shown]
	v_dual_mov_b32 v115, 0 :: v_dual_and_b32 v10, 0xffff, v0
	v_lshrrev_b32_e32 v0, 16, v0
	;;#ASMSTART
	v_cvt_f32_f16 v112, v10;
	;;#ASMEND
	;;#ASMSTART
	v_cvt_f32_f16 v113, v0;
	;;#ASMEND
	flat_load_b64 v[10:11], v[8:9] offset:2560
	flat_load_b32 v114, v[26:27]
	v_mov_b32_e32 v116, 0
	s_mov_b32 s12, exec_lo
	s_wait_loadcnt_dscnt 0x101
	v_and_b32_e32 v0, 0xff, v10
	s_delay_alu instid0(VALU_DEP_1)
	v_cmpx_ne_u16_e32 0, v0
	s_cbranch_execz .LBB307_1723
; %bb.1716:                             ;   in Loop: Header=BB307_1055 Depth=1
	v_mov_b32_e32 v116, 0x8000
	s_mov_b32 s13, exec_lo
	v_cmpx_ne_u16_e32 0x80, v0
	s_cbranch_execz .LBB307_1722
; %bb.1717:                             ;   in Loop: Header=BB307_1055 Depth=1
	v_and_b32_e32 v117, 0x7f, v10
	v_mov_b32_e32 v116, 0x7c01
	s_mov_b32 s14, exec_lo
	s_delay_alu instid0(VALU_DEP_2)
	v_cmpx_ne_u32_e32 0x7f, v117
	s_cbranch_execz .LBB307_1721
; %bb.1718:                             ;   in Loop: Header=BB307_1055 Depth=1
	v_and_b32_e32 v0, 7, v10
	v_lshrrev_b32_e32 v116, 3, v117
	s_mov_b32 s15, exec_lo
	v_cmpx_gt_u32_e32 8, v117
; %bb.1719:                             ;   in Loop: Header=BB307_1055 Depth=1
	s_delay_alu instid0(VALU_DEP_3) | instskip(NEXT) | instid1(VALU_DEP_1)
	v_clz_i32_u32_e32 v0, v0
	v_min_u32_e32 v0, 32, v0
	s_delay_alu instid0(VALU_DEP_1) | instskip(NEXT) | instid1(VALU_DEP_1)
	v_subrev_nc_u32_e32 v116, 28, v0
	v_lshlrev_b64_e32 v[117:118], v116, v[10:11]
	v_sub_nc_u32_e32 v116, 29, v0
	s_delay_alu instid0(VALU_DEP_2)
	v_and_b32_e32 v0, 7, v117
; %bb.1720:                             ;   in Loop: Header=BB307_1055 Depth=1
	s_wait_alu 0xfffe
	s_or_b32 exec_lo, exec_lo, s15
	v_lshlrev_b32_e32 v117, 8, v10
	v_lshl_add_u32 v116, v116, 10, 0x2000
	v_lshlrev_b32_e32 v0, 7, v0
	s_delay_alu instid0(VALU_DEP_3) | instskip(NEXT) | instid1(VALU_DEP_3)
	v_and_b32_e32 v117, 0x8000, v117
	v_and_b32_e32 v116, 0xfc00, v116
	s_delay_alu instid0(VALU_DEP_1)
	v_or3_b32 v116, v117, v116, v0
.LBB307_1721:                           ;   in Loop: Header=BB307_1055 Depth=1
	s_wait_alu 0xfffe
	s_or_b32 exec_lo, exec_lo, s14
.LBB307_1722:                           ;   in Loop: Header=BB307_1055 Depth=1
	s_wait_alu 0xfffe
	s_or_b32 exec_lo, exec_lo, s13
.LBB307_1723:                           ;   in Loop: Header=BB307_1055 Depth=1
	s_wait_alu 0xfffe
	s_or_b32 exec_lo, exec_lo, s12
	v_lshrrev_b16 v0, 8, v10
	s_mov_b32 s12, exec_lo
	s_delay_alu instid0(VALU_DEP_1)
	v_cmpx_ne_u16_e32 0, v0
	s_cbranch_execz .LBB307_1731
; %bb.1724:                             ;   in Loop: Header=BB307_1055 Depth=1
	v_bfrev_b32_e32 v115, 1
	s_mov_b32 s13, exec_lo
	v_cmpx_ne_u16_e32 0x80, v0
	s_cbranch_execz .LBB307_1730
; %bb.1725:                             ;   in Loop: Header=BB307_1055 Depth=1
	v_and_b32_e32 v117, 0xffff, v0
	v_mov_b32_e32 v115, 0x7c010000
	s_mov_b32 s14, exec_lo
	s_delay_alu instid0(VALU_DEP_2) | instskip(NEXT) | instid1(VALU_DEP_1)
	v_and_b32_e32 v119, 0x7f, v117
	v_cmpx_ne_u32_e32 0x7f, v119
	s_cbranch_execz .LBB307_1729
; %bb.1726:                             ;   in Loop: Header=BB307_1055 Depth=1
	v_and_b32_e32 v115, 7, v117
	v_lshrrev_b32_e32 v118, 3, v119
	s_mov_b32 s15, exec_lo
	v_cmpx_gt_u32_e32 8, v119
; %bb.1727:                             ;   in Loop: Header=BB307_1055 Depth=1
	s_delay_alu instid0(VALU_DEP_3) | instskip(NEXT) | instid1(VALU_DEP_1)
	v_clz_i32_u32_e32 v115, v115
	v_min_u32_e32 v115, 32, v115
	s_delay_alu instid0(VALU_DEP_1) | instskip(NEXT) | instid1(VALU_DEP_1)
	v_subrev_nc_u32_e32 v118, 28, v115
	v_lshlrev_b64_e32 v[128:129], v118, v[0:1]
	v_sub_nc_u32_e32 v118, 29, v115
	s_delay_alu instid0(VALU_DEP_2)
	v_and_b32_e32 v115, 7, v128
; %bb.1728:                             ;   in Loop: Header=BB307_1055 Depth=1
	s_wait_alu 0xfffe
	s_or_b32 exec_lo, exec_lo, s15
	v_lshlrev_b32_e32 v0, 8, v117
	v_lshl_add_u32 v117, v118, 10, 0x2000
	v_lshlrev_b32_e32 v115, 23, v115
	s_delay_alu instid0(VALU_DEP_2) | instskip(NEXT) | instid1(VALU_DEP_1)
	v_and_or_b32 v0, 0x8000, v0, v117
	v_lshl_or_b32 v115, v0, 16, v115
.LBB307_1729:                           ;   in Loop: Header=BB307_1055 Depth=1
	s_wait_alu 0xfffe
	s_or_b32 exec_lo, exec_lo, s14
.LBB307_1730:                           ;   in Loop: Header=BB307_1055 Depth=1
	s_wait_alu 0xfffe
	s_or_b32 exec_lo, exec_lo, s13
.LBB307_1731:                           ;   in Loop: Header=BB307_1055 Depth=1
	s_wait_alu 0xfffe
	s_or_b32 exec_lo, exec_lo, s12
	v_lshrrev_b32_e32 v0, 16, v10
	v_mov_b32_e32 v117, 0
	s_mov_b32 s12, exec_lo
	s_delay_alu instid0(VALU_DEP_2) | instskip(NEXT) | instid1(VALU_DEP_1)
	v_dual_mov_b32 v118, 0 :: v_dual_and_b32 v119, 0xff, v0
	v_cmpx_ne_u16_e32 0, v119
	s_cbranch_execz .LBB307_1739
; %bb.1732:                             ;   in Loop: Header=BB307_1055 Depth=1
	v_mov_b32_e32 v118, 0x8000
	s_mov_b32 s13, exec_lo
	v_cmpx_ne_u16_e32 0x80, v119
	s_cbranch_execz .LBB307_1738
; %bb.1733:                             ;   in Loop: Header=BB307_1055 Depth=1
	v_bfe_u32 v128, v10, 16, 7
	v_mov_b32_e32 v118, 0x7c01
	s_mov_b32 s14, exec_lo
	s_delay_alu instid0(VALU_DEP_2)
	v_cmpx_ne_u32_e32 0x7f, v128
	s_cbranch_execz .LBB307_1737
; %bb.1734:                             ;   in Loop: Header=BB307_1055 Depth=1
	v_and_b32_e32 v118, 7, v0
	v_lshrrev_b32_e32 v119, 3, v128
	s_mov_b32 s15, exec_lo
	v_cmpx_gt_u32_e32 8, v128
; %bb.1735:                             ;   in Loop: Header=BB307_1055 Depth=1
	s_delay_alu instid0(VALU_DEP_3) | instskip(NEXT) | instid1(VALU_DEP_1)
	v_clz_i32_u32_e32 v118, v118
	v_min_u32_e32 v128, 32, v118
	s_delay_alu instid0(VALU_DEP_1) | instskip(NEXT) | instid1(VALU_DEP_1)
	v_subrev_nc_u32_e32 v118, 28, v128
	v_lshlrev_b64_e32 v[118:119], v118, v[0:1]
	v_sub_nc_u32_e32 v119, 29, v128
	s_delay_alu instid0(VALU_DEP_2)
	v_and_b32_e32 v118, 7, v118
; %bb.1736:                             ;   in Loop: Header=BB307_1055 Depth=1
	s_wait_alu 0xfffe
	s_or_b32 exec_lo, exec_lo, s15
	v_lshlrev_b32_e32 v0, 8, v0
	v_lshl_add_u32 v119, v119, 10, 0x2000
	v_lshlrev_b32_e32 v118, 7, v118
	s_delay_alu instid0(VALU_DEP_3) | instskip(NEXT) | instid1(VALU_DEP_3)
	v_and_b32_e32 v0, 0x8000, v0
	v_and_b32_e32 v119, 0xfc00, v119
	s_delay_alu instid0(VALU_DEP_1)
	v_or3_b32 v118, v0, v119, v118
.LBB307_1737:                           ;   in Loop: Header=BB307_1055 Depth=1
	s_wait_alu 0xfffe
	s_or_b32 exec_lo, exec_lo, s14
.LBB307_1738:                           ;   in Loop: Header=BB307_1055 Depth=1
	s_wait_alu 0xfffe
	s_or_b32 exec_lo, exec_lo, s13
.LBB307_1739:                           ;   in Loop: Header=BB307_1055 Depth=1
	s_wait_alu 0xfffe
	s_or_b32 exec_lo, exec_lo, s12
	s_delay_alu instid0(SALU_CYCLE_1)
	s_mov_b32 s12, exec_lo
	v_cmpx_lt_u32_e32 0xffffff, v10
	s_cbranch_execz .LBB307_1747
; %bb.1740:                             ;   in Loop: Header=BB307_1055 Depth=1
	v_lshrrev_b32_e32 v0, 24, v10
	v_bfrev_b32_e32 v117, 1
	s_mov_b32 s13, exec_lo
	s_delay_alu instid0(VALU_DEP_2)
	v_cmpx_ne_u32_e32 0x80, v0
	s_cbranch_execz .LBB307_1746
; %bb.1741:                             ;   in Loop: Header=BB307_1055 Depth=1
	v_and_b32_e32 v128, 0x7f, v0
	v_mov_b32_e32 v117, 0x7c010000
	s_mov_b32 s14, exec_lo
	s_delay_alu instid0(VALU_DEP_2)
	v_cmpx_ne_u32_e32 0x7f, v128
	s_cbranch_execz .LBB307_1745
; %bb.1742:                             ;   in Loop: Header=BB307_1055 Depth=1
	v_and_b32_e32 v117, 7, v0
	v_lshrrev_b32_e32 v119, 3, v128
	s_mov_b32 s15, exec_lo
	v_cmpx_gt_u32_e32 8, v128
; %bb.1743:                             ;   in Loop: Header=BB307_1055 Depth=1
	s_delay_alu instid0(VALU_DEP_3) | instskip(NEXT) | instid1(VALU_DEP_1)
	v_clz_i32_u32_e32 v117, v117
	v_min_u32_e32 v117, 32, v117
	s_delay_alu instid0(VALU_DEP_1) | instskip(NEXT) | instid1(VALU_DEP_1)
	v_subrev_nc_u32_e32 v119, 28, v117
	v_lshlrev_b64_e32 v[128:129], v119, v[0:1]
	v_sub_nc_u32_e32 v119, 29, v117
	s_delay_alu instid0(VALU_DEP_2)
	v_and_b32_e32 v117, 7, v128
; %bb.1744:                             ;   in Loop: Header=BB307_1055 Depth=1
	s_wait_alu 0xfffe
	s_or_b32 exec_lo, exec_lo, s15
	v_lshlrev_b32_e32 v0, 8, v0
	v_lshl_add_u32 v119, v119, 10, 0x2000
	v_lshlrev_b32_e32 v117, 23, v117
	s_delay_alu instid0(VALU_DEP_2) | instskip(NEXT) | instid1(VALU_DEP_1)
	v_and_or_b32 v0, 0x8000, v0, v119
	v_lshl_or_b32 v117, v0, 16, v117
.LBB307_1745:                           ;   in Loop: Header=BB307_1055 Depth=1
	s_wait_alu 0xfffe
	s_or_b32 exec_lo, exec_lo, s14
.LBB307_1746:                           ;   in Loop: Header=BB307_1055 Depth=1
	s_wait_alu 0xfffe
	s_or_b32 exec_lo, exec_lo, s13
.LBB307_1747:                           ;   in Loop: Header=BB307_1055 Depth=1
	s_wait_alu 0xfffe
	s_or_b32 exec_lo, exec_lo, s12
	v_dual_mov_b32 v0, v11 :: v_dual_and_b32 v129, 0xff, v11
	v_dual_mov_b32 v119, 0 :: v_dual_mov_b32 v128, 0
	s_mov_b32 s12, exec_lo
	s_delay_alu instid0(VALU_DEP_2)
	v_cmpx_ne_u16_e64 0, v129
	s_cbranch_execz .LBB307_1755
; %bb.1748:                             ;   in Loop: Header=BB307_1055 Depth=1
	v_mov_b32_e32 v128, 0x8000
	s_mov_b32 s13, exec_lo
	v_cmpx_ne_u16_e64 0x80, v129
	s_cbranch_execz .LBB307_1754
; %bb.1749:                             ;   in Loop: Header=BB307_1055 Depth=1
	v_and_b32_e32 v130, 0x7f, v11
	v_mov_b32_e32 v128, 0x7c01
	s_mov_b32 s14, exec_lo
	s_delay_alu instid0(VALU_DEP_2)
	v_cmpx_ne_u32_e32 0x7f, v130
	s_cbranch_execz .LBB307_1753
; %bb.1750:                             ;   in Loop: Header=BB307_1055 Depth=1
	v_and_b32_e32 v128, 7, v11
	v_lshrrev_b32_e32 v129, 3, v130
	s_mov_b32 s15, exec_lo
	v_cmpx_gt_u32_e32 8, v130
; %bb.1751:                             ;   in Loop: Header=BB307_1055 Depth=1
	s_delay_alu instid0(VALU_DEP_3) | instskip(NEXT) | instid1(VALU_DEP_1)
	v_clz_i32_u32_e32 v128, v128
	v_min_u32_e32 v130, 32, v128
	s_delay_alu instid0(VALU_DEP_1) | instskip(NEXT) | instid1(VALU_DEP_1)
	v_subrev_nc_u32_e32 v128, 28, v130
	v_lshlrev_b64_e32 v[128:129], v128, v[0:1]
	v_sub_nc_u32_e32 v129, 29, v130
	s_delay_alu instid0(VALU_DEP_2)
	v_and_b32_e32 v128, 7, v128
; %bb.1752:                             ;   in Loop: Header=BB307_1055 Depth=1
	s_wait_alu 0xfffe
	s_or_b32 exec_lo, exec_lo, s15
	v_lshlrev_b32_e32 v130, 8, v11
	v_lshl_add_u32 v129, v129, 10, 0x2000
	v_lshlrev_b32_e32 v128, 7, v128
	s_delay_alu instid0(VALU_DEP_3) | instskip(NEXT) | instid1(VALU_DEP_3)
	v_and_b32_e32 v130, 0x8000, v130
	v_and_b32_e32 v129, 0xfc00, v129
	s_delay_alu instid0(VALU_DEP_1)
	v_or3_b32 v128, v130, v129, v128
.LBB307_1753:                           ;   in Loop: Header=BB307_1055 Depth=1
	s_wait_alu 0xfffe
	s_or_b32 exec_lo, exec_lo, s14
.LBB307_1754:                           ;   in Loop: Header=BB307_1055 Depth=1
	s_wait_alu 0xfffe
	s_or_b32 exec_lo, exec_lo, s13
.LBB307_1755:                           ;   in Loop: Header=BB307_1055 Depth=1
	s_wait_alu 0xfffe
	s_or_b32 exec_lo, exec_lo, s12
	v_lshrrev_b16 v0, 8, v0
	v_mov_b32_e32 v129, 0
	s_mov_b32 s12, exec_lo
	s_delay_alu instid0(VALU_DEP_2)
	v_cmpx_ne_u16_e32 0, v0
	s_cbranch_execz .LBB307_1763
; %bb.1756:                             ;   in Loop: Header=BB307_1055 Depth=1
	v_bfrev_b32_e32 v129, 1
	s_mov_b32 s13, exec_lo
	v_cmpx_ne_u16_e32 0x80, v0
	s_cbranch_execz .LBB307_1762
; %bb.1757:                             ;   in Loop: Header=BB307_1055 Depth=1
	v_and_b32_e32 v130, 0xffff, v0
	v_mov_b32_e32 v129, 0x7c010000
	s_mov_b32 s14, exec_lo
	s_delay_alu instid0(VALU_DEP_2) | instskip(NEXT) | instid1(VALU_DEP_1)
	v_and_b32_e32 v132, 0x7f, v130
	v_cmpx_ne_u32_e32 0x7f, v132
	s_cbranch_execz .LBB307_1761
; %bb.1758:                             ;   in Loop: Header=BB307_1055 Depth=1
	v_and_b32_e32 v129, 7, v130
	v_lshrrev_b32_e32 v131, 3, v132
	s_mov_b32 s15, exec_lo
	v_cmpx_gt_u32_e32 8, v132
; %bb.1759:                             ;   in Loop: Header=BB307_1055 Depth=1
	s_delay_alu instid0(VALU_DEP_3) | instskip(NEXT) | instid1(VALU_DEP_1)
	v_clz_i32_u32_e32 v129, v129
	v_min_u32_e32 v129, 32, v129
	s_delay_alu instid0(VALU_DEP_1) | instskip(NEXT) | instid1(VALU_DEP_1)
	v_subrev_nc_u32_e32 v131, 28, v129
	v_lshlrev_b64_e32 v[132:133], v131, v[0:1]
	v_sub_nc_u32_e32 v131, 29, v129
	s_delay_alu instid0(VALU_DEP_2)
	v_and_b32_e32 v129, 7, v132
; %bb.1760:                             ;   in Loop: Header=BB307_1055 Depth=1
	s_wait_alu 0xfffe
	s_or_b32 exec_lo, exec_lo, s15
	v_lshlrev_b32_e32 v0, 8, v130
	v_lshl_add_u32 v130, v131, 10, 0x2000
	v_lshlrev_b32_e32 v129, 23, v129
	s_delay_alu instid0(VALU_DEP_2) | instskip(NEXT) | instid1(VALU_DEP_1)
	v_and_or_b32 v0, 0x8000, v0, v130
	v_lshl_or_b32 v129, v0, 16, v129
.LBB307_1761:                           ;   in Loop: Header=BB307_1055 Depth=1
	s_wait_alu 0xfffe
	s_or_b32 exec_lo, exec_lo, s14
.LBB307_1762:                           ;   in Loop: Header=BB307_1055 Depth=1
	s_wait_alu 0xfffe
	s_or_b32 exec_lo, exec_lo, s13
.LBB307_1763:                           ;   in Loop: Header=BB307_1055 Depth=1
	s_wait_alu 0xfffe
	s_or_b32 exec_lo, exec_lo, s12
	v_lshrrev_b32_e32 v0, 16, v11
	s_mov_b32 s12, exec_lo
	s_delay_alu instid0(VALU_DEP_1) | instskip(NEXT) | instid1(VALU_DEP_1)
	v_and_b32_e32 v130, 0xff, v0
	v_cmpx_ne_u16_e64 0, v130
	s_cbranch_execz .LBB307_1771
; %bb.1764:                             ;   in Loop: Header=BB307_1055 Depth=1
	v_mov_b32_e32 v119, 0x8000
	s_mov_b32 s13, exec_lo
	v_cmpx_ne_u16_e64 0x80, v130
	s_cbranch_execz .LBB307_1770
; %bb.1765:                             ;   in Loop: Header=BB307_1055 Depth=1
	v_bfe_u32 v131, v11, 16, 7
	v_mov_b32_e32 v119, 0x7c01
	s_mov_b32 s14, exec_lo
	s_delay_alu instid0(VALU_DEP_2)
	v_cmpx_ne_u32_e32 0x7f, v131
	s_cbranch_execz .LBB307_1769
; %bb.1766:                             ;   in Loop: Header=BB307_1055 Depth=1
	v_and_b32_e32 v119, 7, v0
	v_lshrrev_b32_e32 v130, 3, v131
	s_mov_b32 s15, exec_lo
	v_cmpx_gt_u32_e32 8, v131
; %bb.1767:                             ;   in Loop: Header=BB307_1055 Depth=1
	s_delay_alu instid0(VALU_DEP_3) | instskip(NEXT) | instid1(VALU_DEP_1)
	v_clz_i32_u32_e32 v119, v119
	v_min_u32_e32 v119, 32, v119
	s_delay_alu instid0(VALU_DEP_1) | instskip(NEXT) | instid1(VALU_DEP_1)
	v_subrev_nc_u32_e32 v130, 28, v119
	v_lshlrev_b64_e32 v[131:132], v130, v[0:1]
	v_sub_nc_u32_e32 v130, 29, v119
	s_delay_alu instid0(VALU_DEP_2)
	v_and_b32_e32 v119, 7, v131
; %bb.1768:                             ;   in Loop: Header=BB307_1055 Depth=1
	s_wait_alu 0xfffe
	s_or_b32 exec_lo, exec_lo, s15
	v_lshlrev_b32_e32 v0, 8, v0
	v_lshl_add_u32 v130, v130, 10, 0x2000
	v_lshlrev_b32_e32 v119, 7, v119
	s_delay_alu instid0(VALU_DEP_3) | instskip(NEXT) | instid1(VALU_DEP_3)
	v_and_b32_e32 v0, 0x8000, v0
	v_and_b32_e32 v130, 0xfc00, v130
	s_delay_alu instid0(VALU_DEP_1)
	v_or3_b32 v119, v0, v130, v119
.LBB307_1769:                           ;   in Loop: Header=BB307_1055 Depth=1
	s_wait_alu 0xfffe
	s_or_b32 exec_lo, exec_lo, s14
.LBB307_1770:                           ;   in Loop: Header=BB307_1055 Depth=1
	s_wait_alu 0xfffe
	s_or_b32 exec_lo, exec_lo, s13
.LBB307_1771:                           ;   in Loop: Header=BB307_1055 Depth=1
	s_wait_alu 0xfffe
	s_or_b32 exec_lo, exec_lo, s12
	v_cmp_lt_u64_e64 s0, s[8:9], v[10:11]
	v_mov_b32_e32 v10, 0
	s_and_saveexec_b32 s12, s0
	s_cbranch_execz .LBB307_1779
; %bb.1772:                             ;   in Loop: Header=BB307_1055 Depth=1
	v_lshrrev_b32_e32 v0, 24, v11
	v_bfrev_b32_e32 v10, 1
	s_mov_b32 s13, exec_lo
	s_delay_alu instid0(VALU_DEP_2)
	v_cmpx_ne_u32_e32 0x80, v0
	s_cbranch_execz .LBB307_1778
; %bb.1773:                             ;   in Loop: Header=BB307_1055 Depth=1
	v_and_b32_e32 v130, 0x7f, v0
	v_mov_b32_e32 v10, 0x7c010000
	s_mov_b32 s14, exec_lo
	s_delay_alu instid0(VALU_DEP_2)
	v_cmpx_ne_u32_e32 0x7f, v130
	s_cbranch_execz .LBB307_1777
; %bb.1774:                             ;   in Loop: Header=BB307_1055 Depth=1
	v_and_b32_e32 v10, 7, v0
	v_lshrrev_b32_e32 v11, 3, v130
	s_mov_b32 s15, exec_lo
	v_cmpx_gt_u32_e32 8, v130
; %bb.1775:                             ;   in Loop: Header=BB307_1055 Depth=1
	s_delay_alu instid0(VALU_DEP_3) | instskip(NEXT) | instid1(VALU_DEP_1)
	v_clz_i32_u32_e32 v10, v10
	v_min_u32_e32 v130, 32, v10
	s_delay_alu instid0(VALU_DEP_1) | instskip(NEXT) | instid1(VALU_DEP_1)
	v_subrev_nc_u32_e32 v10, 28, v130
	v_lshlrev_b64_e32 v[10:11], v10, v[0:1]
	v_sub_nc_u32_e32 v11, 29, v130
	s_delay_alu instid0(VALU_DEP_2)
	v_and_b32_e32 v10, 7, v10
; %bb.1776:                             ;   in Loop: Header=BB307_1055 Depth=1
	s_wait_alu 0xfffe
	s_or_b32 exec_lo, exec_lo, s15
	v_lshlrev_b32_e32 v0, 8, v0
	v_lshl_add_u32 v11, v11, 10, 0x2000
	v_lshlrev_b32_e32 v10, 23, v10
	s_delay_alu instid0(VALU_DEP_2) | instskip(NEXT) | instid1(VALU_DEP_1)
	v_and_or_b32 v0, 0x8000, v0, v11
	v_lshl_or_b32 v10, v0, 16, v10
.LBB307_1777:                           ;   in Loop: Header=BB307_1055 Depth=1
	s_wait_alu 0xfffe
	s_or_b32 exec_lo, exec_lo, s14
.LBB307_1778:                           ;   in Loop: Header=BB307_1055 Depth=1
	s_wait_alu 0xfffe
	s_or_b32 exec_lo, exec_lo, s13
.LBB307_1779:                           ;   in Loop: Header=BB307_1055 Depth=1
	s_wait_alu 0xfffe
	s_or_b32 exec_lo, exec_lo, s12
	v_or_b32_e32 v0, v117, v118
	s_wait_loadcnt_dscnt 0x0
	v_fma_mixlo_f16 v11, v114, v117, 0 op_sel:[0,1,0] op_sel_hi:[0,1,0]
	v_or_b32_e32 v117, v115, v116
	v_fma_mixlo_f16 v115, v114, v115, 0 op_sel:[0,1,0] op_sel_hi:[0,1,0]
	v_or_b32_e32 v118, v129, v128
	v_or_b32_e32 v119, v10, v119
	v_fma_mixlo_f16 v128, v114, v0, 0 op_sel_hi:[0,1,0]
	v_fma_mixlo_f16 v10, v114, v10, 0 op_sel:[0,1,0] op_sel_hi:[0,1,0]
	v_lshlrev_b32_e32 v116, 16, v115
	v_fma_mixlo_f16 v115, v114, v117, 0 op_sel_hi:[0,1,0]
	v_fma_mixlo_f16 v117, v114, v129, 0 op_sel:[0,1,0] op_sel_hi:[0,1,0]
	v_fma_mixlo_f16 v118, v114, v118, 0 op_sel_hi:[0,1,0]
	v_fma_mixlo_f16 v119, v114, v119, 0 op_sel_hi:[0,1,0]
	v_lshlrev_b32_e32 v0, 16, v11
	v_and_b32_e32 v11, 0xffff, v128
	v_and_b32_e32 v130, 0xffff, v115
	v_lshlrev_b32_e32 v114, 16, v117
	v_and_b32_e32 v118, 0xffff, v118
	v_lshlrev_b32_e32 v10, 16, v10
	v_and_b32_e32 v115, 0xffff, v119
	v_or_b32_e32 v117, v0, v11
	v_or_b32_e32 v129, v116, v130
	;; [unrolled: 1-line block ×3, first 2 shown]
	s_delay_alu instid0(VALU_DEP_4)
	v_or_b32_e32 v119, v10, v115
	s_and_saveexec_b32 s12, vcc_lo
	s_cbranch_execz .LBB307_1781
; %bb.1780:                             ;   in Loop: Header=BB307_1055 Depth=1
	v_cmp_lt_i32_e64 s0, v35, v32
	s_wait_alu 0xf1ff
	s_delay_alu instid0(VALU_DEP_1) | instskip(SKIP_2) | instid1(VALU_DEP_1)
	v_cndmask_b32_e64 v117, 0, v130, s0
	v_cmp_lt_i32_e64 s0, v71, v32
	s_wait_alu 0xf1ff
	v_cndmask_b32_e64 v116, 0, v116, s0
	v_cmp_lt_i32_e64 s0, v70, v32
	s_delay_alu instid0(VALU_DEP_2) | instskip(SKIP_1) | instid1(VALU_DEP_2)
	v_or_b32_e32 v129, v117, v116
	s_wait_alu 0xf1ff
	v_cndmask_b32_e64 v11, 0, v11, s0
	v_cmp_lt_i32_e64 s0, v69, v32
	s_wait_alu 0xf1ff
	s_delay_alu instid0(VALU_DEP_1) | instskip(SKIP_1) | instid1(VALU_DEP_2)
	v_cndmask_b32_e64 v0, 0, v0, s0
	v_cmp_lt_i32_e64 s0, v68, v32
	v_or_b32_e32 v117, v11, v0
	s_wait_alu 0xf1ff
	s_delay_alu instid0(VALU_DEP_2) | instskip(SKIP_2) | instid1(VALU_DEP_1)
	v_cndmask_b32_e64 v118, 0, v118, s0
	v_cmp_lt_i32_e64 s0, v67, v32
	s_wait_alu 0xf1ff
	v_cndmask_b32_e64 v114, 0, v114, s0
	v_cmp_lt_i32_e64 s0, v66, v32
	s_delay_alu instid0(VALU_DEP_2) | instskip(SKIP_1) | instid1(VALU_DEP_2)
	v_or_b32_e32 v128, v118, v114
	s_wait_alu 0xf1ff
	v_cndmask_b32_e64 v115, 0, v115, s0
	v_cmp_lt_i32_e64 s0, v14, v32
	s_wait_alu 0xf1ff
	s_delay_alu instid0(VALU_DEP_1) | instskip(NEXT) | instid1(VALU_DEP_1)
	v_cndmask_b32_e64 v10, 0, v10, s0
	v_or_b32_e32 v119, v115, v10
.LBB307_1781:                           ;   in Loop: Header=BB307_1055 Depth=1
	s_wait_alu 0xfffe
	s_or_b32 exec_lo, exec_lo, s12
	;;#ASMSTART
	v_pk_mul_f16 v0, v64, v129;

	;;#ASMEND
	;;#ASMSTART
	v_pk_mul_f16 v10, v54, v117;

	;;#ASMEND
	;;#ASMSTART
	v_pk_mul_f16 v11, v37, v128;

	;;#ASMEND
	;;#ASMSTART
	v_pk_mul_f16 v114, v36, v119;

	;;#ASMEND
	;;#ASMSTART
	v_pk_add_f16 v0, v0, v10;

	;;#ASMEND
	;;#ASMSTART
	v_pk_add_f16 v0, v0, v11;

	;;#ASMEND
	;; [unrolled: 4-line block ×3, first 2 shown]
	v_dual_mov_b32 v117, 0 :: v_dual_and_b32 v10, 0xffff, v0
	v_lshrrev_b32_e32 v0, 16, v0
	;;#ASMSTART
	v_cvt_f32_f16 v114, v10;
	;;#ASMEND
	;;#ASMSTART
	v_cvt_f32_f16 v115, v0;
	;;#ASMEND
	flat_load_b64 v[10:11], v[8:9] offset:2816
	flat_load_b32 v116, v[26:27]
	v_mov_b32_e32 v118, 0
	s_mov_b32 s12, exec_lo
	s_wait_loadcnt_dscnt 0x101
	v_and_b32_e32 v0, 0xff, v10
	s_delay_alu instid0(VALU_DEP_1)
	v_cmpx_ne_u16_e32 0, v0
	s_cbranch_execz .LBB307_1789
; %bb.1782:                             ;   in Loop: Header=BB307_1055 Depth=1
	v_mov_b32_e32 v118, 0x8000
	s_mov_b32 s13, exec_lo
	v_cmpx_ne_u16_e32 0x80, v0
	s_cbranch_execz .LBB307_1788
; %bb.1783:                             ;   in Loop: Header=BB307_1055 Depth=1
	v_and_b32_e32 v119, 0x7f, v10
	v_mov_b32_e32 v118, 0x7c01
	s_mov_b32 s14, exec_lo
	s_delay_alu instid0(VALU_DEP_2)
	v_cmpx_ne_u32_e32 0x7f, v119
	s_cbranch_execz .LBB307_1787
; %bb.1784:                             ;   in Loop: Header=BB307_1055 Depth=1
	v_and_b32_e32 v0, 7, v10
	v_lshrrev_b32_e32 v118, 3, v119
	s_mov_b32 s15, exec_lo
	v_cmpx_gt_u32_e32 8, v119
; %bb.1785:                             ;   in Loop: Header=BB307_1055 Depth=1
	s_delay_alu instid0(VALU_DEP_3) | instskip(NEXT) | instid1(VALU_DEP_1)
	v_clz_i32_u32_e32 v0, v0
	v_min_u32_e32 v0, 32, v0
	s_delay_alu instid0(VALU_DEP_1) | instskip(NEXT) | instid1(VALU_DEP_1)
	v_subrev_nc_u32_e32 v118, 28, v0
	v_lshlrev_b64_e32 v[128:129], v118, v[10:11]
	v_sub_nc_u32_e32 v118, 29, v0
	s_delay_alu instid0(VALU_DEP_2)
	v_and_b32_e32 v0, 7, v128
; %bb.1786:                             ;   in Loop: Header=BB307_1055 Depth=1
	s_wait_alu 0xfffe
	s_or_b32 exec_lo, exec_lo, s15
	v_lshlrev_b32_e32 v119, 8, v10
	v_lshl_add_u32 v118, v118, 10, 0x2000
	v_lshlrev_b32_e32 v0, 7, v0
	s_delay_alu instid0(VALU_DEP_3) | instskip(NEXT) | instid1(VALU_DEP_3)
	v_and_b32_e32 v119, 0x8000, v119
	v_and_b32_e32 v118, 0xfc00, v118
	s_delay_alu instid0(VALU_DEP_1)
	v_or3_b32 v118, v119, v118, v0
.LBB307_1787:                           ;   in Loop: Header=BB307_1055 Depth=1
	s_wait_alu 0xfffe
	s_or_b32 exec_lo, exec_lo, s14
.LBB307_1788:                           ;   in Loop: Header=BB307_1055 Depth=1
	s_wait_alu 0xfffe
	s_or_b32 exec_lo, exec_lo, s13
.LBB307_1789:                           ;   in Loop: Header=BB307_1055 Depth=1
	s_wait_alu 0xfffe
	s_or_b32 exec_lo, exec_lo, s12
	v_lshrrev_b16 v0, 8, v10
	s_mov_b32 s12, exec_lo
	s_delay_alu instid0(VALU_DEP_1)
	v_cmpx_ne_u16_e32 0, v0
	s_cbranch_execz .LBB307_1797
; %bb.1790:                             ;   in Loop: Header=BB307_1055 Depth=1
	v_bfrev_b32_e32 v117, 1
	s_mov_b32 s13, exec_lo
	v_cmpx_ne_u16_e32 0x80, v0
	s_cbranch_execz .LBB307_1796
; %bb.1791:                             ;   in Loop: Header=BB307_1055 Depth=1
	v_and_b32_e32 v119, 0xffff, v0
	v_mov_b32_e32 v117, 0x7c010000
	s_mov_b32 s14, exec_lo
	s_delay_alu instid0(VALU_DEP_2) | instskip(NEXT) | instid1(VALU_DEP_1)
	v_and_b32_e32 v129, 0x7f, v119
	v_cmpx_ne_u32_e32 0x7f, v129
	s_cbranch_execz .LBB307_1795
; %bb.1792:                             ;   in Loop: Header=BB307_1055 Depth=1
	v_and_b32_e32 v117, 7, v119
	v_lshrrev_b32_e32 v128, 3, v129
	s_mov_b32 s15, exec_lo
	v_cmpx_gt_u32_e32 8, v129
; %bb.1793:                             ;   in Loop: Header=BB307_1055 Depth=1
	s_delay_alu instid0(VALU_DEP_3) | instskip(NEXT) | instid1(VALU_DEP_1)
	v_clz_i32_u32_e32 v117, v117
	v_min_u32_e32 v117, 32, v117
	s_delay_alu instid0(VALU_DEP_1) | instskip(NEXT) | instid1(VALU_DEP_1)
	v_subrev_nc_u32_e32 v128, 28, v117
	v_lshlrev_b64_e32 v[129:130], v128, v[0:1]
	v_sub_nc_u32_e32 v128, 29, v117
	s_delay_alu instid0(VALU_DEP_2)
	v_and_b32_e32 v117, 7, v129
; %bb.1794:                             ;   in Loop: Header=BB307_1055 Depth=1
	s_wait_alu 0xfffe
	s_or_b32 exec_lo, exec_lo, s15
	v_lshlrev_b32_e32 v0, 8, v119
	v_lshl_add_u32 v119, v128, 10, 0x2000
	v_lshlrev_b32_e32 v117, 23, v117
	s_delay_alu instid0(VALU_DEP_2) | instskip(NEXT) | instid1(VALU_DEP_1)
	v_and_or_b32 v0, 0x8000, v0, v119
	v_lshl_or_b32 v117, v0, 16, v117
.LBB307_1795:                           ;   in Loop: Header=BB307_1055 Depth=1
	s_wait_alu 0xfffe
	s_or_b32 exec_lo, exec_lo, s14
.LBB307_1796:                           ;   in Loop: Header=BB307_1055 Depth=1
	s_wait_alu 0xfffe
	s_or_b32 exec_lo, exec_lo, s13
.LBB307_1797:                           ;   in Loop: Header=BB307_1055 Depth=1
	s_wait_alu 0xfffe
	s_or_b32 exec_lo, exec_lo, s12
	v_lshrrev_b32_e32 v0, 16, v10
	v_mov_b32_e32 v119, 0
	s_mov_b32 s12, exec_lo
	s_delay_alu instid0(VALU_DEP_2) | instskip(NEXT) | instid1(VALU_DEP_1)
	v_dual_mov_b32 v128, 0 :: v_dual_and_b32 v129, 0xff, v0
	v_cmpx_ne_u16_e64 0, v129
	s_cbranch_execz .LBB307_1805
; %bb.1798:                             ;   in Loop: Header=BB307_1055 Depth=1
	v_mov_b32_e32 v128, 0x8000
	s_mov_b32 s13, exec_lo
	v_cmpx_ne_u16_e64 0x80, v129
	s_cbranch_execz .LBB307_1804
; %bb.1799:                             ;   in Loop: Header=BB307_1055 Depth=1
	v_bfe_u32 v130, v10, 16, 7
	v_mov_b32_e32 v128, 0x7c01
	s_mov_b32 s14, exec_lo
	s_delay_alu instid0(VALU_DEP_2)
	v_cmpx_ne_u32_e32 0x7f, v130
	s_cbranch_execz .LBB307_1803
; %bb.1800:                             ;   in Loop: Header=BB307_1055 Depth=1
	v_and_b32_e32 v128, 7, v0
	v_lshrrev_b32_e32 v129, 3, v130
	s_mov_b32 s15, exec_lo
	v_cmpx_gt_u32_e32 8, v130
; %bb.1801:                             ;   in Loop: Header=BB307_1055 Depth=1
	s_delay_alu instid0(VALU_DEP_3) | instskip(NEXT) | instid1(VALU_DEP_1)
	v_clz_i32_u32_e32 v128, v128
	v_min_u32_e32 v130, 32, v128
	s_delay_alu instid0(VALU_DEP_1) | instskip(NEXT) | instid1(VALU_DEP_1)
	v_subrev_nc_u32_e32 v128, 28, v130
	v_lshlrev_b64_e32 v[128:129], v128, v[0:1]
	v_sub_nc_u32_e32 v129, 29, v130
	s_delay_alu instid0(VALU_DEP_2)
	v_and_b32_e32 v128, 7, v128
; %bb.1802:                             ;   in Loop: Header=BB307_1055 Depth=1
	s_wait_alu 0xfffe
	s_or_b32 exec_lo, exec_lo, s15
	v_lshlrev_b32_e32 v0, 8, v0
	v_lshl_add_u32 v129, v129, 10, 0x2000
	v_lshlrev_b32_e32 v128, 7, v128
	s_delay_alu instid0(VALU_DEP_3) | instskip(NEXT) | instid1(VALU_DEP_3)
	v_and_b32_e32 v0, 0x8000, v0
	v_and_b32_e32 v129, 0xfc00, v129
	s_delay_alu instid0(VALU_DEP_1)
	v_or3_b32 v128, v0, v129, v128
.LBB307_1803:                           ;   in Loop: Header=BB307_1055 Depth=1
	s_wait_alu 0xfffe
	s_or_b32 exec_lo, exec_lo, s14
.LBB307_1804:                           ;   in Loop: Header=BB307_1055 Depth=1
	s_wait_alu 0xfffe
	s_or_b32 exec_lo, exec_lo, s13
.LBB307_1805:                           ;   in Loop: Header=BB307_1055 Depth=1
	s_wait_alu 0xfffe
	s_or_b32 exec_lo, exec_lo, s12
	s_delay_alu instid0(SALU_CYCLE_1)
	s_mov_b32 s12, exec_lo
	v_cmpx_lt_u32_e32 0xffffff, v10
	s_cbranch_execz .LBB307_1813
; %bb.1806:                             ;   in Loop: Header=BB307_1055 Depth=1
	v_lshrrev_b32_e32 v0, 24, v10
	v_bfrev_b32_e32 v119, 1
	s_mov_b32 s13, exec_lo
	s_delay_alu instid0(VALU_DEP_2)
	v_cmpx_ne_u32_e32 0x80, v0
	s_cbranch_execz .LBB307_1812
; %bb.1807:                             ;   in Loop: Header=BB307_1055 Depth=1
	v_and_b32_e32 v130, 0x7f, v0
	v_mov_b32_e32 v119, 0x7c010000
	s_mov_b32 s14, exec_lo
	s_delay_alu instid0(VALU_DEP_2)
	v_cmpx_ne_u32_e32 0x7f, v130
	s_cbranch_execz .LBB307_1811
; %bb.1808:                             ;   in Loop: Header=BB307_1055 Depth=1
	v_and_b32_e32 v119, 7, v0
	v_lshrrev_b32_e32 v129, 3, v130
	s_mov_b32 s15, exec_lo
	v_cmpx_gt_u32_e32 8, v130
; %bb.1809:                             ;   in Loop: Header=BB307_1055 Depth=1
	s_delay_alu instid0(VALU_DEP_3) | instskip(NEXT) | instid1(VALU_DEP_1)
	v_clz_i32_u32_e32 v119, v119
	v_min_u32_e32 v119, 32, v119
	s_delay_alu instid0(VALU_DEP_1) | instskip(NEXT) | instid1(VALU_DEP_1)
	v_subrev_nc_u32_e32 v129, 28, v119
	v_lshlrev_b64_e32 v[130:131], v129, v[0:1]
	v_sub_nc_u32_e32 v129, 29, v119
	s_delay_alu instid0(VALU_DEP_2)
	v_and_b32_e32 v119, 7, v130
; %bb.1810:                             ;   in Loop: Header=BB307_1055 Depth=1
	s_wait_alu 0xfffe
	s_or_b32 exec_lo, exec_lo, s15
	v_lshlrev_b32_e32 v0, 8, v0
	v_lshl_add_u32 v129, v129, 10, 0x2000
	v_lshlrev_b32_e32 v119, 23, v119
	s_delay_alu instid0(VALU_DEP_2) | instskip(NEXT) | instid1(VALU_DEP_1)
	v_and_or_b32 v0, 0x8000, v0, v129
	v_lshl_or_b32 v119, v0, 16, v119
.LBB307_1811:                           ;   in Loop: Header=BB307_1055 Depth=1
	s_wait_alu 0xfffe
	s_or_b32 exec_lo, exec_lo, s14
.LBB307_1812:                           ;   in Loop: Header=BB307_1055 Depth=1
	s_wait_alu 0xfffe
	s_or_b32 exec_lo, exec_lo, s13
.LBB307_1813:                           ;   in Loop: Header=BB307_1055 Depth=1
	s_wait_alu 0xfffe
	s_or_b32 exec_lo, exec_lo, s12
	v_dual_mov_b32 v0, v11 :: v_dual_and_b32 v131, 0xff, v11
	v_dual_mov_b32 v129, 0 :: v_dual_mov_b32 v130, 0
	s_mov_b32 s12, exec_lo
	s_delay_alu instid0(VALU_DEP_2)
	v_cmpx_ne_u16_e64 0, v131
	s_cbranch_execz .LBB307_1821
; %bb.1814:                             ;   in Loop: Header=BB307_1055 Depth=1
	v_mov_b32_e32 v130, 0x8000
	s_mov_b32 s13, exec_lo
	v_cmpx_ne_u16_e64 0x80, v131
	s_cbranch_execz .LBB307_1820
; %bb.1815:                             ;   in Loop: Header=BB307_1055 Depth=1
	v_and_b32_e32 v132, 0x7f, v11
	v_mov_b32_e32 v130, 0x7c01
	s_mov_b32 s14, exec_lo
	s_delay_alu instid0(VALU_DEP_2)
	v_cmpx_ne_u32_e32 0x7f, v132
	s_cbranch_execz .LBB307_1819
; %bb.1816:                             ;   in Loop: Header=BB307_1055 Depth=1
	v_and_b32_e32 v130, 7, v11
	v_lshrrev_b32_e32 v131, 3, v132
	s_mov_b32 s15, exec_lo
	v_cmpx_gt_u32_e32 8, v132
; %bb.1817:                             ;   in Loop: Header=BB307_1055 Depth=1
	s_delay_alu instid0(VALU_DEP_3) | instskip(NEXT) | instid1(VALU_DEP_1)
	v_clz_i32_u32_e32 v130, v130
	v_min_u32_e32 v132, 32, v130
	s_delay_alu instid0(VALU_DEP_1) | instskip(NEXT) | instid1(VALU_DEP_1)
	v_subrev_nc_u32_e32 v130, 28, v132
	v_lshlrev_b64_e32 v[130:131], v130, v[0:1]
	v_sub_nc_u32_e32 v131, 29, v132
	s_delay_alu instid0(VALU_DEP_2)
	v_and_b32_e32 v130, 7, v130
; %bb.1818:                             ;   in Loop: Header=BB307_1055 Depth=1
	s_wait_alu 0xfffe
	s_or_b32 exec_lo, exec_lo, s15
	v_lshlrev_b32_e32 v132, 8, v11
	v_lshl_add_u32 v131, v131, 10, 0x2000
	v_lshlrev_b32_e32 v130, 7, v130
	s_delay_alu instid0(VALU_DEP_3) | instskip(NEXT) | instid1(VALU_DEP_3)
	v_and_b32_e32 v132, 0x8000, v132
	v_and_b32_e32 v131, 0xfc00, v131
	s_delay_alu instid0(VALU_DEP_1)
	v_or3_b32 v130, v132, v131, v130
.LBB307_1819:                           ;   in Loop: Header=BB307_1055 Depth=1
	s_wait_alu 0xfffe
	s_or_b32 exec_lo, exec_lo, s14
.LBB307_1820:                           ;   in Loop: Header=BB307_1055 Depth=1
	s_wait_alu 0xfffe
	s_or_b32 exec_lo, exec_lo, s13
.LBB307_1821:                           ;   in Loop: Header=BB307_1055 Depth=1
	s_wait_alu 0xfffe
	s_or_b32 exec_lo, exec_lo, s12
	v_lshrrev_b16 v0, 8, v0
	v_mov_b32_e32 v131, 0
	s_mov_b32 s12, exec_lo
	s_delay_alu instid0(VALU_DEP_2)
	v_cmpx_ne_u16_e32 0, v0
	s_cbranch_execz .LBB307_1829
; %bb.1822:                             ;   in Loop: Header=BB307_1055 Depth=1
	v_bfrev_b32_e32 v131, 1
	s_mov_b32 s13, exec_lo
	v_cmpx_ne_u16_e32 0x80, v0
	s_cbranch_execz .LBB307_1828
; %bb.1823:                             ;   in Loop: Header=BB307_1055 Depth=1
	v_and_b32_e32 v132, 0xffff, v0
	v_mov_b32_e32 v131, 0x7c010000
	s_mov_b32 s14, exec_lo
	s_delay_alu instid0(VALU_DEP_2) | instskip(NEXT) | instid1(VALU_DEP_1)
	v_and_b32_e32 v134, 0x7f, v132
	v_cmpx_ne_u32_e32 0x7f, v134
	s_cbranch_execz .LBB307_1827
; %bb.1824:                             ;   in Loop: Header=BB307_1055 Depth=1
	v_and_b32_e32 v131, 7, v132
	v_lshrrev_b32_e32 v133, 3, v134
	s_mov_b32 s15, exec_lo
	v_cmpx_gt_u32_e32 8, v134
; %bb.1825:                             ;   in Loop: Header=BB307_1055 Depth=1
	s_delay_alu instid0(VALU_DEP_3) | instskip(NEXT) | instid1(VALU_DEP_1)
	v_clz_i32_u32_e32 v131, v131
	v_min_u32_e32 v131, 32, v131
	s_delay_alu instid0(VALU_DEP_1) | instskip(NEXT) | instid1(VALU_DEP_1)
	v_subrev_nc_u32_e32 v133, 28, v131
	v_lshlrev_b64_e32 v[134:135], v133, v[0:1]
	v_sub_nc_u32_e32 v133, 29, v131
	s_delay_alu instid0(VALU_DEP_2)
	v_and_b32_e32 v131, 7, v134
; %bb.1826:                             ;   in Loop: Header=BB307_1055 Depth=1
	s_wait_alu 0xfffe
	s_or_b32 exec_lo, exec_lo, s15
	v_lshlrev_b32_e32 v0, 8, v132
	v_lshl_add_u32 v132, v133, 10, 0x2000
	v_lshlrev_b32_e32 v131, 23, v131
	s_delay_alu instid0(VALU_DEP_2) | instskip(NEXT) | instid1(VALU_DEP_1)
	v_and_or_b32 v0, 0x8000, v0, v132
	v_lshl_or_b32 v131, v0, 16, v131
.LBB307_1827:                           ;   in Loop: Header=BB307_1055 Depth=1
	s_wait_alu 0xfffe
	s_or_b32 exec_lo, exec_lo, s14
.LBB307_1828:                           ;   in Loop: Header=BB307_1055 Depth=1
	s_wait_alu 0xfffe
	s_or_b32 exec_lo, exec_lo, s13
.LBB307_1829:                           ;   in Loop: Header=BB307_1055 Depth=1
	s_wait_alu 0xfffe
	s_or_b32 exec_lo, exec_lo, s12
	v_lshrrev_b32_e32 v0, 16, v11
	s_mov_b32 s12, exec_lo
	s_delay_alu instid0(VALU_DEP_1) | instskip(NEXT) | instid1(VALU_DEP_1)
	v_and_b32_e32 v132, 0xff, v0
	v_cmpx_ne_u16_e64 0, v132
	s_cbranch_execz .LBB307_1837
; %bb.1830:                             ;   in Loop: Header=BB307_1055 Depth=1
	v_mov_b32_e32 v129, 0x8000
	s_mov_b32 s13, exec_lo
	v_cmpx_ne_u16_e64 0x80, v132
	s_cbranch_execz .LBB307_1836
; %bb.1831:                             ;   in Loop: Header=BB307_1055 Depth=1
	v_bfe_u32 v133, v11, 16, 7
	v_mov_b32_e32 v129, 0x7c01
	s_mov_b32 s14, exec_lo
	s_delay_alu instid0(VALU_DEP_2)
	v_cmpx_ne_u32_e32 0x7f, v133
	s_cbranch_execz .LBB307_1835
; %bb.1832:                             ;   in Loop: Header=BB307_1055 Depth=1
	v_and_b32_e32 v129, 7, v0
	v_lshrrev_b32_e32 v132, 3, v133
	s_mov_b32 s15, exec_lo
	v_cmpx_gt_u32_e32 8, v133
; %bb.1833:                             ;   in Loop: Header=BB307_1055 Depth=1
	s_delay_alu instid0(VALU_DEP_3) | instskip(NEXT) | instid1(VALU_DEP_1)
	v_clz_i32_u32_e32 v129, v129
	v_min_u32_e32 v129, 32, v129
	s_delay_alu instid0(VALU_DEP_1) | instskip(NEXT) | instid1(VALU_DEP_1)
	v_subrev_nc_u32_e32 v132, 28, v129
	v_lshlrev_b64_e32 v[133:134], v132, v[0:1]
	v_sub_nc_u32_e32 v132, 29, v129
	s_delay_alu instid0(VALU_DEP_2)
	v_and_b32_e32 v129, 7, v133
; %bb.1834:                             ;   in Loop: Header=BB307_1055 Depth=1
	s_wait_alu 0xfffe
	s_or_b32 exec_lo, exec_lo, s15
	v_lshlrev_b32_e32 v0, 8, v0
	v_lshl_add_u32 v132, v132, 10, 0x2000
	v_lshlrev_b32_e32 v129, 7, v129
	s_delay_alu instid0(VALU_DEP_3) | instskip(NEXT) | instid1(VALU_DEP_3)
	v_and_b32_e32 v0, 0x8000, v0
	v_and_b32_e32 v132, 0xfc00, v132
	s_delay_alu instid0(VALU_DEP_1)
	v_or3_b32 v129, v0, v132, v129
.LBB307_1835:                           ;   in Loop: Header=BB307_1055 Depth=1
	s_wait_alu 0xfffe
	s_or_b32 exec_lo, exec_lo, s14
.LBB307_1836:                           ;   in Loop: Header=BB307_1055 Depth=1
	s_wait_alu 0xfffe
	s_or_b32 exec_lo, exec_lo, s13
.LBB307_1837:                           ;   in Loop: Header=BB307_1055 Depth=1
	s_wait_alu 0xfffe
	s_or_b32 exec_lo, exec_lo, s12
	v_cmp_lt_u64_e64 s0, s[8:9], v[10:11]
	v_mov_b32_e32 v10, 0
	s_and_saveexec_b32 s12, s0
	s_cbranch_execz .LBB307_1845
; %bb.1838:                             ;   in Loop: Header=BB307_1055 Depth=1
	v_lshrrev_b32_e32 v0, 24, v11
	v_bfrev_b32_e32 v10, 1
	s_mov_b32 s13, exec_lo
	s_delay_alu instid0(VALU_DEP_2)
	v_cmpx_ne_u32_e32 0x80, v0
	s_cbranch_execz .LBB307_1844
; %bb.1839:                             ;   in Loop: Header=BB307_1055 Depth=1
	v_and_b32_e32 v132, 0x7f, v0
	v_mov_b32_e32 v10, 0x7c010000
	s_mov_b32 s14, exec_lo
	s_delay_alu instid0(VALU_DEP_2)
	v_cmpx_ne_u32_e32 0x7f, v132
	s_cbranch_execz .LBB307_1843
; %bb.1840:                             ;   in Loop: Header=BB307_1055 Depth=1
	v_and_b32_e32 v10, 7, v0
	v_lshrrev_b32_e32 v11, 3, v132
	s_mov_b32 s15, exec_lo
	v_cmpx_gt_u32_e32 8, v132
; %bb.1841:                             ;   in Loop: Header=BB307_1055 Depth=1
	s_delay_alu instid0(VALU_DEP_3) | instskip(NEXT) | instid1(VALU_DEP_1)
	v_clz_i32_u32_e32 v10, v10
	v_min_u32_e32 v132, 32, v10
	s_delay_alu instid0(VALU_DEP_1) | instskip(NEXT) | instid1(VALU_DEP_1)
	v_subrev_nc_u32_e32 v10, 28, v132
	v_lshlrev_b64_e32 v[10:11], v10, v[0:1]
	v_sub_nc_u32_e32 v11, 29, v132
	s_delay_alu instid0(VALU_DEP_2)
	v_and_b32_e32 v10, 7, v10
; %bb.1842:                             ;   in Loop: Header=BB307_1055 Depth=1
	s_wait_alu 0xfffe
	s_or_b32 exec_lo, exec_lo, s15
	v_lshlrev_b32_e32 v0, 8, v0
	v_lshl_add_u32 v11, v11, 10, 0x2000
	v_lshlrev_b32_e32 v10, 23, v10
	s_delay_alu instid0(VALU_DEP_2) | instskip(NEXT) | instid1(VALU_DEP_1)
	v_and_or_b32 v0, 0x8000, v0, v11
	v_lshl_or_b32 v10, v0, 16, v10
.LBB307_1843:                           ;   in Loop: Header=BB307_1055 Depth=1
	s_wait_alu 0xfffe
	s_or_b32 exec_lo, exec_lo, s14
.LBB307_1844:                           ;   in Loop: Header=BB307_1055 Depth=1
	s_wait_alu 0xfffe
	s_or_b32 exec_lo, exec_lo, s13
.LBB307_1845:                           ;   in Loop: Header=BB307_1055 Depth=1
	s_wait_alu 0xfffe
	s_or_b32 exec_lo, exec_lo, s12
	v_or_b32_e32 v0, v119, v128
	s_wait_loadcnt_dscnt 0x0
	v_fma_mixlo_f16 v11, v116, v119, 0 op_sel:[0,1,0] op_sel_hi:[0,1,0]
	v_or_b32_e32 v119, v117, v118
	v_fma_mixlo_f16 v117, v116, v117, 0 op_sel:[0,1,0] op_sel_hi:[0,1,0]
	v_or_b32_e32 v128, v131, v130
	v_or_b32_e32 v129, v10, v129
	v_fma_mixlo_f16 v130, v116, v0, 0 op_sel_hi:[0,1,0]
	v_fma_mixlo_f16 v10, v116, v10, 0 op_sel:[0,1,0] op_sel_hi:[0,1,0]
	v_lshlrev_b32_e32 v118, 16, v117
	v_fma_mixlo_f16 v117, v116, v119, 0 op_sel_hi:[0,1,0]
	v_fma_mixlo_f16 v119, v116, v131, 0 op_sel:[0,1,0] op_sel_hi:[0,1,0]
	v_fma_mixlo_f16 v128, v116, v128, 0 op_sel_hi:[0,1,0]
	v_fma_mixlo_f16 v129, v116, v129, 0 op_sel_hi:[0,1,0]
	v_lshlrev_b32_e32 v0, 16, v11
	v_and_b32_e32 v11, 0xffff, v130
	v_and_b32_e32 v132, 0xffff, v117
	v_lshlrev_b32_e32 v116, 16, v119
	v_and_b32_e32 v128, 0xffff, v128
	v_lshlrev_b32_e32 v10, 16, v10
	v_and_b32_e32 v117, 0xffff, v129
	v_or_b32_e32 v119, v0, v11
	v_or_b32_e32 v131, v118, v132
	;; [unrolled: 1-line block ×3, first 2 shown]
	s_delay_alu instid0(VALU_DEP_4)
	v_or_b32_e32 v129, v10, v117
	s_and_saveexec_b32 s12, vcc_lo
	s_cbranch_execz .LBB307_1847
; %bb.1846:                             ;   in Loop: Header=BB307_1055 Depth=1
	v_cmp_lt_i32_e64 s0, v35, v32
	s_wait_alu 0xf1ff
	s_delay_alu instid0(VALU_DEP_1) | instskip(SKIP_2) | instid1(VALU_DEP_1)
	v_cndmask_b32_e64 v119, 0, v132, s0
	v_cmp_lt_i32_e64 s0, v71, v32
	s_wait_alu 0xf1ff
	v_cndmask_b32_e64 v118, 0, v118, s0
	v_cmp_lt_i32_e64 s0, v70, v32
	s_delay_alu instid0(VALU_DEP_2) | instskip(SKIP_1) | instid1(VALU_DEP_2)
	v_or_b32_e32 v131, v119, v118
	s_wait_alu 0xf1ff
	v_cndmask_b32_e64 v11, 0, v11, s0
	v_cmp_lt_i32_e64 s0, v69, v32
	s_wait_alu 0xf1ff
	s_delay_alu instid0(VALU_DEP_1) | instskip(SKIP_1) | instid1(VALU_DEP_2)
	v_cndmask_b32_e64 v0, 0, v0, s0
	v_cmp_lt_i32_e64 s0, v68, v32
	v_or_b32_e32 v119, v11, v0
	s_wait_alu 0xf1ff
	s_delay_alu instid0(VALU_DEP_2) | instskip(SKIP_2) | instid1(VALU_DEP_1)
	v_cndmask_b32_e64 v128, 0, v128, s0
	v_cmp_lt_i32_e64 s0, v67, v32
	s_wait_alu 0xf1ff
	v_cndmask_b32_e64 v116, 0, v116, s0
	v_cmp_lt_i32_e64 s0, v66, v32
	s_delay_alu instid0(VALU_DEP_2) | instskip(SKIP_1) | instid1(VALU_DEP_2)
	v_or_b32_e32 v130, v128, v116
	s_wait_alu 0xf1ff
	v_cndmask_b32_e64 v117, 0, v117, s0
	v_cmp_lt_i32_e64 s0, v14, v32
	s_wait_alu 0xf1ff
	s_delay_alu instid0(VALU_DEP_1) | instskip(NEXT) | instid1(VALU_DEP_1)
	v_cndmask_b32_e64 v10, 0, v10, s0
	v_or_b32_e32 v129, v117, v10
.LBB307_1847:                           ;   in Loop: Header=BB307_1055 Depth=1
	s_wait_alu 0xfffe
	s_or_b32 exec_lo, exec_lo, s12
	;;#ASMSTART
	v_pk_mul_f16 v0, v64, v131;

	;;#ASMEND
	;;#ASMSTART
	v_pk_mul_f16 v10, v54, v119;

	;;#ASMEND
	;; [unrolled: 4-line block ×4, first 2 shown]
	;;#ASMSTART
	v_pk_add_f16 v0, v0, v10;

	;;#ASMEND
	;;#ASMSTART
	v_pk_add_f16 v0, v0, v11;

	;;#ASMEND
	;; [unrolled: 4-line block ×3, first 2 shown]
	v_dual_mov_b32 v119, 0 :: v_dual_and_b32 v10, 0xffff, v0
	v_lshrrev_b32_e32 v0, 16, v0
	;;#ASMSTART
	v_cvt_f32_f16 v116, v10;
	;;#ASMEND
	;;#ASMSTART
	v_cvt_f32_f16 v117, v0;
	;;#ASMEND
	flat_load_b64 v[10:11], v[8:9] offset:3072
	flat_load_b32 v118, v[26:27]
	v_mov_b32_e32 v128, 0
	s_mov_b32 s12, exec_lo
	s_wait_loadcnt_dscnt 0x101
	v_and_b32_e32 v0, 0xff, v10
	s_delay_alu instid0(VALU_DEP_1)
	v_cmpx_ne_u16_e32 0, v0
	s_cbranch_execz .LBB307_1855
; %bb.1848:                             ;   in Loop: Header=BB307_1055 Depth=1
	v_mov_b32_e32 v128, 0x8000
	s_mov_b32 s13, exec_lo
	v_cmpx_ne_u16_e32 0x80, v0
	s_cbranch_execz .LBB307_1854
; %bb.1849:                             ;   in Loop: Header=BB307_1055 Depth=1
	v_and_b32_e32 v129, 0x7f, v10
	v_mov_b32_e32 v128, 0x7c01
	s_mov_b32 s14, exec_lo
	s_delay_alu instid0(VALU_DEP_2)
	v_cmpx_ne_u32_e32 0x7f, v129
	s_cbranch_execz .LBB307_1853
; %bb.1850:                             ;   in Loop: Header=BB307_1055 Depth=1
	v_and_b32_e32 v0, 7, v10
	v_lshrrev_b32_e32 v128, 3, v129
	s_mov_b32 s15, exec_lo
	v_cmpx_gt_u32_e32 8, v129
; %bb.1851:                             ;   in Loop: Header=BB307_1055 Depth=1
	s_delay_alu instid0(VALU_DEP_3) | instskip(NEXT) | instid1(VALU_DEP_1)
	v_clz_i32_u32_e32 v0, v0
	v_min_u32_e32 v0, 32, v0
	s_delay_alu instid0(VALU_DEP_1) | instskip(NEXT) | instid1(VALU_DEP_1)
	v_subrev_nc_u32_e32 v128, 28, v0
	v_lshlrev_b64_e32 v[129:130], v128, v[10:11]
	v_sub_nc_u32_e32 v128, 29, v0
	s_delay_alu instid0(VALU_DEP_2)
	v_and_b32_e32 v0, 7, v129
; %bb.1852:                             ;   in Loop: Header=BB307_1055 Depth=1
	s_wait_alu 0xfffe
	s_or_b32 exec_lo, exec_lo, s15
	v_lshlrev_b32_e32 v129, 8, v10
	v_lshl_add_u32 v128, v128, 10, 0x2000
	v_lshlrev_b32_e32 v0, 7, v0
	s_delay_alu instid0(VALU_DEP_3) | instskip(NEXT) | instid1(VALU_DEP_3)
	v_and_b32_e32 v129, 0x8000, v129
	v_and_b32_e32 v128, 0xfc00, v128
	s_delay_alu instid0(VALU_DEP_1)
	v_or3_b32 v128, v129, v128, v0
.LBB307_1853:                           ;   in Loop: Header=BB307_1055 Depth=1
	s_wait_alu 0xfffe
	s_or_b32 exec_lo, exec_lo, s14
.LBB307_1854:                           ;   in Loop: Header=BB307_1055 Depth=1
	s_wait_alu 0xfffe
	s_or_b32 exec_lo, exec_lo, s13
.LBB307_1855:                           ;   in Loop: Header=BB307_1055 Depth=1
	s_wait_alu 0xfffe
	s_or_b32 exec_lo, exec_lo, s12
	v_lshrrev_b16 v0, 8, v10
	s_mov_b32 s12, exec_lo
	s_delay_alu instid0(VALU_DEP_1)
	v_cmpx_ne_u16_e32 0, v0
	s_cbranch_execz .LBB307_1863
; %bb.1856:                             ;   in Loop: Header=BB307_1055 Depth=1
	v_bfrev_b32_e32 v119, 1
	s_mov_b32 s13, exec_lo
	v_cmpx_ne_u16_e32 0x80, v0
	s_cbranch_execz .LBB307_1862
; %bb.1857:                             ;   in Loop: Header=BB307_1055 Depth=1
	v_and_b32_e32 v129, 0xffff, v0
	v_mov_b32_e32 v119, 0x7c010000
	s_mov_b32 s14, exec_lo
	s_delay_alu instid0(VALU_DEP_2) | instskip(NEXT) | instid1(VALU_DEP_1)
	v_and_b32_e32 v131, 0x7f, v129
	v_cmpx_ne_u32_e32 0x7f, v131
	s_cbranch_execz .LBB307_1861
; %bb.1858:                             ;   in Loop: Header=BB307_1055 Depth=1
	v_and_b32_e32 v119, 7, v129
	v_lshrrev_b32_e32 v130, 3, v131
	s_mov_b32 s15, exec_lo
	v_cmpx_gt_u32_e32 8, v131
; %bb.1859:                             ;   in Loop: Header=BB307_1055 Depth=1
	s_delay_alu instid0(VALU_DEP_3) | instskip(NEXT) | instid1(VALU_DEP_1)
	v_clz_i32_u32_e32 v119, v119
	v_min_u32_e32 v119, 32, v119
	s_delay_alu instid0(VALU_DEP_1) | instskip(NEXT) | instid1(VALU_DEP_1)
	v_subrev_nc_u32_e32 v130, 28, v119
	v_lshlrev_b64_e32 v[131:132], v130, v[0:1]
	v_sub_nc_u32_e32 v130, 29, v119
	s_delay_alu instid0(VALU_DEP_2)
	v_and_b32_e32 v119, 7, v131
; %bb.1860:                             ;   in Loop: Header=BB307_1055 Depth=1
	s_wait_alu 0xfffe
	s_or_b32 exec_lo, exec_lo, s15
	v_lshlrev_b32_e32 v0, 8, v129
	v_lshl_add_u32 v129, v130, 10, 0x2000
	v_lshlrev_b32_e32 v119, 23, v119
	s_delay_alu instid0(VALU_DEP_2) | instskip(NEXT) | instid1(VALU_DEP_1)
	v_and_or_b32 v0, 0x8000, v0, v129
	v_lshl_or_b32 v119, v0, 16, v119
.LBB307_1861:                           ;   in Loop: Header=BB307_1055 Depth=1
	s_wait_alu 0xfffe
	s_or_b32 exec_lo, exec_lo, s14
.LBB307_1862:                           ;   in Loop: Header=BB307_1055 Depth=1
	s_wait_alu 0xfffe
	s_or_b32 exec_lo, exec_lo, s13
.LBB307_1863:                           ;   in Loop: Header=BB307_1055 Depth=1
	s_wait_alu 0xfffe
	s_or_b32 exec_lo, exec_lo, s12
	v_lshrrev_b32_e32 v0, 16, v10
	v_mov_b32_e32 v129, 0
	s_mov_b32 s12, exec_lo
	s_delay_alu instid0(VALU_DEP_2) | instskip(NEXT) | instid1(VALU_DEP_1)
	v_dual_mov_b32 v130, 0 :: v_dual_and_b32 v131, 0xff, v0
	v_cmpx_ne_u16_e64 0, v131
	s_cbranch_execz .LBB307_1871
; %bb.1864:                             ;   in Loop: Header=BB307_1055 Depth=1
	v_mov_b32_e32 v130, 0x8000
	s_mov_b32 s13, exec_lo
	v_cmpx_ne_u16_e64 0x80, v131
	s_cbranch_execz .LBB307_1870
; %bb.1865:                             ;   in Loop: Header=BB307_1055 Depth=1
	v_bfe_u32 v132, v10, 16, 7
	v_mov_b32_e32 v130, 0x7c01
	s_mov_b32 s14, exec_lo
	s_delay_alu instid0(VALU_DEP_2)
	v_cmpx_ne_u32_e32 0x7f, v132
	s_cbranch_execz .LBB307_1869
; %bb.1866:                             ;   in Loop: Header=BB307_1055 Depth=1
	v_and_b32_e32 v130, 7, v0
	v_lshrrev_b32_e32 v131, 3, v132
	s_mov_b32 s15, exec_lo
	v_cmpx_gt_u32_e32 8, v132
; %bb.1867:                             ;   in Loop: Header=BB307_1055 Depth=1
	s_delay_alu instid0(VALU_DEP_3) | instskip(NEXT) | instid1(VALU_DEP_1)
	v_clz_i32_u32_e32 v130, v130
	v_min_u32_e32 v132, 32, v130
	s_delay_alu instid0(VALU_DEP_1) | instskip(NEXT) | instid1(VALU_DEP_1)
	v_subrev_nc_u32_e32 v130, 28, v132
	v_lshlrev_b64_e32 v[130:131], v130, v[0:1]
	v_sub_nc_u32_e32 v131, 29, v132
	s_delay_alu instid0(VALU_DEP_2)
	v_and_b32_e32 v130, 7, v130
; %bb.1868:                             ;   in Loop: Header=BB307_1055 Depth=1
	s_wait_alu 0xfffe
	s_or_b32 exec_lo, exec_lo, s15
	v_lshlrev_b32_e32 v0, 8, v0
	v_lshl_add_u32 v131, v131, 10, 0x2000
	v_lshlrev_b32_e32 v130, 7, v130
	s_delay_alu instid0(VALU_DEP_3) | instskip(NEXT) | instid1(VALU_DEP_3)
	v_and_b32_e32 v0, 0x8000, v0
	v_and_b32_e32 v131, 0xfc00, v131
	s_delay_alu instid0(VALU_DEP_1)
	v_or3_b32 v130, v0, v131, v130
.LBB307_1869:                           ;   in Loop: Header=BB307_1055 Depth=1
	s_wait_alu 0xfffe
	s_or_b32 exec_lo, exec_lo, s14
.LBB307_1870:                           ;   in Loop: Header=BB307_1055 Depth=1
	s_wait_alu 0xfffe
	s_or_b32 exec_lo, exec_lo, s13
.LBB307_1871:                           ;   in Loop: Header=BB307_1055 Depth=1
	s_wait_alu 0xfffe
	s_or_b32 exec_lo, exec_lo, s12
	s_delay_alu instid0(SALU_CYCLE_1)
	s_mov_b32 s12, exec_lo
	v_cmpx_lt_u32_e32 0xffffff, v10
	s_cbranch_execz .LBB307_1879
; %bb.1872:                             ;   in Loop: Header=BB307_1055 Depth=1
	v_lshrrev_b32_e32 v0, 24, v10
	v_bfrev_b32_e32 v129, 1
	s_mov_b32 s13, exec_lo
	s_delay_alu instid0(VALU_DEP_2)
	v_cmpx_ne_u32_e32 0x80, v0
	s_cbranch_execz .LBB307_1878
; %bb.1873:                             ;   in Loop: Header=BB307_1055 Depth=1
	v_and_b32_e32 v132, 0x7f, v0
	v_mov_b32_e32 v129, 0x7c010000
	s_mov_b32 s14, exec_lo
	s_delay_alu instid0(VALU_DEP_2)
	v_cmpx_ne_u32_e32 0x7f, v132
	s_cbranch_execz .LBB307_1877
; %bb.1874:                             ;   in Loop: Header=BB307_1055 Depth=1
	v_and_b32_e32 v129, 7, v0
	v_lshrrev_b32_e32 v131, 3, v132
	s_mov_b32 s15, exec_lo
	v_cmpx_gt_u32_e32 8, v132
; %bb.1875:                             ;   in Loop: Header=BB307_1055 Depth=1
	s_delay_alu instid0(VALU_DEP_3) | instskip(NEXT) | instid1(VALU_DEP_1)
	v_clz_i32_u32_e32 v129, v129
	v_min_u32_e32 v129, 32, v129
	s_delay_alu instid0(VALU_DEP_1) | instskip(NEXT) | instid1(VALU_DEP_1)
	v_subrev_nc_u32_e32 v131, 28, v129
	v_lshlrev_b64_e32 v[132:133], v131, v[0:1]
	v_sub_nc_u32_e32 v131, 29, v129
	s_delay_alu instid0(VALU_DEP_2)
	v_and_b32_e32 v129, 7, v132
; %bb.1876:                             ;   in Loop: Header=BB307_1055 Depth=1
	s_wait_alu 0xfffe
	s_or_b32 exec_lo, exec_lo, s15
	v_lshlrev_b32_e32 v0, 8, v0
	v_lshl_add_u32 v131, v131, 10, 0x2000
	v_lshlrev_b32_e32 v129, 23, v129
	s_delay_alu instid0(VALU_DEP_2) | instskip(NEXT) | instid1(VALU_DEP_1)
	v_and_or_b32 v0, 0x8000, v0, v131
	v_lshl_or_b32 v129, v0, 16, v129
.LBB307_1877:                           ;   in Loop: Header=BB307_1055 Depth=1
	s_wait_alu 0xfffe
	s_or_b32 exec_lo, exec_lo, s14
.LBB307_1878:                           ;   in Loop: Header=BB307_1055 Depth=1
	s_wait_alu 0xfffe
	s_or_b32 exec_lo, exec_lo, s13
.LBB307_1879:                           ;   in Loop: Header=BB307_1055 Depth=1
	s_wait_alu 0xfffe
	s_or_b32 exec_lo, exec_lo, s12
	v_dual_mov_b32 v0, v11 :: v_dual_and_b32 v133, 0xff, v11
	v_dual_mov_b32 v131, 0 :: v_dual_mov_b32 v132, 0
	s_mov_b32 s12, exec_lo
	s_delay_alu instid0(VALU_DEP_2)
	v_cmpx_ne_u16_e64 0, v133
	s_cbranch_execz .LBB307_1887
; %bb.1880:                             ;   in Loop: Header=BB307_1055 Depth=1
	v_mov_b32_e32 v132, 0x8000
	s_mov_b32 s13, exec_lo
	v_cmpx_ne_u16_e64 0x80, v133
	s_cbranch_execz .LBB307_1886
; %bb.1881:                             ;   in Loop: Header=BB307_1055 Depth=1
	v_and_b32_e32 v134, 0x7f, v11
	v_mov_b32_e32 v132, 0x7c01
	s_mov_b32 s14, exec_lo
	s_delay_alu instid0(VALU_DEP_2)
	v_cmpx_ne_u32_e32 0x7f, v134
	s_cbranch_execz .LBB307_1885
; %bb.1882:                             ;   in Loop: Header=BB307_1055 Depth=1
	v_and_b32_e32 v132, 7, v11
	v_lshrrev_b32_e32 v133, 3, v134
	s_mov_b32 s15, exec_lo
	v_cmpx_gt_u32_e32 8, v134
; %bb.1883:                             ;   in Loop: Header=BB307_1055 Depth=1
	s_delay_alu instid0(VALU_DEP_3) | instskip(NEXT) | instid1(VALU_DEP_1)
	v_clz_i32_u32_e32 v132, v132
	v_min_u32_e32 v134, 32, v132
	s_delay_alu instid0(VALU_DEP_1) | instskip(NEXT) | instid1(VALU_DEP_1)
	v_subrev_nc_u32_e32 v132, 28, v134
	v_lshlrev_b64_e32 v[132:133], v132, v[0:1]
	v_sub_nc_u32_e32 v133, 29, v134
	s_delay_alu instid0(VALU_DEP_2)
	v_and_b32_e32 v132, 7, v132
; %bb.1884:                             ;   in Loop: Header=BB307_1055 Depth=1
	s_wait_alu 0xfffe
	s_or_b32 exec_lo, exec_lo, s15
	v_lshlrev_b32_e32 v134, 8, v11
	v_lshl_add_u32 v133, v133, 10, 0x2000
	v_lshlrev_b32_e32 v132, 7, v132
	s_delay_alu instid0(VALU_DEP_3) | instskip(NEXT) | instid1(VALU_DEP_3)
	v_and_b32_e32 v134, 0x8000, v134
	v_and_b32_e32 v133, 0xfc00, v133
	s_delay_alu instid0(VALU_DEP_1)
	v_or3_b32 v132, v134, v133, v132
.LBB307_1885:                           ;   in Loop: Header=BB307_1055 Depth=1
	s_wait_alu 0xfffe
	s_or_b32 exec_lo, exec_lo, s14
.LBB307_1886:                           ;   in Loop: Header=BB307_1055 Depth=1
	s_wait_alu 0xfffe
	s_or_b32 exec_lo, exec_lo, s13
.LBB307_1887:                           ;   in Loop: Header=BB307_1055 Depth=1
	s_wait_alu 0xfffe
	s_or_b32 exec_lo, exec_lo, s12
	v_lshrrev_b16 v0, 8, v0
	v_mov_b32_e32 v133, 0
	s_mov_b32 s12, exec_lo
	s_delay_alu instid0(VALU_DEP_2)
	v_cmpx_ne_u16_e32 0, v0
	s_cbranch_execz .LBB307_1895
; %bb.1888:                             ;   in Loop: Header=BB307_1055 Depth=1
	v_bfrev_b32_e32 v133, 1
	s_mov_b32 s13, exec_lo
	v_cmpx_ne_u16_e32 0x80, v0
	s_cbranch_execz .LBB307_1894
; %bb.1889:                             ;   in Loop: Header=BB307_1055 Depth=1
	v_and_b32_e32 v134, 0xffff, v0
	v_mov_b32_e32 v133, 0x7c010000
	s_mov_b32 s14, exec_lo
	s_delay_alu instid0(VALU_DEP_2) | instskip(NEXT) | instid1(VALU_DEP_1)
	v_and_b32_e32 v144, 0x7f, v134
	v_cmpx_ne_u32_e32 0x7f, v144
	s_cbranch_execz .LBB307_1893
; %bb.1890:                             ;   in Loop: Header=BB307_1055 Depth=1
	v_and_b32_e32 v133, 7, v134
	v_lshrrev_b32_e32 v135, 3, v144
	s_mov_b32 s15, exec_lo
	v_cmpx_gt_u32_e32 8, v144
; %bb.1891:                             ;   in Loop: Header=BB307_1055 Depth=1
	s_delay_alu instid0(VALU_DEP_3) | instskip(NEXT) | instid1(VALU_DEP_1)
	v_clz_i32_u32_e32 v133, v133
	v_min_u32_e32 v133, 32, v133
	s_delay_alu instid0(VALU_DEP_1) | instskip(NEXT) | instid1(VALU_DEP_1)
	v_subrev_nc_u32_e32 v135, 28, v133
	v_lshlrev_b64_e32 v[144:145], v135, v[0:1]
	v_sub_nc_u32_e32 v135, 29, v133
	s_delay_alu instid0(VALU_DEP_2)
	v_and_b32_e32 v133, 7, v144
; %bb.1892:                             ;   in Loop: Header=BB307_1055 Depth=1
	s_wait_alu 0xfffe
	s_or_b32 exec_lo, exec_lo, s15
	v_lshlrev_b32_e32 v0, 8, v134
	v_lshl_add_u32 v134, v135, 10, 0x2000
	v_lshlrev_b32_e32 v133, 23, v133
	s_delay_alu instid0(VALU_DEP_2) | instskip(NEXT) | instid1(VALU_DEP_1)
	v_and_or_b32 v0, 0x8000, v0, v134
	v_lshl_or_b32 v133, v0, 16, v133
.LBB307_1893:                           ;   in Loop: Header=BB307_1055 Depth=1
	s_wait_alu 0xfffe
	s_or_b32 exec_lo, exec_lo, s14
.LBB307_1894:                           ;   in Loop: Header=BB307_1055 Depth=1
	s_wait_alu 0xfffe
	s_or_b32 exec_lo, exec_lo, s13
.LBB307_1895:                           ;   in Loop: Header=BB307_1055 Depth=1
	s_wait_alu 0xfffe
	s_or_b32 exec_lo, exec_lo, s12
	v_lshrrev_b32_e32 v0, 16, v11
	s_mov_b32 s12, exec_lo
	s_delay_alu instid0(VALU_DEP_1) | instskip(NEXT) | instid1(VALU_DEP_1)
	v_and_b32_e32 v134, 0xff, v0
	v_cmpx_ne_u16_e64 0, v134
	s_cbranch_execz .LBB307_1903
; %bb.1896:                             ;   in Loop: Header=BB307_1055 Depth=1
	v_mov_b32_e32 v131, 0x8000
	s_mov_b32 s13, exec_lo
	v_cmpx_ne_u16_e64 0x80, v134
	s_cbranch_execz .LBB307_1902
; %bb.1897:                             ;   in Loop: Header=BB307_1055 Depth=1
	v_bfe_u32 v135, v11, 16, 7
	v_mov_b32_e32 v131, 0x7c01
	s_mov_b32 s14, exec_lo
	s_delay_alu instid0(VALU_DEP_2)
	v_cmpx_ne_u32_e32 0x7f, v135
	s_cbranch_execz .LBB307_1901
; %bb.1898:                             ;   in Loop: Header=BB307_1055 Depth=1
	v_and_b32_e32 v131, 7, v0
	v_lshrrev_b32_e32 v134, 3, v135
	s_mov_b32 s15, exec_lo
	v_cmpx_gt_u32_e32 8, v135
; %bb.1899:                             ;   in Loop: Header=BB307_1055 Depth=1
	s_delay_alu instid0(VALU_DEP_3) | instskip(NEXT) | instid1(VALU_DEP_1)
	v_clz_i32_u32_e32 v131, v131
	v_min_u32_e32 v131, 32, v131
	s_delay_alu instid0(VALU_DEP_1) | instskip(NEXT) | instid1(VALU_DEP_1)
	v_subrev_nc_u32_e32 v134, 28, v131
	v_lshlrev_b64_e32 v[144:145], v134, v[0:1]
	v_sub_nc_u32_e32 v134, 29, v131
	s_delay_alu instid0(VALU_DEP_2)
	v_and_b32_e32 v131, 7, v144
; %bb.1900:                             ;   in Loop: Header=BB307_1055 Depth=1
	s_wait_alu 0xfffe
	s_or_b32 exec_lo, exec_lo, s15
	v_lshlrev_b32_e32 v0, 8, v0
	v_lshl_add_u32 v134, v134, 10, 0x2000
	v_lshlrev_b32_e32 v131, 7, v131
	s_delay_alu instid0(VALU_DEP_3) | instskip(NEXT) | instid1(VALU_DEP_3)
	v_and_b32_e32 v0, 0x8000, v0
	v_and_b32_e32 v134, 0xfc00, v134
	s_delay_alu instid0(VALU_DEP_1)
	v_or3_b32 v131, v0, v134, v131
.LBB307_1901:                           ;   in Loop: Header=BB307_1055 Depth=1
	s_wait_alu 0xfffe
	s_or_b32 exec_lo, exec_lo, s14
.LBB307_1902:                           ;   in Loop: Header=BB307_1055 Depth=1
	s_wait_alu 0xfffe
	s_or_b32 exec_lo, exec_lo, s13
.LBB307_1903:                           ;   in Loop: Header=BB307_1055 Depth=1
	s_wait_alu 0xfffe
	s_or_b32 exec_lo, exec_lo, s12
	v_cmp_lt_u64_e64 s0, s[8:9], v[10:11]
	v_mov_b32_e32 v10, 0
	s_and_saveexec_b32 s12, s0
	s_cbranch_execz .LBB307_1911
; %bb.1904:                             ;   in Loop: Header=BB307_1055 Depth=1
	v_lshrrev_b32_e32 v0, 24, v11
	v_bfrev_b32_e32 v10, 1
	s_mov_b32 s13, exec_lo
	s_delay_alu instid0(VALU_DEP_2)
	v_cmpx_ne_u32_e32 0x80, v0
	s_cbranch_execz .LBB307_1910
; %bb.1905:                             ;   in Loop: Header=BB307_1055 Depth=1
	v_and_b32_e32 v134, 0x7f, v0
	v_mov_b32_e32 v10, 0x7c010000
	s_mov_b32 s14, exec_lo
	s_delay_alu instid0(VALU_DEP_2)
	v_cmpx_ne_u32_e32 0x7f, v134
	s_cbranch_execz .LBB307_1909
; %bb.1906:                             ;   in Loop: Header=BB307_1055 Depth=1
	v_and_b32_e32 v10, 7, v0
	v_lshrrev_b32_e32 v11, 3, v134
	s_mov_b32 s15, exec_lo
	v_cmpx_gt_u32_e32 8, v134
; %bb.1907:                             ;   in Loop: Header=BB307_1055 Depth=1
	s_delay_alu instid0(VALU_DEP_3) | instskip(NEXT) | instid1(VALU_DEP_1)
	v_clz_i32_u32_e32 v10, v10
	v_min_u32_e32 v134, 32, v10
	s_delay_alu instid0(VALU_DEP_1) | instskip(NEXT) | instid1(VALU_DEP_1)
	v_subrev_nc_u32_e32 v10, 28, v134
	v_lshlrev_b64_e32 v[10:11], v10, v[0:1]
	v_sub_nc_u32_e32 v11, 29, v134
	s_delay_alu instid0(VALU_DEP_2)
	v_and_b32_e32 v10, 7, v10
; %bb.1908:                             ;   in Loop: Header=BB307_1055 Depth=1
	s_wait_alu 0xfffe
	s_or_b32 exec_lo, exec_lo, s15
	v_lshlrev_b32_e32 v0, 8, v0
	v_lshl_add_u32 v11, v11, 10, 0x2000
	v_lshlrev_b32_e32 v10, 23, v10
	s_delay_alu instid0(VALU_DEP_2) | instskip(NEXT) | instid1(VALU_DEP_1)
	v_and_or_b32 v0, 0x8000, v0, v11
	v_lshl_or_b32 v10, v0, 16, v10
.LBB307_1909:                           ;   in Loop: Header=BB307_1055 Depth=1
	s_wait_alu 0xfffe
	s_or_b32 exec_lo, exec_lo, s14
.LBB307_1910:                           ;   in Loop: Header=BB307_1055 Depth=1
	s_wait_alu 0xfffe
	s_or_b32 exec_lo, exec_lo, s13
.LBB307_1911:                           ;   in Loop: Header=BB307_1055 Depth=1
	s_wait_alu 0xfffe
	s_or_b32 exec_lo, exec_lo, s12
	v_or_b32_e32 v0, v129, v130
	s_wait_loadcnt_dscnt 0x0
	v_fma_mixlo_f16 v11, v118, v129, 0 op_sel:[0,1,0] op_sel_hi:[0,1,0]
	v_or_b32_e32 v129, v119, v128
	v_fma_mixlo_f16 v119, v118, v119, 0 op_sel:[0,1,0] op_sel_hi:[0,1,0]
	v_or_b32_e32 v130, v133, v132
	v_or_b32_e32 v131, v10, v131
	v_fma_mixlo_f16 v132, v118, v0, 0 op_sel_hi:[0,1,0]
	v_fma_mixlo_f16 v10, v118, v10, 0 op_sel:[0,1,0] op_sel_hi:[0,1,0]
	v_lshlrev_b32_e32 v128, 16, v119
	v_fma_mixlo_f16 v119, v118, v129, 0 op_sel_hi:[0,1,0]
	v_fma_mixlo_f16 v129, v118, v133, 0 op_sel:[0,1,0] op_sel_hi:[0,1,0]
	v_fma_mixlo_f16 v130, v118, v130, 0 op_sel_hi:[0,1,0]
	v_fma_mixlo_f16 v131, v118, v131, 0 op_sel_hi:[0,1,0]
	v_lshlrev_b32_e32 v0, 16, v11
	v_and_b32_e32 v11, 0xffff, v132
	v_and_b32_e32 v134, 0xffff, v119
	v_lshlrev_b32_e32 v118, 16, v129
	v_and_b32_e32 v130, 0xffff, v130
	v_lshlrev_b32_e32 v10, 16, v10
	v_and_b32_e32 v119, 0xffff, v131
	v_or_b32_e32 v129, v0, v11
	v_or_b32_e32 v133, v128, v134
	;; [unrolled: 1-line block ×3, first 2 shown]
	s_delay_alu instid0(VALU_DEP_4)
	v_or_b32_e32 v131, v10, v119
	s_and_saveexec_b32 s12, vcc_lo
	s_cbranch_execz .LBB307_1913
; %bb.1912:                             ;   in Loop: Header=BB307_1055 Depth=1
	v_cmp_lt_i32_e64 s0, v35, v32
	s_wait_alu 0xf1ff
	s_delay_alu instid0(VALU_DEP_1) | instskip(SKIP_2) | instid1(VALU_DEP_1)
	v_cndmask_b32_e64 v129, 0, v134, s0
	v_cmp_lt_i32_e64 s0, v71, v32
	s_wait_alu 0xf1ff
	v_cndmask_b32_e64 v128, 0, v128, s0
	v_cmp_lt_i32_e64 s0, v70, v32
	s_delay_alu instid0(VALU_DEP_2) | instskip(SKIP_1) | instid1(VALU_DEP_2)
	v_or_b32_e32 v133, v129, v128
	s_wait_alu 0xf1ff
	v_cndmask_b32_e64 v11, 0, v11, s0
	v_cmp_lt_i32_e64 s0, v69, v32
	s_wait_alu 0xf1ff
	s_delay_alu instid0(VALU_DEP_1) | instskip(SKIP_1) | instid1(VALU_DEP_2)
	v_cndmask_b32_e64 v0, 0, v0, s0
	v_cmp_lt_i32_e64 s0, v68, v32
	v_or_b32_e32 v129, v11, v0
	s_wait_alu 0xf1ff
	s_delay_alu instid0(VALU_DEP_2) | instskip(SKIP_2) | instid1(VALU_DEP_1)
	v_cndmask_b32_e64 v130, 0, v130, s0
	v_cmp_lt_i32_e64 s0, v67, v32
	s_wait_alu 0xf1ff
	v_cndmask_b32_e64 v118, 0, v118, s0
	v_cmp_lt_i32_e64 s0, v66, v32
	s_delay_alu instid0(VALU_DEP_2) | instskip(SKIP_1) | instid1(VALU_DEP_2)
	v_or_b32_e32 v132, v130, v118
	s_wait_alu 0xf1ff
	v_cndmask_b32_e64 v119, 0, v119, s0
	v_cmp_lt_i32_e64 s0, v14, v32
	s_wait_alu 0xf1ff
	s_delay_alu instid0(VALU_DEP_1) | instskip(NEXT) | instid1(VALU_DEP_1)
	v_cndmask_b32_e64 v10, 0, v10, s0
	v_or_b32_e32 v131, v119, v10
.LBB307_1913:                           ;   in Loop: Header=BB307_1055 Depth=1
	s_wait_alu 0xfffe
	s_or_b32 exec_lo, exec_lo, s12
	;;#ASMSTART
	v_pk_mul_f16 v0, v64, v133;

	;;#ASMEND
	;;#ASMSTART
	v_pk_mul_f16 v10, v54, v129;

	;;#ASMEND
	;; [unrolled: 4-line block ×4, first 2 shown]
	;;#ASMSTART
	v_pk_add_f16 v0, v0, v10;

	;;#ASMEND
	;;#ASMSTART
	v_pk_add_f16 v0, v0, v11;

	;;#ASMEND
	;; [unrolled: 4-line block ×3, first 2 shown]
	v_dual_mov_b32 v129, 0 :: v_dual_and_b32 v10, 0xffff, v0
	v_lshrrev_b32_e32 v0, 16, v0
	;;#ASMSTART
	v_cvt_f32_f16 v118, v10;
	;;#ASMEND
	;;#ASMSTART
	v_cvt_f32_f16 v119, v0;
	;;#ASMEND
	flat_load_b64 v[10:11], v[8:9] offset:3328
	flat_load_b32 v128, v[26:27]
	v_mov_b32_e32 v130, 0
	s_mov_b32 s12, exec_lo
	s_wait_loadcnt_dscnt 0x101
	v_and_b32_e32 v0, 0xff, v10
	s_delay_alu instid0(VALU_DEP_1)
	v_cmpx_ne_u16_e32 0, v0
	s_cbranch_execz .LBB307_1921
; %bb.1914:                             ;   in Loop: Header=BB307_1055 Depth=1
	v_mov_b32_e32 v130, 0x8000
	s_mov_b32 s13, exec_lo
	v_cmpx_ne_u16_e32 0x80, v0
	s_cbranch_execz .LBB307_1920
; %bb.1915:                             ;   in Loop: Header=BB307_1055 Depth=1
	v_and_b32_e32 v131, 0x7f, v10
	v_mov_b32_e32 v130, 0x7c01
	s_mov_b32 s14, exec_lo
	s_delay_alu instid0(VALU_DEP_2)
	v_cmpx_ne_u32_e32 0x7f, v131
	s_cbranch_execz .LBB307_1919
; %bb.1916:                             ;   in Loop: Header=BB307_1055 Depth=1
	v_and_b32_e32 v0, 7, v10
	v_lshrrev_b32_e32 v130, 3, v131
	s_mov_b32 s15, exec_lo
	v_cmpx_gt_u32_e32 8, v131
; %bb.1917:                             ;   in Loop: Header=BB307_1055 Depth=1
	s_delay_alu instid0(VALU_DEP_3) | instskip(NEXT) | instid1(VALU_DEP_1)
	v_clz_i32_u32_e32 v0, v0
	v_min_u32_e32 v0, 32, v0
	s_delay_alu instid0(VALU_DEP_1) | instskip(NEXT) | instid1(VALU_DEP_1)
	v_subrev_nc_u32_e32 v130, 28, v0
	v_lshlrev_b64_e32 v[131:132], v130, v[10:11]
	v_sub_nc_u32_e32 v130, 29, v0
	s_delay_alu instid0(VALU_DEP_2)
	v_and_b32_e32 v0, 7, v131
; %bb.1918:                             ;   in Loop: Header=BB307_1055 Depth=1
	s_wait_alu 0xfffe
	s_or_b32 exec_lo, exec_lo, s15
	v_lshlrev_b32_e32 v131, 8, v10
	v_lshl_add_u32 v130, v130, 10, 0x2000
	v_lshlrev_b32_e32 v0, 7, v0
	s_delay_alu instid0(VALU_DEP_3) | instskip(NEXT) | instid1(VALU_DEP_3)
	v_and_b32_e32 v131, 0x8000, v131
	v_and_b32_e32 v130, 0xfc00, v130
	s_delay_alu instid0(VALU_DEP_1)
	v_or3_b32 v130, v131, v130, v0
.LBB307_1919:                           ;   in Loop: Header=BB307_1055 Depth=1
	s_wait_alu 0xfffe
	s_or_b32 exec_lo, exec_lo, s14
.LBB307_1920:                           ;   in Loop: Header=BB307_1055 Depth=1
	s_wait_alu 0xfffe
	s_or_b32 exec_lo, exec_lo, s13
.LBB307_1921:                           ;   in Loop: Header=BB307_1055 Depth=1
	s_wait_alu 0xfffe
	s_or_b32 exec_lo, exec_lo, s12
	v_lshrrev_b16 v0, 8, v10
	s_mov_b32 s12, exec_lo
	s_delay_alu instid0(VALU_DEP_1)
	v_cmpx_ne_u16_e32 0, v0
	s_cbranch_execz .LBB307_1929
; %bb.1922:                             ;   in Loop: Header=BB307_1055 Depth=1
	v_bfrev_b32_e32 v129, 1
	s_mov_b32 s13, exec_lo
	v_cmpx_ne_u16_e32 0x80, v0
	s_cbranch_execz .LBB307_1928
; %bb.1923:                             ;   in Loop: Header=BB307_1055 Depth=1
	v_and_b32_e32 v131, 0xffff, v0
	v_mov_b32_e32 v129, 0x7c010000
	s_mov_b32 s14, exec_lo
	s_delay_alu instid0(VALU_DEP_2) | instskip(NEXT) | instid1(VALU_DEP_1)
	v_and_b32_e32 v133, 0x7f, v131
	v_cmpx_ne_u32_e32 0x7f, v133
	s_cbranch_execz .LBB307_1927
; %bb.1924:                             ;   in Loop: Header=BB307_1055 Depth=1
	v_and_b32_e32 v129, 7, v131
	v_lshrrev_b32_e32 v132, 3, v133
	s_mov_b32 s15, exec_lo
	v_cmpx_gt_u32_e32 8, v133
; %bb.1925:                             ;   in Loop: Header=BB307_1055 Depth=1
	s_delay_alu instid0(VALU_DEP_3) | instskip(NEXT) | instid1(VALU_DEP_1)
	v_clz_i32_u32_e32 v129, v129
	v_min_u32_e32 v129, 32, v129
	s_delay_alu instid0(VALU_DEP_1) | instskip(NEXT) | instid1(VALU_DEP_1)
	v_subrev_nc_u32_e32 v132, 28, v129
	v_lshlrev_b64_e32 v[133:134], v132, v[0:1]
	v_sub_nc_u32_e32 v132, 29, v129
	s_delay_alu instid0(VALU_DEP_2)
	v_and_b32_e32 v129, 7, v133
; %bb.1926:                             ;   in Loop: Header=BB307_1055 Depth=1
	s_wait_alu 0xfffe
	s_or_b32 exec_lo, exec_lo, s15
	v_lshlrev_b32_e32 v0, 8, v131
	v_lshl_add_u32 v131, v132, 10, 0x2000
	v_lshlrev_b32_e32 v129, 23, v129
	s_delay_alu instid0(VALU_DEP_2) | instskip(NEXT) | instid1(VALU_DEP_1)
	v_and_or_b32 v0, 0x8000, v0, v131
	v_lshl_or_b32 v129, v0, 16, v129
.LBB307_1927:                           ;   in Loop: Header=BB307_1055 Depth=1
	s_wait_alu 0xfffe
	s_or_b32 exec_lo, exec_lo, s14
.LBB307_1928:                           ;   in Loop: Header=BB307_1055 Depth=1
	s_wait_alu 0xfffe
	s_or_b32 exec_lo, exec_lo, s13
.LBB307_1929:                           ;   in Loop: Header=BB307_1055 Depth=1
	s_wait_alu 0xfffe
	s_or_b32 exec_lo, exec_lo, s12
	v_lshrrev_b32_e32 v0, 16, v10
	v_mov_b32_e32 v131, 0
	s_mov_b32 s12, exec_lo
	s_delay_alu instid0(VALU_DEP_2) | instskip(NEXT) | instid1(VALU_DEP_1)
	v_dual_mov_b32 v132, 0 :: v_dual_and_b32 v133, 0xff, v0
	v_cmpx_ne_u16_e64 0, v133
	s_cbranch_execz .LBB307_1937
; %bb.1930:                             ;   in Loop: Header=BB307_1055 Depth=1
	v_mov_b32_e32 v132, 0x8000
	s_mov_b32 s13, exec_lo
	v_cmpx_ne_u16_e64 0x80, v133
	s_cbranch_execz .LBB307_1936
; %bb.1931:                             ;   in Loop: Header=BB307_1055 Depth=1
	v_bfe_u32 v134, v10, 16, 7
	v_mov_b32_e32 v132, 0x7c01
	s_mov_b32 s14, exec_lo
	s_delay_alu instid0(VALU_DEP_2)
	v_cmpx_ne_u32_e32 0x7f, v134
	s_cbranch_execz .LBB307_1935
; %bb.1932:                             ;   in Loop: Header=BB307_1055 Depth=1
	v_and_b32_e32 v132, 7, v0
	v_lshrrev_b32_e32 v133, 3, v134
	s_mov_b32 s15, exec_lo
	v_cmpx_gt_u32_e32 8, v134
; %bb.1933:                             ;   in Loop: Header=BB307_1055 Depth=1
	s_delay_alu instid0(VALU_DEP_3) | instskip(NEXT) | instid1(VALU_DEP_1)
	v_clz_i32_u32_e32 v132, v132
	v_min_u32_e32 v134, 32, v132
	s_delay_alu instid0(VALU_DEP_1) | instskip(NEXT) | instid1(VALU_DEP_1)
	v_subrev_nc_u32_e32 v132, 28, v134
	v_lshlrev_b64_e32 v[132:133], v132, v[0:1]
	v_sub_nc_u32_e32 v133, 29, v134
	s_delay_alu instid0(VALU_DEP_2)
	v_and_b32_e32 v132, 7, v132
; %bb.1934:                             ;   in Loop: Header=BB307_1055 Depth=1
	s_wait_alu 0xfffe
	s_or_b32 exec_lo, exec_lo, s15
	v_lshlrev_b32_e32 v0, 8, v0
	v_lshl_add_u32 v133, v133, 10, 0x2000
	v_lshlrev_b32_e32 v132, 7, v132
	s_delay_alu instid0(VALU_DEP_3) | instskip(NEXT) | instid1(VALU_DEP_3)
	v_and_b32_e32 v0, 0x8000, v0
	v_and_b32_e32 v133, 0xfc00, v133
	s_delay_alu instid0(VALU_DEP_1)
	v_or3_b32 v132, v0, v133, v132
.LBB307_1935:                           ;   in Loop: Header=BB307_1055 Depth=1
	s_wait_alu 0xfffe
	s_or_b32 exec_lo, exec_lo, s14
.LBB307_1936:                           ;   in Loop: Header=BB307_1055 Depth=1
	s_wait_alu 0xfffe
	s_or_b32 exec_lo, exec_lo, s13
.LBB307_1937:                           ;   in Loop: Header=BB307_1055 Depth=1
	s_wait_alu 0xfffe
	s_or_b32 exec_lo, exec_lo, s12
	s_delay_alu instid0(SALU_CYCLE_1)
	s_mov_b32 s12, exec_lo
	v_cmpx_lt_u32_e32 0xffffff, v10
	s_cbranch_execz .LBB307_1945
; %bb.1938:                             ;   in Loop: Header=BB307_1055 Depth=1
	v_lshrrev_b32_e32 v0, 24, v10
	v_bfrev_b32_e32 v131, 1
	s_mov_b32 s13, exec_lo
	s_delay_alu instid0(VALU_DEP_2)
	v_cmpx_ne_u32_e32 0x80, v0
	s_cbranch_execz .LBB307_1944
; %bb.1939:                             ;   in Loop: Header=BB307_1055 Depth=1
	v_and_b32_e32 v134, 0x7f, v0
	v_mov_b32_e32 v131, 0x7c010000
	s_mov_b32 s14, exec_lo
	s_delay_alu instid0(VALU_DEP_2)
	v_cmpx_ne_u32_e32 0x7f, v134
	s_cbranch_execz .LBB307_1943
; %bb.1940:                             ;   in Loop: Header=BB307_1055 Depth=1
	v_and_b32_e32 v131, 7, v0
	v_lshrrev_b32_e32 v133, 3, v134
	s_mov_b32 s15, exec_lo
	v_cmpx_gt_u32_e32 8, v134
; %bb.1941:                             ;   in Loop: Header=BB307_1055 Depth=1
	s_delay_alu instid0(VALU_DEP_3) | instskip(NEXT) | instid1(VALU_DEP_1)
	v_clz_i32_u32_e32 v131, v131
	v_min_u32_e32 v131, 32, v131
	s_delay_alu instid0(VALU_DEP_1) | instskip(NEXT) | instid1(VALU_DEP_1)
	v_subrev_nc_u32_e32 v133, 28, v131
	v_lshlrev_b64_e32 v[134:135], v133, v[0:1]
	v_sub_nc_u32_e32 v133, 29, v131
	s_delay_alu instid0(VALU_DEP_2)
	v_and_b32_e32 v131, 7, v134
; %bb.1942:                             ;   in Loop: Header=BB307_1055 Depth=1
	s_wait_alu 0xfffe
	s_or_b32 exec_lo, exec_lo, s15
	v_lshlrev_b32_e32 v0, 8, v0
	v_lshl_add_u32 v133, v133, 10, 0x2000
	v_lshlrev_b32_e32 v131, 23, v131
	s_delay_alu instid0(VALU_DEP_2) | instskip(NEXT) | instid1(VALU_DEP_1)
	v_and_or_b32 v0, 0x8000, v0, v133
	v_lshl_or_b32 v131, v0, 16, v131
.LBB307_1943:                           ;   in Loop: Header=BB307_1055 Depth=1
	s_wait_alu 0xfffe
	s_or_b32 exec_lo, exec_lo, s14
.LBB307_1944:                           ;   in Loop: Header=BB307_1055 Depth=1
	s_wait_alu 0xfffe
	s_or_b32 exec_lo, exec_lo, s13
.LBB307_1945:                           ;   in Loop: Header=BB307_1055 Depth=1
	s_wait_alu 0xfffe
	s_or_b32 exec_lo, exec_lo, s12
	v_dual_mov_b32 v0, v11 :: v_dual_and_b32 v135, 0xff, v11
	v_dual_mov_b32 v133, 0 :: v_dual_mov_b32 v134, 0
	s_mov_b32 s12, exec_lo
	s_delay_alu instid0(VALU_DEP_2)
	v_cmpx_ne_u16_e64 0, v135
	s_cbranch_execz .LBB307_1953
; %bb.1946:                             ;   in Loop: Header=BB307_1055 Depth=1
	v_mov_b32_e32 v134, 0x8000
	s_mov_b32 s13, exec_lo
	v_cmpx_ne_u16_e64 0x80, v135
	s_cbranch_execz .LBB307_1952
; %bb.1947:                             ;   in Loop: Header=BB307_1055 Depth=1
	v_and_b32_e32 v144, 0x7f, v11
	v_mov_b32_e32 v134, 0x7c01
	s_mov_b32 s14, exec_lo
	s_delay_alu instid0(VALU_DEP_2)
	v_cmpx_ne_u32_e32 0x7f, v144
	s_cbranch_execz .LBB307_1951
; %bb.1948:                             ;   in Loop: Header=BB307_1055 Depth=1
	v_and_b32_e32 v134, 7, v11
	v_lshrrev_b32_e32 v135, 3, v144
	s_mov_b32 s15, exec_lo
	v_cmpx_gt_u32_e32 8, v144
; %bb.1949:                             ;   in Loop: Header=BB307_1055 Depth=1
	s_delay_alu instid0(VALU_DEP_3) | instskip(NEXT) | instid1(VALU_DEP_1)
	v_clz_i32_u32_e32 v134, v134
	v_min_u32_e32 v144, 32, v134
	s_delay_alu instid0(VALU_DEP_1) | instskip(NEXT) | instid1(VALU_DEP_1)
	v_subrev_nc_u32_e32 v134, 28, v144
	v_lshlrev_b64_e32 v[134:135], v134, v[0:1]
	v_sub_nc_u32_e32 v135, 29, v144
	s_delay_alu instid0(VALU_DEP_2)
	v_and_b32_e32 v134, 7, v134
; %bb.1950:                             ;   in Loop: Header=BB307_1055 Depth=1
	s_wait_alu 0xfffe
	s_or_b32 exec_lo, exec_lo, s15
	v_lshlrev_b32_e32 v144, 8, v11
	v_lshl_add_u32 v135, v135, 10, 0x2000
	v_lshlrev_b32_e32 v134, 7, v134
	s_delay_alu instid0(VALU_DEP_3) | instskip(NEXT) | instid1(VALU_DEP_3)
	v_and_b32_e32 v144, 0x8000, v144
	v_and_b32_e32 v135, 0xfc00, v135
	s_delay_alu instid0(VALU_DEP_1)
	v_or3_b32 v134, v144, v135, v134
.LBB307_1951:                           ;   in Loop: Header=BB307_1055 Depth=1
	s_wait_alu 0xfffe
	s_or_b32 exec_lo, exec_lo, s14
.LBB307_1952:                           ;   in Loop: Header=BB307_1055 Depth=1
	s_wait_alu 0xfffe
	s_or_b32 exec_lo, exec_lo, s13
.LBB307_1953:                           ;   in Loop: Header=BB307_1055 Depth=1
	s_wait_alu 0xfffe
	s_or_b32 exec_lo, exec_lo, s12
	v_lshrrev_b16 v0, 8, v0
	v_mov_b32_e32 v135, 0
	s_mov_b32 s12, exec_lo
	s_delay_alu instid0(VALU_DEP_2)
	v_cmpx_ne_u16_e32 0, v0
	s_cbranch_execz .LBB307_1961
; %bb.1954:                             ;   in Loop: Header=BB307_1055 Depth=1
	v_bfrev_b32_e32 v135, 1
	s_mov_b32 s13, exec_lo
	v_cmpx_ne_u16_e32 0x80, v0
	s_cbranch_execz .LBB307_1960
; %bb.1955:                             ;   in Loop: Header=BB307_1055 Depth=1
	v_and_b32_e32 v144, 0xffff, v0
	v_mov_b32_e32 v135, 0x7c010000
	s_mov_b32 s14, exec_lo
	s_delay_alu instid0(VALU_DEP_2) | instskip(NEXT) | instid1(VALU_DEP_1)
	v_and_b32_e32 v146, 0x7f, v144
	v_cmpx_ne_u32_e32 0x7f, v146
	s_cbranch_execz .LBB307_1959
; %bb.1956:                             ;   in Loop: Header=BB307_1055 Depth=1
	v_and_b32_e32 v135, 7, v144
	v_lshrrev_b32_e32 v145, 3, v146
	s_mov_b32 s15, exec_lo
	v_cmpx_gt_u32_e32 8, v146
; %bb.1957:                             ;   in Loop: Header=BB307_1055 Depth=1
	s_delay_alu instid0(VALU_DEP_3) | instskip(NEXT) | instid1(VALU_DEP_1)
	v_clz_i32_u32_e32 v135, v135
	v_min_u32_e32 v135, 32, v135
	s_delay_alu instid0(VALU_DEP_1) | instskip(NEXT) | instid1(VALU_DEP_1)
	v_subrev_nc_u32_e32 v145, 28, v135
	v_lshlrev_b64_e32 v[146:147], v145, v[0:1]
	v_sub_nc_u32_e32 v145, 29, v135
	s_delay_alu instid0(VALU_DEP_2)
	v_and_b32_e32 v135, 7, v146
; %bb.1958:                             ;   in Loop: Header=BB307_1055 Depth=1
	s_wait_alu 0xfffe
	s_or_b32 exec_lo, exec_lo, s15
	v_lshlrev_b32_e32 v0, 8, v144
	v_lshl_add_u32 v144, v145, 10, 0x2000
	v_lshlrev_b32_e32 v135, 23, v135
	s_delay_alu instid0(VALU_DEP_2) | instskip(NEXT) | instid1(VALU_DEP_1)
	v_and_or_b32 v0, 0x8000, v0, v144
	v_lshl_or_b32 v135, v0, 16, v135
.LBB307_1959:                           ;   in Loop: Header=BB307_1055 Depth=1
	s_wait_alu 0xfffe
	s_or_b32 exec_lo, exec_lo, s14
.LBB307_1960:                           ;   in Loop: Header=BB307_1055 Depth=1
	s_wait_alu 0xfffe
	s_or_b32 exec_lo, exec_lo, s13
.LBB307_1961:                           ;   in Loop: Header=BB307_1055 Depth=1
	s_wait_alu 0xfffe
	s_or_b32 exec_lo, exec_lo, s12
	v_lshrrev_b32_e32 v0, 16, v11
	s_mov_b32 s12, exec_lo
	s_delay_alu instid0(VALU_DEP_1) | instskip(NEXT) | instid1(VALU_DEP_1)
	v_and_b32_e32 v144, 0xff, v0
	v_cmpx_ne_u16_e64 0, v144
	s_cbranch_execz .LBB307_1969
; %bb.1962:                             ;   in Loop: Header=BB307_1055 Depth=1
	v_mov_b32_e32 v133, 0x8000
	s_mov_b32 s13, exec_lo
	v_cmpx_ne_u16_e64 0x80, v144
	s_cbranch_execz .LBB307_1968
; %bb.1963:                             ;   in Loop: Header=BB307_1055 Depth=1
	v_bfe_u32 v145, v11, 16, 7
	v_mov_b32_e32 v133, 0x7c01
	s_mov_b32 s14, exec_lo
	s_delay_alu instid0(VALU_DEP_2)
	v_cmpx_ne_u32_e32 0x7f, v145
	s_cbranch_execz .LBB307_1967
; %bb.1964:                             ;   in Loop: Header=BB307_1055 Depth=1
	v_and_b32_e32 v133, 7, v0
	v_lshrrev_b32_e32 v144, 3, v145
	s_mov_b32 s15, exec_lo
	v_cmpx_gt_u32_e32 8, v145
; %bb.1965:                             ;   in Loop: Header=BB307_1055 Depth=1
	s_delay_alu instid0(VALU_DEP_3) | instskip(NEXT) | instid1(VALU_DEP_1)
	v_clz_i32_u32_e32 v133, v133
	v_min_u32_e32 v133, 32, v133
	s_delay_alu instid0(VALU_DEP_1) | instskip(NEXT) | instid1(VALU_DEP_1)
	v_subrev_nc_u32_e32 v144, 28, v133
	v_lshlrev_b64_e32 v[145:146], v144, v[0:1]
	v_sub_nc_u32_e32 v144, 29, v133
	s_delay_alu instid0(VALU_DEP_2)
	v_and_b32_e32 v133, 7, v145
; %bb.1966:                             ;   in Loop: Header=BB307_1055 Depth=1
	s_wait_alu 0xfffe
	s_or_b32 exec_lo, exec_lo, s15
	v_lshlrev_b32_e32 v0, 8, v0
	v_lshl_add_u32 v144, v144, 10, 0x2000
	v_lshlrev_b32_e32 v133, 7, v133
	s_delay_alu instid0(VALU_DEP_3) | instskip(NEXT) | instid1(VALU_DEP_3)
	v_and_b32_e32 v0, 0x8000, v0
	v_and_b32_e32 v144, 0xfc00, v144
	s_delay_alu instid0(VALU_DEP_1)
	v_or3_b32 v133, v0, v144, v133
.LBB307_1967:                           ;   in Loop: Header=BB307_1055 Depth=1
	s_wait_alu 0xfffe
	s_or_b32 exec_lo, exec_lo, s14
.LBB307_1968:                           ;   in Loop: Header=BB307_1055 Depth=1
	s_wait_alu 0xfffe
	s_or_b32 exec_lo, exec_lo, s13
.LBB307_1969:                           ;   in Loop: Header=BB307_1055 Depth=1
	s_wait_alu 0xfffe
	s_or_b32 exec_lo, exec_lo, s12
	v_cmp_lt_u64_e64 s0, s[8:9], v[10:11]
	v_mov_b32_e32 v10, 0
	s_and_saveexec_b32 s12, s0
	s_cbranch_execz .LBB307_1977
; %bb.1970:                             ;   in Loop: Header=BB307_1055 Depth=1
	v_lshrrev_b32_e32 v0, 24, v11
	v_bfrev_b32_e32 v10, 1
	s_mov_b32 s13, exec_lo
	s_delay_alu instid0(VALU_DEP_2)
	v_cmpx_ne_u32_e32 0x80, v0
	s_cbranch_execz .LBB307_1976
; %bb.1971:                             ;   in Loop: Header=BB307_1055 Depth=1
	v_and_b32_e32 v144, 0x7f, v0
	v_mov_b32_e32 v10, 0x7c010000
	s_mov_b32 s14, exec_lo
	s_delay_alu instid0(VALU_DEP_2)
	v_cmpx_ne_u32_e32 0x7f, v144
	s_cbranch_execz .LBB307_1975
; %bb.1972:                             ;   in Loop: Header=BB307_1055 Depth=1
	v_and_b32_e32 v10, 7, v0
	v_lshrrev_b32_e32 v11, 3, v144
	s_mov_b32 s15, exec_lo
	v_cmpx_gt_u32_e32 8, v144
; %bb.1973:                             ;   in Loop: Header=BB307_1055 Depth=1
	s_delay_alu instid0(VALU_DEP_3) | instskip(NEXT) | instid1(VALU_DEP_1)
	v_clz_i32_u32_e32 v10, v10
	v_min_u32_e32 v144, 32, v10
	s_delay_alu instid0(VALU_DEP_1) | instskip(NEXT) | instid1(VALU_DEP_1)
	v_subrev_nc_u32_e32 v10, 28, v144
	v_lshlrev_b64_e32 v[10:11], v10, v[0:1]
	v_sub_nc_u32_e32 v11, 29, v144
	s_delay_alu instid0(VALU_DEP_2)
	v_and_b32_e32 v10, 7, v10
; %bb.1974:                             ;   in Loop: Header=BB307_1055 Depth=1
	s_wait_alu 0xfffe
	s_or_b32 exec_lo, exec_lo, s15
	v_lshlrev_b32_e32 v0, 8, v0
	v_lshl_add_u32 v11, v11, 10, 0x2000
	v_lshlrev_b32_e32 v10, 23, v10
	s_delay_alu instid0(VALU_DEP_2) | instskip(NEXT) | instid1(VALU_DEP_1)
	v_and_or_b32 v0, 0x8000, v0, v11
	v_lshl_or_b32 v10, v0, 16, v10
.LBB307_1975:                           ;   in Loop: Header=BB307_1055 Depth=1
	s_wait_alu 0xfffe
	s_or_b32 exec_lo, exec_lo, s14
.LBB307_1976:                           ;   in Loop: Header=BB307_1055 Depth=1
	s_wait_alu 0xfffe
	s_or_b32 exec_lo, exec_lo, s13
.LBB307_1977:                           ;   in Loop: Header=BB307_1055 Depth=1
	s_wait_alu 0xfffe
	s_or_b32 exec_lo, exec_lo, s12
	v_or_b32_e32 v0, v131, v132
	s_wait_loadcnt_dscnt 0x0
	v_fma_mixlo_f16 v11, v128, v131, 0 op_sel:[0,1,0] op_sel_hi:[0,1,0]
	v_or_b32_e32 v131, v129, v130
	v_fma_mixlo_f16 v129, v128, v129, 0 op_sel:[0,1,0] op_sel_hi:[0,1,0]
	v_or_b32_e32 v132, v135, v134
	v_or_b32_e32 v133, v10, v133
	v_fma_mixlo_f16 v134, v128, v0, 0 op_sel_hi:[0,1,0]
	v_fma_mixlo_f16 v10, v128, v10, 0 op_sel:[0,1,0] op_sel_hi:[0,1,0]
	v_lshlrev_b32_e32 v130, 16, v129
	v_fma_mixlo_f16 v129, v128, v131, 0 op_sel_hi:[0,1,0]
	v_fma_mixlo_f16 v131, v128, v135, 0 op_sel:[0,1,0] op_sel_hi:[0,1,0]
	v_fma_mixlo_f16 v132, v128, v132, 0 op_sel_hi:[0,1,0]
	v_fma_mixlo_f16 v133, v128, v133, 0 op_sel_hi:[0,1,0]
	v_lshlrev_b32_e32 v0, 16, v11
	v_and_b32_e32 v11, 0xffff, v134
	v_and_b32_e32 v144, 0xffff, v129
	v_lshlrev_b32_e32 v128, 16, v131
	v_and_b32_e32 v132, 0xffff, v132
	v_lshlrev_b32_e32 v10, 16, v10
	v_and_b32_e32 v129, 0xffff, v133
	v_or_b32_e32 v131, v0, v11
	v_or_b32_e32 v135, v130, v144
	;; [unrolled: 1-line block ×3, first 2 shown]
	s_delay_alu instid0(VALU_DEP_4)
	v_or_b32_e32 v133, v10, v129
	s_and_saveexec_b32 s12, vcc_lo
	s_cbranch_execz .LBB307_1979
; %bb.1978:                             ;   in Loop: Header=BB307_1055 Depth=1
	v_cmp_lt_i32_e64 s0, v35, v32
	s_wait_alu 0xf1ff
	s_delay_alu instid0(VALU_DEP_1) | instskip(SKIP_2) | instid1(VALU_DEP_1)
	v_cndmask_b32_e64 v131, 0, v144, s0
	v_cmp_lt_i32_e64 s0, v71, v32
	s_wait_alu 0xf1ff
	v_cndmask_b32_e64 v130, 0, v130, s0
	v_cmp_lt_i32_e64 s0, v70, v32
	s_delay_alu instid0(VALU_DEP_2) | instskip(SKIP_1) | instid1(VALU_DEP_2)
	v_or_b32_e32 v135, v131, v130
	s_wait_alu 0xf1ff
	v_cndmask_b32_e64 v11, 0, v11, s0
	v_cmp_lt_i32_e64 s0, v69, v32
	s_wait_alu 0xf1ff
	s_delay_alu instid0(VALU_DEP_1) | instskip(SKIP_1) | instid1(VALU_DEP_2)
	v_cndmask_b32_e64 v0, 0, v0, s0
	v_cmp_lt_i32_e64 s0, v68, v32
	v_or_b32_e32 v131, v11, v0
	s_wait_alu 0xf1ff
	s_delay_alu instid0(VALU_DEP_2) | instskip(SKIP_2) | instid1(VALU_DEP_1)
	v_cndmask_b32_e64 v132, 0, v132, s0
	v_cmp_lt_i32_e64 s0, v67, v32
	s_wait_alu 0xf1ff
	v_cndmask_b32_e64 v128, 0, v128, s0
	v_cmp_lt_i32_e64 s0, v66, v32
	s_delay_alu instid0(VALU_DEP_2) | instskip(SKIP_1) | instid1(VALU_DEP_2)
	v_or_b32_e32 v134, v132, v128
	s_wait_alu 0xf1ff
	v_cndmask_b32_e64 v129, 0, v129, s0
	v_cmp_lt_i32_e64 s0, v14, v32
	s_wait_alu 0xf1ff
	s_delay_alu instid0(VALU_DEP_1) | instskip(NEXT) | instid1(VALU_DEP_1)
	v_cndmask_b32_e64 v10, 0, v10, s0
	v_or_b32_e32 v133, v129, v10
.LBB307_1979:                           ;   in Loop: Header=BB307_1055 Depth=1
	s_wait_alu 0xfffe
	s_or_b32 exec_lo, exec_lo, s12
	;;#ASMSTART
	v_pk_mul_f16 v0, v64, v135;

	;;#ASMEND
	;;#ASMSTART
	v_pk_mul_f16 v10, v54, v131;

	;;#ASMEND
	;; [unrolled: 4-line block ×4, first 2 shown]
	;;#ASMSTART
	v_pk_add_f16 v0, v0, v10;

	;;#ASMEND
	;;#ASMSTART
	v_pk_add_f16 v0, v0, v11;

	;;#ASMEND
	;; [unrolled: 4-line block ×3, first 2 shown]
	v_dual_mov_b32 v131, 0 :: v_dual_and_b32 v10, 0xffff, v0
	v_lshrrev_b32_e32 v0, 16, v0
	;;#ASMSTART
	v_cvt_f32_f16 v128, v10;
	;;#ASMEND
	;;#ASMSTART
	v_cvt_f32_f16 v129, v0;
	;;#ASMEND
	flat_load_b64 v[10:11], v[8:9] offset:3584
	flat_load_b32 v130, v[26:27]
	v_mov_b32_e32 v132, 0
	s_mov_b32 s12, exec_lo
	s_wait_loadcnt_dscnt 0x101
	v_and_b32_e32 v0, 0xff, v10
	s_delay_alu instid0(VALU_DEP_1)
	v_cmpx_ne_u16_e32 0, v0
	s_cbranch_execz .LBB307_1987
; %bb.1980:                             ;   in Loop: Header=BB307_1055 Depth=1
	v_mov_b32_e32 v132, 0x8000
	s_mov_b32 s13, exec_lo
	v_cmpx_ne_u16_e32 0x80, v0
	s_cbranch_execz .LBB307_1986
; %bb.1981:                             ;   in Loop: Header=BB307_1055 Depth=1
	v_and_b32_e32 v133, 0x7f, v10
	v_mov_b32_e32 v132, 0x7c01
	s_mov_b32 s14, exec_lo
	s_delay_alu instid0(VALU_DEP_2)
	v_cmpx_ne_u32_e32 0x7f, v133
	s_cbranch_execz .LBB307_1985
; %bb.1982:                             ;   in Loop: Header=BB307_1055 Depth=1
	v_and_b32_e32 v0, 7, v10
	v_lshrrev_b32_e32 v132, 3, v133
	s_mov_b32 s15, exec_lo
	v_cmpx_gt_u32_e32 8, v133
; %bb.1983:                             ;   in Loop: Header=BB307_1055 Depth=1
	s_delay_alu instid0(VALU_DEP_3) | instskip(NEXT) | instid1(VALU_DEP_1)
	v_clz_i32_u32_e32 v0, v0
	v_min_u32_e32 v0, 32, v0
	s_delay_alu instid0(VALU_DEP_1) | instskip(NEXT) | instid1(VALU_DEP_1)
	v_subrev_nc_u32_e32 v132, 28, v0
	v_lshlrev_b64_e32 v[133:134], v132, v[10:11]
	v_sub_nc_u32_e32 v132, 29, v0
	s_delay_alu instid0(VALU_DEP_2)
	v_and_b32_e32 v0, 7, v133
; %bb.1984:                             ;   in Loop: Header=BB307_1055 Depth=1
	s_wait_alu 0xfffe
	s_or_b32 exec_lo, exec_lo, s15
	v_lshlrev_b32_e32 v133, 8, v10
	v_lshl_add_u32 v132, v132, 10, 0x2000
	v_lshlrev_b32_e32 v0, 7, v0
	s_delay_alu instid0(VALU_DEP_3) | instskip(NEXT) | instid1(VALU_DEP_3)
	v_and_b32_e32 v133, 0x8000, v133
	v_and_b32_e32 v132, 0xfc00, v132
	s_delay_alu instid0(VALU_DEP_1)
	v_or3_b32 v132, v133, v132, v0
.LBB307_1985:                           ;   in Loop: Header=BB307_1055 Depth=1
	s_wait_alu 0xfffe
	s_or_b32 exec_lo, exec_lo, s14
.LBB307_1986:                           ;   in Loop: Header=BB307_1055 Depth=1
	s_wait_alu 0xfffe
	s_or_b32 exec_lo, exec_lo, s13
.LBB307_1987:                           ;   in Loop: Header=BB307_1055 Depth=1
	s_wait_alu 0xfffe
	s_or_b32 exec_lo, exec_lo, s12
	v_lshrrev_b16 v0, 8, v10
	s_mov_b32 s12, exec_lo
	s_delay_alu instid0(VALU_DEP_1)
	v_cmpx_ne_u16_e32 0, v0
	s_cbranch_execz .LBB307_1995
; %bb.1988:                             ;   in Loop: Header=BB307_1055 Depth=1
	v_bfrev_b32_e32 v131, 1
	s_mov_b32 s13, exec_lo
	v_cmpx_ne_u16_e32 0x80, v0
	s_cbranch_execz .LBB307_1994
; %bb.1989:                             ;   in Loop: Header=BB307_1055 Depth=1
	v_and_b32_e32 v133, 0xffff, v0
	v_mov_b32_e32 v131, 0x7c010000
	s_mov_b32 s14, exec_lo
	s_delay_alu instid0(VALU_DEP_2) | instskip(NEXT) | instid1(VALU_DEP_1)
	v_and_b32_e32 v135, 0x7f, v133
	v_cmpx_ne_u32_e32 0x7f, v135
	s_cbranch_execz .LBB307_1993
; %bb.1990:                             ;   in Loop: Header=BB307_1055 Depth=1
	v_and_b32_e32 v131, 7, v133
	v_lshrrev_b32_e32 v134, 3, v135
	s_mov_b32 s15, exec_lo
	v_cmpx_gt_u32_e32 8, v135
; %bb.1991:                             ;   in Loop: Header=BB307_1055 Depth=1
	s_delay_alu instid0(VALU_DEP_3) | instskip(NEXT) | instid1(VALU_DEP_1)
	v_clz_i32_u32_e32 v131, v131
	v_min_u32_e32 v131, 32, v131
	s_delay_alu instid0(VALU_DEP_1) | instskip(NEXT) | instid1(VALU_DEP_1)
	v_subrev_nc_u32_e32 v134, 28, v131
	v_lshlrev_b64_e32 v[144:145], v134, v[0:1]
	v_sub_nc_u32_e32 v134, 29, v131
	s_delay_alu instid0(VALU_DEP_2)
	v_and_b32_e32 v131, 7, v144
; %bb.1992:                             ;   in Loop: Header=BB307_1055 Depth=1
	s_wait_alu 0xfffe
	s_or_b32 exec_lo, exec_lo, s15
	v_lshlrev_b32_e32 v0, 8, v133
	v_lshl_add_u32 v133, v134, 10, 0x2000
	v_lshlrev_b32_e32 v131, 23, v131
	s_delay_alu instid0(VALU_DEP_2) | instskip(NEXT) | instid1(VALU_DEP_1)
	v_and_or_b32 v0, 0x8000, v0, v133
	v_lshl_or_b32 v131, v0, 16, v131
.LBB307_1993:                           ;   in Loop: Header=BB307_1055 Depth=1
	s_wait_alu 0xfffe
	s_or_b32 exec_lo, exec_lo, s14
.LBB307_1994:                           ;   in Loop: Header=BB307_1055 Depth=1
	s_wait_alu 0xfffe
	s_or_b32 exec_lo, exec_lo, s13
.LBB307_1995:                           ;   in Loop: Header=BB307_1055 Depth=1
	s_wait_alu 0xfffe
	s_or_b32 exec_lo, exec_lo, s12
	v_lshrrev_b32_e32 v0, 16, v10
	v_mov_b32_e32 v133, 0
	s_mov_b32 s12, exec_lo
	s_delay_alu instid0(VALU_DEP_2) | instskip(NEXT) | instid1(VALU_DEP_1)
	v_dual_mov_b32 v134, 0 :: v_dual_and_b32 v135, 0xff, v0
	v_cmpx_ne_u16_e64 0, v135
	s_cbranch_execz .LBB307_2003
; %bb.1996:                             ;   in Loop: Header=BB307_1055 Depth=1
	v_mov_b32_e32 v134, 0x8000
	s_mov_b32 s13, exec_lo
	v_cmpx_ne_u16_e64 0x80, v135
	s_cbranch_execz .LBB307_2002
; %bb.1997:                             ;   in Loop: Header=BB307_1055 Depth=1
	v_bfe_u32 v144, v10, 16, 7
	v_mov_b32_e32 v134, 0x7c01
	s_mov_b32 s14, exec_lo
	s_delay_alu instid0(VALU_DEP_2)
	v_cmpx_ne_u32_e32 0x7f, v144
	s_cbranch_execz .LBB307_2001
; %bb.1998:                             ;   in Loop: Header=BB307_1055 Depth=1
	v_and_b32_e32 v134, 7, v0
	v_lshrrev_b32_e32 v135, 3, v144
	s_mov_b32 s15, exec_lo
	v_cmpx_gt_u32_e32 8, v144
; %bb.1999:                             ;   in Loop: Header=BB307_1055 Depth=1
	s_delay_alu instid0(VALU_DEP_3) | instskip(NEXT) | instid1(VALU_DEP_1)
	v_clz_i32_u32_e32 v134, v134
	v_min_u32_e32 v144, 32, v134
	s_delay_alu instid0(VALU_DEP_1) | instskip(NEXT) | instid1(VALU_DEP_1)
	v_subrev_nc_u32_e32 v134, 28, v144
	v_lshlrev_b64_e32 v[134:135], v134, v[0:1]
	v_sub_nc_u32_e32 v135, 29, v144
	s_delay_alu instid0(VALU_DEP_2)
	v_and_b32_e32 v134, 7, v134
; %bb.2000:                             ;   in Loop: Header=BB307_1055 Depth=1
	s_wait_alu 0xfffe
	s_or_b32 exec_lo, exec_lo, s15
	v_lshlrev_b32_e32 v0, 8, v0
	v_lshl_add_u32 v135, v135, 10, 0x2000
	v_lshlrev_b32_e32 v134, 7, v134
	s_delay_alu instid0(VALU_DEP_3) | instskip(NEXT) | instid1(VALU_DEP_3)
	v_and_b32_e32 v0, 0x8000, v0
	v_and_b32_e32 v135, 0xfc00, v135
	s_delay_alu instid0(VALU_DEP_1)
	v_or3_b32 v134, v0, v135, v134
.LBB307_2001:                           ;   in Loop: Header=BB307_1055 Depth=1
	s_wait_alu 0xfffe
	s_or_b32 exec_lo, exec_lo, s14
.LBB307_2002:                           ;   in Loop: Header=BB307_1055 Depth=1
	s_wait_alu 0xfffe
	s_or_b32 exec_lo, exec_lo, s13
.LBB307_2003:                           ;   in Loop: Header=BB307_1055 Depth=1
	s_wait_alu 0xfffe
	s_or_b32 exec_lo, exec_lo, s12
	s_delay_alu instid0(SALU_CYCLE_1)
	s_mov_b32 s12, exec_lo
	v_cmpx_lt_u32_e32 0xffffff, v10
	s_cbranch_execz .LBB307_2011
; %bb.2004:                             ;   in Loop: Header=BB307_1055 Depth=1
	v_lshrrev_b32_e32 v0, 24, v10
	v_bfrev_b32_e32 v133, 1
	s_mov_b32 s13, exec_lo
	s_delay_alu instid0(VALU_DEP_2)
	v_cmpx_ne_u32_e32 0x80, v0
	s_cbranch_execz .LBB307_2010
; %bb.2005:                             ;   in Loop: Header=BB307_1055 Depth=1
	v_and_b32_e32 v144, 0x7f, v0
	v_mov_b32_e32 v133, 0x7c010000
	s_mov_b32 s14, exec_lo
	s_delay_alu instid0(VALU_DEP_2)
	v_cmpx_ne_u32_e32 0x7f, v144
	s_cbranch_execz .LBB307_2009
; %bb.2006:                             ;   in Loop: Header=BB307_1055 Depth=1
	v_and_b32_e32 v133, 7, v0
	v_lshrrev_b32_e32 v135, 3, v144
	s_mov_b32 s15, exec_lo
	v_cmpx_gt_u32_e32 8, v144
; %bb.2007:                             ;   in Loop: Header=BB307_1055 Depth=1
	s_delay_alu instid0(VALU_DEP_3) | instskip(NEXT) | instid1(VALU_DEP_1)
	v_clz_i32_u32_e32 v133, v133
	v_min_u32_e32 v133, 32, v133
	s_delay_alu instid0(VALU_DEP_1) | instskip(NEXT) | instid1(VALU_DEP_1)
	v_subrev_nc_u32_e32 v135, 28, v133
	v_lshlrev_b64_e32 v[144:145], v135, v[0:1]
	v_sub_nc_u32_e32 v135, 29, v133
	s_delay_alu instid0(VALU_DEP_2)
	v_and_b32_e32 v133, 7, v144
; %bb.2008:                             ;   in Loop: Header=BB307_1055 Depth=1
	s_wait_alu 0xfffe
	s_or_b32 exec_lo, exec_lo, s15
	v_lshlrev_b32_e32 v0, 8, v0
	v_lshl_add_u32 v135, v135, 10, 0x2000
	v_lshlrev_b32_e32 v133, 23, v133
	s_delay_alu instid0(VALU_DEP_2) | instskip(NEXT) | instid1(VALU_DEP_1)
	v_and_or_b32 v0, 0x8000, v0, v135
	v_lshl_or_b32 v133, v0, 16, v133
.LBB307_2009:                           ;   in Loop: Header=BB307_1055 Depth=1
	s_wait_alu 0xfffe
	s_or_b32 exec_lo, exec_lo, s14
.LBB307_2010:                           ;   in Loop: Header=BB307_1055 Depth=1
	s_wait_alu 0xfffe
	s_or_b32 exec_lo, exec_lo, s13
.LBB307_2011:                           ;   in Loop: Header=BB307_1055 Depth=1
	s_wait_alu 0xfffe
	s_or_b32 exec_lo, exec_lo, s12
	v_dual_mov_b32 v0, v11 :: v_dual_and_b32 v145, 0xff, v11
	v_dual_mov_b32 v135, 0 :: v_dual_mov_b32 v144, 0
	s_mov_b32 s12, exec_lo
	s_delay_alu instid0(VALU_DEP_2)
	v_cmpx_ne_u16_e64 0, v145
	s_cbranch_execz .LBB307_2019
; %bb.2012:                             ;   in Loop: Header=BB307_1055 Depth=1
	v_mov_b32_e32 v144, 0x8000
	s_mov_b32 s13, exec_lo
	v_cmpx_ne_u16_e64 0x80, v145
	s_cbranch_execz .LBB307_2018
; %bb.2013:                             ;   in Loop: Header=BB307_1055 Depth=1
	v_and_b32_e32 v146, 0x7f, v11
	v_mov_b32_e32 v144, 0x7c01
	s_mov_b32 s14, exec_lo
	s_delay_alu instid0(VALU_DEP_2)
	v_cmpx_ne_u32_e32 0x7f, v146
	s_cbranch_execz .LBB307_2017
; %bb.2014:                             ;   in Loop: Header=BB307_1055 Depth=1
	v_and_b32_e32 v144, 7, v11
	v_lshrrev_b32_e32 v145, 3, v146
	s_mov_b32 s15, exec_lo
	v_cmpx_gt_u32_e32 8, v146
; %bb.2015:                             ;   in Loop: Header=BB307_1055 Depth=1
	s_delay_alu instid0(VALU_DEP_3) | instskip(NEXT) | instid1(VALU_DEP_1)
	v_clz_i32_u32_e32 v144, v144
	v_min_u32_e32 v146, 32, v144
	s_delay_alu instid0(VALU_DEP_1) | instskip(NEXT) | instid1(VALU_DEP_1)
	v_subrev_nc_u32_e32 v144, 28, v146
	v_lshlrev_b64_e32 v[144:145], v144, v[0:1]
	v_sub_nc_u32_e32 v145, 29, v146
	s_delay_alu instid0(VALU_DEP_2)
	v_and_b32_e32 v144, 7, v144
; %bb.2016:                             ;   in Loop: Header=BB307_1055 Depth=1
	s_wait_alu 0xfffe
	s_or_b32 exec_lo, exec_lo, s15
	v_lshlrev_b32_e32 v146, 8, v11
	v_lshl_add_u32 v145, v145, 10, 0x2000
	v_lshlrev_b32_e32 v144, 7, v144
	s_delay_alu instid0(VALU_DEP_3) | instskip(NEXT) | instid1(VALU_DEP_3)
	v_and_b32_e32 v146, 0x8000, v146
	v_and_b32_e32 v145, 0xfc00, v145
	s_delay_alu instid0(VALU_DEP_1)
	v_or3_b32 v144, v146, v145, v144
.LBB307_2017:                           ;   in Loop: Header=BB307_1055 Depth=1
	s_wait_alu 0xfffe
	s_or_b32 exec_lo, exec_lo, s14
.LBB307_2018:                           ;   in Loop: Header=BB307_1055 Depth=1
	s_wait_alu 0xfffe
	s_or_b32 exec_lo, exec_lo, s13
.LBB307_2019:                           ;   in Loop: Header=BB307_1055 Depth=1
	s_wait_alu 0xfffe
	s_or_b32 exec_lo, exec_lo, s12
	v_lshrrev_b16 v0, 8, v0
	v_mov_b32_e32 v145, 0
	s_mov_b32 s12, exec_lo
	s_delay_alu instid0(VALU_DEP_2)
	v_cmpx_ne_u16_e32 0, v0
	s_cbranch_execz .LBB307_2027
; %bb.2020:                             ;   in Loop: Header=BB307_1055 Depth=1
	v_bfrev_b32_e32 v145, 1
	s_mov_b32 s13, exec_lo
	v_cmpx_ne_u16_e32 0x80, v0
	s_cbranch_execz .LBB307_2026
; %bb.2021:                             ;   in Loop: Header=BB307_1055 Depth=1
	v_and_b32_e32 v146, 0xffff, v0
	v_mov_b32_e32 v145, 0x7c010000
	s_mov_b32 s14, exec_lo
	s_delay_alu instid0(VALU_DEP_2) | instskip(NEXT) | instid1(VALU_DEP_1)
	v_and_b32_e32 v148, 0x7f, v146
	v_cmpx_ne_u32_e32 0x7f, v148
	s_cbranch_execz .LBB307_2025
; %bb.2022:                             ;   in Loop: Header=BB307_1055 Depth=1
	v_and_b32_e32 v145, 7, v146
	v_lshrrev_b32_e32 v147, 3, v148
	s_mov_b32 s15, exec_lo
	v_cmpx_gt_u32_e32 8, v148
; %bb.2023:                             ;   in Loop: Header=BB307_1055 Depth=1
	s_delay_alu instid0(VALU_DEP_3) | instskip(NEXT) | instid1(VALU_DEP_1)
	v_clz_i32_u32_e32 v145, v145
	v_min_u32_e32 v145, 32, v145
	s_delay_alu instid0(VALU_DEP_1) | instskip(NEXT) | instid1(VALU_DEP_1)
	v_subrev_nc_u32_e32 v147, 28, v145
	v_lshlrev_b64_e32 v[148:149], v147, v[0:1]
	v_sub_nc_u32_e32 v147, 29, v145
	s_delay_alu instid0(VALU_DEP_2)
	v_and_b32_e32 v145, 7, v148
; %bb.2024:                             ;   in Loop: Header=BB307_1055 Depth=1
	s_wait_alu 0xfffe
	s_or_b32 exec_lo, exec_lo, s15
	v_lshlrev_b32_e32 v0, 8, v146
	v_lshl_add_u32 v146, v147, 10, 0x2000
	v_lshlrev_b32_e32 v145, 23, v145
	s_delay_alu instid0(VALU_DEP_2) | instskip(NEXT) | instid1(VALU_DEP_1)
	v_and_or_b32 v0, 0x8000, v0, v146
	v_lshl_or_b32 v145, v0, 16, v145
.LBB307_2025:                           ;   in Loop: Header=BB307_1055 Depth=1
	s_wait_alu 0xfffe
	s_or_b32 exec_lo, exec_lo, s14
.LBB307_2026:                           ;   in Loop: Header=BB307_1055 Depth=1
	s_wait_alu 0xfffe
	s_or_b32 exec_lo, exec_lo, s13
.LBB307_2027:                           ;   in Loop: Header=BB307_1055 Depth=1
	s_wait_alu 0xfffe
	s_or_b32 exec_lo, exec_lo, s12
	v_lshrrev_b32_e32 v0, 16, v11
	s_mov_b32 s12, exec_lo
	s_delay_alu instid0(VALU_DEP_1) | instskip(NEXT) | instid1(VALU_DEP_1)
	v_and_b32_e32 v146, 0xff, v0
	v_cmpx_ne_u16_e64 0, v146
	s_cbranch_execz .LBB307_2035
; %bb.2028:                             ;   in Loop: Header=BB307_1055 Depth=1
	v_mov_b32_e32 v135, 0x8000
	s_mov_b32 s13, exec_lo
	v_cmpx_ne_u16_e64 0x80, v146
	s_cbranch_execz .LBB307_2034
; %bb.2029:                             ;   in Loop: Header=BB307_1055 Depth=1
	v_bfe_u32 v147, v11, 16, 7
	v_mov_b32_e32 v135, 0x7c01
	s_mov_b32 s14, exec_lo
	s_delay_alu instid0(VALU_DEP_2)
	v_cmpx_ne_u32_e32 0x7f, v147
	s_cbranch_execz .LBB307_2033
; %bb.2030:                             ;   in Loop: Header=BB307_1055 Depth=1
	v_and_b32_e32 v135, 7, v0
	v_lshrrev_b32_e32 v146, 3, v147
	s_mov_b32 s15, exec_lo
	v_cmpx_gt_u32_e32 8, v147
; %bb.2031:                             ;   in Loop: Header=BB307_1055 Depth=1
	s_delay_alu instid0(VALU_DEP_3) | instskip(NEXT) | instid1(VALU_DEP_1)
	v_clz_i32_u32_e32 v135, v135
	v_min_u32_e32 v135, 32, v135
	s_delay_alu instid0(VALU_DEP_1) | instskip(NEXT) | instid1(VALU_DEP_1)
	v_subrev_nc_u32_e32 v146, 28, v135
	v_lshlrev_b64_e32 v[147:148], v146, v[0:1]
	v_sub_nc_u32_e32 v146, 29, v135
	s_delay_alu instid0(VALU_DEP_2)
	v_and_b32_e32 v135, 7, v147
; %bb.2032:                             ;   in Loop: Header=BB307_1055 Depth=1
	s_wait_alu 0xfffe
	s_or_b32 exec_lo, exec_lo, s15
	v_lshlrev_b32_e32 v0, 8, v0
	v_lshl_add_u32 v146, v146, 10, 0x2000
	v_lshlrev_b32_e32 v135, 7, v135
	s_delay_alu instid0(VALU_DEP_3) | instskip(NEXT) | instid1(VALU_DEP_3)
	v_and_b32_e32 v0, 0x8000, v0
	v_and_b32_e32 v146, 0xfc00, v146
	s_delay_alu instid0(VALU_DEP_1)
	v_or3_b32 v135, v0, v146, v135
.LBB307_2033:                           ;   in Loop: Header=BB307_1055 Depth=1
	s_wait_alu 0xfffe
	s_or_b32 exec_lo, exec_lo, s14
.LBB307_2034:                           ;   in Loop: Header=BB307_1055 Depth=1
	s_wait_alu 0xfffe
	s_or_b32 exec_lo, exec_lo, s13
.LBB307_2035:                           ;   in Loop: Header=BB307_1055 Depth=1
	s_wait_alu 0xfffe
	s_or_b32 exec_lo, exec_lo, s12
	v_cmp_lt_u64_e64 s0, s[8:9], v[10:11]
	v_mov_b32_e32 v10, 0
	s_and_saveexec_b32 s12, s0
	s_cbranch_execz .LBB307_2043
; %bb.2036:                             ;   in Loop: Header=BB307_1055 Depth=1
	v_lshrrev_b32_e32 v0, 24, v11
	v_bfrev_b32_e32 v10, 1
	s_mov_b32 s13, exec_lo
	s_delay_alu instid0(VALU_DEP_2)
	v_cmpx_ne_u32_e32 0x80, v0
	s_cbranch_execz .LBB307_2042
; %bb.2037:                             ;   in Loop: Header=BB307_1055 Depth=1
	v_and_b32_e32 v146, 0x7f, v0
	v_mov_b32_e32 v10, 0x7c010000
	s_mov_b32 s14, exec_lo
	s_delay_alu instid0(VALU_DEP_2)
	v_cmpx_ne_u32_e32 0x7f, v146
	s_cbranch_execz .LBB307_2041
; %bb.2038:                             ;   in Loop: Header=BB307_1055 Depth=1
	v_and_b32_e32 v10, 7, v0
	v_lshrrev_b32_e32 v11, 3, v146
	s_mov_b32 s15, exec_lo
	v_cmpx_gt_u32_e32 8, v146
; %bb.2039:                             ;   in Loop: Header=BB307_1055 Depth=1
	s_delay_alu instid0(VALU_DEP_3) | instskip(NEXT) | instid1(VALU_DEP_1)
	v_clz_i32_u32_e32 v10, v10
	v_min_u32_e32 v146, 32, v10
	s_delay_alu instid0(VALU_DEP_1) | instskip(NEXT) | instid1(VALU_DEP_1)
	v_subrev_nc_u32_e32 v10, 28, v146
	v_lshlrev_b64_e32 v[10:11], v10, v[0:1]
	v_sub_nc_u32_e32 v11, 29, v146
	s_delay_alu instid0(VALU_DEP_2)
	v_and_b32_e32 v10, 7, v10
; %bb.2040:                             ;   in Loop: Header=BB307_1055 Depth=1
	s_wait_alu 0xfffe
	s_or_b32 exec_lo, exec_lo, s15
	v_lshlrev_b32_e32 v0, 8, v0
	v_lshl_add_u32 v11, v11, 10, 0x2000
	v_lshlrev_b32_e32 v10, 23, v10
	s_delay_alu instid0(VALU_DEP_2) | instskip(NEXT) | instid1(VALU_DEP_1)
	v_and_or_b32 v0, 0x8000, v0, v11
	v_lshl_or_b32 v10, v0, 16, v10
.LBB307_2041:                           ;   in Loop: Header=BB307_1055 Depth=1
	s_wait_alu 0xfffe
	s_or_b32 exec_lo, exec_lo, s14
.LBB307_2042:                           ;   in Loop: Header=BB307_1055 Depth=1
	s_wait_alu 0xfffe
	s_or_b32 exec_lo, exec_lo, s13
.LBB307_2043:                           ;   in Loop: Header=BB307_1055 Depth=1
	s_wait_alu 0xfffe
	s_or_b32 exec_lo, exec_lo, s12
	v_or_b32_e32 v0, v133, v134
	s_wait_loadcnt_dscnt 0x0
	v_fma_mixlo_f16 v11, v130, v133, 0 op_sel:[0,1,0] op_sel_hi:[0,1,0]
	v_or_b32_e32 v133, v131, v132
	v_fma_mixlo_f16 v131, v130, v131, 0 op_sel:[0,1,0] op_sel_hi:[0,1,0]
	v_or_b32_e32 v134, v145, v144
	v_or_b32_e32 v135, v10, v135
	v_fma_mixlo_f16 v144, v130, v0, 0 op_sel_hi:[0,1,0]
	v_fma_mixlo_f16 v10, v130, v10, 0 op_sel:[0,1,0] op_sel_hi:[0,1,0]
	v_lshlrev_b32_e32 v132, 16, v131
	v_fma_mixlo_f16 v131, v130, v133, 0 op_sel_hi:[0,1,0]
	v_fma_mixlo_f16 v133, v130, v145, 0 op_sel:[0,1,0] op_sel_hi:[0,1,0]
	v_fma_mixlo_f16 v134, v130, v134, 0 op_sel_hi:[0,1,0]
	v_fma_mixlo_f16 v135, v130, v135, 0 op_sel_hi:[0,1,0]
	v_lshlrev_b32_e32 v0, 16, v11
	v_and_b32_e32 v11, 0xffff, v144
	v_and_b32_e32 v146, 0xffff, v131
	v_lshlrev_b32_e32 v130, 16, v133
	v_and_b32_e32 v134, 0xffff, v134
	v_lshlrev_b32_e32 v10, 16, v10
	v_and_b32_e32 v131, 0xffff, v135
	v_or_b32_e32 v133, v0, v11
	v_or_b32_e32 v145, v132, v146
	;; [unrolled: 1-line block ×3, first 2 shown]
	s_delay_alu instid0(VALU_DEP_4)
	v_or_b32_e32 v135, v10, v131
	s_and_saveexec_b32 s12, vcc_lo
	s_cbranch_execz .LBB307_2045
; %bb.2044:                             ;   in Loop: Header=BB307_1055 Depth=1
	v_cmp_lt_i32_e64 s0, v35, v32
	s_wait_alu 0xf1ff
	s_delay_alu instid0(VALU_DEP_1) | instskip(SKIP_2) | instid1(VALU_DEP_1)
	v_cndmask_b32_e64 v133, 0, v146, s0
	v_cmp_lt_i32_e64 s0, v71, v32
	s_wait_alu 0xf1ff
	v_cndmask_b32_e64 v132, 0, v132, s0
	v_cmp_lt_i32_e64 s0, v70, v32
	s_delay_alu instid0(VALU_DEP_2) | instskip(SKIP_1) | instid1(VALU_DEP_2)
	v_or_b32_e32 v145, v133, v132
	s_wait_alu 0xf1ff
	v_cndmask_b32_e64 v11, 0, v11, s0
	v_cmp_lt_i32_e64 s0, v69, v32
	s_wait_alu 0xf1ff
	s_delay_alu instid0(VALU_DEP_1) | instskip(SKIP_1) | instid1(VALU_DEP_2)
	v_cndmask_b32_e64 v0, 0, v0, s0
	v_cmp_lt_i32_e64 s0, v68, v32
	v_or_b32_e32 v133, v11, v0
	s_wait_alu 0xf1ff
	s_delay_alu instid0(VALU_DEP_2) | instskip(SKIP_2) | instid1(VALU_DEP_1)
	v_cndmask_b32_e64 v134, 0, v134, s0
	v_cmp_lt_i32_e64 s0, v67, v32
	s_wait_alu 0xf1ff
	v_cndmask_b32_e64 v130, 0, v130, s0
	v_cmp_lt_i32_e64 s0, v66, v32
	s_delay_alu instid0(VALU_DEP_2) | instskip(SKIP_1) | instid1(VALU_DEP_2)
	v_or_b32_e32 v144, v134, v130
	s_wait_alu 0xf1ff
	v_cndmask_b32_e64 v131, 0, v131, s0
	v_cmp_lt_i32_e64 s0, v14, v32
	s_wait_alu 0xf1ff
	s_delay_alu instid0(VALU_DEP_1) | instskip(NEXT) | instid1(VALU_DEP_1)
	v_cndmask_b32_e64 v10, 0, v10, s0
	v_or_b32_e32 v135, v131, v10
.LBB307_2045:                           ;   in Loop: Header=BB307_1055 Depth=1
	s_wait_alu 0xfffe
	s_or_b32 exec_lo, exec_lo, s12
	;;#ASMSTART
	v_pk_mul_f16 v0, v64, v145;

	;;#ASMEND
	;;#ASMSTART
	v_pk_mul_f16 v10, v54, v133;

	;;#ASMEND
	;; [unrolled: 4-line block ×4, first 2 shown]
	;;#ASMSTART
	v_pk_add_f16 v0, v0, v10;

	;;#ASMEND
	;;#ASMSTART
	v_pk_add_f16 v0, v0, v11;

	;;#ASMEND
	;; [unrolled: 4-line block ×3, first 2 shown]
	v_dual_mov_b32 v131, 0 :: v_dual_and_b32 v10, 0xffff, v0
	v_lshrrev_b32_e32 v0, 16, v0
	;;#ASMSTART
	v_cvt_f32_f16 v10, v10;
	;;#ASMEND
	;;#ASMSTART
	v_cvt_f32_f16 v11, v0;
	;;#ASMEND
	flat_load_b64 v[8:9], v[8:9] offset:3840
	flat_load_b32 v130, v[26:27]
	v_mov_b32_e32 v132, 0
	s_mov_b32 s12, exec_lo
	s_wait_loadcnt_dscnt 0x101
	v_and_b32_e32 v0, 0xff, v8
	s_delay_alu instid0(VALU_DEP_1)
	v_cmpx_ne_u16_e32 0, v0
	s_cbranch_execz .LBB307_2053
; %bb.2046:                             ;   in Loop: Header=BB307_1055 Depth=1
	v_mov_b32_e32 v132, 0x8000
	s_mov_b32 s13, exec_lo
	v_cmpx_ne_u16_e32 0x80, v0
	s_cbranch_execz .LBB307_2052
; %bb.2047:                             ;   in Loop: Header=BB307_1055 Depth=1
	v_and_b32_e32 v133, 0x7f, v8
	v_mov_b32_e32 v132, 0x7c01
	s_mov_b32 s14, exec_lo
	s_delay_alu instid0(VALU_DEP_2)
	v_cmpx_ne_u32_e32 0x7f, v133
	s_cbranch_execz .LBB307_2051
; %bb.2048:                             ;   in Loop: Header=BB307_1055 Depth=1
	v_and_b32_e32 v0, 7, v8
	v_lshrrev_b32_e32 v132, 3, v133
	s_mov_b32 s15, exec_lo
	v_cmpx_gt_u32_e32 8, v133
; %bb.2049:                             ;   in Loop: Header=BB307_1055 Depth=1
	s_delay_alu instid0(VALU_DEP_3) | instskip(NEXT) | instid1(VALU_DEP_1)
	v_clz_i32_u32_e32 v0, v0
	v_min_u32_e32 v0, 32, v0
	s_delay_alu instid0(VALU_DEP_1) | instskip(NEXT) | instid1(VALU_DEP_1)
	v_subrev_nc_u32_e32 v132, 28, v0
	v_lshlrev_b64_e32 v[133:134], v132, v[8:9]
	v_sub_nc_u32_e32 v132, 29, v0
	s_delay_alu instid0(VALU_DEP_2)
	v_and_b32_e32 v0, 7, v133
; %bb.2050:                             ;   in Loop: Header=BB307_1055 Depth=1
	s_wait_alu 0xfffe
	s_or_b32 exec_lo, exec_lo, s15
	v_lshlrev_b32_e32 v133, 8, v8
	v_lshl_add_u32 v132, v132, 10, 0x2000
	v_lshlrev_b32_e32 v0, 7, v0
	s_delay_alu instid0(VALU_DEP_3) | instskip(NEXT) | instid1(VALU_DEP_3)
	v_and_b32_e32 v133, 0x8000, v133
	v_and_b32_e32 v132, 0xfc00, v132
	s_delay_alu instid0(VALU_DEP_1)
	v_or3_b32 v132, v133, v132, v0
.LBB307_2051:                           ;   in Loop: Header=BB307_1055 Depth=1
	s_wait_alu 0xfffe
	s_or_b32 exec_lo, exec_lo, s14
.LBB307_2052:                           ;   in Loop: Header=BB307_1055 Depth=1
	s_wait_alu 0xfffe
	s_or_b32 exec_lo, exec_lo, s13
.LBB307_2053:                           ;   in Loop: Header=BB307_1055 Depth=1
	s_wait_alu 0xfffe
	s_or_b32 exec_lo, exec_lo, s12
	v_lshrrev_b16 v0, 8, v8
	s_mov_b32 s12, exec_lo
	s_delay_alu instid0(VALU_DEP_1)
	v_cmpx_ne_u16_e32 0, v0
	s_cbranch_execz .LBB307_2061
; %bb.2054:                             ;   in Loop: Header=BB307_1055 Depth=1
	v_bfrev_b32_e32 v131, 1
	s_mov_b32 s13, exec_lo
	v_cmpx_ne_u16_e32 0x80, v0
	s_cbranch_execz .LBB307_2060
; %bb.2055:                             ;   in Loop: Header=BB307_1055 Depth=1
	v_and_b32_e32 v133, 0xffff, v0
	v_mov_b32_e32 v131, 0x7c010000
	s_mov_b32 s14, exec_lo
	s_delay_alu instid0(VALU_DEP_2) | instskip(NEXT) | instid1(VALU_DEP_1)
	v_and_b32_e32 v135, 0x7f, v133
	v_cmpx_ne_u32_e32 0x7f, v135
	s_cbranch_execz .LBB307_2059
; %bb.2056:                             ;   in Loop: Header=BB307_1055 Depth=1
	v_and_b32_e32 v131, 7, v133
	v_lshrrev_b32_e32 v134, 3, v135
	s_mov_b32 s15, exec_lo
	v_cmpx_gt_u32_e32 8, v135
; %bb.2057:                             ;   in Loop: Header=BB307_1055 Depth=1
	s_delay_alu instid0(VALU_DEP_3) | instskip(NEXT) | instid1(VALU_DEP_1)
	v_clz_i32_u32_e32 v131, v131
	v_min_u32_e32 v131, 32, v131
	s_delay_alu instid0(VALU_DEP_1) | instskip(NEXT) | instid1(VALU_DEP_1)
	v_subrev_nc_u32_e32 v134, 28, v131
	v_lshlrev_b64_e32 v[144:145], v134, v[0:1]
	v_sub_nc_u32_e32 v134, 29, v131
	s_delay_alu instid0(VALU_DEP_2)
	v_and_b32_e32 v131, 7, v144
; %bb.2058:                             ;   in Loop: Header=BB307_1055 Depth=1
	s_wait_alu 0xfffe
	s_or_b32 exec_lo, exec_lo, s15
	v_lshlrev_b32_e32 v0, 8, v133
	v_lshl_add_u32 v133, v134, 10, 0x2000
	v_lshlrev_b32_e32 v131, 23, v131
	s_delay_alu instid0(VALU_DEP_2) | instskip(NEXT) | instid1(VALU_DEP_1)
	v_and_or_b32 v0, 0x8000, v0, v133
	v_lshl_or_b32 v131, v0, 16, v131
.LBB307_2059:                           ;   in Loop: Header=BB307_1055 Depth=1
	s_wait_alu 0xfffe
	s_or_b32 exec_lo, exec_lo, s14
.LBB307_2060:                           ;   in Loop: Header=BB307_1055 Depth=1
	s_wait_alu 0xfffe
	s_or_b32 exec_lo, exec_lo, s13
.LBB307_2061:                           ;   in Loop: Header=BB307_1055 Depth=1
	s_wait_alu 0xfffe
	s_or_b32 exec_lo, exec_lo, s12
	v_lshrrev_b32_e32 v0, 16, v8
	v_mov_b32_e32 v133, 0
	s_mov_b32 s12, exec_lo
	s_delay_alu instid0(VALU_DEP_2) | instskip(NEXT) | instid1(VALU_DEP_1)
	v_dual_mov_b32 v134, 0 :: v_dual_and_b32 v135, 0xff, v0
	v_cmpx_ne_u16_e64 0, v135
	s_cbranch_execz .LBB307_2069
; %bb.2062:                             ;   in Loop: Header=BB307_1055 Depth=1
	v_mov_b32_e32 v134, 0x8000
	s_mov_b32 s13, exec_lo
	v_cmpx_ne_u16_e64 0x80, v135
	s_cbranch_execz .LBB307_2068
; %bb.2063:                             ;   in Loop: Header=BB307_1055 Depth=1
	v_bfe_u32 v144, v8, 16, 7
	v_mov_b32_e32 v134, 0x7c01
	s_mov_b32 s14, exec_lo
	s_delay_alu instid0(VALU_DEP_2)
	v_cmpx_ne_u32_e32 0x7f, v144
	s_cbranch_execz .LBB307_2067
; %bb.2064:                             ;   in Loop: Header=BB307_1055 Depth=1
	v_and_b32_e32 v134, 7, v0
	v_lshrrev_b32_e32 v135, 3, v144
	s_mov_b32 s15, exec_lo
	v_cmpx_gt_u32_e32 8, v144
; %bb.2065:                             ;   in Loop: Header=BB307_1055 Depth=1
	s_delay_alu instid0(VALU_DEP_3) | instskip(NEXT) | instid1(VALU_DEP_1)
	v_clz_i32_u32_e32 v134, v134
	v_min_u32_e32 v144, 32, v134
	s_delay_alu instid0(VALU_DEP_1) | instskip(NEXT) | instid1(VALU_DEP_1)
	v_subrev_nc_u32_e32 v134, 28, v144
	v_lshlrev_b64_e32 v[134:135], v134, v[0:1]
	v_sub_nc_u32_e32 v135, 29, v144
	s_delay_alu instid0(VALU_DEP_2)
	v_and_b32_e32 v134, 7, v134
; %bb.2066:                             ;   in Loop: Header=BB307_1055 Depth=1
	s_wait_alu 0xfffe
	s_or_b32 exec_lo, exec_lo, s15
	v_lshlrev_b32_e32 v0, 8, v0
	v_lshl_add_u32 v135, v135, 10, 0x2000
	v_lshlrev_b32_e32 v134, 7, v134
	s_delay_alu instid0(VALU_DEP_3) | instskip(NEXT) | instid1(VALU_DEP_3)
	v_and_b32_e32 v0, 0x8000, v0
	v_and_b32_e32 v135, 0xfc00, v135
	s_delay_alu instid0(VALU_DEP_1)
	v_or3_b32 v134, v0, v135, v134
.LBB307_2067:                           ;   in Loop: Header=BB307_1055 Depth=1
	s_wait_alu 0xfffe
	s_or_b32 exec_lo, exec_lo, s14
.LBB307_2068:                           ;   in Loop: Header=BB307_1055 Depth=1
	s_wait_alu 0xfffe
	s_or_b32 exec_lo, exec_lo, s13
.LBB307_2069:                           ;   in Loop: Header=BB307_1055 Depth=1
	s_wait_alu 0xfffe
	s_or_b32 exec_lo, exec_lo, s12
	s_delay_alu instid0(SALU_CYCLE_1)
	s_mov_b32 s12, exec_lo
	v_cmpx_lt_u32_e32 0xffffff, v8
	s_cbranch_execz .LBB307_2077
; %bb.2070:                             ;   in Loop: Header=BB307_1055 Depth=1
	v_lshrrev_b32_e32 v0, 24, v8
	v_bfrev_b32_e32 v133, 1
	s_mov_b32 s13, exec_lo
	s_delay_alu instid0(VALU_DEP_2)
	v_cmpx_ne_u32_e32 0x80, v0
	s_cbranch_execz .LBB307_2076
; %bb.2071:                             ;   in Loop: Header=BB307_1055 Depth=1
	v_and_b32_e32 v144, 0x7f, v0
	v_mov_b32_e32 v133, 0x7c010000
	s_mov_b32 s14, exec_lo
	s_delay_alu instid0(VALU_DEP_2)
	v_cmpx_ne_u32_e32 0x7f, v144
	s_cbranch_execz .LBB307_2075
; %bb.2072:                             ;   in Loop: Header=BB307_1055 Depth=1
	v_and_b32_e32 v133, 7, v0
	v_lshrrev_b32_e32 v135, 3, v144
	s_mov_b32 s15, exec_lo
	v_cmpx_gt_u32_e32 8, v144
; %bb.2073:                             ;   in Loop: Header=BB307_1055 Depth=1
	s_delay_alu instid0(VALU_DEP_3) | instskip(NEXT) | instid1(VALU_DEP_1)
	v_clz_i32_u32_e32 v133, v133
	v_min_u32_e32 v133, 32, v133
	s_delay_alu instid0(VALU_DEP_1) | instskip(NEXT) | instid1(VALU_DEP_1)
	v_subrev_nc_u32_e32 v135, 28, v133
	v_lshlrev_b64_e32 v[144:145], v135, v[0:1]
	v_sub_nc_u32_e32 v135, 29, v133
	s_delay_alu instid0(VALU_DEP_2)
	v_and_b32_e32 v133, 7, v144
; %bb.2074:                             ;   in Loop: Header=BB307_1055 Depth=1
	s_wait_alu 0xfffe
	s_or_b32 exec_lo, exec_lo, s15
	v_lshlrev_b32_e32 v0, 8, v0
	v_lshl_add_u32 v135, v135, 10, 0x2000
	v_lshlrev_b32_e32 v133, 23, v133
	s_delay_alu instid0(VALU_DEP_2) | instskip(NEXT) | instid1(VALU_DEP_1)
	v_and_or_b32 v0, 0x8000, v0, v135
	v_lshl_or_b32 v133, v0, 16, v133
.LBB307_2075:                           ;   in Loop: Header=BB307_1055 Depth=1
	s_wait_alu 0xfffe
	s_or_b32 exec_lo, exec_lo, s14
.LBB307_2076:                           ;   in Loop: Header=BB307_1055 Depth=1
	s_wait_alu 0xfffe
	s_or_b32 exec_lo, exec_lo, s13
.LBB307_2077:                           ;   in Loop: Header=BB307_1055 Depth=1
	s_wait_alu 0xfffe
	s_or_b32 exec_lo, exec_lo, s12
	v_dual_mov_b32 v0, v9 :: v_dual_and_b32 v145, 0xff, v9
	v_dual_mov_b32 v135, 0 :: v_dual_mov_b32 v144, 0
	s_mov_b32 s12, exec_lo
	s_delay_alu instid0(VALU_DEP_2)
	v_cmpx_ne_u16_e64 0, v145
	s_cbranch_execz .LBB307_2085
; %bb.2078:                             ;   in Loop: Header=BB307_1055 Depth=1
	v_mov_b32_e32 v144, 0x8000
	s_mov_b32 s13, exec_lo
	v_cmpx_ne_u16_e64 0x80, v145
	s_cbranch_execz .LBB307_2084
; %bb.2079:                             ;   in Loop: Header=BB307_1055 Depth=1
	v_and_b32_e32 v146, 0x7f, v9
	v_mov_b32_e32 v144, 0x7c01
	s_mov_b32 s14, exec_lo
	s_delay_alu instid0(VALU_DEP_2)
	v_cmpx_ne_u32_e32 0x7f, v146
	s_cbranch_execz .LBB307_2083
; %bb.2080:                             ;   in Loop: Header=BB307_1055 Depth=1
	v_and_b32_e32 v144, 7, v9
	v_lshrrev_b32_e32 v145, 3, v146
	s_mov_b32 s15, exec_lo
	v_cmpx_gt_u32_e32 8, v146
; %bb.2081:                             ;   in Loop: Header=BB307_1055 Depth=1
	s_delay_alu instid0(VALU_DEP_3) | instskip(NEXT) | instid1(VALU_DEP_1)
	v_clz_i32_u32_e32 v144, v144
	v_min_u32_e32 v146, 32, v144
	s_delay_alu instid0(VALU_DEP_1) | instskip(NEXT) | instid1(VALU_DEP_1)
	v_subrev_nc_u32_e32 v144, 28, v146
	v_lshlrev_b64_e32 v[144:145], v144, v[0:1]
	v_sub_nc_u32_e32 v145, 29, v146
	s_delay_alu instid0(VALU_DEP_2)
	v_and_b32_e32 v144, 7, v144
; %bb.2082:                             ;   in Loop: Header=BB307_1055 Depth=1
	s_wait_alu 0xfffe
	s_or_b32 exec_lo, exec_lo, s15
	v_lshlrev_b32_e32 v146, 8, v9
	v_lshl_add_u32 v145, v145, 10, 0x2000
	v_lshlrev_b32_e32 v144, 7, v144
	s_delay_alu instid0(VALU_DEP_3) | instskip(NEXT) | instid1(VALU_DEP_3)
	v_and_b32_e32 v146, 0x8000, v146
	v_and_b32_e32 v145, 0xfc00, v145
	s_delay_alu instid0(VALU_DEP_1)
	v_or3_b32 v144, v146, v145, v144
.LBB307_2083:                           ;   in Loop: Header=BB307_1055 Depth=1
	s_wait_alu 0xfffe
	s_or_b32 exec_lo, exec_lo, s14
.LBB307_2084:                           ;   in Loop: Header=BB307_1055 Depth=1
	s_wait_alu 0xfffe
	s_or_b32 exec_lo, exec_lo, s13
.LBB307_2085:                           ;   in Loop: Header=BB307_1055 Depth=1
	s_wait_alu 0xfffe
	s_or_b32 exec_lo, exec_lo, s12
	v_lshrrev_b16 v0, 8, v0
	v_mov_b32_e32 v145, 0
	s_mov_b32 s12, exec_lo
	s_delay_alu instid0(VALU_DEP_2)
	v_cmpx_ne_u16_e32 0, v0
	s_cbranch_execz .LBB307_2093
; %bb.2086:                             ;   in Loop: Header=BB307_1055 Depth=1
	v_bfrev_b32_e32 v145, 1
	s_mov_b32 s13, exec_lo
	v_cmpx_ne_u16_e32 0x80, v0
	s_cbranch_execz .LBB307_2092
; %bb.2087:                             ;   in Loop: Header=BB307_1055 Depth=1
	v_and_b32_e32 v146, 0xffff, v0
	v_mov_b32_e32 v145, 0x7c010000
	s_mov_b32 s14, exec_lo
	s_delay_alu instid0(VALU_DEP_2) | instskip(NEXT) | instid1(VALU_DEP_1)
	v_and_b32_e32 v148, 0x7f, v146
	v_cmpx_ne_u32_e32 0x7f, v148
	s_cbranch_execz .LBB307_2091
; %bb.2088:                             ;   in Loop: Header=BB307_1055 Depth=1
	v_and_b32_e32 v145, 7, v146
	v_lshrrev_b32_e32 v147, 3, v148
	s_mov_b32 s15, exec_lo
	v_cmpx_gt_u32_e32 8, v148
; %bb.2089:                             ;   in Loop: Header=BB307_1055 Depth=1
	s_delay_alu instid0(VALU_DEP_3) | instskip(NEXT) | instid1(VALU_DEP_1)
	v_clz_i32_u32_e32 v145, v145
	v_min_u32_e32 v145, 32, v145
	s_delay_alu instid0(VALU_DEP_1) | instskip(NEXT) | instid1(VALU_DEP_1)
	v_subrev_nc_u32_e32 v147, 28, v145
	v_lshlrev_b64_e32 v[148:149], v147, v[0:1]
	v_sub_nc_u32_e32 v147, 29, v145
	s_delay_alu instid0(VALU_DEP_2)
	v_and_b32_e32 v145, 7, v148
; %bb.2090:                             ;   in Loop: Header=BB307_1055 Depth=1
	s_wait_alu 0xfffe
	s_or_b32 exec_lo, exec_lo, s15
	v_lshlrev_b32_e32 v0, 8, v146
	v_lshl_add_u32 v146, v147, 10, 0x2000
	v_lshlrev_b32_e32 v145, 23, v145
	s_delay_alu instid0(VALU_DEP_2) | instskip(NEXT) | instid1(VALU_DEP_1)
	v_and_or_b32 v0, 0x8000, v0, v146
	v_lshl_or_b32 v145, v0, 16, v145
.LBB307_2091:                           ;   in Loop: Header=BB307_1055 Depth=1
	s_wait_alu 0xfffe
	s_or_b32 exec_lo, exec_lo, s14
.LBB307_2092:                           ;   in Loop: Header=BB307_1055 Depth=1
	s_wait_alu 0xfffe
	s_or_b32 exec_lo, exec_lo, s13
.LBB307_2093:                           ;   in Loop: Header=BB307_1055 Depth=1
	s_wait_alu 0xfffe
	s_or_b32 exec_lo, exec_lo, s12
	v_lshrrev_b32_e32 v0, 16, v9
	s_mov_b32 s12, exec_lo
	s_delay_alu instid0(VALU_DEP_1) | instskip(NEXT) | instid1(VALU_DEP_1)
	v_and_b32_e32 v146, 0xff, v0
	v_cmpx_ne_u16_e64 0, v146
	s_cbranch_execz .LBB307_2101
; %bb.2094:                             ;   in Loop: Header=BB307_1055 Depth=1
	v_mov_b32_e32 v135, 0x8000
	s_mov_b32 s13, exec_lo
	v_cmpx_ne_u16_e64 0x80, v146
	s_cbranch_execz .LBB307_2100
; %bb.2095:                             ;   in Loop: Header=BB307_1055 Depth=1
	v_bfe_u32 v147, v9, 16, 7
	v_mov_b32_e32 v135, 0x7c01
	s_mov_b32 s14, exec_lo
	s_delay_alu instid0(VALU_DEP_2)
	v_cmpx_ne_u32_e32 0x7f, v147
	s_cbranch_execz .LBB307_2099
; %bb.2096:                             ;   in Loop: Header=BB307_1055 Depth=1
	v_and_b32_e32 v135, 7, v0
	v_lshrrev_b32_e32 v146, 3, v147
	s_mov_b32 s15, exec_lo
	v_cmpx_gt_u32_e32 8, v147
; %bb.2097:                             ;   in Loop: Header=BB307_1055 Depth=1
	s_delay_alu instid0(VALU_DEP_3) | instskip(NEXT) | instid1(VALU_DEP_1)
	v_clz_i32_u32_e32 v135, v135
	v_min_u32_e32 v135, 32, v135
	s_delay_alu instid0(VALU_DEP_1) | instskip(NEXT) | instid1(VALU_DEP_1)
	v_subrev_nc_u32_e32 v146, 28, v135
	v_lshlrev_b64_e32 v[147:148], v146, v[0:1]
	v_sub_nc_u32_e32 v146, 29, v135
	s_delay_alu instid0(VALU_DEP_2)
	v_and_b32_e32 v135, 7, v147
; %bb.2098:                             ;   in Loop: Header=BB307_1055 Depth=1
	s_wait_alu 0xfffe
	s_or_b32 exec_lo, exec_lo, s15
	v_lshlrev_b32_e32 v0, 8, v0
	v_lshl_add_u32 v146, v146, 10, 0x2000
	v_lshlrev_b32_e32 v135, 7, v135
	s_delay_alu instid0(VALU_DEP_3) | instskip(NEXT) | instid1(VALU_DEP_3)
	v_and_b32_e32 v0, 0x8000, v0
	v_and_b32_e32 v146, 0xfc00, v146
	s_delay_alu instid0(VALU_DEP_1)
	v_or3_b32 v135, v0, v146, v135
.LBB307_2099:                           ;   in Loop: Header=BB307_1055 Depth=1
	s_wait_alu 0xfffe
	s_or_b32 exec_lo, exec_lo, s14
.LBB307_2100:                           ;   in Loop: Header=BB307_1055 Depth=1
	s_wait_alu 0xfffe
	s_or_b32 exec_lo, exec_lo, s13
.LBB307_2101:                           ;   in Loop: Header=BB307_1055 Depth=1
	s_wait_alu 0xfffe
	s_or_b32 exec_lo, exec_lo, s12
	v_cmp_lt_u64_e64 s0, s[8:9], v[8:9]
	v_mov_b32_e32 v8, 0
	s_and_saveexec_b32 s12, s0
	s_cbranch_execz .LBB307_2109
; %bb.2102:                             ;   in Loop: Header=BB307_1055 Depth=1
	v_lshrrev_b32_e32 v0, 24, v9
	v_bfrev_b32_e32 v8, 1
	s_mov_b32 s13, exec_lo
	s_delay_alu instid0(VALU_DEP_2)
	v_cmpx_ne_u32_e32 0x80, v0
	s_cbranch_execz .LBB307_2108
; %bb.2103:                             ;   in Loop: Header=BB307_1055 Depth=1
	v_and_b32_e32 v146, 0x7f, v0
	v_mov_b32_e32 v8, 0x7c010000
	s_mov_b32 s14, exec_lo
	s_delay_alu instid0(VALU_DEP_2)
	v_cmpx_ne_u32_e32 0x7f, v146
	s_cbranch_execz .LBB307_2107
; %bb.2104:                             ;   in Loop: Header=BB307_1055 Depth=1
	v_and_b32_e32 v8, 7, v0
	v_lshrrev_b32_e32 v9, 3, v146
	s_mov_b32 s15, exec_lo
	v_cmpx_gt_u32_e32 8, v146
; %bb.2105:                             ;   in Loop: Header=BB307_1055 Depth=1
	s_delay_alu instid0(VALU_DEP_3) | instskip(NEXT) | instid1(VALU_DEP_1)
	v_clz_i32_u32_e32 v8, v8
	v_min_u32_e32 v146, 32, v8
	s_delay_alu instid0(VALU_DEP_1) | instskip(NEXT) | instid1(VALU_DEP_1)
	v_subrev_nc_u32_e32 v8, 28, v146
	v_lshlrev_b64_e32 v[8:9], v8, v[0:1]
	v_sub_nc_u32_e32 v9, 29, v146
	s_delay_alu instid0(VALU_DEP_2)
	v_and_b32_e32 v8, 7, v8
; %bb.2106:                             ;   in Loop: Header=BB307_1055 Depth=1
	s_wait_alu 0xfffe
	s_or_b32 exec_lo, exec_lo, s15
	v_lshlrev_b32_e32 v0, 8, v0
	v_lshl_add_u32 v9, v9, 10, 0x2000
	v_lshlrev_b32_e32 v8, 23, v8
	s_delay_alu instid0(VALU_DEP_2) | instskip(NEXT) | instid1(VALU_DEP_1)
	v_and_or_b32 v0, 0x8000, v0, v9
	v_lshl_or_b32 v8, v0, 16, v8
.LBB307_2107:                           ;   in Loop: Header=BB307_1055 Depth=1
	s_wait_alu 0xfffe
	s_or_b32 exec_lo, exec_lo, s14
.LBB307_2108:                           ;   in Loop: Header=BB307_1055 Depth=1
	s_wait_alu 0xfffe
	s_or_b32 exec_lo, exec_lo, s13
.LBB307_2109:                           ;   in Loop: Header=BB307_1055 Depth=1
	s_wait_alu 0xfffe
	s_or_b32 exec_lo, exec_lo, s12
	v_or_b32_e32 v0, v133, v134
	s_wait_loadcnt_dscnt 0x0
	v_fma_mixlo_f16 v9, v130, v133, 0 op_sel:[0,1,0] op_sel_hi:[0,1,0]
	v_or_b32_e32 v132, v131, v132
	v_fma_mixlo_f16 v133, v130, v131, 0 op_sel:[0,1,0] op_sel_hi:[0,1,0]
	v_or_b32_e32 v134, v145, v144
	v_fma_mixlo_f16 v0, v130, v0, 0 op_sel_hi:[0,1,0]
	v_or_b32_e32 v135, v8, v135
	v_lshlrev_b32_e32 v131, 16, v9
	v_lshlrev_b32_e32 v144, 16, v133
	v_fma_mixlo_f16 v9, v130, v132, 0 op_sel_hi:[0,1,0]
	v_and_b32_e32 v133, 0xffff, v0
	v_fma_mixlo_f16 v0, v130, v145, 0 op_sel:[0,1,0] op_sel_hi:[0,1,0]
	v_fma_mixlo_f16 v132, v130, v134, 0 op_sel_hi:[0,1,0]
	v_fma_mixlo_f16 v8, v130, v8, 0 op_sel:[0,1,0] op_sel_hi:[0,1,0]
	v_fma_mixlo_f16 v130, v130, v135, 0 op_sel_hi:[0,1,0]
	v_and_b32_e32 v146, 0xffff, v9
	v_lshlrev_b32_e32 v134, 16, v0
	v_and_b32_e32 v145, 0xffff, v132
	v_lshlrev_b32_e32 v132, 16, v8
	v_and_b32_e32 v135, 0xffff, v130
	v_or_b32_e32 v0, v131, v133
	v_or_b32_e32 v130, v144, v146
	;; [unrolled: 1-line block ×3, first 2 shown]
	s_delay_alu instid0(VALU_DEP_4)
	v_or_b32_e32 v8, v132, v135
	s_and_saveexec_b32 s0, vcc_lo
	s_cbranch_execz .LBB307_1054
; %bb.2110:                             ;   in Loop: Header=BB307_1055 Depth=1
	v_cmp_lt_i32_e32 vcc_lo, v35, v32
	s_wait_alu 0xfffd
	v_cndmask_b32_e32 v0, 0, v146, vcc_lo
	v_cmp_lt_i32_e32 vcc_lo, v71, v32
	s_wait_alu 0xfffd
	v_cndmask_b32_e32 v8, 0, v144, vcc_lo
	;; [unrolled: 3-line block ×4, first 2 shown]
	v_cmp_lt_i32_e32 vcc_lo, v68, v32
	v_or_b32_e32 v130, v0, v8
	s_delay_alu instid0(VALU_DEP_3)
	v_or_b32_e32 v0, v9, v35
	s_wait_alu 0xfffd
	v_cndmask_b32_e32 v68, 0, v145, vcc_lo
	v_cmp_lt_i32_e32 vcc_lo, v67, v32
	s_wait_alu 0xfffd
	v_cndmask_b32_e32 v67, 0, v134, vcc_lo
	v_cmp_lt_i32_e32 vcc_lo, v66, v32
	s_delay_alu instid0(VALU_DEP_2)
	v_or_b32_e32 v9, v68, v67
	s_wait_alu 0xfffd
	v_cndmask_b32_e32 v66, 0, v135, vcc_lo
	v_cmp_lt_i32_e32 vcc_lo, v14, v32
	s_wait_alu 0xfffd
	v_cndmask_b32_e32 v69, 0, v132, vcc_lo
	s_delay_alu instid0(VALU_DEP_1)
	v_or_b32_e32 v8, v66, v69
	s_branch .LBB307_1054
.LBB307_2111:
	s_or_b32 exec_lo, exec_lo, s5
	v_dual_mov_b32 v0, s6 :: v_dual_mov_b32 v1, s7
.LBB307_2112:
	s_or_b32 exec_lo, exec_lo, s3
	s_delay_alu instid0(VALU_DEP_1)
	v_lshlrev_b64_e32 v[0:1], 2, v[0:1]
	s_getpc_b64 s[6:7]
	s_wait_alu 0xfffe
	s_sext_i32_i16 s7, s7
	s_add_co_u32 s6, s6, llvm.amdgcn.dynlds.offset.table@rel32@lo+12
	s_wait_alu 0xfffe
	s_add_co_ci_u32 s7, s7, llvm.amdgcn.dynlds.offset.table@rel32@hi+24
	s_wait_storecnt 0x0
	s_wait_loadcnt_dscnt 0x0
	s_barrier_signal -1
	s_barrier_wait -1
	global_inv scope:SCOPE_SE
	v_add_co_u32 v0, vcc_lo, s6, v0
	s_wait_alu 0xfffc
	v_add_co_ci_u32_e64 v1, null, s7, v1, vcc_lo
	ds_bpermute_b32 v2, v16, v52
	ds_bpermute_b32 v3, v16, v51
	;; [unrolled: 1-line block ×3, first 2 shown]
	global_load_b32 v22, v[0:1], off
	ds_bpermute_b32 v0, v16, v50
	ds_bpermute_b32 v1, v16, v53
	;; [unrolled: 1-line block ×13, first 2 shown]
	s_mov_b32 s0, exec_lo
	s_wait_dscnt 0xe
	v_dual_add_f32 v2, v52, v2 :: v_dual_add_f32 v3, v51, v3
	s_wait_dscnt 0xd
	v_add_f32_e32 v6, v49, v6
	s_wait_dscnt 0xb
	v_dual_add_f32 v0, v50, v0 :: v_dual_add_f32 v1, v53, v1
	s_wait_dscnt 0x9
	v_dual_add_f32 v7, v48, v7 :: v_dual_add_f32 v8, v39, v8
	s_wait_dscnt 0x8
	v_add_f32_e32 v9, v38, v9
	s_wait_dscnt 0x6
	v_dual_add_f32 v29, v29, v10 :: v_dual_add_f32 v28, v28, v11
	s_wait_dscnt 0x4
	v_dual_add_f32 v25, v25, v14 :: v_dual_add_f32 v24, v24, v15
	s_wait_dscnt 0x3
	v_add_f32_e32 v26, v21, v26
	s_wait_dscnt 0x2
	v_add_f32_e32 v20, v20, v27
	;; [unrolled: 2-line block ×4, first 2 shown]
	ds_bpermute_b32 v10, v13, v0
	ds_bpermute_b32 v11, v13, v1
	;; [unrolled: 1-line block ×16, first 2 shown]
	v_and_b32_e32 v52, 28, v23
	v_lshrrev_b32_e32 v21, 2, v23
	v_lshlrev_b32_e32 v23, 9, v30
	s_wait_dscnt 0xf
	v_dual_add_f32 v19, v0, v10 :: v_dual_and_b32 v30, 0x3c3, v12
	s_wait_dscnt 0xe
	v_add_f32_e32 v18, v1, v11
	s_wait_dscnt 0xc
	v_dual_add_f32 v16, v2, v14 :: v_dual_add_f32 v15, v3, v15
	s_wait_dscnt 0xa
	v_dual_add_f32 v14, v6, v32 :: v_dual_add_f32 v13, v7, v33
	;; [unrolled: 2-line block ×6, first 2 shown]
	s_wait_dscnt 0x1
	v_add_f32_e32 v1, v27, v50
	s_wait_dscnt 0x0
	v_add_f32_e32 v0, v31, v51
	s_wait_loadcnt 0x0
	v_add_nc_u32_e32 v20, v22, v52
	v_cmpx_eq_u32_e32 64, v30
	s_cbranch_execz .LBB307_2114
; %bb.2113:
	s_delay_alu instid0(VALU_DEP_2) | instskip(NEXT) | instid1(VALU_DEP_1)
	v_add_nc_u32_e32 v24, v20, v23
	v_add_nc_u32_e32 v25, 0xfffffc00, v24
	;; [unrolled: 1-line block ×9, first 2 shown]
	ds_store_b32 v25, v19
	ds_store_b32 v26, v18
	;; [unrolled: 1-line block ×8, first 2 shown]
	v_add_nc_u32_e32 v25, 0xfffffd00, v24
	v_add_nc_u32_e32 v26, 0xfffffd20, v24
	;; [unrolled: 1-line block ×8, first 2 shown]
	ds_store_b32 v25, v9
	ds_store_b32 v26, v8
	;; [unrolled: 1-line block ×8, first 2 shown]
.LBB307_2114:
	s_wait_alu 0xfffe
	s_or_b32 exec_lo, exec_lo, s0
	v_lshlrev_b32_e32 v21, 2, v21
	v_cmp_eq_u32_e32 vcc_lo, 0, v17
	s_mov_b32 s3, exec_lo
	s_wait_dscnt 0x0
	s_barrier_signal -1
	v_add3_u32 v17, v22, v23, v21
	s_barrier_wait -1
	global_inv scope:SCOPE_SE
	v_cmpx_gt_u32_e32 64, v12
	s_cbranch_execz .LBB307_2133
; %bb.2115:
	s_and_saveexec_b32 s0, vcc_lo
	s_cbranch_execnz .LBB307_2157
; %bb.2116:
	s_wait_alu 0xfffe
	s_or_b32 exec_lo, exec_lo, s0
	s_and_saveexec_b32 s0, vcc_lo
	s_cbranch_execnz .LBB307_2158
.LBB307_2117:
	s_wait_alu 0xfffe
	s_or_b32 exec_lo, exec_lo, s0
	s_and_saveexec_b32 s0, vcc_lo
	s_cbranch_execnz .LBB307_2159
.LBB307_2118:
	s_wait_alu 0xfffe
	s_or_b32 exec_lo, exec_lo, s0
	s_and_saveexec_b32 s0, vcc_lo
	s_cbranch_execnz .LBB307_2160
.LBB307_2119:
	s_wait_alu 0xfffe
	s_or_b32 exec_lo, exec_lo, s0
	s_and_saveexec_b32 s0, vcc_lo
	s_cbranch_execnz .LBB307_2161
.LBB307_2120:
	s_wait_alu 0xfffe
	s_or_b32 exec_lo, exec_lo, s0
	s_and_saveexec_b32 s0, vcc_lo
	s_cbranch_execnz .LBB307_2162
.LBB307_2121:
	s_wait_alu 0xfffe
	s_or_b32 exec_lo, exec_lo, s0
	s_and_saveexec_b32 s0, vcc_lo
	s_cbranch_execnz .LBB307_2163
.LBB307_2122:
	s_wait_alu 0xfffe
	s_or_b32 exec_lo, exec_lo, s0
	s_and_saveexec_b32 s0, vcc_lo
	s_cbranch_execnz .LBB307_2164
.LBB307_2123:
	s_wait_alu 0xfffe
	s_or_b32 exec_lo, exec_lo, s0
	s_and_saveexec_b32 s0, vcc_lo
	s_cbranch_execnz .LBB307_2165
.LBB307_2124:
	s_wait_alu 0xfffe
	s_or_b32 exec_lo, exec_lo, s0
	s_and_saveexec_b32 s0, vcc_lo
	s_cbranch_execnz .LBB307_2166
.LBB307_2125:
	s_wait_alu 0xfffe
	s_or_b32 exec_lo, exec_lo, s0
	s_and_saveexec_b32 s0, vcc_lo
	s_cbranch_execnz .LBB307_2167
.LBB307_2126:
	s_wait_alu 0xfffe
	s_or_b32 exec_lo, exec_lo, s0
	s_and_saveexec_b32 s0, vcc_lo
	s_cbranch_execnz .LBB307_2168
.LBB307_2127:
	s_wait_alu 0xfffe
	s_or_b32 exec_lo, exec_lo, s0
	s_and_saveexec_b32 s0, vcc_lo
	s_cbranch_execnz .LBB307_2169
.LBB307_2128:
	s_wait_alu 0xfffe
	s_or_b32 exec_lo, exec_lo, s0
	s_and_saveexec_b32 s0, vcc_lo
	s_cbranch_execnz .LBB307_2170
.LBB307_2129:
	s_wait_alu 0xfffe
	s_or_b32 exec_lo, exec_lo, s0
	s_and_saveexec_b32 s0, vcc_lo
	s_cbranch_execnz .LBB307_2171
.LBB307_2130:
	s_wait_alu 0xfffe
	s_or_b32 exec_lo, exec_lo, s0
	s_and_saveexec_b32 s0, vcc_lo
	s_cbranch_execz .LBB307_2132
.LBB307_2131:
	ds_load_b32 v21, v17 offset:480
	s_wait_dscnt 0x0
	v_add_f32_e32 v0, v21, v0
.LBB307_2132:
	s_wait_alu 0xfffe
	s_or_b32 exec_lo, exec_lo, s0
.LBB307_2133:
	s_wait_alu 0xfffe
	s_or_b32 exec_lo, exec_lo, s3
	v_and_b32_e32 v21, 0x3e3, v12
	s_mov_b32 s3, exec_lo
	s_wait_loadcnt 0x0
	s_barrier_signal -1
	s_barrier_wait -1
	global_inv scope:SCOPE_SE
	v_cmpx_eq_u32_e32 32, v21
	s_cbranch_execz .LBB307_2135
; %bb.2134:
	ds_store_2addr_b32 v20, v19, v18 offset1:8
	ds_store_2addr_b32 v20, v16, v15 offset0:16 offset1:24
	ds_store_2addr_b32 v20, v14, v13 offset0:32 offset1:40
	;; [unrolled: 1-line block ×7, first 2 shown]
.LBB307_2135:
	s_wait_alu 0xfffe
	s_or_b32 exec_lo, exec_lo, s3
	s_delay_alu instid0(SALU_CYCLE_1)
	s_mov_b32 s3, exec_lo
	s_wait_loadcnt_dscnt 0x0
	s_barrier_signal -1
	s_barrier_wait -1
	global_inv scope:SCOPE_SE
	v_cmpx_gt_u32_e32 32, v12
	s_cbranch_execz .LBB307_2154
; %bb.2136:
	s_and_saveexec_b32 s0, vcc_lo
	s_cbranch_execnz .LBB307_2172
; %bb.2137:
	s_wait_alu 0xfffe
	s_or_b32 exec_lo, exec_lo, s0
	s_and_saveexec_b32 s0, vcc_lo
	s_cbranch_execnz .LBB307_2173
.LBB307_2138:
	s_wait_alu 0xfffe
	s_or_b32 exec_lo, exec_lo, s0
	s_and_saveexec_b32 s0, vcc_lo
	s_cbranch_execnz .LBB307_2174
.LBB307_2139:
	s_wait_alu 0xfffe
	s_or_b32 exec_lo, exec_lo, s0
	s_and_saveexec_b32 s0, vcc_lo
	s_cbranch_execnz .LBB307_2175
.LBB307_2140:
	s_wait_alu 0xfffe
	s_or_b32 exec_lo, exec_lo, s0
	s_and_saveexec_b32 s0, vcc_lo
	s_cbranch_execnz .LBB307_2176
.LBB307_2141:
	s_wait_alu 0xfffe
	s_or_b32 exec_lo, exec_lo, s0
	s_and_saveexec_b32 s0, vcc_lo
	s_cbranch_execnz .LBB307_2177
.LBB307_2142:
	s_wait_alu 0xfffe
	s_or_b32 exec_lo, exec_lo, s0
	s_and_saveexec_b32 s0, vcc_lo
	s_cbranch_execnz .LBB307_2178
.LBB307_2143:
	s_wait_alu 0xfffe
	s_or_b32 exec_lo, exec_lo, s0
	s_and_saveexec_b32 s0, vcc_lo
	s_cbranch_execnz .LBB307_2179
.LBB307_2144:
	s_wait_alu 0xfffe
	s_or_b32 exec_lo, exec_lo, s0
	s_and_saveexec_b32 s0, vcc_lo
	s_cbranch_execnz .LBB307_2180
.LBB307_2145:
	s_wait_alu 0xfffe
	s_or_b32 exec_lo, exec_lo, s0
	s_and_saveexec_b32 s0, vcc_lo
	s_cbranch_execnz .LBB307_2181
.LBB307_2146:
	s_wait_alu 0xfffe
	s_or_b32 exec_lo, exec_lo, s0
	s_and_saveexec_b32 s0, vcc_lo
	s_cbranch_execnz .LBB307_2182
.LBB307_2147:
	s_wait_alu 0xfffe
	s_or_b32 exec_lo, exec_lo, s0
	s_and_saveexec_b32 s0, vcc_lo
	s_cbranch_execnz .LBB307_2183
.LBB307_2148:
	s_wait_alu 0xfffe
	s_or_b32 exec_lo, exec_lo, s0
	s_and_saveexec_b32 s0, vcc_lo
	s_cbranch_execnz .LBB307_2184
.LBB307_2149:
	s_wait_alu 0xfffe
	s_or_b32 exec_lo, exec_lo, s0
	s_and_saveexec_b32 s0, vcc_lo
	s_cbranch_execnz .LBB307_2185
.LBB307_2150:
	s_wait_alu 0xfffe
	s_or_b32 exec_lo, exec_lo, s0
	s_and_saveexec_b32 s0, vcc_lo
	s_cbranch_execnz .LBB307_2186
.LBB307_2151:
	s_wait_alu 0xfffe
	s_or_b32 exec_lo, exec_lo, s0
	s_and_saveexec_b32 s0, vcc_lo
	s_cbranch_execz .LBB307_2153
.LBB307_2152:
	ds_load_b32 v17, v17 offset:480
	s_wait_dscnt 0x0
	v_add_f32_e32 v0, v17, v0
.LBB307_2153:
	s_wait_alu 0xfffe
	s_or_b32 exec_lo, exec_lo, s0
.LBB307_2154:
	s_wait_alu 0xfffe
	s_or_b32 exec_lo, exec_lo, s3
	v_cmp_eq_u32_e32 vcc_lo, 0, v21
	s_wait_loadcnt 0x0
	s_barrier_signal -1
	s_barrier_wait -1
	global_inv scope:SCOPE_SE
	s_and_b32 exec_lo, exec_lo, vcc_lo
	s_cbranch_execz .LBB307_2156
; %bb.2155:
	s_lshl_b32 s0, s2, 7
	s_mul_i32 s2, s4, s1
	s_wait_alu 0xfffe
	s_ashr_i32 s1, s0, 31
	s_ashr_i32 s3, s2, 31
	s_wait_alu 0xfffe
	s_lshl_b64 s[0:1], s[0:1], 1
	v_lshrrev_b32_e32 v12, 1, v12
	s_wait_alu 0xfffe
	v_add_co_u32 v4, vcc_lo, v4, s0
	s_wait_alu 0xfffd
	v_add_co_ci_u32_e64 v5, null, s1, v5, vcc_lo
	s_lshl_b64 s[0:1], s[2:3], 1
	s_wait_alu 0xfffe
	v_add_co_u32 v4, vcc_lo, v4, s0
	s_wait_alu 0xfffd
	v_add_co_ci_u32_e64 v5, null, s1, v5, vcc_lo
	s_lshl_b32 s0, s11, 8
	s_wait_alu 0xfffe
	v_add_co_u32 v4, vcc_lo, v4, s0
	s_wait_alu 0xfffd
	v_add_co_ci_u32_e64 v5, null, 0, v5, vcc_lo
	s_delay_alu instid0(VALU_DEP_2) | instskip(SKIP_1) | instid1(VALU_DEP_2)
	v_add_co_u32 v4, vcc_lo, v4, v12
	s_wait_alu 0xfffd
	v_add_co_ci_u32_e64 v5, null, 0, v5, vcc_lo
	;;#ASMSTART
	v_cvt_f16_f32 v12, v19;

	;;#ASMEND
	flat_store_b16 v[4:5], v12
	;;#ASMSTART
	v_cvt_f16_f32 v12, v18;

	;;#ASMEND
	flat_store_b16 v[4:5], v12 offset:16
	;;#ASMSTART
	v_cvt_f16_f32 v12, v16;

	;;#ASMEND
	flat_store_b16 v[4:5], v12 offset:32
	;; [unrolled: 5-line block ×15, first 2 shown]
.LBB307_2156:
	s_wait_alu 0xfffe
	s_or_b32 exec_lo, exec_lo, s10
	s_clause 0x1f
	scratch_load_b32 v174, off, s32
	scratch_load_b32 v173, off, s32 offset:4
	scratch_load_b32 v172, off, s32 offset:8
	;; [unrolled: 1-line block ×31, first 2 shown]
	s_clause 0x1f
	scratch_load_b32 v110, off, s32 offset:128
	scratch_load_b32 v109, off, s32 offset:132
	;; [unrolled: 1-line block ×32, first 2 shown]
	s_clause 0x6
	scratch_load_b32 v46, off, s32 offset:256
	scratch_load_b32 v45, off, s32 offset:260
	scratch_load_b32 v44, off, s32 offset:264
	scratch_load_b32 v43, off, s32 offset:268
	scratch_load_b32 v42, off, s32 offset:272
	scratch_load_b32 v41, off, s32 offset:276
	scratch_load_b32 v40, off, s32 offset:280
	s_wait_loadcnt_dscnt 0x0
	s_setpc_b64 s[30:31]
.LBB307_2157:
	ds_load_b32 v21, v17
	s_wait_dscnt 0x0
	v_add_f32_e32 v19, v21, v19
	s_wait_alu 0xfffe
	s_or_b32 exec_lo, exec_lo, s0
	s_and_saveexec_b32 s0, vcc_lo
	s_cbranch_execz .LBB307_2117
.LBB307_2158:
	ds_load_b32 v21, v17 offset:32
	s_wait_dscnt 0x0
	v_add_f32_e32 v18, v21, v18
	s_wait_alu 0xfffe
	s_or_b32 exec_lo, exec_lo, s0
	s_and_saveexec_b32 s0, vcc_lo
	s_cbranch_execz .LBB307_2118
.LBB307_2159:
	ds_load_b32 v21, v17 offset:64
	s_wait_dscnt 0x0
	v_add_f32_e32 v16, v21, v16
	s_wait_alu 0xfffe
	s_or_b32 exec_lo, exec_lo, s0
	s_and_saveexec_b32 s0, vcc_lo
	s_cbranch_execz .LBB307_2119
.LBB307_2160:
	ds_load_b32 v21, v17 offset:96
	s_wait_dscnt 0x0
	v_add_f32_e32 v15, v21, v15
	s_wait_alu 0xfffe
	s_or_b32 exec_lo, exec_lo, s0
	s_and_saveexec_b32 s0, vcc_lo
	s_cbranch_execz .LBB307_2120
.LBB307_2161:
	ds_load_b32 v21, v17 offset:128
	s_wait_dscnt 0x0
	v_add_f32_e32 v14, v21, v14
	s_wait_alu 0xfffe
	s_or_b32 exec_lo, exec_lo, s0
	s_and_saveexec_b32 s0, vcc_lo
	s_cbranch_execz .LBB307_2121
.LBB307_2162:
	ds_load_b32 v21, v17 offset:160
	s_wait_dscnt 0x0
	v_add_f32_e32 v13, v21, v13
	s_wait_alu 0xfffe
	s_or_b32 exec_lo, exec_lo, s0
	s_and_saveexec_b32 s0, vcc_lo
	s_cbranch_execz .LBB307_2122
.LBB307_2163:
	ds_load_b32 v21, v17 offset:192
	s_wait_dscnt 0x0
	v_add_f32_e32 v11, v21, v11
	s_wait_alu 0xfffe
	s_or_b32 exec_lo, exec_lo, s0
	s_and_saveexec_b32 s0, vcc_lo
	s_cbranch_execz .LBB307_2123
.LBB307_2164:
	ds_load_b32 v21, v17 offset:224
	s_wait_dscnt 0x0
	v_add_f32_e32 v10, v21, v10
	s_wait_alu 0xfffe
	s_or_b32 exec_lo, exec_lo, s0
	s_and_saveexec_b32 s0, vcc_lo
	s_cbranch_execz .LBB307_2124
.LBB307_2165:
	ds_load_b32 v21, v17 offset:256
	s_wait_dscnt 0x0
	v_add_f32_e32 v9, v21, v9
	s_wait_alu 0xfffe
	s_or_b32 exec_lo, exec_lo, s0
	s_and_saveexec_b32 s0, vcc_lo
	s_cbranch_execz .LBB307_2125
.LBB307_2166:
	ds_load_b32 v21, v17 offset:288
	s_wait_dscnt 0x0
	v_add_f32_e32 v8, v21, v8
	s_wait_alu 0xfffe
	s_or_b32 exec_lo, exec_lo, s0
	s_and_saveexec_b32 s0, vcc_lo
	s_cbranch_execz .LBB307_2126
.LBB307_2167:
	ds_load_b32 v21, v17 offset:320
	s_wait_dscnt 0x0
	v_add_f32_e32 v7, v21, v7
	s_wait_alu 0xfffe
	s_or_b32 exec_lo, exec_lo, s0
	s_and_saveexec_b32 s0, vcc_lo
	s_cbranch_execz .LBB307_2127
.LBB307_2168:
	ds_load_b32 v21, v17 offset:352
	s_wait_dscnt 0x0
	v_add_f32_e32 v6, v21, v6
	s_wait_alu 0xfffe
	s_or_b32 exec_lo, exec_lo, s0
	s_and_saveexec_b32 s0, vcc_lo
	s_cbranch_execz .LBB307_2128
.LBB307_2169:
	ds_load_b32 v21, v17 offset:384
	s_wait_dscnt 0x0
	v_add_f32_e32 v3, v21, v3
	s_wait_alu 0xfffe
	s_or_b32 exec_lo, exec_lo, s0
	s_and_saveexec_b32 s0, vcc_lo
	s_cbranch_execz .LBB307_2129
.LBB307_2170:
	ds_load_b32 v21, v17 offset:416
	s_wait_dscnt 0x0
	v_add_f32_e32 v2, v21, v2
	s_wait_alu 0xfffe
	s_or_b32 exec_lo, exec_lo, s0
	s_and_saveexec_b32 s0, vcc_lo
	s_cbranch_execz .LBB307_2130
.LBB307_2171:
	ds_load_b32 v21, v17 offset:448
	s_wait_dscnt 0x0
	v_add_f32_e32 v1, v21, v1
	s_wait_alu 0xfffe
	s_or_b32 exec_lo, exec_lo, s0
	s_and_saveexec_b32 s0, vcc_lo
	s_cbranch_execnz .LBB307_2131
	s_branch .LBB307_2132
.LBB307_2172:
	ds_load_b32 v20, v17
	s_wait_dscnt 0x0
	v_add_f32_e32 v19, v20, v19
	s_wait_alu 0xfffe
	s_or_b32 exec_lo, exec_lo, s0
	s_and_saveexec_b32 s0, vcc_lo
	s_cbranch_execz .LBB307_2138
.LBB307_2173:
	ds_load_b32 v20, v17 offset:32
	s_wait_dscnt 0x0
	v_add_f32_e32 v18, v20, v18
	s_wait_alu 0xfffe
	s_or_b32 exec_lo, exec_lo, s0
	s_and_saveexec_b32 s0, vcc_lo
	s_cbranch_execz .LBB307_2139
.LBB307_2174:
	ds_load_b32 v20, v17 offset:64
	s_wait_dscnt 0x0
	v_add_f32_e32 v16, v20, v16
	s_wait_alu 0xfffe
	s_or_b32 exec_lo, exec_lo, s0
	s_and_saveexec_b32 s0, vcc_lo
	s_cbranch_execz .LBB307_2140
.LBB307_2175:
	ds_load_b32 v20, v17 offset:96
	s_wait_dscnt 0x0
	v_add_f32_e32 v15, v20, v15
	s_wait_alu 0xfffe
	s_or_b32 exec_lo, exec_lo, s0
	s_and_saveexec_b32 s0, vcc_lo
	s_cbranch_execz .LBB307_2141
.LBB307_2176:
	ds_load_b32 v20, v17 offset:128
	s_wait_dscnt 0x0
	v_add_f32_e32 v14, v20, v14
	s_wait_alu 0xfffe
	s_or_b32 exec_lo, exec_lo, s0
	s_and_saveexec_b32 s0, vcc_lo
	s_cbranch_execz .LBB307_2142
.LBB307_2177:
	ds_load_b32 v20, v17 offset:160
	s_wait_dscnt 0x0
	v_add_f32_e32 v13, v20, v13
	s_wait_alu 0xfffe
	s_or_b32 exec_lo, exec_lo, s0
	s_and_saveexec_b32 s0, vcc_lo
	s_cbranch_execz .LBB307_2143
.LBB307_2178:
	ds_load_b32 v20, v17 offset:192
	s_wait_dscnt 0x0
	v_add_f32_e32 v11, v20, v11
	s_wait_alu 0xfffe
	s_or_b32 exec_lo, exec_lo, s0
	s_and_saveexec_b32 s0, vcc_lo
	s_cbranch_execz .LBB307_2144
.LBB307_2179:
	ds_load_b32 v20, v17 offset:224
	s_wait_dscnt 0x0
	v_add_f32_e32 v10, v20, v10
	s_wait_alu 0xfffe
	s_or_b32 exec_lo, exec_lo, s0
	s_and_saveexec_b32 s0, vcc_lo
	s_cbranch_execz .LBB307_2145
.LBB307_2180:
	ds_load_b32 v20, v17 offset:256
	s_wait_dscnt 0x0
	v_add_f32_e32 v9, v20, v9
	s_wait_alu 0xfffe
	s_or_b32 exec_lo, exec_lo, s0
	s_and_saveexec_b32 s0, vcc_lo
	s_cbranch_execz .LBB307_2146
.LBB307_2181:
	ds_load_b32 v20, v17 offset:288
	s_wait_dscnt 0x0
	v_add_f32_e32 v8, v20, v8
	s_wait_alu 0xfffe
	s_or_b32 exec_lo, exec_lo, s0
	s_and_saveexec_b32 s0, vcc_lo
	s_cbranch_execz .LBB307_2147
.LBB307_2182:
	ds_load_b32 v20, v17 offset:320
	s_wait_dscnt 0x0
	v_add_f32_e32 v7, v20, v7
	s_wait_alu 0xfffe
	s_or_b32 exec_lo, exec_lo, s0
	s_and_saveexec_b32 s0, vcc_lo
	s_cbranch_execz .LBB307_2148
.LBB307_2183:
	ds_load_b32 v20, v17 offset:352
	s_wait_dscnt 0x0
	v_add_f32_e32 v6, v20, v6
	s_wait_alu 0xfffe
	s_or_b32 exec_lo, exec_lo, s0
	s_and_saveexec_b32 s0, vcc_lo
	s_cbranch_execz .LBB307_2149
.LBB307_2184:
	ds_load_b32 v20, v17 offset:384
	s_wait_dscnt 0x0
	v_add_f32_e32 v3, v20, v3
	s_wait_alu 0xfffe
	s_or_b32 exec_lo, exec_lo, s0
	s_and_saveexec_b32 s0, vcc_lo
	s_cbranch_execz .LBB307_2150
.LBB307_2185:
	ds_load_b32 v20, v17 offset:416
	s_wait_dscnt 0x0
	v_add_f32_e32 v2, v20, v2
	s_wait_alu 0xfffe
	s_or_b32 exec_lo, exec_lo, s0
	s_and_saveexec_b32 s0, vcc_lo
	s_cbranch_execz .LBB307_2151
.LBB307_2186:
	ds_load_b32 v20, v17 offset:448
	s_wait_dscnt 0x0
	v_add_f32_e32 v1, v20, v1
	s_wait_alu 0xfffe
	s_or_b32 exec_lo, exec_lo, s0
	s_and_saveexec_b32 s0, vcc_lo
	s_cbranch_execnz .LBB307_2152
	s_branch .LBB307_2153
.Lfunc_end307:
	.size	_ZN4vllm22paged_attention_kernelIthLi128ELi32ELi128ELNS_18Fp8KVCacheDataTypeE1ELb0ELi512EEEvPfS2_PT_PKS3_PKT0_S9_ifPKiSB_iPKfiiiSD_SD_iiiii, .Lfunc_end307-_ZN4vllm22paged_attention_kernelIthLi128ELi32ELi128ELNS_18Fp8KVCacheDataTypeE1ELb0ELi512EEEvPfS2_PT_PKS3_PKT0_S9_ifPKiSB_iPKfiiiSD_SD_iiiii
                                        ; -- End function
	.set .L_ZN4vllm22paged_attention_kernelIthLi128ELi32ELi128ELNS_18Fp8KVCacheDataTypeE1ELb0ELi512EEEvPfS2_PT_PKS3_PKT0_S9_ifPKiSB_iPKfiiiSD_SD_iiiii.num_vgpr, 184
	.set .L_ZN4vllm22paged_attention_kernelIthLi128ELi32ELi128ELNS_18Fp8KVCacheDataTypeE1ELb0ELi512EEEvPfS2_PT_PKS3_PKT0_S9_ifPKiSB_iPKfiiiSD_SD_iiiii.num_agpr, 0
	.set .L_ZN4vllm22paged_attention_kernelIthLi128ELi32ELi128ELNS_18Fp8KVCacheDataTypeE1ELb0ELi512EEEvPfS2_PT_PKS3_PKT0_S9_ifPKiSB_iPKfiiiSD_SD_iiiii.numbered_sgpr, 33
	.set .L_ZN4vllm22paged_attention_kernelIthLi128ELi32ELi128ELNS_18Fp8KVCacheDataTypeE1ELb0ELi512EEEvPfS2_PT_PKS3_PKT0_S9_ifPKiSB_iPKfiiiSD_SD_iiiii.num_named_barrier, 0
	.set .L_ZN4vllm22paged_attention_kernelIthLi128ELi32ELi128ELNS_18Fp8KVCacheDataTypeE1ELb0ELi512EEEvPfS2_PT_PKS3_PKT0_S9_ifPKiSB_iPKfiiiSD_SD_iiiii.private_seg_size, 288
	.set .L_ZN4vllm22paged_attention_kernelIthLi128ELi32ELi128ELNS_18Fp8KVCacheDataTypeE1ELb0ELi512EEEvPfS2_PT_PKS3_PKT0_S9_ifPKiSB_iPKfiiiSD_SD_iiiii.uses_vcc, 1
	.set .L_ZN4vllm22paged_attention_kernelIthLi128ELi32ELi128ELNS_18Fp8KVCacheDataTypeE1ELb0ELi512EEEvPfS2_PT_PKS3_PKT0_S9_ifPKiSB_iPKfiiiSD_SD_iiiii.uses_flat_scratch, 1
	.set .L_ZN4vllm22paged_attention_kernelIthLi128ELi32ELi128ELNS_18Fp8KVCacheDataTypeE1ELb0ELi512EEEvPfS2_PT_PKS3_PKT0_S9_ifPKiSB_iPKfiiiSD_SD_iiiii.has_dyn_sized_stack, 0
	.set .L_ZN4vllm22paged_attention_kernelIthLi128ELi32ELi128ELNS_18Fp8KVCacheDataTypeE1ELb0ELi512EEEvPfS2_PT_PKS3_PKT0_S9_ifPKiSB_iPKfiiiSD_SD_iiiii.has_recursion, 0
	.set .L_ZN4vllm22paged_attention_kernelIthLi128ELi32ELi128ELNS_18Fp8KVCacheDataTypeE1ELb0ELi512EEEvPfS2_PT_PKS3_PKT0_S9_ifPKiSB_iPKfiiiSD_SD_iiiii.has_indirect_call, 0
	.section	.AMDGPU.csdata,"",@progbits
; Function info:
; codeLenInByte = 84428
; TotalNumSgprs: 35
; NumVgprs: 184
; ScratchSize: 288
; MemoryBound: 0
	.section	.text._ZN4vllm25paged_attention_v2_kernelIthLi128ELi32ELi128ELNS_18Fp8KVCacheDataTypeE1ELb0ELi512EEEvPfS2_PT_PKS3_PKT0_S9_ifPKiSB_iPKfiiiSD_SD_iiiii,"axG",@progbits,_ZN4vllm25paged_attention_v2_kernelIthLi128ELi32ELi128ELNS_18Fp8KVCacheDataTypeE1ELb0ELi512EEEvPfS2_PT_PKS3_PKT0_S9_ifPKiSB_iPKfiiiSD_SD_iiiii,comdat
	.protected	_ZN4vllm25paged_attention_v2_kernelIthLi128ELi32ELi128ELNS_18Fp8KVCacheDataTypeE1ELb0ELi512EEEvPfS2_PT_PKS3_PKT0_S9_ifPKiSB_iPKfiiiSD_SD_iiiii ; -- Begin function _ZN4vllm25paged_attention_v2_kernelIthLi128ELi32ELi128ELNS_18Fp8KVCacheDataTypeE1ELb0ELi512EEEvPfS2_PT_PKS3_PKT0_S9_ifPKiSB_iPKfiiiSD_SD_iiiii
	.globl	_ZN4vllm25paged_attention_v2_kernelIthLi128ELi32ELi128ELNS_18Fp8KVCacheDataTypeE1ELb0ELi512EEEvPfS2_PT_PKS3_PKT0_S9_ifPKiSB_iPKfiiiSD_SD_iiiii
	.p2align	8
	.type	_ZN4vllm25paged_attention_v2_kernelIthLi128ELi32ELi128ELNS_18Fp8KVCacheDataTypeE1ELb0ELi512EEEvPfS2_PT_PKS3_PKT0_S9_ifPKiSB_iPKfiiiSD_SD_iiiii,@function
_ZN4vllm25paged_attention_v2_kernelIthLi128ELi32ELi128ELNS_18Fp8KVCacheDataTypeE1ELb0ELi512EEEvPfS2_PT_PKS3_PKT0_S9_ifPKiSB_iPKfiiiSD_SD_iiiii: ; @_ZN4vllm25paged_attention_v2_kernelIthLi128ELi32ELi128ELNS_18Fp8KVCacheDataTypeE1ELb0ELi512EEEvPfS2_PT_PKS3_PKT0_S9_ifPKiSB_iPKfiiiSD_SD_iiiii
; %bb.0:
	s_clause 0x5
	s_load_b256 s[20:27], s[0:1], 0x0
	s_load_b256 s[12:19], s[0:1], 0x20
	s_load_b96 s[28:30], s[0:1], 0x40
	s_load_b64 s[10:11], s[0:1], 0x50
	s_load_b96 s[36:38], s[0:1], 0x58
	s_load_b128 s[4:7], s[0:1], 0x68
	v_mov_b32_e32 v31, v0
	s_getpc_b64 s[2:3]
	s_sext_i32_i16 s3, s3
	s_add_co_u32 s2, s2, _ZN4vllm22paged_attention_kernelIthLi128ELi32ELi128ELNS_18Fp8KVCacheDataTypeE1ELb0ELi512EEEvPfS2_PT_PKS3_PKT0_S9_ifPKiSB_iPKfiiiSD_SD_iiiii@rel32@lo+8
	s_add_co_ci_u32 s3, s3, _ZN4vllm22paged_attention_kernelIthLi128ELi32ELi128ELNS_18Fp8KVCacheDataTypeE1ELb0ELi512EEEvPfS2_PT_PKS3_PKT0_S9_ifPKiSB_iPKfiiiSD_SD_iiiii@rel32@hi+16
	s_add_nc_u64 s[8:9], s[0:1], 0x90
	s_mov_b32 s32, 0
	s_wait_kmcnt 0x0
	v_dual_mov_b32 v17, s29 :: v_dual_mov_b32 v18, s30
	v_dual_mov_b32 v0, s20 :: v_dual_mov_b32 v1, s21
	v_dual_mov_b32 v2, s22 :: v_dual_mov_b32 v3, s23
	v_dual_mov_b32 v4, s24 :: v_dual_mov_b32 v5, s25
	v_dual_mov_b32 v6, s26 :: v_dual_mov_b32 v7, s27
	v_dual_mov_b32 v8, s12 :: v_dual_mov_b32 v9, s13
	v_dual_mov_b32 v10, s14 :: v_dual_mov_b32 v11, s15
	v_dual_mov_b32 v12, s16 :: v_dual_mov_b32 v13, s17
	v_dual_mov_b32 v14, s18 :: v_dual_mov_b32 v15, s19
	v_dual_mov_b32 v16, s28 :: v_dual_mov_b32 v19, s10
	v_dual_mov_b32 v20, s11 :: v_dual_mov_b32 v21, s36
	v_dual_mov_b32 v22, s37 :: v_dual_mov_b32 v23, s38
	v_dual_mov_b32 v24, s4 :: v_dual_mov_b32 v25, s5
	v_dual_mov_b32 v26, s6 :: v_dual_mov_b32 v27, s7
	s_mov_b32 s15, 4
	s_wait_alu 0xfffe
	s_swappc_b64 s[30:31], s[2:3]
	s_endpgm
	.section	.rodata,"a",@progbits
	.p2align	6, 0x0
	.amdhsa_kernel _ZN4vllm25paged_attention_v2_kernelIthLi128ELi32ELi128ELNS_18Fp8KVCacheDataTypeE1ELb0ELi512EEEvPfS2_PT_PKS3_PKT0_S9_ifPKiSB_iPKfiiiSD_SD_iiiii
		.amdhsa_group_segment_fixed_size 288
		.amdhsa_private_segment_fixed_size 288
		.amdhsa_kernarg_size 400
		.amdhsa_user_sgpr_count 2
		.amdhsa_user_sgpr_dispatch_ptr 0
		.amdhsa_user_sgpr_queue_ptr 0
		.amdhsa_user_sgpr_kernarg_segment_ptr 1
		.amdhsa_user_sgpr_dispatch_id 0
		.amdhsa_user_sgpr_private_segment_size 0
		.amdhsa_wavefront_size32 1
		.amdhsa_uses_dynamic_stack 0
		.amdhsa_enable_private_segment 1
		.amdhsa_system_sgpr_workgroup_id_x 1
		.amdhsa_system_sgpr_workgroup_id_y 1
		.amdhsa_system_sgpr_workgroup_id_z 1
		.amdhsa_system_sgpr_workgroup_info 0
		.amdhsa_system_vgpr_workitem_id 0
		.amdhsa_next_free_vgpr 184
		.amdhsa_next_free_sgpr 39
		.amdhsa_reserve_vcc 1
		.amdhsa_float_round_mode_32 0
		.amdhsa_float_round_mode_16_64 0
		.amdhsa_float_denorm_mode_32 3
		.amdhsa_float_denorm_mode_16_64 3
		.amdhsa_fp16_overflow 0
		.amdhsa_workgroup_processor_mode 1
		.amdhsa_memory_ordered 1
		.amdhsa_forward_progress 1
		.amdhsa_inst_pref_size 2
		.amdhsa_round_robin_scheduling 0
		.amdhsa_exception_fp_ieee_invalid_op 0
		.amdhsa_exception_fp_denorm_src 0
		.amdhsa_exception_fp_ieee_div_zero 0
		.amdhsa_exception_fp_ieee_overflow 0
		.amdhsa_exception_fp_ieee_underflow 0
		.amdhsa_exception_fp_ieee_inexact 0
		.amdhsa_exception_int_div_zero 0
	.end_amdhsa_kernel
	.section	.text._ZN4vllm25paged_attention_v2_kernelIthLi128ELi32ELi128ELNS_18Fp8KVCacheDataTypeE1ELb0ELi512EEEvPfS2_PT_PKS3_PKT0_S9_ifPKiSB_iPKfiiiSD_SD_iiiii,"axG",@progbits,_ZN4vllm25paged_attention_v2_kernelIthLi128ELi32ELi128ELNS_18Fp8KVCacheDataTypeE1ELb0ELi512EEEvPfS2_PT_PKS3_PKT0_S9_ifPKiSB_iPKfiiiSD_SD_iiiii,comdat
.Lfunc_end308:
	.size	_ZN4vllm25paged_attention_v2_kernelIthLi128ELi32ELi128ELNS_18Fp8KVCacheDataTypeE1ELb0ELi512EEEvPfS2_PT_PKS3_PKT0_S9_ifPKiSB_iPKfiiiSD_SD_iiiii, .Lfunc_end308-_ZN4vllm25paged_attention_v2_kernelIthLi128ELi32ELi128ELNS_18Fp8KVCacheDataTypeE1ELb0ELi512EEEvPfS2_PT_PKS3_PKT0_S9_ifPKiSB_iPKfiiiSD_SD_iiiii
                                        ; -- End function
	.set _ZN4vllm25paged_attention_v2_kernelIthLi128ELi32ELi128ELNS_18Fp8KVCacheDataTypeE1ELb0ELi512EEEvPfS2_PT_PKS3_PKT0_S9_ifPKiSB_iPKfiiiSD_SD_iiiii.num_vgpr, max(32, .L_ZN4vllm22paged_attention_kernelIthLi128ELi32ELi128ELNS_18Fp8KVCacheDataTypeE1ELb0ELi512EEEvPfS2_PT_PKS3_PKT0_S9_ifPKiSB_iPKfiiiSD_SD_iiiii.num_vgpr)
	.set _ZN4vllm25paged_attention_v2_kernelIthLi128ELi32ELi128ELNS_18Fp8KVCacheDataTypeE1ELb0ELi512EEEvPfS2_PT_PKS3_PKT0_S9_ifPKiSB_iPKfiiiSD_SD_iiiii.num_agpr, max(0, .L_ZN4vllm22paged_attention_kernelIthLi128ELi32ELi128ELNS_18Fp8KVCacheDataTypeE1ELb0ELi512EEEvPfS2_PT_PKS3_PKT0_S9_ifPKiSB_iPKfiiiSD_SD_iiiii.num_agpr)
	.set _ZN4vllm25paged_attention_v2_kernelIthLi128ELi32ELi128ELNS_18Fp8KVCacheDataTypeE1ELb0ELi512EEEvPfS2_PT_PKS3_PKT0_S9_ifPKiSB_iPKfiiiSD_SD_iiiii.numbered_sgpr, max(39, .L_ZN4vllm22paged_attention_kernelIthLi128ELi32ELi128ELNS_18Fp8KVCacheDataTypeE1ELb0ELi512EEEvPfS2_PT_PKS3_PKT0_S9_ifPKiSB_iPKfiiiSD_SD_iiiii.numbered_sgpr)
	.set _ZN4vllm25paged_attention_v2_kernelIthLi128ELi32ELi128ELNS_18Fp8KVCacheDataTypeE1ELb0ELi512EEEvPfS2_PT_PKS3_PKT0_S9_ifPKiSB_iPKfiiiSD_SD_iiiii.num_named_barrier, max(0, .L_ZN4vllm22paged_attention_kernelIthLi128ELi32ELi128ELNS_18Fp8KVCacheDataTypeE1ELb0ELi512EEEvPfS2_PT_PKS3_PKT0_S9_ifPKiSB_iPKfiiiSD_SD_iiiii.num_named_barrier)
	.set _ZN4vllm25paged_attention_v2_kernelIthLi128ELi32ELi128ELNS_18Fp8KVCacheDataTypeE1ELb0ELi512EEEvPfS2_PT_PKS3_PKT0_S9_ifPKiSB_iPKfiiiSD_SD_iiiii.private_seg_size, 0+max(.L_ZN4vllm22paged_attention_kernelIthLi128ELi32ELi128ELNS_18Fp8KVCacheDataTypeE1ELb0ELi512EEEvPfS2_PT_PKS3_PKT0_S9_ifPKiSB_iPKfiiiSD_SD_iiiii.private_seg_size)
	.set _ZN4vllm25paged_attention_v2_kernelIthLi128ELi32ELi128ELNS_18Fp8KVCacheDataTypeE1ELb0ELi512EEEvPfS2_PT_PKS3_PKT0_S9_ifPKiSB_iPKfiiiSD_SD_iiiii.uses_vcc, or(1, .L_ZN4vllm22paged_attention_kernelIthLi128ELi32ELi128ELNS_18Fp8KVCacheDataTypeE1ELb0ELi512EEEvPfS2_PT_PKS3_PKT0_S9_ifPKiSB_iPKfiiiSD_SD_iiiii.uses_vcc)
	.set _ZN4vllm25paged_attention_v2_kernelIthLi128ELi32ELi128ELNS_18Fp8KVCacheDataTypeE1ELb0ELi512EEEvPfS2_PT_PKS3_PKT0_S9_ifPKiSB_iPKfiiiSD_SD_iiiii.uses_flat_scratch, or(0, .L_ZN4vllm22paged_attention_kernelIthLi128ELi32ELi128ELNS_18Fp8KVCacheDataTypeE1ELb0ELi512EEEvPfS2_PT_PKS3_PKT0_S9_ifPKiSB_iPKfiiiSD_SD_iiiii.uses_flat_scratch)
	.set _ZN4vllm25paged_attention_v2_kernelIthLi128ELi32ELi128ELNS_18Fp8KVCacheDataTypeE1ELb0ELi512EEEvPfS2_PT_PKS3_PKT0_S9_ifPKiSB_iPKfiiiSD_SD_iiiii.has_dyn_sized_stack, or(0, .L_ZN4vllm22paged_attention_kernelIthLi128ELi32ELi128ELNS_18Fp8KVCacheDataTypeE1ELb0ELi512EEEvPfS2_PT_PKS3_PKT0_S9_ifPKiSB_iPKfiiiSD_SD_iiiii.has_dyn_sized_stack)
	.set _ZN4vllm25paged_attention_v2_kernelIthLi128ELi32ELi128ELNS_18Fp8KVCacheDataTypeE1ELb0ELi512EEEvPfS2_PT_PKS3_PKT0_S9_ifPKiSB_iPKfiiiSD_SD_iiiii.has_recursion, or(0, .L_ZN4vllm22paged_attention_kernelIthLi128ELi32ELi128ELNS_18Fp8KVCacheDataTypeE1ELb0ELi512EEEvPfS2_PT_PKS3_PKT0_S9_ifPKiSB_iPKfiiiSD_SD_iiiii.has_recursion)
	.set _ZN4vllm25paged_attention_v2_kernelIthLi128ELi32ELi128ELNS_18Fp8KVCacheDataTypeE1ELb0ELi512EEEvPfS2_PT_PKS3_PKT0_S9_ifPKiSB_iPKfiiiSD_SD_iiiii.has_indirect_call, or(0, .L_ZN4vllm22paged_attention_kernelIthLi128ELi32ELi128ELNS_18Fp8KVCacheDataTypeE1ELb0ELi512EEEvPfS2_PT_PKS3_PKT0_S9_ifPKiSB_iPKfiiiSD_SD_iiiii.has_indirect_call)
	.section	.AMDGPU.csdata,"",@progbits
; Kernel info:
; codeLenInByte = 224
; TotalNumSgprs: 41
; NumVgprs: 184
; ScratchSize: 288
; MemoryBound: 0
; FloatMode: 240
; IeeeMode: 1
; LDSByteSize: 288 bytes/workgroup (compile time only)
; SGPRBlocks: 0
; VGPRBlocks: 22
; NumSGPRsForWavesPerEU: 41
; NumVGPRsForWavesPerEU: 184
; Occupancy: 8
; WaveLimiterHint : 1
; COMPUTE_PGM_RSRC2:SCRATCH_EN: 1
; COMPUTE_PGM_RSRC2:USER_SGPR: 2
; COMPUTE_PGM_RSRC2:TRAP_HANDLER: 0
; COMPUTE_PGM_RSRC2:TGID_X_EN: 1
; COMPUTE_PGM_RSRC2:TGID_Y_EN: 1
; COMPUTE_PGM_RSRC2:TGID_Z_EN: 1
; COMPUTE_PGM_RSRC2:TIDIG_COMP_CNT: 0
	.text
	.p2align	2                               ; -- Begin function _ZN4vllm22paged_attention_kernelIthLi192ELi32ELi128ELNS_18Fp8KVCacheDataTypeE1ELb0ELi512EEEvPfS2_PT_PKS3_PKT0_S9_ifPKiSB_iPKfiiiSD_SD_iiiii
	.type	_ZN4vllm22paged_attention_kernelIthLi192ELi32ELi128ELNS_18Fp8KVCacheDataTypeE1ELb0ELi512EEEvPfS2_PT_PKS3_PKT0_S9_ifPKiSB_iPKfiiiSD_SD_iiiii,@function
_ZN4vllm22paged_attention_kernelIthLi192ELi32ELi128ELNS_18Fp8KVCacheDataTypeE1ELb0ELi512EEEvPfS2_PT_PKS3_PKT0_S9_ifPKiSB_iPKfiiiSD_SD_iiiii: ; @_ZN4vllm22paged_attention_kernelIthLi192ELi32ELi128ELNS_18Fp8KVCacheDataTypeE1ELb0ELi512EEEvPfS2_PT_PKS3_PKT0_S9_ifPKiSB_iPKfiiiSD_SD_iiiii
; %bb.0:
	s_wait_loadcnt_dscnt 0x0
	s_wait_expcnt 0x0
	s_wait_samplecnt 0x0
	s_wait_bvhcnt 0x0
	s_wait_kmcnt 0x0
	s_and_b32 s13, ttmp7, 0xffff
	s_clause 0x1f
	scratch_store_b32 off, v40, s32 offset:316
	; meta instruction
	scratch_store_b32 off, v41, s32 offset:312
	; meta instruction
	;; [unrolled: 2-line block ×31, first 2 shown]
	scratch_store_b32 off, v95, s32 offset:192
	s_clause 0x1f
	scratch_store_b32 off, v104, s32 offset:188
	; meta instruction
	scratch_store_b32 off, v105, s32 offset:184
	; meta instruction
	scratch_store_b32 off, v106, s32 offset:180
	; meta instruction
	scratch_store_b32 off, v107, s32 offset:176
	; meta instruction
	scratch_store_b32 off, v108, s32 offset:172
	; meta instruction
	scratch_store_b32 off, v109, s32 offset:168
	; meta instruction
	scratch_store_b32 off, v110, s32 offset:164
	; meta instruction
	scratch_store_b32 off, v111, s32 offset:160
	; meta instruction
	scratch_store_b32 off, v120, s32 offset:156
	; meta instruction
	scratch_store_b32 off, v121, s32 offset:152
	; meta instruction
	scratch_store_b32 off, v122, s32 offset:148
	; meta instruction
	scratch_store_b32 off, v123, s32 offset:144
	; meta instruction
	scratch_store_b32 off, v124, s32 offset:140
	; meta instruction
	scratch_store_b32 off, v125, s32 offset:136
	; meta instruction
	scratch_store_b32 off, v126, s32 offset:132
	; meta instruction
	scratch_store_b32 off, v127, s32 offset:128
	; meta instruction
	scratch_store_b32 off, v136, s32 offset:124
	; meta instruction
	scratch_store_b32 off, v137, s32 offset:120
	; meta instruction
	scratch_store_b32 off, v138, s32 offset:116
	; meta instruction
	scratch_store_b32 off, v139, s32 offset:112
	; meta instruction
	scratch_store_b32 off, v140, s32 offset:108
	; meta instruction
	scratch_store_b32 off, v141, s32 offset:104
	; meta instruction
	scratch_store_b32 off, v142, s32 offset:100
	; meta instruction
	scratch_store_b32 off, v143, s32 offset:96
	; meta instruction
	scratch_store_b32 off, v152, s32 offset:92
	; meta instruction
	scratch_store_b32 off, v153, s32 offset:88
	; meta instruction
	scratch_store_b32 off, v154, s32 offset:84
	; meta instruction
	scratch_store_b32 off, v155, s32 offset:80
	; meta instruction
	scratch_store_b32 off, v156, s32 offset:76
	; meta instruction
	scratch_store_b32 off, v157, s32 offset:72
	; meta instruction
	scratch_store_b32 off, v158, s32 offset:68
	; meta instruction
	scratch_store_b32 off, v159, s32 offset:64
	s_clause 0x10
	scratch_store_b32 off, v168, s32 offset:60
	; meta instruction
	scratch_store_b32 off, v169, s32 offset:56
	; meta instruction
	scratch_store_b32 off, v170, s32 offset:52
	; meta instruction
	scratch_store_b32 off, v171, s32 offset:48
	; meta instruction
	scratch_store_b32 off, v172, s32 offset:44
	; meta instruction
	scratch_store_b32 off, v173, s32 offset:40
	; meta instruction
	scratch_store_b32 off, v174, s32 offset:36
	; meta instruction
	scratch_store_b32 off, v175, s32 offset:32
	; meta instruction
	scratch_store_b32 off, v184, s32 offset:28
	; meta instruction
	scratch_store_b32 off, v185, s32 offset:24
	; meta instruction
	scratch_store_b32 off, v186, s32 offset:20
	; meta instruction
	scratch_store_b32 off, v187, s32 offset:16
	; meta instruction
	scratch_store_b32 off, v188, s32 offset:12
	; meta instruction
	scratch_store_b32 off, v189, s32 offset:8
	; meta instruction
	scratch_store_b32 off, v190, s32 offset:4
	; meta instruction
	scratch_store_b32 off, v191, s32
	; meta instruction
	scratch_store_b64 off, v[24:25], s32 offset:500
	s_wait_alu 0xfffe
	s_lshl_b32 s0, s13, 2
	v_mov_b32_e32 v24, v0
	s_wait_alu 0xfffe
	v_add_co_u32 v0, vcc_lo, v16, s0
	v_dual_mov_b32 v42, v22 :: v_dual_mov_b32 v183, v4
	v_mov_b32_e32 v22, v1
	s_wait_alu 0xfffd
	v_add_co_ci_u32_e64 v1, null, 0, v17, vcc_lo
	v_dual_mov_b32 v182, v5 :: v_dual_mov_b32 v25, v3
	v_mov_b32_e32 v28, v2
	flat_load_b32 v33, v[0:1]
	s_lshr_b32 s11, ttmp7, 16
	s_mov_b32 s10, exec_lo
	s_wait_alu 0xfffe
	s_lshl_b32 s12, s11, 9
	scratch_store_b32 off, v13, s32 offset:508 ; 4-byte Folded Spill
	s_wait_loadcnt_dscnt 0x0
	s_wait_alu 0xfffe
	v_cmpx_lt_i32_e64 s12, v33
	s_cbranch_execz .LBB309_3212
; %bb.1:
	v_dual_mov_b32 v1, 0 :: v_dual_mov_b32 v0, 0
	s_clause 0x1
	s_load_u16 s0, s[8:9], 0x12
	s_load_b32 s1, s[8:9], 0x0
	s_mov_b32 s6, s15
	global_load_u16 v2, v1, s[8:9] offset:22
	scratch_store_b32 off, v0, s32 offset:512 ; 4-byte Folded Spill
	v_sub_nc_u32_e32 v0, 0, v12
	s_delay_alu instid0(VALU_DEP_1) | instskip(NEXT) | instid1(VALU_DEP_1)
	v_max_i32_e32 v0, v12, v0
	v_cvt_f32_u32_e32 v1, v0
	v_sub_nc_u32_e32 v3, 0, v0
	s_delay_alu instid0(VALU_DEP_2)
	v_rcp_iflag_f32_e32 v1, v1
	s_wait_kmcnt 0x0
	s_cmp_lg_u32 s0, 0
	s_cselect_b32 s0, -1, 0
	s_wait_alu 0xfffe
	s_cmp_lg_u32 s0, 0
	s_add_co_ci_u32 s14, s1, 0
	s_mov_b32 s1, exec_lo
	s_wait_alu 0xfffe
	s_abs_i32 s0, s14
	v_mul_f32_e32 v1, 0x4f7ffffe, v1
	s_delay_alu instid0(VALU_DEP_1) | instskip(NEXT) | instid1(VALU_DEP_1)
	v_cvt_u32_f32_e32 v1, v1
	v_mul_lo_u32 v3, v3, v1
	s_delay_alu instid0(VALU_DEP_1) | instskip(NEXT) | instid1(VALU_DEP_1)
	v_mul_hi_u32 v3, v1, v3
	v_add_nc_u32_e32 v1, v1, v3
	s_wait_alu 0xfffe
	s_delay_alu instid0(VALU_DEP_1) | instskip(NEXT) | instid1(VALU_DEP_1)
	v_mul_hi_u32 v1, s0, v1
	v_mul_lo_u32 v3, v1, v0
	v_add_nc_u32_e32 v4, 1, v1
	s_delay_alu instid0(VALU_DEP_2) | instskip(SKIP_1) | instid1(VALU_DEP_1)
	v_sub_nc_u32_e32 v3, s0, v3
	s_abs_i32 s0, ttmp9
	v_sub_nc_u32_e32 v5, v3, v0
	v_cmp_ge_u32_e32 vcc_lo, v3, v0
	s_wait_alu 0xfffd
	v_cndmask_b32_e32 v1, v1, v4, vcc_lo
	s_delay_alu instid0(VALU_DEP_3) | instskip(SKIP_1) | instid1(VALU_DEP_3)
	v_cndmask_b32_e32 v3, v3, v5, vcc_lo
	v_xor_b32_e32 v4, s14, v12
	v_add_nc_u32_e32 v5, 1, v1
	s_delay_alu instid0(VALU_DEP_3) | instskip(NEXT) | instid1(VALU_DEP_3)
	v_cmp_ge_u32_e32 vcc_lo, v3, v0
	v_ashrrev_i32_e32 v4, 31, v4
	s_wait_alu 0xfffd
	s_delay_alu instid0(VALU_DEP_3) | instskip(NEXT) | instid1(VALU_DEP_1)
	v_cndmask_b32_e32 v0, v1, v5, vcc_lo
	v_xor_b32_e32 v0, v0, v4
	s_delay_alu instid0(VALU_DEP_1) | instskip(NEXT) | instid1(VALU_DEP_1)
	v_sub_nc_u32_e32 v1, v0, v4
	v_sub_nc_u32_e32 v0, 0, v1
	s_delay_alu instid0(VALU_DEP_1) | instskip(NEXT) | instid1(VALU_DEP_1)
	v_max_i32_e32 v0, v1, v0
	v_cvt_f32_u32_e32 v3, v0
	v_sub_nc_u32_e32 v4, 0, v0
	s_delay_alu instid0(VALU_DEP_2) | instskip(NEXT) | instid1(TRANS32_DEP_1)
	v_rcp_iflag_f32_e32 v3, v3
	v_mul_f32_e32 v3, 0x4f7ffffe, v3
	s_delay_alu instid0(VALU_DEP_1) | instskip(NEXT) | instid1(VALU_DEP_1)
	v_cvt_u32_f32_e32 v3, v3
	v_mul_lo_u32 v4, v4, v3
	s_delay_alu instid0(VALU_DEP_1) | instskip(NEXT) | instid1(VALU_DEP_1)
	v_mul_hi_u32 v4, v3, v4
	v_add_nc_u32_e32 v3, v3, v4
	s_wait_alu 0xfffe
	s_delay_alu instid0(VALU_DEP_1)
	v_mad_co_u64_u32 v[16:17], null, s0, v3, 0
	s_wait_loadcnt 0x0
	v_readfirstlane_b32 s15, v2
	v_cmpx_ne_u64_e32 0, v[19:20]
	s_cbranch_execz .LBB309_3
; %bb.2:
	s_mov_b32 s2, ttmp9
	s_ashr_i32 s3, ttmp9, 31
	s_wait_alu 0xfffe
	s_lshl_b64 s[2:3], s[2:3], 2
	s_wait_alu 0xfffe
	v_add_co_u32 v2, vcc_lo, v19, s2
	s_wait_alu 0xfffd
	v_add_co_ci_u32_e64 v3, null, s3, v20, vcc_lo
	flat_load_b32 v2, v[2:3]
	s_wait_loadcnt_dscnt 0x0
	scratch_store_b32 off, v2, s32 offset:512 ; 4-byte Folded Spill
.LBB309_3:
	s_or_b32 exec_lo, exec_lo, s1
	v_and_b32_e32 v40, 0x3ff, v31
	v_ashrrev_i32_e32 v1, 31, v1
	s_ashr_i32 s1, ttmp9, 31
	s_mul_i32 s4, ttmp9, 0xc0
	s_mov_b32 s2, exec_lo
	v_cmpx_gt_u32_e32 24, v40
	s_cbranch_execz .LBB309_5
; %bb.4:
	v_mul_lo_u32 v2, v21, s13
	s_wait_alu 0xfffe
	s_ashr_i32 s5, s4, 31
	v_lshlrev_b32_e32 v12, 4, v40
	s_wait_alu 0xfffe
	s_lshl_b64 s[16:17], s[4:5], 1
	s_delay_alu instid0(VALU_DEP_2) | instskip(NEXT) | instid1(VALU_DEP_1)
	v_ashrrev_i32_e32 v3, 31, v2
	v_lshlrev_b64_e32 v[2:3], 1, v[2:3]
	s_delay_alu instid0(VALU_DEP_1) | instskip(SKIP_1) | instid1(VALU_DEP_2)
	v_add_co_u32 v2, vcc_lo, v6, v2
	s_wait_alu 0xfffd
	v_add_co_ci_u32_e64 v3, null, v7, v3, vcc_lo
	s_wait_alu 0xfffe
	s_delay_alu instid0(VALU_DEP_2) | instskip(SKIP_1) | instid1(VALU_DEP_2)
	v_add_co_u32 v2, vcc_lo, v2, s16
	s_wait_alu 0xfffd
	v_add_co_ci_u32_e64 v3, null, s17, v3, vcc_lo
	s_delay_alu instid0(VALU_DEP_2) | instskip(SKIP_1) | instid1(VALU_DEP_2)
	v_add_co_u32 v2, vcc_lo, v2, v12
	s_wait_alu 0xfffd
	v_add_co_ci_u32_e64 v3, null, 0, v3, vcc_lo
	flat_load_b128 v[2:5], v[2:3]
	s_wait_loadcnt_dscnt 0x0
	ds_store_b128 v12, v[2:5]
.LBB309_5:
	s_wait_alu 0xfffe
	s_or_b32 exec_lo, exec_lo, s2
	v_mul_lo_u32 v2, v17, v0
	s_load_b32 s5, s[8:9], 0x8
	v_lshrrev_b32_e32 v41, 5, v40
	s_lshl_b32 s8, s11, 4
	v_xor_b32_e32 v1, s1, v1
	v_and_b32_e32 v43, 31, v40
	s_mov_b32 s9, exec_lo
	s_wait_storecnt_dscnt 0x0
	v_sub_nc_u32_e32 v2, s0, v2
	s_wait_alu 0xfffe
	s_add_co_i32 s0, s8, 16
	v_lshlrev_b32_e32 v19, 2, v43
	s_barrier_signal -1
	s_barrier_wait -1
	v_sub_nc_u32_e32 v4, v2, v0
	v_cmp_ge_u32_e32 vcc_lo, v2, v0
	v_add_nc_u32_e32 v3, 1, v17
	global_inv scope:SCOPE_SE
	v_dual_mov_b32 v21, 0xff7fffff :: v_dual_add_nc_u32 v44, s8, v41
	s_wait_alu 0xfffd
	v_dual_cndmask_b32 v2, v2, v4 :: v_dual_cndmask_b32 v3, v17, v3
	s_delay_alu instid0(VALU_DEP_1) | instskip(NEXT) | instid1(VALU_DEP_2)
	v_cmp_ge_u32_e32 vcc_lo, v2, v0
	v_add_nc_u32_e32 v4, 1, v3
	v_add_nc_u32_e32 v5, 31, v33
	v_mul_lo_u32 v0, v18, s13
	s_wait_alu 0xfffd
	s_delay_alu instid0(VALU_DEP_3) | instskip(NEXT) | instid1(VALU_DEP_3)
	v_cndmask_b32_e32 v2, v3, v4, vcc_lo
	v_ashrrev_i32_e32 v6, 31, v5
	s_delay_alu instid0(VALU_DEP_2) | instskip(NEXT) | instid1(VALU_DEP_2)
	v_xor_b32_e32 v2, v2, v1
	v_lshrrev_b32_e32 v3, 27, v6
	s_delay_alu instid0(VALU_DEP_2) | instskip(NEXT) | instid1(VALU_DEP_2)
	v_sub_nc_u32_e32 v2, v2, v1
	v_add_nc_u32_e32 v3, v5, v3
	v_ashrrev_i32_e32 v1, 31, v0
	s_delay_alu instid0(VALU_DEP_3) | instskip(NEXT) | instid1(VALU_DEP_3)
	v_mul_lo_u32 v16, v2, v23
	v_ashrrev_i32_e32 v12, 5, v3
	s_delay_alu instid0(VALU_DEP_3) | instskip(SKIP_1) | instid1(VALU_DEP_2)
	v_lshlrev_b64_e32 v[34:35], 2, v[0:1]
	s_wait_alu 0xfffe
	v_min_i32_e32 v47, s0, v12
	s_delay_alu instid0(VALU_DEP_4) | instskip(NEXT) | instid1(VALU_DEP_2)
	v_ashrrev_i32_e32 v17, 31, v16
	v_cmp_ge_i32_e64 s0, v44, v47
	v_cmpx_lt_i32_e64 v44, v47
	s_cbranch_execz .LBB309_1545
; %bb.6:
	v_dual_mov_b32 v21, 0xff7fffff :: v_dual_lshlrev_b32 v0, 4, v43
	v_add_co_u32 v1, vcc_lo, v8, v16
	s_wait_alu 0xfffd
	v_add_co_ci_u32_e64 v2, null, v9, v17, vcc_lo
	s_clause 0xa
	scratch_store_b32 off, v12, s32 offset:592
	scratch_store_b32 off, v28, s32 offset:588
	;; [unrolled: 1-line block ×11, first 2 shown]
	v_add_co_u32 v0, vcc_lo, v1, v0
	s_wait_alu 0xfffd
	v_add_co_ci_u32_e64 v1, null, 0, v2, vcc_lo
	s_clause 0x3
	scratch_store_b32 off, v16, s32 offset:596
	scratch_store_b32 off, v17, s32 offset:600
	scratch_store_b64 off, v[34:35], s32 offset:604
	scratch_store_b64 off, v[0:1], s32 offset:524
	scratch_load_b32 v0, off, s32 offset:512 ; 4-byte Folded Reload
	s_getpc_b64 s[2:3]
	s_wait_alu 0xfffe
	s_sext_i32_i16 s3, s3
	s_add_co_u32 s2, s2, llvm.amdgcn.dynlds.offset.table@rel32@lo+12
	s_wait_alu 0xfffe
	s_add_co_ci_u32 s3, s3, llvm.amdgcn.dynlds.offset.table@rel32@hi+24
	s_ashr_i32 s7, s6, 31
	v_dual_mov_b32 v8, 0 :: v_dual_lshlrev_b32 v3, 2, v44
	s_wait_alu 0xfffe
	s_lshl_b64 s[16:17], s[6:7], 2
	v_lshlrev_b32_e32 v2, 5, v41
	s_wait_alu 0xfffe
	s_add_nc_u64 s[2:3], s[2:3], s[16:17]
	v_mov_b32_e32 v190, v44
	s_load_b32 s2, s[2:3], 0x0
	s_mov_b32 s7, 0
	v_add3_u32 v48, s12, v2, v43
	s_clause 0x2
	scratch_store_b32 off, v41, s32 offset:544
	scratch_store_b32 off, v19, s32 offset:612
	scratch_store_b32 off, v47, s32 offset:520
	s_wait_loadcnt 0x0
	v_cmp_neq_f32_e32 vcc_lo, 0, v0
	v_add_co_u32 v0, s1, v34, v3
	s_wait_alu 0xf1ff
	v_add_co_ci_u32_e64 v1, null, 0, v35, s1
	v_lshl_or_b32 v3, v41, 7, v19
	s_delay_alu instid0(VALU_DEP_3) | instskip(SKIP_1) | instid1(VALU_DEP_3)
	v_add_co_u32 v45, s1, v14, v0
	s_wait_alu 0xf1ff
	v_add_co_ci_u32_e64 v46, null, v15, v1, s1
	s_wait_kmcnt 0x0
	v_add_nc_u32_e32 v184, s2, v3
	v_mov_b32_e32 v0, v44
	s_mov_b32 s2, -1
	s_mov_b32 s3, 0xffffff
	s_clause 0x3
	scratch_store_b32 off, v43, s32 offset:548
	scratch_store_b32 off, v14, s32 offset:572
	;; [unrolled: 1-line block ×3, first 2 shown]
	scratch_store_b64 off, v[0:1], s32 offset:552
	s_branch .LBB309_11
.LBB309_7:                              ;   in Loop: Header=BB309_11 Depth=1
	s_wait_alu 0xfffe
	s_or_b32 exec_lo, exec_lo, s19
	v_lshlrev_b32_e32 v6, 8, v7
	v_lshl_add_u32 v7, v29, 10, 0x2000
	s_delay_alu instid0(VALU_DEP_1) | instskip(SKIP_1) | instid1(VALU_DEP_1)
	v_and_or_b32 v6, 0x8000, v6, v7
	v_lshlrev_b32_e32 v7, 23, v28
	v_lshl_or_b32 v28, v6, 16, v7
.LBB309_8:                              ;   in Loop: Header=BB309_11 Depth=1
	s_wait_alu 0xfffe
	s_or_b32 exec_lo, exec_lo, s18
.LBB309_9:                              ;   in Loop: Header=BB309_11 Depth=1
	s_wait_alu 0xfffe
	s_or_b32 exec_lo, exec_lo, s17
	s_wait_loadcnt 0x1
	scratch_load_b32 v184, off, s32 offset:380 ; 4-byte Folded Reload
	s_wait_loadcnt 0x1
	scratch_load_b32 v190, off, s32 offset:384 ; 4-byte Folded Reload
.LBB309_10:                             ;   in Loop: Header=BB309_11 Depth=1
	s_or_b32 exec_lo, exec_lo, s16
	v_or_b32_e32 v6, v105, v95
	v_fma_mixlo_f16 v7, v51, v105, 0 op_sel:[0,1,0] op_sel_hi:[0,1,0]
	v_or_b32_e32 v2, v16, v2
	v_or_b32_e32 v0, v1, v0
	v_fma_mixlo_f16 v50, v51, v97, 0 op_sel:[0,1,0] op_sel_hi:[0,1,0]
	v_fma_mixlo_f16 v6, v51, v6, 0 op_sel_hi:[0,1,0]
	v_cmp_lt_i32_e64 s1, v48, v33
	s_wait_loadcnt 0x0
	v_add_nc_u32_e32 v190, 4, v190
	scratch_store_b32 off, v6, s32 offset:420 ; 4-byte Folded Spill
	v_or_b32_e32 v6, v94, v74
	s_delay_alu instid0(VALU_DEP_1) | instskip(SKIP_2) | instid1(VALU_DEP_1)
	v_fma_mixlo_f16 v6, v51, v6, 0 op_sel_hi:[0,1,0]
	scratch_store_b32 off, v6, s32 offset:428 ; 4-byte Folded Spill
	v_or_b32_e32 v6, v124, v104
	v_fma_mixlo_f16 v6, v51, v6, 0 op_sel_hi:[0,1,0]
	scratch_store_b32 off, v6, s32 offset:412 ; 4-byte Folded Spill
	v_or_b32_e32 v6, v30, v106
	v_fma_mixlo_f16 v106, v51, v127, 0 op_sel:[0,1,0] op_sel_hi:[0,1,0]
	s_delay_alu instid0(VALU_DEP_2)
	v_fma_mixlo_f16 v6, v51, v6, 0 op_sel_hi:[0,1,0]
	scratch_store_b32 off, v7, s32 offset:416 ; 4-byte Folded Spill
	v_fma_mixlo_f16 v7, v51, v94, 0 op_sel:[0,1,0] op_sel_hi:[0,1,0]
	scratch_store_b32 off, v6, s32 offset:404 ; 4-byte Folded Spill
	v_fma_mixlo_f16 v6, v51, v30, 0 op_sel:[0,1,0] op_sel_hi:[0,1,0]
	;; [unrolled: 2-line block ×3, first 2 shown]
	scratch_store_b32 off, v6, s32 offset:400 ; 4-byte Folded Spill
	v_or_b32_e32 v6, v93, v77
	scratch_store_b32 off, v7, s32 offset:408 ; 4-byte Folded Spill
	v_fma_mixlo_f16 v7, v51, v93, 0 op_sel:[0,1,0] op_sel_hi:[0,1,0]
	v_fma_mixlo_f16 v6, v51, v6, 0 op_sel_hi:[0,1,0]
	scratch_store_b32 off, v6, s32 offset:452 ; 4-byte Folded Spill
	v_or_b32_e32 v6, v54, v59
	s_delay_alu instid0(VALU_DEP_1) | instskip(SKIP_3) | instid1(VALU_DEP_2)
	v_fma_mixlo_f16 v6, v51, v6, 0 op_sel_hi:[0,1,0]
	scratch_store_b32 off, v6, s32 offset:460 ; 4-byte Folded Spill
	v_or_b32_e32 v6, v67, v78
	v_fma_mixlo_f16 v78, v51, v81, 0 op_sel:[0,1,0] op_sel_hi:[0,1,0]
	v_fma_mixlo_f16 v6, v51, v6, 0 op_sel_hi:[0,1,0]
	scratch_store_b32 off, v6, s32 offset:444 ; 4-byte Folded Spill
	v_or_b32_e32 v6, v62, v66
	v_fma_mixlo_f16 v66, v51, v69, 0 op_sel:[0,1,0] op_sel_hi:[0,1,0]
	s_delay_alu instid0(VALU_DEP_2)
	v_fma_mixlo_f16 v6, v51, v6, 0 op_sel_hi:[0,1,0]
	scratch_store_b32 off, v7, s32 offset:448 ; 4-byte Folded Spill
	v_fma_mixlo_f16 v7, v51, v54, 0 op_sel:[0,1,0] op_sel_hi:[0,1,0]
	scratch_store_b32 off, v6, s32 offset:436 ; 4-byte Folded Spill
	v_fma_mixlo_f16 v6, v51, v62, 0 op_sel:[0,1,0] op_sel_hi:[0,1,0]
	;; [unrolled: 2-line block ×3, first 2 shown]
	scratch_store_b32 off, v6, s32 offset:432 ; 4-byte Folded Spill
	v_or_b32_e32 v6, v123, v121
	scratch_store_b32 off, v7, s32 offset:440 ; 4-byte Folded Spill
	v_fma_mixlo_f16 v7, v51, v123, 0 op_sel:[0,1,0] op_sel_hi:[0,1,0]
	v_fma_mixlo_f16 v121, v51, v37, 0 op_sel:[0,1,0] op_sel_hi:[0,1,0]
	v_fma_mixlo_f16 v6, v51, v6, 0 op_sel_hi:[0,1,0]
	scratch_store_b32 off, v6, s32 offset:484 ; 4-byte Folded Spill
	v_or_b32_e32 v6, v110, v109
	v_fma_mixlo_f16 v109, v51, v18, 0 op_sel:[0,1,0] op_sel_hi:[0,1,0]
	s_delay_alu instid0(VALU_DEP_2) | instskip(SKIP_2) | instid1(VALU_DEP_1)
	v_fma_mixlo_f16 v6, v51, v6, 0 op_sel_hi:[0,1,0]
	scratch_store_b32 off, v6, s32 offset:492 ; 4-byte Folded Spill
	v_or_b32_e32 v6, v155, v122
	v_fma_mixlo_f16 v6, v51, v6, 0 op_sel_hi:[0,1,0]
	scratch_store_b32 off, v6, s32 offset:476 ; 4-byte Folded Spill
	v_or_b32_e32 v6, v49, v152
	s_delay_alu instid0(VALU_DEP_1)
	v_fma_mixlo_f16 v6, v51, v6, 0 op_sel_hi:[0,1,0]
	scratch_store_b32 off, v7, s32 offset:480 ; 4-byte Folded Spill
	v_fma_mixlo_f16 v7, v51, v110, 0 op_sel:[0,1,0] op_sel_hi:[0,1,0]
	scratch_store_b32 off, v6, s32 offset:468 ; 4-byte Folded Spill
	v_fma_mixlo_f16 v6, v51, v49, 0 op_sel:[0,1,0] op_sel_hi:[0,1,0]
	;; [unrolled: 2-line block ×3, first 2 shown]
	v_fma_mixlo_f16 v155, v51, v138, 0 op_sel:[0,1,0] op_sel_hi:[0,1,0]
	v_fma_mixlo_f16 v49, v51, v96, 0 op_sel:[0,1,0] op_sel_hi:[0,1,0]
	scratch_store_b32 off, v6, s32 offset:464 ; 4-byte Folded Spill
	v_or_b32_e32 v6, v143, v141
	scratch_store_b32 off, v7, s32 offset:472 ; 4-byte Folded Spill
	v_fma_mixlo_f16 v141, v51, v172, 0 op_sel:[0,1,0] op_sel_hi:[0,1,0]
	v_fma_mixlo_f16 v143, v51, v143, 0 op_sel:[0,1,0] op_sel_hi:[0,1,0]
	v_fma_mixlo_f16 v152, v51, v6, 0 op_sel_hi:[0,1,0]
	v_or_b32_e32 v6, v138, v137
	s_delay_alu instid0(VALU_DEP_1) | instskip(SKIP_1) | instid1(VALU_DEP_1)
	v_fma_mixlo_f16 v137, v51, v6, 0 op_sel_hi:[0,1,0]
	v_or_b32_e32 v6, v172, v142
	v_fma_mixlo_f16 v142, v51, v6, 0 op_sel_hi:[0,1,0]
	v_or_b32_e32 v6, v175, v171
	v_fma_mixlo_f16 v171, v51, v170, 0 op_sel:[0,1,0] op_sel_hi:[0,1,0]
	s_delay_alu instid0(VALU_DEP_2) | instskip(SKIP_4) | instid1(VALU_DEP_1)
	v_fma_mixlo_f16 v138, v51, v6, 0 op_sel_hi:[0,1,0]
	v_fma_mixlo_f16 v6, v51, v175, 0 op_sel:[0,1,0] op_sel_hi:[0,1,0]
	v_fma_mixlo_f16 v175, v51, v157, 0 op_sel:[0,1,0] op_sel_hi:[0,1,0]
	scratch_store_b32 off, v6, s32 offset:496 ; 4-byte Folded Spill
	v_or_b32_e32 v6, v170, v158
	v_fma_mixlo_f16 v172, v51, v6, 0 op_sel_hi:[0,1,0]
	v_or_b32_e32 v6, v157, v38
	v_fma_mixlo_f16 v157, v51, v189, 0 op_sel:[0,1,0] op_sel_hi:[0,1,0]
	v_fma_mixlo_f16 v38, v51, v16, 0 op_sel:[0,1,0] op_sel_hi:[0,1,0]
	;; [unrolled: 1-line block ×3, first 2 shown]
	s_delay_alu instid0(VALU_DEP_4) | instskip(SKIP_2) | instid1(VALU_DEP_2)
	v_fma_mixlo_f16 v123, v51, v6, 0 op_sel_hi:[0,1,0]
	v_or_b32_e32 v6, v186, v169
	v_fma_mixlo_f16 v169, v51, v186, 0 op_sel:[0,1,0] op_sel_hi:[0,1,0]
	v_fma_mixlo_f16 v170, v51, v6, 0 op_sel_hi:[0,1,0]
	v_or_b32_e32 v6, v189, v185
	v_fma_mixlo_f16 v189, v51, v102, 0 op_sel:[0,1,0] op_sel_hi:[0,1,0]
	v_fma_mixlo_f16 v185, v51, v103, 0 op_sel:[0,1,0] op_sel_hi:[0,1,0]
	s_delay_alu instid0(VALU_DEP_3) | instskip(SKIP_3) | instid1(VALU_DEP_3)
	v_fma_mixlo_f16 v158, v51, v6, 0 op_sel_hi:[0,1,0]
	v_or_b32_e32 v6, v37, v19
	v_fma_mixlo_f16 v37, v51, v2, 0 op_sel_hi:[0,1,0]
	v_or_b32_e32 v2, v10, v3
	;; [unrolled: 2-line block ×3, first 2 shown]
	s_delay_alu instid0(VALU_DEP_3)
	v_fma_mixlo_f16 v29, v51, v2, 0 op_sel_hi:[0,1,0]
	v_or_b32_e32 v2, v34, v23
	v_fma_mixlo_f16 v23, v51, v34, 0 op_sel:[0,1,0] op_sel_hi:[0,1,0]
	v_fma_mixlo_f16 v34, v51, v22, 0 op_sel:[0,1,0] op_sel_hi:[0,1,0]
	v_fma_mixlo_f16 v93, v51, v6, 0 op_sel_hi:[0,1,0]
	v_or_b32_e32 v6, v102, v35
	v_fma_mixlo_f16 v83, v51, v2, 0 op_sel_hi:[0,1,0]
	v_or_b32_e32 v2, v81, v24
	;; [unrolled: 2-line block ×6, first 2 shown]
	v_fma_mixlo_f16 v100, v51, v52, 0 op_sel:[0,1,0] op_sel_hi:[0,1,0]
	v_fma_mixlo_f16 v35, v51, v10, 0 op_sel:[0,1,0] op_sel_hi:[0,1,0]
	;; [unrolled: 1-line block ×4, first 2 shown]
	v_fma_mixlo_f16 v19, v51, v0, 0 op_sel_hi:[0,1,0]
	v_or_b32_e32 v0, v65, v25
	v_fma_mixlo_f16 v39, v51, v87, 0 op_sel:[0,1,0] op_sel_hi:[0,1,0]
	v_fma_mixlo_f16 v87, v51, v65, 0 op_sel:[0,1,0] op_sel_hi:[0,1,0]
	v_fma_mixlo_f16 v22, v51, v2, 0 op_sel_hi:[0,1,0]
	v_fma_mixlo_f16 v103, v51, v11, 0 op_sel:[0,1,0] op_sel_hi:[0,1,0]
	v_fma_mixlo_f16 v97, v51, v0, 0 op_sel_hi:[0,1,0]
	v_or_b32_e32 v0, v52, v15
	v_fma_mixlo_f16 v15, v51, v14, 0 op_sel:[0,1,0] op_sel_hi:[0,1,0]
	v_fma_mixlo_f16 v186, v51, v6, 0 op_sel_hi:[0,1,0]
	s_delay_alu instid0(VALU_DEP_3) | instskip(SKIP_2) | instid1(VALU_DEP_2)
	v_fma_mixlo_f16 v102, v51, v0, 0 op_sel_hi:[0,1,0]
	v_or_b32_e32 v0, v84, v55
	v_fma_mixlo_f16 v84, v51, v84, 0 op_sel:[0,1,0] op_sel_hi:[0,1,0]
	v_fma_mixlo_f16 v86, v51, v0, 0 op_sel_hi:[0,1,0]
	v_or_b32_e32 v0, v68, v71
	v_fma_mixlo_f16 v68, v51, v80, 0 op_sel:[0,1,0] op_sel_hi:[0,1,0]
	s_delay_alu instid0(VALU_DEP_2) | instskip(SKIP_2) | instid1(VALU_DEP_2)
	v_fma_mixlo_f16 v25, v51, v0, 0 op_sel_hi:[0,1,0]
	v_or_b32_e32 v0, v11, v5
	v_fma_mixlo_f16 v11, v51, v90, 0 op_sel:[0,1,0] op_sel_hi:[0,1,0]
	v_fma_mixlo_f16 v30, v51, v0, 0 op_sel_hi:[0,1,0]
	v_or_b32_e32 v0, v32, v188
	v_fma_mixlo_f16 v188, v51, v32, 0 op_sel:[0,1,0] op_sel_hi:[0,1,0]
	s_delay_alu instid0(VALU_DEP_2) | instskip(SKIP_3) | instid1(VALU_DEP_3)
	v_fma_mixlo_f16 v31, v51, v0, 0 op_sel_hi:[0,1,0]
	v_or_b32_e32 v0, v12, v36
	v_fma_mixlo_f16 v36, v51, v187, 0 op_sel:[0,1,0] op_sel_hi:[0,1,0]
	v_fma_mixlo_f16 v12, v51, v12, 0 op_sel:[0,1,0] op_sel_hi:[0,1,0]
	v_fma_mixlo_f16 v32, v51, v0, 0 op_sel_hi:[0,1,0]
	v_or_b32_e32 v0, v14, v17
	v_fma_mixlo_f16 v17, v51, v153, 0 op_sel:[0,1,0] op_sel_hi:[0,1,0]
	s_delay_alu instid0(VALU_DEP_2) | instskip(SKIP_2) | instid1(VALU_DEP_2)
	v_fma_mixlo_f16 v13, v51, v0, 0 op_sel_hi:[0,1,0]
	v_or_b32_e32 v0, v168, v154
	v_fma_mixlo_f16 v168, v51, v168, 0 op_sel:[0,1,0] op_sel_hi:[0,1,0]
	v_fma_mixlo_f16 v14, v51, v0, 0 op_sel_hi:[0,1,0]
	v_or_b32_e32 v0, v153, v140
	v_fma_mixlo_f16 v153, v51, v174, 0 op_sel:[0,1,0] op_sel_hi:[0,1,0]
	s_delay_alu instid0(VALU_DEP_2) | instskip(SKIP_1) | instid1(VALU_DEP_1)
	v_fma_mixlo_f16 v52, v51, v0, 0 op_sel_hi:[0,1,0]
	v_or_b32_e32 v0, v174, v159
	v_fma_mixlo_f16 v154, v51, v0, 0 op_sel_hi:[0,1,0]
	v_or_b32_e32 v0, v187, v173
	v_fma_mixlo_f16 v173, v51, v107, 0 op_sel:[0,1,0] op_sel_hi:[0,1,0]
	v_fma_mixlo_f16 v187, v51, v101, 0 op_sel:[0,1,0] op_sel_hi:[0,1,0]
	s_delay_alu instid0(VALU_DEP_3) | instskip(SKIP_3) | instid1(VALU_DEP_3)
	v_fma_mixlo_f16 v140, v51, v0, 0 op_sel_hi:[0,1,0]
	v_or_b32_e32 v0, v120, v108
	v_fma_mixlo_f16 v108, v51, v126, 0 op_sel:[0,1,0] op_sel_hi:[0,1,0]
	v_fma_mixlo_f16 v120, v51, v120, 0 op_sel:[0,1,0] op_sel_hi:[0,1,0]
	v_fma_mixlo_f16 v159, v51, v0, 0 op_sel_hi:[0,1,0]
	v_or_b32_e32 v0, v107, v92
	v_fma_mixlo_f16 v92, v51, v139, 0 op_sel:[0,1,0] op_sel_hi:[0,1,0]
	s_delay_alu instid0(VALU_DEP_2) | instskip(SKIP_2) | instid1(VALU_DEP_2)
	v_fma_mixlo_f16 v174, v51, v0, 0 op_sel_hi:[0,1,0]
	v_or_b32_e32 v0, v126, v111
	v_fma_mixlo_f16 v126, v51, v9, 0 op_sel:[0,1,0] op_sel_hi:[0,1,0]
	v_fma_mixlo_f16 v111, v51, v0, 0 op_sel_hi:[0,1,0]
	v_or_b32_e32 v0, v139, v125
	s_delay_alu instid0(VALU_DEP_1) | instskip(SKIP_2) | instid1(VALU_DEP_2)
	v_fma_mixlo_f16 v107, v51, v0, 0 op_sel_hi:[0,1,0]
	v_or_b32_e32 v0, v88, v20
	v_fma_mixlo_f16 v88, v51, v88, 0 op_sel:[0,1,0] op_sel_hi:[0,1,0]
	v_fma_mixlo_f16 v125, v51, v0, 0 op_sel_hi:[0,1,0]
	v_or_b32_e32 v0, v9, v72
	v_fma_mixlo_f16 v72, v51, v91, 0 op_sel:[0,1,0] op_sel_hi:[0,1,0]
	s_delay_alu instid0(VALU_DEP_2) | instskip(SKIP_2) | instid1(VALU_DEP_2)
	v_fma_mixlo_f16 v139, v51, v0, 0 op_sel_hi:[0,1,0]
	v_or_b32_e32 v0, v90, v79
	v_fma_mixlo_f16 v90, v51, v75, 0 op_sel:[0,1,0] op_sel_hi:[0,1,0]
	v_fma_mixlo_f16 v79, v51, v0, 0 op_sel_hi:[0,1,0]
	v_or_b32_e32 v0, v91, v89
	s_delay_alu instid0(VALU_DEP_1) | instskip(SKIP_2) | instid1(VALU_DEP_2)
	v_fma_mixlo_f16 v21, v51, v0, 0 op_sel_hi:[0,1,0]
	v_or_b32_e32 v0, v56, v76
	v_fma_mixlo_f16 v56, v51, v56, 0 op_sel:[0,1,0] op_sel_hi:[0,1,0]
	v_fma_mixlo_f16 v89, v51, v0, 0 op_sel_hi:[0,1,0]
	v_or_b32_e32 v0, v75, v44
	v_fma_mixlo_f16 v44, v51, v61, 0 op_sel:[0,1,0] op_sel_hi:[0,1,0]
	s_delay_alu instid0(VALU_DEP_2) | instskip(SKIP_2) | instid1(VALU_DEP_2)
	v_fma_mixlo_f16 v91, v51, v0, 0 op_sel_hi:[0,1,0]
	v_or_b32_e32 v0, v58, v47
	v_fma_mixlo_f16 v58, v51, v181, 0 op_sel:[0,1,0] op_sel_hi:[0,1,0]
	v_fma_mixlo_f16 v47, v51, v0, 0 op_sel_hi:[0,1,0]
	v_or_b32_e32 v0, v61, v57
	s_delay_alu instid0(VALU_DEP_1) | instskip(SKIP_3) | instid1(VALU_DEP_3)
	v_fma_mixlo_f16 v76, v51, v0, 0 op_sel_hi:[0,1,0]
	v_or_b32_e32 v0, v40, v182
	v_fma_mixlo_f16 v182, v51, v42, 0 op_sel:[0,1,0] op_sel_hi:[0,1,0]
	v_fma_mixlo_f16 v40, v51, v40, 0 op_sel:[0,1,0] op_sel_hi:[0,1,0]
	v_fma_mixlo_f16 v57, v51, v0, 0 op_sel_hi:[0,1,0]
	v_or_b32_e32 v0, v181, v180
	v_fma_mixlo_f16 v180, v51, v43, 0 op_sel:[0,1,0] op_sel_hi:[0,1,0]
	s_delay_alu instid0(VALU_DEP_2) | instskip(SKIP_2) | instid1(VALU_DEP_2)
	v_fma_mixlo_f16 v61, v51, v0, 0 op_sel_hi:[0,1,0]
	v_or_b32_e32 v0, v42, v183
	v_fma_mixlo_f16 v42, v51, v165, 0 op_sel:[0,1,0] op_sel_hi:[0,1,0]
	v_fma_mixlo_f16 v183, v51, v0, 0 op_sel_hi:[0,1,0]
	v_or_b32_e32 v0, v43, v41
	s_delay_alu instid0(VALU_DEP_1) | instskip(SKIP_3) | instid1(VALU_DEP_3)
	v_fma_mixlo_f16 v181, v51, v0, 0 op_sel_hi:[0,1,0]
	v_or_b32_e32 v0, v176, v166
	v_fma_mixlo_f16 v166, v51, v178, 0 op_sel:[0,1,0] op_sel_hi:[0,1,0]
	v_fma_mixlo_f16 v176, v51, v176, 0 op_sel:[0,1,0] op_sel_hi:[0,1,0]
	v_fma_mixlo_f16 v41, v51, v0, 0 op_sel_hi:[0,1,0]
	v_or_b32_e32 v0, v165, v164
	v_fma_mixlo_f16 v164, v51, v179, 0 op_sel:[0,1,0] op_sel_hi:[0,1,0]
	s_delay_alu instid0(VALU_DEP_2) | instskip(SKIP_2) | instid1(VALU_DEP_2)
	v_fma_mixlo_f16 v43, v51, v0, 0 op_sel_hi:[0,1,0]
	v_or_b32_e32 v0, v178, v167
	v_fma_mixlo_f16 v178, v51, v149, 0 op_sel:[0,1,0] op_sel_hi:[0,1,0]
	v_fma_mixlo_f16 v167, v51, v0, 0 op_sel_hi:[0,1,0]
	v_or_b32_e32 v0, v179, v177
	s_delay_alu instid0(VALU_DEP_1) | instskip(SKIP_3) | instid1(VALU_DEP_3)
	v_fma_mixlo_f16 v165, v51, v0, 0 op_sel_hi:[0,1,0]
	v_or_b32_e32 v0, v160, v150
	v_fma_mixlo_f16 v150, v51, v162, 0 op_sel:[0,1,0] op_sel_hi:[0,1,0]
	v_fma_mixlo_f16 v160, v51, v160, 0 op_sel:[0,1,0] op_sel_hi:[0,1,0]
	v_fma_mixlo_f16 v177, v51, v0, 0 op_sel_hi:[0,1,0]
	v_or_b32_e32 v0, v149, v148
	v_fma_mixlo_f16 v148, v51, v163, 0 op_sel:[0,1,0] op_sel_hi:[0,1,0]
	s_delay_alu instid0(VALU_DEP_2) | instskip(SKIP_2) | instid1(VALU_DEP_2)
	v_fma_mixlo_f16 v179, v51, v0, 0 op_sel_hi:[0,1,0]
	v_or_b32_e32 v0, v162, v151
	v_fma_mixlo_f16 v162, v51, v133, 0 op_sel:[0,1,0] op_sel_hi:[0,1,0]
	v_fma_mixlo_f16 v151, v51, v0, 0 op_sel_hi:[0,1,0]
	v_or_b32_e32 v0, v163, v161
	s_delay_alu instid0(VALU_DEP_1) | instskip(SKIP_3) | instid1(VALU_DEP_3)
	v_fma_mixlo_f16 v149, v51, v0, 0 op_sel_hi:[0,1,0]
	v_or_b32_e32 v0, v144, v134
	v_fma_mixlo_f16 v134, v51, v146, 0 op_sel:[0,1,0] op_sel_hi:[0,1,0]
	v_fma_mixlo_f16 v144, v51, v144, 0 op_sel:[0,1,0] op_sel_hi:[0,1,0]
	v_fma_mixlo_f16 v161, v51, v0, 0 op_sel_hi:[0,1,0]
	v_or_b32_e32 v0, v133, v132
	v_fma_mixlo_f16 v132, v51, v147, 0 op_sel:[0,1,0] op_sel_hi:[0,1,0]
	s_delay_alu instid0(VALU_DEP_2) | instskip(SKIP_2) | instid1(VALU_DEP_2)
	v_fma_mixlo_f16 v163, v51, v0, 0 op_sel_hi:[0,1,0]
	v_or_b32_e32 v0, v146, v135
	v_fma_mixlo_f16 v146, v51, v117, 0 op_sel:[0,1,0] op_sel_hi:[0,1,0]
	v_fma_mixlo_f16 v135, v51, v0, 0 op_sel_hi:[0,1,0]
	v_or_b32_e32 v0, v147, v145
	s_delay_alu instid0(VALU_DEP_1) | instskip(SKIP_3) | instid1(VALU_DEP_3)
	v_fma_mixlo_f16 v133, v51, v0, 0 op_sel_hi:[0,1,0]
	v_or_b32_e32 v0, v128, v118
	v_fma_mixlo_f16 v118, v51, v130, 0 op_sel:[0,1,0] op_sel_hi:[0,1,0]
	v_fma_mixlo_f16 v128, v51, v128, 0 op_sel:[0,1,0] op_sel_hi:[0,1,0]
	v_fma_mixlo_f16 v145, v51, v0, 0 op_sel_hi:[0,1,0]
	v_or_b32_e32 v0, v117, v116
	v_fma_mixlo_f16 v116, v51, v131, 0 op_sel:[0,1,0] op_sel_hi:[0,1,0]
	s_delay_alu instid0(VALU_DEP_2) | instskip(SKIP_2) | instid1(VALU_DEP_2)
	v_fma_mixlo_f16 v147, v51, v0, 0 op_sel_hi:[0,1,0]
	v_or_b32_e32 v0, v130, v119
	v_fma_mixlo_f16 v130, v51, v112, 0 op_sel:[0,1,0] op_sel_hi:[0,1,0]
	v_fma_mixlo_f16 v119, v51, v0, 0 op_sel_hi:[0,1,0]
	v_or_b32_e32 v0, v131, v129
	s_delay_alu instid0(VALU_DEP_1) | instskip(SKIP_1) | instid1(VALU_DEP_1)
	v_fma_mixlo_f16 v117, v51, v0, 0 op_sel_hi:[0,1,0]
	v_or_b32_e32 v0, v112, v113
	v_fma_mixlo_f16 v131, v51, v0, 0 op_sel_hi:[0,1,0]
	scratch_load_b32 v0, off, s32 offset:372 th:TH_LOAD_LU ; 4-byte Folded Reload
	s_wait_loadcnt 0x0
	v_or_b32_e32 v0, v101, v0
	v_fma_mixlo_f16 v101, v51, v115, 0 op_sel:[0,1,0] op_sel_hi:[0,1,0]
	s_delay_alu instid0(VALU_DEP_2) | instskip(SKIP_4) | instid1(VALU_DEP_2)
	v_fma_mixlo_f16 v113, v51, v0, 0 op_sel_hi:[0,1,0]
	scratch_load_b32 v0, off, s32 offset:376 th:TH_LOAD_LU ; 4-byte Folded Reload
	s_wait_loadcnt 0x0
	v_or_b32_e32 v0, v114, v0
	v_fma_mixlo_f16 v114, v51, v114, 0 op_sel:[0,1,0] op_sel_hi:[0,1,0]
	v_fma_mixlo_f16 v129, v51, v0, 0 op_sel_hi:[0,1,0]
	v_or_b32_e32 v0, v115, v60
	v_fma_mixlo_f16 v60, v51, v85, 0 op_sel:[0,1,0] op_sel_hi:[0,1,0]
	v_fma_mixlo_f16 v115, v51, v98, 0 op_sel:[0,1,0] op_sel_hi:[0,1,0]
	s_delay_alu instid0(VALU_DEP_3) | instskip(SKIP_4) | instid1(VALU_DEP_2)
	v_fma_mixlo_f16 v112, v51, v0, 0 op_sel_hi:[0,1,0]
	scratch_load_b32 v0, off, s32 offset:360 th:TH_LOAD_LU ; 4-byte Folded Reload
	s_wait_loadcnt 0x0
	v_or_b32_e32 v0, v96, v0
	v_fma_mixlo_f16 v96, v51, v99, 0 op_sel:[0,1,0] op_sel_hi:[0,1,0]
	v_fma_mixlo_f16 v59, v51, v0, 0 op_sel_hi:[0,1,0]
	scratch_load_b32 v0, off, s32 offset:356 th:TH_LOAD_LU ; 4-byte Folded Reload
	s_wait_loadcnt 0x0
	v_or_b32_e32 v0, v85, v0
	s_delay_alu instid0(VALU_DEP_1) | instskip(SKIP_3) | instid1(VALU_DEP_1)
	v_fma_mixlo_f16 v54, v51, v0, 0 op_sel_hi:[0,1,0]
	scratch_load_b32 v0, off, s32 offset:364 th:TH_LOAD_LU ; 4-byte Folded Reload
	s_wait_loadcnt 0x0
	v_or_b32_e32 v0, v98, v0
	v_fma_mixlo_f16 v85, v51, v0, 0 op_sel_hi:[0,1,0]
	scratch_load_b32 v0, off, s32 offset:368 th:TH_LOAD_LU ; 4-byte Folded Reload
	s_wait_loadcnt 0x0
	v_or_b32_e32 v0, v99, v0
	s_delay_alu instid0(VALU_DEP_1) | instskip(SKIP_3) | instid1(VALU_DEP_1)
	v_fma_mixlo_f16 v98, v51, v0, 0 op_sel_hi:[0,1,0]
	scratch_load_b32 v0, off, s32 offset:344 th:TH_LOAD_LU ; 4-byte Folded Reload
	s_wait_loadcnt 0x0
	v_or_b32_e32 v0, v80, v0
	v_fma_mixlo_f16 v67, v51, v0, 0 op_sel_hi:[0,1,0]
	scratch_load_b32 v0, off, s32 offset:340 th:TH_LOAD_LU ; 4-byte Folded Reload
	s_wait_loadcnt 0x0
	v_or_b32_e32 v0, v69, v0
	v_fma_mixlo_f16 v69, v51, v70, 0 op_sel:[0,1,0] op_sel_hi:[0,1,0]
	s_delay_alu instid0(VALU_DEP_2) | instskip(SKIP_3) | instid1(VALU_DEP_1)
	v_fma_mixlo_f16 v99, v51, v0, 0 op_sel_hi:[0,1,0]
	scratch_load_b32 v0, off, s32 offset:348 th:TH_LOAD_LU ; 4-byte Folded Reload
	s_wait_loadcnt 0x0
	v_or_b32_e32 v0, v70, v0
	v_fma_mixlo_f16 v70, v51, v0, 0 op_sel_hi:[0,1,0]
	s_clause 0x1
	scratch_load_b32 v0, off, s32 offset:352 th:TH_LOAD_LU
	scratch_load_b32 v1, off, s32 offset:392 th:TH_LOAD_LU
	s_wait_loadcnt 0x0
	v_or_b32_e32 v0, v1, v0
	v_fma_mixlo_f16 v71, v51, v1, 0 op_sel:[0,1,0] op_sel_hi:[0,1,0]
	s_delay_alu instid0(VALU_DEP_2)
	v_fma_mixlo_f16 v80, v51, v0, 0 op_sel_hi:[0,1,0]
	s_clause 0x1
	scratch_load_b32 v0, off, s32 offset:320 th:TH_LOAD_LU
	scratch_load_b32 v1, off, s32 offset:328 th:TH_LOAD_LU
	s_wait_loadcnt 0x0
	v_or_b32_e32 v0, v1, v0
	v_fma_mixlo_f16 v104, v51, v1, 0 op_sel:[0,1,0] op_sel_hi:[0,1,0]
	s_delay_alu instid0(VALU_DEP_2) | instskip(SKIP_1) | instid1(VALU_DEP_1)
	v_fma_mixlo_f16 v105, v51, v0, 0 op_sel_hi:[0,1,0]
	v_or_b32_e32 v0, v127, v191
	v_fma_mixlo_f16 v124, v51, v0, 0 op_sel_hi:[0,1,0]
	s_clause 0x1
	scratch_load_b32 v0, off, s32 offset:324 th:TH_LOAD_LU
	scratch_load_b32 v1, off, s32 offset:336 th:TH_LOAD_LU
	s_wait_loadcnt 0x0
	v_or_b32_e32 v0, v1, v0
	v_fma_mixlo_f16 v94, v51, v1, 0 op_sel:[0,1,0] op_sel_hi:[0,1,0]
	s_delay_alu instid0(VALU_DEP_2)
	v_fma_mixlo_f16 v95, v51, v0, 0 op_sel_hi:[0,1,0]
	s_clause 0x1
	scratch_load_b32 v0, off, s32 offset:332 th:TH_LOAD_LU
	scratch_load_b32 v1, off, s32 offset:388 th:TH_LOAD_LU
	s_wait_loadcnt 0x0
	v_or_b32_e32 v0, v1, v0
	v_fma_mixlo_f16 v62, v51, v1, 0 op_sel:[0,1,0] op_sel_hi:[0,1,0]
	scratch_load_b32 v1, off, s32 offset:512 ; 4-byte Folded Reload
	v_fma_mixlo_f16 v74, v51, v0, 0 op_sel_hi:[0,1,0]
	v_sub_nc_u32_e32 v0, 1, v33
	s_delay_alu instid0(VALU_DEP_1) | instskip(SKIP_1) | instid1(VALU_DEP_2)
	v_add_nc_u32_e32 v0, v0, v48
	v_add_nc_u32_e32 v48, 0x80, v48
	v_cvt_f32_i32_e32 v0, v0
	s_wait_loadcnt 0x0
	s_delay_alu instid0(VALU_DEP_1) | instskip(SKIP_1) | instid1(VALU_DEP_1)
	v_mul_f32_e32 v0, v1, v0
	s_wait_alu 0xfffd
	v_cndmask_b32_e32 v7, 0, v0, vcc_lo
	v_or_b32_e32 v0, v63, v64
	v_fma_mixlo_f16 v64, v51, v53, 0 op_sel:[0,1,0] op_sel_hi:[0,1,0]
	v_fma_mixlo_f16 v63, v51, v63, 0 op_sel:[0,1,0] op_sel_hi:[0,1,0]
	s_delay_alu instid0(VALU_DEP_3) | instskip(SKIP_1) | instid1(VALU_DEP_1)
	v_fma_mixlo_f16 v55, v51, v0, 0 op_sel_hi:[0,1,0]
	v_or_b32_e32 v0, v53, v136
	v_fma_mixlo_f16 v65, v51, v0, 0 op_sel_hi:[0,1,0]
	v_or_b32_e32 v0, v82, v73
	v_fma_mixlo_f16 v73, v51, v82, 0 op_sel:[0,1,0] op_sel_hi:[0,1,0]
	v_fma_mixlo_f16 v82, v51, v28, 0 op_sel:[0,1,0] op_sel_hi:[0,1,0]
	s_delay_alu instid0(VALU_DEP_3) | instskip(SKIP_1) | instid1(VALU_DEP_1)
	v_fma_mixlo_f16 v53, v51, v0, 0 op_sel_hi:[0,1,0]
	v_or_b32_e32 v0, v28, v156
	v_fma_mixlo_f16 v136, v51, v0, 0 op_sel_hi:[0,1,0]
	ds_load_b128 v[0:3], v8
	s_wait_dscnt 0x0
	v_lshrrev_b32_e32 v4, 16, v0
	v_and_b32_e32 v0, 0xffff, v0
	;;#ASMSTART
	v_cvt_f32_f16 v28, v0;
	;;#ASMEND
	v_and_b32_e32 v0, 0xffff, v124
	;;#ASMSTART
	v_cvt_f32_f16 v156, v4;
	;;#ASMEND
	;;#ASMSTART
	v_cvt_f32_f16 v124, v0;
	;;#ASMEND
	v_and_b32_e32 v0, 0xffff, v106
	;;#ASMSTART
	v_cvt_f32_f16 v106, v0;
	;;#ASMEND
	v_lshrrev_b32_e32 v0, 16, v1
	v_and_b32_e32 v1, 0xffff, v1
	;;#ASMSTART
	v_cvt_f32_f16 v75, v1;
	;;#ASMEND
	;;#ASMSTART
	v_cvt_f32_f16 v4, v0;
	;;#ASMEND
	v_and_b32_e32 v0, 0xffff, v105
	;;#ASMSTART
	v_cvt_f32_f16 v105, v0;
	;;#ASMEND
	v_and_b32_e32 v0, 0xffff, v104
	;;#ASMSTART
	v_cvt_f32_f16 v104, v0;
	;;#ASMEND
	v_lshrrev_b32_e32 v0, 16, v2
	v_and_b32_e32 v1, 0xffff, v2
	;;#ASMSTART
	v_cvt_f32_f16 v9, v1;
	;;#ASMEND
	;;#ASMSTART
	v_cvt_f32_f16 v127, v0;
	;;#ASMEND
	v_and_b32_e32 v0, 0xffff, v95
	;; [unrolled: 16-line block ×3, first 2 shown]
	;;#ASMSTART
	v_cvt_f32_f16 v74, v0;
	;;#ASMEND
	v_and_b32_e32 v0, 0xffff, v62
	;;#ASMSTART
	v_cvt_f32_f16 v62, v0;
	;;#ASMEND
	ds_load_b128 v[0:3], v8 offset:16
	v_and_b32_e32 v51, 0xffff, v99
	s_wait_dscnt 0x0
	v_lshrrev_b32_e32 v20, 16, v0
	v_and_b32_e32 v0, 0xffff, v0
	;;#ASMSTART
	v_cvt_f32_f16 v0, v0;
	;;#ASMEND
	;;#ASMSTART
	v_cvt_f32_f16 v20, v20;
	;;#ASMEND
	;;#ASMSTART
	v_cvt_f32_f16 v51, v51;
	;;#ASMEND
	s_delay_alu instid0(VALU_DEP_1) | instskip(SKIP_1) | instid1(VALU_DEP_1)
	v_dual_mul_f32 v51, v0, v51 :: v_dual_and_b32 v66, 0xffff, v66
	;;#ASMSTART
	v_cvt_f32_f16 v66, v66;
	;;#ASMEND
	v_mul_f32_e32 v66, v20, v66
	v_lshrrev_b32_e32 v20, 16, v1
	s_delay_alu instid0(VALU_DEP_3)
	v_dual_fmac_f32 v51, v28, v124 :: v_dual_and_b32 v0, 0xffff, v1
	;;#ASMSTART
	v_cvt_f32_f16 v0, v0;
	;;#ASMEND
	;;#ASMSTART
	v_cvt_f32_f16 v1, v20;
	;;#ASMEND
	v_and_b32_e32 v20, 0xffff, v67
	v_and_b32_e32 v28, 0xffff, v68
	;;#ASMSTART
	v_cvt_f32_f16 v20, v20;
	;;#ASMEND
	;;#ASMSTART
	v_cvt_f32_f16 v28, v28;
	;;#ASMEND
	s_delay_alu instid0(VALU_DEP_1) | instskip(SKIP_3) | instid1(VALU_DEP_4)
	v_mul_f32_e32 v67, v1, v28
	v_mul_f32_e32 v68, v0, v20
	v_lshrrev_b32_e32 v1, 16, v2
	v_and_b32_e32 v0, 0xffff, v2
	v_dual_fmac_f32 v67, v4, v104 :: v_dual_and_b32 v2, 0xffff, v70
	;;#ASMSTART
	v_cvt_f32_f16 v0, v0;
	;;#ASMEND
	;;#ASMSTART
	v_cvt_f32_f16 v1, v1;
	;;#ASMEND
	;; [unrolled: 3-line block ×3, first 2 shown]
	v_and_b32_e32 v4, 0xffff, v69
	v_fmac_f32_e32 v68, v75, v105
	;;#ASMSTART
	v_cvt_f32_f16 v4, v4;
	;;#ASMEND
	s_delay_alu instid0(VALU_DEP_2)
	v_dual_mul_f32 v70, v0, v2 :: v_dual_mul_f32 v69, v1, v4
	v_lshrrev_b32_e32 v1, 16, v3
	v_and_b32_e32 v0, 0xffff, v3
	v_and_b32_e32 v2, 0xffff, v80
	;; [unrolled: 1-line block ×3, first 2 shown]
	;;#ASMSTART
	v_cvt_f32_f16 v0, v0;
	;;#ASMEND
	;;#ASMSTART
	v_cvt_f32_f16 v1, v1;
	;;#ASMEND
	;; [unrolled: 3-line block ×4, first 2 shown]
	v_dual_mul_f32 v80, v0, v2 :: v_dual_mul_f32 v71, v1, v3
	ds_load_b128 v[0:3], v8 offset:32
	v_fmac_f32_e32 v66, v156, v106
	v_dual_fmac_f32 v70, v9, v5 :: v_dual_and_b32 v5, 0xffff, v54
	v_dual_fmac_f32 v69, v127, v6 :: v_dual_and_b32 v6, 0xffff, v60
	v_fmac_f32_e32 v71, v94, v62
	s_wait_dscnt 0x0
	v_lshrrev_b32_e32 v4, 16, v0
	v_and_b32_e32 v0, 0xffff, v0
	;;#ASMSTART
	v_cvt_f32_f16 v0, v0;
	;;#ASMEND
	;;#ASMSTART
	v_cvt_f32_f16 v4, v4;
	;;#ASMEND
	;; [unrolled: 3-line block ×4, first 2 shown]
	v_fmac_f32_e32 v51, v0, v5
	v_fmac_f32_e32 v66, v4, v6
	v_lshrrev_b32_e32 v4, 16, v1
	v_and_b32_e32 v0, 0xffff, v1
	;;#ASMSTART
	v_cvt_f32_f16 v0, v0;
	;;#ASMEND
	;;#ASMSTART
	v_cvt_f32_f16 v1, v4;
	;;#ASMEND
	v_and_b32_e32 v4, 0xffff, v59
	v_and_b32_e32 v5, 0xffff, v49
	;;#ASMSTART
	v_cvt_f32_f16 v4, v4;
	;;#ASMEND
	;;#ASMSTART
	v_cvt_f32_f16 v5, v5;
	;;#ASMEND
	s_delay_alu instid0(VALU_DEP_1)
	v_dual_fmac_f32 v68, v0, v4 :: v_dual_fmac_f32 v67, v1, v5
	v_lshrrev_b32_e32 v1, 16, v2
	v_and_b32_e32 v0, 0xffff, v2
	;;#ASMSTART
	v_cvt_f32_f16 v0, v0;
	;;#ASMEND
	;;#ASMSTART
	v_cvt_f32_f16 v1, v1;
	;;#ASMEND
	v_and_b32_e32 v2, 0xffff, v85
	v_and_b32_e32 v4, 0xffff, v115
	;;#ASMSTART
	v_cvt_f32_f16 v2, v2;
	;;#ASMEND
	;;#ASMSTART
	v_cvt_f32_f16 v4, v4;
	;;#ASMEND
	s_delay_alu instid0(VALU_DEP_1)
	v_dual_fmac_f32 v70, v0, v2 :: v_dual_fmac_f32 v69, v1, v4
	v_lshrrev_b32_e32 v1, 16, v3
	v_and_b32_e32 v0, 0xffff, v3
	v_dual_fmac_f32 v80, v95, v74 :: v_dual_and_b32 v3, 0xffff, v96
	v_and_b32_e32 v5, 0xffff, v113
	v_and_b32_e32 v2, 0xffff, v98
	;;#ASMSTART
	v_cvt_f32_f16 v0, v0;
	;;#ASMEND
	;;#ASMSTART
	v_cvt_f32_f16 v1, v1;
	;;#ASMEND
	;; [unrolled: 3-line block ×4, first 2 shown]
	v_dual_fmac_f32 v80, v0, v2 :: v_dual_fmac_f32 v71, v1, v3
	ds_load_b128 v[0:3], v8 offset:48
	v_and_b32_e32 v6, 0xffff, v187
	s_wait_dscnt 0x0
	v_lshrrev_b32_e32 v4, 16, v0
	v_and_b32_e32 v0, 0xffff, v0
	;;#ASMSTART
	v_cvt_f32_f16 v0, v0;
	;;#ASMEND
	;;#ASMSTART
	v_cvt_f32_f16 v4, v4;
	;;#ASMEND
	;; [unrolled: 3-line block ×4, first 2 shown]
	v_fmac_f32_e32 v51, v0, v5
	v_fmac_f32_e32 v66, v4, v6
	v_lshrrev_b32_e32 v4, 16, v1
	v_and_b32_e32 v0, 0xffff, v1
	;;#ASMSTART
	v_cvt_f32_f16 v0, v0;
	;;#ASMEND
	;;#ASMSTART
	v_cvt_f32_f16 v1, v4;
	;;#ASMEND
	v_and_b32_e32 v4, 0xffff, v131
	v_and_b32_e32 v5, 0xffff, v130
	;;#ASMSTART
	v_cvt_f32_f16 v4, v4;
	;;#ASMEND
	;;#ASMSTART
	v_cvt_f32_f16 v5, v5;
	;;#ASMEND
	s_delay_alu instid0(VALU_DEP_1)
	v_dual_fmac_f32 v68, v0, v4 :: v_dual_fmac_f32 v67, v1, v5
	v_lshrrev_b32_e32 v1, 16, v2
	v_and_b32_e32 v0, 0xffff, v2
	v_and_b32_e32 v2, 0xffff, v129
	;;#ASMSTART
	v_cvt_f32_f16 v0, v0;
	;;#ASMEND
	;;#ASMSTART
	v_cvt_f32_f16 v1, v1;
	;;#ASMEND
	;; [unrolled: 3-line block ×3, first 2 shown]
	v_and_b32_e32 v4, 0xffff, v114
	;;#ASMSTART
	v_cvt_f32_f16 v4, v4;
	;;#ASMEND
	s_delay_alu instid0(VALU_DEP_1)
	v_fmac_f32_e32 v69, v1, v4
	v_lshrrev_b32_e32 v1, 16, v3
	v_dual_fmac_f32 v70, v0, v2 :: v_dual_and_b32 v5, 0xffff, v147
	v_and_b32_e32 v0, 0xffff, v3
	v_and_b32_e32 v2, 0xffff, v112
	;; [unrolled: 1-line block ×3, first 2 shown]
	;;#ASMSTART
	v_cvt_f32_f16 v0, v0;
	;;#ASMEND
	;;#ASMSTART
	v_cvt_f32_f16 v1, v1;
	;;#ASMEND
	;; [unrolled: 3-line block ×4, first 2 shown]
	v_dual_fmac_f32 v80, v0, v2 :: v_dual_fmac_f32 v71, v1, v3
	ds_load_b128 v[0:3], v8 offset:64
	v_and_b32_e32 v6, 0xffff, v146
	s_wait_dscnt 0x0
	v_lshrrev_b32_e32 v4, 16, v0
	v_and_b32_e32 v0, 0xffff, v0
	;;#ASMSTART
	v_cvt_f32_f16 v0, v0;
	;;#ASMEND
	;;#ASMSTART
	v_cvt_f32_f16 v4, v4;
	;;#ASMEND
	;; [unrolled: 3-line block ×4, first 2 shown]
	v_fmac_f32_e32 v51, v0, v5
	v_fmac_f32_e32 v66, v4, v6
	v_lshrrev_b32_e32 v4, 16, v1
	v_and_b32_e32 v0, 0xffff, v1
	;;#ASMSTART
	v_cvt_f32_f16 v0, v0;
	;;#ASMEND
	;;#ASMSTART
	v_cvt_f32_f16 v1, v4;
	;;#ASMEND
	v_and_b32_e32 v4, 0xffff, v145
	v_and_b32_e32 v5, 0xffff, v128
	;;#ASMSTART
	v_cvt_f32_f16 v4, v4;
	;;#ASMEND
	;;#ASMSTART
	v_cvt_f32_f16 v5, v5;
	;;#ASMEND
	s_delay_alu instid0(VALU_DEP_1)
	v_fmac_f32_e32 v67, v1, v5
	v_lshrrev_b32_e32 v1, 16, v2
	v_dual_fmac_f32 v68, v0, v4 :: v_dual_and_b32 v5, 0xffff, v163
	v_and_b32_e32 v0, 0xffff, v2
	v_and_b32_e32 v2, 0xffff, v119
	;;#ASMSTART
	v_cvt_f32_f16 v0, v0;
	;;#ASMEND
	;;#ASMSTART
	v_cvt_f32_f16 v1, v1;
	;;#ASMEND
	;; [unrolled: 3-line block ×3, first 2 shown]
	v_and_b32_e32 v4, 0xffff, v118
	;;#ASMSTART
	v_cvt_f32_f16 v4, v4;
	;;#ASMEND
	s_delay_alu instid0(VALU_DEP_1)
	v_dual_fmac_f32 v70, v0, v2 :: v_dual_fmac_f32 v69, v1, v4
	v_lshrrev_b32_e32 v1, 16, v3
	v_and_b32_e32 v0, 0xffff, v3
	v_and_b32_e32 v2, 0xffff, v117
	v_and_b32_e32 v3, 0xffff, v116
	;;#ASMSTART
	v_cvt_f32_f16 v0, v0;
	;;#ASMEND
	;;#ASMSTART
	v_cvt_f32_f16 v1, v1;
	;;#ASMEND
	;; [unrolled: 3-line block ×4, first 2 shown]
	v_dual_fmac_f32 v80, v0, v2 :: v_dual_fmac_f32 v71, v1, v3
	ds_load_b128 v[0:3], v8 offset:80
	v_and_b32_e32 v6, 0xffff, v162
	s_wait_dscnt 0x0
	v_lshrrev_b32_e32 v4, 16, v0
	v_and_b32_e32 v0, 0xffff, v0
	;;#ASMSTART
	v_cvt_f32_f16 v0, v0;
	;;#ASMEND
	;;#ASMSTART
	v_cvt_f32_f16 v4, v4;
	;;#ASMEND
	;; [unrolled: 3-line block ×4, first 2 shown]
	v_fmac_f32_e32 v51, v0, v5
	v_fmac_f32_e32 v66, v4, v6
	v_lshrrev_b32_e32 v4, 16, v1
	v_and_b32_e32 v0, 0xffff, v1
	;;#ASMSTART
	v_cvt_f32_f16 v0, v0;
	;;#ASMEND
	;;#ASMSTART
	v_cvt_f32_f16 v1, v4;
	;;#ASMEND
	v_and_b32_e32 v4, 0xffff, v161
	v_and_b32_e32 v5, 0xffff, v144
	;;#ASMSTART
	v_cvt_f32_f16 v4, v4;
	;;#ASMEND
	;;#ASMSTART
	v_cvt_f32_f16 v5, v5;
	;;#ASMEND
	s_delay_alu instid0(VALU_DEP_1)
	v_dual_fmac_f32 v68, v0, v4 :: v_dual_fmac_f32 v67, v1, v5
	v_lshrrev_b32_e32 v1, 16, v2
	v_and_b32_e32 v0, 0xffff, v2
	v_and_b32_e32 v2, 0xffff, v135
	;;#ASMSTART
	v_cvt_f32_f16 v0, v0;
	;;#ASMEND
	;;#ASMSTART
	v_cvt_f32_f16 v1, v1;
	;;#ASMEND
	;; [unrolled: 3-line block ×3, first 2 shown]
	v_and_b32_e32 v4, 0xffff, v134
	;;#ASMSTART
	v_cvt_f32_f16 v4, v4;
	;;#ASMEND
	s_delay_alu instid0(VALU_DEP_1)
	v_dual_fmac_f32 v70, v0, v2 :: v_dual_fmac_f32 v69, v1, v4
	v_lshrrev_b32_e32 v1, 16, v3
	v_and_b32_e32 v0, 0xffff, v3
	v_and_b32_e32 v2, 0xffff, v133
	;; [unrolled: 1-line block ×3, first 2 shown]
	;;#ASMSTART
	v_cvt_f32_f16 v0, v0;
	;;#ASMEND
	;;#ASMSTART
	v_cvt_f32_f16 v1, v1;
	;;#ASMEND
	;;#ASMSTART
	v_cvt_f32_f16 v2, v2;
	;;#ASMEND
	;;#ASMSTART
	v_cvt_f32_f16 v3, v3;
	;;#ASMEND
	v_dual_fmac_f32 v80, v0, v2 :: v_dual_fmac_f32 v71, v1, v3
	ds_load_b128 v[0:3], v8 offset:96
	v_and_b32_e32 v5, 0xffff, v179
	v_and_b32_e32 v6, 0xffff, v178
	s_wait_dscnt 0x0
	v_lshrrev_b32_e32 v4, 16, v0
	v_and_b32_e32 v0, 0xffff, v0
	;;#ASMSTART
	v_cvt_f32_f16 v0, v0;
	;;#ASMEND
	;;#ASMSTART
	v_cvt_f32_f16 v4, v4;
	;;#ASMEND
	;; [unrolled: 3-line block ×4, first 2 shown]
	v_fmac_f32_e32 v51, v0, v5
	v_fmac_f32_e32 v66, v4, v6
	v_lshrrev_b32_e32 v4, 16, v1
	v_and_b32_e32 v0, 0xffff, v1
	;;#ASMSTART
	v_cvt_f32_f16 v0, v0;
	;;#ASMEND
	;;#ASMSTART
	v_cvt_f32_f16 v1, v4;
	;;#ASMEND
	v_and_b32_e32 v4, 0xffff, v177
	v_and_b32_e32 v5, 0xffff, v160
	;;#ASMSTART
	v_cvt_f32_f16 v4, v4;
	;;#ASMEND
	;;#ASMSTART
	v_cvt_f32_f16 v5, v5;
	;;#ASMEND
	s_delay_alu instid0(VALU_DEP_1)
	v_dual_fmac_f32 v68, v0, v4 :: v_dual_fmac_f32 v67, v1, v5
	v_lshrrev_b32_e32 v1, 16, v2
	v_and_b32_e32 v0, 0xffff, v2
	v_and_b32_e32 v2, 0xffff, v151
	;;#ASMSTART
	v_cvt_f32_f16 v0, v0;
	;;#ASMEND
	;;#ASMSTART
	v_cvt_f32_f16 v1, v1;
	;;#ASMEND
	;; [unrolled: 3-line block ×3, first 2 shown]
	v_and_b32_e32 v4, 0xffff, v150
	;;#ASMSTART
	v_cvt_f32_f16 v4, v4;
	;;#ASMEND
	s_delay_alu instid0(VALU_DEP_1)
	v_dual_fmac_f32 v70, v0, v2 :: v_dual_fmac_f32 v69, v1, v4
	v_lshrrev_b32_e32 v1, 16, v3
	v_and_b32_e32 v0, 0xffff, v3
	v_and_b32_e32 v2, 0xffff, v149
	v_and_b32_e32 v3, 0xffff, v148
	;;#ASMSTART
	v_cvt_f32_f16 v0, v0;
	;;#ASMEND
	;;#ASMSTART
	v_cvt_f32_f16 v1, v1;
	;;#ASMEND
	;; [unrolled: 3-line block ×4, first 2 shown]
	v_dual_fmac_f32 v80, v0, v2 :: v_dual_fmac_f32 v71, v1, v3
	ds_load_b128 v[0:3], v8 offset:112
	v_and_b32_e32 v5, 0xffff, v43
	v_and_b32_e32 v6, 0xffff, v42
	s_wait_dscnt 0x0
	v_lshrrev_b32_e32 v4, 16, v0
	v_and_b32_e32 v0, 0xffff, v0
	;;#ASMSTART
	v_cvt_f32_f16 v0, v0;
	;;#ASMEND
	;;#ASMSTART
	v_cvt_f32_f16 v4, v4;
	;;#ASMEND
	;; [unrolled: 3-line block ×4, first 2 shown]
	v_fmac_f32_e32 v51, v0, v5
	v_fmac_f32_e32 v66, v4, v6
	v_lshrrev_b32_e32 v4, 16, v1
	v_and_b32_e32 v0, 0xffff, v1
	;;#ASMSTART
	v_cvt_f32_f16 v0, v0;
	;;#ASMEND
	;;#ASMSTART
	v_cvt_f32_f16 v1, v4;
	;;#ASMEND
	v_and_b32_e32 v4, 0xffff, v41
	v_and_b32_e32 v5, 0xffff, v176
	;;#ASMSTART
	v_cvt_f32_f16 v4, v4;
	;;#ASMEND
	;;#ASMSTART
	v_cvt_f32_f16 v5, v5;
	;;#ASMEND
	s_delay_alu instid0(VALU_DEP_1)
	v_dual_fmac_f32 v68, v0, v4 :: v_dual_fmac_f32 v67, v1, v5
	v_lshrrev_b32_e32 v1, 16, v2
	v_and_b32_e32 v0, 0xffff, v2
	v_and_b32_e32 v2, 0xffff, v167
	;;#ASMSTART
	v_cvt_f32_f16 v0, v0;
	;;#ASMEND
	;;#ASMSTART
	v_cvt_f32_f16 v1, v1;
	;;#ASMEND
	;; [unrolled: 3-line block ×3, first 2 shown]
	v_and_b32_e32 v4, 0xffff, v166
	;;#ASMSTART
	v_cvt_f32_f16 v4, v4;
	;;#ASMEND
	s_delay_alu instid0(VALU_DEP_1)
	v_dual_fmac_f32 v70, v0, v2 :: v_dual_fmac_f32 v69, v1, v4
	v_lshrrev_b32_e32 v1, 16, v3
	v_and_b32_e32 v0, 0xffff, v3
	v_and_b32_e32 v2, 0xffff, v165
	v_and_b32_e32 v3, 0xffff, v164
	;;#ASMSTART
	v_cvt_f32_f16 v0, v0;
	;;#ASMEND
	;;#ASMSTART
	v_cvt_f32_f16 v1, v1;
	;;#ASMEND
	;; [unrolled: 3-line block ×4, first 2 shown]
	v_dual_fmac_f32 v80, v0, v2 :: v_dual_fmac_f32 v71, v1, v3
	ds_load_b128 v[0:3], v8 offset:128
	v_and_b32_e32 v5, 0xffff, v61
	v_and_b32_e32 v6, 0xffff, v58
	s_wait_dscnt 0x0
	v_lshrrev_b32_e32 v4, 16, v0
	v_and_b32_e32 v0, 0xffff, v0
	;;#ASMSTART
	v_cvt_f32_f16 v0, v0;
	;;#ASMEND
	;;#ASMSTART
	v_cvt_f32_f16 v4, v4;
	;;#ASMEND
	;; [unrolled: 3-line block ×4, first 2 shown]
	v_fmac_f32_e32 v51, v0, v5
	v_fmac_f32_e32 v66, v4, v6
	v_lshrrev_b32_e32 v4, 16, v1
	v_and_b32_e32 v0, 0xffff, v1
	;;#ASMSTART
	v_cvt_f32_f16 v0, v0;
	;;#ASMEND
	;;#ASMSTART
	v_cvt_f32_f16 v1, v4;
	;;#ASMEND
	v_and_b32_e32 v4, 0xffff, v57
	v_and_b32_e32 v5, 0xffff, v40
	;;#ASMSTART
	v_cvt_f32_f16 v4, v4;
	;;#ASMEND
	;;#ASMSTART
	v_cvt_f32_f16 v5, v5;
	;;#ASMEND
	s_delay_alu instid0(VALU_DEP_1)
	v_dual_fmac_f32 v68, v0, v4 :: v_dual_fmac_f32 v67, v1, v5
	v_lshrrev_b32_e32 v1, 16, v2
	v_and_b32_e32 v0, 0xffff, v2
	v_and_b32_e32 v2, 0xffff, v183
	;;#ASMSTART
	v_cvt_f32_f16 v0, v0;
	;;#ASMEND
	;;#ASMSTART
	v_cvt_f32_f16 v1, v1;
	;;#ASMEND
	;; [unrolled: 3-line block ×3, first 2 shown]
	v_and_b32_e32 v4, 0xffff, v182
	;;#ASMSTART
	v_cvt_f32_f16 v4, v4;
	;;#ASMEND
	s_delay_alu instid0(VALU_DEP_1)
	v_dual_fmac_f32 v70, v0, v2 :: v_dual_fmac_f32 v69, v1, v4
	v_lshrrev_b32_e32 v1, 16, v3
	v_and_b32_e32 v0, 0xffff, v3
	v_and_b32_e32 v2, 0xffff, v181
	;; [unrolled: 1-line block ×3, first 2 shown]
	;;#ASMSTART
	v_cvt_f32_f16 v0, v0;
	;;#ASMEND
	;;#ASMSTART
	v_cvt_f32_f16 v1, v1;
	;;#ASMEND
	;; [unrolled: 3-line block ×4, first 2 shown]
	v_dual_fmac_f32 v80, v0, v2 :: v_dual_fmac_f32 v71, v1, v3
	ds_load_b128 v[0:3], v8 offset:144
	v_and_b32_e32 v5, 0xffff, v91
	v_and_b32_e32 v6, 0xffff, v90
	s_wait_dscnt 0x0
	v_lshrrev_b32_e32 v4, 16, v0
	v_and_b32_e32 v0, 0xffff, v0
	;;#ASMSTART
	v_cvt_f32_f16 v0, v0;
	;;#ASMEND
	;;#ASMSTART
	v_cvt_f32_f16 v4, v4;
	;;#ASMEND
	;; [unrolled: 3-line block ×4, first 2 shown]
	v_fmac_f32_e32 v51, v0, v5
	v_fmac_f32_e32 v66, v4, v6
	v_lshrrev_b32_e32 v4, 16, v1
	v_and_b32_e32 v0, 0xffff, v1
	;;#ASMSTART
	v_cvt_f32_f16 v0, v0;
	;;#ASMEND
	;;#ASMSTART
	v_cvt_f32_f16 v1, v4;
	;;#ASMEND
	v_and_b32_e32 v4, 0xffff, v89
	v_and_b32_e32 v5, 0xffff, v56
	;;#ASMSTART
	v_cvt_f32_f16 v4, v4;
	;;#ASMEND
	;;#ASMSTART
	v_cvt_f32_f16 v5, v5;
	;;#ASMEND
	s_delay_alu instid0(VALU_DEP_1)
	v_dual_fmac_f32 v68, v0, v4 :: v_dual_fmac_f32 v67, v1, v5
	v_lshrrev_b32_e32 v1, 16, v2
	v_and_b32_e32 v0, 0xffff, v2
	v_and_b32_e32 v2, 0xffff, v47
	;;#ASMSTART
	v_cvt_f32_f16 v0, v0;
	;;#ASMEND
	;;#ASMSTART
	v_cvt_f32_f16 v1, v1;
	;;#ASMEND
	;; [unrolled: 3-line block ×3, first 2 shown]
	v_and_b32_e32 v4, 0xffff, v10
	;;#ASMSTART
	v_cvt_f32_f16 v4, v4;
	;;#ASMEND
	s_delay_alu instid0(VALU_DEP_1)
	v_dual_fmac_f32 v70, v0, v2 :: v_dual_fmac_f32 v69, v1, v4
	v_lshrrev_b32_e32 v1, 16, v3
	v_and_b32_e32 v0, 0xffff, v3
	v_and_b32_e32 v2, 0xffff, v76
	;; [unrolled: 1-line block ×3, first 2 shown]
	;;#ASMSTART
	v_cvt_f32_f16 v0, v0;
	;;#ASMEND
	;;#ASMSTART
	v_cvt_f32_f16 v1, v1;
	;;#ASMEND
	;; [unrolled: 3-line block ×4, first 2 shown]
	v_dual_fmac_f32 v80, v0, v2 :: v_dual_fmac_f32 v71, v1, v3
	ds_load_b128 v[0:3], v8 offset:160
	v_and_b32_e32 v5, 0xffff, v139
	v_and_b32_e32 v6, 0xffff, v126
	s_wait_dscnt 0x0
	v_lshrrev_b32_e32 v4, 16, v0
	v_and_b32_e32 v0, 0xffff, v0
	;;#ASMSTART
	v_cvt_f32_f16 v0, v0;
	;;#ASMEND
	;;#ASMSTART
	v_cvt_f32_f16 v4, v4;
	;;#ASMEND
	;; [unrolled: 3-line block ×4, first 2 shown]
	v_fmac_f32_e32 v51, v0, v5
	v_fmac_f32_e32 v66, v4, v6
	v_lshrrev_b32_e32 v4, 16, v1
	v_and_b32_e32 v0, 0xffff, v1
	;;#ASMSTART
	v_cvt_f32_f16 v0, v0;
	;;#ASMEND
	;;#ASMSTART
	v_cvt_f32_f16 v1, v4;
	;;#ASMEND
	v_and_b32_e32 v4, 0xffff, v125
	v_and_b32_e32 v5, 0xffff, v88
	;;#ASMSTART
	v_cvt_f32_f16 v4, v4;
	;;#ASMEND
	;;#ASMSTART
	v_cvt_f32_f16 v5, v5;
	;;#ASMEND
	s_delay_alu instid0(VALU_DEP_1)
	v_dual_fmac_f32 v68, v0, v4 :: v_dual_fmac_f32 v67, v1, v5
	v_lshrrev_b32_e32 v1, 16, v2
	v_and_b32_e32 v0, 0xffff, v2
	v_and_b32_e32 v2, 0xffff, v79
	;;#ASMSTART
	v_cvt_f32_f16 v0, v0;
	;;#ASMEND
	;;#ASMSTART
	v_cvt_f32_f16 v1, v1;
	;;#ASMEND
	;; [unrolled: 3-line block ×3, first 2 shown]
	v_and_b32_e32 v4, 0xffff, v11
	;;#ASMSTART
	v_cvt_f32_f16 v4, v4;
	;;#ASMEND
	s_delay_alu instid0(VALU_DEP_1)
	v_dual_fmac_f32 v70, v0, v2 :: v_dual_fmac_f32 v69, v1, v4
	v_lshrrev_b32_e32 v1, 16, v3
	v_and_b32_e32 v0, 0xffff, v3
	v_and_b32_e32 v2, 0xffff, v21
	;; [unrolled: 1-line block ×3, first 2 shown]
	;;#ASMSTART
	v_cvt_f32_f16 v0, v0;
	;;#ASMEND
	;;#ASMSTART
	v_cvt_f32_f16 v1, v1;
	;;#ASMEND
	;; [unrolled: 3-line block ×4, first 2 shown]
	v_dual_fmac_f32 v80, v0, v2 :: v_dual_fmac_f32 v71, v1, v3
	ds_load_b128 v[0:3], v8 offset:176
	v_and_b32_e32 v5, 0xffff, v174
	v_and_b32_e32 v6, 0xffff, v173
	s_wait_dscnt 0x0
	v_lshrrev_b32_e32 v4, 16, v0
	v_and_b32_e32 v0, 0xffff, v0
	;;#ASMSTART
	v_cvt_f32_f16 v0, v0;
	;;#ASMEND
	;;#ASMSTART
	v_cvt_f32_f16 v4, v4;
	;;#ASMEND
	;; [unrolled: 3-line block ×4, first 2 shown]
	v_fmac_f32_e32 v51, v0, v5
	v_fmac_f32_e32 v66, v4, v6
	v_lshrrev_b32_e32 v4, 16, v1
	v_and_b32_e32 v0, 0xffff, v1
	;;#ASMSTART
	v_cvt_f32_f16 v0, v0;
	;;#ASMEND
	;;#ASMSTART
	v_cvt_f32_f16 v1, v4;
	;;#ASMEND
	v_and_b32_e32 v4, 0xffff, v159
	v_and_b32_e32 v5, 0xffff, v120
	;;#ASMSTART
	v_cvt_f32_f16 v4, v4;
	;;#ASMEND
	;;#ASMSTART
	v_cvt_f32_f16 v5, v5;
	;;#ASMEND
	s_delay_alu instid0(VALU_DEP_1)
	v_dual_fmac_f32 v68, v0, v4 :: v_dual_fmac_f32 v67, v1, v5
	v_lshrrev_b32_e32 v1, 16, v2
	v_and_b32_e32 v0, 0xffff, v2
	v_and_b32_e32 v2, 0xffff, v111
	;;#ASMSTART
	v_cvt_f32_f16 v0, v0;
	;;#ASMEND
	;;#ASMSTART
	v_cvt_f32_f16 v1, v1;
	;;#ASMEND
	;; [unrolled: 3-line block ×3, first 2 shown]
	v_and_b32_e32 v4, 0xffff, v108
	;;#ASMSTART
	v_cvt_f32_f16 v4, v4;
	;;#ASMEND
	s_delay_alu instid0(VALU_DEP_1)
	v_dual_fmac_f32 v70, v0, v2 :: v_dual_fmac_f32 v69, v1, v4
	v_lshrrev_b32_e32 v1, 16, v3
	v_and_b32_e32 v0, 0xffff, v3
	v_and_b32_e32 v2, 0xffff, v107
	;; [unrolled: 1-line block ×3, first 2 shown]
	;;#ASMSTART
	v_cvt_f32_f16 v0, v0;
	;;#ASMEND
	;;#ASMSTART
	v_cvt_f32_f16 v1, v1;
	;;#ASMEND
	;; [unrolled: 3-line block ×4, first 2 shown]
	v_dual_fmac_f32 v80, v0, v2 :: v_dual_fmac_f32 v71, v1, v3
	ds_load_b128 v[0:3], v8 offset:192
	v_and_b32_e32 v5, 0xffff, v52
	v_and_b32_e32 v6, 0xffff, v17
	s_wait_dscnt 0x0
	v_lshrrev_b32_e32 v4, 16, v0
	v_and_b32_e32 v0, 0xffff, v0
	;;#ASMSTART
	v_cvt_f32_f16 v0, v0;
	;;#ASMEND
	;;#ASMSTART
	v_cvt_f32_f16 v4, v4;
	;;#ASMEND
	;;#ASMSTART
	v_cvt_f32_f16 v5, v5;
	;;#ASMEND
	;;#ASMSTART
	v_cvt_f32_f16 v6, v6;
	;;#ASMEND
	v_fmac_f32_e32 v51, v0, v5
	v_fmac_f32_e32 v66, v4, v6
	v_lshrrev_b32_e32 v4, 16, v1
	v_and_b32_e32 v0, 0xffff, v1
	;;#ASMSTART
	v_cvt_f32_f16 v0, v0;
	;;#ASMEND
	;;#ASMSTART
	v_cvt_f32_f16 v1, v4;
	;;#ASMEND
	v_and_b32_e32 v4, 0xffff, v14
	v_and_b32_e32 v5, 0xffff, v168
	;;#ASMSTART
	v_cvt_f32_f16 v4, v4;
	;;#ASMEND
	;;#ASMSTART
	v_cvt_f32_f16 v5, v5;
	;;#ASMEND
	s_delay_alu instid0(VALU_DEP_1)
	v_dual_fmac_f32 v68, v0, v4 :: v_dual_fmac_f32 v67, v1, v5
	v_lshrrev_b32_e32 v1, 16, v2
	v_and_b32_e32 v0, 0xffff, v2
	v_and_b32_e32 v2, 0xffff, v154
	;;#ASMSTART
	v_cvt_f32_f16 v0, v0;
	;;#ASMEND
	;;#ASMSTART
	v_cvt_f32_f16 v1, v1;
	;;#ASMEND
	;;#ASMSTART
	v_cvt_f32_f16 v2, v2;
	;;#ASMEND
	v_and_b32_e32 v4, 0xffff, v153
	;;#ASMSTART
	v_cvt_f32_f16 v4, v4;
	;;#ASMEND
	s_delay_alu instid0(VALU_DEP_1)
	v_dual_fmac_f32 v70, v0, v2 :: v_dual_fmac_f32 v69, v1, v4
	v_lshrrev_b32_e32 v1, 16, v3
	v_and_b32_e32 v0, 0xffff, v3
	v_and_b32_e32 v2, 0xffff, v140
	;; [unrolled: 1-line block ×3, first 2 shown]
	;;#ASMSTART
	v_cvt_f32_f16 v0, v0;
	;;#ASMEND
	;;#ASMSTART
	v_cvt_f32_f16 v1, v1;
	;;#ASMEND
	;; [unrolled: 3-line block ×4, first 2 shown]
	v_dual_fmac_f32 v80, v0, v2 :: v_dual_fmac_f32 v71, v1, v3
	ds_load_b128 v[0:3], v8 offset:208
	v_and_b32_e32 v5, 0xffff, v31
	v_and_b32_e32 v6, 0xffff, v188
	s_wait_dscnt 0x0
	v_lshrrev_b32_e32 v4, 16, v0
	v_and_b32_e32 v0, 0xffff, v0
	;;#ASMSTART
	v_cvt_f32_f16 v0, v0;
	;;#ASMEND
	;;#ASMSTART
	v_cvt_f32_f16 v4, v4;
	;;#ASMEND
	;; [unrolled: 3-line block ×4, first 2 shown]
	v_fmac_f32_e32 v51, v0, v5
	v_fmac_f32_e32 v66, v4, v6
	v_lshrrev_b32_e32 v4, 16, v1
	v_and_b32_e32 v0, 0xffff, v1
	;;#ASMSTART
	v_cvt_f32_f16 v0, v0;
	;;#ASMEND
	;;#ASMSTART
	v_cvt_f32_f16 v1, v4;
	;;#ASMEND
	v_and_b32_e32 v4, 0xffff, v30
	v_and_b32_e32 v5, 0xffff, v103
	;;#ASMSTART
	v_cvt_f32_f16 v4, v4;
	;;#ASMEND
	;;#ASMSTART
	v_cvt_f32_f16 v5, v5;
	;;#ASMEND
	s_delay_alu instid0(VALU_DEP_1)
	v_dual_fmac_f32 v68, v0, v4 :: v_dual_fmac_f32 v67, v1, v5
	v_lshrrev_b32_e32 v1, 16, v2
	v_and_b32_e32 v0, 0xffff, v2
	v_and_b32_e32 v2, 0xffff, v32
	;;#ASMSTART
	v_cvt_f32_f16 v0, v0;
	;;#ASMEND
	;;#ASMSTART
	v_cvt_f32_f16 v1, v1;
	;;#ASMEND
	;; [unrolled: 3-line block ×3, first 2 shown]
	v_and_b32_e32 v4, 0xffff, v12
	;;#ASMSTART
	v_cvt_f32_f16 v4, v4;
	;;#ASMEND
	s_delay_alu instid0(VALU_DEP_1)
	v_dual_fmac_f32 v70, v0, v2 :: v_dual_fmac_f32 v69, v1, v4
	v_lshrrev_b32_e32 v1, 16, v3
	v_and_b32_e32 v0, 0xffff, v3
	v_and_b32_e32 v2, 0xffff, v13
	;; [unrolled: 1-line block ×3, first 2 shown]
	;;#ASMSTART
	v_cvt_f32_f16 v0, v0;
	;;#ASMEND
	;;#ASMSTART
	v_cvt_f32_f16 v1, v1;
	;;#ASMEND
	;; [unrolled: 3-line block ×4, first 2 shown]
	v_dual_fmac_f32 v80, v0, v2 :: v_dual_fmac_f32 v71, v1, v3
	ds_load_b128 v[0:3], v8 offset:224
	v_and_b32_e32 v5, 0xffff, v102
	v_and_b32_e32 v6, 0xffff, v100
	s_wait_dscnt 0x0
	v_lshrrev_b32_e32 v4, 16, v0
	v_and_b32_e32 v0, 0xffff, v0
	;;#ASMSTART
	v_cvt_f32_f16 v0, v0;
	;;#ASMEND
	;;#ASMSTART
	v_cvt_f32_f16 v4, v4;
	;;#ASMEND
	;; [unrolled: 3-line block ×4, first 2 shown]
	v_fmac_f32_e32 v51, v0, v5
	v_fmac_f32_e32 v66, v4, v6
	v_lshrrev_b32_e32 v4, 16, v1
	v_and_b32_e32 v0, 0xffff, v1
	;;#ASMSTART
	v_cvt_f32_f16 v0, v0;
	;;#ASMEND
	;;#ASMSTART
	v_cvt_f32_f16 v1, v4;
	;;#ASMEND
	v_and_b32_e32 v4, 0xffff, v97
	v_and_b32_e32 v5, 0xffff, v87
	;;#ASMSTART
	v_cvt_f32_f16 v4, v4;
	;;#ASMEND
	;;#ASMSTART
	v_cvt_f32_f16 v5, v5;
	;;#ASMEND
	s_delay_alu instid0(VALU_DEP_1)
	v_dual_fmac_f32 v68, v0, v4 :: v_dual_fmac_f32 v67, v1, v5
	v_lshrrev_b32_e32 v1, 16, v2
	v_and_b32_e32 v0, 0xffff, v2
	v_and_b32_e32 v2, 0xffff, v86
	;;#ASMSTART
	v_cvt_f32_f16 v0, v0;
	;;#ASMEND
	;;#ASMSTART
	v_cvt_f32_f16 v1, v1;
	;;#ASMEND
	;; [unrolled: 3-line block ×3, first 2 shown]
	v_and_b32_e32 v4, 0xffff, v84
	;;#ASMSTART
	v_cvt_f32_f16 v4, v4;
	;;#ASMEND
	s_delay_alu instid0(VALU_DEP_1)
	v_dual_fmac_f32 v70, v0, v2 :: v_dual_fmac_f32 v69, v1, v4
	v_lshrrev_b32_e32 v1, 16, v3
	v_and_b32_e32 v0, 0xffff, v3
	v_and_b32_e32 v2, 0xffff, v25
	;; [unrolled: 1-line block ×3, first 2 shown]
	;;#ASMSTART
	v_cvt_f32_f16 v0, v0;
	;;#ASMEND
	;;#ASMSTART
	v_cvt_f32_f16 v1, v1;
	;;#ASMEND
	;; [unrolled: 3-line block ×4, first 2 shown]
	v_dual_fmac_f32 v80, v0, v2 :: v_dual_fmac_f32 v71, v1, v3
	ds_load_b128 v[0:3], v8 offset:240
	v_and_b32_e32 v5, 0xffff, v81
	v_and_b32_e32 v6, 0xffff, v24
	s_wait_dscnt 0x0
	v_lshrrev_b32_e32 v4, 16, v0
	v_and_b32_e32 v0, 0xffff, v0
	;;#ASMSTART
	v_cvt_f32_f16 v0, v0;
	;;#ASMEND
	;;#ASMSTART
	v_cvt_f32_f16 v4, v4;
	;;#ASMEND
	;; [unrolled: 3-line block ×4, first 2 shown]
	v_fmac_f32_e32 v51, v0, v5
	v_fmac_f32_e32 v66, v4, v6
	v_lshrrev_b32_e32 v4, 16, v1
	v_and_b32_e32 v0, 0xffff, v1
	;;#ASMSTART
	v_cvt_f32_f16 v0, v0;
	;;#ASMEND
	;;#ASMSTART
	v_cvt_f32_f16 v1, v4;
	;;#ASMEND
	v_and_b32_e32 v4, 0xffff, v22
	v_and_b32_e32 v5, 0xffff, v34
	;;#ASMSTART
	v_cvt_f32_f16 v4, v4;
	;;#ASMEND
	;;#ASMSTART
	v_cvt_f32_f16 v5, v5;
	;;#ASMEND
	s_delay_alu instid0(VALU_DEP_1)
	v_dual_fmac_f32 v68, v0, v4 :: v_dual_fmac_f32 v67, v1, v5
	v_lshrrev_b32_e32 v1, 16, v2
	v_and_b32_e32 v0, 0xffff, v2
	v_and_b32_e32 v2, 0xffff, v18
	;;#ASMSTART
	v_cvt_f32_f16 v0, v0;
	;;#ASMEND
	;;#ASMSTART
	v_cvt_f32_f16 v1, v1;
	;;#ASMEND
	;;#ASMSTART
	v_cvt_f32_f16 v2, v2;
	;;#ASMEND
	v_and_b32_e32 v4, 0xffff, v39
	;;#ASMSTART
	v_cvt_f32_f16 v4, v4;
	;;#ASMEND
	s_delay_alu instid0(VALU_DEP_1)
	v_dual_fmac_f32 v70, v0, v2 :: v_dual_fmac_f32 v69, v1, v4
	v_lshrrev_b32_e32 v1, 16, v3
	v_and_b32_e32 v0, 0xffff, v3
	v_and_b32_e32 v2, 0xffff, v19
	;; [unrolled: 1-line block ×3, first 2 shown]
	;;#ASMSTART
	v_cvt_f32_f16 v0, v0;
	;;#ASMEND
	;;#ASMSTART
	v_cvt_f32_f16 v1, v1;
	;;#ASMEND
	;; [unrolled: 3-line block ×4, first 2 shown]
	v_dual_fmac_f32 v80, v0, v2 :: v_dual_fmac_f32 v71, v1, v3
	ds_load_b128 v[0:3], v8 offset:256
	v_and_b32_e32 v5, 0xffff, v29
	v_and_b32_e32 v6, 0xffff, v35
	s_wait_dscnt 0x0
	v_lshrrev_b32_e32 v4, 16, v0
	v_and_b32_e32 v0, 0xffff, v0
	;;#ASMSTART
	v_cvt_f32_f16 v0, v0;
	;;#ASMEND
	;;#ASMSTART
	v_cvt_f32_f16 v4, v4;
	;;#ASMEND
	;; [unrolled: 3-line block ×4, first 2 shown]
	v_fmac_f32_e32 v51, v0, v5
	v_fmac_f32_e32 v66, v4, v6
	v_lshrrev_b32_e32 v4, 16, v1
	v_and_b32_e32 v0, 0xffff, v1
	;;#ASMSTART
	v_cvt_f32_f16 v0, v0;
	;;#ASMEND
	;;#ASMSTART
	v_cvt_f32_f16 v1, v4;
	;;#ASMEND
	v_and_b32_e32 v4, 0xffff, v37
	v_and_b32_e32 v5, 0xffff, v38
	;;#ASMSTART
	v_cvt_f32_f16 v4, v4;
	;;#ASMEND
	;;#ASMSTART
	v_cvt_f32_f16 v5, v5;
	;;#ASMEND
	s_delay_alu instid0(VALU_DEP_1)
	v_dual_fmac_f32 v68, v0, v4 :: v_dual_fmac_f32 v67, v1, v5
	v_lshrrev_b32_e32 v1, 16, v2
	v_and_b32_e32 v0, 0xffff, v2
	v_and_b32_e32 v2, 0xffff, v83
	;;#ASMSTART
	v_cvt_f32_f16 v0, v0;
	;;#ASMEND
	;;#ASMSTART
	v_cvt_f32_f16 v1, v1;
	;;#ASMEND
	;; [unrolled: 3-line block ×3, first 2 shown]
	v_and_b32_e32 v4, 0xffff, v23
	;;#ASMSTART
	v_cvt_f32_f16 v4, v4;
	;;#ASMEND
	s_delay_alu instid0(VALU_DEP_1)
	v_dual_fmac_f32 v70, v0, v2 :: v_dual_fmac_f32 v69, v1, v4
	v_lshrrev_b32_e32 v1, 16, v3
	v_and_b32_e32 v0, 0xffff, v3
	v_and_b32_e32 v2, 0xffff, v77
	v_and_b32_e32 v3, 0xffff, v78
	;;#ASMSTART
	v_cvt_f32_f16 v0, v0;
	;;#ASMEND
	;;#ASMSTART
	v_cvt_f32_f16 v1, v1;
	;;#ASMEND
	;; [unrolled: 3-line block ×4, first 2 shown]
	v_dual_fmac_f32 v80, v0, v2 :: v_dual_fmac_f32 v71, v1, v3
	ds_load_b128 v[0:3], v8 offset:272
	v_and_b32_e32 v5, 0xffff, v93
	v_and_b32_e32 v6, 0xffff, v109
	s_wait_dscnt 0x0
	v_lshrrev_b32_e32 v4, 16, v0
	v_and_b32_e32 v0, 0xffff, v0
	;;#ASMSTART
	v_cvt_f32_f16 v0, v0;
	;;#ASMEND
	;;#ASMSTART
	v_cvt_f32_f16 v4, v4;
	;;#ASMEND
	;; [unrolled: 3-line block ×4, first 2 shown]
	v_fmac_f32_e32 v51, v0, v5
	v_fmac_f32_e32 v66, v4, v6
	v_lshrrev_b32_e32 v4, 16, v1
	v_and_b32_e32 v0, 0xffff, v1
	;;#ASMSTART
	v_cvt_f32_f16 v0, v0;
	;;#ASMEND
	;;#ASMSTART
	v_cvt_f32_f16 v1, v4;
	;;#ASMEND
	v_and_b32_e32 v4, 0xffff, v110
	v_and_b32_e32 v5, 0xffff, v121
	;;#ASMSTART
	v_cvt_f32_f16 v4, v4;
	;;#ASMEND
	;;#ASMSTART
	v_cvt_f32_f16 v5, v5;
	;;#ASMEND
	s_delay_alu instid0(VALU_DEP_1)
	v_dual_fmac_f32 v68, v0, v4 :: v_dual_fmac_f32 v67, v1, v5
	v_lshrrev_b32_e32 v1, 16, v2
	v_and_b32_e32 v0, 0xffff, v2
	v_and_b32_e32 v2, 0xffff, v122
	;;#ASMSTART
	v_cvt_f32_f16 v0, v0;
	;;#ASMEND
	;;#ASMSTART
	v_cvt_f32_f16 v1, v1;
	;;#ASMEND
	;; [unrolled: 3-line block ×3, first 2 shown]
	v_and_b32_e32 v4, 0xffff, v189
	;;#ASMSTART
	v_cvt_f32_f16 v4, v4;
	;;#ASMEND
	s_delay_alu instid0(VALU_DEP_1)
	v_dual_fmac_f32 v70, v0, v2 :: v_dual_fmac_f32 v69, v1, v4
	v_lshrrev_b32_e32 v1, 16, v3
	v_and_b32_e32 v0, 0xffff, v3
	v_and_b32_e32 v2, 0xffff, v186
	;; [unrolled: 1-line block ×3, first 2 shown]
	;;#ASMSTART
	v_cvt_f32_f16 v0, v0;
	;;#ASMEND
	;;#ASMSTART
	v_cvt_f32_f16 v1, v1;
	;;#ASMEND
	;; [unrolled: 3-line block ×4, first 2 shown]
	v_dual_fmac_f32 v80, v0, v2 :: v_dual_fmac_f32 v71, v1, v3
	ds_load_b128 v[0:3], v8 offset:288
	v_and_b32_e32 v5, 0xffff, v123
	v_and_b32_e32 v6, 0xffff, v175
	s_wait_dscnt 0x0
	v_lshrrev_b32_e32 v4, 16, v0
	v_and_b32_e32 v0, 0xffff, v0
	;;#ASMSTART
	v_cvt_f32_f16 v0, v0;
	;;#ASMEND
	;;#ASMSTART
	v_cvt_f32_f16 v4, v4;
	;;#ASMEND
	;;#ASMSTART
	v_cvt_f32_f16 v5, v5;
	;;#ASMEND
	;;#ASMSTART
	v_cvt_f32_f16 v6, v6;
	;;#ASMEND
	v_fmac_f32_e32 v51, v0, v5
	v_fmac_f32_e32 v66, v4, v6
	v_lshrrev_b32_e32 v4, 16, v1
	v_and_b32_e32 v0, 0xffff, v1
	;;#ASMSTART
	v_cvt_f32_f16 v0, v0;
	;;#ASMEND
	;;#ASMSTART
	v_cvt_f32_f16 v1, v4;
	;;#ASMEND
	v_and_b32_e32 v4, 0xffff, v172
	v_and_b32_e32 v5, 0xffff, v171
	;;#ASMSTART
	v_cvt_f32_f16 v4, v4;
	;;#ASMEND
	;;#ASMSTART
	v_cvt_f32_f16 v5, v5;
	;;#ASMEND
	s_delay_alu instid0(VALU_DEP_1)
	v_dual_fmac_f32 v68, v0, v4 :: v_dual_fmac_f32 v67, v1, v5
	v_lshrrev_b32_e32 v1, 16, v2
	v_and_b32_e32 v0, 0xffff, v2
	v_and_b32_e32 v2, 0xffff, v170
	;;#ASMSTART
	v_cvt_f32_f16 v0, v0;
	;;#ASMEND
	;;#ASMSTART
	v_cvt_f32_f16 v1, v1;
	;;#ASMEND
	;; [unrolled: 3-line block ×3, first 2 shown]
	v_and_b32_e32 v4, 0xffff, v169
	;;#ASMSTART
	v_cvt_f32_f16 v4, v4;
	;;#ASMEND
	s_delay_alu instid0(VALU_DEP_1)
	v_dual_fmac_f32 v70, v0, v2 :: v_dual_fmac_f32 v69, v1, v4
	v_lshrrev_b32_e32 v1, 16, v3
	v_and_b32_e32 v0, 0xffff, v3
	v_and_b32_e32 v2, 0xffff, v158
	;; [unrolled: 1-line block ×3, first 2 shown]
	;;#ASMSTART
	v_cvt_f32_f16 v0, v0;
	;;#ASMEND
	;;#ASMSTART
	v_cvt_f32_f16 v1, v1;
	;;#ASMEND
	;; [unrolled: 3-line block ×4, first 2 shown]
	v_dual_fmac_f32 v80, v0, v2 :: v_dual_fmac_f32 v71, v1, v3
	ds_load_b128 v[0:3], v8 offset:304
	v_and_b32_e32 v5, 0xffff, v137
	v_and_b32_e32 v6, 0xffff, v155
	s_wait_dscnt 0x0
	v_lshrrev_b32_e32 v4, 16, v0
	v_and_b32_e32 v0, 0xffff, v0
	;;#ASMSTART
	v_cvt_f32_f16 v0, v0;
	;;#ASMEND
	;;#ASMSTART
	v_cvt_f32_f16 v4, v4;
	;;#ASMEND
	;; [unrolled: 3-line block ×4, first 2 shown]
	v_fmac_f32_e32 v51, v0, v5
	v_fmac_f32_e32 v66, v4, v6
	v_lshrrev_b32_e32 v4, 16, v1
	v_and_b32_e32 v0, 0xffff, v1
	;;#ASMSTART
	v_cvt_f32_f16 v0, v0;
	;;#ASMEND
	;;#ASMSTART
	v_cvt_f32_f16 v1, v4;
	;;#ASMEND
	v_and_b32_e32 v4, 0xffff, v152
	v_and_b32_e32 v5, 0xffff, v143
	;;#ASMSTART
	v_cvt_f32_f16 v4, v4;
	;;#ASMEND
	;;#ASMSTART
	v_cvt_f32_f16 v5, v5;
	;;#ASMEND
	s_delay_alu instid0(VALU_DEP_1)
	v_dual_fmac_f32 v68, v0, v4 :: v_dual_fmac_f32 v67, v1, v5
	v_lshrrev_b32_e32 v1, 16, v2
	v_and_b32_e32 v0, 0xffff, v2
	v_and_b32_e32 v2, 0xffff, v142
	;;#ASMSTART
	v_cvt_f32_f16 v0, v0;
	;;#ASMEND
	;;#ASMSTART
	v_cvt_f32_f16 v1, v1;
	;;#ASMEND
	;;#ASMSTART
	v_cvt_f32_f16 v2, v2;
	;;#ASMEND
	v_and_b32_e32 v4, 0xffff, v141
	;;#ASMSTART
	v_cvt_f32_f16 v4, v4;
	;;#ASMEND
	s_delay_alu instid0(VALU_DEP_1)
	v_dual_fmac_f32 v70, v0, v2 :: v_dual_fmac_f32 v69, v1, v4
	v_lshrrev_b32_e32 v1, 16, v3
	v_and_b32_e32 v0, 0xffff, v3
	v_and_b32_e32 v2, 0xffff, v138
	;;#ASMSTART
	v_cvt_f32_f16 v0, v0;
	;;#ASMEND
	;;#ASMSTART
	v_cvt_f32_f16 v1, v1;
	;;#ASMEND
	;; [unrolled: 3-line block ×3, first 2 shown]
	scratch_load_b32 v3, off, s32 offset:496 th:TH_LOAD_LU ; 4-byte Folded Reload
	s_wait_loadcnt 0x0
	v_dual_fmac_f32 v80, v0, v2 :: v_dual_and_b32 v3, 0xffff, v3
	;;#ASMSTART
	v_cvt_f32_f16 v3, v3;
	;;#ASMEND
	s_delay_alu instid0(VALU_DEP_1)
	v_fmac_f32_e32 v71, v1, v3
	ds_load_b128 v[0:3], v8 offset:320
	s_wait_dscnt 0x0
	v_lshrrev_b32_e32 v4, 16, v0
	v_and_b32_e32 v0, 0xffff, v0
	;;#ASMSTART
	v_cvt_f32_f16 v0, v0;
	;;#ASMEND
	;;#ASMSTART
	v_cvt_f32_f16 v4, v4;
	;;#ASMEND
	scratch_load_b32 v5, off, s32 offset:492 th:TH_LOAD_LU ; 4-byte Folded Reload
	s_wait_loadcnt 0x0
	v_and_b32_e32 v5, 0xffff, v5
	;;#ASMSTART
	v_cvt_f32_f16 v5, v5;
	;;#ASMEND
	scratch_load_b32 v6, off, s32 offset:488 th:TH_LOAD_LU ; 4-byte Folded Reload
	v_fmac_f32_e32 v51, v0, v5
	v_and_b32_e32 v0, 0xffff, v1
	s_wait_loadcnt 0x0
	v_and_b32_e32 v6, 0xffff, v6
	;;#ASMSTART
	v_cvt_f32_f16 v6, v6;
	;;#ASMEND
	s_delay_alu instid0(VALU_DEP_1)
	v_fmac_f32_e32 v66, v4, v6
	v_lshrrev_b32_e32 v4, 16, v1
	;;#ASMSTART
	v_cvt_f32_f16 v0, v0;
	;;#ASMEND
	;;#ASMSTART
	v_cvt_f32_f16 v1, v4;
	;;#ASMEND
	scratch_load_b32 v4, off, s32 offset:484 th:TH_LOAD_LU ; 4-byte Folded Reload
	s_wait_loadcnt 0x0
	v_and_b32_e32 v4, 0xffff, v4
	;;#ASMSTART
	v_cvt_f32_f16 v4, v4;
	;;#ASMEND
	scratch_load_b32 v5, off, s32 offset:480 th:TH_LOAD_LU ; 4-byte Folded Reload
	v_fmac_f32_e32 v68, v0, v4
	v_and_b32_e32 v0, 0xffff, v2
	s_wait_loadcnt 0x0
	v_and_b32_e32 v5, 0xffff, v5
	;;#ASMSTART
	v_cvt_f32_f16 v5, v5;
	;;#ASMEND
	s_delay_alu instid0(VALU_DEP_1)
	v_fmac_f32_e32 v67, v1, v5
	v_lshrrev_b32_e32 v1, 16, v2
	;; [unrolled: 23-line block ×3, first 2 shown]
	;;#ASMSTART
	v_cvt_f32_f16 v0, v0;
	;;#ASMEND
	;;#ASMSTART
	v_cvt_f32_f16 v1, v1;
	;;#ASMEND
	scratch_load_b32 v2, off, s32 offset:468 th:TH_LOAD_LU ; 4-byte Folded Reload
	s_wait_loadcnt 0x0
	v_and_b32_e32 v2, 0xffff, v2
	;;#ASMSTART
	v_cvt_f32_f16 v2, v2;
	;;#ASMEND
	scratch_load_b32 v3, off, s32 offset:464 th:TH_LOAD_LU ; 4-byte Folded Reload
	s_wait_loadcnt 0x0
	v_dual_fmac_f32 v80, v0, v2 :: v_dual_and_b32 v3, 0xffff, v3
	;;#ASMSTART
	v_cvt_f32_f16 v3, v3;
	;;#ASMEND
	s_delay_alu instid0(VALU_DEP_1)
	v_fmac_f32_e32 v71, v1, v3
	ds_load_b128 v[0:3], v8 offset:336
	s_wait_dscnt 0x0
	v_lshrrev_b32_e32 v4, 16, v0
	v_and_b32_e32 v0, 0xffff, v0
	;;#ASMSTART
	v_cvt_f32_f16 v0, v0;
	;;#ASMEND
	;;#ASMSTART
	v_cvt_f32_f16 v4, v4;
	;;#ASMEND
	scratch_load_b32 v5, off, s32 offset:460 th:TH_LOAD_LU ; 4-byte Folded Reload
	s_wait_loadcnt 0x0
	v_and_b32_e32 v5, 0xffff, v5
	;;#ASMSTART
	v_cvt_f32_f16 v5, v5;
	;;#ASMEND
	scratch_load_b32 v6, off, s32 offset:456 th:TH_LOAD_LU ; 4-byte Folded Reload
	v_fmac_f32_e32 v51, v0, v5
	v_and_b32_e32 v0, 0xffff, v1
	s_wait_loadcnt 0x0
	v_and_b32_e32 v6, 0xffff, v6
	;;#ASMSTART
	v_cvt_f32_f16 v6, v6;
	;;#ASMEND
	s_delay_alu instid0(VALU_DEP_1)
	v_fmac_f32_e32 v66, v4, v6
	v_lshrrev_b32_e32 v4, 16, v1
	;;#ASMSTART
	v_cvt_f32_f16 v0, v0;
	;;#ASMEND
	;;#ASMSTART
	v_cvt_f32_f16 v1, v4;
	;;#ASMEND
	scratch_load_b32 v4, off, s32 offset:452 th:TH_LOAD_LU ; 4-byte Folded Reload
	s_wait_loadcnt 0x0
	v_and_b32_e32 v4, 0xffff, v4
	;;#ASMSTART
	v_cvt_f32_f16 v4, v4;
	;;#ASMEND
	scratch_load_b32 v5, off, s32 offset:448 th:TH_LOAD_LU ; 4-byte Folded Reload
	v_fmac_f32_e32 v68, v0, v4
	v_and_b32_e32 v0, 0xffff, v2
	s_wait_loadcnt 0x0
	v_and_b32_e32 v5, 0xffff, v5
	;;#ASMSTART
	v_cvt_f32_f16 v5, v5;
	;;#ASMEND
	s_delay_alu instid0(VALU_DEP_1)
	v_fmac_f32_e32 v67, v1, v5
	v_lshrrev_b32_e32 v1, 16, v2
	;; [unrolled: 23-line block ×3, first 2 shown]
	;;#ASMSTART
	v_cvt_f32_f16 v0, v0;
	;;#ASMEND
	;;#ASMSTART
	v_cvt_f32_f16 v1, v1;
	;;#ASMEND
	scratch_load_b32 v2, off, s32 offset:436 th:TH_LOAD_LU ; 4-byte Folded Reload
	s_wait_loadcnt 0x0
	v_and_b32_e32 v2, 0xffff, v2
	;;#ASMSTART
	v_cvt_f32_f16 v2, v2;
	;;#ASMEND
	scratch_load_b32 v3, off, s32 offset:432 th:TH_LOAD_LU ; 4-byte Folded Reload
	s_wait_loadcnt 0x0
	v_dual_fmac_f32 v80, v0, v2 :: v_dual_and_b32 v3, 0xffff, v3
	;;#ASMSTART
	v_cvt_f32_f16 v3, v3;
	;;#ASMEND
	s_delay_alu instid0(VALU_DEP_1)
	v_fmac_f32_e32 v71, v1, v3
	ds_load_b128 v[0:3], v8 offset:352
	s_wait_dscnt 0x0
	v_lshrrev_b32_e32 v4, 16, v0
	v_and_b32_e32 v0, 0xffff, v0
	;;#ASMSTART
	v_cvt_f32_f16 v0, v0;
	;;#ASMEND
	;;#ASMSTART
	v_cvt_f32_f16 v4, v4;
	;;#ASMEND
	scratch_load_b32 v5, off, s32 offset:428 th:TH_LOAD_LU ; 4-byte Folded Reload
	s_wait_loadcnt 0x0
	v_and_b32_e32 v5, 0xffff, v5
	;;#ASMSTART
	v_cvt_f32_f16 v5, v5;
	;;#ASMEND
	scratch_load_b32 v6, off, s32 offset:424 th:TH_LOAD_LU ; 4-byte Folded Reload
	v_fmac_f32_e32 v51, v0, v5
	v_and_b32_e32 v0, 0xffff, v1
	s_wait_loadcnt 0x0
	v_and_b32_e32 v6, 0xffff, v6
	;;#ASMSTART
	v_cvt_f32_f16 v6, v6;
	;;#ASMEND
	s_delay_alu instid0(VALU_DEP_1)
	v_fmac_f32_e32 v66, v4, v6
	v_lshrrev_b32_e32 v4, 16, v1
	;;#ASMSTART
	v_cvt_f32_f16 v0, v0;
	;;#ASMEND
	;;#ASMSTART
	v_cvt_f32_f16 v1, v4;
	;;#ASMEND
	scratch_load_b32 v4, off, s32 offset:420 th:TH_LOAD_LU ; 4-byte Folded Reload
	v_and_b32_e32 v6, 0xffff, v64
	s_wait_loadcnt 0x0
	v_and_b32_e32 v4, 0xffff, v4
	;;#ASMSTART
	v_cvt_f32_f16 v4, v4;
	;;#ASMEND
	scratch_load_b32 v5, off, s32 offset:416 th:TH_LOAD_LU ; 4-byte Folded Reload
	v_fmac_f32_e32 v68, v0, v4
	v_and_b32_e32 v0, 0xffff, v2
	s_wait_loadcnt 0x0
	v_and_b32_e32 v5, 0xffff, v5
	;;#ASMSTART
	v_cvt_f32_f16 v5, v5;
	;;#ASMEND
	s_delay_alu instid0(VALU_DEP_1)
	v_fmac_f32_e32 v67, v1, v5
	v_lshrrev_b32_e32 v1, 16, v2
	;;#ASMSTART
	v_cvt_f32_f16 v0, v0;
	;;#ASMEND
	;;#ASMSTART
	v_cvt_f32_f16 v1, v1;
	;;#ASMEND
	scratch_load_b32 v2, off, s32 offset:412 th:TH_LOAD_LU ; 4-byte Folded Reload
	v_and_b32_e32 v5, 0xffff, v65
	s_wait_loadcnt 0x0
	v_and_b32_e32 v2, 0xffff, v2
	;;#ASMSTART
	v_cvt_f32_f16 v2, v2;
	;;#ASMEND
	scratch_load_b32 v4, off, s32 offset:408 th:TH_LOAD_LU ; 4-byte Folded Reload
	v_fmac_f32_e32 v70, v0, v2
	v_and_b32_e32 v0, 0xffff, v3
	s_wait_loadcnt 0x0
	v_and_b32_e32 v4, 0xffff, v4
	;;#ASMSTART
	v_cvt_f32_f16 v4, v4;
	;;#ASMEND
	s_delay_alu instid0(VALU_DEP_1)
	v_fmac_f32_e32 v69, v1, v4
	v_lshrrev_b32_e32 v1, 16, v3
	;;#ASMSTART
	v_cvt_f32_f16 v0, v0;
	;;#ASMEND
	;;#ASMSTART
	v_cvt_f32_f16 v1, v1;
	;;#ASMEND
	scratch_load_b32 v2, off, s32 offset:404 th:TH_LOAD_LU ; 4-byte Folded Reload
	s_wait_loadcnt 0x0
	v_and_b32_e32 v2, 0xffff, v2
	;;#ASMSTART
	v_cvt_f32_f16 v2, v2;
	;;#ASMEND
	scratch_load_b32 v3, off, s32 offset:400 th:TH_LOAD_LU ; 4-byte Folded Reload
	s_wait_loadcnt 0x0
	v_dual_fmac_f32 v80, v0, v2 :: v_dual_and_b32 v3, 0xffff, v3
	;;#ASMSTART
	v_cvt_f32_f16 v3, v3;
	;;#ASMEND
	s_delay_alu instid0(VALU_DEP_1)
	v_fmac_f32_e32 v71, v1, v3
	ds_load_b128 v[0:3], v8 offset:368
	s_wait_dscnt 0x0
	v_lshrrev_b32_e32 v4, 16, v0
	v_and_b32_e32 v0, 0xffff, v0
	;;#ASMSTART
	v_cvt_f32_f16 v0, v0;
	;;#ASMEND
	;;#ASMSTART
	v_cvt_f32_f16 v4, v4;
	;;#ASMEND
	;; [unrolled: 3-line block ×4, first 2 shown]
	v_fmac_f32_e32 v51, v0, v5
	v_fmac_f32_e32 v66, v4, v6
	v_lshrrev_b32_e32 v4, 16, v1
	v_and_b32_e32 v0, 0xffff, v1
	;;#ASMSTART
	v_cvt_f32_f16 v0, v0;
	;;#ASMEND
	;;#ASMSTART
	v_cvt_f32_f16 v1, v4;
	;;#ASMEND
	v_and_b32_e32 v4, 0xffff, v55
	v_and_b32_e32 v5, 0xffff, v63
	;;#ASMSTART
	v_cvt_f32_f16 v4, v4;
	;;#ASMEND
	;;#ASMSTART
	v_cvt_f32_f16 v5, v5;
	;;#ASMEND
	s_delay_alu instid0(VALU_DEP_1)
	v_dual_fmac_f32 v68, v0, v4 :: v_dual_fmac_f32 v67, v1, v5
	v_lshrrev_b32_e32 v1, 16, v2
	v_and_b32_e32 v0, 0xffff, v2
	;;#ASMSTART
	v_cvt_f32_f16 v0, v0;
	;;#ASMEND
	;;#ASMSTART
	v_cvt_f32_f16 v1, v1;
	;;#ASMEND
	v_and_b32_e32 v2, 0xffff, v53
	v_and_b32_e32 v4, 0xffff, v73
	;;#ASMSTART
	v_cvt_f32_f16 v2, v2;
	;;#ASMEND
	;;#ASMSTART
	v_cvt_f32_f16 v4, v4;
	;;#ASMEND
	s_delay_alu instid0(VALU_DEP_1)
	v_dual_fmac_f32 v70, v0, v2 :: v_dual_fmac_f32 v69, v1, v4
	v_lshrrev_b32_e32 v1, 16, v3
	v_and_b32_e32 v0, 0xffff, v3
	;;#ASMSTART
	v_cvt_f32_f16 v0, v0;
	;;#ASMEND
	;;#ASMSTART
	v_cvt_f32_f16 v1, v1;
	;;#ASMEND
	v_and_b32_e32 v2, 0xffff, v136
	v_and_b32_e32 v3, 0xffff, v82
	;;#ASMSTART
	v_cvt_f32_f16 v2, v2;
	;;#ASMEND
	;;#ASMSTART
	v_cvt_f32_f16 v3, v3;
	;;#ASMEND
	s_delay_alu instid0(VALU_DEP_1)
	v_fmac_f32_e32 v71, v1, v3
	s_clause 0x2
	scratch_load_b32 v1, off, s32 offset:508
	scratch_load_b32 v47, off, s32 offset:520
	scratch_load_b32 v21, off, s32 offset:396 th:TH_LOAD_LU
	v_fmac_f32_e32 v80, v0, v2
	v_add_f32_e32 v0, v51, v66
	s_delay_alu instid0(VALU_DEP_1) | instskip(NEXT) | instid1(VALU_DEP_1)
	v_add_f32_e32 v0, v0, v68
	v_add_f32_e32 v0, v67, v0
	s_delay_alu instid0(VALU_DEP_1) | instskip(NEXT) | instid1(VALU_DEP_1)
	v_add_f32_e32 v0, v0, v70
	;; [unrolled: 3-line block ×3, first 2 shown]
	v_add_f32_e32 v0, v71, v0
	s_wait_loadcnt 0x2
	s_delay_alu instid0(VALU_DEP_1) | instskip(SKIP_1) | instid1(VALU_DEP_1)
	v_fmac_f32_e32 v7, v1, v0
	s_wait_alu 0xf1ff
	v_cndmask_b32_e64 v0, 0, v7, s1
	ds_store_b32 v184, v0
	s_wait_loadcnt 0x0
	v_max_num_f32_e32 v0, v21, v21
	v_add_nc_u32_e32 v184, 0x200, v184
	s_delay_alu instid0(VALU_DEP_2) | instskip(NEXT) | instid1(VALU_DEP_1)
	v_max_num_f32_e32 v0, v0, v7
	v_cndmask_b32_e64 v21, v21, v0, s1
	v_add_co_u32 v45, s1, v45, 16
	s_wait_alu 0xf1ff
	v_add_co_ci_u32_e64 v46, null, 0, v46, s1
	v_cmp_ge_i32_e64 s1, v190, v47
	s_or_b32 s7, s1, s7
	s_wait_alu 0xfffe
	s_and_not1_b32 exec_lo, exec_lo, s7
	s_cbranch_execz .LBB309_1544
.LBB309_11:                             ; =>This Inner Loop Header: Depth=1
	s_clause 0x1
	scratch_store_b32 off, v190, s32 offset:384
	scratch_store_b32 off, v184, s32 offset:380
	flat_load_b32 v0, v[45:46]
	s_clause 0x1
	scratch_load_b32 v1, off, s32 offset:516
	scratch_load_b64 v[2:3], off, s32 offset:524
	s_mov_b32 s16, exec_lo
	v_mov_b32_e32 v191, 0
	s_wait_loadcnt_dscnt 0x0
	v_mad_co_i64_i32 v[28:29], null, v0, v1, v[2:3]
	flat_load_b64 v[30:31], v[28:29]
	scratch_load_b64 v[0:1], off, s32 offset:500 ; 8-byte Folded Reload
	s_wait_loadcnt 0x0
	flat_load_b32 v51, v[0:1]
	s_wait_dscnt 0x1
	v_and_b32_e32 v0, 0xff, v30
	s_delay_alu instid0(VALU_DEP_1)
	v_cmpx_ne_u16_e32 0, v0
	s_cbranch_execz .LBB309_19
; %bb.12:                               ;   in Loop: Header=BB309_11 Depth=1
	v_mov_b32_e32 v191, 0x8000
	s_mov_b32 s17, exec_lo
	v_cmpx_ne_u16_e32 0x80, v0
	s_cbranch_execz .LBB309_18
; %bb.13:                               ;   in Loop: Header=BB309_11 Depth=1
	v_and_b32_e32 v2, 0x7f, v30
	v_mov_b32_e32 v191, 0x7c01
	s_mov_b32 s18, exec_lo
	s_delay_alu instid0(VALU_DEP_2)
	v_cmpx_ne_u32_e32 0x7f, v2
	s_cbranch_execz .LBB309_17
; %bb.14:                               ;   in Loop: Header=BB309_11 Depth=1
	v_and_b32_e32 v0, 7, v30
	v_lshrrev_b32_e32 v1, 3, v2
	s_mov_b32 s19, exec_lo
	v_cmpx_gt_u32_e32 8, v2
; %bb.15:                               ;   in Loop: Header=BB309_11 Depth=1
	s_delay_alu instid0(VALU_DEP_3) | instskip(NEXT) | instid1(VALU_DEP_1)
	v_clz_i32_u32_e32 v0, v0
	v_min_u32_e32 v2, 32, v0
	s_delay_alu instid0(VALU_DEP_1) | instskip(NEXT) | instid1(VALU_DEP_1)
	v_subrev_nc_u32_e32 v0, 28, v2
	v_lshlrev_b64_e32 v[0:1], v0, v[30:31]
	v_sub_nc_u32_e32 v1, 29, v2
	s_delay_alu instid0(VALU_DEP_2)
	v_and_b32_e32 v0, 7, v0
; %bb.16:                               ;   in Loop: Header=BB309_11 Depth=1
	s_wait_alu 0xfffe
	s_or_b32 exec_lo, exec_lo, s19
	v_lshlrev_b32_e32 v2, 8, v30
	v_lshl_add_u32 v1, v1, 10, 0x2000
	v_lshlrev_b32_e32 v0, 7, v0
	s_delay_alu instid0(VALU_DEP_3) | instskip(NEXT) | instid1(VALU_DEP_3)
	v_and_b32_e32 v2, 0x8000, v2
	v_and_b32_e32 v1, 0xfc00, v1
	s_delay_alu instid0(VALU_DEP_1)
	v_or3_b32 v191, v2, v1, v0
.LBB309_17:                             ;   in Loop: Header=BB309_11 Depth=1
	s_wait_alu 0xfffe
	s_or_b32 exec_lo, exec_lo, s18
.LBB309_18:                             ;   in Loop: Header=BB309_11 Depth=1
	s_wait_alu 0xfffe
	s_or_b32 exec_lo, exec_lo, s17
.LBB309_19:                             ;   in Loop: Header=BB309_11 Depth=1
	s_wait_alu 0xfffe
	s_or_b32 exec_lo, exec_lo, s16
	v_lshrrev_b16 v7, 8, v30
	v_dual_mov_b32 v0, 0 :: v_dual_mov_b32 v127, 0
	s_mov_b32 s16, exec_lo
	scratch_store_b32 off, v0, s32 offset:320 ; 4-byte Folded Spill
	v_cmpx_ne_u16_e32 0, v7
	s_cbranch_execz .LBB309_27
; %bb.20:                               ;   in Loop: Header=BB309_11 Depth=1
	v_bfrev_b32_e32 v127, 1
	s_mov_b32 s17, exec_lo
	v_cmpx_ne_u16_e32 0x80, v7
	s_cbranch_execz .LBB309_26
; %bb.21:                               ;   in Loop: Header=BB309_11 Depth=1
	v_and_b32_e32 v0, 0xffff, v7
	v_mov_b32_e32 v127, 0x7c010000
	s_mov_b32 s18, exec_lo
	s_delay_alu instid0(VALU_DEP_2) | instskip(NEXT) | instid1(VALU_DEP_1)
	v_and_b32_e32 v3, 0x7f, v0
	v_cmpx_ne_u32_e32 0x7f, v3
	s_cbranch_execz .LBB309_25
; %bb.22:                               ;   in Loop: Header=BB309_11 Depth=1
	v_and_b32_e32 v1, 7, v0
	v_lshrrev_b32_e32 v2, 3, v3
	s_mov_b32 s19, exec_lo
	v_cmpx_gt_u32_e32 8, v3
; %bb.23:                               ;   in Loop: Header=BB309_11 Depth=1
	s_delay_alu instid0(VALU_DEP_3) | instskip(NEXT) | instid1(VALU_DEP_1)
	v_clz_i32_u32_e32 v1, v1
	v_min_u32_e32 v3, 32, v1
	s_delay_alu instid0(VALU_DEP_1) | instskip(NEXT) | instid1(VALU_DEP_1)
	v_subrev_nc_u32_e32 v1, 28, v3
	v_lshlrev_b64_e32 v[1:2], v1, v[7:8]
	v_sub_nc_u32_e32 v2, 29, v3
	s_delay_alu instid0(VALU_DEP_2)
	v_and_b32_e32 v1, 7, v1
; %bb.24:                               ;   in Loop: Header=BB309_11 Depth=1
	s_wait_alu 0xfffe
	s_or_b32 exec_lo, exec_lo, s19
	v_lshlrev_b32_e32 v0, 8, v0
	v_lshl_add_u32 v2, v2, 10, 0x2000
	v_lshlrev_b32_e32 v1, 23, v1
	s_delay_alu instid0(VALU_DEP_2) | instskip(NEXT) | instid1(VALU_DEP_1)
	v_and_or_b32 v0, 0x8000, v0, v2
	v_lshl_or_b32 v127, v0, 16, v1
.LBB309_25:                             ;   in Loop: Header=BB309_11 Depth=1
	s_wait_alu 0xfffe
	s_or_b32 exec_lo, exec_lo, s18
.LBB309_26:                             ;   in Loop: Header=BB309_11 Depth=1
	s_wait_alu 0xfffe
	s_or_b32 exec_lo, exec_lo, s17
.LBB309_27:                             ;   in Loop: Header=BB309_11 Depth=1
	s_wait_alu 0xfffe
	s_or_b32 exec_lo, exec_lo, s16
	v_lshrrev_b32_e32 v7, 16, v30
	s_mov_b32 s16, exec_lo
	s_delay_alu instid0(VALU_DEP_1) | instskip(NEXT) | instid1(VALU_DEP_1)
	v_and_b32_e32 v0, 0xff, v7
	v_cmpx_ne_u16_e32 0, v0
	s_cbranch_execz .LBB309_35
; %bb.28:                               ;   in Loop: Header=BB309_11 Depth=1
	v_cmp_ne_u16_e64 s1, 0x80, v0
	v_mov_b32_e32 v0, 0x8000
	scratch_store_b32 off, v0, s32 offset:320 ; 4-byte Folded Spill
	s_and_saveexec_b32 s17, s1
	s_cbranch_execz .LBB309_34
; %bb.29:                               ;   in Loop: Header=BB309_11 Depth=1
	v_bfe_u32 v2, v30, 16, 7
	v_mov_b32_e32 v0, 0x7c01
	s_mov_b32 s18, exec_lo
	scratch_store_b32 off, v0, s32 offset:320 ; 4-byte Folded Spill
	v_cmpx_ne_u32_e32 0x7f, v2
	s_cbranch_execz .LBB309_33
; %bb.30:                               ;   in Loop: Header=BB309_11 Depth=1
	v_and_b32_e32 v0, 7, v7
	v_lshrrev_b32_e32 v1, 3, v2
	s_mov_b32 s19, exec_lo
	v_cmpx_gt_u32_e32 8, v2
; %bb.31:                               ;   in Loop: Header=BB309_11 Depth=1
	s_delay_alu instid0(VALU_DEP_3) | instskip(NEXT) | instid1(VALU_DEP_1)
	v_clz_i32_u32_e32 v0, v0
	v_min_u32_e32 v2, 32, v0
	s_delay_alu instid0(VALU_DEP_1) | instskip(NEXT) | instid1(VALU_DEP_1)
	v_subrev_nc_u32_e32 v0, 28, v2
	v_lshlrev_b64_e32 v[0:1], v0, v[7:8]
	v_sub_nc_u32_e32 v1, 29, v2
	s_delay_alu instid0(VALU_DEP_2)
	v_and_b32_e32 v0, 7, v0
; %bb.32:                               ;   in Loop: Header=BB309_11 Depth=1
	s_wait_alu 0xfffe
	s_or_b32 exec_lo, exec_lo, s19
	v_lshlrev_b32_e32 v2, 8, v7
	v_lshl_add_u32 v1, v1, 10, 0x2000
	v_lshlrev_b32_e32 v0, 7, v0
	s_delay_alu instid0(VALU_DEP_3) | instskip(NEXT) | instid1(VALU_DEP_3)
	v_and_b32_e32 v2, 0x8000, v2
	v_and_b32_e32 v1, 0xfc00, v1
	s_delay_alu instid0(VALU_DEP_1)
	v_or3_b32 v0, v2, v1, v0
	scratch_store_b32 off, v0, s32 offset:320 ; 4-byte Folded Spill
.LBB309_33:                             ;   in Loop: Header=BB309_11 Depth=1
	s_wait_alu 0xfffe
	s_or_b32 exec_lo, exec_lo, s18
.LBB309_34:                             ;   in Loop: Header=BB309_11 Depth=1
	s_wait_alu 0xfffe
	s_or_b32 exec_lo, exec_lo, s17
.LBB309_35:                             ;   in Loop: Header=BB309_11 Depth=1
	s_wait_alu 0xfffe
	s_or_b32 exec_lo, exec_lo, s16
	v_mov_b32_e32 v0, 0
	s_mov_b32 s16, exec_lo
	scratch_store_b32 off, v0, s32 offset:324 ; 4-byte Folded Spill
	v_mov_b32_e32 v0, 0
	scratch_store_b32 off, v0, s32 offset:328 ; 4-byte Folded Spill
	v_cmpx_lt_u32_e32 0xffffff, v30
	s_cbranch_execz .LBB309_43
; %bb.36:                               ;   in Loop: Header=BB309_11 Depth=1
	v_lshrrev_b32_e32 v7, 24, v30
	v_bfrev_b32_e32 v0, 1
	s_mov_b32 s17, exec_lo
	scratch_store_b32 off, v0, s32 offset:328 ; 4-byte Folded Spill
	v_cmpx_ne_u32_e32 0x80, v7
	s_cbranch_execz .LBB309_42
; %bb.37:                               ;   in Loop: Header=BB309_11 Depth=1
	v_and_b32_e32 v2, 0x7f, v7
	v_mov_b32_e32 v0, 0x7c010000
	s_mov_b32 s18, exec_lo
	scratch_store_b32 off, v0, s32 offset:328 ; 4-byte Folded Spill
	v_cmpx_ne_u32_e32 0x7f, v2
	s_cbranch_execz .LBB309_41
; %bb.38:                               ;   in Loop: Header=BB309_11 Depth=1
	v_and_b32_e32 v0, 7, v7
	v_lshrrev_b32_e32 v1, 3, v2
	s_mov_b32 s19, exec_lo
	v_cmpx_gt_u32_e32 8, v2
; %bb.39:                               ;   in Loop: Header=BB309_11 Depth=1
	s_delay_alu instid0(VALU_DEP_3) | instskip(NEXT) | instid1(VALU_DEP_1)
	v_clz_i32_u32_e32 v0, v0
	v_min_u32_e32 v2, 32, v0
	s_delay_alu instid0(VALU_DEP_1) | instskip(NEXT) | instid1(VALU_DEP_1)
	v_subrev_nc_u32_e32 v0, 28, v2
	v_lshlrev_b64_e32 v[0:1], v0, v[7:8]
	v_sub_nc_u32_e32 v1, 29, v2
	s_delay_alu instid0(VALU_DEP_2)
	v_and_b32_e32 v0, 7, v0
; %bb.40:                               ;   in Loop: Header=BB309_11 Depth=1
	s_wait_alu 0xfffe
	s_or_b32 exec_lo, exec_lo, s19
	v_lshlrev_b32_e32 v2, 8, v7
	v_lshl_add_u32 v1, v1, 10, 0x2000
	v_lshlrev_b32_e32 v0, 23, v0
	s_delay_alu instid0(VALU_DEP_2) | instskip(NEXT) | instid1(VALU_DEP_1)
	v_and_or_b32 v1, 0x8000, v2, v1
	v_lshl_or_b32 v0, v1, 16, v0
	scratch_store_b32 off, v0, s32 offset:328 ; 4-byte Folded Spill
.LBB309_41:                             ;   in Loop: Header=BB309_11 Depth=1
	s_wait_alu 0xfffe
	s_or_b32 exec_lo, exec_lo, s18
.LBB309_42:                             ;   in Loop: Header=BB309_11 Depth=1
	s_wait_alu 0xfffe
	s_or_b32 exec_lo, exec_lo, s17
.LBB309_43:                             ;   in Loop: Header=BB309_11 Depth=1
	s_wait_alu 0xfffe
	s_or_b32 exec_lo, exec_lo, s16
	v_dual_mov_b32 v7, v31 :: v_dual_and_b32 v0, 0xff, v31
	s_mov_b32 s16, exec_lo
	s_delay_alu instid0(VALU_DEP_1)
	v_cmpx_ne_u16_e32 0, v0
	s_cbranch_execz .LBB309_51
; %bb.44:                               ;   in Loop: Header=BB309_11 Depth=1
	v_cmp_ne_u16_e64 s1, 0x80, v0
	v_mov_b32_e32 v0, 0x8000
	scratch_store_b32 off, v0, s32 offset:324 ; 4-byte Folded Spill
	s_and_saveexec_b32 s17, s1
	s_cbranch_execz .LBB309_50
; %bb.45:                               ;   in Loop: Header=BB309_11 Depth=1
	v_and_b32_e32 v2, 0x7f, v31
	v_mov_b32_e32 v0, 0x7c01
	s_mov_b32 s18, exec_lo
	scratch_store_b32 off, v0, s32 offset:324 ; 4-byte Folded Spill
	v_cmpx_ne_u32_e32 0x7f, v2
	s_cbranch_execz .LBB309_49
; %bb.46:                               ;   in Loop: Header=BB309_11 Depth=1
	v_and_b32_e32 v0, 7, v31
	v_lshrrev_b32_e32 v1, 3, v2
	s_mov_b32 s19, exec_lo
	v_cmpx_gt_u32_e32 8, v2
; %bb.47:                               ;   in Loop: Header=BB309_11 Depth=1
	s_delay_alu instid0(VALU_DEP_3) | instskip(NEXT) | instid1(VALU_DEP_1)
	v_clz_i32_u32_e32 v0, v0
	v_min_u32_e32 v2, 32, v0
	s_delay_alu instid0(VALU_DEP_1) | instskip(NEXT) | instid1(VALU_DEP_1)
	v_subrev_nc_u32_e32 v0, 28, v2
	v_lshlrev_b64_e32 v[0:1], v0, v[7:8]
	v_sub_nc_u32_e32 v1, 29, v2
	s_delay_alu instid0(VALU_DEP_2)
	v_and_b32_e32 v0, 7, v0
; %bb.48:                               ;   in Loop: Header=BB309_11 Depth=1
	s_wait_alu 0xfffe
	s_or_b32 exec_lo, exec_lo, s19
	v_lshlrev_b32_e32 v2, 8, v31
	v_lshl_add_u32 v1, v1, 10, 0x2000
	v_lshlrev_b32_e32 v0, 7, v0
	s_delay_alu instid0(VALU_DEP_3) | instskip(NEXT) | instid1(VALU_DEP_3)
	v_and_b32_e32 v2, 0x8000, v2
	v_and_b32_e32 v1, 0xfc00, v1
	s_delay_alu instid0(VALU_DEP_1)
	v_or3_b32 v0, v2, v1, v0
	scratch_store_b32 off, v0, s32 offset:324 ; 4-byte Folded Spill
.LBB309_49:                             ;   in Loop: Header=BB309_11 Depth=1
	s_wait_alu 0xfffe
	s_or_b32 exec_lo, exec_lo, s18
.LBB309_50:                             ;   in Loop: Header=BB309_11 Depth=1
	s_wait_alu 0xfffe
	s_or_b32 exec_lo, exec_lo, s17
.LBB309_51:                             ;   in Loop: Header=BB309_11 Depth=1
	s_wait_alu 0xfffe
	s_or_b32 exec_lo, exec_lo, s16
	v_mov_b32_e32 v0, 0
	v_lshrrev_b16 v7, 8, v7
	s_mov_b32 s16, exec_lo
	scratch_store_b32 off, v0, s32 offset:332 ; 4-byte Folded Spill
	v_mov_b32_e32 v0, 0
	scratch_store_b32 off, v0, s32 offset:336 ; 4-byte Folded Spill
	v_cmpx_ne_u16_e32 0, v7
	s_cbranch_execz .LBB309_59
; %bb.52:                               ;   in Loop: Header=BB309_11 Depth=1
	v_bfrev_b32_e32 v0, 1
	s_mov_b32 s17, exec_lo
	scratch_store_b32 off, v0, s32 offset:336 ; 4-byte Folded Spill
	v_cmpx_ne_u16_e32 0x80, v7
	s_cbranch_execz .LBB309_58
; %bb.53:                               ;   in Loop: Header=BB309_11 Depth=1
	v_and_b32_e32 v0, 0xffff, v7
	v_mov_b32_e32 v1, 0x7c010000
	s_mov_b32 s18, exec_lo
	s_delay_alu instid0(VALU_DEP_2)
	v_and_b32_e32 v3, 0x7f, v0
	scratch_store_b32 off, v1, s32 offset:336 ; 4-byte Folded Spill
	v_cmpx_ne_u32_e32 0x7f, v3
	s_cbranch_execz .LBB309_57
; %bb.54:                               ;   in Loop: Header=BB309_11 Depth=1
	v_and_b32_e32 v1, 7, v0
	v_lshrrev_b32_e32 v2, 3, v3
	s_mov_b32 s19, exec_lo
	v_cmpx_gt_u32_e32 8, v3
; %bb.55:                               ;   in Loop: Header=BB309_11 Depth=1
	s_delay_alu instid0(VALU_DEP_3) | instskip(NEXT) | instid1(VALU_DEP_1)
	v_clz_i32_u32_e32 v1, v1
	v_min_u32_e32 v3, 32, v1
	s_delay_alu instid0(VALU_DEP_1) | instskip(NEXT) | instid1(VALU_DEP_1)
	v_subrev_nc_u32_e32 v1, 28, v3
	v_lshlrev_b64_e32 v[1:2], v1, v[7:8]
	v_sub_nc_u32_e32 v2, 29, v3
	s_delay_alu instid0(VALU_DEP_2)
	v_and_b32_e32 v1, 7, v1
; %bb.56:                               ;   in Loop: Header=BB309_11 Depth=1
	s_wait_alu 0xfffe
	s_or_b32 exec_lo, exec_lo, s19
	v_lshlrev_b32_e32 v0, 8, v0
	v_lshl_add_u32 v2, v2, 10, 0x2000
	v_lshlrev_b32_e32 v1, 23, v1
	s_delay_alu instid0(VALU_DEP_2) | instskip(NEXT) | instid1(VALU_DEP_1)
	v_and_or_b32 v0, 0x8000, v0, v2
	v_lshl_or_b32 v0, v0, 16, v1
	scratch_store_b32 off, v0, s32 offset:336 ; 4-byte Folded Spill
.LBB309_57:                             ;   in Loop: Header=BB309_11 Depth=1
	s_wait_alu 0xfffe
	s_or_b32 exec_lo, exec_lo, s18
.LBB309_58:                             ;   in Loop: Header=BB309_11 Depth=1
	s_wait_alu 0xfffe
	s_or_b32 exec_lo, exec_lo, s17
.LBB309_59:                             ;   in Loop: Header=BB309_11 Depth=1
	s_wait_alu 0xfffe
	s_or_b32 exec_lo, exec_lo, s16
	v_lshrrev_b32_e32 v7, 16, v31
	s_mov_b32 s16, exec_lo
	s_delay_alu instid0(VALU_DEP_1) | instskip(NEXT) | instid1(VALU_DEP_1)
	v_and_b32_e32 v0, 0xff, v7
	v_cmpx_ne_u16_e32 0, v0
	s_cbranch_execz .LBB309_67
; %bb.60:                               ;   in Loop: Header=BB309_11 Depth=1
	v_cmp_ne_u16_e64 s1, 0x80, v0
	v_mov_b32_e32 v0, 0x8000
	scratch_store_b32 off, v0, s32 offset:332 ; 4-byte Folded Spill
	s_and_saveexec_b32 s17, s1
	s_cbranch_execz .LBB309_66
; %bb.61:                               ;   in Loop: Header=BB309_11 Depth=1
	v_bfe_u32 v2, v31, 16, 7
	v_mov_b32_e32 v0, 0x7c01
	s_mov_b32 s18, exec_lo
	scratch_store_b32 off, v0, s32 offset:332 ; 4-byte Folded Spill
	v_cmpx_ne_u32_e32 0x7f, v2
	s_cbranch_execz .LBB309_65
; %bb.62:                               ;   in Loop: Header=BB309_11 Depth=1
	v_and_b32_e32 v0, 7, v7
	v_lshrrev_b32_e32 v1, 3, v2
	s_mov_b32 s19, exec_lo
	v_cmpx_gt_u32_e32 8, v2
; %bb.63:                               ;   in Loop: Header=BB309_11 Depth=1
	s_delay_alu instid0(VALU_DEP_3) | instskip(NEXT) | instid1(VALU_DEP_1)
	v_clz_i32_u32_e32 v0, v0
	v_min_u32_e32 v2, 32, v0
	s_delay_alu instid0(VALU_DEP_1) | instskip(NEXT) | instid1(VALU_DEP_1)
	v_subrev_nc_u32_e32 v0, 28, v2
	v_lshlrev_b64_e32 v[0:1], v0, v[7:8]
	v_sub_nc_u32_e32 v1, 29, v2
	s_delay_alu instid0(VALU_DEP_2)
	v_and_b32_e32 v0, 7, v0
; %bb.64:                               ;   in Loop: Header=BB309_11 Depth=1
	s_wait_alu 0xfffe
	s_or_b32 exec_lo, exec_lo, s19
	v_lshlrev_b32_e32 v2, 8, v7
	v_lshl_add_u32 v1, v1, 10, 0x2000
	v_lshlrev_b32_e32 v0, 7, v0
	s_delay_alu instid0(VALU_DEP_3) | instskip(NEXT) | instid1(VALU_DEP_3)
	v_and_b32_e32 v2, 0x8000, v2
	v_and_b32_e32 v1, 0xfc00, v1
	s_delay_alu instid0(VALU_DEP_1)
	v_or3_b32 v0, v2, v1, v0
	scratch_store_b32 off, v0, s32 offset:332 ; 4-byte Folded Spill
.LBB309_65:                             ;   in Loop: Header=BB309_11 Depth=1
	s_wait_alu 0xfffe
	s_or_b32 exec_lo, exec_lo, s18
.LBB309_66:                             ;   in Loop: Header=BB309_11 Depth=1
	s_wait_alu 0xfffe
	s_or_b32 exec_lo, exec_lo, s17
.LBB309_67:                             ;   in Loop: Header=BB309_11 Depth=1
	s_wait_alu 0xfffe
	s_or_b32 exec_lo, exec_lo, s16
	v_mov_b32_e32 v0, 0
	s_mov_b32 s16, exec_lo
	scratch_store_b32 off, v0, s32 offset:340 ; 4-byte Folded Spill
	v_mov_b32_e32 v0, 0
	scratch_store_b32 off, v0, s32 offset:388 ; 4-byte Folded Spill
	v_cmpx_lt_u64_e64 s[2:3], v[30:31]
	s_cbranch_execz .LBB309_75
; %bb.68:                               ;   in Loop: Header=BB309_11 Depth=1
	v_lshrrev_b32_e32 v7, 24, v31
	v_bfrev_b32_e32 v0, 1
	s_mov_b32 s17, exec_lo
	s_delay_alu instid0(VALU_DEP_2)
	v_cmpx_ne_u32_e32 0x80, v7
	s_cbranch_execz .LBB309_74
; %bb.69:                               ;   in Loop: Header=BB309_11 Depth=1
	v_and_b32_e32 v2, 0x7f, v7
	v_mov_b32_e32 v0, 0x7c010000
	s_mov_b32 s18, exec_lo
	s_delay_alu instid0(VALU_DEP_2)
	v_cmpx_ne_u32_e32 0x7f, v2
	s_cbranch_execz .LBB309_73
; %bb.70:                               ;   in Loop: Header=BB309_11 Depth=1
	v_and_b32_e32 v0, 7, v7
	v_lshrrev_b32_e32 v1, 3, v2
	s_mov_b32 s19, exec_lo
	v_cmpx_gt_u32_e32 8, v2
; %bb.71:                               ;   in Loop: Header=BB309_11 Depth=1
	s_delay_alu instid0(VALU_DEP_3) | instskip(NEXT) | instid1(VALU_DEP_1)
	v_clz_i32_u32_e32 v0, v0
	v_min_u32_e32 v2, 32, v0
	s_delay_alu instid0(VALU_DEP_1) | instskip(NEXT) | instid1(VALU_DEP_1)
	v_subrev_nc_u32_e32 v0, 28, v2
	v_lshlrev_b64_e32 v[0:1], v0, v[7:8]
	v_sub_nc_u32_e32 v1, 29, v2
	s_delay_alu instid0(VALU_DEP_2)
	v_and_b32_e32 v0, 7, v0
; %bb.72:                               ;   in Loop: Header=BB309_11 Depth=1
	s_wait_alu 0xfffe
	s_or_b32 exec_lo, exec_lo, s19
	v_lshlrev_b32_e32 v2, 8, v7
	v_lshl_add_u32 v1, v1, 10, 0x2000
	v_lshlrev_b32_e32 v0, 23, v0
	s_delay_alu instid0(VALU_DEP_2) | instskip(NEXT) | instid1(VALU_DEP_1)
	v_and_or_b32 v1, 0x8000, v2, v1
	v_lshl_or_b32 v0, v1, 16, v0
.LBB309_73:                             ;   in Loop: Header=BB309_11 Depth=1
	s_wait_alu 0xfffe
	s_or_b32 exec_lo, exec_lo, s18
.LBB309_74:                             ;   in Loop: Header=BB309_11 Depth=1
	s_wait_alu 0xfffe
	s_or_b32 exec_lo, exec_lo, s17
	scratch_store_b32 off, v0, s32 offset:388 ; 4-byte Folded Spill
.LBB309_75:                             ;   in Loop: Header=BB309_11 Depth=1
	s_wait_alu 0xfffe
	s_or_b32 exec_lo, exec_lo, s16
	flat_load_b64 v[30:31], v[28:29] offset:8
	s_mov_b32 s16, exec_lo
	s_wait_loadcnt_dscnt 0x0
	v_and_b32_e32 v0, 0xff, v30
	s_delay_alu instid0(VALU_DEP_1)
	v_cmpx_ne_u16_e32 0, v0
	s_cbranch_execz .LBB309_83
; %bb.76:                               ;   in Loop: Header=BB309_11 Depth=1
	v_cmp_ne_u16_e64 s1, 0x80, v0
	v_mov_b32_e32 v0, 0x8000
	scratch_store_b32 off, v0, s32 offset:340 ; 4-byte Folded Spill
	s_and_saveexec_b32 s17, s1
	s_cbranch_execz .LBB309_82
; %bb.77:                               ;   in Loop: Header=BB309_11 Depth=1
	v_and_b32_e32 v2, 0x7f, v30
	v_mov_b32_e32 v0, 0x7c01
	s_mov_b32 s18, exec_lo
	scratch_store_b32 off, v0, s32 offset:340 ; 4-byte Folded Spill
	v_cmpx_ne_u32_e32 0x7f, v2
	s_cbranch_execz .LBB309_81
; %bb.78:                               ;   in Loop: Header=BB309_11 Depth=1
	v_and_b32_e32 v0, 7, v30
	v_lshrrev_b32_e32 v1, 3, v2
	s_mov_b32 s19, exec_lo
	v_cmpx_gt_u32_e32 8, v2
; %bb.79:                               ;   in Loop: Header=BB309_11 Depth=1
	s_delay_alu instid0(VALU_DEP_3) | instskip(NEXT) | instid1(VALU_DEP_1)
	v_clz_i32_u32_e32 v0, v0
	v_min_u32_e32 v2, 32, v0
	s_delay_alu instid0(VALU_DEP_1) | instskip(NEXT) | instid1(VALU_DEP_1)
	v_subrev_nc_u32_e32 v0, 28, v2
	v_lshlrev_b64_e32 v[0:1], v0, v[30:31]
	v_sub_nc_u32_e32 v1, 29, v2
	s_delay_alu instid0(VALU_DEP_2)
	v_and_b32_e32 v0, 7, v0
; %bb.80:                               ;   in Loop: Header=BB309_11 Depth=1
	s_wait_alu 0xfffe
	s_or_b32 exec_lo, exec_lo, s19
	v_lshlrev_b32_e32 v2, 8, v30
	v_lshl_add_u32 v1, v1, 10, 0x2000
	v_lshlrev_b32_e32 v0, 7, v0
	s_delay_alu instid0(VALU_DEP_3) | instskip(NEXT) | instid1(VALU_DEP_3)
	v_and_b32_e32 v2, 0x8000, v2
	v_and_b32_e32 v1, 0xfc00, v1
	s_delay_alu instid0(VALU_DEP_1)
	v_or3_b32 v0, v2, v1, v0
	scratch_store_b32 off, v0, s32 offset:340 ; 4-byte Folded Spill
.LBB309_81:                             ;   in Loop: Header=BB309_11 Depth=1
	s_wait_alu 0xfffe
	s_or_b32 exec_lo, exec_lo, s18
.LBB309_82:                             ;   in Loop: Header=BB309_11 Depth=1
	s_wait_alu 0xfffe
	s_or_b32 exec_lo, exec_lo, s17
.LBB309_83:                             ;   in Loop: Header=BB309_11 Depth=1
	s_wait_alu 0xfffe
	s_or_b32 exec_lo, exec_lo, s16
	v_lshrrev_b16 v7, 8, v30
	v_dual_mov_b32 v0, 0 :: v_dual_mov_b32 v69, 0
	s_mov_b32 s16, exec_lo
	scratch_store_b32 off, v0, s32 offset:344 ; 4-byte Folded Spill
	v_cmpx_ne_u16_e32 0, v7
	s_cbranch_execz .LBB309_91
; %bb.84:                               ;   in Loop: Header=BB309_11 Depth=1
	v_bfrev_b32_e32 v69, 1
	s_mov_b32 s17, exec_lo
	v_cmpx_ne_u16_e32 0x80, v7
	s_cbranch_execz .LBB309_90
; %bb.85:                               ;   in Loop: Header=BB309_11 Depth=1
	v_and_b32_e32 v0, 0xffff, v7
	v_mov_b32_e32 v69, 0x7c010000
	s_mov_b32 s18, exec_lo
	s_delay_alu instid0(VALU_DEP_2) | instskip(NEXT) | instid1(VALU_DEP_1)
	v_and_b32_e32 v3, 0x7f, v0
	v_cmpx_ne_u32_e32 0x7f, v3
	s_cbranch_execz .LBB309_89
; %bb.86:                               ;   in Loop: Header=BB309_11 Depth=1
	v_and_b32_e32 v1, 7, v0
	v_lshrrev_b32_e32 v2, 3, v3
	s_mov_b32 s19, exec_lo
	v_cmpx_gt_u32_e32 8, v3
; %bb.87:                               ;   in Loop: Header=BB309_11 Depth=1
	s_delay_alu instid0(VALU_DEP_3) | instskip(NEXT) | instid1(VALU_DEP_1)
	v_clz_i32_u32_e32 v1, v1
	v_min_u32_e32 v3, 32, v1
	s_delay_alu instid0(VALU_DEP_1) | instskip(NEXT) | instid1(VALU_DEP_1)
	v_subrev_nc_u32_e32 v1, 28, v3
	v_lshlrev_b64_e32 v[1:2], v1, v[7:8]
	v_sub_nc_u32_e32 v2, 29, v3
	s_delay_alu instid0(VALU_DEP_2)
	v_and_b32_e32 v1, 7, v1
; %bb.88:                               ;   in Loop: Header=BB309_11 Depth=1
	s_wait_alu 0xfffe
	s_or_b32 exec_lo, exec_lo, s19
	v_lshlrev_b32_e32 v0, 8, v0
	v_lshl_add_u32 v2, v2, 10, 0x2000
	v_lshlrev_b32_e32 v1, 23, v1
	s_delay_alu instid0(VALU_DEP_2) | instskip(NEXT) | instid1(VALU_DEP_1)
	v_and_or_b32 v0, 0x8000, v0, v2
	v_lshl_or_b32 v69, v0, 16, v1
.LBB309_89:                             ;   in Loop: Header=BB309_11 Depth=1
	s_wait_alu 0xfffe
	s_or_b32 exec_lo, exec_lo, s18
.LBB309_90:                             ;   in Loop: Header=BB309_11 Depth=1
	s_wait_alu 0xfffe
	s_or_b32 exec_lo, exec_lo, s17
.LBB309_91:                             ;   in Loop: Header=BB309_11 Depth=1
	s_wait_alu 0xfffe
	s_or_b32 exec_lo, exec_lo, s16
	v_lshrrev_b32_e32 v7, 16, v30
	s_mov_b32 s16, exec_lo
	s_delay_alu instid0(VALU_DEP_1) | instskip(NEXT) | instid1(VALU_DEP_1)
	v_and_b32_e32 v0, 0xff, v7
	v_cmpx_ne_u16_e32 0, v0
	s_cbranch_execz .LBB309_99
; %bb.92:                               ;   in Loop: Header=BB309_11 Depth=1
	v_cmp_ne_u16_e64 s1, 0x80, v0
	v_mov_b32_e32 v0, 0x8000
	scratch_store_b32 off, v0, s32 offset:344 ; 4-byte Folded Spill
	s_and_saveexec_b32 s17, s1
	s_cbranch_execz .LBB309_98
; %bb.93:                               ;   in Loop: Header=BB309_11 Depth=1
	v_bfe_u32 v2, v30, 16, 7
	v_mov_b32_e32 v0, 0x7c01
	s_mov_b32 s18, exec_lo
	scratch_store_b32 off, v0, s32 offset:344 ; 4-byte Folded Spill
	v_cmpx_ne_u32_e32 0x7f, v2
	s_cbranch_execz .LBB309_97
; %bb.94:                               ;   in Loop: Header=BB309_11 Depth=1
	v_and_b32_e32 v0, 7, v7
	v_lshrrev_b32_e32 v1, 3, v2
	s_mov_b32 s19, exec_lo
	v_cmpx_gt_u32_e32 8, v2
; %bb.95:                               ;   in Loop: Header=BB309_11 Depth=1
	s_delay_alu instid0(VALU_DEP_3) | instskip(NEXT) | instid1(VALU_DEP_1)
	v_clz_i32_u32_e32 v0, v0
	v_min_u32_e32 v2, 32, v0
	s_delay_alu instid0(VALU_DEP_1) | instskip(NEXT) | instid1(VALU_DEP_1)
	v_subrev_nc_u32_e32 v0, 28, v2
	v_lshlrev_b64_e32 v[0:1], v0, v[7:8]
	v_sub_nc_u32_e32 v1, 29, v2
	s_delay_alu instid0(VALU_DEP_2)
	v_and_b32_e32 v0, 7, v0
; %bb.96:                               ;   in Loop: Header=BB309_11 Depth=1
	s_wait_alu 0xfffe
	s_or_b32 exec_lo, exec_lo, s19
	v_lshlrev_b32_e32 v2, 8, v7
	v_lshl_add_u32 v1, v1, 10, 0x2000
	v_lshlrev_b32_e32 v0, 7, v0
	s_delay_alu instid0(VALU_DEP_3) | instskip(NEXT) | instid1(VALU_DEP_3)
	v_and_b32_e32 v2, 0x8000, v2
	v_and_b32_e32 v1, 0xfc00, v1
	s_delay_alu instid0(VALU_DEP_1)
	v_or3_b32 v0, v2, v1, v0
	scratch_store_b32 off, v0, s32 offset:344 ; 4-byte Folded Spill
.LBB309_97:                             ;   in Loop: Header=BB309_11 Depth=1
	s_wait_alu 0xfffe
	s_or_b32 exec_lo, exec_lo, s18
.LBB309_98:                             ;   in Loop: Header=BB309_11 Depth=1
	s_wait_alu 0xfffe
	s_or_b32 exec_lo, exec_lo, s17
.LBB309_99:                             ;   in Loop: Header=BB309_11 Depth=1
	s_wait_alu 0xfffe
	s_or_b32 exec_lo, exec_lo, s16
	v_mov_b32_e32 v0, 0
	v_mov_b32_e32 v80, 0
	s_mov_b32 s16, exec_lo
	scratch_store_b32 off, v0, s32 offset:348 ; 4-byte Folded Spill
	v_cmpx_lt_u32_e32 0xffffff, v30
	s_cbranch_execz .LBB309_107
; %bb.100:                              ;   in Loop: Header=BB309_11 Depth=1
	v_lshrrev_b32_e32 v7, 24, v30
	v_bfrev_b32_e32 v80, 1
	s_mov_b32 s17, exec_lo
	s_delay_alu instid0(VALU_DEP_2)
	v_cmpx_ne_u32_e32 0x80, v7
	s_cbranch_execz .LBB309_106
; %bb.101:                              ;   in Loop: Header=BB309_11 Depth=1
	v_and_b32_e32 v2, 0x7f, v7
	v_mov_b32_e32 v80, 0x7c010000
	s_mov_b32 s18, exec_lo
	s_delay_alu instid0(VALU_DEP_2)
	v_cmpx_ne_u32_e32 0x7f, v2
	s_cbranch_execz .LBB309_105
; %bb.102:                              ;   in Loop: Header=BB309_11 Depth=1
	v_and_b32_e32 v0, 7, v7
	v_lshrrev_b32_e32 v1, 3, v2
	s_mov_b32 s19, exec_lo
	v_cmpx_gt_u32_e32 8, v2
; %bb.103:                              ;   in Loop: Header=BB309_11 Depth=1
	s_delay_alu instid0(VALU_DEP_3) | instskip(NEXT) | instid1(VALU_DEP_1)
	v_clz_i32_u32_e32 v0, v0
	v_min_u32_e32 v2, 32, v0
	s_delay_alu instid0(VALU_DEP_1) | instskip(NEXT) | instid1(VALU_DEP_1)
	v_subrev_nc_u32_e32 v0, 28, v2
	v_lshlrev_b64_e32 v[0:1], v0, v[7:8]
	v_sub_nc_u32_e32 v1, 29, v2
	s_delay_alu instid0(VALU_DEP_2)
	v_and_b32_e32 v0, 7, v0
; %bb.104:                              ;   in Loop: Header=BB309_11 Depth=1
	s_wait_alu 0xfffe
	s_or_b32 exec_lo, exec_lo, s19
	v_lshlrev_b32_e32 v2, 8, v7
	v_lshl_add_u32 v1, v1, 10, 0x2000
	v_lshlrev_b32_e32 v0, 23, v0
	s_delay_alu instid0(VALU_DEP_2) | instskip(NEXT) | instid1(VALU_DEP_1)
	v_and_or_b32 v1, 0x8000, v2, v1
	v_lshl_or_b32 v80, v1, 16, v0
.LBB309_105:                            ;   in Loop: Header=BB309_11 Depth=1
	s_wait_alu 0xfffe
	s_or_b32 exec_lo, exec_lo, s18
.LBB309_106:                            ;   in Loop: Header=BB309_11 Depth=1
	s_wait_alu 0xfffe
	s_or_b32 exec_lo, exec_lo, s17
.LBB309_107:                            ;   in Loop: Header=BB309_11 Depth=1
	s_wait_alu 0xfffe
	s_or_b32 exec_lo, exec_lo, s16
	v_dual_mov_b32 v7, v31 :: v_dual_and_b32 v0, 0xff, v31
	s_mov_b32 s16, exec_lo
	s_delay_alu instid0(VALU_DEP_1)
	v_cmpx_ne_u16_e32 0, v0
	s_cbranch_execz .LBB309_115
; %bb.108:                              ;   in Loop: Header=BB309_11 Depth=1
	v_cmp_ne_u16_e64 s1, 0x80, v0
	v_mov_b32_e32 v0, 0x8000
	scratch_store_b32 off, v0, s32 offset:348 ; 4-byte Folded Spill
	s_and_saveexec_b32 s17, s1
	s_cbranch_execz .LBB309_114
; %bb.109:                              ;   in Loop: Header=BB309_11 Depth=1
	v_and_b32_e32 v2, 0x7f, v31
	v_mov_b32_e32 v0, 0x7c01
	s_mov_b32 s18, exec_lo
	scratch_store_b32 off, v0, s32 offset:348 ; 4-byte Folded Spill
	v_cmpx_ne_u32_e32 0x7f, v2
	s_cbranch_execz .LBB309_113
; %bb.110:                              ;   in Loop: Header=BB309_11 Depth=1
	v_and_b32_e32 v0, 7, v31
	v_lshrrev_b32_e32 v1, 3, v2
	s_mov_b32 s19, exec_lo
	v_cmpx_gt_u32_e32 8, v2
; %bb.111:                              ;   in Loop: Header=BB309_11 Depth=1
	s_delay_alu instid0(VALU_DEP_3) | instskip(NEXT) | instid1(VALU_DEP_1)
	v_clz_i32_u32_e32 v0, v0
	v_min_u32_e32 v2, 32, v0
	s_delay_alu instid0(VALU_DEP_1) | instskip(NEXT) | instid1(VALU_DEP_1)
	v_subrev_nc_u32_e32 v0, 28, v2
	v_lshlrev_b64_e32 v[0:1], v0, v[7:8]
	v_sub_nc_u32_e32 v1, 29, v2
	s_delay_alu instid0(VALU_DEP_2)
	v_and_b32_e32 v0, 7, v0
; %bb.112:                              ;   in Loop: Header=BB309_11 Depth=1
	s_wait_alu 0xfffe
	s_or_b32 exec_lo, exec_lo, s19
	v_lshlrev_b32_e32 v2, 8, v31
	v_lshl_add_u32 v1, v1, 10, 0x2000
	v_lshlrev_b32_e32 v0, 7, v0
	s_delay_alu instid0(VALU_DEP_3) | instskip(NEXT) | instid1(VALU_DEP_3)
	v_and_b32_e32 v2, 0x8000, v2
	v_and_b32_e32 v1, 0xfc00, v1
	s_delay_alu instid0(VALU_DEP_1)
	v_or3_b32 v0, v2, v1, v0
	scratch_store_b32 off, v0, s32 offset:348 ; 4-byte Folded Spill
.LBB309_113:                            ;   in Loop: Header=BB309_11 Depth=1
	s_wait_alu 0xfffe
	s_or_b32 exec_lo, exec_lo, s18
.LBB309_114:                            ;   in Loop: Header=BB309_11 Depth=1
	s_wait_alu 0xfffe
	s_or_b32 exec_lo, exec_lo, s17
.LBB309_115:                            ;   in Loop: Header=BB309_11 Depth=1
	s_wait_alu 0xfffe
	s_or_b32 exec_lo, exec_lo, s16
	v_lshrrev_b16 v7, 8, v7
	v_mov_b32_e32 v0, 0
	v_mov_b32_e32 v70, 0
	s_mov_b32 s16, exec_lo
	scratch_store_b32 off, v0, s32 offset:352 ; 4-byte Folded Spill
	v_cmpx_ne_u16_e32 0, v7
	s_cbranch_execz .LBB309_123
; %bb.116:                              ;   in Loop: Header=BB309_11 Depth=1
	v_bfrev_b32_e32 v70, 1
	s_mov_b32 s17, exec_lo
	v_cmpx_ne_u16_e32 0x80, v7
	s_cbranch_execz .LBB309_122
; %bb.117:                              ;   in Loop: Header=BB309_11 Depth=1
	v_and_b32_e32 v0, 0xffff, v7
	v_mov_b32_e32 v70, 0x7c010000
	s_mov_b32 s18, exec_lo
	s_delay_alu instid0(VALU_DEP_2) | instskip(NEXT) | instid1(VALU_DEP_1)
	v_and_b32_e32 v3, 0x7f, v0
	v_cmpx_ne_u32_e32 0x7f, v3
	s_cbranch_execz .LBB309_121
; %bb.118:                              ;   in Loop: Header=BB309_11 Depth=1
	v_and_b32_e32 v1, 7, v0
	v_lshrrev_b32_e32 v2, 3, v3
	s_mov_b32 s19, exec_lo
	v_cmpx_gt_u32_e32 8, v3
; %bb.119:                              ;   in Loop: Header=BB309_11 Depth=1
	s_delay_alu instid0(VALU_DEP_3) | instskip(NEXT) | instid1(VALU_DEP_1)
	v_clz_i32_u32_e32 v1, v1
	v_min_u32_e32 v3, 32, v1
	s_delay_alu instid0(VALU_DEP_1) | instskip(NEXT) | instid1(VALU_DEP_1)
	v_subrev_nc_u32_e32 v1, 28, v3
	v_lshlrev_b64_e32 v[1:2], v1, v[7:8]
	v_sub_nc_u32_e32 v2, 29, v3
	s_delay_alu instid0(VALU_DEP_2)
	v_and_b32_e32 v1, 7, v1
; %bb.120:                              ;   in Loop: Header=BB309_11 Depth=1
	s_wait_alu 0xfffe
	s_or_b32 exec_lo, exec_lo, s19
	v_lshlrev_b32_e32 v0, 8, v0
	v_lshl_add_u32 v2, v2, 10, 0x2000
	v_lshlrev_b32_e32 v1, 23, v1
	s_delay_alu instid0(VALU_DEP_2) | instskip(NEXT) | instid1(VALU_DEP_1)
	v_and_or_b32 v0, 0x8000, v0, v2
	v_lshl_or_b32 v70, v0, 16, v1
.LBB309_121:                            ;   in Loop: Header=BB309_11 Depth=1
	s_wait_alu 0xfffe
	s_or_b32 exec_lo, exec_lo, s18
.LBB309_122:                            ;   in Loop: Header=BB309_11 Depth=1
	s_wait_alu 0xfffe
	s_or_b32 exec_lo, exec_lo, s17
.LBB309_123:                            ;   in Loop: Header=BB309_11 Depth=1
	s_wait_alu 0xfffe
	s_or_b32 exec_lo, exec_lo, s16
	v_lshrrev_b32_e32 v7, 16, v31
	s_mov_b32 s16, exec_lo
	s_delay_alu instid0(VALU_DEP_1) | instskip(NEXT) | instid1(VALU_DEP_1)
	v_and_b32_e32 v0, 0xff, v7
	v_cmpx_ne_u16_e32 0, v0
	s_cbranch_execz .LBB309_131
; %bb.124:                              ;   in Loop: Header=BB309_11 Depth=1
	v_cmp_ne_u16_e64 s1, 0x80, v0
	v_mov_b32_e32 v0, 0x8000
	scratch_store_b32 off, v0, s32 offset:352 ; 4-byte Folded Spill
	s_and_saveexec_b32 s17, s1
	s_cbranch_execz .LBB309_130
; %bb.125:                              ;   in Loop: Header=BB309_11 Depth=1
	v_bfe_u32 v2, v31, 16, 7
	v_mov_b32_e32 v0, 0x7c01
	s_mov_b32 s18, exec_lo
	scratch_store_b32 off, v0, s32 offset:352 ; 4-byte Folded Spill
	v_cmpx_ne_u32_e32 0x7f, v2
	s_cbranch_execz .LBB309_129
; %bb.126:                              ;   in Loop: Header=BB309_11 Depth=1
	v_and_b32_e32 v0, 7, v7
	v_lshrrev_b32_e32 v1, 3, v2
	s_mov_b32 s19, exec_lo
	v_cmpx_gt_u32_e32 8, v2
; %bb.127:                              ;   in Loop: Header=BB309_11 Depth=1
	s_delay_alu instid0(VALU_DEP_3) | instskip(NEXT) | instid1(VALU_DEP_1)
	v_clz_i32_u32_e32 v0, v0
	v_min_u32_e32 v2, 32, v0
	s_delay_alu instid0(VALU_DEP_1) | instskip(NEXT) | instid1(VALU_DEP_1)
	v_subrev_nc_u32_e32 v0, 28, v2
	v_lshlrev_b64_e32 v[0:1], v0, v[7:8]
	v_sub_nc_u32_e32 v1, 29, v2
	s_delay_alu instid0(VALU_DEP_2)
	v_and_b32_e32 v0, 7, v0
; %bb.128:                              ;   in Loop: Header=BB309_11 Depth=1
	s_wait_alu 0xfffe
	s_or_b32 exec_lo, exec_lo, s19
	v_lshlrev_b32_e32 v2, 8, v7
	v_lshl_add_u32 v1, v1, 10, 0x2000
	v_lshlrev_b32_e32 v0, 7, v0
	s_delay_alu instid0(VALU_DEP_3) | instskip(NEXT) | instid1(VALU_DEP_3)
	v_and_b32_e32 v2, 0x8000, v2
	v_and_b32_e32 v1, 0xfc00, v1
	s_delay_alu instid0(VALU_DEP_1)
	v_or3_b32 v0, v2, v1, v0
	scratch_store_b32 off, v0, s32 offset:352 ; 4-byte Folded Spill
.LBB309_129:                            ;   in Loop: Header=BB309_11 Depth=1
	s_wait_alu 0xfffe
	s_or_b32 exec_lo, exec_lo, s18
.LBB309_130:                            ;   in Loop: Header=BB309_11 Depth=1
	s_wait_alu 0xfffe
	s_or_b32 exec_lo, exec_lo, s17
.LBB309_131:                            ;   in Loop: Header=BB309_11 Depth=1
	s_wait_alu 0xfffe
	s_or_b32 exec_lo, exec_lo, s16
	v_mov_b32_e32 v0, 0
	s_mov_b32 s16, exec_lo
	scratch_store_b32 off, v0, s32 offset:356 ; 4-byte Folded Spill
	v_mov_b32_e32 v0, 0
	scratch_store_b32 off, v0, s32 offset:392 ; 4-byte Folded Spill
	v_cmpx_lt_u64_e64 s[2:3], v[30:31]
	s_cbranch_execz .LBB309_139
; %bb.132:                              ;   in Loop: Header=BB309_11 Depth=1
	v_lshrrev_b32_e32 v7, 24, v31
	v_bfrev_b32_e32 v0, 1
	s_mov_b32 s17, exec_lo
	s_delay_alu instid0(VALU_DEP_2)
	v_cmpx_ne_u32_e32 0x80, v7
	s_cbranch_execz .LBB309_138
; %bb.133:                              ;   in Loop: Header=BB309_11 Depth=1
	v_and_b32_e32 v2, 0x7f, v7
	v_mov_b32_e32 v0, 0x7c010000
	s_mov_b32 s18, exec_lo
	s_delay_alu instid0(VALU_DEP_2)
	v_cmpx_ne_u32_e32 0x7f, v2
	s_cbranch_execz .LBB309_137
; %bb.134:                              ;   in Loop: Header=BB309_11 Depth=1
	v_and_b32_e32 v0, 7, v7
	v_lshrrev_b32_e32 v1, 3, v2
	s_mov_b32 s19, exec_lo
	v_cmpx_gt_u32_e32 8, v2
; %bb.135:                              ;   in Loop: Header=BB309_11 Depth=1
	s_delay_alu instid0(VALU_DEP_3) | instskip(NEXT) | instid1(VALU_DEP_1)
	v_clz_i32_u32_e32 v0, v0
	v_min_u32_e32 v2, 32, v0
	s_delay_alu instid0(VALU_DEP_1) | instskip(NEXT) | instid1(VALU_DEP_1)
	v_subrev_nc_u32_e32 v0, 28, v2
	v_lshlrev_b64_e32 v[0:1], v0, v[7:8]
	v_sub_nc_u32_e32 v1, 29, v2
	s_delay_alu instid0(VALU_DEP_2)
	v_and_b32_e32 v0, 7, v0
; %bb.136:                              ;   in Loop: Header=BB309_11 Depth=1
	s_wait_alu 0xfffe
	s_or_b32 exec_lo, exec_lo, s19
	v_lshlrev_b32_e32 v2, 8, v7
	v_lshl_add_u32 v1, v1, 10, 0x2000
	v_lshlrev_b32_e32 v0, 23, v0
	s_delay_alu instid0(VALU_DEP_2) | instskip(NEXT) | instid1(VALU_DEP_1)
	v_and_or_b32 v1, 0x8000, v2, v1
	v_lshl_or_b32 v0, v1, 16, v0
.LBB309_137:                            ;   in Loop: Header=BB309_11 Depth=1
	s_wait_alu 0xfffe
	s_or_b32 exec_lo, exec_lo, s18
.LBB309_138:                            ;   in Loop: Header=BB309_11 Depth=1
	s_wait_alu 0xfffe
	s_or_b32 exec_lo, exec_lo, s17
	scratch_store_b32 off, v0, s32 offset:392 ; 4-byte Folded Spill
.LBB309_139:                            ;   in Loop: Header=BB309_11 Depth=1
	s_wait_alu 0xfffe
	s_or_b32 exec_lo, exec_lo, s16
	flat_load_b64 v[30:31], v[28:29] offset:512
	s_mov_b32 s16, exec_lo
	s_wait_loadcnt_dscnt 0x0
	v_and_b32_e32 v0, 0xff, v30
	s_delay_alu instid0(VALU_DEP_1)
	v_cmpx_ne_u16_e32 0, v0
	s_cbranch_execz .LBB309_147
; %bb.140:                              ;   in Loop: Header=BB309_11 Depth=1
	v_cmp_ne_u16_e64 s1, 0x80, v0
	v_mov_b32_e32 v0, 0x8000
	scratch_store_b32 off, v0, s32 offset:356 ; 4-byte Folded Spill
	s_and_saveexec_b32 s17, s1
	s_cbranch_execz .LBB309_146
; %bb.141:                              ;   in Loop: Header=BB309_11 Depth=1
	v_and_b32_e32 v2, 0x7f, v30
	v_mov_b32_e32 v0, 0x7c01
	s_mov_b32 s18, exec_lo
	scratch_store_b32 off, v0, s32 offset:356 ; 4-byte Folded Spill
	v_cmpx_ne_u32_e32 0x7f, v2
	s_cbranch_execz .LBB309_145
; %bb.142:                              ;   in Loop: Header=BB309_11 Depth=1
	v_and_b32_e32 v0, 7, v30
	v_lshrrev_b32_e32 v1, 3, v2
	s_mov_b32 s19, exec_lo
	v_cmpx_gt_u32_e32 8, v2
; %bb.143:                              ;   in Loop: Header=BB309_11 Depth=1
	s_delay_alu instid0(VALU_DEP_3) | instskip(NEXT) | instid1(VALU_DEP_1)
	v_clz_i32_u32_e32 v0, v0
	v_min_u32_e32 v2, 32, v0
	s_delay_alu instid0(VALU_DEP_1) | instskip(NEXT) | instid1(VALU_DEP_1)
	v_subrev_nc_u32_e32 v0, 28, v2
	v_lshlrev_b64_e32 v[0:1], v0, v[30:31]
	v_sub_nc_u32_e32 v1, 29, v2
	s_delay_alu instid0(VALU_DEP_2)
	v_and_b32_e32 v0, 7, v0
; %bb.144:                              ;   in Loop: Header=BB309_11 Depth=1
	s_wait_alu 0xfffe
	s_or_b32 exec_lo, exec_lo, s19
	v_lshlrev_b32_e32 v2, 8, v30
	v_lshl_add_u32 v1, v1, 10, 0x2000
	v_lshlrev_b32_e32 v0, 7, v0
	s_delay_alu instid0(VALU_DEP_3) | instskip(NEXT) | instid1(VALU_DEP_3)
	v_and_b32_e32 v2, 0x8000, v2
	v_and_b32_e32 v1, 0xfc00, v1
	s_delay_alu instid0(VALU_DEP_1)
	v_or3_b32 v0, v2, v1, v0
	scratch_store_b32 off, v0, s32 offset:356 ; 4-byte Folded Spill
.LBB309_145:                            ;   in Loop: Header=BB309_11 Depth=1
	s_wait_alu 0xfffe
	s_or_b32 exec_lo, exec_lo, s18
.LBB309_146:                            ;   in Loop: Header=BB309_11 Depth=1
	s_wait_alu 0xfffe
	s_or_b32 exec_lo, exec_lo, s17
.LBB309_147:                            ;   in Loop: Header=BB309_11 Depth=1
	s_wait_alu 0xfffe
	s_or_b32 exec_lo, exec_lo, s16
	v_lshrrev_b16 v7, 8, v30
	v_dual_mov_b32 v0, 0 :: v_dual_mov_b32 v85, 0
	s_mov_b32 s16, exec_lo
	scratch_store_b32 off, v0, s32 offset:360 ; 4-byte Folded Spill
	v_cmpx_ne_u16_e32 0, v7
	s_cbranch_execz .LBB309_155
; %bb.148:                              ;   in Loop: Header=BB309_11 Depth=1
	v_bfrev_b32_e32 v85, 1
	s_mov_b32 s17, exec_lo
	v_cmpx_ne_u16_e32 0x80, v7
	s_cbranch_execz .LBB309_154
; %bb.149:                              ;   in Loop: Header=BB309_11 Depth=1
	v_and_b32_e32 v0, 0xffff, v7
	v_mov_b32_e32 v85, 0x7c010000
	s_mov_b32 s18, exec_lo
	s_delay_alu instid0(VALU_DEP_2) | instskip(NEXT) | instid1(VALU_DEP_1)
	v_and_b32_e32 v3, 0x7f, v0
	v_cmpx_ne_u32_e32 0x7f, v3
	s_cbranch_execz .LBB309_153
; %bb.150:                              ;   in Loop: Header=BB309_11 Depth=1
	v_and_b32_e32 v1, 7, v0
	v_lshrrev_b32_e32 v2, 3, v3
	s_mov_b32 s19, exec_lo
	v_cmpx_gt_u32_e32 8, v3
; %bb.151:                              ;   in Loop: Header=BB309_11 Depth=1
	s_delay_alu instid0(VALU_DEP_3) | instskip(NEXT) | instid1(VALU_DEP_1)
	v_clz_i32_u32_e32 v1, v1
	v_min_u32_e32 v3, 32, v1
	s_delay_alu instid0(VALU_DEP_1) | instskip(NEXT) | instid1(VALU_DEP_1)
	v_subrev_nc_u32_e32 v1, 28, v3
	v_lshlrev_b64_e32 v[1:2], v1, v[7:8]
	v_sub_nc_u32_e32 v2, 29, v3
	s_delay_alu instid0(VALU_DEP_2)
	v_and_b32_e32 v1, 7, v1
; %bb.152:                              ;   in Loop: Header=BB309_11 Depth=1
	s_wait_alu 0xfffe
	s_or_b32 exec_lo, exec_lo, s19
	v_lshlrev_b32_e32 v0, 8, v0
	v_lshl_add_u32 v2, v2, 10, 0x2000
	v_lshlrev_b32_e32 v1, 23, v1
	s_delay_alu instid0(VALU_DEP_2) | instskip(NEXT) | instid1(VALU_DEP_1)
	v_and_or_b32 v0, 0x8000, v0, v2
	v_lshl_or_b32 v85, v0, 16, v1
.LBB309_153:                            ;   in Loop: Header=BB309_11 Depth=1
	s_wait_alu 0xfffe
	s_or_b32 exec_lo, exec_lo, s18
.LBB309_154:                            ;   in Loop: Header=BB309_11 Depth=1
	s_wait_alu 0xfffe
	s_or_b32 exec_lo, exec_lo, s17
.LBB309_155:                            ;   in Loop: Header=BB309_11 Depth=1
	s_wait_alu 0xfffe
	s_or_b32 exec_lo, exec_lo, s16
	v_lshrrev_b32_e32 v7, 16, v30
	s_mov_b32 s16, exec_lo
	s_delay_alu instid0(VALU_DEP_1) | instskip(NEXT) | instid1(VALU_DEP_1)
	v_and_b32_e32 v0, 0xff, v7
	v_cmpx_ne_u16_e32 0, v0
	s_cbranch_execz .LBB309_163
; %bb.156:                              ;   in Loop: Header=BB309_11 Depth=1
	v_cmp_ne_u16_e64 s1, 0x80, v0
	v_mov_b32_e32 v0, 0x8000
	scratch_store_b32 off, v0, s32 offset:360 ; 4-byte Folded Spill
	s_and_saveexec_b32 s17, s1
	s_cbranch_execz .LBB309_162
; %bb.157:                              ;   in Loop: Header=BB309_11 Depth=1
	v_bfe_u32 v2, v30, 16, 7
	v_mov_b32_e32 v0, 0x7c01
	s_mov_b32 s18, exec_lo
	scratch_store_b32 off, v0, s32 offset:360 ; 4-byte Folded Spill
	v_cmpx_ne_u32_e32 0x7f, v2
	s_cbranch_execz .LBB309_161
; %bb.158:                              ;   in Loop: Header=BB309_11 Depth=1
	v_and_b32_e32 v0, 7, v7
	v_lshrrev_b32_e32 v1, 3, v2
	s_mov_b32 s19, exec_lo
	v_cmpx_gt_u32_e32 8, v2
; %bb.159:                              ;   in Loop: Header=BB309_11 Depth=1
	s_delay_alu instid0(VALU_DEP_3) | instskip(NEXT) | instid1(VALU_DEP_1)
	v_clz_i32_u32_e32 v0, v0
	v_min_u32_e32 v2, 32, v0
	s_delay_alu instid0(VALU_DEP_1) | instskip(NEXT) | instid1(VALU_DEP_1)
	v_subrev_nc_u32_e32 v0, 28, v2
	v_lshlrev_b64_e32 v[0:1], v0, v[7:8]
	v_sub_nc_u32_e32 v1, 29, v2
	s_delay_alu instid0(VALU_DEP_2)
	v_and_b32_e32 v0, 7, v0
; %bb.160:                              ;   in Loop: Header=BB309_11 Depth=1
	s_wait_alu 0xfffe
	s_or_b32 exec_lo, exec_lo, s19
	v_lshlrev_b32_e32 v2, 8, v7
	v_lshl_add_u32 v1, v1, 10, 0x2000
	v_lshlrev_b32_e32 v0, 7, v0
	s_delay_alu instid0(VALU_DEP_3) | instskip(NEXT) | instid1(VALU_DEP_3)
	v_and_b32_e32 v2, 0x8000, v2
	v_and_b32_e32 v1, 0xfc00, v1
	s_delay_alu instid0(VALU_DEP_1)
	v_or3_b32 v0, v2, v1, v0
	scratch_store_b32 off, v0, s32 offset:360 ; 4-byte Folded Spill
.LBB309_161:                            ;   in Loop: Header=BB309_11 Depth=1
	s_wait_alu 0xfffe
	s_or_b32 exec_lo, exec_lo, s18
.LBB309_162:                            ;   in Loop: Header=BB309_11 Depth=1
	s_wait_alu 0xfffe
	s_or_b32 exec_lo, exec_lo, s17
.LBB309_163:                            ;   in Loop: Header=BB309_11 Depth=1
	s_wait_alu 0xfffe
	s_or_b32 exec_lo, exec_lo, s16
	v_mov_b32_e32 v0, 0
	v_mov_b32_e32 v96, 0
	s_mov_b32 s16, exec_lo
	scratch_store_b32 off, v0, s32 offset:364 ; 4-byte Folded Spill
	v_cmpx_lt_u32_e32 0xffffff, v30
	s_cbranch_execz .LBB309_171
; %bb.164:                              ;   in Loop: Header=BB309_11 Depth=1
	v_lshrrev_b32_e32 v7, 24, v30
	v_bfrev_b32_e32 v96, 1
	s_mov_b32 s17, exec_lo
	s_delay_alu instid0(VALU_DEP_2)
	v_cmpx_ne_u32_e32 0x80, v7
	s_cbranch_execz .LBB309_170
; %bb.165:                              ;   in Loop: Header=BB309_11 Depth=1
	v_and_b32_e32 v2, 0x7f, v7
	v_mov_b32_e32 v96, 0x7c010000
	s_mov_b32 s18, exec_lo
	s_delay_alu instid0(VALU_DEP_2)
	v_cmpx_ne_u32_e32 0x7f, v2
	s_cbranch_execz .LBB309_169
; %bb.166:                              ;   in Loop: Header=BB309_11 Depth=1
	v_and_b32_e32 v0, 7, v7
	v_lshrrev_b32_e32 v1, 3, v2
	s_mov_b32 s19, exec_lo
	v_cmpx_gt_u32_e32 8, v2
; %bb.167:                              ;   in Loop: Header=BB309_11 Depth=1
	s_delay_alu instid0(VALU_DEP_3) | instskip(NEXT) | instid1(VALU_DEP_1)
	v_clz_i32_u32_e32 v0, v0
	v_min_u32_e32 v2, 32, v0
	s_delay_alu instid0(VALU_DEP_1) | instskip(NEXT) | instid1(VALU_DEP_1)
	v_subrev_nc_u32_e32 v0, 28, v2
	v_lshlrev_b64_e32 v[0:1], v0, v[7:8]
	v_sub_nc_u32_e32 v1, 29, v2
	s_delay_alu instid0(VALU_DEP_2)
	v_and_b32_e32 v0, 7, v0
; %bb.168:                              ;   in Loop: Header=BB309_11 Depth=1
	s_wait_alu 0xfffe
	s_or_b32 exec_lo, exec_lo, s19
	v_lshlrev_b32_e32 v2, 8, v7
	v_lshl_add_u32 v1, v1, 10, 0x2000
	v_lshlrev_b32_e32 v0, 23, v0
	s_delay_alu instid0(VALU_DEP_2) | instskip(NEXT) | instid1(VALU_DEP_1)
	v_and_or_b32 v1, 0x8000, v2, v1
	v_lshl_or_b32 v96, v1, 16, v0
.LBB309_169:                            ;   in Loop: Header=BB309_11 Depth=1
	s_wait_alu 0xfffe
	s_or_b32 exec_lo, exec_lo, s18
.LBB309_170:                            ;   in Loop: Header=BB309_11 Depth=1
	s_wait_alu 0xfffe
	s_or_b32 exec_lo, exec_lo, s17
.LBB309_171:                            ;   in Loop: Header=BB309_11 Depth=1
	s_wait_alu 0xfffe
	s_or_b32 exec_lo, exec_lo, s16
	v_dual_mov_b32 v7, v31 :: v_dual_and_b32 v0, 0xff, v31
	s_mov_b32 s16, exec_lo
	s_delay_alu instid0(VALU_DEP_1)
	v_cmpx_ne_u16_e32 0, v0
	s_cbranch_execz .LBB309_179
; %bb.172:                              ;   in Loop: Header=BB309_11 Depth=1
	v_cmp_ne_u16_e64 s1, 0x80, v0
	v_mov_b32_e32 v0, 0x8000
	scratch_store_b32 off, v0, s32 offset:364 ; 4-byte Folded Spill
	s_and_saveexec_b32 s17, s1
	s_cbranch_execz .LBB309_178
; %bb.173:                              ;   in Loop: Header=BB309_11 Depth=1
	v_and_b32_e32 v2, 0x7f, v31
	v_mov_b32_e32 v0, 0x7c01
	s_mov_b32 s18, exec_lo
	scratch_store_b32 off, v0, s32 offset:364 ; 4-byte Folded Spill
	v_cmpx_ne_u32_e32 0x7f, v2
	s_cbranch_execz .LBB309_177
; %bb.174:                              ;   in Loop: Header=BB309_11 Depth=1
	v_and_b32_e32 v0, 7, v31
	v_lshrrev_b32_e32 v1, 3, v2
	s_mov_b32 s19, exec_lo
	v_cmpx_gt_u32_e32 8, v2
; %bb.175:                              ;   in Loop: Header=BB309_11 Depth=1
	s_delay_alu instid0(VALU_DEP_3) | instskip(NEXT) | instid1(VALU_DEP_1)
	v_clz_i32_u32_e32 v0, v0
	v_min_u32_e32 v2, 32, v0
	s_delay_alu instid0(VALU_DEP_1) | instskip(NEXT) | instid1(VALU_DEP_1)
	v_subrev_nc_u32_e32 v0, 28, v2
	v_lshlrev_b64_e32 v[0:1], v0, v[7:8]
	v_sub_nc_u32_e32 v1, 29, v2
	s_delay_alu instid0(VALU_DEP_2)
	v_and_b32_e32 v0, 7, v0
; %bb.176:                              ;   in Loop: Header=BB309_11 Depth=1
	s_wait_alu 0xfffe
	s_or_b32 exec_lo, exec_lo, s19
	v_lshlrev_b32_e32 v2, 8, v31
	v_lshl_add_u32 v1, v1, 10, 0x2000
	v_lshlrev_b32_e32 v0, 7, v0
	s_delay_alu instid0(VALU_DEP_3) | instskip(NEXT) | instid1(VALU_DEP_3)
	v_and_b32_e32 v2, 0x8000, v2
	v_and_b32_e32 v1, 0xfc00, v1
	s_delay_alu instid0(VALU_DEP_1)
	v_or3_b32 v0, v2, v1, v0
	scratch_store_b32 off, v0, s32 offset:364 ; 4-byte Folded Spill
.LBB309_177:                            ;   in Loop: Header=BB309_11 Depth=1
	s_wait_alu 0xfffe
	s_or_b32 exec_lo, exec_lo, s18
.LBB309_178:                            ;   in Loop: Header=BB309_11 Depth=1
	s_wait_alu 0xfffe
	s_or_b32 exec_lo, exec_lo, s17
.LBB309_179:                            ;   in Loop: Header=BB309_11 Depth=1
	s_wait_alu 0xfffe
	s_or_b32 exec_lo, exec_lo, s16
	v_lshrrev_b16 v7, 8, v7
	v_mov_b32_e32 v0, 0
	v_mov_b32_e32 v98, 0
	s_mov_b32 s16, exec_lo
	scratch_store_b32 off, v0, s32 offset:368 ; 4-byte Folded Spill
	v_cmpx_ne_u16_e32 0, v7
	s_cbranch_execz .LBB309_187
; %bb.180:                              ;   in Loop: Header=BB309_11 Depth=1
	v_bfrev_b32_e32 v98, 1
	s_mov_b32 s17, exec_lo
	v_cmpx_ne_u16_e32 0x80, v7
	s_cbranch_execz .LBB309_186
; %bb.181:                              ;   in Loop: Header=BB309_11 Depth=1
	v_and_b32_e32 v0, 0xffff, v7
	v_mov_b32_e32 v98, 0x7c010000
	s_mov_b32 s18, exec_lo
	s_delay_alu instid0(VALU_DEP_2) | instskip(NEXT) | instid1(VALU_DEP_1)
	v_and_b32_e32 v3, 0x7f, v0
	v_cmpx_ne_u32_e32 0x7f, v3
	s_cbranch_execz .LBB309_185
; %bb.182:                              ;   in Loop: Header=BB309_11 Depth=1
	v_and_b32_e32 v1, 7, v0
	v_lshrrev_b32_e32 v2, 3, v3
	s_mov_b32 s19, exec_lo
	v_cmpx_gt_u32_e32 8, v3
; %bb.183:                              ;   in Loop: Header=BB309_11 Depth=1
	s_delay_alu instid0(VALU_DEP_3) | instskip(NEXT) | instid1(VALU_DEP_1)
	v_clz_i32_u32_e32 v1, v1
	v_min_u32_e32 v3, 32, v1
	s_delay_alu instid0(VALU_DEP_1) | instskip(NEXT) | instid1(VALU_DEP_1)
	v_subrev_nc_u32_e32 v1, 28, v3
	v_lshlrev_b64_e32 v[1:2], v1, v[7:8]
	v_sub_nc_u32_e32 v2, 29, v3
	s_delay_alu instid0(VALU_DEP_2)
	v_and_b32_e32 v1, 7, v1
; %bb.184:                              ;   in Loop: Header=BB309_11 Depth=1
	s_wait_alu 0xfffe
	s_or_b32 exec_lo, exec_lo, s19
	v_lshlrev_b32_e32 v0, 8, v0
	v_lshl_add_u32 v2, v2, 10, 0x2000
	v_lshlrev_b32_e32 v1, 23, v1
	s_delay_alu instid0(VALU_DEP_2) | instskip(NEXT) | instid1(VALU_DEP_1)
	v_and_or_b32 v0, 0x8000, v0, v2
	v_lshl_or_b32 v98, v0, 16, v1
.LBB309_185:                            ;   in Loop: Header=BB309_11 Depth=1
	s_wait_alu 0xfffe
	s_or_b32 exec_lo, exec_lo, s18
.LBB309_186:                            ;   in Loop: Header=BB309_11 Depth=1
	s_wait_alu 0xfffe
	s_or_b32 exec_lo, exec_lo, s17
.LBB309_187:                            ;   in Loop: Header=BB309_11 Depth=1
	s_wait_alu 0xfffe
	s_or_b32 exec_lo, exec_lo, s16
	v_lshrrev_b32_e32 v7, 16, v31
	s_mov_b32 s16, exec_lo
	s_delay_alu instid0(VALU_DEP_1) | instskip(NEXT) | instid1(VALU_DEP_1)
	v_and_b32_e32 v0, 0xff, v7
	v_cmpx_ne_u16_e32 0, v0
	s_cbranch_execz .LBB309_195
; %bb.188:                              ;   in Loop: Header=BB309_11 Depth=1
	v_cmp_ne_u16_e64 s1, 0x80, v0
	v_mov_b32_e32 v0, 0x8000
	scratch_store_b32 off, v0, s32 offset:368 ; 4-byte Folded Spill
	s_and_saveexec_b32 s17, s1
	s_cbranch_execz .LBB309_194
; %bb.189:                              ;   in Loop: Header=BB309_11 Depth=1
	v_bfe_u32 v2, v31, 16, 7
	v_mov_b32_e32 v0, 0x7c01
	s_mov_b32 s18, exec_lo
	scratch_store_b32 off, v0, s32 offset:368 ; 4-byte Folded Spill
	v_cmpx_ne_u32_e32 0x7f, v2
	s_cbranch_execz .LBB309_193
; %bb.190:                              ;   in Loop: Header=BB309_11 Depth=1
	v_and_b32_e32 v0, 7, v7
	v_lshrrev_b32_e32 v1, 3, v2
	s_mov_b32 s19, exec_lo
	v_cmpx_gt_u32_e32 8, v2
; %bb.191:                              ;   in Loop: Header=BB309_11 Depth=1
	s_delay_alu instid0(VALU_DEP_3) | instskip(NEXT) | instid1(VALU_DEP_1)
	v_clz_i32_u32_e32 v0, v0
	v_min_u32_e32 v2, 32, v0
	s_delay_alu instid0(VALU_DEP_1) | instskip(NEXT) | instid1(VALU_DEP_1)
	v_subrev_nc_u32_e32 v0, 28, v2
	v_lshlrev_b64_e32 v[0:1], v0, v[7:8]
	v_sub_nc_u32_e32 v1, 29, v2
	s_delay_alu instid0(VALU_DEP_2)
	v_and_b32_e32 v0, 7, v0
; %bb.192:                              ;   in Loop: Header=BB309_11 Depth=1
	s_wait_alu 0xfffe
	s_or_b32 exec_lo, exec_lo, s19
	v_lshlrev_b32_e32 v2, 8, v7
	v_lshl_add_u32 v1, v1, 10, 0x2000
	v_lshlrev_b32_e32 v0, 7, v0
	s_delay_alu instid0(VALU_DEP_3) | instskip(NEXT) | instid1(VALU_DEP_3)
	v_and_b32_e32 v2, 0x8000, v2
	v_and_b32_e32 v1, 0xfc00, v1
	s_delay_alu instid0(VALU_DEP_1)
	v_or3_b32 v0, v2, v1, v0
	scratch_store_b32 off, v0, s32 offset:368 ; 4-byte Folded Spill
.LBB309_193:                            ;   in Loop: Header=BB309_11 Depth=1
	s_wait_alu 0xfffe
	s_or_b32 exec_lo, exec_lo, s18
.LBB309_194:                            ;   in Loop: Header=BB309_11 Depth=1
	s_wait_alu 0xfffe
	s_or_b32 exec_lo, exec_lo, s17
.LBB309_195:                            ;   in Loop: Header=BB309_11 Depth=1
	s_wait_alu 0xfffe
	s_or_b32 exec_lo, exec_lo, s16
	v_dual_mov_b32 v0, 0 :: v_dual_mov_b32 v99, 0
	s_mov_b32 s16, exec_lo
	scratch_store_b32 off, v0, s32 offset:372 ; 4-byte Folded Spill
	v_cmpx_lt_u64_e64 s[2:3], v[30:31]
	s_cbranch_execz .LBB309_203
; %bb.196:                              ;   in Loop: Header=BB309_11 Depth=1
	v_lshrrev_b32_e32 v7, 24, v31
	v_bfrev_b32_e32 v99, 1
	s_mov_b32 s17, exec_lo
	s_delay_alu instid0(VALU_DEP_2)
	v_cmpx_ne_u32_e32 0x80, v7
	s_cbranch_execz .LBB309_202
; %bb.197:                              ;   in Loop: Header=BB309_11 Depth=1
	v_and_b32_e32 v2, 0x7f, v7
	v_mov_b32_e32 v99, 0x7c010000
	s_mov_b32 s18, exec_lo
	s_delay_alu instid0(VALU_DEP_2)
	v_cmpx_ne_u32_e32 0x7f, v2
	s_cbranch_execz .LBB309_201
; %bb.198:                              ;   in Loop: Header=BB309_11 Depth=1
	v_and_b32_e32 v0, 7, v7
	v_lshrrev_b32_e32 v1, 3, v2
	s_mov_b32 s19, exec_lo
	v_cmpx_gt_u32_e32 8, v2
; %bb.199:                              ;   in Loop: Header=BB309_11 Depth=1
	s_delay_alu instid0(VALU_DEP_3) | instskip(NEXT) | instid1(VALU_DEP_1)
	v_clz_i32_u32_e32 v0, v0
	v_min_u32_e32 v2, 32, v0
	s_delay_alu instid0(VALU_DEP_1) | instskip(NEXT) | instid1(VALU_DEP_1)
	v_subrev_nc_u32_e32 v0, 28, v2
	v_lshlrev_b64_e32 v[0:1], v0, v[7:8]
	v_sub_nc_u32_e32 v1, 29, v2
	s_delay_alu instid0(VALU_DEP_2)
	v_and_b32_e32 v0, 7, v0
; %bb.200:                              ;   in Loop: Header=BB309_11 Depth=1
	s_wait_alu 0xfffe
	s_or_b32 exec_lo, exec_lo, s19
	v_lshlrev_b32_e32 v2, 8, v7
	v_lshl_add_u32 v1, v1, 10, 0x2000
	v_lshlrev_b32_e32 v0, 23, v0
	s_delay_alu instid0(VALU_DEP_2) | instskip(NEXT) | instid1(VALU_DEP_1)
	v_and_or_b32 v1, 0x8000, v2, v1
	v_lshl_or_b32 v99, v1, 16, v0
.LBB309_201:                            ;   in Loop: Header=BB309_11 Depth=1
	s_wait_alu 0xfffe
	s_or_b32 exec_lo, exec_lo, s18
.LBB309_202:                            ;   in Loop: Header=BB309_11 Depth=1
	s_wait_alu 0xfffe
	s_or_b32 exec_lo, exec_lo, s17
.LBB309_203:                            ;   in Loop: Header=BB309_11 Depth=1
	s_wait_alu 0xfffe
	s_or_b32 exec_lo, exec_lo, s16
	flat_load_b64 v[30:31], v[28:29] offset:520
	s_mov_b32 s16, exec_lo
	s_wait_loadcnt_dscnt 0x0
	v_and_b32_e32 v0, 0xff, v30
	s_delay_alu instid0(VALU_DEP_1)
	v_cmpx_ne_u16_e32 0, v0
	s_cbranch_execz .LBB309_211
; %bb.204:                              ;   in Loop: Header=BB309_11 Depth=1
	v_cmp_ne_u16_e64 s1, 0x80, v0
	v_mov_b32_e32 v0, 0x8000
	scratch_store_b32 off, v0, s32 offset:372 ; 4-byte Folded Spill
	s_and_saveexec_b32 s17, s1
	s_cbranch_execz .LBB309_210
; %bb.205:                              ;   in Loop: Header=BB309_11 Depth=1
	v_and_b32_e32 v2, 0x7f, v30
	v_mov_b32_e32 v0, 0x7c01
	s_mov_b32 s18, exec_lo
	scratch_store_b32 off, v0, s32 offset:372 ; 4-byte Folded Spill
	v_cmpx_ne_u32_e32 0x7f, v2
	s_cbranch_execz .LBB309_209
; %bb.206:                              ;   in Loop: Header=BB309_11 Depth=1
	v_and_b32_e32 v0, 7, v30
	v_lshrrev_b32_e32 v1, 3, v2
	s_mov_b32 s19, exec_lo
	v_cmpx_gt_u32_e32 8, v2
; %bb.207:                              ;   in Loop: Header=BB309_11 Depth=1
	s_delay_alu instid0(VALU_DEP_3) | instskip(NEXT) | instid1(VALU_DEP_1)
	v_clz_i32_u32_e32 v0, v0
	v_min_u32_e32 v2, 32, v0
	s_delay_alu instid0(VALU_DEP_1) | instskip(NEXT) | instid1(VALU_DEP_1)
	v_subrev_nc_u32_e32 v0, 28, v2
	v_lshlrev_b64_e32 v[0:1], v0, v[30:31]
	v_sub_nc_u32_e32 v1, 29, v2
	s_delay_alu instid0(VALU_DEP_2)
	v_and_b32_e32 v0, 7, v0
; %bb.208:                              ;   in Loop: Header=BB309_11 Depth=1
	s_wait_alu 0xfffe
	s_or_b32 exec_lo, exec_lo, s19
	v_lshlrev_b32_e32 v2, 8, v30
	v_lshl_add_u32 v1, v1, 10, 0x2000
	v_lshlrev_b32_e32 v0, 7, v0
	s_delay_alu instid0(VALU_DEP_3) | instskip(NEXT) | instid1(VALU_DEP_3)
	v_and_b32_e32 v2, 0x8000, v2
	v_and_b32_e32 v1, 0xfc00, v1
	s_delay_alu instid0(VALU_DEP_1)
	v_or3_b32 v0, v2, v1, v0
	scratch_store_b32 off, v0, s32 offset:372 ; 4-byte Folded Spill
.LBB309_209:                            ;   in Loop: Header=BB309_11 Depth=1
	s_wait_alu 0xfffe
	s_or_b32 exec_lo, exec_lo, s18
.LBB309_210:                            ;   in Loop: Header=BB309_11 Depth=1
	s_wait_alu 0xfffe
	s_or_b32 exec_lo, exec_lo, s17
.LBB309_211:                            ;   in Loop: Header=BB309_11 Depth=1
	s_wait_alu 0xfffe
	s_or_b32 exec_lo, exec_lo, s16
	v_lshrrev_b16 v7, 8, v30
	v_mov_b32_e32 v113, 0
	v_mov_b32_e32 v101, 0
	s_mov_b32 s16, exec_lo
	s_delay_alu instid0(VALU_DEP_3)
	v_cmpx_ne_u16_e32 0, v7
	s_cbranch_execz .LBB309_219
; %bb.212:                              ;   in Loop: Header=BB309_11 Depth=1
	v_bfrev_b32_e32 v101, 1
	s_mov_b32 s17, exec_lo
	v_cmpx_ne_u16_e32 0x80, v7
	s_cbranch_execz .LBB309_218
; %bb.213:                              ;   in Loop: Header=BB309_11 Depth=1
	v_and_b32_e32 v0, 0xffff, v7
	v_mov_b32_e32 v101, 0x7c010000
	s_mov_b32 s18, exec_lo
	s_delay_alu instid0(VALU_DEP_2) | instskip(NEXT) | instid1(VALU_DEP_1)
	v_and_b32_e32 v3, 0x7f, v0
	v_cmpx_ne_u32_e32 0x7f, v3
	s_cbranch_execz .LBB309_217
; %bb.214:                              ;   in Loop: Header=BB309_11 Depth=1
	v_and_b32_e32 v1, 7, v0
	v_lshrrev_b32_e32 v2, 3, v3
	s_mov_b32 s19, exec_lo
	v_cmpx_gt_u32_e32 8, v3
; %bb.215:                              ;   in Loop: Header=BB309_11 Depth=1
	s_delay_alu instid0(VALU_DEP_3) | instskip(NEXT) | instid1(VALU_DEP_1)
	v_clz_i32_u32_e32 v1, v1
	v_min_u32_e32 v3, 32, v1
	s_delay_alu instid0(VALU_DEP_1) | instskip(NEXT) | instid1(VALU_DEP_1)
	v_subrev_nc_u32_e32 v1, 28, v3
	v_lshlrev_b64_e32 v[1:2], v1, v[7:8]
	v_sub_nc_u32_e32 v2, 29, v3
	s_delay_alu instid0(VALU_DEP_2)
	v_and_b32_e32 v1, 7, v1
; %bb.216:                              ;   in Loop: Header=BB309_11 Depth=1
	s_wait_alu 0xfffe
	s_or_b32 exec_lo, exec_lo, s19
	v_lshlrev_b32_e32 v0, 8, v0
	v_lshl_add_u32 v2, v2, 10, 0x2000
	v_lshlrev_b32_e32 v1, 23, v1
	s_delay_alu instid0(VALU_DEP_2) | instskip(NEXT) | instid1(VALU_DEP_1)
	v_and_or_b32 v0, 0x8000, v0, v2
	v_lshl_or_b32 v101, v0, 16, v1
.LBB309_217:                            ;   in Loop: Header=BB309_11 Depth=1
	s_wait_alu 0xfffe
	s_or_b32 exec_lo, exec_lo, s18
.LBB309_218:                            ;   in Loop: Header=BB309_11 Depth=1
	s_wait_alu 0xfffe
	s_or_b32 exec_lo, exec_lo, s17
.LBB309_219:                            ;   in Loop: Header=BB309_11 Depth=1
	s_wait_alu 0xfffe
	s_or_b32 exec_lo, exec_lo, s16
	v_lshrrev_b32_e32 v7, 16, v30
	s_mov_b32 s16, exec_lo
	s_delay_alu instid0(VALU_DEP_1) | instskip(NEXT) | instid1(VALU_DEP_1)
	v_and_b32_e32 v0, 0xff, v7
	v_cmpx_ne_u16_e32 0, v0
	s_cbranch_execz .LBB309_227
; %bb.220:                              ;   in Loop: Header=BB309_11 Depth=1
	v_mov_b32_e32 v113, 0x8000
	s_mov_b32 s17, exec_lo
	v_cmpx_ne_u16_e32 0x80, v0
	s_cbranch_execz .LBB309_226
; %bb.221:                              ;   in Loop: Header=BB309_11 Depth=1
	v_bfe_u32 v2, v30, 16, 7
	v_mov_b32_e32 v113, 0x7c01
	s_mov_b32 s18, exec_lo
	s_delay_alu instid0(VALU_DEP_2)
	v_cmpx_ne_u32_e32 0x7f, v2
	s_cbranch_execz .LBB309_225
; %bb.222:                              ;   in Loop: Header=BB309_11 Depth=1
	v_and_b32_e32 v0, 7, v7
	v_lshrrev_b32_e32 v1, 3, v2
	s_mov_b32 s19, exec_lo
	v_cmpx_gt_u32_e32 8, v2
; %bb.223:                              ;   in Loop: Header=BB309_11 Depth=1
	s_delay_alu instid0(VALU_DEP_3) | instskip(NEXT) | instid1(VALU_DEP_1)
	v_clz_i32_u32_e32 v0, v0
	v_min_u32_e32 v2, 32, v0
	s_delay_alu instid0(VALU_DEP_1) | instskip(NEXT) | instid1(VALU_DEP_1)
	v_subrev_nc_u32_e32 v0, 28, v2
	v_lshlrev_b64_e32 v[0:1], v0, v[7:8]
	v_sub_nc_u32_e32 v1, 29, v2
	s_delay_alu instid0(VALU_DEP_2)
	v_and_b32_e32 v0, 7, v0
; %bb.224:                              ;   in Loop: Header=BB309_11 Depth=1
	s_wait_alu 0xfffe
	s_or_b32 exec_lo, exec_lo, s19
	v_lshlrev_b32_e32 v2, 8, v7
	v_lshl_add_u32 v1, v1, 10, 0x2000
	v_lshlrev_b32_e32 v0, 7, v0
	s_delay_alu instid0(VALU_DEP_3) | instskip(NEXT) | instid1(VALU_DEP_3)
	v_and_b32_e32 v2, 0x8000, v2
	v_and_b32_e32 v1, 0xfc00, v1
	s_delay_alu instid0(VALU_DEP_1)
	v_or3_b32 v113, v2, v1, v0
.LBB309_225:                            ;   in Loop: Header=BB309_11 Depth=1
	s_wait_alu 0xfffe
	s_or_b32 exec_lo, exec_lo, s18
.LBB309_226:                            ;   in Loop: Header=BB309_11 Depth=1
	s_wait_alu 0xfffe
	s_or_b32 exec_lo, exec_lo, s17
.LBB309_227:                            ;   in Loop: Header=BB309_11 Depth=1
	s_wait_alu 0xfffe
	s_or_b32 exec_lo, exec_lo, s16
	v_mov_b32_e32 v0, 0
	v_mov_b32_e32 v112, 0
	s_mov_b32 s16, exec_lo
	scratch_store_b32 off, v0, s32 offset:376 ; 4-byte Folded Spill
	v_cmpx_lt_u32_e32 0xffffff, v30
	s_cbranch_execz .LBB309_235
; %bb.228:                              ;   in Loop: Header=BB309_11 Depth=1
	v_lshrrev_b32_e32 v7, 24, v30
	v_bfrev_b32_e32 v112, 1
	s_mov_b32 s17, exec_lo
	s_delay_alu instid0(VALU_DEP_2)
	v_cmpx_ne_u32_e32 0x80, v7
	s_cbranch_execz .LBB309_234
; %bb.229:                              ;   in Loop: Header=BB309_11 Depth=1
	v_and_b32_e32 v2, 0x7f, v7
	v_mov_b32_e32 v112, 0x7c010000
	s_mov_b32 s18, exec_lo
	s_delay_alu instid0(VALU_DEP_2)
	v_cmpx_ne_u32_e32 0x7f, v2
	s_cbranch_execz .LBB309_233
; %bb.230:                              ;   in Loop: Header=BB309_11 Depth=1
	v_and_b32_e32 v0, 7, v7
	v_lshrrev_b32_e32 v1, 3, v2
	s_mov_b32 s19, exec_lo
	v_cmpx_gt_u32_e32 8, v2
; %bb.231:                              ;   in Loop: Header=BB309_11 Depth=1
	s_delay_alu instid0(VALU_DEP_3) | instskip(NEXT) | instid1(VALU_DEP_1)
	v_clz_i32_u32_e32 v0, v0
	v_min_u32_e32 v2, 32, v0
	s_delay_alu instid0(VALU_DEP_1) | instskip(NEXT) | instid1(VALU_DEP_1)
	v_subrev_nc_u32_e32 v0, 28, v2
	v_lshlrev_b64_e32 v[0:1], v0, v[7:8]
	v_sub_nc_u32_e32 v1, 29, v2
	s_delay_alu instid0(VALU_DEP_2)
	v_and_b32_e32 v0, 7, v0
; %bb.232:                              ;   in Loop: Header=BB309_11 Depth=1
	s_wait_alu 0xfffe
	s_or_b32 exec_lo, exec_lo, s19
	v_lshlrev_b32_e32 v2, 8, v7
	v_lshl_add_u32 v1, v1, 10, 0x2000
	v_lshlrev_b32_e32 v0, 23, v0
	s_delay_alu instid0(VALU_DEP_2) | instskip(NEXT) | instid1(VALU_DEP_1)
	v_and_or_b32 v1, 0x8000, v2, v1
	v_lshl_or_b32 v112, v1, 16, v0
.LBB309_233:                            ;   in Loop: Header=BB309_11 Depth=1
	s_wait_alu 0xfffe
	s_or_b32 exec_lo, exec_lo, s18
.LBB309_234:                            ;   in Loop: Header=BB309_11 Depth=1
	s_wait_alu 0xfffe
	s_or_b32 exec_lo, exec_lo, s17
.LBB309_235:                            ;   in Loop: Header=BB309_11 Depth=1
	s_wait_alu 0xfffe
	s_or_b32 exec_lo, exec_lo, s16
	v_dual_mov_b32 v7, v31 :: v_dual_and_b32 v0, 0xff, v31
	s_mov_b32 s16, exec_lo
	s_delay_alu instid0(VALU_DEP_1)
	v_cmpx_ne_u16_e32 0, v0
	s_cbranch_execz .LBB309_243
; %bb.236:                              ;   in Loop: Header=BB309_11 Depth=1
	v_cmp_ne_u16_e64 s1, 0x80, v0
	v_mov_b32_e32 v0, 0x8000
	scratch_store_b32 off, v0, s32 offset:376 ; 4-byte Folded Spill
	s_and_saveexec_b32 s17, s1
	s_cbranch_execz .LBB309_242
; %bb.237:                              ;   in Loop: Header=BB309_11 Depth=1
	v_and_b32_e32 v2, 0x7f, v31
	v_mov_b32_e32 v0, 0x7c01
	s_mov_b32 s18, exec_lo
	scratch_store_b32 off, v0, s32 offset:376 ; 4-byte Folded Spill
	v_cmpx_ne_u32_e32 0x7f, v2
	s_cbranch_execz .LBB309_241
; %bb.238:                              ;   in Loop: Header=BB309_11 Depth=1
	v_and_b32_e32 v0, 7, v31
	v_lshrrev_b32_e32 v1, 3, v2
	s_mov_b32 s19, exec_lo
	v_cmpx_gt_u32_e32 8, v2
; %bb.239:                              ;   in Loop: Header=BB309_11 Depth=1
	s_delay_alu instid0(VALU_DEP_3) | instskip(NEXT) | instid1(VALU_DEP_1)
	v_clz_i32_u32_e32 v0, v0
	v_min_u32_e32 v2, 32, v0
	s_delay_alu instid0(VALU_DEP_1) | instskip(NEXT) | instid1(VALU_DEP_1)
	v_subrev_nc_u32_e32 v0, 28, v2
	v_lshlrev_b64_e32 v[0:1], v0, v[7:8]
	v_sub_nc_u32_e32 v1, 29, v2
	s_delay_alu instid0(VALU_DEP_2)
	v_and_b32_e32 v0, 7, v0
; %bb.240:                              ;   in Loop: Header=BB309_11 Depth=1
	s_wait_alu 0xfffe
	s_or_b32 exec_lo, exec_lo, s19
	v_lshlrev_b32_e32 v2, 8, v31
	v_lshl_add_u32 v1, v1, 10, 0x2000
	v_lshlrev_b32_e32 v0, 7, v0
	s_delay_alu instid0(VALU_DEP_3) | instskip(NEXT) | instid1(VALU_DEP_3)
	v_and_b32_e32 v2, 0x8000, v2
	v_and_b32_e32 v1, 0xfc00, v1
	s_delay_alu instid0(VALU_DEP_1)
	v_or3_b32 v0, v2, v1, v0
	scratch_store_b32 off, v0, s32 offset:376 ; 4-byte Folded Spill
.LBB309_241:                            ;   in Loop: Header=BB309_11 Depth=1
	s_wait_alu 0xfffe
	s_or_b32 exec_lo, exec_lo, s18
.LBB309_242:                            ;   in Loop: Header=BB309_11 Depth=1
	s_wait_alu 0xfffe
	s_or_b32 exec_lo, exec_lo, s17
.LBB309_243:                            ;   in Loop: Header=BB309_11 Depth=1
	s_wait_alu 0xfffe
	s_or_b32 exec_lo, exec_lo, s16
	v_lshrrev_b16 v7, 8, v7
	v_mov_b32_e32 v60, 0
	v_mov_b32_e32 v114, 0
	s_mov_b32 s16, exec_lo
	s_delay_alu instid0(VALU_DEP_3)
	v_cmpx_ne_u16_e32 0, v7
	s_cbranch_execz .LBB309_251
; %bb.244:                              ;   in Loop: Header=BB309_11 Depth=1
	v_bfrev_b32_e32 v114, 1
	s_mov_b32 s17, exec_lo
	v_cmpx_ne_u16_e32 0x80, v7
	s_cbranch_execz .LBB309_250
; %bb.245:                              ;   in Loop: Header=BB309_11 Depth=1
	v_and_b32_e32 v0, 0xffff, v7
	v_mov_b32_e32 v114, 0x7c010000
	s_mov_b32 s18, exec_lo
	s_delay_alu instid0(VALU_DEP_2) | instskip(NEXT) | instid1(VALU_DEP_1)
	v_and_b32_e32 v3, 0x7f, v0
	v_cmpx_ne_u32_e32 0x7f, v3
	s_cbranch_execz .LBB309_249
; %bb.246:                              ;   in Loop: Header=BB309_11 Depth=1
	v_and_b32_e32 v1, 7, v0
	v_lshrrev_b32_e32 v2, 3, v3
	s_mov_b32 s19, exec_lo
	v_cmpx_gt_u32_e32 8, v3
; %bb.247:                              ;   in Loop: Header=BB309_11 Depth=1
	s_delay_alu instid0(VALU_DEP_3) | instskip(NEXT) | instid1(VALU_DEP_1)
	v_clz_i32_u32_e32 v1, v1
	v_min_u32_e32 v3, 32, v1
	s_delay_alu instid0(VALU_DEP_1) | instskip(NEXT) | instid1(VALU_DEP_1)
	v_subrev_nc_u32_e32 v1, 28, v3
	v_lshlrev_b64_e32 v[1:2], v1, v[7:8]
	v_sub_nc_u32_e32 v2, 29, v3
	s_delay_alu instid0(VALU_DEP_2)
	v_and_b32_e32 v1, 7, v1
; %bb.248:                              ;   in Loop: Header=BB309_11 Depth=1
	s_wait_alu 0xfffe
	s_or_b32 exec_lo, exec_lo, s19
	v_lshlrev_b32_e32 v0, 8, v0
	v_lshl_add_u32 v2, v2, 10, 0x2000
	v_lshlrev_b32_e32 v1, 23, v1
	s_delay_alu instid0(VALU_DEP_2) | instskip(NEXT) | instid1(VALU_DEP_1)
	v_and_or_b32 v0, 0x8000, v0, v2
	v_lshl_or_b32 v114, v0, 16, v1
.LBB309_249:                            ;   in Loop: Header=BB309_11 Depth=1
	s_wait_alu 0xfffe
	s_or_b32 exec_lo, exec_lo, s18
.LBB309_250:                            ;   in Loop: Header=BB309_11 Depth=1
	s_wait_alu 0xfffe
	s_or_b32 exec_lo, exec_lo, s17
.LBB309_251:                            ;   in Loop: Header=BB309_11 Depth=1
	s_wait_alu 0xfffe
	s_or_b32 exec_lo, exec_lo, s16
	v_lshrrev_b32_e32 v7, 16, v31
	s_mov_b32 s16, exec_lo
	s_delay_alu instid0(VALU_DEP_1) | instskip(NEXT) | instid1(VALU_DEP_1)
	v_and_b32_e32 v0, 0xff, v7
	v_cmpx_ne_u16_e32 0, v0
	s_cbranch_execz .LBB309_259
; %bb.252:                              ;   in Loop: Header=BB309_11 Depth=1
	v_mov_b32_e32 v60, 0x8000
	s_mov_b32 s17, exec_lo
	v_cmpx_ne_u16_e32 0x80, v0
	s_cbranch_execz .LBB309_258
; %bb.253:                              ;   in Loop: Header=BB309_11 Depth=1
	v_bfe_u32 v2, v31, 16, 7
	v_mov_b32_e32 v60, 0x7c01
	s_mov_b32 s18, exec_lo
	s_delay_alu instid0(VALU_DEP_2)
	v_cmpx_ne_u32_e32 0x7f, v2
	s_cbranch_execz .LBB309_257
; %bb.254:                              ;   in Loop: Header=BB309_11 Depth=1
	v_and_b32_e32 v0, 7, v7
	v_lshrrev_b32_e32 v1, 3, v2
	s_mov_b32 s19, exec_lo
	v_cmpx_gt_u32_e32 8, v2
; %bb.255:                              ;   in Loop: Header=BB309_11 Depth=1
	s_delay_alu instid0(VALU_DEP_3) | instskip(NEXT) | instid1(VALU_DEP_1)
	v_clz_i32_u32_e32 v0, v0
	v_min_u32_e32 v2, 32, v0
	s_delay_alu instid0(VALU_DEP_1) | instskip(NEXT) | instid1(VALU_DEP_1)
	v_subrev_nc_u32_e32 v0, 28, v2
	v_lshlrev_b64_e32 v[0:1], v0, v[7:8]
	v_sub_nc_u32_e32 v1, 29, v2
	s_delay_alu instid0(VALU_DEP_2)
	v_and_b32_e32 v0, 7, v0
; %bb.256:                              ;   in Loop: Header=BB309_11 Depth=1
	s_wait_alu 0xfffe
	s_or_b32 exec_lo, exec_lo, s19
	v_lshlrev_b32_e32 v2, 8, v7
	v_lshl_add_u32 v1, v1, 10, 0x2000
	v_lshlrev_b32_e32 v0, 7, v0
	s_delay_alu instid0(VALU_DEP_3) | instskip(NEXT) | instid1(VALU_DEP_3)
	v_and_b32_e32 v2, 0x8000, v2
	v_and_b32_e32 v1, 0xfc00, v1
	s_delay_alu instid0(VALU_DEP_1)
	v_or3_b32 v60, v2, v1, v0
.LBB309_257:                            ;   in Loop: Header=BB309_11 Depth=1
	s_wait_alu 0xfffe
	s_or_b32 exec_lo, exec_lo, s18
.LBB309_258:                            ;   in Loop: Header=BB309_11 Depth=1
	s_wait_alu 0xfffe
	s_or_b32 exec_lo, exec_lo, s17
.LBB309_259:                            ;   in Loop: Header=BB309_11 Depth=1
	s_wait_alu 0xfffe
	s_or_b32 exec_lo, exec_lo, s16
	v_dual_mov_b32 v116, 0 :: v_dual_mov_b32 v115, 0
	s_mov_b32 s16, exec_lo
	v_cmpx_lt_u64_e64 s[2:3], v[30:31]
	s_cbranch_execz .LBB309_267
; %bb.260:                              ;   in Loop: Header=BB309_11 Depth=1
	v_lshrrev_b32_e32 v7, 24, v31
	v_bfrev_b32_e32 v115, 1
	s_mov_b32 s17, exec_lo
	s_delay_alu instid0(VALU_DEP_2)
	v_cmpx_ne_u32_e32 0x80, v7
	s_cbranch_execz .LBB309_266
; %bb.261:                              ;   in Loop: Header=BB309_11 Depth=1
	v_and_b32_e32 v2, 0x7f, v7
	v_mov_b32_e32 v115, 0x7c010000
	s_mov_b32 s18, exec_lo
	s_delay_alu instid0(VALU_DEP_2)
	v_cmpx_ne_u32_e32 0x7f, v2
	s_cbranch_execz .LBB309_265
; %bb.262:                              ;   in Loop: Header=BB309_11 Depth=1
	v_and_b32_e32 v0, 7, v7
	v_lshrrev_b32_e32 v1, 3, v2
	s_mov_b32 s19, exec_lo
	v_cmpx_gt_u32_e32 8, v2
; %bb.263:                              ;   in Loop: Header=BB309_11 Depth=1
	s_delay_alu instid0(VALU_DEP_3) | instskip(NEXT) | instid1(VALU_DEP_1)
	v_clz_i32_u32_e32 v0, v0
	v_min_u32_e32 v2, 32, v0
	s_delay_alu instid0(VALU_DEP_1) | instskip(NEXT) | instid1(VALU_DEP_1)
	v_subrev_nc_u32_e32 v0, 28, v2
	v_lshlrev_b64_e32 v[0:1], v0, v[7:8]
	v_sub_nc_u32_e32 v1, 29, v2
	s_delay_alu instid0(VALU_DEP_2)
	v_and_b32_e32 v0, 7, v0
; %bb.264:                              ;   in Loop: Header=BB309_11 Depth=1
	s_wait_alu 0xfffe
	s_or_b32 exec_lo, exec_lo, s19
	v_lshlrev_b32_e32 v2, 8, v7
	v_lshl_add_u32 v1, v1, 10, 0x2000
	v_lshlrev_b32_e32 v0, 23, v0
	s_delay_alu instid0(VALU_DEP_2) | instskip(NEXT) | instid1(VALU_DEP_1)
	v_and_or_b32 v1, 0x8000, v2, v1
	v_lshl_or_b32 v115, v1, 16, v0
.LBB309_265:                            ;   in Loop: Header=BB309_11 Depth=1
	s_wait_alu 0xfffe
	s_or_b32 exec_lo, exec_lo, s18
.LBB309_266:                            ;   in Loop: Header=BB309_11 Depth=1
	s_wait_alu 0xfffe
	s_or_b32 exec_lo, exec_lo, s17
.LBB309_267:                            ;   in Loop: Header=BB309_11 Depth=1
	s_wait_alu 0xfffe
	s_or_b32 exec_lo, exec_lo, s16
	flat_load_b64 v[30:31], v[28:29] offset:1024
	s_mov_b32 s16, exec_lo
	s_wait_loadcnt_dscnt 0x0
	v_and_b32_e32 v0, 0xff, v30
	s_delay_alu instid0(VALU_DEP_1)
	v_cmpx_ne_u16_e32 0, v0
	s_cbranch_execz .LBB309_275
; %bb.268:                              ;   in Loop: Header=BB309_11 Depth=1
	v_mov_b32_e32 v116, 0x8000
	s_mov_b32 s17, exec_lo
	v_cmpx_ne_u16_e32 0x80, v0
	s_cbranch_execz .LBB309_274
; %bb.269:                              ;   in Loop: Header=BB309_11 Depth=1
	v_and_b32_e32 v2, 0x7f, v30
	v_mov_b32_e32 v116, 0x7c01
	s_mov_b32 s18, exec_lo
	s_delay_alu instid0(VALU_DEP_2)
	v_cmpx_ne_u32_e32 0x7f, v2
	s_cbranch_execz .LBB309_273
; %bb.270:                              ;   in Loop: Header=BB309_11 Depth=1
	v_and_b32_e32 v0, 7, v30
	v_lshrrev_b32_e32 v1, 3, v2
	s_mov_b32 s19, exec_lo
	v_cmpx_gt_u32_e32 8, v2
; %bb.271:                              ;   in Loop: Header=BB309_11 Depth=1
	s_delay_alu instid0(VALU_DEP_3) | instskip(NEXT) | instid1(VALU_DEP_1)
	v_clz_i32_u32_e32 v0, v0
	v_min_u32_e32 v2, 32, v0
	s_delay_alu instid0(VALU_DEP_1) | instskip(NEXT) | instid1(VALU_DEP_1)
	v_subrev_nc_u32_e32 v0, 28, v2
	v_lshlrev_b64_e32 v[0:1], v0, v[30:31]
	v_sub_nc_u32_e32 v1, 29, v2
	s_delay_alu instid0(VALU_DEP_2)
	v_and_b32_e32 v0, 7, v0
; %bb.272:                              ;   in Loop: Header=BB309_11 Depth=1
	s_wait_alu 0xfffe
	s_or_b32 exec_lo, exec_lo, s19
	v_lshlrev_b32_e32 v2, 8, v30
	v_lshl_add_u32 v1, v1, 10, 0x2000
	v_lshlrev_b32_e32 v0, 7, v0
	s_delay_alu instid0(VALU_DEP_3) | instskip(NEXT) | instid1(VALU_DEP_3)
	v_and_b32_e32 v2, 0x8000, v2
	v_and_b32_e32 v1, 0xfc00, v1
	s_delay_alu instid0(VALU_DEP_1)
	v_or3_b32 v116, v2, v1, v0
.LBB309_273:                            ;   in Loop: Header=BB309_11 Depth=1
	s_wait_alu 0xfffe
	s_or_b32 exec_lo, exec_lo, s18
.LBB309_274:                            ;   in Loop: Header=BB309_11 Depth=1
	s_wait_alu 0xfffe
	s_or_b32 exec_lo, exec_lo, s17
.LBB309_275:                            ;   in Loop: Header=BB309_11 Depth=1
	s_wait_alu 0xfffe
	s_or_b32 exec_lo, exec_lo, s16
	v_lshrrev_b16 v7, 8, v30
	v_dual_mov_b32 v118, 0 :: v_dual_mov_b32 v117, 0
	s_mov_b32 s16, exec_lo
	s_delay_alu instid0(VALU_DEP_2)
	v_cmpx_ne_u16_e32 0, v7
	s_cbranch_execz .LBB309_283
; %bb.276:                              ;   in Loop: Header=BB309_11 Depth=1
	v_bfrev_b32_e32 v117, 1
	s_mov_b32 s17, exec_lo
	v_cmpx_ne_u16_e32 0x80, v7
	s_cbranch_execz .LBB309_282
; %bb.277:                              ;   in Loop: Header=BB309_11 Depth=1
	v_and_b32_e32 v0, 0xffff, v7
	v_mov_b32_e32 v117, 0x7c010000
	s_mov_b32 s18, exec_lo
	s_delay_alu instid0(VALU_DEP_2) | instskip(NEXT) | instid1(VALU_DEP_1)
	v_and_b32_e32 v3, 0x7f, v0
	v_cmpx_ne_u32_e32 0x7f, v3
	s_cbranch_execz .LBB309_281
; %bb.278:                              ;   in Loop: Header=BB309_11 Depth=1
	v_and_b32_e32 v1, 7, v0
	v_lshrrev_b32_e32 v2, 3, v3
	s_mov_b32 s19, exec_lo
	v_cmpx_gt_u32_e32 8, v3
; %bb.279:                              ;   in Loop: Header=BB309_11 Depth=1
	s_delay_alu instid0(VALU_DEP_3) | instskip(NEXT) | instid1(VALU_DEP_1)
	v_clz_i32_u32_e32 v1, v1
	v_min_u32_e32 v3, 32, v1
	s_delay_alu instid0(VALU_DEP_1) | instskip(NEXT) | instid1(VALU_DEP_1)
	v_subrev_nc_u32_e32 v1, 28, v3
	v_lshlrev_b64_e32 v[1:2], v1, v[7:8]
	v_sub_nc_u32_e32 v2, 29, v3
	s_delay_alu instid0(VALU_DEP_2)
	v_and_b32_e32 v1, 7, v1
; %bb.280:                              ;   in Loop: Header=BB309_11 Depth=1
	s_wait_alu 0xfffe
	s_or_b32 exec_lo, exec_lo, s19
	v_lshlrev_b32_e32 v0, 8, v0
	v_lshl_add_u32 v2, v2, 10, 0x2000
	v_lshlrev_b32_e32 v1, 23, v1
	s_delay_alu instid0(VALU_DEP_2) | instskip(NEXT) | instid1(VALU_DEP_1)
	v_and_or_b32 v0, 0x8000, v0, v2
	v_lshl_or_b32 v117, v0, 16, v1
.LBB309_281:                            ;   in Loop: Header=BB309_11 Depth=1
	s_wait_alu 0xfffe
	s_or_b32 exec_lo, exec_lo, s18
.LBB309_282:                            ;   in Loop: Header=BB309_11 Depth=1
	s_wait_alu 0xfffe
	s_or_b32 exec_lo, exec_lo, s17
.LBB309_283:                            ;   in Loop: Header=BB309_11 Depth=1
	s_wait_alu 0xfffe
	s_or_b32 exec_lo, exec_lo, s16
	v_lshrrev_b32_e32 v7, 16, v30
	s_mov_b32 s16, exec_lo
	s_delay_alu instid0(VALU_DEP_1) | instskip(NEXT) | instid1(VALU_DEP_1)
	v_and_b32_e32 v0, 0xff, v7
	v_cmpx_ne_u16_e32 0, v0
	s_cbranch_execz .LBB309_291
; %bb.284:                              ;   in Loop: Header=BB309_11 Depth=1
	v_mov_b32_e32 v118, 0x8000
	s_mov_b32 s17, exec_lo
	v_cmpx_ne_u16_e32 0x80, v0
	s_cbranch_execz .LBB309_290
; %bb.285:                              ;   in Loop: Header=BB309_11 Depth=1
	v_bfe_u32 v2, v30, 16, 7
	v_mov_b32_e32 v118, 0x7c01
	s_mov_b32 s18, exec_lo
	s_delay_alu instid0(VALU_DEP_2)
	v_cmpx_ne_u32_e32 0x7f, v2
	s_cbranch_execz .LBB309_289
; %bb.286:                              ;   in Loop: Header=BB309_11 Depth=1
	v_and_b32_e32 v0, 7, v7
	v_lshrrev_b32_e32 v1, 3, v2
	s_mov_b32 s19, exec_lo
	v_cmpx_gt_u32_e32 8, v2
; %bb.287:                              ;   in Loop: Header=BB309_11 Depth=1
	s_delay_alu instid0(VALU_DEP_3) | instskip(NEXT) | instid1(VALU_DEP_1)
	v_clz_i32_u32_e32 v0, v0
	v_min_u32_e32 v2, 32, v0
	s_delay_alu instid0(VALU_DEP_1) | instskip(NEXT) | instid1(VALU_DEP_1)
	v_subrev_nc_u32_e32 v0, 28, v2
	v_lshlrev_b64_e32 v[0:1], v0, v[7:8]
	v_sub_nc_u32_e32 v1, 29, v2
	s_delay_alu instid0(VALU_DEP_2)
	v_and_b32_e32 v0, 7, v0
; %bb.288:                              ;   in Loop: Header=BB309_11 Depth=1
	s_wait_alu 0xfffe
	s_or_b32 exec_lo, exec_lo, s19
	v_lshlrev_b32_e32 v2, 8, v7
	v_lshl_add_u32 v1, v1, 10, 0x2000
	v_lshlrev_b32_e32 v0, 7, v0
	s_delay_alu instid0(VALU_DEP_3) | instskip(NEXT) | instid1(VALU_DEP_3)
	v_and_b32_e32 v2, 0x8000, v2
	v_and_b32_e32 v1, 0xfc00, v1
	s_delay_alu instid0(VALU_DEP_1)
	v_or3_b32 v118, v2, v1, v0
.LBB309_289:                            ;   in Loop: Header=BB309_11 Depth=1
	s_wait_alu 0xfffe
	s_or_b32 exec_lo, exec_lo, s18
.LBB309_290:                            ;   in Loop: Header=BB309_11 Depth=1
	s_wait_alu 0xfffe
	s_or_b32 exec_lo, exec_lo, s17
.LBB309_291:                            ;   in Loop: Header=BB309_11 Depth=1
	s_wait_alu 0xfffe
	s_or_b32 exec_lo, exec_lo, s16
	v_dual_mov_b32 v119, 0 :: v_dual_mov_b32 v128, 0
	s_mov_b32 s16, exec_lo
	v_cmpx_lt_u32_e32 0xffffff, v30
	s_cbranch_execz .LBB309_299
; %bb.292:                              ;   in Loop: Header=BB309_11 Depth=1
	v_lshrrev_b32_e32 v7, 24, v30
	v_bfrev_b32_e32 v128, 1
	s_mov_b32 s17, exec_lo
	s_delay_alu instid0(VALU_DEP_2)
	v_cmpx_ne_u32_e32 0x80, v7
	s_cbranch_execz .LBB309_298
; %bb.293:                              ;   in Loop: Header=BB309_11 Depth=1
	v_and_b32_e32 v2, 0x7f, v7
	v_mov_b32_e32 v128, 0x7c010000
	s_mov_b32 s18, exec_lo
	s_delay_alu instid0(VALU_DEP_2)
	v_cmpx_ne_u32_e32 0x7f, v2
	s_cbranch_execz .LBB309_297
; %bb.294:                              ;   in Loop: Header=BB309_11 Depth=1
	v_and_b32_e32 v0, 7, v7
	v_lshrrev_b32_e32 v1, 3, v2
	s_mov_b32 s19, exec_lo
	v_cmpx_gt_u32_e32 8, v2
; %bb.295:                              ;   in Loop: Header=BB309_11 Depth=1
	s_delay_alu instid0(VALU_DEP_3) | instskip(NEXT) | instid1(VALU_DEP_1)
	v_clz_i32_u32_e32 v0, v0
	v_min_u32_e32 v2, 32, v0
	s_delay_alu instid0(VALU_DEP_1) | instskip(NEXT) | instid1(VALU_DEP_1)
	v_subrev_nc_u32_e32 v0, 28, v2
	v_lshlrev_b64_e32 v[0:1], v0, v[7:8]
	v_sub_nc_u32_e32 v1, 29, v2
	s_delay_alu instid0(VALU_DEP_2)
	v_and_b32_e32 v0, 7, v0
; %bb.296:                              ;   in Loop: Header=BB309_11 Depth=1
	s_wait_alu 0xfffe
	s_or_b32 exec_lo, exec_lo, s19
	v_lshlrev_b32_e32 v2, 8, v7
	v_lshl_add_u32 v1, v1, 10, 0x2000
	v_lshlrev_b32_e32 v0, 23, v0
	s_delay_alu instid0(VALU_DEP_2) | instskip(NEXT) | instid1(VALU_DEP_1)
	v_and_or_b32 v1, 0x8000, v2, v1
	v_lshl_or_b32 v128, v1, 16, v0
.LBB309_297:                            ;   in Loop: Header=BB309_11 Depth=1
	s_wait_alu 0xfffe
	s_or_b32 exec_lo, exec_lo, s18
.LBB309_298:                            ;   in Loop: Header=BB309_11 Depth=1
	s_wait_alu 0xfffe
	s_or_b32 exec_lo, exec_lo, s17
.LBB309_299:                            ;   in Loop: Header=BB309_11 Depth=1
	s_wait_alu 0xfffe
	s_or_b32 exec_lo, exec_lo, s16
	v_dual_mov_b32 v7, v31 :: v_dual_and_b32 v0, 0xff, v31
	s_mov_b32 s16, exec_lo
	s_delay_alu instid0(VALU_DEP_1)
	v_cmpx_ne_u16_e32 0, v0
	s_cbranch_execz .LBB309_307
; %bb.300:                              ;   in Loop: Header=BB309_11 Depth=1
	v_mov_b32_e32 v119, 0x8000
	s_mov_b32 s17, exec_lo
	v_cmpx_ne_u16_e32 0x80, v0
	s_cbranch_execz .LBB309_306
; %bb.301:                              ;   in Loop: Header=BB309_11 Depth=1
	v_and_b32_e32 v2, 0x7f, v31
	v_mov_b32_e32 v119, 0x7c01
	s_mov_b32 s18, exec_lo
	s_delay_alu instid0(VALU_DEP_2)
	v_cmpx_ne_u32_e32 0x7f, v2
	s_cbranch_execz .LBB309_305
; %bb.302:                              ;   in Loop: Header=BB309_11 Depth=1
	v_and_b32_e32 v0, 7, v31
	v_lshrrev_b32_e32 v1, 3, v2
	s_mov_b32 s19, exec_lo
	v_cmpx_gt_u32_e32 8, v2
; %bb.303:                              ;   in Loop: Header=BB309_11 Depth=1
	s_delay_alu instid0(VALU_DEP_3) | instskip(NEXT) | instid1(VALU_DEP_1)
	v_clz_i32_u32_e32 v0, v0
	v_min_u32_e32 v2, 32, v0
	s_delay_alu instid0(VALU_DEP_1) | instskip(NEXT) | instid1(VALU_DEP_1)
	v_subrev_nc_u32_e32 v0, 28, v2
	v_lshlrev_b64_e32 v[0:1], v0, v[7:8]
	v_sub_nc_u32_e32 v1, 29, v2
	s_delay_alu instid0(VALU_DEP_2)
	v_and_b32_e32 v0, 7, v0
; %bb.304:                              ;   in Loop: Header=BB309_11 Depth=1
	s_wait_alu 0xfffe
	s_or_b32 exec_lo, exec_lo, s19
	v_lshlrev_b32_e32 v2, 8, v31
	v_lshl_add_u32 v1, v1, 10, 0x2000
	v_lshlrev_b32_e32 v0, 7, v0
	s_delay_alu instid0(VALU_DEP_3) | instskip(NEXT) | instid1(VALU_DEP_3)
	v_and_b32_e32 v2, 0x8000, v2
	v_and_b32_e32 v1, 0xfc00, v1
	s_delay_alu instid0(VALU_DEP_1)
	v_or3_b32 v119, v2, v1, v0
.LBB309_305:                            ;   in Loop: Header=BB309_11 Depth=1
	s_wait_alu 0xfffe
	s_or_b32 exec_lo, exec_lo, s18
.LBB309_306:                            ;   in Loop: Header=BB309_11 Depth=1
	s_wait_alu 0xfffe
	s_or_b32 exec_lo, exec_lo, s17
.LBB309_307:                            ;   in Loop: Header=BB309_11 Depth=1
	s_wait_alu 0xfffe
	s_or_b32 exec_lo, exec_lo, s16
	v_lshrrev_b16 v7, 8, v7
	v_dual_mov_b32 v129, 0 :: v_dual_mov_b32 v130, 0
	s_mov_b32 s16, exec_lo
	s_delay_alu instid0(VALU_DEP_2)
	v_cmpx_ne_u16_e32 0, v7
	s_cbranch_execz .LBB309_315
; %bb.308:                              ;   in Loop: Header=BB309_11 Depth=1
	v_bfrev_b32_e32 v130, 1
	s_mov_b32 s17, exec_lo
	v_cmpx_ne_u16_e32 0x80, v7
	s_cbranch_execz .LBB309_314
; %bb.309:                              ;   in Loop: Header=BB309_11 Depth=1
	v_and_b32_e32 v0, 0xffff, v7
	v_mov_b32_e32 v130, 0x7c010000
	s_mov_b32 s18, exec_lo
	s_delay_alu instid0(VALU_DEP_2) | instskip(NEXT) | instid1(VALU_DEP_1)
	v_and_b32_e32 v3, 0x7f, v0
	v_cmpx_ne_u32_e32 0x7f, v3
	s_cbranch_execz .LBB309_313
; %bb.310:                              ;   in Loop: Header=BB309_11 Depth=1
	v_and_b32_e32 v1, 7, v0
	v_lshrrev_b32_e32 v2, 3, v3
	s_mov_b32 s19, exec_lo
	v_cmpx_gt_u32_e32 8, v3
; %bb.311:                              ;   in Loop: Header=BB309_11 Depth=1
	s_delay_alu instid0(VALU_DEP_3) | instskip(NEXT) | instid1(VALU_DEP_1)
	v_clz_i32_u32_e32 v1, v1
	v_min_u32_e32 v3, 32, v1
	s_delay_alu instid0(VALU_DEP_1) | instskip(NEXT) | instid1(VALU_DEP_1)
	v_subrev_nc_u32_e32 v1, 28, v3
	v_lshlrev_b64_e32 v[1:2], v1, v[7:8]
	v_sub_nc_u32_e32 v2, 29, v3
	s_delay_alu instid0(VALU_DEP_2)
	v_and_b32_e32 v1, 7, v1
; %bb.312:                              ;   in Loop: Header=BB309_11 Depth=1
	s_wait_alu 0xfffe
	s_or_b32 exec_lo, exec_lo, s19
	v_lshlrev_b32_e32 v0, 8, v0
	v_lshl_add_u32 v2, v2, 10, 0x2000
	v_lshlrev_b32_e32 v1, 23, v1
	s_delay_alu instid0(VALU_DEP_2) | instskip(NEXT) | instid1(VALU_DEP_1)
	v_and_or_b32 v0, 0x8000, v0, v2
	v_lshl_or_b32 v130, v0, 16, v1
.LBB309_313:                            ;   in Loop: Header=BB309_11 Depth=1
	s_wait_alu 0xfffe
	s_or_b32 exec_lo, exec_lo, s18
.LBB309_314:                            ;   in Loop: Header=BB309_11 Depth=1
	s_wait_alu 0xfffe
	s_or_b32 exec_lo, exec_lo, s17
.LBB309_315:                            ;   in Loop: Header=BB309_11 Depth=1
	s_wait_alu 0xfffe
	s_or_b32 exec_lo, exec_lo, s16
	v_lshrrev_b32_e32 v7, 16, v31
	s_mov_b32 s16, exec_lo
	s_delay_alu instid0(VALU_DEP_1) | instskip(NEXT) | instid1(VALU_DEP_1)
	v_and_b32_e32 v0, 0xff, v7
	v_cmpx_ne_u16_e32 0, v0
	s_cbranch_execz .LBB309_323
; %bb.316:                              ;   in Loop: Header=BB309_11 Depth=1
	v_mov_b32_e32 v129, 0x8000
	s_mov_b32 s17, exec_lo
	v_cmpx_ne_u16_e32 0x80, v0
	s_cbranch_execz .LBB309_322
; %bb.317:                              ;   in Loop: Header=BB309_11 Depth=1
	v_bfe_u32 v2, v31, 16, 7
	v_mov_b32_e32 v129, 0x7c01
	s_mov_b32 s18, exec_lo
	s_delay_alu instid0(VALU_DEP_2)
	v_cmpx_ne_u32_e32 0x7f, v2
	s_cbranch_execz .LBB309_321
; %bb.318:                              ;   in Loop: Header=BB309_11 Depth=1
	v_and_b32_e32 v0, 7, v7
	v_lshrrev_b32_e32 v1, 3, v2
	s_mov_b32 s19, exec_lo
	v_cmpx_gt_u32_e32 8, v2
; %bb.319:                              ;   in Loop: Header=BB309_11 Depth=1
	s_delay_alu instid0(VALU_DEP_3) | instskip(NEXT) | instid1(VALU_DEP_1)
	v_clz_i32_u32_e32 v0, v0
	v_min_u32_e32 v2, 32, v0
	s_delay_alu instid0(VALU_DEP_1) | instskip(NEXT) | instid1(VALU_DEP_1)
	v_subrev_nc_u32_e32 v0, 28, v2
	v_lshlrev_b64_e32 v[0:1], v0, v[7:8]
	v_sub_nc_u32_e32 v1, 29, v2
	s_delay_alu instid0(VALU_DEP_2)
	v_and_b32_e32 v0, 7, v0
; %bb.320:                              ;   in Loop: Header=BB309_11 Depth=1
	s_wait_alu 0xfffe
	s_or_b32 exec_lo, exec_lo, s19
	v_lshlrev_b32_e32 v2, 8, v7
	v_lshl_add_u32 v1, v1, 10, 0x2000
	v_lshlrev_b32_e32 v0, 7, v0
	s_delay_alu instid0(VALU_DEP_3) | instskip(NEXT) | instid1(VALU_DEP_3)
	v_and_b32_e32 v2, 0x8000, v2
	v_and_b32_e32 v1, 0xfc00, v1
	s_delay_alu instid0(VALU_DEP_1)
	v_or3_b32 v129, v2, v1, v0
.LBB309_321:                            ;   in Loop: Header=BB309_11 Depth=1
	s_wait_alu 0xfffe
	s_or_b32 exec_lo, exec_lo, s18
.LBB309_322:                            ;   in Loop: Header=BB309_11 Depth=1
	s_wait_alu 0xfffe
	s_or_b32 exec_lo, exec_lo, s17
.LBB309_323:                            ;   in Loop: Header=BB309_11 Depth=1
	s_wait_alu 0xfffe
	s_or_b32 exec_lo, exec_lo, s16
	v_dual_mov_b32 v132, 0 :: v_dual_mov_b32 v131, 0
	s_mov_b32 s16, exec_lo
	v_cmpx_lt_u64_e64 s[2:3], v[30:31]
	s_cbranch_execz .LBB309_331
; %bb.324:                              ;   in Loop: Header=BB309_11 Depth=1
	v_lshrrev_b32_e32 v7, 24, v31
	v_bfrev_b32_e32 v131, 1
	s_mov_b32 s17, exec_lo
	s_delay_alu instid0(VALU_DEP_2)
	v_cmpx_ne_u32_e32 0x80, v7
	s_cbranch_execz .LBB309_330
; %bb.325:                              ;   in Loop: Header=BB309_11 Depth=1
	v_and_b32_e32 v2, 0x7f, v7
	v_mov_b32_e32 v131, 0x7c010000
	s_mov_b32 s18, exec_lo
	s_delay_alu instid0(VALU_DEP_2)
	v_cmpx_ne_u32_e32 0x7f, v2
	s_cbranch_execz .LBB309_329
; %bb.326:                              ;   in Loop: Header=BB309_11 Depth=1
	v_and_b32_e32 v0, 7, v7
	v_lshrrev_b32_e32 v1, 3, v2
	s_mov_b32 s19, exec_lo
	v_cmpx_gt_u32_e32 8, v2
; %bb.327:                              ;   in Loop: Header=BB309_11 Depth=1
	s_delay_alu instid0(VALU_DEP_3) | instskip(NEXT) | instid1(VALU_DEP_1)
	v_clz_i32_u32_e32 v0, v0
	v_min_u32_e32 v2, 32, v0
	s_delay_alu instid0(VALU_DEP_1) | instskip(NEXT) | instid1(VALU_DEP_1)
	v_subrev_nc_u32_e32 v0, 28, v2
	v_lshlrev_b64_e32 v[0:1], v0, v[7:8]
	v_sub_nc_u32_e32 v1, 29, v2
	s_delay_alu instid0(VALU_DEP_2)
	v_and_b32_e32 v0, 7, v0
; %bb.328:                              ;   in Loop: Header=BB309_11 Depth=1
	s_wait_alu 0xfffe
	s_or_b32 exec_lo, exec_lo, s19
	v_lshlrev_b32_e32 v2, 8, v7
	v_lshl_add_u32 v1, v1, 10, 0x2000
	v_lshlrev_b32_e32 v0, 23, v0
	s_delay_alu instid0(VALU_DEP_2) | instskip(NEXT) | instid1(VALU_DEP_1)
	v_and_or_b32 v1, 0x8000, v2, v1
	v_lshl_or_b32 v131, v1, 16, v0
.LBB309_329:                            ;   in Loop: Header=BB309_11 Depth=1
	s_wait_alu 0xfffe
	s_or_b32 exec_lo, exec_lo, s18
.LBB309_330:                            ;   in Loop: Header=BB309_11 Depth=1
	s_wait_alu 0xfffe
	s_or_b32 exec_lo, exec_lo, s17
.LBB309_331:                            ;   in Loop: Header=BB309_11 Depth=1
	s_wait_alu 0xfffe
	s_or_b32 exec_lo, exec_lo, s16
	flat_load_b64 v[30:31], v[28:29] offset:1032
	s_mov_b32 s16, exec_lo
	s_wait_loadcnt_dscnt 0x0
	v_and_b32_e32 v0, 0xff, v30
	s_delay_alu instid0(VALU_DEP_1)
	v_cmpx_ne_u16_e32 0, v0
	s_cbranch_execz .LBB309_339
; %bb.332:                              ;   in Loop: Header=BB309_11 Depth=1
	v_mov_b32_e32 v132, 0x8000
	s_mov_b32 s17, exec_lo
	v_cmpx_ne_u16_e32 0x80, v0
	s_cbranch_execz .LBB309_338
; %bb.333:                              ;   in Loop: Header=BB309_11 Depth=1
	v_and_b32_e32 v2, 0x7f, v30
	v_mov_b32_e32 v132, 0x7c01
	s_mov_b32 s18, exec_lo
	s_delay_alu instid0(VALU_DEP_2)
	v_cmpx_ne_u32_e32 0x7f, v2
	s_cbranch_execz .LBB309_337
; %bb.334:                              ;   in Loop: Header=BB309_11 Depth=1
	v_and_b32_e32 v0, 7, v30
	v_lshrrev_b32_e32 v1, 3, v2
	s_mov_b32 s19, exec_lo
	v_cmpx_gt_u32_e32 8, v2
; %bb.335:                              ;   in Loop: Header=BB309_11 Depth=1
	s_delay_alu instid0(VALU_DEP_3) | instskip(NEXT) | instid1(VALU_DEP_1)
	v_clz_i32_u32_e32 v0, v0
	v_min_u32_e32 v2, 32, v0
	s_delay_alu instid0(VALU_DEP_1) | instskip(NEXT) | instid1(VALU_DEP_1)
	v_subrev_nc_u32_e32 v0, 28, v2
	v_lshlrev_b64_e32 v[0:1], v0, v[30:31]
	v_sub_nc_u32_e32 v1, 29, v2
	s_delay_alu instid0(VALU_DEP_2)
	v_and_b32_e32 v0, 7, v0
; %bb.336:                              ;   in Loop: Header=BB309_11 Depth=1
	s_wait_alu 0xfffe
	s_or_b32 exec_lo, exec_lo, s19
	v_lshlrev_b32_e32 v2, 8, v30
	v_lshl_add_u32 v1, v1, 10, 0x2000
	v_lshlrev_b32_e32 v0, 7, v0
	s_delay_alu instid0(VALU_DEP_3) | instskip(NEXT) | instid1(VALU_DEP_3)
	v_and_b32_e32 v2, 0x8000, v2
	v_and_b32_e32 v1, 0xfc00, v1
	s_delay_alu instid0(VALU_DEP_1)
	v_or3_b32 v132, v2, v1, v0
.LBB309_337:                            ;   in Loop: Header=BB309_11 Depth=1
	s_wait_alu 0xfffe
	s_or_b32 exec_lo, exec_lo, s18
.LBB309_338:                            ;   in Loop: Header=BB309_11 Depth=1
	s_wait_alu 0xfffe
	s_or_b32 exec_lo, exec_lo, s17
.LBB309_339:                            ;   in Loop: Header=BB309_11 Depth=1
	s_wait_alu 0xfffe
	s_or_b32 exec_lo, exec_lo, s16
	v_lshrrev_b16 v7, 8, v30
	v_dual_mov_b32 v134, 0 :: v_dual_mov_b32 v133, 0
	s_mov_b32 s16, exec_lo
	s_delay_alu instid0(VALU_DEP_2)
	v_cmpx_ne_u16_e32 0, v7
	s_cbranch_execz .LBB309_347
; %bb.340:                              ;   in Loop: Header=BB309_11 Depth=1
	v_bfrev_b32_e32 v133, 1
	s_mov_b32 s17, exec_lo
	v_cmpx_ne_u16_e32 0x80, v7
	s_cbranch_execz .LBB309_346
; %bb.341:                              ;   in Loop: Header=BB309_11 Depth=1
	v_and_b32_e32 v0, 0xffff, v7
	v_mov_b32_e32 v133, 0x7c010000
	s_mov_b32 s18, exec_lo
	s_delay_alu instid0(VALU_DEP_2) | instskip(NEXT) | instid1(VALU_DEP_1)
	v_and_b32_e32 v3, 0x7f, v0
	v_cmpx_ne_u32_e32 0x7f, v3
	s_cbranch_execz .LBB309_345
; %bb.342:                              ;   in Loop: Header=BB309_11 Depth=1
	v_and_b32_e32 v1, 7, v0
	v_lshrrev_b32_e32 v2, 3, v3
	s_mov_b32 s19, exec_lo
	v_cmpx_gt_u32_e32 8, v3
; %bb.343:                              ;   in Loop: Header=BB309_11 Depth=1
	s_delay_alu instid0(VALU_DEP_3) | instskip(NEXT) | instid1(VALU_DEP_1)
	v_clz_i32_u32_e32 v1, v1
	v_min_u32_e32 v3, 32, v1
	s_delay_alu instid0(VALU_DEP_1) | instskip(NEXT) | instid1(VALU_DEP_1)
	v_subrev_nc_u32_e32 v1, 28, v3
	v_lshlrev_b64_e32 v[1:2], v1, v[7:8]
	v_sub_nc_u32_e32 v2, 29, v3
	s_delay_alu instid0(VALU_DEP_2)
	v_and_b32_e32 v1, 7, v1
; %bb.344:                              ;   in Loop: Header=BB309_11 Depth=1
	s_wait_alu 0xfffe
	s_or_b32 exec_lo, exec_lo, s19
	v_lshlrev_b32_e32 v0, 8, v0
	v_lshl_add_u32 v2, v2, 10, 0x2000
	v_lshlrev_b32_e32 v1, 23, v1
	s_delay_alu instid0(VALU_DEP_2) | instskip(NEXT) | instid1(VALU_DEP_1)
	v_and_or_b32 v0, 0x8000, v0, v2
	v_lshl_or_b32 v133, v0, 16, v1
.LBB309_345:                            ;   in Loop: Header=BB309_11 Depth=1
	s_wait_alu 0xfffe
	s_or_b32 exec_lo, exec_lo, s18
.LBB309_346:                            ;   in Loop: Header=BB309_11 Depth=1
	s_wait_alu 0xfffe
	s_or_b32 exec_lo, exec_lo, s17
.LBB309_347:                            ;   in Loop: Header=BB309_11 Depth=1
	s_wait_alu 0xfffe
	s_or_b32 exec_lo, exec_lo, s16
	v_lshrrev_b32_e32 v7, 16, v30
	s_mov_b32 s16, exec_lo
	s_delay_alu instid0(VALU_DEP_1) | instskip(NEXT) | instid1(VALU_DEP_1)
	v_and_b32_e32 v0, 0xff, v7
	v_cmpx_ne_u16_e32 0, v0
	s_cbranch_execz .LBB309_355
; %bb.348:                              ;   in Loop: Header=BB309_11 Depth=1
	v_mov_b32_e32 v134, 0x8000
	s_mov_b32 s17, exec_lo
	v_cmpx_ne_u16_e32 0x80, v0
	s_cbranch_execz .LBB309_354
; %bb.349:                              ;   in Loop: Header=BB309_11 Depth=1
	v_bfe_u32 v2, v30, 16, 7
	v_mov_b32_e32 v134, 0x7c01
	s_mov_b32 s18, exec_lo
	s_delay_alu instid0(VALU_DEP_2)
	v_cmpx_ne_u32_e32 0x7f, v2
	s_cbranch_execz .LBB309_353
; %bb.350:                              ;   in Loop: Header=BB309_11 Depth=1
	v_and_b32_e32 v0, 7, v7
	v_lshrrev_b32_e32 v1, 3, v2
	s_mov_b32 s19, exec_lo
	v_cmpx_gt_u32_e32 8, v2
; %bb.351:                              ;   in Loop: Header=BB309_11 Depth=1
	s_delay_alu instid0(VALU_DEP_3) | instskip(NEXT) | instid1(VALU_DEP_1)
	v_clz_i32_u32_e32 v0, v0
	v_min_u32_e32 v2, 32, v0
	s_delay_alu instid0(VALU_DEP_1) | instskip(NEXT) | instid1(VALU_DEP_1)
	v_subrev_nc_u32_e32 v0, 28, v2
	v_lshlrev_b64_e32 v[0:1], v0, v[7:8]
	v_sub_nc_u32_e32 v1, 29, v2
	s_delay_alu instid0(VALU_DEP_2)
	v_and_b32_e32 v0, 7, v0
; %bb.352:                              ;   in Loop: Header=BB309_11 Depth=1
	s_wait_alu 0xfffe
	s_or_b32 exec_lo, exec_lo, s19
	v_lshlrev_b32_e32 v2, 8, v7
	v_lshl_add_u32 v1, v1, 10, 0x2000
	v_lshlrev_b32_e32 v0, 7, v0
	s_delay_alu instid0(VALU_DEP_3) | instskip(NEXT) | instid1(VALU_DEP_3)
	v_and_b32_e32 v2, 0x8000, v2
	v_and_b32_e32 v1, 0xfc00, v1
	s_delay_alu instid0(VALU_DEP_1)
	v_or3_b32 v134, v2, v1, v0
.LBB309_353:                            ;   in Loop: Header=BB309_11 Depth=1
	s_wait_alu 0xfffe
	s_or_b32 exec_lo, exec_lo, s18
.LBB309_354:                            ;   in Loop: Header=BB309_11 Depth=1
	s_wait_alu 0xfffe
	s_or_b32 exec_lo, exec_lo, s17
.LBB309_355:                            ;   in Loop: Header=BB309_11 Depth=1
	s_wait_alu 0xfffe
	s_or_b32 exec_lo, exec_lo, s16
	v_dual_mov_b32 v135, 0 :: v_dual_mov_b32 v144, 0
	s_mov_b32 s16, exec_lo
	v_cmpx_lt_u32_e32 0xffffff, v30
	s_cbranch_execz .LBB309_363
; %bb.356:                              ;   in Loop: Header=BB309_11 Depth=1
	v_lshrrev_b32_e32 v7, 24, v30
	v_bfrev_b32_e32 v144, 1
	s_mov_b32 s17, exec_lo
	s_delay_alu instid0(VALU_DEP_2)
	v_cmpx_ne_u32_e32 0x80, v7
	s_cbranch_execz .LBB309_362
; %bb.357:                              ;   in Loop: Header=BB309_11 Depth=1
	v_and_b32_e32 v2, 0x7f, v7
	v_mov_b32_e32 v144, 0x7c010000
	s_mov_b32 s18, exec_lo
	s_delay_alu instid0(VALU_DEP_2)
	v_cmpx_ne_u32_e32 0x7f, v2
	s_cbranch_execz .LBB309_361
; %bb.358:                              ;   in Loop: Header=BB309_11 Depth=1
	v_and_b32_e32 v0, 7, v7
	v_lshrrev_b32_e32 v1, 3, v2
	s_mov_b32 s19, exec_lo
	v_cmpx_gt_u32_e32 8, v2
; %bb.359:                              ;   in Loop: Header=BB309_11 Depth=1
	s_delay_alu instid0(VALU_DEP_3) | instskip(NEXT) | instid1(VALU_DEP_1)
	v_clz_i32_u32_e32 v0, v0
	v_min_u32_e32 v2, 32, v0
	s_delay_alu instid0(VALU_DEP_1) | instskip(NEXT) | instid1(VALU_DEP_1)
	v_subrev_nc_u32_e32 v0, 28, v2
	v_lshlrev_b64_e32 v[0:1], v0, v[7:8]
	v_sub_nc_u32_e32 v1, 29, v2
	s_delay_alu instid0(VALU_DEP_2)
	v_and_b32_e32 v0, 7, v0
; %bb.360:                              ;   in Loop: Header=BB309_11 Depth=1
	s_wait_alu 0xfffe
	s_or_b32 exec_lo, exec_lo, s19
	v_lshlrev_b32_e32 v2, 8, v7
	v_lshl_add_u32 v1, v1, 10, 0x2000
	v_lshlrev_b32_e32 v0, 23, v0
	s_delay_alu instid0(VALU_DEP_2) | instskip(NEXT) | instid1(VALU_DEP_1)
	v_and_or_b32 v1, 0x8000, v2, v1
	v_lshl_or_b32 v144, v1, 16, v0
.LBB309_361:                            ;   in Loop: Header=BB309_11 Depth=1
	s_wait_alu 0xfffe
	s_or_b32 exec_lo, exec_lo, s18
.LBB309_362:                            ;   in Loop: Header=BB309_11 Depth=1
	s_wait_alu 0xfffe
	s_or_b32 exec_lo, exec_lo, s17
.LBB309_363:                            ;   in Loop: Header=BB309_11 Depth=1
	s_wait_alu 0xfffe
	s_or_b32 exec_lo, exec_lo, s16
	v_dual_mov_b32 v7, v31 :: v_dual_and_b32 v0, 0xff, v31
	s_mov_b32 s16, exec_lo
	s_delay_alu instid0(VALU_DEP_1)
	v_cmpx_ne_u16_e32 0, v0
	s_cbranch_execz .LBB309_371
; %bb.364:                              ;   in Loop: Header=BB309_11 Depth=1
	v_mov_b32_e32 v135, 0x8000
	s_mov_b32 s17, exec_lo
	v_cmpx_ne_u16_e32 0x80, v0
	s_cbranch_execz .LBB309_370
; %bb.365:                              ;   in Loop: Header=BB309_11 Depth=1
	v_and_b32_e32 v2, 0x7f, v31
	v_mov_b32_e32 v135, 0x7c01
	s_mov_b32 s18, exec_lo
	s_delay_alu instid0(VALU_DEP_2)
	v_cmpx_ne_u32_e32 0x7f, v2
	s_cbranch_execz .LBB309_369
; %bb.366:                              ;   in Loop: Header=BB309_11 Depth=1
	v_and_b32_e32 v0, 7, v31
	v_lshrrev_b32_e32 v1, 3, v2
	s_mov_b32 s19, exec_lo
	v_cmpx_gt_u32_e32 8, v2
; %bb.367:                              ;   in Loop: Header=BB309_11 Depth=1
	s_delay_alu instid0(VALU_DEP_3) | instskip(NEXT) | instid1(VALU_DEP_1)
	v_clz_i32_u32_e32 v0, v0
	v_min_u32_e32 v2, 32, v0
	s_delay_alu instid0(VALU_DEP_1) | instskip(NEXT) | instid1(VALU_DEP_1)
	v_subrev_nc_u32_e32 v0, 28, v2
	v_lshlrev_b64_e32 v[0:1], v0, v[7:8]
	v_sub_nc_u32_e32 v1, 29, v2
	s_delay_alu instid0(VALU_DEP_2)
	v_and_b32_e32 v0, 7, v0
; %bb.368:                              ;   in Loop: Header=BB309_11 Depth=1
	s_wait_alu 0xfffe
	s_or_b32 exec_lo, exec_lo, s19
	v_lshlrev_b32_e32 v2, 8, v31
	v_lshl_add_u32 v1, v1, 10, 0x2000
	v_lshlrev_b32_e32 v0, 7, v0
	s_delay_alu instid0(VALU_DEP_3) | instskip(NEXT) | instid1(VALU_DEP_3)
	v_and_b32_e32 v2, 0x8000, v2
	v_and_b32_e32 v1, 0xfc00, v1
	s_delay_alu instid0(VALU_DEP_1)
	v_or3_b32 v135, v2, v1, v0
.LBB309_369:                            ;   in Loop: Header=BB309_11 Depth=1
	s_wait_alu 0xfffe
	s_or_b32 exec_lo, exec_lo, s18
.LBB309_370:                            ;   in Loop: Header=BB309_11 Depth=1
	s_wait_alu 0xfffe
	s_or_b32 exec_lo, exec_lo, s17
.LBB309_371:                            ;   in Loop: Header=BB309_11 Depth=1
	s_wait_alu 0xfffe
	s_or_b32 exec_lo, exec_lo, s16
	v_lshrrev_b16 v7, 8, v7
	v_dual_mov_b32 v145, 0 :: v_dual_mov_b32 v146, 0
	s_mov_b32 s16, exec_lo
	s_delay_alu instid0(VALU_DEP_2)
	v_cmpx_ne_u16_e32 0, v7
	s_cbranch_execz .LBB309_379
; %bb.372:                              ;   in Loop: Header=BB309_11 Depth=1
	v_bfrev_b32_e32 v146, 1
	s_mov_b32 s17, exec_lo
	v_cmpx_ne_u16_e32 0x80, v7
	s_cbranch_execz .LBB309_378
; %bb.373:                              ;   in Loop: Header=BB309_11 Depth=1
	v_and_b32_e32 v0, 0xffff, v7
	v_mov_b32_e32 v146, 0x7c010000
	s_mov_b32 s18, exec_lo
	s_delay_alu instid0(VALU_DEP_2) | instskip(NEXT) | instid1(VALU_DEP_1)
	v_and_b32_e32 v3, 0x7f, v0
	v_cmpx_ne_u32_e32 0x7f, v3
	s_cbranch_execz .LBB309_377
; %bb.374:                              ;   in Loop: Header=BB309_11 Depth=1
	v_and_b32_e32 v1, 7, v0
	v_lshrrev_b32_e32 v2, 3, v3
	s_mov_b32 s19, exec_lo
	v_cmpx_gt_u32_e32 8, v3
; %bb.375:                              ;   in Loop: Header=BB309_11 Depth=1
	s_delay_alu instid0(VALU_DEP_3) | instskip(NEXT) | instid1(VALU_DEP_1)
	v_clz_i32_u32_e32 v1, v1
	v_min_u32_e32 v3, 32, v1
	s_delay_alu instid0(VALU_DEP_1) | instskip(NEXT) | instid1(VALU_DEP_1)
	v_subrev_nc_u32_e32 v1, 28, v3
	v_lshlrev_b64_e32 v[1:2], v1, v[7:8]
	v_sub_nc_u32_e32 v2, 29, v3
	s_delay_alu instid0(VALU_DEP_2)
	v_and_b32_e32 v1, 7, v1
; %bb.376:                              ;   in Loop: Header=BB309_11 Depth=1
	s_wait_alu 0xfffe
	s_or_b32 exec_lo, exec_lo, s19
	v_lshlrev_b32_e32 v0, 8, v0
	v_lshl_add_u32 v2, v2, 10, 0x2000
	v_lshlrev_b32_e32 v1, 23, v1
	s_delay_alu instid0(VALU_DEP_2) | instskip(NEXT) | instid1(VALU_DEP_1)
	v_and_or_b32 v0, 0x8000, v0, v2
	v_lshl_or_b32 v146, v0, 16, v1
.LBB309_377:                            ;   in Loop: Header=BB309_11 Depth=1
	s_wait_alu 0xfffe
	s_or_b32 exec_lo, exec_lo, s18
.LBB309_378:                            ;   in Loop: Header=BB309_11 Depth=1
	s_wait_alu 0xfffe
	s_or_b32 exec_lo, exec_lo, s17
.LBB309_379:                            ;   in Loop: Header=BB309_11 Depth=1
	s_wait_alu 0xfffe
	s_or_b32 exec_lo, exec_lo, s16
	v_lshrrev_b32_e32 v7, 16, v31
	s_mov_b32 s16, exec_lo
	s_delay_alu instid0(VALU_DEP_1) | instskip(NEXT) | instid1(VALU_DEP_1)
	v_and_b32_e32 v0, 0xff, v7
	v_cmpx_ne_u16_e32 0, v0
	s_cbranch_execz .LBB309_387
; %bb.380:                              ;   in Loop: Header=BB309_11 Depth=1
	v_mov_b32_e32 v145, 0x8000
	s_mov_b32 s17, exec_lo
	v_cmpx_ne_u16_e32 0x80, v0
	s_cbranch_execz .LBB309_386
; %bb.381:                              ;   in Loop: Header=BB309_11 Depth=1
	v_bfe_u32 v2, v31, 16, 7
	v_mov_b32_e32 v145, 0x7c01
	s_mov_b32 s18, exec_lo
	s_delay_alu instid0(VALU_DEP_2)
	v_cmpx_ne_u32_e32 0x7f, v2
	s_cbranch_execz .LBB309_385
; %bb.382:                              ;   in Loop: Header=BB309_11 Depth=1
	v_and_b32_e32 v0, 7, v7
	v_lshrrev_b32_e32 v1, 3, v2
	s_mov_b32 s19, exec_lo
	v_cmpx_gt_u32_e32 8, v2
; %bb.383:                              ;   in Loop: Header=BB309_11 Depth=1
	s_delay_alu instid0(VALU_DEP_3) | instskip(NEXT) | instid1(VALU_DEP_1)
	v_clz_i32_u32_e32 v0, v0
	v_min_u32_e32 v2, 32, v0
	s_delay_alu instid0(VALU_DEP_1) | instskip(NEXT) | instid1(VALU_DEP_1)
	v_subrev_nc_u32_e32 v0, 28, v2
	v_lshlrev_b64_e32 v[0:1], v0, v[7:8]
	v_sub_nc_u32_e32 v1, 29, v2
	s_delay_alu instid0(VALU_DEP_2)
	v_and_b32_e32 v0, 7, v0
; %bb.384:                              ;   in Loop: Header=BB309_11 Depth=1
	s_wait_alu 0xfffe
	s_or_b32 exec_lo, exec_lo, s19
	v_lshlrev_b32_e32 v2, 8, v7
	v_lshl_add_u32 v1, v1, 10, 0x2000
	v_lshlrev_b32_e32 v0, 7, v0
	s_delay_alu instid0(VALU_DEP_3) | instskip(NEXT) | instid1(VALU_DEP_3)
	v_and_b32_e32 v2, 0x8000, v2
	v_and_b32_e32 v1, 0xfc00, v1
	s_delay_alu instid0(VALU_DEP_1)
	v_or3_b32 v145, v2, v1, v0
.LBB309_385:                            ;   in Loop: Header=BB309_11 Depth=1
	s_wait_alu 0xfffe
	s_or_b32 exec_lo, exec_lo, s18
.LBB309_386:                            ;   in Loop: Header=BB309_11 Depth=1
	s_wait_alu 0xfffe
	s_or_b32 exec_lo, exec_lo, s17
.LBB309_387:                            ;   in Loop: Header=BB309_11 Depth=1
	s_wait_alu 0xfffe
	s_or_b32 exec_lo, exec_lo, s16
	v_dual_mov_b32 v148, 0 :: v_dual_mov_b32 v147, 0
	s_mov_b32 s16, exec_lo
	v_cmpx_lt_u64_e64 s[2:3], v[30:31]
	s_cbranch_execz .LBB309_395
; %bb.388:                              ;   in Loop: Header=BB309_11 Depth=1
	v_lshrrev_b32_e32 v7, 24, v31
	v_bfrev_b32_e32 v147, 1
	s_mov_b32 s17, exec_lo
	s_delay_alu instid0(VALU_DEP_2)
	v_cmpx_ne_u32_e32 0x80, v7
	s_cbranch_execz .LBB309_394
; %bb.389:                              ;   in Loop: Header=BB309_11 Depth=1
	v_and_b32_e32 v2, 0x7f, v7
	v_mov_b32_e32 v147, 0x7c010000
	s_mov_b32 s18, exec_lo
	s_delay_alu instid0(VALU_DEP_2)
	v_cmpx_ne_u32_e32 0x7f, v2
	s_cbranch_execz .LBB309_393
; %bb.390:                              ;   in Loop: Header=BB309_11 Depth=1
	v_and_b32_e32 v0, 7, v7
	v_lshrrev_b32_e32 v1, 3, v2
	s_mov_b32 s19, exec_lo
	v_cmpx_gt_u32_e32 8, v2
; %bb.391:                              ;   in Loop: Header=BB309_11 Depth=1
	s_delay_alu instid0(VALU_DEP_3) | instskip(NEXT) | instid1(VALU_DEP_1)
	v_clz_i32_u32_e32 v0, v0
	v_min_u32_e32 v2, 32, v0
	s_delay_alu instid0(VALU_DEP_1) | instskip(NEXT) | instid1(VALU_DEP_1)
	v_subrev_nc_u32_e32 v0, 28, v2
	v_lshlrev_b64_e32 v[0:1], v0, v[7:8]
	v_sub_nc_u32_e32 v1, 29, v2
	s_delay_alu instid0(VALU_DEP_2)
	v_and_b32_e32 v0, 7, v0
; %bb.392:                              ;   in Loop: Header=BB309_11 Depth=1
	s_wait_alu 0xfffe
	s_or_b32 exec_lo, exec_lo, s19
	v_lshlrev_b32_e32 v2, 8, v7
	v_lshl_add_u32 v1, v1, 10, 0x2000
	v_lshlrev_b32_e32 v0, 23, v0
	s_delay_alu instid0(VALU_DEP_2) | instskip(NEXT) | instid1(VALU_DEP_1)
	v_and_or_b32 v1, 0x8000, v2, v1
	v_lshl_or_b32 v147, v1, 16, v0
.LBB309_393:                            ;   in Loop: Header=BB309_11 Depth=1
	s_wait_alu 0xfffe
	s_or_b32 exec_lo, exec_lo, s18
.LBB309_394:                            ;   in Loop: Header=BB309_11 Depth=1
	s_wait_alu 0xfffe
	s_or_b32 exec_lo, exec_lo, s17
.LBB309_395:                            ;   in Loop: Header=BB309_11 Depth=1
	s_wait_alu 0xfffe
	s_or_b32 exec_lo, exec_lo, s16
	flat_load_b64 v[30:31], v[28:29] offset:1536
	s_mov_b32 s16, exec_lo
	s_wait_loadcnt_dscnt 0x0
	v_and_b32_e32 v0, 0xff, v30
	s_delay_alu instid0(VALU_DEP_1)
	v_cmpx_ne_u16_e32 0, v0
	s_cbranch_execz .LBB309_403
; %bb.396:                              ;   in Loop: Header=BB309_11 Depth=1
	v_mov_b32_e32 v148, 0x8000
	s_mov_b32 s17, exec_lo
	v_cmpx_ne_u16_e32 0x80, v0
	s_cbranch_execz .LBB309_402
; %bb.397:                              ;   in Loop: Header=BB309_11 Depth=1
	v_and_b32_e32 v2, 0x7f, v30
	v_mov_b32_e32 v148, 0x7c01
	s_mov_b32 s18, exec_lo
	s_delay_alu instid0(VALU_DEP_2)
	v_cmpx_ne_u32_e32 0x7f, v2
	s_cbranch_execz .LBB309_401
; %bb.398:                              ;   in Loop: Header=BB309_11 Depth=1
	v_and_b32_e32 v0, 7, v30
	v_lshrrev_b32_e32 v1, 3, v2
	s_mov_b32 s19, exec_lo
	v_cmpx_gt_u32_e32 8, v2
; %bb.399:                              ;   in Loop: Header=BB309_11 Depth=1
	s_delay_alu instid0(VALU_DEP_3) | instskip(NEXT) | instid1(VALU_DEP_1)
	v_clz_i32_u32_e32 v0, v0
	v_min_u32_e32 v2, 32, v0
	s_delay_alu instid0(VALU_DEP_1) | instskip(NEXT) | instid1(VALU_DEP_1)
	v_subrev_nc_u32_e32 v0, 28, v2
	v_lshlrev_b64_e32 v[0:1], v0, v[30:31]
	v_sub_nc_u32_e32 v1, 29, v2
	s_delay_alu instid0(VALU_DEP_2)
	v_and_b32_e32 v0, 7, v0
; %bb.400:                              ;   in Loop: Header=BB309_11 Depth=1
	s_wait_alu 0xfffe
	s_or_b32 exec_lo, exec_lo, s19
	v_lshlrev_b32_e32 v2, 8, v30
	v_lshl_add_u32 v1, v1, 10, 0x2000
	v_lshlrev_b32_e32 v0, 7, v0
	s_delay_alu instid0(VALU_DEP_3) | instskip(NEXT) | instid1(VALU_DEP_3)
	v_and_b32_e32 v2, 0x8000, v2
	v_and_b32_e32 v1, 0xfc00, v1
	s_delay_alu instid0(VALU_DEP_1)
	v_or3_b32 v148, v2, v1, v0
.LBB309_401:                            ;   in Loop: Header=BB309_11 Depth=1
	s_wait_alu 0xfffe
	s_or_b32 exec_lo, exec_lo, s18
.LBB309_402:                            ;   in Loop: Header=BB309_11 Depth=1
	s_wait_alu 0xfffe
	s_or_b32 exec_lo, exec_lo, s17
.LBB309_403:                            ;   in Loop: Header=BB309_11 Depth=1
	s_wait_alu 0xfffe
	s_or_b32 exec_lo, exec_lo, s16
	v_lshrrev_b16 v7, 8, v30
	v_dual_mov_b32 v150, 0 :: v_dual_mov_b32 v149, 0
	s_mov_b32 s16, exec_lo
	s_delay_alu instid0(VALU_DEP_2)
	v_cmpx_ne_u16_e32 0, v7
	s_cbranch_execz .LBB309_411
; %bb.404:                              ;   in Loop: Header=BB309_11 Depth=1
	v_bfrev_b32_e32 v149, 1
	s_mov_b32 s17, exec_lo
	v_cmpx_ne_u16_e32 0x80, v7
	s_cbranch_execz .LBB309_410
; %bb.405:                              ;   in Loop: Header=BB309_11 Depth=1
	v_and_b32_e32 v0, 0xffff, v7
	v_mov_b32_e32 v149, 0x7c010000
	s_mov_b32 s18, exec_lo
	s_delay_alu instid0(VALU_DEP_2) | instskip(NEXT) | instid1(VALU_DEP_1)
	v_and_b32_e32 v3, 0x7f, v0
	v_cmpx_ne_u32_e32 0x7f, v3
	s_cbranch_execz .LBB309_409
; %bb.406:                              ;   in Loop: Header=BB309_11 Depth=1
	v_and_b32_e32 v1, 7, v0
	v_lshrrev_b32_e32 v2, 3, v3
	s_mov_b32 s19, exec_lo
	v_cmpx_gt_u32_e32 8, v3
; %bb.407:                              ;   in Loop: Header=BB309_11 Depth=1
	s_delay_alu instid0(VALU_DEP_3) | instskip(NEXT) | instid1(VALU_DEP_1)
	v_clz_i32_u32_e32 v1, v1
	v_min_u32_e32 v3, 32, v1
	s_delay_alu instid0(VALU_DEP_1) | instskip(NEXT) | instid1(VALU_DEP_1)
	v_subrev_nc_u32_e32 v1, 28, v3
	v_lshlrev_b64_e32 v[1:2], v1, v[7:8]
	v_sub_nc_u32_e32 v2, 29, v3
	s_delay_alu instid0(VALU_DEP_2)
	v_and_b32_e32 v1, 7, v1
; %bb.408:                              ;   in Loop: Header=BB309_11 Depth=1
	s_wait_alu 0xfffe
	s_or_b32 exec_lo, exec_lo, s19
	v_lshlrev_b32_e32 v0, 8, v0
	v_lshl_add_u32 v2, v2, 10, 0x2000
	v_lshlrev_b32_e32 v1, 23, v1
	s_delay_alu instid0(VALU_DEP_2) | instskip(NEXT) | instid1(VALU_DEP_1)
	v_and_or_b32 v0, 0x8000, v0, v2
	v_lshl_or_b32 v149, v0, 16, v1
.LBB309_409:                            ;   in Loop: Header=BB309_11 Depth=1
	s_wait_alu 0xfffe
	s_or_b32 exec_lo, exec_lo, s18
.LBB309_410:                            ;   in Loop: Header=BB309_11 Depth=1
	s_wait_alu 0xfffe
	s_or_b32 exec_lo, exec_lo, s17
.LBB309_411:                            ;   in Loop: Header=BB309_11 Depth=1
	s_wait_alu 0xfffe
	s_or_b32 exec_lo, exec_lo, s16
	v_lshrrev_b32_e32 v7, 16, v30
	s_mov_b32 s16, exec_lo
	s_delay_alu instid0(VALU_DEP_1) | instskip(NEXT) | instid1(VALU_DEP_1)
	v_and_b32_e32 v0, 0xff, v7
	v_cmpx_ne_u16_e32 0, v0
	s_cbranch_execz .LBB309_419
; %bb.412:                              ;   in Loop: Header=BB309_11 Depth=1
	v_mov_b32_e32 v150, 0x8000
	s_mov_b32 s17, exec_lo
	v_cmpx_ne_u16_e32 0x80, v0
	s_cbranch_execz .LBB309_418
; %bb.413:                              ;   in Loop: Header=BB309_11 Depth=1
	v_bfe_u32 v2, v30, 16, 7
	v_mov_b32_e32 v150, 0x7c01
	s_mov_b32 s18, exec_lo
	s_delay_alu instid0(VALU_DEP_2)
	v_cmpx_ne_u32_e32 0x7f, v2
	s_cbranch_execz .LBB309_417
; %bb.414:                              ;   in Loop: Header=BB309_11 Depth=1
	v_and_b32_e32 v0, 7, v7
	v_lshrrev_b32_e32 v1, 3, v2
	s_mov_b32 s19, exec_lo
	v_cmpx_gt_u32_e32 8, v2
; %bb.415:                              ;   in Loop: Header=BB309_11 Depth=1
	s_delay_alu instid0(VALU_DEP_3) | instskip(NEXT) | instid1(VALU_DEP_1)
	v_clz_i32_u32_e32 v0, v0
	v_min_u32_e32 v2, 32, v0
	s_delay_alu instid0(VALU_DEP_1) | instskip(NEXT) | instid1(VALU_DEP_1)
	v_subrev_nc_u32_e32 v0, 28, v2
	v_lshlrev_b64_e32 v[0:1], v0, v[7:8]
	v_sub_nc_u32_e32 v1, 29, v2
	s_delay_alu instid0(VALU_DEP_2)
	v_and_b32_e32 v0, 7, v0
; %bb.416:                              ;   in Loop: Header=BB309_11 Depth=1
	s_wait_alu 0xfffe
	s_or_b32 exec_lo, exec_lo, s19
	v_lshlrev_b32_e32 v2, 8, v7
	v_lshl_add_u32 v1, v1, 10, 0x2000
	v_lshlrev_b32_e32 v0, 7, v0
	s_delay_alu instid0(VALU_DEP_3) | instskip(NEXT) | instid1(VALU_DEP_3)
	v_and_b32_e32 v2, 0x8000, v2
	v_and_b32_e32 v1, 0xfc00, v1
	s_delay_alu instid0(VALU_DEP_1)
	v_or3_b32 v150, v2, v1, v0
.LBB309_417:                            ;   in Loop: Header=BB309_11 Depth=1
	s_wait_alu 0xfffe
	s_or_b32 exec_lo, exec_lo, s18
.LBB309_418:                            ;   in Loop: Header=BB309_11 Depth=1
	s_wait_alu 0xfffe
	s_or_b32 exec_lo, exec_lo, s17
.LBB309_419:                            ;   in Loop: Header=BB309_11 Depth=1
	s_wait_alu 0xfffe
	s_or_b32 exec_lo, exec_lo, s16
	v_dual_mov_b32 v151, 0 :: v_dual_mov_b32 v160, 0
	s_mov_b32 s16, exec_lo
	v_cmpx_lt_u32_e32 0xffffff, v30
	s_cbranch_execz .LBB309_427
; %bb.420:                              ;   in Loop: Header=BB309_11 Depth=1
	v_lshrrev_b32_e32 v7, 24, v30
	v_bfrev_b32_e32 v160, 1
	s_mov_b32 s17, exec_lo
	s_delay_alu instid0(VALU_DEP_2)
	v_cmpx_ne_u32_e32 0x80, v7
	s_cbranch_execz .LBB309_426
; %bb.421:                              ;   in Loop: Header=BB309_11 Depth=1
	v_and_b32_e32 v2, 0x7f, v7
	v_mov_b32_e32 v160, 0x7c010000
	s_mov_b32 s18, exec_lo
	s_delay_alu instid0(VALU_DEP_2)
	v_cmpx_ne_u32_e32 0x7f, v2
	s_cbranch_execz .LBB309_425
; %bb.422:                              ;   in Loop: Header=BB309_11 Depth=1
	v_and_b32_e32 v0, 7, v7
	v_lshrrev_b32_e32 v1, 3, v2
	s_mov_b32 s19, exec_lo
	v_cmpx_gt_u32_e32 8, v2
; %bb.423:                              ;   in Loop: Header=BB309_11 Depth=1
	s_delay_alu instid0(VALU_DEP_3) | instskip(NEXT) | instid1(VALU_DEP_1)
	v_clz_i32_u32_e32 v0, v0
	v_min_u32_e32 v2, 32, v0
	s_delay_alu instid0(VALU_DEP_1) | instskip(NEXT) | instid1(VALU_DEP_1)
	v_subrev_nc_u32_e32 v0, 28, v2
	v_lshlrev_b64_e32 v[0:1], v0, v[7:8]
	v_sub_nc_u32_e32 v1, 29, v2
	s_delay_alu instid0(VALU_DEP_2)
	v_and_b32_e32 v0, 7, v0
; %bb.424:                              ;   in Loop: Header=BB309_11 Depth=1
	s_wait_alu 0xfffe
	s_or_b32 exec_lo, exec_lo, s19
	v_lshlrev_b32_e32 v2, 8, v7
	v_lshl_add_u32 v1, v1, 10, 0x2000
	v_lshlrev_b32_e32 v0, 23, v0
	s_delay_alu instid0(VALU_DEP_2) | instskip(NEXT) | instid1(VALU_DEP_1)
	v_and_or_b32 v1, 0x8000, v2, v1
	v_lshl_or_b32 v160, v1, 16, v0
.LBB309_425:                            ;   in Loop: Header=BB309_11 Depth=1
	s_wait_alu 0xfffe
	s_or_b32 exec_lo, exec_lo, s18
.LBB309_426:                            ;   in Loop: Header=BB309_11 Depth=1
	s_wait_alu 0xfffe
	s_or_b32 exec_lo, exec_lo, s17
.LBB309_427:                            ;   in Loop: Header=BB309_11 Depth=1
	s_wait_alu 0xfffe
	s_or_b32 exec_lo, exec_lo, s16
	v_dual_mov_b32 v7, v31 :: v_dual_and_b32 v0, 0xff, v31
	s_mov_b32 s16, exec_lo
	s_delay_alu instid0(VALU_DEP_1)
	v_cmpx_ne_u16_e32 0, v0
	s_cbranch_execz .LBB309_435
; %bb.428:                              ;   in Loop: Header=BB309_11 Depth=1
	v_mov_b32_e32 v151, 0x8000
	s_mov_b32 s17, exec_lo
	v_cmpx_ne_u16_e32 0x80, v0
	s_cbranch_execz .LBB309_434
; %bb.429:                              ;   in Loop: Header=BB309_11 Depth=1
	v_and_b32_e32 v2, 0x7f, v31
	v_mov_b32_e32 v151, 0x7c01
	s_mov_b32 s18, exec_lo
	s_delay_alu instid0(VALU_DEP_2)
	v_cmpx_ne_u32_e32 0x7f, v2
	s_cbranch_execz .LBB309_433
; %bb.430:                              ;   in Loop: Header=BB309_11 Depth=1
	v_and_b32_e32 v0, 7, v31
	v_lshrrev_b32_e32 v1, 3, v2
	s_mov_b32 s19, exec_lo
	v_cmpx_gt_u32_e32 8, v2
; %bb.431:                              ;   in Loop: Header=BB309_11 Depth=1
	s_delay_alu instid0(VALU_DEP_3) | instskip(NEXT) | instid1(VALU_DEP_1)
	v_clz_i32_u32_e32 v0, v0
	v_min_u32_e32 v2, 32, v0
	s_delay_alu instid0(VALU_DEP_1) | instskip(NEXT) | instid1(VALU_DEP_1)
	v_subrev_nc_u32_e32 v0, 28, v2
	v_lshlrev_b64_e32 v[0:1], v0, v[7:8]
	v_sub_nc_u32_e32 v1, 29, v2
	s_delay_alu instid0(VALU_DEP_2)
	v_and_b32_e32 v0, 7, v0
; %bb.432:                              ;   in Loop: Header=BB309_11 Depth=1
	s_wait_alu 0xfffe
	s_or_b32 exec_lo, exec_lo, s19
	v_lshlrev_b32_e32 v2, 8, v31
	v_lshl_add_u32 v1, v1, 10, 0x2000
	v_lshlrev_b32_e32 v0, 7, v0
	s_delay_alu instid0(VALU_DEP_3) | instskip(NEXT) | instid1(VALU_DEP_3)
	v_and_b32_e32 v2, 0x8000, v2
	v_and_b32_e32 v1, 0xfc00, v1
	s_delay_alu instid0(VALU_DEP_1)
	v_or3_b32 v151, v2, v1, v0
.LBB309_433:                            ;   in Loop: Header=BB309_11 Depth=1
	s_wait_alu 0xfffe
	s_or_b32 exec_lo, exec_lo, s18
.LBB309_434:                            ;   in Loop: Header=BB309_11 Depth=1
	s_wait_alu 0xfffe
	s_or_b32 exec_lo, exec_lo, s17
.LBB309_435:                            ;   in Loop: Header=BB309_11 Depth=1
	s_wait_alu 0xfffe
	s_or_b32 exec_lo, exec_lo, s16
	v_lshrrev_b16 v7, 8, v7
	v_dual_mov_b32 v161, 0 :: v_dual_mov_b32 v162, 0
	s_mov_b32 s16, exec_lo
	s_delay_alu instid0(VALU_DEP_2)
	v_cmpx_ne_u16_e32 0, v7
	s_cbranch_execz .LBB309_443
; %bb.436:                              ;   in Loop: Header=BB309_11 Depth=1
	v_bfrev_b32_e32 v162, 1
	s_mov_b32 s17, exec_lo
	v_cmpx_ne_u16_e32 0x80, v7
	s_cbranch_execz .LBB309_442
; %bb.437:                              ;   in Loop: Header=BB309_11 Depth=1
	v_and_b32_e32 v0, 0xffff, v7
	v_mov_b32_e32 v162, 0x7c010000
	s_mov_b32 s18, exec_lo
	s_delay_alu instid0(VALU_DEP_2) | instskip(NEXT) | instid1(VALU_DEP_1)
	v_and_b32_e32 v3, 0x7f, v0
	v_cmpx_ne_u32_e32 0x7f, v3
	s_cbranch_execz .LBB309_441
; %bb.438:                              ;   in Loop: Header=BB309_11 Depth=1
	v_and_b32_e32 v1, 7, v0
	v_lshrrev_b32_e32 v2, 3, v3
	s_mov_b32 s19, exec_lo
	v_cmpx_gt_u32_e32 8, v3
; %bb.439:                              ;   in Loop: Header=BB309_11 Depth=1
	s_delay_alu instid0(VALU_DEP_3) | instskip(NEXT) | instid1(VALU_DEP_1)
	v_clz_i32_u32_e32 v1, v1
	v_min_u32_e32 v3, 32, v1
	s_delay_alu instid0(VALU_DEP_1) | instskip(NEXT) | instid1(VALU_DEP_1)
	v_subrev_nc_u32_e32 v1, 28, v3
	v_lshlrev_b64_e32 v[1:2], v1, v[7:8]
	v_sub_nc_u32_e32 v2, 29, v3
	s_delay_alu instid0(VALU_DEP_2)
	v_and_b32_e32 v1, 7, v1
; %bb.440:                              ;   in Loop: Header=BB309_11 Depth=1
	s_wait_alu 0xfffe
	s_or_b32 exec_lo, exec_lo, s19
	v_lshlrev_b32_e32 v0, 8, v0
	v_lshl_add_u32 v2, v2, 10, 0x2000
	v_lshlrev_b32_e32 v1, 23, v1
	s_delay_alu instid0(VALU_DEP_2) | instskip(NEXT) | instid1(VALU_DEP_1)
	v_and_or_b32 v0, 0x8000, v0, v2
	v_lshl_or_b32 v162, v0, 16, v1
.LBB309_441:                            ;   in Loop: Header=BB309_11 Depth=1
	s_wait_alu 0xfffe
	s_or_b32 exec_lo, exec_lo, s18
.LBB309_442:                            ;   in Loop: Header=BB309_11 Depth=1
	s_wait_alu 0xfffe
	s_or_b32 exec_lo, exec_lo, s17
.LBB309_443:                            ;   in Loop: Header=BB309_11 Depth=1
	s_wait_alu 0xfffe
	s_or_b32 exec_lo, exec_lo, s16
	v_lshrrev_b32_e32 v7, 16, v31
	s_mov_b32 s16, exec_lo
	s_delay_alu instid0(VALU_DEP_1) | instskip(NEXT) | instid1(VALU_DEP_1)
	v_and_b32_e32 v0, 0xff, v7
	v_cmpx_ne_u16_e32 0, v0
	s_cbranch_execz .LBB309_451
; %bb.444:                              ;   in Loop: Header=BB309_11 Depth=1
	v_mov_b32_e32 v161, 0x8000
	s_mov_b32 s17, exec_lo
	v_cmpx_ne_u16_e32 0x80, v0
	s_cbranch_execz .LBB309_450
; %bb.445:                              ;   in Loop: Header=BB309_11 Depth=1
	v_bfe_u32 v2, v31, 16, 7
	v_mov_b32_e32 v161, 0x7c01
	s_mov_b32 s18, exec_lo
	s_delay_alu instid0(VALU_DEP_2)
	v_cmpx_ne_u32_e32 0x7f, v2
	s_cbranch_execz .LBB309_449
; %bb.446:                              ;   in Loop: Header=BB309_11 Depth=1
	v_and_b32_e32 v0, 7, v7
	v_lshrrev_b32_e32 v1, 3, v2
	s_mov_b32 s19, exec_lo
	v_cmpx_gt_u32_e32 8, v2
; %bb.447:                              ;   in Loop: Header=BB309_11 Depth=1
	s_delay_alu instid0(VALU_DEP_3) | instskip(NEXT) | instid1(VALU_DEP_1)
	v_clz_i32_u32_e32 v0, v0
	v_min_u32_e32 v2, 32, v0
	s_delay_alu instid0(VALU_DEP_1) | instskip(NEXT) | instid1(VALU_DEP_1)
	v_subrev_nc_u32_e32 v0, 28, v2
	v_lshlrev_b64_e32 v[0:1], v0, v[7:8]
	v_sub_nc_u32_e32 v1, 29, v2
	s_delay_alu instid0(VALU_DEP_2)
	v_and_b32_e32 v0, 7, v0
; %bb.448:                              ;   in Loop: Header=BB309_11 Depth=1
	s_wait_alu 0xfffe
	s_or_b32 exec_lo, exec_lo, s19
	v_lshlrev_b32_e32 v2, 8, v7
	v_lshl_add_u32 v1, v1, 10, 0x2000
	v_lshlrev_b32_e32 v0, 7, v0
	s_delay_alu instid0(VALU_DEP_3) | instskip(NEXT) | instid1(VALU_DEP_3)
	v_and_b32_e32 v2, 0x8000, v2
	v_and_b32_e32 v1, 0xfc00, v1
	s_delay_alu instid0(VALU_DEP_1)
	v_or3_b32 v161, v2, v1, v0
.LBB309_449:                            ;   in Loop: Header=BB309_11 Depth=1
	s_wait_alu 0xfffe
	s_or_b32 exec_lo, exec_lo, s18
.LBB309_450:                            ;   in Loop: Header=BB309_11 Depth=1
	s_wait_alu 0xfffe
	s_or_b32 exec_lo, exec_lo, s17
.LBB309_451:                            ;   in Loop: Header=BB309_11 Depth=1
	s_wait_alu 0xfffe
	s_or_b32 exec_lo, exec_lo, s16
	v_dual_mov_b32 v164, 0 :: v_dual_mov_b32 v163, 0
	s_mov_b32 s16, exec_lo
	v_cmpx_lt_u64_e64 s[2:3], v[30:31]
	s_cbranch_execz .LBB309_459
; %bb.452:                              ;   in Loop: Header=BB309_11 Depth=1
	v_lshrrev_b32_e32 v7, 24, v31
	v_bfrev_b32_e32 v163, 1
	s_mov_b32 s17, exec_lo
	s_delay_alu instid0(VALU_DEP_2)
	v_cmpx_ne_u32_e32 0x80, v7
	s_cbranch_execz .LBB309_458
; %bb.453:                              ;   in Loop: Header=BB309_11 Depth=1
	v_and_b32_e32 v2, 0x7f, v7
	v_mov_b32_e32 v163, 0x7c010000
	s_mov_b32 s18, exec_lo
	s_delay_alu instid0(VALU_DEP_2)
	v_cmpx_ne_u32_e32 0x7f, v2
	s_cbranch_execz .LBB309_457
; %bb.454:                              ;   in Loop: Header=BB309_11 Depth=1
	v_and_b32_e32 v0, 7, v7
	v_lshrrev_b32_e32 v1, 3, v2
	s_mov_b32 s19, exec_lo
	v_cmpx_gt_u32_e32 8, v2
; %bb.455:                              ;   in Loop: Header=BB309_11 Depth=1
	s_delay_alu instid0(VALU_DEP_3) | instskip(NEXT) | instid1(VALU_DEP_1)
	v_clz_i32_u32_e32 v0, v0
	v_min_u32_e32 v2, 32, v0
	s_delay_alu instid0(VALU_DEP_1) | instskip(NEXT) | instid1(VALU_DEP_1)
	v_subrev_nc_u32_e32 v0, 28, v2
	v_lshlrev_b64_e32 v[0:1], v0, v[7:8]
	v_sub_nc_u32_e32 v1, 29, v2
	s_delay_alu instid0(VALU_DEP_2)
	v_and_b32_e32 v0, 7, v0
; %bb.456:                              ;   in Loop: Header=BB309_11 Depth=1
	s_wait_alu 0xfffe
	s_or_b32 exec_lo, exec_lo, s19
	v_lshlrev_b32_e32 v2, 8, v7
	v_lshl_add_u32 v1, v1, 10, 0x2000
	v_lshlrev_b32_e32 v0, 23, v0
	s_delay_alu instid0(VALU_DEP_2) | instskip(NEXT) | instid1(VALU_DEP_1)
	v_and_or_b32 v1, 0x8000, v2, v1
	v_lshl_or_b32 v163, v1, 16, v0
.LBB309_457:                            ;   in Loop: Header=BB309_11 Depth=1
	s_wait_alu 0xfffe
	s_or_b32 exec_lo, exec_lo, s18
.LBB309_458:                            ;   in Loop: Header=BB309_11 Depth=1
	s_wait_alu 0xfffe
	s_or_b32 exec_lo, exec_lo, s17
.LBB309_459:                            ;   in Loop: Header=BB309_11 Depth=1
	s_wait_alu 0xfffe
	s_or_b32 exec_lo, exec_lo, s16
	flat_load_b64 v[30:31], v[28:29] offset:1544
	s_mov_b32 s16, exec_lo
	s_wait_loadcnt_dscnt 0x0
	v_and_b32_e32 v0, 0xff, v30
	s_delay_alu instid0(VALU_DEP_1)
	v_cmpx_ne_u16_e32 0, v0
	s_cbranch_execz .LBB309_467
; %bb.460:                              ;   in Loop: Header=BB309_11 Depth=1
	v_mov_b32_e32 v164, 0x8000
	s_mov_b32 s17, exec_lo
	v_cmpx_ne_u16_e32 0x80, v0
	s_cbranch_execz .LBB309_466
; %bb.461:                              ;   in Loop: Header=BB309_11 Depth=1
	v_and_b32_e32 v2, 0x7f, v30
	v_mov_b32_e32 v164, 0x7c01
	s_mov_b32 s18, exec_lo
	s_delay_alu instid0(VALU_DEP_2)
	v_cmpx_ne_u32_e32 0x7f, v2
	s_cbranch_execz .LBB309_465
; %bb.462:                              ;   in Loop: Header=BB309_11 Depth=1
	v_and_b32_e32 v0, 7, v30
	v_lshrrev_b32_e32 v1, 3, v2
	s_mov_b32 s19, exec_lo
	v_cmpx_gt_u32_e32 8, v2
; %bb.463:                              ;   in Loop: Header=BB309_11 Depth=1
	s_delay_alu instid0(VALU_DEP_3) | instskip(NEXT) | instid1(VALU_DEP_1)
	v_clz_i32_u32_e32 v0, v0
	v_min_u32_e32 v2, 32, v0
	s_delay_alu instid0(VALU_DEP_1) | instskip(NEXT) | instid1(VALU_DEP_1)
	v_subrev_nc_u32_e32 v0, 28, v2
	v_lshlrev_b64_e32 v[0:1], v0, v[30:31]
	v_sub_nc_u32_e32 v1, 29, v2
	s_delay_alu instid0(VALU_DEP_2)
	v_and_b32_e32 v0, 7, v0
; %bb.464:                              ;   in Loop: Header=BB309_11 Depth=1
	s_wait_alu 0xfffe
	s_or_b32 exec_lo, exec_lo, s19
	v_lshlrev_b32_e32 v2, 8, v30
	v_lshl_add_u32 v1, v1, 10, 0x2000
	v_lshlrev_b32_e32 v0, 7, v0
	s_delay_alu instid0(VALU_DEP_3) | instskip(NEXT) | instid1(VALU_DEP_3)
	v_and_b32_e32 v2, 0x8000, v2
	v_and_b32_e32 v1, 0xfc00, v1
	s_delay_alu instid0(VALU_DEP_1)
	v_or3_b32 v164, v2, v1, v0
.LBB309_465:                            ;   in Loop: Header=BB309_11 Depth=1
	s_wait_alu 0xfffe
	s_or_b32 exec_lo, exec_lo, s18
.LBB309_466:                            ;   in Loop: Header=BB309_11 Depth=1
	s_wait_alu 0xfffe
	s_or_b32 exec_lo, exec_lo, s17
.LBB309_467:                            ;   in Loop: Header=BB309_11 Depth=1
	s_wait_alu 0xfffe
	s_or_b32 exec_lo, exec_lo, s16
	v_lshrrev_b16 v7, 8, v30
	v_dual_mov_b32 v166, 0 :: v_dual_mov_b32 v165, 0
	s_mov_b32 s16, exec_lo
	s_delay_alu instid0(VALU_DEP_2)
	v_cmpx_ne_u16_e32 0, v7
	s_cbranch_execz .LBB309_475
; %bb.468:                              ;   in Loop: Header=BB309_11 Depth=1
	v_bfrev_b32_e32 v165, 1
	s_mov_b32 s17, exec_lo
	v_cmpx_ne_u16_e32 0x80, v7
	s_cbranch_execz .LBB309_474
; %bb.469:                              ;   in Loop: Header=BB309_11 Depth=1
	v_and_b32_e32 v0, 0xffff, v7
	v_mov_b32_e32 v165, 0x7c010000
	s_mov_b32 s18, exec_lo
	s_delay_alu instid0(VALU_DEP_2) | instskip(NEXT) | instid1(VALU_DEP_1)
	v_and_b32_e32 v3, 0x7f, v0
	v_cmpx_ne_u32_e32 0x7f, v3
	s_cbranch_execz .LBB309_473
; %bb.470:                              ;   in Loop: Header=BB309_11 Depth=1
	v_and_b32_e32 v1, 7, v0
	v_lshrrev_b32_e32 v2, 3, v3
	s_mov_b32 s19, exec_lo
	v_cmpx_gt_u32_e32 8, v3
; %bb.471:                              ;   in Loop: Header=BB309_11 Depth=1
	s_delay_alu instid0(VALU_DEP_3) | instskip(NEXT) | instid1(VALU_DEP_1)
	v_clz_i32_u32_e32 v1, v1
	v_min_u32_e32 v3, 32, v1
	s_delay_alu instid0(VALU_DEP_1) | instskip(NEXT) | instid1(VALU_DEP_1)
	v_subrev_nc_u32_e32 v1, 28, v3
	v_lshlrev_b64_e32 v[1:2], v1, v[7:8]
	v_sub_nc_u32_e32 v2, 29, v3
	s_delay_alu instid0(VALU_DEP_2)
	v_and_b32_e32 v1, 7, v1
; %bb.472:                              ;   in Loop: Header=BB309_11 Depth=1
	s_wait_alu 0xfffe
	s_or_b32 exec_lo, exec_lo, s19
	v_lshlrev_b32_e32 v0, 8, v0
	v_lshl_add_u32 v2, v2, 10, 0x2000
	v_lshlrev_b32_e32 v1, 23, v1
	s_delay_alu instid0(VALU_DEP_2) | instskip(NEXT) | instid1(VALU_DEP_1)
	v_and_or_b32 v0, 0x8000, v0, v2
	v_lshl_or_b32 v165, v0, 16, v1
.LBB309_473:                            ;   in Loop: Header=BB309_11 Depth=1
	s_wait_alu 0xfffe
	s_or_b32 exec_lo, exec_lo, s18
.LBB309_474:                            ;   in Loop: Header=BB309_11 Depth=1
	s_wait_alu 0xfffe
	s_or_b32 exec_lo, exec_lo, s17
.LBB309_475:                            ;   in Loop: Header=BB309_11 Depth=1
	s_wait_alu 0xfffe
	s_or_b32 exec_lo, exec_lo, s16
	v_lshrrev_b32_e32 v7, 16, v30
	s_mov_b32 s16, exec_lo
	s_delay_alu instid0(VALU_DEP_1) | instskip(NEXT) | instid1(VALU_DEP_1)
	v_and_b32_e32 v0, 0xff, v7
	v_cmpx_ne_u16_e32 0, v0
	s_cbranch_execz .LBB309_483
; %bb.476:                              ;   in Loop: Header=BB309_11 Depth=1
	v_mov_b32_e32 v166, 0x8000
	s_mov_b32 s17, exec_lo
	v_cmpx_ne_u16_e32 0x80, v0
	s_cbranch_execz .LBB309_482
; %bb.477:                              ;   in Loop: Header=BB309_11 Depth=1
	v_bfe_u32 v2, v30, 16, 7
	v_mov_b32_e32 v166, 0x7c01
	s_mov_b32 s18, exec_lo
	s_delay_alu instid0(VALU_DEP_2)
	v_cmpx_ne_u32_e32 0x7f, v2
	s_cbranch_execz .LBB309_481
; %bb.478:                              ;   in Loop: Header=BB309_11 Depth=1
	v_and_b32_e32 v0, 7, v7
	v_lshrrev_b32_e32 v1, 3, v2
	s_mov_b32 s19, exec_lo
	v_cmpx_gt_u32_e32 8, v2
; %bb.479:                              ;   in Loop: Header=BB309_11 Depth=1
	s_delay_alu instid0(VALU_DEP_3) | instskip(NEXT) | instid1(VALU_DEP_1)
	v_clz_i32_u32_e32 v0, v0
	v_min_u32_e32 v2, 32, v0
	s_delay_alu instid0(VALU_DEP_1) | instskip(NEXT) | instid1(VALU_DEP_1)
	v_subrev_nc_u32_e32 v0, 28, v2
	v_lshlrev_b64_e32 v[0:1], v0, v[7:8]
	v_sub_nc_u32_e32 v1, 29, v2
	s_delay_alu instid0(VALU_DEP_2)
	v_and_b32_e32 v0, 7, v0
; %bb.480:                              ;   in Loop: Header=BB309_11 Depth=1
	s_wait_alu 0xfffe
	s_or_b32 exec_lo, exec_lo, s19
	v_lshlrev_b32_e32 v2, 8, v7
	v_lshl_add_u32 v1, v1, 10, 0x2000
	v_lshlrev_b32_e32 v0, 7, v0
	s_delay_alu instid0(VALU_DEP_3) | instskip(NEXT) | instid1(VALU_DEP_3)
	v_and_b32_e32 v2, 0x8000, v2
	v_and_b32_e32 v1, 0xfc00, v1
	s_delay_alu instid0(VALU_DEP_1)
	v_or3_b32 v166, v2, v1, v0
.LBB309_481:                            ;   in Loop: Header=BB309_11 Depth=1
	s_wait_alu 0xfffe
	s_or_b32 exec_lo, exec_lo, s18
.LBB309_482:                            ;   in Loop: Header=BB309_11 Depth=1
	s_wait_alu 0xfffe
	s_or_b32 exec_lo, exec_lo, s17
.LBB309_483:                            ;   in Loop: Header=BB309_11 Depth=1
	s_wait_alu 0xfffe
	s_or_b32 exec_lo, exec_lo, s16
	v_dual_mov_b32 v167, 0 :: v_dual_mov_b32 v176, 0
	s_mov_b32 s16, exec_lo
	v_cmpx_lt_u32_e32 0xffffff, v30
	s_cbranch_execz .LBB309_491
; %bb.484:                              ;   in Loop: Header=BB309_11 Depth=1
	v_lshrrev_b32_e32 v7, 24, v30
	v_bfrev_b32_e32 v176, 1
	s_mov_b32 s17, exec_lo
	s_delay_alu instid0(VALU_DEP_2)
	v_cmpx_ne_u32_e32 0x80, v7
	s_cbranch_execz .LBB309_490
; %bb.485:                              ;   in Loop: Header=BB309_11 Depth=1
	v_and_b32_e32 v2, 0x7f, v7
	v_mov_b32_e32 v176, 0x7c010000
	s_mov_b32 s18, exec_lo
	s_delay_alu instid0(VALU_DEP_2)
	v_cmpx_ne_u32_e32 0x7f, v2
	s_cbranch_execz .LBB309_489
; %bb.486:                              ;   in Loop: Header=BB309_11 Depth=1
	v_and_b32_e32 v0, 7, v7
	v_lshrrev_b32_e32 v1, 3, v2
	s_mov_b32 s19, exec_lo
	v_cmpx_gt_u32_e32 8, v2
; %bb.487:                              ;   in Loop: Header=BB309_11 Depth=1
	s_delay_alu instid0(VALU_DEP_3) | instskip(NEXT) | instid1(VALU_DEP_1)
	v_clz_i32_u32_e32 v0, v0
	v_min_u32_e32 v2, 32, v0
	s_delay_alu instid0(VALU_DEP_1) | instskip(NEXT) | instid1(VALU_DEP_1)
	v_subrev_nc_u32_e32 v0, 28, v2
	v_lshlrev_b64_e32 v[0:1], v0, v[7:8]
	v_sub_nc_u32_e32 v1, 29, v2
	s_delay_alu instid0(VALU_DEP_2)
	v_and_b32_e32 v0, 7, v0
; %bb.488:                              ;   in Loop: Header=BB309_11 Depth=1
	s_wait_alu 0xfffe
	s_or_b32 exec_lo, exec_lo, s19
	v_lshlrev_b32_e32 v2, 8, v7
	v_lshl_add_u32 v1, v1, 10, 0x2000
	v_lshlrev_b32_e32 v0, 23, v0
	s_delay_alu instid0(VALU_DEP_2) | instskip(NEXT) | instid1(VALU_DEP_1)
	v_and_or_b32 v1, 0x8000, v2, v1
	v_lshl_or_b32 v176, v1, 16, v0
.LBB309_489:                            ;   in Loop: Header=BB309_11 Depth=1
	s_wait_alu 0xfffe
	s_or_b32 exec_lo, exec_lo, s18
.LBB309_490:                            ;   in Loop: Header=BB309_11 Depth=1
	s_wait_alu 0xfffe
	s_or_b32 exec_lo, exec_lo, s17
.LBB309_491:                            ;   in Loop: Header=BB309_11 Depth=1
	s_wait_alu 0xfffe
	s_or_b32 exec_lo, exec_lo, s16
	v_dual_mov_b32 v7, v31 :: v_dual_and_b32 v0, 0xff, v31
	s_mov_b32 s16, exec_lo
	s_delay_alu instid0(VALU_DEP_1)
	v_cmpx_ne_u16_e32 0, v0
	s_cbranch_execz .LBB309_499
; %bb.492:                              ;   in Loop: Header=BB309_11 Depth=1
	v_mov_b32_e32 v167, 0x8000
	s_mov_b32 s17, exec_lo
	v_cmpx_ne_u16_e32 0x80, v0
	s_cbranch_execz .LBB309_498
; %bb.493:                              ;   in Loop: Header=BB309_11 Depth=1
	v_and_b32_e32 v2, 0x7f, v31
	v_mov_b32_e32 v167, 0x7c01
	s_mov_b32 s18, exec_lo
	s_delay_alu instid0(VALU_DEP_2)
	v_cmpx_ne_u32_e32 0x7f, v2
	s_cbranch_execz .LBB309_497
; %bb.494:                              ;   in Loop: Header=BB309_11 Depth=1
	v_and_b32_e32 v0, 7, v31
	v_lshrrev_b32_e32 v1, 3, v2
	s_mov_b32 s19, exec_lo
	v_cmpx_gt_u32_e32 8, v2
; %bb.495:                              ;   in Loop: Header=BB309_11 Depth=1
	s_delay_alu instid0(VALU_DEP_3) | instskip(NEXT) | instid1(VALU_DEP_1)
	v_clz_i32_u32_e32 v0, v0
	v_min_u32_e32 v2, 32, v0
	s_delay_alu instid0(VALU_DEP_1) | instskip(NEXT) | instid1(VALU_DEP_1)
	v_subrev_nc_u32_e32 v0, 28, v2
	v_lshlrev_b64_e32 v[0:1], v0, v[7:8]
	v_sub_nc_u32_e32 v1, 29, v2
	s_delay_alu instid0(VALU_DEP_2)
	v_and_b32_e32 v0, 7, v0
; %bb.496:                              ;   in Loop: Header=BB309_11 Depth=1
	s_wait_alu 0xfffe
	s_or_b32 exec_lo, exec_lo, s19
	v_lshlrev_b32_e32 v2, 8, v31
	v_lshl_add_u32 v1, v1, 10, 0x2000
	v_lshlrev_b32_e32 v0, 7, v0
	s_delay_alu instid0(VALU_DEP_3) | instskip(NEXT) | instid1(VALU_DEP_3)
	v_and_b32_e32 v2, 0x8000, v2
	v_and_b32_e32 v1, 0xfc00, v1
	s_delay_alu instid0(VALU_DEP_1)
	v_or3_b32 v167, v2, v1, v0
.LBB309_497:                            ;   in Loop: Header=BB309_11 Depth=1
	s_wait_alu 0xfffe
	s_or_b32 exec_lo, exec_lo, s18
.LBB309_498:                            ;   in Loop: Header=BB309_11 Depth=1
	s_wait_alu 0xfffe
	s_or_b32 exec_lo, exec_lo, s17
.LBB309_499:                            ;   in Loop: Header=BB309_11 Depth=1
	s_wait_alu 0xfffe
	s_or_b32 exec_lo, exec_lo, s16
	v_lshrrev_b16 v7, 8, v7
	v_dual_mov_b32 v177, 0 :: v_dual_mov_b32 v178, 0
	s_mov_b32 s16, exec_lo
	s_delay_alu instid0(VALU_DEP_2)
	v_cmpx_ne_u16_e32 0, v7
	s_cbranch_execz .LBB309_507
; %bb.500:                              ;   in Loop: Header=BB309_11 Depth=1
	v_bfrev_b32_e32 v178, 1
	s_mov_b32 s17, exec_lo
	v_cmpx_ne_u16_e32 0x80, v7
	s_cbranch_execz .LBB309_506
; %bb.501:                              ;   in Loop: Header=BB309_11 Depth=1
	v_and_b32_e32 v0, 0xffff, v7
	v_mov_b32_e32 v178, 0x7c010000
	s_mov_b32 s18, exec_lo
	s_delay_alu instid0(VALU_DEP_2) | instskip(NEXT) | instid1(VALU_DEP_1)
	v_and_b32_e32 v3, 0x7f, v0
	v_cmpx_ne_u32_e32 0x7f, v3
	s_cbranch_execz .LBB309_505
; %bb.502:                              ;   in Loop: Header=BB309_11 Depth=1
	v_and_b32_e32 v1, 7, v0
	v_lshrrev_b32_e32 v2, 3, v3
	s_mov_b32 s19, exec_lo
	v_cmpx_gt_u32_e32 8, v3
; %bb.503:                              ;   in Loop: Header=BB309_11 Depth=1
	s_delay_alu instid0(VALU_DEP_3) | instskip(NEXT) | instid1(VALU_DEP_1)
	v_clz_i32_u32_e32 v1, v1
	v_min_u32_e32 v3, 32, v1
	s_delay_alu instid0(VALU_DEP_1) | instskip(NEXT) | instid1(VALU_DEP_1)
	v_subrev_nc_u32_e32 v1, 28, v3
	v_lshlrev_b64_e32 v[1:2], v1, v[7:8]
	v_sub_nc_u32_e32 v2, 29, v3
	s_delay_alu instid0(VALU_DEP_2)
	v_and_b32_e32 v1, 7, v1
; %bb.504:                              ;   in Loop: Header=BB309_11 Depth=1
	s_wait_alu 0xfffe
	s_or_b32 exec_lo, exec_lo, s19
	v_lshlrev_b32_e32 v0, 8, v0
	v_lshl_add_u32 v2, v2, 10, 0x2000
	v_lshlrev_b32_e32 v1, 23, v1
	s_delay_alu instid0(VALU_DEP_2) | instskip(NEXT) | instid1(VALU_DEP_1)
	v_and_or_b32 v0, 0x8000, v0, v2
	v_lshl_or_b32 v178, v0, 16, v1
.LBB309_505:                            ;   in Loop: Header=BB309_11 Depth=1
	s_wait_alu 0xfffe
	s_or_b32 exec_lo, exec_lo, s18
.LBB309_506:                            ;   in Loop: Header=BB309_11 Depth=1
	s_wait_alu 0xfffe
	s_or_b32 exec_lo, exec_lo, s17
.LBB309_507:                            ;   in Loop: Header=BB309_11 Depth=1
	s_wait_alu 0xfffe
	s_or_b32 exec_lo, exec_lo, s16
	v_lshrrev_b32_e32 v7, 16, v31
	s_mov_b32 s16, exec_lo
	s_delay_alu instid0(VALU_DEP_1) | instskip(NEXT) | instid1(VALU_DEP_1)
	v_and_b32_e32 v0, 0xff, v7
	v_cmpx_ne_u16_e32 0, v0
	s_cbranch_execz .LBB309_515
; %bb.508:                              ;   in Loop: Header=BB309_11 Depth=1
	v_mov_b32_e32 v177, 0x8000
	s_mov_b32 s17, exec_lo
	v_cmpx_ne_u16_e32 0x80, v0
	s_cbranch_execz .LBB309_514
; %bb.509:                              ;   in Loop: Header=BB309_11 Depth=1
	v_bfe_u32 v2, v31, 16, 7
	v_mov_b32_e32 v177, 0x7c01
	s_mov_b32 s18, exec_lo
	s_delay_alu instid0(VALU_DEP_2)
	v_cmpx_ne_u32_e32 0x7f, v2
	s_cbranch_execz .LBB309_513
; %bb.510:                              ;   in Loop: Header=BB309_11 Depth=1
	v_and_b32_e32 v0, 7, v7
	v_lshrrev_b32_e32 v1, 3, v2
	s_mov_b32 s19, exec_lo
	v_cmpx_gt_u32_e32 8, v2
; %bb.511:                              ;   in Loop: Header=BB309_11 Depth=1
	s_delay_alu instid0(VALU_DEP_3) | instskip(NEXT) | instid1(VALU_DEP_1)
	v_clz_i32_u32_e32 v0, v0
	v_min_u32_e32 v2, 32, v0
	s_delay_alu instid0(VALU_DEP_1) | instskip(NEXT) | instid1(VALU_DEP_1)
	v_subrev_nc_u32_e32 v0, 28, v2
	v_lshlrev_b64_e32 v[0:1], v0, v[7:8]
	v_sub_nc_u32_e32 v1, 29, v2
	s_delay_alu instid0(VALU_DEP_2)
	v_and_b32_e32 v0, 7, v0
; %bb.512:                              ;   in Loop: Header=BB309_11 Depth=1
	s_wait_alu 0xfffe
	s_or_b32 exec_lo, exec_lo, s19
	v_lshlrev_b32_e32 v2, 8, v7
	v_lshl_add_u32 v1, v1, 10, 0x2000
	v_lshlrev_b32_e32 v0, 7, v0
	s_delay_alu instid0(VALU_DEP_3) | instskip(NEXT) | instid1(VALU_DEP_3)
	v_and_b32_e32 v2, 0x8000, v2
	v_and_b32_e32 v1, 0xfc00, v1
	s_delay_alu instid0(VALU_DEP_1)
	v_or3_b32 v177, v2, v1, v0
.LBB309_513:                            ;   in Loop: Header=BB309_11 Depth=1
	s_wait_alu 0xfffe
	s_or_b32 exec_lo, exec_lo, s18
.LBB309_514:                            ;   in Loop: Header=BB309_11 Depth=1
	s_wait_alu 0xfffe
	s_or_b32 exec_lo, exec_lo, s17
.LBB309_515:                            ;   in Loop: Header=BB309_11 Depth=1
	s_wait_alu 0xfffe
	s_or_b32 exec_lo, exec_lo, s16
	v_dual_mov_b32 v180, 0 :: v_dual_mov_b32 v179, 0
	s_mov_b32 s16, exec_lo
	v_cmpx_lt_u64_e64 s[2:3], v[30:31]
	s_cbranch_execz .LBB309_523
; %bb.516:                              ;   in Loop: Header=BB309_11 Depth=1
	v_lshrrev_b32_e32 v7, 24, v31
	v_bfrev_b32_e32 v179, 1
	s_mov_b32 s17, exec_lo
	s_delay_alu instid0(VALU_DEP_2)
	v_cmpx_ne_u32_e32 0x80, v7
	s_cbranch_execz .LBB309_522
; %bb.517:                              ;   in Loop: Header=BB309_11 Depth=1
	v_and_b32_e32 v2, 0x7f, v7
	v_mov_b32_e32 v179, 0x7c010000
	s_mov_b32 s18, exec_lo
	s_delay_alu instid0(VALU_DEP_2)
	v_cmpx_ne_u32_e32 0x7f, v2
	s_cbranch_execz .LBB309_521
; %bb.518:                              ;   in Loop: Header=BB309_11 Depth=1
	v_and_b32_e32 v0, 7, v7
	v_lshrrev_b32_e32 v1, 3, v2
	s_mov_b32 s19, exec_lo
	v_cmpx_gt_u32_e32 8, v2
; %bb.519:                              ;   in Loop: Header=BB309_11 Depth=1
	s_delay_alu instid0(VALU_DEP_3) | instskip(NEXT) | instid1(VALU_DEP_1)
	v_clz_i32_u32_e32 v0, v0
	v_min_u32_e32 v2, 32, v0
	s_delay_alu instid0(VALU_DEP_1) | instskip(NEXT) | instid1(VALU_DEP_1)
	v_subrev_nc_u32_e32 v0, 28, v2
	v_lshlrev_b64_e32 v[0:1], v0, v[7:8]
	v_sub_nc_u32_e32 v1, 29, v2
	s_delay_alu instid0(VALU_DEP_2)
	v_and_b32_e32 v0, 7, v0
; %bb.520:                              ;   in Loop: Header=BB309_11 Depth=1
	s_wait_alu 0xfffe
	s_or_b32 exec_lo, exec_lo, s19
	v_lshlrev_b32_e32 v2, 8, v7
	v_lshl_add_u32 v1, v1, 10, 0x2000
	v_lshlrev_b32_e32 v0, 23, v0
	s_delay_alu instid0(VALU_DEP_2) | instskip(NEXT) | instid1(VALU_DEP_1)
	v_and_or_b32 v1, 0x8000, v2, v1
	v_lshl_or_b32 v179, v1, 16, v0
.LBB309_521:                            ;   in Loop: Header=BB309_11 Depth=1
	s_wait_alu 0xfffe
	s_or_b32 exec_lo, exec_lo, s18
.LBB309_522:                            ;   in Loop: Header=BB309_11 Depth=1
	s_wait_alu 0xfffe
	s_or_b32 exec_lo, exec_lo, s17
.LBB309_523:                            ;   in Loop: Header=BB309_11 Depth=1
	s_wait_alu 0xfffe
	s_or_b32 exec_lo, exec_lo, s16
	flat_load_b64 v[30:31], v[28:29] offset:2048
	s_mov_b32 s16, exec_lo
	s_wait_loadcnt_dscnt 0x0
	v_and_b32_e32 v0, 0xff, v30
	s_delay_alu instid0(VALU_DEP_1)
	v_cmpx_ne_u16_e32 0, v0
	s_cbranch_execz .LBB309_531
; %bb.524:                              ;   in Loop: Header=BB309_11 Depth=1
	v_mov_b32_e32 v180, 0x8000
	s_mov_b32 s17, exec_lo
	v_cmpx_ne_u16_e32 0x80, v0
	s_cbranch_execz .LBB309_530
; %bb.525:                              ;   in Loop: Header=BB309_11 Depth=1
	v_and_b32_e32 v2, 0x7f, v30
	v_mov_b32_e32 v180, 0x7c01
	s_mov_b32 s18, exec_lo
	s_delay_alu instid0(VALU_DEP_2)
	v_cmpx_ne_u32_e32 0x7f, v2
	s_cbranch_execz .LBB309_529
; %bb.526:                              ;   in Loop: Header=BB309_11 Depth=1
	v_and_b32_e32 v0, 7, v30
	v_lshrrev_b32_e32 v1, 3, v2
	s_mov_b32 s19, exec_lo
	v_cmpx_gt_u32_e32 8, v2
; %bb.527:                              ;   in Loop: Header=BB309_11 Depth=1
	s_delay_alu instid0(VALU_DEP_3) | instskip(NEXT) | instid1(VALU_DEP_1)
	v_clz_i32_u32_e32 v0, v0
	v_min_u32_e32 v2, 32, v0
	s_delay_alu instid0(VALU_DEP_1) | instskip(NEXT) | instid1(VALU_DEP_1)
	v_subrev_nc_u32_e32 v0, 28, v2
	v_lshlrev_b64_e32 v[0:1], v0, v[30:31]
	v_sub_nc_u32_e32 v1, 29, v2
	s_delay_alu instid0(VALU_DEP_2)
	v_and_b32_e32 v0, 7, v0
; %bb.528:                              ;   in Loop: Header=BB309_11 Depth=1
	s_wait_alu 0xfffe
	s_or_b32 exec_lo, exec_lo, s19
	v_lshlrev_b32_e32 v2, 8, v30
	v_lshl_add_u32 v1, v1, 10, 0x2000
	v_lshlrev_b32_e32 v0, 7, v0
	s_delay_alu instid0(VALU_DEP_3) | instskip(NEXT) | instid1(VALU_DEP_3)
	v_and_b32_e32 v2, 0x8000, v2
	v_and_b32_e32 v1, 0xfc00, v1
	s_delay_alu instid0(VALU_DEP_1)
	v_or3_b32 v180, v2, v1, v0
.LBB309_529:                            ;   in Loop: Header=BB309_11 Depth=1
	s_wait_alu 0xfffe
	s_or_b32 exec_lo, exec_lo, s18
.LBB309_530:                            ;   in Loop: Header=BB309_11 Depth=1
	s_wait_alu 0xfffe
	s_or_b32 exec_lo, exec_lo, s17
.LBB309_531:                            ;   in Loop: Header=BB309_11 Depth=1
	s_wait_alu 0xfffe
	s_or_b32 exec_lo, exec_lo, s16
	v_lshrrev_b16 v7, 8, v30
	v_dual_mov_b32 v182, 0 :: v_dual_mov_b32 v181, 0
	s_mov_b32 s16, exec_lo
	s_delay_alu instid0(VALU_DEP_2)
	v_cmpx_ne_u16_e32 0, v7
	s_cbranch_execz .LBB309_539
; %bb.532:                              ;   in Loop: Header=BB309_11 Depth=1
	v_bfrev_b32_e32 v181, 1
	s_mov_b32 s17, exec_lo
	v_cmpx_ne_u16_e32 0x80, v7
	s_cbranch_execz .LBB309_538
; %bb.533:                              ;   in Loop: Header=BB309_11 Depth=1
	v_and_b32_e32 v0, 0xffff, v7
	v_mov_b32_e32 v181, 0x7c010000
	s_mov_b32 s18, exec_lo
	s_delay_alu instid0(VALU_DEP_2) | instskip(NEXT) | instid1(VALU_DEP_1)
	v_and_b32_e32 v3, 0x7f, v0
	v_cmpx_ne_u32_e32 0x7f, v3
	s_cbranch_execz .LBB309_537
; %bb.534:                              ;   in Loop: Header=BB309_11 Depth=1
	v_and_b32_e32 v1, 7, v0
	v_lshrrev_b32_e32 v2, 3, v3
	s_mov_b32 s19, exec_lo
	v_cmpx_gt_u32_e32 8, v3
; %bb.535:                              ;   in Loop: Header=BB309_11 Depth=1
	s_delay_alu instid0(VALU_DEP_3) | instskip(NEXT) | instid1(VALU_DEP_1)
	v_clz_i32_u32_e32 v1, v1
	v_min_u32_e32 v3, 32, v1
	s_delay_alu instid0(VALU_DEP_1) | instskip(NEXT) | instid1(VALU_DEP_1)
	v_subrev_nc_u32_e32 v1, 28, v3
	v_lshlrev_b64_e32 v[1:2], v1, v[7:8]
	v_sub_nc_u32_e32 v2, 29, v3
	s_delay_alu instid0(VALU_DEP_2)
	v_and_b32_e32 v1, 7, v1
; %bb.536:                              ;   in Loop: Header=BB309_11 Depth=1
	s_wait_alu 0xfffe
	s_or_b32 exec_lo, exec_lo, s19
	v_lshlrev_b32_e32 v0, 8, v0
	v_lshl_add_u32 v2, v2, 10, 0x2000
	v_lshlrev_b32_e32 v1, 23, v1
	s_delay_alu instid0(VALU_DEP_2) | instskip(NEXT) | instid1(VALU_DEP_1)
	v_and_or_b32 v0, 0x8000, v0, v2
	v_lshl_or_b32 v181, v0, 16, v1
.LBB309_537:                            ;   in Loop: Header=BB309_11 Depth=1
	s_wait_alu 0xfffe
	s_or_b32 exec_lo, exec_lo, s18
.LBB309_538:                            ;   in Loop: Header=BB309_11 Depth=1
	s_wait_alu 0xfffe
	s_or_b32 exec_lo, exec_lo, s17
.LBB309_539:                            ;   in Loop: Header=BB309_11 Depth=1
	s_wait_alu 0xfffe
	s_or_b32 exec_lo, exec_lo, s16
	v_lshrrev_b32_e32 v7, 16, v30
	s_mov_b32 s16, exec_lo
	s_delay_alu instid0(VALU_DEP_1) | instskip(NEXT) | instid1(VALU_DEP_1)
	v_and_b32_e32 v0, 0xff, v7
	v_cmpx_ne_u16_e32 0, v0
	s_cbranch_execz .LBB309_547
; %bb.540:                              ;   in Loop: Header=BB309_11 Depth=1
	v_mov_b32_e32 v182, 0x8000
	s_mov_b32 s17, exec_lo
	v_cmpx_ne_u16_e32 0x80, v0
	s_cbranch_execz .LBB309_546
; %bb.541:                              ;   in Loop: Header=BB309_11 Depth=1
	v_bfe_u32 v2, v30, 16, 7
	v_mov_b32_e32 v182, 0x7c01
	s_mov_b32 s18, exec_lo
	s_delay_alu instid0(VALU_DEP_2)
	v_cmpx_ne_u32_e32 0x7f, v2
	s_cbranch_execz .LBB309_545
; %bb.542:                              ;   in Loop: Header=BB309_11 Depth=1
	v_and_b32_e32 v0, 7, v7
	v_lshrrev_b32_e32 v1, 3, v2
	s_mov_b32 s19, exec_lo
	v_cmpx_gt_u32_e32 8, v2
; %bb.543:                              ;   in Loop: Header=BB309_11 Depth=1
	s_delay_alu instid0(VALU_DEP_3) | instskip(NEXT) | instid1(VALU_DEP_1)
	v_clz_i32_u32_e32 v0, v0
	v_min_u32_e32 v2, 32, v0
	s_delay_alu instid0(VALU_DEP_1) | instskip(NEXT) | instid1(VALU_DEP_1)
	v_subrev_nc_u32_e32 v0, 28, v2
	v_lshlrev_b64_e32 v[0:1], v0, v[7:8]
	v_sub_nc_u32_e32 v1, 29, v2
	s_delay_alu instid0(VALU_DEP_2)
	v_and_b32_e32 v0, 7, v0
; %bb.544:                              ;   in Loop: Header=BB309_11 Depth=1
	s_wait_alu 0xfffe
	s_or_b32 exec_lo, exec_lo, s19
	v_lshlrev_b32_e32 v2, 8, v7
	v_lshl_add_u32 v1, v1, 10, 0x2000
	v_lshlrev_b32_e32 v0, 7, v0
	s_delay_alu instid0(VALU_DEP_3) | instskip(NEXT) | instid1(VALU_DEP_3)
	v_and_b32_e32 v2, 0x8000, v2
	v_and_b32_e32 v1, 0xfc00, v1
	s_delay_alu instid0(VALU_DEP_1)
	v_or3_b32 v182, v2, v1, v0
.LBB309_545:                            ;   in Loop: Header=BB309_11 Depth=1
	s_wait_alu 0xfffe
	s_or_b32 exec_lo, exec_lo, s18
.LBB309_546:                            ;   in Loop: Header=BB309_11 Depth=1
	s_wait_alu 0xfffe
	s_or_b32 exec_lo, exec_lo, s17
.LBB309_547:                            ;   in Loop: Header=BB309_11 Depth=1
	s_wait_alu 0xfffe
	s_or_b32 exec_lo, exec_lo, s16
	v_dual_mov_b32 v183, 0 :: v_dual_mov_b32 v40, 0
	s_mov_b32 s16, exec_lo
	v_cmpx_lt_u32_e32 0xffffff, v30
	s_cbranch_execz .LBB309_555
; %bb.548:                              ;   in Loop: Header=BB309_11 Depth=1
	v_lshrrev_b32_e32 v7, 24, v30
	v_bfrev_b32_e32 v40, 1
	s_mov_b32 s17, exec_lo
	s_delay_alu instid0(VALU_DEP_2)
	v_cmpx_ne_u32_e32 0x80, v7
	s_cbranch_execz .LBB309_554
; %bb.549:                              ;   in Loop: Header=BB309_11 Depth=1
	v_and_b32_e32 v2, 0x7f, v7
	v_mov_b32_e32 v40, 0x7c010000
	s_mov_b32 s18, exec_lo
	s_delay_alu instid0(VALU_DEP_2)
	v_cmpx_ne_u32_e32 0x7f, v2
	s_cbranch_execz .LBB309_553
; %bb.550:                              ;   in Loop: Header=BB309_11 Depth=1
	v_and_b32_e32 v0, 7, v7
	v_lshrrev_b32_e32 v1, 3, v2
	s_mov_b32 s19, exec_lo
	v_cmpx_gt_u32_e32 8, v2
; %bb.551:                              ;   in Loop: Header=BB309_11 Depth=1
	s_delay_alu instid0(VALU_DEP_3) | instskip(NEXT) | instid1(VALU_DEP_1)
	v_clz_i32_u32_e32 v0, v0
	v_min_u32_e32 v2, 32, v0
	s_delay_alu instid0(VALU_DEP_1) | instskip(NEXT) | instid1(VALU_DEP_1)
	v_subrev_nc_u32_e32 v0, 28, v2
	v_lshlrev_b64_e32 v[0:1], v0, v[7:8]
	v_sub_nc_u32_e32 v1, 29, v2
	s_delay_alu instid0(VALU_DEP_2)
	v_and_b32_e32 v0, 7, v0
; %bb.552:                              ;   in Loop: Header=BB309_11 Depth=1
	s_wait_alu 0xfffe
	s_or_b32 exec_lo, exec_lo, s19
	v_lshlrev_b32_e32 v2, 8, v7
	v_lshl_add_u32 v1, v1, 10, 0x2000
	v_lshlrev_b32_e32 v0, 23, v0
	s_delay_alu instid0(VALU_DEP_2) | instskip(NEXT) | instid1(VALU_DEP_1)
	v_and_or_b32 v1, 0x8000, v2, v1
	v_lshl_or_b32 v40, v1, 16, v0
.LBB309_553:                            ;   in Loop: Header=BB309_11 Depth=1
	s_wait_alu 0xfffe
	s_or_b32 exec_lo, exec_lo, s18
.LBB309_554:                            ;   in Loop: Header=BB309_11 Depth=1
	s_wait_alu 0xfffe
	s_or_b32 exec_lo, exec_lo, s17
.LBB309_555:                            ;   in Loop: Header=BB309_11 Depth=1
	s_wait_alu 0xfffe
	s_or_b32 exec_lo, exec_lo, s16
	v_dual_mov_b32 v7, v31 :: v_dual_and_b32 v0, 0xff, v31
	s_mov_b32 s16, exec_lo
	s_delay_alu instid0(VALU_DEP_1)
	v_cmpx_ne_u16_e32 0, v0
	s_cbranch_execz .LBB309_563
; %bb.556:                              ;   in Loop: Header=BB309_11 Depth=1
	v_mov_b32_e32 v183, 0x8000
	s_mov_b32 s17, exec_lo
	v_cmpx_ne_u16_e32 0x80, v0
	s_cbranch_execz .LBB309_562
; %bb.557:                              ;   in Loop: Header=BB309_11 Depth=1
	v_and_b32_e32 v2, 0x7f, v31
	v_mov_b32_e32 v183, 0x7c01
	s_mov_b32 s18, exec_lo
	s_delay_alu instid0(VALU_DEP_2)
	v_cmpx_ne_u32_e32 0x7f, v2
	s_cbranch_execz .LBB309_561
; %bb.558:                              ;   in Loop: Header=BB309_11 Depth=1
	v_and_b32_e32 v0, 7, v31
	v_lshrrev_b32_e32 v1, 3, v2
	s_mov_b32 s19, exec_lo
	v_cmpx_gt_u32_e32 8, v2
; %bb.559:                              ;   in Loop: Header=BB309_11 Depth=1
	s_delay_alu instid0(VALU_DEP_3) | instskip(NEXT) | instid1(VALU_DEP_1)
	v_clz_i32_u32_e32 v0, v0
	v_min_u32_e32 v2, 32, v0
	s_delay_alu instid0(VALU_DEP_1) | instskip(NEXT) | instid1(VALU_DEP_1)
	v_subrev_nc_u32_e32 v0, 28, v2
	v_lshlrev_b64_e32 v[0:1], v0, v[7:8]
	v_sub_nc_u32_e32 v1, 29, v2
	s_delay_alu instid0(VALU_DEP_2)
	v_and_b32_e32 v0, 7, v0
; %bb.560:                              ;   in Loop: Header=BB309_11 Depth=1
	s_wait_alu 0xfffe
	s_or_b32 exec_lo, exec_lo, s19
	v_lshlrev_b32_e32 v2, 8, v31
	v_lshl_add_u32 v1, v1, 10, 0x2000
	v_lshlrev_b32_e32 v0, 7, v0
	s_delay_alu instid0(VALU_DEP_3) | instskip(NEXT) | instid1(VALU_DEP_3)
	v_and_b32_e32 v2, 0x8000, v2
	v_and_b32_e32 v1, 0xfc00, v1
	s_delay_alu instid0(VALU_DEP_1)
	v_or3_b32 v183, v2, v1, v0
.LBB309_561:                            ;   in Loop: Header=BB309_11 Depth=1
	s_wait_alu 0xfffe
	s_or_b32 exec_lo, exec_lo, s18
.LBB309_562:                            ;   in Loop: Header=BB309_11 Depth=1
	s_wait_alu 0xfffe
	s_or_b32 exec_lo, exec_lo, s17
.LBB309_563:                            ;   in Loop: Header=BB309_11 Depth=1
	s_wait_alu 0xfffe
	s_or_b32 exec_lo, exec_lo, s16
	v_lshrrev_b16 v7, 8, v7
	v_dual_mov_b32 v41, 0 :: v_dual_mov_b32 v42, 0
	s_mov_b32 s16, exec_lo
	s_delay_alu instid0(VALU_DEP_2)
	v_cmpx_ne_u16_e32 0, v7
	s_cbranch_execz .LBB309_571
; %bb.564:                              ;   in Loop: Header=BB309_11 Depth=1
	v_bfrev_b32_e32 v42, 1
	s_mov_b32 s17, exec_lo
	v_cmpx_ne_u16_e32 0x80, v7
	s_cbranch_execz .LBB309_570
; %bb.565:                              ;   in Loop: Header=BB309_11 Depth=1
	v_and_b32_e32 v0, 0xffff, v7
	v_mov_b32_e32 v42, 0x7c010000
	s_mov_b32 s18, exec_lo
	s_delay_alu instid0(VALU_DEP_2) | instskip(NEXT) | instid1(VALU_DEP_1)
	v_and_b32_e32 v3, 0x7f, v0
	v_cmpx_ne_u32_e32 0x7f, v3
	s_cbranch_execz .LBB309_569
; %bb.566:                              ;   in Loop: Header=BB309_11 Depth=1
	v_and_b32_e32 v1, 7, v0
	v_lshrrev_b32_e32 v2, 3, v3
	s_mov_b32 s19, exec_lo
	v_cmpx_gt_u32_e32 8, v3
; %bb.567:                              ;   in Loop: Header=BB309_11 Depth=1
	s_delay_alu instid0(VALU_DEP_3) | instskip(NEXT) | instid1(VALU_DEP_1)
	v_clz_i32_u32_e32 v1, v1
	v_min_u32_e32 v3, 32, v1
	s_delay_alu instid0(VALU_DEP_1) | instskip(NEXT) | instid1(VALU_DEP_1)
	v_subrev_nc_u32_e32 v1, 28, v3
	v_lshlrev_b64_e32 v[1:2], v1, v[7:8]
	v_sub_nc_u32_e32 v2, 29, v3
	s_delay_alu instid0(VALU_DEP_2)
	v_and_b32_e32 v1, 7, v1
; %bb.568:                              ;   in Loop: Header=BB309_11 Depth=1
	s_wait_alu 0xfffe
	s_or_b32 exec_lo, exec_lo, s19
	v_lshlrev_b32_e32 v0, 8, v0
	v_lshl_add_u32 v2, v2, 10, 0x2000
	v_lshlrev_b32_e32 v1, 23, v1
	s_delay_alu instid0(VALU_DEP_2) | instskip(NEXT) | instid1(VALU_DEP_1)
	v_and_or_b32 v0, 0x8000, v0, v2
	v_lshl_or_b32 v42, v0, 16, v1
.LBB309_569:                            ;   in Loop: Header=BB309_11 Depth=1
	s_wait_alu 0xfffe
	s_or_b32 exec_lo, exec_lo, s18
.LBB309_570:                            ;   in Loop: Header=BB309_11 Depth=1
	s_wait_alu 0xfffe
	s_or_b32 exec_lo, exec_lo, s17
.LBB309_571:                            ;   in Loop: Header=BB309_11 Depth=1
	s_wait_alu 0xfffe
	s_or_b32 exec_lo, exec_lo, s16
	v_lshrrev_b32_e32 v7, 16, v31
	s_mov_b32 s16, exec_lo
	s_delay_alu instid0(VALU_DEP_1) | instskip(NEXT) | instid1(VALU_DEP_1)
	v_and_b32_e32 v0, 0xff, v7
	v_cmpx_ne_u16_e32 0, v0
	s_cbranch_execz .LBB309_579
; %bb.572:                              ;   in Loop: Header=BB309_11 Depth=1
	v_mov_b32_e32 v41, 0x8000
	s_mov_b32 s17, exec_lo
	v_cmpx_ne_u16_e32 0x80, v0
	s_cbranch_execz .LBB309_578
; %bb.573:                              ;   in Loop: Header=BB309_11 Depth=1
	v_bfe_u32 v2, v31, 16, 7
	v_mov_b32_e32 v41, 0x7c01
	s_mov_b32 s18, exec_lo
	s_delay_alu instid0(VALU_DEP_2)
	v_cmpx_ne_u32_e32 0x7f, v2
	s_cbranch_execz .LBB309_577
; %bb.574:                              ;   in Loop: Header=BB309_11 Depth=1
	v_and_b32_e32 v0, 7, v7
	v_lshrrev_b32_e32 v1, 3, v2
	s_mov_b32 s19, exec_lo
	v_cmpx_gt_u32_e32 8, v2
; %bb.575:                              ;   in Loop: Header=BB309_11 Depth=1
	s_delay_alu instid0(VALU_DEP_3) | instskip(NEXT) | instid1(VALU_DEP_1)
	v_clz_i32_u32_e32 v0, v0
	v_min_u32_e32 v2, 32, v0
	s_delay_alu instid0(VALU_DEP_1) | instskip(NEXT) | instid1(VALU_DEP_1)
	v_subrev_nc_u32_e32 v0, 28, v2
	v_lshlrev_b64_e32 v[0:1], v0, v[7:8]
	v_sub_nc_u32_e32 v1, 29, v2
	s_delay_alu instid0(VALU_DEP_2)
	v_and_b32_e32 v0, 7, v0
; %bb.576:                              ;   in Loop: Header=BB309_11 Depth=1
	s_wait_alu 0xfffe
	s_or_b32 exec_lo, exec_lo, s19
	v_lshlrev_b32_e32 v2, 8, v7
	v_lshl_add_u32 v1, v1, 10, 0x2000
	v_lshlrev_b32_e32 v0, 7, v0
	s_delay_alu instid0(VALU_DEP_3) | instskip(NEXT) | instid1(VALU_DEP_3)
	v_and_b32_e32 v2, 0x8000, v2
	v_and_b32_e32 v1, 0xfc00, v1
	s_delay_alu instid0(VALU_DEP_1)
	v_or3_b32 v41, v2, v1, v0
.LBB309_577:                            ;   in Loop: Header=BB309_11 Depth=1
	s_wait_alu 0xfffe
	s_or_b32 exec_lo, exec_lo, s18
.LBB309_578:                            ;   in Loop: Header=BB309_11 Depth=1
	s_wait_alu 0xfffe
	s_or_b32 exec_lo, exec_lo, s17
.LBB309_579:                            ;   in Loop: Header=BB309_11 Depth=1
	s_wait_alu 0xfffe
	s_or_b32 exec_lo, exec_lo, s16
	v_dual_mov_b32 v44, 0 :: v_dual_mov_b32 v43, 0
	s_mov_b32 s16, exec_lo
	v_cmpx_lt_u64_e64 s[2:3], v[30:31]
	s_cbranch_execz .LBB309_587
; %bb.580:                              ;   in Loop: Header=BB309_11 Depth=1
	v_lshrrev_b32_e32 v7, 24, v31
	v_bfrev_b32_e32 v43, 1
	s_mov_b32 s17, exec_lo
	s_delay_alu instid0(VALU_DEP_2)
	v_cmpx_ne_u32_e32 0x80, v7
	s_cbranch_execz .LBB309_586
; %bb.581:                              ;   in Loop: Header=BB309_11 Depth=1
	v_and_b32_e32 v2, 0x7f, v7
	v_mov_b32_e32 v43, 0x7c010000
	s_mov_b32 s18, exec_lo
	s_delay_alu instid0(VALU_DEP_2)
	v_cmpx_ne_u32_e32 0x7f, v2
	s_cbranch_execz .LBB309_585
; %bb.582:                              ;   in Loop: Header=BB309_11 Depth=1
	v_and_b32_e32 v0, 7, v7
	v_lshrrev_b32_e32 v1, 3, v2
	s_mov_b32 s19, exec_lo
	v_cmpx_gt_u32_e32 8, v2
; %bb.583:                              ;   in Loop: Header=BB309_11 Depth=1
	s_delay_alu instid0(VALU_DEP_3) | instskip(NEXT) | instid1(VALU_DEP_1)
	v_clz_i32_u32_e32 v0, v0
	v_min_u32_e32 v2, 32, v0
	s_delay_alu instid0(VALU_DEP_1) | instskip(NEXT) | instid1(VALU_DEP_1)
	v_subrev_nc_u32_e32 v0, 28, v2
	v_lshlrev_b64_e32 v[0:1], v0, v[7:8]
	v_sub_nc_u32_e32 v1, 29, v2
	s_delay_alu instid0(VALU_DEP_2)
	v_and_b32_e32 v0, 7, v0
; %bb.584:                              ;   in Loop: Header=BB309_11 Depth=1
	s_wait_alu 0xfffe
	s_or_b32 exec_lo, exec_lo, s19
	v_lshlrev_b32_e32 v2, 8, v7
	v_lshl_add_u32 v1, v1, 10, 0x2000
	v_lshlrev_b32_e32 v0, 23, v0
	s_delay_alu instid0(VALU_DEP_2) | instskip(NEXT) | instid1(VALU_DEP_1)
	v_and_or_b32 v1, 0x8000, v2, v1
	v_lshl_or_b32 v43, v1, 16, v0
.LBB309_585:                            ;   in Loop: Header=BB309_11 Depth=1
	s_wait_alu 0xfffe
	s_or_b32 exec_lo, exec_lo, s18
.LBB309_586:                            ;   in Loop: Header=BB309_11 Depth=1
	s_wait_alu 0xfffe
	s_or_b32 exec_lo, exec_lo, s17
.LBB309_587:                            ;   in Loop: Header=BB309_11 Depth=1
	s_wait_alu 0xfffe
	s_or_b32 exec_lo, exec_lo, s16
	flat_load_b64 v[30:31], v[28:29] offset:2056
	s_mov_b32 s16, exec_lo
	s_wait_loadcnt_dscnt 0x0
	v_and_b32_e32 v0, 0xff, v30
	s_delay_alu instid0(VALU_DEP_1)
	v_cmpx_ne_u16_e32 0, v0
	s_cbranch_execz .LBB309_595
; %bb.588:                              ;   in Loop: Header=BB309_11 Depth=1
	v_mov_b32_e32 v44, 0x8000
	s_mov_b32 s17, exec_lo
	v_cmpx_ne_u16_e32 0x80, v0
	s_cbranch_execz .LBB309_594
; %bb.589:                              ;   in Loop: Header=BB309_11 Depth=1
	v_and_b32_e32 v2, 0x7f, v30
	v_mov_b32_e32 v44, 0x7c01
	s_mov_b32 s18, exec_lo
	s_delay_alu instid0(VALU_DEP_2)
	v_cmpx_ne_u32_e32 0x7f, v2
	s_cbranch_execz .LBB309_593
; %bb.590:                              ;   in Loop: Header=BB309_11 Depth=1
	v_and_b32_e32 v0, 7, v30
	v_lshrrev_b32_e32 v1, 3, v2
	s_mov_b32 s19, exec_lo
	v_cmpx_gt_u32_e32 8, v2
; %bb.591:                              ;   in Loop: Header=BB309_11 Depth=1
	s_delay_alu instid0(VALU_DEP_3) | instskip(NEXT) | instid1(VALU_DEP_1)
	v_clz_i32_u32_e32 v0, v0
	v_min_u32_e32 v2, 32, v0
	s_delay_alu instid0(VALU_DEP_1) | instskip(NEXT) | instid1(VALU_DEP_1)
	v_subrev_nc_u32_e32 v0, 28, v2
	v_lshlrev_b64_e32 v[0:1], v0, v[30:31]
	v_sub_nc_u32_e32 v1, 29, v2
	s_delay_alu instid0(VALU_DEP_2)
	v_and_b32_e32 v0, 7, v0
; %bb.592:                              ;   in Loop: Header=BB309_11 Depth=1
	s_wait_alu 0xfffe
	s_or_b32 exec_lo, exec_lo, s19
	v_lshlrev_b32_e32 v2, 8, v30
	v_lshl_add_u32 v1, v1, 10, 0x2000
	v_lshlrev_b32_e32 v0, 7, v0
	s_delay_alu instid0(VALU_DEP_3) | instskip(NEXT) | instid1(VALU_DEP_3)
	v_and_b32_e32 v2, 0x8000, v2
	v_and_b32_e32 v1, 0xfc00, v1
	s_delay_alu instid0(VALU_DEP_1)
	v_or3_b32 v44, v2, v1, v0
.LBB309_593:                            ;   in Loop: Header=BB309_11 Depth=1
	s_wait_alu 0xfffe
	s_or_b32 exec_lo, exec_lo, s18
.LBB309_594:                            ;   in Loop: Header=BB309_11 Depth=1
	s_wait_alu 0xfffe
	s_or_b32 exec_lo, exec_lo, s17
.LBB309_595:                            ;   in Loop: Header=BB309_11 Depth=1
	s_wait_alu 0xfffe
	s_or_b32 exec_lo, exec_lo, s16
	v_lshrrev_b16 v7, 8, v30
	v_dual_mov_b32 v76, 0 :: v_dual_mov_b32 v75, 0
	s_mov_b32 s16, exec_lo
	s_delay_alu instid0(VALU_DEP_2)
	v_cmpx_ne_u16_e32 0, v7
	s_cbranch_execz .LBB309_603
; %bb.596:                              ;   in Loop: Header=BB309_11 Depth=1
	v_bfrev_b32_e32 v75, 1
	s_mov_b32 s17, exec_lo
	v_cmpx_ne_u16_e32 0x80, v7
	s_cbranch_execz .LBB309_602
; %bb.597:                              ;   in Loop: Header=BB309_11 Depth=1
	v_and_b32_e32 v0, 0xffff, v7
	v_mov_b32_e32 v75, 0x7c010000
	s_mov_b32 s18, exec_lo
	s_delay_alu instid0(VALU_DEP_2) | instskip(NEXT) | instid1(VALU_DEP_1)
	v_and_b32_e32 v3, 0x7f, v0
	v_cmpx_ne_u32_e32 0x7f, v3
	s_cbranch_execz .LBB309_601
; %bb.598:                              ;   in Loop: Header=BB309_11 Depth=1
	v_and_b32_e32 v1, 7, v0
	v_lshrrev_b32_e32 v2, 3, v3
	s_mov_b32 s19, exec_lo
	v_cmpx_gt_u32_e32 8, v3
; %bb.599:                              ;   in Loop: Header=BB309_11 Depth=1
	s_delay_alu instid0(VALU_DEP_3) | instskip(NEXT) | instid1(VALU_DEP_1)
	v_clz_i32_u32_e32 v1, v1
	v_min_u32_e32 v3, 32, v1
	s_delay_alu instid0(VALU_DEP_1) | instskip(NEXT) | instid1(VALU_DEP_1)
	v_subrev_nc_u32_e32 v1, 28, v3
	v_lshlrev_b64_e32 v[1:2], v1, v[7:8]
	v_sub_nc_u32_e32 v2, 29, v3
	s_delay_alu instid0(VALU_DEP_2)
	v_and_b32_e32 v1, 7, v1
; %bb.600:                              ;   in Loop: Header=BB309_11 Depth=1
	s_wait_alu 0xfffe
	s_or_b32 exec_lo, exec_lo, s19
	v_lshlrev_b32_e32 v0, 8, v0
	v_lshl_add_u32 v2, v2, 10, 0x2000
	v_lshlrev_b32_e32 v1, 23, v1
	s_delay_alu instid0(VALU_DEP_2) | instskip(NEXT) | instid1(VALU_DEP_1)
	v_and_or_b32 v0, 0x8000, v0, v2
	v_lshl_or_b32 v75, v0, 16, v1
.LBB309_601:                            ;   in Loop: Header=BB309_11 Depth=1
	s_wait_alu 0xfffe
	s_or_b32 exec_lo, exec_lo, s18
.LBB309_602:                            ;   in Loop: Header=BB309_11 Depth=1
	s_wait_alu 0xfffe
	s_or_b32 exec_lo, exec_lo, s17
.LBB309_603:                            ;   in Loop: Header=BB309_11 Depth=1
	s_wait_alu 0xfffe
	s_or_b32 exec_lo, exec_lo, s16
	v_lshrrev_b32_e32 v7, 16, v30
	s_mov_b32 s16, exec_lo
	s_delay_alu instid0(VALU_DEP_1) | instskip(NEXT) | instid1(VALU_DEP_1)
	v_and_b32_e32 v0, 0xff, v7
	v_cmpx_ne_u16_e32 0, v0
	s_cbranch_execz .LBB309_611
; %bb.604:                              ;   in Loop: Header=BB309_11 Depth=1
	v_mov_b32_e32 v76, 0x8000
	s_mov_b32 s17, exec_lo
	v_cmpx_ne_u16_e32 0x80, v0
	s_cbranch_execz .LBB309_610
; %bb.605:                              ;   in Loop: Header=BB309_11 Depth=1
	v_bfe_u32 v2, v30, 16, 7
	v_mov_b32_e32 v76, 0x7c01
	s_mov_b32 s18, exec_lo
	s_delay_alu instid0(VALU_DEP_2)
	v_cmpx_ne_u32_e32 0x7f, v2
	s_cbranch_execz .LBB309_609
; %bb.606:                              ;   in Loop: Header=BB309_11 Depth=1
	v_and_b32_e32 v0, 7, v7
	v_lshrrev_b32_e32 v1, 3, v2
	s_mov_b32 s19, exec_lo
	v_cmpx_gt_u32_e32 8, v2
; %bb.607:                              ;   in Loop: Header=BB309_11 Depth=1
	s_delay_alu instid0(VALU_DEP_3) | instskip(NEXT) | instid1(VALU_DEP_1)
	v_clz_i32_u32_e32 v0, v0
	v_min_u32_e32 v2, 32, v0
	s_delay_alu instid0(VALU_DEP_1) | instskip(NEXT) | instid1(VALU_DEP_1)
	v_subrev_nc_u32_e32 v0, 28, v2
	v_lshlrev_b64_e32 v[0:1], v0, v[7:8]
	v_sub_nc_u32_e32 v1, 29, v2
	s_delay_alu instid0(VALU_DEP_2)
	v_and_b32_e32 v0, 7, v0
; %bb.608:                              ;   in Loop: Header=BB309_11 Depth=1
	s_wait_alu 0xfffe
	s_or_b32 exec_lo, exec_lo, s19
	v_lshlrev_b32_e32 v2, 8, v7
	v_lshl_add_u32 v1, v1, 10, 0x2000
	v_lshlrev_b32_e32 v0, 7, v0
	s_delay_alu instid0(VALU_DEP_3) | instskip(NEXT) | instid1(VALU_DEP_3)
	v_and_b32_e32 v2, 0x8000, v2
	v_and_b32_e32 v1, 0xfc00, v1
	s_delay_alu instid0(VALU_DEP_1)
	v_or3_b32 v76, v2, v1, v0
.LBB309_609:                            ;   in Loop: Header=BB309_11 Depth=1
	s_wait_alu 0xfffe
	s_or_b32 exec_lo, exec_lo, s18
.LBB309_610:                            ;   in Loop: Header=BB309_11 Depth=1
	s_wait_alu 0xfffe
	s_or_b32 exec_lo, exec_lo, s17
.LBB309_611:                            ;   in Loop: Header=BB309_11 Depth=1
	s_wait_alu 0xfffe
	s_or_b32 exec_lo, exec_lo, s16
	v_dual_mov_b32 v47, 0 :: v_dual_mov_b32 v56, 0
	s_mov_b32 s16, exec_lo
	v_cmpx_lt_u32_e32 0xffffff, v30
	s_cbranch_execz .LBB309_619
; %bb.612:                              ;   in Loop: Header=BB309_11 Depth=1
	v_lshrrev_b32_e32 v7, 24, v30
	v_bfrev_b32_e32 v56, 1
	s_mov_b32 s17, exec_lo
	s_delay_alu instid0(VALU_DEP_2)
	v_cmpx_ne_u32_e32 0x80, v7
	s_cbranch_execz .LBB309_618
; %bb.613:                              ;   in Loop: Header=BB309_11 Depth=1
	v_and_b32_e32 v2, 0x7f, v7
	v_mov_b32_e32 v56, 0x7c010000
	s_mov_b32 s18, exec_lo
	s_delay_alu instid0(VALU_DEP_2)
	v_cmpx_ne_u32_e32 0x7f, v2
	s_cbranch_execz .LBB309_617
; %bb.614:                              ;   in Loop: Header=BB309_11 Depth=1
	v_and_b32_e32 v0, 7, v7
	v_lshrrev_b32_e32 v1, 3, v2
	s_mov_b32 s19, exec_lo
	v_cmpx_gt_u32_e32 8, v2
; %bb.615:                              ;   in Loop: Header=BB309_11 Depth=1
	s_delay_alu instid0(VALU_DEP_3) | instskip(NEXT) | instid1(VALU_DEP_1)
	v_clz_i32_u32_e32 v0, v0
	v_min_u32_e32 v2, 32, v0
	s_delay_alu instid0(VALU_DEP_1) | instskip(NEXT) | instid1(VALU_DEP_1)
	v_subrev_nc_u32_e32 v0, 28, v2
	v_lshlrev_b64_e32 v[0:1], v0, v[7:8]
	v_sub_nc_u32_e32 v1, 29, v2
	s_delay_alu instid0(VALU_DEP_2)
	v_and_b32_e32 v0, 7, v0
; %bb.616:                              ;   in Loop: Header=BB309_11 Depth=1
	s_wait_alu 0xfffe
	s_or_b32 exec_lo, exec_lo, s19
	v_lshlrev_b32_e32 v2, 8, v7
	v_lshl_add_u32 v1, v1, 10, 0x2000
	v_lshlrev_b32_e32 v0, 23, v0
	s_delay_alu instid0(VALU_DEP_2) | instskip(NEXT) | instid1(VALU_DEP_1)
	v_and_or_b32 v1, 0x8000, v2, v1
	v_lshl_or_b32 v56, v1, 16, v0
.LBB309_617:                            ;   in Loop: Header=BB309_11 Depth=1
	s_wait_alu 0xfffe
	s_or_b32 exec_lo, exec_lo, s18
.LBB309_618:                            ;   in Loop: Header=BB309_11 Depth=1
	s_wait_alu 0xfffe
	s_or_b32 exec_lo, exec_lo, s17
.LBB309_619:                            ;   in Loop: Header=BB309_11 Depth=1
	s_wait_alu 0xfffe
	s_or_b32 exec_lo, exec_lo, s16
	v_dual_mov_b32 v7, v31 :: v_dual_and_b32 v0, 0xff, v31
	s_mov_b32 s16, exec_lo
	s_delay_alu instid0(VALU_DEP_1)
	v_cmpx_ne_u16_e32 0, v0
	s_cbranch_execz .LBB309_627
; %bb.620:                              ;   in Loop: Header=BB309_11 Depth=1
	v_mov_b32_e32 v47, 0x8000
	s_mov_b32 s17, exec_lo
	v_cmpx_ne_u16_e32 0x80, v0
	s_cbranch_execz .LBB309_626
; %bb.621:                              ;   in Loop: Header=BB309_11 Depth=1
	v_and_b32_e32 v2, 0x7f, v31
	v_mov_b32_e32 v47, 0x7c01
	s_mov_b32 s18, exec_lo
	s_delay_alu instid0(VALU_DEP_2)
	v_cmpx_ne_u32_e32 0x7f, v2
	s_cbranch_execz .LBB309_625
; %bb.622:                              ;   in Loop: Header=BB309_11 Depth=1
	v_and_b32_e32 v0, 7, v31
	v_lshrrev_b32_e32 v1, 3, v2
	s_mov_b32 s19, exec_lo
	v_cmpx_gt_u32_e32 8, v2
; %bb.623:                              ;   in Loop: Header=BB309_11 Depth=1
	s_delay_alu instid0(VALU_DEP_3) | instskip(NEXT) | instid1(VALU_DEP_1)
	v_clz_i32_u32_e32 v0, v0
	v_min_u32_e32 v2, 32, v0
	s_delay_alu instid0(VALU_DEP_1) | instskip(NEXT) | instid1(VALU_DEP_1)
	v_subrev_nc_u32_e32 v0, 28, v2
	v_lshlrev_b64_e32 v[0:1], v0, v[7:8]
	v_sub_nc_u32_e32 v1, 29, v2
	s_delay_alu instid0(VALU_DEP_2)
	v_and_b32_e32 v0, 7, v0
; %bb.624:                              ;   in Loop: Header=BB309_11 Depth=1
	s_wait_alu 0xfffe
	s_or_b32 exec_lo, exec_lo, s19
	v_lshlrev_b32_e32 v2, 8, v31
	v_lshl_add_u32 v1, v1, 10, 0x2000
	v_lshlrev_b32_e32 v0, 7, v0
	s_delay_alu instid0(VALU_DEP_3) | instskip(NEXT) | instid1(VALU_DEP_3)
	v_and_b32_e32 v2, 0x8000, v2
	v_and_b32_e32 v1, 0xfc00, v1
	s_delay_alu instid0(VALU_DEP_1)
	v_or3_b32 v47, v2, v1, v0
.LBB309_625:                            ;   in Loop: Header=BB309_11 Depth=1
	s_wait_alu 0xfffe
	s_or_b32 exec_lo, exec_lo, s18
.LBB309_626:                            ;   in Loop: Header=BB309_11 Depth=1
	s_wait_alu 0xfffe
	s_or_b32 exec_lo, exec_lo, s17
.LBB309_627:                            ;   in Loop: Header=BB309_11 Depth=1
	s_wait_alu 0xfffe
	s_or_b32 exec_lo, exec_lo, s16
	v_lshrrev_b16 v7, 8, v7
	v_dual_mov_b32 v57, 0 :: v_dual_mov_b32 v58, 0
	s_mov_b32 s16, exec_lo
	s_delay_alu instid0(VALU_DEP_2)
	v_cmpx_ne_u16_e32 0, v7
	s_cbranch_execz .LBB309_635
; %bb.628:                              ;   in Loop: Header=BB309_11 Depth=1
	v_bfrev_b32_e32 v58, 1
	s_mov_b32 s17, exec_lo
	v_cmpx_ne_u16_e32 0x80, v7
	s_cbranch_execz .LBB309_634
; %bb.629:                              ;   in Loop: Header=BB309_11 Depth=1
	v_and_b32_e32 v0, 0xffff, v7
	v_mov_b32_e32 v58, 0x7c010000
	s_mov_b32 s18, exec_lo
	s_delay_alu instid0(VALU_DEP_2) | instskip(NEXT) | instid1(VALU_DEP_1)
	v_and_b32_e32 v3, 0x7f, v0
	v_cmpx_ne_u32_e32 0x7f, v3
	s_cbranch_execz .LBB309_633
; %bb.630:                              ;   in Loop: Header=BB309_11 Depth=1
	v_and_b32_e32 v1, 7, v0
	v_lshrrev_b32_e32 v2, 3, v3
	s_mov_b32 s19, exec_lo
	v_cmpx_gt_u32_e32 8, v3
; %bb.631:                              ;   in Loop: Header=BB309_11 Depth=1
	s_delay_alu instid0(VALU_DEP_3) | instskip(NEXT) | instid1(VALU_DEP_1)
	v_clz_i32_u32_e32 v1, v1
	v_min_u32_e32 v3, 32, v1
	s_delay_alu instid0(VALU_DEP_1) | instskip(NEXT) | instid1(VALU_DEP_1)
	v_subrev_nc_u32_e32 v1, 28, v3
	v_lshlrev_b64_e32 v[1:2], v1, v[7:8]
	v_sub_nc_u32_e32 v2, 29, v3
	s_delay_alu instid0(VALU_DEP_2)
	v_and_b32_e32 v1, 7, v1
; %bb.632:                              ;   in Loop: Header=BB309_11 Depth=1
	s_wait_alu 0xfffe
	s_or_b32 exec_lo, exec_lo, s19
	v_lshlrev_b32_e32 v0, 8, v0
	v_lshl_add_u32 v2, v2, 10, 0x2000
	v_lshlrev_b32_e32 v1, 23, v1
	s_delay_alu instid0(VALU_DEP_2) | instskip(NEXT) | instid1(VALU_DEP_1)
	v_and_or_b32 v0, 0x8000, v0, v2
	v_lshl_or_b32 v58, v0, 16, v1
.LBB309_633:                            ;   in Loop: Header=BB309_11 Depth=1
	s_wait_alu 0xfffe
	s_or_b32 exec_lo, exec_lo, s18
.LBB309_634:                            ;   in Loop: Header=BB309_11 Depth=1
	s_wait_alu 0xfffe
	s_or_b32 exec_lo, exec_lo, s17
.LBB309_635:                            ;   in Loop: Header=BB309_11 Depth=1
	s_wait_alu 0xfffe
	s_or_b32 exec_lo, exec_lo, s16
	v_lshrrev_b32_e32 v7, 16, v31
	s_mov_b32 s16, exec_lo
	s_delay_alu instid0(VALU_DEP_1) | instskip(NEXT) | instid1(VALU_DEP_1)
	v_and_b32_e32 v0, 0xff, v7
	v_cmpx_ne_u16_e32 0, v0
	s_cbranch_execz .LBB309_643
; %bb.636:                              ;   in Loop: Header=BB309_11 Depth=1
	v_mov_b32_e32 v57, 0x8000
	s_mov_b32 s17, exec_lo
	v_cmpx_ne_u16_e32 0x80, v0
	s_cbranch_execz .LBB309_642
; %bb.637:                              ;   in Loop: Header=BB309_11 Depth=1
	v_bfe_u32 v2, v31, 16, 7
	v_mov_b32_e32 v57, 0x7c01
	s_mov_b32 s18, exec_lo
	s_delay_alu instid0(VALU_DEP_2)
	v_cmpx_ne_u32_e32 0x7f, v2
	s_cbranch_execz .LBB309_641
; %bb.638:                              ;   in Loop: Header=BB309_11 Depth=1
	v_and_b32_e32 v0, 7, v7
	v_lshrrev_b32_e32 v1, 3, v2
	s_mov_b32 s19, exec_lo
	v_cmpx_gt_u32_e32 8, v2
; %bb.639:                              ;   in Loop: Header=BB309_11 Depth=1
	s_delay_alu instid0(VALU_DEP_3) | instskip(NEXT) | instid1(VALU_DEP_1)
	v_clz_i32_u32_e32 v0, v0
	v_min_u32_e32 v2, 32, v0
	s_delay_alu instid0(VALU_DEP_1) | instskip(NEXT) | instid1(VALU_DEP_1)
	v_subrev_nc_u32_e32 v0, 28, v2
	v_lshlrev_b64_e32 v[0:1], v0, v[7:8]
	v_sub_nc_u32_e32 v1, 29, v2
	s_delay_alu instid0(VALU_DEP_2)
	v_and_b32_e32 v0, 7, v0
; %bb.640:                              ;   in Loop: Header=BB309_11 Depth=1
	s_wait_alu 0xfffe
	s_or_b32 exec_lo, exec_lo, s19
	v_lshlrev_b32_e32 v2, 8, v7
	v_lshl_add_u32 v1, v1, 10, 0x2000
	v_lshlrev_b32_e32 v0, 7, v0
	s_delay_alu instid0(VALU_DEP_3) | instskip(NEXT) | instid1(VALU_DEP_3)
	v_and_b32_e32 v2, 0x8000, v2
	v_and_b32_e32 v1, 0xfc00, v1
	s_delay_alu instid0(VALU_DEP_1)
	v_or3_b32 v57, v2, v1, v0
.LBB309_641:                            ;   in Loop: Header=BB309_11 Depth=1
	s_wait_alu 0xfffe
	s_or_b32 exec_lo, exec_lo, s18
.LBB309_642:                            ;   in Loop: Header=BB309_11 Depth=1
	s_wait_alu 0xfffe
	s_or_b32 exec_lo, exec_lo, s17
.LBB309_643:                            ;   in Loop: Header=BB309_11 Depth=1
	s_wait_alu 0xfffe
	s_or_b32 exec_lo, exec_lo, s16
	v_dual_mov_b32 v72, 0 :: v_dual_mov_b32 v61, 0
	s_mov_b32 s16, exec_lo
	v_cmpx_lt_u64_e64 s[2:3], v[30:31]
	s_cbranch_execz .LBB309_651
; %bb.644:                              ;   in Loop: Header=BB309_11 Depth=1
	v_lshrrev_b32_e32 v7, 24, v31
	v_bfrev_b32_e32 v61, 1
	s_mov_b32 s17, exec_lo
	s_delay_alu instid0(VALU_DEP_2)
	v_cmpx_ne_u32_e32 0x80, v7
	s_cbranch_execz .LBB309_650
; %bb.645:                              ;   in Loop: Header=BB309_11 Depth=1
	v_and_b32_e32 v2, 0x7f, v7
	v_mov_b32_e32 v61, 0x7c010000
	s_mov_b32 s18, exec_lo
	s_delay_alu instid0(VALU_DEP_2)
	v_cmpx_ne_u32_e32 0x7f, v2
	s_cbranch_execz .LBB309_649
; %bb.646:                              ;   in Loop: Header=BB309_11 Depth=1
	v_and_b32_e32 v0, 7, v7
	v_lshrrev_b32_e32 v1, 3, v2
	s_mov_b32 s19, exec_lo
	v_cmpx_gt_u32_e32 8, v2
; %bb.647:                              ;   in Loop: Header=BB309_11 Depth=1
	s_delay_alu instid0(VALU_DEP_3) | instskip(NEXT) | instid1(VALU_DEP_1)
	v_clz_i32_u32_e32 v0, v0
	v_min_u32_e32 v2, 32, v0
	s_delay_alu instid0(VALU_DEP_1) | instskip(NEXT) | instid1(VALU_DEP_1)
	v_subrev_nc_u32_e32 v0, 28, v2
	v_lshlrev_b64_e32 v[0:1], v0, v[7:8]
	v_sub_nc_u32_e32 v1, 29, v2
	s_delay_alu instid0(VALU_DEP_2)
	v_and_b32_e32 v0, 7, v0
; %bb.648:                              ;   in Loop: Header=BB309_11 Depth=1
	s_wait_alu 0xfffe
	s_or_b32 exec_lo, exec_lo, s19
	v_lshlrev_b32_e32 v2, 8, v7
	v_lshl_add_u32 v1, v1, 10, 0x2000
	v_lshlrev_b32_e32 v0, 23, v0
	s_delay_alu instid0(VALU_DEP_2) | instskip(NEXT) | instid1(VALU_DEP_1)
	v_and_or_b32 v1, 0x8000, v2, v1
	v_lshl_or_b32 v61, v1, 16, v0
.LBB309_649:                            ;   in Loop: Header=BB309_11 Depth=1
	s_wait_alu 0xfffe
	s_or_b32 exec_lo, exec_lo, s18
.LBB309_650:                            ;   in Loop: Header=BB309_11 Depth=1
	s_wait_alu 0xfffe
	s_or_b32 exec_lo, exec_lo, s17
.LBB309_651:                            ;   in Loop: Header=BB309_11 Depth=1
	s_wait_alu 0xfffe
	s_or_b32 exec_lo, exec_lo, s16
	flat_load_b64 v[30:31], v[28:29] offset:2560
	s_mov_b32 s16, exec_lo
	s_wait_loadcnt_dscnt 0x0
	v_and_b32_e32 v0, 0xff, v30
	s_delay_alu instid0(VALU_DEP_1)
	v_cmpx_ne_u16_e32 0, v0
	s_cbranch_execz .LBB309_659
; %bb.652:                              ;   in Loop: Header=BB309_11 Depth=1
	v_mov_b32_e32 v72, 0x8000
	s_mov_b32 s17, exec_lo
	v_cmpx_ne_u16_e32 0x80, v0
	s_cbranch_execz .LBB309_658
; %bb.653:                              ;   in Loop: Header=BB309_11 Depth=1
	v_and_b32_e32 v2, 0x7f, v30
	v_mov_b32_e32 v72, 0x7c01
	s_mov_b32 s18, exec_lo
	s_delay_alu instid0(VALU_DEP_2)
	v_cmpx_ne_u32_e32 0x7f, v2
	s_cbranch_execz .LBB309_657
; %bb.654:                              ;   in Loop: Header=BB309_11 Depth=1
	v_and_b32_e32 v0, 7, v30
	v_lshrrev_b32_e32 v1, 3, v2
	s_mov_b32 s19, exec_lo
	v_cmpx_gt_u32_e32 8, v2
; %bb.655:                              ;   in Loop: Header=BB309_11 Depth=1
	s_delay_alu instid0(VALU_DEP_3) | instskip(NEXT) | instid1(VALU_DEP_1)
	v_clz_i32_u32_e32 v0, v0
	v_min_u32_e32 v2, 32, v0
	s_delay_alu instid0(VALU_DEP_1) | instskip(NEXT) | instid1(VALU_DEP_1)
	v_subrev_nc_u32_e32 v0, 28, v2
	v_lshlrev_b64_e32 v[0:1], v0, v[30:31]
	v_sub_nc_u32_e32 v1, 29, v2
	s_delay_alu instid0(VALU_DEP_2)
	v_and_b32_e32 v0, 7, v0
; %bb.656:                              ;   in Loop: Header=BB309_11 Depth=1
	s_wait_alu 0xfffe
	s_or_b32 exec_lo, exec_lo, s19
	v_lshlrev_b32_e32 v2, 8, v30
	v_lshl_add_u32 v1, v1, 10, 0x2000
	v_lshlrev_b32_e32 v0, 7, v0
	s_delay_alu instid0(VALU_DEP_3) | instskip(NEXT) | instid1(VALU_DEP_3)
	v_and_b32_e32 v2, 0x8000, v2
	v_and_b32_e32 v1, 0xfc00, v1
	s_delay_alu instid0(VALU_DEP_1)
	v_or3_b32 v72, v2, v1, v0
.LBB309_657:                            ;   in Loop: Header=BB309_11 Depth=1
	s_wait_alu 0xfffe
	s_or_b32 exec_lo, exec_lo, s18
.LBB309_658:                            ;   in Loop: Header=BB309_11 Depth=1
	s_wait_alu 0xfffe
	s_or_b32 exec_lo, exec_lo, s17
.LBB309_659:                            ;   in Loop: Header=BB309_11 Depth=1
	s_wait_alu 0xfffe
	s_or_b32 exec_lo, exec_lo, s16
	v_lshrrev_b16 v7, 8, v30
	v_dual_mov_b32 v20, 0 :: v_dual_mov_b32 v9, 0
	s_mov_b32 s16, exec_lo
	s_delay_alu instid0(VALU_DEP_2)
	v_cmpx_ne_u16_e32 0, v7
	s_cbranch_execz .LBB309_667
; %bb.660:                              ;   in Loop: Header=BB309_11 Depth=1
	v_bfrev_b32_e32 v9, 1
	s_mov_b32 s17, exec_lo
	v_cmpx_ne_u16_e32 0x80, v7
	s_cbranch_execz .LBB309_666
; %bb.661:                              ;   in Loop: Header=BB309_11 Depth=1
	v_and_b32_e32 v0, 0xffff, v7
	v_mov_b32_e32 v9, 0x7c010000
	s_mov_b32 s18, exec_lo
	s_delay_alu instid0(VALU_DEP_2) | instskip(NEXT) | instid1(VALU_DEP_1)
	v_and_b32_e32 v3, 0x7f, v0
	v_cmpx_ne_u32_e32 0x7f, v3
	s_cbranch_execz .LBB309_665
; %bb.662:                              ;   in Loop: Header=BB309_11 Depth=1
	v_and_b32_e32 v1, 7, v0
	v_lshrrev_b32_e32 v2, 3, v3
	s_mov_b32 s19, exec_lo
	v_cmpx_gt_u32_e32 8, v3
; %bb.663:                              ;   in Loop: Header=BB309_11 Depth=1
	s_delay_alu instid0(VALU_DEP_3) | instskip(NEXT) | instid1(VALU_DEP_1)
	v_clz_i32_u32_e32 v1, v1
	v_min_u32_e32 v3, 32, v1
	s_delay_alu instid0(VALU_DEP_1) | instskip(NEXT) | instid1(VALU_DEP_1)
	v_subrev_nc_u32_e32 v1, 28, v3
	v_lshlrev_b64_e32 v[1:2], v1, v[7:8]
	v_sub_nc_u32_e32 v2, 29, v3
	s_delay_alu instid0(VALU_DEP_2)
	v_and_b32_e32 v1, 7, v1
; %bb.664:                              ;   in Loop: Header=BB309_11 Depth=1
	s_wait_alu 0xfffe
	s_or_b32 exec_lo, exec_lo, s19
	v_lshlrev_b32_e32 v0, 8, v0
	v_lshl_add_u32 v2, v2, 10, 0x2000
	v_lshlrev_b32_e32 v1, 23, v1
	s_delay_alu instid0(VALU_DEP_2) | instskip(NEXT) | instid1(VALU_DEP_1)
	v_and_or_b32 v0, 0x8000, v0, v2
	v_lshl_or_b32 v9, v0, 16, v1
.LBB309_665:                            ;   in Loop: Header=BB309_11 Depth=1
	s_wait_alu 0xfffe
	s_or_b32 exec_lo, exec_lo, s18
.LBB309_666:                            ;   in Loop: Header=BB309_11 Depth=1
	s_wait_alu 0xfffe
	s_or_b32 exec_lo, exec_lo, s17
.LBB309_667:                            ;   in Loop: Header=BB309_11 Depth=1
	s_wait_alu 0xfffe
	s_or_b32 exec_lo, exec_lo, s16
	v_lshrrev_b32_e32 v7, 16, v30
	s_mov_b32 s16, exec_lo
	s_delay_alu instid0(VALU_DEP_1) | instskip(NEXT) | instid1(VALU_DEP_1)
	v_and_b32_e32 v0, 0xff, v7
	v_cmpx_ne_u16_e32 0, v0
	s_cbranch_execz .LBB309_675
; %bb.668:                              ;   in Loop: Header=BB309_11 Depth=1
	v_mov_b32_e32 v20, 0x8000
	s_mov_b32 s17, exec_lo
	v_cmpx_ne_u16_e32 0x80, v0
	s_cbranch_execz .LBB309_674
; %bb.669:                              ;   in Loop: Header=BB309_11 Depth=1
	v_bfe_u32 v2, v30, 16, 7
	v_mov_b32_e32 v20, 0x7c01
	s_mov_b32 s18, exec_lo
	s_delay_alu instid0(VALU_DEP_2)
	v_cmpx_ne_u32_e32 0x7f, v2
	s_cbranch_execz .LBB309_673
; %bb.670:                              ;   in Loop: Header=BB309_11 Depth=1
	v_and_b32_e32 v0, 7, v7
	v_lshrrev_b32_e32 v1, 3, v2
	s_mov_b32 s19, exec_lo
	v_cmpx_gt_u32_e32 8, v2
; %bb.671:                              ;   in Loop: Header=BB309_11 Depth=1
	s_delay_alu instid0(VALU_DEP_3) | instskip(NEXT) | instid1(VALU_DEP_1)
	v_clz_i32_u32_e32 v0, v0
	v_min_u32_e32 v2, 32, v0
	s_delay_alu instid0(VALU_DEP_1) | instskip(NEXT) | instid1(VALU_DEP_1)
	v_subrev_nc_u32_e32 v0, 28, v2
	v_lshlrev_b64_e32 v[0:1], v0, v[7:8]
	v_sub_nc_u32_e32 v1, 29, v2
	s_delay_alu instid0(VALU_DEP_2)
	v_and_b32_e32 v0, 7, v0
; %bb.672:                              ;   in Loop: Header=BB309_11 Depth=1
	s_wait_alu 0xfffe
	s_or_b32 exec_lo, exec_lo, s19
	v_lshlrev_b32_e32 v2, 8, v7
	v_lshl_add_u32 v1, v1, 10, 0x2000
	v_lshlrev_b32_e32 v0, 7, v0
	s_delay_alu instid0(VALU_DEP_3) | instskip(NEXT) | instid1(VALU_DEP_3)
	v_and_b32_e32 v2, 0x8000, v2
	v_and_b32_e32 v1, 0xfc00, v1
	s_delay_alu instid0(VALU_DEP_1)
	v_or3_b32 v20, v2, v1, v0
.LBB309_673:                            ;   in Loop: Header=BB309_11 Depth=1
	s_wait_alu 0xfffe
	s_or_b32 exec_lo, exec_lo, s18
.LBB309_674:                            ;   in Loop: Header=BB309_11 Depth=1
	s_wait_alu 0xfffe
	s_or_b32 exec_lo, exec_lo, s17
.LBB309_675:                            ;   in Loop: Header=BB309_11 Depth=1
	s_wait_alu 0xfffe
	s_or_b32 exec_lo, exec_lo, s16
	v_dual_mov_b32 v79, 0 :: v_dual_mov_b32 v88, 0
	s_mov_b32 s16, exec_lo
	v_cmpx_lt_u32_e32 0xffffff, v30
	s_cbranch_execz .LBB309_683
; %bb.676:                              ;   in Loop: Header=BB309_11 Depth=1
	v_lshrrev_b32_e32 v7, 24, v30
	v_bfrev_b32_e32 v88, 1
	s_mov_b32 s17, exec_lo
	s_delay_alu instid0(VALU_DEP_2)
	v_cmpx_ne_u32_e32 0x80, v7
	s_cbranch_execz .LBB309_682
; %bb.677:                              ;   in Loop: Header=BB309_11 Depth=1
	v_and_b32_e32 v2, 0x7f, v7
	v_mov_b32_e32 v88, 0x7c010000
	s_mov_b32 s18, exec_lo
	s_delay_alu instid0(VALU_DEP_2)
	v_cmpx_ne_u32_e32 0x7f, v2
	s_cbranch_execz .LBB309_681
; %bb.678:                              ;   in Loop: Header=BB309_11 Depth=1
	v_and_b32_e32 v0, 7, v7
	v_lshrrev_b32_e32 v1, 3, v2
	s_mov_b32 s19, exec_lo
	v_cmpx_gt_u32_e32 8, v2
; %bb.679:                              ;   in Loop: Header=BB309_11 Depth=1
	s_delay_alu instid0(VALU_DEP_3) | instskip(NEXT) | instid1(VALU_DEP_1)
	v_clz_i32_u32_e32 v0, v0
	v_min_u32_e32 v2, 32, v0
	s_delay_alu instid0(VALU_DEP_1) | instskip(NEXT) | instid1(VALU_DEP_1)
	v_subrev_nc_u32_e32 v0, 28, v2
	v_lshlrev_b64_e32 v[0:1], v0, v[7:8]
	v_sub_nc_u32_e32 v1, 29, v2
	s_delay_alu instid0(VALU_DEP_2)
	v_and_b32_e32 v0, 7, v0
; %bb.680:                              ;   in Loop: Header=BB309_11 Depth=1
	s_wait_alu 0xfffe
	s_or_b32 exec_lo, exec_lo, s19
	v_lshlrev_b32_e32 v2, 8, v7
	v_lshl_add_u32 v1, v1, 10, 0x2000
	v_lshlrev_b32_e32 v0, 23, v0
	s_delay_alu instid0(VALU_DEP_2) | instskip(NEXT) | instid1(VALU_DEP_1)
	v_and_or_b32 v1, 0x8000, v2, v1
	v_lshl_or_b32 v88, v1, 16, v0
.LBB309_681:                            ;   in Loop: Header=BB309_11 Depth=1
	s_wait_alu 0xfffe
	s_or_b32 exec_lo, exec_lo, s18
.LBB309_682:                            ;   in Loop: Header=BB309_11 Depth=1
	s_wait_alu 0xfffe
	s_or_b32 exec_lo, exec_lo, s17
.LBB309_683:                            ;   in Loop: Header=BB309_11 Depth=1
	s_wait_alu 0xfffe
	s_or_b32 exec_lo, exec_lo, s16
	v_dual_mov_b32 v7, v31 :: v_dual_and_b32 v0, 0xff, v31
	s_mov_b32 s16, exec_lo
	s_delay_alu instid0(VALU_DEP_1)
	v_cmpx_ne_u16_e32 0, v0
	s_cbranch_execz .LBB309_691
; %bb.684:                              ;   in Loop: Header=BB309_11 Depth=1
	v_mov_b32_e32 v79, 0x8000
	s_mov_b32 s17, exec_lo
	v_cmpx_ne_u16_e32 0x80, v0
	s_cbranch_execz .LBB309_690
; %bb.685:                              ;   in Loop: Header=BB309_11 Depth=1
	v_and_b32_e32 v2, 0x7f, v31
	v_mov_b32_e32 v79, 0x7c01
	s_mov_b32 s18, exec_lo
	s_delay_alu instid0(VALU_DEP_2)
	v_cmpx_ne_u32_e32 0x7f, v2
	s_cbranch_execz .LBB309_689
; %bb.686:                              ;   in Loop: Header=BB309_11 Depth=1
	v_and_b32_e32 v0, 7, v31
	v_lshrrev_b32_e32 v1, 3, v2
	s_mov_b32 s19, exec_lo
	v_cmpx_gt_u32_e32 8, v2
; %bb.687:                              ;   in Loop: Header=BB309_11 Depth=1
	s_delay_alu instid0(VALU_DEP_3) | instskip(NEXT) | instid1(VALU_DEP_1)
	v_clz_i32_u32_e32 v0, v0
	v_min_u32_e32 v2, 32, v0
	s_delay_alu instid0(VALU_DEP_1) | instskip(NEXT) | instid1(VALU_DEP_1)
	v_subrev_nc_u32_e32 v0, 28, v2
	v_lshlrev_b64_e32 v[0:1], v0, v[7:8]
	v_sub_nc_u32_e32 v1, 29, v2
	s_delay_alu instid0(VALU_DEP_2)
	v_and_b32_e32 v0, 7, v0
; %bb.688:                              ;   in Loop: Header=BB309_11 Depth=1
	s_wait_alu 0xfffe
	s_or_b32 exec_lo, exec_lo, s19
	v_lshlrev_b32_e32 v2, 8, v31
	v_lshl_add_u32 v1, v1, 10, 0x2000
	v_lshlrev_b32_e32 v0, 7, v0
	s_delay_alu instid0(VALU_DEP_3) | instskip(NEXT) | instid1(VALU_DEP_3)
	v_and_b32_e32 v2, 0x8000, v2
	v_and_b32_e32 v1, 0xfc00, v1
	s_delay_alu instid0(VALU_DEP_1)
	v_or3_b32 v79, v2, v1, v0
.LBB309_689:                            ;   in Loop: Header=BB309_11 Depth=1
	s_wait_alu 0xfffe
	s_or_b32 exec_lo, exec_lo, s18
.LBB309_690:                            ;   in Loop: Header=BB309_11 Depth=1
	s_wait_alu 0xfffe
	s_or_b32 exec_lo, exec_lo, s17
.LBB309_691:                            ;   in Loop: Header=BB309_11 Depth=1
	s_wait_alu 0xfffe
	s_or_b32 exec_lo, exec_lo, s16
	v_lshrrev_b16 v7, 8, v7
	v_dual_mov_b32 v89, 0 :: v_dual_mov_b32 v90, 0
	s_mov_b32 s16, exec_lo
	s_delay_alu instid0(VALU_DEP_2)
	v_cmpx_ne_u16_e32 0, v7
	s_cbranch_execz .LBB309_699
; %bb.692:                              ;   in Loop: Header=BB309_11 Depth=1
	v_bfrev_b32_e32 v90, 1
	s_mov_b32 s17, exec_lo
	v_cmpx_ne_u16_e32 0x80, v7
	s_cbranch_execz .LBB309_698
; %bb.693:                              ;   in Loop: Header=BB309_11 Depth=1
	v_and_b32_e32 v0, 0xffff, v7
	v_mov_b32_e32 v90, 0x7c010000
	s_mov_b32 s18, exec_lo
	s_delay_alu instid0(VALU_DEP_2) | instskip(NEXT) | instid1(VALU_DEP_1)
	v_and_b32_e32 v3, 0x7f, v0
	v_cmpx_ne_u32_e32 0x7f, v3
	s_cbranch_execz .LBB309_697
; %bb.694:                              ;   in Loop: Header=BB309_11 Depth=1
	v_and_b32_e32 v1, 7, v0
	v_lshrrev_b32_e32 v2, 3, v3
	s_mov_b32 s19, exec_lo
	v_cmpx_gt_u32_e32 8, v3
; %bb.695:                              ;   in Loop: Header=BB309_11 Depth=1
	s_delay_alu instid0(VALU_DEP_3) | instskip(NEXT) | instid1(VALU_DEP_1)
	v_clz_i32_u32_e32 v1, v1
	v_min_u32_e32 v3, 32, v1
	s_delay_alu instid0(VALU_DEP_1) | instskip(NEXT) | instid1(VALU_DEP_1)
	v_subrev_nc_u32_e32 v1, 28, v3
	v_lshlrev_b64_e32 v[1:2], v1, v[7:8]
	v_sub_nc_u32_e32 v2, 29, v3
	s_delay_alu instid0(VALU_DEP_2)
	v_and_b32_e32 v1, 7, v1
; %bb.696:                              ;   in Loop: Header=BB309_11 Depth=1
	s_wait_alu 0xfffe
	s_or_b32 exec_lo, exec_lo, s19
	v_lshlrev_b32_e32 v0, 8, v0
	v_lshl_add_u32 v2, v2, 10, 0x2000
	v_lshlrev_b32_e32 v1, 23, v1
	s_delay_alu instid0(VALU_DEP_2) | instskip(NEXT) | instid1(VALU_DEP_1)
	v_and_or_b32 v0, 0x8000, v0, v2
	v_lshl_or_b32 v90, v0, 16, v1
.LBB309_697:                            ;   in Loop: Header=BB309_11 Depth=1
	s_wait_alu 0xfffe
	s_or_b32 exec_lo, exec_lo, s18
.LBB309_698:                            ;   in Loop: Header=BB309_11 Depth=1
	s_wait_alu 0xfffe
	s_or_b32 exec_lo, exec_lo, s17
.LBB309_699:                            ;   in Loop: Header=BB309_11 Depth=1
	s_wait_alu 0xfffe
	s_or_b32 exec_lo, exec_lo, s16
	v_lshrrev_b32_e32 v7, 16, v31
	s_mov_b32 s16, exec_lo
	s_delay_alu instid0(VALU_DEP_1) | instskip(NEXT) | instid1(VALU_DEP_1)
	v_and_b32_e32 v0, 0xff, v7
	v_cmpx_ne_u16_e32 0, v0
	s_cbranch_execz .LBB309_707
; %bb.700:                              ;   in Loop: Header=BB309_11 Depth=1
	v_mov_b32_e32 v89, 0x8000
	s_mov_b32 s17, exec_lo
	v_cmpx_ne_u16_e32 0x80, v0
	s_cbranch_execz .LBB309_706
; %bb.701:                              ;   in Loop: Header=BB309_11 Depth=1
	v_bfe_u32 v2, v31, 16, 7
	v_mov_b32_e32 v89, 0x7c01
	s_mov_b32 s18, exec_lo
	s_delay_alu instid0(VALU_DEP_2)
	v_cmpx_ne_u32_e32 0x7f, v2
	s_cbranch_execz .LBB309_705
; %bb.702:                              ;   in Loop: Header=BB309_11 Depth=1
	v_and_b32_e32 v0, 7, v7
	v_lshrrev_b32_e32 v1, 3, v2
	s_mov_b32 s19, exec_lo
	v_cmpx_gt_u32_e32 8, v2
; %bb.703:                              ;   in Loop: Header=BB309_11 Depth=1
	s_delay_alu instid0(VALU_DEP_3) | instskip(NEXT) | instid1(VALU_DEP_1)
	v_clz_i32_u32_e32 v0, v0
	v_min_u32_e32 v2, 32, v0
	s_delay_alu instid0(VALU_DEP_1) | instskip(NEXT) | instid1(VALU_DEP_1)
	v_subrev_nc_u32_e32 v0, 28, v2
	v_lshlrev_b64_e32 v[0:1], v0, v[7:8]
	v_sub_nc_u32_e32 v1, 29, v2
	s_delay_alu instid0(VALU_DEP_2)
	v_and_b32_e32 v0, 7, v0
; %bb.704:                              ;   in Loop: Header=BB309_11 Depth=1
	s_wait_alu 0xfffe
	s_or_b32 exec_lo, exec_lo, s19
	v_lshlrev_b32_e32 v2, 8, v7
	v_lshl_add_u32 v1, v1, 10, 0x2000
	v_lshlrev_b32_e32 v0, 7, v0
	s_delay_alu instid0(VALU_DEP_3) | instskip(NEXT) | instid1(VALU_DEP_3)
	v_and_b32_e32 v2, 0x8000, v2
	v_and_b32_e32 v1, 0xfc00, v1
	s_delay_alu instid0(VALU_DEP_1)
	v_or3_b32 v89, v2, v1, v0
.LBB309_705:                            ;   in Loop: Header=BB309_11 Depth=1
	s_wait_alu 0xfffe
	s_or_b32 exec_lo, exec_lo, s18
.LBB309_706:                            ;   in Loop: Header=BB309_11 Depth=1
	s_wait_alu 0xfffe
	s_or_b32 exec_lo, exec_lo, s17
.LBB309_707:                            ;   in Loop: Header=BB309_11 Depth=1
	s_wait_alu 0xfffe
	s_or_b32 exec_lo, exec_lo, s16
	v_dual_mov_b32 v92, 0 :: v_dual_mov_b32 v91, 0
	s_mov_b32 s16, exec_lo
	v_cmpx_lt_u64_e64 s[2:3], v[30:31]
	s_cbranch_execz .LBB309_715
; %bb.708:                              ;   in Loop: Header=BB309_11 Depth=1
	v_lshrrev_b32_e32 v7, 24, v31
	v_bfrev_b32_e32 v91, 1
	s_mov_b32 s17, exec_lo
	s_delay_alu instid0(VALU_DEP_2)
	v_cmpx_ne_u32_e32 0x80, v7
	s_cbranch_execz .LBB309_714
; %bb.709:                              ;   in Loop: Header=BB309_11 Depth=1
	v_and_b32_e32 v2, 0x7f, v7
	v_mov_b32_e32 v91, 0x7c010000
	s_mov_b32 s18, exec_lo
	s_delay_alu instid0(VALU_DEP_2)
	v_cmpx_ne_u32_e32 0x7f, v2
	s_cbranch_execz .LBB309_713
; %bb.710:                              ;   in Loop: Header=BB309_11 Depth=1
	v_and_b32_e32 v0, 7, v7
	v_lshrrev_b32_e32 v1, 3, v2
	s_mov_b32 s19, exec_lo
	v_cmpx_gt_u32_e32 8, v2
; %bb.711:                              ;   in Loop: Header=BB309_11 Depth=1
	s_delay_alu instid0(VALU_DEP_3) | instskip(NEXT) | instid1(VALU_DEP_1)
	v_clz_i32_u32_e32 v0, v0
	v_min_u32_e32 v2, 32, v0
	s_delay_alu instid0(VALU_DEP_1) | instskip(NEXT) | instid1(VALU_DEP_1)
	v_subrev_nc_u32_e32 v0, 28, v2
	v_lshlrev_b64_e32 v[0:1], v0, v[7:8]
	v_sub_nc_u32_e32 v1, 29, v2
	s_delay_alu instid0(VALU_DEP_2)
	v_and_b32_e32 v0, 7, v0
; %bb.712:                              ;   in Loop: Header=BB309_11 Depth=1
	s_wait_alu 0xfffe
	s_or_b32 exec_lo, exec_lo, s19
	v_lshlrev_b32_e32 v2, 8, v7
	v_lshl_add_u32 v1, v1, 10, 0x2000
	v_lshlrev_b32_e32 v0, 23, v0
	s_delay_alu instid0(VALU_DEP_2) | instskip(NEXT) | instid1(VALU_DEP_1)
	v_and_or_b32 v1, 0x8000, v2, v1
	v_lshl_or_b32 v91, v1, 16, v0
.LBB309_713:                            ;   in Loop: Header=BB309_11 Depth=1
	s_wait_alu 0xfffe
	s_or_b32 exec_lo, exec_lo, s18
.LBB309_714:                            ;   in Loop: Header=BB309_11 Depth=1
	s_wait_alu 0xfffe
	s_or_b32 exec_lo, exec_lo, s17
.LBB309_715:                            ;   in Loop: Header=BB309_11 Depth=1
	s_wait_alu 0xfffe
	s_or_b32 exec_lo, exec_lo, s16
	flat_load_b64 v[30:31], v[28:29] offset:2568
	s_mov_b32 s16, exec_lo
	s_wait_loadcnt_dscnt 0x0
	v_and_b32_e32 v0, 0xff, v30
	s_delay_alu instid0(VALU_DEP_1)
	v_cmpx_ne_u16_e32 0, v0
	s_cbranch_execz .LBB309_723
; %bb.716:                              ;   in Loop: Header=BB309_11 Depth=1
	v_mov_b32_e32 v92, 0x8000
	s_mov_b32 s17, exec_lo
	v_cmpx_ne_u16_e32 0x80, v0
	s_cbranch_execz .LBB309_722
; %bb.717:                              ;   in Loop: Header=BB309_11 Depth=1
	v_and_b32_e32 v2, 0x7f, v30
	v_mov_b32_e32 v92, 0x7c01
	s_mov_b32 s18, exec_lo
	s_delay_alu instid0(VALU_DEP_2)
	v_cmpx_ne_u32_e32 0x7f, v2
	s_cbranch_execz .LBB309_721
; %bb.718:                              ;   in Loop: Header=BB309_11 Depth=1
	v_and_b32_e32 v0, 7, v30
	v_lshrrev_b32_e32 v1, 3, v2
	s_mov_b32 s19, exec_lo
	v_cmpx_gt_u32_e32 8, v2
; %bb.719:                              ;   in Loop: Header=BB309_11 Depth=1
	s_delay_alu instid0(VALU_DEP_3) | instskip(NEXT) | instid1(VALU_DEP_1)
	v_clz_i32_u32_e32 v0, v0
	v_min_u32_e32 v2, 32, v0
	s_delay_alu instid0(VALU_DEP_1) | instskip(NEXT) | instid1(VALU_DEP_1)
	v_subrev_nc_u32_e32 v0, 28, v2
	v_lshlrev_b64_e32 v[0:1], v0, v[30:31]
	v_sub_nc_u32_e32 v1, 29, v2
	s_delay_alu instid0(VALU_DEP_2)
	v_and_b32_e32 v0, 7, v0
; %bb.720:                              ;   in Loop: Header=BB309_11 Depth=1
	s_wait_alu 0xfffe
	s_or_b32 exec_lo, exec_lo, s19
	v_lshlrev_b32_e32 v2, 8, v30
	v_lshl_add_u32 v1, v1, 10, 0x2000
	v_lshlrev_b32_e32 v0, 7, v0
	s_delay_alu instid0(VALU_DEP_3) | instskip(NEXT) | instid1(VALU_DEP_3)
	v_and_b32_e32 v2, 0x8000, v2
	v_and_b32_e32 v1, 0xfc00, v1
	s_delay_alu instid0(VALU_DEP_1)
	v_or3_b32 v92, v2, v1, v0
.LBB309_721:                            ;   in Loop: Header=BB309_11 Depth=1
	s_wait_alu 0xfffe
	s_or_b32 exec_lo, exec_lo, s18
.LBB309_722:                            ;   in Loop: Header=BB309_11 Depth=1
	s_wait_alu 0xfffe
	s_or_b32 exec_lo, exec_lo, s17
.LBB309_723:                            ;   in Loop: Header=BB309_11 Depth=1
	s_wait_alu 0xfffe
	s_or_b32 exec_lo, exec_lo, s16
	v_lshrrev_b16 v7, 8, v30
	v_dual_mov_b32 v108, 0 :: v_dual_mov_b32 v107, 0
	s_mov_b32 s16, exec_lo
	s_delay_alu instid0(VALU_DEP_2)
	v_cmpx_ne_u16_e32 0, v7
	s_cbranch_execz .LBB309_731
; %bb.724:                              ;   in Loop: Header=BB309_11 Depth=1
	v_bfrev_b32_e32 v107, 1
	s_mov_b32 s17, exec_lo
	v_cmpx_ne_u16_e32 0x80, v7
	s_cbranch_execz .LBB309_730
; %bb.725:                              ;   in Loop: Header=BB309_11 Depth=1
	v_and_b32_e32 v0, 0xffff, v7
	v_mov_b32_e32 v107, 0x7c010000
	s_mov_b32 s18, exec_lo
	s_delay_alu instid0(VALU_DEP_2) | instskip(NEXT) | instid1(VALU_DEP_1)
	v_and_b32_e32 v3, 0x7f, v0
	v_cmpx_ne_u32_e32 0x7f, v3
	s_cbranch_execz .LBB309_729
; %bb.726:                              ;   in Loop: Header=BB309_11 Depth=1
	v_and_b32_e32 v1, 7, v0
	v_lshrrev_b32_e32 v2, 3, v3
	s_mov_b32 s19, exec_lo
	v_cmpx_gt_u32_e32 8, v3
; %bb.727:                              ;   in Loop: Header=BB309_11 Depth=1
	s_delay_alu instid0(VALU_DEP_3) | instskip(NEXT) | instid1(VALU_DEP_1)
	v_clz_i32_u32_e32 v1, v1
	v_min_u32_e32 v3, 32, v1
	s_delay_alu instid0(VALU_DEP_1) | instskip(NEXT) | instid1(VALU_DEP_1)
	v_subrev_nc_u32_e32 v1, 28, v3
	v_lshlrev_b64_e32 v[1:2], v1, v[7:8]
	v_sub_nc_u32_e32 v2, 29, v3
	s_delay_alu instid0(VALU_DEP_2)
	v_and_b32_e32 v1, 7, v1
; %bb.728:                              ;   in Loop: Header=BB309_11 Depth=1
	s_wait_alu 0xfffe
	s_or_b32 exec_lo, exec_lo, s19
	v_lshlrev_b32_e32 v0, 8, v0
	v_lshl_add_u32 v2, v2, 10, 0x2000
	v_lshlrev_b32_e32 v1, 23, v1
	s_delay_alu instid0(VALU_DEP_2) | instskip(NEXT) | instid1(VALU_DEP_1)
	v_and_or_b32 v0, 0x8000, v0, v2
	v_lshl_or_b32 v107, v0, 16, v1
.LBB309_729:                            ;   in Loop: Header=BB309_11 Depth=1
	s_wait_alu 0xfffe
	s_or_b32 exec_lo, exec_lo, s18
.LBB309_730:                            ;   in Loop: Header=BB309_11 Depth=1
	s_wait_alu 0xfffe
	s_or_b32 exec_lo, exec_lo, s17
.LBB309_731:                            ;   in Loop: Header=BB309_11 Depth=1
	s_wait_alu 0xfffe
	s_or_b32 exec_lo, exec_lo, s16
	v_lshrrev_b32_e32 v7, 16, v30
	s_mov_b32 s16, exec_lo
	s_delay_alu instid0(VALU_DEP_1) | instskip(NEXT) | instid1(VALU_DEP_1)
	v_and_b32_e32 v0, 0xff, v7
	v_cmpx_ne_u16_e32 0, v0
	s_cbranch_execz .LBB309_739
; %bb.732:                              ;   in Loop: Header=BB309_11 Depth=1
	v_mov_b32_e32 v108, 0x8000
	s_mov_b32 s17, exec_lo
	v_cmpx_ne_u16_e32 0x80, v0
	s_cbranch_execz .LBB309_738
; %bb.733:                              ;   in Loop: Header=BB309_11 Depth=1
	v_bfe_u32 v2, v30, 16, 7
	v_mov_b32_e32 v108, 0x7c01
	s_mov_b32 s18, exec_lo
	s_delay_alu instid0(VALU_DEP_2)
	v_cmpx_ne_u32_e32 0x7f, v2
	s_cbranch_execz .LBB309_737
; %bb.734:                              ;   in Loop: Header=BB309_11 Depth=1
	v_and_b32_e32 v0, 7, v7
	v_lshrrev_b32_e32 v1, 3, v2
	s_mov_b32 s19, exec_lo
	v_cmpx_gt_u32_e32 8, v2
; %bb.735:                              ;   in Loop: Header=BB309_11 Depth=1
	s_delay_alu instid0(VALU_DEP_3) | instskip(NEXT) | instid1(VALU_DEP_1)
	v_clz_i32_u32_e32 v0, v0
	v_min_u32_e32 v2, 32, v0
	s_delay_alu instid0(VALU_DEP_1) | instskip(NEXT) | instid1(VALU_DEP_1)
	v_subrev_nc_u32_e32 v0, 28, v2
	v_lshlrev_b64_e32 v[0:1], v0, v[7:8]
	v_sub_nc_u32_e32 v1, 29, v2
	s_delay_alu instid0(VALU_DEP_2)
	v_and_b32_e32 v0, 7, v0
; %bb.736:                              ;   in Loop: Header=BB309_11 Depth=1
	s_wait_alu 0xfffe
	s_or_b32 exec_lo, exec_lo, s19
	v_lshlrev_b32_e32 v2, 8, v7
	v_lshl_add_u32 v1, v1, 10, 0x2000
	v_lshlrev_b32_e32 v0, 7, v0
	s_delay_alu instid0(VALU_DEP_3) | instskip(NEXT) | instid1(VALU_DEP_3)
	v_and_b32_e32 v2, 0x8000, v2
	v_and_b32_e32 v1, 0xfc00, v1
	s_delay_alu instid0(VALU_DEP_1)
	v_or3_b32 v108, v2, v1, v0
.LBB309_737:                            ;   in Loop: Header=BB309_11 Depth=1
	s_wait_alu 0xfffe
	s_or_b32 exec_lo, exec_lo, s18
.LBB309_738:                            ;   in Loop: Header=BB309_11 Depth=1
	s_wait_alu 0xfffe
	s_or_b32 exec_lo, exec_lo, s17
.LBB309_739:                            ;   in Loop: Header=BB309_11 Depth=1
	s_wait_alu 0xfffe
	s_or_b32 exec_lo, exec_lo, s16
	v_dual_mov_b32 v111, 0 :: v_dual_mov_b32 v120, 0
	s_mov_b32 s16, exec_lo
	v_cmpx_lt_u32_e32 0xffffff, v30
	s_cbranch_execz .LBB309_747
; %bb.740:                              ;   in Loop: Header=BB309_11 Depth=1
	v_lshrrev_b32_e32 v7, 24, v30
	v_bfrev_b32_e32 v120, 1
	s_mov_b32 s17, exec_lo
	s_delay_alu instid0(VALU_DEP_2)
	v_cmpx_ne_u32_e32 0x80, v7
	s_cbranch_execz .LBB309_746
; %bb.741:                              ;   in Loop: Header=BB309_11 Depth=1
	v_and_b32_e32 v2, 0x7f, v7
	v_mov_b32_e32 v120, 0x7c010000
	s_mov_b32 s18, exec_lo
	s_delay_alu instid0(VALU_DEP_2)
	v_cmpx_ne_u32_e32 0x7f, v2
	s_cbranch_execz .LBB309_745
; %bb.742:                              ;   in Loop: Header=BB309_11 Depth=1
	v_and_b32_e32 v0, 7, v7
	v_lshrrev_b32_e32 v1, 3, v2
	s_mov_b32 s19, exec_lo
	v_cmpx_gt_u32_e32 8, v2
; %bb.743:                              ;   in Loop: Header=BB309_11 Depth=1
	s_delay_alu instid0(VALU_DEP_3) | instskip(NEXT) | instid1(VALU_DEP_1)
	v_clz_i32_u32_e32 v0, v0
	v_min_u32_e32 v2, 32, v0
	s_delay_alu instid0(VALU_DEP_1) | instskip(NEXT) | instid1(VALU_DEP_1)
	v_subrev_nc_u32_e32 v0, 28, v2
	v_lshlrev_b64_e32 v[0:1], v0, v[7:8]
	v_sub_nc_u32_e32 v1, 29, v2
	s_delay_alu instid0(VALU_DEP_2)
	v_and_b32_e32 v0, 7, v0
; %bb.744:                              ;   in Loop: Header=BB309_11 Depth=1
	s_wait_alu 0xfffe
	s_or_b32 exec_lo, exec_lo, s19
	v_lshlrev_b32_e32 v2, 8, v7
	v_lshl_add_u32 v1, v1, 10, 0x2000
	v_lshlrev_b32_e32 v0, 23, v0
	s_delay_alu instid0(VALU_DEP_2) | instskip(NEXT) | instid1(VALU_DEP_1)
	v_and_or_b32 v1, 0x8000, v2, v1
	v_lshl_or_b32 v120, v1, 16, v0
.LBB309_745:                            ;   in Loop: Header=BB309_11 Depth=1
	s_wait_alu 0xfffe
	s_or_b32 exec_lo, exec_lo, s18
.LBB309_746:                            ;   in Loop: Header=BB309_11 Depth=1
	s_wait_alu 0xfffe
	s_or_b32 exec_lo, exec_lo, s17
.LBB309_747:                            ;   in Loop: Header=BB309_11 Depth=1
	s_wait_alu 0xfffe
	s_or_b32 exec_lo, exec_lo, s16
	v_dual_mov_b32 v7, v31 :: v_dual_and_b32 v0, 0xff, v31
	s_mov_b32 s16, exec_lo
	s_delay_alu instid0(VALU_DEP_1)
	v_cmpx_ne_u16_e32 0, v0
	s_cbranch_execz .LBB309_755
; %bb.748:                              ;   in Loop: Header=BB309_11 Depth=1
	v_mov_b32_e32 v111, 0x8000
	s_mov_b32 s17, exec_lo
	v_cmpx_ne_u16_e32 0x80, v0
	s_cbranch_execz .LBB309_754
; %bb.749:                              ;   in Loop: Header=BB309_11 Depth=1
	v_and_b32_e32 v2, 0x7f, v31
	v_mov_b32_e32 v111, 0x7c01
	s_mov_b32 s18, exec_lo
	s_delay_alu instid0(VALU_DEP_2)
	v_cmpx_ne_u32_e32 0x7f, v2
	s_cbranch_execz .LBB309_753
; %bb.750:                              ;   in Loop: Header=BB309_11 Depth=1
	v_and_b32_e32 v0, 7, v31
	v_lshrrev_b32_e32 v1, 3, v2
	s_mov_b32 s19, exec_lo
	v_cmpx_gt_u32_e32 8, v2
; %bb.751:                              ;   in Loop: Header=BB309_11 Depth=1
	s_delay_alu instid0(VALU_DEP_3) | instskip(NEXT) | instid1(VALU_DEP_1)
	v_clz_i32_u32_e32 v0, v0
	v_min_u32_e32 v2, 32, v0
	s_delay_alu instid0(VALU_DEP_1) | instskip(NEXT) | instid1(VALU_DEP_1)
	v_subrev_nc_u32_e32 v0, 28, v2
	v_lshlrev_b64_e32 v[0:1], v0, v[7:8]
	v_sub_nc_u32_e32 v1, 29, v2
	s_delay_alu instid0(VALU_DEP_2)
	v_and_b32_e32 v0, 7, v0
; %bb.752:                              ;   in Loop: Header=BB309_11 Depth=1
	s_wait_alu 0xfffe
	s_or_b32 exec_lo, exec_lo, s19
	v_lshlrev_b32_e32 v2, 8, v31
	v_lshl_add_u32 v1, v1, 10, 0x2000
	v_lshlrev_b32_e32 v0, 7, v0
	s_delay_alu instid0(VALU_DEP_3) | instskip(NEXT) | instid1(VALU_DEP_3)
	v_and_b32_e32 v2, 0x8000, v2
	v_and_b32_e32 v1, 0xfc00, v1
	s_delay_alu instid0(VALU_DEP_1)
	v_or3_b32 v111, v2, v1, v0
.LBB309_753:                            ;   in Loop: Header=BB309_11 Depth=1
	s_wait_alu 0xfffe
	s_or_b32 exec_lo, exec_lo, s18
.LBB309_754:                            ;   in Loop: Header=BB309_11 Depth=1
	s_wait_alu 0xfffe
	s_or_b32 exec_lo, exec_lo, s17
.LBB309_755:                            ;   in Loop: Header=BB309_11 Depth=1
	s_wait_alu 0xfffe
	s_or_b32 exec_lo, exec_lo, s16
	v_lshrrev_b16 v7, 8, v7
	v_dual_mov_b32 v125, 0 :: v_dual_mov_b32 v126, 0
	s_mov_b32 s16, exec_lo
	s_delay_alu instid0(VALU_DEP_2)
	v_cmpx_ne_u16_e32 0, v7
	s_cbranch_execz .LBB309_763
; %bb.756:                              ;   in Loop: Header=BB309_11 Depth=1
	v_bfrev_b32_e32 v126, 1
	s_mov_b32 s17, exec_lo
	v_cmpx_ne_u16_e32 0x80, v7
	s_cbranch_execz .LBB309_762
; %bb.757:                              ;   in Loop: Header=BB309_11 Depth=1
	v_and_b32_e32 v0, 0xffff, v7
	v_mov_b32_e32 v126, 0x7c010000
	s_mov_b32 s18, exec_lo
	s_delay_alu instid0(VALU_DEP_2) | instskip(NEXT) | instid1(VALU_DEP_1)
	v_and_b32_e32 v3, 0x7f, v0
	v_cmpx_ne_u32_e32 0x7f, v3
	s_cbranch_execz .LBB309_761
; %bb.758:                              ;   in Loop: Header=BB309_11 Depth=1
	v_and_b32_e32 v1, 7, v0
	v_lshrrev_b32_e32 v2, 3, v3
	s_mov_b32 s19, exec_lo
	v_cmpx_gt_u32_e32 8, v3
; %bb.759:                              ;   in Loop: Header=BB309_11 Depth=1
	s_delay_alu instid0(VALU_DEP_3) | instskip(NEXT) | instid1(VALU_DEP_1)
	v_clz_i32_u32_e32 v1, v1
	v_min_u32_e32 v3, 32, v1
	s_delay_alu instid0(VALU_DEP_1) | instskip(NEXT) | instid1(VALU_DEP_1)
	v_subrev_nc_u32_e32 v1, 28, v3
	v_lshlrev_b64_e32 v[1:2], v1, v[7:8]
	v_sub_nc_u32_e32 v2, 29, v3
	s_delay_alu instid0(VALU_DEP_2)
	v_and_b32_e32 v1, 7, v1
; %bb.760:                              ;   in Loop: Header=BB309_11 Depth=1
	s_wait_alu 0xfffe
	s_or_b32 exec_lo, exec_lo, s19
	v_lshlrev_b32_e32 v0, 8, v0
	v_lshl_add_u32 v2, v2, 10, 0x2000
	v_lshlrev_b32_e32 v1, 23, v1
	s_delay_alu instid0(VALU_DEP_2) | instskip(NEXT) | instid1(VALU_DEP_1)
	v_and_or_b32 v0, 0x8000, v0, v2
	v_lshl_or_b32 v126, v0, 16, v1
.LBB309_761:                            ;   in Loop: Header=BB309_11 Depth=1
	s_wait_alu 0xfffe
	s_or_b32 exec_lo, exec_lo, s18
.LBB309_762:                            ;   in Loop: Header=BB309_11 Depth=1
	s_wait_alu 0xfffe
	s_or_b32 exec_lo, exec_lo, s17
.LBB309_763:                            ;   in Loop: Header=BB309_11 Depth=1
	s_wait_alu 0xfffe
	s_or_b32 exec_lo, exec_lo, s16
	v_lshrrev_b32_e32 v7, 16, v31
	s_mov_b32 s16, exec_lo
	s_delay_alu instid0(VALU_DEP_1) | instskip(NEXT) | instid1(VALU_DEP_1)
	v_and_b32_e32 v0, 0xff, v7
	v_cmpx_ne_u16_e32 0, v0
	s_cbranch_execz .LBB309_771
; %bb.764:                              ;   in Loop: Header=BB309_11 Depth=1
	v_mov_b32_e32 v125, 0x8000
	s_mov_b32 s17, exec_lo
	v_cmpx_ne_u16_e32 0x80, v0
	s_cbranch_execz .LBB309_770
; %bb.765:                              ;   in Loop: Header=BB309_11 Depth=1
	v_bfe_u32 v2, v31, 16, 7
	v_mov_b32_e32 v125, 0x7c01
	s_mov_b32 s18, exec_lo
	s_delay_alu instid0(VALU_DEP_2)
	v_cmpx_ne_u32_e32 0x7f, v2
	s_cbranch_execz .LBB309_769
; %bb.766:                              ;   in Loop: Header=BB309_11 Depth=1
	v_and_b32_e32 v0, 7, v7
	v_lshrrev_b32_e32 v1, 3, v2
	s_mov_b32 s19, exec_lo
	v_cmpx_gt_u32_e32 8, v2
; %bb.767:                              ;   in Loop: Header=BB309_11 Depth=1
	s_delay_alu instid0(VALU_DEP_3) | instskip(NEXT) | instid1(VALU_DEP_1)
	v_clz_i32_u32_e32 v0, v0
	v_min_u32_e32 v2, 32, v0
	s_delay_alu instid0(VALU_DEP_1) | instskip(NEXT) | instid1(VALU_DEP_1)
	v_subrev_nc_u32_e32 v0, 28, v2
	v_lshlrev_b64_e32 v[0:1], v0, v[7:8]
	v_sub_nc_u32_e32 v1, 29, v2
	s_delay_alu instid0(VALU_DEP_2)
	v_and_b32_e32 v0, 7, v0
; %bb.768:                              ;   in Loop: Header=BB309_11 Depth=1
	s_wait_alu 0xfffe
	s_or_b32 exec_lo, exec_lo, s19
	v_lshlrev_b32_e32 v2, 8, v7
	v_lshl_add_u32 v1, v1, 10, 0x2000
	v_lshlrev_b32_e32 v0, 7, v0
	s_delay_alu instid0(VALU_DEP_3) | instskip(NEXT) | instid1(VALU_DEP_3)
	v_and_b32_e32 v2, 0x8000, v2
	v_and_b32_e32 v1, 0xfc00, v1
	s_delay_alu instid0(VALU_DEP_1)
	v_or3_b32 v125, v2, v1, v0
.LBB309_769:                            ;   in Loop: Header=BB309_11 Depth=1
	s_wait_alu 0xfffe
	s_or_b32 exec_lo, exec_lo, s18
.LBB309_770:                            ;   in Loop: Header=BB309_11 Depth=1
	s_wait_alu 0xfffe
	s_or_b32 exec_lo, exec_lo, s17
.LBB309_771:                            ;   in Loop: Header=BB309_11 Depth=1
	s_wait_alu 0xfffe
	s_or_b32 exec_lo, exec_lo, s16
	v_dual_mov_b32 v140, 0 :: v_dual_mov_b32 v139, 0
	s_mov_b32 s16, exec_lo
	v_cmpx_lt_u64_e64 s[2:3], v[30:31]
	s_cbranch_execz .LBB309_779
; %bb.772:                              ;   in Loop: Header=BB309_11 Depth=1
	v_lshrrev_b32_e32 v7, 24, v31
	v_bfrev_b32_e32 v139, 1
	s_mov_b32 s17, exec_lo
	s_delay_alu instid0(VALU_DEP_2)
	v_cmpx_ne_u32_e32 0x80, v7
	s_cbranch_execz .LBB309_778
; %bb.773:                              ;   in Loop: Header=BB309_11 Depth=1
	v_and_b32_e32 v2, 0x7f, v7
	v_mov_b32_e32 v139, 0x7c010000
	s_mov_b32 s18, exec_lo
	s_delay_alu instid0(VALU_DEP_2)
	v_cmpx_ne_u32_e32 0x7f, v2
	s_cbranch_execz .LBB309_777
; %bb.774:                              ;   in Loop: Header=BB309_11 Depth=1
	v_and_b32_e32 v0, 7, v7
	v_lshrrev_b32_e32 v1, 3, v2
	s_mov_b32 s19, exec_lo
	v_cmpx_gt_u32_e32 8, v2
; %bb.775:                              ;   in Loop: Header=BB309_11 Depth=1
	s_delay_alu instid0(VALU_DEP_3) | instskip(NEXT) | instid1(VALU_DEP_1)
	v_clz_i32_u32_e32 v0, v0
	v_min_u32_e32 v2, 32, v0
	s_delay_alu instid0(VALU_DEP_1) | instskip(NEXT) | instid1(VALU_DEP_1)
	v_subrev_nc_u32_e32 v0, 28, v2
	v_lshlrev_b64_e32 v[0:1], v0, v[7:8]
	v_sub_nc_u32_e32 v1, 29, v2
	s_delay_alu instid0(VALU_DEP_2)
	v_and_b32_e32 v0, 7, v0
; %bb.776:                              ;   in Loop: Header=BB309_11 Depth=1
	s_wait_alu 0xfffe
	s_or_b32 exec_lo, exec_lo, s19
	v_lshlrev_b32_e32 v2, 8, v7
	v_lshl_add_u32 v1, v1, 10, 0x2000
	v_lshlrev_b32_e32 v0, 23, v0
	s_delay_alu instid0(VALU_DEP_2) | instskip(NEXT) | instid1(VALU_DEP_1)
	v_and_or_b32 v1, 0x8000, v2, v1
	v_lshl_or_b32 v139, v1, 16, v0
.LBB309_777:                            ;   in Loop: Header=BB309_11 Depth=1
	s_wait_alu 0xfffe
	s_or_b32 exec_lo, exec_lo, s18
.LBB309_778:                            ;   in Loop: Header=BB309_11 Depth=1
	s_wait_alu 0xfffe
	s_or_b32 exec_lo, exec_lo, s17
.LBB309_779:                            ;   in Loop: Header=BB309_11 Depth=1
	s_wait_alu 0xfffe
	s_or_b32 exec_lo, exec_lo, s16
	flat_load_b64 v[30:31], v[28:29] offset:3072
	s_mov_b32 s16, exec_lo
	s_wait_loadcnt_dscnt 0x0
	v_and_b32_e32 v0, 0xff, v30
	s_delay_alu instid0(VALU_DEP_1)
	v_cmpx_ne_u16_e32 0, v0
	s_cbranch_execz .LBB309_787
; %bb.780:                              ;   in Loop: Header=BB309_11 Depth=1
	v_mov_b32_e32 v140, 0x8000
	s_mov_b32 s17, exec_lo
	v_cmpx_ne_u16_e32 0x80, v0
	s_cbranch_execz .LBB309_786
; %bb.781:                              ;   in Loop: Header=BB309_11 Depth=1
	v_and_b32_e32 v2, 0x7f, v30
	v_mov_b32_e32 v140, 0x7c01
	s_mov_b32 s18, exec_lo
	s_delay_alu instid0(VALU_DEP_2)
	v_cmpx_ne_u32_e32 0x7f, v2
	s_cbranch_execz .LBB309_785
; %bb.782:                              ;   in Loop: Header=BB309_11 Depth=1
	v_and_b32_e32 v0, 7, v30
	v_lshrrev_b32_e32 v1, 3, v2
	s_mov_b32 s19, exec_lo
	v_cmpx_gt_u32_e32 8, v2
; %bb.783:                              ;   in Loop: Header=BB309_11 Depth=1
	s_delay_alu instid0(VALU_DEP_3) | instskip(NEXT) | instid1(VALU_DEP_1)
	v_clz_i32_u32_e32 v0, v0
	v_min_u32_e32 v2, 32, v0
	s_delay_alu instid0(VALU_DEP_1) | instskip(NEXT) | instid1(VALU_DEP_1)
	v_subrev_nc_u32_e32 v0, 28, v2
	v_lshlrev_b64_e32 v[0:1], v0, v[30:31]
	v_sub_nc_u32_e32 v1, 29, v2
	s_delay_alu instid0(VALU_DEP_2)
	v_and_b32_e32 v0, 7, v0
; %bb.784:                              ;   in Loop: Header=BB309_11 Depth=1
	s_wait_alu 0xfffe
	s_or_b32 exec_lo, exec_lo, s19
	v_lshlrev_b32_e32 v2, 8, v30
	v_lshl_add_u32 v1, v1, 10, 0x2000
	v_lshlrev_b32_e32 v0, 7, v0
	s_delay_alu instid0(VALU_DEP_3) | instskip(NEXT) | instid1(VALU_DEP_3)
	v_and_b32_e32 v2, 0x8000, v2
	v_and_b32_e32 v1, 0xfc00, v1
	s_delay_alu instid0(VALU_DEP_1)
	v_or3_b32 v140, v2, v1, v0
.LBB309_785:                            ;   in Loop: Header=BB309_11 Depth=1
	s_wait_alu 0xfffe
	s_or_b32 exec_lo, exec_lo, s18
.LBB309_786:                            ;   in Loop: Header=BB309_11 Depth=1
	s_wait_alu 0xfffe
	s_or_b32 exec_lo, exec_lo, s17
.LBB309_787:                            ;   in Loop: Header=BB309_11 Depth=1
	s_wait_alu 0xfffe
	s_or_b32 exec_lo, exec_lo, s16
	v_lshrrev_b16 v7, 8, v30
	v_dual_mov_b32 v154, 0 :: v_dual_mov_b32 v153, 0
	s_mov_b32 s16, exec_lo
	s_delay_alu instid0(VALU_DEP_2)
	v_cmpx_ne_u16_e32 0, v7
	s_cbranch_execz .LBB309_795
; %bb.788:                              ;   in Loop: Header=BB309_11 Depth=1
	v_bfrev_b32_e32 v153, 1
	s_mov_b32 s17, exec_lo
	v_cmpx_ne_u16_e32 0x80, v7
	s_cbranch_execz .LBB309_794
; %bb.789:                              ;   in Loop: Header=BB309_11 Depth=1
	v_and_b32_e32 v0, 0xffff, v7
	v_mov_b32_e32 v153, 0x7c010000
	s_mov_b32 s18, exec_lo
	s_delay_alu instid0(VALU_DEP_2) | instskip(NEXT) | instid1(VALU_DEP_1)
	v_and_b32_e32 v3, 0x7f, v0
	v_cmpx_ne_u32_e32 0x7f, v3
	s_cbranch_execz .LBB309_793
; %bb.790:                              ;   in Loop: Header=BB309_11 Depth=1
	v_and_b32_e32 v1, 7, v0
	v_lshrrev_b32_e32 v2, 3, v3
	s_mov_b32 s19, exec_lo
	v_cmpx_gt_u32_e32 8, v3
; %bb.791:                              ;   in Loop: Header=BB309_11 Depth=1
	s_delay_alu instid0(VALU_DEP_3) | instskip(NEXT) | instid1(VALU_DEP_1)
	v_clz_i32_u32_e32 v1, v1
	v_min_u32_e32 v3, 32, v1
	s_delay_alu instid0(VALU_DEP_1) | instskip(NEXT) | instid1(VALU_DEP_1)
	v_subrev_nc_u32_e32 v1, 28, v3
	v_lshlrev_b64_e32 v[1:2], v1, v[7:8]
	v_sub_nc_u32_e32 v2, 29, v3
	s_delay_alu instid0(VALU_DEP_2)
	v_and_b32_e32 v1, 7, v1
; %bb.792:                              ;   in Loop: Header=BB309_11 Depth=1
	s_wait_alu 0xfffe
	s_or_b32 exec_lo, exec_lo, s19
	v_lshlrev_b32_e32 v0, 8, v0
	v_lshl_add_u32 v2, v2, 10, 0x2000
	v_lshlrev_b32_e32 v1, 23, v1
	s_delay_alu instid0(VALU_DEP_2) | instskip(NEXT) | instid1(VALU_DEP_1)
	v_and_or_b32 v0, 0x8000, v0, v2
	v_lshl_or_b32 v153, v0, 16, v1
.LBB309_793:                            ;   in Loop: Header=BB309_11 Depth=1
	s_wait_alu 0xfffe
	s_or_b32 exec_lo, exec_lo, s18
.LBB309_794:                            ;   in Loop: Header=BB309_11 Depth=1
	s_wait_alu 0xfffe
	s_or_b32 exec_lo, exec_lo, s17
.LBB309_795:                            ;   in Loop: Header=BB309_11 Depth=1
	s_wait_alu 0xfffe
	s_or_b32 exec_lo, exec_lo, s16
	v_lshrrev_b32_e32 v7, 16, v30
	s_mov_b32 s16, exec_lo
	s_delay_alu instid0(VALU_DEP_1) | instskip(NEXT) | instid1(VALU_DEP_1)
	v_and_b32_e32 v0, 0xff, v7
	v_cmpx_ne_u16_e32 0, v0
	s_cbranch_execz .LBB309_803
; %bb.796:                              ;   in Loop: Header=BB309_11 Depth=1
	v_mov_b32_e32 v154, 0x8000
	s_mov_b32 s17, exec_lo
	v_cmpx_ne_u16_e32 0x80, v0
	s_cbranch_execz .LBB309_802
; %bb.797:                              ;   in Loop: Header=BB309_11 Depth=1
	v_bfe_u32 v2, v30, 16, 7
	v_mov_b32_e32 v154, 0x7c01
	s_mov_b32 s18, exec_lo
	s_delay_alu instid0(VALU_DEP_2)
	v_cmpx_ne_u32_e32 0x7f, v2
	s_cbranch_execz .LBB309_801
; %bb.798:                              ;   in Loop: Header=BB309_11 Depth=1
	v_and_b32_e32 v0, 7, v7
	v_lshrrev_b32_e32 v1, 3, v2
	s_mov_b32 s19, exec_lo
	v_cmpx_gt_u32_e32 8, v2
; %bb.799:                              ;   in Loop: Header=BB309_11 Depth=1
	s_delay_alu instid0(VALU_DEP_3) | instskip(NEXT) | instid1(VALU_DEP_1)
	v_clz_i32_u32_e32 v0, v0
	v_min_u32_e32 v2, 32, v0
	s_delay_alu instid0(VALU_DEP_1) | instskip(NEXT) | instid1(VALU_DEP_1)
	v_subrev_nc_u32_e32 v0, 28, v2
	v_lshlrev_b64_e32 v[0:1], v0, v[7:8]
	v_sub_nc_u32_e32 v1, 29, v2
	s_delay_alu instid0(VALU_DEP_2)
	v_and_b32_e32 v0, 7, v0
; %bb.800:                              ;   in Loop: Header=BB309_11 Depth=1
	s_wait_alu 0xfffe
	s_or_b32 exec_lo, exec_lo, s19
	v_lshlrev_b32_e32 v2, 8, v7
	v_lshl_add_u32 v1, v1, 10, 0x2000
	v_lshlrev_b32_e32 v0, 7, v0
	s_delay_alu instid0(VALU_DEP_3) | instskip(NEXT) | instid1(VALU_DEP_3)
	v_and_b32_e32 v2, 0x8000, v2
	v_and_b32_e32 v1, 0xfc00, v1
	s_delay_alu instid0(VALU_DEP_1)
	v_or3_b32 v154, v2, v1, v0
.LBB309_801:                            ;   in Loop: Header=BB309_11 Depth=1
	s_wait_alu 0xfffe
	s_or_b32 exec_lo, exec_lo, s18
.LBB309_802:                            ;   in Loop: Header=BB309_11 Depth=1
	s_wait_alu 0xfffe
	s_or_b32 exec_lo, exec_lo, s17
.LBB309_803:                            ;   in Loop: Header=BB309_11 Depth=1
	s_wait_alu 0xfffe
	s_or_b32 exec_lo, exec_lo, s16
	v_dual_mov_b32 v159, 0 :: v_dual_mov_b32 v168, 0
	s_mov_b32 s16, exec_lo
	v_cmpx_lt_u32_e32 0xffffff, v30
	s_cbranch_execz .LBB309_811
; %bb.804:                              ;   in Loop: Header=BB309_11 Depth=1
	v_lshrrev_b32_e32 v7, 24, v30
	v_bfrev_b32_e32 v168, 1
	s_mov_b32 s17, exec_lo
	s_delay_alu instid0(VALU_DEP_2)
	v_cmpx_ne_u32_e32 0x80, v7
	s_cbranch_execz .LBB309_810
; %bb.805:                              ;   in Loop: Header=BB309_11 Depth=1
	v_and_b32_e32 v2, 0x7f, v7
	v_mov_b32_e32 v168, 0x7c010000
	s_mov_b32 s18, exec_lo
	s_delay_alu instid0(VALU_DEP_2)
	v_cmpx_ne_u32_e32 0x7f, v2
	s_cbranch_execz .LBB309_809
; %bb.806:                              ;   in Loop: Header=BB309_11 Depth=1
	v_and_b32_e32 v0, 7, v7
	v_lshrrev_b32_e32 v1, 3, v2
	s_mov_b32 s19, exec_lo
	v_cmpx_gt_u32_e32 8, v2
; %bb.807:                              ;   in Loop: Header=BB309_11 Depth=1
	s_delay_alu instid0(VALU_DEP_3) | instskip(NEXT) | instid1(VALU_DEP_1)
	v_clz_i32_u32_e32 v0, v0
	v_min_u32_e32 v2, 32, v0
	s_delay_alu instid0(VALU_DEP_1) | instskip(NEXT) | instid1(VALU_DEP_1)
	v_subrev_nc_u32_e32 v0, 28, v2
	v_lshlrev_b64_e32 v[0:1], v0, v[7:8]
	v_sub_nc_u32_e32 v1, 29, v2
	s_delay_alu instid0(VALU_DEP_2)
	v_and_b32_e32 v0, 7, v0
; %bb.808:                              ;   in Loop: Header=BB309_11 Depth=1
	s_wait_alu 0xfffe
	s_or_b32 exec_lo, exec_lo, s19
	v_lshlrev_b32_e32 v2, 8, v7
	v_lshl_add_u32 v1, v1, 10, 0x2000
	v_lshlrev_b32_e32 v0, 23, v0
	s_delay_alu instid0(VALU_DEP_2) | instskip(NEXT) | instid1(VALU_DEP_1)
	v_and_or_b32 v1, 0x8000, v2, v1
	v_lshl_or_b32 v168, v1, 16, v0
.LBB309_809:                            ;   in Loop: Header=BB309_11 Depth=1
	s_wait_alu 0xfffe
	s_or_b32 exec_lo, exec_lo, s18
.LBB309_810:                            ;   in Loop: Header=BB309_11 Depth=1
	s_wait_alu 0xfffe
	s_or_b32 exec_lo, exec_lo, s17
.LBB309_811:                            ;   in Loop: Header=BB309_11 Depth=1
	s_wait_alu 0xfffe
	s_or_b32 exec_lo, exec_lo, s16
	v_dual_mov_b32 v7, v31 :: v_dual_and_b32 v0, 0xff, v31
	s_mov_b32 s16, exec_lo
	s_delay_alu instid0(VALU_DEP_1)
	v_cmpx_ne_u16_e32 0, v0
	s_cbranch_execz .LBB309_819
; %bb.812:                              ;   in Loop: Header=BB309_11 Depth=1
	v_mov_b32_e32 v159, 0x8000
	s_mov_b32 s17, exec_lo
	v_cmpx_ne_u16_e32 0x80, v0
	s_cbranch_execz .LBB309_818
; %bb.813:                              ;   in Loop: Header=BB309_11 Depth=1
	v_and_b32_e32 v2, 0x7f, v31
	v_mov_b32_e32 v159, 0x7c01
	s_mov_b32 s18, exec_lo
	s_delay_alu instid0(VALU_DEP_2)
	v_cmpx_ne_u32_e32 0x7f, v2
	s_cbranch_execz .LBB309_817
; %bb.814:                              ;   in Loop: Header=BB309_11 Depth=1
	v_and_b32_e32 v0, 7, v31
	v_lshrrev_b32_e32 v1, 3, v2
	s_mov_b32 s19, exec_lo
	v_cmpx_gt_u32_e32 8, v2
; %bb.815:                              ;   in Loop: Header=BB309_11 Depth=1
	s_delay_alu instid0(VALU_DEP_3) | instskip(NEXT) | instid1(VALU_DEP_1)
	v_clz_i32_u32_e32 v0, v0
	v_min_u32_e32 v2, 32, v0
	s_delay_alu instid0(VALU_DEP_1) | instskip(NEXT) | instid1(VALU_DEP_1)
	v_subrev_nc_u32_e32 v0, 28, v2
	v_lshlrev_b64_e32 v[0:1], v0, v[7:8]
	v_sub_nc_u32_e32 v1, 29, v2
	s_delay_alu instid0(VALU_DEP_2)
	v_and_b32_e32 v0, 7, v0
; %bb.816:                              ;   in Loop: Header=BB309_11 Depth=1
	s_wait_alu 0xfffe
	s_or_b32 exec_lo, exec_lo, s19
	v_lshlrev_b32_e32 v2, 8, v31
	v_lshl_add_u32 v1, v1, 10, 0x2000
	v_lshlrev_b32_e32 v0, 7, v0
	s_delay_alu instid0(VALU_DEP_3) | instskip(NEXT) | instid1(VALU_DEP_3)
	v_and_b32_e32 v2, 0x8000, v2
	v_and_b32_e32 v1, 0xfc00, v1
	s_delay_alu instid0(VALU_DEP_1)
	v_or3_b32 v159, v2, v1, v0
.LBB309_817:                            ;   in Loop: Header=BB309_11 Depth=1
	s_wait_alu 0xfffe
	s_or_b32 exec_lo, exec_lo, s18
.LBB309_818:                            ;   in Loop: Header=BB309_11 Depth=1
	s_wait_alu 0xfffe
	s_or_b32 exec_lo, exec_lo, s17
.LBB309_819:                            ;   in Loop: Header=BB309_11 Depth=1
	s_wait_alu 0xfffe
	s_or_b32 exec_lo, exec_lo, s16
	v_lshrrev_b16 v7, 8, v7
	v_dual_mov_b32 v173, 0 :: v_dual_mov_b32 v174, 0
	s_mov_b32 s16, exec_lo
	s_delay_alu instid0(VALU_DEP_2)
	v_cmpx_ne_u16_e32 0, v7
	s_cbranch_execz .LBB309_827
; %bb.820:                              ;   in Loop: Header=BB309_11 Depth=1
	v_bfrev_b32_e32 v174, 1
	s_mov_b32 s17, exec_lo
	v_cmpx_ne_u16_e32 0x80, v7
	s_cbranch_execz .LBB309_826
; %bb.821:                              ;   in Loop: Header=BB309_11 Depth=1
	v_and_b32_e32 v0, 0xffff, v7
	v_mov_b32_e32 v174, 0x7c010000
	s_mov_b32 s18, exec_lo
	s_delay_alu instid0(VALU_DEP_2) | instskip(NEXT) | instid1(VALU_DEP_1)
	v_and_b32_e32 v3, 0x7f, v0
	v_cmpx_ne_u32_e32 0x7f, v3
	s_cbranch_execz .LBB309_825
; %bb.822:                              ;   in Loop: Header=BB309_11 Depth=1
	v_and_b32_e32 v1, 7, v0
	v_lshrrev_b32_e32 v2, 3, v3
	s_mov_b32 s19, exec_lo
	v_cmpx_gt_u32_e32 8, v3
; %bb.823:                              ;   in Loop: Header=BB309_11 Depth=1
	s_delay_alu instid0(VALU_DEP_3) | instskip(NEXT) | instid1(VALU_DEP_1)
	v_clz_i32_u32_e32 v1, v1
	v_min_u32_e32 v3, 32, v1
	s_delay_alu instid0(VALU_DEP_1) | instskip(NEXT) | instid1(VALU_DEP_1)
	v_subrev_nc_u32_e32 v1, 28, v3
	v_lshlrev_b64_e32 v[1:2], v1, v[7:8]
	v_sub_nc_u32_e32 v2, 29, v3
	s_delay_alu instid0(VALU_DEP_2)
	v_and_b32_e32 v1, 7, v1
; %bb.824:                              ;   in Loop: Header=BB309_11 Depth=1
	s_wait_alu 0xfffe
	s_or_b32 exec_lo, exec_lo, s19
	v_lshlrev_b32_e32 v0, 8, v0
	v_lshl_add_u32 v2, v2, 10, 0x2000
	v_lshlrev_b32_e32 v1, 23, v1
	s_delay_alu instid0(VALU_DEP_2) | instskip(NEXT) | instid1(VALU_DEP_1)
	v_and_or_b32 v0, 0x8000, v0, v2
	v_lshl_or_b32 v174, v0, 16, v1
.LBB309_825:                            ;   in Loop: Header=BB309_11 Depth=1
	s_wait_alu 0xfffe
	s_or_b32 exec_lo, exec_lo, s18
.LBB309_826:                            ;   in Loop: Header=BB309_11 Depth=1
	s_wait_alu 0xfffe
	s_or_b32 exec_lo, exec_lo, s17
.LBB309_827:                            ;   in Loop: Header=BB309_11 Depth=1
	s_wait_alu 0xfffe
	s_or_b32 exec_lo, exec_lo, s16
	v_lshrrev_b32_e32 v7, 16, v31
	s_mov_b32 s16, exec_lo
	s_delay_alu instid0(VALU_DEP_1) | instskip(NEXT) | instid1(VALU_DEP_1)
	v_and_b32_e32 v0, 0xff, v7
	v_cmpx_ne_u16_e32 0, v0
	s_cbranch_execz .LBB309_835
; %bb.828:                              ;   in Loop: Header=BB309_11 Depth=1
	v_mov_b32_e32 v173, 0x8000
	s_mov_b32 s17, exec_lo
	v_cmpx_ne_u16_e32 0x80, v0
	s_cbranch_execz .LBB309_834
; %bb.829:                              ;   in Loop: Header=BB309_11 Depth=1
	v_bfe_u32 v2, v31, 16, 7
	v_mov_b32_e32 v173, 0x7c01
	s_mov_b32 s18, exec_lo
	s_delay_alu instid0(VALU_DEP_2)
	v_cmpx_ne_u32_e32 0x7f, v2
	s_cbranch_execz .LBB309_833
; %bb.830:                              ;   in Loop: Header=BB309_11 Depth=1
	v_and_b32_e32 v0, 7, v7
	v_lshrrev_b32_e32 v1, 3, v2
	s_mov_b32 s19, exec_lo
	v_cmpx_gt_u32_e32 8, v2
; %bb.831:                              ;   in Loop: Header=BB309_11 Depth=1
	s_delay_alu instid0(VALU_DEP_3) | instskip(NEXT) | instid1(VALU_DEP_1)
	v_clz_i32_u32_e32 v0, v0
	v_min_u32_e32 v2, 32, v0
	s_delay_alu instid0(VALU_DEP_1) | instskip(NEXT) | instid1(VALU_DEP_1)
	v_subrev_nc_u32_e32 v0, 28, v2
	v_lshlrev_b64_e32 v[0:1], v0, v[7:8]
	v_sub_nc_u32_e32 v1, 29, v2
	s_delay_alu instid0(VALU_DEP_2)
	v_and_b32_e32 v0, 7, v0
; %bb.832:                              ;   in Loop: Header=BB309_11 Depth=1
	s_wait_alu 0xfffe
	s_or_b32 exec_lo, exec_lo, s19
	v_lshlrev_b32_e32 v2, 8, v7
	v_lshl_add_u32 v1, v1, 10, 0x2000
	v_lshlrev_b32_e32 v0, 7, v0
	s_delay_alu instid0(VALU_DEP_3) | instskip(NEXT) | instid1(VALU_DEP_3)
	v_and_b32_e32 v2, 0x8000, v2
	v_and_b32_e32 v1, 0xfc00, v1
	s_delay_alu instid0(VALU_DEP_1)
	v_or3_b32 v173, v2, v1, v0
.LBB309_833:                            ;   in Loop: Header=BB309_11 Depth=1
	s_wait_alu 0xfffe
	s_or_b32 exec_lo, exec_lo, s18
.LBB309_834:                            ;   in Loop: Header=BB309_11 Depth=1
	s_wait_alu 0xfffe
	s_or_b32 exec_lo, exec_lo, s17
.LBB309_835:                            ;   in Loop: Header=BB309_11 Depth=1
	s_wait_alu 0xfffe
	s_or_b32 exec_lo, exec_lo, s16
	v_dual_mov_b32 v188, 0 :: v_dual_mov_b32 v187, 0
	s_mov_b32 s16, exec_lo
	v_cmpx_lt_u64_e64 s[2:3], v[30:31]
	s_cbranch_execz .LBB309_843
; %bb.836:                              ;   in Loop: Header=BB309_11 Depth=1
	v_lshrrev_b32_e32 v7, 24, v31
	v_bfrev_b32_e32 v187, 1
	s_mov_b32 s17, exec_lo
	s_delay_alu instid0(VALU_DEP_2)
	v_cmpx_ne_u32_e32 0x80, v7
	s_cbranch_execz .LBB309_842
; %bb.837:                              ;   in Loop: Header=BB309_11 Depth=1
	v_and_b32_e32 v2, 0x7f, v7
	v_mov_b32_e32 v187, 0x7c010000
	s_mov_b32 s18, exec_lo
	s_delay_alu instid0(VALU_DEP_2)
	v_cmpx_ne_u32_e32 0x7f, v2
	s_cbranch_execz .LBB309_841
; %bb.838:                              ;   in Loop: Header=BB309_11 Depth=1
	v_and_b32_e32 v0, 7, v7
	v_lshrrev_b32_e32 v1, 3, v2
	s_mov_b32 s19, exec_lo
	v_cmpx_gt_u32_e32 8, v2
; %bb.839:                              ;   in Loop: Header=BB309_11 Depth=1
	s_delay_alu instid0(VALU_DEP_3) | instskip(NEXT) | instid1(VALU_DEP_1)
	v_clz_i32_u32_e32 v0, v0
	v_min_u32_e32 v2, 32, v0
	s_delay_alu instid0(VALU_DEP_1) | instskip(NEXT) | instid1(VALU_DEP_1)
	v_subrev_nc_u32_e32 v0, 28, v2
	v_lshlrev_b64_e32 v[0:1], v0, v[7:8]
	v_sub_nc_u32_e32 v1, 29, v2
	s_delay_alu instid0(VALU_DEP_2)
	v_and_b32_e32 v0, 7, v0
; %bb.840:                              ;   in Loop: Header=BB309_11 Depth=1
	s_wait_alu 0xfffe
	s_or_b32 exec_lo, exec_lo, s19
	v_lshlrev_b32_e32 v2, 8, v7
	v_lshl_add_u32 v1, v1, 10, 0x2000
	v_lshlrev_b32_e32 v0, 23, v0
	s_delay_alu instid0(VALU_DEP_2) | instskip(NEXT) | instid1(VALU_DEP_1)
	v_and_or_b32 v1, 0x8000, v2, v1
	v_lshl_or_b32 v187, v1, 16, v0
.LBB309_841:                            ;   in Loop: Header=BB309_11 Depth=1
	s_wait_alu 0xfffe
	s_or_b32 exec_lo, exec_lo, s18
.LBB309_842:                            ;   in Loop: Header=BB309_11 Depth=1
	s_wait_alu 0xfffe
	s_or_b32 exec_lo, exec_lo, s17
.LBB309_843:                            ;   in Loop: Header=BB309_11 Depth=1
	s_wait_alu 0xfffe
	s_or_b32 exec_lo, exec_lo, s16
	flat_load_b64 v[30:31], v[28:29] offset:3080
	s_mov_b32 s16, exec_lo
	s_wait_loadcnt_dscnt 0x0
	v_and_b32_e32 v0, 0xff, v30
	s_delay_alu instid0(VALU_DEP_1)
	v_cmpx_ne_u16_e32 0, v0
	s_cbranch_execz .LBB309_851
; %bb.844:                              ;   in Loop: Header=BB309_11 Depth=1
	v_mov_b32_e32 v188, 0x8000
	s_mov_b32 s17, exec_lo
	v_cmpx_ne_u16_e32 0x80, v0
	s_cbranch_execz .LBB309_850
; %bb.845:                              ;   in Loop: Header=BB309_11 Depth=1
	v_and_b32_e32 v2, 0x7f, v30
	v_mov_b32_e32 v188, 0x7c01
	s_mov_b32 s18, exec_lo
	s_delay_alu instid0(VALU_DEP_2)
	v_cmpx_ne_u32_e32 0x7f, v2
	s_cbranch_execz .LBB309_849
; %bb.846:                              ;   in Loop: Header=BB309_11 Depth=1
	v_and_b32_e32 v0, 7, v30
	v_lshrrev_b32_e32 v1, 3, v2
	s_mov_b32 s19, exec_lo
	v_cmpx_gt_u32_e32 8, v2
; %bb.847:                              ;   in Loop: Header=BB309_11 Depth=1
	s_delay_alu instid0(VALU_DEP_3) | instskip(NEXT) | instid1(VALU_DEP_1)
	v_clz_i32_u32_e32 v0, v0
	v_min_u32_e32 v2, 32, v0
	s_delay_alu instid0(VALU_DEP_1) | instskip(NEXT) | instid1(VALU_DEP_1)
	v_subrev_nc_u32_e32 v0, 28, v2
	v_lshlrev_b64_e32 v[0:1], v0, v[30:31]
	v_sub_nc_u32_e32 v1, 29, v2
	s_delay_alu instid0(VALU_DEP_2)
	v_and_b32_e32 v0, 7, v0
; %bb.848:                              ;   in Loop: Header=BB309_11 Depth=1
	s_wait_alu 0xfffe
	s_or_b32 exec_lo, exec_lo, s19
	v_lshlrev_b32_e32 v2, 8, v30
	v_lshl_add_u32 v1, v1, 10, 0x2000
	v_lshlrev_b32_e32 v0, 7, v0
	s_delay_alu instid0(VALU_DEP_3) | instskip(NEXT) | instid1(VALU_DEP_3)
	v_and_b32_e32 v2, 0x8000, v2
	v_and_b32_e32 v1, 0xfc00, v1
	s_delay_alu instid0(VALU_DEP_1)
	v_or3_b32 v188, v2, v1, v0
.LBB309_849:                            ;   in Loop: Header=BB309_11 Depth=1
	s_wait_alu 0xfffe
	s_or_b32 exec_lo, exec_lo, s18
.LBB309_850:                            ;   in Loop: Header=BB309_11 Depth=1
	s_wait_alu 0xfffe
	s_or_b32 exec_lo, exec_lo, s17
.LBB309_851:                            ;   in Loop: Header=BB309_11 Depth=1
	s_wait_alu 0xfffe
	s_or_b32 exec_lo, exec_lo, s16
	v_lshrrev_b16 v7, 8, v30
	v_dual_mov_b32 v5, 0 :: v_dual_mov_b32 v32, 0
	s_mov_b32 s16, exec_lo
	s_delay_alu instid0(VALU_DEP_2)
	v_cmpx_ne_u16_e32 0, v7
	s_cbranch_execz .LBB309_859
; %bb.852:                              ;   in Loop: Header=BB309_11 Depth=1
	v_bfrev_b32_e32 v32, 1
	s_mov_b32 s17, exec_lo
	v_cmpx_ne_u16_e32 0x80, v7
	s_cbranch_execz .LBB309_858
; %bb.853:                              ;   in Loop: Header=BB309_11 Depth=1
	v_and_b32_e32 v0, 0xffff, v7
	v_mov_b32_e32 v32, 0x7c010000
	s_mov_b32 s18, exec_lo
	s_delay_alu instid0(VALU_DEP_2) | instskip(NEXT) | instid1(VALU_DEP_1)
	v_and_b32_e32 v3, 0x7f, v0
	v_cmpx_ne_u32_e32 0x7f, v3
	s_cbranch_execz .LBB309_857
; %bb.854:                              ;   in Loop: Header=BB309_11 Depth=1
	v_and_b32_e32 v1, 7, v0
	v_lshrrev_b32_e32 v2, 3, v3
	s_mov_b32 s19, exec_lo
	v_cmpx_gt_u32_e32 8, v3
; %bb.855:                              ;   in Loop: Header=BB309_11 Depth=1
	s_delay_alu instid0(VALU_DEP_3) | instskip(NEXT) | instid1(VALU_DEP_1)
	v_clz_i32_u32_e32 v1, v1
	v_min_u32_e32 v3, 32, v1
	s_delay_alu instid0(VALU_DEP_1) | instskip(NEXT) | instid1(VALU_DEP_1)
	v_subrev_nc_u32_e32 v1, 28, v3
	v_lshlrev_b64_e32 v[1:2], v1, v[7:8]
	v_sub_nc_u32_e32 v2, 29, v3
	s_delay_alu instid0(VALU_DEP_2)
	v_and_b32_e32 v1, 7, v1
; %bb.856:                              ;   in Loop: Header=BB309_11 Depth=1
	s_wait_alu 0xfffe
	s_or_b32 exec_lo, exec_lo, s19
	v_lshlrev_b32_e32 v0, 8, v0
	v_lshl_add_u32 v2, v2, 10, 0x2000
	v_lshlrev_b32_e32 v1, 23, v1
	s_delay_alu instid0(VALU_DEP_2) | instskip(NEXT) | instid1(VALU_DEP_1)
	v_and_or_b32 v0, 0x8000, v0, v2
	v_lshl_or_b32 v32, v0, 16, v1
.LBB309_857:                            ;   in Loop: Header=BB309_11 Depth=1
	s_wait_alu 0xfffe
	s_or_b32 exec_lo, exec_lo, s18
.LBB309_858:                            ;   in Loop: Header=BB309_11 Depth=1
	s_wait_alu 0xfffe
	s_or_b32 exec_lo, exec_lo, s17
.LBB309_859:                            ;   in Loop: Header=BB309_11 Depth=1
	s_wait_alu 0xfffe
	s_or_b32 exec_lo, exec_lo, s16
	v_lshrrev_b32_e32 v7, 16, v30
	s_mov_b32 s16, exec_lo
	s_delay_alu instid0(VALU_DEP_1) | instskip(NEXT) | instid1(VALU_DEP_1)
	v_and_b32_e32 v0, 0xff, v7
	v_cmpx_ne_u16_e32 0, v0
	s_cbranch_execz .LBB309_867
; %bb.860:                              ;   in Loop: Header=BB309_11 Depth=1
	v_mov_b32_e32 v5, 0x8000
	s_mov_b32 s17, exec_lo
	v_cmpx_ne_u16_e32 0x80, v0
	s_cbranch_execz .LBB309_866
; %bb.861:                              ;   in Loop: Header=BB309_11 Depth=1
	v_bfe_u32 v2, v30, 16, 7
	v_mov_b32_e32 v5, 0x7c01
	s_mov_b32 s18, exec_lo
	s_delay_alu instid0(VALU_DEP_2)
	v_cmpx_ne_u32_e32 0x7f, v2
	s_cbranch_execz .LBB309_865
; %bb.862:                              ;   in Loop: Header=BB309_11 Depth=1
	v_and_b32_e32 v0, 7, v7
	v_lshrrev_b32_e32 v1, 3, v2
	s_mov_b32 s19, exec_lo
	v_cmpx_gt_u32_e32 8, v2
; %bb.863:                              ;   in Loop: Header=BB309_11 Depth=1
	s_delay_alu instid0(VALU_DEP_3) | instskip(NEXT) | instid1(VALU_DEP_1)
	v_clz_i32_u32_e32 v0, v0
	v_min_u32_e32 v2, 32, v0
	s_delay_alu instid0(VALU_DEP_1) | instskip(NEXT) | instid1(VALU_DEP_1)
	v_subrev_nc_u32_e32 v0, 28, v2
	v_lshlrev_b64_e32 v[0:1], v0, v[7:8]
	v_sub_nc_u32_e32 v1, 29, v2
	s_delay_alu instid0(VALU_DEP_2)
	v_and_b32_e32 v0, 7, v0
; %bb.864:                              ;   in Loop: Header=BB309_11 Depth=1
	s_wait_alu 0xfffe
	s_or_b32 exec_lo, exec_lo, s19
	v_lshlrev_b32_e32 v2, 8, v7
	v_lshl_add_u32 v1, v1, 10, 0x2000
	v_lshlrev_b32_e32 v0, 7, v0
	s_delay_alu instid0(VALU_DEP_3) | instskip(NEXT) | instid1(VALU_DEP_3)
	v_and_b32_e32 v2, 0x8000, v2
	v_and_b32_e32 v1, 0xfc00, v1
	s_delay_alu instid0(VALU_DEP_1)
	v_or3_b32 v5, v2, v1, v0
.LBB309_865:                            ;   in Loop: Header=BB309_11 Depth=1
	s_wait_alu 0xfffe
	s_or_b32 exec_lo, exec_lo, s18
.LBB309_866:                            ;   in Loop: Header=BB309_11 Depth=1
	s_wait_alu 0xfffe
	s_or_b32 exec_lo, exec_lo, s17
.LBB309_867:                            ;   in Loop: Header=BB309_11 Depth=1
	s_wait_alu 0xfffe
	s_or_b32 exec_lo, exec_lo, s16
	v_dual_mov_b32 v36, 0 :: v_dual_mov_b32 v11, 0
	s_mov_b32 s16, exec_lo
	v_cmpx_lt_u32_e32 0xffffff, v30
	s_cbranch_execz .LBB309_875
; %bb.868:                              ;   in Loop: Header=BB309_11 Depth=1
	v_lshrrev_b32_e32 v7, 24, v30
	v_bfrev_b32_e32 v11, 1
	s_mov_b32 s17, exec_lo
	s_delay_alu instid0(VALU_DEP_2)
	v_cmpx_ne_u32_e32 0x80, v7
	s_cbranch_execz .LBB309_874
; %bb.869:                              ;   in Loop: Header=BB309_11 Depth=1
	v_and_b32_e32 v2, 0x7f, v7
	v_mov_b32_e32 v11, 0x7c010000
	s_mov_b32 s18, exec_lo
	s_delay_alu instid0(VALU_DEP_2)
	v_cmpx_ne_u32_e32 0x7f, v2
	s_cbranch_execz .LBB309_873
; %bb.870:                              ;   in Loop: Header=BB309_11 Depth=1
	v_and_b32_e32 v0, 7, v7
	v_lshrrev_b32_e32 v1, 3, v2
	s_mov_b32 s19, exec_lo
	v_cmpx_gt_u32_e32 8, v2
; %bb.871:                              ;   in Loop: Header=BB309_11 Depth=1
	s_delay_alu instid0(VALU_DEP_3) | instskip(NEXT) | instid1(VALU_DEP_1)
	v_clz_i32_u32_e32 v0, v0
	v_min_u32_e32 v2, 32, v0
	s_delay_alu instid0(VALU_DEP_1) | instskip(NEXT) | instid1(VALU_DEP_1)
	v_subrev_nc_u32_e32 v0, 28, v2
	v_lshlrev_b64_e32 v[0:1], v0, v[7:8]
	v_sub_nc_u32_e32 v1, 29, v2
	s_delay_alu instid0(VALU_DEP_2)
	v_and_b32_e32 v0, 7, v0
; %bb.872:                              ;   in Loop: Header=BB309_11 Depth=1
	s_wait_alu 0xfffe
	s_or_b32 exec_lo, exec_lo, s19
	v_lshlrev_b32_e32 v2, 8, v7
	v_lshl_add_u32 v1, v1, 10, 0x2000
	v_lshlrev_b32_e32 v0, 23, v0
	s_delay_alu instid0(VALU_DEP_2) | instskip(NEXT) | instid1(VALU_DEP_1)
	v_and_or_b32 v1, 0x8000, v2, v1
	v_lshl_or_b32 v11, v1, 16, v0
.LBB309_873:                            ;   in Loop: Header=BB309_11 Depth=1
	s_wait_alu 0xfffe
	s_or_b32 exec_lo, exec_lo, s18
.LBB309_874:                            ;   in Loop: Header=BB309_11 Depth=1
	s_wait_alu 0xfffe
	s_or_b32 exec_lo, exec_lo, s17
.LBB309_875:                            ;   in Loop: Header=BB309_11 Depth=1
	s_wait_alu 0xfffe
	s_or_b32 exec_lo, exec_lo, s16
	v_dual_mov_b32 v7, v31 :: v_dual_and_b32 v0, 0xff, v31
	s_mov_b32 s16, exec_lo
	s_delay_alu instid0(VALU_DEP_1)
	v_cmpx_ne_u16_e32 0, v0
	s_cbranch_execz .LBB309_883
; %bb.876:                              ;   in Loop: Header=BB309_11 Depth=1
	v_mov_b32_e32 v36, 0x8000
	s_mov_b32 s17, exec_lo
	v_cmpx_ne_u16_e32 0x80, v0
	s_cbranch_execz .LBB309_882
; %bb.877:                              ;   in Loop: Header=BB309_11 Depth=1
	v_and_b32_e32 v2, 0x7f, v31
	v_mov_b32_e32 v36, 0x7c01
	s_mov_b32 s18, exec_lo
	s_delay_alu instid0(VALU_DEP_2)
	v_cmpx_ne_u32_e32 0x7f, v2
	s_cbranch_execz .LBB309_881
; %bb.878:                              ;   in Loop: Header=BB309_11 Depth=1
	v_and_b32_e32 v0, 7, v31
	v_lshrrev_b32_e32 v1, 3, v2
	s_mov_b32 s19, exec_lo
	v_cmpx_gt_u32_e32 8, v2
; %bb.879:                              ;   in Loop: Header=BB309_11 Depth=1
	s_delay_alu instid0(VALU_DEP_3) | instskip(NEXT) | instid1(VALU_DEP_1)
	v_clz_i32_u32_e32 v0, v0
	v_min_u32_e32 v2, 32, v0
	s_delay_alu instid0(VALU_DEP_1) | instskip(NEXT) | instid1(VALU_DEP_1)
	v_subrev_nc_u32_e32 v0, 28, v2
	v_lshlrev_b64_e32 v[0:1], v0, v[7:8]
	v_sub_nc_u32_e32 v1, 29, v2
	s_delay_alu instid0(VALU_DEP_2)
	v_and_b32_e32 v0, 7, v0
; %bb.880:                              ;   in Loop: Header=BB309_11 Depth=1
	s_wait_alu 0xfffe
	s_or_b32 exec_lo, exec_lo, s19
	v_lshlrev_b32_e32 v2, 8, v31
	v_lshl_add_u32 v1, v1, 10, 0x2000
	v_lshlrev_b32_e32 v0, 7, v0
	s_delay_alu instid0(VALU_DEP_3) | instskip(NEXT) | instid1(VALU_DEP_3)
	v_and_b32_e32 v2, 0x8000, v2
	v_and_b32_e32 v1, 0xfc00, v1
	s_delay_alu instid0(VALU_DEP_1)
	v_or3_b32 v36, v2, v1, v0
.LBB309_881:                            ;   in Loop: Header=BB309_11 Depth=1
	s_wait_alu 0xfffe
	s_or_b32 exec_lo, exec_lo, s18
.LBB309_882:                            ;   in Loop: Header=BB309_11 Depth=1
	s_wait_alu 0xfffe
	s_or_b32 exec_lo, exec_lo, s17
.LBB309_883:                            ;   in Loop: Header=BB309_11 Depth=1
	s_wait_alu 0xfffe
	s_or_b32 exec_lo, exec_lo, s16
	v_lshrrev_b16 v7, 8, v7
	v_dual_mov_b32 v17, 0 :: v_dual_mov_b32 v12, 0
	s_mov_b32 s16, exec_lo
	s_delay_alu instid0(VALU_DEP_2)
	v_cmpx_ne_u16_e32 0, v7
	s_cbranch_execz .LBB309_891
; %bb.884:                              ;   in Loop: Header=BB309_11 Depth=1
	v_bfrev_b32_e32 v12, 1
	s_mov_b32 s17, exec_lo
	v_cmpx_ne_u16_e32 0x80, v7
	s_cbranch_execz .LBB309_890
; %bb.885:                              ;   in Loop: Header=BB309_11 Depth=1
	v_and_b32_e32 v0, 0xffff, v7
	v_mov_b32_e32 v12, 0x7c010000
	s_mov_b32 s18, exec_lo
	s_delay_alu instid0(VALU_DEP_2) | instskip(NEXT) | instid1(VALU_DEP_1)
	v_and_b32_e32 v3, 0x7f, v0
	v_cmpx_ne_u32_e32 0x7f, v3
	s_cbranch_execz .LBB309_889
; %bb.886:                              ;   in Loop: Header=BB309_11 Depth=1
	v_and_b32_e32 v1, 7, v0
	v_lshrrev_b32_e32 v2, 3, v3
	s_mov_b32 s19, exec_lo
	v_cmpx_gt_u32_e32 8, v3
; %bb.887:                              ;   in Loop: Header=BB309_11 Depth=1
	s_delay_alu instid0(VALU_DEP_3) | instskip(NEXT) | instid1(VALU_DEP_1)
	v_clz_i32_u32_e32 v1, v1
	v_min_u32_e32 v3, 32, v1
	s_delay_alu instid0(VALU_DEP_1) | instskip(NEXT) | instid1(VALU_DEP_1)
	v_subrev_nc_u32_e32 v1, 28, v3
	v_lshlrev_b64_e32 v[1:2], v1, v[7:8]
	v_sub_nc_u32_e32 v2, 29, v3
	s_delay_alu instid0(VALU_DEP_2)
	v_and_b32_e32 v1, 7, v1
; %bb.888:                              ;   in Loop: Header=BB309_11 Depth=1
	s_wait_alu 0xfffe
	s_or_b32 exec_lo, exec_lo, s19
	v_lshlrev_b32_e32 v0, 8, v0
	v_lshl_add_u32 v2, v2, 10, 0x2000
	v_lshlrev_b32_e32 v1, 23, v1
	s_delay_alu instid0(VALU_DEP_2) | instskip(NEXT) | instid1(VALU_DEP_1)
	v_and_or_b32 v0, 0x8000, v0, v2
	v_lshl_or_b32 v12, v0, 16, v1
.LBB309_889:                            ;   in Loop: Header=BB309_11 Depth=1
	s_wait_alu 0xfffe
	s_or_b32 exec_lo, exec_lo, s18
.LBB309_890:                            ;   in Loop: Header=BB309_11 Depth=1
	s_wait_alu 0xfffe
	s_or_b32 exec_lo, exec_lo, s17
.LBB309_891:                            ;   in Loop: Header=BB309_11 Depth=1
	s_wait_alu 0xfffe
	s_or_b32 exec_lo, exec_lo, s16
	v_lshrrev_b32_e32 v7, 16, v31
	s_mov_b32 s16, exec_lo
	s_delay_alu instid0(VALU_DEP_1) | instskip(NEXT) | instid1(VALU_DEP_1)
	v_and_b32_e32 v0, 0xff, v7
	v_cmpx_ne_u16_e32 0, v0
	s_cbranch_execz .LBB309_899
; %bb.892:                              ;   in Loop: Header=BB309_11 Depth=1
	v_mov_b32_e32 v17, 0x8000
	s_mov_b32 s17, exec_lo
	v_cmpx_ne_u16_e32 0x80, v0
	s_cbranch_execz .LBB309_898
; %bb.893:                              ;   in Loop: Header=BB309_11 Depth=1
	v_bfe_u32 v2, v31, 16, 7
	v_mov_b32_e32 v17, 0x7c01
	s_mov_b32 s18, exec_lo
	s_delay_alu instid0(VALU_DEP_2)
	v_cmpx_ne_u32_e32 0x7f, v2
	s_cbranch_execz .LBB309_897
; %bb.894:                              ;   in Loop: Header=BB309_11 Depth=1
	v_and_b32_e32 v0, 7, v7
	v_lshrrev_b32_e32 v1, 3, v2
	s_mov_b32 s19, exec_lo
	v_cmpx_gt_u32_e32 8, v2
; %bb.895:                              ;   in Loop: Header=BB309_11 Depth=1
	s_delay_alu instid0(VALU_DEP_3) | instskip(NEXT) | instid1(VALU_DEP_1)
	v_clz_i32_u32_e32 v0, v0
	v_min_u32_e32 v2, 32, v0
	s_delay_alu instid0(VALU_DEP_1) | instskip(NEXT) | instid1(VALU_DEP_1)
	v_subrev_nc_u32_e32 v0, 28, v2
	v_lshlrev_b64_e32 v[0:1], v0, v[7:8]
	v_sub_nc_u32_e32 v1, 29, v2
	s_delay_alu instid0(VALU_DEP_2)
	v_and_b32_e32 v0, 7, v0
; %bb.896:                              ;   in Loop: Header=BB309_11 Depth=1
	s_wait_alu 0xfffe
	s_or_b32 exec_lo, exec_lo, s19
	v_lshlrev_b32_e32 v2, 8, v7
	v_lshl_add_u32 v1, v1, 10, 0x2000
	v_lshlrev_b32_e32 v0, 7, v0
	s_delay_alu instid0(VALU_DEP_3) | instskip(NEXT) | instid1(VALU_DEP_3)
	v_and_b32_e32 v2, 0x8000, v2
	v_and_b32_e32 v1, 0xfc00, v1
	s_delay_alu instid0(VALU_DEP_1)
	v_or3_b32 v17, v2, v1, v0
.LBB309_897:                            ;   in Loop: Header=BB309_11 Depth=1
	s_wait_alu 0xfffe
	s_or_b32 exec_lo, exec_lo, s18
.LBB309_898:                            ;   in Loop: Header=BB309_11 Depth=1
	s_wait_alu 0xfffe
	s_or_b32 exec_lo, exec_lo, s17
.LBB309_899:                            ;   in Loop: Header=BB309_11 Depth=1
	s_wait_alu 0xfffe
	s_or_b32 exec_lo, exec_lo, s16
	v_dual_mov_b32 v15, 0 :: v_dual_mov_b32 v14, 0
	s_mov_b32 s16, exec_lo
	v_cmpx_lt_u64_e64 s[2:3], v[30:31]
	s_cbranch_execz .LBB309_907
; %bb.900:                              ;   in Loop: Header=BB309_11 Depth=1
	v_lshrrev_b32_e32 v7, 24, v31
	v_bfrev_b32_e32 v14, 1
	s_mov_b32 s17, exec_lo
	s_delay_alu instid0(VALU_DEP_2)
	v_cmpx_ne_u32_e32 0x80, v7
	s_cbranch_execz .LBB309_906
; %bb.901:                              ;   in Loop: Header=BB309_11 Depth=1
	v_and_b32_e32 v2, 0x7f, v7
	v_mov_b32_e32 v14, 0x7c010000
	s_mov_b32 s18, exec_lo
	s_delay_alu instid0(VALU_DEP_2)
	v_cmpx_ne_u32_e32 0x7f, v2
	s_cbranch_execz .LBB309_905
; %bb.902:                              ;   in Loop: Header=BB309_11 Depth=1
	v_and_b32_e32 v0, 7, v7
	v_lshrrev_b32_e32 v1, 3, v2
	s_mov_b32 s19, exec_lo
	v_cmpx_gt_u32_e32 8, v2
; %bb.903:                              ;   in Loop: Header=BB309_11 Depth=1
	s_delay_alu instid0(VALU_DEP_3) | instskip(NEXT) | instid1(VALU_DEP_1)
	v_clz_i32_u32_e32 v0, v0
	v_min_u32_e32 v2, 32, v0
	s_delay_alu instid0(VALU_DEP_1) | instskip(NEXT) | instid1(VALU_DEP_1)
	v_subrev_nc_u32_e32 v0, 28, v2
	v_lshlrev_b64_e32 v[0:1], v0, v[7:8]
	v_sub_nc_u32_e32 v1, 29, v2
	s_delay_alu instid0(VALU_DEP_2)
	v_and_b32_e32 v0, 7, v0
; %bb.904:                              ;   in Loop: Header=BB309_11 Depth=1
	s_wait_alu 0xfffe
	s_or_b32 exec_lo, exec_lo, s19
	v_lshlrev_b32_e32 v2, 8, v7
	v_lshl_add_u32 v1, v1, 10, 0x2000
	v_lshlrev_b32_e32 v0, 23, v0
	s_delay_alu instid0(VALU_DEP_2) | instskip(NEXT) | instid1(VALU_DEP_1)
	v_and_or_b32 v1, 0x8000, v2, v1
	v_lshl_or_b32 v14, v1, 16, v0
.LBB309_905:                            ;   in Loop: Header=BB309_11 Depth=1
	s_wait_alu 0xfffe
	s_or_b32 exec_lo, exec_lo, s18
.LBB309_906:                            ;   in Loop: Header=BB309_11 Depth=1
	s_wait_alu 0xfffe
	s_or_b32 exec_lo, exec_lo, s17
.LBB309_907:                            ;   in Loop: Header=BB309_11 Depth=1
	s_wait_alu 0xfffe
	s_or_b32 exec_lo, exec_lo, s16
	flat_load_b64 v[30:31], v[28:29] offset:3584
	s_mov_b32 s16, exec_lo
	s_wait_loadcnt_dscnt 0x0
	v_and_b32_e32 v0, 0xff, v30
	s_delay_alu instid0(VALU_DEP_1)
	v_cmpx_ne_u16_e32 0, v0
	s_cbranch_execz .LBB309_915
; %bb.908:                              ;   in Loop: Header=BB309_11 Depth=1
	v_mov_b32_e32 v15, 0x8000
	s_mov_b32 s17, exec_lo
	v_cmpx_ne_u16_e32 0x80, v0
	s_cbranch_execz .LBB309_914
; %bb.909:                              ;   in Loop: Header=BB309_11 Depth=1
	v_and_b32_e32 v2, 0x7f, v30
	v_mov_b32_e32 v15, 0x7c01
	s_mov_b32 s18, exec_lo
	s_delay_alu instid0(VALU_DEP_2)
	v_cmpx_ne_u32_e32 0x7f, v2
	s_cbranch_execz .LBB309_913
; %bb.910:                              ;   in Loop: Header=BB309_11 Depth=1
	v_and_b32_e32 v0, 7, v30
	v_lshrrev_b32_e32 v1, 3, v2
	s_mov_b32 s19, exec_lo
	v_cmpx_gt_u32_e32 8, v2
; %bb.911:                              ;   in Loop: Header=BB309_11 Depth=1
	s_delay_alu instid0(VALU_DEP_3) | instskip(NEXT) | instid1(VALU_DEP_1)
	v_clz_i32_u32_e32 v0, v0
	v_min_u32_e32 v2, 32, v0
	s_delay_alu instid0(VALU_DEP_1) | instskip(NEXT) | instid1(VALU_DEP_1)
	v_subrev_nc_u32_e32 v0, 28, v2
	v_lshlrev_b64_e32 v[0:1], v0, v[30:31]
	v_sub_nc_u32_e32 v1, 29, v2
	s_delay_alu instid0(VALU_DEP_2)
	v_and_b32_e32 v0, 7, v0
; %bb.912:                              ;   in Loop: Header=BB309_11 Depth=1
	s_wait_alu 0xfffe
	s_or_b32 exec_lo, exec_lo, s19
	v_lshlrev_b32_e32 v2, 8, v30
	v_lshl_add_u32 v1, v1, 10, 0x2000
	v_lshlrev_b32_e32 v0, 7, v0
	s_delay_alu instid0(VALU_DEP_3) | instskip(NEXT) | instid1(VALU_DEP_3)
	v_and_b32_e32 v2, 0x8000, v2
	v_and_b32_e32 v1, 0xfc00, v1
	s_delay_alu instid0(VALU_DEP_1)
	v_or3_b32 v15, v2, v1, v0
.LBB309_913:                            ;   in Loop: Header=BB309_11 Depth=1
	s_wait_alu 0xfffe
	s_or_b32 exec_lo, exec_lo, s18
.LBB309_914:                            ;   in Loop: Header=BB309_11 Depth=1
	s_wait_alu 0xfffe
	s_or_b32 exec_lo, exec_lo, s17
.LBB309_915:                            ;   in Loop: Header=BB309_11 Depth=1
	s_wait_alu 0xfffe
	s_or_b32 exec_lo, exec_lo, s16
	v_lshrrev_b16 v7, 8, v30
	v_dual_mov_b32 v25, 0 :: v_dual_mov_b32 v52, 0
	s_mov_b32 s16, exec_lo
	s_delay_alu instid0(VALU_DEP_2)
	v_cmpx_ne_u16_e32 0, v7
	s_cbranch_execz .LBB309_923
; %bb.916:                              ;   in Loop: Header=BB309_11 Depth=1
	v_bfrev_b32_e32 v52, 1
	s_mov_b32 s17, exec_lo
	v_cmpx_ne_u16_e32 0x80, v7
	s_cbranch_execz .LBB309_922
; %bb.917:                              ;   in Loop: Header=BB309_11 Depth=1
	v_and_b32_e32 v0, 0xffff, v7
	v_mov_b32_e32 v52, 0x7c010000
	s_mov_b32 s18, exec_lo
	s_delay_alu instid0(VALU_DEP_2) | instskip(NEXT) | instid1(VALU_DEP_1)
	v_and_b32_e32 v3, 0x7f, v0
	v_cmpx_ne_u32_e32 0x7f, v3
	s_cbranch_execz .LBB309_921
; %bb.918:                              ;   in Loop: Header=BB309_11 Depth=1
	v_and_b32_e32 v1, 7, v0
	v_lshrrev_b32_e32 v2, 3, v3
	s_mov_b32 s19, exec_lo
	v_cmpx_gt_u32_e32 8, v3
; %bb.919:                              ;   in Loop: Header=BB309_11 Depth=1
	s_delay_alu instid0(VALU_DEP_3) | instskip(NEXT) | instid1(VALU_DEP_1)
	v_clz_i32_u32_e32 v1, v1
	v_min_u32_e32 v3, 32, v1
	s_delay_alu instid0(VALU_DEP_1) | instskip(NEXT) | instid1(VALU_DEP_1)
	v_subrev_nc_u32_e32 v1, 28, v3
	v_lshlrev_b64_e32 v[1:2], v1, v[7:8]
	v_sub_nc_u32_e32 v2, 29, v3
	s_delay_alu instid0(VALU_DEP_2)
	v_and_b32_e32 v1, 7, v1
; %bb.920:                              ;   in Loop: Header=BB309_11 Depth=1
	s_wait_alu 0xfffe
	s_or_b32 exec_lo, exec_lo, s19
	v_lshlrev_b32_e32 v0, 8, v0
	v_lshl_add_u32 v2, v2, 10, 0x2000
	v_lshlrev_b32_e32 v1, 23, v1
	s_delay_alu instid0(VALU_DEP_2) | instskip(NEXT) | instid1(VALU_DEP_1)
	v_and_or_b32 v0, 0x8000, v0, v2
	v_lshl_or_b32 v52, v0, 16, v1
.LBB309_921:                            ;   in Loop: Header=BB309_11 Depth=1
	s_wait_alu 0xfffe
	s_or_b32 exec_lo, exec_lo, s18
.LBB309_922:                            ;   in Loop: Header=BB309_11 Depth=1
	s_wait_alu 0xfffe
	s_or_b32 exec_lo, exec_lo, s17
.LBB309_923:                            ;   in Loop: Header=BB309_11 Depth=1
	s_wait_alu 0xfffe
	s_or_b32 exec_lo, exec_lo, s16
	v_lshrrev_b32_e32 v7, 16, v30
	s_mov_b32 s16, exec_lo
	s_delay_alu instid0(VALU_DEP_1) | instskip(NEXT) | instid1(VALU_DEP_1)
	v_and_b32_e32 v0, 0xff, v7
	v_cmpx_ne_u16_e32 0, v0
	s_cbranch_execz .LBB309_931
; %bb.924:                              ;   in Loop: Header=BB309_11 Depth=1
	v_mov_b32_e32 v25, 0x8000
	s_mov_b32 s17, exec_lo
	v_cmpx_ne_u16_e32 0x80, v0
	s_cbranch_execz .LBB309_930
; %bb.925:                              ;   in Loop: Header=BB309_11 Depth=1
	v_bfe_u32 v2, v30, 16, 7
	v_mov_b32_e32 v25, 0x7c01
	s_mov_b32 s18, exec_lo
	s_delay_alu instid0(VALU_DEP_2)
	v_cmpx_ne_u32_e32 0x7f, v2
	s_cbranch_execz .LBB309_929
; %bb.926:                              ;   in Loop: Header=BB309_11 Depth=1
	v_and_b32_e32 v0, 7, v7
	v_lshrrev_b32_e32 v1, 3, v2
	s_mov_b32 s19, exec_lo
	v_cmpx_gt_u32_e32 8, v2
; %bb.927:                              ;   in Loop: Header=BB309_11 Depth=1
	s_delay_alu instid0(VALU_DEP_3) | instskip(NEXT) | instid1(VALU_DEP_1)
	v_clz_i32_u32_e32 v0, v0
	v_min_u32_e32 v2, 32, v0
	s_delay_alu instid0(VALU_DEP_1) | instskip(NEXT) | instid1(VALU_DEP_1)
	v_subrev_nc_u32_e32 v0, 28, v2
	v_lshlrev_b64_e32 v[0:1], v0, v[7:8]
	v_sub_nc_u32_e32 v1, 29, v2
	s_delay_alu instid0(VALU_DEP_2)
	v_and_b32_e32 v0, 7, v0
; %bb.928:                              ;   in Loop: Header=BB309_11 Depth=1
	s_wait_alu 0xfffe
	s_or_b32 exec_lo, exec_lo, s19
	v_lshlrev_b32_e32 v2, 8, v7
	v_lshl_add_u32 v1, v1, 10, 0x2000
	v_lshlrev_b32_e32 v0, 7, v0
	s_delay_alu instid0(VALU_DEP_3) | instskip(NEXT) | instid1(VALU_DEP_3)
	v_and_b32_e32 v2, 0x8000, v2
	v_and_b32_e32 v1, 0xfc00, v1
	s_delay_alu instid0(VALU_DEP_1)
	v_or3_b32 v25, v2, v1, v0
.LBB309_929:                            ;   in Loop: Header=BB309_11 Depth=1
	s_wait_alu 0xfffe
	s_or_b32 exec_lo, exec_lo, s18
.LBB309_930:                            ;   in Loop: Header=BB309_11 Depth=1
	s_wait_alu 0xfffe
	s_or_b32 exec_lo, exec_lo, s17
.LBB309_931:                            ;   in Loop: Header=BB309_11 Depth=1
	s_wait_alu 0xfffe
	s_or_b32 exec_lo, exec_lo, s16
	v_mov_b32_e32 v55, 0
	v_mov_b32_e32 v65, 0
	s_mov_b32 s16, exec_lo
	v_cmpx_lt_u32_e32 0xffffff, v30
	s_cbranch_execz .LBB309_939
; %bb.932:                              ;   in Loop: Header=BB309_11 Depth=1
	v_lshrrev_b32_e32 v7, 24, v30
	v_bfrev_b32_e32 v65, 1
	s_mov_b32 s17, exec_lo
	s_delay_alu instid0(VALU_DEP_2)
	v_cmpx_ne_u32_e32 0x80, v7
	s_cbranch_execz .LBB309_938
; %bb.933:                              ;   in Loop: Header=BB309_11 Depth=1
	v_and_b32_e32 v2, 0x7f, v7
	v_mov_b32_e32 v65, 0x7c010000
	s_mov_b32 s18, exec_lo
	s_delay_alu instid0(VALU_DEP_2)
	v_cmpx_ne_u32_e32 0x7f, v2
	s_cbranch_execz .LBB309_937
; %bb.934:                              ;   in Loop: Header=BB309_11 Depth=1
	v_and_b32_e32 v0, 7, v7
	v_lshrrev_b32_e32 v1, 3, v2
	s_mov_b32 s19, exec_lo
	v_cmpx_gt_u32_e32 8, v2
; %bb.935:                              ;   in Loop: Header=BB309_11 Depth=1
	s_delay_alu instid0(VALU_DEP_3) | instskip(NEXT) | instid1(VALU_DEP_1)
	v_clz_i32_u32_e32 v0, v0
	v_min_u32_e32 v2, 32, v0
	s_delay_alu instid0(VALU_DEP_1) | instskip(NEXT) | instid1(VALU_DEP_1)
	v_subrev_nc_u32_e32 v0, 28, v2
	v_lshlrev_b64_e32 v[0:1], v0, v[7:8]
	v_sub_nc_u32_e32 v1, 29, v2
	s_delay_alu instid0(VALU_DEP_2)
	v_and_b32_e32 v0, 7, v0
; %bb.936:                              ;   in Loop: Header=BB309_11 Depth=1
	s_wait_alu 0xfffe
	s_or_b32 exec_lo, exec_lo, s19
	v_lshlrev_b32_e32 v2, 8, v7
	v_lshl_add_u32 v1, v1, 10, 0x2000
	v_lshlrev_b32_e32 v0, 23, v0
	s_delay_alu instid0(VALU_DEP_2) | instskip(NEXT) | instid1(VALU_DEP_1)
	v_and_or_b32 v1, 0x8000, v2, v1
	v_lshl_or_b32 v65, v1, 16, v0
.LBB309_937:                            ;   in Loop: Header=BB309_11 Depth=1
	s_wait_alu 0xfffe
	s_or_b32 exec_lo, exec_lo, s18
.LBB309_938:                            ;   in Loop: Header=BB309_11 Depth=1
	s_wait_alu 0xfffe
	s_or_b32 exec_lo, exec_lo, s17
.LBB309_939:                            ;   in Loop: Header=BB309_11 Depth=1
	s_wait_alu 0xfffe
	s_or_b32 exec_lo, exec_lo, s16
	v_dual_mov_b32 v7, v31 :: v_dual_and_b32 v0, 0xff, v31
	s_mov_b32 s16, exec_lo
	s_delay_alu instid0(VALU_DEP_1)
	v_cmpx_ne_u16_e32 0, v0
	s_cbranch_execz .LBB309_947
; %bb.940:                              ;   in Loop: Header=BB309_11 Depth=1
	v_mov_b32_e32 v55, 0x8000
	s_mov_b32 s17, exec_lo
	v_cmpx_ne_u16_e32 0x80, v0
	s_cbranch_execz .LBB309_946
; %bb.941:                              ;   in Loop: Header=BB309_11 Depth=1
	v_and_b32_e32 v2, 0x7f, v31
	v_mov_b32_e32 v55, 0x7c01
	s_mov_b32 s18, exec_lo
	s_delay_alu instid0(VALU_DEP_2)
	v_cmpx_ne_u32_e32 0x7f, v2
	s_cbranch_execz .LBB309_945
; %bb.942:                              ;   in Loop: Header=BB309_11 Depth=1
	v_and_b32_e32 v0, 7, v31
	v_lshrrev_b32_e32 v1, 3, v2
	s_mov_b32 s19, exec_lo
	v_cmpx_gt_u32_e32 8, v2
; %bb.943:                              ;   in Loop: Header=BB309_11 Depth=1
	s_delay_alu instid0(VALU_DEP_3) | instskip(NEXT) | instid1(VALU_DEP_1)
	v_clz_i32_u32_e32 v0, v0
	v_min_u32_e32 v2, 32, v0
	s_delay_alu instid0(VALU_DEP_1) | instskip(NEXT) | instid1(VALU_DEP_1)
	v_subrev_nc_u32_e32 v0, 28, v2
	v_lshlrev_b64_e32 v[0:1], v0, v[7:8]
	v_sub_nc_u32_e32 v1, 29, v2
	s_delay_alu instid0(VALU_DEP_2)
	v_and_b32_e32 v0, 7, v0
; %bb.944:                              ;   in Loop: Header=BB309_11 Depth=1
	s_wait_alu 0xfffe
	s_or_b32 exec_lo, exec_lo, s19
	v_lshlrev_b32_e32 v2, 8, v31
	v_lshl_add_u32 v1, v1, 10, 0x2000
	v_lshlrev_b32_e32 v0, 7, v0
	s_delay_alu instid0(VALU_DEP_3) | instskip(NEXT) | instid1(VALU_DEP_3)
	v_and_b32_e32 v2, 0x8000, v2
	v_and_b32_e32 v1, 0xfc00, v1
	s_delay_alu instid0(VALU_DEP_1)
	v_or3_b32 v55, v2, v1, v0
.LBB309_945:                            ;   in Loop: Header=BB309_11 Depth=1
	s_wait_alu 0xfffe
	s_or_b32 exec_lo, exec_lo, s18
.LBB309_946:                            ;   in Loop: Header=BB309_11 Depth=1
	s_wait_alu 0xfffe
	s_or_b32 exec_lo, exec_lo, s17
.LBB309_947:                            ;   in Loop: Header=BB309_11 Depth=1
	s_wait_alu 0xfffe
	s_or_b32 exec_lo, exec_lo, s16
	v_lshrrev_b16 v7, 8, v7
	v_dual_mov_b32 v71, 0 :: v_dual_mov_b32 v84, 0
	s_mov_b32 s16, exec_lo
	s_delay_alu instid0(VALU_DEP_2)
	v_cmpx_ne_u16_e32 0, v7
	s_cbranch_execz .LBB309_955
; %bb.948:                              ;   in Loop: Header=BB309_11 Depth=1
	v_bfrev_b32_e32 v84, 1
	s_mov_b32 s17, exec_lo
	v_cmpx_ne_u16_e32 0x80, v7
	s_cbranch_execz .LBB309_954
; %bb.949:                              ;   in Loop: Header=BB309_11 Depth=1
	v_and_b32_e32 v0, 0xffff, v7
	v_mov_b32_e32 v84, 0x7c010000
	s_mov_b32 s18, exec_lo
	s_delay_alu instid0(VALU_DEP_2) | instskip(NEXT) | instid1(VALU_DEP_1)
	v_and_b32_e32 v3, 0x7f, v0
	v_cmpx_ne_u32_e32 0x7f, v3
	s_cbranch_execz .LBB309_953
; %bb.950:                              ;   in Loop: Header=BB309_11 Depth=1
	v_and_b32_e32 v1, 7, v0
	v_lshrrev_b32_e32 v2, 3, v3
	s_mov_b32 s19, exec_lo
	v_cmpx_gt_u32_e32 8, v3
; %bb.951:                              ;   in Loop: Header=BB309_11 Depth=1
	s_delay_alu instid0(VALU_DEP_3) | instskip(NEXT) | instid1(VALU_DEP_1)
	v_clz_i32_u32_e32 v1, v1
	v_min_u32_e32 v3, 32, v1
	s_delay_alu instid0(VALU_DEP_1) | instskip(NEXT) | instid1(VALU_DEP_1)
	v_subrev_nc_u32_e32 v1, 28, v3
	v_lshlrev_b64_e32 v[1:2], v1, v[7:8]
	v_sub_nc_u32_e32 v2, 29, v3
	s_delay_alu instid0(VALU_DEP_2)
	v_and_b32_e32 v1, 7, v1
; %bb.952:                              ;   in Loop: Header=BB309_11 Depth=1
	s_wait_alu 0xfffe
	s_or_b32 exec_lo, exec_lo, s19
	v_lshlrev_b32_e32 v0, 8, v0
	v_lshl_add_u32 v2, v2, 10, 0x2000
	v_lshlrev_b32_e32 v1, 23, v1
	s_delay_alu instid0(VALU_DEP_2) | instskip(NEXT) | instid1(VALU_DEP_1)
	v_and_or_b32 v0, 0x8000, v0, v2
	v_lshl_or_b32 v84, v0, 16, v1
.LBB309_953:                            ;   in Loop: Header=BB309_11 Depth=1
	s_wait_alu 0xfffe
	s_or_b32 exec_lo, exec_lo, s18
.LBB309_954:                            ;   in Loop: Header=BB309_11 Depth=1
	s_wait_alu 0xfffe
	s_or_b32 exec_lo, exec_lo, s17
.LBB309_955:                            ;   in Loop: Header=BB309_11 Depth=1
	s_wait_alu 0xfffe
	s_or_b32 exec_lo, exec_lo, s16
	v_lshrrev_b32_e32 v7, 16, v31
	s_mov_b32 s16, exec_lo
	s_delay_alu instid0(VALU_DEP_1) | instskip(NEXT) | instid1(VALU_DEP_1)
	v_and_b32_e32 v0, 0xff, v7
	v_cmpx_ne_u16_e32 0, v0
	s_cbranch_execz .LBB309_963
; %bb.956:                              ;   in Loop: Header=BB309_11 Depth=1
	v_mov_b32_e32 v71, 0x8000
	s_mov_b32 s17, exec_lo
	v_cmpx_ne_u16_e32 0x80, v0
	s_cbranch_execz .LBB309_962
; %bb.957:                              ;   in Loop: Header=BB309_11 Depth=1
	v_bfe_u32 v2, v31, 16, 7
	v_mov_b32_e32 v71, 0x7c01
	s_mov_b32 s18, exec_lo
	s_delay_alu instid0(VALU_DEP_2)
	v_cmpx_ne_u32_e32 0x7f, v2
	s_cbranch_execz .LBB309_961
; %bb.958:                              ;   in Loop: Header=BB309_11 Depth=1
	v_and_b32_e32 v0, 7, v7
	v_lshrrev_b32_e32 v1, 3, v2
	s_mov_b32 s19, exec_lo
	v_cmpx_gt_u32_e32 8, v2
; %bb.959:                              ;   in Loop: Header=BB309_11 Depth=1
	s_delay_alu instid0(VALU_DEP_3) | instskip(NEXT) | instid1(VALU_DEP_1)
	v_clz_i32_u32_e32 v0, v0
	v_min_u32_e32 v2, 32, v0
	s_delay_alu instid0(VALU_DEP_1) | instskip(NEXT) | instid1(VALU_DEP_1)
	v_subrev_nc_u32_e32 v0, 28, v2
	v_lshlrev_b64_e32 v[0:1], v0, v[7:8]
	v_sub_nc_u32_e32 v1, 29, v2
	s_delay_alu instid0(VALU_DEP_2)
	v_and_b32_e32 v0, 7, v0
; %bb.960:                              ;   in Loop: Header=BB309_11 Depth=1
	s_wait_alu 0xfffe
	s_or_b32 exec_lo, exec_lo, s19
	v_lshlrev_b32_e32 v2, 8, v7
	v_lshl_add_u32 v1, v1, 10, 0x2000
	v_lshlrev_b32_e32 v0, 7, v0
	s_delay_alu instid0(VALU_DEP_3) | instskip(NEXT) | instid1(VALU_DEP_3)
	v_and_b32_e32 v2, 0x8000, v2
	v_and_b32_e32 v1, 0xfc00, v1
	s_delay_alu instid0(VALU_DEP_1)
	v_or3_b32 v71, v2, v1, v0
.LBB309_961:                            ;   in Loop: Header=BB309_11 Depth=1
	s_wait_alu 0xfffe
	s_or_b32 exec_lo, exec_lo, s18
.LBB309_962:                            ;   in Loop: Header=BB309_11 Depth=1
	s_wait_alu 0xfffe
	s_or_b32 exec_lo, exec_lo, s17
.LBB309_963:                            ;   in Loop: Header=BB309_11 Depth=1
	s_wait_alu 0xfffe
	s_or_b32 exec_lo, exec_lo, s16
	v_mov_b32_e32 v0, 0
	v_mov_b32_e32 v68, 0
	s_mov_b32 s16, exec_lo
	v_cmpx_lt_u64_e64 s[2:3], v[30:31]
	s_cbranch_execz .LBB309_971
; %bb.964:                              ;   in Loop: Header=BB309_11 Depth=1
	v_lshrrev_b32_e32 v7, 24, v31
	v_bfrev_b32_e32 v68, 1
	s_mov_b32 s17, exec_lo
	s_delay_alu instid0(VALU_DEP_2)
	v_cmpx_ne_u32_e32 0x80, v7
	s_cbranch_execz .LBB309_970
; %bb.965:                              ;   in Loop: Header=BB309_11 Depth=1
	v_and_b32_e32 v3, 0x7f, v7
	v_mov_b32_e32 v68, 0x7c010000
	s_mov_b32 s18, exec_lo
	s_delay_alu instid0(VALU_DEP_2)
	v_cmpx_ne_u32_e32 0x7f, v3
	s_cbranch_execz .LBB309_969
; %bb.966:                              ;   in Loop: Header=BB309_11 Depth=1
	v_and_b32_e32 v1, 7, v7
	v_lshrrev_b32_e32 v2, 3, v3
	s_mov_b32 s19, exec_lo
	v_cmpx_gt_u32_e32 8, v3
; %bb.967:                              ;   in Loop: Header=BB309_11 Depth=1
	s_delay_alu instid0(VALU_DEP_3) | instskip(NEXT) | instid1(VALU_DEP_1)
	v_clz_i32_u32_e32 v1, v1
	v_min_u32_e32 v3, 32, v1
	s_delay_alu instid0(VALU_DEP_1) | instskip(NEXT) | instid1(VALU_DEP_1)
	v_subrev_nc_u32_e32 v1, 28, v3
	v_lshlrev_b64_e32 v[1:2], v1, v[7:8]
	v_sub_nc_u32_e32 v2, 29, v3
	s_delay_alu instid0(VALU_DEP_2)
	v_and_b32_e32 v1, 7, v1
; %bb.968:                              ;   in Loop: Header=BB309_11 Depth=1
	s_wait_alu 0xfffe
	s_or_b32 exec_lo, exec_lo, s19
	v_lshlrev_b32_e32 v3, 8, v7
	v_lshl_add_u32 v2, v2, 10, 0x2000
	v_lshlrev_b32_e32 v1, 23, v1
	s_delay_alu instid0(VALU_DEP_2) | instskip(NEXT) | instid1(VALU_DEP_1)
	v_and_or_b32 v2, 0x8000, v3, v2
	v_lshl_or_b32 v68, v2, 16, v1
.LBB309_969:                            ;   in Loop: Header=BB309_11 Depth=1
	s_wait_alu 0xfffe
	s_or_b32 exec_lo, exec_lo, s18
.LBB309_970:                            ;   in Loop: Header=BB309_11 Depth=1
	s_wait_alu 0xfffe
	s_or_b32 exec_lo, exec_lo, s17
.LBB309_971:                            ;   in Loop: Header=BB309_11 Depth=1
	s_wait_alu 0xfffe
	s_or_b32 exec_lo, exec_lo, s16
	flat_load_b64 v[30:31], v[28:29] offset:3592
	s_mov_b32 s16, exec_lo
	s_wait_loadcnt_dscnt 0x0
	v_and_b32_e32 v1, 0xff, v30
	s_delay_alu instid0(VALU_DEP_1)
	v_cmpx_ne_u16_e32 0, v1
	s_cbranch_execz .LBB309_979
; %bb.972:                              ;   in Loop: Header=BB309_11 Depth=1
	v_mov_b32_e32 v0, 0x8000
	s_mov_b32 s17, exec_lo
	v_cmpx_ne_u16_e32 0x80, v1
	s_cbranch_execz .LBB309_978
; %bb.973:                              ;   in Loop: Header=BB309_11 Depth=1
	v_and_b32_e32 v2, 0x7f, v30
	v_mov_b32_e32 v0, 0x7c01
	s_mov_b32 s18, exec_lo
	s_delay_alu instid0(VALU_DEP_2)
	v_cmpx_ne_u32_e32 0x7f, v2
	s_cbranch_execz .LBB309_977
; %bb.974:                              ;   in Loop: Header=BB309_11 Depth=1
	v_and_b32_e32 v0, 7, v30
	v_lshrrev_b32_e32 v1, 3, v2
	s_mov_b32 s19, exec_lo
	v_cmpx_gt_u32_e32 8, v2
; %bb.975:                              ;   in Loop: Header=BB309_11 Depth=1
	s_delay_alu instid0(VALU_DEP_3) | instskip(NEXT) | instid1(VALU_DEP_1)
	v_clz_i32_u32_e32 v0, v0
	v_min_u32_e32 v2, 32, v0
	s_delay_alu instid0(VALU_DEP_1) | instskip(NEXT) | instid1(VALU_DEP_1)
	v_subrev_nc_u32_e32 v0, 28, v2
	v_lshlrev_b64_e32 v[0:1], v0, v[30:31]
	v_sub_nc_u32_e32 v1, 29, v2
	s_delay_alu instid0(VALU_DEP_2)
	v_and_b32_e32 v0, 7, v0
; %bb.976:                              ;   in Loop: Header=BB309_11 Depth=1
	s_wait_alu 0xfffe
	s_or_b32 exec_lo, exec_lo, s19
	v_lshlrev_b32_e32 v2, 8, v30
	v_lshl_add_u32 v1, v1, 10, 0x2000
	v_lshlrev_b32_e32 v0, 7, v0
	s_delay_alu instid0(VALU_DEP_3) | instskip(NEXT) | instid1(VALU_DEP_3)
	v_and_b32_e32 v2, 0x8000, v2
	v_and_b32_e32 v1, 0xfc00, v1
	s_delay_alu instid0(VALU_DEP_1)
	v_or3_b32 v0, v2, v1, v0
.LBB309_977:                            ;   in Loop: Header=BB309_11 Depth=1
	s_wait_alu 0xfffe
	s_or_b32 exec_lo, exec_lo, s18
.LBB309_978:                            ;   in Loop: Header=BB309_11 Depth=1
	s_wait_alu 0xfffe
	s_or_b32 exec_lo, exec_lo, s17
.LBB309_979:                            ;   in Loop: Header=BB309_11 Depth=1
	s_wait_alu 0xfffe
	s_or_b32 exec_lo, exec_lo, s16
	v_lshrrev_b16 v7, 8, v30
	v_mov_b32_e32 v13, 0
	v_mov_b32_e32 v1, 0
	s_mov_b32 s16, exec_lo
	s_delay_alu instid0(VALU_DEP_3)
	v_cmpx_ne_u16_e32 0, v7
	s_cbranch_execz .LBB309_987
; %bb.980:                              ;   in Loop: Header=BB309_11 Depth=1
	v_bfrev_b32_e32 v1, 1
	s_mov_b32 s17, exec_lo
	v_cmpx_ne_u16_e32 0x80, v7
	s_cbranch_execz .LBB309_986
; %bb.981:                              ;   in Loop: Header=BB309_11 Depth=1
	v_and_b32_e32 v2, 0xffff, v7
	v_mov_b32_e32 v1, 0x7c010000
	s_mov_b32 s18, exec_lo
	s_delay_alu instid0(VALU_DEP_2) | instskip(NEXT) | instid1(VALU_DEP_1)
	v_and_b32_e32 v4, 0x7f, v2
	v_cmpx_ne_u32_e32 0x7f, v4
	s_cbranch_execz .LBB309_985
; %bb.982:                              ;   in Loop: Header=BB309_11 Depth=1
	v_and_b32_e32 v1, 7, v2
	v_lshrrev_b32_e32 v3, 3, v4
	s_mov_b32 s19, exec_lo
	v_cmpx_gt_u32_e32 8, v4
; %bb.983:                              ;   in Loop: Header=BB309_11 Depth=1
	s_delay_alu instid0(VALU_DEP_3) | instskip(NEXT) | instid1(VALU_DEP_1)
	v_clz_i32_u32_e32 v1, v1
	v_min_u32_e32 v1, 32, v1
	s_delay_alu instid0(VALU_DEP_1) | instskip(NEXT) | instid1(VALU_DEP_1)
	v_subrev_nc_u32_e32 v3, 28, v1
	v_lshlrev_b64_e32 v[6:7], v3, v[7:8]
	v_sub_nc_u32_e32 v3, 29, v1
	s_delay_alu instid0(VALU_DEP_2)
	v_and_b32_e32 v1, 7, v6
; %bb.984:                              ;   in Loop: Header=BB309_11 Depth=1
	s_wait_alu 0xfffe
	s_or_b32 exec_lo, exec_lo, s19
	v_lshlrev_b32_e32 v2, 8, v2
	v_lshl_add_u32 v3, v3, 10, 0x2000
	v_lshlrev_b32_e32 v1, 23, v1
	s_delay_alu instid0(VALU_DEP_2) | instskip(NEXT) | instid1(VALU_DEP_1)
	v_and_or_b32 v2, 0x8000, v2, v3
	v_lshl_or_b32 v1, v2, 16, v1
.LBB309_985:                            ;   in Loop: Header=BB309_11 Depth=1
	s_wait_alu 0xfffe
	s_or_b32 exec_lo, exec_lo, s18
.LBB309_986:                            ;   in Loop: Header=BB309_11 Depth=1
	s_wait_alu 0xfffe
	s_or_b32 exec_lo, exec_lo, s17
.LBB309_987:                            ;   in Loop: Header=BB309_11 Depth=1
	s_wait_alu 0xfffe
	s_or_b32 exec_lo, exec_lo, s16
	v_lshrrev_b32_e32 v7, 16, v30
	s_mov_b32 s16, exec_lo
	s_delay_alu instid0(VALU_DEP_1) | instskip(NEXT) | instid1(VALU_DEP_1)
	v_and_b32_e32 v2, 0xff, v7
	v_cmpx_ne_u16_e32 0, v2
	s_cbranch_execz .LBB309_995
; %bb.988:                              ;   in Loop: Header=BB309_11 Depth=1
	v_mov_b32_e32 v13, 0x8000
	s_mov_b32 s17, exec_lo
	v_cmpx_ne_u16_e32 0x80, v2
	s_cbranch_execz .LBB309_994
; %bb.989:                              ;   in Loop: Header=BB309_11 Depth=1
	v_bfe_u32 v4, v30, 16, 7
	v_mov_b32_e32 v13, 0x7c01
	s_mov_b32 s18, exec_lo
	s_delay_alu instid0(VALU_DEP_2)
	v_cmpx_ne_u32_e32 0x7f, v4
	s_cbranch_execz .LBB309_993
; %bb.990:                              ;   in Loop: Header=BB309_11 Depth=1
	v_and_b32_e32 v2, 7, v7
	v_lshrrev_b32_e32 v3, 3, v4
	s_mov_b32 s19, exec_lo
	v_cmpx_gt_u32_e32 8, v4
; %bb.991:                              ;   in Loop: Header=BB309_11 Depth=1
	s_delay_alu instid0(VALU_DEP_3) | instskip(NEXT) | instid1(VALU_DEP_1)
	v_clz_i32_u32_e32 v2, v2
	v_min_u32_e32 v4, 32, v2
	s_delay_alu instid0(VALU_DEP_1) | instskip(NEXT) | instid1(VALU_DEP_1)
	v_subrev_nc_u32_e32 v2, 28, v4
	v_lshlrev_b64_e32 v[2:3], v2, v[7:8]
	v_sub_nc_u32_e32 v3, 29, v4
	s_delay_alu instid0(VALU_DEP_2)
	v_and_b32_e32 v2, 7, v2
; %bb.992:                              ;   in Loop: Header=BB309_11 Depth=1
	s_wait_alu 0xfffe
	s_or_b32 exec_lo, exec_lo, s19
	v_lshlrev_b32_e32 v4, 8, v7
	v_lshl_add_u32 v3, v3, 10, 0x2000
	v_lshlrev_b32_e32 v2, 7, v2
	s_delay_alu instid0(VALU_DEP_3) | instskip(NEXT) | instid1(VALU_DEP_3)
	v_and_b32_e32 v4, 0x8000, v4
	v_and_b32_e32 v3, 0xfc00, v3
	s_delay_alu instid0(VALU_DEP_1)
	v_or3_b32 v13, v4, v3, v2
.LBB309_993:                            ;   in Loop: Header=BB309_11 Depth=1
	s_wait_alu 0xfffe
	s_or_b32 exec_lo, exec_lo, s18
.LBB309_994:                            ;   in Loop: Header=BB309_11 Depth=1
	s_wait_alu 0xfffe
	s_or_b32 exec_lo, exec_lo, s17
.LBB309_995:                            ;   in Loop: Header=BB309_11 Depth=1
	s_wait_alu 0xfffe
	s_or_b32 exec_lo, exec_lo, s16
	v_dual_mov_b32 v39, 0 :: v_dual_mov_b32 v22, 0
	s_mov_b32 s16, exec_lo
	v_cmpx_lt_u32_e32 0xffffff, v30
	s_cbranch_execz .LBB309_1003
; %bb.996:                              ;   in Loop: Header=BB309_11 Depth=1
	v_lshrrev_b32_e32 v7, 24, v30
	v_bfrev_b32_e32 v22, 1
	s_mov_b32 s17, exec_lo
	s_delay_alu instid0(VALU_DEP_2)
	v_cmpx_ne_u32_e32 0x80, v7
	s_cbranch_execz .LBB309_1002
; %bb.997:                              ;   in Loop: Header=BB309_11 Depth=1
	v_and_b32_e32 v4, 0x7f, v7
	v_mov_b32_e32 v22, 0x7c010000
	s_mov_b32 s18, exec_lo
	s_delay_alu instid0(VALU_DEP_2)
	v_cmpx_ne_u32_e32 0x7f, v4
	s_cbranch_execz .LBB309_1001
; %bb.998:                              ;   in Loop: Header=BB309_11 Depth=1
	v_and_b32_e32 v2, 7, v7
	v_lshrrev_b32_e32 v3, 3, v4
	s_mov_b32 s19, exec_lo
	v_cmpx_gt_u32_e32 8, v4
; %bb.999:                              ;   in Loop: Header=BB309_11 Depth=1
	s_delay_alu instid0(VALU_DEP_3) | instskip(NEXT) | instid1(VALU_DEP_1)
	v_clz_i32_u32_e32 v2, v2
	v_min_u32_e32 v4, 32, v2
	s_delay_alu instid0(VALU_DEP_1) | instskip(NEXT) | instid1(VALU_DEP_1)
	v_subrev_nc_u32_e32 v2, 28, v4
	v_lshlrev_b64_e32 v[2:3], v2, v[7:8]
	v_sub_nc_u32_e32 v3, 29, v4
	s_delay_alu instid0(VALU_DEP_2)
	v_and_b32_e32 v2, 7, v2
; %bb.1000:                             ;   in Loop: Header=BB309_11 Depth=1
	s_wait_alu 0xfffe
	s_or_b32 exec_lo, exec_lo, s19
	v_lshlrev_b32_e32 v4, 8, v7
	v_lshl_add_u32 v3, v3, 10, 0x2000
	v_lshlrev_b32_e32 v2, 23, v2
	s_delay_alu instid0(VALU_DEP_2) | instskip(NEXT) | instid1(VALU_DEP_1)
	v_and_or_b32 v3, 0x8000, v4, v3
	v_lshl_or_b32 v22, v3, 16, v2
.LBB309_1001:                           ;   in Loop: Header=BB309_11 Depth=1
	s_wait_alu 0xfffe
	s_or_b32 exec_lo, exec_lo, s18
.LBB309_1002:                           ;   in Loop: Header=BB309_11 Depth=1
	s_wait_alu 0xfffe
	s_or_b32 exec_lo, exec_lo, s17
.LBB309_1003:                           ;   in Loop: Header=BB309_11 Depth=1
	s_wait_alu 0xfffe
	s_or_b32 exec_lo, exec_lo, s16
	v_dual_mov_b32 v7, v31 :: v_dual_and_b32 v2, 0xff, v31
	s_mov_b32 s16, exec_lo
	s_delay_alu instid0(VALU_DEP_1)
	v_cmpx_ne_u16_e32 0, v2
	s_cbranch_execz .LBB309_1011
; %bb.1004:                             ;   in Loop: Header=BB309_11 Depth=1
	v_mov_b32_e32 v39, 0x8000
	s_mov_b32 s17, exec_lo
	v_cmpx_ne_u16_e32 0x80, v2
	s_cbranch_execz .LBB309_1010
; %bb.1005:                             ;   in Loop: Header=BB309_11 Depth=1
	v_and_b32_e32 v4, 0x7f, v31
	v_mov_b32_e32 v39, 0x7c01
	s_mov_b32 s18, exec_lo
	s_delay_alu instid0(VALU_DEP_2)
	v_cmpx_ne_u32_e32 0x7f, v4
	s_cbranch_execz .LBB309_1009
; %bb.1006:                             ;   in Loop: Header=BB309_11 Depth=1
	v_and_b32_e32 v2, 7, v31
	v_lshrrev_b32_e32 v3, 3, v4
	s_mov_b32 s19, exec_lo
	v_cmpx_gt_u32_e32 8, v4
; %bb.1007:                             ;   in Loop: Header=BB309_11 Depth=1
	s_delay_alu instid0(VALU_DEP_3) | instskip(NEXT) | instid1(VALU_DEP_1)
	v_clz_i32_u32_e32 v2, v2
	v_min_u32_e32 v4, 32, v2
	s_delay_alu instid0(VALU_DEP_1) | instskip(NEXT) | instid1(VALU_DEP_1)
	v_subrev_nc_u32_e32 v2, 28, v4
	v_lshlrev_b64_e32 v[2:3], v2, v[7:8]
	v_sub_nc_u32_e32 v3, 29, v4
	s_delay_alu instid0(VALU_DEP_2)
	v_and_b32_e32 v2, 7, v2
; %bb.1008:                             ;   in Loop: Header=BB309_11 Depth=1
	s_wait_alu 0xfffe
	s_or_b32 exec_lo, exec_lo, s19
	v_lshlrev_b32_e32 v4, 8, v31
	v_lshl_add_u32 v3, v3, 10, 0x2000
	v_lshlrev_b32_e32 v2, 7, v2
	s_delay_alu instid0(VALU_DEP_3) | instskip(NEXT) | instid1(VALU_DEP_3)
	v_and_b32_e32 v4, 0x8000, v4
	v_and_b32_e32 v3, 0xfc00, v3
	s_delay_alu instid0(VALU_DEP_1)
	v_or3_b32 v39, v4, v3, v2
.LBB309_1009:                           ;   in Loop: Header=BB309_11 Depth=1
	s_wait_alu 0xfffe
	s_or_b32 exec_lo, exec_lo, s18
.LBB309_1010:                           ;   in Loop: Header=BB309_11 Depth=1
	s_wait_alu 0xfffe
	s_or_b32 exec_lo, exec_lo, s17
.LBB309_1011:                           ;   in Loop: Header=BB309_11 Depth=1
	s_wait_alu 0xfffe
	s_or_b32 exec_lo, exec_lo, s16
	v_lshrrev_b16 v7, 8, v7
	v_dual_mov_b32 v86, 0 :: v_dual_mov_b32 v87, 0
	s_mov_b32 s16, exec_lo
	s_delay_alu instid0(VALU_DEP_2)
	v_cmpx_ne_u16_e32 0, v7
	s_cbranch_execz .LBB309_1019
; %bb.1012:                             ;   in Loop: Header=BB309_11 Depth=1
	v_bfrev_b32_e32 v87, 1
	s_mov_b32 s17, exec_lo
	v_cmpx_ne_u16_e32 0x80, v7
	s_cbranch_execz .LBB309_1018
; %bb.1013:                             ;   in Loop: Header=BB309_11 Depth=1
	v_and_b32_e32 v2, 0xffff, v7
	v_mov_b32_e32 v87, 0x7c010000
	s_mov_b32 s18, exec_lo
	s_delay_alu instid0(VALU_DEP_2) | instskip(NEXT) | instid1(VALU_DEP_1)
	v_and_b32_e32 v10, 0x7f, v2
	v_cmpx_ne_u32_e32 0x7f, v10
	s_cbranch_execz .LBB309_1017
; %bb.1014:                             ;   in Loop: Header=BB309_11 Depth=1
	v_and_b32_e32 v3, 7, v2
	v_lshrrev_b32_e32 v4, 3, v10
	s_mov_b32 s19, exec_lo
	v_cmpx_gt_u32_e32 8, v10
; %bb.1015:                             ;   in Loop: Header=BB309_11 Depth=1
	s_delay_alu instid0(VALU_DEP_3) | instskip(NEXT) | instid1(VALU_DEP_1)
	v_clz_i32_u32_e32 v3, v3
	v_min_u32_e32 v6, 32, v3
	s_delay_alu instid0(VALU_DEP_1) | instskip(NEXT) | instid1(VALU_DEP_1)
	v_subrev_nc_u32_e32 v3, 28, v6
	v_lshlrev_b64_e32 v[3:4], v3, v[7:8]
	v_sub_nc_u32_e32 v4, 29, v6
	s_delay_alu instid0(VALU_DEP_2)
	v_and_b32_e32 v3, 7, v3
; %bb.1016:                             ;   in Loop: Header=BB309_11 Depth=1
	s_wait_alu 0xfffe
	s_or_b32 exec_lo, exec_lo, s19
	v_lshlrev_b32_e32 v2, 8, v2
	v_lshl_add_u32 v4, v4, 10, 0x2000
	v_lshlrev_b32_e32 v3, 23, v3
	s_delay_alu instid0(VALU_DEP_2) | instskip(NEXT) | instid1(VALU_DEP_1)
	v_and_or_b32 v2, 0x8000, v2, v4
	v_lshl_or_b32 v87, v2, 16, v3
.LBB309_1017:                           ;   in Loop: Header=BB309_11 Depth=1
	s_wait_alu 0xfffe
	s_or_b32 exec_lo, exec_lo, s18
.LBB309_1018:                           ;   in Loop: Header=BB309_11 Depth=1
	s_wait_alu 0xfffe
	s_or_b32 exec_lo, exec_lo, s17
.LBB309_1019:                           ;   in Loop: Header=BB309_11 Depth=1
	s_wait_alu 0xfffe
	s_or_b32 exec_lo, exec_lo, s16
	v_lshrrev_b32_e32 v7, 16, v31
	s_mov_b32 s16, exec_lo
	s_delay_alu instid0(VALU_DEP_1) | instskip(NEXT) | instid1(VALU_DEP_1)
	v_and_b32_e32 v2, 0xff, v7
	v_cmpx_ne_u16_e32 0, v2
	s_cbranch_execz .LBB309_1027
; %bb.1020:                             ;   in Loop: Header=BB309_11 Depth=1
	v_mov_b32_e32 v86, 0x8000
	s_mov_b32 s17, exec_lo
	v_cmpx_ne_u16_e32 0x80, v2
	s_cbranch_execz .LBB309_1026
; %bb.1021:                             ;   in Loop: Header=BB309_11 Depth=1
	v_bfe_u32 v4, v31, 16, 7
	v_mov_b32_e32 v86, 0x7c01
	s_mov_b32 s18, exec_lo
	s_delay_alu instid0(VALU_DEP_2)
	v_cmpx_ne_u32_e32 0x7f, v4
	s_cbranch_execz .LBB309_1025
; %bb.1022:                             ;   in Loop: Header=BB309_11 Depth=1
	v_and_b32_e32 v2, 7, v7
	v_lshrrev_b32_e32 v3, 3, v4
	s_mov_b32 s19, exec_lo
	v_cmpx_gt_u32_e32 8, v4
; %bb.1023:                             ;   in Loop: Header=BB309_11 Depth=1
	s_delay_alu instid0(VALU_DEP_3) | instskip(NEXT) | instid1(VALU_DEP_1)
	v_clz_i32_u32_e32 v2, v2
	v_min_u32_e32 v4, 32, v2
	s_delay_alu instid0(VALU_DEP_1) | instskip(NEXT) | instid1(VALU_DEP_1)
	v_subrev_nc_u32_e32 v2, 28, v4
	v_lshlrev_b64_e32 v[2:3], v2, v[7:8]
	v_sub_nc_u32_e32 v3, 29, v4
	s_delay_alu instid0(VALU_DEP_2)
	v_and_b32_e32 v2, 7, v2
; %bb.1024:                             ;   in Loop: Header=BB309_11 Depth=1
	s_wait_alu 0xfffe
	s_or_b32 exec_lo, exec_lo, s19
	v_lshlrev_b32_e32 v4, 8, v7
	v_lshl_add_u32 v3, v3, 10, 0x2000
	v_lshlrev_b32_e32 v2, 7, v2
	s_delay_alu instid0(VALU_DEP_3) | instskip(NEXT) | instid1(VALU_DEP_3)
	v_and_b32_e32 v4, 0x8000, v4
	v_and_b32_e32 v3, 0xfc00, v3
	s_delay_alu instid0(VALU_DEP_1)
	v_or3_b32 v86, v4, v3, v2
.LBB309_1025:                           ;   in Loop: Header=BB309_11 Depth=1
	s_wait_alu 0xfffe
	s_or_b32 exec_lo, exec_lo, s18
.LBB309_1026:                           ;   in Loop: Header=BB309_11 Depth=1
	s_wait_alu 0xfffe
	s_or_b32 exec_lo, exec_lo, s17
.LBB309_1027:                           ;   in Loop: Header=BB309_11 Depth=1
	s_wait_alu 0xfffe
	s_or_b32 exec_lo, exec_lo, s16
	v_mov_b32_e32 v3, 0
	v_mov_b32_e32 v97, 0
	s_mov_b32 s16, exec_lo
	v_cmpx_lt_u64_e64 s[2:3], v[30:31]
	s_cbranch_execz .LBB309_1035
; %bb.1028:                             ;   in Loop: Header=BB309_11 Depth=1
	v_lshrrev_b32_e32 v7, 24, v31
	v_bfrev_b32_e32 v97, 1
	s_mov_b32 s17, exec_lo
	s_delay_alu instid0(VALU_DEP_2)
	v_cmpx_ne_u32_e32 0x80, v7
	s_cbranch_execz .LBB309_1034
; %bb.1029:                             ;   in Loop: Header=BB309_11 Depth=1
	v_and_b32_e32 v10, 0x7f, v7
	v_mov_b32_e32 v97, 0x7c010000
	s_mov_b32 s18, exec_lo
	s_delay_alu instid0(VALU_DEP_2)
	v_cmpx_ne_u32_e32 0x7f, v10
	s_cbranch_execz .LBB309_1033
; %bb.1030:                             ;   in Loop: Header=BB309_11 Depth=1
	v_and_b32_e32 v2, 7, v7
	v_lshrrev_b32_e32 v4, 3, v10
	s_mov_b32 s19, exec_lo
	v_cmpx_gt_u32_e32 8, v10
; %bb.1031:                             ;   in Loop: Header=BB309_11 Depth=1
	s_delay_alu instid0(VALU_DEP_3) | instskip(NEXT) | instid1(VALU_DEP_1)
	v_clz_i32_u32_e32 v2, v2
	v_min_u32_e32 v2, 32, v2
	s_delay_alu instid0(VALU_DEP_1) | instskip(NEXT) | instid1(VALU_DEP_1)
	v_subrev_nc_u32_e32 v4, 28, v2
	v_lshlrev_b64_e32 v[18:19], v4, v[7:8]
	v_sub_nc_u32_e32 v4, 29, v2
	s_delay_alu instid0(VALU_DEP_2)
	v_and_b32_e32 v2, 7, v18
; %bb.1032:                             ;   in Loop: Header=BB309_11 Depth=1
	s_wait_alu 0xfffe
	s_or_b32 exec_lo, exec_lo, s19
	v_lshlrev_b32_e32 v6, 8, v7
	v_lshl_add_u32 v4, v4, 10, 0x2000
	v_lshlrev_b32_e32 v2, 23, v2
	s_delay_alu instid0(VALU_DEP_2) | instskip(NEXT) | instid1(VALU_DEP_1)
	v_and_or_b32 v4, 0x8000, v6, v4
	v_lshl_or_b32 v97, v4, 16, v2
.LBB309_1033:                           ;   in Loop: Header=BB309_11 Depth=1
	s_wait_alu 0xfffe
	s_or_b32 exec_lo, exec_lo, s18
.LBB309_1034:                           ;   in Loop: Header=BB309_11 Depth=1
	s_wait_alu 0xfffe
	s_or_b32 exec_lo, exec_lo, s17
.LBB309_1035:                           ;   in Loop: Header=BB309_11 Depth=1
	s_wait_alu 0xfffe
	s_or_b32 exec_lo, exec_lo, s16
	flat_load_b64 v[30:31], v[28:29] offset:4096
	s_mov_b32 s16, exec_lo
	s_wait_loadcnt_dscnt 0x0
	v_and_b32_e32 v2, 0xff, v30
	s_delay_alu instid0(VALU_DEP_1)
	v_cmpx_ne_u16_e32 0, v2
	s_cbranch_execz .LBB309_1043
; %bb.1036:                             ;   in Loop: Header=BB309_11 Depth=1
	v_mov_b32_e32 v3, 0x8000
	s_mov_b32 s17, exec_lo
	v_cmpx_ne_u16_e32 0x80, v2
	s_cbranch_execz .LBB309_1042
; %bb.1037:                             ;   in Loop: Header=BB309_11 Depth=1
	v_and_b32_e32 v4, 0x7f, v30
	v_mov_b32_e32 v3, 0x7c01
	s_mov_b32 s18, exec_lo
	s_delay_alu instid0(VALU_DEP_2)
	v_cmpx_ne_u32_e32 0x7f, v4
	s_cbranch_execz .LBB309_1041
; %bb.1038:                             ;   in Loop: Header=BB309_11 Depth=1
	v_and_b32_e32 v2, 7, v30
	v_lshrrev_b32_e32 v3, 3, v4
	s_mov_b32 s19, exec_lo
	v_cmpx_gt_u32_e32 8, v4
; %bb.1039:                             ;   in Loop: Header=BB309_11 Depth=1
	s_delay_alu instid0(VALU_DEP_3) | instskip(NEXT) | instid1(VALU_DEP_1)
	v_clz_i32_u32_e32 v2, v2
	v_min_u32_e32 v4, 32, v2
	s_delay_alu instid0(VALU_DEP_1) | instskip(NEXT) | instid1(VALU_DEP_1)
	v_subrev_nc_u32_e32 v2, 28, v4
	v_lshlrev_b64_e32 v[2:3], v2, v[30:31]
	v_sub_nc_u32_e32 v3, 29, v4
	s_delay_alu instid0(VALU_DEP_2)
	v_and_b32_e32 v2, 7, v2
; %bb.1040:                             ;   in Loop: Header=BB309_11 Depth=1
	s_wait_alu 0xfffe
	s_or_b32 exec_lo, exec_lo, s19
	v_lshlrev_b32_e32 v4, 8, v30
	v_lshl_add_u32 v3, v3, 10, 0x2000
	v_lshlrev_b32_e32 v2, 7, v2
	s_delay_alu instid0(VALU_DEP_3) | instskip(NEXT) | instid1(VALU_DEP_3)
	v_and_b32_e32 v4, 0x8000, v4
	v_and_b32_e32 v3, 0xfc00, v3
	s_delay_alu instid0(VALU_DEP_1)
	v_or3_b32 v3, v4, v3, v2
.LBB309_1041:                           ;   in Loop: Header=BB309_11 Depth=1
	s_wait_alu 0xfffe
	s_or_b32 exec_lo, exec_lo, s18
.LBB309_1042:                           ;   in Loop: Header=BB309_11 Depth=1
	s_wait_alu 0xfffe
	s_or_b32 exec_lo, exec_lo, s17
.LBB309_1043:                           ;   in Loop: Header=BB309_11 Depth=1
	s_wait_alu 0xfffe
	s_or_b32 exec_lo, exec_lo, s16
	v_lshrrev_b16 v7, 8, v30
	v_mov_b32_e32 v2, 0
	v_mov_b32_e32 v10, 0
	s_mov_b32 s16, exec_lo
	s_delay_alu instid0(VALU_DEP_3)
	v_cmpx_ne_u16_e32 0, v7
	s_cbranch_execz .LBB309_1051
; %bb.1044:                             ;   in Loop: Header=BB309_11 Depth=1
	v_bfrev_b32_e32 v10, 1
	s_mov_b32 s17, exec_lo
	v_cmpx_ne_u16_e32 0x80, v7
	s_cbranch_execz .LBB309_1050
; %bb.1045:                             ;   in Loop: Header=BB309_11 Depth=1
	v_and_b32_e32 v4, 0xffff, v7
	v_mov_b32_e32 v10, 0x7c010000
	s_mov_b32 s18, exec_lo
	s_delay_alu instid0(VALU_DEP_2) | instskip(NEXT) | instid1(VALU_DEP_1)
	v_and_b32_e32 v18, 0x7f, v4
	v_cmpx_ne_u32_e32 0x7f, v18
	s_cbranch_execz .LBB309_1049
; %bb.1046:                             ;   in Loop: Header=BB309_11 Depth=1
	v_and_b32_e32 v10, 7, v4
	v_lshrrev_b32_e32 v16, 3, v18
	s_mov_b32 s19, exec_lo
	v_cmpx_gt_u32_e32 8, v18
; %bb.1047:                             ;   in Loop: Header=BB309_11 Depth=1
	s_delay_alu instid0(VALU_DEP_3) | instskip(NEXT) | instid1(VALU_DEP_1)
	v_clz_i32_u32_e32 v6, v10
	v_min_u32_e32 v10, 32, v6
	s_delay_alu instid0(VALU_DEP_1) | instskip(SKIP_1) | instid1(VALU_DEP_2)
	v_subrev_nc_u32_e32 v6, 28, v10
	v_sub_nc_u32_e32 v16, 29, v10
	v_lshlrev_b64_e32 v[6:7], v6, v[7:8]
	s_delay_alu instid0(VALU_DEP_1)
	v_and_b32_e32 v10, 7, v6
; %bb.1048:                             ;   in Loop: Header=BB309_11 Depth=1
	s_wait_alu 0xfffe
	s_or_b32 exec_lo, exec_lo, s19
	v_lshlrev_b32_e32 v4, 8, v4
	v_lshl_add_u32 v6, v16, 10, 0x2000
	s_delay_alu instid0(VALU_DEP_1) | instskip(SKIP_1) | instid1(VALU_DEP_1)
	v_and_or_b32 v4, 0x8000, v4, v6
	v_lshlrev_b32_e32 v6, 23, v10
	v_lshl_or_b32 v10, v4, 16, v6
.LBB309_1049:                           ;   in Loop: Header=BB309_11 Depth=1
	s_wait_alu 0xfffe
	s_or_b32 exec_lo, exec_lo, s18
.LBB309_1050:                           ;   in Loop: Header=BB309_11 Depth=1
	s_wait_alu 0xfffe
	s_or_b32 exec_lo, exec_lo, s17
.LBB309_1051:                           ;   in Loop: Header=BB309_11 Depth=1
	s_wait_alu 0xfffe
	s_or_b32 exec_lo, exec_lo, s16
	v_lshrrev_b32_e32 v7, 16, v30
	s_mov_b32 s16, exec_lo
	s_delay_alu instid0(VALU_DEP_1) | instskip(NEXT) | instid1(VALU_DEP_1)
	v_and_b32_e32 v4, 0xff, v7
	v_cmpx_ne_u16_e32 0, v4
	s_cbranch_execz .LBB309_1059
; %bb.1052:                             ;   in Loop: Header=BB309_11 Depth=1
	v_mov_b32_e32 v2, 0x8000
	s_mov_b32 s17, exec_lo
	v_cmpx_ne_u16_e32 0x80, v4
	s_cbranch_execz .LBB309_1058
; %bb.1053:                             ;   in Loop: Header=BB309_11 Depth=1
	v_bfe_u32 v16, v30, 16, 7
	v_mov_b32_e32 v2, 0x7c01
	s_mov_b32 s18, exec_lo
	s_delay_alu instid0(VALU_DEP_2)
	v_cmpx_ne_u32_e32 0x7f, v16
	s_cbranch_execz .LBB309_1057
; %bb.1054:                             ;   in Loop: Header=BB309_11 Depth=1
	v_and_b32_e32 v2, 7, v7
	v_lshrrev_b32_e32 v4, 3, v16
	s_mov_b32 s19, exec_lo
	v_cmpx_gt_u32_e32 8, v16
; %bb.1055:                             ;   in Loop: Header=BB309_11 Depth=1
	s_delay_alu instid0(VALU_DEP_3) | instskip(NEXT) | instid1(VALU_DEP_1)
	v_clz_i32_u32_e32 v2, v2
	v_min_u32_e32 v2, 32, v2
	s_delay_alu instid0(VALU_DEP_1) | instskip(NEXT) | instid1(VALU_DEP_1)
	v_subrev_nc_u32_e32 v4, 28, v2
	v_lshlrev_b64_e32 v[18:19], v4, v[7:8]
	v_sub_nc_u32_e32 v4, 29, v2
	s_delay_alu instid0(VALU_DEP_2)
	v_and_b32_e32 v2, 7, v18
; %bb.1056:                             ;   in Loop: Header=BB309_11 Depth=1
	s_wait_alu 0xfffe
	s_or_b32 exec_lo, exec_lo, s19
	v_lshlrev_b32_e32 v6, 8, v7
	v_lshl_add_u32 v4, v4, 10, 0x2000
	v_lshlrev_b32_e32 v2, 7, v2
	s_delay_alu instid0(VALU_DEP_3) | instskip(NEXT) | instid1(VALU_DEP_3)
	v_and_b32_e32 v6, 0x8000, v6
	v_and_b32_e32 v4, 0xfc00, v4
	s_delay_alu instid0(VALU_DEP_1)
	v_or3_b32 v2, v6, v4, v2
.LBB309_1057:                           ;   in Loop: Header=BB309_11 Depth=1
	s_wait_alu 0xfffe
	s_or_b32 exec_lo, exec_lo, s18
.LBB309_1058:                           ;   in Loop: Header=BB309_11 Depth=1
	s_wait_alu 0xfffe
	s_or_b32 exec_lo, exec_lo, s17
.LBB309_1059:                           ;   in Loop: Header=BB309_11 Depth=1
	s_wait_alu 0xfffe
	s_or_b32 exec_lo, exec_lo, s16
	v_dual_mov_b32 v23, 0 :: v_dual_mov_b32 v16, 0
	s_mov_b32 s16, exec_lo
	v_cmpx_lt_u32_e32 0xffffff, v30
	s_cbranch_execz .LBB309_1067
; %bb.1060:                             ;   in Loop: Header=BB309_11 Depth=1
	v_lshrrev_b32_e32 v7, 24, v30
	v_bfrev_b32_e32 v16, 1
	s_mov_b32 s17, exec_lo
	s_delay_alu instid0(VALU_DEP_2)
	v_cmpx_ne_u32_e32 0x80, v7
	s_cbranch_execz .LBB309_1066
; %bb.1061:                             ;   in Loop: Header=BB309_11 Depth=1
	v_and_b32_e32 v18, 0x7f, v7
	v_mov_b32_e32 v16, 0x7c010000
	s_mov_b32 s18, exec_lo
	s_delay_alu instid0(VALU_DEP_2)
	v_cmpx_ne_u32_e32 0x7f, v18
	s_cbranch_execz .LBB309_1065
; %bb.1062:                             ;   in Loop: Header=BB309_11 Depth=1
	v_and_b32_e32 v4, 7, v7
	v_lshrrev_b32_e32 v16, 3, v18
	s_mov_b32 s19, exec_lo
	v_cmpx_gt_u32_e32 8, v18
; %bb.1063:                             ;   in Loop: Header=BB309_11 Depth=1
	s_delay_alu instid0(VALU_DEP_3) | instskip(NEXT) | instid1(VALU_DEP_1)
	v_clz_i32_u32_e32 v4, v4
	v_min_u32_e32 v4, 32, v4
	s_delay_alu instid0(VALU_DEP_1) | instskip(SKIP_1) | instid1(VALU_DEP_2)
	v_subrev_nc_u32_e32 v6, 28, v4
	v_sub_nc_u32_e32 v16, 29, v4
	v_lshlrev_b64_e32 v[18:19], v6, v[7:8]
	s_delay_alu instid0(VALU_DEP_1)
	v_and_b32_e32 v4, 7, v18
; %bb.1064:                             ;   in Loop: Header=BB309_11 Depth=1
	s_wait_alu 0xfffe
	s_or_b32 exec_lo, exec_lo, s19
	v_lshlrev_b32_e32 v6, 8, v7
	v_lshl_add_u32 v7, v16, 10, 0x2000
	v_lshlrev_b32_e32 v4, 23, v4
	s_delay_alu instid0(VALU_DEP_2) | instskip(NEXT) | instid1(VALU_DEP_1)
	v_and_or_b32 v6, 0x8000, v6, v7
	v_lshl_or_b32 v16, v6, 16, v4
.LBB309_1065:                           ;   in Loop: Header=BB309_11 Depth=1
	s_wait_alu 0xfffe
	s_or_b32 exec_lo, exec_lo, s18
.LBB309_1066:                           ;   in Loop: Header=BB309_11 Depth=1
	s_wait_alu 0xfffe
	s_or_b32 exec_lo, exec_lo, s17
.LBB309_1067:                           ;   in Loop: Header=BB309_11 Depth=1
	s_wait_alu 0xfffe
	s_or_b32 exec_lo, exec_lo, s16
	v_dual_mov_b32 v7, v31 :: v_dual_and_b32 v4, 0xff, v31
	s_mov_b32 s16, exec_lo
	s_delay_alu instid0(VALU_DEP_1)
	v_cmpx_ne_u16_e32 0, v4
	s_cbranch_execz .LBB309_1075
; %bb.1068:                             ;   in Loop: Header=BB309_11 Depth=1
	v_mov_b32_e32 v23, 0x8000
	s_mov_b32 s17, exec_lo
	v_cmpx_ne_u16_e32 0x80, v4
	s_cbranch_execz .LBB309_1074
; %bb.1069:                             ;   in Loop: Header=BB309_11 Depth=1
	v_and_b32_e32 v19, 0x7f, v31
	v_mov_b32_e32 v23, 0x7c01
	s_mov_b32 s18, exec_lo
	s_delay_alu instid0(VALU_DEP_2)
	v_cmpx_ne_u32_e32 0x7f, v19
	s_cbranch_execz .LBB309_1073
; %bb.1070:                             ;   in Loop: Header=BB309_11 Depth=1
	v_and_b32_e32 v4, 7, v31
	v_lshrrev_b32_e32 v18, 3, v19
	s_mov_b32 s19, exec_lo
	v_cmpx_gt_u32_e32 8, v19
; %bb.1071:                             ;   in Loop: Header=BB309_11 Depth=1
	s_delay_alu instid0(VALU_DEP_3) | instskip(NEXT) | instid1(VALU_DEP_1)
	v_clz_i32_u32_e32 v4, v4
	v_min_u32_e32 v4, 32, v4
	s_delay_alu instid0(VALU_DEP_1) | instskip(SKIP_1) | instid1(VALU_DEP_2)
	v_subrev_nc_u32_e32 v6, 28, v4
	v_sub_nc_u32_e32 v18, 29, v4
	v_lshlrev_b64_e32 v[23:24], v6, v[7:8]
	s_delay_alu instid0(VALU_DEP_1)
	v_and_b32_e32 v4, 7, v23
; %bb.1072:                             ;   in Loop: Header=BB309_11 Depth=1
	s_wait_alu 0xfffe
	s_or_b32 exec_lo, exec_lo, s19
	v_lshlrev_b32_e32 v6, 8, v31
	v_lshl_add_u32 v18, v18, 10, 0x2000
	v_lshlrev_b32_e32 v4, 7, v4
	s_delay_alu instid0(VALU_DEP_3) | instskip(NEXT) | instid1(VALU_DEP_3)
	v_and_b32_e32 v6, 0x8000, v6
	v_and_b32_e32 v18, 0xfc00, v18
	s_delay_alu instid0(VALU_DEP_1)
	v_or3_b32 v23, v6, v18, v4
.LBB309_1073:                           ;   in Loop: Header=BB309_11 Depth=1
	s_wait_alu 0xfffe
	s_or_b32 exec_lo, exec_lo, s18
.LBB309_1074:                           ;   in Loop: Header=BB309_11 Depth=1
	s_wait_alu 0xfffe
	s_or_b32 exec_lo, exec_lo, s17
.LBB309_1075:                           ;   in Loop: Header=BB309_11 Depth=1
	s_wait_alu 0xfffe
	s_or_b32 exec_lo, exec_lo, s16
	v_lshrrev_b16 v7, 8, v7
	v_mov_b32_e32 v24, 0
	v_mov_b32_e32 v34, 0
	s_mov_b32 s16, exec_lo
	s_delay_alu instid0(VALU_DEP_3)
	v_cmpx_ne_u16_e32 0, v7
	s_cbranch_execz .LBB309_1083
; %bb.1076:                             ;   in Loop: Header=BB309_11 Depth=1
	v_bfrev_b32_e32 v34, 1
	s_mov_b32 s17, exec_lo
	v_cmpx_ne_u16_e32 0x80, v7
	s_cbranch_execz .LBB309_1082
; %bb.1077:                             ;   in Loop: Header=BB309_11 Depth=1
	v_and_b32_e32 v4, 0xffff, v7
	v_mov_b32_e32 v34, 0x7c010000
	s_mov_b32 s18, exec_lo
	s_delay_alu instid0(VALU_DEP_2) | instskip(NEXT) | instid1(VALU_DEP_1)
	v_and_b32_e32 v35, 0x7f, v4
	v_cmpx_ne_u32_e32 0x7f, v35
	s_cbranch_execz .LBB309_1081
; %bb.1078:                             ;   in Loop: Header=BB309_11 Depth=1
	v_and_b32_e32 v18, 7, v4
	v_lshrrev_b32_e32 v19, 3, v35
	s_mov_b32 s19, exec_lo
	v_cmpx_gt_u32_e32 8, v35
; %bb.1079:                             ;   in Loop: Header=BB309_11 Depth=1
	s_delay_alu instid0(VALU_DEP_3) | instskip(NEXT) | instid1(VALU_DEP_1)
	v_clz_i32_u32_e32 v6, v18
	v_min_u32_e32 v18, 32, v6
	s_delay_alu instid0(VALU_DEP_1) | instskip(SKIP_1) | instid1(VALU_DEP_2)
	v_subrev_nc_u32_e32 v6, 28, v18
	v_sub_nc_u32_e32 v19, 29, v18
	v_lshlrev_b64_e32 v[6:7], v6, v[7:8]
	s_delay_alu instid0(VALU_DEP_1)
	v_and_b32_e32 v18, 7, v6
; %bb.1080:                             ;   in Loop: Header=BB309_11 Depth=1
	s_wait_alu 0xfffe
	s_or_b32 exec_lo, exec_lo, s19
	v_lshlrev_b32_e32 v4, 8, v4
	v_lshl_add_u32 v6, v19, 10, 0x2000
	s_delay_alu instid0(VALU_DEP_1) | instskip(SKIP_1) | instid1(VALU_DEP_1)
	v_and_or_b32 v4, 0x8000, v4, v6
	v_lshlrev_b32_e32 v6, 23, v18
	v_lshl_or_b32 v34, v4, 16, v6
.LBB309_1081:                           ;   in Loop: Header=BB309_11 Depth=1
	s_wait_alu 0xfffe
	s_or_b32 exec_lo, exec_lo, s18
.LBB309_1082:                           ;   in Loop: Header=BB309_11 Depth=1
	s_wait_alu 0xfffe
	s_or_b32 exec_lo, exec_lo, s17
.LBB309_1083:                           ;   in Loop: Header=BB309_11 Depth=1
	s_wait_alu 0xfffe
	s_or_b32 exec_lo, exec_lo, s16
	v_lshrrev_b32_e32 v7, 16, v31
	s_mov_b32 s16, exec_lo
	s_delay_alu instid0(VALU_DEP_1) | instskip(NEXT) | instid1(VALU_DEP_1)
	v_and_b32_e32 v4, 0xff, v7
	v_cmpx_ne_u16_e32 0, v4
	s_cbranch_execz .LBB309_1091
; %bb.1084:                             ;   in Loop: Header=BB309_11 Depth=1
	v_mov_b32_e32 v24, 0x8000
	s_mov_b32 s17, exec_lo
	v_cmpx_ne_u16_e32 0x80, v4
	s_cbranch_execz .LBB309_1090
; %bb.1085:                             ;   in Loop: Header=BB309_11 Depth=1
	v_bfe_u32 v19, v31, 16, 7
	v_mov_b32_e32 v24, 0x7c01
	s_mov_b32 s18, exec_lo
	s_delay_alu instid0(VALU_DEP_2)
	v_cmpx_ne_u32_e32 0x7f, v19
	s_cbranch_execz .LBB309_1089
; %bb.1086:                             ;   in Loop: Header=BB309_11 Depth=1
	v_and_b32_e32 v4, 7, v7
	v_lshrrev_b32_e32 v18, 3, v19
	s_mov_b32 s19, exec_lo
	v_cmpx_gt_u32_e32 8, v19
; %bb.1087:                             ;   in Loop: Header=BB309_11 Depth=1
	s_delay_alu instid0(VALU_DEP_3) | instskip(NEXT) | instid1(VALU_DEP_1)
	v_clz_i32_u32_e32 v4, v4
	v_min_u32_e32 v4, 32, v4
	s_delay_alu instid0(VALU_DEP_1) | instskip(SKIP_1) | instid1(VALU_DEP_2)
	v_subrev_nc_u32_e32 v6, 28, v4
	v_sub_nc_u32_e32 v18, 29, v4
	v_lshlrev_b64_e32 v[37:38], v6, v[7:8]
	s_delay_alu instid0(VALU_DEP_1)
	v_and_b32_e32 v4, 7, v37
; %bb.1088:                             ;   in Loop: Header=BB309_11 Depth=1
	s_wait_alu 0xfffe
	s_or_b32 exec_lo, exec_lo, s19
	v_lshlrev_b32_e32 v6, 8, v7
	v_lshl_add_u32 v7, v18, 10, 0x2000
	v_lshlrev_b32_e32 v4, 7, v4
	s_delay_alu instid0(VALU_DEP_3) | instskip(NEXT) | instid1(VALU_DEP_3)
	v_and_b32_e32 v6, 0x8000, v6
	v_and_b32_e32 v7, 0xfc00, v7
	s_delay_alu instid0(VALU_DEP_1)
	v_or3_b32 v24, v6, v7, v4
.LBB309_1089:                           ;   in Loop: Header=BB309_11 Depth=1
	s_wait_alu 0xfffe
	s_or_b32 exec_lo, exec_lo, s18
.LBB309_1090:                           ;   in Loop: Header=BB309_11 Depth=1
	s_wait_alu 0xfffe
	s_or_b32 exec_lo, exec_lo, s17
.LBB309_1091:                           ;   in Loop: Header=BB309_11 Depth=1
	s_wait_alu 0xfffe
	s_or_b32 exec_lo, exec_lo, s16
	v_dual_mov_b32 v4, 0 :: v_dual_mov_b32 v81, 0
	s_mov_b32 s16, exec_lo
	v_cmpx_lt_u64_e64 s[2:3], v[30:31]
	s_cbranch_execz .LBB309_1099
; %bb.1092:                             ;   in Loop: Header=BB309_11 Depth=1
	v_lshrrev_b32_e32 v7, 24, v31
	v_bfrev_b32_e32 v81, 1
	s_mov_b32 s17, exec_lo
	s_delay_alu instid0(VALU_DEP_2)
	v_cmpx_ne_u32_e32 0x80, v7
	s_cbranch_execz .LBB309_1098
; %bb.1093:                             ;   in Loop: Header=BB309_11 Depth=1
	v_and_b32_e32 v30, 0x7f, v7
	v_mov_b32_e32 v81, 0x7c010000
	s_mov_b32 s18, exec_lo
	s_delay_alu instid0(VALU_DEP_2)
	v_cmpx_ne_u32_e32 0x7f, v30
	s_cbranch_execz .LBB309_1097
; %bb.1094:                             ;   in Loop: Header=BB309_11 Depth=1
	v_and_b32_e32 v18, 7, v7
	v_lshrrev_b32_e32 v19, 3, v30
	s_mov_b32 s19, exec_lo
	v_cmpx_gt_u32_e32 8, v30
; %bb.1095:                             ;   in Loop: Header=BB309_11 Depth=1
	s_delay_alu instid0(VALU_DEP_3) | instskip(NEXT) | instid1(VALU_DEP_1)
	v_clz_i32_u32_e32 v6, v18
	v_min_u32_e32 v6, 32, v6
	s_delay_alu instid0(VALU_DEP_1) | instskip(NEXT) | instid1(VALU_DEP_1)
	v_subrev_nc_u32_e32 v18, 28, v6
	v_lshlrev_b64_e32 v[18:19], v18, v[7:8]
	v_sub_nc_u32_e32 v19, 29, v6
	s_delay_alu instid0(VALU_DEP_2)
	v_and_b32_e32 v18, 7, v18
; %bb.1096:                             ;   in Loop: Header=BB309_11 Depth=1
	s_wait_alu 0xfffe
	s_or_b32 exec_lo, exec_lo, s19
	v_lshlrev_b32_e32 v6, 8, v7
	v_lshl_add_u32 v7, v19, 10, 0x2000
	s_delay_alu instid0(VALU_DEP_1) | instskip(SKIP_1) | instid1(VALU_DEP_1)
	v_and_or_b32 v6, 0x8000, v6, v7
	v_lshlrev_b32_e32 v7, 23, v18
	v_lshl_or_b32 v81, v6, 16, v7
.LBB309_1097:                           ;   in Loop: Header=BB309_11 Depth=1
	s_wait_alu 0xfffe
	s_or_b32 exec_lo, exec_lo, s18
.LBB309_1098:                           ;   in Loop: Header=BB309_11 Depth=1
	s_wait_alu 0xfffe
	s_or_b32 exec_lo, exec_lo, s17
.LBB309_1099:                           ;   in Loop: Header=BB309_11 Depth=1
	s_wait_alu 0xfffe
	s_or_b32 exec_lo, exec_lo, s16
	flat_load_b64 v[30:31], v[28:29] offset:4104
	s_mov_b32 s16, exec_lo
	s_wait_loadcnt_dscnt 0x0
	v_and_b32_e32 v7, 0xff, v30
	s_delay_alu instid0(VALU_DEP_1)
	v_cmpx_ne_u16_e32 0, v7
	s_cbranch_execz .LBB309_1107
; %bb.1100:                             ;   in Loop: Header=BB309_11 Depth=1
	v_mov_b32_e32 v4, 0x8000
	s_mov_b32 s17, exec_lo
	v_cmpx_ne_u16_e32 0x80, v7
	s_cbranch_execz .LBB309_1106
; %bb.1101:                             ;   in Loop: Header=BB309_11 Depth=1
	v_and_b32_e32 v18, 0x7f, v30
	v_mov_b32_e32 v4, 0x7c01
	s_mov_b32 s18, exec_lo
	s_delay_alu instid0(VALU_DEP_2)
	v_cmpx_ne_u32_e32 0x7f, v18
	s_cbranch_execz .LBB309_1105
; %bb.1102:                             ;   in Loop: Header=BB309_11 Depth=1
	v_and_b32_e32 v4, 7, v30
	v_lshrrev_b32_e32 v7, 3, v18
	s_mov_b32 s19, exec_lo
	v_cmpx_gt_u32_e32 8, v18
; %bb.1103:                             ;   in Loop: Header=BB309_11 Depth=1
	s_delay_alu instid0(VALU_DEP_3) | instskip(NEXT) | instid1(VALU_DEP_1)
	v_clz_i32_u32_e32 v4, v4
	v_min_u32_e32 v4, 32, v4
	s_delay_alu instid0(VALU_DEP_1) | instskip(NEXT) | instid1(VALU_DEP_1)
	v_subrev_nc_u32_e32 v6, 28, v4
	v_lshlrev_b64_e32 v[6:7], v6, v[30:31]
	v_sub_nc_u32_e32 v7, 29, v4
	s_delay_alu instid0(VALU_DEP_2)
	v_and_b32_e32 v4, 7, v6
; %bb.1104:                             ;   in Loop: Header=BB309_11 Depth=1
	s_wait_alu 0xfffe
	s_or_b32 exec_lo, exec_lo, s19
	v_lshlrev_b32_e32 v6, 8, v30
	v_lshl_add_u32 v7, v7, 10, 0x2000
	v_lshlrev_b32_e32 v4, 7, v4
	s_delay_alu instid0(VALU_DEP_3) | instskip(NEXT) | instid1(VALU_DEP_3)
	v_and_b32_e32 v6, 0x8000, v6
	v_and_b32_e32 v7, 0xfc00, v7
	s_delay_alu instid0(VALU_DEP_1)
	v_or3_b32 v4, v6, v7, v4
.LBB309_1105:                           ;   in Loop: Header=BB309_11 Depth=1
	s_wait_alu 0xfffe
	s_or_b32 exec_lo, exec_lo, s18
.LBB309_1106:                           ;   in Loop: Header=BB309_11 Depth=1
	s_wait_alu 0xfffe
	s_or_b32 exec_lo, exec_lo, s17
.LBB309_1107:                           ;   in Loop: Header=BB309_11 Depth=1
	s_wait_alu 0xfffe
	s_or_b32 exec_lo, exec_lo, s16
	v_lshrrev_b16 v7, 8, v30
	v_dual_mov_b32 v19, 0 :: v_dual_mov_b32 v18, 0
	s_mov_b32 s16, exec_lo
	s_delay_alu instid0(VALU_DEP_2)
	v_cmpx_ne_u16_e32 0, v7
	s_cbranch_execz .LBB309_1115
; %bb.1108:                             ;   in Loop: Header=BB309_11 Depth=1
	v_bfrev_b32_e32 v18, 1
	s_mov_b32 s17, exec_lo
	v_cmpx_ne_u16_e32 0x80, v7
	s_cbranch_execz .LBB309_1114
; %bb.1109:                             ;   in Loop: Header=BB309_11 Depth=1
	v_and_b32_e32 v35, 0xffff, v7
	v_mov_b32_e32 v18, 0x7c010000
	s_mov_b32 s18, exec_lo
	s_delay_alu instid0(VALU_DEP_2) | instskip(NEXT) | instid1(VALU_DEP_1)
	v_and_b32_e32 v38, 0x7f, v35
	v_cmpx_ne_u32_e32 0x7f, v38
	s_cbranch_execz .LBB309_1113
; %bb.1110:                             ;   in Loop: Header=BB309_11 Depth=1
	v_and_b32_e32 v18, 7, v35
	v_lshrrev_b32_e32 v37, 3, v38
	s_mov_b32 s19, exec_lo
	v_cmpx_gt_u32_e32 8, v38
; %bb.1111:                             ;   in Loop: Header=BB309_11 Depth=1
	s_delay_alu instid0(VALU_DEP_3) | instskip(NEXT) | instid1(VALU_DEP_1)
	v_clz_i32_u32_e32 v6, v18
	v_min_u32_e32 v18, 32, v6
	s_delay_alu instid0(VALU_DEP_1) | instskip(SKIP_1) | instid1(VALU_DEP_2)
	v_subrev_nc_u32_e32 v6, 28, v18
	v_sub_nc_u32_e32 v37, 29, v18
	v_lshlrev_b64_e32 v[6:7], v6, v[7:8]
	s_delay_alu instid0(VALU_DEP_1)
	v_and_b32_e32 v18, 7, v6
; %bb.1112:                             ;   in Loop: Header=BB309_11 Depth=1
	s_wait_alu 0xfffe
	s_or_b32 exec_lo, exec_lo, s19
	v_lshlrev_b32_e32 v6, 8, v35
	v_lshl_add_u32 v7, v37, 10, 0x2000
	s_delay_alu instid0(VALU_DEP_1) | instskip(SKIP_1) | instid1(VALU_DEP_1)
	v_and_or_b32 v6, 0x8000, v6, v7
	v_lshlrev_b32_e32 v7, 23, v18
	v_lshl_or_b32 v18, v6, 16, v7
.LBB309_1113:                           ;   in Loop: Header=BB309_11 Depth=1
	s_wait_alu 0xfffe
	s_or_b32 exec_lo, exec_lo, s18
.LBB309_1114:                           ;   in Loop: Header=BB309_11 Depth=1
	s_wait_alu 0xfffe
	s_or_b32 exec_lo, exec_lo, s17
.LBB309_1115:                           ;   in Loop: Header=BB309_11 Depth=1
	s_wait_alu 0xfffe
	s_or_b32 exec_lo, exec_lo, s16
	v_lshrrev_b32_e32 v7, 16, v30
	s_mov_b32 s16, exec_lo
	s_delay_alu instid0(VALU_DEP_1) | instskip(NEXT) | instid1(VALU_DEP_1)
	v_and_b32_e32 v35, 0xff, v7
	v_cmpx_ne_u16_e32 0, v35
	s_cbranch_execz .LBB309_1123
; %bb.1116:                             ;   in Loop: Header=BB309_11 Depth=1
	v_mov_b32_e32 v19, 0x8000
	s_mov_b32 s17, exec_lo
	v_cmpx_ne_u16_e32 0x80, v35
	s_cbranch_execz .LBB309_1122
; %bb.1117:                             ;   in Loop: Header=BB309_11 Depth=1
	v_bfe_u32 v37, v30, 16, 7
	v_mov_b32_e32 v19, 0x7c01
	s_mov_b32 s18, exec_lo
	s_delay_alu instid0(VALU_DEP_2)
	v_cmpx_ne_u32_e32 0x7f, v37
	s_cbranch_execz .LBB309_1121
; %bb.1118:                             ;   in Loop: Header=BB309_11 Depth=1
	v_and_b32_e32 v19, 7, v7
	v_lshrrev_b32_e32 v35, 3, v37
	s_mov_b32 s19, exec_lo
	v_cmpx_gt_u32_e32 8, v37
; %bb.1119:                             ;   in Loop: Header=BB309_11 Depth=1
	s_delay_alu instid0(VALU_DEP_3) | instskip(NEXT) | instid1(VALU_DEP_1)
	v_clz_i32_u32_e32 v6, v19
	v_min_u32_e32 v6, 32, v6
	s_delay_alu instid0(VALU_DEP_1) | instskip(SKIP_1) | instid1(VALU_DEP_2)
	v_subrev_nc_u32_e32 v19, 28, v6
	v_sub_nc_u32_e32 v35, 29, v6
	v_lshlrev_b64_e32 v[37:38], v19, v[7:8]
	s_delay_alu instid0(VALU_DEP_1)
	v_and_b32_e32 v19, 7, v37
; %bb.1120:                             ;   in Loop: Header=BB309_11 Depth=1
	s_wait_alu 0xfffe
	s_or_b32 exec_lo, exec_lo, s19
	v_lshlrev_b32_e32 v6, 8, v7
	v_lshl_add_u32 v7, v35, 10, 0x2000
	v_lshlrev_b32_e32 v19, 7, v19
	s_delay_alu instid0(VALU_DEP_3) | instskip(NEXT) | instid1(VALU_DEP_3)
	v_and_b32_e32 v6, 0x8000, v6
	v_and_b32_e32 v7, 0xfc00, v7
	s_delay_alu instid0(VALU_DEP_1)
	v_or3_b32 v19, v6, v7, v19
.LBB309_1121:                           ;   in Loop: Header=BB309_11 Depth=1
	s_wait_alu 0xfffe
	s_or_b32 exec_lo, exec_lo, s18
.LBB309_1122:                           ;   in Loop: Header=BB309_11 Depth=1
	s_wait_alu 0xfffe
	s_or_b32 exec_lo, exec_lo, s17
.LBB309_1123:                           ;   in Loop: Header=BB309_11 Depth=1
	s_wait_alu 0xfffe
	s_or_b32 exec_lo, exec_lo, s16
	v_mov_b32_e32 v35, 0
	v_mov_b32_e32 v37, 0
	s_mov_b32 s16, exec_lo
	v_cmpx_lt_u32_e32 0xffffff, v30
	s_cbranch_execz .LBB309_1131
; %bb.1124:                             ;   in Loop: Header=BB309_11 Depth=1
	v_lshrrev_b32_e32 v7, 24, v30
	v_bfrev_b32_e32 v37, 1
	s_mov_b32 s17, exec_lo
	s_delay_alu instid0(VALU_DEP_2)
	v_cmpx_ne_u32_e32 0x80, v7
	s_cbranch_execz .LBB309_1130
; %bb.1125:                             ;   in Loop: Header=BB309_11 Depth=1
	v_and_b32_e32 v49, 0x7f, v7
	v_mov_b32_e32 v37, 0x7c010000
	s_mov_b32 s18, exec_lo
	s_delay_alu instid0(VALU_DEP_2)
	v_cmpx_ne_u32_e32 0x7f, v49
	s_cbranch_execz .LBB309_1129
; %bb.1126:                             ;   in Loop: Header=BB309_11 Depth=1
	v_and_b32_e32 v37, 7, v7
	v_lshrrev_b32_e32 v38, 3, v49
	s_mov_b32 s19, exec_lo
	v_cmpx_gt_u32_e32 8, v49
; %bb.1127:                             ;   in Loop: Header=BB309_11 Depth=1
	s_delay_alu instid0(VALU_DEP_3) | instskip(NEXT) | instid1(VALU_DEP_1)
	v_clz_i32_u32_e32 v6, v37
	v_min_u32_e32 v6, 32, v6
	s_delay_alu instid0(VALU_DEP_1) | instskip(NEXT) | instid1(VALU_DEP_1)
	v_subrev_nc_u32_e32 v37, 28, v6
	v_lshlrev_b64_e32 v[37:38], v37, v[7:8]
	v_sub_nc_u32_e32 v38, 29, v6
	s_delay_alu instid0(VALU_DEP_2)
	v_and_b32_e32 v37, 7, v37
; %bb.1128:                             ;   in Loop: Header=BB309_11 Depth=1
	s_wait_alu 0xfffe
	s_or_b32 exec_lo, exec_lo, s19
	v_lshlrev_b32_e32 v6, 8, v7
	v_lshl_add_u32 v7, v38, 10, 0x2000
	s_delay_alu instid0(VALU_DEP_1) | instskip(SKIP_1) | instid1(VALU_DEP_1)
	v_and_or_b32 v6, 0x8000, v6, v7
	v_lshlrev_b32_e32 v7, 23, v37
	v_lshl_or_b32 v37, v6, 16, v7
.LBB309_1129:                           ;   in Loop: Header=BB309_11 Depth=1
	s_wait_alu 0xfffe
	s_or_b32 exec_lo, exec_lo, s18
.LBB309_1130:                           ;   in Loop: Header=BB309_11 Depth=1
	s_wait_alu 0xfffe
	s_or_b32 exec_lo, exec_lo, s17
.LBB309_1131:                           ;   in Loop: Header=BB309_11 Depth=1
	s_wait_alu 0xfffe
	s_or_b32 exec_lo, exec_lo, s16
	v_dual_mov_b32 v7, v31 :: v_dual_and_b32 v38, 0xff, v31
	s_mov_b32 s16, exec_lo
	s_delay_alu instid0(VALU_DEP_1)
	v_cmpx_ne_u16_e32 0, v38
	s_cbranch_execz .LBB309_1139
; %bb.1132:                             ;   in Loop: Header=BB309_11 Depth=1
	v_mov_b32_e32 v35, 0x8000
	s_mov_b32 s17, exec_lo
	v_cmpx_ne_u16_e32 0x80, v38
	s_cbranch_execz .LBB309_1138
; %bb.1133:                             ;   in Loop: Header=BB309_11 Depth=1
	v_and_b32_e32 v49, 0x7f, v31
	v_mov_b32_e32 v35, 0x7c01
	s_mov_b32 s18, exec_lo
	s_delay_alu instid0(VALU_DEP_2)
	v_cmpx_ne_u32_e32 0x7f, v49
	s_cbranch_execz .LBB309_1137
; %bb.1134:                             ;   in Loop: Header=BB309_11 Depth=1
	v_and_b32_e32 v35, 7, v31
	v_lshrrev_b32_e32 v38, 3, v49
	s_mov_b32 s19, exec_lo
	v_cmpx_gt_u32_e32 8, v49
; %bb.1135:                             ;   in Loop: Header=BB309_11 Depth=1
	s_delay_alu instid0(VALU_DEP_3) | instskip(NEXT) | instid1(VALU_DEP_1)
	v_clz_i32_u32_e32 v6, v35
	v_min_u32_e32 v6, 32, v6
	s_delay_alu instid0(VALU_DEP_1) | instskip(SKIP_1) | instid1(VALU_DEP_2)
	v_subrev_nc_u32_e32 v35, 28, v6
	v_sub_nc_u32_e32 v38, 29, v6
	v_lshlrev_b64_e32 v[49:50], v35, v[7:8]
	s_delay_alu instid0(VALU_DEP_1)
	v_and_b32_e32 v35, 7, v49
; %bb.1136:                             ;   in Loop: Header=BB309_11 Depth=1
	s_wait_alu 0xfffe
	s_or_b32 exec_lo, exec_lo, s19
	v_lshlrev_b32_e32 v6, 8, v31
	v_lshl_add_u32 v38, v38, 10, 0x2000
	v_lshlrev_b32_e32 v35, 7, v35
	s_delay_alu instid0(VALU_DEP_3) | instskip(NEXT) | instid1(VALU_DEP_3)
	v_and_b32_e32 v6, 0x8000, v6
	v_and_b32_e32 v38, 0xfc00, v38
	s_delay_alu instid0(VALU_DEP_1)
	v_or3_b32 v35, v6, v38, v35
.LBB309_1137:                           ;   in Loop: Header=BB309_11 Depth=1
	s_wait_alu 0xfffe
	s_or_b32 exec_lo, exec_lo, s18
.LBB309_1138:                           ;   in Loop: Header=BB309_11 Depth=1
	s_wait_alu 0xfffe
	s_or_b32 exec_lo, exec_lo, s17
.LBB309_1139:                           ;   in Loop: Header=BB309_11 Depth=1
	s_wait_alu 0xfffe
	s_or_b32 exec_lo, exec_lo, s16
	v_lshrrev_b16 v7, 8, v7
	v_mov_b32_e32 v100, 0
	v_mov_b32_e32 v102, 0
	s_mov_b32 s16, exec_lo
	s_delay_alu instid0(VALU_DEP_3)
	v_cmpx_ne_u16_e32 0, v7
	s_cbranch_execz .LBB309_1147
; %bb.1140:                             ;   in Loop: Header=BB309_11 Depth=1
	v_bfrev_b32_e32 v102, 1
	s_mov_b32 s17, exec_lo
	v_cmpx_ne_u16_e32 0x80, v7
	s_cbranch_execz .LBB309_1146
; %bb.1141:                             ;   in Loop: Header=BB309_11 Depth=1
	v_and_b32_e32 v38, 0xffff, v7
	v_mov_b32_e32 v102, 0x7c010000
	s_mov_b32 s18, exec_lo
	s_delay_alu instid0(VALU_DEP_2) | instskip(NEXT) | instid1(VALU_DEP_1)
	v_and_b32_e32 v54, 0x7f, v38
	v_cmpx_ne_u32_e32 0x7f, v54
	s_cbranch_execz .LBB309_1145
; %bb.1142:                             ;   in Loop: Header=BB309_11 Depth=1
	v_and_b32_e32 v49, 7, v38
	v_lshrrev_b32_e32 v53, 3, v54
	s_mov_b32 s19, exec_lo
	v_cmpx_gt_u32_e32 8, v54
; %bb.1143:                             ;   in Loop: Header=BB309_11 Depth=1
	s_delay_alu instid0(VALU_DEP_3) | instskip(NEXT) | instid1(VALU_DEP_1)
	v_clz_i32_u32_e32 v6, v49
	v_min_u32_e32 v49, 32, v6
	s_delay_alu instid0(VALU_DEP_1) | instskip(SKIP_1) | instid1(VALU_DEP_2)
	v_subrev_nc_u32_e32 v6, 28, v49
	v_sub_nc_u32_e32 v53, 29, v49
	v_lshlrev_b64_e32 v[6:7], v6, v[7:8]
	s_delay_alu instid0(VALU_DEP_1)
	v_and_b32_e32 v49, 7, v6
; %bb.1144:                             ;   in Loop: Header=BB309_11 Depth=1
	s_wait_alu 0xfffe
	s_or_b32 exec_lo, exec_lo, s19
	v_lshlrev_b32_e32 v6, 8, v38
	v_lshl_add_u32 v7, v53, 10, 0x2000
	s_delay_alu instid0(VALU_DEP_1) | instskip(SKIP_1) | instid1(VALU_DEP_1)
	v_and_or_b32 v6, 0x8000, v6, v7
	v_lshlrev_b32_e32 v7, 23, v49
	v_lshl_or_b32 v102, v6, 16, v7
.LBB309_1145:                           ;   in Loop: Header=BB309_11 Depth=1
	s_wait_alu 0xfffe
	s_or_b32 exec_lo, exec_lo, s18
.LBB309_1146:                           ;   in Loop: Header=BB309_11 Depth=1
	s_wait_alu 0xfffe
	s_or_b32 exec_lo, exec_lo, s17
.LBB309_1147:                           ;   in Loop: Header=BB309_11 Depth=1
	s_wait_alu 0xfffe
	s_or_b32 exec_lo, exec_lo, s16
	v_lshrrev_b32_e32 v7, 16, v31
	s_mov_b32 s16, exec_lo
	s_delay_alu instid0(VALU_DEP_1) | instskip(NEXT) | instid1(VALU_DEP_1)
	v_and_b32_e32 v38, 0xff, v7
	v_cmpx_ne_u16_e32 0, v38
	s_cbranch_execz .LBB309_1155
; %bb.1148:                             ;   in Loop: Header=BB309_11 Depth=1
	v_mov_b32_e32 v100, 0x8000
	s_mov_b32 s17, exec_lo
	v_cmpx_ne_u16_e32 0x80, v38
	s_cbranch_execz .LBB309_1154
; %bb.1149:                             ;   in Loop: Header=BB309_11 Depth=1
	v_bfe_u32 v53, v31, 16, 7
	v_mov_b32_e32 v100, 0x7c01
	s_mov_b32 s18, exec_lo
	s_delay_alu instid0(VALU_DEP_2)
	v_cmpx_ne_u32_e32 0x7f, v53
	s_cbranch_execz .LBB309_1153
; %bb.1150:                             ;   in Loop: Header=BB309_11 Depth=1
	v_and_b32_e32 v38, 7, v7
	v_lshrrev_b32_e32 v49, 3, v53
	s_mov_b32 s19, exec_lo
	v_cmpx_gt_u32_e32 8, v53
; %bb.1151:                             ;   in Loop: Header=BB309_11 Depth=1
	s_delay_alu instid0(VALU_DEP_3) | instskip(NEXT) | instid1(VALU_DEP_1)
	v_clz_i32_u32_e32 v6, v38
	v_min_u32_e32 v6, 32, v6
	s_delay_alu instid0(VALU_DEP_1) | instskip(SKIP_1) | instid1(VALU_DEP_2)
	v_subrev_nc_u32_e32 v38, 28, v6
	v_sub_nc_u32_e32 v49, 29, v6
	v_lshlrev_b64_e32 v[53:54], v38, v[7:8]
	s_delay_alu instid0(VALU_DEP_1)
	v_and_b32_e32 v38, 7, v53
; %bb.1152:                             ;   in Loop: Header=BB309_11 Depth=1
	s_wait_alu 0xfffe
	s_or_b32 exec_lo, exec_lo, s19
	v_lshlrev_b32_e32 v6, 8, v7
	v_lshl_add_u32 v7, v49, 10, 0x2000
	v_lshlrev_b32_e32 v38, 7, v38
	s_delay_alu instid0(VALU_DEP_3) | instskip(NEXT) | instid1(VALU_DEP_3)
	v_and_b32_e32 v6, 0x8000, v6
	v_and_b32_e32 v7, 0xfc00, v7
	s_delay_alu instid0(VALU_DEP_1)
	v_or3_b32 v100, v6, v7, v38
.LBB309_1153:                           ;   in Loop: Header=BB309_11 Depth=1
	s_wait_alu 0xfffe
	s_or_b32 exec_lo, exec_lo, s18
.LBB309_1154:                           ;   in Loop: Header=BB309_11 Depth=1
	s_wait_alu 0xfffe
	s_or_b32 exec_lo, exec_lo, s17
.LBB309_1155:                           ;   in Loop: Header=BB309_11 Depth=1
	s_wait_alu 0xfffe
	s_or_b32 exec_lo, exec_lo, s16
	v_dual_mov_b32 v38, 0 :: v_dual_mov_b32 v103, 0
	s_mov_b32 s16, exec_lo
	v_cmpx_lt_u64_e64 s[2:3], v[30:31]
	s_cbranch_execz .LBB309_1163
; %bb.1156:                             ;   in Loop: Header=BB309_11 Depth=1
	v_lshrrev_b32_e32 v7, 24, v31
	v_bfrev_b32_e32 v103, 1
	s_mov_b32 s17, exec_lo
	s_delay_alu instid0(VALU_DEP_2)
	v_cmpx_ne_u32_e32 0x80, v7
	s_cbranch_execz .LBB309_1162
; %bb.1157:                             ;   in Loop: Header=BB309_11 Depth=1
	v_and_b32_e32 v49, 0x7f, v7
	v_mov_b32_e32 v103, 0x7c010000
	s_mov_b32 s18, exec_lo
	s_delay_alu instid0(VALU_DEP_2)
	v_cmpx_ne_u32_e32 0x7f, v49
	s_cbranch_execz .LBB309_1161
; %bb.1158:                             ;   in Loop: Header=BB309_11 Depth=1
	v_and_b32_e32 v30, 7, v7
	v_lshrrev_b32_e32 v31, 3, v49
	s_mov_b32 s19, exec_lo
	v_cmpx_gt_u32_e32 8, v49
; %bb.1159:                             ;   in Loop: Header=BB309_11 Depth=1
	s_delay_alu instid0(VALU_DEP_3) | instskip(NEXT) | instid1(VALU_DEP_1)
	v_clz_i32_u32_e32 v6, v30
	v_min_u32_e32 v6, 32, v6
	s_delay_alu instid0(VALU_DEP_1) | instskip(NEXT) | instid1(VALU_DEP_1)
	v_subrev_nc_u32_e32 v30, 28, v6
	v_lshlrev_b64_e32 v[30:31], v30, v[7:8]
	v_sub_nc_u32_e32 v31, 29, v6
	s_delay_alu instid0(VALU_DEP_2)
	v_and_b32_e32 v30, 7, v30
; %bb.1160:                             ;   in Loop: Header=BB309_11 Depth=1
	s_wait_alu 0xfffe
	s_or_b32 exec_lo, exec_lo, s19
	v_lshlrev_b32_e32 v6, 8, v7
	v_lshl_add_u32 v7, v31, 10, 0x2000
	s_delay_alu instid0(VALU_DEP_1) | instskip(SKIP_1) | instid1(VALU_DEP_1)
	v_and_or_b32 v6, 0x8000, v6, v7
	v_lshlrev_b32_e32 v7, 23, v30
	v_lshl_or_b32 v103, v6, 16, v7
.LBB309_1161:                           ;   in Loop: Header=BB309_11 Depth=1
	s_wait_alu 0xfffe
	s_or_b32 exec_lo, exec_lo, s18
.LBB309_1162:                           ;   in Loop: Header=BB309_11 Depth=1
	s_wait_alu 0xfffe
	s_or_b32 exec_lo, exec_lo, s17
.LBB309_1163:                           ;   in Loop: Header=BB309_11 Depth=1
	s_wait_alu 0xfffe
	s_or_b32 exec_lo, exec_lo, s16
	flat_load_b64 v[30:31], v[28:29] offset:4608
	s_mov_b32 s16, exec_lo
	s_wait_loadcnt_dscnt 0x0
	v_and_b32_e32 v7, 0xff, v30
	s_delay_alu instid0(VALU_DEP_1)
	v_cmpx_ne_u16_e32 0, v7
	s_cbranch_execz .LBB309_1171
; %bb.1164:                             ;   in Loop: Header=BB309_11 Depth=1
	v_mov_b32_e32 v38, 0x8000
	s_mov_b32 s17, exec_lo
	v_cmpx_ne_u16_e32 0x80, v7
	s_cbranch_execz .LBB309_1170
; %bb.1165:                             ;   in Loop: Header=BB309_11 Depth=1
	v_and_b32_e32 v49, 0x7f, v30
	v_mov_b32_e32 v38, 0x7c01
	s_mov_b32 s18, exec_lo
	s_delay_alu instid0(VALU_DEP_2)
	v_cmpx_ne_u32_e32 0x7f, v49
	s_cbranch_execz .LBB309_1169
; %bb.1166:                             ;   in Loop: Header=BB309_11 Depth=1
	v_and_b32_e32 v7, 7, v30
	v_lshrrev_b32_e32 v38, 3, v49
	s_mov_b32 s19, exec_lo
	v_cmpx_gt_u32_e32 8, v49
; %bb.1167:                             ;   in Loop: Header=BB309_11 Depth=1
	s_delay_alu instid0(VALU_DEP_3) | instskip(NEXT) | instid1(VALU_DEP_1)
	v_clz_i32_u32_e32 v6, v7
	v_min_u32_e32 v38, 32, v6
	s_delay_alu instid0(VALU_DEP_1) | instskip(SKIP_1) | instid1(VALU_DEP_2)
	v_subrev_nc_u32_e32 v6, 28, v38
	v_sub_nc_u32_e32 v38, 29, v38
	v_lshlrev_b64_e32 v[6:7], v6, v[30:31]
	s_delay_alu instid0(VALU_DEP_1)
	v_and_b32_e32 v7, 7, v6
; %bb.1168:                             ;   in Loop: Header=BB309_11 Depth=1
	s_wait_alu 0xfffe
	s_or_b32 exec_lo, exec_lo, s19
	v_lshlrev_b32_e32 v6, 8, v30
	v_lshl_add_u32 v38, v38, 10, 0x2000
	v_lshlrev_b32_e32 v7, 7, v7
	s_delay_alu instid0(VALU_DEP_3) | instskip(NEXT) | instid1(VALU_DEP_3)
	v_and_b32_e32 v6, 0x8000, v6
	v_and_b32_e32 v38, 0xfc00, v38
	s_delay_alu instid0(VALU_DEP_1)
	v_or3_b32 v38, v6, v38, v7
.LBB309_1169:                           ;   in Loop: Header=BB309_11 Depth=1
	s_wait_alu 0xfffe
	s_or_b32 exec_lo, exec_lo, s18
.LBB309_1170:                           ;   in Loop: Header=BB309_11 Depth=1
	s_wait_alu 0xfffe
	s_or_b32 exec_lo, exec_lo, s17
.LBB309_1171:                           ;   in Loop: Header=BB309_11 Depth=1
	s_wait_alu 0xfffe
	s_or_b32 exec_lo, exec_lo, s16
	v_lshrrev_b16 v7, 8, v30
	v_dual_mov_b32 v158, 0 :: v_dual_mov_b32 v157, 0
	s_mov_b32 s16, exec_lo
	s_delay_alu instid0(VALU_DEP_2)
	v_cmpx_ne_u16_e32 0, v7
	s_cbranch_execz .LBB309_1179
; %bb.1172:                             ;   in Loop: Header=BB309_11 Depth=1
	v_bfrev_b32_e32 v157, 1
	s_mov_b32 s17, exec_lo
	v_cmpx_ne_u16_e32 0x80, v7
	s_cbranch_execz .LBB309_1178
; %bb.1173:                             ;   in Loop: Header=BB309_11 Depth=1
	v_and_b32_e32 v49, 0xffff, v7
	v_mov_b32_e32 v157, 0x7c010000
	s_mov_b32 s18, exec_lo
	s_delay_alu instid0(VALU_DEP_2) | instskip(NEXT) | instid1(VALU_DEP_1)
	v_and_b32_e32 v64, 0x7f, v49
	v_cmpx_ne_u32_e32 0x7f, v64
	s_cbranch_execz .LBB309_1177
; %bb.1174:                             ;   in Loop: Header=BB309_11 Depth=1
	v_and_b32_e32 v53, 7, v49
	v_lshrrev_b32_e32 v54, 3, v64
	s_mov_b32 s19, exec_lo
	v_cmpx_gt_u32_e32 8, v64
; %bb.1175:                             ;   in Loop: Header=BB309_11 Depth=1
	s_delay_alu instid0(VALU_DEP_3) | instskip(NEXT) | instid1(VALU_DEP_1)
	v_clz_i32_u32_e32 v6, v53
	v_min_u32_e32 v50, 32, v6
	s_delay_alu instid0(VALU_DEP_1) | instskip(SKIP_1) | instid1(VALU_DEP_2)
	v_subrev_nc_u32_e32 v6, 28, v50
	v_sub_nc_u32_e32 v54, 29, v50
	v_lshlrev_b64_e32 v[6:7], v6, v[7:8]
	s_delay_alu instid0(VALU_DEP_1)
	v_and_b32_e32 v53, 7, v6
; %bb.1176:                             ;   in Loop: Header=BB309_11 Depth=1
	s_wait_alu 0xfffe
	s_or_b32 exec_lo, exec_lo, s19
	v_lshlrev_b32_e32 v6, 8, v49
	v_lshl_add_u32 v7, v54, 10, 0x2000
	s_delay_alu instid0(VALU_DEP_1) | instskip(SKIP_1) | instid1(VALU_DEP_1)
	v_and_or_b32 v6, 0x8000, v6, v7
	v_lshlrev_b32_e32 v7, 23, v53
	v_lshl_or_b32 v157, v6, 16, v7
.LBB309_1177:                           ;   in Loop: Header=BB309_11 Depth=1
	s_wait_alu 0xfffe
	s_or_b32 exec_lo, exec_lo, s18
.LBB309_1178:                           ;   in Loop: Header=BB309_11 Depth=1
	s_wait_alu 0xfffe
	s_or_b32 exec_lo, exec_lo, s17
.LBB309_1179:                           ;   in Loop: Header=BB309_11 Depth=1
	s_wait_alu 0xfffe
	s_or_b32 exec_lo, exec_lo, s16
	v_lshrrev_b32_e32 v7, 16, v30
	s_mov_b32 s16, exec_lo
	s_delay_alu instid0(VALU_DEP_1) | instskip(NEXT) | instid1(VALU_DEP_1)
	v_and_b32_e32 v49, 0xff, v7
	v_cmpx_ne_u16_e32 0, v49
	s_cbranch_execz .LBB309_1187
; %bb.1180:                             ;   in Loop: Header=BB309_11 Depth=1
	v_mov_b32_e32 v158, 0x8000
	s_mov_b32 s17, exec_lo
	v_cmpx_ne_u16_e32 0x80, v49
	s_cbranch_execz .LBB309_1186
; %bb.1181:                             ;   in Loop: Header=BB309_11 Depth=1
	v_bfe_u32 v54, v30, 16, 7
	v_mov_b32_e32 v158, 0x7c01
	s_mov_b32 s18, exec_lo
	s_delay_alu instid0(VALU_DEP_2)
	v_cmpx_ne_u32_e32 0x7f, v54
	s_cbranch_execz .LBB309_1185
; %bb.1182:                             ;   in Loop: Header=BB309_11 Depth=1
	v_and_b32_e32 v49, 7, v7
	v_lshrrev_b32_e32 v53, 3, v54
	s_mov_b32 s19, exec_lo
	v_cmpx_gt_u32_e32 8, v54
; %bb.1183:                             ;   in Loop: Header=BB309_11 Depth=1
	s_delay_alu instid0(VALU_DEP_3) | instskip(NEXT) | instid1(VALU_DEP_1)
	v_clz_i32_u32_e32 v6, v49
	v_min_u32_e32 v6, 32, v6
	s_delay_alu instid0(VALU_DEP_1) | instskip(SKIP_1) | instid1(VALU_DEP_2)
	v_subrev_nc_u32_e32 v49, 28, v6
	v_sub_nc_u32_e32 v53, 29, v6
	v_lshlrev_b64_e32 v[49:50], v49, v[7:8]
	s_delay_alu instid0(VALU_DEP_1)
	v_and_b32_e32 v49, 7, v49
; %bb.1184:                             ;   in Loop: Header=BB309_11 Depth=1
	s_wait_alu 0xfffe
	s_or_b32 exec_lo, exec_lo, s19
	v_lshlrev_b32_e32 v6, 8, v7
	v_lshl_add_u32 v7, v53, 10, 0x2000
	v_lshlrev_b32_e32 v49, 7, v49
	s_delay_alu instid0(VALU_DEP_3) | instskip(NEXT) | instid1(VALU_DEP_3)
	v_and_b32_e32 v6, 0x8000, v6
	v_and_b32_e32 v7, 0xfc00, v7
	s_delay_alu instid0(VALU_DEP_1)
	v_or3_b32 v158, v6, v7, v49
.LBB309_1185:                           ;   in Loop: Header=BB309_11 Depth=1
	s_wait_alu 0xfffe
	s_or_b32 exec_lo, exec_lo, s18
.LBB309_1186:                           ;   in Loop: Header=BB309_11 Depth=1
	s_wait_alu 0xfffe
	s_or_b32 exec_lo, exec_lo, s17
.LBB309_1187:                           ;   in Loop: Header=BB309_11 Depth=1
	s_wait_alu 0xfffe
	s_or_b32 exec_lo, exec_lo, s16
	v_dual_mov_b32 v169, 0 :: v_dual_mov_b32 v170, 0
	s_mov_b32 s16, exec_lo
	v_cmpx_lt_u32_e32 0xffffff, v30
	s_cbranch_execz .LBB309_1195
; %bb.1188:                             ;   in Loop: Header=BB309_11 Depth=1
	v_lshrrev_b32_e32 v7, 24, v30
	v_bfrev_b32_e32 v170, 1
	s_mov_b32 s17, exec_lo
	s_delay_alu instid0(VALU_DEP_2)
	v_cmpx_ne_u32_e32 0x80, v7
	s_cbranch_execz .LBB309_1194
; %bb.1189:                             ;   in Loop: Header=BB309_11 Depth=1
	v_and_b32_e32 v54, 0x7f, v7
	v_mov_b32_e32 v170, 0x7c010000
	s_mov_b32 s18, exec_lo
	s_delay_alu instid0(VALU_DEP_2)
	v_cmpx_ne_u32_e32 0x7f, v54
	s_cbranch_execz .LBB309_1193
; %bb.1190:                             ;   in Loop: Header=BB309_11 Depth=1
	v_and_b32_e32 v49, 7, v7
	v_lshrrev_b32_e32 v53, 3, v54
	s_mov_b32 s19, exec_lo
	v_cmpx_gt_u32_e32 8, v54
; %bb.1191:                             ;   in Loop: Header=BB309_11 Depth=1
	s_delay_alu instid0(VALU_DEP_3) | instskip(NEXT) | instid1(VALU_DEP_1)
	v_clz_i32_u32_e32 v6, v49
	v_min_u32_e32 v6, 32, v6
	s_delay_alu instid0(VALU_DEP_1) | instskip(SKIP_1) | instid1(VALU_DEP_2)
	v_subrev_nc_u32_e32 v49, 28, v6
	v_sub_nc_u32_e32 v53, 29, v6
	v_lshlrev_b64_e32 v[49:50], v49, v[7:8]
	s_delay_alu instid0(VALU_DEP_1)
	v_and_b32_e32 v49, 7, v49
; %bb.1192:                             ;   in Loop: Header=BB309_11 Depth=1
	s_wait_alu 0xfffe
	s_or_b32 exec_lo, exec_lo, s19
	v_lshlrev_b32_e32 v6, 8, v7
	v_lshl_add_u32 v7, v53, 10, 0x2000
	s_delay_alu instid0(VALU_DEP_1) | instskip(SKIP_1) | instid1(VALU_DEP_1)
	v_and_or_b32 v6, 0x8000, v6, v7
	v_lshlrev_b32_e32 v7, 23, v49
	v_lshl_or_b32 v170, v6, 16, v7
.LBB309_1193:                           ;   in Loop: Header=BB309_11 Depth=1
	s_wait_alu 0xfffe
	s_or_b32 exec_lo, exec_lo, s18
.LBB309_1194:                           ;   in Loop: Header=BB309_11 Depth=1
	s_wait_alu 0xfffe
	s_or_b32 exec_lo, exec_lo, s17
.LBB309_1195:                           ;   in Loop: Header=BB309_11 Depth=1
	s_wait_alu 0xfffe
	s_or_b32 exec_lo, exec_lo, s16
	v_and_b32_e32 v49, 0xff, v31
	v_mov_b32_e32 v7, v31
	s_mov_b32 s16, exec_lo
	s_delay_alu instid0(VALU_DEP_2)
	v_cmpx_ne_u16_e32 0, v49
	s_cbranch_execz .LBB309_1203
; %bb.1196:                             ;   in Loop: Header=BB309_11 Depth=1
	v_mov_b32_e32 v169, 0x8000
	s_mov_b32 s17, exec_lo
	v_cmpx_ne_u16_e32 0x80, v49
	s_cbranch_execz .LBB309_1202
; %bb.1197:                             ;   in Loop: Header=BB309_11 Depth=1
	v_and_b32_e32 v54, 0x7f, v31
	v_mov_b32_e32 v169, 0x7c01
	s_mov_b32 s18, exec_lo
	s_delay_alu instid0(VALU_DEP_2)
	v_cmpx_ne_u32_e32 0x7f, v54
	s_cbranch_execz .LBB309_1201
; %bb.1198:                             ;   in Loop: Header=BB309_11 Depth=1
	v_and_b32_e32 v49, 7, v31
	v_lshrrev_b32_e32 v53, 3, v54
	s_mov_b32 s19, exec_lo
	v_cmpx_gt_u32_e32 8, v54
; %bb.1199:                             ;   in Loop: Header=BB309_11 Depth=1
	s_delay_alu instid0(VALU_DEP_3) | instskip(NEXT) | instid1(VALU_DEP_1)
	v_clz_i32_u32_e32 v6, v49
	v_min_u32_e32 v6, 32, v6
	s_delay_alu instid0(VALU_DEP_1) | instskip(SKIP_1) | instid1(VALU_DEP_2)
	v_subrev_nc_u32_e32 v49, 28, v6
	v_sub_nc_u32_e32 v53, 29, v6
	v_lshlrev_b64_e32 v[49:50], v49, v[7:8]
	s_delay_alu instid0(VALU_DEP_1)
	v_and_b32_e32 v49, 7, v49
; %bb.1200:                             ;   in Loop: Header=BB309_11 Depth=1
	s_wait_alu 0xfffe
	s_or_b32 exec_lo, exec_lo, s19
	v_lshlrev_b32_e32 v6, 8, v31
	v_lshl_add_u32 v50, v53, 10, 0x2000
	v_lshlrev_b32_e32 v49, 7, v49
	s_delay_alu instid0(VALU_DEP_3) | instskip(NEXT) | instid1(VALU_DEP_3)
	v_and_b32_e32 v6, 0x8000, v6
	v_and_b32_e32 v50, 0xfc00, v50
	s_delay_alu instid0(VALU_DEP_1)
	v_or3_b32 v169, v6, v50, v49
.LBB309_1201:                           ;   in Loop: Header=BB309_11 Depth=1
	s_wait_alu 0xfffe
	s_or_b32 exec_lo, exec_lo, s18
.LBB309_1202:                           ;   in Loop: Header=BB309_11 Depth=1
	s_wait_alu 0xfffe
	s_or_b32 exec_lo, exec_lo, s17
.LBB309_1203:                           ;   in Loop: Header=BB309_11 Depth=1
	s_wait_alu 0xfffe
	s_or_b32 exec_lo, exec_lo, s16
	v_lshrrev_b16 v7, 8, v7
	v_dual_mov_b32 v185, 0 :: v_dual_mov_b32 v186, 0
	s_mov_b32 s16, exec_lo
	s_delay_alu instid0(VALU_DEP_2)
	v_cmpx_ne_u16_e32 0, v7
	s_cbranch_execz .LBB309_1211
; %bb.1204:                             ;   in Loop: Header=BB309_11 Depth=1
	v_bfrev_b32_e32 v186, 1
	s_mov_b32 s17, exec_lo
	v_cmpx_ne_u16_e32 0x80, v7
	s_cbranch_execz .LBB309_1210
; %bb.1205:                             ;   in Loop: Header=BB309_11 Depth=1
	v_and_b32_e32 v49, 0xffff, v7
	v_mov_b32_e32 v186, 0x7c010000
	s_mov_b32 s18, exec_lo
	s_delay_alu instid0(VALU_DEP_2) | instskip(NEXT) | instid1(VALU_DEP_1)
	v_and_b32_e32 v64, 0x7f, v49
	v_cmpx_ne_u32_e32 0x7f, v64
	s_cbranch_execz .LBB309_1209
; %bb.1206:                             ;   in Loop: Header=BB309_11 Depth=1
	v_and_b32_e32 v53, 7, v49
	v_lshrrev_b32_e32 v54, 3, v64
	s_mov_b32 s19, exec_lo
	v_cmpx_gt_u32_e32 8, v64
; %bb.1207:                             ;   in Loop: Header=BB309_11 Depth=1
	s_delay_alu instid0(VALU_DEP_3) | instskip(NEXT) | instid1(VALU_DEP_1)
	v_clz_i32_u32_e32 v6, v53
	v_min_u32_e32 v50, 32, v6
	s_delay_alu instid0(VALU_DEP_1) | instskip(SKIP_1) | instid1(VALU_DEP_2)
	v_subrev_nc_u32_e32 v6, 28, v50
	v_sub_nc_u32_e32 v54, 29, v50
	v_lshlrev_b64_e32 v[6:7], v6, v[7:8]
	s_delay_alu instid0(VALU_DEP_1)
	v_and_b32_e32 v53, 7, v6
; %bb.1208:                             ;   in Loop: Header=BB309_11 Depth=1
	s_wait_alu 0xfffe
	s_or_b32 exec_lo, exec_lo, s19
	v_lshlrev_b32_e32 v6, 8, v49
	v_lshl_add_u32 v7, v54, 10, 0x2000
	s_delay_alu instid0(VALU_DEP_1) | instskip(SKIP_1) | instid1(VALU_DEP_1)
	v_and_or_b32 v6, 0x8000, v6, v7
	v_lshlrev_b32_e32 v7, 23, v53
	v_lshl_or_b32 v186, v6, 16, v7
.LBB309_1209:                           ;   in Loop: Header=BB309_11 Depth=1
	s_wait_alu 0xfffe
	s_or_b32 exec_lo, exec_lo, s18
.LBB309_1210:                           ;   in Loop: Header=BB309_11 Depth=1
	s_wait_alu 0xfffe
	s_or_b32 exec_lo, exec_lo, s17
.LBB309_1211:                           ;   in Loop: Header=BB309_11 Depth=1
	s_wait_alu 0xfffe
	s_or_b32 exec_lo, exec_lo, s16
	v_lshrrev_b32_e32 v7, 16, v31
	s_mov_b32 s16, exec_lo
	s_delay_alu instid0(VALU_DEP_1) | instskip(NEXT) | instid1(VALU_DEP_1)
	v_and_b32_e32 v49, 0xff, v7
	v_cmpx_ne_u16_e32 0, v49
	s_cbranch_execz .LBB309_1219
; %bb.1212:                             ;   in Loop: Header=BB309_11 Depth=1
	v_mov_b32_e32 v185, 0x8000
	s_mov_b32 s17, exec_lo
	v_cmpx_ne_u16_e32 0x80, v49
	s_cbranch_execz .LBB309_1218
; %bb.1213:                             ;   in Loop: Header=BB309_11 Depth=1
	v_bfe_u32 v54, v31, 16, 7
	v_mov_b32_e32 v185, 0x7c01
	s_mov_b32 s18, exec_lo
	s_delay_alu instid0(VALU_DEP_2)
	v_cmpx_ne_u32_e32 0x7f, v54
	s_cbranch_execz .LBB309_1217
; %bb.1214:                             ;   in Loop: Header=BB309_11 Depth=1
	v_and_b32_e32 v49, 7, v7
	v_lshrrev_b32_e32 v53, 3, v54
	s_mov_b32 s19, exec_lo
	v_cmpx_gt_u32_e32 8, v54
; %bb.1215:                             ;   in Loop: Header=BB309_11 Depth=1
	s_delay_alu instid0(VALU_DEP_3) | instskip(NEXT) | instid1(VALU_DEP_1)
	v_clz_i32_u32_e32 v6, v49
	v_min_u32_e32 v6, 32, v6
	s_delay_alu instid0(VALU_DEP_1) | instskip(SKIP_1) | instid1(VALU_DEP_2)
	v_subrev_nc_u32_e32 v49, 28, v6
	v_sub_nc_u32_e32 v53, 29, v6
	v_lshlrev_b64_e32 v[49:50], v49, v[7:8]
	s_delay_alu instid0(VALU_DEP_1)
	v_and_b32_e32 v49, 7, v49
; %bb.1216:                             ;   in Loop: Header=BB309_11 Depth=1
	s_wait_alu 0xfffe
	s_or_b32 exec_lo, exec_lo, s19
	v_lshlrev_b32_e32 v6, 8, v7
	v_lshl_add_u32 v7, v53, 10, 0x2000
	v_lshlrev_b32_e32 v49, 7, v49
	s_delay_alu instid0(VALU_DEP_3) | instskip(NEXT) | instid1(VALU_DEP_3)
	v_and_b32_e32 v6, 0x8000, v6
	v_and_b32_e32 v7, 0xfc00, v7
	s_delay_alu instid0(VALU_DEP_1)
	v_or3_b32 v185, v6, v7, v49
.LBB309_1217:                           ;   in Loop: Header=BB309_11 Depth=1
	s_wait_alu 0xfffe
	s_or_b32 exec_lo, exec_lo, s18
.LBB309_1218:                           ;   in Loop: Header=BB309_11 Depth=1
	s_wait_alu 0xfffe
	s_or_b32 exec_lo, exec_lo, s17
.LBB309_1219:                           ;   in Loop: Header=BB309_11 Depth=1
	s_wait_alu 0xfffe
	s_or_b32 exec_lo, exec_lo, s16
	v_mov_b32_e32 v137, 0
	v_mov_b32_e32 v189, 0
	s_mov_b32 s16, exec_lo
	v_cmpx_lt_u64_e64 s[2:3], v[30:31]
	s_cbranch_execz .LBB309_1227
; %bb.1220:                             ;   in Loop: Header=BB309_11 Depth=1
	v_lshrrev_b32_e32 v7, 24, v31
	v_bfrev_b32_e32 v189, 1
	s_mov_b32 s17, exec_lo
	s_delay_alu instid0(VALU_DEP_2)
	v_cmpx_ne_u32_e32 0x80, v7
	s_cbranch_execz .LBB309_1226
; %bb.1221:                             ;   in Loop: Header=BB309_11 Depth=1
	v_and_b32_e32 v49, 0x7f, v7
	v_mov_b32_e32 v189, 0x7c010000
	s_mov_b32 s18, exec_lo
	s_delay_alu instid0(VALU_DEP_2)
	v_cmpx_ne_u32_e32 0x7f, v49
	s_cbranch_execz .LBB309_1225
; %bb.1222:                             ;   in Loop: Header=BB309_11 Depth=1
	v_and_b32_e32 v30, 7, v7
	v_lshrrev_b32_e32 v31, 3, v49
	s_mov_b32 s19, exec_lo
	v_cmpx_gt_u32_e32 8, v49
; %bb.1223:                             ;   in Loop: Header=BB309_11 Depth=1
	s_delay_alu instid0(VALU_DEP_3) | instskip(NEXT) | instid1(VALU_DEP_1)
	v_clz_i32_u32_e32 v6, v30
	v_min_u32_e32 v6, 32, v6
	s_delay_alu instid0(VALU_DEP_1) | instskip(NEXT) | instid1(VALU_DEP_1)
	v_subrev_nc_u32_e32 v30, 28, v6
	v_lshlrev_b64_e32 v[30:31], v30, v[7:8]
	v_sub_nc_u32_e32 v31, 29, v6
	s_delay_alu instid0(VALU_DEP_2)
	v_and_b32_e32 v30, 7, v30
; %bb.1224:                             ;   in Loop: Header=BB309_11 Depth=1
	s_wait_alu 0xfffe
	s_or_b32 exec_lo, exec_lo, s19
	v_lshlrev_b32_e32 v6, 8, v7
	v_lshl_add_u32 v7, v31, 10, 0x2000
	s_delay_alu instid0(VALU_DEP_1) | instskip(SKIP_1) | instid1(VALU_DEP_1)
	v_and_or_b32 v6, 0x8000, v6, v7
	v_lshlrev_b32_e32 v7, 23, v30
	v_lshl_or_b32 v189, v6, 16, v7
.LBB309_1225:                           ;   in Loop: Header=BB309_11 Depth=1
	s_wait_alu 0xfffe
	s_or_b32 exec_lo, exec_lo, s18
.LBB309_1226:                           ;   in Loop: Header=BB309_11 Depth=1
	s_wait_alu 0xfffe
	s_or_b32 exec_lo, exec_lo, s17
.LBB309_1227:                           ;   in Loop: Header=BB309_11 Depth=1
	s_wait_alu 0xfffe
	s_or_b32 exec_lo, exec_lo, s16
	flat_load_b64 v[30:31], v[28:29] offset:4616
	s_mov_b32 s16, exec_lo
	s_wait_loadcnt_dscnt 0x0
	v_and_b32_e32 v7, 0xff, v30
	s_delay_alu instid0(VALU_DEP_1)
	v_cmpx_ne_u16_e32 0, v7
	s_cbranch_execz .LBB309_1235
; %bb.1228:                             ;   in Loop: Header=BB309_11 Depth=1
	v_mov_b32_e32 v137, 0x8000
	s_mov_b32 s17, exec_lo
	v_cmpx_ne_u16_e32 0x80, v7
	s_cbranch_execz .LBB309_1234
; %bb.1229:                             ;   in Loop: Header=BB309_11 Depth=1
	v_and_b32_e32 v53, 0x7f, v30
	v_mov_b32_e32 v137, 0x7c01
	s_mov_b32 s18, exec_lo
	s_delay_alu instid0(VALU_DEP_2)
	v_cmpx_ne_u32_e32 0x7f, v53
	s_cbranch_execz .LBB309_1233
; %bb.1230:                             ;   in Loop: Header=BB309_11 Depth=1
	v_and_b32_e32 v7, 7, v30
	v_lshrrev_b32_e32 v49, 3, v53
	s_mov_b32 s19, exec_lo
	v_cmpx_gt_u32_e32 8, v53
; %bb.1231:                             ;   in Loop: Header=BB309_11 Depth=1
	s_delay_alu instid0(VALU_DEP_3) | instskip(NEXT) | instid1(VALU_DEP_1)
	v_clz_i32_u32_e32 v6, v7
	v_min_u32_e32 v49, 32, v6
	s_delay_alu instid0(VALU_DEP_1) | instskip(SKIP_1) | instid1(VALU_DEP_2)
	v_subrev_nc_u32_e32 v6, 28, v49
	v_sub_nc_u32_e32 v49, 29, v49
	v_lshlrev_b64_e32 v[6:7], v6, v[30:31]
	s_delay_alu instid0(VALU_DEP_1)
	v_and_b32_e32 v7, 7, v6
; %bb.1232:                             ;   in Loop: Header=BB309_11 Depth=1
	s_wait_alu 0xfffe
	s_or_b32 exec_lo, exec_lo, s19
	v_lshlrev_b32_e32 v6, 8, v30
	v_lshl_add_u32 v49, v49, 10, 0x2000
	v_lshlrev_b32_e32 v7, 7, v7
	s_delay_alu instid0(VALU_DEP_3) | instskip(NEXT) | instid1(VALU_DEP_3)
	v_and_b32_e32 v6, 0x8000, v6
	v_and_b32_e32 v49, 0xfc00, v49
	s_delay_alu instid0(VALU_DEP_1)
	v_or3_b32 v137, v6, v49, v7
.LBB309_1233:                           ;   in Loop: Header=BB309_11 Depth=1
	s_wait_alu 0xfffe
	s_or_b32 exec_lo, exec_lo, s18
.LBB309_1234:                           ;   in Loop: Header=BB309_11 Depth=1
	s_wait_alu 0xfffe
	s_or_b32 exec_lo, exec_lo, s17
.LBB309_1235:                           ;   in Loop: Header=BB309_11 Depth=1
	s_wait_alu 0xfffe
	s_or_b32 exec_lo, exec_lo, s16
	v_lshrrev_b16 v7, 8, v30
	v_dual_mov_b32 v141, 0 :: v_dual_mov_b32 v138, 0
	s_mov_b32 s16, exec_lo
	s_delay_alu instid0(VALU_DEP_2)
	v_cmpx_ne_u16_e32 0, v7
	s_cbranch_execz .LBB309_1243
; %bb.1236:                             ;   in Loop: Header=BB309_11 Depth=1
	v_bfrev_b32_e32 v138, 1
	s_mov_b32 s17, exec_lo
	v_cmpx_ne_u16_e32 0x80, v7
	s_cbranch_execz .LBB309_1242
; %bb.1237:                             ;   in Loop: Header=BB309_11 Depth=1
	v_and_b32_e32 v49, 0xffff, v7
	v_mov_b32_e32 v138, 0x7c010000
	s_mov_b32 s18, exec_lo
	s_delay_alu instid0(VALU_DEP_2) | instskip(NEXT) | instid1(VALU_DEP_1)
	v_and_b32_e32 v64, 0x7f, v49
	v_cmpx_ne_u32_e32 0x7f, v64
	s_cbranch_execz .LBB309_1241
; %bb.1238:                             ;   in Loop: Header=BB309_11 Depth=1
	v_and_b32_e32 v53, 7, v49
	v_lshrrev_b32_e32 v54, 3, v64
	s_mov_b32 s19, exec_lo
	v_cmpx_gt_u32_e32 8, v64
; %bb.1239:                             ;   in Loop: Header=BB309_11 Depth=1
	s_delay_alu instid0(VALU_DEP_3) | instskip(NEXT) | instid1(VALU_DEP_1)
	v_clz_i32_u32_e32 v6, v53
	v_min_u32_e32 v50, 32, v6
	s_delay_alu instid0(VALU_DEP_1) | instskip(SKIP_1) | instid1(VALU_DEP_2)
	v_subrev_nc_u32_e32 v6, 28, v50
	v_sub_nc_u32_e32 v54, 29, v50
	v_lshlrev_b64_e32 v[6:7], v6, v[7:8]
	s_delay_alu instid0(VALU_DEP_1)
	v_and_b32_e32 v53, 7, v6
; %bb.1240:                             ;   in Loop: Header=BB309_11 Depth=1
	s_wait_alu 0xfffe
	s_or_b32 exec_lo, exec_lo, s19
	v_lshlrev_b32_e32 v6, 8, v49
	v_lshl_add_u32 v7, v54, 10, 0x2000
	s_delay_alu instid0(VALU_DEP_1) | instskip(SKIP_1) | instid1(VALU_DEP_1)
	v_and_or_b32 v6, 0x8000, v6, v7
	v_lshlrev_b32_e32 v7, 23, v53
	v_lshl_or_b32 v138, v6, 16, v7
.LBB309_1241:                           ;   in Loop: Header=BB309_11 Depth=1
	s_wait_alu 0xfffe
	s_or_b32 exec_lo, exec_lo, s18
.LBB309_1242:                           ;   in Loop: Header=BB309_11 Depth=1
	s_wait_alu 0xfffe
	s_or_b32 exec_lo, exec_lo, s17
.LBB309_1243:                           ;   in Loop: Header=BB309_11 Depth=1
	s_wait_alu 0xfffe
	s_or_b32 exec_lo, exec_lo, s16
	v_lshrrev_b32_e32 v7, 16, v30
	s_mov_b32 s16, exec_lo
	s_delay_alu instid0(VALU_DEP_1) | instskip(NEXT) | instid1(VALU_DEP_1)
	v_and_b32_e32 v49, 0xff, v7
	v_cmpx_ne_u16_e32 0, v49
	s_cbranch_execz .LBB309_1251
; %bb.1244:                             ;   in Loop: Header=BB309_11 Depth=1
	v_mov_b32_e32 v141, 0x8000
	s_mov_b32 s17, exec_lo
	v_cmpx_ne_u16_e32 0x80, v49
	s_cbranch_execz .LBB309_1250
; %bb.1245:                             ;   in Loop: Header=BB309_11 Depth=1
	v_bfe_u32 v54, v30, 16, 7
	v_mov_b32_e32 v141, 0x7c01
	s_mov_b32 s18, exec_lo
	s_delay_alu instid0(VALU_DEP_2)
	v_cmpx_ne_u32_e32 0x7f, v54
	s_cbranch_execz .LBB309_1249
; %bb.1246:                             ;   in Loop: Header=BB309_11 Depth=1
	v_and_b32_e32 v49, 7, v7
	v_lshrrev_b32_e32 v53, 3, v54
	s_mov_b32 s19, exec_lo
	v_cmpx_gt_u32_e32 8, v54
; %bb.1247:                             ;   in Loop: Header=BB309_11 Depth=1
	s_delay_alu instid0(VALU_DEP_3) | instskip(NEXT) | instid1(VALU_DEP_1)
	v_clz_i32_u32_e32 v6, v49
	v_min_u32_e32 v6, 32, v6
	s_delay_alu instid0(VALU_DEP_1) | instskip(SKIP_1) | instid1(VALU_DEP_2)
	v_subrev_nc_u32_e32 v49, 28, v6
	v_sub_nc_u32_e32 v53, 29, v6
	v_lshlrev_b64_e32 v[49:50], v49, v[7:8]
	s_delay_alu instid0(VALU_DEP_1)
	v_and_b32_e32 v49, 7, v49
; %bb.1248:                             ;   in Loop: Header=BB309_11 Depth=1
	s_wait_alu 0xfffe
	s_or_b32 exec_lo, exec_lo, s19
	v_lshlrev_b32_e32 v6, 8, v7
	v_lshl_add_u32 v7, v53, 10, 0x2000
	v_lshlrev_b32_e32 v49, 7, v49
	s_delay_alu instid0(VALU_DEP_3) | instskip(NEXT) | instid1(VALU_DEP_3)
	v_and_b32_e32 v6, 0x8000, v6
	v_and_b32_e32 v7, 0xfc00, v7
	s_delay_alu instid0(VALU_DEP_1)
	v_or3_b32 v141, v6, v7, v49
.LBB309_1249:                           ;   in Loop: Header=BB309_11 Depth=1
	s_wait_alu 0xfffe
	s_or_b32 exec_lo, exec_lo, s18
.LBB309_1250:                           ;   in Loop: Header=BB309_11 Depth=1
	s_wait_alu 0xfffe
	s_or_b32 exec_lo, exec_lo, s17
.LBB309_1251:                           ;   in Loop: Header=BB309_11 Depth=1
	s_wait_alu 0xfffe
	s_or_b32 exec_lo, exec_lo, s16
	v_dual_mov_b32 v142, 0 :: v_dual_mov_b32 v143, 0
	s_mov_b32 s16, exec_lo
	v_cmpx_lt_u32_e32 0xffffff, v30
	s_cbranch_execz .LBB309_1259
; %bb.1252:                             ;   in Loop: Header=BB309_11 Depth=1
	v_lshrrev_b32_e32 v7, 24, v30
	v_bfrev_b32_e32 v143, 1
	s_mov_b32 s17, exec_lo
	s_delay_alu instid0(VALU_DEP_2)
	v_cmpx_ne_u32_e32 0x80, v7
	s_cbranch_execz .LBB309_1258
; %bb.1253:                             ;   in Loop: Header=BB309_11 Depth=1
	v_and_b32_e32 v54, 0x7f, v7
	v_mov_b32_e32 v143, 0x7c010000
	s_mov_b32 s18, exec_lo
	s_delay_alu instid0(VALU_DEP_2)
	v_cmpx_ne_u32_e32 0x7f, v54
	s_cbranch_execz .LBB309_1257
; %bb.1254:                             ;   in Loop: Header=BB309_11 Depth=1
	v_and_b32_e32 v49, 7, v7
	v_lshrrev_b32_e32 v53, 3, v54
	s_mov_b32 s19, exec_lo
	v_cmpx_gt_u32_e32 8, v54
; %bb.1255:                             ;   in Loop: Header=BB309_11 Depth=1
	s_delay_alu instid0(VALU_DEP_3) | instskip(NEXT) | instid1(VALU_DEP_1)
	v_clz_i32_u32_e32 v6, v49
	v_min_u32_e32 v6, 32, v6
	s_delay_alu instid0(VALU_DEP_1) | instskip(SKIP_1) | instid1(VALU_DEP_2)
	v_subrev_nc_u32_e32 v49, 28, v6
	v_sub_nc_u32_e32 v53, 29, v6
	v_lshlrev_b64_e32 v[49:50], v49, v[7:8]
	s_delay_alu instid0(VALU_DEP_1)
	v_and_b32_e32 v49, 7, v49
; %bb.1256:                             ;   in Loop: Header=BB309_11 Depth=1
	s_wait_alu 0xfffe
	s_or_b32 exec_lo, exec_lo, s19
	v_lshlrev_b32_e32 v6, 8, v7
	v_lshl_add_u32 v7, v53, 10, 0x2000
	s_delay_alu instid0(VALU_DEP_1) | instskip(SKIP_1) | instid1(VALU_DEP_1)
	v_and_or_b32 v6, 0x8000, v6, v7
	v_lshlrev_b32_e32 v7, 23, v49
	v_lshl_or_b32 v143, v6, 16, v7
.LBB309_1257:                           ;   in Loop: Header=BB309_11 Depth=1
	s_wait_alu 0xfffe
	s_or_b32 exec_lo, exec_lo, s18
.LBB309_1258:                           ;   in Loop: Header=BB309_11 Depth=1
	s_wait_alu 0xfffe
	s_or_b32 exec_lo, exec_lo, s17
.LBB309_1259:                           ;   in Loop: Header=BB309_11 Depth=1
	s_wait_alu 0xfffe
	s_or_b32 exec_lo, exec_lo, s16
	v_and_b32_e32 v49, 0xff, v31
	v_mov_b32_e32 v7, v31
	s_mov_b32 s16, exec_lo
	s_delay_alu instid0(VALU_DEP_2)
	v_cmpx_ne_u16_e32 0, v49
	s_cbranch_execz .LBB309_1267
; %bb.1260:                             ;   in Loop: Header=BB309_11 Depth=1
	v_mov_b32_e32 v142, 0x8000
	s_mov_b32 s17, exec_lo
	v_cmpx_ne_u16_e32 0x80, v49
	s_cbranch_execz .LBB309_1266
; %bb.1261:                             ;   in Loop: Header=BB309_11 Depth=1
	v_and_b32_e32 v54, 0x7f, v31
	v_mov_b32_e32 v142, 0x7c01
	s_mov_b32 s18, exec_lo
	s_delay_alu instid0(VALU_DEP_2)
	v_cmpx_ne_u32_e32 0x7f, v54
	s_cbranch_execz .LBB309_1265
; %bb.1262:                             ;   in Loop: Header=BB309_11 Depth=1
	v_and_b32_e32 v49, 7, v31
	v_lshrrev_b32_e32 v53, 3, v54
	s_mov_b32 s19, exec_lo
	v_cmpx_gt_u32_e32 8, v54
; %bb.1263:                             ;   in Loop: Header=BB309_11 Depth=1
	s_delay_alu instid0(VALU_DEP_3) | instskip(NEXT) | instid1(VALU_DEP_1)
	v_clz_i32_u32_e32 v6, v49
	v_min_u32_e32 v6, 32, v6
	s_delay_alu instid0(VALU_DEP_1) | instskip(SKIP_1) | instid1(VALU_DEP_2)
	v_subrev_nc_u32_e32 v49, 28, v6
	v_sub_nc_u32_e32 v53, 29, v6
	v_lshlrev_b64_e32 v[49:50], v49, v[7:8]
	s_delay_alu instid0(VALU_DEP_1)
	v_and_b32_e32 v49, 7, v49
; %bb.1264:                             ;   in Loop: Header=BB309_11 Depth=1
	s_wait_alu 0xfffe
	s_or_b32 exec_lo, exec_lo, s19
	v_lshlrev_b32_e32 v6, 8, v31
	v_lshl_add_u32 v50, v53, 10, 0x2000
	v_lshlrev_b32_e32 v49, 7, v49
	s_delay_alu instid0(VALU_DEP_3) | instskip(NEXT) | instid1(VALU_DEP_3)
	v_and_b32_e32 v6, 0x8000, v6
	v_and_b32_e32 v50, 0xfc00, v50
	s_delay_alu instid0(VALU_DEP_1)
	v_or3_b32 v142, v6, v50, v49
.LBB309_1265:                           ;   in Loop: Header=BB309_11 Depth=1
	s_wait_alu 0xfffe
	s_or_b32 exec_lo, exec_lo, s18
.LBB309_1266:                           ;   in Loop: Header=BB309_11 Depth=1
	s_wait_alu 0xfffe
	s_or_b32 exec_lo, exec_lo, s17
.LBB309_1267:                           ;   in Loop: Header=BB309_11 Depth=1
	s_wait_alu 0xfffe
	s_or_b32 exec_lo, exec_lo, s16
	v_lshrrev_b16 v7, 8, v7
	v_dual_mov_b32 v171, 0 :: v_dual_mov_b32 v172, 0
	s_mov_b32 s16, exec_lo
	s_delay_alu instid0(VALU_DEP_2)
	v_cmpx_ne_u16_e32 0, v7
	s_cbranch_execz .LBB309_1275
; %bb.1268:                             ;   in Loop: Header=BB309_11 Depth=1
	v_bfrev_b32_e32 v172, 1
	s_mov_b32 s17, exec_lo
	v_cmpx_ne_u16_e32 0x80, v7
	s_cbranch_execz .LBB309_1274
; %bb.1269:                             ;   in Loop: Header=BB309_11 Depth=1
	v_and_b32_e32 v49, 0xffff, v7
	v_mov_b32_e32 v172, 0x7c010000
	s_mov_b32 s18, exec_lo
	s_delay_alu instid0(VALU_DEP_2) | instskip(NEXT) | instid1(VALU_DEP_1)
	v_and_b32_e32 v64, 0x7f, v49
	v_cmpx_ne_u32_e32 0x7f, v64
	s_cbranch_execz .LBB309_1273
; %bb.1270:                             ;   in Loop: Header=BB309_11 Depth=1
	v_and_b32_e32 v53, 7, v49
	v_lshrrev_b32_e32 v54, 3, v64
	s_mov_b32 s19, exec_lo
	v_cmpx_gt_u32_e32 8, v64
; %bb.1271:                             ;   in Loop: Header=BB309_11 Depth=1
	s_delay_alu instid0(VALU_DEP_3) | instskip(NEXT) | instid1(VALU_DEP_1)
	v_clz_i32_u32_e32 v6, v53
	v_min_u32_e32 v50, 32, v6
	s_delay_alu instid0(VALU_DEP_1) | instskip(SKIP_1) | instid1(VALU_DEP_2)
	v_subrev_nc_u32_e32 v6, 28, v50
	v_sub_nc_u32_e32 v54, 29, v50
	v_lshlrev_b64_e32 v[6:7], v6, v[7:8]
	s_delay_alu instid0(VALU_DEP_1)
	v_and_b32_e32 v53, 7, v6
; %bb.1272:                             ;   in Loop: Header=BB309_11 Depth=1
	s_wait_alu 0xfffe
	s_or_b32 exec_lo, exec_lo, s19
	v_lshlrev_b32_e32 v6, 8, v49
	v_lshl_add_u32 v7, v54, 10, 0x2000
	s_delay_alu instid0(VALU_DEP_1) | instskip(SKIP_1) | instid1(VALU_DEP_1)
	v_and_or_b32 v6, 0x8000, v6, v7
	v_lshlrev_b32_e32 v7, 23, v53
	v_lshl_or_b32 v172, v6, 16, v7
.LBB309_1273:                           ;   in Loop: Header=BB309_11 Depth=1
	s_wait_alu 0xfffe
	s_or_b32 exec_lo, exec_lo, s18
.LBB309_1274:                           ;   in Loop: Header=BB309_11 Depth=1
	s_wait_alu 0xfffe
	s_or_b32 exec_lo, exec_lo, s17
.LBB309_1275:                           ;   in Loop: Header=BB309_11 Depth=1
	s_wait_alu 0xfffe
	s_or_b32 exec_lo, exec_lo, s16
	v_lshrrev_b32_e32 v7, 16, v31
	s_mov_b32 s16, exec_lo
	s_delay_alu instid0(VALU_DEP_1) | instskip(NEXT) | instid1(VALU_DEP_1)
	v_and_b32_e32 v49, 0xff, v7
	v_cmpx_ne_u16_e32 0, v49
	s_cbranch_execz .LBB309_1283
; %bb.1276:                             ;   in Loop: Header=BB309_11 Depth=1
	v_mov_b32_e32 v171, 0x8000
	s_mov_b32 s17, exec_lo
	v_cmpx_ne_u16_e32 0x80, v49
	s_cbranch_execz .LBB309_1282
; %bb.1277:                             ;   in Loop: Header=BB309_11 Depth=1
	v_bfe_u32 v54, v31, 16, 7
	v_mov_b32_e32 v171, 0x7c01
	s_mov_b32 s18, exec_lo
	s_delay_alu instid0(VALU_DEP_2)
	v_cmpx_ne_u32_e32 0x7f, v54
	s_cbranch_execz .LBB309_1281
; %bb.1278:                             ;   in Loop: Header=BB309_11 Depth=1
	v_and_b32_e32 v49, 7, v7
	v_lshrrev_b32_e32 v53, 3, v54
	s_mov_b32 s19, exec_lo
	v_cmpx_gt_u32_e32 8, v54
; %bb.1279:                             ;   in Loop: Header=BB309_11 Depth=1
	s_delay_alu instid0(VALU_DEP_3) | instskip(NEXT) | instid1(VALU_DEP_1)
	v_clz_i32_u32_e32 v6, v49
	v_min_u32_e32 v6, 32, v6
	s_delay_alu instid0(VALU_DEP_1) | instskip(SKIP_1) | instid1(VALU_DEP_2)
	v_subrev_nc_u32_e32 v49, 28, v6
	v_sub_nc_u32_e32 v53, 29, v6
	v_lshlrev_b64_e32 v[49:50], v49, v[7:8]
	s_delay_alu instid0(VALU_DEP_1)
	v_and_b32_e32 v49, 7, v49
; %bb.1280:                             ;   in Loop: Header=BB309_11 Depth=1
	s_wait_alu 0xfffe
	s_or_b32 exec_lo, exec_lo, s19
	v_lshlrev_b32_e32 v6, 8, v7
	v_lshl_add_u32 v7, v53, 10, 0x2000
	v_lshlrev_b32_e32 v49, 7, v49
	s_delay_alu instid0(VALU_DEP_3) | instskip(NEXT) | instid1(VALU_DEP_3)
	v_and_b32_e32 v6, 0x8000, v6
	v_and_b32_e32 v7, 0xfc00, v7
	s_delay_alu instid0(VALU_DEP_1)
	v_or3_b32 v171, v6, v7, v49
.LBB309_1281:                           ;   in Loop: Header=BB309_11 Depth=1
	s_wait_alu 0xfffe
	s_or_b32 exec_lo, exec_lo, s18
.LBB309_1282:                           ;   in Loop: Header=BB309_11 Depth=1
	s_wait_alu 0xfffe
	s_or_b32 exec_lo, exec_lo, s17
.LBB309_1283:                           ;   in Loop: Header=BB309_11 Depth=1
	s_wait_alu 0xfffe
	s_or_b32 exec_lo, exec_lo, s16
	v_mov_b32_e32 v109, 0
	v_mov_b32_e32 v175, 0
	s_mov_b32 s16, exec_lo
	v_cmpx_lt_u64_e64 s[2:3], v[30:31]
	s_cbranch_execz .LBB309_1291
; %bb.1284:                             ;   in Loop: Header=BB309_11 Depth=1
	v_lshrrev_b32_e32 v7, 24, v31
	v_bfrev_b32_e32 v175, 1
	s_mov_b32 s17, exec_lo
	s_delay_alu instid0(VALU_DEP_2)
	v_cmpx_ne_u32_e32 0x80, v7
	s_cbranch_execz .LBB309_1290
; %bb.1285:                             ;   in Loop: Header=BB309_11 Depth=1
	v_and_b32_e32 v49, 0x7f, v7
	v_mov_b32_e32 v175, 0x7c010000
	s_mov_b32 s18, exec_lo
	s_delay_alu instid0(VALU_DEP_2)
	v_cmpx_ne_u32_e32 0x7f, v49
	s_cbranch_execz .LBB309_1289
; %bb.1286:                             ;   in Loop: Header=BB309_11 Depth=1
	v_and_b32_e32 v30, 7, v7
	v_lshrrev_b32_e32 v31, 3, v49
	s_mov_b32 s19, exec_lo
	v_cmpx_gt_u32_e32 8, v49
; %bb.1287:                             ;   in Loop: Header=BB309_11 Depth=1
	s_delay_alu instid0(VALU_DEP_3) | instskip(NEXT) | instid1(VALU_DEP_1)
	v_clz_i32_u32_e32 v6, v30
	v_min_u32_e32 v6, 32, v6
	s_delay_alu instid0(VALU_DEP_1) | instskip(NEXT) | instid1(VALU_DEP_1)
	v_subrev_nc_u32_e32 v30, 28, v6
	v_lshlrev_b64_e32 v[30:31], v30, v[7:8]
	v_sub_nc_u32_e32 v31, 29, v6
	s_delay_alu instid0(VALU_DEP_2)
	v_and_b32_e32 v30, 7, v30
; %bb.1288:                             ;   in Loop: Header=BB309_11 Depth=1
	s_wait_alu 0xfffe
	s_or_b32 exec_lo, exec_lo, s19
	v_lshlrev_b32_e32 v6, 8, v7
	v_lshl_add_u32 v7, v31, 10, 0x2000
	s_delay_alu instid0(VALU_DEP_1) | instskip(SKIP_1) | instid1(VALU_DEP_1)
	v_and_or_b32 v6, 0x8000, v6, v7
	v_lshlrev_b32_e32 v7, 23, v30
	v_lshl_or_b32 v175, v6, 16, v7
.LBB309_1289:                           ;   in Loop: Header=BB309_11 Depth=1
	s_wait_alu 0xfffe
	s_or_b32 exec_lo, exec_lo, s18
.LBB309_1290:                           ;   in Loop: Header=BB309_11 Depth=1
	s_wait_alu 0xfffe
	s_or_b32 exec_lo, exec_lo, s17
.LBB309_1291:                           ;   in Loop: Header=BB309_11 Depth=1
	s_wait_alu 0xfffe
	s_or_b32 exec_lo, exec_lo, s16
	flat_load_b64 v[30:31], v[28:29] offset:5120
	s_mov_b32 s16, exec_lo
	s_wait_loadcnt_dscnt 0x0
	v_and_b32_e32 v7, 0xff, v30
	s_delay_alu instid0(VALU_DEP_1)
	v_cmpx_ne_u16_e32 0, v7
	s_cbranch_execz .LBB309_1299
; %bb.1292:                             ;   in Loop: Header=BB309_11 Depth=1
	v_mov_b32_e32 v109, 0x8000
	s_mov_b32 s17, exec_lo
	v_cmpx_ne_u16_e32 0x80, v7
	s_cbranch_execz .LBB309_1298
; %bb.1293:                             ;   in Loop: Header=BB309_11 Depth=1
	v_and_b32_e32 v53, 0x7f, v30
	v_mov_b32_e32 v109, 0x7c01
	s_mov_b32 s18, exec_lo
	s_delay_alu instid0(VALU_DEP_2)
	v_cmpx_ne_u32_e32 0x7f, v53
	s_cbranch_execz .LBB309_1297
; %bb.1294:                             ;   in Loop: Header=BB309_11 Depth=1
	v_and_b32_e32 v7, 7, v30
	v_lshrrev_b32_e32 v49, 3, v53
	s_mov_b32 s19, exec_lo
	v_cmpx_gt_u32_e32 8, v53
; %bb.1295:                             ;   in Loop: Header=BB309_11 Depth=1
	s_delay_alu instid0(VALU_DEP_3) | instskip(NEXT) | instid1(VALU_DEP_1)
	v_clz_i32_u32_e32 v6, v7
	v_min_u32_e32 v49, 32, v6
	s_delay_alu instid0(VALU_DEP_1) | instskip(SKIP_1) | instid1(VALU_DEP_2)
	v_subrev_nc_u32_e32 v6, 28, v49
	v_sub_nc_u32_e32 v49, 29, v49
	v_lshlrev_b64_e32 v[6:7], v6, v[30:31]
	s_delay_alu instid0(VALU_DEP_1)
	v_and_b32_e32 v7, 7, v6
; %bb.1296:                             ;   in Loop: Header=BB309_11 Depth=1
	s_wait_alu 0xfffe
	s_or_b32 exec_lo, exec_lo, s19
	v_lshlrev_b32_e32 v6, 8, v30
	v_lshl_add_u32 v49, v49, 10, 0x2000
	v_lshlrev_b32_e32 v7, 7, v7
	s_delay_alu instid0(VALU_DEP_3) | instskip(NEXT) | instid1(VALU_DEP_3)
	v_and_b32_e32 v6, 0x8000, v6
	v_and_b32_e32 v49, 0xfc00, v49
	s_delay_alu instid0(VALU_DEP_1)
	v_or3_b32 v109, v6, v49, v7
.LBB309_1297:                           ;   in Loop: Header=BB309_11 Depth=1
	s_wait_alu 0xfffe
	s_or_b32 exec_lo, exec_lo, s18
.LBB309_1298:                           ;   in Loop: Header=BB309_11 Depth=1
	s_wait_alu 0xfffe
	s_or_b32 exec_lo, exec_lo, s17
.LBB309_1299:                           ;   in Loop: Header=BB309_11 Depth=1
	s_wait_alu 0xfffe
	s_or_b32 exec_lo, exec_lo, s16
	v_lshrrev_b16 v7, 8, v30
	v_dual_mov_b32 v121, 0 :: v_dual_mov_b32 v110, 0
	s_mov_b32 s16, exec_lo
	s_delay_alu instid0(VALU_DEP_2)
	v_cmpx_ne_u16_e32 0, v7
	s_cbranch_execz .LBB309_1307
; %bb.1300:                             ;   in Loop: Header=BB309_11 Depth=1
	v_bfrev_b32_e32 v110, 1
	s_mov_b32 s17, exec_lo
	v_cmpx_ne_u16_e32 0x80, v7
	s_cbranch_execz .LBB309_1306
; %bb.1301:                             ;   in Loop: Header=BB309_11 Depth=1
	v_and_b32_e32 v49, 0xffff, v7
	v_mov_b32_e32 v110, 0x7c010000
	s_mov_b32 s18, exec_lo
	s_delay_alu instid0(VALU_DEP_2) | instskip(NEXT) | instid1(VALU_DEP_1)
	v_and_b32_e32 v64, 0x7f, v49
	v_cmpx_ne_u32_e32 0x7f, v64
	s_cbranch_execz .LBB309_1305
; %bb.1302:                             ;   in Loop: Header=BB309_11 Depth=1
	v_and_b32_e32 v53, 7, v49
	v_lshrrev_b32_e32 v54, 3, v64
	s_mov_b32 s19, exec_lo
	v_cmpx_gt_u32_e32 8, v64
; %bb.1303:                             ;   in Loop: Header=BB309_11 Depth=1
	s_delay_alu instid0(VALU_DEP_3) | instskip(NEXT) | instid1(VALU_DEP_1)
	v_clz_i32_u32_e32 v6, v53
	v_min_u32_e32 v50, 32, v6
	s_delay_alu instid0(VALU_DEP_1) | instskip(SKIP_1) | instid1(VALU_DEP_2)
	v_subrev_nc_u32_e32 v6, 28, v50
	v_sub_nc_u32_e32 v54, 29, v50
	v_lshlrev_b64_e32 v[6:7], v6, v[7:8]
	s_delay_alu instid0(VALU_DEP_1)
	v_and_b32_e32 v53, 7, v6
; %bb.1304:                             ;   in Loop: Header=BB309_11 Depth=1
	s_wait_alu 0xfffe
	s_or_b32 exec_lo, exec_lo, s19
	v_lshlrev_b32_e32 v6, 8, v49
	v_lshl_add_u32 v7, v54, 10, 0x2000
	s_delay_alu instid0(VALU_DEP_1) | instskip(SKIP_1) | instid1(VALU_DEP_1)
	v_and_or_b32 v6, 0x8000, v6, v7
	v_lshlrev_b32_e32 v7, 23, v53
	v_lshl_or_b32 v110, v6, 16, v7
.LBB309_1305:                           ;   in Loop: Header=BB309_11 Depth=1
	s_wait_alu 0xfffe
	s_or_b32 exec_lo, exec_lo, s18
.LBB309_1306:                           ;   in Loop: Header=BB309_11 Depth=1
	s_wait_alu 0xfffe
	s_or_b32 exec_lo, exec_lo, s17
.LBB309_1307:                           ;   in Loop: Header=BB309_11 Depth=1
	s_wait_alu 0xfffe
	s_or_b32 exec_lo, exec_lo, s16
	v_lshrrev_b32_e32 v7, 16, v30
	s_mov_b32 s16, exec_lo
	s_delay_alu instid0(VALU_DEP_1) | instskip(NEXT) | instid1(VALU_DEP_1)
	v_and_b32_e32 v49, 0xff, v7
	v_cmpx_ne_u16_e32 0, v49
	s_cbranch_execz .LBB309_1315
; %bb.1308:                             ;   in Loop: Header=BB309_11 Depth=1
	v_mov_b32_e32 v121, 0x8000
	s_mov_b32 s17, exec_lo
	v_cmpx_ne_u16_e32 0x80, v49
	s_cbranch_execz .LBB309_1314
; %bb.1309:                             ;   in Loop: Header=BB309_11 Depth=1
	v_bfe_u32 v54, v30, 16, 7
	v_mov_b32_e32 v121, 0x7c01
	s_mov_b32 s18, exec_lo
	s_delay_alu instid0(VALU_DEP_2)
	v_cmpx_ne_u32_e32 0x7f, v54
	s_cbranch_execz .LBB309_1313
; %bb.1310:                             ;   in Loop: Header=BB309_11 Depth=1
	v_and_b32_e32 v49, 7, v7
	v_lshrrev_b32_e32 v53, 3, v54
	s_mov_b32 s19, exec_lo
	v_cmpx_gt_u32_e32 8, v54
; %bb.1311:                             ;   in Loop: Header=BB309_11 Depth=1
	s_delay_alu instid0(VALU_DEP_3) | instskip(NEXT) | instid1(VALU_DEP_1)
	v_clz_i32_u32_e32 v6, v49
	v_min_u32_e32 v6, 32, v6
	s_delay_alu instid0(VALU_DEP_1) | instskip(SKIP_1) | instid1(VALU_DEP_2)
	v_subrev_nc_u32_e32 v49, 28, v6
	v_sub_nc_u32_e32 v53, 29, v6
	v_lshlrev_b64_e32 v[49:50], v49, v[7:8]
	s_delay_alu instid0(VALU_DEP_1)
	v_and_b32_e32 v49, 7, v49
; %bb.1312:                             ;   in Loop: Header=BB309_11 Depth=1
	s_wait_alu 0xfffe
	s_or_b32 exec_lo, exec_lo, s19
	v_lshlrev_b32_e32 v6, 8, v7
	v_lshl_add_u32 v7, v53, 10, 0x2000
	v_lshlrev_b32_e32 v49, 7, v49
	s_delay_alu instid0(VALU_DEP_3) | instskip(NEXT) | instid1(VALU_DEP_3)
	v_and_b32_e32 v6, 0x8000, v6
	v_and_b32_e32 v7, 0xfc00, v7
	s_delay_alu instid0(VALU_DEP_1)
	v_or3_b32 v121, v6, v7, v49
.LBB309_1313:                           ;   in Loop: Header=BB309_11 Depth=1
	s_wait_alu 0xfffe
	s_or_b32 exec_lo, exec_lo, s18
.LBB309_1314:                           ;   in Loop: Header=BB309_11 Depth=1
	s_wait_alu 0xfffe
	s_or_b32 exec_lo, exec_lo, s17
.LBB309_1315:                           ;   in Loop: Header=BB309_11 Depth=1
	s_wait_alu 0xfffe
	s_or_b32 exec_lo, exec_lo, s16
	v_dual_mov_b32 v122, 0 :: v_dual_mov_b32 v123, 0
	s_mov_b32 s16, exec_lo
	v_cmpx_lt_u32_e32 0xffffff, v30
	s_cbranch_execz .LBB309_1323
; %bb.1316:                             ;   in Loop: Header=BB309_11 Depth=1
	v_lshrrev_b32_e32 v7, 24, v30
	v_bfrev_b32_e32 v123, 1
	s_mov_b32 s17, exec_lo
	s_delay_alu instid0(VALU_DEP_2)
	v_cmpx_ne_u32_e32 0x80, v7
	s_cbranch_execz .LBB309_1322
; %bb.1317:                             ;   in Loop: Header=BB309_11 Depth=1
	v_and_b32_e32 v54, 0x7f, v7
	v_mov_b32_e32 v123, 0x7c010000
	s_mov_b32 s18, exec_lo
	s_delay_alu instid0(VALU_DEP_2)
	v_cmpx_ne_u32_e32 0x7f, v54
	s_cbranch_execz .LBB309_1321
; %bb.1318:                             ;   in Loop: Header=BB309_11 Depth=1
	v_and_b32_e32 v49, 7, v7
	v_lshrrev_b32_e32 v53, 3, v54
	s_mov_b32 s19, exec_lo
	v_cmpx_gt_u32_e32 8, v54
; %bb.1319:                             ;   in Loop: Header=BB309_11 Depth=1
	s_delay_alu instid0(VALU_DEP_3) | instskip(NEXT) | instid1(VALU_DEP_1)
	v_clz_i32_u32_e32 v6, v49
	v_min_u32_e32 v6, 32, v6
	s_delay_alu instid0(VALU_DEP_1) | instskip(SKIP_1) | instid1(VALU_DEP_2)
	v_subrev_nc_u32_e32 v49, 28, v6
	v_sub_nc_u32_e32 v53, 29, v6
	v_lshlrev_b64_e32 v[49:50], v49, v[7:8]
	s_delay_alu instid0(VALU_DEP_1)
	v_and_b32_e32 v49, 7, v49
; %bb.1320:                             ;   in Loop: Header=BB309_11 Depth=1
	s_wait_alu 0xfffe
	s_or_b32 exec_lo, exec_lo, s19
	v_lshlrev_b32_e32 v6, 8, v7
	v_lshl_add_u32 v7, v53, 10, 0x2000
	s_delay_alu instid0(VALU_DEP_1) | instskip(SKIP_1) | instid1(VALU_DEP_1)
	v_and_or_b32 v6, 0x8000, v6, v7
	v_lshlrev_b32_e32 v7, 23, v49
	v_lshl_or_b32 v123, v6, 16, v7
.LBB309_1321:                           ;   in Loop: Header=BB309_11 Depth=1
	s_wait_alu 0xfffe
	s_or_b32 exec_lo, exec_lo, s18
.LBB309_1322:                           ;   in Loop: Header=BB309_11 Depth=1
	s_wait_alu 0xfffe
	s_or_b32 exec_lo, exec_lo, s17
.LBB309_1323:                           ;   in Loop: Header=BB309_11 Depth=1
	s_wait_alu 0xfffe
	s_or_b32 exec_lo, exec_lo, s16
	v_and_b32_e32 v49, 0xff, v31
	v_mov_b32_e32 v7, v31
	s_mov_b32 s16, exec_lo
	s_delay_alu instid0(VALU_DEP_2)
	v_cmpx_ne_u16_e32 0, v49
	s_cbranch_execz .LBB309_1331
; %bb.1324:                             ;   in Loop: Header=BB309_11 Depth=1
	v_mov_b32_e32 v122, 0x8000
	s_mov_b32 s17, exec_lo
	v_cmpx_ne_u16_e32 0x80, v49
	s_cbranch_execz .LBB309_1330
; %bb.1325:                             ;   in Loop: Header=BB309_11 Depth=1
	v_and_b32_e32 v54, 0x7f, v31
	v_mov_b32_e32 v122, 0x7c01
	s_mov_b32 s18, exec_lo
	s_delay_alu instid0(VALU_DEP_2)
	v_cmpx_ne_u32_e32 0x7f, v54
	s_cbranch_execz .LBB309_1329
; %bb.1326:                             ;   in Loop: Header=BB309_11 Depth=1
	v_and_b32_e32 v49, 7, v31
	v_lshrrev_b32_e32 v53, 3, v54
	s_mov_b32 s19, exec_lo
	v_cmpx_gt_u32_e32 8, v54
; %bb.1327:                             ;   in Loop: Header=BB309_11 Depth=1
	s_delay_alu instid0(VALU_DEP_3) | instskip(NEXT) | instid1(VALU_DEP_1)
	v_clz_i32_u32_e32 v6, v49
	v_min_u32_e32 v6, 32, v6
	s_delay_alu instid0(VALU_DEP_1) | instskip(SKIP_1) | instid1(VALU_DEP_2)
	v_subrev_nc_u32_e32 v49, 28, v6
	v_sub_nc_u32_e32 v53, 29, v6
	v_lshlrev_b64_e32 v[49:50], v49, v[7:8]
	s_delay_alu instid0(VALU_DEP_1)
	v_and_b32_e32 v49, 7, v49
; %bb.1328:                             ;   in Loop: Header=BB309_11 Depth=1
	s_wait_alu 0xfffe
	s_or_b32 exec_lo, exec_lo, s19
	v_lshlrev_b32_e32 v6, 8, v31
	v_lshl_add_u32 v50, v53, 10, 0x2000
	v_lshlrev_b32_e32 v49, 7, v49
	s_delay_alu instid0(VALU_DEP_3) | instskip(NEXT) | instid1(VALU_DEP_3)
	v_and_b32_e32 v6, 0x8000, v6
	v_and_b32_e32 v50, 0xfc00, v50
	s_delay_alu instid0(VALU_DEP_1)
	v_or3_b32 v122, v6, v50, v49
.LBB309_1329:                           ;   in Loop: Header=BB309_11 Depth=1
	s_wait_alu 0xfffe
	s_or_b32 exec_lo, exec_lo, s18
.LBB309_1330:                           ;   in Loop: Header=BB309_11 Depth=1
	s_wait_alu 0xfffe
	s_or_b32 exec_lo, exec_lo, s17
.LBB309_1331:                           ;   in Loop: Header=BB309_11 Depth=1
	s_wait_alu 0xfffe
	s_or_b32 exec_lo, exec_lo, s16
	v_lshrrev_b16 v7, 8, v7
	v_dual_mov_b32 v152, 0 :: v_dual_mov_b32 v155, 0
	s_mov_b32 s16, exec_lo
	s_delay_alu instid0(VALU_DEP_2)
	v_cmpx_ne_u16_e32 0, v7
	s_cbranch_execz .LBB309_1339
; %bb.1332:                             ;   in Loop: Header=BB309_11 Depth=1
	v_bfrev_b32_e32 v155, 1
	s_mov_b32 s17, exec_lo
	v_cmpx_ne_u16_e32 0x80, v7
	s_cbranch_execz .LBB309_1338
; %bb.1333:                             ;   in Loop: Header=BB309_11 Depth=1
	v_and_b32_e32 v49, 0xffff, v7
	v_mov_b32_e32 v155, 0x7c010000
	s_mov_b32 s18, exec_lo
	s_delay_alu instid0(VALU_DEP_2) | instskip(NEXT) | instid1(VALU_DEP_1)
	v_and_b32_e32 v64, 0x7f, v49
	v_cmpx_ne_u32_e32 0x7f, v64
	s_cbranch_execz .LBB309_1337
; %bb.1334:                             ;   in Loop: Header=BB309_11 Depth=1
	v_and_b32_e32 v53, 7, v49
	v_lshrrev_b32_e32 v54, 3, v64
	s_mov_b32 s19, exec_lo
	v_cmpx_gt_u32_e32 8, v64
; %bb.1335:                             ;   in Loop: Header=BB309_11 Depth=1
	s_delay_alu instid0(VALU_DEP_3) | instskip(NEXT) | instid1(VALU_DEP_1)
	v_clz_i32_u32_e32 v6, v53
	v_min_u32_e32 v50, 32, v6
	s_delay_alu instid0(VALU_DEP_1) | instskip(SKIP_1) | instid1(VALU_DEP_2)
	v_subrev_nc_u32_e32 v6, 28, v50
	v_sub_nc_u32_e32 v54, 29, v50
	v_lshlrev_b64_e32 v[6:7], v6, v[7:8]
	s_delay_alu instid0(VALU_DEP_1)
	v_and_b32_e32 v53, 7, v6
; %bb.1336:                             ;   in Loop: Header=BB309_11 Depth=1
	s_wait_alu 0xfffe
	s_or_b32 exec_lo, exec_lo, s19
	v_lshlrev_b32_e32 v6, 8, v49
	v_lshl_add_u32 v7, v54, 10, 0x2000
	s_delay_alu instid0(VALU_DEP_1) | instskip(SKIP_1) | instid1(VALU_DEP_1)
	v_and_or_b32 v6, 0x8000, v6, v7
	v_lshlrev_b32_e32 v7, 23, v53
	v_lshl_or_b32 v155, v6, 16, v7
.LBB309_1337:                           ;   in Loop: Header=BB309_11 Depth=1
	s_wait_alu 0xfffe
	s_or_b32 exec_lo, exec_lo, s18
.LBB309_1338:                           ;   in Loop: Header=BB309_11 Depth=1
	s_wait_alu 0xfffe
	s_or_b32 exec_lo, exec_lo, s17
.LBB309_1339:                           ;   in Loop: Header=BB309_11 Depth=1
	s_wait_alu 0xfffe
	s_or_b32 exec_lo, exec_lo, s16
	v_lshrrev_b32_e32 v7, 16, v31
	s_mov_b32 s16, exec_lo
	s_delay_alu instid0(VALU_DEP_1) | instskip(NEXT) | instid1(VALU_DEP_1)
	v_and_b32_e32 v49, 0xff, v7
	v_cmpx_ne_u16_e32 0, v49
	s_cbranch_execz .LBB309_1347
; %bb.1340:                             ;   in Loop: Header=BB309_11 Depth=1
	v_mov_b32_e32 v152, 0x8000
	s_mov_b32 s17, exec_lo
	v_cmpx_ne_u16_e32 0x80, v49
	s_cbranch_execz .LBB309_1346
; %bb.1341:                             ;   in Loop: Header=BB309_11 Depth=1
	v_bfe_u32 v54, v31, 16, 7
	v_mov_b32_e32 v152, 0x7c01
	s_mov_b32 s18, exec_lo
	s_delay_alu instid0(VALU_DEP_2)
	v_cmpx_ne_u32_e32 0x7f, v54
	s_cbranch_execz .LBB309_1345
; %bb.1342:                             ;   in Loop: Header=BB309_11 Depth=1
	v_and_b32_e32 v49, 7, v7
	v_lshrrev_b32_e32 v53, 3, v54
	s_mov_b32 s19, exec_lo
	v_cmpx_gt_u32_e32 8, v54
; %bb.1343:                             ;   in Loop: Header=BB309_11 Depth=1
	s_delay_alu instid0(VALU_DEP_3) | instskip(NEXT) | instid1(VALU_DEP_1)
	v_clz_i32_u32_e32 v6, v49
	v_min_u32_e32 v6, 32, v6
	s_delay_alu instid0(VALU_DEP_1) | instskip(SKIP_1) | instid1(VALU_DEP_2)
	v_subrev_nc_u32_e32 v49, 28, v6
	v_sub_nc_u32_e32 v53, 29, v6
	v_lshlrev_b64_e32 v[49:50], v49, v[7:8]
	s_delay_alu instid0(VALU_DEP_1)
	v_and_b32_e32 v49, 7, v49
; %bb.1344:                             ;   in Loop: Header=BB309_11 Depth=1
	s_wait_alu 0xfffe
	s_or_b32 exec_lo, exec_lo, s19
	v_lshlrev_b32_e32 v6, 8, v7
	v_lshl_add_u32 v7, v53, 10, 0x2000
	v_lshlrev_b32_e32 v49, 7, v49
	s_delay_alu instid0(VALU_DEP_3) | instskip(NEXT) | instid1(VALU_DEP_3)
	v_and_b32_e32 v6, 0x8000, v6
	v_and_b32_e32 v7, 0xfc00, v7
	s_delay_alu instid0(VALU_DEP_1)
	v_or3_b32 v152, v6, v7, v49
.LBB309_1345:                           ;   in Loop: Header=BB309_11 Depth=1
	s_wait_alu 0xfffe
	s_or_b32 exec_lo, exec_lo, s18
.LBB309_1346:                           ;   in Loop: Header=BB309_11 Depth=1
	s_wait_alu 0xfffe
	s_or_b32 exec_lo, exec_lo, s17
.LBB309_1347:                           ;   in Loop: Header=BB309_11 Depth=1
	s_wait_alu 0xfffe
	s_or_b32 exec_lo, exec_lo, s16
	v_mov_b32_e32 v59, 0
	v_mov_b32_e32 v49, 0
	s_mov_b32 s16, exec_lo
	v_cmpx_lt_u64_e64 s[2:3], v[30:31]
	s_cbranch_execz .LBB309_1355
; %bb.1348:                             ;   in Loop: Header=BB309_11 Depth=1
	v_lshrrev_b32_e32 v7, 24, v31
	v_bfrev_b32_e32 v49, 1
	s_mov_b32 s17, exec_lo
	s_delay_alu instid0(VALU_DEP_2)
	v_cmpx_ne_u32_e32 0x80, v7
	s_cbranch_execz .LBB309_1354
; %bb.1349:                             ;   in Loop: Header=BB309_11 Depth=1
	v_and_b32_e32 v53, 0x7f, v7
	v_mov_b32_e32 v49, 0x7c010000
	s_mov_b32 s18, exec_lo
	s_delay_alu instid0(VALU_DEP_2)
	v_cmpx_ne_u32_e32 0x7f, v53
	s_cbranch_execz .LBB309_1353
; %bb.1350:                             ;   in Loop: Header=BB309_11 Depth=1
	v_and_b32_e32 v30, 7, v7
	v_lshrrev_b32_e32 v31, 3, v53
	s_mov_b32 s19, exec_lo
	v_cmpx_gt_u32_e32 8, v53
; %bb.1351:                             ;   in Loop: Header=BB309_11 Depth=1
	s_delay_alu instid0(VALU_DEP_3) | instskip(NEXT) | instid1(VALU_DEP_1)
	v_clz_i32_u32_e32 v6, v30
	v_min_u32_e32 v6, 32, v6
	s_delay_alu instid0(VALU_DEP_1) | instskip(NEXT) | instid1(VALU_DEP_1)
	v_subrev_nc_u32_e32 v30, 28, v6
	v_lshlrev_b64_e32 v[30:31], v30, v[7:8]
	v_sub_nc_u32_e32 v31, 29, v6
	s_delay_alu instid0(VALU_DEP_2)
	v_and_b32_e32 v30, 7, v30
; %bb.1352:                             ;   in Loop: Header=BB309_11 Depth=1
	s_wait_alu 0xfffe
	s_or_b32 exec_lo, exec_lo, s19
	v_lshlrev_b32_e32 v6, 8, v7
	v_lshl_add_u32 v7, v31, 10, 0x2000
	s_delay_alu instid0(VALU_DEP_1) | instskip(SKIP_1) | instid1(VALU_DEP_1)
	v_and_or_b32 v6, 0x8000, v6, v7
	v_lshlrev_b32_e32 v7, 23, v30
	v_lshl_or_b32 v49, v6, 16, v7
.LBB309_1353:                           ;   in Loop: Header=BB309_11 Depth=1
	s_wait_alu 0xfffe
	s_or_b32 exec_lo, exec_lo, s18
.LBB309_1354:                           ;   in Loop: Header=BB309_11 Depth=1
	s_wait_alu 0xfffe
	s_or_b32 exec_lo, exec_lo, s17
.LBB309_1355:                           ;   in Loop: Header=BB309_11 Depth=1
	s_wait_alu 0xfffe
	s_or_b32 exec_lo, exec_lo, s16
	flat_load_b64 v[30:31], v[28:29] offset:5128
	s_mov_b32 s16, exec_lo
	s_wait_loadcnt_dscnt 0x0
	v_and_b32_e32 v7, 0xff, v30
	s_delay_alu instid0(VALU_DEP_1)
	v_cmpx_ne_u16_e32 0, v7
	s_cbranch_execz .LBB309_1363
; %bb.1356:                             ;   in Loop: Header=BB309_11 Depth=1
	v_mov_b32_e32 v59, 0x8000
	s_mov_b32 s17, exec_lo
	v_cmpx_ne_u16_e32 0x80, v7
	s_cbranch_execz .LBB309_1362
; %bb.1357:                             ;   in Loop: Header=BB309_11 Depth=1
	v_and_b32_e32 v54, 0x7f, v30
	v_mov_b32_e32 v59, 0x7c01
	s_mov_b32 s18, exec_lo
	s_delay_alu instid0(VALU_DEP_2)
	v_cmpx_ne_u32_e32 0x7f, v54
	s_cbranch_execz .LBB309_1361
; %bb.1358:                             ;   in Loop: Header=BB309_11 Depth=1
	v_and_b32_e32 v7, 7, v30
	v_lshrrev_b32_e32 v53, 3, v54
	s_mov_b32 s19, exec_lo
	v_cmpx_gt_u32_e32 8, v54
; %bb.1359:                             ;   in Loop: Header=BB309_11 Depth=1
	s_delay_alu instid0(VALU_DEP_3) | instskip(NEXT) | instid1(VALU_DEP_1)
	v_clz_i32_u32_e32 v6, v7
	v_min_u32_e32 v50, 32, v6
	s_delay_alu instid0(VALU_DEP_1) | instskip(SKIP_1) | instid1(VALU_DEP_2)
	v_subrev_nc_u32_e32 v6, 28, v50
	v_sub_nc_u32_e32 v53, 29, v50
	v_lshlrev_b64_e32 v[6:7], v6, v[30:31]
	s_delay_alu instid0(VALU_DEP_1)
	v_and_b32_e32 v7, 7, v6
; %bb.1360:                             ;   in Loop: Header=BB309_11 Depth=1
	s_wait_alu 0xfffe
	s_or_b32 exec_lo, exec_lo, s19
	v_lshlrev_b32_e32 v6, 8, v30
	v_lshl_add_u32 v50, v53, 10, 0x2000
	v_lshlrev_b32_e32 v7, 7, v7
	s_delay_alu instid0(VALU_DEP_3) | instskip(NEXT) | instid1(VALU_DEP_3)
	v_and_b32_e32 v6, 0x8000, v6
	v_and_b32_e32 v50, 0xfc00, v50
	s_delay_alu instid0(VALU_DEP_1)
	v_or3_b32 v59, v6, v50, v7
.LBB309_1361:                           ;   in Loop: Header=BB309_11 Depth=1
	s_wait_alu 0xfffe
	s_or_b32 exec_lo, exec_lo, s18
.LBB309_1362:                           ;   in Loop: Header=BB309_11 Depth=1
	s_wait_alu 0xfffe
	s_or_b32 exec_lo, exec_lo, s17
.LBB309_1363:                           ;   in Loop: Header=BB309_11 Depth=1
	s_wait_alu 0xfffe
	s_or_b32 exec_lo, exec_lo, s16
	v_lshrrev_b16 v7, 8, v30
	v_dual_mov_b32 v77, 0 :: v_dual_mov_b32 v54, 0
	s_mov_b32 s16, exec_lo
	s_delay_alu instid0(VALU_DEP_2)
	v_cmpx_ne_u16_e32 0, v7
	s_cbranch_execz .LBB309_1371
; %bb.1364:                             ;   in Loop: Header=BB309_11 Depth=1
	v_bfrev_b32_e32 v54, 1
	s_mov_b32 s17, exec_lo
	v_cmpx_ne_u16_e32 0x80, v7
	s_cbranch_execz .LBB309_1370
; %bb.1365:                             ;   in Loop: Header=BB309_11 Depth=1
	v_and_b32_e32 v53, 0xffff, v7
	v_mov_b32_e32 v54, 0x7c010000
	s_mov_b32 s18, exec_lo
	s_delay_alu instid0(VALU_DEP_2) | instskip(NEXT) | instid1(VALU_DEP_1)
	v_and_b32_e32 v66, 0x7f, v53
	v_cmpx_ne_u32_e32 0x7f, v66
	s_cbranch_execz .LBB309_1369
; %bb.1366:                             ;   in Loop: Header=BB309_11 Depth=1
	v_and_b32_e32 v54, 7, v53
	v_lshrrev_b32_e32 v64, 3, v66
	s_mov_b32 s19, exec_lo
	v_cmpx_gt_u32_e32 8, v66
; %bb.1367:                             ;   in Loop: Header=BB309_11 Depth=1
	s_delay_alu instid0(VALU_DEP_3) | instskip(NEXT) | instid1(VALU_DEP_1)
	v_clz_i32_u32_e32 v6, v54
	v_min_u32_e32 v50, 32, v6
	s_delay_alu instid0(VALU_DEP_1) | instskip(SKIP_1) | instid1(VALU_DEP_2)
	v_subrev_nc_u32_e32 v6, 28, v50
	v_sub_nc_u32_e32 v64, 29, v50
	v_lshlrev_b64_e32 v[6:7], v6, v[7:8]
	s_delay_alu instid0(VALU_DEP_1)
	v_and_b32_e32 v54, 7, v6
; %bb.1368:                             ;   in Loop: Header=BB309_11 Depth=1
	s_wait_alu 0xfffe
	s_or_b32 exec_lo, exec_lo, s19
	v_lshlrev_b32_e32 v6, 8, v53
	v_lshl_add_u32 v7, v64, 10, 0x2000
	s_delay_alu instid0(VALU_DEP_1) | instskip(SKIP_1) | instid1(VALU_DEP_1)
	v_and_or_b32 v6, 0x8000, v6, v7
	v_lshlrev_b32_e32 v7, 23, v54
	v_lshl_or_b32 v54, v6, 16, v7
.LBB309_1369:                           ;   in Loop: Header=BB309_11 Depth=1
	s_wait_alu 0xfffe
	s_or_b32 exec_lo, exec_lo, s18
.LBB309_1370:                           ;   in Loop: Header=BB309_11 Depth=1
	s_wait_alu 0xfffe
	s_or_b32 exec_lo, exec_lo, s17
.LBB309_1371:                           ;   in Loop: Header=BB309_11 Depth=1
	s_wait_alu 0xfffe
	s_or_b32 exec_lo, exec_lo, s16
	v_lshrrev_b32_e32 v7, 16, v30
	s_mov_b32 s16, exec_lo
	s_delay_alu instid0(VALU_DEP_1) | instskip(NEXT) | instid1(VALU_DEP_1)
	v_and_b32_e32 v53, 0xff, v7
	v_cmpx_ne_u16_e32 0, v53
	s_cbranch_execz .LBB309_1379
; %bb.1372:                             ;   in Loop: Header=BB309_11 Depth=1
	v_mov_b32_e32 v77, 0x8000
	s_mov_b32 s17, exec_lo
	v_cmpx_ne_u16_e32 0x80, v53
	s_cbranch_execz .LBB309_1378
; %bb.1373:                             ;   in Loop: Header=BB309_11 Depth=1
	v_bfe_u32 v66, v30, 16, 7
	v_mov_b32_e32 v77, 0x7c01
	s_mov_b32 s18, exec_lo
	s_delay_alu instid0(VALU_DEP_2)
	v_cmpx_ne_u32_e32 0x7f, v66
	s_cbranch_execz .LBB309_1377
; %bb.1374:                             ;   in Loop: Header=BB309_11 Depth=1
	v_and_b32_e32 v53, 7, v7
	v_lshrrev_b32_e32 v64, 3, v66
	s_mov_b32 s19, exec_lo
	v_cmpx_gt_u32_e32 8, v66
; %bb.1375:                             ;   in Loop: Header=BB309_11 Depth=1
	s_delay_alu instid0(VALU_DEP_3) | instskip(NEXT) | instid1(VALU_DEP_1)
	v_clz_i32_u32_e32 v6, v53
	v_min_u32_e32 v6, 32, v6
	s_delay_alu instid0(VALU_DEP_1) | instskip(SKIP_1) | instid1(VALU_DEP_2)
	v_subrev_nc_u32_e32 v50, 28, v6
	v_sub_nc_u32_e32 v64, 29, v6
	v_lshlrev_b64_e32 v[66:67], v50, v[7:8]
	s_delay_alu instid0(VALU_DEP_1)
	v_and_b32_e32 v53, 7, v66
; %bb.1376:                             ;   in Loop: Header=BB309_11 Depth=1
	s_wait_alu 0xfffe
	s_or_b32 exec_lo, exec_lo, s19
	v_lshlrev_b32_e32 v6, 8, v7
	v_lshl_add_u32 v7, v64, 10, 0x2000
	v_lshlrev_b32_e32 v50, 7, v53
	s_delay_alu instid0(VALU_DEP_3) | instskip(NEXT) | instid1(VALU_DEP_3)
	v_and_b32_e32 v6, 0x8000, v6
	v_and_b32_e32 v7, 0xfc00, v7
	s_delay_alu instid0(VALU_DEP_1)
	v_or3_b32 v77, v6, v7, v50
.LBB309_1377:                           ;   in Loop: Header=BB309_11 Depth=1
	s_wait_alu 0xfffe
	s_or_b32 exec_lo, exec_lo, s18
.LBB309_1378:                           ;   in Loop: Header=BB309_11 Depth=1
	s_wait_alu 0xfffe
	s_or_b32 exec_lo, exec_lo, s17
.LBB309_1379:                           ;   in Loop: Header=BB309_11 Depth=1
	s_wait_alu 0xfffe
	s_or_b32 exec_lo, exec_lo, s16
	v_dual_mov_b32 v78, 0 :: v_dual_mov_b32 v93, 0
	s_mov_b32 s16, exec_lo
	v_cmpx_lt_u32_e32 0xffffff, v30
	s_cbranch_execz .LBB309_1387
; %bb.1380:                             ;   in Loop: Header=BB309_11 Depth=1
	v_lshrrev_b32_e32 v7, 24, v30
	v_bfrev_b32_e32 v93, 1
	s_mov_b32 s17, exec_lo
	s_delay_alu instid0(VALU_DEP_2)
	v_cmpx_ne_u32_e32 0x80, v7
	s_cbranch_execz .LBB309_1386
; %bb.1381:                             ;   in Loop: Header=BB309_11 Depth=1
	v_and_b32_e32 v66, 0x7f, v7
	v_mov_b32_e32 v93, 0x7c010000
	s_mov_b32 s18, exec_lo
	s_delay_alu instid0(VALU_DEP_2)
	v_cmpx_ne_u32_e32 0x7f, v66
	s_cbranch_execz .LBB309_1385
; %bb.1382:                             ;   in Loop: Header=BB309_11 Depth=1
	v_and_b32_e32 v53, 7, v7
	v_lshrrev_b32_e32 v64, 3, v66
	s_mov_b32 s19, exec_lo
	v_cmpx_gt_u32_e32 8, v66
; %bb.1383:                             ;   in Loop: Header=BB309_11 Depth=1
	s_delay_alu instid0(VALU_DEP_3) | instskip(NEXT) | instid1(VALU_DEP_1)
	v_clz_i32_u32_e32 v6, v53
	v_min_u32_e32 v6, 32, v6
	s_delay_alu instid0(VALU_DEP_1) | instskip(SKIP_1) | instid1(VALU_DEP_2)
	v_subrev_nc_u32_e32 v50, 28, v6
	v_sub_nc_u32_e32 v64, 29, v6
	v_lshlrev_b64_e32 v[66:67], v50, v[7:8]
	s_delay_alu instid0(VALU_DEP_1)
	v_and_b32_e32 v53, 7, v66
; %bb.1384:                             ;   in Loop: Header=BB309_11 Depth=1
	s_wait_alu 0xfffe
	s_or_b32 exec_lo, exec_lo, s19
	v_lshlrev_b32_e32 v6, 8, v7
	v_lshl_add_u32 v7, v64, 10, 0x2000
	s_delay_alu instid0(VALU_DEP_1) | instskip(SKIP_1) | instid1(VALU_DEP_1)
	v_and_or_b32 v6, 0x8000, v6, v7
	v_lshlrev_b32_e32 v7, 23, v53
	v_lshl_or_b32 v93, v6, 16, v7
.LBB309_1385:                           ;   in Loop: Header=BB309_11 Depth=1
	s_wait_alu 0xfffe
	s_or_b32 exec_lo, exec_lo, s18
.LBB309_1386:                           ;   in Loop: Header=BB309_11 Depth=1
	s_wait_alu 0xfffe
	s_or_b32 exec_lo, exec_lo, s17
.LBB309_1387:                           ;   in Loop: Header=BB309_11 Depth=1
	s_wait_alu 0xfffe
	s_or_b32 exec_lo, exec_lo, s16
	v_and_b32_e32 v53, 0xff, v31
	v_mov_b32_e32 v7, v31
	s_mov_b32 s16, exec_lo
	s_delay_alu instid0(VALU_DEP_2)
	v_cmpx_ne_u16_e32 0, v53
	s_cbranch_execz .LBB309_1395
; %bb.1388:                             ;   in Loop: Header=BB309_11 Depth=1
	v_mov_b32_e32 v78, 0x8000
	s_mov_b32 s17, exec_lo
	v_cmpx_ne_u16_e32 0x80, v53
	s_cbranch_execz .LBB309_1394
; %bb.1389:                             ;   in Loop: Header=BB309_11 Depth=1
	v_and_b32_e32 v66, 0x7f, v31
	v_mov_b32_e32 v78, 0x7c01
	s_mov_b32 s18, exec_lo
	s_delay_alu instid0(VALU_DEP_2)
	v_cmpx_ne_u32_e32 0x7f, v66
	s_cbranch_execz .LBB309_1393
; %bb.1390:                             ;   in Loop: Header=BB309_11 Depth=1
	v_and_b32_e32 v53, 7, v31
	v_lshrrev_b32_e32 v64, 3, v66
	s_mov_b32 s19, exec_lo
	v_cmpx_gt_u32_e32 8, v66
; %bb.1391:                             ;   in Loop: Header=BB309_11 Depth=1
	s_delay_alu instid0(VALU_DEP_3) | instskip(NEXT) | instid1(VALU_DEP_1)
	v_clz_i32_u32_e32 v6, v53
	v_min_u32_e32 v6, 32, v6
	s_delay_alu instid0(VALU_DEP_1) | instskip(SKIP_1) | instid1(VALU_DEP_2)
	v_subrev_nc_u32_e32 v50, 28, v6
	v_sub_nc_u32_e32 v64, 29, v6
	v_lshlrev_b64_e32 v[66:67], v50, v[7:8]
	s_delay_alu instid0(VALU_DEP_1)
	v_and_b32_e32 v53, 7, v66
; %bb.1392:                             ;   in Loop: Header=BB309_11 Depth=1
	s_wait_alu 0xfffe
	s_or_b32 exec_lo, exec_lo, s19
	v_lshlrev_b32_e32 v6, 8, v31
	v_lshl_add_u32 v50, v64, 10, 0x2000
	v_lshlrev_b32_e32 v53, 7, v53
	s_delay_alu instid0(VALU_DEP_3) | instskip(NEXT) | instid1(VALU_DEP_3)
	v_and_b32_e32 v6, 0x8000, v6
	v_and_b32_e32 v50, 0xfc00, v50
	s_delay_alu instid0(VALU_DEP_1)
	v_or3_b32 v78, v6, v50, v53
.LBB309_1393:                           ;   in Loop: Header=BB309_11 Depth=1
	s_wait_alu 0xfffe
	s_or_b32 exec_lo, exec_lo, s18
.LBB309_1394:                           ;   in Loop: Header=BB309_11 Depth=1
	s_wait_alu 0xfffe
	s_or_b32 exec_lo, exec_lo, s17
.LBB309_1395:                           ;   in Loop: Header=BB309_11 Depth=1
	s_wait_alu 0xfffe
	s_or_b32 exec_lo, exec_lo, s16
	v_lshrrev_b16 v7, 8, v7
	v_dual_mov_b32 v66, 0 :: v_dual_mov_b32 v67, 0
	s_mov_b32 s16, exec_lo
	s_delay_alu instid0(VALU_DEP_2)
	v_cmpx_ne_u16_e32 0, v7
	s_cbranch_execz .LBB309_1403
; %bb.1396:                             ;   in Loop: Header=BB309_11 Depth=1
	v_bfrev_b32_e32 v67, 1
	s_mov_b32 s17, exec_lo
	v_cmpx_ne_u16_e32 0x80, v7
	s_cbranch_execz .LBB309_1402
; %bb.1397:                             ;   in Loop: Header=BB309_11 Depth=1
	v_and_b32_e32 v53, 0xffff, v7
	v_mov_b32_e32 v67, 0x7c010000
	s_mov_b32 s18, exec_lo
	s_delay_alu instid0(VALU_DEP_2) | instskip(NEXT) | instid1(VALU_DEP_1)
	v_and_b32_e32 v82, 0x7f, v53
	v_cmpx_ne_u32_e32 0x7f, v82
	s_cbranch_execz .LBB309_1401
; %bb.1398:                             ;   in Loop: Header=BB309_11 Depth=1
	v_and_b32_e32 v64, 7, v53
	v_lshrrev_b32_e32 v67, 3, v82
	s_mov_b32 s19, exec_lo
	v_cmpx_gt_u32_e32 8, v82
; %bb.1399:                             ;   in Loop: Header=BB309_11 Depth=1
	s_delay_alu instid0(VALU_DEP_3) | instskip(NEXT) | instid1(VALU_DEP_1)
	v_clz_i32_u32_e32 v6, v64
	v_min_u32_e32 v50, 32, v6
	s_delay_alu instid0(VALU_DEP_1) | instskip(SKIP_1) | instid1(VALU_DEP_2)
	v_subrev_nc_u32_e32 v6, 28, v50
	v_sub_nc_u32_e32 v67, 29, v50
	v_lshlrev_b64_e32 v[6:7], v6, v[7:8]
	s_delay_alu instid0(VALU_DEP_1)
	v_and_b32_e32 v64, 7, v6
; %bb.1400:                             ;   in Loop: Header=BB309_11 Depth=1
	s_wait_alu 0xfffe
	s_or_b32 exec_lo, exec_lo, s19
	v_lshlrev_b32_e32 v6, 8, v53
	v_lshl_add_u32 v7, v67, 10, 0x2000
	s_delay_alu instid0(VALU_DEP_1) | instskip(SKIP_1) | instid1(VALU_DEP_1)
	v_and_or_b32 v6, 0x8000, v6, v7
	v_lshlrev_b32_e32 v7, 23, v64
	v_lshl_or_b32 v67, v6, 16, v7
.LBB309_1401:                           ;   in Loop: Header=BB309_11 Depth=1
	s_wait_alu 0xfffe
	s_or_b32 exec_lo, exec_lo, s18
.LBB309_1402:                           ;   in Loop: Header=BB309_11 Depth=1
	s_wait_alu 0xfffe
	s_or_b32 exec_lo, exec_lo, s17
.LBB309_1403:                           ;   in Loop: Header=BB309_11 Depth=1
	s_wait_alu 0xfffe
	s_or_b32 exec_lo, exec_lo, s16
	v_lshrrev_b32_e32 v7, 16, v31
	s_mov_b32 s16, exec_lo
	s_delay_alu instid0(VALU_DEP_1) | instskip(NEXT) | instid1(VALU_DEP_1)
	v_and_b32_e32 v53, 0xff, v7
	v_cmpx_ne_u16_e32 0, v53
	s_cbranch_execz .LBB309_1411
; %bb.1404:                             ;   in Loop: Header=BB309_11 Depth=1
	v_mov_b32_e32 v66, 0x8000
	s_mov_b32 s17, exec_lo
	v_cmpx_ne_u16_e32 0x80, v53
	s_cbranch_execz .LBB309_1410
; %bb.1405:                             ;   in Loop: Header=BB309_11 Depth=1
	v_bfe_u32 v82, v31, 16, 7
	v_mov_b32_e32 v66, 0x7c01
	s_mov_b32 s18, exec_lo
	s_delay_alu instid0(VALU_DEP_2)
	v_cmpx_ne_u32_e32 0x7f, v82
	s_cbranch_execz .LBB309_1409
; %bb.1406:                             ;   in Loop: Header=BB309_11 Depth=1
	v_and_b32_e32 v53, 7, v7
	v_lshrrev_b32_e32 v64, 3, v82
	s_mov_b32 s19, exec_lo
	v_cmpx_gt_u32_e32 8, v82
; %bb.1407:                             ;   in Loop: Header=BB309_11 Depth=1
	s_delay_alu instid0(VALU_DEP_3) | instskip(NEXT) | instid1(VALU_DEP_1)
	v_clz_i32_u32_e32 v6, v53
	v_min_u32_e32 v6, 32, v6
	s_delay_alu instid0(VALU_DEP_1) | instskip(SKIP_1) | instid1(VALU_DEP_2)
	v_subrev_nc_u32_e32 v50, 28, v6
	v_sub_nc_u32_e32 v64, 29, v6
	v_lshlrev_b64_e32 v[82:83], v50, v[7:8]
	s_delay_alu instid0(VALU_DEP_1)
	v_and_b32_e32 v53, 7, v82
; %bb.1408:                             ;   in Loop: Header=BB309_11 Depth=1
	s_wait_alu 0xfffe
	s_or_b32 exec_lo, exec_lo, s19
	v_lshlrev_b32_e32 v6, 8, v7
	v_lshl_add_u32 v7, v64, 10, 0x2000
	v_lshlrev_b32_e32 v50, 7, v53
	s_delay_alu instid0(VALU_DEP_3) | instskip(NEXT) | instid1(VALU_DEP_3)
	v_and_b32_e32 v6, 0x8000, v6
	v_and_b32_e32 v7, 0xfc00, v7
	s_delay_alu instid0(VALU_DEP_1)
	v_or3_b32 v66, v6, v7, v50
.LBB309_1409:                           ;   in Loop: Header=BB309_11 Depth=1
	s_wait_alu 0xfffe
	s_or_b32 exec_lo, exec_lo, s18
.LBB309_1410:                           ;   in Loop: Header=BB309_11 Depth=1
	s_wait_alu 0xfffe
	s_or_b32 exec_lo, exec_lo, s17
.LBB309_1411:                           ;   in Loop: Header=BB309_11 Depth=1
	s_wait_alu 0xfffe
	s_or_b32 exec_lo, exec_lo, s16
	v_mov_b32_e32 v74, 0
	v_mov_b32_e32 v62, 0
	s_mov_b32 s16, exec_lo
	v_cmpx_lt_u64_e64 s[2:3], v[30:31]
	s_cbranch_execz .LBB309_1419
; %bb.1412:                             ;   in Loop: Header=BB309_11 Depth=1
	v_lshrrev_b32_e32 v7, 24, v31
	v_bfrev_b32_e32 v62, 1
	s_mov_b32 s17, exec_lo
	s_delay_alu instid0(VALU_DEP_2)
	v_cmpx_ne_u32_e32 0x80, v7
	s_cbranch_execz .LBB309_1418
; %bb.1413:                             ;   in Loop: Header=BB309_11 Depth=1
	v_and_b32_e32 v53, 0x7f, v7
	v_mov_b32_e32 v62, 0x7c010000
	s_mov_b32 s18, exec_lo
	s_delay_alu instid0(VALU_DEP_2)
	v_cmpx_ne_u32_e32 0x7f, v53
	s_cbranch_execz .LBB309_1417
; %bb.1414:                             ;   in Loop: Header=BB309_11 Depth=1
	v_and_b32_e32 v30, 7, v7
	v_lshrrev_b32_e32 v31, 3, v53
	s_mov_b32 s19, exec_lo
	v_cmpx_gt_u32_e32 8, v53
; %bb.1415:                             ;   in Loop: Header=BB309_11 Depth=1
	s_delay_alu instid0(VALU_DEP_3) | instskip(NEXT) | instid1(VALU_DEP_1)
	v_clz_i32_u32_e32 v6, v30
	v_min_u32_e32 v6, 32, v6
	s_delay_alu instid0(VALU_DEP_1) | instskip(NEXT) | instid1(VALU_DEP_1)
	v_subrev_nc_u32_e32 v30, 28, v6
	v_lshlrev_b64_e32 v[30:31], v30, v[7:8]
	v_sub_nc_u32_e32 v31, 29, v6
	s_delay_alu instid0(VALU_DEP_2)
	v_and_b32_e32 v30, 7, v30
; %bb.1416:                             ;   in Loop: Header=BB309_11 Depth=1
	s_wait_alu 0xfffe
	s_or_b32 exec_lo, exec_lo, s19
	v_lshlrev_b32_e32 v6, 8, v7
	v_lshl_add_u32 v7, v31, 10, 0x2000
	s_delay_alu instid0(VALU_DEP_1) | instskip(SKIP_1) | instid1(VALU_DEP_1)
	v_and_or_b32 v6, 0x8000, v6, v7
	v_lshlrev_b32_e32 v7, 23, v30
	v_lshl_or_b32 v62, v6, 16, v7
.LBB309_1417:                           ;   in Loop: Header=BB309_11 Depth=1
	s_wait_alu 0xfffe
	s_or_b32 exec_lo, exec_lo, s18
.LBB309_1418:                           ;   in Loop: Header=BB309_11 Depth=1
	s_wait_alu 0xfffe
	s_or_b32 exec_lo, exec_lo, s17
.LBB309_1419:                           ;   in Loop: Header=BB309_11 Depth=1
	s_wait_alu 0xfffe
	s_or_b32 exec_lo, exec_lo, s16
	flat_load_b64 v[30:31], v[28:29] offset:5632
	s_mov_b32 s16, exec_lo
	s_wait_loadcnt_dscnt 0x0
	v_and_b32_e32 v7, 0xff, v30
	s_delay_alu instid0(VALU_DEP_1)
	v_cmpx_ne_u16_e32 0, v7
	s_cbranch_execz .LBB309_1427
; %bb.1420:                             ;   in Loop: Header=BB309_11 Depth=1
	v_mov_b32_e32 v74, 0x8000
	s_mov_b32 s17, exec_lo
	v_cmpx_ne_u16_e32 0x80, v7
	s_cbranch_execz .LBB309_1426
; %bb.1421:                             ;   in Loop: Header=BB309_11 Depth=1
	v_and_b32_e32 v64, 0x7f, v30
	v_mov_b32_e32 v74, 0x7c01
	s_mov_b32 s18, exec_lo
	s_delay_alu instid0(VALU_DEP_2)
	v_cmpx_ne_u32_e32 0x7f, v64
	s_cbranch_execz .LBB309_1425
; %bb.1422:                             ;   in Loop: Header=BB309_11 Depth=1
	v_and_b32_e32 v7, 7, v30
	v_lshrrev_b32_e32 v53, 3, v64
	s_mov_b32 s19, exec_lo
	v_cmpx_gt_u32_e32 8, v64
; %bb.1423:                             ;   in Loop: Header=BB309_11 Depth=1
	s_delay_alu instid0(VALU_DEP_3) | instskip(NEXT) | instid1(VALU_DEP_1)
	v_clz_i32_u32_e32 v6, v7
	v_min_u32_e32 v50, 32, v6
	s_delay_alu instid0(VALU_DEP_1) | instskip(SKIP_1) | instid1(VALU_DEP_2)
	v_subrev_nc_u32_e32 v6, 28, v50
	v_sub_nc_u32_e32 v53, 29, v50
	v_lshlrev_b64_e32 v[6:7], v6, v[30:31]
	s_delay_alu instid0(VALU_DEP_1)
	v_and_b32_e32 v7, 7, v6
; %bb.1424:                             ;   in Loop: Header=BB309_11 Depth=1
	s_wait_alu 0xfffe
	s_or_b32 exec_lo, exec_lo, s19
	v_lshlrev_b32_e32 v6, 8, v30
	v_lshl_add_u32 v50, v53, 10, 0x2000
	v_lshlrev_b32_e32 v7, 7, v7
	s_delay_alu instid0(VALU_DEP_3) | instskip(NEXT) | instid1(VALU_DEP_3)
	v_and_b32_e32 v6, 0x8000, v6
	v_and_b32_e32 v50, 0xfc00, v50
	s_delay_alu instid0(VALU_DEP_1)
	v_or3_b32 v74, v6, v50, v7
.LBB309_1425:                           ;   in Loop: Header=BB309_11 Depth=1
	s_wait_alu 0xfffe
	s_or_b32 exec_lo, exec_lo, s18
.LBB309_1426:                           ;   in Loop: Header=BB309_11 Depth=1
	s_wait_alu 0xfffe
	s_or_b32 exec_lo, exec_lo, s17
.LBB309_1427:                           ;   in Loop: Header=BB309_11 Depth=1
	s_wait_alu 0xfffe
	s_or_b32 exec_lo, exec_lo, s16
	v_lshrrev_b16 v7, 8, v30
	v_dual_mov_b32 v95, 0 :: v_dual_mov_b32 v94, 0
	s_mov_b32 s16, exec_lo
	s_delay_alu instid0(VALU_DEP_2)
	v_cmpx_ne_u16_e32 0, v7
	s_cbranch_execz .LBB309_1435
; %bb.1428:                             ;   in Loop: Header=BB309_11 Depth=1
	v_bfrev_b32_e32 v94, 1
	s_mov_b32 s17, exec_lo
	v_cmpx_ne_u16_e32 0x80, v7
	s_cbranch_execz .LBB309_1434
; %bb.1429:                             ;   in Loop: Header=BB309_11 Depth=1
	v_and_b32_e32 v53, 0xffff, v7
	v_mov_b32_e32 v94, 0x7c010000
	s_mov_b32 s18, exec_lo
	s_delay_alu instid0(VALU_DEP_2) | instskip(NEXT) | instid1(VALU_DEP_1)
	v_and_b32_e32 v63, 0x7f, v53
	v_cmpx_ne_u32_e32 0x7f, v63
	s_cbranch_execz .LBB309_1433
; %bb.1430:                             ;   in Loop: Header=BB309_11 Depth=1
	v_and_b32_e32 v64, 7, v53
	v_lshrrev_b32_e32 v82, 3, v63
	s_mov_b32 s19, exec_lo
	v_cmpx_gt_u32_e32 8, v63
; %bb.1431:                             ;   in Loop: Header=BB309_11 Depth=1
	s_delay_alu instid0(VALU_DEP_3) | instskip(NEXT) | instid1(VALU_DEP_1)
	v_clz_i32_u32_e32 v6, v64
	v_min_u32_e32 v50, 32, v6
	s_delay_alu instid0(VALU_DEP_1) | instskip(SKIP_1) | instid1(VALU_DEP_2)
	v_subrev_nc_u32_e32 v6, 28, v50
	v_sub_nc_u32_e32 v82, 29, v50
	v_lshlrev_b64_e32 v[6:7], v6, v[7:8]
	s_delay_alu instid0(VALU_DEP_1)
	v_and_b32_e32 v64, 7, v6
; %bb.1432:                             ;   in Loop: Header=BB309_11 Depth=1
	s_wait_alu 0xfffe
	s_or_b32 exec_lo, exec_lo, s19
	v_lshlrev_b32_e32 v6, 8, v53
	v_lshl_add_u32 v7, v82, 10, 0x2000
	s_delay_alu instid0(VALU_DEP_1) | instskip(SKIP_1) | instid1(VALU_DEP_1)
	v_and_or_b32 v6, 0x8000, v6, v7
	v_lshlrev_b32_e32 v7, 23, v64
	v_lshl_or_b32 v94, v6, 16, v7
.LBB309_1433:                           ;   in Loop: Header=BB309_11 Depth=1
	s_wait_alu 0xfffe
	s_or_b32 exec_lo, exec_lo, s18
.LBB309_1434:                           ;   in Loop: Header=BB309_11 Depth=1
	s_wait_alu 0xfffe
	s_or_b32 exec_lo, exec_lo, s17
.LBB309_1435:                           ;   in Loop: Header=BB309_11 Depth=1
	s_wait_alu 0xfffe
	s_or_b32 exec_lo, exec_lo, s16
	v_lshrrev_b32_e32 v7, 16, v30
	s_mov_b32 s16, exec_lo
	s_delay_alu instid0(VALU_DEP_1) | instskip(NEXT) | instid1(VALU_DEP_1)
	v_and_b32_e32 v53, 0xff, v7
	v_cmpx_ne_u16_e32 0, v53
	s_cbranch_execz .LBB309_1443
; %bb.1436:                             ;   in Loop: Header=BB309_11 Depth=1
	v_mov_b32_e32 v95, 0x8000
	s_mov_b32 s17, exec_lo
	v_cmpx_ne_u16_e32 0x80, v53
	s_cbranch_execz .LBB309_1442
; %bb.1437:                             ;   in Loop: Header=BB309_11 Depth=1
	v_bfe_u32 v82, v30, 16, 7
	v_mov_b32_e32 v95, 0x7c01
	s_mov_b32 s18, exec_lo
	s_delay_alu instid0(VALU_DEP_2)
	v_cmpx_ne_u32_e32 0x7f, v82
	s_cbranch_execz .LBB309_1441
; %bb.1438:                             ;   in Loop: Header=BB309_11 Depth=1
	v_and_b32_e32 v53, 7, v7
	v_lshrrev_b32_e32 v64, 3, v82
	s_mov_b32 s19, exec_lo
	v_cmpx_gt_u32_e32 8, v82
; %bb.1439:                             ;   in Loop: Header=BB309_11 Depth=1
	s_delay_alu instid0(VALU_DEP_3) | instskip(NEXT) | instid1(VALU_DEP_1)
	v_clz_i32_u32_e32 v6, v53
	v_min_u32_e32 v6, 32, v6
	s_delay_alu instid0(VALU_DEP_1) | instskip(SKIP_1) | instid1(VALU_DEP_2)
	v_subrev_nc_u32_e32 v50, 28, v6
	v_sub_nc_u32_e32 v64, 29, v6
	v_lshlrev_b64_e32 v[82:83], v50, v[7:8]
	s_delay_alu instid0(VALU_DEP_1)
	v_and_b32_e32 v53, 7, v82
; %bb.1440:                             ;   in Loop: Header=BB309_11 Depth=1
	s_wait_alu 0xfffe
	s_or_b32 exec_lo, exec_lo, s19
	v_lshlrev_b32_e32 v6, 8, v7
	v_lshl_add_u32 v7, v64, 10, 0x2000
	v_lshlrev_b32_e32 v50, 7, v53
	s_delay_alu instid0(VALU_DEP_3) | instskip(NEXT) | instid1(VALU_DEP_3)
	v_and_b32_e32 v6, 0x8000, v6
	v_and_b32_e32 v7, 0xfc00, v7
	s_delay_alu instid0(VALU_DEP_1)
	v_or3_b32 v95, v6, v7, v50
.LBB309_1441:                           ;   in Loop: Header=BB309_11 Depth=1
	s_wait_alu 0xfffe
	s_or_b32 exec_lo, exec_lo, s18
.LBB309_1442:                           ;   in Loop: Header=BB309_11 Depth=1
	s_wait_alu 0xfffe
	s_or_b32 exec_lo, exec_lo, s17
.LBB309_1443:                           ;   in Loop: Header=BB309_11 Depth=1
	s_wait_alu 0xfffe
	s_or_b32 exec_lo, exec_lo, s16
	v_dual_mov_b32 v104, 0 :: v_dual_mov_b32 v105, 0
	s_mov_b32 s16, exec_lo
	v_cmpx_lt_u32_e32 0xffffff, v30
	s_cbranch_execz .LBB309_1451
; %bb.1444:                             ;   in Loop: Header=BB309_11 Depth=1
	v_lshrrev_b32_e32 v7, 24, v30
	v_bfrev_b32_e32 v105, 1
	s_mov_b32 s17, exec_lo
	s_delay_alu instid0(VALU_DEP_2)
	v_cmpx_ne_u32_e32 0x80, v7
	s_cbranch_execz .LBB309_1450
; %bb.1445:                             ;   in Loop: Header=BB309_11 Depth=1
	v_and_b32_e32 v82, 0x7f, v7
	v_mov_b32_e32 v105, 0x7c010000
	s_mov_b32 s18, exec_lo
	s_delay_alu instid0(VALU_DEP_2)
	v_cmpx_ne_u32_e32 0x7f, v82
	s_cbranch_execz .LBB309_1449
; %bb.1446:                             ;   in Loop: Header=BB309_11 Depth=1
	v_and_b32_e32 v53, 7, v7
	v_lshrrev_b32_e32 v64, 3, v82
	s_mov_b32 s19, exec_lo
	v_cmpx_gt_u32_e32 8, v82
; %bb.1447:                             ;   in Loop: Header=BB309_11 Depth=1
	s_delay_alu instid0(VALU_DEP_3) | instskip(NEXT) | instid1(VALU_DEP_1)
	v_clz_i32_u32_e32 v6, v53
	v_min_u32_e32 v6, 32, v6
	s_delay_alu instid0(VALU_DEP_1) | instskip(SKIP_1) | instid1(VALU_DEP_2)
	v_subrev_nc_u32_e32 v50, 28, v6
	v_sub_nc_u32_e32 v64, 29, v6
	v_lshlrev_b64_e32 v[82:83], v50, v[7:8]
	s_delay_alu instid0(VALU_DEP_1)
	v_and_b32_e32 v53, 7, v82
; %bb.1448:                             ;   in Loop: Header=BB309_11 Depth=1
	s_wait_alu 0xfffe
	s_or_b32 exec_lo, exec_lo, s19
	v_lshlrev_b32_e32 v6, 8, v7
	v_lshl_add_u32 v7, v64, 10, 0x2000
	s_delay_alu instid0(VALU_DEP_1) | instskip(SKIP_1) | instid1(VALU_DEP_1)
	v_and_or_b32 v6, 0x8000, v6, v7
	v_lshlrev_b32_e32 v7, 23, v53
	v_lshl_or_b32 v105, v6, 16, v7
.LBB309_1449:                           ;   in Loop: Header=BB309_11 Depth=1
	s_wait_alu 0xfffe
	s_or_b32 exec_lo, exec_lo, s18
.LBB309_1450:                           ;   in Loop: Header=BB309_11 Depth=1
	s_wait_alu 0xfffe
	s_or_b32 exec_lo, exec_lo, s17
.LBB309_1451:                           ;   in Loop: Header=BB309_11 Depth=1
	s_wait_alu 0xfffe
	s_or_b32 exec_lo, exec_lo, s16
	v_and_b32_e32 v53, 0xff, v31
	v_mov_b32_e32 v7, v31
	s_mov_b32 s16, exec_lo
	s_delay_alu instid0(VALU_DEP_2)
	v_cmpx_ne_u16_e32 0, v53
	s_cbranch_execz .LBB309_1459
; %bb.1452:                             ;   in Loop: Header=BB309_11 Depth=1
	v_mov_b32_e32 v104, 0x8000
	s_mov_b32 s17, exec_lo
	v_cmpx_ne_u16_e32 0x80, v53
	s_cbranch_execz .LBB309_1458
; %bb.1453:                             ;   in Loop: Header=BB309_11 Depth=1
	v_and_b32_e32 v82, 0x7f, v31
	v_mov_b32_e32 v104, 0x7c01
	s_mov_b32 s18, exec_lo
	s_delay_alu instid0(VALU_DEP_2)
	v_cmpx_ne_u32_e32 0x7f, v82
	s_cbranch_execz .LBB309_1457
; %bb.1454:                             ;   in Loop: Header=BB309_11 Depth=1
	v_and_b32_e32 v53, 7, v31
	v_lshrrev_b32_e32 v64, 3, v82
	s_mov_b32 s19, exec_lo
	v_cmpx_gt_u32_e32 8, v82
; %bb.1455:                             ;   in Loop: Header=BB309_11 Depth=1
	s_delay_alu instid0(VALU_DEP_3) | instskip(NEXT) | instid1(VALU_DEP_1)
	v_clz_i32_u32_e32 v6, v53
	v_min_u32_e32 v6, 32, v6
	s_delay_alu instid0(VALU_DEP_1) | instskip(SKIP_1) | instid1(VALU_DEP_2)
	v_subrev_nc_u32_e32 v50, 28, v6
	v_sub_nc_u32_e32 v64, 29, v6
	v_lshlrev_b64_e32 v[82:83], v50, v[7:8]
	s_delay_alu instid0(VALU_DEP_1)
	v_and_b32_e32 v53, 7, v82
; %bb.1456:                             ;   in Loop: Header=BB309_11 Depth=1
	s_wait_alu 0xfffe
	s_or_b32 exec_lo, exec_lo, s19
	v_lshlrev_b32_e32 v6, 8, v31
	v_lshl_add_u32 v50, v64, 10, 0x2000
	v_lshlrev_b32_e32 v53, 7, v53
	s_delay_alu instid0(VALU_DEP_3) | instskip(NEXT) | instid1(VALU_DEP_3)
	v_and_b32_e32 v6, 0x8000, v6
	v_and_b32_e32 v50, 0xfc00, v50
	s_delay_alu instid0(VALU_DEP_1)
	v_or3_b32 v104, v6, v50, v53
.LBB309_1457:                           ;   in Loop: Header=BB309_11 Depth=1
	s_wait_alu 0xfffe
	s_or_b32 exec_lo, exec_lo, s18
.LBB309_1458:                           ;   in Loop: Header=BB309_11 Depth=1
	s_wait_alu 0xfffe
	s_or_b32 exec_lo, exec_lo, s17
.LBB309_1459:                           ;   in Loop: Header=BB309_11 Depth=1
	s_wait_alu 0xfffe
	s_or_b32 exec_lo, exec_lo, s16
	v_lshrrev_b16 v7, 8, v7
	v_mov_b32_e32 v106, 0
	v_mov_b32_e32 v124, 0
	s_mov_b32 s16, exec_lo
	s_delay_alu instid0(VALU_DEP_3)
	v_cmpx_ne_u16_e32 0, v7
	s_cbranch_execz .LBB309_1467
; %bb.1460:                             ;   in Loop: Header=BB309_11 Depth=1
	v_bfrev_b32_e32 v124, 1
	s_mov_b32 s17, exec_lo
	v_cmpx_ne_u16_e32 0x80, v7
	s_cbranch_execz .LBB309_1466
; %bb.1461:                             ;   in Loop: Header=BB309_11 Depth=1
	v_and_b32_e32 v53, 0xffff, v7
	v_mov_b32_e32 v124, 0x7c010000
	s_mov_b32 s18, exec_lo
	s_delay_alu instid0(VALU_DEP_2) | instskip(NEXT) | instid1(VALU_DEP_1)
	v_and_b32_e32 v63, 0x7f, v53
	v_cmpx_ne_u32_e32 0x7f, v63
	s_cbranch_execz .LBB309_1465
; %bb.1462:                             ;   in Loop: Header=BB309_11 Depth=1
	v_and_b32_e32 v64, 7, v53
	v_lshrrev_b32_e32 v82, 3, v63
	s_mov_b32 s19, exec_lo
	v_cmpx_gt_u32_e32 8, v63
; %bb.1463:                             ;   in Loop: Header=BB309_11 Depth=1
	s_delay_alu instid0(VALU_DEP_3) | instskip(NEXT) | instid1(VALU_DEP_1)
	v_clz_i32_u32_e32 v6, v64
	v_min_u32_e32 v50, 32, v6
	s_delay_alu instid0(VALU_DEP_1) | instskip(SKIP_1) | instid1(VALU_DEP_2)
	v_subrev_nc_u32_e32 v6, 28, v50
	v_sub_nc_u32_e32 v82, 29, v50
	v_lshlrev_b64_e32 v[6:7], v6, v[7:8]
	s_delay_alu instid0(VALU_DEP_1)
	v_and_b32_e32 v64, 7, v6
; %bb.1464:                             ;   in Loop: Header=BB309_11 Depth=1
	s_wait_alu 0xfffe
	s_or_b32 exec_lo, exec_lo, s19
	v_lshlrev_b32_e32 v6, 8, v53
	v_lshl_add_u32 v7, v82, 10, 0x2000
	s_delay_alu instid0(VALU_DEP_1) | instskip(SKIP_1) | instid1(VALU_DEP_1)
	v_and_or_b32 v6, 0x8000, v6, v7
	v_lshlrev_b32_e32 v7, 23, v64
	v_lshl_or_b32 v124, v6, 16, v7
.LBB309_1465:                           ;   in Loop: Header=BB309_11 Depth=1
	s_wait_alu 0xfffe
	s_or_b32 exec_lo, exec_lo, s18
.LBB309_1466:                           ;   in Loop: Header=BB309_11 Depth=1
	s_wait_alu 0xfffe
	s_or_b32 exec_lo, exec_lo, s17
.LBB309_1467:                           ;   in Loop: Header=BB309_11 Depth=1
	s_wait_alu 0xfffe
	s_or_b32 exec_lo, exec_lo, s16
	v_lshrrev_b32_e32 v7, 16, v31
	s_mov_b32 s16, exec_lo
	s_delay_alu instid0(VALU_DEP_1) | instskip(NEXT) | instid1(VALU_DEP_1)
	v_and_b32_e32 v53, 0xff, v7
	v_cmpx_ne_u16_e32 0, v53
	s_cbranch_execz .LBB309_1475
; %bb.1468:                             ;   in Loop: Header=BB309_11 Depth=1
	v_mov_b32_e32 v106, 0x8000
	s_mov_b32 s17, exec_lo
	v_cmpx_ne_u16_e32 0x80, v53
	s_cbranch_execz .LBB309_1474
; %bb.1469:                             ;   in Loop: Header=BB309_11 Depth=1
	v_bfe_u32 v82, v31, 16, 7
	v_mov_b32_e32 v106, 0x7c01
	s_mov_b32 s18, exec_lo
	s_delay_alu instid0(VALU_DEP_2)
	v_cmpx_ne_u32_e32 0x7f, v82
	s_cbranch_execz .LBB309_1473
; %bb.1470:                             ;   in Loop: Header=BB309_11 Depth=1
	v_and_b32_e32 v53, 7, v7
	v_lshrrev_b32_e32 v64, 3, v82
	s_mov_b32 s19, exec_lo
	v_cmpx_gt_u32_e32 8, v82
; %bb.1471:                             ;   in Loop: Header=BB309_11 Depth=1
	s_delay_alu instid0(VALU_DEP_3) | instskip(NEXT) | instid1(VALU_DEP_1)
	v_clz_i32_u32_e32 v6, v53
	v_min_u32_e32 v6, 32, v6
	s_delay_alu instid0(VALU_DEP_1) | instskip(SKIP_1) | instid1(VALU_DEP_2)
	v_subrev_nc_u32_e32 v50, 28, v6
	v_sub_nc_u32_e32 v64, 29, v6
	v_lshlrev_b64_e32 v[82:83], v50, v[7:8]
	s_delay_alu instid0(VALU_DEP_1)
	v_and_b32_e32 v53, 7, v82
; %bb.1472:                             ;   in Loop: Header=BB309_11 Depth=1
	s_wait_alu 0xfffe
	s_or_b32 exec_lo, exec_lo, s19
	v_lshlrev_b32_e32 v6, 8, v7
	v_lshl_add_u32 v7, v64, 10, 0x2000
	v_lshlrev_b32_e32 v50, 7, v53
	s_delay_alu instid0(VALU_DEP_3) | instskip(NEXT) | instid1(VALU_DEP_3)
	v_and_b32_e32 v6, 0x8000, v6
	v_and_b32_e32 v7, 0xfc00, v7
	s_delay_alu instid0(VALU_DEP_1)
	v_or3_b32 v106, v6, v7, v50
.LBB309_1473:                           ;   in Loop: Header=BB309_11 Depth=1
	s_wait_alu 0xfffe
	s_or_b32 exec_lo, exec_lo, s18
.LBB309_1474:                           ;   in Loop: Header=BB309_11 Depth=1
	s_wait_alu 0xfffe
	s_or_b32 exec_lo, exec_lo, s17
.LBB309_1475:                           ;   in Loop: Header=BB309_11 Depth=1
	s_wait_alu 0xfffe
	s_or_b32 exec_lo, exec_lo, s16
	v_cmp_lt_u64_e64 s1, s[2:3], v[30:31]
	v_mov_b32_e32 v136, 0
	v_mov_b32_e32 v30, 0
	s_and_saveexec_b32 s16, s1
	s_cbranch_execz .LBB309_1483
; %bb.1476:                             ;   in Loop: Header=BB309_11 Depth=1
	v_lshrrev_b32_e32 v7, 24, v31
	v_bfrev_b32_e32 v30, 1
	s_mov_b32 s17, exec_lo
	s_delay_alu instid0(VALU_DEP_2)
	v_cmpx_ne_u32_e32 0x80, v7
	s_cbranch_execz .LBB309_1482
; %bb.1477:                             ;   in Loop: Header=BB309_11 Depth=1
	v_and_b32_e32 v53, 0x7f, v7
	v_mov_b32_e32 v30, 0x7c010000
	s_mov_b32 s18, exec_lo
	s_delay_alu instid0(VALU_DEP_2)
	v_cmpx_ne_u32_e32 0x7f, v53
	s_cbranch_execz .LBB309_1481
; %bb.1478:                             ;   in Loop: Header=BB309_11 Depth=1
	v_and_b32_e32 v30, 7, v7
	v_lshrrev_b32_e32 v31, 3, v53
	s_mov_b32 s19, exec_lo
	v_cmpx_gt_u32_e32 8, v53
; %bb.1479:                             ;   in Loop: Header=BB309_11 Depth=1
	s_delay_alu instid0(VALU_DEP_3) | instskip(NEXT) | instid1(VALU_DEP_1)
	v_clz_i32_u32_e32 v6, v30
	v_min_u32_e32 v6, 32, v6
	s_delay_alu instid0(VALU_DEP_1) | instskip(NEXT) | instid1(VALU_DEP_1)
	v_subrev_nc_u32_e32 v30, 28, v6
	v_lshlrev_b64_e32 v[30:31], v30, v[7:8]
	v_sub_nc_u32_e32 v31, 29, v6
	s_delay_alu instid0(VALU_DEP_2)
	v_and_b32_e32 v30, 7, v30
; %bb.1480:                             ;   in Loop: Header=BB309_11 Depth=1
	s_wait_alu 0xfffe
	s_or_b32 exec_lo, exec_lo, s19
	v_lshlrev_b32_e32 v6, 8, v7
	v_lshl_add_u32 v7, v31, 10, 0x2000
	s_delay_alu instid0(VALU_DEP_1) | instskip(SKIP_1) | instid1(VALU_DEP_1)
	v_and_or_b32 v6, 0x8000, v6, v7
	v_lshlrev_b32_e32 v7, 23, v30
	v_lshl_or_b32 v30, v6, 16, v7
.LBB309_1481:                           ;   in Loop: Header=BB309_11 Depth=1
	s_wait_alu 0xfffe
	s_or_b32 exec_lo, exec_lo, s18
.LBB309_1482:                           ;   in Loop: Header=BB309_11 Depth=1
	s_wait_alu 0xfffe
	s_or_b32 exec_lo, exec_lo, s17
.LBB309_1483:                           ;   in Loop: Header=BB309_11 Depth=1
	s_wait_alu 0xfffe
	s_or_b32 exec_lo, exec_lo, s16
	flat_load_b64 v[28:29], v[28:29] offset:5640
	s_mov_b32 s16, exec_lo
	s_wait_loadcnt_dscnt 0x0
	v_and_b32_e32 v7, 0xff, v28
	s_delay_alu instid0(VALU_DEP_1)
	v_cmpx_ne_u16_e32 0, v7
	s_cbranch_execz .LBB309_1491
; %bb.1484:                             ;   in Loop: Header=BB309_11 Depth=1
	v_mov_b32_e32 v136, 0x8000
	s_mov_b32 s17, exec_lo
	v_cmpx_ne_u16_e32 0x80, v7
	s_cbranch_execz .LBB309_1490
; %bb.1485:                             ;   in Loop: Header=BB309_11 Depth=1
	v_and_b32_e32 v53, 0x7f, v28
	v_mov_b32_e32 v136, 0x7c01
	s_mov_b32 s18, exec_lo
	s_delay_alu instid0(VALU_DEP_2)
	v_cmpx_ne_u32_e32 0x7f, v53
	s_cbranch_execz .LBB309_1489
; %bb.1486:                             ;   in Loop: Header=BB309_11 Depth=1
	v_and_b32_e32 v7, 7, v28
	v_lshrrev_b32_e32 v31, 3, v53
	s_mov_b32 s19, exec_lo
	v_cmpx_gt_u32_e32 8, v53
; %bb.1487:                             ;   in Loop: Header=BB309_11 Depth=1
	s_delay_alu instid0(VALU_DEP_3) | instskip(NEXT) | instid1(VALU_DEP_1)
	v_clz_i32_u32_e32 v6, v7
	v_min_u32_e32 v31, 32, v6
	s_delay_alu instid0(VALU_DEP_1) | instskip(SKIP_1) | instid1(VALU_DEP_2)
	v_subrev_nc_u32_e32 v6, 28, v31
	v_sub_nc_u32_e32 v31, 29, v31
	v_lshlrev_b64_e32 v[6:7], v6, v[28:29]
	s_delay_alu instid0(VALU_DEP_1)
	v_and_b32_e32 v7, 7, v6
; %bb.1488:                             ;   in Loop: Header=BB309_11 Depth=1
	s_wait_alu 0xfffe
	s_or_b32 exec_lo, exec_lo, s19
	v_lshlrev_b32_e32 v6, 8, v28
	v_lshl_add_u32 v31, v31, 10, 0x2000
	v_lshlrev_b32_e32 v7, 7, v7
	s_delay_alu instid0(VALU_DEP_3) | instskip(NEXT) | instid1(VALU_DEP_3)
	v_and_b32_e32 v6, 0x8000, v6
	v_and_b32_e32 v31, 0xfc00, v31
	s_delay_alu instid0(VALU_DEP_1)
	v_or3_b32 v136, v6, v31, v7
.LBB309_1489:                           ;   in Loop: Header=BB309_11 Depth=1
	s_wait_alu 0xfffe
	s_or_b32 exec_lo, exec_lo, s18
.LBB309_1490:                           ;   in Loop: Header=BB309_11 Depth=1
	s_wait_alu 0xfffe
	s_or_b32 exec_lo, exec_lo, s17
.LBB309_1491:                           ;   in Loop: Header=BB309_11 Depth=1
	s_wait_alu 0xfffe
	s_or_b32 exec_lo, exec_lo, s16
	v_lshrrev_b16 v7, 8, v28
	v_dual_mov_b32 v64, 0 :: v_dual_mov_b32 v53, 0
	s_mov_b32 s16, exec_lo
	s_delay_alu instid0(VALU_DEP_2)
	v_cmpx_ne_u16_e32 0, v7
	s_cbranch_execz .LBB309_1499
; %bb.1492:                             ;   in Loop: Header=BB309_11 Depth=1
	v_bfrev_b32_e32 v53, 1
	s_mov_b32 s17, exec_lo
	v_cmpx_ne_u16_e32 0x80, v7
	s_cbranch_execz .LBB309_1498
; %bb.1493:                             ;   in Loop: Header=BB309_11 Depth=1
	v_and_b32_e32 v31, 0xffff, v7
	v_mov_b32_e32 v53, 0x7c010000
	s_mov_b32 s18, exec_lo
	s_delay_alu instid0(VALU_DEP_2) | instskip(NEXT) | instid1(VALU_DEP_1)
	v_and_b32_e32 v63, 0x7f, v31
	v_cmpx_ne_u32_e32 0x7f, v63
	s_cbranch_execz .LBB309_1497
; %bb.1494:                             ;   in Loop: Header=BB309_11 Depth=1
	v_and_b32_e32 v53, 7, v31
	v_lshrrev_b32_e32 v82, 3, v63
	s_mov_b32 s19, exec_lo
	v_cmpx_gt_u32_e32 8, v63
; %bb.1495:                             ;   in Loop: Header=BB309_11 Depth=1
	s_delay_alu instid0(VALU_DEP_3) | instskip(NEXT) | instid1(VALU_DEP_1)
	v_clz_i32_u32_e32 v6, v53
	v_min_u32_e32 v50, 32, v6
	s_delay_alu instid0(VALU_DEP_1) | instskip(SKIP_1) | instid1(VALU_DEP_2)
	v_subrev_nc_u32_e32 v6, 28, v50
	v_sub_nc_u32_e32 v82, 29, v50
	v_lshlrev_b64_e32 v[6:7], v6, v[7:8]
	s_delay_alu instid0(VALU_DEP_1)
	v_and_b32_e32 v53, 7, v6
; %bb.1496:                             ;   in Loop: Header=BB309_11 Depth=1
	s_wait_alu 0xfffe
	s_or_b32 exec_lo, exec_lo, s19
	v_lshlrev_b32_e32 v6, 8, v31
	v_lshl_add_u32 v7, v82, 10, 0x2000
	s_delay_alu instid0(VALU_DEP_1) | instskip(SKIP_1) | instid1(VALU_DEP_1)
	v_and_or_b32 v6, 0x8000, v6, v7
	v_lshlrev_b32_e32 v7, 23, v53
	v_lshl_or_b32 v53, v6, 16, v7
.LBB309_1497:                           ;   in Loop: Header=BB309_11 Depth=1
	s_wait_alu 0xfffe
	s_or_b32 exec_lo, exec_lo, s18
.LBB309_1498:                           ;   in Loop: Header=BB309_11 Depth=1
	s_wait_alu 0xfffe
	s_or_b32 exec_lo, exec_lo, s17
.LBB309_1499:                           ;   in Loop: Header=BB309_11 Depth=1
	s_wait_alu 0xfffe
	s_or_b32 exec_lo, exec_lo, s16
	v_lshrrev_b32_e32 v7, 16, v28
	s_mov_b32 s16, exec_lo
	s_delay_alu instid0(VALU_DEP_1) | instskip(NEXT) | instid1(VALU_DEP_1)
	v_and_b32_e32 v31, 0xff, v7
	v_cmpx_ne_u16_e32 0, v31
	s_cbranch_execz .LBB309_1507
; %bb.1500:                             ;   in Loop: Header=BB309_11 Depth=1
	v_mov_b32_e32 v64, 0x8000
	s_mov_b32 s17, exec_lo
	v_cmpx_ne_u16_e32 0x80, v31
	s_cbranch_execz .LBB309_1506
; %bb.1501:                             ;   in Loop: Header=BB309_11 Depth=1
	v_bfe_u32 v82, v28, 16, 7
	v_mov_b32_e32 v64, 0x7c01
	s_mov_b32 s18, exec_lo
	s_delay_alu instid0(VALU_DEP_2)
	v_cmpx_ne_u32_e32 0x7f, v82
	s_cbranch_execz .LBB309_1505
; %bb.1502:                             ;   in Loop: Header=BB309_11 Depth=1
	v_and_b32_e32 v31, 7, v7
	v_lshrrev_b32_e32 v64, 3, v82
	s_mov_b32 s19, exec_lo
	v_cmpx_gt_u32_e32 8, v82
; %bb.1503:                             ;   in Loop: Header=BB309_11 Depth=1
	s_delay_alu instid0(VALU_DEP_3) | instskip(NEXT) | instid1(VALU_DEP_1)
	v_clz_i32_u32_e32 v6, v31
	v_min_u32_e32 v6, 32, v6
	s_delay_alu instid0(VALU_DEP_1) | instskip(SKIP_1) | instid1(VALU_DEP_2)
	v_subrev_nc_u32_e32 v31, 28, v6
	v_sub_nc_u32_e32 v64, 29, v6
	v_lshlrev_b64_e32 v[82:83], v31, v[7:8]
	s_delay_alu instid0(VALU_DEP_1)
	v_and_b32_e32 v31, 7, v82
; %bb.1504:                             ;   in Loop: Header=BB309_11 Depth=1
	s_wait_alu 0xfffe
	s_or_b32 exec_lo, exec_lo, s19
	v_lshlrev_b32_e32 v6, 8, v7
	v_lshl_add_u32 v7, v64, 10, 0x2000
	v_lshlrev_b32_e32 v31, 7, v31
	s_delay_alu instid0(VALU_DEP_3) | instskip(NEXT) | instid1(VALU_DEP_3)
	v_and_b32_e32 v6, 0x8000, v6
	v_and_b32_e32 v7, 0xfc00, v7
	s_delay_alu instid0(VALU_DEP_1)
	v_or3_b32 v64, v6, v7, v31
.LBB309_1505:                           ;   in Loop: Header=BB309_11 Depth=1
	s_wait_alu 0xfffe
	s_or_b32 exec_lo, exec_lo, s18
.LBB309_1506:                           ;   in Loop: Header=BB309_11 Depth=1
	s_wait_alu 0xfffe
	s_or_b32 exec_lo, exec_lo, s17
.LBB309_1507:                           ;   in Loop: Header=BB309_11 Depth=1
	s_wait_alu 0xfffe
	s_or_b32 exec_lo, exec_lo, s16
	v_mov_b32_e32 v73, 0
	v_mov_b32_e32 v63, 0
	s_mov_b32 s16, exec_lo
	v_cmpx_lt_u32_e32 0xffffff, v28
	s_cbranch_execz .LBB309_1515
; %bb.1508:                             ;   in Loop: Header=BB309_11 Depth=1
	v_lshrrev_b32_e32 v7, 24, v28
	v_bfrev_b32_e32 v63, 1
	s_mov_b32 s17, exec_lo
	s_delay_alu instid0(VALU_DEP_2)
	v_cmpx_ne_u32_e32 0x80, v7
	s_cbranch_execz .LBB309_1514
; %bb.1509:                             ;   in Loop: Header=BB309_11 Depth=1
	v_and_b32_e32 v156, 0x7f, v7
	v_mov_b32_e32 v63, 0x7c010000
	s_mov_b32 s18, exec_lo
	s_delay_alu instid0(VALU_DEP_2)
	v_cmpx_ne_u32_e32 0x7f, v156
	s_cbranch_execz .LBB309_1513
; %bb.1510:                             ;   in Loop: Header=BB309_11 Depth=1
	v_and_b32_e32 v31, 7, v7
	v_lshrrev_b32_e32 v82, 3, v156
	s_mov_b32 s19, exec_lo
	v_cmpx_gt_u32_e32 8, v156
	s_cbranch_execz .LBB309_1512
; %bb.1511:                             ;   in Loop: Header=BB309_11 Depth=1
	v_clz_i32_u32_e32 v6, v31
	v_mov_b32_e32 v50, v191
	s_delay_alu instid0(VALU_DEP_2) | instskip(NEXT) | instid1(VALU_DEP_1)
	v_min_u32_e32 v6, 32, v6
	v_subrev_nc_u32_e32 v31, 28, v6
	v_sub_nc_u32_e32 v82, 29, v6
	s_delay_alu instid0(VALU_DEP_2) | instskip(NEXT) | instid1(VALU_DEP_1)
	v_lshlrev_b64_e32 v[190:191], v31, v[7:8]
	v_and_b32_e32 v31, 7, v190
	v_mov_b32_e32 v191, v50
.LBB309_1512:                           ;   in Loop: Header=BB309_11 Depth=1
	s_wait_alu 0xfffe
	s_or_b32 exec_lo, exec_lo, s19
	v_lshlrev_b32_e32 v6, 8, v7
	v_lshl_add_u32 v7, v82, 10, 0x2000
	s_delay_alu instid0(VALU_DEP_1) | instskip(SKIP_1) | instid1(VALU_DEP_1)
	v_and_or_b32 v6, 0x8000, v6, v7
	v_lshlrev_b32_e32 v7, 23, v31
	v_lshl_or_b32 v63, v6, 16, v7
.LBB309_1513:                           ;   in Loop: Header=BB309_11 Depth=1
	s_wait_alu 0xfffe
	s_or_b32 exec_lo, exec_lo, s18
.LBB309_1514:                           ;   in Loop: Header=BB309_11 Depth=1
	s_wait_alu 0xfffe
	s_or_b32 exec_lo, exec_lo, s17
.LBB309_1515:                           ;   in Loop: Header=BB309_11 Depth=1
	s_wait_alu 0xfffe
	s_or_b32 exec_lo, exec_lo, s16
	v_and_b32_e32 v31, 0xff, v29
	v_mov_b32_e32 v7, v29
	s_mov_b32 s16, exec_lo
	s_delay_alu instid0(VALU_DEP_2)
	v_cmpx_ne_u16_e32 0, v31
	s_cbranch_execz .LBB309_1523
; %bb.1516:                             ;   in Loop: Header=BB309_11 Depth=1
	v_mov_b32_e32 v73, 0x8000
	s_mov_b32 s17, exec_lo
	v_cmpx_ne_u16_e32 0x80, v31
	s_cbranch_execz .LBB309_1522
; %bb.1517:                             ;   in Loop: Header=BB309_11 Depth=1
	v_and_b32_e32 v156, 0x7f, v29
	v_mov_b32_e32 v73, 0x7c01
	s_mov_b32 s18, exec_lo
	s_delay_alu instid0(VALU_DEP_2)
	v_cmpx_ne_u32_e32 0x7f, v156
	s_cbranch_execz .LBB309_1521
; %bb.1518:                             ;   in Loop: Header=BB309_11 Depth=1
	v_and_b32_e32 v31, 7, v29
	v_lshrrev_b32_e32 v82, 3, v156
	s_mov_b32 s19, exec_lo
	v_cmpx_gt_u32_e32 8, v156
	s_cbranch_execz .LBB309_1520
; %bb.1519:                             ;   in Loop: Header=BB309_11 Depth=1
	v_clz_i32_u32_e32 v6, v31
	v_mov_b32_e32 v50, v191
	s_delay_alu instid0(VALU_DEP_2) | instskip(NEXT) | instid1(VALU_DEP_1)
	v_min_u32_e32 v6, 32, v6
	v_subrev_nc_u32_e32 v31, 28, v6
	v_sub_nc_u32_e32 v82, 29, v6
	s_delay_alu instid0(VALU_DEP_2) | instskip(NEXT) | instid1(VALU_DEP_1)
	v_lshlrev_b64_e32 v[190:191], v31, v[7:8]
	v_and_b32_e32 v31, 7, v190
	v_mov_b32_e32 v191, v50
.LBB309_1520:                           ;   in Loop: Header=BB309_11 Depth=1
	s_wait_alu 0xfffe
	s_or_b32 exec_lo, exec_lo, s19
	v_lshlrev_b32_e32 v6, 8, v29
	v_lshl_add_u32 v50, v82, 10, 0x2000
	v_lshlrev_b32_e32 v31, 7, v31
	s_delay_alu instid0(VALU_DEP_3) | instskip(NEXT) | instid1(VALU_DEP_3)
	v_and_b32_e32 v6, 0x8000, v6
	v_and_b32_e32 v50, 0xfc00, v50
	s_delay_alu instid0(VALU_DEP_1)
	v_or3_b32 v73, v6, v50, v31
.LBB309_1521:                           ;   in Loop: Header=BB309_11 Depth=1
	s_wait_alu 0xfffe
	s_or_b32 exec_lo, exec_lo, s18
.LBB309_1522:                           ;   in Loop: Header=BB309_11 Depth=1
	s_wait_alu 0xfffe
	s_or_b32 exec_lo, exec_lo, s17
.LBB309_1523:                           ;   in Loop: Header=BB309_11 Depth=1
	s_wait_alu 0xfffe
	s_or_b32 exec_lo, exec_lo, s16
	v_lshrrev_b16 v7, 8, v7
	v_mov_b32_e32 v156, 0
	v_mov_b32_e32 v82, 0
	s_mov_b32 s16, exec_lo
	s_delay_alu instid0(VALU_DEP_3)
	v_cmpx_ne_u16_e32 0, v7
	s_cbranch_execz .LBB309_1531
; %bb.1524:                             ;   in Loop: Header=BB309_11 Depth=1
	v_bfrev_b32_e32 v82, 1
	s_mov_b32 s17, exec_lo
	v_cmpx_ne_u16_e32 0x80, v7
	s_cbranch_execz .LBB309_1530
; %bb.1525:                             ;   in Loop: Header=BB309_11 Depth=1
	v_and_b32_e32 v31, 0xffff, v7
	v_mov_b32_e32 v82, 0x7c010000
	s_mov_b32 s18, exec_lo
	s_delay_alu instid0(VALU_DEP_2) | instskip(NEXT) | instid1(VALU_DEP_1)
	v_and_b32_e32 v190, 0x7f, v31
	v_cmpx_ne_u32_e32 0x7f, v190
	s_cbranch_execz .LBB309_1529
; %bb.1526:                             ;   in Loop: Header=BB309_11 Depth=1
	v_and_b32_e32 v82, 7, v31
	v_lshrrev_b32_e32 v184, 3, v190
	s_mov_b32 s19, exec_lo
	v_cmpx_gt_u32_e32 8, v190
; %bb.1527:                             ;   in Loop: Header=BB309_11 Depth=1
	s_delay_alu instid0(VALU_DEP_3) | instskip(NEXT) | instid1(VALU_DEP_1)
	v_clz_i32_u32_e32 v6, v82
	v_min_u32_e32 v50, 32, v6
	s_delay_alu instid0(VALU_DEP_1) | instskip(SKIP_1) | instid1(VALU_DEP_2)
	v_subrev_nc_u32_e32 v6, 28, v50
	v_sub_nc_u32_e32 v184, 29, v50
	v_lshlrev_b64_e32 v[6:7], v6, v[7:8]
	s_delay_alu instid0(VALU_DEP_1)
	v_and_b32_e32 v82, 7, v6
; %bb.1528:                             ;   in Loop: Header=BB309_11 Depth=1
	s_wait_alu 0xfffe
	s_or_b32 exec_lo, exec_lo, s19
	v_lshlrev_b32_e32 v6, 8, v31
	v_lshl_add_u32 v7, v184, 10, 0x2000
	s_delay_alu instid0(VALU_DEP_1) | instskip(SKIP_1) | instid1(VALU_DEP_1)
	v_and_or_b32 v6, 0x8000, v6, v7
	v_lshlrev_b32_e32 v7, 23, v82
	v_lshl_or_b32 v82, v6, 16, v7
.LBB309_1529:                           ;   in Loop: Header=BB309_11 Depth=1
	s_wait_alu 0xfffe
	s_or_b32 exec_lo, exec_lo, s18
.LBB309_1530:                           ;   in Loop: Header=BB309_11 Depth=1
	s_wait_alu 0xfffe
	s_or_b32 exec_lo, exec_lo, s17
.LBB309_1531:                           ;   in Loop: Header=BB309_11 Depth=1
	s_wait_alu 0xfffe
	s_or_b32 exec_lo, exec_lo, s16
	v_lshrrev_b32_e32 v7, 16, v29
	s_mov_b32 s16, exec_lo
	s_delay_alu instid0(VALU_DEP_1) | instskip(NEXT) | instid1(VALU_DEP_1)
	v_and_b32_e32 v31, 0xff, v7
	v_cmpx_ne_u16_e32 0, v31
	s_cbranch_execz .LBB309_1539
; %bb.1532:                             ;   in Loop: Header=BB309_11 Depth=1
	v_mov_b32_e32 v156, 0x8000
	s_mov_b32 s17, exec_lo
	v_cmpx_ne_u16_e32 0x80, v31
	s_cbranch_execz .LBB309_1538
; %bb.1533:                             ;   in Loop: Header=BB309_11 Depth=1
	v_bfe_u32 v184, v29, 16, 7
	v_mov_b32_e32 v156, 0x7c01
	s_mov_b32 s18, exec_lo
	s_delay_alu instid0(VALU_DEP_2)
	v_cmpx_ne_u32_e32 0x7f, v184
	s_cbranch_execz .LBB309_1537
; %bb.1534:                             ;   in Loop: Header=BB309_11 Depth=1
	v_and_b32_e32 v31, 7, v7
	v_lshrrev_b32_e32 v156, 3, v184
	s_mov_b32 s19, exec_lo
	v_cmpx_gt_u32_e32 8, v184
	s_cbranch_execz .LBB309_1536
; %bb.1535:                             ;   in Loop: Header=BB309_11 Depth=1
	v_clz_i32_u32_e32 v6, v31
	v_mov_b32_e32 v50, v191
	s_delay_alu instid0(VALU_DEP_2) | instskip(NEXT) | instid1(VALU_DEP_1)
	v_min_u32_e32 v6, 32, v6
	v_subrev_nc_u32_e32 v31, 28, v6
	v_sub_nc_u32_e32 v156, 29, v6
	s_delay_alu instid0(VALU_DEP_2) | instskip(NEXT) | instid1(VALU_DEP_1)
	v_lshlrev_b64_e32 v[190:191], v31, v[7:8]
	v_and_b32_e32 v31, 7, v190
	v_mov_b32_e32 v191, v50
.LBB309_1536:                           ;   in Loop: Header=BB309_11 Depth=1
	s_wait_alu 0xfffe
	s_or_b32 exec_lo, exec_lo, s19
	v_lshlrev_b32_e32 v6, 8, v7
	v_lshl_add_u32 v7, v156, 10, 0x2000
	v_lshlrev_b32_e32 v31, 7, v31
	s_delay_alu instid0(VALU_DEP_3) | instskip(NEXT) | instid1(VALU_DEP_3)
	v_and_b32_e32 v6, 0x8000, v6
	v_and_b32_e32 v7, 0xfc00, v7
	s_delay_alu instid0(VALU_DEP_1)
	v_or3_b32 v156, v6, v7, v31
.LBB309_1537:                           ;   in Loop: Header=BB309_11 Depth=1
	s_wait_alu 0xfffe
	s_or_b32 exec_lo, exec_lo, s18
.LBB309_1538:                           ;   in Loop: Header=BB309_11 Depth=1
	s_wait_alu 0xfffe
	s_or_b32 exec_lo, exec_lo, s17
.LBB309_1539:                           ;   in Loop: Header=BB309_11 Depth=1
	s_wait_alu 0xfffe
	s_or_b32 exec_lo, exec_lo, s16
	v_cmp_lt_u64_e64 s1, s[2:3], v[28:29]
	v_mov_b32_e32 v28, 0
	scratch_store_b32 off, v21, s32 offset:396 ; 4-byte Folded Spill
	s_mov_b32 s16, exec_lo
	s_clause 0x1
	scratch_load_b32 v184, off, s32 offset:380
	scratch_load_b32 v190, off, s32 offset:384
	s_wait_alu 0xfffe
	s_and_b32 s1, s16, s1
	s_wait_alu 0xfffe
	s_mov_b32 exec_lo, s1
	s_cbranch_execz .LBB309_10
; %bb.1540:                             ;   in Loop: Header=BB309_11 Depth=1
	v_lshrrev_b32_e32 v7, 24, v29
	v_bfrev_b32_e32 v28, 1
	s_mov_b32 s17, exec_lo
	s_delay_alu instid0(VALU_DEP_2)
	v_cmpx_ne_u32_e32 0x80, v7
	s_cbranch_execz .LBB309_9
; %bb.1541:                             ;   in Loop: Header=BB309_11 Depth=1
	v_and_b32_e32 v31, 0x7f, v7
	v_mov_b32_e32 v28, 0x7c010000
	s_mov_b32 s18, exec_lo
	s_delay_alu instid0(VALU_DEP_2)
	v_cmpx_ne_u32_e32 0x7f, v31
	s_cbranch_execz .LBB309_8
; %bb.1542:                             ;   in Loop: Header=BB309_11 Depth=1
	v_and_b32_e32 v28, 7, v7
	v_lshrrev_b32_e32 v29, 3, v31
	s_mov_b32 s19, exec_lo
	v_cmpx_gt_u32_e32 8, v31
	s_cbranch_execz .LBB309_7
; %bb.1543:                             ;   in Loop: Header=BB309_11 Depth=1
	v_clz_i32_u32_e32 v6, v28
	s_delay_alu instid0(VALU_DEP_1) | instskip(NEXT) | instid1(VALU_DEP_1)
	v_min_u32_e32 v6, 32, v6
	v_subrev_nc_u32_e32 v28, 28, v6
	s_delay_alu instid0(VALU_DEP_1) | instskip(SKIP_1) | instid1(VALU_DEP_2)
	v_lshlrev_b64_e32 v[28:29], v28, v[7:8]
	v_sub_nc_u32_e32 v29, 29, v6
	v_and_b32_e32 v28, 7, v28
	s_branch .LBB309_7
.LBB309_1544:
	s_or_b32 exec_lo, exec_lo, s7
	s_clause 0x13
	scratch_load_b32 v182, off, s32 offset:532
	scratch_load_b32 v183, off, s32 offset:536
	;; [unrolled: 1-line block ×6, first 2 shown]
	scratch_load_b64 v[44:45], off, s32 offset:552
	scratch_load_b32 v11, off, s32 offset:560
	scratch_load_b32 v10, off, s32 offset:564
	;; [unrolled: 1-line block ×11, first 2 shown]
	scratch_load_b64 v[34:35], off, s32 offset:604
	scratch_load_b32 v19, off, s32 offset:612
.LBB309_1545:
	s_or_b32 exec_lo, exec_lo, s9
	v_mbcnt_lo_u32_b32 v0, -1, 0
	s_delay_alu instid0(VALU_DEP_1) | instskip(SKIP_2) | instid1(VALU_DEP_3)
	v_xor_b32_e32 v1, 16, v0
	v_xor_b32_e32 v3, 8, v0
	;; [unrolled: 1-line block ×3, first 2 shown]
	v_cmp_gt_i32_e32 vcc_lo, 32, v1
	s_wait_alu 0xfffd
	v_cndmask_b32_e32 v1, v0, v1, vcc_lo
	v_cmp_gt_i32_e32 vcc_lo, 32, v3
	s_wait_alu 0xfffd
	s_delay_alu instid0(VALU_DEP_2)
	v_dual_cndmask_b32 v3, v0, v3 :: v_dual_lshlrev_b32 v2, 2, v1
	v_max_num_f32_e32 v4, v21, v21
	v_cmp_gt_i32_e32 vcc_lo, 32, v5
	ds_bpermute_b32 v1, v2, v21
	v_lshlrev_b32_e32 v3, 2, v3
	s_wait_alu 0xfffd
	v_cndmask_b32_e32 v5, v0, v5, vcc_lo
	s_wait_dscnt 0x0
	v_max_num_f32_e32 v1, v1, v1
	s_delay_alu instid0(VALU_DEP_1) | instskip(SKIP_3) | instid1(VALU_DEP_1)
	v_max_num_f32_e32 v1, v4, v1
	ds_bpermute_b32 v4, v3, v1
	s_wait_dscnt 0x0
	v_max_num_f32_e32 v6, v4, v4
	v_dual_max_num_f32 v1, v1, v6 :: v_dual_lshlrev_b32 v4, 2, v5
	v_xor_b32_e32 v6, 2, v0
	ds_bpermute_b32 v5, v4, v1
	v_cmp_gt_i32_e32 vcc_lo, 32, v6
	s_wait_dscnt 0x0
	s_wait_alu 0xfffd
	v_dual_cndmask_b32 v6, v0, v6 :: v_dual_max_num_f32 v5, v5, v5
	s_delay_alu instid0(VALU_DEP_1) | instskip(SKIP_1) | instid1(VALU_DEP_1)
	v_lshlrev_b32_e32 v18, 2, v6
	v_xor_b32_e32 v6, 1, v0
	v_cmp_gt_i32_e32 vcc_lo, 32, v6
	s_wait_alu 0xfffd
	v_dual_max_num_f32 v1, v1, v5 :: v_dual_cndmask_b32 v6, v0, v6
	ds_bpermute_b32 v5, v18, v1
	s_wait_loadcnt 0xe
	v_cmp_eq_u32_e32 vcc_lo, 0, v43
	v_lshlrev_b32_e32 v13, 2, v6
	s_wait_dscnt 0x0
	v_max_num_f32_e32 v5, v5, v5
	s_delay_alu instid0(VALU_DEP_1)
	v_max_num_f32_e32 v0, v1, v5
	v_lshlrev_b32_e32 v5, 2, v41
	ds_bpermute_b32 v1, v13, v0
	s_and_saveexec_b32 s1, vcc_lo
	s_cbranch_execz .LBB309_1547
; %bb.1546:
	s_wait_dscnt 0x0
	v_dual_max_num_f32 v1, v1, v1 :: v_dual_max_num_f32 v0, v0, v0
	s_delay_alu instid0(VALU_DEP_1)
	v_max_num_f32_e32 v0, v0, v1
	ds_store_b32 v5, v0 offset:384
.LBB309_1547:
	s_wait_alu 0xfffe
	s_or_b32 exec_lo, exec_lo, s1
	v_cmp_gt_u32_e64 s1, 4, v43
	v_mov_b32_e32 v0, 0xff7fffff
	s_wait_storecnt 0x0
	s_wait_loadcnt_dscnt 0x0
	s_barrier_signal -1
	s_barrier_wait -1
	global_inv scope:SCOPE_SE
	s_and_saveexec_b32 s2, s1
; %bb.1548:
	ds_load_b32 v0, v19 offset:384
; %bb.1549:
	s_wait_alu 0xfffe
	s_or_b32 exec_lo, exec_lo, s2
	s_wait_dscnt 0x0
	ds_bpermute_b32 v1, v18, v0
	v_max_num_f32_e32 v0, v0, v0
	v_subrev_nc_u32_e32 v6, s8, v47
	v_mov_b32_e32 v7, 0
	s_wait_dscnt 0x0
	v_max_num_f32_e32 v1, v1, v1
	s_delay_alu instid0(VALU_DEP_1) | instskip(SKIP_3) | instid1(VALU_DEP_1)
	v_max_num_f32_e32 v0, v0, v1
	ds_bpermute_b32 v1, v13, v0
	s_wait_dscnt 0x0
	v_max_num_f32_e32 v1, v1, v1
	v_max_num_f32_e32 v0, v0, v1
	v_lshl_add_u32 v1, v6, 5, s12
	ds_bpermute_b32 v0, v7, v0
	v_min_i32_e32 v1, v1, v33
	s_delay_alu instid0(VALU_DEP_1) | instskip(NEXT) | instid1(VALU_DEP_1)
	v_subrev_nc_u32_e32 v1, s12, v1
	v_cmp_lt_i32_e64 s2, v40, v1
	s_and_saveexec_b32 s8, s2
	s_cbranch_execz .LBB309_1553
; %bb.1550:
	s_getpc_b64 s[16:17]
	s_wait_alu 0xfffe
	s_sext_i32_i16 s17, s17
	s_add_co_u32 s16, s16, llvm.amdgcn.dynlds.offset.table@rel32@lo+12
	s_wait_alu 0xfffe
	s_add_co_ci_u32 s17, s17, llvm.amdgcn.dynlds.offset.table@rel32@hi+24
	s_ashr_i32 s7, s6, 31
	v_mov_b32_e32 v7, 0
	s_wait_alu 0xfffe
	s_lshl_b64 s[18:19], s[6:7], 2
	v_mov_b32_e32 v9, v40
	s_wait_alu 0xfffe
	s_add_nc_u64 s[16:17], s[16:17], s[18:19]
	s_mov_b32 s7, 0
	s_load_b32 s3, s[16:17], 0x0
	s_wait_kmcnt 0x0
	v_lshl_add_u32 v8, v40, 2, s3
.LBB309_1551:                           ; =>This Inner Loop Header: Depth=1
	ds_load_b32 v6, v8
	v_add_nc_u32_e32 v9, 0x80, v9
	s_delay_alu instid0(VALU_DEP_1) | instskip(SKIP_3) | instid1(VALU_DEP_1)
	v_cmp_ge_i32_e64 s3, v9, v1
	s_or_b32 s7, s3, s7
	s_wait_dscnt 0x0
	v_sub_f32_e32 v6, v6, v0
	v_mul_f32_e32 v6, 0x3fb8aa3b, v6
	s_delay_alu instid0(VALU_DEP_1)
	v_exp_f32_e32 v6, v6
	ds_store_b32 v8, v6
	v_dual_add_f32 v7, v7, v6 :: v_dual_add_nc_u32 v8, 0x200, v8
	s_wait_alu 0xfffe
	s_and_not1_b32 exec_lo, exec_lo, s7
	s_cbranch_execnz .LBB309_1551
; %bb.1552:
	s_or_b32 exec_lo, exec_lo, s7
.LBB309_1553:
	s_wait_alu 0xfffe
	s_or_b32 exec_lo, exec_lo, s8
	ds_bpermute_b32 v2, v2, v7
	s_wait_dscnt 0x0
	v_add_f32_e32 v2, v7, v2
	ds_bpermute_b32 v3, v3, v2
	s_wait_dscnt 0x0
	v_add_f32_e32 v2, v2, v3
	;; [unrolled: 3-line block ×5, first 2 shown]
	s_and_saveexec_b32 s3, vcc_lo
; %bb.1554:
	ds_store_b32 v5, v2 offset:400
; %bb.1555:
	s_wait_alu 0xfffe
	s_or_b32 exec_lo, exec_lo, s3
	s_wait_loadcnt_dscnt 0x0
	s_barrier_signal -1
	s_barrier_wait -1
	global_inv scope:SCOPE_SE
	s_and_saveexec_b32 s3, s1
; %bb.1556:
	ds_load_b32 v2, v19 offset:400
; %bb.1557:
	s_wait_alu 0xfffe
	s_or_b32 exec_lo, exec_lo, s3
	s_wait_dscnt 0x0
	ds_bpermute_b32 v3, v18, v2
	s_wait_dscnt 0x0
	v_add_f32_e32 v2, v2, v3
	ds_bpermute_b32 v3, v13, v2
	s_wait_dscnt 0x0
	v_dual_add_f32 v2, v2, v3 :: v_dual_mov_b32 v3, 0
	ds_bpermute_b32 v2, v3, v2
	s_and_saveexec_b32 s1, s2
	s_cbranch_execz .LBB309_1560
; %bb.1558:
	s_wait_dscnt 0x0
	v_add_f32_e32 v4, 0x358637bd, v2
	s_ashr_i32 s7, s6, 31
	s_getpc_b64 s[2:3]
	s_wait_alu 0xfffe
	s_sext_i32_i16 s3, s3
	s_add_co_u32 s2, s2, llvm.amdgcn.dynlds.offset.table@rel32@lo+12
	s_wait_alu 0xfffe
	s_add_co_ci_u32 s3, s3, llvm.amdgcn.dynlds.offset.table@rel32@hi+24
	s_lshl_b64 s[8:9], s[6:7], 2
	s_wait_alu 0xfffe
	s_add_nc_u64 s[2:3], s[2:3], s[8:9]
	v_div_scale_f32 v3, null, v4, v4, 1.0
	s_load_b32 s2, s[2:3], 0x0
	v_rcp_f32_e32 v5, v3
	s_delay_alu instid0(TRANS32_DEP_1) | instskip(NEXT) | instid1(VALU_DEP_1)
	v_fma_f32 v6, -v3, v5, 1.0
	v_fmac_f32_e32 v5, v6, v5
	v_div_scale_f32 v7, vcc_lo, 1.0, v4, 1.0
	s_delay_alu instid0(VALU_DEP_1) | instskip(NEXT) | instid1(VALU_DEP_1)
	v_mul_f32_e32 v6, v7, v5
	v_fma_f32 v8, -v3, v6, v7
	s_delay_alu instid0(VALU_DEP_1) | instskip(NEXT) | instid1(VALU_DEP_1)
	v_fmac_f32_e32 v6, v8, v5
	v_fma_f32 v3, -v3, v6, v7
	s_wait_alu 0xfffd
	s_delay_alu instid0(VALU_DEP_1) | instskip(SKIP_3) | instid1(VALU_DEP_2)
	v_div_fmas_f32 v5, v3, v5, v6
	s_wait_kmcnt 0x0
	v_lshl_add_u32 v3, v40, 2, s2
	s_mov_b32 s2, 0
	v_div_fixup_f32 v4, v5, v4, 1.0
	v_mov_b32_e32 v5, v40
.LBB309_1559:                           ; =>This Inner Loop Header: Depth=1
	ds_load_b32 v6, v3
	s_wait_dscnt 0x0
	v_dual_mul_f32 v6, v4, v6 :: v_dual_add_nc_u32 v5, 0x80, v5
	s_delay_alu instid0(VALU_DEP_1)
	v_cmp_ge_i32_e32 vcc_lo, v5, v1
	ds_store_b32 v3, v6
	v_add_nc_u32_e32 v3, 0x200, v3
	s_wait_alu 0xfffe
	s_or_b32 s2, vcc_lo, s2
	s_wait_alu 0xfffe
	s_and_not1_b32 exec_lo, exec_lo, s2
	s_cbranch_execnz .LBB309_1559
.LBB309_1560:
	s_wait_alu 0xfffe
	s_or_b32 exec_lo, exec_lo, s1
	s_and_b32 s1, 0xffff, s15
	s_wait_loadcnt_dscnt 0x0
	s_wait_alu 0xfffe
	s_cmp_lg_u32 s1, 0
	s_barrier_signal -1
	s_cselect_b32 s1, -1, 0
	s_barrier_wait -1
	s_wait_alu 0xfffe
	s_cmp_lg_u32 s1, 0
	global_inv scope:SCOPE_SE
	s_wait_kmcnt 0x0
	s_add_co_ci_u32 s1, s5, 0
	s_mov_b32 s5, exec_lo
	s_wait_alu 0xfffe
	s_mul_i32 s2, s1, s13
	s_wait_alu 0xfffe
	s_mul_i32 s2, s2, s14
	v_cmpx_eq_u32_e32 0, v40
	s_cbranch_execz .LBB309_1562
; %bb.1561:
	s_wait_alu 0xfffe
	s_ashr_i32 s3, s2, 31
	s_mul_i32 s8, s1, ttmp9
	s_wait_alu 0xfffe
	s_lshl_b64 s[14:15], s[2:3], 2
	s_ashr_i32 s9, s8, 31
	s_wait_alu 0xfffe
	v_add_co_u32 v1, vcc_lo, v28, s14
	s_wait_alu 0xfffd
	v_add_co_ci_u32_e64 v3, null, s15, v25, vcc_lo
	s_lshl_b64 s[8:9], s[8:9], 2
	s_lshl_b32 s3, s11, 2
	s_wait_alu 0xfffe
	v_add_co_u32 v1, vcc_lo, v1, s8
	s_wait_alu 0xfffd
	v_add_co_ci_u32_e64 v4, null, s9, v3, vcc_lo
	v_add_co_u32 v3, vcc_lo, v24, s14
	s_wait_alu 0xfffd
	v_add_co_ci_u32_e64 v5, null, s15, v22, vcc_lo
	s_delay_alu instid0(VALU_DEP_2) | instskip(SKIP_1) | instid1(VALU_DEP_2)
	v_add_co_u32 v6, vcc_lo, v3, s8
	s_wait_alu 0xfffd
	v_add_co_ci_u32_e64 v7, null, s9, v5, vcc_lo
	v_add_co_u32 v3, vcc_lo, v1, s3
	s_wait_alu 0xfffd
	v_add_co_ci_u32_e64 v4, null, 0, v4, vcc_lo
	;; [unrolled: 3-line block ×3, first 2 shown]
	flat_store_b32 v[3:4], v0
	flat_store_b32 v[5:6], v2
.LBB309_1562:
	s_or_b32 exec_lo, exec_lo, s5
	s_and_saveexec_b32 s3, s0
	s_wait_alu 0xfffe
	s_xor_b32 s0, exec_lo, s3
; %bb.1563:
	s_ashr_i32 s7, s6, 31
                                        ; implicit-def: $vgpr33
                                        ; implicit-def: $vgpr12
                                        ; implicit-def: $vgpr47
                                        ; implicit-def: $vgpr44
                                        ; implicit-def: $vgpr10
                                        ; implicit-def: $vgpr11
                                        ; implicit-def: $vgpr14
                                        ; implicit-def: $vgpr15
                                        ; implicit-def: $vgpr42
                                        ; implicit-def: $vgpr26_vgpr27
                                        ; implicit-def: $vgpr16
                                        ; implicit-def: $vgpr17
                                        ; implicit-def: $vgpr34_vgpr35
; %bb.1564:
	s_wait_alu 0xfffe
	s_or_saveexec_b32 s3, s0
	v_dual_mov_b32 v0, s6 :: v_dual_mov_b32 v67, 0
	v_dual_mov_b32 v66, 0 :: v_dual_mov_b32 v1, s7
	;; [unrolled: 1-line block ×13, first 2 shown]
	s_wait_alu 0xfffe
	s_xor_b32 exec_lo, exec_lo, s3
	s_cbranch_execz .LBB309_3152
; %bb.1565:
	s_getpc_b64 s[8:9]
	s_wait_alu 0xfffe
	s_sext_i32_i16 s9, s9
	s_add_co_u32 s8, s8, llvm.amdgcn.dynlds.offset.table@rel32@lo+12
	s_wait_alu 0xfffe
	s_add_co_ci_u32 s9, s9, llvm.amdgcn.dynlds.offset.table@rel32@hi+24
	s_ashr_i32 s7, s6, 31
	v_dual_mov_b32 v1, 0 :: v_dual_lshlrev_b32 v0, 3, v40
	s_wait_alu 0xfffe
	s_lshl_b64 s[14:15], s[6:7], 2
	v_add_co_u32 v14, vcc_lo, v14, v34
	s_wait_alu 0xfffe
	s_add_nc_u64 s[8:9], s[8:9], s[14:15]
	s_wait_alu 0xfffd
	v_add_co_ci_u32_e64 v15, null, v15, v35, vcc_lo
	s_load_b32 s0, s[8:9], 0x0
	v_add_co_u32 v2, vcc_lo, v10, v16
	v_dual_mov_b32 v19, 0 :: v_dual_and_b32 v4, 0xf8, v0
	s_wait_alu 0xfffd
	v_add_co_ci_u32_e64 v3, null, v11, v17, vcc_lo
	v_dual_mov_b32 v20, 0 :: v_dual_add_nc_u32 v11, -1, v12
	s_delay_alu instid0(VALU_DEP_3)
	v_add_co_u32 v2, vcc_lo, v2, v4
	v_dual_mov_b32 v21, 0 :: v_dual_mov_b32 v24, 0
	v_dual_mov_b32 v25, 0 :: v_dual_and_b32 v16, 24, v0
	s_wait_alu 0xfffd
	v_add_co_ci_u32_e64 v3, null, 0, v3, vcc_lo
	v_dual_mov_b32 v28, 0 :: v_dual_mov_b32 v29, 0
	v_dual_mov_b32 v30, 0 :: v_dual_mov_b32 v31, 0
	;; [unrolled: 1-line block ×9, first 2 shown]
	v_mov_b32_e32 v66, 0
	s_lshl_b32 s5, s12, 2
	s_mov_b32 s8, -1
	s_wait_kmcnt 0x0
	s_wait_alu 0xfffe
	s_sub_co_i32 s5, s0, s5
	s_mov_b32 s9, 0xffffff
	s_mov_b32 s12, 0
	s_branch .LBB309_1567
.LBB309_1566:                           ;   in Loop: Header=BB309_1567 Depth=1
	s_wait_alu 0xfffe
	s_or_b32 exec_lo, exec_lo, s0
	v_dual_add_f32 v6, v9, v10 :: v_dual_add_f32 v9, v160, v161
	v_dual_add_f32 v10, v150, v151 :: v_dual_add_f32 v17, v148, v149
	v_add_f32_e32 v80, v146, v147
	s_delay_alu instid0(VALU_DEP_3) | instskip(NEXT) | instid1(VALU_DEP_3)
	v_dual_add_f32 v20, v20, v6 :: v_dual_add_f32 v21, v21, v9
	v_dual_add_f32 v24, v24, v10 :: v_dual_add_f32 v9, v23, v32
	v_add_f32_e32 v6, v34, v145
	v_dual_add_f32 v4, v4, v5 :: v_dual_add_f32 v5, v135, v144
	v_add_f32_e32 v10, v12, v22
	s_delay_alu instid0(VALU_DEP_4) | instskip(NEXT) | instid1(VALU_DEP_4)
	v_add_f32_e32 v30, v30, v9
	v_dual_add_f32 v28, v28, v80 :: v_dual_add_f32 v29, v29, v6
	s_delay_alu instid0(VALU_DEP_4) | instskip(NEXT) | instid1(VALU_DEP_4)
	v_add_f32_e32 v39, v39, v5
	v_add_f32_e32 v31, v31, v10
	;; [unrolled: 1-line block ×4, first 2 shown]
	v_dual_add_f32 v4, v133, v134 :: v_dual_add_f32 v9, v119, v128
	v_add_f32_e32 v6, v129, v130
	s_delay_alu instid0(VALU_DEP_4) | instskip(NEXT) | instid1(VALU_DEP_3)
	v_add_f32_e32 v49, v49, v5
	v_dual_add_f32 v5, v113, v114 :: v_dual_add_f32 v48, v48, v4
	s_delay_alu instid0(VALU_DEP_4)
	v_add_f32_e32 v51, v51, v9
	v_dual_add_f32 v4, v115, v116 :: v_dual_add_f32 v9, v101, v102
	v_add_f32_e32 v50, v50, v6
	v_add_f32_e32 v6, v103, v112
	;; [unrolled: 1-line block ×4, first 2 shown]
	;;#ASMSTART
	v_pk_mul_f16 v5, v69, v162;

	;;#ASMEND
	;;#ASMSTART
	v_pk_mul_f16 v0, v37, v0;

	;;#ASMEND
	v_add_f32_e32 v55, v55, v6
	;;#ASMSTART
	v_pk_mul_f16 v6, v36, v8;

	;;#ASMEND
	;;#ASMSTART
	v_pk_mul_f16 v7, v35, v7;

	;;#ASMEND
	;;#ASMSTART
	v_pk_add_f16 v0, v5, v0;

	;;#ASMEND
	;;#ASMSTART
	v_pk_add_f16 v0, v0, v6;
	;; [unrolled: 4-line block ×3, first 2 shown]

	;;#ASMEND
	v_and_b32_e32 v6, 0xffff, v0
	v_add_nc_u32_e32 v44, 4, v44
	v_lshrrev_b32_e32 v7, 16, v0
	;;#ASMSTART
	v_cvt_f32_f16 v6, v6;
	;;#ASMEND
	v_add_f32_e32 v53, v53, v4
	v_add_f32_e32 v4, v97, v98
	v_dual_add_f32 v0, v87, v96 :: v_dual_add_f32 v5, v70, v71
	v_add_f32_e32 v52, v52, v10
	v_add_f32_e32 v10, v99, v100
	;;#ASMSTART
	v_cvt_f32_f16 v7, v7;
	;;#ASMEND
	v_add_f32_e32 v6, v6, v7
	v_cmp_ge_i32_e32 vcc_lo, v44, v47
	v_add_f32_e32 v25, v25, v17
	v_dual_add_f32 v64, v64, v9 :: v_dual_add_f32 v65, v65, v10
	v_add_f32_e32 v67, v67, v4
	v_add_f32_e32 v68, v68, v0
	v_dual_add_f32 v66, v66, v5 :: v_dual_add_f32 v19, v19, v6
	s_or_b32 s12, vcc_lo, s12
	s_wait_alu 0xfffe
	s_and_not1_b32 exec_lo, exec_lo, s12
	s_cbranch_execz .LBB309_3151
.LBB309_1567:                           ; =>This Inner Loop Header: Depth=1
	v_ashrrev_i32_e32 v45, 31, v44
	v_lshl_or_b32 v17, v44, 5, v16
	s_mov_b32 s0, exec_lo
	s_delay_alu instid0(VALU_DEP_2) | instskip(NEXT) | instid1(VALU_DEP_1)
	v_lshlrev_b64_e32 v[4:5], 2, v[44:45]
	v_add_co_u32 v4, vcc_lo, v14, v4
	s_wait_alu 0xfffd
	s_delay_alu instid0(VALU_DEP_2)
	v_add_co_ci_u32_e64 v5, null, v15, v5, vcc_lo
	flat_load_b32 v0, v[4:5]
	s_wait_alu 0xfffe
	v_lshl_add_u32 v4, v17, 2, s5
	ds_load_2addr_b64 v[34:37], v4 offset1:1
	ds_load_2addr_b64 v[80:83], v4 offset0:2 offset1:3
	s_wait_dscnt 0x1
	;;#ASMSTART
	v_cvt_f16_f32 v4, v34;

	;;#ASMEND
	;;#ASMSTART
	v_cvt_f16_f32 v5, v35;

	;;#ASMEND
	;; [unrolled: 4-line block ×4, first 2 shown]
	s_wait_dscnt 0x0
	;;#ASMSTART
	v_cvt_f16_f32 v34, v80;

	;;#ASMEND
	;;#ASMSTART
	v_cvt_f16_f32 v22, v81;

	;;#ASMEND
	;;#ASMSTART
	v_cvt_f16_f32 v35, v82;

	;;#ASMEND
	;;#ASMSTART
	v_cvt_f16_f32 v23, v83;

	;;#ASMEND
	v_mov_b32_e32 v37, 0
	s_wait_loadcnt 0x0
	v_mad_co_i64_i32 v[7:8], null, v0, v42, v[2:3]
	flat_load_b64 v[9:10], v[7:8]
	flat_load_b32 v36, v[26:27]
	s_wait_loadcnt_dscnt 0x101
	v_and_b32_e32 v0, 0xff, v9
	s_delay_alu instid0(VALU_DEP_1)
	v_cmpx_ne_u16_e32 0, v0
	s_cbranch_execz .LBB309_1575
; %bb.1568:                             ;   in Loop: Header=BB309_1567 Depth=1
	v_mov_b32_e32 v37, 0x8000
	s_mov_b32 s13, exec_lo
	v_cmpx_ne_u16_e32 0x80, v0
	s_cbranch_execz .LBB309_1574
; %bb.1569:                             ;   in Loop: Header=BB309_1567 Depth=1
	v_and_b32_e32 v69, 0x7f, v9
	v_mov_b32_e32 v37, 0x7c01
	s_mov_b32 s14, exec_lo
	s_delay_alu instid0(VALU_DEP_2)
	v_cmpx_ne_u32_e32 0x7f, v69
	s_cbranch_execz .LBB309_1573
; %bb.1570:                             ;   in Loop: Header=BB309_1567 Depth=1
	v_and_b32_e32 v0, 7, v9
	v_lshrrev_b32_e32 v37, 3, v69
	s_mov_b32 s15, exec_lo
	v_cmpx_gt_u32_e32 8, v69
; %bb.1571:                             ;   in Loop: Header=BB309_1567 Depth=1
	s_delay_alu instid0(VALU_DEP_3) | instskip(NEXT) | instid1(VALU_DEP_1)
	v_clz_i32_u32_e32 v0, v0
	v_min_u32_e32 v0, 32, v0
	s_delay_alu instid0(VALU_DEP_1) | instskip(SKIP_1) | instid1(VALU_DEP_2)
	v_subrev_nc_u32_e32 v6, 28, v0
	v_sub_nc_u32_e32 v37, 29, v0
	v_lshlrev_b64_e32 v[69:70], v6, v[9:10]
	s_delay_alu instid0(VALU_DEP_1)
	v_and_b32_e32 v0, 7, v69
; %bb.1572:                             ;   in Loop: Header=BB309_1567 Depth=1
	s_wait_alu 0xfffe
	s_or_b32 exec_lo, exec_lo, s15
	v_lshlrev_b32_e32 v6, 8, v9
	v_lshl_add_u32 v37, v37, 10, 0x2000
	v_lshlrev_b32_e32 v0, 7, v0
	s_delay_alu instid0(VALU_DEP_3) | instskip(NEXT) | instid1(VALU_DEP_3)
	v_and_b32_e32 v6, 0x8000, v6
	v_and_b32_e32 v37, 0xfc00, v37
	s_delay_alu instid0(VALU_DEP_1)
	v_or3_b32 v37, v6, v37, v0
.LBB309_1573:                           ;   in Loop: Header=BB309_1567 Depth=1
	s_wait_alu 0xfffe
	s_or_b32 exec_lo, exec_lo, s14
.LBB309_1574:                           ;   in Loop: Header=BB309_1567 Depth=1
	s_wait_alu 0xfffe
	s_or_b32 exec_lo, exec_lo, s13
.LBB309_1575:                           ;   in Loop: Header=BB309_1567 Depth=1
	s_delay_alu instid0(SALU_CYCLE_1) | instskip(SKIP_3) | instid1(VALU_DEP_2)
	s_or_b32 exec_lo, exec_lo, s0
	v_lshrrev_b16 v0, 8, v9
	v_dual_mov_b32 v70, 0 :: v_dual_mov_b32 v69, 0
	s_mov_b32 s0, exec_lo
	v_cmpx_ne_u16_e32 0, v0
	s_cbranch_execz .LBB309_1583
; %bb.1576:                             ;   in Loop: Header=BB309_1567 Depth=1
	v_bfrev_b32_e32 v69, 1
	s_mov_b32 s13, exec_lo
	v_cmpx_ne_u16_e32 0x80, v0
	s_cbranch_execz .LBB309_1582
; %bb.1577:                             ;   in Loop: Header=BB309_1567 Depth=1
	v_and_b32_e32 v71, 0xffff, v0
	v_mov_b32_e32 v69, 0x7c010000
	s_mov_b32 s14, exec_lo
	s_delay_alu instid0(VALU_DEP_2) | instskip(NEXT) | instid1(VALU_DEP_1)
	v_and_b32_e32 v81, 0x7f, v71
	v_cmpx_ne_u32_e32 0x7f, v81
	s_cbranch_execz .LBB309_1581
; %bb.1578:                             ;   in Loop: Header=BB309_1567 Depth=1
	v_and_b32_e32 v69, 7, v71
	v_lshrrev_b32_e32 v80, 3, v81
	s_mov_b32 s15, exec_lo
	v_cmpx_gt_u32_e32 8, v81
; %bb.1579:                             ;   in Loop: Header=BB309_1567 Depth=1
	s_delay_alu instid0(VALU_DEP_3) | instskip(NEXT) | instid1(VALU_DEP_1)
	v_clz_i32_u32_e32 v6, v69
	v_min_u32_e32 v6, 32, v6
	s_delay_alu instid0(VALU_DEP_1) | instskip(SKIP_1) | instid1(VALU_DEP_2)
	v_subrev_nc_u32_e32 v69, 28, v6
	v_sub_nc_u32_e32 v80, 29, v6
	v_lshlrev_b64_e32 v[81:82], v69, v[0:1]
	s_delay_alu instid0(VALU_DEP_1)
	v_and_b32_e32 v69, 7, v81
; %bb.1580:                             ;   in Loop: Header=BB309_1567 Depth=1
	s_wait_alu 0xfffe
	s_or_b32 exec_lo, exec_lo, s15
	v_lshlrev_b32_e32 v0, 8, v71
	v_lshl_add_u32 v6, v80, 10, 0x2000
	s_delay_alu instid0(VALU_DEP_1) | instskip(SKIP_1) | instid1(VALU_DEP_1)
	v_and_or_b32 v0, 0x8000, v0, v6
	v_lshlrev_b32_e32 v6, 23, v69
	v_lshl_or_b32 v69, v0, 16, v6
.LBB309_1581:                           ;   in Loop: Header=BB309_1567 Depth=1
	s_wait_alu 0xfffe
	s_or_b32 exec_lo, exec_lo, s14
.LBB309_1582:                           ;   in Loop: Header=BB309_1567 Depth=1
	s_wait_alu 0xfffe
	s_or_b32 exec_lo, exec_lo, s13
.LBB309_1583:                           ;   in Loop: Header=BB309_1567 Depth=1
	s_wait_alu 0xfffe
	s_or_b32 exec_lo, exec_lo, s0
	v_lshrrev_b32_e32 v0, 16, v9
	s_mov_b32 s0, exec_lo
	s_delay_alu instid0(VALU_DEP_1) | instskip(NEXT) | instid1(VALU_DEP_1)
	v_and_b32_e32 v71, 0xff, v0
	v_cmpx_ne_u16_e32 0, v71
	s_cbranch_execz .LBB309_1591
; %bb.1584:                             ;   in Loop: Header=BB309_1567 Depth=1
	v_mov_b32_e32 v70, 0x8000
	s_mov_b32 s13, exec_lo
	v_cmpx_ne_u16_e32 0x80, v71
	s_cbranch_execz .LBB309_1590
; %bb.1585:                             ;   in Loop: Header=BB309_1567 Depth=1
	v_bfe_u32 v80, v9, 16, 7
	v_mov_b32_e32 v70, 0x7c01
	s_mov_b32 s14, exec_lo
	s_delay_alu instid0(VALU_DEP_2)
	v_cmpx_ne_u32_e32 0x7f, v80
	s_cbranch_execz .LBB309_1589
; %bb.1586:                             ;   in Loop: Header=BB309_1567 Depth=1
	v_and_b32_e32 v70, 7, v0
	v_lshrrev_b32_e32 v71, 3, v80
	s_mov_b32 s15, exec_lo
	v_cmpx_gt_u32_e32 8, v80
; %bb.1587:                             ;   in Loop: Header=BB309_1567 Depth=1
	s_delay_alu instid0(VALU_DEP_3) | instskip(NEXT) | instid1(VALU_DEP_1)
	v_clz_i32_u32_e32 v6, v70
	v_min_u32_e32 v6, 32, v6
	s_delay_alu instid0(VALU_DEP_1) | instskip(NEXT) | instid1(VALU_DEP_1)
	v_subrev_nc_u32_e32 v70, 28, v6
	v_lshlrev_b64_e32 v[70:71], v70, v[0:1]
	v_sub_nc_u32_e32 v71, 29, v6
	s_delay_alu instid0(VALU_DEP_2)
	v_and_b32_e32 v70, 7, v70
; %bb.1588:                             ;   in Loop: Header=BB309_1567 Depth=1
	s_wait_alu 0xfffe
	s_or_b32 exec_lo, exec_lo, s15
	v_lshlrev_b32_e32 v0, 8, v0
	v_lshl_add_u32 v6, v71, 10, 0x2000
	v_lshlrev_b32_e32 v70, 7, v70
	s_delay_alu instid0(VALU_DEP_3) | instskip(NEXT) | instid1(VALU_DEP_3)
	v_and_b32_e32 v0, 0x8000, v0
	v_and_b32_e32 v6, 0xfc00, v6
	s_delay_alu instid0(VALU_DEP_1)
	v_or3_b32 v70, v0, v6, v70
.LBB309_1589:                           ;   in Loop: Header=BB309_1567 Depth=1
	s_wait_alu 0xfffe
	s_or_b32 exec_lo, exec_lo, s14
.LBB309_1590:                           ;   in Loop: Header=BB309_1567 Depth=1
	s_wait_alu 0xfffe
	s_or_b32 exec_lo, exec_lo, s13
.LBB309_1591:                           ;   in Loop: Header=BB309_1567 Depth=1
	s_wait_alu 0xfffe
	s_or_b32 exec_lo, exec_lo, s0
	v_dual_mov_b32 v71, 0 :: v_dual_mov_b32 v80, 0
	s_mov_b32 s0, exec_lo
	v_cmpx_lt_u32_e32 0xffffff, v9
	s_cbranch_execz .LBB309_1599
; %bb.1592:                             ;   in Loop: Header=BB309_1567 Depth=1
	v_lshrrev_b32_e32 v0, 24, v9
	v_bfrev_b32_e32 v80, 1
	s_mov_b32 s13, exec_lo
	s_delay_alu instid0(VALU_DEP_2)
	v_cmpx_ne_u32_e32 0x80, v0
	s_cbranch_execz .LBB309_1598
; %bb.1593:                             ;   in Loop: Header=BB309_1567 Depth=1
	v_and_b32_e32 v82, 0x7f, v0
	v_mov_b32_e32 v80, 0x7c010000
	s_mov_b32 s14, exec_lo
	s_delay_alu instid0(VALU_DEP_2)
	v_cmpx_ne_u32_e32 0x7f, v82
	s_cbranch_execz .LBB309_1597
; %bb.1594:                             ;   in Loop: Header=BB309_1567 Depth=1
	v_and_b32_e32 v80, 7, v0
	v_lshrrev_b32_e32 v81, 3, v82
	s_mov_b32 s15, exec_lo
	v_cmpx_gt_u32_e32 8, v82
; %bb.1595:                             ;   in Loop: Header=BB309_1567 Depth=1
	s_delay_alu instid0(VALU_DEP_3) | instskip(NEXT) | instid1(VALU_DEP_1)
	v_clz_i32_u32_e32 v6, v80
	v_min_u32_e32 v6, 32, v6
	s_delay_alu instid0(VALU_DEP_1) | instskip(NEXT) | instid1(VALU_DEP_1)
	v_subrev_nc_u32_e32 v80, 28, v6
	v_lshlrev_b64_e32 v[80:81], v80, v[0:1]
	v_sub_nc_u32_e32 v81, 29, v6
	s_delay_alu instid0(VALU_DEP_2)
	v_and_b32_e32 v80, 7, v80
; %bb.1596:                             ;   in Loop: Header=BB309_1567 Depth=1
	s_wait_alu 0xfffe
	s_or_b32 exec_lo, exec_lo, s15
	v_lshlrev_b32_e32 v0, 8, v0
	v_lshl_add_u32 v6, v81, 10, 0x2000
	s_delay_alu instid0(VALU_DEP_1) | instskip(SKIP_1) | instid1(VALU_DEP_1)
	v_and_or_b32 v0, 0x8000, v0, v6
	v_lshlrev_b32_e32 v6, 23, v80
	v_lshl_or_b32 v80, v0, 16, v6
.LBB309_1597:                           ;   in Loop: Header=BB309_1567 Depth=1
	s_wait_alu 0xfffe
	s_or_b32 exec_lo, exec_lo, s14
.LBB309_1598:                           ;   in Loop: Header=BB309_1567 Depth=1
	s_wait_alu 0xfffe
	s_or_b32 exec_lo, exec_lo, s13
.LBB309_1599:                           ;   in Loop: Header=BB309_1567 Depth=1
	s_wait_alu 0xfffe
	s_or_b32 exec_lo, exec_lo, s0
	v_dual_mov_b32 v0, v10 :: v_dual_and_b32 v81, 0xff, v10
	s_mov_b32 s0, exec_lo
	s_delay_alu instid0(VALU_DEP_1)
	v_cmpx_ne_u16_e32 0, v81
	s_cbranch_execz .LBB309_1607
; %bb.1600:                             ;   in Loop: Header=BB309_1567 Depth=1
	v_mov_b32_e32 v71, 0x8000
	s_mov_b32 s13, exec_lo
	v_cmpx_ne_u16_e32 0x80, v81
	s_cbranch_execz .LBB309_1606
; %bb.1601:                             ;   in Loop: Header=BB309_1567 Depth=1
	v_and_b32_e32 v82, 0x7f, v10
	v_mov_b32_e32 v71, 0x7c01
	s_mov_b32 s14, exec_lo
	s_delay_alu instid0(VALU_DEP_2)
	v_cmpx_ne_u32_e32 0x7f, v82
	s_cbranch_execz .LBB309_1605
; %bb.1602:                             ;   in Loop: Header=BB309_1567 Depth=1
	v_and_b32_e32 v71, 7, v10
	v_lshrrev_b32_e32 v81, 3, v82
	s_mov_b32 s15, exec_lo
	v_cmpx_gt_u32_e32 8, v82
; %bb.1603:                             ;   in Loop: Header=BB309_1567 Depth=1
	s_delay_alu instid0(VALU_DEP_3) | instskip(NEXT) | instid1(VALU_DEP_1)
	v_clz_i32_u32_e32 v6, v71
	v_min_u32_e32 v6, 32, v6
	s_delay_alu instid0(VALU_DEP_1) | instskip(SKIP_1) | instid1(VALU_DEP_2)
	v_subrev_nc_u32_e32 v71, 28, v6
	v_sub_nc_u32_e32 v81, 29, v6
	v_lshlrev_b64_e32 v[82:83], v71, v[0:1]
	s_delay_alu instid0(VALU_DEP_1)
	v_and_b32_e32 v71, 7, v82
; %bb.1604:                             ;   in Loop: Header=BB309_1567 Depth=1
	s_wait_alu 0xfffe
	s_or_b32 exec_lo, exec_lo, s15
	v_lshlrev_b32_e32 v6, 8, v10
	v_lshl_add_u32 v81, v81, 10, 0x2000
	v_lshlrev_b32_e32 v71, 7, v71
	s_delay_alu instid0(VALU_DEP_3) | instskip(NEXT) | instid1(VALU_DEP_3)
	v_and_b32_e32 v6, 0x8000, v6
	v_and_b32_e32 v81, 0xfc00, v81
	s_delay_alu instid0(VALU_DEP_1)
	v_or3_b32 v71, v6, v81, v71
.LBB309_1605:                           ;   in Loop: Header=BB309_1567 Depth=1
	s_wait_alu 0xfffe
	s_or_b32 exec_lo, exec_lo, s14
.LBB309_1606:                           ;   in Loop: Header=BB309_1567 Depth=1
	s_wait_alu 0xfffe
	s_or_b32 exec_lo, exec_lo, s13
.LBB309_1607:                           ;   in Loop: Header=BB309_1567 Depth=1
	s_wait_alu 0xfffe
	s_or_b32 exec_lo, exec_lo, s0
	v_lshrrev_b16 v0, 8, v0
	v_dual_mov_b32 v82, 0 :: v_dual_mov_b32 v81, 0
	s_mov_b32 s0, exec_lo
	s_delay_alu instid0(VALU_DEP_2)
	v_cmpx_ne_u16_e32 0, v0
	s_cbranch_execz .LBB309_1615
; %bb.1608:                             ;   in Loop: Header=BB309_1567 Depth=1
	v_bfrev_b32_e32 v81, 1
	s_mov_b32 s13, exec_lo
	v_cmpx_ne_u16_e32 0x80, v0
	s_cbranch_execz .LBB309_1614
; %bb.1609:                             ;   in Loop: Header=BB309_1567 Depth=1
	v_and_b32_e32 v83, 0xffff, v0
	v_mov_b32_e32 v81, 0x7c010000
	s_mov_b32 s14, exec_lo
	s_delay_alu instid0(VALU_DEP_2) | instskip(NEXT) | instid1(VALU_DEP_1)
	v_and_b32_e32 v85, 0x7f, v83
	v_cmpx_ne_u32_e32 0x7f, v85
	s_cbranch_execz .LBB309_1613
; %bb.1610:                             ;   in Loop: Header=BB309_1567 Depth=1
	v_and_b32_e32 v81, 7, v83
	v_lshrrev_b32_e32 v84, 3, v85
	s_mov_b32 s15, exec_lo
	v_cmpx_gt_u32_e32 8, v85
; %bb.1611:                             ;   in Loop: Header=BB309_1567 Depth=1
	s_delay_alu instid0(VALU_DEP_3) | instskip(NEXT) | instid1(VALU_DEP_1)
	v_clz_i32_u32_e32 v6, v81
	v_min_u32_e32 v6, 32, v6
	s_delay_alu instid0(VALU_DEP_1) | instskip(SKIP_1) | instid1(VALU_DEP_2)
	v_subrev_nc_u32_e32 v81, 28, v6
	v_sub_nc_u32_e32 v84, 29, v6
	v_lshlrev_b64_e32 v[85:86], v81, v[0:1]
	s_delay_alu instid0(VALU_DEP_1)
	v_and_b32_e32 v81, 7, v85
; %bb.1612:                             ;   in Loop: Header=BB309_1567 Depth=1
	s_wait_alu 0xfffe
	s_or_b32 exec_lo, exec_lo, s15
	v_lshlrev_b32_e32 v0, 8, v83
	v_lshl_add_u32 v6, v84, 10, 0x2000
	s_delay_alu instid0(VALU_DEP_1) | instskip(SKIP_1) | instid1(VALU_DEP_1)
	v_and_or_b32 v0, 0x8000, v0, v6
	v_lshlrev_b32_e32 v6, 23, v81
	v_lshl_or_b32 v81, v0, 16, v6
.LBB309_1613:                           ;   in Loop: Header=BB309_1567 Depth=1
	s_wait_alu 0xfffe
	s_or_b32 exec_lo, exec_lo, s14
.LBB309_1614:                           ;   in Loop: Header=BB309_1567 Depth=1
	s_wait_alu 0xfffe
	s_or_b32 exec_lo, exec_lo, s13
.LBB309_1615:                           ;   in Loop: Header=BB309_1567 Depth=1
	s_wait_alu 0xfffe
	s_or_b32 exec_lo, exec_lo, s0
	v_lshrrev_b32_e32 v0, 16, v10
	s_mov_b32 s0, exec_lo
	s_delay_alu instid0(VALU_DEP_1) | instskip(NEXT) | instid1(VALU_DEP_1)
	v_and_b32_e32 v83, 0xff, v0
	v_cmpx_ne_u16_e32 0, v83
	s_cbranch_execz .LBB309_1623
; %bb.1616:                             ;   in Loop: Header=BB309_1567 Depth=1
	v_mov_b32_e32 v82, 0x8000
	s_mov_b32 s13, exec_lo
	v_cmpx_ne_u16_e32 0x80, v83
	s_cbranch_execz .LBB309_1622
; %bb.1617:                             ;   in Loop: Header=BB309_1567 Depth=1
	v_bfe_u32 v84, v10, 16, 7
	v_mov_b32_e32 v82, 0x7c01
	s_mov_b32 s14, exec_lo
	s_delay_alu instid0(VALU_DEP_2)
	v_cmpx_ne_u32_e32 0x7f, v84
	s_cbranch_execz .LBB309_1621
; %bb.1618:                             ;   in Loop: Header=BB309_1567 Depth=1
	v_and_b32_e32 v82, 7, v0
	v_lshrrev_b32_e32 v83, 3, v84
	s_mov_b32 s15, exec_lo
	v_cmpx_gt_u32_e32 8, v84
; %bb.1619:                             ;   in Loop: Header=BB309_1567 Depth=1
	s_delay_alu instid0(VALU_DEP_3) | instskip(NEXT) | instid1(VALU_DEP_1)
	v_clz_i32_u32_e32 v6, v82
	v_min_u32_e32 v6, 32, v6
	s_delay_alu instid0(VALU_DEP_1) | instskip(NEXT) | instid1(VALU_DEP_1)
	v_subrev_nc_u32_e32 v82, 28, v6
	v_lshlrev_b64_e32 v[82:83], v82, v[0:1]
	v_sub_nc_u32_e32 v83, 29, v6
	s_delay_alu instid0(VALU_DEP_2)
	v_and_b32_e32 v82, 7, v82
; %bb.1620:                             ;   in Loop: Header=BB309_1567 Depth=1
	s_wait_alu 0xfffe
	s_or_b32 exec_lo, exec_lo, s15
	v_lshlrev_b32_e32 v0, 8, v0
	v_lshl_add_u32 v6, v83, 10, 0x2000
	v_lshlrev_b32_e32 v82, 7, v82
	s_delay_alu instid0(VALU_DEP_3) | instskip(NEXT) | instid1(VALU_DEP_3)
	v_and_b32_e32 v0, 0x8000, v0
	v_and_b32_e32 v6, 0xfc00, v6
	s_delay_alu instid0(VALU_DEP_1)
	v_or3_b32 v82, v0, v6, v82
.LBB309_1621:                           ;   in Loop: Header=BB309_1567 Depth=1
	s_wait_alu 0xfffe
	s_or_b32 exec_lo, exec_lo, s14
.LBB309_1622:                           ;   in Loop: Header=BB309_1567 Depth=1
	s_wait_alu 0xfffe
	s_or_b32 exec_lo, exec_lo, s13
.LBB309_1623:                           ;   in Loop: Header=BB309_1567 Depth=1
	s_wait_alu 0xfffe
	s_or_b32 exec_lo, exec_lo, s0
	v_cmp_lt_u64_e32 vcc_lo, s[8:9], v[9:10]
	v_mov_b32_e32 v9, 0
	s_and_saveexec_b32 s0, vcc_lo
	s_cbranch_execz .LBB309_1631
; %bb.1624:                             ;   in Loop: Header=BB309_1567 Depth=1
	v_lshrrev_b32_e32 v0, 24, v10
	v_bfrev_b32_e32 v9, 1
	s_mov_b32 s13, exec_lo
	s_delay_alu instid0(VALU_DEP_2)
	v_cmpx_ne_u32_e32 0x80, v0
	s_cbranch_execz .LBB309_1630
; %bb.1625:                             ;   in Loop: Header=BB309_1567 Depth=1
	v_and_b32_e32 v83, 0x7f, v0
	v_mov_b32_e32 v9, 0x7c010000
	s_mov_b32 s14, exec_lo
	s_delay_alu instid0(VALU_DEP_2)
	v_cmpx_ne_u32_e32 0x7f, v83
	s_cbranch_execz .LBB309_1629
; %bb.1626:                             ;   in Loop: Header=BB309_1567 Depth=1
	v_and_b32_e32 v9, 7, v0
	v_lshrrev_b32_e32 v10, 3, v83
	s_mov_b32 s15, exec_lo
	v_cmpx_gt_u32_e32 8, v83
; %bb.1627:                             ;   in Loop: Header=BB309_1567 Depth=1
	s_delay_alu instid0(VALU_DEP_3) | instskip(NEXT) | instid1(VALU_DEP_1)
	v_clz_i32_u32_e32 v6, v9
	v_min_u32_e32 v6, 32, v6
	s_delay_alu instid0(VALU_DEP_1) | instskip(NEXT) | instid1(VALU_DEP_1)
	v_subrev_nc_u32_e32 v9, 28, v6
	v_lshlrev_b64_e32 v[9:10], v9, v[0:1]
	v_sub_nc_u32_e32 v10, 29, v6
	s_delay_alu instid0(VALU_DEP_2)
	v_and_b32_e32 v9, 7, v9
; %bb.1628:                             ;   in Loop: Header=BB309_1567 Depth=1
	s_wait_alu 0xfffe
	s_or_b32 exec_lo, exec_lo, s15
	v_lshlrev_b32_e32 v0, 8, v0
	v_lshl_add_u32 v6, v10, 10, 0x2000
	s_delay_alu instid0(VALU_DEP_1) | instskip(SKIP_1) | instid1(VALU_DEP_1)
	v_and_or_b32 v0, 0x8000, v0, v6
	v_lshlrev_b32_e32 v6, 23, v9
	v_lshl_or_b32 v9, v0, 16, v6
.LBB309_1629:                           ;   in Loop: Header=BB309_1567 Depth=1
	s_wait_alu 0xfffe
	s_or_b32 exec_lo, exec_lo, s14
.LBB309_1630:                           ;   in Loop: Header=BB309_1567 Depth=1
	s_wait_alu 0xfffe
	s_or_b32 exec_lo, exec_lo, s13
.LBB309_1631:                           ;   in Loop: Header=BB309_1567 Depth=1
	s_wait_alu 0xfffe
	s_or_b32 exec_lo, exec_lo, s0
	v_or_b32_e32 v0, v80, v70
	s_wait_loadcnt_dscnt 0x0
	v_fma_mixlo_f16 v6, v36, v80, 0 op_sel:[0,1,0] op_sel_hi:[0,1,0]
	v_or_b32_e32 v37, v69, v37
	v_or_b32_e32 v70, v81, v71
	;; [unrolled: 1-line block ×3, first 2 shown]
	v_fma_mixlo_f16 v0, v36, v0, 0 op_sel_hi:[0,1,0]
	v_fma_mixlo_f16 v69, v36, v69, 0 op_sel:[0,1,0] op_sel_hi:[0,1,0]
	v_lshlrev_b32_e32 v10, 16, v6
	v_fma_mixlo_f16 v6, v36, v37, 0 op_sel_hi:[0,1,0]
	v_fma_mixlo_f16 v70, v36, v70, 0 op_sel_hi:[0,1,0]
	v_and_b32_e32 v37, 0xffff, v0
	v_fma_mixlo_f16 v0, v36, v81, 0 op_sel:[0,1,0] op_sel_hi:[0,1,0]
	v_fma_mixlo_f16 v9, v36, v9, 0 op_sel:[0,1,0] op_sel_hi:[0,1,0]
	v_fma_mixlo_f16 v71, v36, v71, 0 op_sel_hi:[0,1,0]
	v_lshlrev_b32_e32 v96, 16, v69
	v_and_b32_e32 v98, 0xffff, v6
	v_lshlrev_b32_e32 v69, 16, v0
	v_and_b32_e32 v97, 0xffff, v70
	;; [unrolled: 2-line block ×3, first 2 shown]
	v_cmp_eq_u32_e32 vcc_lo, v44, v11
	v_or_b32_e32 v0, v10, v37
	v_or_b32_e32 v9, v96, v98
	;; [unrolled: 1-line block ×11, first 2 shown]
	s_and_saveexec_b32 s13, vcc_lo
	s_cbranch_execz .LBB309_1633
; %bb.1632:                             ;   in Loop: Header=BB309_1567 Depth=1
	v_cmp_lt_i32_e64 s0, v17, v33
	s_wait_alu 0xf1ff
	s_delay_alu instid0(VALU_DEP_1) | instskip(SKIP_2) | instid1(VALU_DEP_1)
	v_cndmask_b32_e64 v0, 0, v98, s0
	v_cmp_lt_i32_e64 s0, v86, v33
	s_wait_alu 0xf1ff
	v_cndmask_b32_e64 v6, 0, v96, s0
	v_cmp_lt_i32_e64 s0, v85, v33
	s_delay_alu instid0(VALU_DEP_2) | instskip(SKIP_1) | instid1(VALU_DEP_2)
	v_or_b32_e32 v9, v0, v6
	s_wait_alu 0xf1ff
	v_cndmask_b32_e64 v37, 0, v37, s0
	v_cmp_lt_i32_e64 s0, v84, v33
	s_wait_alu 0xf1ff
	s_delay_alu instid0(VALU_DEP_1) | instskip(SKIP_1) | instid1(VALU_DEP_2)
	v_cndmask_b32_e64 v10, 0, v10, s0
	v_cmp_lt_i32_e64 s0, v83, v33
	v_or_b32_e32 v0, v37, v10
	s_wait_alu 0xf1ff
	s_delay_alu instid0(VALU_DEP_2) | instskip(SKIP_2) | instid1(VALU_DEP_1)
	v_cndmask_b32_e64 v70, 0, v97, s0
	v_cmp_lt_i32_e64 s0, v82, v33
	s_wait_alu 0xf1ff
	v_cndmask_b32_e64 v69, 0, v69, s0
	v_cmp_lt_i32_e64 s0, v81, v33
	s_delay_alu instid0(VALU_DEP_2) | instskip(SKIP_1) | instid1(VALU_DEP_2)
	v_or_b32_e32 v70, v70, v69
	s_wait_alu 0xf1ff
	v_cndmask_b32_e64 v71, 0, v87, s0
	v_cmp_lt_i32_e64 s0, v80, v33
	s_wait_alu 0xf1ff
	s_delay_alu instid0(VALU_DEP_1) | instskip(NEXT) | instid1(VALU_DEP_1)
	v_cndmask_b32_e64 v36, 0, v36, s0
	v_or_b32_e32 v71, v71, v36
.LBB309_1633:                           ;   in Loop: Header=BB309_1567 Depth=1
	s_wait_alu 0xfffe
	s_or_b32 exec_lo, exec_lo, s13
	v_and_b32_e32 v4, 0xffff, v4
	v_and_b32_e32 v6, 0xffff, v32
	;; [unrolled: 1-line block ×4, first 2 shown]
	s_mov_b32 s13, exec_lo
	v_lshl_or_b32 v69, v5, 16, v4
	v_lshl_or_b32 v37, v12, 16, v6
	;;#ASMSTART
	v_pk_mul_f16 v4, v69, v9;

	;;#ASMEND
	;;#ASMSTART
	v_pk_mul_f16 v0, v37, v0;

	;;#ASMEND
	v_lshl_or_b32 v36, v22, 16, v10
	v_lshl_or_b32 v35, v23, 16, v32
	;;#ASMSTART
	v_pk_mul_f16 v5, v36, v70;

	;;#ASMEND
	;;#ASMSTART
	v_pk_mul_f16 v6, v35, v71;

	;;#ASMEND
	;;#ASMSTART
	v_pk_add_f16 v0, v4, v0;

	;;#ASMEND
	;;#ASMSTART
	v_pk_add_f16 v0, v0, v5;
	;; [unrolled: 4-line block ×3, first 2 shown]

	;;#ASMEND
	v_and_b32_e32 v4, 0xffff, v0
	v_lshrrev_b32_e32 v0, 16, v0
	;;#ASMSTART
	v_cvt_f32_f16 v70, v4;
	;;#ASMEND
	;;#ASMSTART
	v_cvt_f32_f16 v71, v0;
	;;#ASMEND
	flat_load_b64 v[9:10], v[7:8] offset:256
	flat_load_b32 v4, v[26:27]
	v_dual_mov_b32 v5, 0 :: v_dual_mov_b32 v12, 0
	s_wait_loadcnt_dscnt 0x101
	v_and_b32_e32 v0, 0xff, v9
	s_delay_alu instid0(VALU_DEP_1)
	v_cmpx_ne_u16_e32 0, v0
	s_cbranch_execz .LBB309_1641
; %bb.1634:                             ;   in Loop: Header=BB309_1567 Depth=1
	v_mov_b32_e32 v12, 0x8000
	s_mov_b32 s14, exec_lo
	v_cmpx_ne_u16_e32 0x80, v0
	s_cbranch_execz .LBB309_1640
; %bb.1635:                             ;   in Loop: Header=BB309_1567 Depth=1
	v_and_b32_e32 v22, 0x7f, v9
	v_mov_b32_e32 v12, 0x7c01
	s_mov_b32 s15, exec_lo
	s_delay_alu instid0(VALU_DEP_2)
	v_cmpx_ne_u32_e32 0x7f, v22
	s_cbranch_execz .LBB309_1639
; %bb.1636:                             ;   in Loop: Header=BB309_1567 Depth=1
	v_and_b32_e32 v0, 7, v9
	v_lshrrev_b32_e32 v12, 3, v22
	s_mov_b32 s16, exec_lo
	v_cmpx_gt_u32_e32 8, v22
; %bb.1637:                             ;   in Loop: Header=BB309_1567 Depth=1
	s_delay_alu instid0(VALU_DEP_3) | instskip(NEXT) | instid1(VALU_DEP_1)
	v_clz_i32_u32_e32 v0, v0
	v_min_u32_e32 v0, 32, v0
	s_delay_alu instid0(VALU_DEP_1) | instskip(SKIP_1) | instid1(VALU_DEP_2)
	v_subrev_nc_u32_e32 v6, 28, v0
	v_sub_nc_u32_e32 v12, 29, v0
	v_lshlrev_b64_e32 v[22:23], v6, v[9:10]
	s_delay_alu instid0(VALU_DEP_1)
	v_and_b32_e32 v0, 7, v22
; %bb.1638:                             ;   in Loop: Header=BB309_1567 Depth=1
	s_wait_alu 0xfffe
	s_or_b32 exec_lo, exec_lo, s16
	v_lshlrev_b32_e32 v6, 8, v9
	v_lshl_add_u32 v12, v12, 10, 0x2000
	v_lshlrev_b32_e32 v0, 7, v0
	s_delay_alu instid0(VALU_DEP_3) | instskip(NEXT) | instid1(VALU_DEP_3)
	v_and_b32_e32 v6, 0x8000, v6
	v_and_b32_e32 v12, 0xfc00, v12
	s_delay_alu instid0(VALU_DEP_1)
	v_or3_b32 v12, v6, v12, v0
.LBB309_1639:                           ;   in Loop: Header=BB309_1567 Depth=1
	s_wait_alu 0xfffe
	s_or_b32 exec_lo, exec_lo, s15
.LBB309_1640:                           ;   in Loop: Header=BB309_1567 Depth=1
	s_wait_alu 0xfffe
	s_or_b32 exec_lo, exec_lo, s14
.LBB309_1641:                           ;   in Loop: Header=BB309_1567 Depth=1
	s_wait_alu 0xfffe
	s_or_b32 exec_lo, exec_lo, s13
	v_lshrrev_b16 v0, 8, v9
	s_mov_b32 s13, exec_lo
	s_delay_alu instid0(VALU_DEP_1)
	v_cmpx_ne_u16_e32 0, v0
	s_cbranch_execz .LBB309_1649
; %bb.1642:                             ;   in Loop: Header=BB309_1567 Depth=1
	v_bfrev_b32_e32 v5, 1
	s_mov_b32 s14, exec_lo
	v_cmpx_ne_u16_e32 0x80, v0
	s_cbranch_execz .LBB309_1648
; %bb.1643:                             ;   in Loop: Header=BB309_1567 Depth=1
	v_and_b32_e32 v22, 0xffff, v0
	v_mov_b32_e32 v5, 0x7c010000
	s_mov_b32 s15, exec_lo
	s_delay_alu instid0(VALU_DEP_2) | instskip(NEXT) | instid1(VALU_DEP_1)
	v_and_b32_e32 v32, 0x7f, v22
	v_cmpx_ne_u32_e32 0x7f, v32
	s_cbranch_execz .LBB309_1647
; %bb.1644:                             ;   in Loop: Header=BB309_1567 Depth=1
	v_and_b32_e32 v5, 7, v22
	v_lshrrev_b32_e32 v23, 3, v32
	s_mov_b32 s16, exec_lo
	v_cmpx_gt_u32_e32 8, v32
; %bb.1645:                             ;   in Loop: Header=BB309_1567 Depth=1
	s_delay_alu instid0(VALU_DEP_3) | instskip(NEXT) | instid1(VALU_DEP_1)
	v_clz_i32_u32_e32 v5, v5
	v_min_u32_e32 v23, 32, v5
	s_delay_alu instid0(VALU_DEP_1) | instskip(SKIP_1) | instid1(VALU_DEP_2)
	v_subrev_nc_u32_e32 v5, 28, v23
	v_sub_nc_u32_e32 v23, 29, v23
	v_lshlrev_b64_e32 v[5:6], v5, v[0:1]
	s_delay_alu instid0(VALU_DEP_1)
	v_and_b32_e32 v5, 7, v5
; %bb.1646:                             ;   in Loop: Header=BB309_1567 Depth=1
	s_wait_alu 0xfffe
	s_or_b32 exec_lo, exec_lo, s16
	v_lshlrev_b32_e32 v0, 8, v22
	v_lshl_add_u32 v6, v23, 10, 0x2000
	v_lshlrev_b32_e32 v5, 23, v5
	s_delay_alu instid0(VALU_DEP_2) | instskip(NEXT) | instid1(VALU_DEP_1)
	v_and_or_b32 v0, 0x8000, v0, v6
	v_lshl_or_b32 v5, v0, 16, v5
.LBB309_1647:                           ;   in Loop: Header=BB309_1567 Depth=1
	s_wait_alu 0xfffe
	s_or_b32 exec_lo, exec_lo, s15
.LBB309_1648:                           ;   in Loop: Header=BB309_1567 Depth=1
	s_wait_alu 0xfffe
	s_or_b32 exec_lo, exec_lo, s14
.LBB309_1649:                           ;   in Loop: Header=BB309_1567 Depth=1
	s_wait_alu 0xfffe
	s_or_b32 exec_lo, exec_lo, s13
	v_lshrrev_b32_e32 v0, 16, v9
	v_mov_b32_e32 v22, 0
	s_mov_b32 s13, exec_lo
	s_delay_alu instid0(VALU_DEP_2) | instskip(NEXT) | instid1(VALU_DEP_1)
	v_dual_mov_b32 v23, 0 :: v_dual_and_b32 v32, 0xff, v0
	v_cmpx_ne_u16_e32 0, v32
	s_cbranch_execz .LBB309_1657
; %bb.1650:                             ;   in Loop: Header=BB309_1567 Depth=1
	v_mov_b32_e32 v23, 0x8000
	s_mov_b32 s14, exec_lo
	v_cmpx_ne_u16_e32 0x80, v32
	s_cbranch_execz .LBB309_1656
; %bb.1651:                             ;   in Loop: Header=BB309_1567 Depth=1
	v_bfe_u32 v34, v9, 16, 7
	v_mov_b32_e32 v23, 0x7c01
	s_mov_b32 s15, exec_lo
	s_delay_alu instid0(VALU_DEP_2)
	v_cmpx_ne_u32_e32 0x7f, v34
	s_cbranch_execz .LBB309_1655
; %bb.1652:                             ;   in Loop: Header=BB309_1567 Depth=1
	v_and_b32_e32 v23, 7, v0
	v_lshrrev_b32_e32 v32, 3, v34
	s_mov_b32 s16, exec_lo
	v_cmpx_gt_u32_e32 8, v34
; %bb.1653:                             ;   in Loop: Header=BB309_1567 Depth=1
	s_delay_alu instid0(VALU_DEP_3) | instskip(NEXT) | instid1(VALU_DEP_1)
	v_clz_i32_u32_e32 v6, v23
	v_min_u32_e32 v6, 32, v6
	s_delay_alu instid0(VALU_DEP_1) | instskip(SKIP_1) | instid1(VALU_DEP_2)
	v_subrev_nc_u32_e32 v23, 28, v6
	v_sub_nc_u32_e32 v32, 29, v6
	v_lshlrev_b64_e32 v[96:97], v23, v[0:1]
	s_delay_alu instid0(VALU_DEP_1)
	v_and_b32_e32 v23, 7, v96
; %bb.1654:                             ;   in Loop: Header=BB309_1567 Depth=1
	s_wait_alu 0xfffe
	s_or_b32 exec_lo, exec_lo, s16
	v_lshlrev_b32_e32 v0, 8, v0
	v_lshl_add_u32 v6, v32, 10, 0x2000
	v_lshlrev_b32_e32 v23, 7, v23
	s_delay_alu instid0(VALU_DEP_3) | instskip(NEXT) | instid1(VALU_DEP_3)
	v_and_b32_e32 v0, 0x8000, v0
	v_and_b32_e32 v6, 0xfc00, v6
	s_delay_alu instid0(VALU_DEP_1)
	v_or3_b32 v23, v0, v6, v23
.LBB309_1655:                           ;   in Loop: Header=BB309_1567 Depth=1
	s_wait_alu 0xfffe
	s_or_b32 exec_lo, exec_lo, s15
.LBB309_1656:                           ;   in Loop: Header=BB309_1567 Depth=1
	s_wait_alu 0xfffe
	s_or_b32 exec_lo, exec_lo, s14
.LBB309_1657:                           ;   in Loop: Header=BB309_1567 Depth=1
	s_wait_alu 0xfffe
	s_or_b32 exec_lo, exec_lo, s13
	s_delay_alu instid0(SALU_CYCLE_1)
	s_mov_b32 s13, exec_lo
	v_cmpx_lt_u32_e32 0xffffff, v9
	s_cbranch_execz .LBB309_1665
; %bb.1658:                             ;   in Loop: Header=BB309_1567 Depth=1
	v_lshrrev_b32_e32 v0, 24, v9
	v_bfrev_b32_e32 v22, 1
	s_mov_b32 s14, exec_lo
	s_delay_alu instid0(VALU_DEP_2)
	v_cmpx_ne_u32_e32 0x80, v0
	s_cbranch_execz .LBB309_1664
; %bb.1659:                             ;   in Loop: Header=BB309_1567 Depth=1
	v_and_b32_e32 v34, 0x7f, v0
	v_mov_b32_e32 v22, 0x7c010000
	s_mov_b32 s15, exec_lo
	s_delay_alu instid0(VALU_DEP_2)
	v_cmpx_ne_u32_e32 0x7f, v34
	s_cbranch_execz .LBB309_1663
; %bb.1660:                             ;   in Loop: Header=BB309_1567 Depth=1
	v_and_b32_e32 v22, 7, v0
	v_lshrrev_b32_e32 v32, 3, v34
	s_mov_b32 s16, exec_lo
	v_cmpx_gt_u32_e32 8, v34
; %bb.1661:                             ;   in Loop: Header=BB309_1567 Depth=1
	s_delay_alu instid0(VALU_DEP_3) | instskip(NEXT) | instid1(VALU_DEP_1)
	v_clz_i32_u32_e32 v6, v22
	v_min_u32_e32 v6, 32, v6
	s_delay_alu instid0(VALU_DEP_1) | instskip(SKIP_1) | instid1(VALU_DEP_2)
	v_subrev_nc_u32_e32 v22, 28, v6
	v_sub_nc_u32_e32 v32, 29, v6
	v_lshlrev_b64_e32 v[96:97], v22, v[0:1]
	s_delay_alu instid0(VALU_DEP_1)
	v_and_b32_e32 v22, 7, v96
; %bb.1662:                             ;   in Loop: Header=BB309_1567 Depth=1
	s_wait_alu 0xfffe
	s_or_b32 exec_lo, exec_lo, s16
	v_lshlrev_b32_e32 v0, 8, v0
	v_lshl_add_u32 v6, v32, 10, 0x2000
	s_delay_alu instid0(VALU_DEP_1) | instskip(SKIP_1) | instid1(VALU_DEP_1)
	v_and_or_b32 v0, 0x8000, v0, v6
	v_lshlrev_b32_e32 v6, 23, v22
	v_lshl_or_b32 v22, v0, 16, v6
.LBB309_1663:                           ;   in Loop: Header=BB309_1567 Depth=1
	s_wait_alu 0xfffe
	s_or_b32 exec_lo, exec_lo, s15
.LBB309_1664:                           ;   in Loop: Header=BB309_1567 Depth=1
	s_wait_alu 0xfffe
	s_or_b32 exec_lo, exec_lo, s14
.LBB309_1665:                           ;   in Loop: Header=BB309_1567 Depth=1
	s_wait_alu 0xfffe
	s_or_b32 exec_lo, exec_lo, s13
	v_dual_mov_b32 v0, v10 :: v_dual_and_b32 v87, 0xff, v10
	v_mov_b32_e32 v32, 0
	v_mov_b32_e32 v34, 0
	s_mov_b32 s13, exec_lo
	s_delay_alu instid0(VALU_DEP_3)
	v_cmpx_ne_u16_e32 0, v87
	s_cbranch_execz .LBB309_1673
; %bb.1666:                             ;   in Loop: Header=BB309_1567 Depth=1
	v_mov_b32_e32 v34, 0x8000
	s_mov_b32 s14, exec_lo
	v_cmpx_ne_u16_e32 0x80, v87
	s_cbranch_execz .LBB309_1672
; %bb.1667:                             ;   in Loop: Header=BB309_1567 Depth=1
	v_and_b32_e32 v96, 0x7f, v10
	v_mov_b32_e32 v34, 0x7c01
	s_mov_b32 s15, exec_lo
	s_delay_alu instid0(VALU_DEP_2)
	v_cmpx_ne_u32_e32 0x7f, v96
	s_cbranch_execz .LBB309_1671
; %bb.1668:                             ;   in Loop: Header=BB309_1567 Depth=1
	v_and_b32_e32 v34, 7, v10
	v_lshrrev_b32_e32 v87, 3, v96
	s_mov_b32 s16, exec_lo
	v_cmpx_gt_u32_e32 8, v96
; %bb.1669:                             ;   in Loop: Header=BB309_1567 Depth=1
	s_delay_alu instid0(VALU_DEP_3) | instskip(NEXT) | instid1(VALU_DEP_1)
	v_clz_i32_u32_e32 v6, v34
	v_min_u32_e32 v6, 32, v6
	s_delay_alu instid0(VALU_DEP_1) | instskip(SKIP_1) | instid1(VALU_DEP_2)
	v_subrev_nc_u32_e32 v34, 28, v6
	v_sub_nc_u32_e32 v87, 29, v6
	v_lshlrev_b64_e32 v[96:97], v34, v[0:1]
	s_delay_alu instid0(VALU_DEP_1)
	v_and_b32_e32 v34, 7, v96
; %bb.1670:                             ;   in Loop: Header=BB309_1567 Depth=1
	s_wait_alu 0xfffe
	s_or_b32 exec_lo, exec_lo, s16
	v_lshlrev_b32_e32 v6, 8, v10
	v_lshl_add_u32 v87, v87, 10, 0x2000
	v_lshlrev_b32_e32 v34, 7, v34
	s_delay_alu instid0(VALU_DEP_3) | instskip(NEXT) | instid1(VALU_DEP_3)
	v_and_b32_e32 v6, 0x8000, v6
	v_and_b32_e32 v87, 0xfc00, v87
	s_delay_alu instid0(VALU_DEP_1)
	v_or3_b32 v34, v6, v87, v34
.LBB309_1671:                           ;   in Loop: Header=BB309_1567 Depth=1
	s_wait_alu 0xfffe
	s_or_b32 exec_lo, exec_lo, s15
.LBB309_1672:                           ;   in Loop: Header=BB309_1567 Depth=1
	s_wait_alu 0xfffe
	s_or_b32 exec_lo, exec_lo, s14
.LBB309_1673:                           ;   in Loop: Header=BB309_1567 Depth=1
	s_wait_alu 0xfffe
	s_or_b32 exec_lo, exec_lo, s13
	v_lshrrev_b16 v0, 8, v0
	v_mov_b32_e32 v87, 0
	s_mov_b32 s13, exec_lo
	s_delay_alu instid0(VALU_DEP_2)
	v_cmpx_ne_u16_e32 0, v0
	s_cbranch_execz .LBB309_1681
; %bb.1674:                             ;   in Loop: Header=BB309_1567 Depth=1
	v_bfrev_b32_e32 v87, 1
	s_mov_b32 s14, exec_lo
	v_cmpx_ne_u16_e32 0x80, v0
	s_cbranch_execz .LBB309_1680
; %bb.1675:                             ;   in Loop: Header=BB309_1567 Depth=1
	v_and_b32_e32 v96, 0xffff, v0
	v_mov_b32_e32 v87, 0x7c010000
	s_mov_b32 s15, exec_lo
	s_delay_alu instid0(VALU_DEP_2) | instskip(NEXT) | instid1(VALU_DEP_1)
	v_and_b32_e32 v98, 0x7f, v96
	v_cmpx_ne_u32_e32 0x7f, v98
	s_cbranch_execz .LBB309_1679
; %bb.1676:                             ;   in Loop: Header=BB309_1567 Depth=1
	v_and_b32_e32 v87, 7, v96
	v_lshrrev_b32_e32 v97, 3, v98
	s_mov_b32 s16, exec_lo
	v_cmpx_gt_u32_e32 8, v98
; %bb.1677:                             ;   in Loop: Header=BB309_1567 Depth=1
	s_delay_alu instid0(VALU_DEP_3) | instskip(NEXT) | instid1(VALU_DEP_1)
	v_clz_i32_u32_e32 v6, v87
	v_min_u32_e32 v6, 32, v6
	s_delay_alu instid0(VALU_DEP_1) | instskip(SKIP_1) | instid1(VALU_DEP_2)
	v_subrev_nc_u32_e32 v87, 28, v6
	v_sub_nc_u32_e32 v97, 29, v6
	v_lshlrev_b64_e32 v[98:99], v87, v[0:1]
	s_delay_alu instid0(VALU_DEP_1)
	v_and_b32_e32 v87, 7, v98
; %bb.1678:                             ;   in Loop: Header=BB309_1567 Depth=1
	s_wait_alu 0xfffe
	s_or_b32 exec_lo, exec_lo, s16
	v_lshlrev_b32_e32 v0, 8, v96
	v_lshl_add_u32 v6, v97, 10, 0x2000
	s_delay_alu instid0(VALU_DEP_1) | instskip(SKIP_1) | instid1(VALU_DEP_1)
	v_and_or_b32 v0, 0x8000, v0, v6
	v_lshlrev_b32_e32 v6, 23, v87
	v_lshl_or_b32 v87, v0, 16, v6
.LBB309_1679:                           ;   in Loop: Header=BB309_1567 Depth=1
	s_wait_alu 0xfffe
	s_or_b32 exec_lo, exec_lo, s15
.LBB309_1680:                           ;   in Loop: Header=BB309_1567 Depth=1
	s_wait_alu 0xfffe
	s_or_b32 exec_lo, exec_lo, s14
.LBB309_1681:                           ;   in Loop: Header=BB309_1567 Depth=1
	s_wait_alu 0xfffe
	s_or_b32 exec_lo, exec_lo, s13
	v_lshrrev_b32_e32 v0, 16, v10
	s_mov_b32 s13, exec_lo
	s_delay_alu instid0(VALU_DEP_1) | instskip(NEXT) | instid1(VALU_DEP_1)
	v_and_b32_e32 v96, 0xff, v0
	v_cmpx_ne_u16_e32 0, v96
	s_cbranch_execz .LBB309_1689
; %bb.1682:                             ;   in Loop: Header=BB309_1567 Depth=1
	v_mov_b32_e32 v32, 0x8000
	s_mov_b32 s14, exec_lo
	v_cmpx_ne_u16_e32 0x80, v96
	s_cbranch_execz .LBB309_1688
; %bb.1683:                             ;   in Loop: Header=BB309_1567 Depth=1
	v_bfe_u32 v97, v10, 16, 7
	v_mov_b32_e32 v32, 0x7c01
	s_mov_b32 s15, exec_lo
	s_delay_alu instid0(VALU_DEP_2)
	v_cmpx_ne_u32_e32 0x7f, v97
	s_cbranch_execz .LBB309_1687
; %bb.1684:                             ;   in Loop: Header=BB309_1567 Depth=1
	v_and_b32_e32 v32, 7, v0
	v_lshrrev_b32_e32 v96, 3, v97
	s_mov_b32 s16, exec_lo
	v_cmpx_gt_u32_e32 8, v97
; %bb.1685:                             ;   in Loop: Header=BB309_1567 Depth=1
	s_delay_alu instid0(VALU_DEP_3) | instskip(NEXT) | instid1(VALU_DEP_1)
	v_clz_i32_u32_e32 v6, v32
	v_min_u32_e32 v6, 32, v6
	s_delay_alu instid0(VALU_DEP_1) | instskip(SKIP_1) | instid1(VALU_DEP_2)
	v_subrev_nc_u32_e32 v32, 28, v6
	v_sub_nc_u32_e32 v96, 29, v6
	v_lshlrev_b64_e32 v[97:98], v32, v[0:1]
	s_delay_alu instid0(VALU_DEP_1)
	v_and_b32_e32 v32, 7, v97
; %bb.1686:                             ;   in Loop: Header=BB309_1567 Depth=1
	s_wait_alu 0xfffe
	s_or_b32 exec_lo, exec_lo, s16
	v_lshlrev_b32_e32 v0, 8, v0
	v_lshl_add_u32 v6, v96, 10, 0x2000
	v_lshlrev_b32_e32 v32, 7, v32
	s_delay_alu instid0(VALU_DEP_3) | instskip(NEXT) | instid1(VALU_DEP_3)
	v_and_b32_e32 v0, 0x8000, v0
	v_and_b32_e32 v6, 0xfc00, v6
	s_delay_alu instid0(VALU_DEP_1)
	v_or3_b32 v32, v0, v6, v32
.LBB309_1687:                           ;   in Loop: Header=BB309_1567 Depth=1
	s_wait_alu 0xfffe
	s_or_b32 exec_lo, exec_lo, s15
.LBB309_1688:                           ;   in Loop: Header=BB309_1567 Depth=1
	s_wait_alu 0xfffe
	s_or_b32 exec_lo, exec_lo, s14
.LBB309_1689:                           ;   in Loop: Header=BB309_1567 Depth=1
	s_wait_alu 0xfffe
	s_or_b32 exec_lo, exec_lo, s13
	v_cmp_lt_u64_e64 s0, s[8:9], v[9:10]
	v_mov_b32_e32 v9, 0
	s_and_saveexec_b32 s13, s0
	s_cbranch_execz .LBB309_1697
; %bb.1690:                             ;   in Loop: Header=BB309_1567 Depth=1
	v_lshrrev_b32_e32 v0, 24, v10
	v_bfrev_b32_e32 v9, 1
	s_mov_b32 s14, exec_lo
	s_delay_alu instid0(VALU_DEP_2)
	v_cmpx_ne_u32_e32 0x80, v0
	s_cbranch_execz .LBB309_1696
; %bb.1691:                             ;   in Loop: Header=BB309_1567 Depth=1
	v_and_b32_e32 v96, 0x7f, v0
	v_mov_b32_e32 v9, 0x7c010000
	s_mov_b32 s15, exec_lo
	s_delay_alu instid0(VALU_DEP_2)
	v_cmpx_ne_u32_e32 0x7f, v96
	s_cbranch_execz .LBB309_1695
; %bb.1692:                             ;   in Loop: Header=BB309_1567 Depth=1
	v_and_b32_e32 v9, 7, v0
	v_lshrrev_b32_e32 v10, 3, v96
	s_mov_b32 s16, exec_lo
	v_cmpx_gt_u32_e32 8, v96
; %bb.1693:                             ;   in Loop: Header=BB309_1567 Depth=1
	s_delay_alu instid0(VALU_DEP_3) | instskip(NEXT) | instid1(VALU_DEP_1)
	v_clz_i32_u32_e32 v6, v9
	v_min_u32_e32 v6, 32, v6
	s_delay_alu instid0(VALU_DEP_1) | instskip(NEXT) | instid1(VALU_DEP_1)
	v_subrev_nc_u32_e32 v9, 28, v6
	v_lshlrev_b64_e32 v[9:10], v9, v[0:1]
	v_sub_nc_u32_e32 v10, 29, v6
	s_delay_alu instid0(VALU_DEP_2)
	v_and_b32_e32 v9, 7, v9
; %bb.1694:                             ;   in Loop: Header=BB309_1567 Depth=1
	s_wait_alu 0xfffe
	s_or_b32 exec_lo, exec_lo, s16
	v_lshlrev_b32_e32 v0, 8, v0
	v_lshl_add_u32 v6, v10, 10, 0x2000
	s_delay_alu instid0(VALU_DEP_1) | instskip(SKIP_1) | instid1(VALU_DEP_1)
	v_and_or_b32 v0, 0x8000, v0, v6
	v_lshlrev_b32_e32 v6, 23, v9
	v_lshl_or_b32 v9, v0, 16, v6
.LBB309_1695:                           ;   in Loop: Header=BB309_1567 Depth=1
	s_wait_alu 0xfffe
	s_or_b32 exec_lo, exec_lo, s15
.LBB309_1696:                           ;   in Loop: Header=BB309_1567 Depth=1
	s_wait_alu 0xfffe
	s_or_b32 exec_lo, exec_lo, s14
.LBB309_1697:                           ;   in Loop: Header=BB309_1567 Depth=1
	s_wait_alu 0xfffe
	s_or_b32 exec_lo, exec_lo, s13
	v_or_b32_e32 v0, v22, v23
	s_wait_loadcnt_dscnt 0x0
	v_fma_mixlo_f16 v6, v4, v22, 0 op_sel:[0,1,0] op_sel_hi:[0,1,0]
	v_or_b32_e32 v10, v5, v12
	v_or_b32_e32 v22, v87, v34
	;; [unrolled: 1-line block ×3, first 2 shown]
	v_fma_mixlo_f16 v5, v4, v5, 0 op_sel:[0,1,0] op_sel_hi:[0,1,0]
	v_fma_mixlo_f16 v23, v4, v0, 0 op_sel_hi:[0,1,0]
	v_lshlrev_b32_e32 v0, 16, v6
	v_fma_mixlo_f16 v6, v4, v10, 0 op_sel_hi:[0,1,0]
	v_fma_mixlo_f16 v10, v4, v87, 0 op_sel:[0,1,0] op_sel_hi:[0,1,0]
	v_fma_mixlo_f16 v22, v4, v22, 0 op_sel_hi:[0,1,0]
	v_fma_mixlo_f16 v34, v4, v9, 0 op_sel:[0,1,0] op_sel_hi:[0,1,0]
	v_fma_mixlo_f16 v32, v4, v32, 0 op_sel_hi:[0,1,0]
	v_lshlrev_b32_e32 v12, 16, v5
	v_and_b32_e32 v5, 0xffff, v23
	v_and_b32_e32 v96, 0xffff, v6
	v_lshlrev_b32_e32 v9, 16, v10
	v_and_b32_e32 v23, 0xffff, v22
	v_lshlrev_b32_e32 v4, 16, v34
	v_and_b32_e32 v10, 0xffff, v32
	v_or_b32_e32 v22, v0, v5
	v_or_b32_e32 v87, v12, v96
	;; [unrolled: 1-line block ×3, first 2 shown]
	s_delay_alu instid0(VALU_DEP_4)
	v_or_b32_e32 v32, v4, v10
	s_and_saveexec_b32 s13, vcc_lo
	s_cbranch_execz .LBB309_1699
; %bb.1698:                             ;   in Loop: Header=BB309_1567 Depth=1
	v_cmp_lt_i32_e64 s0, v17, v33
	s_wait_alu 0xf1ff
	s_delay_alu instid0(VALU_DEP_1) | instskip(SKIP_2) | instid1(VALU_DEP_1)
	v_cndmask_b32_e64 v6, 0, v96, s0
	v_cmp_lt_i32_e64 s0, v86, v33
	s_wait_alu 0xf1ff
	v_cndmask_b32_e64 v12, 0, v12, s0
	v_cmp_lt_i32_e64 s0, v85, v33
	s_delay_alu instid0(VALU_DEP_2) | instskip(SKIP_1) | instid1(VALU_DEP_2)
	v_or_b32_e32 v87, v6, v12
	s_wait_alu 0xf1ff
	v_cndmask_b32_e64 v5, 0, v5, s0
	v_cmp_lt_i32_e64 s0, v84, v33
	s_wait_alu 0xf1ff
	s_delay_alu instid0(VALU_DEP_1) | instskip(SKIP_1) | instid1(VALU_DEP_2)
	v_cndmask_b32_e64 v0, 0, v0, s0
	v_cmp_lt_i32_e64 s0, v83, v33
	v_or_b32_e32 v22, v5, v0
	s_wait_alu 0xf1ff
	s_delay_alu instid0(VALU_DEP_2) | instskip(SKIP_2) | instid1(VALU_DEP_1)
	v_cndmask_b32_e64 v23, 0, v23, s0
	v_cmp_lt_i32_e64 s0, v82, v33
	s_wait_alu 0xf1ff
	v_cndmask_b32_e64 v9, 0, v9, s0
	v_cmp_lt_i32_e64 s0, v81, v33
	s_delay_alu instid0(VALU_DEP_2) | instskip(SKIP_1) | instid1(VALU_DEP_2)
	v_or_b32_e32 v34, v23, v9
	s_wait_alu 0xf1ff
	v_cndmask_b32_e64 v10, 0, v10, s0
	v_cmp_lt_i32_e64 s0, v80, v33
	s_wait_alu 0xf1ff
	s_delay_alu instid0(VALU_DEP_1) | instskip(NEXT) | instid1(VALU_DEP_1)
	v_cndmask_b32_e64 v4, 0, v4, s0
	v_or_b32_e32 v32, v10, v4
.LBB309_1699:                           ;   in Loop: Header=BB309_1567 Depth=1
	s_wait_alu 0xfffe
	s_or_b32 exec_lo, exec_lo, s13
	;;#ASMSTART
	v_pk_mul_f16 v0, v69, v87;

	;;#ASMEND
	;;#ASMSTART
	v_pk_mul_f16 v4, v37, v22;

	;;#ASMEND
	;; [unrolled: 4-line block ×4, first 2 shown]
	;;#ASMSTART
	v_pk_add_f16 v0, v0, v4;

	;;#ASMEND
	;;#ASMSTART
	v_pk_add_f16 v0, v0, v5;

	;;#ASMEND
	;; [unrolled: 4-line block ×3, first 2 shown]
	v_dual_mov_b32 v5, 0 :: v_dual_and_b32 v4, 0xffff, v0
	v_lshrrev_b32_e32 v0, 16, v0
	;;#ASMSTART
	v_cvt_f32_f16 v87, v4;
	;;#ASMEND
	;;#ASMSTART
	v_cvt_f32_f16 v96, v0;
	;;#ASMEND
	flat_load_b64 v[9:10], v[7:8] offset:512
	flat_load_b32 v4, v[26:27]
	v_mov_b32_e32 v12, 0
	s_mov_b32 s13, exec_lo
	s_wait_loadcnt_dscnt 0x101
	v_and_b32_e32 v0, 0xff, v9
	s_delay_alu instid0(VALU_DEP_1)
	v_cmpx_ne_u16_e32 0, v0
	s_cbranch_execz .LBB309_1707
; %bb.1700:                             ;   in Loop: Header=BB309_1567 Depth=1
	v_mov_b32_e32 v12, 0x8000
	s_mov_b32 s14, exec_lo
	v_cmpx_ne_u16_e32 0x80, v0
	s_cbranch_execz .LBB309_1706
; %bb.1701:                             ;   in Loop: Header=BB309_1567 Depth=1
	v_and_b32_e32 v22, 0x7f, v9
	v_mov_b32_e32 v12, 0x7c01
	s_mov_b32 s15, exec_lo
	s_delay_alu instid0(VALU_DEP_2)
	v_cmpx_ne_u32_e32 0x7f, v22
	s_cbranch_execz .LBB309_1705
; %bb.1702:                             ;   in Loop: Header=BB309_1567 Depth=1
	v_and_b32_e32 v0, 7, v9
	v_lshrrev_b32_e32 v12, 3, v22
	s_mov_b32 s16, exec_lo
	v_cmpx_gt_u32_e32 8, v22
; %bb.1703:                             ;   in Loop: Header=BB309_1567 Depth=1
	s_delay_alu instid0(VALU_DEP_3) | instskip(NEXT) | instid1(VALU_DEP_1)
	v_clz_i32_u32_e32 v0, v0
	v_min_u32_e32 v0, 32, v0
	s_delay_alu instid0(VALU_DEP_1) | instskip(SKIP_1) | instid1(VALU_DEP_2)
	v_subrev_nc_u32_e32 v6, 28, v0
	v_sub_nc_u32_e32 v12, 29, v0
	v_lshlrev_b64_e32 v[22:23], v6, v[9:10]
	s_delay_alu instid0(VALU_DEP_1)
	v_and_b32_e32 v0, 7, v22
; %bb.1704:                             ;   in Loop: Header=BB309_1567 Depth=1
	s_wait_alu 0xfffe
	s_or_b32 exec_lo, exec_lo, s16
	v_lshlrev_b32_e32 v6, 8, v9
	v_lshl_add_u32 v12, v12, 10, 0x2000
	v_lshlrev_b32_e32 v0, 7, v0
	s_delay_alu instid0(VALU_DEP_3) | instskip(NEXT) | instid1(VALU_DEP_3)
	v_and_b32_e32 v6, 0x8000, v6
	v_and_b32_e32 v12, 0xfc00, v12
	s_delay_alu instid0(VALU_DEP_1)
	v_or3_b32 v12, v6, v12, v0
.LBB309_1705:                           ;   in Loop: Header=BB309_1567 Depth=1
	s_wait_alu 0xfffe
	s_or_b32 exec_lo, exec_lo, s15
.LBB309_1706:                           ;   in Loop: Header=BB309_1567 Depth=1
	s_wait_alu 0xfffe
	s_or_b32 exec_lo, exec_lo, s14
.LBB309_1707:                           ;   in Loop: Header=BB309_1567 Depth=1
	s_wait_alu 0xfffe
	s_or_b32 exec_lo, exec_lo, s13
	v_lshrrev_b16 v0, 8, v9
	s_mov_b32 s13, exec_lo
	s_delay_alu instid0(VALU_DEP_1)
	v_cmpx_ne_u16_e32 0, v0
	s_cbranch_execz .LBB309_1715
; %bb.1708:                             ;   in Loop: Header=BB309_1567 Depth=1
	v_bfrev_b32_e32 v5, 1
	s_mov_b32 s14, exec_lo
	v_cmpx_ne_u16_e32 0x80, v0
	s_cbranch_execz .LBB309_1714
; %bb.1709:                             ;   in Loop: Header=BB309_1567 Depth=1
	v_and_b32_e32 v22, 0xffff, v0
	v_mov_b32_e32 v5, 0x7c010000
	s_mov_b32 s15, exec_lo
	s_delay_alu instid0(VALU_DEP_2) | instskip(NEXT) | instid1(VALU_DEP_1)
	v_and_b32_e32 v32, 0x7f, v22
	v_cmpx_ne_u32_e32 0x7f, v32
	s_cbranch_execz .LBB309_1713
; %bb.1710:                             ;   in Loop: Header=BB309_1567 Depth=1
	v_and_b32_e32 v5, 7, v22
	v_lshrrev_b32_e32 v23, 3, v32
	s_mov_b32 s16, exec_lo
	v_cmpx_gt_u32_e32 8, v32
; %bb.1711:                             ;   in Loop: Header=BB309_1567 Depth=1
	s_delay_alu instid0(VALU_DEP_3) | instskip(NEXT) | instid1(VALU_DEP_1)
	v_clz_i32_u32_e32 v5, v5
	v_min_u32_e32 v23, 32, v5
	s_delay_alu instid0(VALU_DEP_1) | instskip(SKIP_1) | instid1(VALU_DEP_2)
	v_subrev_nc_u32_e32 v5, 28, v23
	v_sub_nc_u32_e32 v23, 29, v23
	v_lshlrev_b64_e32 v[5:6], v5, v[0:1]
	s_delay_alu instid0(VALU_DEP_1)
	v_and_b32_e32 v5, 7, v5
; %bb.1712:                             ;   in Loop: Header=BB309_1567 Depth=1
	s_wait_alu 0xfffe
	s_or_b32 exec_lo, exec_lo, s16
	v_lshlrev_b32_e32 v0, 8, v22
	v_lshl_add_u32 v6, v23, 10, 0x2000
	v_lshlrev_b32_e32 v5, 23, v5
	s_delay_alu instid0(VALU_DEP_2) | instskip(NEXT) | instid1(VALU_DEP_1)
	v_and_or_b32 v0, 0x8000, v0, v6
	v_lshl_or_b32 v5, v0, 16, v5
.LBB309_1713:                           ;   in Loop: Header=BB309_1567 Depth=1
	s_wait_alu 0xfffe
	s_or_b32 exec_lo, exec_lo, s15
.LBB309_1714:                           ;   in Loop: Header=BB309_1567 Depth=1
	s_wait_alu 0xfffe
	s_or_b32 exec_lo, exec_lo, s14
.LBB309_1715:                           ;   in Loop: Header=BB309_1567 Depth=1
	s_wait_alu 0xfffe
	s_or_b32 exec_lo, exec_lo, s13
	v_lshrrev_b32_e32 v0, 16, v9
	v_mov_b32_e32 v22, 0
	s_mov_b32 s13, exec_lo
	s_delay_alu instid0(VALU_DEP_2) | instskip(NEXT) | instid1(VALU_DEP_1)
	v_dual_mov_b32 v23, 0 :: v_dual_and_b32 v32, 0xff, v0
	v_cmpx_ne_u16_e32 0, v32
	s_cbranch_execz .LBB309_1723
; %bb.1716:                             ;   in Loop: Header=BB309_1567 Depth=1
	v_mov_b32_e32 v23, 0x8000
	s_mov_b32 s14, exec_lo
	v_cmpx_ne_u16_e32 0x80, v32
	s_cbranch_execz .LBB309_1722
; %bb.1717:                             ;   in Loop: Header=BB309_1567 Depth=1
	v_bfe_u32 v34, v9, 16, 7
	v_mov_b32_e32 v23, 0x7c01
	s_mov_b32 s15, exec_lo
	s_delay_alu instid0(VALU_DEP_2)
	v_cmpx_ne_u32_e32 0x7f, v34
	s_cbranch_execz .LBB309_1721
; %bb.1718:                             ;   in Loop: Header=BB309_1567 Depth=1
	v_and_b32_e32 v23, 7, v0
	v_lshrrev_b32_e32 v32, 3, v34
	s_mov_b32 s16, exec_lo
	v_cmpx_gt_u32_e32 8, v34
; %bb.1719:                             ;   in Loop: Header=BB309_1567 Depth=1
	s_delay_alu instid0(VALU_DEP_3) | instskip(NEXT) | instid1(VALU_DEP_1)
	v_clz_i32_u32_e32 v6, v23
	v_min_u32_e32 v6, 32, v6
	s_delay_alu instid0(VALU_DEP_1) | instskip(SKIP_1) | instid1(VALU_DEP_2)
	v_subrev_nc_u32_e32 v23, 28, v6
	v_sub_nc_u32_e32 v32, 29, v6
	v_lshlrev_b64_e32 v[97:98], v23, v[0:1]
	s_delay_alu instid0(VALU_DEP_1)
	v_and_b32_e32 v23, 7, v97
; %bb.1720:                             ;   in Loop: Header=BB309_1567 Depth=1
	s_wait_alu 0xfffe
	s_or_b32 exec_lo, exec_lo, s16
	v_lshlrev_b32_e32 v0, 8, v0
	v_lshl_add_u32 v6, v32, 10, 0x2000
	v_lshlrev_b32_e32 v23, 7, v23
	s_delay_alu instid0(VALU_DEP_3) | instskip(NEXT) | instid1(VALU_DEP_3)
	v_and_b32_e32 v0, 0x8000, v0
	v_and_b32_e32 v6, 0xfc00, v6
	s_delay_alu instid0(VALU_DEP_1)
	v_or3_b32 v23, v0, v6, v23
.LBB309_1721:                           ;   in Loop: Header=BB309_1567 Depth=1
	s_wait_alu 0xfffe
	s_or_b32 exec_lo, exec_lo, s15
.LBB309_1722:                           ;   in Loop: Header=BB309_1567 Depth=1
	s_wait_alu 0xfffe
	s_or_b32 exec_lo, exec_lo, s14
.LBB309_1723:                           ;   in Loop: Header=BB309_1567 Depth=1
	s_wait_alu 0xfffe
	s_or_b32 exec_lo, exec_lo, s13
	s_delay_alu instid0(SALU_CYCLE_1)
	s_mov_b32 s13, exec_lo
	v_cmpx_lt_u32_e32 0xffffff, v9
	s_cbranch_execz .LBB309_1731
; %bb.1724:                             ;   in Loop: Header=BB309_1567 Depth=1
	v_lshrrev_b32_e32 v0, 24, v9
	v_bfrev_b32_e32 v22, 1
	s_mov_b32 s14, exec_lo
	s_delay_alu instid0(VALU_DEP_2)
	v_cmpx_ne_u32_e32 0x80, v0
	s_cbranch_execz .LBB309_1730
; %bb.1725:                             ;   in Loop: Header=BB309_1567 Depth=1
	v_and_b32_e32 v34, 0x7f, v0
	v_mov_b32_e32 v22, 0x7c010000
	s_mov_b32 s15, exec_lo
	s_delay_alu instid0(VALU_DEP_2)
	v_cmpx_ne_u32_e32 0x7f, v34
	s_cbranch_execz .LBB309_1729
; %bb.1726:                             ;   in Loop: Header=BB309_1567 Depth=1
	v_and_b32_e32 v22, 7, v0
	v_lshrrev_b32_e32 v32, 3, v34
	s_mov_b32 s16, exec_lo
	v_cmpx_gt_u32_e32 8, v34
; %bb.1727:                             ;   in Loop: Header=BB309_1567 Depth=1
	s_delay_alu instid0(VALU_DEP_3) | instskip(NEXT) | instid1(VALU_DEP_1)
	v_clz_i32_u32_e32 v6, v22
	v_min_u32_e32 v6, 32, v6
	s_delay_alu instid0(VALU_DEP_1) | instskip(SKIP_1) | instid1(VALU_DEP_2)
	v_subrev_nc_u32_e32 v22, 28, v6
	v_sub_nc_u32_e32 v32, 29, v6
	v_lshlrev_b64_e32 v[97:98], v22, v[0:1]
	s_delay_alu instid0(VALU_DEP_1)
	v_and_b32_e32 v22, 7, v97
; %bb.1728:                             ;   in Loop: Header=BB309_1567 Depth=1
	s_wait_alu 0xfffe
	s_or_b32 exec_lo, exec_lo, s16
	v_lshlrev_b32_e32 v0, 8, v0
	v_lshl_add_u32 v6, v32, 10, 0x2000
	s_delay_alu instid0(VALU_DEP_1) | instskip(SKIP_1) | instid1(VALU_DEP_1)
	v_and_or_b32 v0, 0x8000, v0, v6
	v_lshlrev_b32_e32 v6, 23, v22
	v_lshl_or_b32 v22, v0, 16, v6
.LBB309_1729:                           ;   in Loop: Header=BB309_1567 Depth=1
	s_wait_alu 0xfffe
	s_or_b32 exec_lo, exec_lo, s15
.LBB309_1730:                           ;   in Loop: Header=BB309_1567 Depth=1
	s_wait_alu 0xfffe
	s_or_b32 exec_lo, exec_lo, s14
.LBB309_1731:                           ;   in Loop: Header=BB309_1567 Depth=1
	s_wait_alu 0xfffe
	s_or_b32 exec_lo, exec_lo, s13
	v_dual_mov_b32 v0, v10 :: v_dual_and_b32 v97, 0xff, v10
	v_mov_b32_e32 v32, 0
	v_mov_b32_e32 v34, 0
	s_mov_b32 s13, exec_lo
	s_delay_alu instid0(VALU_DEP_3)
	v_cmpx_ne_u16_e32 0, v97
	s_cbranch_execz .LBB309_1739
; %bb.1732:                             ;   in Loop: Header=BB309_1567 Depth=1
	v_mov_b32_e32 v34, 0x8000
	s_mov_b32 s14, exec_lo
	v_cmpx_ne_u16_e32 0x80, v97
	s_cbranch_execz .LBB309_1738
; %bb.1733:                             ;   in Loop: Header=BB309_1567 Depth=1
	v_and_b32_e32 v98, 0x7f, v10
	v_mov_b32_e32 v34, 0x7c01
	s_mov_b32 s15, exec_lo
	s_delay_alu instid0(VALU_DEP_2)
	v_cmpx_ne_u32_e32 0x7f, v98
	s_cbranch_execz .LBB309_1737
; %bb.1734:                             ;   in Loop: Header=BB309_1567 Depth=1
	v_and_b32_e32 v34, 7, v10
	v_lshrrev_b32_e32 v97, 3, v98
	s_mov_b32 s16, exec_lo
	v_cmpx_gt_u32_e32 8, v98
; %bb.1735:                             ;   in Loop: Header=BB309_1567 Depth=1
	s_delay_alu instid0(VALU_DEP_3) | instskip(NEXT) | instid1(VALU_DEP_1)
	v_clz_i32_u32_e32 v6, v34
	v_min_u32_e32 v6, 32, v6
	s_delay_alu instid0(VALU_DEP_1) | instskip(SKIP_1) | instid1(VALU_DEP_2)
	v_subrev_nc_u32_e32 v34, 28, v6
	v_sub_nc_u32_e32 v97, 29, v6
	v_lshlrev_b64_e32 v[98:99], v34, v[0:1]
	s_delay_alu instid0(VALU_DEP_1)
	v_and_b32_e32 v34, 7, v98
; %bb.1736:                             ;   in Loop: Header=BB309_1567 Depth=1
	s_wait_alu 0xfffe
	s_or_b32 exec_lo, exec_lo, s16
	v_lshlrev_b32_e32 v6, 8, v10
	v_lshl_add_u32 v97, v97, 10, 0x2000
	v_lshlrev_b32_e32 v34, 7, v34
	s_delay_alu instid0(VALU_DEP_3) | instskip(NEXT) | instid1(VALU_DEP_3)
	v_and_b32_e32 v6, 0x8000, v6
	v_and_b32_e32 v97, 0xfc00, v97
	s_delay_alu instid0(VALU_DEP_1)
	v_or3_b32 v34, v6, v97, v34
.LBB309_1737:                           ;   in Loop: Header=BB309_1567 Depth=1
	s_wait_alu 0xfffe
	s_or_b32 exec_lo, exec_lo, s15
.LBB309_1738:                           ;   in Loop: Header=BB309_1567 Depth=1
	s_wait_alu 0xfffe
	s_or_b32 exec_lo, exec_lo, s14
.LBB309_1739:                           ;   in Loop: Header=BB309_1567 Depth=1
	s_wait_alu 0xfffe
	s_or_b32 exec_lo, exec_lo, s13
	v_lshrrev_b16 v0, 8, v0
	v_mov_b32_e32 v97, 0
	s_mov_b32 s13, exec_lo
	s_delay_alu instid0(VALU_DEP_2)
	v_cmpx_ne_u16_e32 0, v0
	s_cbranch_execz .LBB309_1747
; %bb.1740:                             ;   in Loop: Header=BB309_1567 Depth=1
	v_bfrev_b32_e32 v97, 1
	s_mov_b32 s14, exec_lo
	v_cmpx_ne_u16_e32 0x80, v0
	s_cbranch_execz .LBB309_1746
; %bb.1741:                             ;   in Loop: Header=BB309_1567 Depth=1
	v_and_b32_e32 v98, 0xffff, v0
	v_mov_b32_e32 v97, 0x7c010000
	s_mov_b32 s15, exec_lo
	s_delay_alu instid0(VALU_DEP_2) | instskip(NEXT) | instid1(VALU_DEP_1)
	v_and_b32_e32 v100, 0x7f, v98
	v_cmpx_ne_u32_e32 0x7f, v100
	s_cbranch_execz .LBB309_1745
; %bb.1742:                             ;   in Loop: Header=BB309_1567 Depth=1
	v_and_b32_e32 v97, 7, v98
	v_lshrrev_b32_e32 v99, 3, v100
	s_mov_b32 s16, exec_lo
	v_cmpx_gt_u32_e32 8, v100
; %bb.1743:                             ;   in Loop: Header=BB309_1567 Depth=1
	s_delay_alu instid0(VALU_DEP_3) | instskip(NEXT) | instid1(VALU_DEP_1)
	v_clz_i32_u32_e32 v6, v97
	v_min_u32_e32 v6, 32, v6
	s_delay_alu instid0(VALU_DEP_1) | instskip(SKIP_1) | instid1(VALU_DEP_2)
	v_subrev_nc_u32_e32 v97, 28, v6
	v_sub_nc_u32_e32 v99, 29, v6
	v_lshlrev_b64_e32 v[100:101], v97, v[0:1]
	s_delay_alu instid0(VALU_DEP_1)
	v_and_b32_e32 v97, 7, v100
; %bb.1744:                             ;   in Loop: Header=BB309_1567 Depth=1
	s_wait_alu 0xfffe
	s_or_b32 exec_lo, exec_lo, s16
	v_lshlrev_b32_e32 v0, 8, v98
	v_lshl_add_u32 v6, v99, 10, 0x2000
	s_delay_alu instid0(VALU_DEP_1) | instskip(SKIP_1) | instid1(VALU_DEP_1)
	v_and_or_b32 v0, 0x8000, v0, v6
	v_lshlrev_b32_e32 v6, 23, v97
	v_lshl_or_b32 v97, v0, 16, v6
.LBB309_1745:                           ;   in Loop: Header=BB309_1567 Depth=1
	s_wait_alu 0xfffe
	s_or_b32 exec_lo, exec_lo, s15
.LBB309_1746:                           ;   in Loop: Header=BB309_1567 Depth=1
	s_wait_alu 0xfffe
	s_or_b32 exec_lo, exec_lo, s14
.LBB309_1747:                           ;   in Loop: Header=BB309_1567 Depth=1
	s_wait_alu 0xfffe
	s_or_b32 exec_lo, exec_lo, s13
	v_lshrrev_b32_e32 v0, 16, v10
	s_mov_b32 s13, exec_lo
	s_delay_alu instid0(VALU_DEP_1) | instskip(NEXT) | instid1(VALU_DEP_1)
	v_and_b32_e32 v98, 0xff, v0
	v_cmpx_ne_u16_e32 0, v98
	s_cbranch_execz .LBB309_1755
; %bb.1748:                             ;   in Loop: Header=BB309_1567 Depth=1
	v_mov_b32_e32 v32, 0x8000
	s_mov_b32 s14, exec_lo
	v_cmpx_ne_u16_e32 0x80, v98
	s_cbranch_execz .LBB309_1754
; %bb.1749:                             ;   in Loop: Header=BB309_1567 Depth=1
	v_bfe_u32 v99, v10, 16, 7
	v_mov_b32_e32 v32, 0x7c01
	s_mov_b32 s15, exec_lo
	s_delay_alu instid0(VALU_DEP_2)
	v_cmpx_ne_u32_e32 0x7f, v99
	s_cbranch_execz .LBB309_1753
; %bb.1750:                             ;   in Loop: Header=BB309_1567 Depth=1
	v_and_b32_e32 v32, 7, v0
	v_lshrrev_b32_e32 v98, 3, v99
	s_mov_b32 s16, exec_lo
	v_cmpx_gt_u32_e32 8, v99
; %bb.1751:                             ;   in Loop: Header=BB309_1567 Depth=1
	s_delay_alu instid0(VALU_DEP_3) | instskip(NEXT) | instid1(VALU_DEP_1)
	v_clz_i32_u32_e32 v6, v32
	v_min_u32_e32 v6, 32, v6
	s_delay_alu instid0(VALU_DEP_1) | instskip(SKIP_1) | instid1(VALU_DEP_2)
	v_subrev_nc_u32_e32 v32, 28, v6
	v_sub_nc_u32_e32 v98, 29, v6
	v_lshlrev_b64_e32 v[99:100], v32, v[0:1]
	s_delay_alu instid0(VALU_DEP_1)
	v_and_b32_e32 v32, 7, v99
; %bb.1752:                             ;   in Loop: Header=BB309_1567 Depth=1
	s_wait_alu 0xfffe
	s_or_b32 exec_lo, exec_lo, s16
	v_lshlrev_b32_e32 v0, 8, v0
	v_lshl_add_u32 v6, v98, 10, 0x2000
	v_lshlrev_b32_e32 v32, 7, v32
	s_delay_alu instid0(VALU_DEP_3) | instskip(NEXT) | instid1(VALU_DEP_3)
	v_and_b32_e32 v0, 0x8000, v0
	v_and_b32_e32 v6, 0xfc00, v6
	s_delay_alu instid0(VALU_DEP_1)
	v_or3_b32 v32, v0, v6, v32
.LBB309_1753:                           ;   in Loop: Header=BB309_1567 Depth=1
	s_wait_alu 0xfffe
	s_or_b32 exec_lo, exec_lo, s15
.LBB309_1754:                           ;   in Loop: Header=BB309_1567 Depth=1
	s_wait_alu 0xfffe
	s_or_b32 exec_lo, exec_lo, s14
.LBB309_1755:                           ;   in Loop: Header=BB309_1567 Depth=1
	s_wait_alu 0xfffe
	s_or_b32 exec_lo, exec_lo, s13
	v_cmp_lt_u64_e64 s0, s[8:9], v[9:10]
	v_mov_b32_e32 v9, 0
	s_and_saveexec_b32 s13, s0
	s_cbranch_execz .LBB309_1763
; %bb.1756:                             ;   in Loop: Header=BB309_1567 Depth=1
	v_lshrrev_b32_e32 v0, 24, v10
	v_bfrev_b32_e32 v9, 1
	s_mov_b32 s14, exec_lo
	s_delay_alu instid0(VALU_DEP_2)
	v_cmpx_ne_u32_e32 0x80, v0
	s_cbranch_execz .LBB309_1762
; %bb.1757:                             ;   in Loop: Header=BB309_1567 Depth=1
	v_and_b32_e32 v98, 0x7f, v0
	v_mov_b32_e32 v9, 0x7c010000
	s_mov_b32 s15, exec_lo
	s_delay_alu instid0(VALU_DEP_2)
	v_cmpx_ne_u32_e32 0x7f, v98
	s_cbranch_execz .LBB309_1761
; %bb.1758:                             ;   in Loop: Header=BB309_1567 Depth=1
	v_and_b32_e32 v9, 7, v0
	v_lshrrev_b32_e32 v10, 3, v98
	s_mov_b32 s16, exec_lo
	v_cmpx_gt_u32_e32 8, v98
; %bb.1759:                             ;   in Loop: Header=BB309_1567 Depth=1
	s_delay_alu instid0(VALU_DEP_3) | instskip(NEXT) | instid1(VALU_DEP_1)
	v_clz_i32_u32_e32 v6, v9
	v_min_u32_e32 v6, 32, v6
	s_delay_alu instid0(VALU_DEP_1) | instskip(NEXT) | instid1(VALU_DEP_1)
	v_subrev_nc_u32_e32 v9, 28, v6
	v_lshlrev_b64_e32 v[9:10], v9, v[0:1]
	v_sub_nc_u32_e32 v10, 29, v6
	s_delay_alu instid0(VALU_DEP_2)
	v_and_b32_e32 v9, 7, v9
; %bb.1760:                             ;   in Loop: Header=BB309_1567 Depth=1
	s_wait_alu 0xfffe
	s_or_b32 exec_lo, exec_lo, s16
	v_lshlrev_b32_e32 v0, 8, v0
	v_lshl_add_u32 v6, v10, 10, 0x2000
	s_delay_alu instid0(VALU_DEP_1) | instskip(SKIP_1) | instid1(VALU_DEP_1)
	v_and_or_b32 v0, 0x8000, v0, v6
	v_lshlrev_b32_e32 v6, 23, v9
	v_lshl_or_b32 v9, v0, 16, v6
.LBB309_1761:                           ;   in Loop: Header=BB309_1567 Depth=1
	s_wait_alu 0xfffe
	s_or_b32 exec_lo, exec_lo, s15
.LBB309_1762:                           ;   in Loop: Header=BB309_1567 Depth=1
	s_wait_alu 0xfffe
	s_or_b32 exec_lo, exec_lo, s14
.LBB309_1763:                           ;   in Loop: Header=BB309_1567 Depth=1
	s_wait_alu 0xfffe
	s_or_b32 exec_lo, exec_lo, s13
	v_or_b32_e32 v0, v22, v23
	s_wait_loadcnt_dscnt 0x0
	v_fma_mixlo_f16 v6, v4, v22, 0 op_sel:[0,1,0] op_sel_hi:[0,1,0]
	v_or_b32_e32 v10, v5, v12
	v_or_b32_e32 v22, v97, v34
	;; [unrolled: 1-line block ×3, first 2 shown]
	v_fma_mixlo_f16 v5, v4, v5, 0 op_sel:[0,1,0] op_sel_hi:[0,1,0]
	v_fma_mixlo_f16 v23, v4, v0, 0 op_sel_hi:[0,1,0]
	v_lshlrev_b32_e32 v0, 16, v6
	v_fma_mixlo_f16 v6, v4, v10, 0 op_sel_hi:[0,1,0]
	v_fma_mixlo_f16 v10, v4, v97, 0 op_sel:[0,1,0] op_sel_hi:[0,1,0]
	v_fma_mixlo_f16 v22, v4, v22, 0 op_sel_hi:[0,1,0]
	v_fma_mixlo_f16 v34, v4, v9, 0 op_sel:[0,1,0] op_sel_hi:[0,1,0]
	v_fma_mixlo_f16 v32, v4, v32, 0 op_sel_hi:[0,1,0]
	v_lshlrev_b32_e32 v12, 16, v5
	v_and_b32_e32 v5, 0xffff, v23
	v_and_b32_e32 v98, 0xffff, v6
	v_lshlrev_b32_e32 v9, 16, v10
	v_and_b32_e32 v23, 0xffff, v22
	v_lshlrev_b32_e32 v4, 16, v34
	v_and_b32_e32 v10, 0xffff, v32
	v_or_b32_e32 v22, v0, v5
	v_or_b32_e32 v97, v12, v98
	;; [unrolled: 1-line block ×3, first 2 shown]
	s_delay_alu instid0(VALU_DEP_4)
	v_or_b32_e32 v32, v4, v10
	s_and_saveexec_b32 s13, vcc_lo
	s_cbranch_execz .LBB309_1765
; %bb.1764:                             ;   in Loop: Header=BB309_1567 Depth=1
	v_cmp_lt_i32_e64 s0, v17, v33
	s_wait_alu 0xf1ff
	s_delay_alu instid0(VALU_DEP_1) | instskip(SKIP_2) | instid1(VALU_DEP_1)
	v_cndmask_b32_e64 v6, 0, v98, s0
	v_cmp_lt_i32_e64 s0, v86, v33
	s_wait_alu 0xf1ff
	v_cndmask_b32_e64 v12, 0, v12, s0
	v_cmp_lt_i32_e64 s0, v85, v33
	s_delay_alu instid0(VALU_DEP_2) | instskip(SKIP_1) | instid1(VALU_DEP_2)
	v_or_b32_e32 v97, v6, v12
	s_wait_alu 0xf1ff
	v_cndmask_b32_e64 v5, 0, v5, s0
	v_cmp_lt_i32_e64 s0, v84, v33
	s_wait_alu 0xf1ff
	s_delay_alu instid0(VALU_DEP_1) | instskip(SKIP_1) | instid1(VALU_DEP_2)
	v_cndmask_b32_e64 v0, 0, v0, s0
	v_cmp_lt_i32_e64 s0, v83, v33
	v_or_b32_e32 v22, v5, v0
	s_wait_alu 0xf1ff
	s_delay_alu instid0(VALU_DEP_2) | instskip(SKIP_2) | instid1(VALU_DEP_1)
	v_cndmask_b32_e64 v23, 0, v23, s0
	v_cmp_lt_i32_e64 s0, v82, v33
	s_wait_alu 0xf1ff
	v_cndmask_b32_e64 v9, 0, v9, s0
	v_cmp_lt_i32_e64 s0, v81, v33
	s_delay_alu instid0(VALU_DEP_2) | instskip(SKIP_1) | instid1(VALU_DEP_2)
	v_or_b32_e32 v34, v23, v9
	s_wait_alu 0xf1ff
	v_cndmask_b32_e64 v10, 0, v10, s0
	v_cmp_lt_i32_e64 s0, v80, v33
	s_wait_alu 0xf1ff
	s_delay_alu instid0(VALU_DEP_1) | instskip(NEXT) | instid1(VALU_DEP_1)
	v_cndmask_b32_e64 v4, 0, v4, s0
	v_or_b32_e32 v32, v10, v4
.LBB309_1765:                           ;   in Loop: Header=BB309_1567 Depth=1
	s_wait_alu 0xfffe
	s_or_b32 exec_lo, exec_lo, s13
	;;#ASMSTART
	v_pk_mul_f16 v0, v69, v97;

	;;#ASMEND
	;;#ASMSTART
	v_pk_mul_f16 v4, v37, v22;

	;;#ASMEND
	;;#ASMSTART
	v_pk_mul_f16 v5, v36, v34;

	;;#ASMEND
	;;#ASMSTART
	v_pk_mul_f16 v6, v35, v32;

	;;#ASMEND
	;;#ASMSTART
	v_pk_add_f16 v0, v0, v4;

	;;#ASMEND
	;;#ASMSTART
	v_pk_add_f16 v0, v0, v5;

	;;#ASMEND
	;; [unrolled: 4-line block ×3, first 2 shown]
	v_dual_mov_b32 v5, 0 :: v_dual_and_b32 v4, 0xffff, v0
	v_lshrrev_b32_e32 v0, 16, v0
	;;#ASMSTART
	v_cvt_f32_f16 v97, v4;
	;;#ASMEND
	;;#ASMSTART
	v_cvt_f32_f16 v98, v0;
	;;#ASMEND
	flat_load_b64 v[9:10], v[7:8] offset:768
	flat_load_b32 v4, v[26:27]
	v_mov_b32_e32 v12, 0
	s_mov_b32 s13, exec_lo
	s_wait_loadcnt_dscnt 0x101
	v_and_b32_e32 v0, 0xff, v9
	s_delay_alu instid0(VALU_DEP_1)
	v_cmpx_ne_u16_e32 0, v0
	s_cbranch_execz .LBB309_1773
; %bb.1766:                             ;   in Loop: Header=BB309_1567 Depth=1
	v_mov_b32_e32 v12, 0x8000
	s_mov_b32 s14, exec_lo
	v_cmpx_ne_u16_e32 0x80, v0
	s_cbranch_execz .LBB309_1772
; %bb.1767:                             ;   in Loop: Header=BB309_1567 Depth=1
	v_and_b32_e32 v22, 0x7f, v9
	v_mov_b32_e32 v12, 0x7c01
	s_mov_b32 s15, exec_lo
	s_delay_alu instid0(VALU_DEP_2)
	v_cmpx_ne_u32_e32 0x7f, v22
	s_cbranch_execz .LBB309_1771
; %bb.1768:                             ;   in Loop: Header=BB309_1567 Depth=1
	v_and_b32_e32 v0, 7, v9
	v_lshrrev_b32_e32 v12, 3, v22
	s_mov_b32 s16, exec_lo
	v_cmpx_gt_u32_e32 8, v22
; %bb.1769:                             ;   in Loop: Header=BB309_1567 Depth=1
	s_delay_alu instid0(VALU_DEP_3) | instskip(NEXT) | instid1(VALU_DEP_1)
	v_clz_i32_u32_e32 v0, v0
	v_min_u32_e32 v0, 32, v0
	s_delay_alu instid0(VALU_DEP_1) | instskip(SKIP_1) | instid1(VALU_DEP_2)
	v_subrev_nc_u32_e32 v6, 28, v0
	v_sub_nc_u32_e32 v12, 29, v0
	v_lshlrev_b64_e32 v[22:23], v6, v[9:10]
	s_delay_alu instid0(VALU_DEP_1)
	v_and_b32_e32 v0, 7, v22
; %bb.1770:                             ;   in Loop: Header=BB309_1567 Depth=1
	s_wait_alu 0xfffe
	s_or_b32 exec_lo, exec_lo, s16
	v_lshlrev_b32_e32 v6, 8, v9
	v_lshl_add_u32 v12, v12, 10, 0x2000
	v_lshlrev_b32_e32 v0, 7, v0
	s_delay_alu instid0(VALU_DEP_3) | instskip(NEXT) | instid1(VALU_DEP_3)
	v_and_b32_e32 v6, 0x8000, v6
	v_and_b32_e32 v12, 0xfc00, v12
	s_delay_alu instid0(VALU_DEP_1)
	v_or3_b32 v12, v6, v12, v0
.LBB309_1771:                           ;   in Loop: Header=BB309_1567 Depth=1
	s_wait_alu 0xfffe
	s_or_b32 exec_lo, exec_lo, s15
.LBB309_1772:                           ;   in Loop: Header=BB309_1567 Depth=1
	s_wait_alu 0xfffe
	s_or_b32 exec_lo, exec_lo, s14
.LBB309_1773:                           ;   in Loop: Header=BB309_1567 Depth=1
	s_wait_alu 0xfffe
	s_or_b32 exec_lo, exec_lo, s13
	v_lshrrev_b16 v0, 8, v9
	s_mov_b32 s13, exec_lo
	s_delay_alu instid0(VALU_DEP_1)
	v_cmpx_ne_u16_e32 0, v0
	s_cbranch_execz .LBB309_1781
; %bb.1774:                             ;   in Loop: Header=BB309_1567 Depth=1
	v_bfrev_b32_e32 v5, 1
	s_mov_b32 s14, exec_lo
	v_cmpx_ne_u16_e32 0x80, v0
	s_cbranch_execz .LBB309_1780
; %bb.1775:                             ;   in Loop: Header=BB309_1567 Depth=1
	v_and_b32_e32 v22, 0xffff, v0
	v_mov_b32_e32 v5, 0x7c010000
	s_mov_b32 s15, exec_lo
	s_delay_alu instid0(VALU_DEP_2) | instskip(NEXT) | instid1(VALU_DEP_1)
	v_and_b32_e32 v32, 0x7f, v22
	v_cmpx_ne_u32_e32 0x7f, v32
	s_cbranch_execz .LBB309_1779
; %bb.1776:                             ;   in Loop: Header=BB309_1567 Depth=1
	v_and_b32_e32 v5, 7, v22
	v_lshrrev_b32_e32 v23, 3, v32
	s_mov_b32 s16, exec_lo
	v_cmpx_gt_u32_e32 8, v32
; %bb.1777:                             ;   in Loop: Header=BB309_1567 Depth=1
	s_delay_alu instid0(VALU_DEP_3) | instskip(NEXT) | instid1(VALU_DEP_1)
	v_clz_i32_u32_e32 v5, v5
	v_min_u32_e32 v23, 32, v5
	s_delay_alu instid0(VALU_DEP_1) | instskip(SKIP_1) | instid1(VALU_DEP_2)
	v_subrev_nc_u32_e32 v5, 28, v23
	v_sub_nc_u32_e32 v23, 29, v23
	v_lshlrev_b64_e32 v[5:6], v5, v[0:1]
	s_delay_alu instid0(VALU_DEP_1)
	v_and_b32_e32 v5, 7, v5
; %bb.1778:                             ;   in Loop: Header=BB309_1567 Depth=1
	s_wait_alu 0xfffe
	s_or_b32 exec_lo, exec_lo, s16
	v_lshlrev_b32_e32 v0, 8, v22
	v_lshl_add_u32 v6, v23, 10, 0x2000
	v_lshlrev_b32_e32 v5, 23, v5
	s_delay_alu instid0(VALU_DEP_2) | instskip(NEXT) | instid1(VALU_DEP_1)
	v_and_or_b32 v0, 0x8000, v0, v6
	v_lshl_or_b32 v5, v0, 16, v5
.LBB309_1779:                           ;   in Loop: Header=BB309_1567 Depth=1
	s_wait_alu 0xfffe
	s_or_b32 exec_lo, exec_lo, s15
.LBB309_1780:                           ;   in Loop: Header=BB309_1567 Depth=1
	s_wait_alu 0xfffe
	s_or_b32 exec_lo, exec_lo, s14
.LBB309_1781:                           ;   in Loop: Header=BB309_1567 Depth=1
	s_wait_alu 0xfffe
	s_or_b32 exec_lo, exec_lo, s13
	v_lshrrev_b32_e32 v0, 16, v9
	v_mov_b32_e32 v22, 0
	s_mov_b32 s13, exec_lo
	s_delay_alu instid0(VALU_DEP_2) | instskip(NEXT) | instid1(VALU_DEP_1)
	v_dual_mov_b32 v23, 0 :: v_dual_and_b32 v32, 0xff, v0
	v_cmpx_ne_u16_e32 0, v32
	s_cbranch_execz .LBB309_1789
; %bb.1782:                             ;   in Loop: Header=BB309_1567 Depth=1
	v_mov_b32_e32 v23, 0x8000
	s_mov_b32 s14, exec_lo
	v_cmpx_ne_u16_e32 0x80, v32
	s_cbranch_execz .LBB309_1788
; %bb.1783:                             ;   in Loop: Header=BB309_1567 Depth=1
	v_bfe_u32 v34, v9, 16, 7
	v_mov_b32_e32 v23, 0x7c01
	s_mov_b32 s15, exec_lo
	s_delay_alu instid0(VALU_DEP_2)
	v_cmpx_ne_u32_e32 0x7f, v34
	s_cbranch_execz .LBB309_1787
; %bb.1784:                             ;   in Loop: Header=BB309_1567 Depth=1
	v_and_b32_e32 v23, 7, v0
	v_lshrrev_b32_e32 v32, 3, v34
	s_mov_b32 s16, exec_lo
	v_cmpx_gt_u32_e32 8, v34
; %bb.1785:                             ;   in Loop: Header=BB309_1567 Depth=1
	s_delay_alu instid0(VALU_DEP_3) | instskip(NEXT) | instid1(VALU_DEP_1)
	v_clz_i32_u32_e32 v6, v23
	v_min_u32_e32 v6, 32, v6
	s_delay_alu instid0(VALU_DEP_1) | instskip(SKIP_1) | instid1(VALU_DEP_2)
	v_subrev_nc_u32_e32 v23, 28, v6
	v_sub_nc_u32_e32 v32, 29, v6
	v_lshlrev_b64_e32 v[99:100], v23, v[0:1]
	s_delay_alu instid0(VALU_DEP_1)
	v_and_b32_e32 v23, 7, v99
; %bb.1786:                             ;   in Loop: Header=BB309_1567 Depth=1
	s_wait_alu 0xfffe
	s_or_b32 exec_lo, exec_lo, s16
	v_lshlrev_b32_e32 v0, 8, v0
	v_lshl_add_u32 v6, v32, 10, 0x2000
	v_lshlrev_b32_e32 v23, 7, v23
	s_delay_alu instid0(VALU_DEP_3) | instskip(NEXT) | instid1(VALU_DEP_3)
	v_and_b32_e32 v0, 0x8000, v0
	v_and_b32_e32 v6, 0xfc00, v6
	s_delay_alu instid0(VALU_DEP_1)
	v_or3_b32 v23, v0, v6, v23
.LBB309_1787:                           ;   in Loop: Header=BB309_1567 Depth=1
	s_wait_alu 0xfffe
	s_or_b32 exec_lo, exec_lo, s15
.LBB309_1788:                           ;   in Loop: Header=BB309_1567 Depth=1
	s_wait_alu 0xfffe
	s_or_b32 exec_lo, exec_lo, s14
.LBB309_1789:                           ;   in Loop: Header=BB309_1567 Depth=1
	s_wait_alu 0xfffe
	s_or_b32 exec_lo, exec_lo, s13
	s_delay_alu instid0(SALU_CYCLE_1)
	s_mov_b32 s13, exec_lo
	v_cmpx_lt_u32_e32 0xffffff, v9
	s_cbranch_execz .LBB309_1797
; %bb.1790:                             ;   in Loop: Header=BB309_1567 Depth=1
	v_lshrrev_b32_e32 v0, 24, v9
	v_bfrev_b32_e32 v22, 1
	s_mov_b32 s14, exec_lo
	s_delay_alu instid0(VALU_DEP_2)
	v_cmpx_ne_u32_e32 0x80, v0
	s_cbranch_execz .LBB309_1796
; %bb.1791:                             ;   in Loop: Header=BB309_1567 Depth=1
	v_and_b32_e32 v34, 0x7f, v0
	v_mov_b32_e32 v22, 0x7c010000
	s_mov_b32 s15, exec_lo
	s_delay_alu instid0(VALU_DEP_2)
	v_cmpx_ne_u32_e32 0x7f, v34
	s_cbranch_execz .LBB309_1795
; %bb.1792:                             ;   in Loop: Header=BB309_1567 Depth=1
	v_and_b32_e32 v22, 7, v0
	v_lshrrev_b32_e32 v32, 3, v34
	s_mov_b32 s16, exec_lo
	v_cmpx_gt_u32_e32 8, v34
; %bb.1793:                             ;   in Loop: Header=BB309_1567 Depth=1
	s_delay_alu instid0(VALU_DEP_3) | instskip(NEXT) | instid1(VALU_DEP_1)
	v_clz_i32_u32_e32 v6, v22
	v_min_u32_e32 v6, 32, v6
	s_delay_alu instid0(VALU_DEP_1) | instskip(SKIP_1) | instid1(VALU_DEP_2)
	v_subrev_nc_u32_e32 v22, 28, v6
	v_sub_nc_u32_e32 v32, 29, v6
	v_lshlrev_b64_e32 v[99:100], v22, v[0:1]
	s_delay_alu instid0(VALU_DEP_1)
	v_and_b32_e32 v22, 7, v99
; %bb.1794:                             ;   in Loop: Header=BB309_1567 Depth=1
	s_wait_alu 0xfffe
	s_or_b32 exec_lo, exec_lo, s16
	v_lshlrev_b32_e32 v0, 8, v0
	v_lshl_add_u32 v6, v32, 10, 0x2000
	s_delay_alu instid0(VALU_DEP_1) | instskip(SKIP_1) | instid1(VALU_DEP_1)
	v_and_or_b32 v0, 0x8000, v0, v6
	v_lshlrev_b32_e32 v6, 23, v22
	v_lshl_or_b32 v22, v0, 16, v6
.LBB309_1795:                           ;   in Loop: Header=BB309_1567 Depth=1
	s_wait_alu 0xfffe
	s_or_b32 exec_lo, exec_lo, s15
.LBB309_1796:                           ;   in Loop: Header=BB309_1567 Depth=1
	s_wait_alu 0xfffe
	s_or_b32 exec_lo, exec_lo, s14
.LBB309_1797:                           ;   in Loop: Header=BB309_1567 Depth=1
	s_wait_alu 0xfffe
	s_or_b32 exec_lo, exec_lo, s13
	v_dual_mov_b32 v0, v10 :: v_dual_and_b32 v99, 0xff, v10
	v_mov_b32_e32 v32, 0
	v_mov_b32_e32 v34, 0
	s_mov_b32 s13, exec_lo
	s_delay_alu instid0(VALU_DEP_3)
	v_cmpx_ne_u16_e32 0, v99
	s_cbranch_execz .LBB309_1805
; %bb.1798:                             ;   in Loop: Header=BB309_1567 Depth=1
	v_mov_b32_e32 v34, 0x8000
	s_mov_b32 s14, exec_lo
	v_cmpx_ne_u16_e32 0x80, v99
	s_cbranch_execz .LBB309_1804
; %bb.1799:                             ;   in Loop: Header=BB309_1567 Depth=1
	v_and_b32_e32 v100, 0x7f, v10
	v_mov_b32_e32 v34, 0x7c01
	s_mov_b32 s15, exec_lo
	s_delay_alu instid0(VALU_DEP_2)
	v_cmpx_ne_u32_e32 0x7f, v100
	s_cbranch_execz .LBB309_1803
; %bb.1800:                             ;   in Loop: Header=BB309_1567 Depth=1
	v_and_b32_e32 v34, 7, v10
	v_lshrrev_b32_e32 v99, 3, v100
	s_mov_b32 s16, exec_lo
	v_cmpx_gt_u32_e32 8, v100
; %bb.1801:                             ;   in Loop: Header=BB309_1567 Depth=1
	s_delay_alu instid0(VALU_DEP_3) | instskip(NEXT) | instid1(VALU_DEP_1)
	v_clz_i32_u32_e32 v6, v34
	v_min_u32_e32 v6, 32, v6
	s_delay_alu instid0(VALU_DEP_1) | instskip(SKIP_1) | instid1(VALU_DEP_2)
	v_subrev_nc_u32_e32 v34, 28, v6
	v_sub_nc_u32_e32 v99, 29, v6
	v_lshlrev_b64_e32 v[100:101], v34, v[0:1]
	s_delay_alu instid0(VALU_DEP_1)
	v_and_b32_e32 v34, 7, v100
; %bb.1802:                             ;   in Loop: Header=BB309_1567 Depth=1
	s_wait_alu 0xfffe
	s_or_b32 exec_lo, exec_lo, s16
	v_lshlrev_b32_e32 v6, 8, v10
	v_lshl_add_u32 v99, v99, 10, 0x2000
	v_lshlrev_b32_e32 v34, 7, v34
	s_delay_alu instid0(VALU_DEP_3) | instskip(NEXT) | instid1(VALU_DEP_3)
	v_and_b32_e32 v6, 0x8000, v6
	v_and_b32_e32 v99, 0xfc00, v99
	s_delay_alu instid0(VALU_DEP_1)
	v_or3_b32 v34, v6, v99, v34
.LBB309_1803:                           ;   in Loop: Header=BB309_1567 Depth=1
	s_wait_alu 0xfffe
	s_or_b32 exec_lo, exec_lo, s15
.LBB309_1804:                           ;   in Loop: Header=BB309_1567 Depth=1
	s_wait_alu 0xfffe
	s_or_b32 exec_lo, exec_lo, s14
.LBB309_1805:                           ;   in Loop: Header=BB309_1567 Depth=1
	s_wait_alu 0xfffe
	s_or_b32 exec_lo, exec_lo, s13
	v_lshrrev_b16 v0, 8, v0
	v_mov_b32_e32 v99, 0
	s_mov_b32 s13, exec_lo
	s_delay_alu instid0(VALU_DEP_2)
	v_cmpx_ne_u16_e32 0, v0
	s_cbranch_execz .LBB309_1813
; %bb.1806:                             ;   in Loop: Header=BB309_1567 Depth=1
	v_bfrev_b32_e32 v99, 1
	s_mov_b32 s14, exec_lo
	v_cmpx_ne_u16_e32 0x80, v0
	s_cbranch_execz .LBB309_1812
; %bb.1807:                             ;   in Loop: Header=BB309_1567 Depth=1
	v_and_b32_e32 v100, 0xffff, v0
	v_mov_b32_e32 v99, 0x7c010000
	s_mov_b32 s15, exec_lo
	s_delay_alu instid0(VALU_DEP_2) | instskip(NEXT) | instid1(VALU_DEP_1)
	v_and_b32_e32 v102, 0x7f, v100
	v_cmpx_ne_u32_e32 0x7f, v102
	s_cbranch_execz .LBB309_1811
; %bb.1808:                             ;   in Loop: Header=BB309_1567 Depth=1
	v_and_b32_e32 v99, 7, v100
	v_lshrrev_b32_e32 v101, 3, v102
	s_mov_b32 s16, exec_lo
	v_cmpx_gt_u32_e32 8, v102
; %bb.1809:                             ;   in Loop: Header=BB309_1567 Depth=1
	s_delay_alu instid0(VALU_DEP_3) | instskip(NEXT) | instid1(VALU_DEP_1)
	v_clz_i32_u32_e32 v6, v99
	v_min_u32_e32 v6, 32, v6
	s_delay_alu instid0(VALU_DEP_1) | instskip(SKIP_1) | instid1(VALU_DEP_2)
	v_subrev_nc_u32_e32 v99, 28, v6
	v_sub_nc_u32_e32 v101, 29, v6
	v_lshlrev_b64_e32 v[102:103], v99, v[0:1]
	s_delay_alu instid0(VALU_DEP_1)
	v_and_b32_e32 v99, 7, v102
; %bb.1810:                             ;   in Loop: Header=BB309_1567 Depth=1
	s_wait_alu 0xfffe
	s_or_b32 exec_lo, exec_lo, s16
	v_lshlrev_b32_e32 v0, 8, v100
	v_lshl_add_u32 v6, v101, 10, 0x2000
	s_delay_alu instid0(VALU_DEP_1) | instskip(SKIP_1) | instid1(VALU_DEP_1)
	v_and_or_b32 v0, 0x8000, v0, v6
	v_lshlrev_b32_e32 v6, 23, v99
	v_lshl_or_b32 v99, v0, 16, v6
.LBB309_1811:                           ;   in Loop: Header=BB309_1567 Depth=1
	s_wait_alu 0xfffe
	s_or_b32 exec_lo, exec_lo, s15
.LBB309_1812:                           ;   in Loop: Header=BB309_1567 Depth=1
	s_wait_alu 0xfffe
	s_or_b32 exec_lo, exec_lo, s14
.LBB309_1813:                           ;   in Loop: Header=BB309_1567 Depth=1
	s_wait_alu 0xfffe
	s_or_b32 exec_lo, exec_lo, s13
	v_lshrrev_b32_e32 v0, 16, v10
	s_mov_b32 s13, exec_lo
	s_delay_alu instid0(VALU_DEP_1) | instskip(NEXT) | instid1(VALU_DEP_1)
	v_and_b32_e32 v100, 0xff, v0
	v_cmpx_ne_u16_e32 0, v100
	s_cbranch_execz .LBB309_1821
; %bb.1814:                             ;   in Loop: Header=BB309_1567 Depth=1
	v_mov_b32_e32 v32, 0x8000
	s_mov_b32 s14, exec_lo
	v_cmpx_ne_u16_e32 0x80, v100
	s_cbranch_execz .LBB309_1820
; %bb.1815:                             ;   in Loop: Header=BB309_1567 Depth=1
	v_bfe_u32 v101, v10, 16, 7
	v_mov_b32_e32 v32, 0x7c01
	s_mov_b32 s15, exec_lo
	s_delay_alu instid0(VALU_DEP_2)
	v_cmpx_ne_u32_e32 0x7f, v101
	s_cbranch_execz .LBB309_1819
; %bb.1816:                             ;   in Loop: Header=BB309_1567 Depth=1
	v_and_b32_e32 v32, 7, v0
	v_lshrrev_b32_e32 v100, 3, v101
	s_mov_b32 s16, exec_lo
	v_cmpx_gt_u32_e32 8, v101
; %bb.1817:                             ;   in Loop: Header=BB309_1567 Depth=1
	s_delay_alu instid0(VALU_DEP_3) | instskip(NEXT) | instid1(VALU_DEP_1)
	v_clz_i32_u32_e32 v6, v32
	v_min_u32_e32 v6, 32, v6
	s_delay_alu instid0(VALU_DEP_1) | instskip(SKIP_1) | instid1(VALU_DEP_2)
	v_subrev_nc_u32_e32 v32, 28, v6
	v_sub_nc_u32_e32 v100, 29, v6
	v_lshlrev_b64_e32 v[101:102], v32, v[0:1]
	s_delay_alu instid0(VALU_DEP_1)
	v_and_b32_e32 v32, 7, v101
; %bb.1818:                             ;   in Loop: Header=BB309_1567 Depth=1
	s_wait_alu 0xfffe
	s_or_b32 exec_lo, exec_lo, s16
	v_lshlrev_b32_e32 v0, 8, v0
	v_lshl_add_u32 v6, v100, 10, 0x2000
	v_lshlrev_b32_e32 v32, 7, v32
	s_delay_alu instid0(VALU_DEP_3) | instskip(NEXT) | instid1(VALU_DEP_3)
	v_and_b32_e32 v0, 0x8000, v0
	v_and_b32_e32 v6, 0xfc00, v6
	s_delay_alu instid0(VALU_DEP_1)
	v_or3_b32 v32, v0, v6, v32
.LBB309_1819:                           ;   in Loop: Header=BB309_1567 Depth=1
	s_wait_alu 0xfffe
	s_or_b32 exec_lo, exec_lo, s15
.LBB309_1820:                           ;   in Loop: Header=BB309_1567 Depth=1
	s_wait_alu 0xfffe
	s_or_b32 exec_lo, exec_lo, s14
.LBB309_1821:                           ;   in Loop: Header=BB309_1567 Depth=1
	s_wait_alu 0xfffe
	s_or_b32 exec_lo, exec_lo, s13
	v_cmp_lt_u64_e64 s0, s[8:9], v[9:10]
	v_mov_b32_e32 v9, 0
	s_and_saveexec_b32 s13, s0
	s_cbranch_execz .LBB309_1829
; %bb.1822:                             ;   in Loop: Header=BB309_1567 Depth=1
	v_lshrrev_b32_e32 v0, 24, v10
	v_bfrev_b32_e32 v9, 1
	s_mov_b32 s14, exec_lo
	s_delay_alu instid0(VALU_DEP_2)
	v_cmpx_ne_u32_e32 0x80, v0
	s_cbranch_execz .LBB309_1828
; %bb.1823:                             ;   in Loop: Header=BB309_1567 Depth=1
	v_and_b32_e32 v100, 0x7f, v0
	v_mov_b32_e32 v9, 0x7c010000
	s_mov_b32 s15, exec_lo
	s_delay_alu instid0(VALU_DEP_2)
	v_cmpx_ne_u32_e32 0x7f, v100
	s_cbranch_execz .LBB309_1827
; %bb.1824:                             ;   in Loop: Header=BB309_1567 Depth=1
	v_and_b32_e32 v9, 7, v0
	v_lshrrev_b32_e32 v10, 3, v100
	s_mov_b32 s16, exec_lo
	v_cmpx_gt_u32_e32 8, v100
; %bb.1825:                             ;   in Loop: Header=BB309_1567 Depth=1
	s_delay_alu instid0(VALU_DEP_3) | instskip(NEXT) | instid1(VALU_DEP_1)
	v_clz_i32_u32_e32 v6, v9
	v_min_u32_e32 v6, 32, v6
	s_delay_alu instid0(VALU_DEP_1) | instskip(NEXT) | instid1(VALU_DEP_1)
	v_subrev_nc_u32_e32 v9, 28, v6
	v_lshlrev_b64_e32 v[9:10], v9, v[0:1]
	v_sub_nc_u32_e32 v10, 29, v6
	s_delay_alu instid0(VALU_DEP_2)
	v_and_b32_e32 v9, 7, v9
; %bb.1826:                             ;   in Loop: Header=BB309_1567 Depth=1
	s_wait_alu 0xfffe
	s_or_b32 exec_lo, exec_lo, s16
	v_lshlrev_b32_e32 v0, 8, v0
	v_lshl_add_u32 v6, v10, 10, 0x2000
	s_delay_alu instid0(VALU_DEP_1) | instskip(SKIP_1) | instid1(VALU_DEP_1)
	v_and_or_b32 v0, 0x8000, v0, v6
	v_lshlrev_b32_e32 v6, 23, v9
	v_lshl_or_b32 v9, v0, 16, v6
.LBB309_1827:                           ;   in Loop: Header=BB309_1567 Depth=1
	s_wait_alu 0xfffe
	s_or_b32 exec_lo, exec_lo, s15
.LBB309_1828:                           ;   in Loop: Header=BB309_1567 Depth=1
	s_wait_alu 0xfffe
	s_or_b32 exec_lo, exec_lo, s14
.LBB309_1829:                           ;   in Loop: Header=BB309_1567 Depth=1
	s_wait_alu 0xfffe
	s_or_b32 exec_lo, exec_lo, s13
	v_or_b32_e32 v0, v22, v23
	s_wait_loadcnt_dscnt 0x0
	v_fma_mixlo_f16 v6, v4, v22, 0 op_sel:[0,1,0] op_sel_hi:[0,1,0]
	v_or_b32_e32 v10, v5, v12
	v_or_b32_e32 v22, v99, v34
	;; [unrolled: 1-line block ×3, first 2 shown]
	v_fma_mixlo_f16 v5, v4, v5, 0 op_sel:[0,1,0] op_sel_hi:[0,1,0]
	v_fma_mixlo_f16 v23, v4, v0, 0 op_sel_hi:[0,1,0]
	v_lshlrev_b32_e32 v0, 16, v6
	v_fma_mixlo_f16 v6, v4, v10, 0 op_sel_hi:[0,1,0]
	v_fma_mixlo_f16 v10, v4, v99, 0 op_sel:[0,1,0] op_sel_hi:[0,1,0]
	v_fma_mixlo_f16 v22, v4, v22, 0 op_sel_hi:[0,1,0]
	v_fma_mixlo_f16 v34, v4, v9, 0 op_sel:[0,1,0] op_sel_hi:[0,1,0]
	v_fma_mixlo_f16 v32, v4, v32, 0 op_sel_hi:[0,1,0]
	v_lshlrev_b32_e32 v12, 16, v5
	v_and_b32_e32 v5, 0xffff, v23
	v_and_b32_e32 v100, 0xffff, v6
	v_lshlrev_b32_e32 v9, 16, v10
	v_and_b32_e32 v23, 0xffff, v22
	v_lshlrev_b32_e32 v4, 16, v34
	v_and_b32_e32 v10, 0xffff, v32
	v_or_b32_e32 v22, v0, v5
	v_or_b32_e32 v99, v12, v100
	;; [unrolled: 1-line block ×3, first 2 shown]
	s_delay_alu instid0(VALU_DEP_4)
	v_or_b32_e32 v32, v4, v10
	s_and_saveexec_b32 s13, vcc_lo
	s_cbranch_execz .LBB309_1831
; %bb.1830:                             ;   in Loop: Header=BB309_1567 Depth=1
	v_cmp_lt_i32_e64 s0, v17, v33
	s_wait_alu 0xf1ff
	s_delay_alu instid0(VALU_DEP_1) | instskip(SKIP_2) | instid1(VALU_DEP_1)
	v_cndmask_b32_e64 v6, 0, v100, s0
	v_cmp_lt_i32_e64 s0, v86, v33
	s_wait_alu 0xf1ff
	v_cndmask_b32_e64 v12, 0, v12, s0
	v_cmp_lt_i32_e64 s0, v85, v33
	s_delay_alu instid0(VALU_DEP_2) | instskip(SKIP_1) | instid1(VALU_DEP_2)
	v_or_b32_e32 v99, v6, v12
	s_wait_alu 0xf1ff
	v_cndmask_b32_e64 v5, 0, v5, s0
	v_cmp_lt_i32_e64 s0, v84, v33
	s_wait_alu 0xf1ff
	s_delay_alu instid0(VALU_DEP_1) | instskip(SKIP_1) | instid1(VALU_DEP_2)
	v_cndmask_b32_e64 v0, 0, v0, s0
	v_cmp_lt_i32_e64 s0, v83, v33
	v_or_b32_e32 v22, v5, v0
	s_wait_alu 0xf1ff
	s_delay_alu instid0(VALU_DEP_2) | instskip(SKIP_2) | instid1(VALU_DEP_1)
	v_cndmask_b32_e64 v23, 0, v23, s0
	v_cmp_lt_i32_e64 s0, v82, v33
	s_wait_alu 0xf1ff
	v_cndmask_b32_e64 v9, 0, v9, s0
	v_cmp_lt_i32_e64 s0, v81, v33
	s_delay_alu instid0(VALU_DEP_2) | instskip(SKIP_1) | instid1(VALU_DEP_2)
	v_or_b32_e32 v34, v23, v9
	s_wait_alu 0xf1ff
	v_cndmask_b32_e64 v10, 0, v10, s0
	v_cmp_lt_i32_e64 s0, v80, v33
	s_wait_alu 0xf1ff
	s_delay_alu instid0(VALU_DEP_1) | instskip(NEXT) | instid1(VALU_DEP_1)
	v_cndmask_b32_e64 v4, 0, v4, s0
	v_or_b32_e32 v32, v10, v4
.LBB309_1831:                           ;   in Loop: Header=BB309_1567 Depth=1
	s_wait_alu 0xfffe
	s_or_b32 exec_lo, exec_lo, s13
	;;#ASMSTART
	v_pk_mul_f16 v0, v69, v99;

	;;#ASMEND
	;;#ASMSTART
	v_pk_mul_f16 v4, v37, v22;

	;;#ASMEND
	;; [unrolled: 4-line block ×4, first 2 shown]
	;;#ASMSTART
	v_pk_add_f16 v0, v0, v4;

	;;#ASMEND
	;;#ASMSTART
	v_pk_add_f16 v0, v0, v5;

	;;#ASMEND
	;; [unrolled: 4-line block ×3, first 2 shown]
	v_dual_mov_b32 v5, 0 :: v_dual_and_b32 v4, 0xffff, v0
	v_lshrrev_b32_e32 v0, 16, v0
	;;#ASMSTART
	v_cvt_f32_f16 v99, v4;
	;;#ASMEND
	;;#ASMSTART
	v_cvt_f32_f16 v100, v0;
	;;#ASMEND
	flat_load_b64 v[9:10], v[7:8] offset:1024
	flat_load_b32 v4, v[26:27]
	v_mov_b32_e32 v12, 0
	s_mov_b32 s13, exec_lo
	s_wait_loadcnt_dscnt 0x101
	v_and_b32_e32 v0, 0xff, v9
	s_delay_alu instid0(VALU_DEP_1)
	v_cmpx_ne_u16_e32 0, v0
	s_cbranch_execz .LBB309_1839
; %bb.1832:                             ;   in Loop: Header=BB309_1567 Depth=1
	v_mov_b32_e32 v12, 0x8000
	s_mov_b32 s14, exec_lo
	v_cmpx_ne_u16_e32 0x80, v0
	s_cbranch_execz .LBB309_1838
; %bb.1833:                             ;   in Loop: Header=BB309_1567 Depth=1
	v_and_b32_e32 v22, 0x7f, v9
	v_mov_b32_e32 v12, 0x7c01
	s_mov_b32 s15, exec_lo
	s_delay_alu instid0(VALU_DEP_2)
	v_cmpx_ne_u32_e32 0x7f, v22
	s_cbranch_execz .LBB309_1837
; %bb.1834:                             ;   in Loop: Header=BB309_1567 Depth=1
	v_and_b32_e32 v0, 7, v9
	v_lshrrev_b32_e32 v12, 3, v22
	s_mov_b32 s16, exec_lo
	v_cmpx_gt_u32_e32 8, v22
; %bb.1835:                             ;   in Loop: Header=BB309_1567 Depth=1
	s_delay_alu instid0(VALU_DEP_3) | instskip(NEXT) | instid1(VALU_DEP_1)
	v_clz_i32_u32_e32 v0, v0
	v_min_u32_e32 v0, 32, v0
	s_delay_alu instid0(VALU_DEP_1) | instskip(SKIP_1) | instid1(VALU_DEP_2)
	v_subrev_nc_u32_e32 v6, 28, v0
	v_sub_nc_u32_e32 v12, 29, v0
	v_lshlrev_b64_e32 v[22:23], v6, v[9:10]
	s_delay_alu instid0(VALU_DEP_1)
	v_and_b32_e32 v0, 7, v22
; %bb.1836:                             ;   in Loop: Header=BB309_1567 Depth=1
	s_wait_alu 0xfffe
	s_or_b32 exec_lo, exec_lo, s16
	v_lshlrev_b32_e32 v6, 8, v9
	v_lshl_add_u32 v12, v12, 10, 0x2000
	v_lshlrev_b32_e32 v0, 7, v0
	s_delay_alu instid0(VALU_DEP_3) | instskip(NEXT) | instid1(VALU_DEP_3)
	v_and_b32_e32 v6, 0x8000, v6
	v_and_b32_e32 v12, 0xfc00, v12
	s_delay_alu instid0(VALU_DEP_1)
	v_or3_b32 v12, v6, v12, v0
.LBB309_1837:                           ;   in Loop: Header=BB309_1567 Depth=1
	s_wait_alu 0xfffe
	s_or_b32 exec_lo, exec_lo, s15
.LBB309_1838:                           ;   in Loop: Header=BB309_1567 Depth=1
	s_wait_alu 0xfffe
	s_or_b32 exec_lo, exec_lo, s14
.LBB309_1839:                           ;   in Loop: Header=BB309_1567 Depth=1
	s_wait_alu 0xfffe
	s_or_b32 exec_lo, exec_lo, s13
	v_lshrrev_b16 v0, 8, v9
	s_mov_b32 s13, exec_lo
	s_delay_alu instid0(VALU_DEP_1)
	v_cmpx_ne_u16_e32 0, v0
	s_cbranch_execz .LBB309_1847
; %bb.1840:                             ;   in Loop: Header=BB309_1567 Depth=1
	v_bfrev_b32_e32 v5, 1
	s_mov_b32 s14, exec_lo
	v_cmpx_ne_u16_e32 0x80, v0
	s_cbranch_execz .LBB309_1846
; %bb.1841:                             ;   in Loop: Header=BB309_1567 Depth=1
	v_and_b32_e32 v22, 0xffff, v0
	v_mov_b32_e32 v5, 0x7c010000
	s_mov_b32 s15, exec_lo
	s_delay_alu instid0(VALU_DEP_2) | instskip(NEXT) | instid1(VALU_DEP_1)
	v_and_b32_e32 v32, 0x7f, v22
	v_cmpx_ne_u32_e32 0x7f, v32
	s_cbranch_execz .LBB309_1845
; %bb.1842:                             ;   in Loop: Header=BB309_1567 Depth=1
	v_and_b32_e32 v5, 7, v22
	v_lshrrev_b32_e32 v23, 3, v32
	s_mov_b32 s16, exec_lo
	v_cmpx_gt_u32_e32 8, v32
; %bb.1843:                             ;   in Loop: Header=BB309_1567 Depth=1
	s_delay_alu instid0(VALU_DEP_3) | instskip(NEXT) | instid1(VALU_DEP_1)
	v_clz_i32_u32_e32 v5, v5
	v_min_u32_e32 v23, 32, v5
	s_delay_alu instid0(VALU_DEP_1) | instskip(SKIP_1) | instid1(VALU_DEP_2)
	v_subrev_nc_u32_e32 v5, 28, v23
	v_sub_nc_u32_e32 v23, 29, v23
	v_lshlrev_b64_e32 v[5:6], v5, v[0:1]
	s_delay_alu instid0(VALU_DEP_1)
	v_and_b32_e32 v5, 7, v5
; %bb.1844:                             ;   in Loop: Header=BB309_1567 Depth=1
	s_wait_alu 0xfffe
	s_or_b32 exec_lo, exec_lo, s16
	v_lshlrev_b32_e32 v0, 8, v22
	v_lshl_add_u32 v6, v23, 10, 0x2000
	v_lshlrev_b32_e32 v5, 23, v5
	s_delay_alu instid0(VALU_DEP_2) | instskip(NEXT) | instid1(VALU_DEP_1)
	v_and_or_b32 v0, 0x8000, v0, v6
	v_lshl_or_b32 v5, v0, 16, v5
.LBB309_1845:                           ;   in Loop: Header=BB309_1567 Depth=1
	s_wait_alu 0xfffe
	s_or_b32 exec_lo, exec_lo, s15
.LBB309_1846:                           ;   in Loop: Header=BB309_1567 Depth=1
	s_wait_alu 0xfffe
	s_or_b32 exec_lo, exec_lo, s14
.LBB309_1847:                           ;   in Loop: Header=BB309_1567 Depth=1
	s_wait_alu 0xfffe
	s_or_b32 exec_lo, exec_lo, s13
	v_lshrrev_b32_e32 v0, 16, v9
	v_mov_b32_e32 v22, 0
	s_mov_b32 s13, exec_lo
	s_delay_alu instid0(VALU_DEP_2) | instskip(NEXT) | instid1(VALU_DEP_1)
	v_dual_mov_b32 v23, 0 :: v_dual_and_b32 v32, 0xff, v0
	v_cmpx_ne_u16_e32 0, v32
	s_cbranch_execz .LBB309_1855
; %bb.1848:                             ;   in Loop: Header=BB309_1567 Depth=1
	v_mov_b32_e32 v23, 0x8000
	s_mov_b32 s14, exec_lo
	v_cmpx_ne_u16_e32 0x80, v32
	s_cbranch_execz .LBB309_1854
; %bb.1849:                             ;   in Loop: Header=BB309_1567 Depth=1
	v_bfe_u32 v34, v9, 16, 7
	v_mov_b32_e32 v23, 0x7c01
	s_mov_b32 s15, exec_lo
	s_delay_alu instid0(VALU_DEP_2)
	v_cmpx_ne_u32_e32 0x7f, v34
	s_cbranch_execz .LBB309_1853
; %bb.1850:                             ;   in Loop: Header=BB309_1567 Depth=1
	v_and_b32_e32 v23, 7, v0
	v_lshrrev_b32_e32 v32, 3, v34
	s_mov_b32 s16, exec_lo
	v_cmpx_gt_u32_e32 8, v34
; %bb.1851:                             ;   in Loop: Header=BB309_1567 Depth=1
	s_delay_alu instid0(VALU_DEP_3) | instskip(NEXT) | instid1(VALU_DEP_1)
	v_clz_i32_u32_e32 v6, v23
	v_min_u32_e32 v6, 32, v6
	s_delay_alu instid0(VALU_DEP_1) | instskip(SKIP_1) | instid1(VALU_DEP_2)
	v_subrev_nc_u32_e32 v23, 28, v6
	v_sub_nc_u32_e32 v32, 29, v6
	v_lshlrev_b64_e32 v[101:102], v23, v[0:1]
	s_delay_alu instid0(VALU_DEP_1)
	v_and_b32_e32 v23, 7, v101
; %bb.1852:                             ;   in Loop: Header=BB309_1567 Depth=1
	s_wait_alu 0xfffe
	s_or_b32 exec_lo, exec_lo, s16
	v_lshlrev_b32_e32 v0, 8, v0
	v_lshl_add_u32 v6, v32, 10, 0x2000
	v_lshlrev_b32_e32 v23, 7, v23
	s_delay_alu instid0(VALU_DEP_3) | instskip(NEXT) | instid1(VALU_DEP_3)
	v_and_b32_e32 v0, 0x8000, v0
	v_and_b32_e32 v6, 0xfc00, v6
	s_delay_alu instid0(VALU_DEP_1)
	v_or3_b32 v23, v0, v6, v23
.LBB309_1853:                           ;   in Loop: Header=BB309_1567 Depth=1
	s_wait_alu 0xfffe
	s_or_b32 exec_lo, exec_lo, s15
.LBB309_1854:                           ;   in Loop: Header=BB309_1567 Depth=1
	s_wait_alu 0xfffe
	s_or_b32 exec_lo, exec_lo, s14
.LBB309_1855:                           ;   in Loop: Header=BB309_1567 Depth=1
	s_wait_alu 0xfffe
	s_or_b32 exec_lo, exec_lo, s13
	s_delay_alu instid0(SALU_CYCLE_1)
	s_mov_b32 s13, exec_lo
	v_cmpx_lt_u32_e32 0xffffff, v9
	s_cbranch_execz .LBB309_1863
; %bb.1856:                             ;   in Loop: Header=BB309_1567 Depth=1
	v_lshrrev_b32_e32 v0, 24, v9
	v_bfrev_b32_e32 v22, 1
	s_mov_b32 s14, exec_lo
	s_delay_alu instid0(VALU_DEP_2)
	v_cmpx_ne_u32_e32 0x80, v0
	s_cbranch_execz .LBB309_1862
; %bb.1857:                             ;   in Loop: Header=BB309_1567 Depth=1
	v_and_b32_e32 v34, 0x7f, v0
	v_mov_b32_e32 v22, 0x7c010000
	s_mov_b32 s15, exec_lo
	s_delay_alu instid0(VALU_DEP_2)
	v_cmpx_ne_u32_e32 0x7f, v34
	s_cbranch_execz .LBB309_1861
; %bb.1858:                             ;   in Loop: Header=BB309_1567 Depth=1
	v_and_b32_e32 v22, 7, v0
	v_lshrrev_b32_e32 v32, 3, v34
	s_mov_b32 s16, exec_lo
	v_cmpx_gt_u32_e32 8, v34
; %bb.1859:                             ;   in Loop: Header=BB309_1567 Depth=1
	s_delay_alu instid0(VALU_DEP_3) | instskip(NEXT) | instid1(VALU_DEP_1)
	v_clz_i32_u32_e32 v6, v22
	v_min_u32_e32 v6, 32, v6
	s_delay_alu instid0(VALU_DEP_1) | instskip(SKIP_1) | instid1(VALU_DEP_2)
	v_subrev_nc_u32_e32 v22, 28, v6
	v_sub_nc_u32_e32 v32, 29, v6
	v_lshlrev_b64_e32 v[101:102], v22, v[0:1]
	s_delay_alu instid0(VALU_DEP_1)
	v_and_b32_e32 v22, 7, v101
; %bb.1860:                             ;   in Loop: Header=BB309_1567 Depth=1
	s_wait_alu 0xfffe
	s_or_b32 exec_lo, exec_lo, s16
	v_lshlrev_b32_e32 v0, 8, v0
	v_lshl_add_u32 v6, v32, 10, 0x2000
	s_delay_alu instid0(VALU_DEP_1) | instskip(SKIP_1) | instid1(VALU_DEP_1)
	v_and_or_b32 v0, 0x8000, v0, v6
	v_lshlrev_b32_e32 v6, 23, v22
	v_lshl_or_b32 v22, v0, 16, v6
.LBB309_1861:                           ;   in Loop: Header=BB309_1567 Depth=1
	s_wait_alu 0xfffe
	s_or_b32 exec_lo, exec_lo, s15
.LBB309_1862:                           ;   in Loop: Header=BB309_1567 Depth=1
	s_wait_alu 0xfffe
	s_or_b32 exec_lo, exec_lo, s14
.LBB309_1863:                           ;   in Loop: Header=BB309_1567 Depth=1
	s_wait_alu 0xfffe
	s_or_b32 exec_lo, exec_lo, s13
	v_dual_mov_b32 v0, v10 :: v_dual_and_b32 v101, 0xff, v10
	v_mov_b32_e32 v32, 0
	v_mov_b32_e32 v34, 0
	s_mov_b32 s13, exec_lo
	s_delay_alu instid0(VALU_DEP_3)
	v_cmpx_ne_u16_e32 0, v101
	s_cbranch_execz .LBB309_1871
; %bb.1864:                             ;   in Loop: Header=BB309_1567 Depth=1
	v_mov_b32_e32 v34, 0x8000
	s_mov_b32 s14, exec_lo
	v_cmpx_ne_u16_e32 0x80, v101
	s_cbranch_execz .LBB309_1870
; %bb.1865:                             ;   in Loop: Header=BB309_1567 Depth=1
	v_and_b32_e32 v102, 0x7f, v10
	v_mov_b32_e32 v34, 0x7c01
	s_mov_b32 s15, exec_lo
	s_delay_alu instid0(VALU_DEP_2)
	v_cmpx_ne_u32_e32 0x7f, v102
	s_cbranch_execz .LBB309_1869
; %bb.1866:                             ;   in Loop: Header=BB309_1567 Depth=1
	v_and_b32_e32 v34, 7, v10
	v_lshrrev_b32_e32 v101, 3, v102
	s_mov_b32 s16, exec_lo
	v_cmpx_gt_u32_e32 8, v102
; %bb.1867:                             ;   in Loop: Header=BB309_1567 Depth=1
	s_delay_alu instid0(VALU_DEP_3) | instskip(NEXT) | instid1(VALU_DEP_1)
	v_clz_i32_u32_e32 v6, v34
	v_min_u32_e32 v6, 32, v6
	s_delay_alu instid0(VALU_DEP_1) | instskip(SKIP_1) | instid1(VALU_DEP_2)
	v_subrev_nc_u32_e32 v34, 28, v6
	v_sub_nc_u32_e32 v101, 29, v6
	v_lshlrev_b64_e32 v[102:103], v34, v[0:1]
	s_delay_alu instid0(VALU_DEP_1)
	v_and_b32_e32 v34, 7, v102
; %bb.1868:                             ;   in Loop: Header=BB309_1567 Depth=1
	s_wait_alu 0xfffe
	s_or_b32 exec_lo, exec_lo, s16
	v_lshlrev_b32_e32 v6, 8, v10
	v_lshl_add_u32 v101, v101, 10, 0x2000
	v_lshlrev_b32_e32 v34, 7, v34
	s_delay_alu instid0(VALU_DEP_3) | instskip(NEXT) | instid1(VALU_DEP_3)
	v_and_b32_e32 v6, 0x8000, v6
	v_and_b32_e32 v101, 0xfc00, v101
	s_delay_alu instid0(VALU_DEP_1)
	v_or3_b32 v34, v6, v101, v34
.LBB309_1869:                           ;   in Loop: Header=BB309_1567 Depth=1
	s_wait_alu 0xfffe
	s_or_b32 exec_lo, exec_lo, s15
.LBB309_1870:                           ;   in Loop: Header=BB309_1567 Depth=1
	s_wait_alu 0xfffe
	s_or_b32 exec_lo, exec_lo, s14
.LBB309_1871:                           ;   in Loop: Header=BB309_1567 Depth=1
	s_wait_alu 0xfffe
	s_or_b32 exec_lo, exec_lo, s13
	v_lshrrev_b16 v0, 8, v0
	v_mov_b32_e32 v101, 0
	s_mov_b32 s13, exec_lo
	s_delay_alu instid0(VALU_DEP_2)
	v_cmpx_ne_u16_e32 0, v0
	s_cbranch_execz .LBB309_1879
; %bb.1872:                             ;   in Loop: Header=BB309_1567 Depth=1
	v_bfrev_b32_e32 v101, 1
	s_mov_b32 s14, exec_lo
	v_cmpx_ne_u16_e32 0x80, v0
	s_cbranch_execz .LBB309_1878
; %bb.1873:                             ;   in Loop: Header=BB309_1567 Depth=1
	v_and_b32_e32 v102, 0xffff, v0
	v_mov_b32_e32 v101, 0x7c010000
	s_mov_b32 s15, exec_lo
	s_delay_alu instid0(VALU_DEP_2) | instskip(NEXT) | instid1(VALU_DEP_1)
	v_and_b32_e32 v112, 0x7f, v102
	v_cmpx_ne_u32_e32 0x7f, v112
	s_cbranch_execz .LBB309_1877
; %bb.1874:                             ;   in Loop: Header=BB309_1567 Depth=1
	v_and_b32_e32 v101, 7, v102
	v_lshrrev_b32_e32 v103, 3, v112
	s_mov_b32 s16, exec_lo
	v_cmpx_gt_u32_e32 8, v112
; %bb.1875:                             ;   in Loop: Header=BB309_1567 Depth=1
	s_delay_alu instid0(VALU_DEP_3) | instskip(NEXT) | instid1(VALU_DEP_1)
	v_clz_i32_u32_e32 v6, v101
	v_min_u32_e32 v6, 32, v6
	s_delay_alu instid0(VALU_DEP_1) | instskip(SKIP_1) | instid1(VALU_DEP_2)
	v_subrev_nc_u32_e32 v101, 28, v6
	v_sub_nc_u32_e32 v103, 29, v6
	v_lshlrev_b64_e32 v[112:113], v101, v[0:1]
	s_delay_alu instid0(VALU_DEP_1)
	v_and_b32_e32 v101, 7, v112
; %bb.1876:                             ;   in Loop: Header=BB309_1567 Depth=1
	s_wait_alu 0xfffe
	s_or_b32 exec_lo, exec_lo, s16
	v_lshlrev_b32_e32 v0, 8, v102
	v_lshl_add_u32 v6, v103, 10, 0x2000
	s_delay_alu instid0(VALU_DEP_1) | instskip(SKIP_1) | instid1(VALU_DEP_1)
	v_and_or_b32 v0, 0x8000, v0, v6
	v_lshlrev_b32_e32 v6, 23, v101
	v_lshl_or_b32 v101, v0, 16, v6
.LBB309_1877:                           ;   in Loop: Header=BB309_1567 Depth=1
	s_wait_alu 0xfffe
	s_or_b32 exec_lo, exec_lo, s15
.LBB309_1878:                           ;   in Loop: Header=BB309_1567 Depth=1
	s_wait_alu 0xfffe
	s_or_b32 exec_lo, exec_lo, s14
.LBB309_1879:                           ;   in Loop: Header=BB309_1567 Depth=1
	s_wait_alu 0xfffe
	s_or_b32 exec_lo, exec_lo, s13
	v_lshrrev_b32_e32 v0, 16, v10
	s_mov_b32 s13, exec_lo
	s_delay_alu instid0(VALU_DEP_1) | instskip(NEXT) | instid1(VALU_DEP_1)
	v_and_b32_e32 v102, 0xff, v0
	v_cmpx_ne_u16_e32 0, v102
	s_cbranch_execz .LBB309_1887
; %bb.1880:                             ;   in Loop: Header=BB309_1567 Depth=1
	v_mov_b32_e32 v32, 0x8000
	s_mov_b32 s14, exec_lo
	v_cmpx_ne_u16_e32 0x80, v102
	s_cbranch_execz .LBB309_1886
; %bb.1881:                             ;   in Loop: Header=BB309_1567 Depth=1
	v_bfe_u32 v103, v10, 16, 7
	v_mov_b32_e32 v32, 0x7c01
	s_mov_b32 s15, exec_lo
	s_delay_alu instid0(VALU_DEP_2)
	v_cmpx_ne_u32_e32 0x7f, v103
	s_cbranch_execz .LBB309_1885
; %bb.1882:                             ;   in Loop: Header=BB309_1567 Depth=1
	v_and_b32_e32 v32, 7, v0
	v_lshrrev_b32_e32 v102, 3, v103
	s_mov_b32 s16, exec_lo
	v_cmpx_gt_u32_e32 8, v103
; %bb.1883:                             ;   in Loop: Header=BB309_1567 Depth=1
	s_delay_alu instid0(VALU_DEP_3) | instskip(NEXT) | instid1(VALU_DEP_1)
	v_clz_i32_u32_e32 v6, v32
	v_min_u32_e32 v6, 32, v6
	s_delay_alu instid0(VALU_DEP_1) | instskip(SKIP_1) | instid1(VALU_DEP_2)
	v_subrev_nc_u32_e32 v32, 28, v6
	v_sub_nc_u32_e32 v102, 29, v6
	v_lshlrev_b64_e32 v[112:113], v32, v[0:1]
	s_delay_alu instid0(VALU_DEP_1)
	v_and_b32_e32 v32, 7, v112
; %bb.1884:                             ;   in Loop: Header=BB309_1567 Depth=1
	s_wait_alu 0xfffe
	s_or_b32 exec_lo, exec_lo, s16
	v_lshlrev_b32_e32 v0, 8, v0
	v_lshl_add_u32 v6, v102, 10, 0x2000
	v_lshlrev_b32_e32 v32, 7, v32
	s_delay_alu instid0(VALU_DEP_3) | instskip(NEXT) | instid1(VALU_DEP_3)
	v_and_b32_e32 v0, 0x8000, v0
	v_and_b32_e32 v6, 0xfc00, v6
	s_delay_alu instid0(VALU_DEP_1)
	v_or3_b32 v32, v0, v6, v32
.LBB309_1885:                           ;   in Loop: Header=BB309_1567 Depth=1
	s_wait_alu 0xfffe
	s_or_b32 exec_lo, exec_lo, s15
.LBB309_1886:                           ;   in Loop: Header=BB309_1567 Depth=1
	s_wait_alu 0xfffe
	s_or_b32 exec_lo, exec_lo, s14
.LBB309_1887:                           ;   in Loop: Header=BB309_1567 Depth=1
	s_wait_alu 0xfffe
	s_or_b32 exec_lo, exec_lo, s13
	v_cmp_lt_u64_e64 s0, s[8:9], v[9:10]
	v_mov_b32_e32 v9, 0
	s_and_saveexec_b32 s13, s0
	s_cbranch_execz .LBB309_1895
; %bb.1888:                             ;   in Loop: Header=BB309_1567 Depth=1
	v_lshrrev_b32_e32 v0, 24, v10
	v_bfrev_b32_e32 v9, 1
	s_mov_b32 s14, exec_lo
	s_delay_alu instid0(VALU_DEP_2)
	v_cmpx_ne_u32_e32 0x80, v0
	s_cbranch_execz .LBB309_1894
; %bb.1889:                             ;   in Loop: Header=BB309_1567 Depth=1
	v_and_b32_e32 v102, 0x7f, v0
	v_mov_b32_e32 v9, 0x7c010000
	s_mov_b32 s15, exec_lo
	s_delay_alu instid0(VALU_DEP_2)
	v_cmpx_ne_u32_e32 0x7f, v102
	s_cbranch_execz .LBB309_1893
; %bb.1890:                             ;   in Loop: Header=BB309_1567 Depth=1
	v_and_b32_e32 v9, 7, v0
	v_lshrrev_b32_e32 v10, 3, v102
	s_mov_b32 s16, exec_lo
	v_cmpx_gt_u32_e32 8, v102
; %bb.1891:                             ;   in Loop: Header=BB309_1567 Depth=1
	s_delay_alu instid0(VALU_DEP_3) | instskip(NEXT) | instid1(VALU_DEP_1)
	v_clz_i32_u32_e32 v6, v9
	v_min_u32_e32 v6, 32, v6
	s_delay_alu instid0(VALU_DEP_1) | instskip(NEXT) | instid1(VALU_DEP_1)
	v_subrev_nc_u32_e32 v9, 28, v6
	v_lshlrev_b64_e32 v[9:10], v9, v[0:1]
	v_sub_nc_u32_e32 v10, 29, v6
	s_delay_alu instid0(VALU_DEP_2)
	v_and_b32_e32 v9, 7, v9
; %bb.1892:                             ;   in Loop: Header=BB309_1567 Depth=1
	s_wait_alu 0xfffe
	s_or_b32 exec_lo, exec_lo, s16
	v_lshlrev_b32_e32 v0, 8, v0
	v_lshl_add_u32 v6, v10, 10, 0x2000
	s_delay_alu instid0(VALU_DEP_1) | instskip(SKIP_1) | instid1(VALU_DEP_1)
	v_and_or_b32 v0, 0x8000, v0, v6
	v_lshlrev_b32_e32 v6, 23, v9
	v_lshl_or_b32 v9, v0, 16, v6
.LBB309_1893:                           ;   in Loop: Header=BB309_1567 Depth=1
	s_wait_alu 0xfffe
	s_or_b32 exec_lo, exec_lo, s15
.LBB309_1894:                           ;   in Loop: Header=BB309_1567 Depth=1
	s_wait_alu 0xfffe
	s_or_b32 exec_lo, exec_lo, s14
.LBB309_1895:                           ;   in Loop: Header=BB309_1567 Depth=1
	s_wait_alu 0xfffe
	s_or_b32 exec_lo, exec_lo, s13
	v_or_b32_e32 v0, v22, v23
	s_wait_loadcnt_dscnt 0x0
	v_fma_mixlo_f16 v6, v4, v22, 0 op_sel:[0,1,0] op_sel_hi:[0,1,0]
	v_or_b32_e32 v10, v5, v12
	v_or_b32_e32 v22, v101, v34
	;; [unrolled: 1-line block ×3, first 2 shown]
	v_fma_mixlo_f16 v5, v4, v5, 0 op_sel:[0,1,0] op_sel_hi:[0,1,0]
	v_fma_mixlo_f16 v23, v4, v0, 0 op_sel_hi:[0,1,0]
	v_lshlrev_b32_e32 v0, 16, v6
	v_fma_mixlo_f16 v6, v4, v10, 0 op_sel_hi:[0,1,0]
	v_fma_mixlo_f16 v10, v4, v101, 0 op_sel:[0,1,0] op_sel_hi:[0,1,0]
	v_fma_mixlo_f16 v22, v4, v22, 0 op_sel_hi:[0,1,0]
	v_fma_mixlo_f16 v34, v4, v9, 0 op_sel:[0,1,0] op_sel_hi:[0,1,0]
	v_fma_mixlo_f16 v32, v4, v32, 0 op_sel_hi:[0,1,0]
	v_lshlrev_b32_e32 v12, 16, v5
	v_and_b32_e32 v5, 0xffff, v23
	v_and_b32_e32 v102, 0xffff, v6
	v_lshlrev_b32_e32 v9, 16, v10
	v_and_b32_e32 v23, 0xffff, v22
	v_lshlrev_b32_e32 v4, 16, v34
	v_and_b32_e32 v10, 0xffff, v32
	v_or_b32_e32 v22, v0, v5
	v_or_b32_e32 v101, v12, v102
	;; [unrolled: 1-line block ×3, first 2 shown]
	s_delay_alu instid0(VALU_DEP_4)
	v_or_b32_e32 v32, v4, v10
	s_and_saveexec_b32 s13, vcc_lo
	s_cbranch_execz .LBB309_1897
; %bb.1896:                             ;   in Loop: Header=BB309_1567 Depth=1
	v_cmp_lt_i32_e64 s0, v17, v33
	s_wait_alu 0xf1ff
	s_delay_alu instid0(VALU_DEP_1) | instskip(SKIP_2) | instid1(VALU_DEP_1)
	v_cndmask_b32_e64 v6, 0, v102, s0
	v_cmp_lt_i32_e64 s0, v86, v33
	s_wait_alu 0xf1ff
	v_cndmask_b32_e64 v12, 0, v12, s0
	v_cmp_lt_i32_e64 s0, v85, v33
	s_delay_alu instid0(VALU_DEP_2) | instskip(SKIP_1) | instid1(VALU_DEP_2)
	v_or_b32_e32 v101, v6, v12
	s_wait_alu 0xf1ff
	v_cndmask_b32_e64 v5, 0, v5, s0
	v_cmp_lt_i32_e64 s0, v84, v33
	s_wait_alu 0xf1ff
	s_delay_alu instid0(VALU_DEP_1) | instskip(SKIP_1) | instid1(VALU_DEP_2)
	v_cndmask_b32_e64 v0, 0, v0, s0
	v_cmp_lt_i32_e64 s0, v83, v33
	v_or_b32_e32 v22, v5, v0
	s_wait_alu 0xf1ff
	s_delay_alu instid0(VALU_DEP_2) | instskip(SKIP_2) | instid1(VALU_DEP_1)
	v_cndmask_b32_e64 v23, 0, v23, s0
	v_cmp_lt_i32_e64 s0, v82, v33
	s_wait_alu 0xf1ff
	v_cndmask_b32_e64 v9, 0, v9, s0
	v_cmp_lt_i32_e64 s0, v81, v33
	s_delay_alu instid0(VALU_DEP_2) | instskip(SKIP_1) | instid1(VALU_DEP_2)
	v_or_b32_e32 v34, v23, v9
	s_wait_alu 0xf1ff
	v_cndmask_b32_e64 v10, 0, v10, s0
	v_cmp_lt_i32_e64 s0, v80, v33
	s_wait_alu 0xf1ff
	s_delay_alu instid0(VALU_DEP_1) | instskip(NEXT) | instid1(VALU_DEP_1)
	v_cndmask_b32_e64 v4, 0, v4, s0
	v_or_b32_e32 v32, v10, v4
.LBB309_1897:                           ;   in Loop: Header=BB309_1567 Depth=1
	s_wait_alu 0xfffe
	s_or_b32 exec_lo, exec_lo, s13
	;;#ASMSTART
	v_pk_mul_f16 v0, v69, v101;

	;;#ASMEND
	;;#ASMSTART
	v_pk_mul_f16 v4, v37, v22;

	;;#ASMEND
	;; [unrolled: 4-line block ×4, first 2 shown]
	;;#ASMSTART
	v_pk_add_f16 v0, v0, v4;

	;;#ASMEND
	;;#ASMSTART
	v_pk_add_f16 v0, v0, v5;

	;;#ASMEND
	;; [unrolled: 4-line block ×3, first 2 shown]
	v_dual_mov_b32 v5, 0 :: v_dual_and_b32 v4, 0xffff, v0
	v_lshrrev_b32_e32 v0, 16, v0
	;;#ASMSTART
	v_cvt_f32_f16 v101, v4;
	;;#ASMEND
	;;#ASMSTART
	v_cvt_f32_f16 v102, v0;
	;;#ASMEND
	flat_load_b64 v[9:10], v[7:8] offset:1280
	flat_load_b32 v4, v[26:27]
	v_mov_b32_e32 v12, 0
	s_mov_b32 s13, exec_lo
	s_wait_loadcnt_dscnt 0x101
	v_and_b32_e32 v0, 0xff, v9
	s_delay_alu instid0(VALU_DEP_1)
	v_cmpx_ne_u16_e32 0, v0
	s_cbranch_execz .LBB309_1905
; %bb.1898:                             ;   in Loop: Header=BB309_1567 Depth=1
	v_mov_b32_e32 v12, 0x8000
	s_mov_b32 s14, exec_lo
	v_cmpx_ne_u16_e32 0x80, v0
	s_cbranch_execz .LBB309_1904
; %bb.1899:                             ;   in Loop: Header=BB309_1567 Depth=1
	v_and_b32_e32 v22, 0x7f, v9
	v_mov_b32_e32 v12, 0x7c01
	s_mov_b32 s15, exec_lo
	s_delay_alu instid0(VALU_DEP_2)
	v_cmpx_ne_u32_e32 0x7f, v22
	s_cbranch_execz .LBB309_1903
; %bb.1900:                             ;   in Loop: Header=BB309_1567 Depth=1
	v_and_b32_e32 v0, 7, v9
	v_lshrrev_b32_e32 v12, 3, v22
	s_mov_b32 s16, exec_lo
	v_cmpx_gt_u32_e32 8, v22
; %bb.1901:                             ;   in Loop: Header=BB309_1567 Depth=1
	s_delay_alu instid0(VALU_DEP_3) | instskip(NEXT) | instid1(VALU_DEP_1)
	v_clz_i32_u32_e32 v0, v0
	v_min_u32_e32 v0, 32, v0
	s_delay_alu instid0(VALU_DEP_1) | instskip(SKIP_1) | instid1(VALU_DEP_2)
	v_subrev_nc_u32_e32 v6, 28, v0
	v_sub_nc_u32_e32 v12, 29, v0
	v_lshlrev_b64_e32 v[22:23], v6, v[9:10]
	s_delay_alu instid0(VALU_DEP_1)
	v_and_b32_e32 v0, 7, v22
; %bb.1902:                             ;   in Loop: Header=BB309_1567 Depth=1
	s_wait_alu 0xfffe
	s_or_b32 exec_lo, exec_lo, s16
	v_lshlrev_b32_e32 v6, 8, v9
	v_lshl_add_u32 v12, v12, 10, 0x2000
	v_lshlrev_b32_e32 v0, 7, v0
	s_delay_alu instid0(VALU_DEP_3) | instskip(NEXT) | instid1(VALU_DEP_3)
	v_and_b32_e32 v6, 0x8000, v6
	v_and_b32_e32 v12, 0xfc00, v12
	s_delay_alu instid0(VALU_DEP_1)
	v_or3_b32 v12, v6, v12, v0
.LBB309_1903:                           ;   in Loop: Header=BB309_1567 Depth=1
	s_wait_alu 0xfffe
	s_or_b32 exec_lo, exec_lo, s15
.LBB309_1904:                           ;   in Loop: Header=BB309_1567 Depth=1
	s_wait_alu 0xfffe
	s_or_b32 exec_lo, exec_lo, s14
.LBB309_1905:                           ;   in Loop: Header=BB309_1567 Depth=1
	s_wait_alu 0xfffe
	s_or_b32 exec_lo, exec_lo, s13
	v_lshrrev_b16 v0, 8, v9
	s_mov_b32 s13, exec_lo
	s_delay_alu instid0(VALU_DEP_1)
	v_cmpx_ne_u16_e32 0, v0
	s_cbranch_execz .LBB309_1913
; %bb.1906:                             ;   in Loop: Header=BB309_1567 Depth=1
	v_bfrev_b32_e32 v5, 1
	s_mov_b32 s14, exec_lo
	v_cmpx_ne_u16_e32 0x80, v0
	s_cbranch_execz .LBB309_1912
; %bb.1907:                             ;   in Loop: Header=BB309_1567 Depth=1
	v_and_b32_e32 v22, 0xffff, v0
	v_mov_b32_e32 v5, 0x7c010000
	s_mov_b32 s15, exec_lo
	s_delay_alu instid0(VALU_DEP_2) | instskip(NEXT) | instid1(VALU_DEP_1)
	v_and_b32_e32 v32, 0x7f, v22
	v_cmpx_ne_u32_e32 0x7f, v32
	s_cbranch_execz .LBB309_1911
; %bb.1908:                             ;   in Loop: Header=BB309_1567 Depth=1
	v_and_b32_e32 v5, 7, v22
	v_lshrrev_b32_e32 v23, 3, v32
	s_mov_b32 s16, exec_lo
	v_cmpx_gt_u32_e32 8, v32
; %bb.1909:                             ;   in Loop: Header=BB309_1567 Depth=1
	s_delay_alu instid0(VALU_DEP_3) | instskip(NEXT) | instid1(VALU_DEP_1)
	v_clz_i32_u32_e32 v5, v5
	v_min_u32_e32 v23, 32, v5
	s_delay_alu instid0(VALU_DEP_1) | instskip(SKIP_1) | instid1(VALU_DEP_2)
	v_subrev_nc_u32_e32 v5, 28, v23
	v_sub_nc_u32_e32 v23, 29, v23
	v_lshlrev_b64_e32 v[5:6], v5, v[0:1]
	s_delay_alu instid0(VALU_DEP_1)
	v_and_b32_e32 v5, 7, v5
; %bb.1910:                             ;   in Loop: Header=BB309_1567 Depth=1
	s_wait_alu 0xfffe
	s_or_b32 exec_lo, exec_lo, s16
	v_lshlrev_b32_e32 v0, 8, v22
	v_lshl_add_u32 v6, v23, 10, 0x2000
	v_lshlrev_b32_e32 v5, 23, v5
	s_delay_alu instid0(VALU_DEP_2) | instskip(NEXT) | instid1(VALU_DEP_1)
	v_and_or_b32 v0, 0x8000, v0, v6
	v_lshl_or_b32 v5, v0, 16, v5
.LBB309_1911:                           ;   in Loop: Header=BB309_1567 Depth=1
	s_wait_alu 0xfffe
	s_or_b32 exec_lo, exec_lo, s15
.LBB309_1912:                           ;   in Loop: Header=BB309_1567 Depth=1
	s_wait_alu 0xfffe
	s_or_b32 exec_lo, exec_lo, s14
.LBB309_1913:                           ;   in Loop: Header=BB309_1567 Depth=1
	s_wait_alu 0xfffe
	s_or_b32 exec_lo, exec_lo, s13
	v_lshrrev_b32_e32 v0, 16, v9
	v_mov_b32_e32 v22, 0
	s_mov_b32 s13, exec_lo
	s_delay_alu instid0(VALU_DEP_2) | instskip(NEXT) | instid1(VALU_DEP_1)
	v_dual_mov_b32 v23, 0 :: v_dual_and_b32 v32, 0xff, v0
	v_cmpx_ne_u16_e32 0, v32
	s_cbranch_execz .LBB309_1921
; %bb.1914:                             ;   in Loop: Header=BB309_1567 Depth=1
	v_mov_b32_e32 v23, 0x8000
	s_mov_b32 s14, exec_lo
	v_cmpx_ne_u16_e32 0x80, v32
	s_cbranch_execz .LBB309_1920
; %bb.1915:                             ;   in Loop: Header=BB309_1567 Depth=1
	v_bfe_u32 v34, v9, 16, 7
	v_mov_b32_e32 v23, 0x7c01
	s_mov_b32 s15, exec_lo
	s_delay_alu instid0(VALU_DEP_2)
	v_cmpx_ne_u32_e32 0x7f, v34
	s_cbranch_execz .LBB309_1919
; %bb.1916:                             ;   in Loop: Header=BB309_1567 Depth=1
	v_and_b32_e32 v23, 7, v0
	v_lshrrev_b32_e32 v32, 3, v34
	s_mov_b32 s16, exec_lo
	v_cmpx_gt_u32_e32 8, v34
; %bb.1917:                             ;   in Loop: Header=BB309_1567 Depth=1
	s_delay_alu instid0(VALU_DEP_3) | instskip(NEXT) | instid1(VALU_DEP_1)
	v_clz_i32_u32_e32 v6, v23
	v_min_u32_e32 v6, 32, v6
	s_delay_alu instid0(VALU_DEP_1) | instskip(SKIP_1) | instid1(VALU_DEP_2)
	v_subrev_nc_u32_e32 v23, 28, v6
	v_sub_nc_u32_e32 v32, 29, v6
	v_lshlrev_b64_e32 v[112:113], v23, v[0:1]
	s_delay_alu instid0(VALU_DEP_1)
	v_and_b32_e32 v23, 7, v112
; %bb.1918:                             ;   in Loop: Header=BB309_1567 Depth=1
	s_wait_alu 0xfffe
	s_or_b32 exec_lo, exec_lo, s16
	v_lshlrev_b32_e32 v0, 8, v0
	v_lshl_add_u32 v6, v32, 10, 0x2000
	v_lshlrev_b32_e32 v23, 7, v23
	s_delay_alu instid0(VALU_DEP_3) | instskip(NEXT) | instid1(VALU_DEP_3)
	v_and_b32_e32 v0, 0x8000, v0
	v_and_b32_e32 v6, 0xfc00, v6
	s_delay_alu instid0(VALU_DEP_1)
	v_or3_b32 v23, v0, v6, v23
.LBB309_1919:                           ;   in Loop: Header=BB309_1567 Depth=1
	s_wait_alu 0xfffe
	s_or_b32 exec_lo, exec_lo, s15
.LBB309_1920:                           ;   in Loop: Header=BB309_1567 Depth=1
	s_wait_alu 0xfffe
	s_or_b32 exec_lo, exec_lo, s14
.LBB309_1921:                           ;   in Loop: Header=BB309_1567 Depth=1
	s_wait_alu 0xfffe
	s_or_b32 exec_lo, exec_lo, s13
	s_delay_alu instid0(SALU_CYCLE_1)
	s_mov_b32 s13, exec_lo
	v_cmpx_lt_u32_e32 0xffffff, v9
	s_cbranch_execz .LBB309_1929
; %bb.1922:                             ;   in Loop: Header=BB309_1567 Depth=1
	v_lshrrev_b32_e32 v0, 24, v9
	v_bfrev_b32_e32 v22, 1
	s_mov_b32 s14, exec_lo
	s_delay_alu instid0(VALU_DEP_2)
	v_cmpx_ne_u32_e32 0x80, v0
	s_cbranch_execz .LBB309_1928
; %bb.1923:                             ;   in Loop: Header=BB309_1567 Depth=1
	v_and_b32_e32 v34, 0x7f, v0
	v_mov_b32_e32 v22, 0x7c010000
	s_mov_b32 s15, exec_lo
	s_delay_alu instid0(VALU_DEP_2)
	v_cmpx_ne_u32_e32 0x7f, v34
	s_cbranch_execz .LBB309_1927
; %bb.1924:                             ;   in Loop: Header=BB309_1567 Depth=1
	v_and_b32_e32 v22, 7, v0
	v_lshrrev_b32_e32 v32, 3, v34
	s_mov_b32 s16, exec_lo
	v_cmpx_gt_u32_e32 8, v34
; %bb.1925:                             ;   in Loop: Header=BB309_1567 Depth=1
	s_delay_alu instid0(VALU_DEP_3) | instskip(NEXT) | instid1(VALU_DEP_1)
	v_clz_i32_u32_e32 v6, v22
	v_min_u32_e32 v6, 32, v6
	s_delay_alu instid0(VALU_DEP_1) | instskip(SKIP_1) | instid1(VALU_DEP_2)
	v_subrev_nc_u32_e32 v22, 28, v6
	v_sub_nc_u32_e32 v32, 29, v6
	v_lshlrev_b64_e32 v[112:113], v22, v[0:1]
	s_delay_alu instid0(VALU_DEP_1)
	v_and_b32_e32 v22, 7, v112
; %bb.1926:                             ;   in Loop: Header=BB309_1567 Depth=1
	s_wait_alu 0xfffe
	s_or_b32 exec_lo, exec_lo, s16
	v_lshlrev_b32_e32 v0, 8, v0
	v_lshl_add_u32 v6, v32, 10, 0x2000
	s_delay_alu instid0(VALU_DEP_1) | instskip(SKIP_1) | instid1(VALU_DEP_1)
	v_and_or_b32 v0, 0x8000, v0, v6
	v_lshlrev_b32_e32 v6, 23, v22
	v_lshl_or_b32 v22, v0, 16, v6
.LBB309_1927:                           ;   in Loop: Header=BB309_1567 Depth=1
	s_wait_alu 0xfffe
	s_or_b32 exec_lo, exec_lo, s15
.LBB309_1928:                           ;   in Loop: Header=BB309_1567 Depth=1
	s_wait_alu 0xfffe
	s_or_b32 exec_lo, exec_lo, s14
.LBB309_1929:                           ;   in Loop: Header=BB309_1567 Depth=1
	s_wait_alu 0xfffe
	s_or_b32 exec_lo, exec_lo, s13
	v_dual_mov_b32 v0, v10 :: v_dual_and_b32 v103, 0xff, v10
	v_mov_b32_e32 v32, 0
	v_mov_b32_e32 v34, 0
	s_mov_b32 s13, exec_lo
	s_delay_alu instid0(VALU_DEP_3)
	v_cmpx_ne_u16_e32 0, v103
	s_cbranch_execz .LBB309_1937
; %bb.1930:                             ;   in Loop: Header=BB309_1567 Depth=1
	v_mov_b32_e32 v34, 0x8000
	s_mov_b32 s14, exec_lo
	v_cmpx_ne_u16_e32 0x80, v103
	s_cbranch_execz .LBB309_1936
; %bb.1931:                             ;   in Loop: Header=BB309_1567 Depth=1
	v_and_b32_e32 v112, 0x7f, v10
	v_mov_b32_e32 v34, 0x7c01
	s_mov_b32 s15, exec_lo
	s_delay_alu instid0(VALU_DEP_2)
	v_cmpx_ne_u32_e32 0x7f, v112
	s_cbranch_execz .LBB309_1935
; %bb.1932:                             ;   in Loop: Header=BB309_1567 Depth=1
	v_and_b32_e32 v34, 7, v10
	v_lshrrev_b32_e32 v103, 3, v112
	s_mov_b32 s16, exec_lo
	v_cmpx_gt_u32_e32 8, v112
; %bb.1933:                             ;   in Loop: Header=BB309_1567 Depth=1
	s_delay_alu instid0(VALU_DEP_3) | instskip(NEXT) | instid1(VALU_DEP_1)
	v_clz_i32_u32_e32 v6, v34
	v_min_u32_e32 v6, 32, v6
	s_delay_alu instid0(VALU_DEP_1) | instskip(SKIP_1) | instid1(VALU_DEP_2)
	v_subrev_nc_u32_e32 v34, 28, v6
	v_sub_nc_u32_e32 v103, 29, v6
	v_lshlrev_b64_e32 v[112:113], v34, v[0:1]
	s_delay_alu instid0(VALU_DEP_1)
	v_and_b32_e32 v34, 7, v112
; %bb.1934:                             ;   in Loop: Header=BB309_1567 Depth=1
	s_wait_alu 0xfffe
	s_or_b32 exec_lo, exec_lo, s16
	v_lshlrev_b32_e32 v6, 8, v10
	v_lshl_add_u32 v103, v103, 10, 0x2000
	v_lshlrev_b32_e32 v34, 7, v34
	s_delay_alu instid0(VALU_DEP_3) | instskip(NEXT) | instid1(VALU_DEP_3)
	v_and_b32_e32 v6, 0x8000, v6
	v_and_b32_e32 v103, 0xfc00, v103
	s_delay_alu instid0(VALU_DEP_1)
	v_or3_b32 v34, v6, v103, v34
.LBB309_1935:                           ;   in Loop: Header=BB309_1567 Depth=1
	s_wait_alu 0xfffe
	s_or_b32 exec_lo, exec_lo, s15
.LBB309_1936:                           ;   in Loop: Header=BB309_1567 Depth=1
	s_wait_alu 0xfffe
	s_or_b32 exec_lo, exec_lo, s14
.LBB309_1937:                           ;   in Loop: Header=BB309_1567 Depth=1
	s_wait_alu 0xfffe
	s_or_b32 exec_lo, exec_lo, s13
	v_lshrrev_b16 v0, 8, v0
	v_mov_b32_e32 v103, 0
	s_mov_b32 s13, exec_lo
	s_delay_alu instid0(VALU_DEP_2)
	v_cmpx_ne_u16_e32 0, v0
	s_cbranch_execz .LBB309_1945
; %bb.1938:                             ;   in Loop: Header=BB309_1567 Depth=1
	v_bfrev_b32_e32 v103, 1
	s_mov_b32 s14, exec_lo
	v_cmpx_ne_u16_e32 0x80, v0
	s_cbranch_execz .LBB309_1944
; %bb.1939:                             ;   in Loop: Header=BB309_1567 Depth=1
	v_and_b32_e32 v112, 0xffff, v0
	v_mov_b32_e32 v103, 0x7c010000
	s_mov_b32 s15, exec_lo
	s_delay_alu instid0(VALU_DEP_2) | instskip(NEXT) | instid1(VALU_DEP_1)
	v_and_b32_e32 v114, 0x7f, v112
	v_cmpx_ne_u32_e32 0x7f, v114
	s_cbranch_execz .LBB309_1943
; %bb.1940:                             ;   in Loop: Header=BB309_1567 Depth=1
	v_and_b32_e32 v103, 7, v112
	v_lshrrev_b32_e32 v113, 3, v114
	s_mov_b32 s16, exec_lo
	v_cmpx_gt_u32_e32 8, v114
; %bb.1941:                             ;   in Loop: Header=BB309_1567 Depth=1
	s_delay_alu instid0(VALU_DEP_3) | instskip(NEXT) | instid1(VALU_DEP_1)
	v_clz_i32_u32_e32 v6, v103
	v_min_u32_e32 v6, 32, v6
	s_delay_alu instid0(VALU_DEP_1) | instskip(SKIP_1) | instid1(VALU_DEP_2)
	v_subrev_nc_u32_e32 v103, 28, v6
	v_sub_nc_u32_e32 v113, 29, v6
	v_lshlrev_b64_e32 v[114:115], v103, v[0:1]
	s_delay_alu instid0(VALU_DEP_1)
	v_and_b32_e32 v103, 7, v114
; %bb.1942:                             ;   in Loop: Header=BB309_1567 Depth=1
	s_wait_alu 0xfffe
	s_or_b32 exec_lo, exec_lo, s16
	v_lshlrev_b32_e32 v0, 8, v112
	v_lshl_add_u32 v6, v113, 10, 0x2000
	s_delay_alu instid0(VALU_DEP_1) | instskip(SKIP_1) | instid1(VALU_DEP_1)
	v_and_or_b32 v0, 0x8000, v0, v6
	v_lshlrev_b32_e32 v6, 23, v103
	v_lshl_or_b32 v103, v0, 16, v6
.LBB309_1943:                           ;   in Loop: Header=BB309_1567 Depth=1
	s_wait_alu 0xfffe
	s_or_b32 exec_lo, exec_lo, s15
.LBB309_1944:                           ;   in Loop: Header=BB309_1567 Depth=1
	s_wait_alu 0xfffe
	s_or_b32 exec_lo, exec_lo, s14
.LBB309_1945:                           ;   in Loop: Header=BB309_1567 Depth=1
	s_wait_alu 0xfffe
	s_or_b32 exec_lo, exec_lo, s13
	v_lshrrev_b32_e32 v0, 16, v10
	s_mov_b32 s13, exec_lo
	s_delay_alu instid0(VALU_DEP_1) | instskip(NEXT) | instid1(VALU_DEP_1)
	v_and_b32_e32 v112, 0xff, v0
	v_cmpx_ne_u16_e32 0, v112
	s_cbranch_execz .LBB309_1953
; %bb.1946:                             ;   in Loop: Header=BB309_1567 Depth=1
	v_mov_b32_e32 v32, 0x8000
	s_mov_b32 s14, exec_lo
	v_cmpx_ne_u16_e32 0x80, v112
	s_cbranch_execz .LBB309_1952
; %bb.1947:                             ;   in Loop: Header=BB309_1567 Depth=1
	v_bfe_u32 v113, v10, 16, 7
	v_mov_b32_e32 v32, 0x7c01
	s_mov_b32 s15, exec_lo
	s_delay_alu instid0(VALU_DEP_2)
	v_cmpx_ne_u32_e32 0x7f, v113
	s_cbranch_execz .LBB309_1951
; %bb.1948:                             ;   in Loop: Header=BB309_1567 Depth=1
	v_and_b32_e32 v32, 7, v0
	v_lshrrev_b32_e32 v112, 3, v113
	s_mov_b32 s16, exec_lo
	v_cmpx_gt_u32_e32 8, v113
; %bb.1949:                             ;   in Loop: Header=BB309_1567 Depth=1
	s_delay_alu instid0(VALU_DEP_3) | instskip(NEXT) | instid1(VALU_DEP_1)
	v_clz_i32_u32_e32 v6, v32
	v_min_u32_e32 v6, 32, v6
	s_delay_alu instid0(VALU_DEP_1) | instskip(SKIP_1) | instid1(VALU_DEP_2)
	v_subrev_nc_u32_e32 v32, 28, v6
	v_sub_nc_u32_e32 v112, 29, v6
	v_lshlrev_b64_e32 v[113:114], v32, v[0:1]
	s_delay_alu instid0(VALU_DEP_1)
	v_and_b32_e32 v32, 7, v113
; %bb.1950:                             ;   in Loop: Header=BB309_1567 Depth=1
	s_wait_alu 0xfffe
	s_or_b32 exec_lo, exec_lo, s16
	v_lshlrev_b32_e32 v0, 8, v0
	v_lshl_add_u32 v6, v112, 10, 0x2000
	v_lshlrev_b32_e32 v32, 7, v32
	s_delay_alu instid0(VALU_DEP_3) | instskip(NEXT) | instid1(VALU_DEP_3)
	v_and_b32_e32 v0, 0x8000, v0
	v_and_b32_e32 v6, 0xfc00, v6
	s_delay_alu instid0(VALU_DEP_1)
	v_or3_b32 v32, v0, v6, v32
.LBB309_1951:                           ;   in Loop: Header=BB309_1567 Depth=1
	s_wait_alu 0xfffe
	s_or_b32 exec_lo, exec_lo, s15
.LBB309_1952:                           ;   in Loop: Header=BB309_1567 Depth=1
	s_wait_alu 0xfffe
	s_or_b32 exec_lo, exec_lo, s14
.LBB309_1953:                           ;   in Loop: Header=BB309_1567 Depth=1
	s_wait_alu 0xfffe
	s_or_b32 exec_lo, exec_lo, s13
	v_cmp_lt_u64_e64 s0, s[8:9], v[9:10]
	v_mov_b32_e32 v9, 0
	s_and_saveexec_b32 s13, s0
	s_cbranch_execz .LBB309_1961
; %bb.1954:                             ;   in Loop: Header=BB309_1567 Depth=1
	v_lshrrev_b32_e32 v0, 24, v10
	v_bfrev_b32_e32 v9, 1
	s_mov_b32 s14, exec_lo
	s_delay_alu instid0(VALU_DEP_2)
	v_cmpx_ne_u32_e32 0x80, v0
	s_cbranch_execz .LBB309_1960
; %bb.1955:                             ;   in Loop: Header=BB309_1567 Depth=1
	v_and_b32_e32 v112, 0x7f, v0
	v_mov_b32_e32 v9, 0x7c010000
	s_mov_b32 s15, exec_lo
	s_delay_alu instid0(VALU_DEP_2)
	v_cmpx_ne_u32_e32 0x7f, v112
	s_cbranch_execz .LBB309_1959
; %bb.1956:                             ;   in Loop: Header=BB309_1567 Depth=1
	v_and_b32_e32 v9, 7, v0
	v_lshrrev_b32_e32 v10, 3, v112
	s_mov_b32 s16, exec_lo
	v_cmpx_gt_u32_e32 8, v112
; %bb.1957:                             ;   in Loop: Header=BB309_1567 Depth=1
	s_delay_alu instid0(VALU_DEP_3) | instskip(NEXT) | instid1(VALU_DEP_1)
	v_clz_i32_u32_e32 v6, v9
	v_min_u32_e32 v6, 32, v6
	s_delay_alu instid0(VALU_DEP_1) | instskip(NEXT) | instid1(VALU_DEP_1)
	v_subrev_nc_u32_e32 v9, 28, v6
	v_lshlrev_b64_e32 v[9:10], v9, v[0:1]
	v_sub_nc_u32_e32 v10, 29, v6
	s_delay_alu instid0(VALU_DEP_2)
	v_and_b32_e32 v9, 7, v9
; %bb.1958:                             ;   in Loop: Header=BB309_1567 Depth=1
	s_wait_alu 0xfffe
	s_or_b32 exec_lo, exec_lo, s16
	v_lshlrev_b32_e32 v0, 8, v0
	v_lshl_add_u32 v6, v10, 10, 0x2000
	s_delay_alu instid0(VALU_DEP_1) | instskip(SKIP_1) | instid1(VALU_DEP_1)
	v_and_or_b32 v0, 0x8000, v0, v6
	v_lshlrev_b32_e32 v6, 23, v9
	v_lshl_or_b32 v9, v0, 16, v6
.LBB309_1959:                           ;   in Loop: Header=BB309_1567 Depth=1
	s_wait_alu 0xfffe
	s_or_b32 exec_lo, exec_lo, s15
.LBB309_1960:                           ;   in Loop: Header=BB309_1567 Depth=1
	s_wait_alu 0xfffe
	s_or_b32 exec_lo, exec_lo, s14
.LBB309_1961:                           ;   in Loop: Header=BB309_1567 Depth=1
	s_wait_alu 0xfffe
	s_or_b32 exec_lo, exec_lo, s13
	v_or_b32_e32 v0, v22, v23
	s_wait_loadcnt_dscnt 0x0
	v_fma_mixlo_f16 v6, v4, v22, 0 op_sel:[0,1,0] op_sel_hi:[0,1,0]
	v_or_b32_e32 v10, v5, v12
	v_or_b32_e32 v22, v103, v34
	;; [unrolled: 1-line block ×3, first 2 shown]
	v_fma_mixlo_f16 v5, v4, v5, 0 op_sel:[0,1,0] op_sel_hi:[0,1,0]
	v_fma_mixlo_f16 v23, v4, v0, 0 op_sel_hi:[0,1,0]
	v_lshlrev_b32_e32 v0, 16, v6
	v_fma_mixlo_f16 v6, v4, v10, 0 op_sel_hi:[0,1,0]
	v_fma_mixlo_f16 v10, v4, v103, 0 op_sel:[0,1,0] op_sel_hi:[0,1,0]
	v_fma_mixlo_f16 v22, v4, v22, 0 op_sel_hi:[0,1,0]
	v_fma_mixlo_f16 v34, v4, v9, 0 op_sel:[0,1,0] op_sel_hi:[0,1,0]
	v_fma_mixlo_f16 v32, v4, v32, 0 op_sel_hi:[0,1,0]
	v_lshlrev_b32_e32 v12, 16, v5
	v_and_b32_e32 v5, 0xffff, v23
	v_and_b32_e32 v112, 0xffff, v6
	v_lshlrev_b32_e32 v9, 16, v10
	v_and_b32_e32 v23, 0xffff, v22
	v_lshlrev_b32_e32 v4, 16, v34
	v_and_b32_e32 v10, 0xffff, v32
	v_or_b32_e32 v22, v0, v5
	v_or_b32_e32 v103, v12, v112
	;; [unrolled: 1-line block ×3, first 2 shown]
	s_delay_alu instid0(VALU_DEP_4)
	v_or_b32_e32 v32, v4, v10
	s_and_saveexec_b32 s13, vcc_lo
	s_cbranch_execz .LBB309_1963
; %bb.1962:                             ;   in Loop: Header=BB309_1567 Depth=1
	v_cmp_lt_i32_e64 s0, v17, v33
	s_wait_alu 0xf1ff
	s_delay_alu instid0(VALU_DEP_1) | instskip(SKIP_2) | instid1(VALU_DEP_1)
	v_cndmask_b32_e64 v6, 0, v112, s0
	v_cmp_lt_i32_e64 s0, v86, v33
	s_wait_alu 0xf1ff
	v_cndmask_b32_e64 v12, 0, v12, s0
	v_cmp_lt_i32_e64 s0, v85, v33
	s_delay_alu instid0(VALU_DEP_2) | instskip(SKIP_1) | instid1(VALU_DEP_2)
	v_or_b32_e32 v103, v6, v12
	s_wait_alu 0xf1ff
	v_cndmask_b32_e64 v5, 0, v5, s0
	v_cmp_lt_i32_e64 s0, v84, v33
	s_wait_alu 0xf1ff
	s_delay_alu instid0(VALU_DEP_1) | instskip(SKIP_1) | instid1(VALU_DEP_2)
	v_cndmask_b32_e64 v0, 0, v0, s0
	v_cmp_lt_i32_e64 s0, v83, v33
	v_or_b32_e32 v22, v5, v0
	s_wait_alu 0xf1ff
	s_delay_alu instid0(VALU_DEP_2) | instskip(SKIP_2) | instid1(VALU_DEP_1)
	v_cndmask_b32_e64 v23, 0, v23, s0
	v_cmp_lt_i32_e64 s0, v82, v33
	s_wait_alu 0xf1ff
	v_cndmask_b32_e64 v9, 0, v9, s0
	v_cmp_lt_i32_e64 s0, v81, v33
	s_delay_alu instid0(VALU_DEP_2) | instskip(SKIP_1) | instid1(VALU_DEP_2)
	v_or_b32_e32 v34, v23, v9
	s_wait_alu 0xf1ff
	v_cndmask_b32_e64 v10, 0, v10, s0
	v_cmp_lt_i32_e64 s0, v80, v33
	s_wait_alu 0xf1ff
	s_delay_alu instid0(VALU_DEP_1) | instskip(NEXT) | instid1(VALU_DEP_1)
	v_cndmask_b32_e64 v4, 0, v4, s0
	v_or_b32_e32 v32, v10, v4
.LBB309_1963:                           ;   in Loop: Header=BB309_1567 Depth=1
	s_wait_alu 0xfffe
	s_or_b32 exec_lo, exec_lo, s13
	;;#ASMSTART
	v_pk_mul_f16 v0, v69, v103;

	;;#ASMEND
	;;#ASMSTART
	v_pk_mul_f16 v4, v37, v22;

	;;#ASMEND
	;; [unrolled: 4-line block ×4, first 2 shown]
	;;#ASMSTART
	v_pk_add_f16 v0, v0, v4;

	;;#ASMEND
	;;#ASMSTART
	v_pk_add_f16 v0, v0, v5;

	;;#ASMEND
	;; [unrolled: 4-line block ×3, first 2 shown]
	v_dual_mov_b32 v5, 0 :: v_dual_and_b32 v4, 0xffff, v0
	v_lshrrev_b32_e32 v0, 16, v0
	;;#ASMSTART
	v_cvt_f32_f16 v103, v4;
	;;#ASMEND
	;;#ASMSTART
	v_cvt_f32_f16 v112, v0;
	;;#ASMEND
	flat_load_b64 v[9:10], v[7:8] offset:1536
	flat_load_b32 v4, v[26:27]
	v_mov_b32_e32 v12, 0
	s_mov_b32 s13, exec_lo
	s_wait_loadcnt_dscnt 0x101
	v_and_b32_e32 v0, 0xff, v9
	s_delay_alu instid0(VALU_DEP_1)
	v_cmpx_ne_u16_e32 0, v0
	s_cbranch_execz .LBB309_1971
; %bb.1964:                             ;   in Loop: Header=BB309_1567 Depth=1
	v_mov_b32_e32 v12, 0x8000
	s_mov_b32 s14, exec_lo
	v_cmpx_ne_u16_e32 0x80, v0
	s_cbranch_execz .LBB309_1970
; %bb.1965:                             ;   in Loop: Header=BB309_1567 Depth=1
	v_and_b32_e32 v22, 0x7f, v9
	v_mov_b32_e32 v12, 0x7c01
	s_mov_b32 s15, exec_lo
	s_delay_alu instid0(VALU_DEP_2)
	v_cmpx_ne_u32_e32 0x7f, v22
	s_cbranch_execz .LBB309_1969
; %bb.1966:                             ;   in Loop: Header=BB309_1567 Depth=1
	v_and_b32_e32 v0, 7, v9
	v_lshrrev_b32_e32 v12, 3, v22
	s_mov_b32 s16, exec_lo
	v_cmpx_gt_u32_e32 8, v22
; %bb.1967:                             ;   in Loop: Header=BB309_1567 Depth=1
	s_delay_alu instid0(VALU_DEP_3) | instskip(NEXT) | instid1(VALU_DEP_1)
	v_clz_i32_u32_e32 v0, v0
	v_min_u32_e32 v0, 32, v0
	s_delay_alu instid0(VALU_DEP_1) | instskip(SKIP_1) | instid1(VALU_DEP_2)
	v_subrev_nc_u32_e32 v6, 28, v0
	v_sub_nc_u32_e32 v12, 29, v0
	v_lshlrev_b64_e32 v[22:23], v6, v[9:10]
	s_delay_alu instid0(VALU_DEP_1)
	v_and_b32_e32 v0, 7, v22
; %bb.1968:                             ;   in Loop: Header=BB309_1567 Depth=1
	s_wait_alu 0xfffe
	s_or_b32 exec_lo, exec_lo, s16
	v_lshlrev_b32_e32 v6, 8, v9
	v_lshl_add_u32 v12, v12, 10, 0x2000
	v_lshlrev_b32_e32 v0, 7, v0
	s_delay_alu instid0(VALU_DEP_3) | instskip(NEXT) | instid1(VALU_DEP_3)
	v_and_b32_e32 v6, 0x8000, v6
	v_and_b32_e32 v12, 0xfc00, v12
	s_delay_alu instid0(VALU_DEP_1)
	v_or3_b32 v12, v6, v12, v0
.LBB309_1969:                           ;   in Loop: Header=BB309_1567 Depth=1
	s_wait_alu 0xfffe
	s_or_b32 exec_lo, exec_lo, s15
.LBB309_1970:                           ;   in Loop: Header=BB309_1567 Depth=1
	s_wait_alu 0xfffe
	s_or_b32 exec_lo, exec_lo, s14
.LBB309_1971:                           ;   in Loop: Header=BB309_1567 Depth=1
	s_wait_alu 0xfffe
	s_or_b32 exec_lo, exec_lo, s13
	v_lshrrev_b16 v0, 8, v9
	s_mov_b32 s13, exec_lo
	s_delay_alu instid0(VALU_DEP_1)
	v_cmpx_ne_u16_e32 0, v0
	s_cbranch_execz .LBB309_1979
; %bb.1972:                             ;   in Loop: Header=BB309_1567 Depth=1
	v_bfrev_b32_e32 v5, 1
	s_mov_b32 s14, exec_lo
	v_cmpx_ne_u16_e32 0x80, v0
	s_cbranch_execz .LBB309_1978
; %bb.1973:                             ;   in Loop: Header=BB309_1567 Depth=1
	v_and_b32_e32 v22, 0xffff, v0
	v_mov_b32_e32 v5, 0x7c010000
	s_mov_b32 s15, exec_lo
	s_delay_alu instid0(VALU_DEP_2) | instskip(NEXT) | instid1(VALU_DEP_1)
	v_and_b32_e32 v32, 0x7f, v22
	v_cmpx_ne_u32_e32 0x7f, v32
	s_cbranch_execz .LBB309_1977
; %bb.1974:                             ;   in Loop: Header=BB309_1567 Depth=1
	v_and_b32_e32 v5, 7, v22
	v_lshrrev_b32_e32 v23, 3, v32
	s_mov_b32 s16, exec_lo
	v_cmpx_gt_u32_e32 8, v32
; %bb.1975:                             ;   in Loop: Header=BB309_1567 Depth=1
	s_delay_alu instid0(VALU_DEP_3) | instskip(NEXT) | instid1(VALU_DEP_1)
	v_clz_i32_u32_e32 v5, v5
	v_min_u32_e32 v23, 32, v5
	s_delay_alu instid0(VALU_DEP_1) | instskip(SKIP_1) | instid1(VALU_DEP_2)
	v_subrev_nc_u32_e32 v5, 28, v23
	v_sub_nc_u32_e32 v23, 29, v23
	v_lshlrev_b64_e32 v[5:6], v5, v[0:1]
	s_delay_alu instid0(VALU_DEP_1)
	v_and_b32_e32 v5, 7, v5
; %bb.1976:                             ;   in Loop: Header=BB309_1567 Depth=1
	s_wait_alu 0xfffe
	s_or_b32 exec_lo, exec_lo, s16
	v_lshlrev_b32_e32 v0, 8, v22
	v_lshl_add_u32 v6, v23, 10, 0x2000
	v_lshlrev_b32_e32 v5, 23, v5
	s_delay_alu instid0(VALU_DEP_2) | instskip(NEXT) | instid1(VALU_DEP_1)
	v_and_or_b32 v0, 0x8000, v0, v6
	v_lshl_or_b32 v5, v0, 16, v5
.LBB309_1977:                           ;   in Loop: Header=BB309_1567 Depth=1
	s_wait_alu 0xfffe
	s_or_b32 exec_lo, exec_lo, s15
.LBB309_1978:                           ;   in Loop: Header=BB309_1567 Depth=1
	s_wait_alu 0xfffe
	s_or_b32 exec_lo, exec_lo, s14
.LBB309_1979:                           ;   in Loop: Header=BB309_1567 Depth=1
	s_wait_alu 0xfffe
	s_or_b32 exec_lo, exec_lo, s13
	v_lshrrev_b32_e32 v0, 16, v9
	v_mov_b32_e32 v22, 0
	s_mov_b32 s13, exec_lo
	s_delay_alu instid0(VALU_DEP_2) | instskip(NEXT) | instid1(VALU_DEP_1)
	v_dual_mov_b32 v23, 0 :: v_dual_and_b32 v32, 0xff, v0
	v_cmpx_ne_u16_e32 0, v32
	s_cbranch_execz .LBB309_1987
; %bb.1980:                             ;   in Loop: Header=BB309_1567 Depth=1
	v_mov_b32_e32 v23, 0x8000
	s_mov_b32 s14, exec_lo
	v_cmpx_ne_u16_e32 0x80, v32
	s_cbranch_execz .LBB309_1986
; %bb.1981:                             ;   in Loop: Header=BB309_1567 Depth=1
	v_bfe_u32 v34, v9, 16, 7
	v_mov_b32_e32 v23, 0x7c01
	s_mov_b32 s15, exec_lo
	s_delay_alu instid0(VALU_DEP_2)
	v_cmpx_ne_u32_e32 0x7f, v34
	s_cbranch_execz .LBB309_1985
; %bb.1982:                             ;   in Loop: Header=BB309_1567 Depth=1
	v_and_b32_e32 v23, 7, v0
	v_lshrrev_b32_e32 v32, 3, v34
	s_mov_b32 s16, exec_lo
	v_cmpx_gt_u32_e32 8, v34
; %bb.1983:                             ;   in Loop: Header=BB309_1567 Depth=1
	s_delay_alu instid0(VALU_DEP_3) | instskip(NEXT) | instid1(VALU_DEP_1)
	v_clz_i32_u32_e32 v6, v23
	v_min_u32_e32 v6, 32, v6
	s_delay_alu instid0(VALU_DEP_1) | instskip(SKIP_1) | instid1(VALU_DEP_2)
	v_subrev_nc_u32_e32 v23, 28, v6
	v_sub_nc_u32_e32 v32, 29, v6
	v_lshlrev_b64_e32 v[113:114], v23, v[0:1]
	s_delay_alu instid0(VALU_DEP_1)
	v_and_b32_e32 v23, 7, v113
; %bb.1984:                             ;   in Loop: Header=BB309_1567 Depth=1
	s_wait_alu 0xfffe
	s_or_b32 exec_lo, exec_lo, s16
	v_lshlrev_b32_e32 v0, 8, v0
	v_lshl_add_u32 v6, v32, 10, 0x2000
	v_lshlrev_b32_e32 v23, 7, v23
	s_delay_alu instid0(VALU_DEP_3) | instskip(NEXT) | instid1(VALU_DEP_3)
	v_and_b32_e32 v0, 0x8000, v0
	v_and_b32_e32 v6, 0xfc00, v6
	s_delay_alu instid0(VALU_DEP_1)
	v_or3_b32 v23, v0, v6, v23
.LBB309_1985:                           ;   in Loop: Header=BB309_1567 Depth=1
	s_wait_alu 0xfffe
	s_or_b32 exec_lo, exec_lo, s15
.LBB309_1986:                           ;   in Loop: Header=BB309_1567 Depth=1
	s_wait_alu 0xfffe
	s_or_b32 exec_lo, exec_lo, s14
.LBB309_1987:                           ;   in Loop: Header=BB309_1567 Depth=1
	s_wait_alu 0xfffe
	s_or_b32 exec_lo, exec_lo, s13
	s_delay_alu instid0(SALU_CYCLE_1)
	s_mov_b32 s13, exec_lo
	v_cmpx_lt_u32_e32 0xffffff, v9
	s_cbranch_execz .LBB309_1995
; %bb.1988:                             ;   in Loop: Header=BB309_1567 Depth=1
	v_lshrrev_b32_e32 v0, 24, v9
	v_bfrev_b32_e32 v22, 1
	s_mov_b32 s14, exec_lo
	s_delay_alu instid0(VALU_DEP_2)
	v_cmpx_ne_u32_e32 0x80, v0
	s_cbranch_execz .LBB309_1994
; %bb.1989:                             ;   in Loop: Header=BB309_1567 Depth=1
	v_and_b32_e32 v34, 0x7f, v0
	v_mov_b32_e32 v22, 0x7c010000
	s_mov_b32 s15, exec_lo
	s_delay_alu instid0(VALU_DEP_2)
	v_cmpx_ne_u32_e32 0x7f, v34
	s_cbranch_execz .LBB309_1993
; %bb.1990:                             ;   in Loop: Header=BB309_1567 Depth=1
	v_and_b32_e32 v22, 7, v0
	v_lshrrev_b32_e32 v32, 3, v34
	s_mov_b32 s16, exec_lo
	v_cmpx_gt_u32_e32 8, v34
; %bb.1991:                             ;   in Loop: Header=BB309_1567 Depth=1
	s_delay_alu instid0(VALU_DEP_3) | instskip(NEXT) | instid1(VALU_DEP_1)
	v_clz_i32_u32_e32 v6, v22
	v_min_u32_e32 v6, 32, v6
	s_delay_alu instid0(VALU_DEP_1) | instskip(SKIP_1) | instid1(VALU_DEP_2)
	v_subrev_nc_u32_e32 v22, 28, v6
	v_sub_nc_u32_e32 v32, 29, v6
	v_lshlrev_b64_e32 v[113:114], v22, v[0:1]
	s_delay_alu instid0(VALU_DEP_1)
	v_and_b32_e32 v22, 7, v113
; %bb.1992:                             ;   in Loop: Header=BB309_1567 Depth=1
	s_wait_alu 0xfffe
	s_or_b32 exec_lo, exec_lo, s16
	v_lshlrev_b32_e32 v0, 8, v0
	v_lshl_add_u32 v6, v32, 10, 0x2000
	s_delay_alu instid0(VALU_DEP_1) | instskip(SKIP_1) | instid1(VALU_DEP_1)
	v_and_or_b32 v0, 0x8000, v0, v6
	v_lshlrev_b32_e32 v6, 23, v22
	v_lshl_or_b32 v22, v0, 16, v6
.LBB309_1993:                           ;   in Loop: Header=BB309_1567 Depth=1
	s_wait_alu 0xfffe
	s_or_b32 exec_lo, exec_lo, s15
.LBB309_1994:                           ;   in Loop: Header=BB309_1567 Depth=1
	s_wait_alu 0xfffe
	s_or_b32 exec_lo, exec_lo, s14
.LBB309_1995:                           ;   in Loop: Header=BB309_1567 Depth=1
	s_wait_alu 0xfffe
	s_or_b32 exec_lo, exec_lo, s13
	v_dual_mov_b32 v0, v10 :: v_dual_and_b32 v113, 0xff, v10
	v_mov_b32_e32 v32, 0
	v_mov_b32_e32 v34, 0
	s_mov_b32 s13, exec_lo
	s_delay_alu instid0(VALU_DEP_3)
	v_cmpx_ne_u16_e32 0, v113
	s_cbranch_execz .LBB309_2003
; %bb.1996:                             ;   in Loop: Header=BB309_1567 Depth=1
	v_mov_b32_e32 v34, 0x8000
	s_mov_b32 s14, exec_lo
	v_cmpx_ne_u16_e32 0x80, v113
	s_cbranch_execz .LBB309_2002
; %bb.1997:                             ;   in Loop: Header=BB309_1567 Depth=1
	v_and_b32_e32 v114, 0x7f, v10
	v_mov_b32_e32 v34, 0x7c01
	s_mov_b32 s15, exec_lo
	s_delay_alu instid0(VALU_DEP_2)
	v_cmpx_ne_u32_e32 0x7f, v114
	s_cbranch_execz .LBB309_2001
; %bb.1998:                             ;   in Loop: Header=BB309_1567 Depth=1
	v_and_b32_e32 v34, 7, v10
	v_lshrrev_b32_e32 v113, 3, v114
	s_mov_b32 s16, exec_lo
	v_cmpx_gt_u32_e32 8, v114
; %bb.1999:                             ;   in Loop: Header=BB309_1567 Depth=1
	s_delay_alu instid0(VALU_DEP_3) | instskip(NEXT) | instid1(VALU_DEP_1)
	v_clz_i32_u32_e32 v6, v34
	v_min_u32_e32 v6, 32, v6
	s_delay_alu instid0(VALU_DEP_1) | instskip(SKIP_1) | instid1(VALU_DEP_2)
	v_subrev_nc_u32_e32 v34, 28, v6
	v_sub_nc_u32_e32 v113, 29, v6
	v_lshlrev_b64_e32 v[114:115], v34, v[0:1]
	s_delay_alu instid0(VALU_DEP_1)
	v_and_b32_e32 v34, 7, v114
; %bb.2000:                             ;   in Loop: Header=BB309_1567 Depth=1
	s_wait_alu 0xfffe
	s_or_b32 exec_lo, exec_lo, s16
	v_lshlrev_b32_e32 v6, 8, v10
	v_lshl_add_u32 v113, v113, 10, 0x2000
	v_lshlrev_b32_e32 v34, 7, v34
	s_delay_alu instid0(VALU_DEP_3) | instskip(NEXT) | instid1(VALU_DEP_3)
	v_and_b32_e32 v6, 0x8000, v6
	v_and_b32_e32 v113, 0xfc00, v113
	s_delay_alu instid0(VALU_DEP_1)
	v_or3_b32 v34, v6, v113, v34
.LBB309_2001:                           ;   in Loop: Header=BB309_1567 Depth=1
	s_wait_alu 0xfffe
	s_or_b32 exec_lo, exec_lo, s15
.LBB309_2002:                           ;   in Loop: Header=BB309_1567 Depth=1
	s_wait_alu 0xfffe
	s_or_b32 exec_lo, exec_lo, s14
.LBB309_2003:                           ;   in Loop: Header=BB309_1567 Depth=1
	s_wait_alu 0xfffe
	s_or_b32 exec_lo, exec_lo, s13
	v_lshrrev_b16 v0, 8, v0
	v_mov_b32_e32 v113, 0
	s_mov_b32 s13, exec_lo
	s_delay_alu instid0(VALU_DEP_2)
	v_cmpx_ne_u16_e32 0, v0
	s_cbranch_execz .LBB309_2011
; %bb.2004:                             ;   in Loop: Header=BB309_1567 Depth=1
	v_bfrev_b32_e32 v113, 1
	s_mov_b32 s14, exec_lo
	v_cmpx_ne_u16_e32 0x80, v0
	s_cbranch_execz .LBB309_2010
; %bb.2005:                             ;   in Loop: Header=BB309_1567 Depth=1
	v_and_b32_e32 v114, 0xffff, v0
	v_mov_b32_e32 v113, 0x7c010000
	s_mov_b32 s15, exec_lo
	s_delay_alu instid0(VALU_DEP_2) | instskip(NEXT) | instid1(VALU_DEP_1)
	v_and_b32_e32 v116, 0x7f, v114
	v_cmpx_ne_u32_e32 0x7f, v116
	s_cbranch_execz .LBB309_2009
; %bb.2006:                             ;   in Loop: Header=BB309_1567 Depth=1
	v_and_b32_e32 v113, 7, v114
	v_lshrrev_b32_e32 v115, 3, v116
	s_mov_b32 s16, exec_lo
	v_cmpx_gt_u32_e32 8, v116
; %bb.2007:                             ;   in Loop: Header=BB309_1567 Depth=1
	s_delay_alu instid0(VALU_DEP_3) | instskip(NEXT) | instid1(VALU_DEP_1)
	v_clz_i32_u32_e32 v6, v113
	v_min_u32_e32 v6, 32, v6
	s_delay_alu instid0(VALU_DEP_1) | instskip(SKIP_1) | instid1(VALU_DEP_2)
	v_subrev_nc_u32_e32 v113, 28, v6
	v_sub_nc_u32_e32 v115, 29, v6
	v_lshlrev_b64_e32 v[116:117], v113, v[0:1]
	s_delay_alu instid0(VALU_DEP_1)
	v_and_b32_e32 v113, 7, v116
; %bb.2008:                             ;   in Loop: Header=BB309_1567 Depth=1
	s_wait_alu 0xfffe
	s_or_b32 exec_lo, exec_lo, s16
	v_lshlrev_b32_e32 v0, 8, v114
	v_lshl_add_u32 v6, v115, 10, 0x2000
	s_delay_alu instid0(VALU_DEP_1) | instskip(SKIP_1) | instid1(VALU_DEP_1)
	v_and_or_b32 v0, 0x8000, v0, v6
	v_lshlrev_b32_e32 v6, 23, v113
	v_lshl_or_b32 v113, v0, 16, v6
.LBB309_2009:                           ;   in Loop: Header=BB309_1567 Depth=1
	s_wait_alu 0xfffe
	s_or_b32 exec_lo, exec_lo, s15
.LBB309_2010:                           ;   in Loop: Header=BB309_1567 Depth=1
	s_wait_alu 0xfffe
	s_or_b32 exec_lo, exec_lo, s14
.LBB309_2011:                           ;   in Loop: Header=BB309_1567 Depth=1
	s_wait_alu 0xfffe
	s_or_b32 exec_lo, exec_lo, s13
	v_lshrrev_b32_e32 v0, 16, v10
	s_mov_b32 s13, exec_lo
	s_delay_alu instid0(VALU_DEP_1) | instskip(NEXT) | instid1(VALU_DEP_1)
	v_and_b32_e32 v114, 0xff, v0
	v_cmpx_ne_u16_e32 0, v114
	s_cbranch_execz .LBB309_2019
; %bb.2012:                             ;   in Loop: Header=BB309_1567 Depth=1
	v_mov_b32_e32 v32, 0x8000
	s_mov_b32 s14, exec_lo
	v_cmpx_ne_u16_e32 0x80, v114
	s_cbranch_execz .LBB309_2018
; %bb.2013:                             ;   in Loop: Header=BB309_1567 Depth=1
	v_bfe_u32 v115, v10, 16, 7
	v_mov_b32_e32 v32, 0x7c01
	s_mov_b32 s15, exec_lo
	s_delay_alu instid0(VALU_DEP_2)
	v_cmpx_ne_u32_e32 0x7f, v115
	s_cbranch_execz .LBB309_2017
; %bb.2014:                             ;   in Loop: Header=BB309_1567 Depth=1
	v_and_b32_e32 v32, 7, v0
	v_lshrrev_b32_e32 v114, 3, v115
	s_mov_b32 s16, exec_lo
	v_cmpx_gt_u32_e32 8, v115
; %bb.2015:                             ;   in Loop: Header=BB309_1567 Depth=1
	s_delay_alu instid0(VALU_DEP_3) | instskip(NEXT) | instid1(VALU_DEP_1)
	v_clz_i32_u32_e32 v6, v32
	v_min_u32_e32 v6, 32, v6
	s_delay_alu instid0(VALU_DEP_1) | instskip(SKIP_1) | instid1(VALU_DEP_2)
	v_subrev_nc_u32_e32 v32, 28, v6
	v_sub_nc_u32_e32 v114, 29, v6
	v_lshlrev_b64_e32 v[115:116], v32, v[0:1]
	s_delay_alu instid0(VALU_DEP_1)
	v_and_b32_e32 v32, 7, v115
; %bb.2016:                             ;   in Loop: Header=BB309_1567 Depth=1
	s_wait_alu 0xfffe
	s_or_b32 exec_lo, exec_lo, s16
	v_lshlrev_b32_e32 v0, 8, v0
	v_lshl_add_u32 v6, v114, 10, 0x2000
	v_lshlrev_b32_e32 v32, 7, v32
	s_delay_alu instid0(VALU_DEP_3) | instskip(NEXT) | instid1(VALU_DEP_3)
	v_and_b32_e32 v0, 0x8000, v0
	v_and_b32_e32 v6, 0xfc00, v6
	s_delay_alu instid0(VALU_DEP_1)
	v_or3_b32 v32, v0, v6, v32
.LBB309_2017:                           ;   in Loop: Header=BB309_1567 Depth=1
	s_wait_alu 0xfffe
	s_or_b32 exec_lo, exec_lo, s15
.LBB309_2018:                           ;   in Loop: Header=BB309_1567 Depth=1
	s_wait_alu 0xfffe
	s_or_b32 exec_lo, exec_lo, s14
.LBB309_2019:                           ;   in Loop: Header=BB309_1567 Depth=1
	s_wait_alu 0xfffe
	s_or_b32 exec_lo, exec_lo, s13
	v_cmp_lt_u64_e64 s0, s[8:9], v[9:10]
	v_mov_b32_e32 v9, 0
	s_and_saveexec_b32 s13, s0
	s_cbranch_execz .LBB309_2027
; %bb.2020:                             ;   in Loop: Header=BB309_1567 Depth=1
	v_lshrrev_b32_e32 v0, 24, v10
	v_bfrev_b32_e32 v9, 1
	s_mov_b32 s14, exec_lo
	s_delay_alu instid0(VALU_DEP_2)
	v_cmpx_ne_u32_e32 0x80, v0
	s_cbranch_execz .LBB309_2026
; %bb.2021:                             ;   in Loop: Header=BB309_1567 Depth=1
	v_and_b32_e32 v114, 0x7f, v0
	v_mov_b32_e32 v9, 0x7c010000
	s_mov_b32 s15, exec_lo
	s_delay_alu instid0(VALU_DEP_2)
	v_cmpx_ne_u32_e32 0x7f, v114
	s_cbranch_execz .LBB309_2025
; %bb.2022:                             ;   in Loop: Header=BB309_1567 Depth=1
	v_and_b32_e32 v9, 7, v0
	v_lshrrev_b32_e32 v10, 3, v114
	s_mov_b32 s16, exec_lo
	v_cmpx_gt_u32_e32 8, v114
; %bb.2023:                             ;   in Loop: Header=BB309_1567 Depth=1
	s_delay_alu instid0(VALU_DEP_3) | instskip(NEXT) | instid1(VALU_DEP_1)
	v_clz_i32_u32_e32 v6, v9
	v_min_u32_e32 v6, 32, v6
	s_delay_alu instid0(VALU_DEP_1) | instskip(NEXT) | instid1(VALU_DEP_1)
	v_subrev_nc_u32_e32 v9, 28, v6
	v_lshlrev_b64_e32 v[9:10], v9, v[0:1]
	v_sub_nc_u32_e32 v10, 29, v6
	s_delay_alu instid0(VALU_DEP_2)
	v_and_b32_e32 v9, 7, v9
; %bb.2024:                             ;   in Loop: Header=BB309_1567 Depth=1
	s_wait_alu 0xfffe
	s_or_b32 exec_lo, exec_lo, s16
	v_lshlrev_b32_e32 v0, 8, v0
	v_lshl_add_u32 v6, v10, 10, 0x2000
	s_delay_alu instid0(VALU_DEP_1) | instskip(SKIP_1) | instid1(VALU_DEP_1)
	v_and_or_b32 v0, 0x8000, v0, v6
	v_lshlrev_b32_e32 v6, 23, v9
	v_lshl_or_b32 v9, v0, 16, v6
.LBB309_2025:                           ;   in Loop: Header=BB309_1567 Depth=1
	s_wait_alu 0xfffe
	s_or_b32 exec_lo, exec_lo, s15
.LBB309_2026:                           ;   in Loop: Header=BB309_1567 Depth=1
	s_wait_alu 0xfffe
	s_or_b32 exec_lo, exec_lo, s14
.LBB309_2027:                           ;   in Loop: Header=BB309_1567 Depth=1
	s_wait_alu 0xfffe
	s_or_b32 exec_lo, exec_lo, s13
	v_or_b32_e32 v0, v22, v23
	s_wait_loadcnt_dscnt 0x0
	v_fma_mixlo_f16 v6, v4, v22, 0 op_sel:[0,1,0] op_sel_hi:[0,1,0]
	v_or_b32_e32 v10, v5, v12
	v_or_b32_e32 v22, v113, v34
	;; [unrolled: 1-line block ×3, first 2 shown]
	v_fma_mixlo_f16 v5, v4, v5, 0 op_sel:[0,1,0] op_sel_hi:[0,1,0]
	v_fma_mixlo_f16 v23, v4, v0, 0 op_sel_hi:[0,1,0]
	v_lshlrev_b32_e32 v0, 16, v6
	v_fma_mixlo_f16 v6, v4, v10, 0 op_sel_hi:[0,1,0]
	v_fma_mixlo_f16 v10, v4, v113, 0 op_sel:[0,1,0] op_sel_hi:[0,1,0]
	v_fma_mixlo_f16 v22, v4, v22, 0 op_sel_hi:[0,1,0]
	v_fma_mixlo_f16 v34, v4, v9, 0 op_sel:[0,1,0] op_sel_hi:[0,1,0]
	v_fma_mixlo_f16 v32, v4, v32, 0 op_sel_hi:[0,1,0]
	v_lshlrev_b32_e32 v12, 16, v5
	v_and_b32_e32 v5, 0xffff, v23
	v_and_b32_e32 v114, 0xffff, v6
	v_lshlrev_b32_e32 v9, 16, v10
	v_and_b32_e32 v23, 0xffff, v22
	v_lshlrev_b32_e32 v4, 16, v34
	v_and_b32_e32 v10, 0xffff, v32
	v_or_b32_e32 v22, v0, v5
	v_or_b32_e32 v113, v12, v114
	;; [unrolled: 1-line block ×3, first 2 shown]
	s_delay_alu instid0(VALU_DEP_4)
	v_or_b32_e32 v32, v4, v10
	s_and_saveexec_b32 s13, vcc_lo
	s_cbranch_execz .LBB309_2029
; %bb.2028:                             ;   in Loop: Header=BB309_1567 Depth=1
	v_cmp_lt_i32_e64 s0, v17, v33
	s_wait_alu 0xf1ff
	s_delay_alu instid0(VALU_DEP_1) | instskip(SKIP_2) | instid1(VALU_DEP_1)
	v_cndmask_b32_e64 v6, 0, v114, s0
	v_cmp_lt_i32_e64 s0, v86, v33
	s_wait_alu 0xf1ff
	v_cndmask_b32_e64 v12, 0, v12, s0
	v_cmp_lt_i32_e64 s0, v85, v33
	s_delay_alu instid0(VALU_DEP_2) | instskip(SKIP_1) | instid1(VALU_DEP_2)
	v_or_b32_e32 v113, v6, v12
	s_wait_alu 0xf1ff
	v_cndmask_b32_e64 v5, 0, v5, s0
	v_cmp_lt_i32_e64 s0, v84, v33
	s_wait_alu 0xf1ff
	s_delay_alu instid0(VALU_DEP_1) | instskip(SKIP_1) | instid1(VALU_DEP_2)
	v_cndmask_b32_e64 v0, 0, v0, s0
	v_cmp_lt_i32_e64 s0, v83, v33
	v_or_b32_e32 v22, v5, v0
	s_wait_alu 0xf1ff
	s_delay_alu instid0(VALU_DEP_2) | instskip(SKIP_2) | instid1(VALU_DEP_1)
	v_cndmask_b32_e64 v23, 0, v23, s0
	v_cmp_lt_i32_e64 s0, v82, v33
	s_wait_alu 0xf1ff
	v_cndmask_b32_e64 v9, 0, v9, s0
	v_cmp_lt_i32_e64 s0, v81, v33
	s_delay_alu instid0(VALU_DEP_2) | instskip(SKIP_1) | instid1(VALU_DEP_2)
	v_or_b32_e32 v34, v23, v9
	s_wait_alu 0xf1ff
	v_cndmask_b32_e64 v10, 0, v10, s0
	v_cmp_lt_i32_e64 s0, v80, v33
	s_wait_alu 0xf1ff
	s_delay_alu instid0(VALU_DEP_1) | instskip(NEXT) | instid1(VALU_DEP_1)
	v_cndmask_b32_e64 v4, 0, v4, s0
	v_or_b32_e32 v32, v10, v4
.LBB309_2029:                           ;   in Loop: Header=BB309_1567 Depth=1
	s_wait_alu 0xfffe
	s_or_b32 exec_lo, exec_lo, s13
	;;#ASMSTART
	v_pk_mul_f16 v0, v69, v113;

	;;#ASMEND
	;;#ASMSTART
	v_pk_mul_f16 v4, v37, v22;

	;;#ASMEND
	;; [unrolled: 4-line block ×4, first 2 shown]
	;;#ASMSTART
	v_pk_add_f16 v0, v0, v4;

	;;#ASMEND
	;;#ASMSTART
	v_pk_add_f16 v0, v0, v5;

	;;#ASMEND
	;; [unrolled: 4-line block ×3, first 2 shown]
	v_dual_mov_b32 v5, 0 :: v_dual_and_b32 v4, 0xffff, v0
	v_lshrrev_b32_e32 v0, 16, v0
	;;#ASMSTART
	v_cvt_f32_f16 v113, v4;
	;;#ASMEND
	;;#ASMSTART
	v_cvt_f32_f16 v114, v0;
	;;#ASMEND
	flat_load_b64 v[9:10], v[7:8] offset:1792
	flat_load_b32 v4, v[26:27]
	v_mov_b32_e32 v12, 0
	s_mov_b32 s13, exec_lo
	s_wait_loadcnt_dscnt 0x101
	v_and_b32_e32 v0, 0xff, v9
	s_delay_alu instid0(VALU_DEP_1)
	v_cmpx_ne_u16_e32 0, v0
	s_cbranch_execz .LBB309_2037
; %bb.2030:                             ;   in Loop: Header=BB309_1567 Depth=1
	v_mov_b32_e32 v12, 0x8000
	s_mov_b32 s14, exec_lo
	v_cmpx_ne_u16_e32 0x80, v0
	s_cbranch_execz .LBB309_2036
; %bb.2031:                             ;   in Loop: Header=BB309_1567 Depth=1
	v_and_b32_e32 v22, 0x7f, v9
	v_mov_b32_e32 v12, 0x7c01
	s_mov_b32 s15, exec_lo
	s_delay_alu instid0(VALU_DEP_2)
	v_cmpx_ne_u32_e32 0x7f, v22
	s_cbranch_execz .LBB309_2035
; %bb.2032:                             ;   in Loop: Header=BB309_1567 Depth=1
	v_and_b32_e32 v0, 7, v9
	v_lshrrev_b32_e32 v12, 3, v22
	s_mov_b32 s16, exec_lo
	v_cmpx_gt_u32_e32 8, v22
; %bb.2033:                             ;   in Loop: Header=BB309_1567 Depth=1
	s_delay_alu instid0(VALU_DEP_3) | instskip(NEXT) | instid1(VALU_DEP_1)
	v_clz_i32_u32_e32 v0, v0
	v_min_u32_e32 v0, 32, v0
	s_delay_alu instid0(VALU_DEP_1) | instskip(SKIP_1) | instid1(VALU_DEP_2)
	v_subrev_nc_u32_e32 v6, 28, v0
	v_sub_nc_u32_e32 v12, 29, v0
	v_lshlrev_b64_e32 v[22:23], v6, v[9:10]
	s_delay_alu instid0(VALU_DEP_1)
	v_and_b32_e32 v0, 7, v22
; %bb.2034:                             ;   in Loop: Header=BB309_1567 Depth=1
	s_wait_alu 0xfffe
	s_or_b32 exec_lo, exec_lo, s16
	v_lshlrev_b32_e32 v6, 8, v9
	v_lshl_add_u32 v12, v12, 10, 0x2000
	v_lshlrev_b32_e32 v0, 7, v0
	s_delay_alu instid0(VALU_DEP_3) | instskip(NEXT) | instid1(VALU_DEP_3)
	v_and_b32_e32 v6, 0x8000, v6
	v_and_b32_e32 v12, 0xfc00, v12
	s_delay_alu instid0(VALU_DEP_1)
	v_or3_b32 v12, v6, v12, v0
.LBB309_2035:                           ;   in Loop: Header=BB309_1567 Depth=1
	s_wait_alu 0xfffe
	s_or_b32 exec_lo, exec_lo, s15
.LBB309_2036:                           ;   in Loop: Header=BB309_1567 Depth=1
	s_wait_alu 0xfffe
	s_or_b32 exec_lo, exec_lo, s14
.LBB309_2037:                           ;   in Loop: Header=BB309_1567 Depth=1
	s_wait_alu 0xfffe
	s_or_b32 exec_lo, exec_lo, s13
	v_lshrrev_b16 v0, 8, v9
	s_mov_b32 s13, exec_lo
	s_delay_alu instid0(VALU_DEP_1)
	v_cmpx_ne_u16_e32 0, v0
	s_cbranch_execz .LBB309_2045
; %bb.2038:                             ;   in Loop: Header=BB309_1567 Depth=1
	v_bfrev_b32_e32 v5, 1
	s_mov_b32 s14, exec_lo
	v_cmpx_ne_u16_e32 0x80, v0
	s_cbranch_execz .LBB309_2044
; %bb.2039:                             ;   in Loop: Header=BB309_1567 Depth=1
	v_and_b32_e32 v22, 0xffff, v0
	v_mov_b32_e32 v5, 0x7c010000
	s_mov_b32 s15, exec_lo
	s_delay_alu instid0(VALU_DEP_2) | instskip(NEXT) | instid1(VALU_DEP_1)
	v_and_b32_e32 v32, 0x7f, v22
	v_cmpx_ne_u32_e32 0x7f, v32
	s_cbranch_execz .LBB309_2043
; %bb.2040:                             ;   in Loop: Header=BB309_1567 Depth=1
	v_and_b32_e32 v5, 7, v22
	v_lshrrev_b32_e32 v23, 3, v32
	s_mov_b32 s16, exec_lo
	v_cmpx_gt_u32_e32 8, v32
; %bb.2041:                             ;   in Loop: Header=BB309_1567 Depth=1
	s_delay_alu instid0(VALU_DEP_3) | instskip(NEXT) | instid1(VALU_DEP_1)
	v_clz_i32_u32_e32 v5, v5
	v_min_u32_e32 v23, 32, v5
	s_delay_alu instid0(VALU_DEP_1) | instskip(SKIP_1) | instid1(VALU_DEP_2)
	v_subrev_nc_u32_e32 v5, 28, v23
	v_sub_nc_u32_e32 v23, 29, v23
	v_lshlrev_b64_e32 v[5:6], v5, v[0:1]
	s_delay_alu instid0(VALU_DEP_1)
	v_and_b32_e32 v5, 7, v5
; %bb.2042:                             ;   in Loop: Header=BB309_1567 Depth=1
	s_wait_alu 0xfffe
	s_or_b32 exec_lo, exec_lo, s16
	v_lshlrev_b32_e32 v0, 8, v22
	v_lshl_add_u32 v6, v23, 10, 0x2000
	v_lshlrev_b32_e32 v5, 23, v5
	s_delay_alu instid0(VALU_DEP_2) | instskip(NEXT) | instid1(VALU_DEP_1)
	v_and_or_b32 v0, 0x8000, v0, v6
	v_lshl_or_b32 v5, v0, 16, v5
.LBB309_2043:                           ;   in Loop: Header=BB309_1567 Depth=1
	s_wait_alu 0xfffe
	s_or_b32 exec_lo, exec_lo, s15
.LBB309_2044:                           ;   in Loop: Header=BB309_1567 Depth=1
	s_wait_alu 0xfffe
	s_or_b32 exec_lo, exec_lo, s14
.LBB309_2045:                           ;   in Loop: Header=BB309_1567 Depth=1
	s_wait_alu 0xfffe
	s_or_b32 exec_lo, exec_lo, s13
	v_lshrrev_b32_e32 v0, 16, v9
	v_mov_b32_e32 v22, 0
	s_mov_b32 s13, exec_lo
	s_delay_alu instid0(VALU_DEP_2) | instskip(NEXT) | instid1(VALU_DEP_1)
	v_dual_mov_b32 v23, 0 :: v_dual_and_b32 v32, 0xff, v0
	v_cmpx_ne_u16_e32 0, v32
	s_cbranch_execz .LBB309_2053
; %bb.2046:                             ;   in Loop: Header=BB309_1567 Depth=1
	v_mov_b32_e32 v23, 0x8000
	s_mov_b32 s14, exec_lo
	v_cmpx_ne_u16_e32 0x80, v32
	s_cbranch_execz .LBB309_2052
; %bb.2047:                             ;   in Loop: Header=BB309_1567 Depth=1
	v_bfe_u32 v34, v9, 16, 7
	v_mov_b32_e32 v23, 0x7c01
	s_mov_b32 s15, exec_lo
	s_delay_alu instid0(VALU_DEP_2)
	v_cmpx_ne_u32_e32 0x7f, v34
	s_cbranch_execz .LBB309_2051
; %bb.2048:                             ;   in Loop: Header=BB309_1567 Depth=1
	v_and_b32_e32 v23, 7, v0
	v_lshrrev_b32_e32 v32, 3, v34
	s_mov_b32 s16, exec_lo
	v_cmpx_gt_u32_e32 8, v34
; %bb.2049:                             ;   in Loop: Header=BB309_1567 Depth=1
	s_delay_alu instid0(VALU_DEP_3) | instskip(NEXT) | instid1(VALU_DEP_1)
	v_clz_i32_u32_e32 v6, v23
	v_min_u32_e32 v6, 32, v6
	s_delay_alu instid0(VALU_DEP_1) | instskip(SKIP_1) | instid1(VALU_DEP_2)
	v_subrev_nc_u32_e32 v23, 28, v6
	v_sub_nc_u32_e32 v32, 29, v6
	v_lshlrev_b64_e32 v[115:116], v23, v[0:1]
	s_delay_alu instid0(VALU_DEP_1)
	v_and_b32_e32 v23, 7, v115
; %bb.2050:                             ;   in Loop: Header=BB309_1567 Depth=1
	s_wait_alu 0xfffe
	s_or_b32 exec_lo, exec_lo, s16
	v_lshlrev_b32_e32 v0, 8, v0
	v_lshl_add_u32 v6, v32, 10, 0x2000
	v_lshlrev_b32_e32 v23, 7, v23
	s_delay_alu instid0(VALU_DEP_3) | instskip(NEXT) | instid1(VALU_DEP_3)
	v_and_b32_e32 v0, 0x8000, v0
	v_and_b32_e32 v6, 0xfc00, v6
	s_delay_alu instid0(VALU_DEP_1)
	v_or3_b32 v23, v0, v6, v23
.LBB309_2051:                           ;   in Loop: Header=BB309_1567 Depth=1
	s_wait_alu 0xfffe
	s_or_b32 exec_lo, exec_lo, s15
.LBB309_2052:                           ;   in Loop: Header=BB309_1567 Depth=1
	s_wait_alu 0xfffe
	s_or_b32 exec_lo, exec_lo, s14
.LBB309_2053:                           ;   in Loop: Header=BB309_1567 Depth=1
	s_wait_alu 0xfffe
	s_or_b32 exec_lo, exec_lo, s13
	s_delay_alu instid0(SALU_CYCLE_1)
	s_mov_b32 s13, exec_lo
	v_cmpx_lt_u32_e32 0xffffff, v9
	s_cbranch_execz .LBB309_2061
; %bb.2054:                             ;   in Loop: Header=BB309_1567 Depth=1
	v_lshrrev_b32_e32 v0, 24, v9
	v_bfrev_b32_e32 v22, 1
	s_mov_b32 s14, exec_lo
	s_delay_alu instid0(VALU_DEP_2)
	v_cmpx_ne_u32_e32 0x80, v0
	s_cbranch_execz .LBB309_2060
; %bb.2055:                             ;   in Loop: Header=BB309_1567 Depth=1
	v_and_b32_e32 v34, 0x7f, v0
	v_mov_b32_e32 v22, 0x7c010000
	s_mov_b32 s15, exec_lo
	s_delay_alu instid0(VALU_DEP_2)
	v_cmpx_ne_u32_e32 0x7f, v34
	s_cbranch_execz .LBB309_2059
; %bb.2056:                             ;   in Loop: Header=BB309_1567 Depth=1
	v_and_b32_e32 v22, 7, v0
	v_lshrrev_b32_e32 v32, 3, v34
	s_mov_b32 s16, exec_lo
	v_cmpx_gt_u32_e32 8, v34
; %bb.2057:                             ;   in Loop: Header=BB309_1567 Depth=1
	s_delay_alu instid0(VALU_DEP_3) | instskip(NEXT) | instid1(VALU_DEP_1)
	v_clz_i32_u32_e32 v6, v22
	v_min_u32_e32 v6, 32, v6
	s_delay_alu instid0(VALU_DEP_1) | instskip(SKIP_1) | instid1(VALU_DEP_2)
	v_subrev_nc_u32_e32 v22, 28, v6
	v_sub_nc_u32_e32 v32, 29, v6
	v_lshlrev_b64_e32 v[115:116], v22, v[0:1]
	s_delay_alu instid0(VALU_DEP_1)
	v_and_b32_e32 v22, 7, v115
; %bb.2058:                             ;   in Loop: Header=BB309_1567 Depth=1
	s_wait_alu 0xfffe
	s_or_b32 exec_lo, exec_lo, s16
	v_lshlrev_b32_e32 v0, 8, v0
	v_lshl_add_u32 v6, v32, 10, 0x2000
	s_delay_alu instid0(VALU_DEP_1) | instskip(SKIP_1) | instid1(VALU_DEP_1)
	v_and_or_b32 v0, 0x8000, v0, v6
	v_lshlrev_b32_e32 v6, 23, v22
	v_lshl_or_b32 v22, v0, 16, v6
.LBB309_2059:                           ;   in Loop: Header=BB309_1567 Depth=1
	s_wait_alu 0xfffe
	s_or_b32 exec_lo, exec_lo, s15
.LBB309_2060:                           ;   in Loop: Header=BB309_1567 Depth=1
	s_wait_alu 0xfffe
	s_or_b32 exec_lo, exec_lo, s14
.LBB309_2061:                           ;   in Loop: Header=BB309_1567 Depth=1
	s_wait_alu 0xfffe
	s_or_b32 exec_lo, exec_lo, s13
	v_dual_mov_b32 v0, v10 :: v_dual_and_b32 v115, 0xff, v10
	v_mov_b32_e32 v32, 0
	v_mov_b32_e32 v34, 0
	s_mov_b32 s13, exec_lo
	s_delay_alu instid0(VALU_DEP_3)
	v_cmpx_ne_u16_e32 0, v115
	s_cbranch_execz .LBB309_2069
; %bb.2062:                             ;   in Loop: Header=BB309_1567 Depth=1
	v_mov_b32_e32 v34, 0x8000
	s_mov_b32 s14, exec_lo
	v_cmpx_ne_u16_e32 0x80, v115
	s_cbranch_execz .LBB309_2068
; %bb.2063:                             ;   in Loop: Header=BB309_1567 Depth=1
	v_and_b32_e32 v116, 0x7f, v10
	v_mov_b32_e32 v34, 0x7c01
	s_mov_b32 s15, exec_lo
	s_delay_alu instid0(VALU_DEP_2)
	v_cmpx_ne_u32_e32 0x7f, v116
	s_cbranch_execz .LBB309_2067
; %bb.2064:                             ;   in Loop: Header=BB309_1567 Depth=1
	v_and_b32_e32 v34, 7, v10
	v_lshrrev_b32_e32 v115, 3, v116
	s_mov_b32 s16, exec_lo
	v_cmpx_gt_u32_e32 8, v116
; %bb.2065:                             ;   in Loop: Header=BB309_1567 Depth=1
	s_delay_alu instid0(VALU_DEP_3) | instskip(NEXT) | instid1(VALU_DEP_1)
	v_clz_i32_u32_e32 v6, v34
	v_min_u32_e32 v6, 32, v6
	s_delay_alu instid0(VALU_DEP_1) | instskip(SKIP_1) | instid1(VALU_DEP_2)
	v_subrev_nc_u32_e32 v34, 28, v6
	v_sub_nc_u32_e32 v115, 29, v6
	v_lshlrev_b64_e32 v[116:117], v34, v[0:1]
	s_delay_alu instid0(VALU_DEP_1)
	v_and_b32_e32 v34, 7, v116
; %bb.2066:                             ;   in Loop: Header=BB309_1567 Depth=1
	s_wait_alu 0xfffe
	s_or_b32 exec_lo, exec_lo, s16
	v_lshlrev_b32_e32 v6, 8, v10
	v_lshl_add_u32 v115, v115, 10, 0x2000
	v_lshlrev_b32_e32 v34, 7, v34
	s_delay_alu instid0(VALU_DEP_3) | instskip(NEXT) | instid1(VALU_DEP_3)
	v_and_b32_e32 v6, 0x8000, v6
	v_and_b32_e32 v115, 0xfc00, v115
	s_delay_alu instid0(VALU_DEP_1)
	v_or3_b32 v34, v6, v115, v34
.LBB309_2067:                           ;   in Loop: Header=BB309_1567 Depth=1
	s_wait_alu 0xfffe
	s_or_b32 exec_lo, exec_lo, s15
.LBB309_2068:                           ;   in Loop: Header=BB309_1567 Depth=1
	s_wait_alu 0xfffe
	s_or_b32 exec_lo, exec_lo, s14
.LBB309_2069:                           ;   in Loop: Header=BB309_1567 Depth=1
	s_wait_alu 0xfffe
	s_or_b32 exec_lo, exec_lo, s13
	v_lshrrev_b16 v0, 8, v0
	v_mov_b32_e32 v115, 0
	s_mov_b32 s13, exec_lo
	s_delay_alu instid0(VALU_DEP_2)
	v_cmpx_ne_u16_e32 0, v0
	s_cbranch_execz .LBB309_2077
; %bb.2070:                             ;   in Loop: Header=BB309_1567 Depth=1
	v_bfrev_b32_e32 v115, 1
	s_mov_b32 s14, exec_lo
	v_cmpx_ne_u16_e32 0x80, v0
	s_cbranch_execz .LBB309_2076
; %bb.2071:                             ;   in Loop: Header=BB309_1567 Depth=1
	v_and_b32_e32 v116, 0xffff, v0
	v_mov_b32_e32 v115, 0x7c010000
	s_mov_b32 s15, exec_lo
	s_delay_alu instid0(VALU_DEP_2) | instskip(NEXT) | instid1(VALU_DEP_1)
	v_and_b32_e32 v118, 0x7f, v116
	v_cmpx_ne_u32_e32 0x7f, v118
	s_cbranch_execz .LBB309_2075
; %bb.2072:                             ;   in Loop: Header=BB309_1567 Depth=1
	v_and_b32_e32 v115, 7, v116
	v_lshrrev_b32_e32 v117, 3, v118
	s_mov_b32 s16, exec_lo
	v_cmpx_gt_u32_e32 8, v118
; %bb.2073:                             ;   in Loop: Header=BB309_1567 Depth=1
	s_delay_alu instid0(VALU_DEP_3) | instskip(NEXT) | instid1(VALU_DEP_1)
	v_clz_i32_u32_e32 v6, v115
	v_min_u32_e32 v6, 32, v6
	s_delay_alu instid0(VALU_DEP_1) | instskip(SKIP_1) | instid1(VALU_DEP_2)
	v_subrev_nc_u32_e32 v115, 28, v6
	v_sub_nc_u32_e32 v117, 29, v6
	v_lshlrev_b64_e32 v[118:119], v115, v[0:1]
	s_delay_alu instid0(VALU_DEP_1)
	v_and_b32_e32 v115, 7, v118
; %bb.2074:                             ;   in Loop: Header=BB309_1567 Depth=1
	s_wait_alu 0xfffe
	s_or_b32 exec_lo, exec_lo, s16
	v_lshlrev_b32_e32 v0, 8, v116
	v_lshl_add_u32 v6, v117, 10, 0x2000
	s_delay_alu instid0(VALU_DEP_1) | instskip(SKIP_1) | instid1(VALU_DEP_1)
	v_and_or_b32 v0, 0x8000, v0, v6
	v_lshlrev_b32_e32 v6, 23, v115
	v_lshl_or_b32 v115, v0, 16, v6
.LBB309_2075:                           ;   in Loop: Header=BB309_1567 Depth=1
	s_wait_alu 0xfffe
	s_or_b32 exec_lo, exec_lo, s15
.LBB309_2076:                           ;   in Loop: Header=BB309_1567 Depth=1
	s_wait_alu 0xfffe
	s_or_b32 exec_lo, exec_lo, s14
.LBB309_2077:                           ;   in Loop: Header=BB309_1567 Depth=1
	s_wait_alu 0xfffe
	s_or_b32 exec_lo, exec_lo, s13
	v_lshrrev_b32_e32 v0, 16, v10
	s_mov_b32 s13, exec_lo
	s_delay_alu instid0(VALU_DEP_1) | instskip(NEXT) | instid1(VALU_DEP_1)
	v_and_b32_e32 v116, 0xff, v0
	v_cmpx_ne_u16_e32 0, v116
	s_cbranch_execz .LBB309_2085
; %bb.2078:                             ;   in Loop: Header=BB309_1567 Depth=1
	v_mov_b32_e32 v32, 0x8000
	s_mov_b32 s14, exec_lo
	v_cmpx_ne_u16_e32 0x80, v116
	s_cbranch_execz .LBB309_2084
; %bb.2079:                             ;   in Loop: Header=BB309_1567 Depth=1
	v_bfe_u32 v117, v10, 16, 7
	v_mov_b32_e32 v32, 0x7c01
	s_mov_b32 s15, exec_lo
	s_delay_alu instid0(VALU_DEP_2)
	v_cmpx_ne_u32_e32 0x7f, v117
	s_cbranch_execz .LBB309_2083
; %bb.2080:                             ;   in Loop: Header=BB309_1567 Depth=1
	v_and_b32_e32 v32, 7, v0
	v_lshrrev_b32_e32 v116, 3, v117
	s_mov_b32 s16, exec_lo
	v_cmpx_gt_u32_e32 8, v117
; %bb.2081:                             ;   in Loop: Header=BB309_1567 Depth=1
	s_delay_alu instid0(VALU_DEP_3) | instskip(NEXT) | instid1(VALU_DEP_1)
	v_clz_i32_u32_e32 v6, v32
	v_min_u32_e32 v6, 32, v6
	s_delay_alu instid0(VALU_DEP_1) | instskip(SKIP_1) | instid1(VALU_DEP_2)
	v_subrev_nc_u32_e32 v32, 28, v6
	v_sub_nc_u32_e32 v116, 29, v6
	v_lshlrev_b64_e32 v[117:118], v32, v[0:1]
	s_delay_alu instid0(VALU_DEP_1)
	v_and_b32_e32 v32, 7, v117
; %bb.2082:                             ;   in Loop: Header=BB309_1567 Depth=1
	s_wait_alu 0xfffe
	s_or_b32 exec_lo, exec_lo, s16
	v_lshlrev_b32_e32 v0, 8, v0
	v_lshl_add_u32 v6, v116, 10, 0x2000
	v_lshlrev_b32_e32 v32, 7, v32
	s_delay_alu instid0(VALU_DEP_3) | instskip(NEXT) | instid1(VALU_DEP_3)
	v_and_b32_e32 v0, 0x8000, v0
	v_and_b32_e32 v6, 0xfc00, v6
	s_delay_alu instid0(VALU_DEP_1)
	v_or3_b32 v32, v0, v6, v32
.LBB309_2083:                           ;   in Loop: Header=BB309_1567 Depth=1
	s_wait_alu 0xfffe
	s_or_b32 exec_lo, exec_lo, s15
.LBB309_2084:                           ;   in Loop: Header=BB309_1567 Depth=1
	s_wait_alu 0xfffe
	s_or_b32 exec_lo, exec_lo, s14
.LBB309_2085:                           ;   in Loop: Header=BB309_1567 Depth=1
	s_wait_alu 0xfffe
	s_or_b32 exec_lo, exec_lo, s13
	v_cmp_lt_u64_e64 s0, s[8:9], v[9:10]
	v_mov_b32_e32 v9, 0
	s_and_saveexec_b32 s13, s0
	s_cbranch_execz .LBB309_2093
; %bb.2086:                             ;   in Loop: Header=BB309_1567 Depth=1
	v_lshrrev_b32_e32 v0, 24, v10
	v_bfrev_b32_e32 v9, 1
	s_mov_b32 s14, exec_lo
	s_delay_alu instid0(VALU_DEP_2)
	v_cmpx_ne_u32_e32 0x80, v0
	s_cbranch_execz .LBB309_2092
; %bb.2087:                             ;   in Loop: Header=BB309_1567 Depth=1
	v_and_b32_e32 v116, 0x7f, v0
	v_mov_b32_e32 v9, 0x7c010000
	s_mov_b32 s15, exec_lo
	s_delay_alu instid0(VALU_DEP_2)
	v_cmpx_ne_u32_e32 0x7f, v116
	s_cbranch_execz .LBB309_2091
; %bb.2088:                             ;   in Loop: Header=BB309_1567 Depth=1
	v_and_b32_e32 v9, 7, v0
	v_lshrrev_b32_e32 v10, 3, v116
	s_mov_b32 s16, exec_lo
	v_cmpx_gt_u32_e32 8, v116
; %bb.2089:                             ;   in Loop: Header=BB309_1567 Depth=1
	s_delay_alu instid0(VALU_DEP_3) | instskip(NEXT) | instid1(VALU_DEP_1)
	v_clz_i32_u32_e32 v6, v9
	v_min_u32_e32 v6, 32, v6
	s_delay_alu instid0(VALU_DEP_1) | instskip(NEXT) | instid1(VALU_DEP_1)
	v_subrev_nc_u32_e32 v9, 28, v6
	v_lshlrev_b64_e32 v[9:10], v9, v[0:1]
	v_sub_nc_u32_e32 v10, 29, v6
	s_delay_alu instid0(VALU_DEP_2)
	v_and_b32_e32 v9, 7, v9
; %bb.2090:                             ;   in Loop: Header=BB309_1567 Depth=1
	s_wait_alu 0xfffe
	s_or_b32 exec_lo, exec_lo, s16
	v_lshlrev_b32_e32 v0, 8, v0
	v_lshl_add_u32 v6, v10, 10, 0x2000
	s_delay_alu instid0(VALU_DEP_1) | instskip(SKIP_1) | instid1(VALU_DEP_1)
	v_and_or_b32 v0, 0x8000, v0, v6
	v_lshlrev_b32_e32 v6, 23, v9
	v_lshl_or_b32 v9, v0, 16, v6
.LBB309_2091:                           ;   in Loop: Header=BB309_1567 Depth=1
	s_wait_alu 0xfffe
	s_or_b32 exec_lo, exec_lo, s15
.LBB309_2092:                           ;   in Loop: Header=BB309_1567 Depth=1
	s_wait_alu 0xfffe
	s_or_b32 exec_lo, exec_lo, s14
.LBB309_2093:                           ;   in Loop: Header=BB309_1567 Depth=1
	s_wait_alu 0xfffe
	s_or_b32 exec_lo, exec_lo, s13
	v_or_b32_e32 v0, v22, v23
	s_wait_loadcnt_dscnt 0x0
	v_fma_mixlo_f16 v6, v4, v22, 0 op_sel:[0,1,0] op_sel_hi:[0,1,0]
	v_or_b32_e32 v10, v5, v12
	v_or_b32_e32 v22, v115, v34
	v_or_b32_e32 v32, v9, v32
	v_fma_mixlo_f16 v5, v4, v5, 0 op_sel:[0,1,0] op_sel_hi:[0,1,0]
	v_fma_mixlo_f16 v23, v4, v0, 0 op_sel_hi:[0,1,0]
	v_lshlrev_b32_e32 v0, 16, v6
	v_fma_mixlo_f16 v6, v4, v10, 0 op_sel_hi:[0,1,0]
	v_fma_mixlo_f16 v10, v4, v115, 0 op_sel:[0,1,0] op_sel_hi:[0,1,0]
	v_fma_mixlo_f16 v22, v4, v22, 0 op_sel_hi:[0,1,0]
	v_fma_mixlo_f16 v34, v4, v9, 0 op_sel:[0,1,0] op_sel_hi:[0,1,0]
	v_fma_mixlo_f16 v32, v4, v32, 0 op_sel_hi:[0,1,0]
	v_lshlrev_b32_e32 v12, 16, v5
	v_and_b32_e32 v5, 0xffff, v23
	v_and_b32_e32 v116, 0xffff, v6
	v_lshlrev_b32_e32 v9, 16, v10
	v_and_b32_e32 v23, 0xffff, v22
	v_lshlrev_b32_e32 v4, 16, v34
	v_and_b32_e32 v10, 0xffff, v32
	v_or_b32_e32 v22, v0, v5
	v_or_b32_e32 v115, v12, v116
	;; [unrolled: 1-line block ×3, first 2 shown]
	s_delay_alu instid0(VALU_DEP_4)
	v_or_b32_e32 v32, v4, v10
	s_and_saveexec_b32 s13, vcc_lo
	s_cbranch_execz .LBB309_2095
; %bb.2094:                             ;   in Loop: Header=BB309_1567 Depth=1
	v_cmp_lt_i32_e64 s0, v17, v33
	s_wait_alu 0xf1ff
	s_delay_alu instid0(VALU_DEP_1) | instskip(SKIP_2) | instid1(VALU_DEP_1)
	v_cndmask_b32_e64 v6, 0, v116, s0
	v_cmp_lt_i32_e64 s0, v86, v33
	s_wait_alu 0xf1ff
	v_cndmask_b32_e64 v12, 0, v12, s0
	v_cmp_lt_i32_e64 s0, v85, v33
	s_delay_alu instid0(VALU_DEP_2) | instskip(SKIP_1) | instid1(VALU_DEP_2)
	v_or_b32_e32 v115, v6, v12
	s_wait_alu 0xf1ff
	v_cndmask_b32_e64 v5, 0, v5, s0
	v_cmp_lt_i32_e64 s0, v84, v33
	s_wait_alu 0xf1ff
	s_delay_alu instid0(VALU_DEP_1) | instskip(SKIP_1) | instid1(VALU_DEP_2)
	v_cndmask_b32_e64 v0, 0, v0, s0
	v_cmp_lt_i32_e64 s0, v83, v33
	v_or_b32_e32 v22, v5, v0
	s_wait_alu 0xf1ff
	s_delay_alu instid0(VALU_DEP_2) | instskip(SKIP_2) | instid1(VALU_DEP_1)
	v_cndmask_b32_e64 v23, 0, v23, s0
	v_cmp_lt_i32_e64 s0, v82, v33
	s_wait_alu 0xf1ff
	v_cndmask_b32_e64 v9, 0, v9, s0
	v_cmp_lt_i32_e64 s0, v81, v33
	s_delay_alu instid0(VALU_DEP_2) | instskip(SKIP_1) | instid1(VALU_DEP_2)
	v_or_b32_e32 v34, v23, v9
	s_wait_alu 0xf1ff
	v_cndmask_b32_e64 v10, 0, v10, s0
	v_cmp_lt_i32_e64 s0, v80, v33
	s_wait_alu 0xf1ff
	s_delay_alu instid0(VALU_DEP_1) | instskip(NEXT) | instid1(VALU_DEP_1)
	v_cndmask_b32_e64 v4, 0, v4, s0
	v_or_b32_e32 v32, v10, v4
.LBB309_2095:                           ;   in Loop: Header=BB309_1567 Depth=1
	s_wait_alu 0xfffe
	s_or_b32 exec_lo, exec_lo, s13
	;;#ASMSTART
	v_pk_mul_f16 v0, v69, v115;

	;;#ASMEND
	;;#ASMSTART
	v_pk_mul_f16 v4, v37, v22;

	;;#ASMEND
	;; [unrolled: 4-line block ×4, first 2 shown]
	;;#ASMSTART
	v_pk_add_f16 v0, v0, v4;

	;;#ASMEND
	;;#ASMSTART
	v_pk_add_f16 v0, v0, v5;

	;;#ASMEND
	;; [unrolled: 4-line block ×3, first 2 shown]
	v_dual_mov_b32 v5, 0 :: v_dual_and_b32 v4, 0xffff, v0
	v_lshrrev_b32_e32 v0, 16, v0
	;;#ASMSTART
	v_cvt_f32_f16 v115, v4;
	;;#ASMEND
	;;#ASMSTART
	v_cvt_f32_f16 v116, v0;
	;;#ASMEND
	flat_load_b64 v[9:10], v[7:8] offset:2048
	flat_load_b32 v4, v[26:27]
	v_mov_b32_e32 v12, 0
	s_mov_b32 s13, exec_lo
	s_wait_loadcnt_dscnt 0x101
	v_and_b32_e32 v0, 0xff, v9
	s_delay_alu instid0(VALU_DEP_1)
	v_cmpx_ne_u16_e32 0, v0
	s_cbranch_execz .LBB309_2103
; %bb.2096:                             ;   in Loop: Header=BB309_1567 Depth=1
	v_mov_b32_e32 v12, 0x8000
	s_mov_b32 s14, exec_lo
	v_cmpx_ne_u16_e32 0x80, v0
	s_cbranch_execz .LBB309_2102
; %bb.2097:                             ;   in Loop: Header=BB309_1567 Depth=1
	v_and_b32_e32 v22, 0x7f, v9
	v_mov_b32_e32 v12, 0x7c01
	s_mov_b32 s15, exec_lo
	s_delay_alu instid0(VALU_DEP_2)
	v_cmpx_ne_u32_e32 0x7f, v22
	s_cbranch_execz .LBB309_2101
; %bb.2098:                             ;   in Loop: Header=BB309_1567 Depth=1
	v_and_b32_e32 v0, 7, v9
	v_lshrrev_b32_e32 v12, 3, v22
	s_mov_b32 s16, exec_lo
	v_cmpx_gt_u32_e32 8, v22
; %bb.2099:                             ;   in Loop: Header=BB309_1567 Depth=1
	s_delay_alu instid0(VALU_DEP_3) | instskip(NEXT) | instid1(VALU_DEP_1)
	v_clz_i32_u32_e32 v0, v0
	v_min_u32_e32 v0, 32, v0
	s_delay_alu instid0(VALU_DEP_1) | instskip(SKIP_1) | instid1(VALU_DEP_2)
	v_subrev_nc_u32_e32 v6, 28, v0
	v_sub_nc_u32_e32 v12, 29, v0
	v_lshlrev_b64_e32 v[22:23], v6, v[9:10]
	s_delay_alu instid0(VALU_DEP_1)
	v_and_b32_e32 v0, 7, v22
; %bb.2100:                             ;   in Loop: Header=BB309_1567 Depth=1
	s_wait_alu 0xfffe
	s_or_b32 exec_lo, exec_lo, s16
	v_lshlrev_b32_e32 v6, 8, v9
	v_lshl_add_u32 v12, v12, 10, 0x2000
	v_lshlrev_b32_e32 v0, 7, v0
	s_delay_alu instid0(VALU_DEP_3) | instskip(NEXT) | instid1(VALU_DEP_3)
	v_and_b32_e32 v6, 0x8000, v6
	v_and_b32_e32 v12, 0xfc00, v12
	s_delay_alu instid0(VALU_DEP_1)
	v_or3_b32 v12, v6, v12, v0
.LBB309_2101:                           ;   in Loop: Header=BB309_1567 Depth=1
	s_wait_alu 0xfffe
	s_or_b32 exec_lo, exec_lo, s15
.LBB309_2102:                           ;   in Loop: Header=BB309_1567 Depth=1
	s_wait_alu 0xfffe
	s_or_b32 exec_lo, exec_lo, s14
.LBB309_2103:                           ;   in Loop: Header=BB309_1567 Depth=1
	s_wait_alu 0xfffe
	s_or_b32 exec_lo, exec_lo, s13
	v_lshrrev_b16 v0, 8, v9
	s_mov_b32 s13, exec_lo
	s_delay_alu instid0(VALU_DEP_1)
	v_cmpx_ne_u16_e32 0, v0
	s_cbranch_execz .LBB309_2111
; %bb.2104:                             ;   in Loop: Header=BB309_1567 Depth=1
	v_bfrev_b32_e32 v5, 1
	s_mov_b32 s14, exec_lo
	v_cmpx_ne_u16_e32 0x80, v0
	s_cbranch_execz .LBB309_2110
; %bb.2105:                             ;   in Loop: Header=BB309_1567 Depth=1
	v_and_b32_e32 v22, 0xffff, v0
	v_mov_b32_e32 v5, 0x7c010000
	s_mov_b32 s15, exec_lo
	s_delay_alu instid0(VALU_DEP_2) | instskip(NEXT) | instid1(VALU_DEP_1)
	v_and_b32_e32 v32, 0x7f, v22
	v_cmpx_ne_u32_e32 0x7f, v32
	s_cbranch_execz .LBB309_2109
; %bb.2106:                             ;   in Loop: Header=BB309_1567 Depth=1
	v_and_b32_e32 v5, 7, v22
	v_lshrrev_b32_e32 v23, 3, v32
	s_mov_b32 s16, exec_lo
	v_cmpx_gt_u32_e32 8, v32
; %bb.2107:                             ;   in Loop: Header=BB309_1567 Depth=1
	s_delay_alu instid0(VALU_DEP_3) | instskip(NEXT) | instid1(VALU_DEP_1)
	v_clz_i32_u32_e32 v5, v5
	v_min_u32_e32 v23, 32, v5
	s_delay_alu instid0(VALU_DEP_1) | instskip(SKIP_1) | instid1(VALU_DEP_2)
	v_subrev_nc_u32_e32 v5, 28, v23
	v_sub_nc_u32_e32 v23, 29, v23
	v_lshlrev_b64_e32 v[5:6], v5, v[0:1]
	s_delay_alu instid0(VALU_DEP_1)
	v_and_b32_e32 v5, 7, v5
; %bb.2108:                             ;   in Loop: Header=BB309_1567 Depth=1
	s_wait_alu 0xfffe
	s_or_b32 exec_lo, exec_lo, s16
	v_lshlrev_b32_e32 v0, 8, v22
	v_lshl_add_u32 v6, v23, 10, 0x2000
	v_lshlrev_b32_e32 v5, 23, v5
	s_delay_alu instid0(VALU_DEP_2) | instskip(NEXT) | instid1(VALU_DEP_1)
	v_and_or_b32 v0, 0x8000, v0, v6
	v_lshl_or_b32 v5, v0, 16, v5
.LBB309_2109:                           ;   in Loop: Header=BB309_1567 Depth=1
	s_wait_alu 0xfffe
	s_or_b32 exec_lo, exec_lo, s15
.LBB309_2110:                           ;   in Loop: Header=BB309_1567 Depth=1
	s_wait_alu 0xfffe
	s_or_b32 exec_lo, exec_lo, s14
.LBB309_2111:                           ;   in Loop: Header=BB309_1567 Depth=1
	s_wait_alu 0xfffe
	s_or_b32 exec_lo, exec_lo, s13
	v_lshrrev_b32_e32 v0, 16, v9
	v_mov_b32_e32 v22, 0
	s_mov_b32 s13, exec_lo
	s_delay_alu instid0(VALU_DEP_2) | instskip(NEXT) | instid1(VALU_DEP_1)
	v_dual_mov_b32 v23, 0 :: v_dual_and_b32 v32, 0xff, v0
	v_cmpx_ne_u16_e32 0, v32
	s_cbranch_execz .LBB309_2119
; %bb.2112:                             ;   in Loop: Header=BB309_1567 Depth=1
	v_mov_b32_e32 v23, 0x8000
	s_mov_b32 s14, exec_lo
	v_cmpx_ne_u16_e32 0x80, v32
	s_cbranch_execz .LBB309_2118
; %bb.2113:                             ;   in Loop: Header=BB309_1567 Depth=1
	v_bfe_u32 v34, v9, 16, 7
	v_mov_b32_e32 v23, 0x7c01
	s_mov_b32 s15, exec_lo
	s_delay_alu instid0(VALU_DEP_2)
	v_cmpx_ne_u32_e32 0x7f, v34
	s_cbranch_execz .LBB309_2117
; %bb.2114:                             ;   in Loop: Header=BB309_1567 Depth=1
	v_and_b32_e32 v23, 7, v0
	v_lshrrev_b32_e32 v32, 3, v34
	s_mov_b32 s16, exec_lo
	v_cmpx_gt_u32_e32 8, v34
; %bb.2115:                             ;   in Loop: Header=BB309_1567 Depth=1
	s_delay_alu instid0(VALU_DEP_3) | instskip(NEXT) | instid1(VALU_DEP_1)
	v_clz_i32_u32_e32 v6, v23
	v_min_u32_e32 v6, 32, v6
	s_delay_alu instid0(VALU_DEP_1) | instskip(SKIP_1) | instid1(VALU_DEP_2)
	v_subrev_nc_u32_e32 v23, 28, v6
	v_sub_nc_u32_e32 v32, 29, v6
	v_lshlrev_b64_e32 v[117:118], v23, v[0:1]
	s_delay_alu instid0(VALU_DEP_1)
	v_and_b32_e32 v23, 7, v117
; %bb.2116:                             ;   in Loop: Header=BB309_1567 Depth=1
	s_wait_alu 0xfffe
	s_or_b32 exec_lo, exec_lo, s16
	v_lshlrev_b32_e32 v0, 8, v0
	v_lshl_add_u32 v6, v32, 10, 0x2000
	v_lshlrev_b32_e32 v23, 7, v23
	s_delay_alu instid0(VALU_DEP_3) | instskip(NEXT) | instid1(VALU_DEP_3)
	v_and_b32_e32 v0, 0x8000, v0
	v_and_b32_e32 v6, 0xfc00, v6
	s_delay_alu instid0(VALU_DEP_1)
	v_or3_b32 v23, v0, v6, v23
.LBB309_2117:                           ;   in Loop: Header=BB309_1567 Depth=1
	s_wait_alu 0xfffe
	s_or_b32 exec_lo, exec_lo, s15
.LBB309_2118:                           ;   in Loop: Header=BB309_1567 Depth=1
	s_wait_alu 0xfffe
	s_or_b32 exec_lo, exec_lo, s14
.LBB309_2119:                           ;   in Loop: Header=BB309_1567 Depth=1
	s_wait_alu 0xfffe
	s_or_b32 exec_lo, exec_lo, s13
	s_delay_alu instid0(SALU_CYCLE_1)
	s_mov_b32 s13, exec_lo
	v_cmpx_lt_u32_e32 0xffffff, v9
	s_cbranch_execz .LBB309_2127
; %bb.2120:                             ;   in Loop: Header=BB309_1567 Depth=1
	v_lshrrev_b32_e32 v0, 24, v9
	v_bfrev_b32_e32 v22, 1
	s_mov_b32 s14, exec_lo
	s_delay_alu instid0(VALU_DEP_2)
	v_cmpx_ne_u32_e32 0x80, v0
	s_cbranch_execz .LBB309_2126
; %bb.2121:                             ;   in Loop: Header=BB309_1567 Depth=1
	v_and_b32_e32 v34, 0x7f, v0
	v_mov_b32_e32 v22, 0x7c010000
	s_mov_b32 s15, exec_lo
	s_delay_alu instid0(VALU_DEP_2)
	v_cmpx_ne_u32_e32 0x7f, v34
	s_cbranch_execz .LBB309_2125
; %bb.2122:                             ;   in Loop: Header=BB309_1567 Depth=1
	v_and_b32_e32 v22, 7, v0
	v_lshrrev_b32_e32 v32, 3, v34
	s_mov_b32 s16, exec_lo
	v_cmpx_gt_u32_e32 8, v34
; %bb.2123:                             ;   in Loop: Header=BB309_1567 Depth=1
	s_delay_alu instid0(VALU_DEP_3) | instskip(NEXT) | instid1(VALU_DEP_1)
	v_clz_i32_u32_e32 v6, v22
	v_min_u32_e32 v6, 32, v6
	s_delay_alu instid0(VALU_DEP_1) | instskip(SKIP_1) | instid1(VALU_DEP_2)
	v_subrev_nc_u32_e32 v22, 28, v6
	v_sub_nc_u32_e32 v32, 29, v6
	v_lshlrev_b64_e32 v[117:118], v22, v[0:1]
	s_delay_alu instid0(VALU_DEP_1)
	v_and_b32_e32 v22, 7, v117
; %bb.2124:                             ;   in Loop: Header=BB309_1567 Depth=1
	s_wait_alu 0xfffe
	s_or_b32 exec_lo, exec_lo, s16
	v_lshlrev_b32_e32 v0, 8, v0
	v_lshl_add_u32 v6, v32, 10, 0x2000
	s_delay_alu instid0(VALU_DEP_1) | instskip(SKIP_1) | instid1(VALU_DEP_1)
	v_and_or_b32 v0, 0x8000, v0, v6
	v_lshlrev_b32_e32 v6, 23, v22
	v_lshl_or_b32 v22, v0, 16, v6
.LBB309_2125:                           ;   in Loop: Header=BB309_1567 Depth=1
	s_wait_alu 0xfffe
	s_or_b32 exec_lo, exec_lo, s15
.LBB309_2126:                           ;   in Loop: Header=BB309_1567 Depth=1
	s_wait_alu 0xfffe
	s_or_b32 exec_lo, exec_lo, s14
.LBB309_2127:                           ;   in Loop: Header=BB309_1567 Depth=1
	s_wait_alu 0xfffe
	s_or_b32 exec_lo, exec_lo, s13
	v_dual_mov_b32 v0, v10 :: v_dual_and_b32 v117, 0xff, v10
	v_mov_b32_e32 v32, 0
	v_mov_b32_e32 v34, 0
	s_mov_b32 s13, exec_lo
	s_delay_alu instid0(VALU_DEP_3)
	v_cmpx_ne_u16_e32 0, v117
	s_cbranch_execz .LBB309_2135
; %bb.2128:                             ;   in Loop: Header=BB309_1567 Depth=1
	v_mov_b32_e32 v34, 0x8000
	s_mov_b32 s14, exec_lo
	v_cmpx_ne_u16_e32 0x80, v117
	s_cbranch_execz .LBB309_2134
; %bb.2129:                             ;   in Loop: Header=BB309_1567 Depth=1
	v_and_b32_e32 v118, 0x7f, v10
	v_mov_b32_e32 v34, 0x7c01
	s_mov_b32 s15, exec_lo
	s_delay_alu instid0(VALU_DEP_2)
	v_cmpx_ne_u32_e32 0x7f, v118
	s_cbranch_execz .LBB309_2133
; %bb.2130:                             ;   in Loop: Header=BB309_1567 Depth=1
	v_and_b32_e32 v34, 7, v10
	v_lshrrev_b32_e32 v117, 3, v118
	s_mov_b32 s16, exec_lo
	v_cmpx_gt_u32_e32 8, v118
; %bb.2131:                             ;   in Loop: Header=BB309_1567 Depth=1
	s_delay_alu instid0(VALU_DEP_3) | instskip(NEXT) | instid1(VALU_DEP_1)
	v_clz_i32_u32_e32 v6, v34
	v_min_u32_e32 v6, 32, v6
	s_delay_alu instid0(VALU_DEP_1) | instskip(SKIP_1) | instid1(VALU_DEP_2)
	v_subrev_nc_u32_e32 v34, 28, v6
	v_sub_nc_u32_e32 v117, 29, v6
	v_lshlrev_b64_e32 v[118:119], v34, v[0:1]
	s_delay_alu instid0(VALU_DEP_1)
	v_and_b32_e32 v34, 7, v118
; %bb.2132:                             ;   in Loop: Header=BB309_1567 Depth=1
	s_wait_alu 0xfffe
	s_or_b32 exec_lo, exec_lo, s16
	v_lshlrev_b32_e32 v6, 8, v10
	v_lshl_add_u32 v117, v117, 10, 0x2000
	v_lshlrev_b32_e32 v34, 7, v34
	s_delay_alu instid0(VALU_DEP_3) | instskip(NEXT) | instid1(VALU_DEP_3)
	v_and_b32_e32 v6, 0x8000, v6
	v_and_b32_e32 v117, 0xfc00, v117
	s_delay_alu instid0(VALU_DEP_1)
	v_or3_b32 v34, v6, v117, v34
.LBB309_2133:                           ;   in Loop: Header=BB309_1567 Depth=1
	s_wait_alu 0xfffe
	s_or_b32 exec_lo, exec_lo, s15
.LBB309_2134:                           ;   in Loop: Header=BB309_1567 Depth=1
	s_wait_alu 0xfffe
	s_or_b32 exec_lo, exec_lo, s14
.LBB309_2135:                           ;   in Loop: Header=BB309_1567 Depth=1
	s_wait_alu 0xfffe
	s_or_b32 exec_lo, exec_lo, s13
	v_lshrrev_b16 v0, 8, v0
	v_mov_b32_e32 v117, 0
	s_mov_b32 s13, exec_lo
	s_delay_alu instid0(VALU_DEP_2)
	v_cmpx_ne_u16_e32 0, v0
	s_cbranch_execz .LBB309_2143
; %bb.2136:                             ;   in Loop: Header=BB309_1567 Depth=1
	v_bfrev_b32_e32 v117, 1
	s_mov_b32 s14, exec_lo
	v_cmpx_ne_u16_e32 0x80, v0
	s_cbranch_execz .LBB309_2142
; %bb.2137:                             ;   in Loop: Header=BB309_1567 Depth=1
	v_and_b32_e32 v118, 0xffff, v0
	v_mov_b32_e32 v117, 0x7c010000
	s_mov_b32 s15, exec_lo
	s_delay_alu instid0(VALU_DEP_2) | instskip(NEXT) | instid1(VALU_DEP_1)
	v_and_b32_e32 v128, 0x7f, v118
	v_cmpx_ne_u32_e32 0x7f, v128
	s_cbranch_execz .LBB309_2141
; %bb.2138:                             ;   in Loop: Header=BB309_1567 Depth=1
	v_and_b32_e32 v117, 7, v118
	v_lshrrev_b32_e32 v119, 3, v128
	s_mov_b32 s16, exec_lo
	v_cmpx_gt_u32_e32 8, v128
; %bb.2139:                             ;   in Loop: Header=BB309_1567 Depth=1
	s_delay_alu instid0(VALU_DEP_3) | instskip(NEXT) | instid1(VALU_DEP_1)
	v_clz_i32_u32_e32 v6, v117
	v_min_u32_e32 v6, 32, v6
	s_delay_alu instid0(VALU_DEP_1) | instskip(SKIP_1) | instid1(VALU_DEP_2)
	v_subrev_nc_u32_e32 v117, 28, v6
	v_sub_nc_u32_e32 v119, 29, v6
	v_lshlrev_b64_e32 v[128:129], v117, v[0:1]
	s_delay_alu instid0(VALU_DEP_1)
	v_and_b32_e32 v117, 7, v128
; %bb.2140:                             ;   in Loop: Header=BB309_1567 Depth=1
	s_wait_alu 0xfffe
	s_or_b32 exec_lo, exec_lo, s16
	v_lshlrev_b32_e32 v0, 8, v118
	v_lshl_add_u32 v6, v119, 10, 0x2000
	s_delay_alu instid0(VALU_DEP_1) | instskip(SKIP_1) | instid1(VALU_DEP_1)
	v_and_or_b32 v0, 0x8000, v0, v6
	v_lshlrev_b32_e32 v6, 23, v117
	v_lshl_or_b32 v117, v0, 16, v6
.LBB309_2141:                           ;   in Loop: Header=BB309_1567 Depth=1
	s_wait_alu 0xfffe
	s_or_b32 exec_lo, exec_lo, s15
.LBB309_2142:                           ;   in Loop: Header=BB309_1567 Depth=1
	s_wait_alu 0xfffe
	s_or_b32 exec_lo, exec_lo, s14
.LBB309_2143:                           ;   in Loop: Header=BB309_1567 Depth=1
	s_wait_alu 0xfffe
	s_or_b32 exec_lo, exec_lo, s13
	v_lshrrev_b32_e32 v0, 16, v10
	s_mov_b32 s13, exec_lo
	s_delay_alu instid0(VALU_DEP_1) | instskip(NEXT) | instid1(VALU_DEP_1)
	v_and_b32_e32 v118, 0xff, v0
	v_cmpx_ne_u16_e32 0, v118
	s_cbranch_execz .LBB309_2151
; %bb.2144:                             ;   in Loop: Header=BB309_1567 Depth=1
	v_mov_b32_e32 v32, 0x8000
	s_mov_b32 s14, exec_lo
	v_cmpx_ne_u16_e32 0x80, v118
	s_cbranch_execz .LBB309_2150
; %bb.2145:                             ;   in Loop: Header=BB309_1567 Depth=1
	v_bfe_u32 v119, v10, 16, 7
	v_mov_b32_e32 v32, 0x7c01
	s_mov_b32 s15, exec_lo
	s_delay_alu instid0(VALU_DEP_2)
	v_cmpx_ne_u32_e32 0x7f, v119
	s_cbranch_execz .LBB309_2149
; %bb.2146:                             ;   in Loop: Header=BB309_1567 Depth=1
	v_and_b32_e32 v32, 7, v0
	v_lshrrev_b32_e32 v118, 3, v119
	s_mov_b32 s16, exec_lo
	v_cmpx_gt_u32_e32 8, v119
; %bb.2147:                             ;   in Loop: Header=BB309_1567 Depth=1
	s_delay_alu instid0(VALU_DEP_3) | instskip(NEXT) | instid1(VALU_DEP_1)
	v_clz_i32_u32_e32 v6, v32
	v_min_u32_e32 v6, 32, v6
	s_delay_alu instid0(VALU_DEP_1) | instskip(SKIP_1) | instid1(VALU_DEP_2)
	v_subrev_nc_u32_e32 v32, 28, v6
	v_sub_nc_u32_e32 v118, 29, v6
	v_lshlrev_b64_e32 v[128:129], v32, v[0:1]
	s_delay_alu instid0(VALU_DEP_1)
	v_and_b32_e32 v32, 7, v128
; %bb.2148:                             ;   in Loop: Header=BB309_1567 Depth=1
	s_wait_alu 0xfffe
	s_or_b32 exec_lo, exec_lo, s16
	v_lshlrev_b32_e32 v0, 8, v0
	v_lshl_add_u32 v6, v118, 10, 0x2000
	v_lshlrev_b32_e32 v32, 7, v32
	s_delay_alu instid0(VALU_DEP_3) | instskip(NEXT) | instid1(VALU_DEP_3)
	v_and_b32_e32 v0, 0x8000, v0
	v_and_b32_e32 v6, 0xfc00, v6
	s_delay_alu instid0(VALU_DEP_1)
	v_or3_b32 v32, v0, v6, v32
.LBB309_2149:                           ;   in Loop: Header=BB309_1567 Depth=1
	s_wait_alu 0xfffe
	s_or_b32 exec_lo, exec_lo, s15
.LBB309_2150:                           ;   in Loop: Header=BB309_1567 Depth=1
	s_wait_alu 0xfffe
	s_or_b32 exec_lo, exec_lo, s14
.LBB309_2151:                           ;   in Loop: Header=BB309_1567 Depth=1
	s_wait_alu 0xfffe
	s_or_b32 exec_lo, exec_lo, s13
	v_cmp_lt_u64_e64 s0, s[8:9], v[9:10]
	v_mov_b32_e32 v9, 0
	s_and_saveexec_b32 s13, s0
	s_cbranch_execz .LBB309_2159
; %bb.2152:                             ;   in Loop: Header=BB309_1567 Depth=1
	v_lshrrev_b32_e32 v0, 24, v10
	v_bfrev_b32_e32 v9, 1
	s_mov_b32 s14, exec_lo
	s_delay_alu instid0(VALU_DEP_2)
	v_cmpx_ne_u32_e32 0x80, v0
	s_cbranch_execz .LBB309_2158
; %bb.2153:                             ;   in Loop: Header=BB309_1567 Depth=1
	v_and_b32_e32 v118, 0x7f, v0
	v_mov_b32_e32 v9, 0x7c010000
	s_mov_b32 s15, exec_lo
	s_delay_alu instid0(VALU_DEP_2)
	v_cmpx_ne_u32_e32 0x7f, v118
	s_cbranch_execz .LBB309_2157
; %bb.2154:                             ;   in Loop: Header=BB309_1567 Depth=1
	v_and_b32_e32 v9, 7, v0
	v_lshrrev_b32_e32 v10, 3, v118
	s_mov_b32 s16, exec_lo
	v_cmpx_gt_u32_e32 8, v118
; %bb.2155:                             ;   in Loop: Header=BB309_1567 Depth=1
	s_delay_alu instid0(VALU_DEP_3) | instskip(NEXT) | instid1(VALU_DEP_1)
	v_clz_i32_u32_e32 v6, v9
	v_min_u32_e32 v6, 32, v6
	s_delay_alu instid0(VALU_DEP_1) | instskip(NEXT) | instid1(VALU_DEP_1)
	v_subrev_nc_u32_e32 v9, 28, v6
	v_lshlrev_b64_e32 v[9:10], v9, v[0:1]
	v_sub_nc_u32_e32 v10, 29, v6
	s_delay_alu instid0(VALU_DEP_2)
	v_and_b32_e32 v9, 7, v9
; %bb.2156:                             ;   in Loop: Header=BB309_1567 Depth=1
	s_wait_alu 0xfffe
	s_or_b32 exec_lo, exec_lo, s16
	v_lshlrev_b32_e32 v0, 8, v0
	v_lshl_add_u32 v6, v10, 10, 0x2000
	s_delay_alu instid0(VALU_DEP_1) | instskip(SKIP_1) | instid1(VALU_DEP_1)
	v_and_or_b32 v0, 0x8000, v0, v6
	v_lshlrev_b32_e32 v6, 23, v9
	v_lshl_or_b32 v9, v0, 16, v6
.LBB309_2157:                           ;   in Loop: Header=BB309_1567 Depth=1
	s_wait_alu 0xfffe
	s_or_b32 exec_lo, exec_lo, s15
.LBB309_2158:                           ;   in Loop: Header=BB309_1567 Depth=1
	s_wait_alu 0xfffe
	s_or_b32 exec_lo, exec_lo, s14
.LBB309_2159:                           ;   in Loop: Header=BB309_1567 Depth=1
	s_wait_alu 0xfffe
	s_or_b32 exec_lo, exec_lo, s13
	v_or_b32_e32 v0, v22, v23
	s_wait_loadcnt_dscnt 0x0
	v_fma_mixlo_f16 v6, v4, v22, 0 op_sel:[0,1,0] op_sel_hi:[0,1,0]
	v_or_b32_e32 v10, v5, v12
	v_or_b32_e32 v22, v117, v34
	;; [unrolled: 1-line block ×3, first 2 shown]
	v_fma_mixlo_f16 v5, v4, v5, 0 op_sel:[0,1,0] op_sel_hi:[0,1,0]
	v_fma_mixlo_f16 v23, v4, v0, 0 op_sel_hi:[0,1,0]
	v_lshlrev_b32_e32 v0, 16, v6
	v_fma_mixlo_f16 v6, v4, v10, 0 op_sel_hi:[0,1,0]
	v_fma_mixlo_f16 v10, v4, v117, 0 op_sel:[0,1,0] op_sel_hi:[0,1,0]
	v_fma_mixlo_f16 v22, v4, v22, 0 op_sel_hi:[0,1,0]
	v_fma_mixlo_f16 v34, v4, v9, 0 op_sel:[0,1,0] op_sel_hi:[0,1,0]
	v_fma_mixlo_f16 v32, v4, v32, 0 op_sel_hi:[0,1,0]
	v_lshlrev_b32_e32 v12, 16, v5
	v_and_b32_e32 v5, 0xffff, v23
	v_and_b32_e32 v118, 0xffff, v6
	v_lshlrev_b32_e32 v9, 16, v10
	v_and_b32_e32 v23, 0xffff, v22
	v_lshlrev_b32_e32 v4, 16, v34
	v_and_b32_e32 v10, 0xffff, v32
	v_or_b32_e32 v22, v0, v5
	v_or_b32_e32 v117, v12, v118
	;; [unrolled: 1-line block ×3, first 2 shown]
	s_delay_alu instid0(VALU_DEP_4)
	v_or_b32_e32 v32, v4, v10
	s_and_saveexec_b32 s13, vcc_lo
	s_cbranch_execz .LBB309_2161
; %bb.2160:                             ;   in Loop: Header=BB309_1567 Depth=1
	v_cmp_lt_i32_e64 s0, v17, v33
	s_wait_alu 0xf1ff
	s_delay_alu instid0(VALU_DEP_1) | instskip(SKIP_2) | instid1(VALU_DEP_1)
	v_cndmask_b32_e64 v6, 0, v118, s0
	v_cmp_lt_i32_e64 s0, v86, v33
	s_wait_alu 0xf1ff
	v_cndmask_b32_e64 v12, 0, v12, s0
	v_cmp_lt_i32_e64 s0, v85, v33
	s_delay_alu instid0(VALU_DEP_2) | instskip(SKIP_1) | instid1(VALU_DEP_2)
	v_or_b32_e32 v117, v6, v12
	s_wait_alu 0xf1ff
	v_cndmask_b32_e64 v5, 0, v5, s0
	v_cmp_lt_i32_e64 s0, v84, v33
	s_wait_alu 0xf1ff
	s_delay_alu instid0(VALU_DEP_1) | instskip(SKIP_1) | instid1(VALU_DEP_2)
	v_cndmask_b32_e64 v0, 0, v0, s0
	v_cmp_lt_i32_e64 s0, v83, v33
	v_or_b32_e32 v22, v5, v0
	s_wait_alu 0xf1ff
	s_delay_alu instid0(VALU_DEP_2) | instskip(SKIP_2) | instid1(VALU_DEP_1)
	v_cndmask_b32_e64 v23, 0, v23, s0
	v_cmp_lt_i32_e64 s0, v82, v33
	s_wait_alu 0xf1ff
	v_cndmask_b32_e64 v9, 0, v9, s0
	v_cmp_lt_i32_e64 s0, v81, v33
	s_delay_alu instid0(VALU_DEP_2) | instskip(SKIP_1) | instid1(VALU_DEP_2)
	v_or_b32_e32 v34, v23, v9
	s_wait_alu 0xf1ff
	v_cndmask_b32_e64 v10, 0, v10, s0
	v_cmp_lt_i32_e64 s0, v80, v33
	s_wait_alu 0xf1ff
	s_delay_alu instid0(VALU_DEP_1) | instskip(NEXT) | instid1(VALU_DEP_1)
	v_cndmask_b32_e64 v4, 0, v4, s0
	v_or_b32_e32 v32, v10, v4
.LBB309_2161:                           ;   in Loop: Header=BB309_1567 Depth=1
	s_wait_alu 0xfffe
	s_or_b32 exec_lo, exec_lo, s13
	;;#ASMSTART
	v_pk_mul_f16 v0, v69, v117;

	;;#ASMEND
	;;#ASMSTART
	v_pk_mul_f16 v4, v37, v22;

	;;#ASMEND
	;; [unrolled: 4-line block ×4, first 2 shown]
	;;#ASMSTART
	v_pk_add_f16 v0, v0, v4;

	;;#ASMEND
	;;#ASMSTART
	v_pk_add_f16 v0, v0, v5;

	;;#ASMEND
	;; [unrolled: 4-line block ×3, first 2 shown]
	v_dual_mov_b32 v5, 0 :: v_dual_and_b32 v4, 0xffff, v0
	v_lshrrev_b32_e32 v0, 16, v0
	;;#ASMSTART
	v_cvt_f32_f16 v117, v4;
	;;#ASMEND
	;;#ASMSTART
	v_cvt_f32_f16 v118, v0;
	;;#ASMEND
	flat_load_b64 v[9:10], v[7:8] offset:2304
	flat_load_b32 v4, v[26:27]
	v_mov_b32_e32 v12, 0
	s_mov_b32 s13, exec_lo
	s_wait_loadcnt_dscnt 0x101
	v_and_b32_e32 v0, 0xff, v9
	s_delay_alu instid0(VALU_DEP_1)
	v_cmpx_ne_u16_e32 0, v0
	s_cbranch_execz .LBB309_2169
; %bb.2162:                             ;   in Loop: Header=BB309_1567 Depth=1
	v_mov_b32_e32 v12, 0x8000
	s_mov_b32 s14, exec_lo
	v_cmpx_ne_u16_e32 0x80, v0
	s_cbranch_execz .LBB309_2168
; %bb.2163:                             ;   in Loop: Header=BB309_1567 Depth=1
	v_and_b32_e32 v22, 0x7f, v9
	v_mov_b32_e32 v12, 0x7c01
	s_mov_b32 s15, exec_lo
	s_delay_alu instid0(VALU_DEP_2)
	v_cmpx_ne_u32_e32 0x7f, v22
	s_cbranch_execz .LBB309_2167
; %bb.2164:                             ;   in Loop: Header=BB309_1567 Depth=1
	v_and_b32_e32 v0, 7, v9
	v_lshrrev_b32_e32 v12, 3, v22
	s_mov_b32 s16, exec_lo
	v_cmpx_gt_u32_e32 8, v22
; %bb.2165:                             ;   in Loop: Header=BB309_1567 Depth=1
	s_delay_alu instid0(VALU_DEP_3) | instskip(NEXT) | instid1(VALU_DEP_1)
	v_clz_i32_u32_e32 v0, v0
	v_min_u32_e32 v0, 32, v0
	s_delay_alu instid0(VALU_DEP_1) | instskip(SKIP_1) | instid1(VALU_DEP_2)
	v_subrev_nc_u32_e32 v6, 28, v0
	v_sub_nc_u32_e32 v12, 29, v0
	v_lshlrev_b64_e32 v[22:23], v6, v[9:10]
	s_delay_alu instid0(VALU_DEP_1)
	v_and_b32_e32 v0, 7, v22
; %bb.2166:                             ;   in Loop: Header=BB309_1567 Depth=1
	s_wait_alu 0xfffe
	s_or_b32 exec_lo, exec_lo, s16
	v_lshlrev_b32_e32 v6, 8, v9
	v_lshl_add_u32 v12, v12, 10, 0x2000
	v_lshlrev_b32_e32 v0, 7, v0
	s_delay_alu instid0(VALU_DEP_3) | instskip(NEXT) | instid1(VALU_DEP_3)
	v_and_b32_e32 v6, 0x8000, v6
	v_and_b32_e32 v12, 0xfc00, v12
	s_delay_alu instid0(VALU_DEP_1)
	v_or3_b32 v12, v6, v12, v0
.LBB309_2167:                           ;   in Loop: Header=BB309_1567 Depth=1
	s_wait_alu 0xfffe
	s_or_b32 exec_lo, exec_lo, s15
.LBB309_2168:                           ;   in Loop: Header=BB309_1567 Depth=1
	s_wait_alu 0xfffe
	s_or_b32 exec_lo, exec_lo, s14
.LBB309_2169:                           ;   in Loop: Header=BB309_1567 Depth=1
	s_wait_alu 0xfffe
	s_or_b32 exec_lo, exec_lo, s13
	v_lshrrev_b16 v0, 8, v9
	s_mov_b32 s13, exec_lo
	s_delay_alu instid0(VALU_DEP_1)
	v_cmpx_ne_u16_e32 0, v0
	s_cbranch_execz .LBB309_2177
; %bb.2170:                             ;   in Loop: Header=BB309_1567 Depth=1
	v_bfrev_b32_e32 v5, 1
	s_mov_b32 s14, exec_lo
	v_cmpx_ne_u16_e32 0x80, v0
	s_cbranch_execz .LBB309_2176
; %bb.2171:                             ;   in Loop: Header=BB309_1567 Depth=1
	v_and_b32_e32 v22, 0xffff, v0
	v_mov_b32_e32 v5, 0x7c010000
	s_mov_b32 s15, exec_lo
	s_delay_alu instid0(VALU_DEP_2) | instskip(NEXT) | instid1(VALU_DEP_1)
	v_and_b32_e32 v32, 0x7f, v22
	v_cmpx_ne_u32_e32 0x7f, v32
	s_cbranch_execz .LBB309_2175
; %bb.2172:                             ;   in Loop: Header=BB309_1567 Depth=1
	v_and_b32_e32 v5, 7, v22
	v_lshrrev_b32_e32 v23, 3, v32
	s_mov_b32 s16, exec_lo
	v_cmpx_gt_u32_e32 8, v32
; %bb.2173:                             ;   in Loop: Header=BB309_1567 Depth=1
	s_delay_alu instid0(VALU_DEP_3) | instskip(NEXT) | instid1(VALU_DEP_1)
	v_clz_i32_u32_e32 v5, v5
	v_min_u32_e32 v23, 32, v5
	s_delay_alu instid0(VALU_DEP_1) | instskip(SKIP_1) | instid1(VALU_DEP_2)
	v_subrev_nc_u32_e32 v5, 28, v23
	v_sub_nc_u32_e32 v23, 29, v23
	v_lshlrev_b64_e32 v[5:6], v5, v[0:1]
	s_delay_alu instid0(VALU_DEP_1)
	v_and_b32_e32 v5, 7, v5
; %bb.2174:                             ;   in Loop: Header=BB309_1567 Depth=1
	s_wait_alu 0xfffe
	s_or_b32 exec_lo, exec_lo, s16
	v_lshlrev_b32_e32 v0, 8, v22
	v_lshl_add_u32 v6, v23, 10, 0x2000
	v_lshlrev_b32_e32 v5, 23, v5
	s_delay_alu instid0(VALU_DEP_2) | instskip(NEXT) | instid1(VALU_DEP_1)
	v_and_or_b32 v0, 0x8000, v0, v6
	v_lshl_or_b32 v5, v0, 16, v5
.LBB309_2175:                           ;   in Loop: Header=BB309_1567 Depth=1
	s_wait_alu 0xfffe
	s_or_b32 exec_lo, exec_lo, s15
.LBB309_2176:                           ;   in Loop: Header=BB309_1567 Depth=1
	s_wait_alu 0xfffe
	s_or_b32 exec_lo, exec_lo, s14
.LBB309_2177:                           ;   in Loop: Header=BB309_1567 Depth=1
	s_wait_alu 0xfffe
	s_or_b32 exec_lo, exec_lo, s13
	v_lshrrev_b32_e32 v0, 16, v9
	v_mov_b32_e32 v22, 0
	s_mov_b32 s13, exec_lo
	s_delay_alu instid0(VALU_DEP_2) | instskip(NEXT) | instid1(VALU_DEP_1)
	v_dual_mov_b32 v23, 0 :: v_dual_and_b32 v32, 0xff, v0
	v_cmpx_ne_u16_e32 0, v32
	s_cbranch_execz .LBB309_2185
; %bb.2178:                             ;   in Loop: Header=BB309_1567 Depth=1
	v_mov_b32_e32 v23, 0x8000
	s_mov_b32 s14, exec_lo
	v_cmpx_ne_u16_e32 0x80, v32
	s_cbranch_execz .LBB309_2184
; %bb.2179:                             ;   in Loop: Header=BB309_1567 Depth=1
	v_bfe_u32 v34, v9, 16, 7
	v_mov_b32_e32 v23, 0x7c01
	s_mov_b32 s15, exec_lo
	s_delay_alu instid0(VALU_DEP_2)
	v_cmpx_ne_u32_e32 0x7f, v34
	s_cbranch_execz .LBB309_2183
; %bb.2180:                             ;   in Loop: Header=BB309_1567 Depth=1
	v_and_b32_e32 v23, 7, v0
	v_lshrrev_b32_e32 v32, 3, v34
	s_mov_b32 s16, exec_lo
	v_cmpx_gt_u32_e32 8, v34
; %bb.2181:                             ;   in Loop: Header=BB309_1567 Depth=1
	s_delay_alu instid0(VALU_DEP_3) | instskip(NEXT) | instid1(VALU_DEP_1)
	v_clz_i32_u32_e32 v6, v23
	v_min_u32_e32 v6, 32, v6
	s_delay_alu instid0(VALU_DEP_1) | instskip(SKIP_1) | instid1(VALU_DEP_2)
	v_subrev_nc_u32_e32 v23, 28, v6
	v_sub_nc_u32_e32 v32, 29, v6
	v_lshlrev_b64_e32 v[128:129], v23, v[0:1]
	s_delay_alu instid0(VALU_DEP_1)
	v_and_b32_e32 v23, 7, v128
; %bb.2182:                             ;   in Loop: Header=BB309_1567 Depth=1
	s_wait_alu 0xfffe
	s_or_b32 exec_lo, exec_lo, s16
	v_lshlrev_b32_e32 v0, 8, v0
	v_lshl_add_u32 v6, v32, 10, 0x2000
	v_lshlrev_b32_e32 v23, 7, v23
	s_delay_alu instid0(VALU_DEP_3) | instskip(NEXT) | instid1(VALU_DEP_3)
	v_and_b32_e32 v0, 0x8000, v0
	v_and_b32_e32 v6, 0xfc00, v6
	s_delay_alu instid0(VALU_DEP_1)
	v_or3_b32 v23, v0, v6, v23
.LBB309_2183:                           ;   in Loop: Header=BB309_1567 Depth=1
	s_wait_alu 0xfffe
	s_or_b32 exec_lo, exec_lo, s15
.LBB309_2184:                           ;   in Loop: Header=BB309_1567 Depth=1
	s_wait_alu 0xfffe
	s_or_b32 exec_lo, exec_lo, s14
.LBB309_2185:                           ;   in Loop: Header=BB309_1567 Depth=1
	s_wait_alu 0xfffe
	s_or_b32 exec_lo, exec_lo, s13
	s_delay_alu instid0(SALU_CYCLE_1)
	s_mov_b32 s13, exec_lo
	v_cmpx_lt_u32_e32 0xffffff, v9
	s_cbranch_execz .LBB309_2193
; %bb.2186:                             ;   in Loop: Header=BB309_1567 Depth=1
	v_lshrrev_b32_e32 v0, 24, v9
	v_bfrev_b32_e32 v22, 1
	s_mov_b32 s14, exec_lo
	s_delay_alu instid0(VALU_DEP_2)
	v_cmpx_ne_u32_e32 0x80, v0
	s_cbranch_execz .LBB309_2192
; %bb.2187:                             ;   in Loop: Header=BB309_1567 Depth=1
	v_and_b32_e32 v34, 0x7f, v0
	v_mov_b32_e32 v22, 0x7c010000
	s_mov_b32 s15, exec_lo
	s_delay_alu instid0(VALU_DEP_2)
	v_cmpx_ne_u32_e32 0x7f, v34
	s_cbranch_execz .LBB309_2191
; %bb.2188:                             ;   in Loop: Header=BB309_1567 Depth=1
	v_and_b32_e32 v22, 7, v0
	v_lshrrev_b32_e32 v32, 3, v34
	s_mov_b32 s16, exec_lo
	v_cmpx_gt_u32_e32 8, v34
; %bb.2189:                             ;   in Loop: Header=BB309_1567 Depth=1
	s_delay_alu instid0(VALU_DEP_3) | instskip(NEXT) | instid1(VALU_DEP_1)
	v_clz_i32_u32_e32 v6, v22
	v_min_u32_e32 v6, 32, v6
	s_delay_alu instid0(VALU_DEP_1) | instskip(SKIP_1) | instid1(VALU_DEP_2)
	v_subrev_nc_u32_e32 v22, 28, v6
	v_sub_nc_u32_e32 v32, 29, v6
	v_lshlrev_b64_e32 v[128:129], v22, v[0:1]
	s_delay_alu instid0(VALU_DEP_1)
	v_and_b32_e32 v22, 7, v128
; %bb.2190:                             ;   in Loop: Header=BB309_1567 Depth=1
	s_wait_alu 0xfffe
	s_or_b32 exec_lo, exec_lo, s16
	v_lshlrev_b32_e32 v0, 8, v0
	v_lshl_add_u32 v6, v32, 10, 0x2000
	s_delay_alu instid0(VALU_DEP_1) | instskip(SKIP_1) | instid1(VALU_DEP_1)
	v_and_or_b32 v0, 0x8000, v0, v6
	v_lshlrev_b32_e32 v6, 23, v22
	v_lshl_or_b32 v22, v0, 16, v6
.LBB309_2191:                           ;   in Loop: Header=BB309_1567 Depth=1
	s_wait_alu 0xfffe
	s_or_b32 exec_lo, exec_lo, s15
.LBB309_2192:                           ;   in Loop: Header=BB309_1567 Depth=1
	s_wait_alu 0xfffe
	s_or_b32 exec_lo, exec_lo, s14
.LBB309_2193:                           ;   in Loop: Header=BB309_1567 Depth=1
	s_wait_alu 0xfffe
	s_or_b32 exec_lo, exec_lo, s13
	v_dual_mov_b32 v0, v10 :: v_dual_and_b32 v119, 0xff, v10
	v_mov_b32_e32 v32, 0
	v_mov_b32_e32 v34, 0
	s_mov_b32 s13, exec_lo
	s_delay_alu instid0(VALU_DEP_3)
	v_cmpx_ne_u16_e32 0, v119
	s_cbranch_execz .LBB309_2201
; %bb.2194:                             ;   in Loop: Header=BB309_1567 Depth=1
	v_mov_b32_e32 v34, 0x8000
	s_mov_b32 s14, exec_lo
	v_cmpx_ne_u16_e32 0x80, v119
	s_cbranch_execz .LBB309_2200
; %bb.2195:                             ;   in Loop: Header=BB309_1567 Depth=1
	v_and_b32_e32 v128, 0x7f, v10
	v_mov_b32_e32 v34, 0x7c01
	s_mov_b32 s15, exec_lo
	s_delay_alu instid0(VALU_DEP_2)
	v_cmpx_ne_u32_e32 0x7f, v128
	s_cbranch_execz .LBB309_2199
; %bb.2196:                             ;   in Loop: Header=BB309_1567 Depth=1
	v_and_b32_e32 v34, 7, v10
	v_lshrrev_b32_e32 v119, 3, v128
	s_mov_b32 s16, exec_lo
	v_cmpx_gt_u32_e32 8, v128
; %bb.2197:                             ;   in Loop: Header=BB309_1567 Depth=1
	s_delay_alu instid0(VALU_DEP_3) | instskip(NEXT) | instid1(VALU_DEP_1)
	v_clz_i32_u32_e32 v6, v34
	v_min_u32_e32 v6, 32, v6
	s_delay_alu instid0(VALU_DEP_1) | instskip(SKIP_1) | instid1(VALU_DEP_2)
	v_subrev_nc_u32_e32 v34, 28, v6
	v_sub_nc_u32_e32 v119, 29, v6
	v_lshlrev_b64_e32 v[128:129], v34, v[0:1]
	s_delay_alu instid0(VALU_DEP_1)
	v_and_b32_e32 v34, 7, v128
; %bb.2198:                             ;   in Loop: Header=BB309_1567 Depth=1
	s_wait_alu 0xfffe
	s_or_b32 exec_lo, exec_lo, s16
	v_lshlrev_b32_e32 v6, 8, v10
	v_lshl_add_u32 v119, v119, 10, 0x2000
	v_lshlrev_b32_e32 v34, 7, v34
	s_delay_alu instid0(VALU_DEP_3) | instskip(NEXT) | instid1(VALU_DEP_3)
	v_and_b32_e32 v6, 0x8000, v6
	v_and_b32_e32 v119, 0xfc00, v119
	s_delay_alu instid0(VALU_DEP_1)
	v_or3_b32 v34, v6, v119, v34
.LBB309_2199:                           ;   in Loop: Header=BB309_1567 Depth=1
	s_wait_alu 0xfffe
	s_or_b32 exec_lo, exec_lo, s15
.LBB309_2200:                           ;   in Loop: Header=BB309_1567 Depth=1
	s_wait_alu 0xfffe
	s_or_b32 exec_lo, exec_lo, s14
.LBB309_2201:                           ;   in Loop: Header=BB309_1567 Depth=1
	s_wait_alu 0xfffe
	s_or_b32 exec_lo, exec_lo, s13
	v_lshrrev_b16 v0, 8, v0
	v_mov_b32_e32 v119, 0
	s_mov_b32 s13, exec_lo
	s_delay_alu instid0(VALU_DEP_2)
	v_cmpx_ne_u16_e32 0, v0
	s_cbranch_execz .LBB309_2209
; %bb.2202:                             ;   in Loop: Header=BB309_1567 Depth=1
	v_bfrev_b32_e32 v119, 1
	s_mov_b32 s14, exec_lo
	v_cmpx_ne_u16_e32 0x80, v0
	s_cbranch_execz .LBB309_2208
; %bb.2203:                             ;   in Loop: Header=BB309_1567 Depth=1
	v_and_b32_e32 v128, 0xffff, v0
	v_mov_b32_e32 v119, 0x7c010000
	s_mov_b32 s15, exec_lo
	s_delay_alu instid0(VALU_DEP_2) | instskip(NEXT) | instid1(VALU_DEP_1)
	v_and_b32_e32 v130, 0x7f, v128
	v_cmpx_ne_u32_e32 0x7f, v130
	s_cbranch_execz .LBB309_2207
; %bb.2204:                             ;   in Loop: Header=BB309_1567 Depth=1
	v_and_b32_e32 v119, 7, v128
	v_lshrrev_b32_e32 v129, 3, v130
	s_mov_b32 s16, exec_lo
	v_cmpx_gt_u32_e32 8, v130
; %bb.2205:                             ;   in Loop: Header=BB309_1567 Depth=1
	s_delay_alu instid0(VALU_DEP_3) | instskip(NEXT) | instid1(VALU_DEP_1)
	v_clz_i32_u32_e32 v6, v119
	v_min_u32_e32 v6, 32, v6
	s_delay_alu instid0(VALU_DEP_1) | instskip(SKIP_1) | instid1(VALU_DEP_2)
	v_subrev_nc_u32_e32 v119, 28, v6
	v_sub_nc_u32_e32 v129, 29, v6
	v_lshlrev_b64_e32 v[130:131], v119, v[0:1]
	s_delay_alu instid0(VALU_DEP_1)
	v_and_b32_e32 v119, 7, v130
; %bb.2206:                             ;   in Loop: Header=BB309_1567 Depth=1
	s_wait_alu 0xfffe
	s_or_b32 exec_lo, exec_lo, s16
	v_lshlrev_b32_e32 v0, 8, v128
	v_lshl_add_u32 v6, v129, 10, 0x2000
	s_delay_alu instid0(VALU_DEP_1) | instskip(SKIP_1) | instid1(VALU_DEP_1)
	v_and_or_b32 v0, 0x8000, v0, v6
	v_lshlrev_b32_e32 v6, 23, v119
	v_lshl_or_b32 v119, v0, 16, v6
.LBB309_2207:                           ;   in Loop: Header=BB309_1567 Depth=1
	s_wait_alu 0xfffe
	s_or_b32 exec_lo, exec_lo, s15
.LBB309_2208:                           ;   in Loop: Header=BB309_1567 Depth=1
	s_wait_alu 0xfffe
	s_or_b32 exec_lo, exec_lo, s14
.LBB309_2209:                           ;   in Loop: Header=BB309_1567 Depth=1
	s_wait_alu 0xfffe
	s_or_b32 exec_lo, exec_lo, s13
	v_lshrrev_b32_e32 v0, 16, v10
	s_mov_b32 s13, exec_lo
	s_delay_alu instid0(VALU_DEP_1) | instskip(NEXT) | instid1(VALU_DEP_1)
	v_and_b32_e32 v128, 0xff, v0
	v_cmpx_ne_u16_e64 0, v128
	s_cbranch_execz .LBB309_2217
; %bb.2210:                             ;   in Loop: Header=BB309_1567 Depth=1
	v_mov_b32_e32 v32, 0x8000
	s_mov_b32 s14, exec_lo
	v_cmpx_ne_u16_e64 0x80, v128
	s_cbranch_execz .LBB309_2216
; %bb.2211:                             ;   in Loop: Header=BB309_1567 Depth=1
	v_bfe_u32 v129, v10, 16, 7
	v_mov_b32_e32 v32, 0x7c01
	s_mov_b32 s15, exec_lo
	s_delay_alu instid0(VALU_DEP_2)
	v_cmpx_ne_u32_e32 0x7f, v129
	s_cbranch_execz .LBB309_2215
; %bb.2212:                             ;   in Loop: Header=BB309_1567 Depth=1
	v_and_b32_e32 v32, 7, v0
	v_lshrrev_b32_e32 v128, 3, v129
	s_mov_b32 s16, exec_lo
	v_cmpx_gt_u32_e32 8, v129
; %bb.2213:                             ;   in Loop: Header=BB309_1567 Depth=1
	s_delay_alu instid0(VALU_DEP_3) | instskip(NEXT) | instid1(VALU_DEP_1)
	v_clz_i32_u32_e32 v6, v32
	v_min_u32_e32 v6, 32, v6
	s_delay_alu instid0(VALU_DEP_1) | instskip(SKIP_1) | instid1(VALU_DEP_2)
	v_subrev_nc_u32_e32 v32, 28, v6
	v_sub_nc_u32_e32 v128, 29, v6
	v_lshlrev_b64_e32 v[129:130], v32, v[0:1]
	s_delay_alu instid0(VALU_DEP_1)
	v_and_b32_e32 v32, 7, v129
; %bb.2214:                             ;   in Loop: Header=BB309_1567 Depth=1
	s_wait_alu 0xfffe
	s_or_b32 exec_lo, exec_lo, s16
	v_lshlrev_b32_e32 v0, 8, v0
	v_lshl_add_u32 v6, v128, 10, 0x2000
	v_lshlrev_b32_e32 v32, 7, v32
	s_delay_alu instid0(VALU_DEP_3) | instskip(NEXT) | instid1(VALU_DEP_3)
	v_and_b32_e32 v0, 0x8000, v0
	v_and_b32_e32 v6, 0xfc00, v6
	s_delay_alu instid0(VALU_DEP_1)
	v_or3_b32 v32, v0, v6, v32
.LBB309_2215:                           ;   in Loop: Header=BB309_1567 Depth=1
	s_wait_alu 0xfffe
	s_or_b32 exec_lo, exec_lo, s15
.LBB309_2216:                           ;   in Loop: Header=BB309_1567 Depth=1
	s_wait_alu 0xfffe
	s_or_b32 exec_lo, exec_lo, s14
.LBB309_2217:                           ;   in Loop: Header=BB309_1567 Depth=1
	s_wait_alu 0xfffe
	s_or_b32 exec_lo, exec_lo, s13
	v_cmp_lt_u64_e64 s0, s[8:9], v[9:10]
	v_mov_b32_e32 v9, 0
	s_and_saveexec_b32 s13, s0
	s_cbranch_execz .LBB309_2225
; %bb.2218:                             ;   in Loop: Header=BB309_1567 Depth=1
	v_lshrrev_b32_e32 v0, 24, v10
	v_bfrev_b32_e32 v9, 1
	s_mov_b32 s14, exec_lo
	s_delay_alu instid0(VALU_DEP_2)
	v_cmpx_ne_u32_e32 0x80, v0
	s_cbranch_execz .LBB309_2224
; %bb.2219:                             ;   in Loop: Header=BB309_1567 Depth=1
	v_and_b32_e32 v128, 0x7f, v0
	v_mov_b32_e32 v9, 0x7c010000
	s_mov_b32 s15, exec_lo
	s_delay_alu instid0(VALU_DEP_2)
	v_cmpx_ne_u32_e32 0x7f, v128
	s_cbranch_execz .LBB309_2223
; %bb.2220:                             ;   in Loop: Header=BB309_1567 Depth=1
	v_and_b32_e32 v9, 7, v0
	v_lshrrev_b32_e32 v10, 3, v128
	s_mov_b32 s16, exec_lo
	v_cmpx_gt_u32_e32 8, v128
; %bb.2221:                             ;   in Loop: Header=BB309_1567 Depth=1
	s_delay_alu instid0(VALU_DEP_3) | instskip(NEXT) | instid1(VALU_DEP_1)
	v_clz_i32_u32_e32 v6, v9
	v_min_u32_e32 v6, 32, v6
	s_delay_alu instid0(VALU_DEP_1) | instskip(NEXT) | instid1(VALU_DEP_1)
	v_subrev_nc_u32_e32 v9, 28, v6
	v_lshlrev_b64_e32 v[9:10], v9, v[0:1]
	v_sub_nc_u32_e32 v10, 29, v6
	s_delay_alu instid0(VALU_DEP_2)
	v_and_b32_e32 v9, 7, v9
; %bb.2222:                             ;   in Loop: Header=BB309_1567 Depth=1
	s_wait_alu 0xfffe
	s_or_b32 exec_lo, exec_lo, s16
	v_lshlrev_b32_e32 v0, 8, v0
	v_lshl_add_u32 v6, v10, 10, 0x2000
	s_delay_alu instid0(VALU_DEP_1) | instskip(SKIP_1) | instid1(VALU_DEP_1)
	v_and_or_b32 v0, 0x8000, v0, v6
	v_lshlrev_b32_e32 v6, 23, v9
	v_lshl_or_b32 v9, v0, 16, v6
.LBB309_2223:                           ;   in Loop: Header=BB309_1567 Depth=1
	s_wait_alu 0xfffe
	s_or_b32 exec_lo, exec_lo, s15
.LBB309_2224:                           ;   in Loop: Header=BB309_1567 Depth=1
	s_wait_alu 0xfffe
	s_or_b32 exec_lo, exec_lo, s14
.LBB309_2225:                           ;   in Loop: Header=BB309_1567 Depth=1
	s_wait_alu 0xfffe
	s_or_b32 exec_lo, exec_lo, s13
	v_or_b32_e32 v0, v22, v23
	s_wait_loadcnt_dscnt 0x0
	v_fma_mixlo_f16 v6, v4, v22, 0 op_sel:[0,1,0] op_sel_hi:[0,1,0]
	v_or_b32_e32 v10, v5, v12
	v_or_b32_e32 v22, v119, v34
	;; [unrolled: 1-line block ×3, first 2 shown]
	v_fma_mixlo_f16 v5, v4, v5, 0 op_sel:[0,1,0] op_sel_hi:[0,1,0]
	v_fma_mixlo_f16 v23, v4, v0, 0 op_sel_hi:[0,1,0]
	v_lshlrev_b32_e32 v0, 16, v6
	v_fma_mixlo_f16 v6, v4, v10, 0 op_sel_hi:[0,1,0]
	v_fma_mixlo_f16 v10, v4, v119, 0 op_sel:[0,1,0] op_sel_hi:[0,1,0]
	v_fma_mixlo_f16 v22, v4, v22, 0 op_sel_hi:[0,1,0]
	v_fma_mixlo_f16 v34, v4, v9, 0 op_sel:[0,1,0] op_sel_hi:[0,1,0]
	v_fma_mixlo_f16 v32, v4, v32, 0 op_sel_hi:[0,1,0]
	v_lshlrev_b32_e32 v12, 16, v5
	v_and_b32_e32 v5, 0xffff, v23
	v_and_b32_e32 v128, 0xffff, v6
	v_lshlrev_b32_e32 v9, 16, v10
	v_and_b32_e32 v23, 0xffff, v22
	v_lshlrev_b32_e32 v4, 16, v34
	v_and_b32_e32 v10, 0xffff, v32
	v_or_b32_e32 v22, v0, v5
	v_or_b32_e32 v119, v12, v128
	;; [unrolled: 1-line block ×3, first 2 shown]
	s_delay_alu instid0(VALU_DEP_4)
	v_or_b32_e32 v32, v4, v10
	s_and_saveexec_b32 s13, vcc_lo
	s_cbranch_execz .LBB309_2227
; %bb.2226:                             ;   in Loop: Header=BB309_1567 Depth=1
	v_cmp_lt_i32_e64 s0, v17, v33
	s_wait_alu 0xf1ff
	s_delay_alu instid0(VALU_DEP_1) | instskip(SKIP_2) | instid1(VALU_DEP_1)
	v_cndmask_b32_e64 v6, 0, v128, s0
	v_cmp_lt_i32_e64 s0, v86, v33
	s_wait_alu 0xf1ff
	v_cndmask_b32_e64 v12, 0, v12, s0
	v_cmp_lt_i32_e64 s0, v85, v33
	s_delay_alu instid0(VALU_DEP_2) | instskip(SKIP_1) | instid1(VALU_DEP_2)
	v_or_b32_e32 v119, v6, v12
	s_wait_alu 0xf1ff
	v_cndmask_b32_e64 v5, 0, v5, s0
	v_cmp_lt_i32_e64 s0, v84, v33
	s_wait_alu 0xf1ff
	s_delay_alu instid0(VALU_DEP_1) | instskip(SKIP_1) | instid1(VALU_DEP_2)
	v_cndmask_b32_e64 v0, 0, v0, s0
	v_cmp_lt_i32_e64 s0, v83, v33
	v_or_b32_e32 v22, v5, v0
	s_wait_alu 0xf1ff
	s_delay_alu instid0(VALU_DEP_2) | instskip(SKIP_2) | instid1(VALU_DEP_1)
	v_cndmask_b32_e64 v23, 0, v23, s0
	v_cmp_lt_i32_e64 s0, v82, v33
	s_wait_alu 0xf1ff
	v_cndmask_b32_e64 v9, 0, v9, s0
	v_cmp_lt_i32_e64 s0, v81, v33
	s_delay_alu instid0(VALU_DEP_2) | instskip(SKIP_1) | instid1(VALU_DEP_2)
	v_or_b32_e32 v34, v23, v9
	s_wait_alu 0xf1ff
	v_cndmask_b32_e64 v10, 0, v10, s0
	v_cmp_lt_i32_e64 s0, v80, v33
	s_wait_alu 0xf1ff
	s_delay_alu instid0(VALU_DEP_1) | instskip(NEXT) | instid1(VALU_DEP_1)
	v_cndmask_b32_e64 v4, 0, v4, s0
	v_or_b32_e32 v32, v10, v4
.LBB309_2227:                           ;   in Loop: Header=BB309_1567 Depth=1
	s_wait_alu 0xfffe
	s_or_b32 exec_lo, exec_lo, s13
	;;#ASMSTART
	v_pk_mul_f16 v0, v69, v119;

	;;#ASMEND
	;;#ASMSTART
	v_pk_mul_f16 v4, v37, v22;

	;;#ASMEND
	;; [unrolled: 4-line block ×4, first 2 shown]
	;;#ASMSTART
	v_pk_add_f16 v0, v0, v4;

	;;#ASMEND
	;;#ASMSTART
	v_pk_add_f16 v0, v0, v5;

	;;#ASMEND
	;; [unrolled: 4-line block ×3, first 2 shown]
	v_dual_mov_b32 v5, 0 :: v_dual_and_b32 v4, 0xffff, v0
	v_lshrrev_b32_e32 v0, 16, v0
	;;#ASMSTART
	v_cvt_f32_f16 v119, v4;
	;;#ASMEND
	;;#ASMSTART
	v_cvt_f32_f16 v128, v0;
	;;#ASMEND
	flat_load_b64 v[9:10], v[7:8] offset:2560
	flat_load_b32 v4, v[26:27]
	v_mov_b32_e32 v12, 0
	s_mov_b32 s13, exec_lo
	s_wait_loadcnt_dscnt 0x101
	v_and_b32_e32 v0, 0xff, v9
	s_delay_alu instid0(VALU_DEP_1)
	v_cmpx_ne_u16_e32 0, v0
	s_cbranch_execz .LBB309_2235
; %bb.2228:                             ;   in Loop: Header=BB309_1567 Depth=1
	v_mov_b32_e32 v12, 0x8000
	s_mov_b32 s14, exec_lo
	v_cmpx_ne_u16_e32 0x80, v0
	s_cbranch_execz .LBB309_2234
; %bb.2229:                             ;   in Loop: Header=BB309_1567 Depth=1
	v_and_b32_e32 v22, 0x7f, v9
	v_mov_b32_e32 v12, 0x7c01
	s_mov_b32 s15, exec_lo
	s_delay_alu instid0(VALU_DEP_2)
	v_cmpx_ne_u32_e32 0x7f, v22
	s_cbranch_execz .LBB309_2233
; %bb.2230:                             ;   in Loop: Header=BB309_1567 Depth=1
	v_and_b32_e32 v0, 7, v9
	v_lshrrev_b32_e32 v12, 3, v22
	s_mov_b32 s16, exec_lo
	v_cmpx_gt_u32_e32 8, v22
; %bb.2231:                             ;   in Loop: Header=BB309_1567 Depth=1
	s_delay_alu instid0(VALU_DEP_3) | instskip(NEXT) | instid1(VALU_DEP_1)
	v_clz_i32_u32_e32 v0, v0
	v_min_u32_e32 v0, 32, v0
	s_delay_alu instid0(VALU_DEP_1) | instskip(SKIP_1) | instid1(VALU_DEP_2)
	v_subrev_nc_u32_e32 v6, 28, v0
	v_sub_nc_u32_e32 v12, 29, v0
	v_lshlrev_b64_e32 v[22:23], v6, v[9:10]
	s_delay_alu instid0(VALU_DEP_1)
	v_and_b32_e32 v0, 7, v22
; %bb.2232:                             ;   in Loop: Header=BB309_1567 Depth=1
	s_wait_alu 0xfffe
	s_or_b32 exec_lo, exec_lo, s16
	v_lshlrev_b32_e32 v6, 8, v9
	v_lshl_add_u32 v12, v12, 10, 0x2000
	v_lshlrev_b32_e32 v0, 7, v0
	s_delay_alu instid0(VALU_DEP_3) | instskip(NEXT) | instid1(VALU_DEP_3)
	v_and_b32_e32 v6, 0x8000, v6
	v_and_b32_e32 v12, 0xfc00, v12
	s_delay_alu instid0(VALU_DEP_1)
	v_or3_b32 v12, v6, v12, v0
.LBB309_2233:                           ;   in Loop: Header=BB309_1567 Depth=1
	s_wait_alu 0xfffe
	s_or_b32 exec_lo, exec_lo, s15
.LBB309_2234:                           ;   in Loop: Header=BB309_1567 Depth=1
	s_wait_alu 0xfffe
	s_or_b32 exec_lo, exec_lo, s14
.LBB309_2235:                           ;   in Loop: Header=BB309_1567 Depth=1
	s_wait_alu 0xfffe
	s_or_b32 exec_lo, exec_lo, s13
	v_lshrrev_b16 v0, 8, v9
	s_mov_b32 s13, exec_lo
	s_delay_alu instid0(VALU_DEP_1)
	v_cmpx_ne_u16_e32 0, v0
	s_cbranch_execz .LBB309_2243
; %bb.2236:                             ;   in Loop: Header=BB309_1567 Depth=1
	v_bfrev_b32_e32 v5, 1
	s_mov_b32 s14, exec_lo
	v_cmpx_ne_u16_e32 0x80, v0
	s_cbranch_execz .LBB309_2242
; %bb.2237:                             ;   in Loop: Header=BB309_1567 Depth=1
	v_and_b32_e32 v22, 0xffff, v0
	v_mov_b32_e32 v5, 0x7c010000
	s_mov_b32 s15, exec_lo
	s_delay_alu instid0(VALU_DEP_2) | instskip(NEXT) | instid1(VALU_DEP_1)
	v_and_b32_e32 v32, 0x7f, v22
	v_cmpx_ne_u32_e32 0x7f, v32
	s_cbranch_execz .LBB309_2241
; %bb.2238:                             ;   in Loop: Header=BB309_1567 Depth=1
	v_and_b32_e32 v5, 7, v22
	v_lshrrev_b32_e32 v23, 3, v32
	s_mov_b32 s16, exec_lo
	v_cmpx_gt_u32_e32 8, v32
; %bb.2239:                             ;   in Loop: Header=BB309_1567 Depth=1
	s_delay_alu instid0(VALU_DEP_3) | instskip(NEXT) | instid1(VALU_DEP_1)
	v_clz_i32_u32_e32 v5, v5
	v_min_u32_e32 v23, 32, v5
	s_delay_alu instid0(VALU_DEP_1) | instskip(SKIP_1) | instid1(VALU_DEP_2)
	v_subrev_nc_u32_e32 v5, 28, v23
	v_sub_nc_u32_e32 v23, 29, v23
	v_lshlrev_b64_e32 v[5:6], v5, v[0:1]
	s_delay_alu instid0(VALU_DEP_1)
	v_and_b32_e32 v5, 7, v5
; %bb.2240:                             ;   in Loop: Header=BB309_1567 Depth=1
	s_wait_alu 0xfffe
	s_or_b32 exec_lo, exec_lo, s16
	v_lshlrev_b32_e32 v0, 8, v22
	v_lshl_add_u32 v6, v23, 10, 0x2000
	v_lshlrev_b32_e32 v5, 23, v5
	s_delay_alu instid0(VALU_DEP_2) | instskip(NEXT) | instid1(VALU_DEP_1)
	v_and_or_b32 v0, 0x8000, v0, v6
	v_lshl_or_b32 v5, v0, 16, v5
.LBB309_2241:                           ;   in Loop: Header=BB309_1567 Depth=1
	s_wait_alu 0xfffe
	s_or_b32 exec_lo, exec_lo, s15
.LBB309_2242:                           ;   in Loop: Header=BB309_1567 Depth=1
	s_wait_alu 0xfffe
	s_or_b32 exec_lo, exec_lo, s14
.LBB309_2243:                           ;   in Loop: Header=BB309_1567 Depth=1
	s_wait_alu 0xfffe
	s_or_b32 exec_lo, exec_lo, s13
	v_lshrrev_b32_e32 v0, 16, v9
	v_mov_b32_e32 v22, 0
	s_mov_b32 s13, exec_lo
	s_delay_alu instid0(VALU_DEP_2) | instskip(NEXT) | instid1(VALU_DEP_1)
	v_dual_mov_b32 v23, 0 :: v_dual_and_b32 v32, 0xff, v0
	v_cmpx_ne_u16_e32 0, v32
	s_cbranch_execz .LBB309_2251
; %bb.2244:                             ;   in Loop: Header=BB309_1567 Depth=1
	v_mov_b32_e32 v23, 0x8000
	s_mov_b32 s14, exec_lo
	v_cmpx_ne_u16_e32 0x80, v32
	s_cbranch_execz .LBB309_2250
; %bb.2245:                             ;   in Loop: Header=BB309_1567 Depth=1
	v_bfe_u32 v34, v9, 16, 7
	v_mov_b32_e32 v23, 0x7c01
	s_mov_b32 s15, exec_lo
	s_delay_alu instid0(VALU_DEP_2)
	v_cmpx_ne_u32_e32 0x7f, v34
	s_cbranch_execz .LBB309_2249
; %bb.2246:                             ;   in Loop: Header=BB309_1567 Depth=1
	v_and_b32_e32 v23, 7, v0
	v_lshrrev_b32_e32 v32, 3, v34
	s_mov_b32 s16, exec_lo
	v_cmpx_gt_u32_e32 8, v34
; %bb.2247:                             ;   in Loop: Header=BB309_1567 Depth=1
	s_delay_alu instid0(VALU_DEP_3) | instskip(NEXT) | instid1(VALU_DEP_1)
	v_clz_i32_u32_e32 v6, v23
	v_min_u32_e32 v6, 32, v6
	s_delay_alu instid0(VALU_DEP_1) | instskip(SKIP_1) | instid1(VALU_DEP_2)
	v_subrev_nc_u32_e32 v23, 28, v6
	v_sub_nc_u32_e32 v32, 29, v6
	v_lshlrev_b64_e32 v[129:130], v23, v[0:1]
	s_delay_alu instid0(VALU_DEP_1)
	v_and_b32_e32 v23, 7, v129
; %bb.2248:                             ;   in Loop: Header=BB309_1567 Depth=1
	s_wait_alu 0xfffe
	s_or_b32 exec_lo, exec_lo, s16
	v_lshlrev_b32_e32 v0, 8, v0
	v_lshl_add_u32 v6, v32, 10, 0x2000
	v_lshlrev_b32_e32 v23, 7, v23
	s_delay_alu instid0(VALU_DEP_3) | instskip(NEXT) | instid1(VALU_DEP_3)
	v_and_b32_e32 v0, 0x8000, v0
	v_and_b32_e32 v6, 0xfc00, v6
	s_delay_alu instid0(VALU_DEP_1)
	v_or3_b32 v23, v0, v6, v23
.LBB309_2249:                           ;   in Loop: Header=BB309_1567 Depth=1
	s_wait_alu 0xfffe
	s_or_b32 exec_lo, exec_lo, s15
.LBB309_2250:                           ;   in Loop: Header=BB309_1567 Depth=1
	s_wait_alu 0xfffe
	s_or_b32 exec_lo, exec_lo, s14
.LBB309_2251:                           ;   in Loop: Header=BB309_1567 Depth=1
	s_wait_alu 0xfffe
	s_or_b32 exec_lo, exec_lo, s13
	s_delay_alu instid0(SALU_CYCLE_1)
	s_mov_b32 s13, exec_lo
	v_cmpx_lt_u32_e32 0xffffff, v9
	s_cbranch_execz .LBB309_2259
; %bb.2252:                             ;   in Loop: Header=BB309_1567 Depth=1
	v_lshrrev_b32_e32 v0, 24, v9
	v_bfrev_b32_e32 v22, 1
	s_mov_b32 s14, exec_lo
	s_delay_alu instid0(VALU_DEP_2)
	v_cmpx_ne_u32_e32 0x80, v0
	s_cbranch_execz .LBB309_2258
; %bb.2253:                             ;   in Loop: Header=BB309_1567 Depth=1
	v_and_b32_e32 v34, 0x7f, v0
	v_mov_b32_e32 v22, 0x7c010000
	s_mov_b32 s15, exec_lo
	s_delay_alu instid0(VALU_DEP_2)
	v_cmpx_ne_u32_e32 0x7f, v34
	s_cbranch_execz .LBB309_2257
; %bb.2254:                             ;   in Loop: Header=BB309_1567 Depth=1
	v_and_b32_e32 v22, 7, v0
	v_lshrrev_b32_e32 v32, 3, v34
	s_mov_b32 s16, exec_lo
	v_cmpx_gt_u32_e32 8, v34
; %bb.2255:                             ;   in Loop: Header=BB309_1567 Depth=1
	s_delay_alu instid0(VALU_DEP_3) | instskip(NEXT) | instid1(VALU_DEP_1)
	v_clz_i32_u32_e32 v6, v22
	v_min_u32_e32 v6, 32, v6
	s_delay_alu instid0(VALU_DEP_1) | instskip(SKIP_1) | instid1(VALU_DEP_2)
	v_subrev_nc_u32_e32 v22, 28, v6
	v_sub_nc_u32_e32 v32, 29, v6
	v_lshlrev_b64_e32 v[129:130], v22, v[0:1]
	s_delay_alu instid0(VALU_DEP_1)
	v_and_b32_e32 v22, 7, v129
; %bb.2256:                             ;   in Loop: Header=BB309_1567 Depth=1
	s_wait_alu 0xfffe
	s_or_b32 exec_lo, exec_lo, s16
	v_lshlrev_b32_e32 v0, 8, v0
	v_lshl_add_u32 v6, v32, 10, 0x2000
	s_delay_alu instid0(VALU_DEP_1) | instskip(SKIP_1) | instid1(VALU_DEP_1)
	v_and_or_b32 v0, 0x8000, v0, v6
	v_lshlrev_b32_e32 v6, 23, v22
	v_lshl_or_b32 v22, v0, 16, v6
.LBB309_2257:                           ;   in Loop: Header=BB309_1567 Depth=1
	s_wait_alu 0xfffe
	s_or_b32 exec_lo, exec_lo, s15
.LBB309_2258:                           ;   in Loop: Header=BB309_1567 Depth=1
	s_wait_alu 0xfffe
	s_or_b32 exec_lo, exec_lo, s14
.LBB309_2259:                           ;   in Loop: Header=BB309_1567 Depth=1
	s_wait_alu 0xfffe
	s_or_b32 exec_lo, exec_lo, s13
	v_dual_mov_b32 v0, v10 :: v_dual_and_b32 v129, 0xff, v10
	v_mov_b32_e32 v32, 0
	v_mov_b32_e32 v34, 0
	s_mov_b32 s13, exec_lo
	s_delay_alu instid0(VALU_DEP_3)
	v_cmpx_ne_u16_e64 0, v129
	s_cbranch_execz .LBB309_2267
; %bb.2260:                             ;   in Loop: Header=BB309_1567 Depth=1
	v_mov_b32_e32 v34, 0x8000
	s_mov_b32 s14, exec_lo
	v_cmpx_ne_u16_e64 0x80, v129
	s_cbranch_execz .LBB309_2266
; %bb.2261:                             ;   in Loop: Header=BB309_1567 Depth=1
	v_and_b32_e32 v130, 0x7f, v10
	v_mov_b32_e32 v34, 0x7c01
	s_mov_b32 s15, exec_lo
	s_delay_alu instid0(VALU_DEP_2)
	v_cmpx_ne_u32_e32 0x7f, v130
	s_cbranch_execz .LBB309_2265
; %bb.2262:                             ;   in Loop: Header=BB309_1567 Depth=1
	v_and_b32_e32 v34, 7, v10
	v_lshrrev_b32_e32 v129, 3, v130
	s_mov_b32 s16, exec_lo
	v_cmpx_gt_u32_e32 8, v130
; %bb.2263:                             ;   in Loop: Header=BB309_1567 Depth=1
	s_delay_alu instid0(VALU_DEP_3) | instskip(NEXT) | instid1(VALU_DEP_1)
	v_clz_i32_u32_e32 v6, v34
	v_min_u32_e32 v6, 32, v6
	s_delay_alu instid0(VALU_DEP_1) | instskip(SKIP_1) | instid1(VALU_DEP_2)
	v_subrev_nc_u32_e32 v34, 28, v6
	v_sub_nc_u32_e32 v129, 29, v6
	v_lshlrev_b64_e32 v[130:131], v34, v[0:1]
	s_delay_alu instid0(VALU_DEP_1)
	v_and_b32_e32 v34, 7, v130
; %bb.2264:                             ;   in Loop: Header=BB309_1567 Depth=1
	s_wait_alu 0xfffe
	s_or_b32 exec_lo, exec_lo, s16
	v_lshlrev_b32_e32 v6, 8, v10
	v_lshl_add_u32 v129, v129, 10, 0x2000
	v_lshlrev_b32_e32 v34, 7, v34
	s_delay_alu instid0(VALU_DEP_3) | instskip(NEXT) | instid1(VALU_DEP_3)
	v_and_b32_e32 v6, 0x8000, v6
	v_and_b32_e32 v129, 0xfc00, v129
	s_delay_alu instid0(VALU_DEP_1)
	v_or3_b32 v34, v6, v129, v34
.LBB309_2265:                           ;   in Loop: Header=BB309_1567 Depth=1
	s_wait_alu 0xfffe
	s_or_b32 exec_lo, exec_lo, s15
.LBB309_2266:                           ;   in Loop: Header=BB309_1567 Depth=1
	s_wait_alu 0xfffe
	s_or_b32 exec_lo, exec_lo, s14
.LBB309_2267:                           ;   in Loop: Header=BB309_1567 Depth=1
	s_wait_alu 0xfffe
	s_or_b32 exec_lo, exec_lo, s13
	v_lshrrev_b16 v0, 8, v0
	v_mov_b32_e32 v129, 0
	s_mov_b32 s13, exec_lo
	s_delay_alu instid0(VALU_DEP_2)
	v_cmpx_ne_u16_e32 0, v0
	s_cbranch_execz .LBB309_2275
; %bb.2268:                             ;   in Loop: Header=BB309_1567 Depth=1
	v_bfrev_b32_e32 v129, 1
	s_mov_b32 s14, exec_lo
	v_cmpx_ne_u16_e32 0x80, v0
	s_cbranch_execz .LBB309_2274
; %bb.2269:                             ;   in Loop: Header=BB309_1567 Depth=1
	v_and_b32_e32 v130, 0xffff, v0
	v_mov_b32_e32 v129, 0x7c010000
	s_mov_b32 s15, exec_lo
	s_delay_alu instid0(VALU_DEP_2) | instskip(NEXT) | instid1(VALU_DEP_1)
	v_and_b32_e32 v132, 0x7f, v130
	v_cmpx_ne_u32_e32 0x7f, v132
	s_cbranch_execz .LBB309_2273
; %bb.2270:                             ;   in Loop: Header=BB309_1567 Depth=1
	v_and_b32_e32 v129, 7, v130
	v_lshrrev_b32_e32 v131, 3, v132
	s_mov_b32 s16, exec_lo
	v_cmpx_gt_u32_e32 8, v132
; %bb.2271:                             ;   in Loop: Header=BB309_1567 Depth=1
	s_delay_alu instid0(VALU_DEP_3) | instskip(NEXT) | instid1(VALU_DEP_1)
	v_clz_i32_u32_e32 v6, v129
	v_min_u32_e32 v6, 32, v6
	s_delay_alu instid0(VALU_DEP_1) | instskip(SKIP_1) | instid1(VALU_DEP_2)
	v_subrev_nc_u32_e32 v129, 28, v6
	v_sub_nc_u32_e32 v131, 29, v6
	v_lshlrev_b64_e32 v[132:133], v129, v[0:1]
	s_delay_alu instid0(VALU_DEP_1)
	v_and_b32_e32 v129, 7, v132
; %bb.2272:                             ;   in Loop: Header=BB309_1567 Depth=1
	s_wait_alu 0xfffe
	s_or_b32 exec_lo, exec_lo, s16
	v_lshlrev_b32_e32 v0, 8, v130
	v_lshl_add_u32 v6, v131, 10, 0x2000
	s_delay_alu instid0(VALU_DEP_1) | instskip(SKIP_1) | instid1(VALU_DEP_1)
	v_and_or_b32 v0, 0x8000, v0, v6
	v_lshlrev_b32_e32 v6, 23, v129
	v_lshl_or_b32 v129, v0, 16, v6
.LBB309_2273:                           ;   in Loop: Header=BB309_1567 Depth=1
	s_wait_alu 0xfffe
	s_or_b32 exec_lo, exec_lo, s15
.LBB309_2274:                           ;   in Loop: Header=BB309_1567 Depth=1
	s_wait_alu 0xfffe
	s_or_b32 exec_lo, exec_lo, s14
.LBB309_2275:                           ;   in Loop: Header=BB309_1567 Depth=1
	s_wait_alu 0xfffe
	s_or_b32 exec_lo, exec_lo, s13
	v_lshrrev_b32_e32 v0, 16, v10
	s_mov_b32 s13, exec_lo
	s_delay_alu instid0(VALU_DEP_1) | instskip(NEXT) | instid1(VALU_DEP_1)
	v_and_b32_e32 v130, 0xff, v0
	v_cmpx_ne_u16_e64 0, v130
	s_cbranch_execz .LBB309_2283
; %bb.2276:                             ;   in Loop: Header=BB309_1567 Depth=1
	v_mov_b32_e32 v32, 0x8000
	s_mov_b32 s14, exec_lo
	v_cmpx_ne_u16_e64 0x80, v130
	s_cbranch_execz .LBB309_2282
; %bb.2277:                             ;   in Loop: Header=BB309_1567 Depth=1
	v_bfe_u32 v131, v10, 16, 7
	v_mov_b32_e32 v32, 0x7c01
	s_mov_b32 s15, exec_lo
	s_delay_alu instid0(VALU_DEP_2)
	v_cmpx_ne_u32_e32 0x7f, v131
	s_cbranch_execz .LBB309_2281
; %bb.2278:                             ;   in Loop: Header=BB309_1567 Depth=1
	v_and_b32_e32 v32, 7, v0
	v_lshrrev_b32_e32 v130, 3, v131
	s_mov_b32 s16, exec_lo
	v_cmpx_gt_u32_e32 8, v131
; %bb.2279:                             ;   in Loop: Header=BB309_1567 Depth=1
	s_delay_alu instid0(VALU_DEP_3) | instskip(NEXT) | instid1(VALU_DEP_1)
	v_clz_i32_u32_e32 v6, v32
	v_min_u32_e32 v6, 32, v6
	s_delay_alu instid0(VALU_DEP_1) | instskip(SKIP_1) | instid1(VALU_DEP_2)
	v_subrev_nc_u32_e32 v32, 28, v6
	v_sub_nc_u32_e32 v130, 29, v6
	v_lshlrev_b64_e32 v[131:132], v32, v[0:1]
	s_delay_alu instid0(VALU_DEP_1)
	v_and_b32_e32 v32, 7, v131
; %bb.2280:                             ;   in Loop: Header=BB309_1567 Depth=1
	s_wait_alu 0xfffe
	s_or_b32 exec_lo, exec_lo, s16
	v_lshlrev_b32_e32 v0, 8, v0
	v_lshl_add_u32 v6, v130, 10, 0x2000
	v_lshlrev_b32_e32 v32, 7, v32
	s_delay_alu instid0(VALU_DEP_3) | instskip(NEXT) | instid1(VALU_DEP_3)
	v_and_b32_e32 v0, 0x8000, v0
	v_and_b32_e32 v6, 0xfc00, v6
	s_delay_alu instid0(VALU_DEP_1)
	v_or3_b32 v32, v0, v6, v32
.LBB309_2281:                           ;   in Loop: Header=BB309_1567 Depth=1
	s_wait_alu 0xfffe
	s_or_b32 exec_lo, exec_lo, s15
.LBB309_2282:                           ;   in Loop: Header=BB309_1567 Depth=1
	s_wait_alu 0xfffe
	s_or_b32 exec_lo, exec_lo, s14
.LBB309_2283:                           ;   in Loop: Header=BB309_1567 Depth=1
	s_wait_alu 0xfffe
	s_or_b32 exec_lo, exec_lo, s13
	v_cmp_lt_u64_e64 s0, s[8:9], v[9:10]
	v_mov_b32_e32 v9, 0
	s_and_saveexec_b32 s13, s0
	s_cbranch_execz .LBB309_2291
; %bb.2284:                             ;   in Loop: Header=BB309_1567 Depth=1
	v_lshrrev_b32_e32 v0, 24, v10
	v_bfrev_b32_e32 v9, 1
	s_mov_b32 s14, exec_lo
	s_delay_alu instid0(VALU_DEP_2)
	v_cmpx_ne_u32_e32 0x80, v0
	s_cbranch_execz .LBB309_2290
; %bb.2285:                             ;   in Loop: Header=BB309_1567 Depth=1
	v_and_b32_e32 v130, 0x7f, v0
	v_mov_b32_e32 v9, 0x7c010000
	s_mov_b32 s15, exec_lo
	s_delay_alu instid0(VALU_DEP_2)
	v_cmpx_ne_u32_e32 0x7f, v130
	s_cbranch_execz .LBB309_2289
; %bb.2286:                             ;   in Loop: Header=BB309_1567 Depth=1
	v_and_b32_e32 v9, 7, v0
	v_lshrrev_b32_e32 v10, 3, v130
	s_mov_b32 s16, exec_lo
	v_cmpx_gt_u32_e32 8, v130
; %bb.2287:                             ;   in Loop: Header=BB309_1567 Depth=1
	s_delay_alu instid0(VALU_DEP_3) | instskip(NEXT) | instid1(VALU_DEP_1)
	v_clz_i32_u32_e32 v6, v9
	v_min_u32_e32 v6, 32, v6
	s_delay_alu instid0(VALU_DEP_1) | instskip(NEXT) | instid1(VALU_DEP_1)
	v_subrev_nc_u32_e32 v9, 28, v6
	v_lshlrev_b64_e32 v[9:10], v9, v[0:1]
	v_sub_nc_u32_e32 v10, 29, v6
	s_delay_alu instid0(VALU_DEP_2)
	v_and_b32_e32 v9, 7, v9
; %bb.2288:                             ;   in Loop: Header=BB309_1567 Depth=1
	s_wait_alu 0xfffe
	s_or_b32 exec_lo, exec_lo, s16
	v_lshlrev_b32_e32 v0, 8, v0
	v_lshl_add_u32 v6, v10, 10, 0x2000
	s_delay_alu instid0(VALU_DEP_1) | instskip(SKIP_1) | instid1(VALU_DEP_1)
	v_and_or_b32 v0, 0x8000, v0, v6
	v_lshlrev_b32_e32 v6, 23, v9
	v_lshl_or_b32 v9, v0, 16, v6
.LBB309_2289:                           ;   in Loop: Header=BB309_1567 Depth=1
	s_wait_alu 0xfffe
	s_or_b32 exec_lo, exec_lo, s15
.LBB309_2290:                           ;   in Loop: Header=BB309_1567 Depth=1
	s_wait_alu 0xfffe
	s_or_b32 exec_lo, exec_lo, s14
.LBB309_2291:                           ;   in Loop: Header=BB309_1567 Depth=1
	s_wait_alu 0xfffe
	s_or_b32 exec_lo, exec_lo, s13
	v_or_b32_e32 v0, v22, v23
	s_wait_loadcnt_dscnt 0x0
	v_fma_mixlo_f16 v6, v4, v22, 0 op_sel:[0,1,0] op_sel_hi:[0,1,0]
	v_or_b32_e32 v10, v5, v12
	v_or_b32_e32 v22, v129, v34
	;; [unrolled: 1-line block ×3, first 2 shown]
	v_fma_mixlo_f16 v5, v4, v5, 0 op_sel:[0,1,0] op_sel_hi:[0,1,0]
	v_fma_mixlo_f16 v23, v4, v0, 0 op_sel_hi:[0,1,0]
	v_lshlrev_b32_e32 v0, 16, v6
	v_fma_mixlo_f16 v6, v4, v10, 0 op_sel_hi:[0,1,0]
	v_fma_mixlo_f16 v10, v4, v129, 0 op_sel:[0,1,0] op_sel_hi:[0,1,0]
	v_fma_mixlo_f16 v22, v4, v22, 0 op_sel_hi:[0,1,0]
	v_fma_mixlo_f16 v34, v4, v9, 0 op_sel:[0,1,0] op_sel_hi:[0,1,0]
	v_fma_mixlo_f16 v32, v4, v32, 0 op_sel_hi:[0,1,0]
	v_lshlrev_b32_e32 v12, 16, v5
	v_and_b32_e32 v5, 0xffff, v23
	v_and_b32_e32 v130, 0xffff, v6
	v_lshlrev_b32_e32 v9, 16, v10
	v_and_b32_e32 v23, 0xffff, v22
	v_lshlrev_b32_e32 v4, 16, v34
	v_and_b32_e32 v10, 0xffff, v32
	v_or_b32_e32 v22, v0, v5
	v_or_b32_e32 v129, v12, v130
	;; [unrolled: 1-line block ×3, first 2 shown]
	s_delay_alu instid0(VALU_DEP_4)
	v_or_b32_e32 v32, v4, v10
	s_and_saveexec_b32 s13, vcc_lo
	s_cbranch_execz .LBB309_2293
; %bb.2292:                             ;   in Loop: Header=BB309_1567 Depth=1
	v_cmp_lt_i32_e64 s0, v17, v33
	s_wait_alu 0xf1ff
	s_delay_alu instid0(VALU_DEP_1) | instskip(SKIP_2) | instid1(VALU_DEP_1)
	v_cndmask_b32_e64 v6, 0, v130, s0
	v_cmp_lt_i32_e64 s0, v86, v33
	s_wait_alu 0xf1ff
	v_cndmask_b32_e64 v12, 0, v12, s0
	v_cmp_lt_i32_e64 s0, v85, v33
	s_delay_alu instid0(VALU_DEP_2) | instskip(SKIP_1) | instid1(VALU_DEP_2)
	v_or_b32_e32 v129, v6, v12
	s_wait_alu 0xf1ff
	v_cndmask_b32_e64 v5, 0, v5, s0
	v_cmp_lt_i32_e64 s0, v84, v33
	s_wait_alu 0xf1ff
	s_delay_alu instid0(VALU_DEP_1) | instskip(SKIP_1) | instid1(VALU_DEP_2)
	v_cndmask_b32_e64 v0, 0, v0, s0
	v_cmp_lt_i32_e64 s0, v83, v33
	v_or_b32_e32 v22, v5, v0
	s_wait_alu 0xf1ff
	s_delay_alu instid0(VALU_DEP_2) | instskip(SKIP_2) | instid1(VALU_DEP_1)
	v_cndmask_b32_e64 v23, 0, v23, s0
	v_cmp_lt_i32_e64 s0, v82, v33
	s_wait_alu 0xf1ff
	v_cndmask_b32_e64 v9, 0, v9, s0
	v_cmp_lt_i32_e64 s0, v81, v33
	s_delay_alu instid0(VALU_DEP_2) | instskip(SKIP_1) | instid1(VALU_DEP_2)
	v_or_b32_e32 v34, v23, v9
	s_wait_alu 0xf1ff
	v_cndmask_b32_e64 v10, 0, v10, s0
	v_cmp_lt_i32_e64 s0, v80, v33
	s_wait_alu 0xf1ff
	s_delay_alu instid0(VALU_DEP_1) | instskip(NEXT) | instid1(VALU_DEP_1)
	v_cndmask_b32_e64 v4, 0, v4, s0
	v_or_b32_e32 v32, v10, v4
.LBB309_2293:                           ;   in Loop: Header=BB309_1567 Depth=1
	s_wait_alu 0xfffe
	s_or_b32 exec_lo, exec_lo, s13
	;;#ASMSTART
	v_pk_mul_f16 v0, v69, v129;

	;;#ASMEND
	;;#ASMSTART
	v_pk_mul_f16 v4, v37, v22;

	;;#ASMEND
	;;#ASMSTART
	v_pk_mul_f16 v5, v36, v34;

	;;#ASMEND
	;;#ASMSTART
	v_pk_mul_f16 v6, v35, v32;

	;;#ASMEND
	;;#ASMSTART
	v_pk_add_f16 v0, v0, v4;

	;;#ASMEND
	;;#ASMSTART
	v_pk_add_f16 v0, v0, v5;

	;;#ASMEND
	;; [unrolled: 4-line block ×3, first 2 shown]
	v_dual_mov_b32 v5, 0 :: v_dual_and_b32 v4, 0xffff, v0
	v_lshrrev_b32_e32 v0, 16, v0
	;;#ASMSTART
	v_cvt_f32_f16 v129, v4;
	;;#ASMEND
	;;#ASMSTART
	v_cvt_f32_f16 v130, v0;
	;;#ASMEND
	flat_load_b64 v[9:10], v[7:8] offset:2816
	flat_load_b32 v4, v[26:27]
	v_mov_b32_e32 v12, 0
	s_mov_b32 s13, exec_lo
	s_wait_loadcnt_dscnt 0x101
	v_and_b32_e32 v0, 0xff, v9
	s_delay_alu instid0(VALU_DEP_1)
	v_cmpx_ne_u16_e32 0, v0
	s_cbranch_execz .LBB309_2301
; %bb.2294:                             ;   in Loop: Header=BB309_1567 Depth=1
	v_mov_b32_e32 v12, 0x8000
	s_mov_b32 s14, exec_lo
	v_cmpx_ne_u16_e32 0x80, v0
	s_cbranch_execz .LBB309_2300
; %bb.2295:                             ;   in Loop: Header=BB309_1567 Depth=1
	v_and_b32_e32 v22, 0x7f, v9
	v_mov_b32_e32 v12, 0x7c01
	s_mov_b32 s15, exec_lo
	s_delay_alu instid0(VALU_DEP_2)
	v_cmpx_ne_u32_e32 0x7f, v22
	s_cbranch_execz .LBB309_2299
; %bb.2296:                             ;   in Loop: Header=BB309_1567 Depth=1
	v_and_b32_e32 v0, 7, v9
	v_lshrrev_b32_e32 v12, 3, v22
	s_mov_b32 s16, exec_lo
	v_cmpx_gt_u32_e32 8, v22
; %bb.2297:                             ;   in Loop: Header=BB309_1567 Depth=1
	s_delay_alu instid0(VALU_DEP_3) | instskip(NEXT) | instid1(VALU_DEP_1)
	v_clz_i32_u32_e32 v0, v0
	v_min_u32_e32 v0, 32, v0
	s_delay_alu instid0(VALU_DEP_1) | instskip(SKIP_1) | instid1(VALU_DEP_2)
	v_subrev_nc_u32_e32 v6, 28, v0
	v_sub_nc_u32_e32 v12, 29, v0
	v_lshlrev_b64_e32 v[22:23], v6, v[9:10]
	s_delay_alu instid0(VALU_DEP_1)
	v_and_b32_e32 v0, 7, v22
; %bb.2298:                             ;   in Loop: Header=BB309_1567 Depth=1
	s_wait_alu 0xfffe
	s_or_b32 exec_lo, exec_lo, s16
	v_lshlrev_b32_e32 v6, 8, v9
	v_lshl_add_u32 v12, v12, 10, 0x2000
	v_lshlrev_b32_e32 v0, 7, v0
	s_delay_alu instid0(VALU_DEP_3) | instskip(NEXT) | instid1(VALU_DEP_3)
	v_and_b32_e32 v6, 0x8000, v6
	v_and_b32_e32 v12, 0xfc00, v12
	s_delay_alu instid0(VALU_DEP_1)
	v_or3_b32 v12, v6, v12, v0
.LBB309_2299:                           ;   in Loop: Header=BB309_1567 Depth=1
	s_wait_alu 0xfffe
	s_or_b32 exec_lo, exec_lo, s15
.LBB309_2300:                           ;   in Loop: Header=BB309_1567 Depth=1
	s_wait_alu 0xfffe
	s_or_b32 exec_lo, exec_lo, s14
.LBB309_2301:                           ;   in Loop: Header=BB309_1567 Depth=1
	s_wait_alu 0xfffe
	s_or_b32 exec_lo, exec_lo, s13
	v_lshrrev_b16 v0, 8, v9
	s_mov_b32 s13, exec_lo
	s_delay_alu instid0(VALU_DEP_1)
	v_cmpx_ne_u16_e32 0, v0
	s_cbranch_execz .LBB309_2309
; %bb.2302:                             ;   in Loop: Header=BB309_1567 Depth=1
	v_bfrev_b32_e32 v5, 1
	s_mov_b32 s14, exec_lo
	v_cmpx_ne_u16_e32 0x80, v0
	s_cbranch_execz .LBB309_2308
; %bb.2303:                             ;   in Loop: Header=BB309_1567 Depth=1
	v_and_b32_e32 v22, 0xffff, v0
	v_mov_b32_e32 v5, 0x7c010000
	s_mov_b32 s15, exec_lo
	s_delay_alu instid0(VALU_DEP_2) | instskip(NEXT) | instid1(VALU_DEP_1)
	v_and_b32_e32 v32, 0x7f, v22
	v_cmpx_ne_u32_e32 0x7f, v32
	s_cbranch_execz .LBB309_2307
; %bb.2304:                             ;   in Loop: Header=BB309_1567 Depth=1
	v_and_b32_e32 v5, 7, v22
	v_lshrrev_b32_e32 v23, 3, v32
	s_mov_b32 s16, exec_lo
	v_cmpx_gt_u32_e32 8, v32
; %bb.2305:                             ;   in Loop: Header=BB309_1567 Depth=1
	s_delay_alu instid0(VALU_DEP_3) | instskip(NEXT) | instid1(VALU_DEP_1)
	v_clz_i32_u32_e32 v5, v5
	v_min_u32_e32 v23, 32, v5
	s_delay_alu instid0(VALU_DEP_1) | instskip(SKIP_1) | instid1(VALU_DEP_2)
	v_subrev_nc_u32_e32 v5, 28, v23
	v_sub_nc_u32_e32 v23, 29, v23
	v_lshlrev_b64_e32 v[5:6], v5, v[0:1]
	s_delay_alu instid0(VALU_DEP_1)
	v_and_b32_e32 v5, 7, v5
; %bb.2306:                             ;   in Loop: Header=BB309_1567 Depth=1
	s_wait_alu 0xfffe
	s_or_b32 exec_lo, exec_lo, s16
	v_lshlrev_b32_e32 v0, 8, v22
	v_lshl_add_u32 v6, v23, 10, 0x2000
	v_lshlrev_b32_e32 v5, 23, v5
	s_delay_alu instid0(VALU_DEP_2) | instskip(NEXT) | instid1(VALU_DEP_1)
	v_and_or_b32 v0, 0x8000, v0, v6
	v_lshl_or_b32 v5, v0, 16, v5
.LBB309_2307:                           ;   in Loop: Header=BB309_1567 Depth=1
	s_wait_alu 0xfffe
	s_or_b32 exec_lo, exec_lo, s15
.LBB309_2308:                           ;   in Loop: Header=BB309_1567 Depth=1
	s_wait_alu 0xfffe
	s_or_b32 exec_lo, exec_lo, s14
.LBB309_2309:                           ;   in Loop: Header=BB309_1567 Depth=1
	s_wait_alu 0xfffe
	s_or_b32 exec_lo, exec_lo, s13
	v_lshrrev_b32_e32 v0, 16, v9
	v_mov_b32_e32 v22, 0
	s_mov_b32 s13, exec_lo
	s_delay_alu instid0(VALU_DEP_2) | instskip(NEXT) | instid1(VALU_DEP_1)
	v_dual_mov_b32 v23, 0 :: v_dual_and_b32 v32, 0xff, v0
	v_cmpx_ne_u16_e32 0, v32
	s_cbranch_execz .LBB309_2317
; %bb.2310:                             ;   in Loop: Header=BB309_1567 Depth=1
	v_mov_b32_e32 v23, 0x8000
	s_mov_b32 s14, exec_lo
	v_cmpx_ne_u16_e32 0x80, v32
	s_cbranch_execz .LBB309_2316
; %bb.2311:                             ;   in Loop: Header=BB309_1567 Depth=1
	v_bfe_u32 v34, v9, 16, 7
	v_mov_b32_e32 v23, 0x7c01
	s_mov_b32 s15, exec_lo
	s_delay_alu instid0(VALU_DEP_2)
	v_cmpx_ne_u32_e32 0x7f, v34
	s_cbranch_execz .LBB309_2315
; %bb.2312:                             ;   in Loop: Header=BB309_1567 Depth=1
	v_and_b32_e32 v23, 7, v0
	v_lshrrev_b32_e32 v32, 3, v34
	s_mov_b32 s16, exec_lo
	v_cmpx_gt_u32_e32 8, v34
; %bb.2313:                             ;   in Loop: Header=BB309_1567 Depth=1
	s_delay_alu instid0(VALU_DEP_3) | instskip(NEXT) | instid1(VALU_DEP_1)
	v_clz_i32_u32_e32 v6, v23
	v_min_u32_e32 v6, 32, v6
	s_delay_alu instid0(VALU_DEP_1) | instskip(SKIP_1) | instid1(VALU_DEP_2)
	v_subrev_nc_u32_e32 v23, 28, v6
	v_sub_nc_u32_e32 v32, 29, v6
	v_lshlrev_b64_e32 v[131:132], v23, v[0:1]
	s_delay_alu instid0(VALU_DEP_1)
	v_and_b32_e32 v23, 7, v131
; %bb.2314:                             ;   in Loop: Header=BB309_1567 Depth=1
	s_wait_alu 0xfffe
	s_or_b32 exec_lo, exec_lo, s16
	v_lshlrev_b32_e32 v0, 8, v0
	v_lshl_add_u32 v6, v32, 10, 0x2000
	v_lshlrev_b32_e32 v23, 7, v23
	s_delay_alu instid0(VALU_DEP_3) | instskip(NEXT) | instid1(VALU_DEP_3)
	v_and_b32_e32 v0, 0x8000, v0
	v_and_b32_e32 v6, 0xfc00, v6
	s_delay_alu instid0(VALU_DEP_1)
	v_or3_b32 v23, v0, v6, v23
.LBB309_2315:                           ;   in Loop: Header=BB309_1567 Depth=1
	s_wait_alu 0xfffe
	s_or_b32 exec_lo, exec_lo, s15
.LBB309_2316:                           ;   in Loop: Header=BB309_1567 Depth=1
	s_wait_alu 0xfffe
	s_or_b32 exec_lo, exec_lo, s14
.LBB309_2317:                           ;   in Loop: Header=BB309_1567 Depth=1
	s_wait_alu 0xfffe
	s_or_b32 exec_lo, exec_lo, s13
	s_delay_alu instid0(SALU_CYCLE_1)
	s_mov_b32 s13, exec_lo
	v_cmpx_lt_u32_e32 0xffffff, v9
	s_cbranch_execz .LBB309_2325
; %bb.2318:                             ;   in Loop: Header=BB309_1567 Depth=1
	v_lshrrev_b32_e32 v0, 24, v9
	v_bfrev_b32_e32 v22, 1
	s_mov_b32 s14, exec_lo
	s_delay_alu instid0(VALU_DEP_2)
	v_cmpx_ne_u32_e32 0x80, v0
	s_cbranch_execz .LBB309_2324
; %bb.2319:                             ;   in Loop: Header=BB309_1567 Depth=1
	v_and_b32_e32 v34, 0x7f, v0
	v_mov_b32_e32 v22, 0x7c010000
	s_mov_b32 s15, exec_lo
	s_delay_alu instid0(VALU_DEP_2)
	v_cmpx_ne_u32_e32 0x7f, v34
	s_cbranch_execz .LBB309_2323
; %bb.2320:                             ;   in Loop: Header=BB309_1567 Depth=1
	v_and_b32_e32 v22, 7, v0
	v_lshrrev_b32_e32 v32, 3, v34
	s_mov_b32 s16, exec_lo
	v_cmpx_gt_u32_e32 8, v34
; %bb.2321:                             ;   in Loop: Header=BB309_1567 Depth=1
	s_delay_alu instid0(VALU_DEP_3) | instskip(NEXT) | instid1(VALU_DEP_1)
	v_clz_i32_u32_e32 v6, v22
	v_min_u32_e32 v6, 32, v6
	s_delay_alu instid0(VALU_DEP_1) | instskip(SKIP_1) | instid1(VALU_DEP_2)
	v_subrev_nc_u32_e32 v22, 28, v6
	v_sub_nc_u32_e32 v32, 29, v6
	v_lshlrev_b64_e32 v[131:132], v22, v[0:1]
	s_delay_alu instid0(VALU_DEP_1)
	v_and_b32_e32 v22, 7, v131
; %bb.2322:                             ;   in Loop: Header=BB309_1567 Depth=1
	s_wait_alu 0xfffe
	s_or_b32 exec_lo, exec_lo, s16
	v_lshlrev_b32_e32 v0, 8, v0
	v_lshl_add_u32 v6, v32, 10, 0x2000
	s_delay_alu instid0(VALU_DEP_1) | instskip(SKIP_1) | instid1(VALU_DEP_1)
	v_and_or_b32 v0, 0x8000, v0, v6
	v_lshlrev_b32_e32 v6, 23, v22
	v_lshl_or_b32 v22, v0, 16, v6
.LBB309_2323:                           ;   in Loop: Header=BB309_1567 Depth=1
	s_wait_alu 0xfffe
	s_or_b32 exec_lo, exec_lo, s15
.LBB309_2324:                           ;   in Loop: Header=BB309_1567 Depth=1
	s_wait_alu 0xfffe
	s_or_b32 exec_lo, exec_lo, s14
.LBB309_2325:                           ;   in Loop: Header=BB309_1567 Depth=1
	s_wait_alu 0xfffe
	s_or_b32 exec_lo, exec_lo, s13
	v_dual_mov_b32 v0, v10 :: v_dual_and_b32 v131, 0xff, v10
	v_mov_b32_e32 v32, 0
	v_mov_b32_e32 v34, 0
	s_mov_b32 s13, exec_lo
	s_delay_alu instid0(VALU_DEP_3)
	v_cmpx_ne_u16_e64 0, v131
	s_cbranch_execz .LBB309_2333
; %bb.2326:                             ;   in Loop: Header=BB309_1567 Depth=1
	v_mov_b32_e32 v34, 0x8000
	s_mov_b32 s14, exec_lo
	v_cmpx_ne_u16_e64 0x80, v131
	s_cbranch_execz .LBB309_2332
; %bb.2327:                             ;   in Loop: Header=BB309_1567 Depth=1
	v_and_b32_e32 v132, 0x7f, v10
	v_mov_b32_e32 v34, 0x7c01
	s_mov_b32 s15, exec_lo
	s_delay_alu instid0(VALU_DEP_2)
	v_cmpx_ne_u32_e32 0x7f, v132
	s_cbranch_execz .LBB309_2331
; %bb.2328:                             ;   in Loop: Header=BB309_1567 Depth=1
	v_and_b32_e32 v34, 7, v10
	v_lshrrev_b32_e32 v131, 3, v132
	s_mov_b32 s16, exec_lo
	v_cmpx_gt_u32_e32 8, v132
; %bb.2329:                             ;   in Loop: Header=BB309_1567 Depth=1
	s_delay_alu instid0(VALU_DEP_3) | instskip(NEXT) | instid1(VALU_DEP_1)
	v_clz_i32_u32_e32 v6, v34
	v_min_u32_e32 v6, 32, v6
	s_delay_alu instid0(VALU_DEP_1) | instskip(SKIP_1) | instid1(VALU_DEP_2)
	v_subrev_nc_u32_e32 v34, 28, v6
	v_sub_nc_u32_e32 v131, 29, v6
	v_lshlrev_b64_e32 v[132:133], v34, v[0:1]
	s_delay_alu instid0(VALU_DEP_1)
	v_and_b32_e32 v34, 7, v132
; %bb.2330:                             ;   in Loop: Header=BB309_1567 Depth=1
	s_wait_alu 0xfffe
	s_or_b32 exec_lo, exec_lo, s16
	v_lshlrev_b32_e32 v6, 8, v10
	v_lshl_add_u32 v131, v131, 10, 0x2000
	v_lshlrev_b32_e32 v34, 7, v34
	s_delay_alu instid0(VALU_DEP_3) | instskip(NEXT) | instid1(VALU_DEP_3)
	v_and_b32_e32 v6, 0x8000, v6
	v_and_b32_e32 v131, 0xfc00, v131
	s_delay_alu instid0(VALU_DEP_1)
	v_or3_b32 v34, v6, v131, v34
.LBB309_2331:                           ;   in Loop: Header=BB309_1567 Depth=1
	s_wait_alu 0xfffe
	s_or_b32 exec_lo, exec_lo, s15
.LBB309_2332:                           ;   in Loop: Header=BB309_1567 Depth=1
	s_wait_alu 0xfffe
	s_or_b32 exec_lo, exec_lo, s14
.LBB309_2333:                           ;   in Loop: Header=BB309_1567 Depth=1
	s_wait_alu 0xfffe
	s_or_b32 exec_lo, exec_lo, s13
	v_lshrrev_b16 v0, 8, v0
	v_mov_b32_e32 v131, 0
	s_mov_b32 s13, exec_lo
	s_delay_alu instid0(VALU_DEP_2)
	v_cmpx_ne_u16_e32 0, v0
	s_cbranch_execz .LBB309_2341
; %bb.2334:                             ;   in Loop: Header=BB309_1567 Depth=1
	v_bfrev_b32_e32 v131, 1
	s_mov_b32 s14, exec_lo
	v_cmpx_ne_u16_e32 0x80, v0
	s_cbranch_execz .LBB309_2340
; %bb.2335:                             ;   in Loop: Header=BB309_1567 Depth=1
	v_and_b32_e32 v132, 0xffff, v0
	v_mov_b32_e32 v131, 0x7c010000
	s_mov_b32 s15, exec_lo
	s_delay_alu instid0(VALU_DEP_2) | instskip(NEXT) | instid1(VALU_DEP_1)
	v_and_b32_e32 v134, 0x7f, v132
	v_cmpx_ne_u32_e32 0x7f, v134
	s_cbranch_execz .LBB309_2339
; %bb.2336:                             ;   in Loop: Header=BB309_1567 Depth=1
	v_and_b32_e32 v131, 7, v132
	v_lshrrev_b32_e32 v133, 3, v134
	s_mov_b32 s16, exec_lo
	v_cmpx_gt_u32_e32 8, v134
; %bb.2337:                             ;   in Loop: Header=BB309_1567 Depth=1
	s_delay_alu instid0(VALU_DEP_3) | instskip(NEXT) | instid1(VALU_DEP_1)
	v_clz_i32_u32_e32 v6, v131
	v_min_u32_e32 v6, 32, v6
	s_delay_alu instid0(VALU_DEP_1) | instskip(SKIP_1) | instid1(VALU_DEP_2)
	v_subrev_nc_u32_e32 v131, 28, v6
	v_sub_nc_u32_e32 v133, 29, v6
	v_lshlrev_b64_e32 v[134:135], v131, v[0:1]
	s_delay_alu instid0(VALU_DEP_1)
	v_and_b32_e32 v131, 7, v134
; %bb.2338:                             ;   in Loop: Header=BB309_1567 Depth=1
	s_wait_alu 0xfffe
	s_or_b32 exec_lo, exec_lo, s16
	v_lshlrev_b32_e32 v0, 8, v132
	v_lshl_add_u32 v6, v133, 10, 0x2000
	s_delay_alu instid0(VALU_DEP_1) | instskip(SKIP_1) | instid1(VALU_DEP_1)
	v_and_or_b32 v0, 0x8000, v0, v6
	v_lshlrev_b32_e32 v6, 23, v131
	v_lshl_or_b32 v131, v0, 16, v6
.LBB309_2339:                           ;   in Loop: Header=BB309_1567 Depth=1
	s_wait_alu 0xfffe
	s_or_b32 exec_lo, exec_lo, s15
.LBB309_2340:                           ;   in Loop: Header=BB309_1567 Depth=1
	s_wait_alu 0xfffe
	s_or_b32 exec_lo, exec_lo, s14
.LBB309_2341:                           ;   in Loop: Header=BB309_1567 Depth=1
	s_wait_alu 0xfffe
	s_or_b32 exec_lo, exec_lo, s13
	v_lshrrev_b32_e32 v0, 16, v10
	s_mov_b32 s13, exec_lo
	s_delay_alu instid0(VALU_DEP_1) | instskip(NEXT) | instid1(VALU_DEP_1)
	v_and_b32_e32 v132, 0xff, v0
	v_cmpx_ne_u16_e64 0, v132
	s_cbranch_execz .LBB309_2349
; %bb.2342:                             ;   in Loop: Header=BB309_1567 Depth=1
	v_mov_b32_e32 v32, 0x8000
	s_mov_b32 s14, exec_lo
	v_cmpx_ne_u16_e64 0x80, v132
	s_cbranch_execz .LBB309_2348
; %bb.2343:                             ;   in Loop: Header=BB309_1567 Depth=1
	v_bfe_u32 v133, v10, 16, 7
	v_mov_b32_e32 v32, 0x7c01
	s_mov_b32 s15, exec_lo
	s_delay_alu instid0(VALU_DEP_2)
	v_cmpx_ne_u32_e32 0x7f, v133
	s_cbranch_execz .LBB309_2347
; %bb.2344:                             ;   in Loop: Header=BB309_1567 Depth=1
	v_and_b32_e32 v32, 7, v0
	v_lshrrev_b32_e32 v132, 3, v133
	s_mov_b32 s16, exec_lo
	v_cmpx_gt_u32_e32 8, v133
; %bb.2345:                             ;   in Loop: Header=BB309_1567 Depth=1
	s_delay_alu instid0(VALU_DEP_3) | instskip(NEXT) | instid1(VALU_DEP_1)
	v_clz_i32_u32_e32 v6, v32
	v_min_u32_e32 v6, 32, v6
	s_delay_alu instid0(VALU_DEP_1) | instskip(SKIP_1) | instid1(VALU_DEP_2)
	v_subrev_nc_u32_e32 v32, 28, v6
	v_sub_nc_u32_e32 v132, 29, v6
	v_lshlrev_b64_e32 v[133:134], v32, v[0:1]
	s_delay_alu instid0(VALU_DEP_1)
	v_and_b32_e32 v32, 7, v133
; %bb.2346:                             ;   in Loop: Header=BB309_1567 Depth=1
	s_wait_alu 0xfffe
	s_or_b32 exec_lo, exec_lo, s16
	v_lshlrev_b32_e32 v0, 8, v0
	v_lshl_add_u32 v6, v132, 10, 0x2000
	v_lshlrev_b32_e32 v32, 7, v32
	s_delay_alu instid0(VALU_DEP_3) | instskip(NEXT) | instid1(VALU_DEP_3)
	v_and_b32_e32 v0, 0x8000, v0
	v_and_b32_e32 v6, 0xfc00, v6
	s_delay_alu instid0(VALU_DEP_1)
	v_or3_b32 v32, v0, v6, v32
.LBB309_2347:                           ;   in Loop: Header=BB309_1567 Depth=1
	s_wait_alu 0xfffe
	s_or_b32 exec_lo, exec_lo, s15
.LBB309_2348:                           ;   in Loop: Header=BB309_1567 Depth=1
	s_wait_alu 0xfffe
	s_or_b32 exec_lo, exec_lo, s14
.LBB309_2349:                           ;   in Loop: Header=BB309_1567 Depth=1
	s_wait_alu 0xfffe
	s_or_b32 exec_lo, exec_lo, s13
	v_cmp_lt_u64_e64 s0, s[8:9], v[9:10]
	v_mov_b32_e32 v9, 0
	s_and_saveexec_b32 s13, s0
	s_cbranch_execz .LBB309_2357
; %bb.2350:                             ;   in Loop: Header=BB309_1567 Depth=1
	v_lshrrev_b32_e32 v0, 24, v10
	v_bfrev_b32_e32 v9, 1
	s_mov_b32 s14, exec_lo
	s_delay_alu instid0(VALU_DEP_2)
	v_cmpx_ne_u32_e32 0x80, v0
	s_cbranch_execz .LBB309_2356
; %bb.2351:                             ;   in Loop: Header=BB309_1567 Depth=1
	v_and_b32_e32 v132, 0x7f, v0
	v_mov_b32_e32 v9, 0x7c010000
	s_mov_b32 s15, exec_lo
	s_delay_alu instid0(VALU_DEP_2)
	v_cmpx_ne_u32_e32 0x7f, v132
	s_cbranch_execz .LBB309_2355
; %bb.2352:                             ;   in Loop: Header=BB309_1567 Depth=1
	v_and_b32_e32 v9, 7, v0
	v_lshrrev_b32_e32 v10, 3, v132
	s_mov_b32 s16, exec_lo
	v_cmpx_gt_u32_e32 8, v132
; %bb.2353:                             ;   in Loop: Header=BB309_1567 Depth=1
	s_delay_alu instid0(VALU_DEP_3) | instskip(NEXT) | instid1(VALU_DEP_1)
	v_clz_i32_u32_e32 v6, v9
	v_min_u32_e32 v6, 32, v6
	s_delay_alu instid0(VALU_DEP_1) | instskip(NEXT) | instid1(VALU_DEP_1)
	v_subrev_nc_u32_e32 v9, 28, v6
	v_lshlrev_b64_e32 v[9:10], v9, v[0:1]
	v_sub_nc_u32_e32 v10, 29, v6
	s_delay_alu instid0(VALU_DEP_2)
	v_and_b32_e32 v9, 7, v9
; %bb.2354:                             ;   in Loop: Header=BB309_1567 Depth=1
	s_wait_alu 0xfffe
	s_or_b32 exec_lo, exec_lo, s16
	v_lshlrev_b32_e32 v0, 8, v0
	v_lshl_add_u32 v6, v10, 10, 0x2000
	s_delay_alu instid0(VALU_DEP_1) | instskip(SKIP_1) | instid1(VALU_DEP_1)
	v_and_or_b32 v0, 0x8000, v0, v6
	v_lshlrev_b32_e32 v6, 23, v9
	v_lshl_or_b32 v9, v0, 16, v6
.LBB309_2355:                           ;   in Loop: Header=BB309_1567 Depth=1
	s_wait_alu 0xfffe
	s_or_b32 exec_lo, exec_lo, s15
.LBB309_2356:                           ;   in Loop: Header=BB309_1567 Depth=1
	s_wait_alu 0xfffe
	s_or_b32 exec_lo, exec_lo, s14
.LBB309_2357:                           ;   in Loop: Header=BB309_1567 Depth=1
	s_wait_alu 0xfffe
	s_or_b32 exec_lo, exec_lo, s13
	v_or_b32_e32 v0, v22, v23
	s_wait_loadcnt_dscnt 0x0
	v_fma_mixlo_f16 v6, v4, v22, 0 op_sel:[0,1,0] op_sel_hi:[0,1,0]
	v_or_b32_e32 v10, v5, v12
	v_or_b32_e32 v22, v131, v34
	;; [unrolled: 1-line block ×3, first 2 shown]
	v_fma_mixlo_f16 v5, v4, v5, 0 op_sel:[0,1,0] op_sel_hi:[0,1,0]
	v_fma_mixlo_f16 v23, v4, v0, 0 op_sel_hi:[0,1,0]
	v_lshlrev_b32_e32 v0, 16, v6
	v_fma_mixlo_f16 v6, v4, v10, 0 op_sel_hi:[0,1,0]
	v_fma_mixlo_f16 v10, v4, v131, 0 op_sel:[0,1,0] op_sel_hi:[0,1,0]
	v_fma_mixlo_f16 v22, v4, v22, 0 op_sel_hi:[0,1,0]
	v_fma_mixlo_f16 v34, v4, v9, 0 op_sel:[0,1,0] op_sel_hi:[0,1,0]
	v_fma_mixlo_f16 v32, v4, v32, 0 op_sel_hi:[0,1,0]
	v_lshlrev_b32_e32 v12, 16, v5
	v_and_b32_e32 v5, 0xffff, v23
	v_and_b32_e32 v132, 0xffff, v6
	v_lshlrev_b32_e32 v9, 16, v10
	v_and_b32_e32 v23, 0xffff, v22
	v_lshlrev_b32_e32 v4, 16, v34
	v_and_b32_e32 v10, 0xffff, v32
	v_or_b32_e32 v22, v0, v5
	v_or_b32_e32 v131, v12, v132
	;; [unrolled: 1-line block ×3, first 2 shown]
	s_delay_alu instid0(VALU_DEP_4)
	v_or_b32_e32 v32, v4, v10
	s_and_saveexec_b32 s13, vcc_lo
	s_cbranch_execz .LBB309_2359
; %bb.2358:                             ;   in Loop: Header=BB309_1567 Depth=1
	v_cmp_lt_i32_e64 s0, v17, v33
	s_wait_alu 0xf1ff
	s_delay_alu instid0(VALU_DEP_1) | instskip(SKIP_2) | instid1(VALU_DEP_1)
	v_cndmask_b32_e64 v6, 0, v132, s0
	v_cmp_lt_i32_e64 s0, v86, v33
	s_wait_alu 0xf1ff
	v_cndmask_b32_e64 v12, 0, v12, s0
	v_cmp_lt_i32_e64 s0, v85, v33
	s_delay_alu instid0(VALU_DEP_2) | instskip(SKIP_1) | instid1(VALU_DEP_2)
	v_or_b32_e32 v131, v6, v12
	s_wait_alu 0xf1ff
	v_cndmask_b32_e64 v5, 0, v5, s0
	v_cmp_lt_i32_e64 s0, v84, v33
	s_wait_alu 0xf1ff
	s_delay_alu instid0(VALU_DEP_1) | instskip(SKIP_1) | instid1(VALU_DEP_2)
	v_cndmask_b32_e64 v0, 0, v0, s0
	v_cmp_lt_i32_e64 s0, v83, v33
	v_or_b32_e32 v22, v5, v0
	s_wait_alu 0xf1ff
	s_delay_alu instid0(VALU_DEP_2) | instskip(SKIP_2) | instid1(VALU_DEP_1)
	v_cndmask_b32_e64 v23, 0, v23, s0
	v_cmp_lt_i32_e64 s0, v82, v33
	s_wait_alu 0xf1ff
	v_cndmask_b32_e64 v9, 0, v9, s0
	v_cmp_lt_i32_e64 s0, v81, v33
	s_delay_alu instid0(VALU_DEP_2) | instskip(SKIP_1) | instid1(VALU_DEP_2)
	v_or_b32_e32 v34, v23, v9
	s_wait_alu 0xf1ff
	v_cndmask_b32_e64 v10, 0, v10, s0
	v_cmp_lt_i32_e64 s0, v80, v33
	s_wait_alu 0xf1ff
	s_delay_alu instid0(VALU_DEP_1) | instskip(NEXT) | instid1(VALU_DEP_1)
	v_cndmask_b32_e64 v4, 0, v4, s0
	v_or_b32_e32 v32, v10, v4
.LBB309_2359:                           ;   in Loop: Header=BB309_1567 Depth=1
	s_wait_alu 0xfffe
	s_or_b32 exec_lo, exec_lo, s13
	;;#ASMSTART
	v_pk_mul_f16 v0, v69, v131;

	;;#ASMEND
	;;#ASMSTART
	v_pk_mul_f16 v4, v37, v22;

	;;#ASMEND
	;; [unrolled: 4-line block ×4, first 2 shown]
	;;#ASMSTART
	v_pk_add_f16 v0, v0, v4;

	;;#ASMEND
	;;#ASMSTART
	v_pk_add_f16 v0, v0, v5;

	;;#ASMEND
	;; [unrolled: 4-line block ×3, first 2 shown]
	v_dual_mov_b32 v5, 0 :: v_dual_and_b32 v4, 0xffff, v0
	v_lshrrev_b32_e32 v0, 16, v0
	;;#ASMSTART
	v_cvt_f32_f16 v131, v4;
	;;#ASMEND
	;;#ASMSTART
	v_cvt_f32_f16 v132, v0;
	;;#ASMEND
	flat_load_b64 v[9:10], v[7:8] offset:3072
	flat_load_b32 v4, v[26:27]
	v_mov_b32_e32 v12, 0
	s_mov_b32 s13, exec_lo
	s_wait_loadcnt_dscnt 0x101
	v_and_b32_e32 v0, 0xff, v9
	s_delay_alu instid0(VALU_DEP_1)
	v_cmpx_ne_u16_e32 0, v0
	s_cbranch_execz .LBB309_2367
; %bb.2360:                             ;   in Loop: Header=BB309_1567 Depth=1
	v_mov_b32_e32 v12, 0x8000
	s_mov_b32 s14, exec_lo
	v_cmpx_ne_u16_e32 0x80, v0
	s_cbranch_execz .LBB309_2366
; %bb.2361:                             ;   in Loop: Header=BB309_1567 Depth=1
	v_and_b32_e32 v22, 0x7f, v9
	v_mov_b32_e32 v12, 0x7c01
	s_mov_b32 s15, exec_lo
	s_delay_alu instid0(VALU_DEP_2)
	v_cmpx_ne_u32_e32 0x7f, v22
	s_cbranch_execz .LBB309_2365
; %bb.2362:                             ;   in Loop: Header=BB309_1567 Depth=1
	v_and_b32_e32 v0, 7, v9
	v_lshrrev_b32_e32 v12, 3, v22
	s_mov_b32 s16, exec_lo
	v_cmpx_gt_u32_e32 8, v22
; %bb.2363:                             ;   in Loop: Header=BB309_1567 Depth=1
	s_delay_alu instid0(VALU_DEP_3) | instskip(NEXT) | instid1(VALU_DEP_1)
	v_clz_i32_u32_e32 v0, v0
	v_min_u32_e32 v0, 32, v0
	s_delay_alu instid0(VALU_DEP_1) | instskip(SKIP_1) | instid1(VALU_DEP_2)
	v_subrev_nc_u32_e32 v6, 28, v0
	v_sub_nc_u32_e32 v12, 29, v0
	v_lshlrev_b64_e32 v[22:23], v6, v[9:10]
	s_delay_alu instid0(VALU_DEP_1)
	v_and_b32_e32 v0, 7, v22
; %bb.2364:                             ;   in Loop: Header=BB309_1567 Depth=1
	s_wait_alu 0xfffe
	s_or_b32 exec_lo, exec_lo, s16
	v_lshlrev_b32_e32 v6, 8, v9
	v_lshl_add_u32 v12, v12, 10, 0x2000
	v_lshlrev_b32_e32 v0, 7, v0
	s_delay_alu instid0(VALU_DEP_3) | instskip(NEXT) | instid1(VALU_DEP_3)
	v_and_b32_e32 v6, 0x8000, v6
	v_and_b32_e32 v12, 0xfc00, v12
	s_delay_alu instid0(VALU_DEP_1)
	v_or3_b32 v12, v6, v12, v0
.LBB309_2365:                           ;   in Loop: Header=BB309_1567 Depth=1
	s_wait_alu 0xfffe
	s_or_b32 exec_lo, exec_lo, s15
.LBB309_2366:                           ;   in Loop: Header=BB309_1567 Depth=1
	s_wait_alu 0xfffe
	s_or_b32 exec_lo, exec_lo, s14
.LBB309_2367:                           ;   in Loop: Header=BB309_1567 Depth=1
	s_wait_alu 0xfffe
	s_or_b32 exec_lo, exec_lo, s13
	v_lshrrev_b16 v0, 8, v9
	s_mov_b32 s13, exec_lo
	s_delay_alu instid0(VALU_DEP_1)
	v_cmpx_ne_u16_e32 0, v0
	s_cbranch_execz .LBB309_2375
; %bb.2368:                             ;   in Loop: Header=BB309_1567 Depth=1
	v_bfrev_b32_e32 v5, 1
	s_mov_b32 s14, exec_lo
	v_cmpx_ne_u16_e32 0x80, v0
	s_cbranch_execz .LBB309_2374
; %bb.2369:                             ;   in Loop: Header=BB309_1567 Depth=1
	v_and_b32_e32 v22, 0xffff, v0
	v_mov_b32_e32 v5, 0x7c010000
	s_mov_b32 s15, exec_lo
	s_delay_alu instid0(VALU_DEP_2) | instskip(NEXT) | instid1(VALU_DEP_1)
	v_and_b32_e32 v32, 0x7f, v22
	v_cmpx_ne_u32_e32 0x7f, v32
	s_cbranch_execz .LBB309_2373
; %bb.2370:                             ;   in Loop: Header=BB309_1567 Depth=1
	v_and_b32_e32 v5, 7, v22
	v_lshrrev_b32_e32 v23, 3, v32
	s_mov_b32 s16, exec_lo
	v_cmpx_gt_u32_e32 8, v32
; %bb.2371:                             ;   in Loop: Header=BB309_1567 Depth=1
	s_delay_alu instid0(VALU_DEP_3) | instskip(NEXT) | instid1(VALU_DEP_1)
	v_clz_i32_u32_e32 v5, v5
	v_min_u32_e32 v23, 32, v5
	s_delay_alu instid0(VALU_DEP_1) | instskip(SKIP_1) | instid1(VALU_DEP_2)
	v_subrev_nc_u32_e32 v5, 28, v23
	v_sub_nc_u32_e32 v23, 29, v23
	v_lshlrev_b64_e32 v[5:6], v5, v[0:1]
	s_delay_alu instid0(VALU_DEP_1)
	v_and_b32_e32 v5, 7, v5
; %bb.2372:                             ;   in Loop: Header=BB309_1567 Depth=1
	s_wait_alu 0xfffe
	s_or_b32 exec_lo, exec_lo, s16
	v_lshlrev_b32_e32 v0, 8, v22
	v_lshl_add_u32 v6, v23, 10, 0x2000
	v_lshlrev_b32_e32 v5, 23, v5
	s_delay_alu instid0(VALU_DEP_2) | instskip(NEXT) | instid1(VALU_DEP_1)
	v_and_or_b32 v0, 0x8000, v0, v6
	v_lshl_or_b32 v5, v0, 16, v5
.LBB309_2373:                           ;   in Loop: Header=BB309_1567 Depth=1
	s_wait_alu 0xfffe
	s_or_b32 exec_lo, exec_lo, s15
.LBB309_2374:                           ;   in Loop: Header=BB309_1567 Depth=1
	s_wait_alu 0xfffe
	s_or_b32 exec_lo, exec_lo, s14
.LBB309_2375:                           ;   in Loop: Header=BB309_1567 Depth=1
	s_wait_alu 0xfffe
	s_or_b32 exec_lo, exec_lo, s13
	v_lshrrev_b32_e32 v0, 16, v9
	v_mov_b32_e32 v22, 0
	s_mov_b32 s13, exec_lo
	s_delay_alu instid0(VALU_DEP_2) | instskip(NEXT) | instid1(VALU_DEP_1)
	v_dual_mov_b32 v23, 0 :: v_dual_and_b32 v32, 0xff, v0
	v_cmpx_ne_u16_e32 0, v32
	s_cbranch_execz .LBB309_2383
; %bb.2376:                             ;   in Loop: Header=BB309_1567 Depth=1
	v_mov_b32_e32 v23, 0x8000
	s_mov_b32 s14, exec_lo
	v_cmpx_ne_u16_e32 0x80, v32
	s_cbranch_execz .LBB309_2382
; %bb.2377:                             ;   in Loop: Header=BB309_1567 Depth=1
	v_bfe_u32 v34, v9, 16, 7
	v_mov_b32_e32 v23, 0x7c01
	s_mov_b32 s15, exec_lo
	s_delay_alu instid0(VALU_DEP_2)
	v_cmpx_ne_u32_e32 0x7f, v34
	s_cbranch_execz .LBB309_2381
; %bb.2378:                             ;   in Loop: Header=BB309_1567 Depth=1
	v_and_b32_e32 v23, 7, v0
	v_lshrrev_b32_e32 v32, 3, v34
	s_mov_b32 s16, exec_lo
	v_cmpx_gt_u32_e32 8, v34
; %bb.2379:                             ;   in Loop: Header=BB309_1567 Depth=1
	s_delay_alu instid0(VALU_DEP_3) | instskip(NEXT) | instid1(VALU_DEP_1)
	v_clz_i32_u32_e32 v6, v23
	v_min_u32_e32 v6, 32, v6
	s_delay_alu instid0(VALU_DEP_1) | instskip(SKIP_1) | instid1(VALU_DEP_2)
	v_subrev_nc_u32_e32 v23, 28, v6
	v_sub_nc_u32_e32 v32, 29, v6
	v_lshlrev_b64_e32 v[133:134], v23, v[0:1]
	s_delay_alu instid0(VALU_DEP_1)
	v_and_b32_e32 v23, 7, v133
; %bb.2380:                             ;   in Loop: Header=BB309_1567 Depth=1
	s_wait_alu 0xfffe
	s_or_b32 exec_lo, exec_lo, s16
	v_lshlrev_b32_e32 v0, 8, v0
	v_lshl_add_u32 v6, v32, 10, 0x2000
	v_lshlrev_b32_e32 v23, 7, v23
	s_delay_alu instid0(VALU_DEP_3) | instskip(NEXT) | instid1(VALU_DEP_3)
	v_and_b32_e32 v0, 0x8000, v0
	v_and_b32_e32 v6, 0xfc00, v6
	s_delay_alu instid0(VALU_DEP_1)
	v_or3_b32 v23, v0, v6, v23
.LBB309_2381:                           ;   in Loop: Header=BB309_1567 Depth=1
	s_wait_alu 0xfffe
	s_or_b32 exec_lo, exec_lo, s15
.LBB309_2382:                           ;   in Loop: Header=BB309_1567 Depth=1
	s_wait_alu 0xfffe
	s_or_b32 exec_lo, exec_lo, s14
.LBB309_2383:                           ;   in Loop: Header=BB309_1567 Depth=1
	s_wait_alu 0xfffe
	s_or_b32 exec_lo, exec_lo, s13
	s_delay_alu instid0(SALU_CYCLE_1)
	s_mov_b32 s13, exec_lo
	v_cmpx_lt_u32_e32 0xffffff, v9
	s_cbranch_execz .LBB309_2391
; %bb.2384:                             ;   in Loop: Header=BB309_1567 Depth=1
	v_lshrrev_b32_e32 v0, 24, v9
	v_bfrev_b32_e32 v22, 1
	s_mov_b32 s14, exec_lo
	s_delay_alu instid0(VALU_DEP_2)
	v_cmpx_ne_u32_e32 0x80, v0
	s_cbranch_execz .LBB309_2390
; %bb.2385:                             ;   in Loop: Header=BB309_1567 Depth=1
	v_and_b32_e32 v34, 0x7f, v0
	v_mov_b32_e32 v22, 0x7c010000
	s_mov_b32 s15, exec_lo
	s_delay_alu instid0(VALU_DEP_2)
	v_cmpx_ne_u32_e32 0x7f, v34
	s_cbranch_execz .LBB309_2389
; %bb.2386:                             ;   in Loop: Header=BB309_1567 Depth=1
	v_and_b32_e32 v22, 7, v0
	v_lshrrev_b32_e32 v32, 3, v34
	s_mov_b32 s16, exec_lo
	v_cmpx_gt_u32_e32 8, v34
; %bb.2387:                             ;   in Loop: Header=BB309_1567 Depth=1
	s_delay_alu instid0(VALU_DEP_3) | instskip(NEXT) | instid1(VALU_DEP_1)
	v_clz_i32_u32_e32 v6, v22
	v_min_u32_e32 v6, 32, v6
	s_delay_alu instid0(VALU_DEP_1) | instskip(SKIP_1) | instid1(VALU_DEP_2)
	v_subrev_nc_u32_e32 v22, 28, v6
	v_sub_nc_u32_e32 v32, 29, v6
	v_lshlrev_b64_e32 v[133:134], v22, v[0:1]
	s_delay_alu instid0(VALU_DEP_1)
	v_and_b32_e32 v22, 7, v133
; %bb.2388:                             ;   in Loop: Header=BB309_1567 Depth=1
	s_wait_alu 0xfffe
	s_or_b32 exec_lo, exec_lo, s16
	v_lshlrev_b32_e32 v0, 8, v0
	v_lshl_add_u32 v6, v32, 10, 0x2000
	s_delay_alu instid0(VALU_DEP_1) | instskip(SKIP_1) | instid1(VALU_DEP_1)
	v_and_or_b32 v0, 0x8000, v0, v6
	v_lshlrev_b32_e32 v6, 23, v22
	v_lshl_or_b32 v22, v0, 16, v6
.LBB309_2389:                           ;   in Loop: Header=BB309_1567 Depth=1
	s_wait_alu 0xfffe
	s_or_b32 exec_lo, exec_lo, s15
.LBB309_2390:                           ;   in Loop: Header=BB309_1567 Depth=1
	s_wait_alu 0xfffe
	s_or_b32 exec_lo, exec_lo, s14
.LBB309_2391:                           ;   in Loop: Header=BB309_1567 Depth=1
	s_wait_alu 0xfffe
	s_or_b32 exec_lo, exec_lo, s13
	v_dual_mov_b32 v0, v10 :: v_dual_and_b32 v133, 0xff, v10
	v_mov_b32_e32 v32, 0
	v_mov_b32_e32 v34, 0
	s_mov_b32 s13, exec_lo
	s_delay_alu instid0(VALU_DEP_3)
	v_cmpx_ne_u16_e64 0, v133
	s_cbranch_execz .LBB309_2399
; %bb.2392:                             ;   in Loop: Header=BB309_1567 Depth=1
	v_mov_b32_e32 v34, 0x8000
	s_mov_b32 s14, exec_lo
	v_cmpx_ne_u16_e64 0x80, v133
	s_cbranch_execz .LBB309_2398
; %bb.2393:                             ;   in Loop: Header=BB309_1567 Depth=1
	v_and_b32_e32 v134, 0x7f, v10
	v_mov_b32_e32 v34, 0x7c01
	s_mov_b32 s15, exec_lo
	s_delay_alu instid0(VALU_DEP_2)
	v_cmpx_ne_u32_e32 0x7f, v134
	s_cbranch_execz .LBB309_2397
; %bb.2394:                             ;   in Loop: Header=BB309_1567 Depth=1
	v_and_b32_e32 v34, 7, v10
	v_lshrrev_b32_e32 v133, 3, v134
	s_mov_b32 s16, exec_lo
	v_cmpx_gt_u32_e32 8, v134
; %bb.2395:                             ;   in Loop: Header=BB309_1567 Depth=1
	s_delay_alu instid0(VALU_DEP_3) | instskip(NEXT) | instid1(VALU_DEP_1)
	v_clz_i32_u32_e32 v6, v34
	v_min_u32_e32 v6, 32, v6
	s_delay_alu instid0(VALU_DEP_1) | instskip(SKIP_1) | instid1(VALU_DEP_2)
	v_subrev_nc_u32_e32 v34, 28, v6
	v_sub_nc_u32_e32 v133, 29, v6
	v_lshlrev_b64_e32 v[134:135], v34, v[0:1]
	s_delay_alu instid0(VALU_DEP_1)
	v_and_b32_e32 v34, 7, v134
; %bb.2396:                             ;   in Loop: Header=BB309_1567 Depth=1
	s_wait_alu 0xfffe
	s_or_b32 exec_lo, exec_lo, s16
	v_lshlrev_b32_e32 v6, 8, v10
	v_lshl_add_u32 v133, v133, 10, 0x2000
	v_lshlrev_b32_e32 v34, 7, v34
	s_delay_alu instid0(VALU_DEP_3) | instskip(NEXT) | instid1(VALU_DEP_3)
	v_and_b32_e32 v6, 0x8000, v6
	v_and_b32_e32 v133, 0xfc00, v133
	s_delay_alu instid0(VALU_DEP_1)
	v_or3_b32 v34, v6, v133, v34
.LBB309_2397:                           ;   in Loop: Header=BB309_1567 Depth=1
	s_wait_alu 0xfffe
	s_or_b32 exec_lo, exec_lo, s15
.LBB309_2398:                           ;   in Loop: Header=BB309_1567 Depth=1
	s_wait_alu 0xfffe
	s_or_b32 exec_lo, exec_lo, s14
.LBB309_2399:                           ;   in Loop: Header=BB309_1567 Depth=1
	s_wait_alu 0xfffe
	s_or_b32 exec_lo, exec_lo, s13
	v_lshrrev_b16 v0, 8, v0
	v_mov_b32_e32 v133, 0
	s_mov_b32 s13, exec_lo
	s_delay_alu instid0(VALU_DEP_2)
	v_cmpx_ne_u16_e32 0, v0
	s_cbranch_execz .LBB309_2407
; %bb.2400:                             ;   in Loop: Header=BB309_1567 Depth=1
	v_bfrev_b32_e32 v133, 1
	s_mov_b32 s14, exec_lo
	v_cmpx_ne_u16_e32 0x80, v0
	s_cbranch_execz .LBB309_2406
; %bb.2401:                             ;   in Loop: Header=BB309_1567 Depth=1
	v_and_b32_e32 v134, 0xffff, v0
	v_mov_b32_e32 v133, 0x7c010000
	s_mov_b32 s15, exec_lo
	s_delay_alu instid0(VALU_DEP_2) | instskip(NEXT) | instid1(VALU_DEP_1)
	v_and_b32_e32 v144, 0x7f, v134
	v_cmpx_ne_u32_e32 0x7f, v144
	s_cbranch_execz .LBB309_2405
; %bb.2402:                             ;   in Loop: Header=BB309_1567 Depth=1
	v_and_b32_e32 v133, 7, v134
	v_lshrrev_b32_e32 v135, 3, v144
	s_mov_b32 s16, exec_lo
	v_cmpx_gt_u32_e32 8, v144
; %bb.2403:                             ;   in Loop: Header=BB309_1567 Depth=1
	s_delay_alu instid0(VALU_DEP_3) | instskip(NEXT) | instid1(VALU_DEP_1)
	v_clz_i32_u32_e32 v6, v133
	v_min_u32_e32 v6, 32, v6
	s_delay_alu instid0(VALU_DEP_1) | instskip(SKIP_1) | instid1(VALU_DEP_2)
	v_subrev_nc_u32_e32 v133, 28, v6
	v_sub_nc_u32_e32 v135, 29, v6
	v_lshlrev_b64_e32 v[144:145], v133, v[0:1]
	s_delay_alu instid0(VALU_DEP_1)
	v_and_b32_e32 v133, 7, v144
; %bb.2404:                             ;   in Loop: Header=BB309_1567 Depth=1
	s_wait_alu 0xfffe
	s_or_b32 exec_lo, exec_lo, s16
	v_lshlrev_b32_e32 v0, 8, v134
	v_lshl_add_u32 v6, v135, 10, 0x2000
	s_delay_alu instid0(VALU_DEP_1) | instskip(SKIP_1) | instid1(VALU_DEP_1)
	v_and_or_b32 v0, 0x8000, v0, v6
	v_lshlrev_b32_e32 v6, 23, v133
	v_lshl_or_b32 v133, v0, 16, v6
.LBB309_2405:                           ;   in Loop: Header=BB309_1567 Depth=1
	s_wait_alu 0xfffe
	s_or_b32 exec_lo, exec_lo, s15
.LBB309_2406:                           ;   in Loop: Header=BB309_1567 Depth=1
	s_wait_alu 0xfffe
	s_or_b32 exec_lo, exec_lo, s14
.LBB309_2407:                           ;   in Loop: Header=BB309_1567 Depth=1
	s_wait_alu 0xfffe
	s_or_b32 exec_lo, exec_lo, s13
	v_lshrrev_b32_e32 v0, 16, v10
	s_mov_b32 s13, exec_lo
	s_delay_alu instid0(VALU_DEP_1) | instskip(NEXT) | instid1(VALU_DEP_1)
	v_and_b32_e32 v134, 0xff, v0
	v_cmpx_ne_u16_e64 0, v134
	s_cbranch_execz .LBB309_2415
; %bb.2408:                             ;   in Loop: Header=BB309_1567 Depth=1
	v_mov_b32_e32 v32, 0x8000
	s_mov_b32 s14, exec_lo
	v_cmpx_ne_u16_e64 0x80, v134
	s_cbranch_execz .LBB309_2414
; %bb.2409:                             ;   in Loop: Header=BB309_1567 Depth=1
	v_bfe_u32 v135, v10, 16, 7
	v_mov_b32_e32 v32, 0x7c01
	s_mov_b32 s15, exec_lo
	s_delay_alu instid0(VALU_DEP_2)
	v_cmpx_ne_u32_e32 0x7f, v135
	s_cbranch_execz .LBB309_2413
; %bb.2410:                             ;   in Loop: Header=BB309_1567 Depth=1
	v_and_b32_e32 v32, 7, v0
	v_lshrrev_b32_e32 v134, 3, v135
	s_mov_b32 s16, exec_lo
	v_cmpx_gt_u32_e32 8, v135
; %bb.2411:                             ;   in Loop: Header=BB309_1567 Depth=1
	s_delay_alu instid0(VALU_DEP_3) | instskip(NEXT) | instid1(VALU_DEP_1)
	v_clz_i32_u32_e32 v6, v32
	v_min_u32_e32 v6, 32, v6
	s_delay_alu instid0(VALU_DEP_1) | instskip(SKIP_1) | instid1(VALU_DEP_2)
	v_subrev_nc_u32_e32 v32, 28, v6
	v_sub_nc_u32_e32 v134, 29, v6
	v_lshlrev_b64_e32 v[144:145], v32, v[0:1]
	s_delay_alu instid0(VALU_DEP_1)
	v_and_b32_e32 v32, 7, v144
; %bb.2412:                             ;   in Loop: Header=BB309_1567 Depth=1
	s_wait_alu 0xfffe
	s_or_b32 exec_lo, exec_lo, s16
	v_lshlrev_b32_e32 v0, 8, v0
	v_lshl_add_u32 v6, v134, 10, 0x2000
	v_lshlrev_b32_e32 v32, 7, v32
	s_delay_alu instid0(VALU_DEP_3) | instskip(NEXT) | instid1(VALU_DEP_3)
	v_and_b32_e32 v0, 0x8000, v0
	v_and_b32_e32 v6, 0xfc00, v6
	s_delay_alu instid0(VALU_DEP_1)
	v_or3_b32 v32, v0, v6, v32
.LBB309_2413:                           ;   in Loop: Header=BB309_1567 Depth=1
	s_wait_alu 0xfffe
	s_or_b32 exec_lo, exec_lo, s15
.LBB309_2414:                           ;   in Loop: Header=BB309_1567 Depth=1
	s_wait_alu 0xfffe
	s_or_b32 exec_lo, exec_lo, s14
.LBB309_2415:                           ;   in Loop: Header=BB309_1567 Depth=1
	s_wait_alu 0xfffe
	s_or_b32 exec_lo, exec_lo, s13
	v_cmp_lt_u64_e64 s0, s[8:9], v[9:10]
	v_mov_b32_e32 v9, 0
	s_and_saveexec_b32 s13, s0
	s_cbranch_execz .LBB309_2423
; %bb.2416:                             ;   in Loop: Header=BB309_1567 Depth=1
	v_lshrrev_b32_e32 v0, 24, v10
	v_bfrev_b32_e32 v9, 1
	s_mov_b32 s14, exec_lo
	s_delay_alu instid0(VALU_DEP_2)
	v_cmpx_ne_u32_e32 0x80, v0
	s_cbranch_execz .LBB309_2422
; %bb.2417:                             ;   in Loop: Header=BB309_1567 Depth=1
	v_and_b32_e32 v134, 0x7f, v0
	v_mov_b32_e32 v9, 0x7c010000
	s_mov_b32 s15, exec_lo
	s_delay_alu instid0(VALU_DEP_2)
	v_cmpx_ne_u32_e32 0x7f, v134
	s_cbranch_execz .LBB309_2421
; %bb.2418:                             ;   in Loop: Header=BB309_1567 Depth=1
	v_and_b32_e32 v9, 7, v0
	v_lshrrev_b32_e32 v10, 3, v134
	s_mov_b32 s16, exec_lo
	v_cmpx_gt_u32_e32 8, v134
; %bb.2419:                             ;   in Loop: Header=BB309_1567 Depth=1
	s_delay_alu instid0(VALU_DEP_3) | instskip(NEXT) | instid1(VALU_DEP_1)
	v_clz_i32_u32_e32 v6, v9
	v_min_u32_e32 v6, 32, v6
	s_delay_alu instid0(VALU_DEP_1) | instskip(NEXT) | instid1(VALU_DEP_1)
	v_subrev_nc_u32_e32 v9, 28, v6
	v_lshlrev_b64_e32 v[9:10], v9, v[0:1]
	v_sub_nc_u32_e32 v10, 29, v6
	s_delay_alu instid0(VALU_DEP_2)
	v_and_b32_e32 v9, 7, v9
; %bb.2420:                             ;   in Loop: Header=BB309_1567 Depth=1
	s_wait_alu 0xfffe
	s_or_b32 exec_lo, exec_lo, s16
	v_lshlrev_b32_e32 v0, 8, v0
	v_lshl_add_u32 v6, v10, 10, 0x2000
	s_delay_alu instid0(VALU_DEP_1) | instskip(SKIP_1) | instid1(VALU_DEP_1)
	v_and_or_b32 v0, 0x8000, v0, v6
	v_lshlrev_b32_e32 v6, 23, v9
	v_lshl_or_b32 v9, v0, 16, v6
.LBB309_2421:                           ;   in Loop: Header=BB309_1567 Depth=1
	s_wait_alu 0xfffe
	s_or_b32 exec_lo, exec_lo, s15
.LBB309_2422:                           ;   in Loop: Header=BB309_1567 Depth=1
	s_wait_alu 0xfffe
	s_or_b32 exec_lo, exec_lo, s14
.LBB309_2423:                           ;   in Loop: Header=BB309_1567 Depth=1
	s_wait_alu 0xfffe
	s_or_b32 exec_lo, exec_lo, s13
	v_or_b32_e32 v0, v22, v23
	s_wait_loadcnt_dscnt 0x0
	v_fma_mixlo_f16 v6, v4, v22, 0 op_sel:[0,1,0] op_sel_hi:[0,1,0]
	v_or_b32_e32 v10, v5, v12
	v_or_b32_e32 v22, v133, v34
	;; [unrolled: 1-line block ×3, first 2 shown]
	v_fma_mixlo_f16 v5, v4, v5, 0 op_sel:[0,1,0] op_sel_hi:[0,1,0]
	v_fma_mixlo_f16 v23, v4, v0, 0 op_sel_hi:[0,1,0]
	v_lshlrev_b32_e32 v0, 16, v6
	v_fma_mixlo_f16 v6, v4, v10, 0 op_sel_hi:[0,1,0]
	v_fma_mixlo_f16 v10, v4, v133, 0 op_sel:[0,1,0] op_sel_hi:[0,1,0]
	v_fma_mixlo_f16 v22, v4, v22, 0 op_sel_hi:[0,1,0]
	v_fma_mixlo_f16 v34, v4, v9, 0 op_sel:[0,1,0] op_sel_hi:[0,1,0]
	v_fma_mixlo_f16 v32, v4, v32, 0 op_sel_hi:[0,1,0]
	v_lshlrev_b32_e32 v12, 16, v5
	v_and_b32_e32 v5, 0xffff, v23
	v_and_b32_e32 v134, 0xffff, v6
	v_lshlrev_b32_e32 v9, 16, v10
	v_and_b32_e32 v23, 0xffff, v22
	v_lshlrev_b32_e32 v4, 16, v34
	v_and_b32_e32 v10, 0xffff, v32
	v_or_b32_e32 v22, v0, v5
	v_or_b32_e32 v133, v12, v134
	v_or_b32_e32 v34, v9, v23
	s_delay_alu instid0(VALU_DEP_4)
	v_or_b32_e32 v32, v4, v10
	s_and_saveexec_b32 s13, vcc_lo
	s_cbranch_execz .LBB309_2425
; %bb.2424:                             ;   in Loop: Header=BB309_1567 Depth=1
	v_cmp_lt_i32_e64 s0, v17, v33
	s_wait_alu 0xf1ff
	s_delay_alu instid0(VALU_DEP_1) | instskip(SKIP_2) | instid1(VALU_DEP_1)
	v_cndmask_b32_e64 v6, 0, v134, s0
	v_cmp_lt_i32_e64 s0, v86, v33
	s_wait_alu 0xf1ff
	v_cndmask_b32_e64 v12, 0, v12, s0
	v_cmp_lt_i32_e64 s0, v85, v33
	s_delay_alu instid0(VALU_DEP_2) | instskip(SKIP_1) | instid1(VALU_DEP_2)
	v_or_b32_e32 v133, v6, v12
	s_wait_alu 0xf1ff
	v_cndmask_b32_e64 v5, 0, v5, s0
	v_cmp_lt_i32_e64 s0, v84, v33
	s_wait_alu 0xf1ff
	s_delay_alu instid0(VALU_DEP_1) | instskip(SKIP_1) | instid1(VALU_DEP_2)
	v_cndmask_b32_e64 v0, 0, v0, s0
	v_cmp_lt_i32_e64 s0, v83, v33
	v_or_b32_e32 v22, v5, v0
	s_wait_alu 0xf1ff
	s_delay_alu instid0(VALU_DEP_2) | instskip(SKIP_2) | instid1(VALU_DEP_1)
	v_cndmask_b32_e64 v23, 0, v23, s0
	v_cmp_lt_i32_e64 s0, v82, v33
	s_wait_alu 0xf1ff
	v_cndmask_b32_e64 v9, 0, v9, s0
	v_cmp_lt_i32_e64 s0, v81, v33
	s_delay_alu instid0(VALU_DEP_2) | instskip(SKIP_1) | instid1(VALU_DEP_2)
	v_or_b32_e32 v34, v23, v9
	s_wait_alu 0xf1ff
	v_cndmask_b32_e64 v10, 0, v10, s0
	v_cmp_lt_i32_e64 s0, v80, v33
	s_wait_alu 0xf1ff
	s_delay_alu instid0(VALU_DEP_1) | instskip(NEXT) | instid1(VALU_DEP_1)
	v_cndmask_b32_e64 v4, 0, v4, s0
	v_or_b32_e32 v32, v10, v4
.LBB309_2425:                           ;   in Loop: Header=BB309_1567 Depth=1
	s_wait_alu 0xfffe
	s_or_b32 exec_lo, exec_lo, s13
	;;#ASMSTART
	v_pk_mul_f16 v0, v69, v133;

	;;#ASMEND
	;;#ASMSTART
	v_pk_mul_f16 v4, v37, v22;

	;;#ASMEND
	;; [unrolled: 4-line block ×4, first 2 shown]
	;;#ASMSTART
	v_pk_add_f16 v0, v0, v4;

	;;#ASMEND
	;;#ASMSTART
	v_pk_add_f16 v0, v0, v5;

	;;#ASMEND
	;; [unrolled: 4-line block ×3, first 2 shown]
	v_dual_mov_b32 v5, 0 :: v_dual_and_b32 v4, 0xffff, v0
	v_lshrrev_b32_e32 v0, 16, v0
	;;#ASMSTART
	v_cvt_f32_f16 v133, v4;
	;;#ASMEND
	;;#ASMSTART
	v_cvt_f32_f16 v134, v0;
	;;#ASMEND
	flat_load_b64 v[9:10], v[7:8] offset:3328
	flat_load_b32 v4, v[26:27]
	v_mov_b32_e32 v12, 0
	s_mov_b32 s13, exec_lo
	s_wait_loadcnt_dscnt 0x101
	v_and_b32_e32 v0, 0xff, v9
	s_delay_alu instid0(VALU_DEP_1)
	v_cmpx_ne_u16_e32 0, v0
	s_cbranch_execz .LBB309_2433
; %bb.2426:                             ;   in Loop: Header=BB309_1567 Depth=1
	v_mov_b32_e32 v12, 0x8000
	s_mov_b32 s14, exec_lo
	v_cmpx_ne_u16_e32 0x80, v0
	s_cbranch_execz .LBB309_2432
; %bb.2427:                             ;   in Loop: Header=BB309_1567 Depth=1
	v_and_b32_e32 v22, 0x7f, v9
	v_mov_b32_e32 v12, 0x7c01
	s_mov_b32 s15, exec_lo
	s_delay_alu instid0(VALU_DEP_2)
	v_cmpx_ne_u32_e32 0x7f, v22
	s_cbranch_execz .LBB309_2431
; %bb.2428:                             ;   in Loop: Header=BB309_1567 Depth=1
	v_and_b32_e32 v0, 7, v9
	v_lshrrev_b32_e32 v12, 3, v22
	s_mov_b32 s16, exec_lo
	v_cmpx_gt_u32_e32 8, v22
; %bb.2429:                             ;   in Loop: Header=BB309_1567 Depth=1
	s_delay_alu instid0(VALU_DEP_3) | instskip(NEXT) | instid1(VALU_DEP_1)
	v_clz_i32_u32_e32 v0, v0
	v_min_u32_e32 v0, 32, v0
	s_delay_alu instid0(VALU_DEP_1) | instskip(SKIP_1) | instid1(VALU_DEP_2)
	v_subrev_nc_u32_e32 v6, 28, v0
	v_sub_nc_u32_e32 v12, 29, v0
	v_lshlrev_b64_e32 v[22:23], v6, v[9:10]
	s_delay_alu instid0(VALU_DEP_1)
	v_and_b32_e32 v0, 7, v22
; %bb.2430:                             ;   in Loop: Header=BB309_1567 Depth=1
	s_wait_alu 0xfffe
	s_or_b32 exec_lo, exec_lo, s16
	v_lshlrev_b32_e32 v6, 8, v9
	v_lshl_add_u32 v12, v12, 10, 0x2000
	v_lshlrev_b32_e32 v0, 7, v0
	s_delay_alu instid0(VALU_DEP_3) | instskip(NEXT) | instid1(VALU_DEP_3)
	v_and_b32_e32 v6, 0x8000, v6
	v_and_b32_e32 v12, 0xfc00, v12
	s_delay_alu instid0(VALU_DEP_1)
	v_or3_b32 v12, v6, v12, v0
.LBB309_2431:                           ;   in Loop: Header=BB309_1567 Depth=1
	s_wait_alu 0xfffe
	s_or_b32 exec_lo, exec_lo, s15
.LBB309_2432:                           ;   in Loop: Header=BB309_1567 Depth=1
	s_wait_alu 0xfffe
	s_or_b32 exec_lo, exec_lo, s14
.LBB309_2433:                           ;   in Loop: Header=BB309_1567 Depth=1
	s_wait_alu 0xfffe
	s_or_b32 exec_lo, exec_lo, s13
	v_lshrrev_b16 v0, 8, v9
	s_mov_b32 s13, exec_lo
	s_delay_alu instid0(VALU_DEP_1)
	v_cmpx_ne_u16_e32 0, v0
	s_cbranch_execz .LBB309_2441
; %bb.2434:                             ;   in Loop: Header=BB309_1567 Depth=1
	v_bfrev_b32_e32 v5, 1
	s_mov_b32 s14, exec_lo
	v_cmpx_ne_u16_e32 0x80, v0
	s_cbranch_execz .LBB309_2440
; %bb.2435:                             ;   in Loop: Header=BB309_1567 Depth=1
	v_and_b32_e32 v22, 0xffff, v0
	v_mov_b32_e32 v5, 0x7c010000
	s_mov_b32 s15, exec_lo
	s_delay_alu instid0(VALU_DEP_2) | instskip(NEXT) | instid1(VALU_DEP_1)
	v_and_b32_e32 v32, 0x7f, v22
	v_cmpx_ne_u32_e32 0x7f, v32
	s_cbranch_execz .LBB309_2439
; %bb.2436:                             ;   in Loop: Header=BB309_1567 Depth=1
	v_and_b32_e32 v5, 7, v22
	v_lshrrev_b32_e32 v23, 3, v32
	s_mov_b32 s16, exec_lo
	v_cmpx_gt_u32_e32 8, v32
; %bb.2437:                             ;   in Loop: Header=BB309_1567 Depth=1
	s_delay_alu instid0(VALU_DEP_3) | instskip(NEXT) | instid1(VALU_DEP_1)
	v_clz_i32_u32_e32 v5, v5
	v_min_u32_e32 v23, 32, v5
	s_delay_alu instid0(VALU_DEP_1) | instskip(SKIP_1) | instid1(VALU_DEP_2)
	v_subrev_nc_u32_e32 v5, 28, v23
	v_sub_nc_u32_e32 v23, 29, v23
	v_lshlrev_b64_e32 v[5:6], v5, v[0:1]
	s_delay_alu instid0(VALU_DEP_1)
	v_and_b32_e32 v5, 7, v5
; %bb.2438:                             ;   in Loop: Header=BB309_1567 Depth=1
	s_wait_alu 0xfffe
	s_or_b32 exec_lo, exec_lo, s16
	v_lshlrev_b32_e32 v0, 8, v22
	v_lshl_add_u32 v6, v23, 10, 0x2000
	v_lshlrev_b32_e32 v5, 23, v5
	s_delay_alu instid0(VALU_DEP_2) | instskip(NEXT) | instid1(VALU_DEP_1)
	v_and_or_b32 v0, 0x8000, v0, v6
	v_lshl_or_b32 v5, v0, 16, v5
.LBB309_2439:                           ;   in Loop: Header=BB309_1567 Depth=1
	s_wait_alu 0xfffe
	s_or_b32 exec_lo, exec_lo, s15
.LBB309_2440:                           ;   in Loop: Header=BB309_1567 Depth=1
	s_wait_alu 0xfffe
	s_or_b32 exec_lo, exec_lo, s14
.LBB309_2441:                           ;   in Loop: Header=BB309_1567 Depth=1
	s_wait_alu 0xfffe
	s_or_b32 exec_lo, exec_lo, s13
	v_lshrrev_b32_e32 v0, 16, v9
	v_mov_b32_e32 v22, 0
	s_mov_b32 s13, exec_lo
	s_delay_alu instid0(VALU_DEP_2) | instskip(NEXT) | instid1(VALU_DEP_1)
	v_dual_mov_b32 v23, 0 :: v_dual_and_b32 v32, 0xff, v0
	v_cmpx_ne_u16_e32 0, v32
	s_cbranch_execz .LBB309_2449
; %bb.2442:                             ;   in Loop: Header=BB309_1567 Depth=1
	v_mov_b32_e32 v23, 0x8000
	s_mov_b32 s14, exec_lo
	v_cmpx_ne_u16_e32 0x80, v32
	s_cbranch_execz .LBB309_2448
; %bb.2443:                             ;   in Loop: Header=BB309_1567 Depth=1
	v_bfe_u32 v34, v9, 16, 7
	v_mov_b32_e32 v23, 0x7c01
	s_mov_b32 s15, exec_lo
	s_delay_alu instid0(VALU_DEP_2)
	v_cmpx_ne_u32_e32 0x7f, v34
	s_cbranch_execz .LBB309_2447
; %bb.2444:                             ;   in Loop: Header=BB309_1567 Depth=1
	v_and_b32_e32 v23, 7, v0
	v_lshrrev_b32_e32 v32, 3, v34
	s_mov_b32 s16, exec_lo
	v_cmpx_gt_u32_e32 8, v34
; %bb.2445:                             ;   in Loop: Header=BB309_1567 Depth=1
	s_delay_alu instid0(VALU_DEP_3) | instskip(NEXT) | instid1(VALU_DEP_1)
	v_clz_i32_u32_e32 v6, v23
	v_min_u32_e32 v6, 32, v6
	s_delay_alu instid0(VALU_DEP_1) | instskip(SKIP_1) | instid1(VALU_DEP_2)
	v_subrev_nc_u32_e32 v23, 28, v6
	v_sub_nc_u32_e32 v32, 29, v6
	v_lshlrev_b64_e32 v[144:145], v23, v[0:1]
	s_delay_alu instid0(VALU_DEP_1)
	v_and_b32_e32 v23, 7, v144
; %bb.2446:                             ;   in Loop: Header=BB309_1567 Depth=1
	s_wait_alu 0xfffe
	s_or_b32 exec_lo, exec_lo, s16
	v_lshlrev_b32_e32 v0, 8, v0
	v_lshl_add_u32 v6, v32, 10, 0x2000
	v_lshlrev_b32_e32 v23, 7, v23
	s_delay_alu instid0(VALU_DEP_3) | instskip(NEXT) | instid1(VALU_DEP_3)
	v_and_b32_e32 v0, 0x8000, v0
	v_and_b32_e32 v6, 0xfc00, v6
	s_delay_alu instid0(VALU_DEP_1)
	v_or3_b32 v23, v0, v6, v23
.LBB309_2447:                           ;   in Loop: Header=BB309_1567 Depth=1
	s_wait_alu 0xfffe
	s_or_b32 exec_lo, exec_lo, s15
.LBB309_2448:                           ;   in Loop: Header=BB309_1567 Depth=1
	s_wait_alu 0xfffe
	s_or_b32 exec_lo, exec_lo, s14
.LBB309_2449:                           ;   in Loop: Header=BB309_1567 Depth=1
	s_wait_alu 0xfffe
	s_or_b32 exec_lo, exec_lo, s13
	s_delay_alu instid0(SALU_CYCLE_1)
	s_mov_b32 s13, exec_lo
	v_cmpx_lt_u32_e32 0xffffff, v9
	s_cbranch_execz .LBB309_2457
; %bb.2450:                             ;   in Loop: Header=BB309_1567 Depth=1
	v_lshrrev_b32_e32 v0, 24, v9
	v_bfrev_b32_e32 v22, 1
	s_mov_b32 s14, exec_lo
	s_delay_alu instid0(VALU_DEP_2)
	v_cmpx_ne_u32_e32 0x80, v0
	s_cbranch_execz .LBB309_2456
; %bb.2451:                             ;   in Loop: Header=BB309_1567 Depth=1
	v_and_b32_e32 v34, 0x7f, v0
	v_mov_b32_e32 v22, 0x7c010000
	s_mov_b32 s15, exec_lo
	s_delay_alu instid0(VALU_DEP_2)
	v_cmpx_ne_u32_e32 0x7f, v34
	s_cbranch_execz .LBB309_2455
; %bb.2452:                             ;   in Loop: Header=BB309_1567 Depth=1
	v_and_b32_e32 v22, 7, v0
	v_lshrrev_b32_e32 v32, 3, v34
	s_mov_b32 s16, exec_lo
	v_cmpx_gt_u32_e32 8, v34
; %bb.2453:                             ;   in Loop: Header=BB309_1567 Depth=1
	s_delay_alu instid0(VALU_DEP_3) | instskip(NEXT) | instid1(VALU_DEP_1)
	v_clz_i32_u32_e32 v6, v22
	v_min_u32_e32 v6, 32, v6
	s_delay_alu instid0(VALU_DEP_1) | instskip(SKIP_1) | instid1(VALU_DEP_2)
	v_subrev_nc_u32_e32 v22, 28, v6
	v_sub_nc_u32_e32 v32, 29, v6
	v_lshlrev_b64_e32 v[144:145], v22, v[0:1]
	s_delay_alu instid0(VALU_DEP_1)
	v_and_b32_e32 v22, 7, v144
; %bb.2454:                             ;   in Loop: Header=BB309_1567 Depth=1
	s_wait_alu 0xfffe
	s_or_b32 exec_lo, exec_lo, s16
	v_lshlrev_b32_e32 v0, 8, v0
	v_lshl_add_u32 v6, v32, 10, 0x2000
	s_delay_alu instid0(VALU_DEP_1) | instskip(SKIP_1) | instid1(VALU_DEP_1)
	v_and_or_b32 v0, 0x8000, v0, v6
	v_lshlrev_b32_e32 v6, 23, v22
	v_lshl_or_b32 v22, v0, 16, v6
.LBB309_2455:                           ;   in Loop: Header=BB309_1567 Depth=1
	s_wait_alu 0xfffe
	s_or_b32 exec_lo, exec_lo, s15
.LBB309_2456:                           ;   in Loop: Header=BB309_1567 Depth=1
	s_wait_alu 0xfffe
	s_or_b32 exec_lo, exec_lo, s14
.LBB309_2457:                           ;   in Loop: Header=BB309_1567 Depth=1
	s_wait_alu 0xfffe
	s_or_b32 exec_lo, exec_lo, s13
	v_dual_mov_b32 v0, v10 :: v_dual_and_b32 v135, 0xff, v10
	v_mov_b32_e32 v32, 0
	v_mov_b32_e32 v34, 0
	s_mov_b32 s13, exec_lo
	s_delay_alu instid0(VALU_DEP_3)
	v_cmpx_ne_u16_e64 0, v135
	s_cbranch_execz .LBB309_2465
; %bb.2458:                             ;   in Loop: Header=BB309_1567 Depth=1
	v_mov_b32_e32 v34, 0x8000
	s_mov_b32 s14, exec_lo
	v_cmpx_ne_u16_e64 0x80, v135
	s_cbranch_execz .LBB309_2464
; %bb.2459:                             ;   in Loop: Header=BB309_1567 Depth=1
	v_and_b32_e32 v144, 0x7f, v10
	v_mov_b32_e32 v34, 0x7c01
	s_mov_b32 s15, exec_lo
	s_delay_alu instid0(VALU_DEP_2)
	v_cmpx_ne_u32_e32 0x7f, v144
	s_cbranch_execz .LBB309_2463
; %bb.2460:                             ;   in Loop: Header=BB309_1567 Depth=1
	v_and_b32_e32 v34, 7, v10
	v_lshrrev_b32_e32 v135, 3, v144
	s_mov_b32 s16, exec_lo
	v_cmpx_gt_u32_e32 8, v144
; %bb.2461:                             ;   in Loop: Header=BB309_1567 Depth=1
	s_delay_alu instid0(VALU_DEP_3) | instskip(NEXT) | instid1(VALU_DEP_1)
	v_clz_i32_u32_e32 v6, v34
	v_min_u32_e32 v6, 32, v6
	s_delay_alu instid0(VALU_DEP_1) | instskip(SKIP_1) | instid1(VALU_DEP_2)
	v_subrev_nc_u32_e32 v34, 28, v6
	v_sub_nc_u32_e32 v135, 29, v6
	v_lshlrev_b64_e32 v[144:145], v34, v[0:1]
	s_delay_alu instid0(VALU_DEP_1)
	v_and_b32_e32 v34, 7, v144
; %bb.2462:                             ;   in Loop: Header=BB309_1567 Depth=1
	s_wait_alu 0xfffe
	s_or_b32 exec_lo, exec_lo, s16
	v_lshlrev_b32_e32 v6, 8, v10
	v_lshl_add_u32 v135, v135, 10, 0x2000
	v_lshlrev_b32_e32 v34, 7, v34
	s_delay_alu instid0(VALU_DEP_3) | instskip(NEXT) | instid1(VALU_DEP_3)
	v_and_b32_e32 v6, 0x8000, v6
	v_and_b32_e32 v135, 0xfc00, v135
	s_delay_alu instid0(VALU_DEP_1)
	v_or3_b32 v34, v6, v135, v34
.LBB309_2463:                           ;   in Loop: Header=BB309_1567 Depth=1
	s_wait_alu 0xfffe
	s_or_b32 exec_lo, exec_lo, s15
.LBB309_2464:                           ;   in Loop: Header=BB309_1567 Depth=1
	s_wait_alu 0xfffe
	s_or_b32 exec_lo, exec_lo, s14
.LBB309_2465:                           ;   in Loop: Header=BB309_1567 Depth=1
	s_wait_alu 0xfffe
	s_or_b32 exec_lo, exec_lo, s13
	v_lshrrev_b16 v0, 8, v0
	v_mov_b32_e32 v135, 0
	s_mov_b32 s13, exec_lo
	s_delay_alu instid0(VALU_DEP_2)
	v_cmpx_ne_u16_e32 0, v0
	s_cbranch_execz .LBB309_2473
; %bb.2466:                             ;   in Loop: Header=BB309_1567 Depth=1
	v_bfrev_b32_e32 v135, 1
	s_mov_b32 s14, exec_lo
	v_cmpx_ne_u16_e32 0x80, v0
	s_cbranch_execz .LBB309_2472
; %bb.2467:                             ;   in Loop: Header=BB309_1567 Depth=1
	v_and_b32_e32 v144, 0xffff, v0
	v_mov_b32_e32 v135, 0x7c010000
	s_mov_b32 s15, exec_lo
	s_delay_alu instid0(VALU_DEP_2) | instskip(NEXT) | instid1(VALU_DEP_1)
	v_and_b32_e32 v146, 0x7f, v144
	v_cmpx_ne_u32_e32 0x7f, v146
	s_cbranch_execz .LBB309_2471
; %bb.2468:                             ;   in Loop: Header=BB309_1567 Depth=1
	v_and_b32_e32 v135, 7, v144
	v_lshrrev_b32_e32 v145, 3, v146
	s_mov_b32 s16, exec_lo
	v_cmpx_gt_u32_e32 8, v146
; %bb.2469:                             ;   in Loop: Header=BB309_1567 Depth=1
	s_delay_alu instid0(VALU_DEP_3) | instskip(NEXT) | instid1(VALU_DEP_1)
	v_clz_i32_u32_e32 v6, v135
	v_min_u32_e32 v6, 32, v6
	s_delay_alu instid0(VALU_DEP_1) | instskip(SKIP_1) | instid1(VALU_DEP_2)
	v_subrev_nc_u32_e32 v135, 28, v6
	v_sub_nc_u32_e32 v145, 29, v6
	v_lshlrev_b64_e32 v[146:147], v135, v[0:1]
	s_delay_alu instid0(VALU_DEP_1)
	v_and_b32_e32 v135, 7, v146
; %bb.2470:                             ;   in Loop: Header=BB309_1567 Depth=1
	s_wait_alu 0xfffe
	s_or_b32 exec_lo, exec_lo, s16
	v_lshlrev_b32_e32 v0, 8, v144
	v_lshl_add_u32 v6, v145, 10, 0x2000
	s_delay_alu instid0(VALU_DEP_1) | instskip(SKIP_1) | instid1(VALU_DEP_1)
	v_and_or_b32 v0, 0x8000, v0, v6
	v_lshlrev_b32_e32 v6, 23, v135
	v_lshl_or_b32 v135, v0, 16, v6
.LBB309_2471:                           ;   in Loop: Header=BB309_1567 Depth=1
	s_wait_alu 0xfffe
	s_or_b32 exec_lo, exec_lo, s15
.LBB309_2472:                           ;   in Loop: Header=BB309_1567 Depth=1
	s_wait_alu 0xfffe
	s_or_b32 exec_lo, exec_lo, s14
.LBB309_2473:                           ;   in Loop: Header=BB309_1567 Depth=1
	s_wait_alu 0xfffe
	s_or_b32 exec_lo, exec_lo, s13
	v_lshrrev_b32_e32 v0, 16, v10
	s_mov_b32 s13, exec_lo
	s_delay_alu instid0(VALU_DEP_1) | instskip(NEXT) | instid1(VALU_DEP_1)
	v_and_b32_e32 v144, 0xff, v0
	v_cmpx_ne_u16_e64 0, v144
	s_cbranch_execz .LBB309_2481
; %bb.2474:                             ;   in Loop: Header=BB309_1567 Depth=1
	v_mov_b32_e32 v32, 0x8000
	s_mov_b32 s14, exec_lo
	v_cmpx_ne_u16_e64 0x80, v144
	s_cbranch_execz .LBB309_2480
; %bb.2475:                             ;   in Loop: Header=BB309_1567 Depth=1
	v_bfe_u32 v145, v10, 16, 7
	v_mov_b32_e32 v32, 0x7c01
	s_mov_b32 s15, exec_lo
	s_delay_alu instid0(VALU_DEP_2)
	v_cmpx_ne_u32_e32 0x7f, v145
	s_cbranch_execz .LBB309_2479
; %bb.2476:                             ;   in Loop: Header=BB309_1567 Depth=1
	v_and_b32_e32 v32, 7, v0
	v_lshrrev_b32_e32 v144, 3, v145
	s_mov_b32 s16, exec_lo
	v_cmpx_gt_u32_e32 8, v145
; %bb.2477:                             ;   in Loop: Header=BB309_1567 Depth=1
	s_delay_alu instid0(VALU_DEP_3) | instskip(NEXT) | instid1(VALU_DEP_1)
	v_clz_i32_u32_e32 v6, v32
	v_min_u32_e32 v6, 32, v6
	s_delay_alu instid0(VALU_DEP_1) | instskip(SKIP_1) | instid1(VALU_DEP_2)
	v_subrev_nc_u32_e32 v32, 28, v6
	v_sub_nc_u32_e32 v144, 29, v6
	v_lshlrev_b64_e32 v[145:146], v32, v[0:1]
	s_delay_alu instid0(VALU_DEP_1)
	v_and_b32_e32 v32, 7, v145
; %bb.2478:                             ;   in Loop: Header=BB309_1567 Depth=1
	s_wait_alu 0xfffe
	s_or_b32 exec_lo, exec_lo, s16
	v_lshlrev_b32_e32 v0, 8, v0
	v_lshl_add_u32 v6, v144, 10, 0x2000
	v_lshlrev_b32_e32 v32, 7, v32
	s_delay_alu instid0(VALU_DEP_3) | instskip(NEXT) | instid1(VALU_DEP_3)
	v_and_b32_e32 v0, 0x8000, v0
	v_and_b32_e32 v6, 0xfc00, v6
	s_delay_alu instid0(VALU_DEP_1)
	v_or3_b32 v32, v0, v6, v32
.LBB309_2479:                           ;   in Loop: Header=BB309_1567 Depth=1
	s_wait_alu 0xfffe
	s_or_b32 exec_lo, exec_lo, s15
.LBB309_2480:                           ;   in Loop: Header=BB309_1567 Depth=1
	s_wait_alu 0xfffe
	s_or_b32 exec_lo, exec_lo, s14
.LBB309_2481:                           ;   in Loop: Header=BB309_1567 Depth=1
	s_wait_alu 0xfffe
	s_or_b32 exec_lo, exec_lo, s13
	v_cmp_lt_u64_e64 s0, s[8:9], v[9:10]
	v_mov_b32_e32 v9, 0
	s_and_saveexec_b32 s13, s0
	s_cbranch_execz .LBB309_2489
; %bb.2482:                             ;   in Loop: Header=BB309_1567 Depth=1
	v_lshrrev_b32_e32 v0, 24, v10
	v_bfrev_b32_e32 v9, 1
	s_mov_b32 s14, exec_lo
	s_delay_alu instid0(VALU_DEP_2)
	v_cmpx_ne_u32_e32 0x80, v0
	s_cbranch_execz .LBB309_2488
; %bb.2483:                             ;   in Loop: Header=BB309_1567 Depth=1
	v_and_b32_e32 v144, 0x7f, v0
	v_mov_b32_e32 v9, 0x7c010000
	s_mov_b32 s15, exec_lo
	s_delay_alu instid0(VALU_DEP_2)
	v_cmpx_ne_u32_e32 0x7f, v144
	s_cbranch_execz .LBB309_2487
; %bb.2484:                             ;   in Loop: Header=BB309_1567 Depth=1
	v_and_b32_e32 v9, 7, v0
	v_lshrrev_b32_e32 v10, 3, v144
	s_mov_b32 s16, exec_lo
	v_cmpx_gt_u32_e32 8, v144
; %bb.2485:                             ;   in Loop: Header=BB309_1567 Depth=1
	s_delay_alu instid0(VALU_DEP_3) | instskip(NEXT) | instid1(VALU_DEP_1)
	v_clz_i32_u32_e32 v6, v9
	v_min_u32_e32 v6, 32, v6
	s_delay_alu instid0(VALU_DEP_1) | instskip(NEXT) | instid1(VALU_DEP_1)
	v_subrev_nc_u32_e32 v9, 28, v6
	v_lshlrev_b64_e32 v[9:10], v9, v[0:1]
	v_sub_nc_u32_e32 v10, 29, v6
	s_delay_alu instid0(VALU_DEP_2)
	v_and_b32_e32 v9, 7, v9
; %bb.2486:                             ;   in Loop: Header=BB309_1567 Depth=1
	s_wait_alu 0xfffe
	s_or_b32 exec_lo, exec_lo, s16
	v_lshlrev_b32_e32 v0, 8, v0
	v_lshl_add_u32 v6, v10, 10, 0x2000
	s_delay_alu instid0(VALU_DEP_1) | instskip(SKIP_1) | instid1(VALU_DEP_1)
	v_and_or_b32 v0, 0x8000, v0, v6
	v_lshlrev_b32_e32 v6, 23, v9
	v_lshl_or_b32 v9, v0, 16, v6
.LBB309_2487:                           ;   in Loop: Header=BB309_1567 Depth=1
	s_wait_alu 0xfffe
	s_or_b32 exec_lo, exec_lo, s15
.LBB309_2488:                           ;   in Loop: Header=BB309_1567 Depth=1
	s_wait_alu 0xfffe
	s_or_b32 exec_lo, exec_lo, s14
.LBB309_2489:                           ;   in Loop: Header=BB309_1567 Depth=1
	s_wait_alu 0xfffe
	s_or_b32 exec_lo, exec_lo, s13
	v_or_b32_e32 v0, v22, v23
	s_wait_loadcnt_dscnt 0x0
	v_fma_mixlo_f16 v6, v4, v22, 0 op_sel:[0,1,0] op_sel_hi:[0,1,0]
	v_or_b32_e32 v10, v5, v12
	v_or_b32_e32 v22, v135, v34
	;; [unrolled: 1-line block ×3, first 2 shown]
	v_fma_mixlo_f16 v5, v4, v5, 0 op_sel:[0,1,0] op_sel_hi:[0,1,0]
	v_fma_mixlo_f16 v23, v4, v0, 0 op_sel_hi:[0,1,0]
	v_lshlrev_b32_e32 v0, 16, v6
	v_fma_mixlo_f16 v6, v4, v10, 0 op_sel_hi:[0,1,0]
	v_fma_mixlo_f16 v10, v4, v135, 0 op_sel:[0,1,0] op_sel_hi:[0,1,0]
	v_fma_mixlo_f16 v22, v4, v22, 0 op_sel_hi:[0,1,0]
	v_fma_mixlo_f16 v34, v4, v9, 0 op_sel:[0,1,0] op_sel_hi:[0,1,0]
	v_fma_mixlo_f16 v32, v4, v32, 0 op_sel_hi:[0,1,0]
	v_lshlrev_b32_e32 v12, 16, v5
	v_and_b32_e32 v5, 0xffff, v23
	v_and_b32_e32 v144, 0xffff, v6
	v_lshlrev_b32_e32 v9, 16, v10
	v_and_b32_e32 v23, 0xffff, v22
	v_lshlrev_b32_e32 v4, 16, v34
	v_and_b32_e32 v10, 0xffff, v32
	v_or_b32_e32 v22, v0, v5
	v_or_b32_e32 v135, v12, v144
	;; [unrolled: 1-line block ×3, first 2 shown]
	s_delay_alu instid0(VALU_DEP_4)
	v_or_b32_e32 v32, v4, v10
	s_and_saveexec_b32 s13, vcc_lo
	s_cbranch_execz .LBB309_2491
; %bb.2490:                             ;   in Loop: Header=BB309_1567 Depth=1
	v_cmp_lt_i32_e64 s0, v17, v33
	s_wait_alu 0xf1ff
	s_delay_alu instid0(VALU_DEP_1) | instskip(SKIP_2) | instid1(VALU_DEP_1)
	v_cndmask_b32_e64 v6, 0, v144, s0
	v_cmp_lt_i32_e64 s0, v86, v33
	s_wait_alu 0xf1ff
	v_cndmask_b32_e64 v12, 0, v12, s0
	v_cmp_lt_i32_e64 s0, v85, v33
	s_delay_alu instid0(VALU_DEP_2) | instskip(SKIP_1) | instid1(VALU_DEP_2)
	v_or_b32_e32 v135, v6, v12
	s_wait_alu 0xf1ff
	v_cndmask_b32_e64 v5, 0, v5, s0
	v_cmp_lt_i32_e64 s0, v84, v33
	s_wait_alu 0xf1ff
	s_delay_alu instid0(VALU_DEP_1) | instskip(SKIP_1) | instid1(VALU_DEP_2)
	v_cndmask_b32_e64 v0, 0, v0, s0
	v_cmp_lt_i32_e64 s0, v83, v33
	v_or_b32_e32 v22, v5, v0
	s_wait_alu 0xf1ff
	s_delay_alu instid0(VALU_DEP_2) | instskip(SKIP_2) | instid1(VALU_DEP_1)
	v_cndmask_b32_e64 v23, 0, v23, s0
	v_cmp_lt_i32_e64 s0, v82, v33
	s_wait_alu 0xf1ff
	v_cndmask_b32_e64 v9, 0, v9, s0
	v_cmp_lt_i32_e64 s0, v81, v33
	s_delay_alu instid0(VALU_DEP_2) | instskip(SKIP_1) | instid1(VALU_DEP_2)
	v_or_b32_e32 v34, v23, v9
	s_wait_alu 0xf1ff
	v_cndmask_b32_e64 v10, 0, v10, s0
	v_cmp_lt_i32_e64 s0, v80, v33
	s_wait_alu 0xf1ff
	s_delay_alu instid0(VALU_DEP_1) | instskip(NEXT) | instid1(VALU_DEP_1)
	v_cndmask_b32_e64 v4, 0, v4, s0
	v_or_b32_e32 v32, v10, v4
.LBB309_2491:                           ;   in Loop: Header=BB309_1567 Depth=1
	s_wait_alu 0xfffe
	s_or_b32 exec_lo, exec_lo, s13
	;;#ASMSTART
	v_pk_mul_f16 v0, v69, v135;

	;;#ASMEND
	;;#ASMSTART
	v_pk_mul_f16 v4, v37, v22;

	;;#ASMEND
	;; [unrolled: 4-line block ×4, first 2 shown]
	;;#ASMSTART
	v_pk_add_f16 v0, v0, v4;

	;;#ASMEND
	;;#ASMSTART
	v_pk_add_f16 v0, v0, v5;

	;;#ASMEND
	;; [unrolled: 4-line block ×3, first 2 shown]
	v_dual_mov_b32 v5, 0 :: v_dual_and_b32 v4, 0xffff, v0
	v_lshrrev_b32_e32 v0, 16, v0
	;;#ASMSTART
	v_cvt_f32_f16 v135, v4;
	;;#ASMEND
	;;#ASMSTART
	v_cvt_f32_f16 v144, v0;
	;;#ASMEND
	flat_load_b64 v[9:10], v[7:8] offset:3584
	flat_load_b32 v4, v[26:27]
	v_mov_b32_e32 v12, 0
	s_mov_b32 s13, exec_lo
	s_wait_loadcnt_dscnt 0x101
	v_and_b32_e32 v0, 0xff, v9
	s_delay_alu instid0(VALU_DEP_1)
	v_cmpx_ne_u16_e32 0, v0
	s_cbranch_execz .LBB309_2499
; %bb.2492:                             ;   in Loop: Header=BB309_1567 Depth=1
	v_mov_b32_e32 v12, 0x8000
	s_mov_b32 s14, exec_lo
	v_cmpx_ne_u16_e32 0x80, v0
	s_cbranch_execz .LBB309_2498
; %bb.2493:                             ;   in Loop: Header=BB309_1567 Depth=1
	v_and_b32_e32 v22, 0x7f, v9
	v_mov_b32_e32 v12, 0x7c01
	s_mov_b32 s15, exec_lo
	s_delay_alu instid0(VALU_DEP_2)
	v_cmpx_ne_u32_e32 0x7f, v22
	s_cbranch_execz .LBB309_2497
; %bb.2494:                             ;   in Loop: Header=BB309_1567 Depth=1
	v_and_b32_e32 v0, 7, v9
	v_lshrrev_b32_e32 v12, 3, v22
	s_mov_b32 s16, exec_lo
	v_cmpx_gt_u32_e32 8, v22
; %bb.2495:                             ;   in Loop: Header=BB309_1567 Depth=1
	s_delay_alu instid0(VALU_DEP_3) | instskip(NEXT) | instid1(VALU_DEP_1)
	v_clz_i32_u32_e32 v0, v0
	v_min_u32_e32 v0, 32, v0
	s_delay_alu instid0(VALU_DEP_1) | instskip(SKIP_1) | instid1(VALU_DEP_2)
	v_subrev_nc_u32_e32 v6, 28, v0
	v_sub_nc_u32_e32 v12, 29, v0
	v_lshlrev_b64_e32 v[22:23], v6, v[9:10]
	s_delay_alu instid0(VALU_DEP_1)
	v_and_b32_e32 v0, 7, v22
; %bb.2496:                             ;   in Loop: Header=BB309_1567 Depth=1
	s_wait_alu 0xfffe
	s_or_b32 exec_lo, exec_lo, s16
	v_lshlrev_b32_e32 v6, 8, v9
	v_lshl_add_u32 v12, v12, 10, 0x2000
	v_lshlrev_b32_e32 v0, 7, v0
	s_delay_alu instid0(VALU_DEP_3) | instskip(NEXT) | instid1(VALU_DEP_3)
	v_and_b32_e32 v6, 0x8000, v6
	v_and_b32_e32 v12, 0xfc00, v12
	s_delay_alu instid0(VALU_DEP_1)
	v_or3_b32 v12, v6, v12, v0
.LBB309_2497:                           ;   in Loop: Header=BB309_1567 Depth=1
	s_wait_alu 0xfffe
	s_or_b32 exec_lo, exec_lo, s15
.LBB309_2498:                           ;   in Loop: Header=BB309_1567 Depth=1
	s_wait_alu 0xfffe
	s_or_b32 exec_lo, exec_lo, s14
.LBB309_2499:                           ;   in Loop: Header=BB309_1567 Depth=1
	s_wait_alu 0xfffe
	s_or_b32 exec_lo, exec_lo, s13
	v_lshrrev_b16 v0, 8, v9
	s_mov_b32 s13, exec_lo
	s_delay_alu instid0(VALU_DEP_1)
	v_cmpx_ne_u16_e32 0, v0
	s_cbranch_execz .LBB309_2507
; %bb.2500:                             ;   in Loop: Header=BB309_1567 Depth=1
	v_bfrev_b32_e32 v5, 1
	s_mov_b32 s14, exec_lo
	v_cmpx_ne_u16_e32 0x80, v0
	s_cbranch_execz .LBB309_2506
; %bb.2501:                             ;   in Loop: Header=BB309_1567 Depth=1
	v_and_b32_e32 v22, 0xffff, v0
	v_mov_b32_e32 v5, 0x7c010000
	s_mov_b32 s15, exec_lo
	s_delay_alu instid0(VALU_DEP_2) | instskip(NEXT) | instid1(VALU_DEP_1)
	v_and_b32_e32 v32, 0x7f, v22
	v_cmpx_ne_u32_e32 0x7f, v32
	s_cbranch_execz .LBB309_2505
; %bb.2502:                             ;   in Loop: Header=BB309_1567 Depth=1
	v_and_b32_e32 v5, 7, v22
	v_lshrrev_b32_e32 v23, 3, v32
	s_mov_b32 s16, exec_lo
	v_cmpx_gt_u32_e32 8, v32
; %bb.2503:                             ;   in Loop: Header=BB309_1567 Depth=1
	s_delay_alu instid0(VALU_DEP_3) | instskip(NEXT) | instid1(VALU_DEP_1)
	v_clz_i32_u32_e32 v5, v5
	v_min_u32_e32 v23, 32, v5
	s_delay_alu instid0(VALU_DEP_1) | instskip(SKIP_1) | instid1(VALU_DEP_2)
	v_subrev_nc_u32_e32 v5, 28, v23
	v_sub_nc_u32_e32 v23, 29, v23
	v_lshlrev_b64_e32 v[5:6], v5, v[0:1]
	s_delay_alu instid0(VALU_DEP_1)
	v_and_b32_e32 v5, 7, v5
; %bb.2504:                             ;   in Loop: Header=BB309_1567 Depth=1
	s_wait_alu 0xfffe
	s_or_b32 exec_lo, exec_lo, s16
	v_lshlrev_b32_e32 v0, 8, v22
	v_lshl_add_u32 v6, v23, 10, 0x2000
	v_lshlrev_b32_e32 v5, 23, v5
	s_delay_alu instid0(VALU_DEP_2) | instskip(NEXT) | instid1(VALU_DEP_1)
	v_and_or_b32 v0, 0x8000, v0, v6
	v_lshl_or_b32 v5, v0, 16, v5
.LBB309_2505:                           ;   in Loop: Header=BB309_1567 Depth=1
	s_wait_alu 0xfffe
	s_or_b32 exec_lo, exec_lo, s15
.LBB309_2506:                           ;   in Loop: Header=BB309_1567 Depth=1
	s_wait_alu 0xfffe
	s_or_b32 exec_lo, exec_lo, s14
.LBB309_2507:                           ;   in Loop: Header=BB309_1567 Depth=1
	s_wait_alu 0xfffe
	s_or_b32 exec_lo, exec_lo, s13
	v_lshrrev_b32_e32 v0, 16, v9
	v_mov_b32_e32 v22, 0
	s_mov_b32 s13, exec_lo
	s_delay_alu instid0(VALU_DEP_2) | instskip(NEXT) | instid1(VALU_DEP_1)
	v_dual_mov_b32 v23, 0 :: v_dual_and_b32 v32, 0xff, v0
	v_cmpx_ne_u16_e32 0, v32
	s_cbranch_execz .LBB309_2515
; %bb.2508:                             ;   in Loop: Header=BB309_1567 Depth=1
	v_mov_b32_e32 v23, 0x8000
	s_mov_b32 s14, exec_lo
	v_cmpx_ne_u16_e32 0x80, v32
	s_cbranch_execz .LBB309_2514
; %bb.2509:                             ;   in Loop: Header=BB309_1567 Depth=1
	v_bfe_u32 v34, v9, 16, 7
	v_mov_b32_e32 v23, 0x7c01
	s_mov_b32 s15, exec_lo
	s_delay_alu instid0(VALU_DEP_2)
	v_cmpx_ne_u32_e32 0x7f, v34
	s_cbranch_execz .LBB309_2513
; %bb.2510:                             ;   in Loop: Header=BB309_1567 Depth=1
	v_and_b32_e32 v23, 7, v0
	v_lshrrev_b32_e32 v32, 3, v34
	s_mov_b32 s16, exec_lo
	v_cmpx_gt_u32_e32 8, v34
; %bb.2511:                             ;   in Loop: Header=BB309_1567 Depth=1
	s_delay_alu instid0(VALU_DEP_3) | instskip(NEXT) | instid1(VALU_DEP_1)
	v_clz_i32_u32_e32 v6, v23
	v_min_u32_e32 v6, 32, v6
	s_delay_alu instid0(VALU_DEP_1) | instskip(SKIP_1) | instid1(VALU_DEP_2)
	v_subrev_nc_u32_e32 v23, 28, v6
	v_sub_nc_u32_e32 v32, 29, v6
	v_lshlrev_b64_e32 v[145:146], v23, v[0:1]
	s_delay_alu instid0(VALU_DEP_1)
	v_and_b32_e32 v23, 7, v145
; %bb.2512:                             ;   in Loop: Header=BB309_1567 Depth=1
	s_wait_alu 0xfffe
	s_or_b32 exec_lo, exec_lo, s16
	v_lshlrev_b32_e32 v0, 8, v0
	v_lshl_add_u32 v6, v32, 10, 0x2000
	v_lshlrev_b32_e32 v23, 7, v23
	s_delay_alu instid0(VALU_DEP_3) | instskip(NEXT) | instid1(VALU_DEP_3)
	v_and_b32_e32 v0, 0x8000, v0
	v_and_b32_e32 v6, 0xfc00, v6
	s_delay_alu instid0(VALU_DEP_1)
	v_or3_b32 v23, v0, v6, v23
.LBB309_2513:                           ;   in Loop: Header=BB309_1567 Depth=1
	s_wait_alu 0xfffe
	s_or_b32 exec_lo, exec_lo, s15
.LBB309_2514:                           ;   in Loop: Header=BB309_1567 Depth=1
	s_wait_alu 0xfffe
	s_or_b32 exec_lo, exec_lo, s14
.LBB309_2515:                           ;   in Loop: Header=BB309_1567 Depth=1
	s_wait_alu 0xfffe
	s_or_b32 exec_lo, exec_lo, s13
	s_delay_alu instid0(SALU_CYCLE_1)
	s_mov_b32 s13, exec_lo
	v_cmpx_lt_u32_e32 0xffffff, v9
	s_cbranch_execz .LBB309_2523
; %bb.2516:                             ;   in Loop: Header=BB309_1567 Depth=1
	v_lshrrev_b32_e32 v0, 24, v9
	v_bfrev_b32_e32 v22, 1
	s_mov_b32 s14, exec_lo
	s_delay_alu instid0(VALU_DEP_2)
	v_cmpx_ne_u32_e32 0x80, v0
	s_cbranch_execz .LBB309_2522
; %bb.2517:                             ;   in Loop: Header=BB309_1567 Depth=1
	v_and_b32_e32 v34, 0x7f, v0
	v_mov_b32_e32 v22, 0x7c010000
	s_mov_b32 s15, exec_lo
	s_delay_alu instid0(VALU_DEP_2)
	v_cmpx_ne_u32_e32 0x7f, v34
	s_cbranch_execz .LBB309_2521
; %bb.2518:                             ;   in Loop: Header=BB309_1567 Depth=1
	v_and_b32_e32 v22, 7, v0
	v_lshrrev_b32_e32 v32, 3, v34
	s_mov_b32 s16, exec_lo
	v_cmpx_gt_u32_e32 8, v34
; %bb.2519:                             ;   in Loop: Header=BB309_1567 Depth=1
	s_delay_alu instid0(VALU_DEP_3) | instskip(NEXT) | instid1(VALU_DEP_1)
	v_clz_i32_u32_e32 v6, v22
	v_min_u32_e32 v6, 32, v6
	s_delay_alu instid0(VALU_DEP_1) | instskip(SKIP_1) | instid1(VALU_DEP_2)
	v_subrev_nc_u32_e32 v22, 28, v6
	v_sub_nc_u32_e32 v32, 29, v6
	v_lshlrev_b64_e32 v[145:146], v22, v[0:1]
	s_delay_alu instid0(VALU_DEP_1)
	v_and_b32_e32 v22, 7, v145
; %bb.2520:                             ;   in Loop: Header=BB309_1567 Depth=1
	s_wait_alu 0xfffe
	s_or_b32 exec_lo, exec_lo, s16
	v_lshlrev_b32_e32 v0, 8, v0
	v_lshl_add_u32 v6, v32, 10, 0x2000
	s_delay_alu instid0(VALU_DEP_1) | instskip(SKIP_1) | instid1(VALU_DEP_1)
	v_and_or_b32 v0, 0x8000, v0, v6
	v_lshlrev_b32_e32 v6, 23, v22
	v_lshl_or_b32 v22, v0, 16, v6
.LBB309_2521:                           ;   in Loop: Header=BB309_1567 Depth=1
	s_wait_alu 0xfffe
	s_or_b32 exec_lo, exec_lo, s15
.LBB309_2522:                           ;   in Loop: Header=BB309_1567 Depth=1
	s_wait_alu 0xfffe
	s_or_b32 exec_lo, exec_lo, s14
.LBB309_2523:                           ;   in Loop: Header=BB309_1567 Depth=1
	s_wait_alu 0xfffe
	s_or_b32 exec_lo, exec_lo, s13
	v_dual_mov_b32 v0, v10 :: v_dual_and_b32 v145, 0xff, v10
	v_mov_b32_e32 v32, 0
	v_mov_b32_e32 v34, 0
	s_mov_b32 s13, exec_lo
	s_delay_alu instid0(VALU_DEP_3)
	v_cmpx_ne_u16_e64 0, v145
	s_cbranch_execz .LBB309_2531
; %bb.2524:                             ;   in Loop: Header=BB309_1567 Depth=1
	v_mov_b32_e32 v34, 0x8000
	s_mov_b32 s14, exec_lo
	v_cmpx_ne_u16_e64 0x80, v145
	s_cbranch_execz .LBB309_2530
; %bb.2525:                             ;   in Loop: Header=BB309_1567 Depth=1
	v_and_b32_e32 v146, 0x7f, v10
	v_mov_b32_e32 v34, 0x7c01
	s_mov_b32 s15, exec_lo
	s_delay_alu instid0(VALU_DEP_2)
	v_cmpx_ne_u32_e32 0x7f, v146
	s_cbranch_execz .LBB309_2529
; %bb.2526:                             ;   in Loop: Header=BB309_1567 Depth=1
	v_and_b32_e32 v34, 7, v10
	v_lshrrev_b32_e32 v145, 3, v146
	s_mov_b32 s16, exec_lo
	v_cmpx_gt_u32_e32 8, v146
; %bb.2527:                             ;   in Loop: Header=BB309_1567 Depth=1
	s_delay_alu instid0(VALU_DEP_3) | instskip(NEXT) | instid1(VALU_DEP_1)
	v_clz_i32_u32_e32 v6, v34
	v_min_u32_e32 v6, 32, v6
	s_delay_alu instid0(VALU_DEP_1) | instskip(SKIP_1) | instid1(VALU_DEP_2)
	v_subrev_nc_u32_e32 v34, 28, v6
	v_sub_nc_u32_e32 v145, 29, v6
	v_lshlrev_b64_e32 v[146:147], v34, v[0:1]
	s_delay_alu instid0(VALU_DEP_1)
	v_and_b32_e32 v34, 7, v146
; %bb.2528:                             ;   in Loop: Header=BB309_1567 Depth=1
	s_wait_alu 0xfffe
	s_or_b32 exec_lo, exec_lo, s16
	v_lshlrev_b32_e32 v6, 8, v10
	v_lshl_add_u32 v145, v145, 10, 0x2000
	v_lshlrev_b32_e32 v34, 7, v34
	s_delay_alu instid0(VALU_DEP_3) | instskip(NEXT) | instid1(VALU_DEP_3)
	v_and_b32_e32 v6, 0x8000, v6
	v_and_b32_e32 v145, 0xfc00, v145
	s_delay_alu instid0(VALU_DEP_1)
	v_or3_b32 v34, v6, v145, v34
.LBB309_2529:                           ;   in Loop: Header=BB309_1567 Depth=1
	s_wait_alu 0xfffe
	s_or_b32 exec_lo, exec_lo, s15
.LBB309_2530:                           ;   in Loop: Header=BB309_1567 Depth=1
	s_wait_alu 0xfffe
	s_or_b32 exec_lo, exec_lo, s14
.LBB309_2531:                           ;   in Loop: Header=BB309_1567 Depth=1
	s_wait_alu 0xfffe
	s_or_b32 exec_lo, exec_lo, s13
	v_lshrrev_b16 v0, 8, v0
	v_mov_b32_e32 v145, 0
	s_mov_b32 s13, exec_lo
	s_delay_alu instid0(VALU_DEP_2)
	v_cmpx_ne_u16_e32 0, v0
	s_cbranch_execz .LBB309_2539
; %bb.2532:                             ;   in Loop: Header=BB309_1567 Depth=1
	v_bfrev_b32_e32 v145, 1
	s_mov_b32 s14, exec_lo
	v_cmpx_ne_u16_e32 0x80, v0
	s_cbranch_execz .LBB309_2538
; %bb.2533:                             ;   in Loop: Header=BB309_1567 Depth=1
	v_and_b32_e32 v146, 0xffff, v0
	v_mov_b32_e32 v145, 0x7c010000
	s_mov_b32 s15, exec_lo
	s_delay_alu instid0(VALU_DEP_2) | instskip(NEXT) | instid1(VALU_DEP_1)
	v_and_b32_e32 v148, 0x7f, v146
	v_cmpx_ne_u32_e32 0x7f, v148
	s_cbranch_execz .LBB309_2537
; %bb.2534:                             ;   in Loop: Header=BB309_1567 Depth=1
	v_and_b32_e32 v145, 7, v146
	v_lshrrev_b32_e32 v147, 3, v148
	s_mov_b32 s16, exec_lo
	v_cmpx_gt_u32_e32 8, v148
; %bb.2535:                             ;   in Loop: Header=BB309_1567 Depth=1
	s_delay_alu instid0(VALU_DEP_3) | instskip(NEXT) | instid1(VALU_DEP_1)
	v_clz_i32_u32_e32 v6, v145
	v_min_u32_e32 v6, 32, v6
	s_delay_alu instid0(VALU_DEP_1) | instskip(SKIP_1) | instid1(VALU_DEP_2)
	v_subrev_nc_u32_e32 v145, 28, v6
	v_sub_nc_u32_e32 v147, 29, v6
	v_lshlrev_b64_e32 v[148:149], v145, v[0:1]
	s_delay_alu instid0(VALU_DEP_1)
	v_and_b32_e32 v145, 7, v148
; %bb.2536:                             ;   in Loop: Header=BB309_1567 Depth=1
	s_wait_alu 0xfffe
	s_or_b32 exec_lo, exec_lo, s16
	v_lshlrev_b32_e32 v0, 8, v146
	v_lshl_add_u32 v6, v147, 10, 0x2000
	s_delay_alu instid0(VALU_DEP_1) | instskip(SKIP_1) | instid1(VALU_DEP_1)
	v_and_or_b32 v0, 0x8000, v0, v6
	v_lshlrev_b32_e32 v6, 23, v145
	v_lshl_or_b32 v145, v0, 16, v6
.LBB309_2537:                           ;   in Loop: Header=BB309_1567 Depth=1
	s_wait_alu 0xfffe
	s_or_b32 exec_lo, exec_lo, s15
.LBB309_2538:                           ;   in Loop: Header=BB309_1567 Depth=1
	s_wait_alu 0xfffe
	s_or_b32 exec_lo, exec_lo, s14
.LBB309_2539:                           ;   in Loop: Header=BB309_1567 Depth=1
	s_wait_alu 0xfffe
	s_or_b32 exec_lo, exec_lo, s13
	v_lshrrev_b32_e32 v0, 16, v10
	s_mov_b32 s13, exec_lo
	s_delay_alu instid0(VALU_DEP_1) | instskip(NEXT) | instid1(VALU_DEP_1)
	v_and_b32_e32 v146, 0xff, v0
	v_cmpx_ne_u16_e64 0, v146
	s_cbranch_execz .LBB309_2547
; %bb.2540:                             ;   in Loop: Header=BB309_1567 Depth=1
	v_mov_b32_e32 v32, 0x8000
	s_mov_b32 s14, exec_lo
	v_cmpx_ne_u16_e64 0x80, v146
	s_cbranch_execz .LBB309_2546
; %bb.2541:                             ;   in Loop: Header=BB309_1567 Depth=1
	v_bfe_u32 v147, v10, 16, 7
	v_mov_b32_e32 v32, 0x7c01
	s_mov_b32 s15, exec_lo
	s_delay_alu instid0(VALU_DEP_2)
	v_cmpx_ne_u32_e32 0x7f, v147
	s_cbranch_execz .LBB309_2545
; %bb.2542:                             ;   in Loop: Header=BB309_1567 Depth=1
	v_and_b32_e32 v32, 7, v0
	v_lshrrev_b32_e32 v146, 3, v147
	s_mov_b32 s16, exec_lo
	v_cmpx_gt_u32_e32 8, v147
; %bb.2543:                             ;   in Loop: Header=BB309_1567 Depth=1
	s_delay_alu instid0(VALU_DEP_3) | instskip(NEXT) | instid1(VALU_DEP_1)
	v_clz_i32_u32_e32 v6, v32
	v_min_u32_e32 v6, 32, v6
	s_delay_alu instid0(VALU_DEP_1) | instskip(SKIP_1) | instid1(VALU_DEP_2)
	v_subrev_nc_u32_e32 v32, 28, v6
	v_sub_nc_u32_e32 v146, 29, v6
	v_lshlrev_b64_e32 v[147:148], v32, v[0:1]
	s_delay_alu instid0(VALU_DEP_1)
	v_and_b32_e32 v32, 7, v147
; %bb.2544:                             ;   in Loop: Header=BB309_1567 Depth=1
	s_wait_alu 0xfffe
	s_or_b32 exec_lo, exec_lo, s16
	v_lshlrev_b32_e32 v0, 8, v0
	v_lshl_add_u32 v6, v146, 10, 0x2000
	v_lshlrev_b32_e32 v32, 7, v32
	s_delay_alu instid0(VALU_DEP_3) | instskip(NEXT) | instid1(VALU_DEP_3)
	v_and_b32_e32 v0, 0x8000, v0
	v_and_b32_e32 v6, 0xfc00, v6
	s_delay_alu instid0(VALU_DEP_1)
	v_or3_b32 v32, v0, v6, v32
.LBB309_2545:                           ;   in Loop: Header=BB309_1567 Depth=1
	s_wait_alu 0xfffe
	s_or_b32 exec_lo, exec_lo, s15
.LBB309_2546:                           ;   in Loop: Header=BB309_1567 Depth=1
	s_wait_alu 0xfffe
	s_or_b32 exec_lo, exec_lo, s14
.LBB309_2547:                           ;   in Loop: Header=BB309_1567 Depth=1
	s_wait_alu 0xfffe
	s_or_b32 exec_lo, exec_lo, s13
	v_cmp_lt_u64_e64 s0, s[8:9], v[9:10]
	v_mov_b32_e32 v9, 0
	s_and_saveexec_b32 s13, s0
	s_cbranch_execz .LBB309_2555
; %bb.2548:                             ;   in Loop: Header=BB309_1567 Depth=1
	v_lshrrev_b32_e32 v0, 24, v10
	v_bfrev_b32_e32 v9, 1
	s_mov_b32 s14, exec_lo
	s_delay_alu instid0(VALU_DEP_2)
	v_cmpx_ne_u32_e32 0x80, v0
	s_cbranch_execz .LBB309_2554
; %bb.2549:                             ;   in Loop: Header=BB309_1567 Depth=1
	v_and_b32_e32 v146, 0x7f, v0
	v_mov_b32_e32 v9, 0x7c010000
	s_mov_b32 s15, exec_lo
	s_delay_alu instid0(VALU_DEP_2)
	v_cmpx_ne_u32_e32 0x7f, v146
	s_cbranch_execz .LBB309_2553
; %bb.2550:                             ;   in Loop: Header=BB309_1567 Depth=1
	v_and_b32_e32 v9, 7, v0
	v_lshrrev_b32_e32 v10, 3, v146
	s_mov_b32 s16, exec_lo
	v_cmpx_gt_u32_e32 8, v146
; %bb.2551:                             ;   in Loop: Header=BB309_1567 Depth=1
	s_delay_alu instid0(VALU_DEP_3) | instskip(NEXT) | instid1(VALU_DEP_1)
	v_clz_i32_u32_e32 v6, v9
	v_min_u32_e32 v6, 32, v6
	s_delay_alu instid0(VALU_DEP_1) | instskip(NEXT) | instid1(VALU_DEP_1)
	v_subrev_nc_u32_e32 v9, 28, v6
	v_lshlrev_b64_e32 v[9:10], v9, v[0:1]
	v_sub_nc_u32_e32 v10, 29, v6
	s_delay_alu instid0(VALU_DEP_2)
	v_and_b32_e32 v9, 7, v9
; %bb.2552:                             ;   in Loop: Header=BB309_1567 Depth=1
	s_wait_alu 0xfffe
	s_or_b32 exec_lo, exec_lo, s16
	v_lshlrev_b32_e32 v0, 8, v0
	v_lshl_add_u32 v6, v10, 10, 0x2000
	s_delay_alu instid0(VALU_DEP_1) | instskip(SKIP_1) | instid1(VALU_DEP_1)
	v_and_or_b32 v0, 0x8000, v0, v6
	v_lshlrev_b32_e32 v6, 23, v9
	v_lshl_or_b32 v9, v0, 16, v6
.LBB309_2553:                           ;   in Loop: Header=BB309_1567 Depth=1
	s_wait_alu 0xfffe
	s_or_b32 exec_lo, exec_lo, s15
.LBB309_2554:                           ;   in Loop: Header=BB309_1567 Depth=1
	s_wait_alu 0xfffe
	s_or_b32 exec_lo, exec_lo, s14
.LBB309_2555:                           ;   in Loop: Header=BB309_1567 Depth=1
	s_wait_alu 0xfffe
	s_or_b32 exec_lo, exec_lo, s13
	v_or_b32_e32 v0, v22, v23
	s_wait_loadcnt_dscnt 0x0
	v_fma_mixlo_f16 v6, v4, v22, 0 op_sel:[0,1,0] op_sel_hi:[0,1,0]
	v_or_b32_e32 v10, v5, v12
	v_or_b32_e32 v22, v145, v34
	;; [unrolled: 1-line block ×3, first 2 shown]
	v_fma_mixlo_f16 v5, v4, v5, 0 op_sel:[0,1,0] op_sel_hi:[0,1,0]
	v_fma_mixlo_f16 v23, v4, v0, 0 op_sel_hi:[0,1,0]
	v_lshlrev_b32_e32 v0, 16, v6
	v_fma_mixlo_f16 v6, v4, v10, 0 op_sel_hi:[0,1,0]
	v_fma_mixlo_f16 v10, v4, v145, 0 op_sel:[0,1,0] op_sel_hi:[0,1,0]
	v_fma_mixlo_f16 v22, v4, v22, 0 op_sel_hi:[0,1,0]
	v_fma_mixlo_f16 v34, v4, v9, 0 op_sel:[0,1,0] op_sel_hi:[0,1,0]
	v_fma_mixlo_f16 v32, v4, v32, 0 op_sel_hi:[0,1,0]
	v_lshlrev_b32_e32 v12, 16, v5
	v_and_b32_e32 v5, 0xffff, v23
	v_and_b32_e32 v146, 0xffff, v6
	v_lshlrev_b32_e32 v9, 16, v10
	v_and_b32_e32 v23, 0xffff, v22
	v_lshlrev_b32_e32 v4, 16, v34
	v_and_b32_e32 v10, 0xffff, v32
	v_or_b32_e32 v22, v0, v5
	v_or_b32_e32 v145, v12, v146
	;; [unrolled: 1-line block ×3, first 2 shown]
	s_delay_alu instid0(VALU_DEP_4)
	v_or_b32_e32 v32, v4, v10
	s_and_saveexec_b32 s13, vcc_lo
	s_cbranch_execz .LBB309_2557
; %bb.2556:                             ;   in Loop: Header=BB309_1567 Depth=1
	v_cmp_lt_i32_e64 s0, v17, v33
	s_wait_alu 0xf1ff
	s_delay_alu instid0(VALU_DEP_1) | instskip(SKIP_2) | instid1(VALU_DEP_1)
	v_cndmask_b32_e64 v6, 0, v146, s0
	v_cmp_lt_i32_e64 s0, v86, v33
	s_wait_alu 0xf1ff
	v_cndmask_b32_e64 v12, 0, v12, s0
	v_cmp_lt_i32_e64 s0, v85, v33
	s_delay_alu instid0(VALU_DEP_2) | instskip(SKIP_1) | instid1(VALU_DEP_2)
	v_or_b32_e32 v145, v6, v12
	s_wait_alu 0xf1ff
	v_cndmask_b32_e64 v5, 0, v5, s0
	v_cmp_lt_i32_e64 s0, v84, v33
	s_wait_alu 0xf1ff
	s_delay_alu instid0(VALU_DEP_1) | instskip(SKIP_1) | instid1(VALU_DEP_2)
	v_cndmask_b32_e64 v0, 0, v0, s0
	v_cmp_lt_i32_e64 s0, v83, v33
	v_or_b32_e32 v22, v5, v0
	s_wait_alu 0xf1ff
	s_delay_alu instid0(VALU_DEP_2) | instskip(SKIP_2) | instid1(VALU_DEP_1)
	v_cndmask_b32_e64 v23, 0, v23, s0
	v_cmp_lt_i32_e64 s0, v82, v33
	s_wait_alu 0xf1ff
	v_cndmask_b32_e64 v9, 0, v9, s0
	v_cmp_lt_i32_e64 s0, v81, v33
	s_delay_alu instid0(VALU_DEP_2) | instskip(SKIP_1) | instid1(VALU_DEP_2)
	v_or_b32_e32 v34, v23, v9
	s_wait_alu 0xf1ff
	v_cndmask_b32_e64 v10, 0, v10, s0
	v_cmp_lt_i32_e64 s0, v80, v33
	s_wait_alu 0xf1ff
	s_delay_alu instid0(VALU_DEP_1) | instskip(NEXT) | instid1(VALU_DEP_1)
	v_cndmask_b32_e64 v4, 0, v4, s0
	v_or_b32_e32 v32, v10, v4
.LBB309_2557:                           ;   in Loop: Header=BB309_1567 Depth=1
	s_wait_alu 0xfffe
	s_or_b32 exec_lo, exec_lo, s13
	;;#ASMSTART
	v_pk_mul_f16 v0, v69, v145;

	;;#ASMEND
	;;#ASMSTART
	v_pk_mul_f16 v4, v37, v22;

	;;#ASMEND
	;;#ASMSTART
	v_pk_mul_f16 v5, v36, v34;

	;;#ASMEND
	;;#ASMSTART
	v_pk_mul_f16 v6, v35, v32;

	;;#ASMEND
	;;#ASMSTART
	v_pk_add_f16 v0, v0, v4;

	;;#ASMEND
	;;#ASMSTART
	v_pk_add_f16 v0, v0, v5;

	;;#ASMEND
	;; [unrolled: 4-line block ×3, first 2 shown]
	v_dual_mov_b32 v23, 0 :: v_dual_and_b32 v4, 0xffff, v0
	v_lshrrev_b32_e32 v0, 16, v0
	;;#ASMSTART
	v_cvt_f32_f16 v4, v4;
	;;#ASMEND
	;;#ASMSTART
	v_cvt_f32_f16 v5, v0;
	;;#ASMEND
	flat_load_b64 v[9:10], v[7:8] offset:3840
	flat_load_b32 v12, v[26:27]
	v_mov_b32_e32 v22, 0
	s_mov_b32 s13, exec_lo
	s_wait_loadcnt_dscnt 0x101
	v_and_b32_e32 v0, 0xff, v9
	s_delay_alu instid0(VALU_DEP_1)
	v_cmpx_ne_u16_e32 0, v0
	s_cbranch_execz .LBB309_2565
; %bb.2558:                             ;   in Loop: Header=BB309_1567 Depth=1
	v_mov_b32_e32 v23, 0x8000
	s_mov_b32 s14, exec_lo
	v_cmpx_ne_u16_e32 0x80, v0
	s_cbranch_execz .LBB309_2564
; %bb.2559:                             ;   in Loop: Header=BB309_1567 Depth=1
	v_and_b32_e32 v32, 0x7f, v9
	v_mov_b32_e32 v23, 0x7c01
	s_mov_b32 s15, exec_lo
	s_delay_alu instid0(VALU_DEP_2)
	v_cmpx_ne_u32_e32 0x7f, v32
	s_cbranch_execz .LBB309_2563
; %bb.2560:                             ;   in Loop: Header=BB309_1567 Depth=1
	v_and_b32_e32 v0, 7, v9
	v_lshrrev_b32_e32 v23, 3, v32
	s_mov_b32 s16, exec_lo
	v_cmpx_gt_u32_e32 8, v32
; %bb.2561:                             ;   in Loop: Header=BB309_1567 Depth=1
	s_delay_alu instid0(VALU_DEP_3) | instskip(NEXT) | instid1(VALU_DEP_1)
	v_clz_i32_u32_e32 v0, v0
	v_min_u32_e32 v0, 32, v0
	s_delay_alu instid0(VALU_DEP_1) | instskip(SKIP_1) | instid1(VALU_DEP_2)
	v_subrev_nc_u32_e32 v6, 28, v0
	v_sub_nc_u32_e32 v23, 29, v0
	v_lshlrev_b64_e32 v[145:146], v6, v[9:10]
	s_delay_alu instid0(VALU_DEP_1)
	v_and_b32_e32 v0, 7, v145
; %bb.2562:                             ;   in Loop: Header=BB309_1567 Depth=1
	s_wait_alu 0xfffe
	s_or_b32 exec_lo, exec_lo, s16
	v_lshlrev_b32_e32 v6, 8, v9
	v_lshl_add_u32 v23, v23, 10, 0x2000
	v_lshlrev_b32_e32 v0, 7, v0
	s_delay_alu instid0(VALU_DEP_3) | instskip(NEXT) | instid1(VALU_DEP_3)
	v_and_b32_e32 v6, 0x8000, v6
	v_and_b32_e32 v23, 0xfc00, v23
	s_delay_alu instid0(VALU_DEP_1)
	v_or3_b32 v23, v6, v23, v0
.LBB309_2563:                           ;   in Loop: Header=BB309_1567 Depth=1
	s_wait_alu 0xfffe
	s_or_b32 exec_lo, exec_lo, s15
.LBB309_2564:                           ;   in Loop: Header=BB309_1567 Depth=1
	s_wait_alu 0xfffe
	s_or_b32 exec_lo, exec_lo, s14
.LBB309_2565:                           ;   in Loop: Header=BB309_1567 Depth=1
	s_wait_alu 0xfffe
	s_or_b32 exec_lo, exec_lo, s13
	v_lshrrev_b16 v0, 8, v9
	s_mov_b32 s13, exec_lo
	s_delay_alu instid0(VALU_DEP_1)
	v_cmpx_ne_u16_e32 0, v0
	s_cbranch_execz .LBB309_2573
; %bb.2566:                             ;   in Loop: Header=BB309_1567 Depth=1
	v_bfrev_b32_e32 v22, 1
	s_mov_b32 s14, exec_lo
	v_cmpx_ne_u16_e32 0x80, v0
	s_cbranch_execz .LBB309_2572
; %bb.2567:                             ;   in Loop: Header=BB309_1567 Depth=1
	v_and_b32_e32 v32, 0xffff, v0
	v_mov_b32_e32 v22, 0x7c010000
	s_mov_b32 s15, exec_lo
	s_delay_alu instid0(VALU_DEP_2) | instskip(NEXT) | instid1(VALU_DEP_1)
	v_and_b32_e32 v145, 0x7f, v32
	v_cmpx_ne_u32_e32 0x7f, v145
	s_cbranch_execz .LBB309_2571
; %bb.2568:                             ;   in Loop: Header=BB309_1567 Depth=1
	v_and_b32_e32 v22, 7, v32
	v_lshrrev_b32_e32 v34, 3, v145
	s_mov_b32 s16, exec_lo
	v_cmpx_gt_u32_e32 8, v145
; %bb.2569:                             ;   in Loop: Header=BB309_1567 Depth=1
	s_delay_alu instid0(VALU_DEP_3) | instskip(NEXT) | instid1(VALU_DEP_1)
	v_clz_i32_u32_e32 v6, v22
	v_min_u32_e32 v6, 32, v6
	s_delay_alu instid0(VALU_DEP_1) | instskip(SKIP_1) | instid1(VALU_DEP_2)
	v_subrev_nc_u32_e32 v22, 28, v6
	v_sub_nc_u32_e32 v34, 29, v6
	v_lshlrev_b64_e32 v[145:146], v22, v[0:1]
	s_delay_alu instid0(VALU_DEP_1)
	v_and_b32_e32 v22, 7, v145
; %bb.2570:                             ;   in Loop: Header=BB309_1567 Depth=1
	s_wait_alu 0xfffe
	s_or_b32 exec_lo, exec_lo, s16
	v_lshlrev_b32_e32 v0, 8, v32
	v_lshl_add_u32 v6, v34, 10, 0x2000
	s_delay_alu instid0(VALU_DEP_1) | instskip(SKIP_1) | instid1(VALU_DEP_1)
	v_and_or_b32 v0, 0x8000, v0, v6
	v_lshlrev_b32_e32 v6, 23, v22
	v_lshl_or_b32 v22, v0, 16, v6
.LBB309_2571:                           ;   in Loop: Header=BB309_1567 Depth=1
	s_wait_alu 0xfffe
	s_or_b32 exec_lo, exec_lo, s15
.LBB309_2572:                           ;   in Loop: Header=BB309_1567 Depth=1
	s_wait_alu 0xfffe
	s_or_b32 exec_lo, exec_lo, s14
.LBB309_2573:                           ;   in Loop: Header=BB309_1567 Depth=1
	s_wait_alu 0xfffe
	s_or_b32 exec_lo, exec_lo, s13
	v_lshrrev_b32_e32 v0, 16, v9
	v_mov_b32_e32 v34, 0
	s_mov_b32 s13, exec_lo
	s_delay_alu instid0(VALU_DEP_2) | instskip(NEXT) | instid1(VALU_DEP_1)
	v_dual_mov_b32 v32, 0 :: v_dual_and_b32 v145, 0xff, v0
	v_cmpx_ne_u16_e64 0, v145
	s_cbranch_execz .LBB309_2581
; %bb.2574:                             ;   in Loop: Header=BB309_1567 Depth=1
	v_mov_b32_e32 v34, 0x8000
	s_mov_b32 s14, exec_lo
	v_cmpx_ne_u16_e64 0x80, v145
	s_cbranch_execz .LBB309_2580
; %bb.2575:                             ;   in Loop: Header=BB309_1567 Depth=1
	v_bfe_u32 v146, v9, 16, 7
	v_mov_b32_e32 v34, 0x7c01
	s_mov_b32 s15, exec_lo
	s_delay_alu instid0(VALU_DEP_2)
	v_cmpx_ne_u32_e32 0x7f, v146
	s_cbranch_execz .LBB309_2579
; %bb.2576:                             ;   in Loop: Header=BB309_1567 Depth=1
	v_and_b32_e32 v34, 7, v0
	v_lshrrev_b32_e32 v145, 3, v146
	s_mov_b32 s16, exec_lo
	v_cmpx_gt_u32_e32 8, v146
; %bb.2577:                             ;   in Loop: Header=BB309_1567 Depth=1
	s_delay_alu instid0(VALU_DEP_3) | instskip(NEXT) | instid1(VALU_DEP_1)
	v_clz_i32_u32_e32 v6, v34
	v_min_u32_e32 v6, 32, v6
	s_delay_alu instid0(VALU_DEP_1) | instskip(SKIP_1) | instid1(VALU_DEP_2)
	v_subrev_nc_u32_e32 v34, 28, v6
	v_sub_nc_u32_e32 v145, 29, v6
	v_lshlrev_b64_e32 v[146:147], v34, v[0:1]
	s_delay_alu instid0(VALU_DEP_1)
	v_and_b32_e32 v34, 7, v146
; %bb.2578:                             ;   in Loop: Header=BB309_1567 Depth=1
	s_wait_alu 0xfffe
	s_or_b32 exec_lo, exec_lo, s16
	v_lshlrev_b32_e32 v0, 8, v0
	v_lshl_add_u32 v6, v145, 10, 0x2000
	v_lshlrev_b32_e32 v34, 7, v34
	s_delay_alu instid0(VALU_DEP_3) | instskip(NEXT) | instid1(VALU_DEP_3)
	v_and_b32_e32 v0, 0x8000, v0
	v_and_b32_e32 v6, 0xfc00, v6
	s_delay_alu instid0(VALU_DEP_1)
	v_or3_b32 v34, v0, v6, v34
.LBB309_2579:                           ;   in Loop: Header=BB309_1567 Depth=1
	s_wait_alu 0xfffe
	s_or_b32 exec_lo, exec_lo, s15
.LBB309_2580:                           ;   in Loop: Header=BB309_1567 Depth=1
	s_wait_alu 0xfffe
	s_or_b32 exec_lo, exec_lo, s14
.LBB309_2581:                           ;   in Loop: Header=BB309_1567 Depth=1
	s_wait_alu 0xfffe
	s_or_b32 exec_lo, exec_lo, s13
	s_delay_alu instid0(SALU_CYCLE_1)
	s_mov_b32 s13, exec_lo
	v_cmpx_lt_u32_e32 0xffffff, v9
	s_cbranch_execz .LBB309_2589
; %bb.2582:                             ;   in Loop: Header=BB309_1567 Depth=1
	v_lshrrev_b32_e32 v0, 24, v9
	v_bfrev_b32_e32 v32, 1
	s_mov_b32 s14, exec_lo
	s_delay_alu instid0(VALU_DEP_2)
	v_cmpx_ne_u32_e32 0x80, v0
	s_cbranch_execz .LBB309_2588
; %bb.2583:                             ;   in Loop: Header=BB309_1567 Depth=1
	v_and_b32_e32 v146, 0x7f, v0
	v_mov_b32_e32 v32, 0x7c010000
	s_mov_b32 s15, exec_lo
	s_delay_alu instid0(VALU_DEP_2)
	v_cmpx_ne_u32_e32 0x7f, v146
	s_cbranch_execz .LBB309_2587
; %bb.2584:                             ;   in Loop: Header=BB309_1567 Depth=1
	v_and_b32_e32 v32, 7, v0
	v_lshrrev_b32_e32 v145, 3, v146
	s_mov_b32 s16, exec_lo
	v_cmpx_gt_u32_e32 8, v146
; %bb.2585:                             ;   in Loop: Header=BB309_1567 Depth=1
	s_delay_alu instid0(VALU_DEP_3) | instskip(NEXT) | instid1(VALU_DEP_1)
	v_clz_i32_u32_e32 v6, v32
	v_min_u32_e32 v6, 32, v6
	s_delay_alu instid0(VALU_DEP_1) | instskip(SKIP_1) | instid1(VALU_DEP_2)
	v_subrev_nc_u32_e32 v32, 28, v6
	v_sub_nc_u32_e32 v145, 29, v6
	v_lshlrev_b64_e32 v[146:147], v32, v[0:1]
	s_delay_alu instid0(VALU_DEP_1)
	v_and_b32_e32 v32, 7, v146
; %bb.2586:                             ;   in Loop: Header=BB309_1567 Depth=1
	s_wait_alu 0xfffe
	s_or_b32 exec_lo, exec_lo, s16
	v_lshlrev_b32_e32 v0, 8, v0
	v_lshl_add_u32 v6, v145, 10, 0x2000
	s_delay_alu instid0(VALU_DEP_1) | instskip(SKIP_1) | instid1(VALU_DEP_1)
	v_and_or_b32 v0, 0x8000, v0, v6
	v_lshlrev_b32_e32 v6, 23, v32
	v_lshl_or_b32 v32, v0, 16, v6
.LBB309_2587:                           ;   in Loop: Header=BB309_1567 Depth=1
	s_wait_alu 0xfffe
	s_or_b32 exec_lo, exec_lo, s15
.LBB309_2588:                           ;   in Loop: Header=BB309_1567 Depth=1
	s_wait_alu 0xfffe
	s_or_b32 exec_lo, exec_lo, s14
.LBB309_2589:                           ;   in Loop: Header=BB309_1567 Depth=1
	s_wait_alu 0xfffe
	s_or_b32 exec_lo, exec_lo, s13
	v_dual_mov_b32 v0, v10 :: v_dual_and_b32 v147, 0xff, v10
	v_dual_mov_b32 v145, 0 :: v_dual_mov_b32 v146, 0
	s_mov_b32 s13, exec_lo
	s_delay_alu instid0(VALU_DEP_2)
	v_cmpx_ne_u16_e64 0, v147
	s_cbranch_execz .LBB309_2597
; %bb.2590:                             ;   in Loop: Header=BB309_1567 Depth=1
	v_mov_b32_e32 v146, 0x8000
	s_mov_b32 s14, exec_lo
	v_cmpx_ne_u16_e64 0x80, v147
	s_cbranch_execz .LBB309_2596
; %bb.2591:                             ;   in Loop: Header=BB309_1567 Depth=1
	v_and_b32_e32 v148, 0x7f, v10
	v_mov_b32_e32 v146, 0x7c01
	s_mov_b32 s15, exec_lo
	s_delay_alu instid0(VALU_DEP_2)
	v_cmpx_ne_u32_e32 0x7f, v148
	s_cbranch_execz .LBB309_2595
; %bb.2592:                             ;   in Loop: Header=BB309_1567 Depth=1
	v_and_b32_e32 v146, 7, v10
	v_lshrrev_b32_e32 v147, 3, v148
	s_mov_b32 s16, exec_lo
	v_cmpx_gt_u32_e32 8, v148
; %bb.2593:                             ;   in Loop: Header=BB309_1567 Depth=1
	s_delay_alu instid0(VALU_DEP_3) | instskip(NEXT) | instid1(VALU_DEP_1)
	v_clz_i32_u32_e32 v6, v146
	v_min_u32_e32 v6, 32, v6
	s_delay_alu instid0(VALU_DEP_1) | instskip(NEXT) | instid1(VALU_DEP_1)
	v_subrev_nc_u32_e32 v146, 28, v6
	v_lshlrev_b64_e32 v[146:147], v146, v[0:1]
	v_sub_nc_u32_e32 v147, 29, v6
	s_delay_alu instid0(VALU_DEP_2)
	v_and_b32_e32 v146, 7, v146
; %bb.2594:                             ;   in Loop: Header=BB309_1567 Depth=1
	s_wait_alu 0xfffe
	s_or_b32 exec_lo, exec_lo, s16
	v_lshlrev_b32_e32 v6, 8, v10
	v_lshl_add_u32 v147, v147, 10, 0x2000
	v_lshlrev_b32_e32 v146, 7, v146
	s_delay_alu instid0(VALU_DEP_3) | instskip(NEXT) | instid1(VALU_DEP_3)
	v_and_b32_e32 v6, 0x8000, v6
	v_and_b32_e32 v147, 0xfc00, v147
	s_delay_alu instid0(VALU_DEP_1)
	v_or3_b32 v146, v6, v147, v146
.LBB309_2595:                           ;   in Loop: Header=BB309_1567 Depth=1
	s_wait_alu 0xfffe
	s_or_b32 exec_lo, exec_lo, s15
.LBB309_2596:                           ;   in Loop: Header=BB309_1567 Depth=1
	s_wait_alu 0xfffe
	s_or_b32 exec_lo, exec_lo, s14
.LBB309_2597:                           ;   in Loop: Header=BB309_1567 Depth=1
	s_wait_alu 0xfffe
	s_or_b32 exec_lo, exec_lo, s13
	v_lshrrev_b16 v0, 8, v0
	v_mov_b32_e32 v147, 0
	s_mov_b32 s13, exec_lo
	s_delay_alu instid0(VALU_DEP_2)
	v_cmpx_ne_u16_e32 0, v0
	s_cbranch_execz .LBB309_2605
; %bb.2598:                             ;   in Loop: Header=BB309_1567 Depth=1
	v_bfrev_b32_e32 v147, 1
	s_mov_b32 s14, exec_lo
	v_cmpx_ne_u16_e32 0x80, v0
	s_cbranch_execz .LBB309_2604
; %bb.2599:                             ;   in Loop: Header=BB309_1567 Depth=1
	v_and_b32_e32 v148, 0xffff, v0
	v_mov_b32_e32 v147, 0x7c010000
	s_mov_b32 s15, exec_lo
	s_delay_alu instid0(VALU_DEP_2) | instskip(NEXT) | instid1(VALU_DEP_1)
	v_and_b32_e32 v150, 0x7f, v148
	v_cmpx_ne_u32_e32 0x7f, v150
	s_cbranch_execz .LBB309_2603
; %bb.2600:                             ;   in Loop: Header=BB309_1567 Depth=1
	v_and_b32_e32 v147, 7, v148
	v_lshrrev_b32_e32 v149, 3, v150
	s_mov_b32 s16, exec_lo
	v_cmpx_gt_u32_e32 8, v150
; %bb.2601:                             ;   in Loop: Header=BB309_1567 Depth=1
	s_delay_alu instid0(VALU_DEP_3) | instskip(NEXT) | instid1(VALU_DEP_1)
	v_clz_i32_u32_e32 v6, v147
	v_min_u32_e32 v6, 32, v6
	s_delay_alu instid0(VALU_DEP_1) | instskip(SKIP_1) | instid1(VALU_DEP_2)
	v_subrev_nc_u32_e32 v147, 28, v6
	v_sub_nc_u32_e32 v149, 29, v6
	v_lshlrev_b64_e32 v[150:151], v147, v[0:1]
	s_delay_alu instid0(VALU_DEP_1)
	v_and_b32_e32 v147, 7, v150
; %bb.2602:                             ;   in Loop: Header=BB309_1567 Depth=1
	s_wait_alu 0xfffe
	s_or_b32 exec_lo, exec_lo, s16
	v_lshlrev_b32_e32 v0, 8, v148
	v_lshl_add_u32 v6, v149, 10, 0x2000
	s_delay_alu instid0(VALU_DEP_1) | instskip(SKIP_1) | instid1(VALU_DEP_1)
	v_and_or_b32 v0, 0x8000, v0, v6
	v_lshlrev_b32_e32 v6, 23, v147
	v_lshl_or_b32 v147, v0, 16, v6
.LBB309_2603:                           ;   in Loop: Header=BB309_1567 Depth=1
	s_wait_alu 0xfffe
	s_or_b32 exec_lo, exec_lo, s15
.LBB309_2604:                           ;   in Loop: Header=BB309_1567 Depth=1
	s_wait_alu 0xfffe
	s_or_b32 exec_lo, exec_lo, s14
.LBB309_2605:                           ;   in Loop: Header=BB309_1567 Depth=1
	s_wait_alu 0xfffe
	s_or_b32 exec_lo, exec_lo, s13
	v_lshrrev_b32_e32 v0, 16, v10
	s_mov_b32 s13, exec_lo
	s_delay_alu instid0(VALU_DEP_1) | instskip(NEXT) | instid1(VALU_DEP_1)
	v_and_b32_e32 v148, 0xff, v0
	v_cmpx_ne_u16_e64 0, v148
	s_cbranch_execz .LBB309_2613
; %bb.2606:                             ;   in Loop: Header=BB309_1567 Depth=1
	v_mov_b32_e32 v145, 0x8000
	s_mov_b32 s14, exec_lo
	v_cmpx_ne_u16_e64 0x80, v148
	s_cbranch_execz .LBB309_2612
; %bb.2607:                             ;   in Loop: Header=BB309_1567 Depth=1
	v_bfe_u32 v149, v10, 16, 7
	v_mov_b32_e32 v145, 0x7c01
	s_mov_b32 s15, exec_lo
	s_delay_alu instid0(VALU_DEP_2)
	v_cmpx_ne_u32_e32 0x7f, v149
	s_cbranch_execz .LBB309_2611
; %bb.2608:                             ;   in Loop: Header=BB309_1567 Depth=1
	v_and_b32_e32 v145, 7, v0
	v_lshrrev_b32_e32 v148, 3, v149
	s_mov_b32 s16, exec_lo
	v_cmpx_gt_u32_e32 8, v149
; %bb.2609:                             ;   in Loop: Header=BB309_1567 Depth=1
	s_delay_alu instid0(VALU_DEP_3) | instskip(NEXT) | instid1(VALU_DEP_1)
	v_clz_i32_u32_e32 v6, v145
	v_min_u32_e32 v6, 32, v6
	s_delay_alu instid0(VALU_DEP_1) | instskip(SKIP_1) | instid1(VALU_DEP_2)
	v_subrev_nc_u32_e32 v145, 28, v6
	v_sub_nc_u32_e32 v148, 29, v6
	v_lshlrev_b64_e32 v[149:150], v145, v[0:1]
	s_delay_alu instid0(VALU_DEP_1)
	v_and_b32_e32 v145, 7, v149
; %bb.2610:                             ;   in Loop: Header=BB309_1567 Depth=1
	s_wait_alu 0xfffe
	s_or_b32 exec_lo, exec_lo, s16
	v_lshlrev_b32_e32 v0, 8, v0
	v_lshl_add_u32 v6, v148, 10, 0x2000
	v_lshlrev_b32_e32 v145, 7, v145
	s_delay_alu instid0(VALU_DEP_3) | instskip(NEXT) | instid1(VALU_DEP_3)
	v_and_b32_e32 v0, 0x8000, v0
	v_and_b32_e32 v6, 0xfc00, v6
	s_delay_alu instid0(VALU_DEP_1)
	v_or3_b32 v145, v0, v6, v145
.LBB309_2611:                           ;   in Loop: Header=BB309_1567 Depth=1
	s_wait_alu 0xfffe
	s_or_b32 exec_lo, exec_lo, s15
.LBB309_2612:                           ;   in Loop: Header=BB309_1567 Depth=1
	s_wait_alu 0xfffe
	s_or_b32 exec_lo, exec_lo, s14
.LBB309_2613:                           ;   in Loop: Header=BB309_1567 Depth=1
	s_wait_alu 0xfffe
	s_or_b32 exec_lo, exec_lo, s13
	v_cmp_lt_u64_e64 s0, s[8:9], v[9:10]
	v_mov_b32_e32 v9, 0
	s_and_saveexec_b32 s13, s0
	s_cbranch_execz .LBB309_2621
; %bb.2614:                             ;   in Loop: Header=BB309_1567 Depth=1
	v_lshrrev_b32_e32 v0, 24, v10
	v_bfrev_b32_e32 v9, 1
	s_mov_b32 s14, exec_lo
	s_delay_alu instid0(VALU_DEP_2)
	v_cmpx_ne_u32_e32 0x80, v0
	s_cbranch_execz .LBB309_2620
; %bb.2615:                             ;   in Loop: Header=BB309_1567 Depth=1
	v_and_b32_e32 v148, 0x7f, v0
	v_mov_b32_e32 v9, 0x7c010000
	s_mov_b32 s15, exec_lo
	s_delay_alu instid0(VALU_DEP_2)
	v_cmpx_ne_u32_e32 0x7f, v148
	s_cbranch_execz .LBB309_2619
; %bb.2616:                             ;   in Loop: Header=BB309_1567 Depth=1
	v_and_b32_e32 v9, 7, v0
	v_lshrrev_b32_e32 v10, 3, v148
	s_mov_b32 s16, exec_lo
	v_cmpx_gt_u32_e32 8, v148
; %bb.2617:                             ;   in Loop: Header=BB309_1567 Depth=1
	s_delay_alu instid0(VALU_DEP_3) | instskip(NEXT) | instid1(VALU_DEP_1)
	v_clz_i32_u32_e32 v6, v9
	v_min_u32_e32 v6, 32, v6
	s_delay_alu instid0(VALU_DEP_1) | instskip(NEXT) | instid1(VALU_DEP_1)
	v_subrev_nc_u32_e32 v9, 28, v6
	v_lshlrev_b64_e32 v[9:10], v9, v[0:1]
	v_sub_nc_u32_e32 v10, 29, v6
	s_delay_alu instid0(VALU_DEP_2)
	v_and_b32_e32 v9, 7, v9
; %bb.2618:                             ;   in Loop: Header=BB309_1567 Depth=1
	s_wait_alu 0xfffe
	s_or_b32 exec_lo, exec_lo, s16
	v_lshlrev_b32_e32 v0, 8, v0
	v_lshl_add_u32 v6, v10, 10, 0x2000
	s_delay_alu instid0(VALU_DEP_1) | instskip(SKIP_1) | instid1(VALU_DEP_1)
	v_and_or_b32 v0, 0x8000, v0, v6
	v_lshlrev_b32_e32 v6, 23, v9
	v_lshl_or_b32 v9, v0, 16, v6
.LBB309_2619:                           ;   in Loop: Header=BB309_1567 Depth=1
	s_wait_alu 0xfffe
	s_or_b32 exec_lo, exec_lo, s15
.LBB309_2620:                           ;   in Loop: Header=BB309_1567 Depth=1
	s_wait_alu 0xfffe
	s_or_b32 exec_lo, exec_lo, s14
.LBB309_2621:                           ;   in Loop: Header=BB309_1567 Depth=1
	s_wait_alu 0xfffe
	s_or_b32 exec_lo, exec_lo, s13
	v_or_b32_e32 v0, v32, v34
	s_wait_loadcnt_dscnt 0x0
	v_fma_mixlo_f16 v6, v12, v32, 0 op_sel:[0,1,0] op_sel_hi:[0,1,0]
	v_or_b32_e32 v10, v22, v23
	v_fma_mixlo_f16 v22, v12, v22, 0 op_sel:[0,1,0] op_sel_hi:[0,1,0]
	v_or_b32_e32 v32, v147, v146
	v_or_b32_e32 v145, v9, v145
	v_fma_mixlo_f16 v34, v12, v0, 0 op_sel_hi:[0,1,0]
	v_lshlrev_b32_e32 v0, 16, v6
	v_lshlrev_b32_e32 v23, 16, v22
	v_fma_mixlo_f16 v6, v12, v10, 0 op_sel_hi:[0,1,0]
	v_fma_mixlo_f16 v22, v12, v147, 0 op_sel:[0,1,0] op_sel_hi:[0,1,0]
	v_fma_mixlo_f16 v32, v12, v32, 0 op_sel_hi:[0,1,0]
	v_fma_mixlo_f16 v9, v12, v9, 0 op_sel:[0,1,0] op_sel_hi:[0,1,0]
	v_fma_mixlo_f16 v145, v12, v145, 0 op_sel_hi:[0,1,0]
	v_and_b32_e32 v10, 0xffff, v34
	v_and_b32_e32 v148, 0xffff, v6
	v_lshlrev_b32_e32 v12, 16, v22
	v_and_b32_e32 v34, 0xffff, v32
	v_lshlrev_b32_e32 v9, 16, v9
	v_and_b32_e32 v22, 0xffff, v145
	v_or_b32_e32 v32, v0, v10
	v_or_b32_e32 v147, v23, v148
	;; [unrolled: 1-line block ×3, first 2 shown]
	s_delay_alu instid0(VALU_DEP_4)
	v_or_b32_e32 v145, v9, v22
	s_and_saveexec_b32 s13, vcc_lo
	s_cbranch_execz .LBB309_2623
; %bb.2622:                             ;   in Loop: Header=BB309_1567 Depth=1
	v_cmp_lt_i32_e64 s0, v17, v33
	s_wait_alu 0xf1ff
	s_delay_alu instid0(VALU_DEP_1) | instskip(SKIP_2) | instid1(VALU_DEP_1)
	v_cndmask_b32_e64 v6, 0, v148, s0
	v_cmp_lt_i32_e64 s0, v86, v33
	s_wait_alu 0xf1ff
	v_cndmask_b32_e64 v23, 0, v23, s0
	v_cmp_lt_i32_e64 s0, v85, v33
	s_delay_alu instid0(VALU_DEP_2) | instskip(SKIP_1) | instid1(VALU_DEP_2)
	v_or_b32_e32 v147, v6, v23
	s_wait_alu 0xf1ff
	v_cndmask_b32_e64 v10, 0, v10, s0
	v_cmp_lt_i32_e64 s0, v84, v33
	s_wait_alu 0xf1ff
	s_delay_alu instid0(VALU_DEP_1) | instskip(SKIP_1) | instid1(VALU_DEP_2)
	v_cndmask_b32_e64 v0, 0, v0, s0
	v_cmp_lt_i32_e64 s0, v83, v33
	v_or_b32_e32 v32, v10, v0
	s_wait_alu 0xf1ff
	s_delay_alu instid0(VALU_DEP_2) | instskip(SKIP_2) | instid1(VALU_DEP_1)
	v_cndmask_b32_e64 v34, 0, v34, s0
	v_cmp_lt_i32_e64 s0, v82, v33
	s_wait_alu 0xf1ff
	v_cndmask_b32_e64 v12, 0, v12, s0
	v_cmp_lt_i32_e64 s0, v81, v33
	s_delay_alu instid0(VALU_DEP_2) | instskip(SKIP_1) | instid1(VALU_DEP_2)
	v_or_b32_e32 v146, v34, v12
	s_wait_alu 0xf1ff
	v_cndmask_b32_e64 v22, 0, v22, s0
	v_cmp_lt_i32_e64 s0, v80, v33
	s_wait_alu 0xf1ff
	s_delay_alu instid0(VALU_DEP_1) | instskip(NEXT) | instid1(VALU_DEP_1)
	v_cndmask_b32_e64 v9, 0, v9, s0
	v_or_b32_e32 v145, v22, v9
.LBB309_2623:                           ;   in Loop: Header=BB309_1567 Depth=1
	s_wait_alu 0xfffe
	s_or_b32 exec_lo, exec_lo, s13
	;;#ASMSTART
	v_pk_mul_f16 v0, v69, v147;

	;;#ASMEND
	;;#ASMSTART
	v_pk_mul_f16 v6, v37, v32;

	;;#ASMEND
	;; [unrolled: 4-line block ×4, first 2 shown]
	;;#ASMSTART
	v_pk_add_f16 v0, v0, v6;

	;;#ASMEND
	;;#ASMSTART
	v_pk_add_f16 v0, v0, v9;

	;;#ASMEND
	;; [unrolled: 4-line block ×3, first 2 shown]
	v_and_b32_e32 v6, 0xffff, v0
	v_lshrrev_b32_e32 v0, 16, v0
	;;#ASMSTART
	v_cvt_f32_f16 v12, v6;
	;;#ASMEND
	;;#ASMSTART
	v_cvt_f32_f16 v22, v0;
	;;#ASMEND
	flat_load_b64 v[9:10], v[7:8] offset:4096
	flat_load_b32 v23, v[26:27]
	v_mov_b32_e32 v32, 0
	v_mov_b32_e32 v34, 0
	s_mov_b32 s13, exec_lo
	s_wait_loadcnt_dscnt 0x101
	v_and_b32_e32 v0, 0xff, v9
	s_delay_alu instid0(VALU_DEP_1)
	v_cmpx_ne_u16_e32 0, v0
	s_cbranch_execz .LBB309_2631
; %bb.2624:                             ;   in Loop: Header=BB309_1567 Depth=1
	v_mov_b32_e32 v34, 0x8000
	s_mov_b32 s14, exec_lo
	v_cmpx_ne_u16_e32 0x80, v0
	s_cbranch_execz .LBB309_2630
; %bb.2625:                             ;   in Loop: Header=BB309_1567 Depth=1
	v_and_b32_e32 v145, 0x7f, v9
	v_mov_b32_e32 v34, 0x7c01
	s_mov_b32 s15, exec_lo
	s_delay_alu instid0(VALU_DEP_2)
	v_cmpx_ne_u32_e32 0x7f, v145
	s_cbranch_execz .LBB309_2629
; %bb.2626:                             ;   in Loop: Header=BB309_1567 Depth=1
	v_and_b32_e32 v0, 7, v9
	v_lshrrev_b32_e32 v34, 3, v145
	s_mov_b32 s16, exec_lo
	v_cmpx_gt_u32_e32 8, v145
; %bb.2627:                             ;   in Loop: Header=BB309_1567 Depth=1
	s_delay_alu instid0(VALU_DEP_3) | instskip(NEXT) | instid1(VALU_DEP_1)
	v_clz_i32_u32_e32 v0, v0
	v_min_u32_e32 v0, 32, v0
	s_delay_alu instid0(VALU_DEP_1) | instskip(SKIP_1) | instid1(VALU_DEP_2)
	v_subrev_nc_u32_e32 v6, 28, v0
	v_sub_nc_u32_e32 v34, 29, v0
	v_lshlrev_b64_e32 v[145:146], v6, v[9:10]
	s_delay_alu instid0(VALU_DEP_1)
	v_and_b32_e32 v0, 7, v145
; %bb.2628:                             ;   in Loop: Header=BB309_1567 Depth=1
	s_wait_alu 0xfffe
	s_or_b32 exec_lo, exec_lo, s16
	v_lshlrev_b32_e32 v6, 8, v9
	v_lshl_add_u32 v34, v34, 10, 0x2000
	v_lshlrev_b32_e32 v0, 7, v0
	s_delay_alu instid0(VALU_DEP_3) | instskip(NEXT) | instid1(VALU_DEP_3)
	v_and_b32_e32 v6, 0x8000, v6
	v_and_b32_e32 v34, 0xfc00, v34
	s_delay_alu instid0(VALU_DEP_1)
	v_or3_b32 v34, v6, v34, v0
.LBB309_2629:                           ;   in Loop: Header=BB309_1567 Depth=1
	s_wait_alu 0xfffe
	s_or_b32 exec_lo, exec_lo, s15
.LBB309_2630:                           ;   in Loop: Header=BB309_1567 Depth=1
	s_wait_alu 0xfffe
	s_or_b32 exec_lo, exec_lo, s14
.LBB309_2631:                           ;   in Loop: Header=BB309_1567 Depth=1
	s_wait_alu 0xfffe
	s_or_b32 exec_lo, exec_lo, s13
	v_lshrrev_b16 v0, 8, v9
	s_mov_b32 s13, exec_lo
	s_delay_alu instid0(VALU_DEP_1)
	v_cmpx_ne_u16_e32 0, v0
	s_cbranch_execz .LBB309_2639
; %bb.2632:                             ;   in Loop: Header=BB309_1567 Depth=1
	v_bfrev_b32_e32 v32, 1
	s_mov_b32 s14, exec_lo
	v_cmpx_ne_u16_e32 0x80, v0
	s_cbranch_execz .LBB309_2638
; %bb.2633:                             ;   in Loop: Header=BB309_1567 Depth=1
	v_and_b32_e32 v145, 0xffff, v0
	v_mov_b32_e32 v32, 0x7c010000
	s_mov_b32 s15, exec_lo
	s_delay_alu instid0(VALU_DEP_2) | instskip(NEXT) | instid1(VALU_DEP_1)
	v_and_b32_e32 v147, 0x7f, v145
	v_cmpx_ne_u32_e32 0x7f, v147
	s_cbranch_execz .LBB309_2637
; %bb.2634:                             ;   in Loop: Header=BB309_1567 Depth=1
	v_and_b32_e32 v32, 7, v145
	v_lshrrev_b32_e32 v146, 3, v147
	s_mov_b32 s16, exec_lo
	v_cmpx_gt_u32_e32 8, v147
; %bb.2635:                             ;   in Loop: Header=BB309_1567 Depth=1
	s_delay_alu instid0(VALU_DEP_3) | instskip(NEXT) | instid1(VALU_DEP_1)
	v_clz_i32_u32_e32 v6, v32
	v_min_u32_e32 v6, 32, v6
	s_delay_alu instid0(VALU_DEP_1) | instskip(SKIP_1) | instid1(VALU_DEP_2)
	v_subrev_nc_u32_e32 v32, 28, v6
	v_sub_nc_u32_e32 v146, 29, v6
	v_lshlrev_b64_e32 v[147:148], v32, v[0:1]
	s_delay_alu instid0(VALU_DEP_1)
	v_and_b32_e32 v32, 7, v147
; %bb.2636:                             ;   in Loop: Header=BB309_1567 Depth=1
	s_wait_alu 0xfffe
	s_or_b32 exec_lo, exec_lo, s16
	v_lshlrev_b32_e32 v0, 8, v145
	v_lshl_add_u32 v6, v146, 10, 0x2000
	s_delay_alu instid0(VALU_DEP_1) | instskip(SKIP_1) | instid1(VALU_DEP_1)
	v_and_or_b32 v0, 0x8000, v0, v6
	v_lshlrev_b32_e32 v6, 23, v32
	v_lshl_or_b32 v32, v0, 16, v6
.LBB309_2637:                           ;   in Loop: Header=BB309_1567 Depth=1
	s_wait_alu 0xfffe
	s_or_b32 exec_lo, exec_lo, s15
.LBB309_2638:                           ;   in Loop: Header=BB309_1567 Depth=1
	s_wait_alu 0xfffe
	s_or_b32 exec_lo, exec_lo, s14
.LBB309_2639:                           ;   in Loop: Header=BB309_1567 Depth=1
	s_wait_alu 0xfffe
	s_or_b32 exec_lo, exec_lo, s13
	v_lshrrev_b32_e32 v0, 16, v9
	v_mov_b32_e32 v145, 0
	s_mov_b32 s13, exec_lo
	s_delay_alu instid0(VALU_DEP_2) | instskip(NEXT) | instid1(VALU_DEP_1)
	v_dual_mov_b32 v146, 0 :: v_dual_and_b32 v147, 0xff, v0
	v_cmpx_ne_u16_e64 0, v147
	s_cbranch_execz .LBB309_2647
; %bb.2640:                             ;   in Loop: Header=BB309_1567 Depth=1
	v_mov_b32_e32 v146, 0x8000
	s_mov_b32 s14, exec_lo
	v_cmpx_ne_u16_e64 0x80, v147
	s_cbranch_execz .LBB309_2646
; %bb.2641:                             ;   in Loop: Header=BB309_1567 Depth=1
	v_bfe_u32 v148, v9, 16, 7
	v_mov_b32_e32 v146, 0x7c01
	s_mov_b32 s15, exec_lo
	s_delay_alu instid0(VALU_DEP_2)
	v_cmpx_ne_u32_e32 0x7f, v148
	s_cbranch_execz .LBB309_2645
; %bb.2642:                             ;   in Loop: Header=BB309_1567 Depth=1
	v_and_b32_e32 v146, 7, v0
	v_lshrrev_b32_e32 v147, 3, v148
	s_mov_b32 s16, exec_lo
	v_cmpx_gt_u32_e32 8, v148
; %bb.2643:                             ;   in Loop: Header=BB309_1567 Depth=1
	s_delay_alu instid0(VALU_DEP_3) | instskip(NEXT) | instid1(VALU_DEP_1)
	v_clz_i32_u32_e32 v6, v146
	v_min_u32_e32 v6, 32, v6
	s_delay_alu instid0(VALU_DEP_1) | instskip(NEXT) | instid1(VALU_DEP_1)
	v_subrev_nc_u32_e32 v146, 28, v6
	v_lshlrev_b64_e32 v[146:147], v146, v[0:1]
	v_sub_nc_u32_e32 v147, 29, v6
	s_delay_alu instid0(VALU_DEP_2)
	v_and_b32_e32 v146, 7, v146
; %bb.2644:                             ;   in Loop: Header=BB309_1567 Depth=1
	s_wait_alu 0xfffe
	s_or_b32 exec_lo, exec_lo, s16
	v_lshlrev_b32_e32 v0, 8, v0
	v_lshl_add_u32 v6, v147, 10, 0x2000
	v_lshlrev_b32_e32 v146, 7, v146
	s_delay_alu instid0(VALU_DEP_3) | instskip(NEXT) | instid1(VALU_DEP_3)
	v_and_b32_e32 v0, 0x8000, v0
	v_and_b32_e32 v6, 0xfc00, v6
	s_delay_alu instid0(VALU_DEP_1)
	v_or3_b32 v146, v0, v6, v146
.LBB309_2645:                           ;   in Loop: Header=BB309_1567 Depth=1
	s_wait_alu 0xfffe
	s_or_b32 exec_lo, exec_lo, s15
.LBB309_2646:                           ;   in Loop: Header=BB309_1567 Depth=1
	s_wait_alu 0xfffe
	s_or_b32 exec_lo, exec_lo, s14
.LBB309_2647:                           ;   in Loop: Header=BB309_1567 Depth=1
	s_wait_alu 0xfffe
	s_or_b32 exec_lo, exec_lo, s13
	s_delay_alu instid0(SALU_CYCLE_1)
	s_mov_b32 s13, exec_lo
	v_cmpx_lt_u32_e32 0xffffff, v9
	s_cbranch_execz .LBB309_2655
; %bb.2648:                             ;   in Loop: Header=BB309_1567 Depth=1
	v_lshrrev_b32_e32 v0, 24, v9
	v_bfrev_b32_e32 v145, 1
	s_mov_b32 s14, exec_lo
	s_delay_alu instid0(VALU_DEP_2)
	v_cmpx_ne_u32_e32 0x80, v0
	s_cbranch_execz .LBB309_2654
; %bb.2649:                             ;   in Loop: Header=BB309_1567 Depth=1
	v_and_b32_e32 v148, 0x7f, v0
	v_mov_b32_e32 v145, 0x7c010000
	s_mov_b32 s15, exec_lo
	s_delay_alu instid0(VALU_DEP_2)
	v_cmpx_ne_u32_e32 0x7f, v148
	s_cbranch_execz .LBB309_2653
; %bb.2650:                             ;   in Loop: Header=BB309_1567 Depth=1
	v_and_b32_e32 v145, 7, v0
	v_lshrrev_b32_e32 v147, 3, v148
	s_mov_b32 s16, exec_lo
	v_cmpx_gt_u32_e32 8, v148
; %bb.2651:                             ;   in Loop: Header=BB309_1567 Depth=1
	s_delay_alu instid0(VALU_DEP_3) | instskip(NEXT) | instid1(VALU_DEP_1)
	v_clz_i32_u32_e32 v6, v145
	v_min_u32_e32 v6, 32, v6
	s_delay_alu instid0(VALU_DEP_1) | instskip(SKIP_1) | instid1(VALU_DEP_2)
	v_subrev_nc_u32_e32 v145, 28, v6
	v_sub_nc_u32_e32 v147, 29, v6
	v_lshlrev_b64_e32 v[148:149], v145, v[0:1]
	s_delay_alu instid0(VALU_DEP_1)
	v_and_b32_e32 v145, 7, v148
; %bb.2652:                             ;   in Loop: Header=BB309_1567 Depth=1
	s_wait_alu 0xfffe
	s_or_b32 exec_lo, exec_lo, s16
	v_lshlrev_b32_e32 v0, 8, v0
	v_lshl_add_u32 v6, v147, 10, 0x2000
	s_delay_alu instid0(VALU_DEP_1) | instskip(SKIP_1) | instid1(VALU_DEP_1)
	v_and_or_b32 v0, 0x8000, v0, v6
	v_lshlrev_b32_e32 v6, 23, v145
	v_lshl_or_b32 v145, v0, 16, v6
.LBB309_2653:                           ;   in Loop: Header=BB309_1567 Depth=1
	s_wait_alu 0xfffe
	s_or_b32 exec_lo, exec_lo, s15
.LBB309_2654:                           ;   in Loop: Header=BB309_1567 Depth=1
	s_wait_alu 0xfffe
	s_or_b32 exec_lo, exec_lo, s14
.LBB309_2655:                           ;   in Loop: Header=BB309_1567 Depth=1
	s_wait_alu 0xfffe
	s_or_b32 exec_lo, exec_lo, s13
	v_dual_mov_b32 v0, v10 :: v_dual_and_b32 v149, 0xff, v10
	v_dual_mov_b32 v147, 0 :: v_dual_mov_b32 v148, 0
	s_mov_b32 s13, exec_lo
	s_delay_alu instid0(VALU_DEP_2)
	v_cmpx_ne_u16_e64 0, v149
	s_cbranch_execz .LBB309_2663
; %bb.2656:                             ;   in Loop: Header=BB309_1567 Depth=1
	v_mov_b32_e32 v148, 0x8000
	s_mov_b32 s14, exec_lo
	v_cmpx_ne_u16_e64 0x80, v149
	s_cbranch_execz .LBB309_2662
; %bb.2657:                             ;   in Loop: Header=BB309_1567 Depth=1
	v_and_b32_e32 v150, 0x7f, v10
	v_mov_b32_e32 v148, 0x7c01
	s_mov_b32 s15, exec_lo
	s_delay_alu instid0(VALU_DEP_2)
	v_cmpx_ne_u32_e32 0x7f, v150
	s_cbranch_execz .LBB309_2661
; %bb.2658:                             ;   in Loop: Header=BB309_1567 Depth=1
	v_and_b32_e32 v148, 7, v10
	v_lshrrev_b32_e32 v149, 3, v150
	s_mov_b32 s16, exec_lo
	v_cmpx_gt_u32_e32 8, v150
; %bb.2659:                             ;   in Loop: Header=BB309_1567 Depth=1
	s_delay_alu instid0(VALU_DEP_3) | instskip(NEXT) | instid1(VALU_DEP_1)
	v_clz_i32_u32_e32 v6, v148
	v_min_u32_e32 v6, 32, v6
	s_delay_alu instid0(VALU_DEP_1) | instskip(NEXT) | instid1(VALU_DEP_1)
	v_subrev_nc_u32_e32 v148, 28, v6
	v_lshlrev_b64_e32 v[148:149], v148, v[0:1]
	v_sub_nc_u32_e32 v149, 29, v6
	s_delay_alu instid0(VALU_DEP_2)
	v_and_b32_e32 v148, 7, v148
; %bb.2660:                             ;   in Loop: Header=BB309_1567 Depth=1
	s_wait_alu 0xfffe
	s_or_b32 exec_lo, exec_lo, s16
	v_lshlrev_b32_e32 v6, 8, v10
	v_lshl_add_u32 v149, v149, 10, 0x2000
	v_lshlrev_b32_e32 v148, 7, v148
	s_delay_alu instid0(VALU_DEP_3) | instskip(NEXT) | instid1(VALU_DEP_3)
	v_and_b32_e32 v6, 0x8000, v6
	v_and_b32_e32 v149, 0xfc00, v149
	s_delay_alu instid0(VALU_DEP_1)
	v_or3_b32 v148, v6, v149, v148
.LBB309_2661:                           ;   in Loop: Header=BB309_1567 Depth=1
	s_wait_alu 0xfffe
	s_or_b32 exec_lo, exec_lo, s15
.LBB309_2662:                           ;   in Loop: Header=BB309_1567 Depth=1
	s_wait_alu 0xfffe
	s_or_b32 exec_lo, exec_lo, s14
.LBB309_2663:                           ;   in Loop: Header=BB309_1567 Depth=1
	s_wait_alu 0xfffe
	s_or_b32 exec_lo, exec_lo, s13
	v_lshrrev_b16 v0, 8, v0
	v_mov_b32_e32 v149, 0
	s_mov_b32 s13, exec_lo
	s_delay_alu instid0(VALU_DEP_2)
	v_cmpx_ne_u16_e32 0, v0
	s_cbranch_execz .LBB309_2671
; %bb.2664:                             ;   in Loop: Header=BB309_1567 Depth=1
	v_bfrev_b32_e32 v149, 1
	s_mov_b32 s14, exec_lo
	v_cmpx_ne_u16_e32 0x80, v0
	s_cbranch_execz .LBB309_2670
; %bb.2665:                             ;   in Loop: Header=BB309_1567 Depth=1
	v_and_b32_e32 v150, 0xffff, v0
	v_mov_b32_e32 v149, 0x7c010000
	s_mov_b32 s15, exec_lo
	s_delay_alu instid0(VALU_DEP_2) | instskip(NEXT) | instid1(VALU_DEP_1)
	v_and_b32_e32 v160, 0x7f, v150
	v_cmpx_ne_u32_e32 0x7f, v160
	s_cbranch_execz .LBB309_2669
; %bb.2666:                             ;   in Loop: Header=BB309_1567 Depth=1
	v_and_b32_e32 v149, 7, v150
	v_lshrrev_b32_e32 v151, 3, v160
	s_mov_b32 s16, exec_lo
	v_cmpx_gt_u32_e32 8, v160
; %bb.2667:                             ;   in Loop: Header=BB309_1567 Depth=1
	s_delay_alu instid0(VALU_DEP_3) | instskip(NEXT) | instid1(VALU_DEP_1)
	v_clz_i32_u32_e32 v6, v149
	v_min_u32_e32 v6, 32, v6
	s_delay_alu instid0(VALU_DEP_1) | instskip(SKIP_1) | instid1(VALU_DEP_2)
	v_subrev_nc_u32_e32 v149, 28, v6
	v_sub_nc_u32_e32 v151, 29, v6
	v_lshlrev_b64_e32 v[160:161], v149, v[0:1]
	s_delay_alu instid0(VALU_DEP_1)
	v_and_b32_e32 v149, 7, v160
; %bb.2668:                             ;   in Loop: Header=BB309_1567 Depth=1
	s_wait_alu 0xfffe
	s_or_b32 exec_lo, exec_lo, s16
	v_lshlrev_b32_e32 v0, 8, v150
	v_lshl_add_u32 v6, v151, 10, 0x2000
	s_delay_alu instid0(VALU_DEP_1) | instskip(SKIP_1) | instid1(VALU_DEP_1)
	v_and_or_b32 v0, 0x8000, v0, v6
	v_lshlrev_b32_e32 v6, 23, v149
	v_lshl_or_b32 v149, v0, 16, v6
.LBB309_2669:                           ;   in Loop: Header=BB309_1567 Depth=1
	s_wait_alu 0xfffe
	s_or_b32 exec_lo, exec_lo, s15
.LBB309_2670:                           ;   in Loop: Header=BB309_1567 Depth=1
	s_wait_alu 0xfffe
	s_or_b32 exec_lo, exec_lo, s14
.LBB309_2671:                           ;   in Loop: Header=BB309_1567 Depth=1
	s_wait_alu 0xfffe
	s_or_b32 exec_lo, exec_lo, s13
	v_lshrrev_b32_e32 v0, 16, v10
	s_mov_b32 s13, exec_lo
	s_delay_alu instid0(VALU_DEP_1) | instskip(NEXT) | instid1(VALU_DEP_1)
	v_and_b32_e32 v150, 0xff, v0
	v_cmpx_ne_u16_e64 0, v150
	s_cbranch_execz .LBB309_2679
; %bb.2672:                             ;   in Loop: Header=BB309_1567 Depth=1
	v_mov_b32_e32 v147, 0x8000
	s_mov_b32 s14, exec_lo
	v_cmpx_ne_u16_e64 0x80, v150
	s_cbranch_execz .LBB309_2678
; %bb.2673:                             ;   in Loop: Header=BB309_1567 Depth=1
	v_bfe_u32 v151, v10, 16, 7
	v_mov_b32_e32 v147, 0x7c01
	s_mov_b32 s15, exec_lo
	s_delay_alu instid0(VALU_DEP_2)
	v_cmpx_ne_u32_e32 0x7f, v151
	s_cbranch_execz .LBB309_2677
; %bb.2674:                             ;   in Loop: Header=BB309_1567 Depth=1
	v_and_b32_e32 v147, 7, v0
	v_lshrrev_b32_e32 v150, 3, v151
	s_mov_b32 s16, exec_lo
	v_cmpx_gt_u32_e32 8, v151
; %bb.2675:                             ;   in Loop: Header=BB309_1567 Depth=1
	s_delay_alu instid0(VALU_DEP_3) | instskip(NEXT) | instid1(VALU_DEP_1)
	v_clz_i32_u32_e32 v6, v147
	v_min_u32_e32 v6, 32, v6
	s_delay_alu instid0(VALU_DEP_1) | instskip(SKIP_1) | instid1(VALU_DEP_2)
	v_subrev_nc_u32_e32 v147, 28, v6
	v_sub_nc_u32_e32 v150, 29, v6
	v_lshlrev_b64_e32 v[160:161], v147, v[0:1]
	s_delay_alu instid0(VALU_DEP_1)
	v_and_b32_e32 v147, 7, v160
; %bb.2676:                             ;   in Loop: Header=BB309_1567 Depth=1
	s_wait_alu 0xfffe
	s_or_b32 exec_lo, exec_lo, s16
	v_lshlrev_b32_e32 v0, 8, v0
	v_lshl_add_u32 v6, v150, 10, 0x2000
	v_lshlrev_b32_e32 v147, 7, v147
	s_delay_alu instid0(VALU_DEP_3) | instskip(NEXT) | instid1(VALU_DEP_3)
	v_and_b32_e32 v0, 0x8000, v0
	v_and_b32_e32 v6, 0xfc00, v6
	s_delay_alu instid0(VALU_DEP_1)
	v_or3_b32 v147, v0, v6, v147
.LBB309_2677:                           ;   in Loop: Header=BB309_1567 Depth=1
	s_wait_alu 0xfffe
	s_or_b32 exec_lo, exec_lo, s15
.LBB309_2678:                           ;   in Loop: Header=BB309_1567 Depth=1
	s_wait_alu 0xfffe
	s_or_b32 exec_lo, exec_lo, s14
.LBB309_2679:                           ;   in Loop: Header=BB309_1567 Depth=1
	s_wait_alu 0xfffe
	s_or_b32 exec_lo, exec_lo, s13
	v_cmp_lt_u64_e64 s0, s[8:9], v[9:10]
	v_mov_b32_e32 v9, 0
	s_and_saveexec_b32 s13, s0
	s_cbranch_execz .LBB309_2687
; %bb.2680:                             ;   in Loop: Header=BB309_1567 Depth=1
	v_lshrrev_b32_e32 v0, 24, v10
	v_bfrev_b32_e32 v9, 1
	s_mov_b32 s14, exec_lo
	s_delay_alu instid0(VALU_DEP_2)
	v_cmpx_ne_u32_e32 0x80, v0
	s_cbranch_execz .LBB309_2686
; %bb.2681:                             ;   in Loop: Header=BB309_1567 Depth=1
	v_and_b32_e32 v150, 0x7f, v0
	v_mov_b32_e32 v9, 0x7c010000
	s_mov_b32 s15, exec_lo
	s_delay_alu instid0(VALU_DEP_2)
	v_cmpx_ne_u32_e32 0x7f, v150
	s_cbranch_execz .LBB309_2685
; %bb.2682:                             ;   in Loop: Header=BB309_1567 Depth=1
	v_and_b32_e32 v9, 7, v0
	v_lshrrev_b32_e32 v10, 3, v150
	s_mov_b32 s16, exec_lo
	v_cmpx_gt_u32_e32 8, v150
; %bb.2683:                             ;   in Loop: Header=BB309_1567 Depth=1
	s_delay_alu instid0(VALU_DEP_3) | instskip(NEXT) | instid1(VALU_DEP_1)
	v_clz_i32_u32_e32 v6, v9
	v_min_u32_e32 v6, 32, v6
	s_delay_alu instid0(VALU_DEP_1) | instskip(NEXT) | instid1(VALU_DEP_1)
	v_subrev_nc_u32_e32 v9, 28, v6
	v_lshlrev_b64_e32 v[9:10], v9, v[0:1]
	v_sub_nc_u32_e32 v10, 29, v6
	s_delay_alu instid0(VALU_DEP_2)
	v_and_b32_e32 v9, 7, v9
; %bb.2684:                             ;   in Loop: Header=BB309_1567 Depth=1
	s_wait_alu 0xfffe
	s_or_b32 exec_lo, exec_lo, s16
	v_lshlrev_b32_e32 v0, 8, v0
	v_lshl_add_u32 v6, v10, 10, 0x2000
	s_delay_alu instid0(VALU_DEP_1) | instskip(SKIP_1) | instid1(VALU_DEP_1)
	v_and_or_b32 v0, 0x8000, v0, v6
	v_lshlrev_b32_e32 v6, 23, v9
	v_lshl_or_b32 v9, v0, 16, v6
.LBB309_2685:                           ;   in Loop: Header=BB309_1567 Depth=1
	s_wait_alu 0xfffe
	s_or_b32 exec_lo, exec_lo, s15
.LBB309_2686:                           ;   in Loop: Header=BB309_1567 Depth=1
	s_wait_alu 0xfffe
	s_or_b32 exec_lo, exec_lo, s14
.LBB309_2687:                           ;   in Loop: Header=BB309_1567 Depth=1
	s_wait_alu 0xfffe
	s_or_b32 exec_lo, exec_lo, s13
	v_or_b32_e32 v0, v145, v146
	s_wait_loadcnt_dscnt 0x0
	v_fma_mixlo_f16 v6, v23, v145, 0 op_sel:[0,1,0] op_sel_hi:[0,1,0]
	v_or_b32_e32 v10, v32, v34
	v_fma_mixlo_f16 v32, v23, v32, 0 op_sel:[0,1,0] op_sel_hi:[0,1,0]
	v_or_b32_e32 v145, v149, v148
	v_or_b32_e32 v147, v9, v147
	v_fma_mixlo_f16 v146, v23, v0, 0 op_sel_hi:[0,1,0]
	v_lshlrev_b32_e32 v0, 16, v6
	v_lshlrev_b32_e32 v34, 16, v32
	v_fma_mixlo_f16 v6, v23, v10, 0 op_sel_hi:[0,1,0]
	v_fma_mixlo_f16 v32, v23, v149, 0 op_sel:[0,1,0] op_sel_hi:[0,1,0]
	v_fma_mixlo_f16 v145, v23, v145, 0 op_sel_hi:[0,1,0]
	v_fma_mixlo_f16 v9, v23, v9, 0 op_sel:[0,1,0] op_sel_hi:[0,1,0]
	v_fma_mixlo_f16 v147, v23, v147, 0 op_sel_hi:[0,1,0]
	v_and_b32_e32 v10, 0xffff, v146
	v_and_b32_e32 v150, 0xffff, v6
	v_lshlrev_b32_e32 v23, 16, v32
	v_and_b32_e32 v146, 0xffff, v145
	v_lshlrev_b32_e32 v9, 16, v9
	v_and_b32_e32 v32, 0xffff, v147
	v_or_b32_e32 v145, v0, v10
	v_or_b32_e32 v149, v34, v150
	;; [unrolled: 1-line block ×3, first 2 shown]
	s_delay_alu instid0(VALU_DEP_4)
	v_or_b32_e32 v147, v9, v32
	s_and_saveexec_b32 s13, vcc_lo
	s_cbranch_execz .LBB309_2689
; %bb.2688:                             ;   in Loop: Header=BB309_1567 Depth=1
	v_cmp_lt_i32_e64 s0, v17, v33
	s_wait_alu 0xf1ff
	s_delay_alu instid0(VALU_DEP_1) | instskip(SKIP_2) | instid1(VALU_DEP_1)
	v_cndmask_b32_e64 v6, 0, v150, s0
	v_cmp_lt_i32_e64 s0, v86, v33
	s_wait_alu 0xf1ff
	v_cndmask_b32_e64 v34, 0, v34, s0
	v_cmp_lt_i32_e64 s0, v85, v33
	s_delay_alu instid0(VALU_DEP_2) | instskip(SKIP_1) | instid1(VALU_DEP_2)
	v_or_b32_e32 v149, v6, v34
	s_wait_alu 0xf1ff
	v_cndmask_b32_e64 v10, 0, v10, s0
	v_cmp_lt_i32_e64 s0, v84, v33
	s_wait_alu 0xf1ff
	s_delay_alu instid0(VALU_DEP_1) | instskip(SKIP_1) | instid1(VALU_DEP_2)
	v_cndmask_b32_e64 v0, 0, v0, s0
	v_cmp_lt_i32_e64 s0, v83, v33
	v_or_b32_e32 v145, v10, v0
	s_wait_alu 0xf1ff
	s_delay_alu instid0(VALU_DEP_2) | instskip(SKIP_2) | instid1(VALU_DEP_1)
	v_cndmask_b32_e64 v146, 0, v146, s0
	v_cmp_lt_i32_e64 s0, v82, v33
	s_wait_alu 0xf1ff
	v_cndmask_b32_e64 v23, 0, v23, s0
	v_cmp_lt_i32_e64 s0, v81, v33
	s_delay_alu instid0(VALU_DEP_2) | instskip(SKIP_1) | instid1(VALU_DEP_2)
	v_or_b32_e32 v148, v146, v23
	s_wait_alu 0xf1ff
	v_cndmask_b32_e64 v32, 0, v32, s0
	v_cmp_lt_i32_e64 s0, v80, v33
	s_wait_alu 0xf1ff
	s_delay_alu instid0(VALU_DEP_1) | instskip(NEXT) | instid1(VALU_DEP_1)
	v_cndmask_b32_e64 v9, 0, v9, s0
	v_or_b32_e32 v147, v32, v9
.LBB309_2689:                           ;   in Loop: Header=BB309_1567 Depth=1
	s_wait_alu 0xfffe
	s_or_b32 exec_lo, exec_lo, s13
	;;#ASMSTART
	v_pk_mul_f16 v0, v69, v149;

	;;#ASMEND
	;;#ASMSTART
	v_pk_mul_f16 v6, v37, v145;

	;;#ASMEND
	;; [unrolled: 4-line block ×4, first 2 shown]
	;;#ASMSTART
	v_pk_add_f16 v0, v0, v6;

	;;#ASMEND
	;;#ASMSTART
	v_pk_add_f16 v0, v0, v9;

	;;#ASMEND
	;; [unrolled: 4-line block ×3, first 2 shown]
	v_dual_mov_b32 v145, 0 :: v_dual_and_b32 v6, 0xffff, v0
	v_lshrrev_b32_e32 v0, 16, v0
	;;#ASMSTART
	v_cvt_f32_f16 v23, v6;
	;;#ASMEND
	;;#ASMSTART
	v_cvt_f32_f16 v32, v0;
	;;#ASMEND
	flat_load_b64 v[9:10], v[7:8] offset:4352
	flat_load_b32 v34, v[26:27]
	v_mov_b32_e32 v146, 0
	s_mov_b32 s13, exec_lo
	s_wait_loadcnt_dscnt 0x101
	v_and_b32_e32 v0, 0xff, v9
	s_delay_alu instid0(VALU_DEP_1)
	v_cmpx_ne_u16_e32 0, v0
	s_cbranch_execz .LBB309_2697
; %bb.2690:                             ;   in Loop: Header=BB309_1567 Depth=1
	v_mov_b32_e32 v146, 0x8000
	s_mov_b32 s14, exec_lo
	v_cmpx_ne_u16_e32 0x80, v0
	s_cbranch_execz .LBB309_2696
; %bb.2691:                             ;   in Loop: Header=BB309_1567 Depth=1
	v_and_b32_e32 v147, 0x7f, v9
	v_mov_b32_e32 v146, 0x7c01
	s_mov_b32 s15, exec_lo
	s_delay_alu instid0(VALU_DEP_2)
	v_cmpx_ne_u32_e32 0x7f, v147
	s_cbranch_execz .LBB309_2695
; %bb.2692:                             ;   in Loop: Header=BB309_1567 Depth=1
	v_and_b32_e32 v0, 7, v9
	v_lshrrev_b32_e32 v146, 3, v147
	s_mov_b32 s16, exec_lo
	v_cmpx_gt_u32_e32 8, v147
; %bb.2693:                             ;   in Loop: Header=BB309_1567 Depth=1
	s_delay_alu instid0(VALU_DEP_3) | instskip(NEXT) | instid1(VALU_DEP_1)
	v_clz_i32_u32_e32 v0, v0
	v_min_u32_e32 v0, 32, v0
	s_delay_alu instid0(VALU_DEP_1) | instskip(SKIP_1) | instid1(VALU_DEP_2)
	v_subrev_nc_u32_e32 v6, 28, v0
	v_sub_nc_u32_e32 v146, 29, v0
	v_lshlrev_b64_e32 v[147:148], v6, v[9:10]
	s_delay_alu instid0(VALU_DEP_1)
	v_and_b32_e32 v0, 7, v147
; %bb.2694:                             ;   in Loop: Header=BB309_1567 Depth=1
	s_wait_alu 0xfffe
	s_or_b32 exec_lo, exec_lo, s16
	v_lshlrev_b32_e32 v6, 8, v9
	v_lshl_add_u32 v146, v146, 10, 0x2000
	v_lshlrev_b32_e32 v0, 7, v0
	s_delay_alu instid0(VALU_DEP_3) | instskip(NEXT) | instid1(VALU_DEP_3)
	v_and_b32_e32 v6, 0x8000, v6
	v_and_b32_e32 v146, 0xfc00, v146
	s_delay_alu instid0(VALU_DEP_1)
	v_or3_b32 v146, v6, v146, v0
.LBB309_2695:                           ;   in Loop: Header=BB309_1567 Depth=1
	s_wait_alu 0xfffe
	s_or_b32 exec_lo, exec_lo, s15
.LBB309_2696:                           ;   in Loop: Header=BB309_1567 Depth=1
	s_wait_alu 0xfffe
	s_or_b32 exec_lo, exec_lo, s14
.LBB309_2697:                           ;   in Loop: Header=BB309_1567 Depth=1
	s_wait_alu 0xfffe
	s_or_b32 exec_lo, exec_lo, s13
	v_lshrrev_b16 v0, 8, v9
	s_mov_b32 s13, exec_lo
	s_delay_alu instid0(VALU_DEP_1)
	v_cmpx_ne_u16_e32 0, v0
	s_cbranch_execz .LBB309_2705
; %bb.2698:                             ;   in Loop: Header=BB309_1567 Depth=1
	v_bfrev_b32_e32 v145, 1
	s_mov_b32 s14, exec_lo
	v_cmpx_ne_u16_e32 0x80, v0
	s_cbranch_execz .LBB309_2704
; %bb.2699:                             ;   in Loop: Header=BB309_1567 Depth=1
	v_and_b32_e32 v147, 0xffff, v0
	v_mov_b32_e32 v145, 0x7c010000
	s_mov_b32 s15, exec_lo
	s_delay_alu instid0(VALU_DEP_2) | instskip(NEXT) | instid1(VALU_DEP_1)
	v_and_b32_e32 v149, 0x7f, v147
	v_cmpx_ne_u32_e32 0x7f, v149
	s_cbranch_execz .LBB309_2703
; %bb.2700:                             ;   in Loop: Header=BB309_1567 Depth=1
	v_and_b32_e32 v145, 7, v147
	v_lshrrev_b32_e32 v148, 3, v149
	s_mov_b32 s16, exec_lo
	v_cmpx_gt_u32_e32 8, v149
; %bb.2701:                             ;   in Loop: Header=BB309_1567 Depth=1
	s_delay_alu instid0(VALU_DEP_3) | instskip(NEXT) | instid1(VALU_DEP_1)
	v_clz_i32_u32_e32 v6, v145
	v_min_u32_e32 v6, 32, v6
	s_delay_alu instid0(VALU_DEP_1) | instskip(SKIP_1) | instid1(VALU_DEP_2)
	v_subrev_nc_u32_e32 v145, 28, v6
	v_sub_nc_u32_e32 v148, 29, v6
	v_lshlrev_b64_e32 v[149:150], v145, v[0:1]
	s_delay_alu instid0(VALU_DEP_1)
	v_and_b32_e32 v145, 7, v149
; %bb.2702:                             ;   in Loop: Header=BB309_1567 Depth=1
	s_wait_alu 0xfffe
	s_or_b32 exec_lo, exec_lo, s16
	v_lshlrev_b32_e32 v0, 8, v147
	v_lshl_add_u32 v6, v148, 10, 0x2000
	s_delay_alu instid0(VALU_DEP_1) | instskip(SKIP_1) | instid1(VALU_DEP_1)
	v_and_or_b32 v0, 0x8000, v0, v6
	v_lshlrev_b32_e32 v6, 23, v145
	v_lshl_or_b32 v145, v0, 16, v6
.LBB309_2703:                           ;   in Loop: Header=BB309_1567 Depth=1
	s_wait_alu 0xfffe
	s_or_b32 exec_lo, exec_lo, s15
.LBB309_2704:                           ;   in Loop: Header=BB309_1567 Depth=1
	s_wait_alu 0xfffe
	s_or_b32 exec_lo, exec_lo, s14
.LBB309_2705:                           ;   in Loop: Header=BB309_1567 Depth=1
	s_wait_alu 0xfffe
	s_or_b32 exec_lo, exec_lo, s13
	v_lshrrev_b32_e32 v0, 16, v9
	v_mov_b32_e32 v147, 0
	s_mov_b32 s13, exec_lo
	s_delay_alu instid0(VALU_DEP_2) | instskip(NEXT) | instid1(VALU_DEP_1)
	v_dual_mov_b32 v148, 0 :: v_dual_and_b32 v149, 0xff, v0
	v_cmpx_ne_u16_e64 0, v149
	s_cbranch_execz .LBB309_2713
; %bb.2706:                             ;   in Loop: Header=BB309_1567 Depth=1
	v_mov_b32_e32 v148, 0x8000
	s_mov_b32 s14, exec_lo
	v_cmpx_ne_u16_e64 0x80, v149
	s_cbranch_execz .LBB309_2712
; %bb.2707:                             ;   in Loop: Header=BB309_1567 Depth=1
	v_bfe_u32 v150, v9, 16, 7
	v_mov_b32_e32 v148, 0x7c01
	s_mov_b32 s15, exec_lo
	s_delay_alu instid0(VALU_DEP_2)
	v_cmpx_ne_u32_e32 0x7f, v150
	s_cbranch_execz .LBB309_2711
; %bb.2708:                             ;   in Loop: Header=BB309_1567 Depth=1
	v_and_b32_e32 v148, 7, v0
	v_lshrrev_b32_e32 v149, 3, v150
	s_mov_b32 s16, exec_lo
	v_cmpx_gt_u32_e32 8, v150
; %bb.2709:                             ;   in Loop: Header=BB309_1567 Depth=1
	s_delay_alu instid0(VALU_DEP_3) | instskip(NEXT) | instid1(VALU_DEP_1)
	v_clz_i32_u32_e32 v6, v148
	v_min_u32_e32 v6, 32, v6
	s_delay_alu instid0(VALU_DEP_1) | instskip(NEXT) | instid1(VALU_DEP_1)
	v_subrev_nc_u32_e32 v148, 28, v6
	v_lshlrev_b64_e32 v[148:149], v148, v[0:1]
	v_sub_nc_u32_e32 v149, 29, v6
	s_delay_alu instid0(VALU_DEP_2)
	v_and_b32_e32 v148, 7, v148
; %bb.2710:                             ;   in Loop: Header=BB309_1567 Depth=1
	s_wait_alu 0xfffe
	s_or_b32 exec_lo, exec_lo, s16
	v_lshlrev_b32_e32 v0, 8, v0
	v_lshl_add_u32 v6, v149, 10, 0x2000
	v_lshlrev_b32_e32 v148, 7, v148
	s_delay_alu instid0(VALU_DEP_3) | instskip(NEXT) | instid1(VALU_DEP_3)
	v_and_b32_e32 v0, 0x8000, v0
	v_and_b32_e32 v6, 0xfc00, v6
	s_delay_alu instid0(VALU_DEP_1)
	v_or3_b32 v148, v0, v6, v148
.LBB309_2711:                           ;   in Loop: Header=BB309_1567 Depth=1
	s_wait_alu 0xfffe
	s_or_b32 exec_lo, exec_lo, s15
.LBB309_2712:                           ;   in Loop: Header=BB309_1567 Depth=1
	s_wait_alu 0xfffe
	s_or_b32 exec_lo, exec_lo, s14
.LBB309_2713:                           ;   in Loop: Header=BB309_1567 Depth=1
	s_wait_alu 0xfffe
	s_or_b32 exec_lo, exec_lo, s13
	s_delay_alu instid0(SALU_CYCLE_1)
	s_mov_b32 s13, exec_lo
	v_cmpx_lt_u32_e32 0xffffff, v9
	s_cbranch_execz .LBB309_2721
; %bb.2714:                             ;   in Loop: Header=BB309_1567 Depth=1
	v_lshrrev_b32_e32 v0, 24, v9
	v_bfrev_b32_e32 v147, 1
	s_mov_b32 s14, exec_lo
	s_delay_alu instid0(VALU_DEP_2)
	v_cmpx_ne_u32_e32 0x80, v0
	s_cbranch_execz .LBB309_2720
; %bb.2715:                             ;   in Loop: Header=BB309_1567 Depth=1
	v_and_b32_e32 v150, 0x7f, v0
	v_mov_b32_e32 v147, 0x7c010000
	s_mov_b32 s15, exec_lo
	s_delay_alu instid0(VALU_DEP_2)
	v_cmpx_ne_u32_e32 0x7f, v150
	s_cbranch_execz .LBB309_2719
; %bb.2716:                             ;   in Loop: Header=BB309_1567 Depth=1
	v_and_b32_e32 v147, 7, v0
	v_lshrrev_b32_e32 v149, 3, v150
	s_mov_b32 s16, exec_lo
	v_cmpx_gt_u32_e32 8, v150
; %bb.2717:                             ;   in Loop: Header=BB309_1567 Depth=1
	s_delay_alu instid0(VALU_DEP_3) | instskip(NEXT) | instid1(VALU_DEP_1)
	v_clz_i32_u32_e32 v6, v147
	v_min_u32_e32 v6, 32, v6
	s_delay_alu instid0(VALU_DEP_1) | instskip(SKIP_1) | instid1(VALU_DEP_2)
	v_subrev_nc_u32_e32 v147, 28, v6
	v_sub_nc_u32_e32 v149, 29, v6
	v_lshlrev_b64_e32 v[150:151], v147, v[0:1]
	s_delay_alu instid0(VALU_DEP_1)
	v_and_b32_e32 v147, 7, v150
; %bb.2718:                             ;   in Loop: Header=BB309_1567 Depth=1
	s_wait_alu 0xfffe
	s_or_b32 exec_lo, exec_lo, s16
	v_lshlrev_b32_e32 v0, 8, v0
	v_lshl_add_u32 v6, v149, 10, 0x2000
	s_delay_alu instid0(VALU_DEP_1) | instskip(SKIP_1) | instid1(VALU_DEP_1)
	v_and_or_b32 v0, 0x8000, v0, v6
	v_lshlrev_b32_e32 v6, 23, v147
	v_lshl_or_b32 v147, v0, 16, v6
.LBB309_2719:                           ;   in Loop: Header=BB309_1567 Depth=1
	s_wait_alu 0xfffe
	s_or_b32 exec_lo, exec_lo, s15
.LBB309_2720:                           ;   in Loop: Header=BB309_1567 Depth=1
	s_wait_alu 0xfffe
	s_or_b32 exec_lo, exec_lo, s14
.LBB309_2721:                           ;   in Loop: Header=BB309_1567 Depth=1
	s_wait_alu 0xfffe
	s_or_b32 exec_lo, exec_lo, s13
	v_dual_mov_b32 v0, v10 :: v_dual_and_b32 v151, 0xff, v10
	v_dual_mov_b32 v149, 0 :: v_dual_mov_b32 v150, 0
	s_mov_b32 s13, exec_lo
	s_delay_alu instid0(VALU_DEP_2)
	v_cmpx_ne_u16_e64 0, v151
	s_cbranch_execz .LBB309_2729
; %bb.2722:                             ;   in Loop: Header=BB309_1567 Depth=1
	v_mov_b32_e32 v150, 0x8000
	s_mov_b32 s14, exec_lo
	v_cmpx_ne_u16_e64 0x80, v151
	s_cbranch_execz .LBB309_2728
; %bb.2723:                             ;   in Loop: Header=BB309_1567 Depth=1
	v_and_b32_e32 v160, 0x7f, v10
	v_mov_b32_e32 v150, 0x7c01
	s_mov_b32 s15, exec_lo
	s_delay_alu instid0(VALU_DEP_2)
	v_cmpx_ne_u32_e32 0x7f, v160
	s_cbranch_execz .LBB309_2727
; %bb.2724:                             ;   in Loop: Header=BB309_1567 Depth=1
	v_and_b32_e32 v150, 7, v10
	v_lshrrev_b32_e32 v151, 3, v160
	s_mov_b32 s16, exec_lo
	v_cmpx_gt_u32_e32 8, v160
; %bb.2725:                             ;   in Loop: Header=BB309_1567 Depth=1
	s_delay_alu instid0(VALU_DEP_3) | instskip(NEXT) | instid1(VALU_DEP_1)
	v_clz_i32_u32_e32 v6, v150
	v_min_u32_e32 v6, 32, v6
	s_delay_alu instid0(VALU_DEP_1) | instskip(NEXT) | instid1(VALU_DEP_1)
	v_subrev_nc_u32_e32 v150, 28, v6
	v_lshlrev_b64_e32 v[150:151], v150, v[0:1]
	v_sub_nc_u32_e32 v151, 29, v6
	s_delay_alu instid0(VALU_DEP_2)
	v_and_b32_e32 v150, 7, v150
; %bb.2726:                             ;   in Loop: Header=BB309_1567 Depth=1
	s_wait_alu 0xfffe
	s_or_b32 exec_lo, exec_lo, s16
	v_lshlrev_b32_e32 v6, 8, v10
	v_lshl_add_u32 v151, v151, 10, 0x2000
	v_lshlrev_b32_e32 v150, 7, v150
	s_delay_alu instid0(VALU_DEP_3) | instskip(NEXT) | instid1(VALU_DEP_3)
	v_and_b32_e32 v6, 0x8000, v6
	v_and_b32_e32 v151, 0xfc00, v151
	s_delay_alu instid0(VALU_DEP_1)
	v_or3_b32 v150, v6, v151, v150
.LBB309_2727:                           ;   in Loop: Header=BB309_1567 Depth=1
	s_wait_alu 0xfffe
	s_or_b32 exec_lo, exec_lo, s15
.LBB309_2728:                           ;   in Loop: Header=BB309_1567 Depth=1
	s_wait_alu 0xfffe
	s_or_b32 exec_lo, exec_lo, s14
.LBB309_2729:                           ;   in Loop: Header=BB309_1567 Depth=1
	s_wait_alu 0xfffe
	s_or_b32 exec_lo, exec_lo, s13
	v_lshrrev_b16 v0, 8, v0
	v_mov_b32_e32 v151, 0
	s_mov_b32 s13, exec_lo
	s_delay_alu instid0(VALU_DEP_2)
	v_cmpx_ne_u16_e32 0, v0
	s_cbranch_execz .LBB309_2737
; %bb.2730:                             ;   in Loop: Header=BB309_1567 Depth=1
	v_bfrev_b32_e32 v151, 1
	s_mov_b32 s14, exec_lo
	v_cmpx_ne_u16_e32 0x80, v0
	s_cbranch_execz .LBB309_2736
; %bb.2731:                             ;   in Loop: Header=BB309_1567 Depth=1
	v_and_b32_e32 v160, 0xffff, v0
	v_mov_b32_e32 v151, 0x7c010000
	s_mov_b32 s15, exec_lo
	s_delay_alu instid0(VALU_DEP_2) | instskip(NEXT) | instid1(VALU_DEP_1)
	v_and_b32_e32 v162, 0x7f, v160
	v_cmpx_ne_u32_e32 0x7f, v162
	s_cbranch_execz .LBB309_2735
; %bb.2732:                             ;   in Loop: Header=BB309_1567 Depth=1
	v_and_b32_e32 v151, 7, v160
	v_lshrrev_b32_e32 v161, 3, v162
	s_mov_b32 s16, exec_lo
	v_cmpx_gt_u32_e32 8, v162
; %bb.2733:                             ;   in Loop: Header=BB309_1567 Depth=1
	s_delay_alu instid0(VALU_DEP_3) | instskip(NEXT) | instid1(VALU_DEP_1)
	v_clz_i32_u32_e32 v6, v151
	v_min_u32_e32 v6, 32, v6
	s_delay_alu instid0(VALU_DEP_1) | instskip(SKIP_1) | instid1(VALU_DEP_2)
	v_subrev_nc_u32_e32 v151, 28, v6
	v_sub_nc_u32_e32 v161, 29, v6
	v_lshlrev_b64_e32 v[162:163], v151, v[0:1]
	s_delay_alu instid0(VALU_DEP_1)
	v_and_b32_e32 v151, 7, v162
; %bb.2734:                             ;   in Loop: Header=BB309_1567 Depth=1
	s_wait_alu 0xfffe
	s_or_b32 exec_lo, exec_lo, s16
	v_lshlrev_b32_e32 v0, 8, v160
	v_lshl_add_u32 v6, v161, 10, 0x2000
	s_delay_alu instid0(VALU_DEP_1) | instskip(SKIP_1) | instid1(VALU_DEP_1)
	v_and_or_b32 v0, 0x8000, v0, v6
	v_lshlrev_b32_e32 v6, 23, v151
	v_lshl_or_b32 v151, v0, 16, v6
.LBB309_2735:                           ;   in Loop: Header=BB309_1567 Depth=1
	s_wait_alu 0xfffe
	s_or_b32 exec_lo, exec_lo, s15
.LBB309_2736:                           ;   in Loop: Header=BB309_1567 Depth=1
	s_wait_alu 0xfffe
	s_or_b32 exec_lo, exec_lo, s14
.LBB309_2737:                           ;   in Loop: Header=BB309_1567 Depth=1
	s_wait_alu 0xfffe
	s_or_b32 exec_lo, exec_lo, s13
	v_lshrrev_b32_e32 v0, 16, v10
	s_mov_b32 s13, exec_lo
	s_delay_alu instid0(VALU_DEP_1) | instskip(NEXT) | instid1(VALU_DEP_1)
	v_and_b32_e32 v160, 0xff, v0
	v_cmpx_ne_u16_e64 0, v160
	s_cbranch_execz .LBB309_2745
; %bb.2738:                             ;   in Loop: Header=BB309_1567 Depth=1
	v_mov_b32_e32 v149, 0x8000
	s_mov_b32 s14, exec_lo
	v_cmpx_ne_u16_e64 0x80, v160
	s_cbranch_execz .LBB309_2744
; %bb.2739:                             ;   in Loop: Header=BB309_1567 Depth=1
	v_bfe_u32 v161, v10, 16, 7
	v_mov_b32_e32 v149, 0x7c01
	s_mov_b32 s15, exec_lo
	s_delay_alu instid0(VALU_DEP_2)
	v_cmpx_ne_u32_e32 0x7f, v161
	s_cbranch_execz .LBB309_2743
; %bb.2740:                             ;   in Loop: Header=BB309_1567 Depth=1
	v_and_b32_e32 v149, 7, v0
	v_lshrrev_b32_e32 v160, 3, v161
	s_mov_b32 s16, exec_lo
	v_cmpx_gt_u32_e32 8, v161
; %bb.2741:                             ;   in Loop: Header=BB309_1567 Depth=1
	s_delay_alu instid0(VALU_DEP_3) | instskip(NEXT) | instid1(VALU_DEP_1)
	v_clz_i32_u32_e32 v6, v149
	v_min_u32_e32 v6, 32, v6
	s_delay_alu instid0(VALU_DEP_1) | instskip(SKIP_1) | instid1(VALU_DEP_2)
	v_subrev_nc_u32_e32 v149, 28, v6
	v_sub_nc_u32_e32 v160, 29, v6
	v_lshlrev_b64_e32 v[161:162], v149, v[0:1]
	s_delay_alu instid0(VALU_DEP_1)
	v_and_b32_e32 v149, 7, v161
; %bb.2742:                             ;   in Loop: Header=BB309_1567 Depth=1
	s_wait_alu 0xfffe
	s_or_b32 exec_lo, exec_lo, s16
	v_lshlrev_b32_e32 v0, 8, v0
	v_lshl_add_u32 v6, v160, 10, 0x2000
	v_lshlrev_b32_e32 v149, 7, v149
	s_delay_alu instid0(VALU_DEP_3) | instskip(NEXT) | instid1(VALU_DEP_3)
	v_and_b32_e32 v0, 0x8000, v0
	v_and_b32_e32 v6, 0xfc00, v6
	s_delay_alu instid0(VALU_DEP_1)
	v_or3_b32 v149, v0, v6, v149
.LBB309_2743:                           ;   in Loop: Header=BB309_1567 Depth=1
	s_wait_alu 0xfffe
	s_or_b32 exec_lo, exec_lo, s15
.LBB309_2744:                           ;   in Loop: Header=BB309_1567 Depth=1
	s_wait_alu 0xfffe
	s_or_b32 exec_lo, exec_lo, s14
.LBB309_2745:                           ;   in Loop: Header=BB309_1567 Depth=1
	s_wait_alu 0xfffe
	s_or_b32 exec_lo, exec_lo, s13
	v_cmp_lt_u64_e64 s0, s[8:9], v[9:10]
	v_mov_b32_e32 v9, 0
	s_and_saveexec_b32 s13, s0
	s_cbranch_execz .LBB309_2753
; %bb.2746:                             ;   in Loop: Header=BB309_1567 Depth=1
	v_lshrrev_b32_e32 v0, 24, v10
	v_bfrev_b32_e32 v9, 1
	s_mov_b32 s14, exec_lo
	s_delay_alu instid0(VALU_DEP_2)
	v_cmpx_ne_u32_e32 0x80, v0
	s_cbranch_execz .LBB309_2752
; %bb.2747:                             ;   in Loop: Header=BB309_1567 Depth=1
	v_and_b32_e32 v160, 0x7f, v0
	v_mov_b32_e32 v9, 0x7c010000
	s_mov_b32 s15, exec_lo
	s_delay_alu instid0(VALU_DEP_2)
	v_cmpx_ne_u32_e32 0x7f, v160
	s_cbranch_execz .LBB309_2751
; %bb.2748:                             ;   in Loop: Header=BB309_1567 Depth=1
	v_and_b32_e32 v9, 7, v0
	v_lshrrev_b32_e32 v10, 3, v160
	s_mov_b32 s16, exec_lo
	v_cmpx_gt_u32_e32 8, v160
; %bb.2749:                             ;   in Loop: Header=BB309_1567 Depth=1
	s_delay_alu instid0(VALU_DEP_3) | instskip(NEXT) | instid1(VALU_DEP_1)
	v_clz_i32_u32_e32 v6, v9
	v_min_u32_e32 v6, 32, v6
	s_delay_alu instid0(VALU_DEP_1) | instskip(NEXT) | instid1(VALU_DEP_1)
	v_subrev_nc_u32_e32 v9, 28, v6
	v_lshlrev_b64_e32 v[9:10], v9, v[0:1]
	v_sub_nc_u32_e32 v10, 29, v6
	s_delay_alu instid0(VALU_DEP_2)
	v_and_b32_e32 v9, 7, v9
; %bb.2750:                             ;   in Loop: Header=BB309_1567 Depth=1
	s_wait_alu 0xfffe
	s_or_b32 exec_lo, exec_lo, s16
	v_lshlrev_b32_e32 v0, 8, v0
	v_lshl_add_u32 v6, v10, 10, 0x2000
	s_delay_alu instid0(VALU_DEP_1) | instskip(SKIP_1) | instid1(VALU_DEP_1)
	v_and_or_b32 v0, 0x8000, v0, v6
	v_lshlrev_b32_e32 v6, 23, v9
	v_lshl_or_b32 v9, v0, 16, v6
.LBB309_2751:                           ;   in Loop: Header=BB309_1567 Depth=1
	s_wait_alu 0xfffe
	s_or_b32 exec_lo, exec_lo, s15
.LBB309_2752:                           ;   in Loop: Header=BB309_1567 Depth=1
	s_wait_alu 0xfffe
	s_or_b32 exec_lo, exec_lo, s14
.LBB309_2753:                           ;   in Loop: Header=BB309_1567 Depth=1
	s_wait_alu 0xfffe
	s_or_b32 exec_lo, exec_lo, s13
	v_or_b32_e32 v0, v147, v148
	s_wait_loadcnt_dscnt 0x0
	v_fma_mixlo_f16 v6, v34, v147, 0 op_sel:[0,1,0] op_sel_hi:[0,1,0]
	v_or_b32_e32 v10, v145, v146
	v_fma_mixlo_f16 v145, v34, v145, 0 op_sel:[0,1,0] op_sel_hi:[0,1,0]
	v_or_b32_e32 v147, v151, v150
	v_or_b32_e32 v149, v9, v149
	v_fma_mixlo_f16 v148, v34, v0, 0 op_sel_hi:[0,1,0]
	v_lshlrev_b32_e32 v0, 16, v6
	v_lshlrev_b32_e32 v146, 16, v145
	v_fma_mixlo_f16 v6, v34, v10, 0 op_sel_hi:[0,1,0]
	v_fma_mixlo_f16 v145, v34, v151, 0 op_sel:[0,1,0] op_sel_hi:[0,1,0]
	v_fma_mixlo_f16 v147, v34, v147, 0 op_sel_hi:[0,1,0]
	v_fma_mixlo_f16 v9, v34, v9, 0 op_sel:[0,1,0] op_sel_hi:[0,1,0]
	v_fma_mixlo_f16 v149, v34, v149, 0 op_sel_hi:[0,1,0]
	v_and_b32_e32 v10, 0xffff, v148
	v_and_b32_e32 v160, 0xffff, v6
	v_lshlrev_b32_e32 v34, 16, v145
	v_and_b32_e32 v148, 0xffff, v147
	v_lshlrev_b32_e32 v9, 16, v9
	v_and_b32_e32 v145, 0xffff, v149
	v_or_b32_e32 v147, v0, v10
	v_or_b32_e32 v151, v146, v160
	v_or_b32_e32 v150, v34, v148
	s_delay_alu instid0(VALU_DEP_4)
	v_or_b32_e32 v149, v9, v145
	s_and_saveexec_b32 s13, vcc_lo
	s_cbranch_execz .LBB309_2755
; %bb.2754:                             ;   in Loop: Header=BB309_1567 Depth=1
	v_cmp_lt_i32_e64 s0, v17, v33
	s_wait_alu 0xf1ff
	s_delay_alu instid0(VALU_DEP_1) | instskip(SKIP_2) | instid1(VALU_DEP_1)
	v_cndmask_b32_e64 v6, 0, v160, s0
	v_cmp_lt_i32_e64 s0, v86, v33
	s_wait_alu 0xf1ff
	v_cndmask_b32_e64 v146, 0, v146, s0
	v_cmp_lt_i32_e64 s0, v85, v33
	s_delay_alu instid0(VALU_DEP_2) | instskip(SKIP_1) | instid1(VALU_DEP_2)
	v_or_b32_e32 v151, v6, v146
	s_wait_alu 0xf1ff
	v_cndmask_b32_e64 v10, 0, v10, s0
	v_cmp_lt_i32_e64 s0, v84, v33
	s_wait_alu 0xf1ff
	s_delay_alu instid0(VALU_DEP_1) | instskip(SKIP_1) | instid1(VALU_DEP_2)
	v_cndmask_b32_e64 v0, 0, v0, s0
	v_cmp_lt_i32_e64 s0, v83, v33
	v_or_b32_e32 v147, v10, v0
	s_wait_alu 0xf1ff
	s_delay_alu instid0(VALU_DEP_2) | instskip(SKIP_2) | instid1(VALU_DEP_1)
	v_cndmask_b32_e64 v148, 0, v148, s0
	v_cmp_lt_i32_e64 s0, v82, v33
	s_wait_alu 0xf1ff
	v_cndmask_b32_e64 v34, 0, v34, s0
	v_cmp_lt_i32_e64 s0, v81, v33
	s_delay_alu instid0(VALU_DEP_2) | instskip(SKIP_1) | instid1(VALU_DEP_2)
	v_or_b32_e32 v150, v148, v34
	s_wait_alu 0xf1ff
	v_cndmask_b32_e64 v145, 0, v145, s0
	v_cmp_lt_i32_e64 s0, v80, v33
	s_wait_alu 0xf1ff
	s_delay_alu instid0(VALU_DEP_1) | instskip(NEXT) | instid1(VALU_DEP_1)
	v_cndmask_b32_e64 v9, 0, v9, s0
	v_or_b32_e32 v149, v145, v9
.LBB309_2755:                           ;   in Loop: Header=BB309_1567 Depth=1
	s_wait_alu 0xfffe
	s_or_b32 exec_lo, exec_lo, s13
	;;#ASMSTART
	v_pk_mul_f16 v0, v69, v151;

	;;#ASMEND
	;;#ASMSTART
	v_pk_mul_f16 v6, v37, v147;

	;;#ASMEND
	;; [unrolled: 4-line block ×4, first 2 shown]
	;;#ASMSTART
	v_pk_add_f16 v0, v0, v6;

	;;#ASMEND
	;;#ASMSTART
	v_pk_add_f16 v0, v0, v9;

	;;#ASMEND
	;; [unrolled: 4-line block ×3, first 2 shown]
	v_dual_mov_b32 v147, 0 :: v_dual_and_b32 v6, 0xffff, v0
	v_lshrrev_b32_e32 v0, 16, v0
	;;#ASMSTART
	v_cvt_f32_f16 v34, v6;
	;;#ASMEND
	;;#ASMSTART
	v_cvt_f32_f16 v145, v0;
	;;#ASMEND
	flat_load_b64 v[9:10], v[7:8] offset:4608
	flat_load_b32 v146, v[26:27]
	v_mov_b32_e32 v148, 0
	s_mov_b32 s13, exec_lo
	s_wait_loadcnt_dscnt 0x101
	v_and_b32_e32 v0, 0xff, v9
	s_delay_alu instid0(VALU_DEP_1)
	v_cmpx_ne_u16_e32 0, v0
	s_cbranch_execz .LBB309_2763
; %bb.2756:                             ;   in Loop: Header=BB309_1567 Depth=1
	v_mov_b32_e32 v148, 0x8000
	s_mov_b32 s14, exec_lo
	v_cmpx_ne_u16_e32 0x80, v0
	s_cbranch_execz .LBB309_2762
; %bb.2757:                             ;   in Loop: Header=BB309_1567 Depth=1
	v_and_b32_e32 v149, 0x7f, v9
	v_mov_b32_e32 v148, 0x7c01
	s_mov_b32 s15, exec_lo
	s_delay_alu instid0(VALU_DEP_2)
	v_cmpx_ne_u32_e32 0x7f, v149
	s_cbranch_execz .LBB309_2761
; %bb.2758:                             ;   in Loop: Header=BB309_1567 Depth=1
	v_and_b32_e32 v0, 7, v9
	v_lshrrev_b32_e32 v148, 3, v149
	s_mov_b32 s16, exec_lo
	v_cmpx_gt_u32_e32 8, v149
; %bb.2759:                             ;   in Loop: Header=BB309_1567 Depth=1
	s_delay_alu instid0(VALU_DEP_3) | instskip(NEXT) | instid1(VALU_DEP_1)
	v_clz_i32_u32_e32 v0, v0
	v_min_u32_e32 v0, 32, v0
	s_delay_alu instid0(VALU_DEP_1) | instskip(SKIP_1) | instid1(VALU_DEP_2)
	v_subrev_nc_u32_e32 v6, 28, v0
	v_sub_nc_u32_e32 v148, 29, v0
	v_lshlrev_b64_e32 v[149:150], v6, v[9:10]
	s_delay_alu instid0(VALU_DEP_1)
	v_and_b32_e32 v0, 7, v149
; %bb.2760:                             ;   in Loop: Header=BB309_1567 Depth=1
	s_wait_alu 0xfffe
	s_or_b32 exec_lo, exec_lo, s16
	v_lshlrev_b32_e32 v6, 8, v9
	v_lshl_add_u32 v148, v148, 10, 0x2000
	v_lshlrev_b32_e32 v0, 7, v0
	s_delay_alu instid0(VALU_DEP_3) | instskip(NEXT) | instid1(VALU_DEP_3)
	v_and_b32_e32 v6, 0x8000, v6
	v_and_b32_e32 v148, 0xfc00, v148
	s_delay_alu instid0(VALU_DEP_1)
	v_or3_b32 v148, v6, v148, v0
.LBB309_2761:                           ;   in Loop: Header=BB309_1567 Depth=1
	s_wait_alu 0xfffe
	s_or_b32 exec_lo, exec_lo, s15
.LBB309_2762:                           ;   in Loop: Header=BB309_1567 Depth=1
	s_wait_alu 0xfffe
	s_or_b32 exec_lo, exec_lo, s14
.LBB309_2763:                           ;   in Loop: Header=BB309_1567 Depth=1
	s_wait_alu 0xfffe
	s_or_b32 exec_lo, exec_lo, s13
	v_lshrrev_b16 v0, 8, v9
	s_mov_b32 s13, exec_lo
	s_delay_alu instid0(VALU_DEP_1)
	v_cmpx_ne_u16_e32 0, v0
	s_cbranch_execz .LBB309_2771
; %bb.2764:                             ;   in Loop: Header=BB309_1567 Depth=1
	v_bfrev_b32_e32 v147, 1
	s_mov_b32 s14, exec_lo
	v_cmpx_ne_u16_e32 0x80, v0
	s_cbranch_execz .LBB309_2770
; %bb.2765:                             ;   in Loop: Header=BB309_1567 Depth=1
	v_and_b32_e32 v149, 0xffff, v0
	v_mov_b32_e32 v147, 0x7c010000
	s_mov_b32 s15, exec_lo
	s_delay_alu instid0(VALU_DEP_2) | instskip(NEXT) | instid1(VALU_DEP_1)
	v_and_b32_e32 v151, 0x7f, v149
	v_cmpx_ne_u32_e32 0x7f, v151
	s_cbranch_execz .LBB309_2769
; %bb.2766:                             ;   in Loop: Header=BB309_1567 Depth=1
	v_and_b32_e32 v147, 7, v149
	v_lshrrev_b32_e32 v150, 3, v151
	s_mov_b32 s16, exec_lo
	v_cmpx_gt_u32_e32 8, v151
; %bb.2767:                             ;   in Loop: Header=BB309_1567 Depth=1
	s_delay_alu instid0(VALU_DEP_3) | instskip(NEXT) | instid1(VALU_DEP_1)
	v_clz_i32_u32_e32 v6, v147
	v_min_u32_e32 v6, 32, v6
	s_delay_alu instid0(VALU_DEP_1) | instskip(SKIP_1) | instid1(VALU_DEP_2)
	v_subrev_nc_u32_e32 v147, 28, v6
	v_sub_nc_u32_e32 v150, 29, v6
	v_lshlrev_b64_e32 v[160:161], v147, v[0:1]
	s_delay_alu instid0(VALU_DEP_1)
	v_and_b32_e32 v147, 7, v160
; %bb.2768:                             ;   in Loop: Header=BB309_1567 Depth=1
	s_wait_alu 0xfffe
	s_or_b32 exec_lo, exec_lo, s16
	v_lshlrev_b32_e32 v0, 8, v149
	v_lshl_add_u32 v6, v150, 10, 0x2000
	s_delay_alu instid0(VALU_DEP_1) | instskip(SKIP_1) | instid1(VALU_DEP_1)
	v_and_or_b32 v0, 0x8000, v0, v6
	v_lshlrev_b32_e32 v6, 23, v147
	v_lshl_or_b32 v147, v0, 16, v6
.LBB309_2769:                           ;   in Loop: Header=BB309_1567 Depth=1
	s_wait_alu 0xfffe
	s_or_b32 exec_lo, exec_lo, s15
.LBB309_2770:                           ;   in Loop: Header=BB309_1567 Depth=1
	s_wait_alu 0xfffe
	s_or_b32 exec_lo, exec_lo, s14
.LBB309_2771:                           ;   in Loop: Header=BB309_1567 Depth=1
	s_wait_alu 0xfffe
	s_or_b32 exec_lo, exec_lo, s13
	v_lshrrev_b32_e32 v0, 16, v9
	v_mov_b32_e32 v149, 0
	s_mov_b32 s13, exec_lo
	s_delay_alu instid0(VALU_DEP_2) | instskip(NEXT) | instid1(VALU_DEP_1)
	v_dual_mov_b32 v150, 0 :: v_dual_and_b32 v151, 0xff, v0
	v_cmpx_ne_u16_e64 0, v151
	s_cbranch_execz .LBB309_2779
; %bb.2772:                             ;   in Loop: Header=BB309_1567 Depth=1
	v_mov_b32_e32 v150, 0x8000
	s_mov_b32 s14, exec_lo
	v_cmpx_ne_u16_e64 0x80, v151
	s_cbranch_execz .LBB309_2778
; %bb.2773:                             ;   in Loop: Header=BB309_1567 Depth=1
	v_bfe_u32 v160, v9, 16, 7
	v_mov_b32_e32 v150, 0x7c01
	s_mov_b32 s15, exec_lo
	s_delay_alu instid0(VALU_DEP_2)
	v_cmpx_ne_u32_e32 0x7f, v160
	s_cbranch_execz .LBB309_2777
; %bb.2774:                             ;   in Loop: Header=BB309_1567 Depth=1
	v_and_b32_e32 v150, 7, v0
	v_lshrrev_b32_e32 v151, 3, v160
	s_mov_b32 s16, exec_lo
	v_cmpx_gt_u32_e32 8, v160
; %bb.2775:                             ;   in Loop: Header=BB309_1567 Depth=1
	s_delay_alu instid0(VALU_DEP_3) | instskip(NEXT) | instid1(VALU_DEP_1)
	v_clz_i32_u32_e32 v6, v150
	v_min_u32_e32 v6, 32, v6
	s_delay_alu instid0(VALU_DEP_1) | instskip(NEXT) | instid1(VALU_DEP_1)
	v_subrev_nc_u32_e32 v150, 28, v6
	v_lshlrev_b64_e32 v[150:151], v150, v[0:1]
	v_sub_nc_u32_e32 v151, 29, v6
	s_delay_alu instid0(VALU_DEP_2)
	v_and_b32_e32 v150, 7, v150
; %bb.2776:                             ;   in Loop: Header=BB309_1567 Depth=1
	s_wait_alu 0xfffe
	s_or_b32 exec_lo, exec_lo, s16
	v_lshlrev_b32_e32 v0, 8, v0
	v_lshl_add_u32 v6, v151, 10, 0x2000
	v_lshlrev_b32_e32 v150, 7, v150
	s_delay_alu instid0(VALU_DEP_3) | instskip(NEXT) | instid1(VALU_DEP_3)
	v_and_b32_e32 v0, 0x8000, v0
	v_and_b32_e32 v6, 0xfc00, v6
	s_delay_alu instid0(VALU_DEP_1)
	v_or3_b32 v150, v0, v6, v150
.LBB309_2777:                           ;   in Loop: Header=BB309_1567 Depth=1
	s_wait_alu 0xfffe
	s_or_b32 exec_lo, exec_lo, s15
.LBB309_2778:                           ;   in Loop: Header=BB309_1567 Depth=1
	s_wait_alu 0xfffe
	s_or_b32 exec_lo, exec_lo, s14
.LBB309_2779:                           ;   in Loop: Header=BB309_1567 Depth=1
	s_wait_alu 0xfffe
	s_or_b32 exec_lo, exec_lo, s13
	s_delay_alu instid0(SALU_CYCLE_1)
	s_mov_b32 s13, exec_lo
	v_cmpx_lt_u32_e32 0xffffff, v9
	s_cbranch_execz .LBB309_2787
; %bb.2780:                             ;   in Loop: Header=BB309_1567 Depth=1
	v_lshrrev_b32_e32 v0, 24, v9
	v_bfrev_b32_e32 v149, 1
	s_mov_b32 s14, exec_lo
	s_delay_alu instid0(VALU_DEP_2)
	v_cmpx_ne_u32_e32 0x80, v0
	s_cbranch_execz .LBB309_2786
; %bb.2781:                             ;   in Loop: Header=BB309_1567 Depth=1
	v_and_b32_e32 v160, 0x7f, v0
	v_mov_b32_e32 v149, 0x7c010000
	s_mov_b32 s15, exec_lo
	s_delay_alu instid0(VALU_DEP_2)
	v_cmpx_ne_u32_e32 0x7f, v160
	s_cbranch_execz .LBB309_2785
; %bb.2782:                             ;   in Loop: Header=BB309_1567 Depth=1
	v_and_b32_e32 v149, 7, v0
	v_lshrrev_b32_e32 v151, 3, v160
	s_mov_b32 s16, exec_lo
	v_cmpx_gt_u32_e32 8, v160
; %bb.2783:                             ;   in Loop: Header=BB309_1567 Depth=1
	s_delay_alu instid0(VALU_DEP_3) | instskip(NEXT) | instid1(VALU_DEP_1)
	v_clz_i32_u32_e32 v6, v149
	v_min_u32_e32 v6, 32, v6
	s_delay_alu instid0(VALU_DEP_1) | instskip(SKIP_1) | instid1(VALU_DEP_2)
	v_subrev_nc_u32_e32 v149, 28, v6
	v_sub_nc_u32_e32 v151, 29, v6
	v_lshlrev_b64_e32 v[160:161], v149, v[0:1]
	s_delay_alu instid0(VALU_DEP_1)
	v_and_b32_e32 v149, 7, v160
; %bb.2784:                             ;   in Loop: Header=BB309_1567 Depth=1
	s_wait_alu 0xfffe
	s_or_b32 exec_lo, exec_lo, s16
	v_lshlrev_b32_e32 v0, 8, v0
	v_lshl_add_u32 v6, v151, 10, 0x2000
	s_delay_alu instid0(VALU_DEP_1) | instskip(SKIP_1) | instid1(VALU_DEP_1)
	v_and_or_b32 v0, 0x8000, v0, v6
	v_lshlrev_b32_e32 v6, 23, v149
	v_lshl_or_b32 v149, v0, 16, v6
.LBB309_2785:                           ;   in Loop: Header=BB309_1567 Depth=1
	s_wait_alu 0xfffe
	s_or_b32 exec_lo, exec_lo, s15
.LBB309_2786:                           ;   in Loop: Header=BB309_1567 Depth=1
	s_wait_alu 0xfffe
	s_or_b32 exec_lo, exec_lo, s14
.LBB309_2787:                           ;   in Loop: Header=BB309_1567 Depth=1
	s_wait_alu 0xfffe
	s_or_b32 exec_lo, exec_lo, s13
	v_dual_mov_b32 v0, v10 :: v_dual_and_b32 v161, 0xff, v10
	v_dual_mov_b32 v151, 0 :: v_dual_mov_b32 v160, 0
	s_mov_b32 s13, exec_lo
	s_delay_alu instid0(VALU_DEP_2)
	v_cmpx_ne_u16_e64 0, v161
	s_cbranch_execz .LBB309_2795
; %bb.2788:                             ;   in Loop: Header=BB309_1567 Depth=1
	v_mov_b32_e32 v160, 0x8000
	s_mov_b32 s14, exec_lo
	v_cmpx_ne_u16_e64 0x80, v161
	s_cbranch_execz .LBB309_2794
; %bb.2789:                             ;   in Loop: Header=BB309_1567 Depth=1
	v_and_b32_e32 v162, 0x7f, v10
	v_mov_b32_e32 v160, 0x7c01
	s_mov_b32 s15, exec_lo
	s_delay_alu instid0(VALU_DEP_2)
	v_cmpx_ne_u32_e32 0x7f, v162
	s_cbranch_execz .LBB309_2793
; %bb.2790:                             ;   in Loop: Header=BB309_1567 Depth=1
	v_and_b32_e32 v160, 7, v10
	v_lshrrev_b32_e32 v161, 3, v162
	s_mov_b32 s16, exec_lo
	v_cmpx_gt_u32_e32 8, v162
; %bb.2791:                             ;   in Loop: Header=BB309_1567 Depth=1
	s_delay_alu instid0(VALU_DEP_3) | instskip(NEXT) | instid1(VALU_DEP_1)
	v_clz_i32_u32_e32 v6, v160
	v_min_u32_e32 v6, 32, v6
	s_delay_alu instid0(VALU_DEP_1) | instskip(NEXT) | instid1(VALU_DEP_1)
	v_subrev_nc_u32_e32 v160, 28, v6
	v_lshlrev_b64_e32 v[160:161], v160, v[0:1]
	v_sub_nc_u32_e32 v161, 29, v6
	s_delay_alu instid0(VALU_DEP_2)
	v_and_b32_e32 v160, 7, v160
; %bb.2792:                             ;   in Loop: Header=BB309_1567 Depth=1
	s_wait_alu 0xfffe
	s_or_b32 exec_lo, exec_lo, s16
	v_lshlrev_b32_e32 v6, 8, v10
	v_lshl_add_u32 v161, v161, 10, 0x2000
	v_lshlrev_b32_e32 v160, 7, v160
	s_delay_alu instid0(VALU_DEP_3) | instskip(NEXT) | instid1(VALU_DEP_3)
	v_and_b32_e32 v6, 0x8000, v6
	v_and_b32_e32 v161, 0xfc00, v161
	s_delay_alu instid0(VALU_DEP_1)
	v_or3_b32 v160, v6, v161, v160
.LBB309_2793:                           ;   in Loop: Header=BB309_1567 Depth=1
	s_wait_alu 0xfffe
	s_or_b32 exec_lo, exec_lo, s15
.LBB309_2794:                           ;   in Loop: Header=BB309_1567 Depth=1
	s_wait_alu 0xfffe
	s_or_b32 exec_lo, exec_lo, s14
.LBB309_2795:                           ;   in Loop: Header=BB309_1567 Depth=1
	s_wait_alu 0xfffe
	s_or_b32 exec_lo, exec_lo, s13
	v_lshrrev_b16 v0, 8, v0
	v_mov_b32_e32 v161, 0
	s_mov_b32 s13, exec_lo
	s_delay_alu instid0(VALU_DEP_2)
	v_cmpx_ne_u16_e32 0, v0
	s_cbranch_execz .LBB309_2803
; %bb.2796:                             ;   in Loop: Header=BB309_1567 Depth=1
	v_bfrev_b32_e32 v161, 1
	s_mov_b32 s14, exec_lo
	v_cmpx_ne_u16_e32 0x80, v0
	s_cbranch_execz .LBB309_2802
; %bb.2797:                             ;   in Loop: Header=BB309_1567 Depth=1
	v_and_b32_e32 v162, 0xffff, v0
	v_mov_b32_e32 v161, 0x7c010000
	s_mov_b32 s15, exec_lo
	s_delay_alu instid0(VALU_DEP_2) | instskip(NEXT) | instid1(VALU_DEP_1)
	v_and_b32_e32 v164, 0x7f, v162
	v_cmpx_ne_u32_e32 0x7f, v164
	s_cbranch_execz .LBB309_2801
; %bb.2798:                             ;   in Loop: Header=BB309_1567 Depth=1
	v_and_b32_e32 v161, 7, v162
	v_lshrrev_b32_e32 v163, 3, v164
	s_mov_b32 s16, exec_lo
	v_cmpx_gt_u32_e32 8, v164
; %bb.2799:                             ;   in Loop: Header=BB309_1567 Depth=1
	s_delay_alu instid0(VALU_DEP_3) | instskip(NEXT) | instid1(VALU_DEP_1)
	v_clz_i32_u32_e32 v6, v161
	v_min_u32_e32 v6, 32, v6
	s_delay_alu instid0(VALU_DEP_1) | instskip(SKIP_1) | instid1(VALU_DEP_2)
	v_subrev_nc_u32_e32 v161, 28, v6
	v_sub_nc_u32_e32 v163, 29, v6
	v_lshlrev_b64_e32 v[164:165], v161, v[0:1]
	s_delay_alu instid0(VALU_DEP_1)
	v_and_b32_e32 v161, 7, v164
; %bb.2800:                             ;   in Loop: Header=BB309_1567 Depth=1
	s_wait_alu 0xfffe
	s_or_b32 exec_lo, exec_lo, s16
	v_lshlrev_b32_e32 v0, 8, v162
	v_lshl_add_u32 v6, v163, 10, 0x2000
	s_delay_alu instid0(VALU_DEP_1) | instskip(SKIP_1) | instid1(VALU_DEP_1)
	v_and_or_b32 v0, 0x8000, v0, v6
	v_lshlrev_b32_e32 v6, 23, v161
	v_lshl_or_b32 v161, v0, 16, v6
.LBB309_2801:                           ;   in Loop: Header=BB309_1567 Depth=1
	s_wait_alu 0xfffe
	s_or_b32 exec_lo, exec_lo, s15
.LBB309_2802:                           ;   in Loop: Header=BB309_1567 Depth=1
	s_wait_alu 0xfffe
	s_or_b32 exec_lo, exec_lo, s14
.LBB309_2803:                           ;   in Loop: Header=BB309_1567 Depth=1
	s_wait_alu 0xfffe
	s_or_b32 exec_lo, exec_lo, s13
	v_lshrrev_b32_e32 v0, 16, v10
	s_mov_b32 s13, exec_lo
	s_delay_alu instid0(VALU_DEP_1) | instskip(NEXT) | instid1(VALU_DEP_1)
	v_and_b32_e32 v162, 0xff, v0
	v_cmpx_ne_u16_e64 0, v162
	s_cbranch_execz .LBB309_2811
; %bb.2804:                             ;   in Loop: Header=BB309_1567 Depth=1
	v_mov_b32_e32 v151, 0x8000
	s_mov_b32 s14, exec_lo
	v_cmpx_ne_u16_e64 0x80, v162
	s_cbranch_execz .LBB309_2810
; %bb.2805:                             ;   in Loop: Header=BB309_1567 Depth=1
	v_bfe_u32 v163, v10, 16, 7
	v_mov_b32_e32 v151, 0x7c01
	s_mov_b32 s15, exec_lo
	s_delay_alu instid0(VALU_DEP_2)
	v_cmpx_ne_u32_e32 0x7f, v163
	s_cbranch_execz .LBB309_2809
; %bb.2806:                             ;   in Loop: Header=BB309_1567 Depth=1
	v_and_b32_e32 v151, 7, v0
	v_lshrrev_b32_e32 v162, 3, v163
	s_mov_b32 s16, exec_lo
	v_cmpx_gt_u32_e32 8, v163
; %bb.2807:                             ;   in Loop: Header=BB309_1567 Depth=1
	s_delay_alu instid0(VALU_DEP_3) | instskip(NEXT) | instid1(VALU_DEP_1)
	v_clz_i32_u32_e32 v6, v151
	v_min_u32_e32 v6, 32, v6
	s_delay_alu instid0(VALU_DEP_1) | instskip(SKIP_1) | instid1(VALU_DEP_2)
	v_subrev_nc_u32_e32 v151, 28, v6
	v_sub_nc_u32_e32 v162, 29, v6
	v_lshlrev_b64_e32 v[163:164], v151, v[0:1]
	s_delay_alu instid0(VALU_DEP_1)
	v_and_b32_e32 v151, 7, v163
; %bb.2808:                             ;   in Loop: Header=BB309_1567 Depth=1
	s_wait_alu 0xfffe
	s_or_b32 exec_lo, exec_lo, s16
	v_lshlrev_b32_e32 v0, 8, v0
	v_lshl_add_u32 v6, v162, 10, 0x2000
	v_lshlrev_b32_e32 v151, 7, v151
	s_delay_alu instid0(VALU_DEP_3) | instskip(NEXT) | instid1(VALU_DEP_3)
	v_and_b32_e32 v0, 0x8000, v0
	v_and_b32_e32 v6, 0xfc00, v6
	s_delay_alu instid0(VALU_DEP_1)
	v_or3_b32 v151, v0, v6, v151
.LBB309_2809:                           ;   in Loop: Header=BB309_1567 Depth=1
	s_wait_alu 0xfffe
	s_or_b32 exec_lo, exec_lo, s15
.LBB309_2810:                           ;   in Loop: Header=BB309_1567 Depth=1
	s_wait_alu 0xfffe
	s_or_b32 exec_lo, exec_lo, s14
.LBB309_2811:                           ;   in Loop: Header=BB309_1567 Depth=1
	s_wait_alu 0xfffe
	s_or_b32 exec_lo, exec_lo, s13
	v_cmp_lt_u64_e64 s0, s[8:9], v[9:10]
	v_mov_b32_e32 v9, 0
	s_and_saveexec_b32 s13, s0
	s_cbranch_execz .LBB309_2819
; %bb.2812:                             ;   in Loop: Header=BB309_1567 Depth=1
	v_lshrrev_b32_e32 v0, 24, v10
	v_bfrev_b32_e32 v9, 1
	s_mov_b32 s14, exec_lo
	s_delay_alu instid0(VALU_DEP_2)
	v_cmpx_ne_u32_e32 0x80, v0
	s_cbranch_execz .LBB309_2818
; %bb.2813:                             ;   in Loop: Header=BB309_1567 Depth=1
	v_and_b32_e32 v162, 0x7f, v0
	v_mov_b32_e32 v9, 0x7c010000
	s_mov_b32 s15, exec_lo
	s_delay_alu instid0(VALU_DEP_2)
	v_cmpx_ne_u32_e32 0x7f, v162
	s_cbranch_execz .LBB309_2817
; %bb.2814:                             ;   in Loop: Header=BB309_1567 Depth=1
	v_and_b32_e32 v9, 7, v0
	v_lshrrev_b32_e32 v10, 3, v162
	s_mov_b32 s16, exec_lo
	v_cmpx_gt_u32_e32 8, v162
; %bb.2815:                             ;   in Loop: Header=BB309_1567 Depth=1
	s_delay_alu instid0(VALU_DEP_3) | instskip(NEXT) | instid1(VALU_DEP_1)
	v_clz_i32_u32_e32 v6, v9
	v_min_u32_e32 v6, 32, v6
	s_delay_alu instid0(VALU_DEP_1) | instskip(NEXT) | instid1(VALU_DEP_1)
	v_subrev_nc_u32_e32 v9, 28, v6
	v_lshlrev_b64_e32 v[9:10], v9, v[0:1]
	v_sub_nc_u32_e32 v10, 29, v6
	s_delay_alu instid0(VALU_DEP_2)
	v_and_b32_e32 v9, 7, v9
; %bb.2816:                             ;   in Loop: Header=BB309_1567 Depth=1
	s_wait_alu 0xfffe
	s_or_b32 exec_lo, exec_lo, s16
	v_lshlrev_b32_e32 v0, 8, v0
	v_lshl_add_u32 v6, v10, 10, 0x2000
	s_delay_alu instid0(VALU_DEP_1) | instskip(SKIP_1) | instid1(VALU_DEP_1)
	v_and_or_b32 v0, 0x8000, v0, v6
	v_lshlrev_b32_e32 v6, 23, v9
	v_lshl_or_b32 v9, v0, 16, v6
.LBB309_2817:                           ;   in Loop: Header=BB309_1567 Depth=1
	s_wait_alu 0xfffe
	s_or_b32 exec_lo, exec_lo, s15
.LBB309_2818:                           ;   in Loop: Header=BB309_1567 Depth=1
	s_wait_alu 0xfffe
	s_or_b32 exec_lo, exec_lo, s14
.LBB309_2819:                           ;   in Loop: Header=BB309_1567 Depth=1
	s_wait_alu 0xfffe
	s_or_b32 exec_lo, exec_lo, s13
	v_or_b32_e32 v0, v149, v150
	s_wait_loadcnt_dscnt 0x0
	v_fma_mixlo_f16 v6, v146, v149, 0 op_sel:[0,1,0] op_sel_hi:[0,1,0]
	v_or_b32_e32 v10, v147, v148
	v_fma_mixlo_f16 v147, v146, v147, 0 op_sel:[0,1,0] op_sel_hi:[0,1,0]
	v_or_b32_e32 v149, v161, v160
	v_or_b32_e32 v151, v9, v151
	v_fma_mixlo_f16 v150, v146, v0, 0 op_sel_hi:[0,1,0]
	v_lshlrev_b32_e32 v0, 16, v6
	v_lshlrev_b32_e32 v148, 16, v147
	v_fma_mixlo_f16 v6, v146, v10, 0 op_sel_hi:[0,1,0]
	v_fma_mixlo_f16 v147, v146, v161, 0 op_sel:[0,1,0] op_sel_hi:[0,1,0]
	v_fma_mixlo_f16 v149, v146, v149, 0 op_sel_hi:[0,1,0]
	v_fma_mixlo_f16 v9, v146, v9, 0 op_sel:[0,1,0] op_sel_hi:[0,1,0]
	v_fma_mixlo_f16 v151, v146, v151, 0 op_sel_hi:[0,1,0]
	v_and_b32_e32 v10, 0xffff, v150
	v_and_b32_e32 v162, 0xffff, v6
	v_lshlrev_b32_e32 v146, 16, v147
	v_and_b32_e32 v150, 0xffff, v149
	v_lshlrev_b32_e32 v9, 16, v9
	v_and_b32_e32 v147, 0xffff, v151
	v_or_b32_e32 v149, v0, v10
	v_or_b32_e32 v161, v148, v162
	;; [unrolled: 1-line block ×3, first 2 shown]
	s_delay_alu instid0(VALU_DEP_4)
	v_or_b32_e32 v151, v9, v147
	s_and_saveexec_b32 s13, vcc_lo
	s_cbranch_execz .LBB309_2821
; %bb.2820:                             ;   in Loop: Header=BB309_1567 Depth=1
	v_cmp_lt_i32_e64 s0, v17, v33
	s_wait_alu 0xf1ff
	s_delay_alu instid0(VALU_DEP_1) | instskip(SKIP_2) | instid1(VALU_DEP_1)
	v_cndmask_b32_e64 v6, 0, v162, s0
	v_cmp_lt_i32_e64 s0, v86, v33
	s_wait_alu 0xf1ff
	v_cndmask_b32_e64 v148, 0, v148, s0
	v_cmp_lt_i32_e64 s0, v85, v33
	s_delay_alu instid0(VALU_DEP_2) | instskip(SKIP_1) | instid1(VALU_DEP_2)
	v_or_b32_e32 v161, v6, v148
	s_wait_alu 0xf1ff
	v_cndmask_b32_e64 v10, 0, v10, s0
	v_cmp_lt_i32_e64 s0, v84, v33
	s_wait_alu 0xf1ff
	s_delay_alu instid0(VALU_DEP_1) | instskip(SKIP_1) | instid1(VALU_DEP_2)
	v_cndmask_b32_e64 v0, 0, v0, s0
	v_cmp_lt_i32_e64 s0, v83, v33
	v_or_b32_e32 v149, v10, v0
	s_wait_alu 0xf1ff
	s_delay_alu instid0(VALU_DEP_2) | instskip(SKIP_2) | instid1(VALU_DEP_1)
	v_cndmask_b32_e64 v150, 0, v150, s0
	v_cmp_lt_i32_e64 s0, v82, v33
	s_wait_alu 0xf1ff
	v_cndmask_b32_e64 v146, 0, v146, s0
	v_cmp_lt_i32_e64 s0, v81, v33
	s_delay_alu instid0(VALU_DEP_2) | instskip(SKIP_1) | instid1(VALU_DEP_2)
	v_or_b32_e32 v160, v150, v146
	s_wait_alu 0xf1ff
	v_cndmask_b32_e64 v147, 0, v147, s0
	v_cmp_lt_i32_e64 s0, v80, v33
	s_wait_alu 0xf1ff
	s_delay_alu instid0(VALU_DEP_1) | instskip(NEXT) | instid1(VALU_DEP_1)
	v_cndmask_b32_e64 v9, 0, v9, s0
	v_or_b32_e32 v151, v147, v9
.LBB309_2821:                           ;   in Loop: Header=BB309_1567 Depth=1
	s_wait_alu 0xfffe
	s_or_b32 exec_lo, exec_lo, s13
	;;#ASMSTART
	v_pk_mul_f16 v0, v69, v161;

	;;#ASMEND
	;;#ASMSTART
	v_pk_mul_f16 v6, v37, v149;

	;;#ASMEND
	;;#ASMSTART
	v_pk_mul_f16 v9, v36, v160;

	;;#ASMEND
	;;#ASMSTART
	v_pk_mul_f16 v10, v35, v151;

	;;#ASMEND
	;;#ASMSTART
	v_pk_add_f16 v0, v0, v6;

	;;#ASMEND
	;;#ASMSTART
	v_pk_add_f16 v0, v0, v9;

	;;#ASMEND
	;; [unrolled: 4-line block ×3, first 2 shown]
	v_dual_mov_b32 v149, 0 :: v_dual_and_b32 v6, 0xffff, v0
	v_lshrrev_b32_e32 v0, 16, v0
	;;#ASMSTART
	v_cvt_f32_f16 v146, v6;
	;;#ASMEND
	;;#ASMSTART
	v_cvt_f32_f16 v147, v0;
	;;#ASMEND
	flat_load_b64 v[9:10], v[7:8] offset:4864
	flat_load_b32 v148, v[26:27]
	v_mov_b32_e32 v150, 0
	s_mov_b32 s13, exec_lo
	s_wait_loadcnt_dscnt 0x101
	v_and_b32_e32 v0, 0xff, v9
	s_delay_alu instid0(VALU_DEP_1)
	v_cmpx_ne_u16_e32 0, v0
	s_cbranch_execz .LBB309_2829
; %bb.2822:                             ;   in Loop: Header=BB309_1567 Depth=1
	v_mov_b32_e32 v150, 0x8000
	s_mov_b32 s14, exec_lo
	v_cmpx_ne_u16_e32 0x80, v0
	s_cbranch_execz .LBB309_2828
; %bb.2823:                             ;   in Loop: Header=BB309_1567 Depth=1
	v_and_b32_e32 v151, 0x7f, v9
	v_mov_b32_e32 v150, 0x7c01
	s_mov_b32 s15, exec_lo
	s_delay_alu instid0(VALU_DEP_2)
	v_cmpx_ne_u32_e32 0x7f, v151
	s_cbranch_execz .LBB309_2827
; %bb.2824:                             ;   in Loop: Header=BB309_1567 Depth=1
	v_and_b32_e32 v0, 7, v9
	v_lshrrev_b32_e32 v150, 3, v151
	s_mov_b32 s16, exec_lo
	v_cmpx_gt_u32_e32 8, v151
; %bb.2825:                             ;   in Loop: Header=BB309_1567 Depth=1
	s_delay_alu instid0(VALU_DEP_3) | instskip(NEXT) | instid1(VALU_DEP_1)
	v_clz_i32_u32_e32 v0, v0
	v_min_u32_e32 v0, 32, v0
	s_delay_alu instid0(VALU_DEP_1) | instskip(SKIP_1) | instid1(VALU_DEP_2)
	v_subrev_nc_u32_e32 v6, 28, v0
	v_sub_nc_u32_e32 v150, 29, v0
	v_lshlrev_b64_e32 v[160:161], v6, v[9:10]
	s_delay_alu instid0(VALU_DEP_1)
	v_and_b32_e32 v0, 7, v160
; %bb.2826:                             ;   in Loop: Header=BB309_1567 Depth=1
	s_wait_alu 0xfffe
	s_or_b32 exec_lo, exec_lo, s16
	v_lshlrev_b32_e32 v6, 8, v9
	v_lshl_add_u32 v150, v150, 10, 0x2000
	v_lshlrev_b32_e32 v0, 7, v0
	s_delay_alu instid0(VALU_DEP_3) | instskip(NEXT) | instid1(VALU_DEP_3)
	v_and_b32_e32 v6, 0x8000, v6
	v_and_b32_e32 v150, 0xfc00, v150
	s_delay_alu instid0(VALU_DEP_1)
	v_or3_b32 v150, v6, v150, v0
.LBB309_2827:                           ;   in Loop: Header=BB309_1567 Depth=1
	s_wait_alu 0xfffe
	s_or_b32 exec_lo, exec_lo, s15
.LBB309_2828:                           ;   in Loop: Header=BB309_1567 Depth=1
	s_wait_alu 0xfffe
	s_or_b32 exec_lo, exec_lo, s14
.LBB309_2829:                           ;   in Loop: Header=BB309_1567 Depth=1
	s_wait_alu 0xfffe
	s_or_b32 exec_lo, exec_lo, s13
	v_lshrrev_b16 v0, 8, v9
	s_mov_b32 s13, exec_lo
	s_delay_alu instid0(VALU_DEP_1)
	v_cmpx_ne_u16_e32 0, v0
	s_cbranch_execz .LBB309_2837
; %bb.2830:                             ;   in Loop: Header=BB309_1567 Depth=1
	v_bfrev_b32_e32 v149, 1
	s_mov_b32 s14, exec_lo
	v_cmpx_ne_u16_e32 0x80, v0
	s_cbranch_execz .LBB309_2836
; %bb.2831:                             ;   in Loop: Header=BB309_1567 Depth=1
	v_and_b32_e32 v151, 0xffff, v0
	v_mov_b32_e32 v149, 0x7c010000
	s_mov_b32 s15, exec_lo
	s_delay_alu instid0(VALU_DEP_2) | instskip(NEXT) | instid1(VALU_DEP_1)
	v_and_b32_e32 v161, 0x7f, v151
	v_cmpx_ne_u32_e32 0x7f, v161
	s_cbranch_execz .LBB309_2835
; %bb.2832:                             ;   in Loop: Header=BB309_1567 Depth=1
	v_and_b32_e32 v149, 7, v151
	v_lshrrev_b32_e32 v160, 3, v161
	s_mov_b32 s16, exec_lo
	v_cmpx_gt_u32_e32 8, v161
; %bb.2833:                             ;   in Loop: Header=BB309_1567 Depth=1
	s_delay_alu instid0(VALU_DEP_3) | instskip(NEXT) | instid1(VALU_DEP_1)
	v_clz_i32_u32_e32 v6, v149
	v_min_u32_e32 v6, 32, v6
	s_delay_alu instid0(VALU_DEP_1) | instskip(SKIP_1) | instid1(VALU_DEP_2)
	v_subrev_nc_u32_e32 v149, 28, v6
	v_sub_nc_u32_e32 v160, 29, v6
	v_lshlrev_b64_e32 v[161:162], v149, v[0:1]
	s_delay_alu instid0(VALU_DEP_1)
	v_and_b32_e32 v149, 7, v161
; %bb.2834:                             ;   in Loop: Header=BB309_1567 Depth=1
	s_wait_alu 0xfffe
	s_or_b32 exec_lo, exec_lo, s16
	v_lshlrev_b32_e32 v0, 8, v151
	v_lshl_add_u32 v6, v160, 10, 0x2000
	s_delay_alu instid0(VALU_DEP_1) | instskip(SKIP_1) | instid1(VALU_DEP_1)
	v_and_or_b32 v0, 0x8000, v0, v6
	v_lshlrev_b32_e32 v6, 23, v149
	v_lshl_or_b32 v149, v0, 16, v6
.LBB309_2835:                           ;   in Loop: Header=BB309_1567 Depth=1
	s_wait_alu 0xfffe
	s_or_b32 exec_lo, exec_lo, s15
.LBB309_2836:                           ;   in Loop: Header=BB309_1567 Depth=1
	s_wait_alu 0xfffe
	s_or_b32 exec_lo, exec_lo, s14
.LBB309_2837:                           ;   in Loop: Header=BB309_1567 Depth=1
	s_wait_alu 0xfffe
	s_or_b32 exec_lo, exec_lo, s13
	v_lshrrev_b32_e32 v0, 16, v9
	v_mov_b32_e32 v151, 0
	s_mov_b32 s13, exec_lo
	s_delay_alu instid0(VALU_DEP_2) | instskip(NEXT) | instid1(VALU_DEP_1)
	v_dual_mov_b32 v160, 0 :: v_dual_and_b32 v161, 0xff, v0
	v_cmpx_ne_u16_e64 0, v161
	s_cbranch_execz .LBB309_2845
; %bb.2838:                             ;   in Loop: Header=BB309_1567 Depth=1
	v_mov_b32_e32 v160, 0x8000
	s_mov_b32 s14, exec_lo
	v_cmpx_ne_u16_e64 0x80, v161
	s_cbranch_execz .LBB309_2844
; %bb.2839:                             ;   in Loop: Header=BB309_1567 Depth=1
	v_bfe_u32 v162, v9, 16, 7
	v_mov_b32_e32 v160, 0x7c01
	s_mov_b32 s15, exec_lo
	s_delay_alu instid0(VALU_DEP_2)
	v_cmpx_ne_u32_e32 0x7f, v162
	s_cbranch_execz .LBB309_2843
; %bb.2840:                             ;   in Loop: Header=BB309_1567 Depth=1
	v_and_b32_e32 v160, 7, v0
	v_lshrrev_b32_e32 v161, 3, v162
	s_mov_b32 s16, exec_lo
	v_cmpx_gt_u32_e32 8, v162
; %bb.2841:                             ;   in Loop: Header=BB309_1567 Depth=1
	s_delay_alu instid0(VALU_DEP_3) | instskip(NEXT) | instid1(VALU_DEP_1)
	v_clz_i32_u32_e32 v6, v160
	v_min_u32_e32 v6, 32, v6
	s_delay_alu instid0(VALU_DEP_1) | instskip(NEXT) | instid1(VALU_DEP_1)
	v_subrev_nc_u32_e32 v160, 28, v6
	v_lshlrev_b64_e32 v[160:161], v160, v[0:1]
	v_sub_nc_u32_e32 v161, 29, v6
	s_delay_alu instid0(VALU_DEP_2)
	v_and_b32_e32 v160, 7, v160
; %bb.2842:                             ;   in Loop: Header=BB309_1567 Depth=1
	s_wait_alu 0xfffe
	s_or_b32 exec_lo, exec_lo, s16
	v_lshlrev_b32_e32 v0, 8, v0
	v_lshl_add_u32 v6, v161, 10, 0x2000
	v_lshlrev_b32_e32 v160, 7, v160
	s_delay_alu instid0(VALU_DEP_3) | instskip(NEXT) | instid1(VALU_DEP_3)
	v_and_b32_e32 v0, 0x8000, v0
	v_and_b32_e32 v6, 0xfc00, v6
	s_delay_alu instid0(VALU_DEP_1)
	v_or3_b32 v160, v0, v6, v160
.LBB309_2843:                           ;   in Loop: Header=BB309_1567 Depth=1
	s_wait_alu 0xfffe
	s_or_b32 exec_lo, exec_lo, s15
.LBB309_2844:                           ;   in Loop: Header=BB309_1567 Depth=1
	s_wait_alu 0xfffe
	s_or_b32 exec_lo, exec_lo, s14
.LBB309_2845:                           ;   in Loop: Header=BB309_1567 Depth=1
	s_wait_alu 0xfffe
	s_or_b32 exec_lo, exec_lo, s13
	s_delay_alu instid0(SALU_CYCLE_1)
	s_mov_b32 s13, exec_lo
	v_cmpx_lt_u32_e32 0xffffff, v9
	s_cbranch_execz .LBB309_2853
; %bb.2846:                             ;   in Loop: Header=BB309_1567 Depth=1
	v_lshrrev_b32_e32 v0, 24, v9
	v_bfrev_b32_e32 v151, 1
	s_mov_b32 s14, exec_lo
	s_delay_alu instid0(VALU_DEP_2)
	v_cmpx_ne_u32_e32 0x80, v0
	s_cbranch_execz .LBB309_2852
; %bb.2847:                             ;   in Loop: Header=BB309_1567 Depth=1
	v_and_b32_e32 v162, 0x7f, v0
	v_mov_b32_e32 v151, 0x7c010000
	s_mov_b32 s15, exec_lo
	s_delay_alu instid0(VALU_DEP_2)
	v_cmpx_ne_u32_e32 0x7f, v162
	s_cbranch_execz .LBB309_2851
; %bb.2848:                             ;   in Loop: Header=BB309_1567 Depth=1
	v_and_b32_e32 v151, 7, v0
	v_lshrrev_b32_e32 v161, 3, v162
	s_mov_b32 s16, exec_lo
	v_cmpx_gt_u32_e32 8, v162
; %bb.2849:                             ;   in Loop: Header=BB309_1567 Depth=1
	s_delay_alu instid0(VALU_DEP_3) | instskip(NEXT) | instid1(VALU_DEP_1)
	v_clz_i32_u32_e32 v6, v151
	v_min_u32_e32 v6, 32, v6
	s_delay_alu instid0(VALU_DEP_1) | instskip(SKIP_1) | instid1(VALU_DEP_2)
	v_subrev_nc_u32_e32 v151, 28, v6
	v_sub_nc_u32_e32 v161, 29, v6
	v_lshlrev_b64_e32 v[162:163], v151, v[0:1]
	s_delay_alu instid0(VALU_DEP_1)
	v_and_b32_e32 v151, 7, v162
; %bb.2850:                             ;   in Loop: Header=BB309_1567 Depth=1
	s_wait_alu 0xfffe
	s_or_b32 exec_lo, exec_lo, s16
	v_lshlrev_b32_e32 v0, 8, v0
	v_lshl_add_u32 v6, v161, 10, 0x2000
	s_delay_alu instid0(VALU_DEP_1) | instskip(SKIP_1) | instid1(VALU_DEP_1)
	v_and_or_b32 v0, 0x8000, v0, v6
	v_lshlrev_b32_e32 v6, 23, v151
	v_lshl_or_b32 v151, v0, 16, v6
.LBB309_2851:                           ;   in Loop: Header=BB309_1567 Depth=1
	s_wait_alu 0xfffe
	s_or_b32 exec_lo, exec_lo, s15
.LBB309_2852:                           ;   in Loop: Header=BB309_1567 Depth=1
	s_wait_alu 0xfffe
	s_or_b32 exec_lo, exec_lo, s14
.LBB309_2853:                           ;   in Loop: Header=BB309_1567 Depth=1
	s_wait_alu 0xfffe
	s_or_b32 exec_lo, exec_lo, s13
	v_dual_mov_b32 v0, v10 :: v_dual_and_b32 v163, 0xff, v10
	v_dual_mov_b32 v161, 0 :: v_dual_mov_b32 v162, 0
	s_mov_b32 s13, exec_lo
	s_delay_alu instid0(VALU_DEP_2)
	v_cmpx_ne_u16_e64 0, v163
	s_cbranch_execz .LBB309_2861
; %bb.2854:                             ;   in Loop: Header=BB309_1567 Depth=1
	v_mov_b32_e32 v162, 0x8000
	s_mov_b32 s14, exec_lo
	v_cmpx_ne_u16_e64 0x80, v163
	s_cbranch_execz .LBB309_2860
; %bb.2855:                             ;   in Loop: Header=BB309_1567 Depth=1
	v_and_b32_e32 v164, 0x7f, v10
	v_mov_b32_e32 v162, 0x7c01
	s_mov_b32 s15, exec_lo
	s_delay_alu instid0(VALU_DEP_2)
	v_cmpx_ne_u32_e32 0x7f, v164
	s_cbranch_execz .LBB309_2859
; %bb.2856:                             ;   in Loop: Header=BB309_1567 Depth=1
	v_and_b32_e32 v162, 7, v10
	v_lshrrev_b32_e32 v163, 3, v164
	s_mov_b32 s16, exec_lo
	v_cmpx_gt_u32_e32 8, v164
; %bb.2857:                             ;   in Loop: Header=BB309_1567 Depth=1
	s_delay_alu instid0(VALU_DEP_3) | instskip(NEXT) | instid1(VALU_DEP_1)
	v_clz_i32_u32_e32 v6, v162
	v_min_u32_e32 v6, 32, v6
	s_delay_alu instid0(VALU_DEP_1) | instskip(NEXT) | instid1(VALU_DEP_1)
	v_subrev_nc_u32_e32 v162, 28, v6
	v_lshlrev_b64_e32 v[162:163], v162, v[0:1]
	v_sub_nc_u32_e32 v163, 29, v6
	s_delay_alu instid0(VALU_DEP_2)
	v_and_b32_e32 v162, 7, v162
; %bb.2858:                             ;   in Loop: Header=BB309_1567 Depth=1
	s_wait_alu 0xfffe
	s_or_b32 exec_lo, exec_lo, s16
	v_lshlrev_b32_e32 v6, 8, v10
	v_lshl_add_u32 v163, v163, 10, 0x2000
	v_lshlrev_b32_e32 v162, 7, v162
	s_delay_alu instid0(VALU_DEP_3) | instskip(NEXT) | instid1(VALU_DEP_3)
	v_and_b32_e32 v6, 0x8000, v6
	v_and_b32_e32 v163, 0xfc00, v163
	s_delay_alu instid0(VALU_DEP_1)
	v_or3_b32 v162, v6, v163, v162
.LBB309_2859:                           ;   in Loop: Header=BB309_1567 Depth=1
	s_wait_alu 0xfffe
	s_or_b32 exec_lo, exec_lo, s15
.LBB309_2860:                           ;   in Loop: Header=BB309_1567 Depth=1
	s_wait_alu 0xfffe
	s_or_b32 exec_lo, exec_lo, s14
.LBB309_2861:                           ;   in Loop: Header=BB309_1567 Depth=1
	s_wait_alu 0xfffe
	s_or_b32 exec_lo, exec_lo, s13
	v_lshrrev_b16 v0, 8, v0
	v_mov_b32_e32 v163, 0
	s_mov_b32 s13, exec_lo
	s_delay_alu instid0(VALU_DEP_2)
	v_cmpx_ne_u16_e32 0, v0
	s_cbranch_execz .LBB309_2869
; %bb.2862:                             ;   in Loop: Header=BB309_1567 Depth=1
	v_bfrev_b32_e32 v163, 1
	s_mov_b32 s14, exec_lo
	v_cmpx_ne_u16_e32 0x80, v0
	s_cbranch_execz .LBB309_2868
; %bb.2863:                             ;   in Loop: Header=BB309_1567 Depth=1
	v_and_b32_e32 v164, 0xffff, v0
	v_mov_b32_e32 v163, 0x7c010000
	s_mov_b32 s15, exec_lo
	s_delay_alu instid0(VALU_DEP_2) | instskip(NEXT) | instid1(VALU_DEP_1)
	v_and_b32_e32 v166, 0x7f, v164
	v_cmpx_ne_u32_e32 0x7f, v166
	s_cbranch_execz .LBB309_2867
; %bb.2864:                             ;   in Loop: Header=BB309_1567 Depth=1
	v_and_b32_e32 v163, 7, v164
	v_lshrrev_b32_e32 v165, 3, v166
	s_mov_b32 s16, exec_lo
	v_cmpx_gt_u32_e32 8, v166
; %bb.2865:                             ;   in Loop: Header=BB309_1567 Depth=1
	s_delay_alu instid0(VALU_DEP_3) | instskip(NEXT) | instid1(VALU_DEP_1)
	v_clz_i32_u32_e32 v6, v163
	v_min_u32_e32 v6, 32, v6
	s_delay_alu instid0(VALU_DEP_1) | instskip(SKIP_1) | instid1(VALU_DEP_2)
	v_subrev_nc_u32_e32 v163, 28, v6
	v_sub_nc_u32_e32 v165, 29, v6
	v_lshlrev_b64_e32 v[166:167], v163, v[0:1]
	s_delay_alu instid0(VALU_DEP_1)
	v_and_b32_e32 v163, 7, v166
; %bb.2866:                             ;   in Loop: Header=BB309_1567 Depth=1
	s_wait_alu 0xfffe
	s_or_b32 exec_lo, exec_lo, s16
	v_lshlrev_b32_e32 v0, 8, v164
	v_lshl_add_u32 v6, v165, 10, 0x2000
	s_delay_alu instid0(VALU_DEP_1) | instskip(SKIP_1) | instid1(VALU_DEP_1)
	v_and_or_b32 v0, 0x8000, v0, v6
	v_lshlrev_b32_e32 v6, 23, v163
	v_lshl_or_b32 v163, v0, 16, v6
.LBB309_2867:                           ;   in Loop: Header=BB309_1567 Depth=1
	s_wait_alu 0xfffe
	s_or_b32 exec_lo, exec_lo, s15
.LBB309_2868:                           ;   in Loop: Header=BB309_1567 Depth=1
	s_wait_alu 0xfffe
	s_or_b32 exec_lo, exec_lo, s14
.LBB309_2869:                           ;   in Loop: Header=BB309_1567 Depth=1
	s_wait_alu 0xfffe
	s_or_b32 exec_lo, exec_lo, s13
	v_lshrrev_b32_e32 v0, 16, v10
	s_mov_b32 s13, exec_lo
	s_delay_alu instid0(VALU_DEP_1) | instskip(NEXT) | instid1(VALU_DEP_1)
	v_and_b32_e32 v164, 0xff, v0
	v_cmpx_ne_u16_e64 0, v164
	s_cbranch_execz .LBB309_2877
; %bb.2870:                             ;   in Loop: Header=BB309_1567 Depth=1
	v_mov_b32_e32 v161, 0x8000
	s_mov_b32 s14, exec_lo
	v_cmpx_ne_u16_e64 0x80, v164
	s_cbranch_execz .LBB309_2876
; %bb.2871:                             ;   in Loop: Header=BB309_1567 Depth=1
	v_bfe_u32 v165, v10, 16, 7
	v_mov_b32_e32 v161, 0x7c01
	s_mov_b32 s15, exec_lo
	s_delay_alu instid0(VALU_DEP_2)
	v_cmpx_ne_u32_e32 0x7f, v165
	s_cbranch_execz .LBB309_2875
; %bb.2872:                             ;   in Loop: Header=BB309_1567 Depth=1
	v_and_b32_e32 v161, 7, v0
	v_lshrrev_b32_e32 v164, 3, v165
	s_mov_b32 s16, exec_lo
	v_cmpx_gt_u32_e32 8, v165
; %bb.2873:                             ;   in Loop: Header=BB309_1567 Depth=1
	s_delay_alu instid0(VALU_DEP_3) | instskip(NEXT) | instid1(VALU_DEP_1)
	v_clz_i32_u32_e32 v6, v161
	v_min_u32_e32 v6, 32, v6
	s_delay_alu instid0(VALU_DEP_1) | instskip(SKIP_1) | instid1(VALU_DEP_2)
	v_subrev_nc_u32_e32 v161, 28, v6
	v_sub_nc_u32_e32 v164, 29, v6
	v_lshlrev_b64_e32 v[165:166], v161, v[0:1]
	s_delay_alu instid0(VALU_DEP_1)
	v_and_b32_e32 v161, 7, v165
; %bb.2874:                             ;   in Loop: Header=BB309_1567 Depth=1
	s_wait_alu 0xfffe
	s_or_b32 exec_lo, exec_lo, s16
	v_lshlrev_b32_e32 v0, 8, v0
	v_lshl_add_u32 v6, v164, 10, 0x2000
	v_lshlrev_b32_e32 v161, 7, v161
	s_delay_alu instid0(VALU_DEP_3) | instskip(NEXT) | instid1(VALU_DEP_3)
	v_and_b32_e32 v0, 0x8000, v0
	v_and_b32_e32 v6, 0xfc00, v6
	s_delay_alu instid0(VALU_DEP_1)
	v_or3_b32 v161, v0, v6, v161
.LBB309_2875:                           ;   in Loop: Header=BB309_1567 Depth=1
	s_wait_alu 0xfffe
	s_or_b32 exec_lo, exec_lo, s15
.LBB309_2876:                           ;   in Loop: Header=BB309_1567 Depth=1
	s_wait_alu 0xfffe
	s_or_b32 exec_lo, exec_lo, s14
.LBB309_2877:                           ;   in Loop: Header=BB309_1567 Depth=1
	s_wait_alu 0xfffe
	s_or_b32 exec_lo, exec_lo, s13
	v_cmp_lt_u64_e64 s0, s[8:9], v[9:10]
	v_mov_b32_e32 v9, 0
	s_and_saveexec_b32 s13, s0
	s_cbranch_execz .LBB309_2885
; %bb.2878:                             ;   in Loop: Header=BB309_1567 Depth=1
	v_lshrrev_b32_e32 v0, 24, v10
	v_bfrev_b32_e32 v9, 1
	s_mov_b32 s14, exec_lo
	s_delay_alu instid0(VALU_DEP_2)
	v_cmpx_ne_u32_e32 0x80, v0
	s_cbranch_execz .LBB309_2884
; %bb.2879:                             ;   in Loop: Header=BB309_1567 Depth=1
	v_and_b32_e32 v164, 0x7f, v0
	v_mov_b32_e32 v9, 0x7c010000
	s_mov_b32 s15, exec_lo
	s_delay_alu instid0(VALU_DEP_2)
	v_cmpx_ne_u32_e32 0x7f, v164
	s_cbranch_execz .LBB309_2883
; %bb.2880:                             ;   in Loop: Header=BB309_1567 Depth=1
	v_and_b32_e32 v9, 7, v0
	v_lshrrev_b32_e32 v10, 3, v164
	s_mov_b32 s16, exec_lo
	v_cmpx_gt_u32_e32 8, v164
; %bb.2881:                             ;   in Loop: Header=BB309_1567 Depth=1
	s_delay_alu instid0(VALU_DEP_3) | instskip(NEXT) | instid1(VALU_DEP_1)
	v_clz_i32_u32_e32 v6, v9
	v_min_u32_e32 v6, 32, v6
	s_delay_alu instid0(VALU_DEP_1) | instskip(NEXT) | instid1(VALU_DEP_1)
	v_subrev_nc_u32_e32 v9, 28, v6
	v_lshlrev_b64_e32 v[9:10], v9, v[0:1]
	v_sub_nc_u32_e32 v10, 29, v6
	s_delay_alu instid0(VALU_DEP_2)
	v_and_b32_e32 v9, 7, v9
; %bb.2882:                             ;   in Loop: Header=BB309_1567 Depth=1
	s_wait_alu 0xfffe
	s_or_b32 exec_lo, exec_lo, s16
	v_lshlrev_b32_e32 v0, 8, v0
	v_lshl_add_u32 v6, v10, 10, 0x2000
	s_delay_alu instid0(VALU_DEP_1) | instskip(SKIP_1) | instid1(VALU_DEP_1)
	v_and_or_b32 v0, 0x8000, v0, v6
	v_lshlrev_b32_e32 v6, 23, v9
	v_lshl_or_b32 v9, v0, 16, v6
.LBB309_2883:                           ;   in Loop: Header=BB309_1567 Depth=1
	s_wait_alu 0xfffe
	s_or_b32 exec_lo, exec_lo, s15
.LBB309_2884:                           ;   in Loop: Header=BB309_1567 Depth=1
	s_wait_alu 0xfffe
	s_or_b32 exec_lo, exec_lo, s14
.LBB309_2885:                           ;   in Loop: Header=BB309_1567 Depth=1
	s_wait_alu 0xfffe
	s_or_b32 exec_lo, exec_lo, s13
	v_or_b32_e32 v0, v151, v160
	s_wait_loadcnt_dscnt 0x0
	v_fma_mixlo_f16 v6, v148, v151, 0 op_sel:[0,1,0] op_sel_hi:[0,1,0]
	v_or_b32_e32 v10, v149, v150
	v_fma_mixlo_f16 v149, v148, v149, 0 op_sel:[0,1,0] op_sel_hi:[0,1,0]
	v_or_b32_e32 v151, v163, v162
	v_or_b32_e32 v161, v9, v161
	v_fma_mixlo_f16 v160, v148, v0, 0 op_sel_hi:[0,1,0]
	v_lshlrev_b32_e32 v0, 16, v6
	v_lshlrev_b32_e32 v150, 16, v149
	v_fma_mixlo_f16 v6, v148, v10, 0 op_sel_hi:[0,1,0]
	v_fma_mixlo_f16 v149, v148, v163, 0 op_sel:[0,1,0] op_sel_hi:[0,1,0]
	v_fma_mixlo_f16 v151, v148, v151, 0 op_sel_hi:[0,1,0]
	v_fma_mixlo_f16 v9, v148, v9, 0 op_sel:[0,1,0] op_sel_hi:[0,1,0]
	v_fma_mixlo_f16 v161, v148, v161, 0 op_sel_hi:[0,1,0]
	v_and_b32_e32 v10, 0xffff, v160
	v_and_b32_e32 v164, 0xffff, v6
	v_lshlrev_b32_e32 v148, 16, v149
	v_and_b32_e32 v160, 0xffff, v151
	v_lshlrev_b32_e32 v9, 16, v9
	v_and_b32_e32 v149, 0xffff, v161
	v_or_b32_e32 v151, v0, v10
	v_or_b32_e32 v163, v150, v164
	;; [unrolled: 1-line block ×3, first 2 shown]
	s_delay_alu instid0(VALU_DEP_4)
	v_or_b32_e32 v161, v9, v149
	s_and_saveexec_b32 s13, vcc_lo
	s_cbranch_execz .LBB309_2887
; %bb.2886:                             ;   in Loop: Header=BB309_1567 Depth=1
	v_cmp_lt_i32_e64 s0, v17, v33
	s_wait_alu 0xf1ff
	s_delay_alu instid0(VALU_DEP_1) | instskip(SKIP_2) | instid1(VALU_DEP_1)
	v_cndmask_b32_e64 v6, 0, v164, s0
	v_cmp_lt_i32_e64 s0, v86, v33
	s_wait_alu 0xf1ff
	v_cndmask_b32_e64 v150, 0, v150, s0
	v_cmp_lt_i32_e64 s0, v85, v33
	s_delay_alu instid0(VALU_DEP_2) | instskip(SKIP_1) | instid1(VALU_DEP_2)
	v_or_b32_e32 v163, v6, v150
	s_wait_alu 0xf1ff
	v_cndmask_b32_e64 v10, 0, v10, s0
	v_cmp_lt_i32_e64 s0, v84, v33
	s_wait_alu 0xf1ff
	s_delay_alu instid0(VALU_DEP_1) | instskip(SKIP_1) | instid1(VALU_DEP_2)
	v_cndmask_b32_e64 v0, 0, v0, s0
	v_cmp_lt_i32_e64 s0, v83, v33
	v_or_b32_e32 v151, v10, v0
	s_wait_alu 0xf1ff
	s_delay_alu instid0(VALU_DEP_2) | instskip(SKIP_2) | instid1(VALU_DEP_1)
	v_cndmask_b32_e64 v160, 0, v160, s0
	v_cmp_lt_i32_e64 s0, v82, v33
	s_wait_alu 0xf1ff
	v_cndmask_b32_e64 v148, 0, v148, s0
	v_cmp_lt_i32_e64 s0, v81, v33
	s_delay_alu instid0(VALU_DEP_2) | instskip(SKIP_1) | instid1(VALU_DEP_2)
	v_or_b32_e32 v162, v160, v148
	s_wait_alu 0xf1ff
	v_cndmask_b32_e64 v149, 0, v149, s0
	v_cmp_lt_i32_e64 s0, v80, v33
	s_wait_alu 0xf1ff
	s_delay_alu instid0(VALU_DEP_1) | instskip(NEXT) | instid1(VALU_DEP_1)
	v_cndmask_b32_e64 v9, 0, v9, s0
	v_or_b32_e32 v161, v149, v9
.LBB309_2887:                           ;   in Loop: Header=BB309_1567 Depth=1
	s_wait_alu 0xfffe
	s_or_b32 exec_lo, exec_lo, s13
	;;#ASMSTART
	v_pk_mul_f16 v0, v69, v163;

	;;#ASMEND
	;;#ASMSTART
	v_pk_mul_f16 v6, v37, v151;

	;;#ASMEND
	;; [unrolled: 4-line block ×4, first 2 shown]
	;;#ASMSTART
	v_pk_add_f16 v0, v0, v6;

	;;#ASMEND
	;;#ASMSTART
	v_pk_add_f16 v0, v0, v9;

	;;#ASMEND
	;; [unrolled: 4-line block ×3, first 2 shown]
	v_dual_mov_b32 v151, 0 :: v_dual_and_b32 v6, 0xffff, v0
	v_lshrrev_b32_e32 v0, 16, v0
	;;#ASMSTART
	v_cvt_f32_f16 v148, v6;
	;;#ASMEND
	;;#ASMSTART
	v_cvt_f32_f16 v149, v0;
	;;#ASMEND
	flat_load_b64 v[9:10], v[7:8] offset:5120
	flat_load_b32 v150, v[26:27]
	v_mov_b32_e32 v160, 0
	s_mov_b32 s13, exec_lo
	s_wait_loadcnt_dscnt 0x101
	v_and_b32_e32 v0, 0xff, v9
	s_delay_alu instid0(VALU_DEP_1)
	v_cmpx_ne_u16_e32 0, v0
	s_cbranch_execz .LBB309_2895
; %bb.2888:                             ;   in Loop: Header=BB309_1567 Depth=1
	v_mov_b32_e32 v160, 0x8000
	s_mov_b32 s14, exec_lo
	v_cmpx_ne_u16_e32 0x80, v0
	s_cbranch_execz .LBB309_2894
; %bb.2889:                             ;   in Loop: Header=BB309_1567 Depth=1
	v_and_b32_e32 v161, 0x7f, v9
	v_mov_b32_e32 v160, 0x7c01
	s_mov_b32 s15, exec_lo
	s_delay_alu instid0(VALU_DEP_2)
	v_cmpx_ne_u32_e32 0x7f, v161
	s_cbranch_execz .LBB309_2893
; %bb.2890:                             ;   in Loop: Header=BB309_1567 Depth=1
	v_and_b32_e32 v0, 7, v9
	v_lshrrev_b32_e32 v160, 3, v161
	s_mov_b32 s16, exec_lo
	v_cmpx_gt_u32_e32 8, v161
; %bb.2891:                             ;   in Loop: Header=BB309_1567 Depth=1
	s_delay_alu instid0(VALU_DEP_3) | instskip(NEXT) | instid1(VALU_DEP_1)
	v_clz_i32_u32_e32 v0, v0
	v_min_u32_e32 v0, 32, v0
	s_delay_alu instid0(VALU_DEP_1) | instskip(SKIP_1) | instid1(VALU_DEP_2)
	v_subrev_nc_u32_e32 v6, 28, v0
	v_sub_nc_u32_e32 v160, 29, v0
	v_lshlrev_b64_e32 v[161:162], v6, v[9:10]
	s_delay_alu instid0(VALU_DEP_1)
	v_and_b32_e32 v0, 7, v161
; %bb.2892:                             ;   in Loop: Header=BB309_1567 Depth=1
	s_wait_alu 0xfffe
	s_or_b32 exec_lo, exec_lo, s16
	v_lshlrev_b32_e32 v6, 8, v9
	v_lshl_add_u32 v160, v160, 10, 0x2000
	v_lshlrev_b32_e32 v0, 7, v0
	s_delay_alu instid0(VALU_DEP_3) | instskip(NEXT) | instid1(VALU_DEP_3)
	v_and_b32_e32 v6, 0x8000, v6
	v_and_b32_e32 v160, 0xfc00, v160
	s_delay_alu instid0(VALU_DEP_1)
	v_or3_b32 v160, v6, v160, v0
.LBB309_2893:                           ;   in Loop: Header=BB309_1567 Depth=1
	s_wait_alu 0xfffe
	s_or_b32 exec_lo, exec_lo, s15
.LBB309_2894:                           ;   in Loop: Header=BB309_1567 Depth=1
	s_wait_alu 0xfffe
	s_or_b32 exec_lo, exec_lo, s14
.LBB309_2895:                           ;   in Loop: Header=BB309_1567 Depth=1
	s_wait_alu 0xfffe
	s_or_b32 exec_lo, exec_lo, s13
	v_lshrrev_b16 v0, 8, v9
	s_mov_b32 s13, exec_lo
	s_delay_alu instid0(VALU_DEP_1)
	v_cmpx_ne_u16_e32 0, v0
	s_cbranch_execz .LBB309_2903
; %bb.2896:                             ;   in Loop: Header=BB309_1567 Depth=1
	v_bfrev_b32_e32 v151, 1
	s_mov_b32 s14, exec_lo
	v_cmpx_ne_u16_e32 0x80, v0
	s_cbranch_execz .LBB309_2902
; %bb.2897:                             ;   in Loop: Header=BB309_1567 Depth=1
	v_and_b32_e32 v161, 0xffff, v0
	v_mov_b32_e32 v151, 0x7c010000
	s_mov_b32 s15, exec_lo
	s_delay_alu instid0(VALU_DEP_2) | instskip(NEXT) | instid1(VALU_DEP_1)
	v_and_b32_e32 v163, 0x7f, v161
	v_cmpx_ne_u32_e32 0x7f, v163
	s_cbranch_execz .LBB309_2901
; %bb.2898:                             ;   in Loop: Header=BB309_1567 Depth=1
	v_and_b32_e32 v151, 7, v161
	v_lshrrev_b32_e32 v162, 3, v163
	s_mov_b32 s16, exec_lo
	v_cmpx_gt_u32_e32 8, v163
; %bb.2899:                             ;   in Loop: Header=BB309_1567 Depth=1
	s_delay_alu instid0(VALU_DEP_3) | instskip(NEXT) | instid1(VALU_DEP_1)
	v_clz_i32_u32_e32 v6, v151
	v_min_u32_e32 v6, 32, v6
	s_delay_alu instid0(VALU_DEP_1) | instskip(SKIP_1) | instid1(VALU_DEP_2)
	v_subrev_nc_u32_e32 v151, 28, v6
	v_sub_nc_u32_e32 v162, 29, v6
	v_lshlrev_b64_e32 v[163:164], v151, v[0:1]
	s_delay_alu instid0(VALU_DEP_1)
	v_and_b32_e32 v151, 7, v163
; %bb.2900:                             ;   in Loop: Header=BB309_1567 Depth=1
	s_wait_alu 0xfffe
	s_or_b32 exec_lo, exec_lo, s16
	v_lshlrev_b32_e32 v0, 8, v161
	v_lshl_add_u32 v6, v162, 10, 0x2000
	s_delay_alu instid0(VALU_DEP_1) | instskip(SKIP_1) | instid1(VALU_DEP_1)
	v_and_or_b32 v0, 0x8000, v0, v6
	v_lshlrev_b32_e32 v6, 23, v151
	v_lshl_or_b32 v151, v0, 16, v6
.LBB309_2901:                           ;   in Loop: Header=BB309_1567 Depth=1
	s_wait_alu 0xfffe
	s_or_b32 exec_lo, exec_lo, s15
.LBB309_2902:                           ;   in Loop: Header=BB309_1567 Depth=1
	s_wait_alu 0xfffe
	s_or_b32 exec_lo, exec_lo, s14
.LBB309_2903:                           ;   in Loop: Header=BB309_1567 Depth=1
	s_wait_alu 0xfffe
	s_or_b32 exec_lo, exec_lo, s13
	v_lshrrev_b32_e32 v0, 16, v9
	v_mov_b32_e32 v161, 0
	s_mov_b32 s13, exec_lo
	s_delay_alu instid0(VALU_DEP_2) | instskip(NEXT) | instid1(VALU_DEP_1)
	v_dual_mov_b32 v162, 0 :: v_dual_and_b32 v163, 0xff, v0
	v_cmpx_ne_u16_e64 0, v163
	s_cbranch_execz .LBB309_2911
; %bb.2904:                             ;   in Loop: Header=BB309_1567 Depth=1
	v_mov_b32_e32 v162, 0x8000
	s_mov_b32 s14, exec_lo
	v_cmpx_ne_u16_e64 0x80, v163
	s_cbranch_execz .LBB309_2910
; %bb.2905:                             ;   in Loop: Header=BB309_1567 Depth=1
	v_bfe_u32 v164, v9, 16, 7
	v_mov_b32_e32 v162, 0x7c01
	s_mov_b32 s15, exec_lo
	s_delay_alu instid0(VALU_DEP_2)
	v_cmpx_ne_u32_e32 0x7f, v164
	s_cbranch_execz .LBB309_2909
; %bb.2906:                             ;   in Loop: Header=BB309_1567 Depth=1
	v_and_b32_e32 v162, 7, v0
	v_lshrrev_b32_e32 v163, 3, v164
	s_mov_b32 s16, exec_lo
	v_cmpx_gt_u32_e32 8, v164
; %bb.2907:                             ;   in Loop: Header=BB309_1567 Depth=1
	s_delay_alu instid0(VALU_DEP_3) | instskip(NEXT) | instid1(VALU_DEP_1)
	v_clz_i32_u32_e32 v6, v162
	v_min_u32_e32 v6, 32, v6
	s_delay_alu instid0(VALU_DEP_1) | instskip(NEXT) | instid1(VALU_DEP_1)
	v_subrev_nc_u32_e32 v162, 28, v6
	v_lshlrev_b64_e32 v[162:163], v162, v[0:1]
	v_sub_nc_u32_e32 v163, 29, v6
	s_delay_alu instid0(VALU_DEP_2)
	v_and_b32_e32 v162, 7, v162
; %bb.2908:                             ;   in Loop: Header=BB309_1567 Depth=1
	s_wait_alu 0xfffe
	s_or_b32 exec_lo, exec_lo, s16
	v_lshlrev_b32_e32 v0, 8, v0
	v_lshl_add_u32 v6, v163, 10, 0x2000
	v_lshlrev_b32_e32 v162, 7, v162
	s_delay_alu instid0(VALU_DEP_3) | instskip(NEXT) | instid1(VALU_DEP_3)
	v_and_b32_e32 v0, 0x8000, v0
	v_and_b32_e32 v6, 0xfc00, v6
	s_delay_alu instid0(VALU_DEP_1)
	v_or3_b32 v162, v0, v6, v162
.LBB309_2909:                           ;   in Loop: Header=BB309_1567 Depth=1
	s_wait_alu 0xfffe
	s_or_b32 exec_lo, exec_lo, s15
.LBB309_2910:                           ;   in Loop: Header=BB309_1567 Depth=1
	s_wait_alu 0xfffe
	s_or_b32 exec_lo, exec_lo, s14
.LBB309_2911:                           ;   in Loop: Header=BB309_1567 Depth=1
	s_wait_alu 0xfffe
	s_or_b32 exec_lo, exec_lo, s13
	s_delay_alu instid0(SALU_CYCLE_1)
	s_mov_b32 s13, exec_lo
	v_cmpx_lt_u32_e32 0xffffff, v9
	s_cbranch_execz .LBB309_2919
; %bb.2912:                             ;   in Loop: Header=BB309_1567 Depth=1
	v_lshrrev_b32_e32 v0, 24, v9
	v_bfrev_b32_e32 v161, 1
	s_mov_b32 s14, exec_lo
	s_delay_alu instid0(VALU_DEP_2)
	v_cmpx_ne_u32_e32 0x80, v0
	s_cbranch_execz .LBB309_2918
; %bb.2913:                             ;   in Loop: Header=BB309_1567 Depth=1
	v_and_b32_e32 v164, 0x7f, v0
	v_mov_b32_e32 v161, 0x7c010000
	s_mov_b32 s15, exec_lo
	s_delay_alu instid0(VALU_DEP_2)
	v_cmpx_ne_u32_e32 0x7f, v164
	s_cbranch_execz .LBB309_2917
; %bb.2914:                             ;   in Loop: Header=BB309_1567 Depth=1
	v_and_b32_e32 v161, 7, v0
	v_lshrrev_b32_e32 v163, 3, v164
	s_mov_b32 s16, exec_lo
	v_cmpx_gt_u32_e32 8, v164
; %bb.2915:                             ;   in Loop: Header=BB309_1567 Depth=1
	s_delay_alu instid0(VALU_DEP_3) | instskip(NEXT) | instid1(VALU_DEP_1)
	v_clz_i32_u32_e32 v6, v161
	v_min_u32_e32 v6, 32, v6
	s_delay_alu instid0(VALU_DEP_1) | instskip(SKIP_1) | instid1(VALU_DEP_2)
	v_subrev_nc_u32_e32 v161, 28, v6
	v_sub_nc_u32_e32 v163, 29, v6
	v_lshlrev_b64_e32 v[164:165], v161, v[0:1]
	s_delay_alu instid0(VALU_DEP_1)
	v_and_b32_e32 v161, 7, v164
; %bb.2916:                             ;   in Loop: Header=BB309_1567 Depth=1
	s_wait_alu 0xfffe
	s_or_b32 exec_lo, exec_lo, s16
	v_lshlrev_b32_e32 v0, 8, v0
	v_lshl_add_u32 v6, v163, 10, 0x2000
	s_delay_alu instid0(VALU_DEP_1) | instskip(SKIP_1) | instid1(VALU_DEP_1)
	v_and_or_b32 v0, 0x8000, v0, v6
	v_lshlrev_b32_e32 v6, 23, v161
	v_lshl_or_b32 v161, v0, 16, v6
.LBB309_2917:                           ;   in Loop: Header=BB309_1567 Depth=1
	s_wait_alu 0xfffe
	s_or_b32 exec_lo, exec_lo, s15
.LBB309_2918:                           ;   in Loop: Header=BB309_1567 Depth=1
	s_wait_alu 0xfffe
	s_or_b32 exec_lo, exec_lo, s14
.LBB309_2919:                           ;   in Loop: Header=BB309_1567 Depth=1
	s_wait_alu 0xfffe
	s_or_b32 exec_lo, exec_lo, s13
	v_dual_mov_b32 v0, v10 :: v_dual_and_b32 v165, 0xff, v10
	v_dual_mov_b32 v163, 0 :: v_dual_mov_b32 v164, 0
	s_mov_b32 s13, exec_lo
	s_delay_alu instid0(VALU_DEP_2)
	v_cmpx_ne_u16_e64 0, v165
	s_cbranch_execz .LBB309_2927
; %bb.2920:                             ;   in Loop: Header=BB309_1567 Depth=1
	v_mov_b32_e32 v164, 0x8000
	s_mov_b32 s14, exec_lo
	v_cmpx_ne_u16_e64 0x80, v165
	s_cbranch_execz .LBB309_2926
; %bb.2921:                             ;   in Loop: Header=BB309_1567 Depth=1
	v_and_b32_e32 v166, 0x7f, v10
	v_mov_b32_e32 v164, 0x7c01
	s_mov_b32 s15, exec_lo
	s_delay_alu instid0(VALU_DEP_2)
	v_cmpx_ne_u32_e32 0x7f, v166
	s_cbranch_execz .LBB309_2925
; %bb.2922:                             ;   in Loop: Header=BB309_1567 Depth=1
	v_and_b32_e32 v164, 7, v10
	v_lshrrev_b32_e32 v165, 3, v166
	s_mov_b32 s16, exec_lo
	v_cmpx_gt_u32_e32 8, v166
; %bb.2923:                             ;   in Loop: Header=BB309_1567 Depth=1
	s_delay_alu instid0(VALU_DEP_3) | instskip(NEXT) | instid1(VALU_DEP_1)
	v_clz_i32_u32_e32 v6, v164
	v_min_u32_e32 v6, 32, v6
	s_delay_alu instid0(VALU_DEP_1) | instskip(NEXT) | instid1(VALU_DEP_1)
	v_subrev_nc_u32_e32 v164, 28, v6
	v_lshlrev_b64_e32 v[164:165], v164, v[0:1]
	v_sub_nc_u32_e32 v165, 29, v6
	s_delay_alu instid0(VALU_DEP_2)
	v_and_b32_e32 v164, 7, v164
; %bb.2924:                             ;   in Loop: Header=BB309_1567 Depth=1
	s_wait_alu 0xfffe
	s_or_b32 exec_lo, exec_lo, s16
	v_lshlrev_b32_e32 v6, 8, v10
	v_lshl_add_u32 v165, v165, 10, 0x2000
	v_lshlrev_b32_e32 v164, 7, v164
	s_delay_alu instid0(VALU_DEP_3) | instskip(NEXT) | instid1(VALU_DEP_3)
	v_and_b32_e32 v6, 0x8000, v6
	v_and_b32_e32 v165, 0xfc00, v165
	s_delay_alu instid0(VALU_DEP_1)
	v_or3_b32 v164, v6, v165, v164
.LBB309_2925:                           ;   in Loop: Header=BB309_1567 Depth=1
	s_wait_alu 0xfffe
	s_or_b32 exec_lo, exec_lo, s15
.LBB309_2926:                           ;   in Loop: Header=BB309_1567 Depth=1
	s_wait_alu 0xfffe
	s_or_b32 exec_lo, exec_lo, s14
.LBB309_2927:                           ;   in Loop: Header=BB309_1567 Depth=1
	s_wait_alu 0xfffe
	s_or_b32 exec_lo, exec_lo, s13
	v_lshrrev_b16 v0, 8, v0
	v_mov_b32_e32 v165, 0
	s_mov_b32 s13, exec_lo
	s_delay_alu instid0(VALU_DEP_2)
	v_cmpx_ne_u16_e32 0, v0
	s_cbranch_execz .LBB309_2935
; %bb.2928:                             ;   in Loop: Header=BB309_1567 Depth=1
	v_bfrev_b32_e32 v165, 1
	s_mov_b32 s14, exec_lo
	v_cmpx_ne_u16_e32 0x80, v0
	s_cbranch_execz .LBB309_2934
; %bb.2929:                             ;   in Loop: Header=BB309_1567 Depth=1
	v_and_b32_e32 v166, 0xffff, v0
	v_mov_b32_e32 v165, 0x7c010000
	s_mov_b32 s15, exec_lo
	s_delay_alu instid0(VALU_DEP_2) | instskip(NEXT) | instid1(VALU_DEP_1)
	v_and_b32_e32 v176, 0x7f, v166
	v_cmpx_ne_u32_e32 0x7f, v176
	s_cbranch_execz .LBB309_2933
; %bb.2930:                             ;   in Loop: Header=BB309_1567 Depth=1
	v_and_b32_e32 v165, 7, v166
	v_lshrrev_b32_e32 v167, 3, v176
	s_mov_b32 s16, exec_lo
	v_cmpx_gt_u32_e32 8, v176
; %bb.2931:                             ;   in Loop: Header=BB309_1567 Depth=1
	s_delay_alu instid0(VALU_DEP_3) | instskip(NEXT) | instid1(VALU_DEP_1)
	v_clz_i32_u32_e32 v6, v165
	v_min_u32_e32 v6, 32, v6
	s_delay_alu instid0(VALU_DEP_1) | instskip(SKIP_1) | instid1(VALU_DEP_2)
	v_subrev_nc_u32_e32 v165, 28, v6
	v_sub_nc_u32_e32 v167, 29, v6
	v_lshlrev_b64_e32 v[176:177], v165, v[0:1]
	s_delay_alu instid0(VALU_DEP_1)
	v_and_b32_e32 v165, 7, v176
; %bb.2932:                             ;   in Loop: Header=BB309_1567 Depth=1
	s_wait_alu 0xfffe
	s_or_b32 exec_lo, exec_lo, s16
	v_lshlrev_b32_e32 v0, 8, v166
	v_lshl_add_u32 v6, v167, 10, 0x2000
	s_delay_alu instid0(VALU_DEP_1) | instskip(SKIP_1) | instid1(VALU_DEP_1)
	v_and_or_b32 v0, 0x8000, v0, v6
	v_lshlrev_b32_e32 v6, 23, v165
	v_lshl_or_b32 v165, v0, 16, v6
.LBB309_2933:                           ;   in Loop: Header=BB309_1567 Depth=1
	s_wait_alu 0xfffe
	s_or_b32 exec_lo, exec_lo, s15
.LBB309_2934:                           ;   in Loop: Header=BB309_1567 Depth=1
	s_wait_alu 0xfffe
	s_or_b32 exec_lo, exec_lo, s14
.LBB309_2935:                           ;   in Loop: Header=BB309_1567 Depth=1
	s_wait_alu 0xfffe
	s_or_b32 exec_lo, exec_lo, s13
	v_lshrrev_b32_e32 v0, 16, v10
	s_mov_b32 s13, exec_lo
	s_delay_alu instid0(VALU_DEP_1) | instskip(NEXT) | instid1(VALU_DEP_1)
	v_and_b32_e32 v166, 0xff, v0
	v_cmpx_ne_u16_e64 0, v166
	s_cbranch_execz .LBB309_2943
; %bb.2936:                             ;   in Loop: Header=BB309_1567 Depth=1
	v_mov_b32_e32 v163, 0x8000
	s_mov_b32 s14, exec_lo
	v_cmpx_ne_u16_e64 0x80, v166
	s_cbranch_execz .LBB309_2942
; %bb.2937:                             ;   in Loop: Header=BB309_1567 Depth=1
	v_bfe_u32 v167, v10, 16, 7
	v_mov_b32_e32 v163, 0x7c01
	s_mov_b32 s15, exec_lo
	s_delay_alu instid0(VALU_DEP_2)
	v_cmpx_ne_u32_e32 0x7f, v167
	s_cbranch_execz .LBB309_2941
; %bb.2938:                             ;   in Loop: Header=BB309_1567 Depth=1
	v_and_b32_e32 v163, 7, v0
	v_lshrrev_b32_e32 v166, 3, v167
	s_mov_b32 s16, exec_lo
	v_cmpx_gt_u32_e32 8, v167
; %bb.2939:                             ;   in Loop: Header=BB309_1567 Depth=1
	s_delay_alu instid0(VALU_DEP_3) | instskip(NEXT) | instid1(VALU_DEP_1)
	v_clz_i32_u32_e32 v6, v163
	v_min_u32_e32 v6, 32, v6
	s_delay_alu instid0(VALU_DEP_1) | instskip(SKIP_1) | instid1(VALU_DEP_2)
	v_subrev_nc_u32_e32 v163, 28, v6
	v_sub_nc_u32_e32 v166, 29, v6
	v_lshlrev_b64_e32 v[176:177], v163, v[0:1]
	s_delay_alu instid0(VALU_DEP_1)
	v_and_b32_e32 v163, 7, v176
; %bb.2940:                             ;   in Loop: Header=BB309_1567 Depth=1
	s_wait_alu 0xfffe
	s_or_b32 exec_lo, exec_lo, s16
	v_lshlrev_b32_e32 v0, 8, v0
	v_lshl_add_u32 v6, v166, 10, 0x2000
	v_lshlrev_b32_e32 v163, 7, v163
	s_delay_alu instid0(VALU_DEP_3) | instskip(NEXT) | instid1(VALU_DEP_3)
	v_and_b32_e32 v0, 0x8000, v0
	v_and_b32_e32 v6, 0xfc00, v6
	s_delay_alu instid0(VALU_DEP_1)
	v_or3_b32 v163, v0, v6, v163
.LBB309_2941:                           ;   in Loop: Header=BB309_1567 Depth=1
	s_wait_alu 0xfffe
	s_or_b32 exec_lo, exec_lo, s15
.LBB309_2942:                           ;   in Loop: Header=BB309_1567 Depth=1
	s_wait_alu 0xfffe
	s_or_b32 exec_lo, exec_lo, s14
.LBB309_2943:                           ;   in Loop: Header=BB309_1567 Depth=1
	s_wait_alu 0xfffe
	s_or_b32 exec_lo, exec_lo, s13
	v_cmp_lt_u64_e64 s0, s[8:9], v[9:10]
	v_mov_b32_e32 v9, 0
	s_and_saveexec_b32 s13, s0
	s_cbranch_execz .LBB309_2951
; %bb.2944:                             ;   in Loop: Header=BB309_1567 Depth=1
	v_lshrrev_b32_e32 v0, 24, v10
	v_bfrev_b32_e32 v9, 1
	s_mov_b32 s14, exec_lo
	s_delay_alu instid0(VALU_DEP_2)
	v_cmpx_ne_u32_e32 0x80, v0
	s_cbranch_execz .LBB309_2950
; %bb.2945:                             ;   in Loop: Header=BB309_1567 Depth=1
	v_and_b32_e32 v166, 0x7f, v0
	v_mov_b32_e32 v9, 0x7c010000
	s_mov_b32 s15, exec_lo
	s_delay_alu instid0(VALU_DEP_2)
	v_cmpx_ne_u32_e32 0x7f, v166
	s_cbranch_execz .LBB309_2949
; %bb.2946:                             ;   in Loop: Header=BB309_1567 Depth=1
	v_and_b32_e32 v9, 7, v0
	v_lshrrev_b32_e32 v10, 3, v166
	s_mov_b32 s16, exec_lo
	v_cmpx_gt_u32_e32 8, v166
; %bb.2947:                             ;   in Loop: Header=BB309_1567 Depth=1
	s_delay_alu instid0(VALU_DEP_3) | instskip(NEXT) | instid1(VALU_DEP_1)
	v_clz_i32_u32_e32 v6, v9
	v_min_u32_e32 v6, 32, v6
	s_delay_alu instid0(VALU_DEP_1) | instskip(NEXT) | instid1(VALU_DEP_1)
	v_subrev_nc_u32_e32 v9, 28, v6
	v_lshlrev_b64_e32 v[9:10], v9, v[0:1]
	v_sub_nc_u32_e32 v10, 29, v6
	s_delay_alu instid0(VALU_DEP_2)
	v_and_b32_e32 v9, 7, v9
; %bb.2948:                             ;   in Loop: Header=BB309_1567 Depth=1
	s_wait_alu 0xfffe
	s_or_b32 exec_lo, exec_lo, s16
	v_lshlrev_b32_e32 v0, 8, v0
	v_lshl_add_u32 v6, v10, 10, 0x2000
	s_delay_alu instid0(VALU_DEP_1) | instskip(SKIP_1) | instid1(VALU_DEP_1)
	v_and_or_b32 v0, 0x8000, v0, v6
	v_lshlrev_b32_e32 v6, 23, v9
	v_lshl_or_b32 v9, v0, 16, v6
.LBB309_2949:                           ;   in Loop: Header=BB309_1567 Depth=1
	s_wait_alu 0xfffe
	s_or_b32 exec_lo, exec_lo, s15
.LBB309_2950:                           ;   in Loop: Header=BB309_1567 Depth=1
	s_wait_alu 0xfffe
	s_or_b32 exec_lo, exec_lo, s14
.LBB309_2951:                           ;   in Loop: Header=BB309_1567 Depth=1
	s_wait_alu 0xfffe
	s_or_b32 exec_lo, exec_lo, s13
	v_or_b32_e32 v0, v161, v162
	s_wait_loadcnt_dscnt 0x0
	v_fma_mixlo_f16 v6, v150, v161, 0 op_sel:[0,1,0] op_sel_hi:[0,1,0]
	v_or_b32_e32 v10, v151, v160
	v_fma_mixlo_f16 v151, v150, v151, 0 op_sel:[0,1,0] op_sel_hi:[0,1,0]
	v_or_b32_e32 v161, v165, v164
	v_or_b32_e32 v163, v9, v163
	v_fma_mixlo_f16 v162, v150, v0, 0 op_sel_hi:[0,1,0]
	v_lshlrev_b32_e32 v0, 16, v6
	v_lshlrev_b32_e32 v160, 16, v151
	v_fma_mixlo_f16 v6, v150, v10, 0 op_sel_hi:[0,1,0]
	v_fma_mixlo_f16 v151, v150, v165, 0 op_sel:[0,1,0] op_sel_hi:[0,1,0]
	v_fma_mixlo_f16 v161, v150, v161, 0 op_sel_hi:[0,1,0]
	v_fma_mixlo_f16 v9, v150, v9, 0 op_sel:[0,1,0] op_sel_hi:[0,1,0]
	v_fma_mixlo_f16 v163, v150, v163, 0 op_sel_hi:[0,1,0]
	v_and_b32_e32 v10, 0xffff, v162
	v_and_b32_e32 v166, 0xffff, v6
	v_lshlrev_b32_e32 v150, 16, v151
	v_and_b32_e32 v162, 0xffff, v161
	v_lshlrev_b32_e32 v9, 16, v9
	v_and_b32_e32 v151, 0xffff, v163
	v_or_b32_e32 v161, v0, v10
	v_or_b32_e32 v165, v160, v166
	;; [unrolled: 1-line block ×3, first 2 shown]
	s_delay_alu instid0(VALU_DEP_4)
	v_or_b32_e32 v163, v9, v151
	s_and_saveexec_b32 s13, vcc_lo
	s_cbranch_execz .LBB309_2953
; %bb.2952:                             ;   in Loop: Header=BB309_1567 Depth=1
	v_cmp_lt_i32_e64 s0, v17, v33
	s_wait_alu 0xf1ff
	s_delay_alu instid0(VALU_DEP_1) | instskip(SKIP_2) | instid1(VALU_DEP_1)
	v_cndmask_b32_e64 v6, 0, v166, s0
	v_cmp_lt_i32_e64 s0, v86, v33
	s_wait_alu 0xf1ff
	v_cndmask_b32_e64 v160, 0, v160, s0
	v_cmp_lt_i32_e64 s0, v85, v33
	s_delay_alu instid0(VALU_DEP_2) | instskip(SKIP_1) | instid1(VALU_DEP_2)
	v_or_b32_e32 v165, v6, v160
	s_wait_alu 0xf1ff
	v_cndmask_b32_e64 v10, 0, v10, s0
	v_cmp_lt_i32_e64 s0, v84, v33
	s_wait_alu 0xf1ff
	s_delay_alu instid0(VALU_DEP_1) | instskip(SKIP_1) | instid1(VALU_DEP_2)
	v_cndmask_b32_e64 v0, 0, v0, s0
	v_cmp_lt_i32_e64 s0, v83, v33
	v_or_b32_e32 v161, v10, v0
	s_wait_alu 0xf1ff
	s_delay_alu instid0(VALU_DEP_2) | instskip(SKIP_2) | instid1(VALU_DEP_1)
	v_cndmask_b32_e64 v162, 0, v162, s0
	v_cmp_lt_i32_e64 s0, v82, v33
	s_wait_alu 0xf1ff
	v_cndmask_b32_e64 v150, 0, v150, s0
	v_cmp_lt_i32_e64 s0, v81, v33
	s_delay_alu instid0(VALU_DEP_2) | instskip(SKIP_1) | instid1(VALU_DEP_2)
	v_or_b32_e32 v164, v162, v150
	s_wait_alu 0xf1ff
	v_cndmask_b32_e64 v151, 0, v151, s0
	v_cmp_lt_i32_e64 s0, v80, v33
	s_wait_alu 0xf1ff
	s_delay_alu instid0(VALU_DEP_1) | instskip(NEXT) | instid1(VALU_DEP_1)
	v_cndmask_b32_e64 v9, 0, v9, s0
	v_or_b32_e32 v163, v151, v9
.LBB309_2953:                           ;   in Loop: Header=BB309_1567 Depth=1
	s_wait_alu 0xfffe
	s_or_b32 exec_lo, exec_lo, s13
	;;#ASMSTART
	v_pk_mul_f16 v0, v69, v165;

	;;#ASMEND
	;;#ASMSTART
	v_pk_mul_f16 v6, v37, v161;

	;;#ASMEND
	;; [unrolled: 4-line block ×4, first 2 shown]
	;;#ASMSTART
	v_pk_add_f16 v0, v0, v6;

	;;#ASMEND
	;;#ASMSTART
	v_pk_add_f16 v0, v0, v9;

	;;#ASMEND
	;; [unrolled: 4-line block ×3, first 2 shown]
	v_dual_mov_b32 v161, 0 :: v_dual_and_b32 v6, 0xffff, v0
	v_lshrrev_b32_e32 v0, 16, v0
	;;#ASMSTART
	v_cvt_f32_f16 v150, v6;
	;;#ASMEND
	;;#ASMSTART
	v_cvt_f32_f16 v151, v0;
	;;#ASMEND
	flat_load_b64 v[9:10], v[7:8] offset:5376
	flat_load_b32 v160, v[26:27]
	v_mov_b32_e32 v162, 0
	s_mov_b32 s13, exec_lo
	s_wait_loadcnt_dscnt 0x101
	v_and_b32_e32 v0, 0xff, v9
	s_delay_alu instid0(VALU_DEP_1)
	v_cmpx_ne_u16_e32 0, v0
	s_cbranch_execz .LBB309_2961
; %bb.2954:                             ;   in Loop: Header=BB309_1567 Depth=1
	v_mov_b32_e32 v162, 0x8000
	s_mov_b32 s14, exec_lo
	v_cmpx_ne_u16_e32 0x80, v0
	s_cbranch_execz .LBB309_2960
; %bb.2955:                             ;   in Loop: Header=BB309_1567 Depth=1
	v_and_b32_e32 v163, 0x7f, v9
	v_mov_b32_e32 v162, 0x7c01
	s_mov_b32 s15, exec_lo
	s_delay_alu instid0(VALU_DEP_2)
	v_cmpx_ne_u32_e32 0x7f, v163
	s_cbranch_execz .LBB309_2959
; %bb.2956:                             ;   in Loop: Header=BB309_1567 Depth=1
	v_and_b32_e32 v0, 7, v9
	v_lshrrev_b32_e32 v162, 3, v163
	s_mov_b32 s16, exec_lo
	v_cmpx_gt_u32_e32 8, v163
; %bb.2957:                             ;   in Loop: Header=BB309_1567 Depth=1
	s_delay_alu instid0(VALU_DEP_3) | instskip(NEXT) | instid1(VALU_DEP_1)
	v_clz_i32_u32_e32 v0, v0
	v_min_u32_e32 v0, 32, v0
	s_delay_alu instid0(VALU_DEP_1) | instskip(SKIP_1) | instid1(VALU_DEP_2)
	v_subrev_nc_u32_e32 v6, 28, v0
	v_sub_nc_u32_e32 v162, 29, v0
	v_lshlrev_b64_e32 v[163:164], v6, v[9:10]
	s_delay_alu instid0(VALU_DEP_1)
	v_and_b32_e32 v0, 7, v163
; %bb.2958:                             ;   in Loop: Header=BB309_1567 Depth=1
	s_wait_alu 0xfffe
	s_or_b32 exec_lo, exec_lo, s16
	v_lshlrev_b32_e32 v6, 8, v9
	v_lshl_add_u32 v162, v162, 10, 0x2000
	v_lshlrev_b32_e32 v0, 7, v0
	s_delay_alu instid0(VALU_DEP_3) | instskip(NEXT) | instid1(VALU_DEP_3)
	v_and_b32_e32 v6, 0x8000, v6
	v_and_b32_e32 v162, 0xfc00, v162
	s_delay_alu instid0(VALU_DEP_1)
	v_or3_b32 v162, v6, v162, v0
.LBB309_2959:                           ;   in Loop: Header=BB309_1567 Depth=1
	s_wait_alu 0xfffe
	s_or_b32 exec_lo, exec_lo, s15
.LBB309_2960:                           ;   in Loop: Header=BB309_1567 Depth=1
	s_wait_alu 0xfffe
	s_or_b32 exec_lo, exec_lo, s14
.LBB309_2961:                           ;   in Loop: Header=BB309_1567 Depth=1
	s_wait_alu 0xfffe
	s_or_b32 exec_lo, exec_lo, s13
	v_lshrrev_b16 v0, 8, v9
	s_mov_b32 s13, exec_lo
	s_delay_alu instid0(VALU_DEP_1)
	v_cmpx_ne_u16_e32 0, v0
	s_cbranch_execz .LBB309_2969
; %bb.2962:                             ;   in Loop: Header=BB309_1567 Depth=1
	v_bfrev_b32_e32 v161, 1
	s_mov_b32 s14, exec_lo
	v_cmpx_ne_u16_e32 0x80, v0
	s_cbranch_execz .LBB309_2968
; %bb.2963:                             ;   in Loop: Header=BB309_1567 Depth=1
	v_and_b32_e32 v163, 0xffff, v0
	v_mov_b32_e32 v161, 0x7c010000
	s_mov_b32 s15, exec_lo
	s_delay_alu instid0(VALU_DEP_2) | instskip(NEXT) | instid1(VALU_DEP_1)
	v_and_b32_e32 v165, 0x7f, v163
	v_cmpx_ne_u32_e32 0x7f, v165
	s_cbranch_execz .LBB309_2967
; %bb.2964:                             ;   in Loop: Header=BB309_1567 Depth=1
	v_and_b32_e32 v161, 7, v163
	v_lshrrev_b32_e32 v164, 3, v165
	s_mov_b32 s16, exec_lo
	v_cmpx_gt_u32_e32 8, v165
; %bb.2965:                             ;   in Loop: Header=BB309_1567 Depth=1
	s_delay_alu instid0(VALU_DEP_3) | instskip(NEXT) | instid1(VALU_DEP_1)
	v_clz_i32_u32_e32 v6, v161
	v_min_u32_e32 v6, 32, v6
	s_delay_alu instid0(VALU_DEP_1) | instskip(SKIP_1) | instid1(VALU_DEP_2)
	v_subrev_nc_u32_e32 v161, 28, v6
	v_sub_nc_u32_e32 v164, 29, v6
	v_lshlrev_b64_e32 v[165:166], v161, v[0:1]
	s_delay_alu instid0(VALU_DEP_1)
	v_and_b32_e32 v161, 7, v165
; %bb.2966:                             ;   in Loop: Header=BB309_1567 Depth=1
	s_wait_alu 0xfffe
	s_or_b32 exec_lo, exec_lo, s16
	v_lshlrev_b32_e32 v0, 8, v163
	v_lshl_add_u32 v6, v164, 10, 0x2000
	s_delay_alu instid0(VALU_DEP_1) | instskip(SKIP_1) | instid1(VALU_DEP_1)
	v_and_or_b32 v0, 0x8000, v0, v6
	v_lshlrev_b32_e32 v6, 23, v161
	v_lshl_or_b32 v161, v0, 16, v6
.LBB309_2967:                           ;   in Loop: Header=BB309_1567 Depth=1
	s_wait_alu 0xfffe
	s_or_b32 exec_lo, exec_lo, s15
.LBB309_2968:                           ;   in Loop: Header=BB309_1567 Depth=1
	s_wait_alu 0xfffe
	s_or_b32 exec_lo, exec_lo, s14
.LBB309_2969:                           ;   in Loop: Header=BB309_1567 Depth=1
	s_wait_alu 0xfffe
	s_or_b32 exec_lo, exec_lo, s13
	v_lshrrev_b32_e32 v0, 16, v9
	v_mov_b32_e32 v163, 0
	s_mov_b32 s13, exec_lo
	s_delay_alu instid0(VALU_DEP_2) | instskip(NEXT) | instid1(VALU_DEP_1)
	v_dual_mov_b32 v164, 0 :: v_dual_and_b32 v165, 0xff, v0
	v_cmpx_ne_u16_e64 0, v165
	s_cbranch_execz .LBB309_2977
; %bb.2970:                             ;   in Loop: Header=BB309_1567 Depth=1
	v_mov_b32_e32 v164, 0x8000
	s_mov_b32 s14, exec_lo
	v_cmpx_ne_u16_e64 0x80, v165
	s_cbranch_execz .LBB309_2976
; %bb.2971:                             ;   in Loop: Header=BB309_1567 Depth=1
	v_bfe_u32 v166, v9, 16, 7
	v_mov_b32_e32 v164, 0x7c01
	s_mov_b32 s15, exec_lo
	s_delay_alu instid0(VALU_DEP_2)
	v_cmpx_ne_u32_e32 0x7f, v166
	s_cbranch_execz .LBB309_2975
; %bb.2972:                             ;   in Loop: Header=BB309_1567 Depth=1
	v_and_b32_e32 v164, 7, v0
	v_lshrrev_b32_e32 v165, 3, v166
	s_mov_b32 s16, exec_lo
	v_cmpx_gt_u32_e32 8, v166
; %bb.2973:                             ;   in Loop: Header=BB309_1567 Depth=1
	s_delay_alu instid0(VALU_DEP_3) | instskip(NEXT) | instid1(VALU_DEP_1)
	v_clz_i32_u32_e32 v6, v164
	v_min_u32_e32 v6, 32, v6
	s_delay_alu instid0(VALU_DEP_1) | instskip(NEXT) | instid1(VALU_DEP_1)
	v_subrev_nc_u32_e32 v164, 28, v6
	v_lshlrev_b64_e32 v[164:165], v164, v[0:1]
	v_sub_nc_u32_e32 v165, 29, v6
	s_delay_alu instid0(VALU_DEP_2)
	v_and_b32_e32 v164, 7, v164
; %bb.2974:                             ;   in Loop: Header=BB309_1567 Depth=1
	s_wait_alu 0xfffe
	s_or_b32 exec_lo, exec_lo, s16
	v_lshlrev_b32_e32 v0, 8, v0
	v_lshl_add_u32 v6, v165, 10, 0x2000
	v_lshlrev_b32_e32 v164, 7, v164
	s_delay_alu instid0(VALU_DEP_3) | instskip(NEXT) | instid1(VALU_DEP_3)
	v_and_b32_e32 v0, 0x8000, v0
	v_and_b32_e32 v6, 0xfc00, v6
	s_delay_alu instid0(VALU_DEP_1)
	v_or3_b32 v164, v0, v6, v164
.LBB309_2975:                           ;   in Loop: Header=BB309_1567 Depth=1
	s_wait_alu 0xfffe
	s_or_b32 exec_lo, exec_lo, s15
.LBB309_2976:                           ;   in Loop: Header=BB309_1567 Depth=1
	s_wait_alu 0xfffe
	s_or_b32 exec_lo, exec_lo, s14
.LBB309_2977:                           ;   in Loop: Header=BB309_1567 Depth=1
	s_wait_alu 0xfffe
	s_or_b32 exec_lo, exec_lo, s13
	s_delay_alu instid0(SALU_CYCLE_1)
	s_mov_b32 s13, exec_lo
	v_cmpx_lt_u32_e32 0xffffff, v9
	s_cbranch_execz .LBB309_2985
; %bb.2978:                             ;   in Loop: Header=BB309_1567 Depth=1
	v_lshrrev_b32_e32 v0, 24, v9
	v_bfrev_b32_e32 v163, 1
	s_mov_b32 s14, exec_lo
	s_delay_alu instid0(VALU_DEP_2)
	v_cmpx_ne_u32_e32 0x80, v0
	s_cbranch_execz .LBB309_2984
; %bb.2979:                             ;   in Loop: Header=BB309_1567 Depth=1
	v_and_b32_e32 v166, 0x7f, v0
	v_mov_b32_e32 v163, 0x7c010000
	s_mov_b32 s15, exec_lo
	s_delay_alu instid0(VALU_DEP_2)
	v_cmpx_ne_u32_e32 0x7f, v166
	s_cbranch_execz .LBB309_2983
; %bb.2980:                             ;   in Loop: Header=BB309_1567 Depth=1
	v_and_b32_e32 v163, 7, v0
	v_lshrrev_b32_e32 v165, 3, v166
	s_mov_b32 s16, exec_lo
	v_cmpx_gt_u32_e32 8, v166
; %bb.2981:                             ;   in Loop: Header=BB309_1567 Depth=1
	s_delay_alu instid0(VALU_DEP_3) | instskip(NEXT) | instid1(VALU_DEP_1)
	v_clz_i32_u32_e32 v6, v163
	v_min_u32_e32 v6, 32, v6
	s_delay_alu instid0(VALU_DEP_1) | instskip(SKIP_1) | instid1(VALU_DEP_2)
	v_subrev_nc_u32_e32 v163, 28, v6
	v_sub_nc_u32_e32 v165, 29, v6
	v_lshlrev_b64_e32 v[166:167], v163, v[0:1]
	s_delay_alu instid0(VALU_DEP_1)
	v_and_b32_e32 v163, 7, v166
; %bb.2982:                             ;   in Loop: Header=BB309_1567 Depth=1
	s_wait_alu 0xfffe
	s_or_b32 exec_lo, exec_lo, s16
	v_lshlrev_b32_e32 v0, 8, v0
	v_lshl_add_u32 v6, v165, 10, 0x2000
	s_delay_alu instid0(VALU_DEP_1) | instskip(SKIP_1) | instid1(VALU_DEP_1)
	v_and_or_b32 v0, 0x8000, v0, v6
	v_lshlrev_b32_e32 v6, 23, v163
	v_lshl_or_b32 v163, v0, 16, v6
.LBB309_2983:                           ;   in Loop: Header=BB309_1567 Depth=1
	s_wait_alu 0xfffe
	s_or_b32 exec_lo, exec_lo, s15
.LBB309_2984:                           ;   in Loop: Header=BB309_1567 Depth=1
	s_wait_alu 0xfffe
	s_or_b32 exec_lo, exec_lo, s14
.LBB309_2985:                           ;   in Loop: Header=BB309_1567 Depth=1
	s_wait_alu 0xfffe
	s_or_b32 exec_lo, exec_lo, s13
	v_dual_mov_b32 v0, v10 :: v_dual_and_b32 v167, 0xff, v10
	v_dual_mov_b32 v165, 0 :: v_dual_mov_b32 v166, 0
	s_mov_b32 s13, exec_lo
	s_delay_alu instid0(VALU_DEP_2)
	v_cmpx_ne_u16_e64 0, v167
	s_cbranch_execz .LBB309_2993
; %bb.2986:                             ;   in Loop: Header=BB309_1567 Depth=1
	v_mov_b32_e32 v166, 0x8000
	s_mov_b32 s14, exec_lo
	v_cmpx_ne_u16_e64 0x80, v167
	s_cbranch_execz .LBB309_2992
; %bb.2987:                             ;   in Loop: Header=BB309_1567 Depth=1
	v_and_b32_e32 v176, 0x7f, v10
	v_mov_b32_e32 v166, 0x7c01
	s_mov_b32 s15, exec_lo
	s_delay_alu instid0(VALU_DEP_2)
	v_cmpx_ne_u32_e32 0x7f, v176
	s_cbranch_execz .LBB309_2991
; %bb.2988:                             ;   in Loop: Header=BB309_1567 Depth=1
	v_and_b32_e32 v166, 7, v10
	v_lshrrev_b32_e32 v167, 3, v176
	s_mov_b32 s16, exec_lo
	v_cmpx_gt_u32_e32 8, v176
; %bb.2989:                             ;   in Loop: Header=BB309_1567 Depth=1
	s_delay_alu instid0(VALU_DEP_3) | instskip(NEXT) | instid1(VALU_DEP_1)
	v_clz_i32_u32_e32 v6, v166
	v_min_u32_e32 v6, 32, v6
	s_delay_alu instid0(VALU_DEP_1) | instskip(NEXT) | instid1(VALU_DEP_1)
	v_subrev_nc_u32_e32 v166, 28, v6
	v_lshlrev_b64_e32 v[166:167], v166, v[0:1]
	v_sub_nc_u32_e32 v167, 29, v6
	s_delay_alu instid0(VALU_DEP_2)
	v_and_b32_e32 v166, 7, v166
; %bb.2990:                             ;   in Loop: Header=BB309_1567 Depth=1
	s_wait_alu 0xfffe
	s_or_b32 exec_lo, exec_lo, s16
	v_lshlrev_b32_e32 v6, 8, v10
	v_lshl_add_u32 v167, v167, 10, 0x2000
	v_lshlrev_b32_e32 v166, 7, v166
	s_delay_alu instid0(VALU_DEP_3) | instskip(NEXT) | instid1(VALU_DEP_3)
	v_and_b32_e32 v6, 0x8000, v6
	v_and_b32_e32 v167, 0xfc00, v167
	s_delay_alu instid0(VALU_DEP_1)
	v_or3_b32 v166, v6, v167, v166
.LBB309_2991:                           ;   in Loop: Header=BB309_1567 Depth=1
	s_wait_alu 0xfffe
	s_or_b32 exec_lo, exec_lo, s15
.LBB309_2992:                           ;   in Loop: Header=BB309_1567 Depth=1
	s_wait_alu 0xfffe
	s_or_b32 exec_lo, exec_lo, s14
.LBB309_2993:                           ;   in Loop: Header=BB309_1567 Depth=1
	s_wait_alu 0xfffe
	s_or_b32 exec_lo, exec_lo, s13
	v_lshrrev_b16 v0, 8, v0
	v_mov_b32_e32 v167, 0
	s_mov_b32 s13, exec_lo
	s_delay_alu instid0(VALU_DEP_2)
	v_cmpx_ne_u16_e32 0, v0
	s_cbranch_execz .LBB309_3001
; %bb.2994:                             ;   in Loop: Header=BB309_1567 Depth=1
	v_bfrev_b32_e32 v167, 1
	s_mov_b32 s14, exec_lo
	v_cmpx_ne_u16_e32 0x80, v0
	s_cbranch_execz .LBB309_3000
; %bb.2995:                             ;   in Loop: Header=BB309_1567 Depth=1
	v_and_b32_e32 v176, 0xffff, v0
	v_mov_b32_e32 v167, 0x7c010000
	s_mov_b32 s15, exec_lo
	s_delay_alu instid0(VALU_DEP_2) | instskip(NEXT) | instid1(VALU_DEP_1)
	v_and_b32_e32 v178, 0x7f, v176
	v_cmpx_ne_u32_e32 0x7f, v178
	s_cbranch_execz .LBB309_2999
; %bb.2996:                             ;   in Loop: Header=BB309_1567 Depth=1
	v_and_b32_e32 v167, 7, v176
	v_lshrrev_b32_e32 v177, 3, v178
	s_mov_b32 s16, exec_lo
	v_cmpx_gt_u32_e32 8, v178
; %bb.2997:                             ;   in Loop: Header=BB309_1567 Depth=1
	s_delay_alu instid0(VALU_DEP_3) | instskip(NEXT) | instid1(VALU_DEP_1)
	v_clz_i32_u32_e32 v6, v167
	v_min_u32_e32 v6, 32, v6
	s_delay_alu instid0(VALU_DEP_1) | instskip(SKIP_1) | instid1(VALU_DEP_2)
	v_subrev_nc_u32_e32 v167, 28, v6
	v_sub_nc_u32_e32 v177, 29, v6
	v_lshlrev_b64_e32 v[178:179], v167, v[0:1]
	s_delay_alu instid0(VALU_DEP_1)
	v_and_b32_e32 v167, 7, v178
; %bb.2998:                             ;   in Loop: Header=BB309_1567 Depth=1
	s_wait_alu 0xfffe
	s_or_b32 exec_lo, exec_lo, s16
	v_lshlrev_b32_e32 v0, 8, v176
	v_lshl_add_u32 v6, v177, 10, 0x2000
	s_delay_alu instid0(VALU_DEP_1) | instskip(SKIP_1) | instid1(VALU_DEP_1)
	v_and_or_b32 v0, 0x8000, v0, v6
	v_lshlrev_b32_e32 v6, 23, v167
	v_lshl_or_b32 v167, v0, 16, v6
.LBB309_2999:                           ;   in Loop: Header=BB309_1567 Depth=1
	s_wait_alu 0xfffe
	s_or_b32 exec_lo, exec_lo, s15
.LBB309_3000:                           ;   in Loop: Header=BB309_1567 Depth=1
	s_wait_alu 0xfffe
	s_or_b32 exec_lo, exec_lo, s14
.LBB309_3001:                           ;   in Loop: Header=BB309_1567 Depth=1
	s_wait_alu 0xfffe
	s_or_b32 exec_lo, exec_lo, s13
	v_lshrrev_b32_e32 v0, 16, v10
	s_mov_b32 s13, exec_lo
	s_delay_alu instid0(VALU_DEP_1) | instskip(NEXT) | instid1(VALU_DEP_1)
	v_and_b32_e32 v176, 0xff, v0
	v_cmpx_ne_u16_e64 0, v176
	s_cbranch_execz .LBB309_3009
; %bb.3002:                             ;   in Loop: Header=BB309_1567 Depth=1
	v_mov_b32_e32 v165, 0x8000
	s_mov_b32 s14, exec_lo
	v_cmpx_ne_u16_e64 0x80, v176
	s_cbranch_execz .LBB309_3008
; %bb.3003:                             ;   in Loop: Header=BB309_1567 Depth=1
	v_bfe_u32 v177, v10, 16, 7
	v_mov_b32_e32 v165, 0x7c01
	s_mov_b32 s15, exec_lo
	s_delay_alu instid0(VALU_DEP_2)
	v_cmpx_ne_u32_e32 0x7f, v177
	s_cbranch_execz .LBB309_3007
; %bb.3004:                             ;   in Loop: Header=BB309_1567 Depth=1
	v_and_b32_e32 v165, 7, v0
	v_lshrrev_b32_e32 v176, 3, v177
	s_mov_b32 s16, exec_lo
	v_cmpx_gt_u32_e32 8, v177
; %bb.3005:                             ;   in Loop: Header=BB309_1567 Depth=1
	s_delay_alu instid0(VALU_DEP_3) | instskip(NEXT) | instid1(VALU_DEP_1)
	v_clz_i32_u32_e32 v6, v165
	v_min_u32_e32 v6, 32, v6
	s_delay_alu instid0(VALU_DEP_1) | instskip(SKIP_1) | instid1(VALU_DEP_2)
	v_subrev_nc_u32_e32 v165, 28, v6
	v_sub_nc_u32_e32 v176, 29, v6
	v_lshlrev_b64_e32 v[177:178], v165, v[0:1]
	s_delay_alu instid0(VALU_DEP_1)
	v_and_b32_e32 v165, 7, v177
; %bb.3006:                             ;   in Loop: Header=BB309_1567 Depth=1
	s_wait_alu 0xfffe
	s_or_b32 exec_lo, exec_lo, s16
	v_lshlrev_b32_e32 v0, 8, v0
	v_lshl_add_u32 v6, v176, 10, 0x2000
	v_lshlrev_b32_e32 v165, 7, v165
	s_delay_alu instid0(VALU_DEP_3) | instskip(NEXT) | instid1(VALU_DEP_3)
	v_and_b32_e32 v0, 0x8000, v0
	v_and_b32_e32 v6, 0xfc00, v6
	s_delay_alu instid0(VALU_DEP_1)
	v_or3_b32 v165, v0, v6, v165
.LBB309_3007:                           ;   in Loop: Header=BB309_1567 Depth=1
	s_wait_alu 0xfffe
	s_or_b32 exec_lo, exec_lo, s15
.LBB309_3008:                           ;   in Loop: Header=BB309_1567 Depth=1
	s_wait_alu 0xfffe
	s_or_b32 exec_lo, exec_lo, s14
.LBB309_3009:                           ;   in Loop: Header=BB309_1567 Depth=1
	s_wait_alu 0xfffe
	s_or_b32 exec_lo, exec_lo, s13
	v_cmp_lt_u64_e64 s0, s[8:9], v[9:10]
	v_mov_b32_e32 v9, 0
	s_and_saveexec_b32 s13, s0
	s_cbranch_execz .LBB309_3017
; %bb.3010:                             ;   in Loop: Header=BB309_1567 Depth=1
	v_lshrrev_b32_e32 v0, 24, v10
	v_bfrev_b32_e32 v9, 1
	s_mov_b32 s14, exec_lo
	s_delay_alu instid0(VALU_DEP_2)
	v_cmpx_ne_u32_e32 0x80, v0
	s_cbranch_execz .LBB309_3016
; %bb.3011:                             ;   in Loop: Header=BB309_1567 Depth=1
	v_and_b32_e32 v176, 0x7f, v0
	v_mov_b32_e32 v9, 0x7c010000
	s_mov_b32 s15, exec_lo
	s_delay_alu instid0(VALU_DEP_2)
	v_cmpx_ne_u32_e32 0x7f, v176
	s_cbranch_execz .LBB309_3015
; %bb.3012:                             ;   in Loop: Header=BB309_1567 Depth=1
	v_and_b32_e32 v9, 7, v0
	v_lshrrev_b32_e32 v10, 3, v176
	s_mov_b32 s16, exec_lo
	v_cmpx_gt_u32_e32 8, v176
; %bb.3013:                             ;   in Loop: Header=BB309_1567 Depth=1
	s_delay_alu instid0(VALU_DEP_3) | instskip(NEXT) | instid1(VALU_DEP_1)
	v_clz_i32_u32_e32 v6, v9
	v_min_u32_e32 v6, 32, v6
	s_delay_alu instid0(VALU_DEP_1) | instskip(NEXT) | instid1(VALU_DEP_1)
	v_subrev_nc_u32_e32 v9, 28, v6
	v_lshlrev_b64_e32 v[9:10], v9, v[0:1]
	v_sub_nc_u32_e32 v10, 29, v6
	s_delay_alu instid0(VALU_DEP_2)
	v_and_b32_e32 v9, 7, v9
; %bb.3014:                             ;   in Loop: Header=BB309_1567 Depth=1
	s_wait_alu 0xfffe
	s_or_b32 exec_lo, exec_lo, s16
	v_lshlrev_b32_e32 v0, 8, v0
	v_lshl_add_u32 v6, v10, 10, 0x2000
	s_delay_alu instid0(VALU_DEP_1) | instskip(SKIP_1) | instid1(VALU_DEP_1)
	v_and_or_b32 v0, 0x8000, v0, v6
	v_lshlrev_b32_e32 v6, 23, v9
	v_lshl_or_b32 v9, v0, 16, v6
.LBB309_3015:                           ;   in Loop: Header=BB309_1567 Depth=1
	s_wait_alu 0xfffe
	s_or_b32 exec_lo, exec_lo, s15
.LBB309_3016:                           ;   in Loop: Header=BB309_1567 Depth=1
	s_wait_alu 0xfffe
	s_or_b32 exec_lo, exec_lo, s14
.LBB309_3017:                           ;   in Loop: Header=BB309_1567 Depth=1
	s_wait_alu 0xfffe
	s_or_b32 exec_lo, exec_lo, s13
	v_or_b32_e32 v0, v163, v164
	s_wait_loadcnt_dscnt 0x0
	v_fma_mixlo_f16 v6, v160, v163, 0 op_sel:[0,1,0] op_sel_hi:[0,1,0]
	v_or_b32_e32 v10, v161, v162
	v_fma_mixlo_f16 v161, v160, v161, 0 op_sel:[0,1,0] op_sel_hi:[0,1,0]
	v_or_b32_e32 v163, v167, v166
	v_or_b32_e32 v165, v9, v165
	v_fma_mixlo_f16 v164, v160, v0, 0 op_sel_hi:[0,1,0]
	v_lshlrev_b32_e32 v0, 16, v6
	v_lshlrev_b32_e32 v162, 16, v161
	v_fma_mixlo_f16 v6, v160, v10, 0 op_sel_hi:[0,1,0]
	v_fma_mixlo_f16 v161, v160, v167, 0 op_sel:[0,1,0] op_sel_hi:[0,1,0]
	v_fma_mixlo_f16 v163, v160, v163, 0 op_sel_hi:[0,1,0]
	v_fma_mixlo_f16 v9, v160, v9, 0 op_sel:[0,1,0] op_sel_hi:[0,1,0]
	v_fma_mixlo_f16 v165, v160, v165, 0 op_sel_hi:[0,1,0]
	v_and_b32_e32 v10, 0xffff, v164
	v_and_b32_e32 v176, 0xffff, v6
	v_lshlrev_b32_e32 v160, 16, v161
	v_and_b32_e32 v164, 0xffff, v163
	v_lshlrev_b32_e32 v9, 16, v9
	v_and_b32_e32 v161, 0xffff, v165
	v_or_b32_e32 v163, v0, v10
	v_or_b32_e32 v167, v162, v176
	v_or_b32_e32 v166, v160, v164
	s_delay_alu instid0(VALU_DEP_4)
	v_or_b32_e32 v165, v9, v161
	s_and_saveexec_b32 s13, vcc_lo
	s_cbranch_execz .LBB309_3019
; %bb.3018:                             ;   in Loop: Header=BB309_1567 Depth=1
	v_cmp_lt_i32_e64 s0, v17, v33
	s_wait_alu 0xf1ff
	s_delay_alu instid0(VALU_DEP_1) | instskip(SKIP_2) | instid1(VALU_DEP_1)
	v_cndmask_b32_e64 v6, 0, v176, s0
	v_cmp_lt_i32_e64 s0, v86, v33
	s_wait_alu 0xf1ff
	v_cndmask_b32_e64 v162, 0, v162, s0
	v_cmp_lt_i32_e64 s0, v85, v33
	s_delay_alu instid0(VALU_DEP_2) | instskip(SKIP_1) | instid1(VALU_DEP_2)
	v_or_b32_e32 v167, v6, v162
	s_wait_alu 0xf1ff
	v_cndmask_b32_e64 v10, 0, v10, s0
	v_cmp_lt_i32_e64 s0, v84, v33
	s_wait_alu 0xf1ff
	s_delay_alu instid0(VALU_DEP_1) | instskip(SKIP_1) | instid1(VALU_DEP_2)
	v_cndmask_b32_e64 v0, 0, v0, s0
	v_cmp_lt_i32_e64 s0, v83, v33
	v_or_b32_e32 v163, v10, v0
	s_wait_alu 0xf1ff
	s_delay_alu instid0(VALU_DEP_2) | instskip(SKIP_2) | instid1(VALU_DEP_1)
	v_cndmask_b32_e64 v164, 0, v164, s0
	v_cmp_lt_i32_e64 s0, v82, v33
	s_wait_alu 0xf1ff
	v_cndmask_b32_e64 v160, 0, v160, s0
	v_cmp_lt_i32_e64 s0, v81, v33
	s_delay_alu instid0(VALU_DEP_2) | instskip(SKIP_1) | instid1(VALU_DEP_2)
	v_or_b32_e32 v166, v164, v160
	s_wait_alu 0xf1ff
	v_cndmask_b32_e64 v161, 0, v161, s0
	v_cmp_lt_i32_e64 s0, v80, v33
	s_wait_alu 0xf1ff
	s_delay_alu instid0(VALU_DEP_1) | instskip(NEXT) | instid1(VALU_DEP_1)
	v_cndmask_b32_e64 v9, 0, v9, s0
	v_or_b32_e32 v165, v161, v9
.LBB309_3019:                           ;   in Loop: Header=BB309_1567 Depth=1
	s_wait_alu 0xfffe
	s_or_b32 exec_lo, exec_lo, s13
	;;#ASMSTART
	v_pk_mul_f16 v0, v69, v167;

	;;#ASMEND
	;;#ASMSTART
	v_pk_mul_f16 v6, v37, v163;

	;;#ASMEND
	;; [unrolled: 4-line block ×4, first 2 shown]
	;;#ASMSTART
	v_pk_add_f16 v0, v0, v6;

	;;#ASMEND
	;;#ASMSTART
	v_pk_add_f16 v0, v0, v9;

	;;#ASMEND
	;; [unrolled: 4-line block ×3, first 2 shown]
	v_dual_mov_b32 v163, 0 :: v_dual_and_b32 v6, 0xffff, v0
	v_lshrrev_b32_e32 v0, 16, v0
	;;#ASMSTART
	v_cvt_f32_f16 v160, v6;
	;;#ASMEND
	;;#ASMSTART
	v_cvt_f32_f16 v161, v0;
	;;#ASMEND
	flat_load_b64 v[9:10], v[7:8] offset:5632
	flat_load_b32 v162, v[26:27]
	v_mov_b32_e32 v164, 0
	s_mov_b32 s13, exec_lo
	s_wait_loadcnt_dscnt 0x101
	v_and_b32_e32 v0, 0xff, v9
	s_delay_alu instid0(VALU_DEP_1)
	v_cmpx_ne_u16_e32 0, v0
	s_cbranch_execz .LBB309_3027
; %bb.3020:                             ;   in Loop: Header=BB309_1567 Depth=1
	v_mov_b32_e32 v164, 0x8000
	s_mov_b32 s14, exec_lo
	v_cmpx_ne_u16_e32 0x80, v0
	s_cbranch_execz .LBB309_3026
; %bb.3021:                             ;   in Loop: Header=BB309_1567 Depth=1
	v_and_b32_e32 v165, 0x7f, v9
	v_mov_b32_e32 v164, 0x7c01
	s_mov_b32 s15, exec_lo
	s_delay_alu instid0(VALU_DEP_2)
	v_cmpx_ne_u32_e32 0x7f, v165
	s_cbranch_execz .LBB309_3025
; %bb.3022:                             ;   in Loop: Header=BB309_1567 Depth=1
	v_and_b32_e32 v0, 7, v9
	v_lshrrev_b32_e32 v164, 3, v165
	s_mov_b32 s16, exec_lo
	v_cmpx_gt_u32_e32 8, v165
; %bb.3023:                             ;   in Loop: Header=BB309_1567 Depth=1
	s_delay_alu instid0(VALU_DEP_3) | instskip(NEXT) | instid1(VALU_DEP_1)
	v_clz_i32_u32_e32 v0, v0
	v_min_u32_e32 v0, 32, v0
	s_delay_alu instid0(VALU_DEP_1) | instskip(SKIP_1) | instid1(VALU_DEP_2)
	v_subrev_nc_u32_e32 v6, 28, v0
	v_sub_nc_u32_e32 v164, 29, v0
	v_lshlrev_b64_e32 v[165:166], v6, v[9:10]
	s_delay_alu instid0(VALU_DEP_1)
	v_and_b32_e32 v0, 7, v165
; %bb.3024:                             ;   in Loop: Header=BB309_1567 Depth=1
	s_wait_alu 0xfffe
	s_or_b32 exec_lo, exec_lo, s16
	v_lshlrev_b32_e32 v6, 8, v9
	v_lshl_add_u32 v164, v164, 10, 0x2000
	v_lshlrev_b32_e32 v0, 7, v0
	s_delay_alu instid0(VALU_DEP_3) | instskip(NEXT) | instid1(VALU_DEP_3)
	v_and_b32_e32 v6, 0x8000, v6
	v_and_b32_e32 v164, 0xfc00, v164
	s_delay_alu instid0(VALU_DEP_1)
	v_or3_b32 v164, v6, v164, v0
.LBB309_3025:                           ;   in Loop: Header=BB309_1567 Depth=1
	s_wait_alu 0xfffe
	s_or_b32 exec_lo, exec_lo, s15
.LBB309_3026:                           ;   in Loop: Header=BB309_1567 Depth=1
	s_wait_alu 0xfffe
	s_or_b32 exec_lo, exec_lo, s14
.LBB309_3027:                           ;   in Loop: Header=BB309_1567 Depth=1
	s_wait_alu 0xfffe
	s_or_b32 exec_lo, exec_lo, s13
	v_lshrrev_b16 v0, 8, v9
	s_mov_b32 s13, exec_lo
	s_delay_alu instid0(VALU_DEP_1)
	v_cmpx_ne_u16_e32 0, v0
	s_cbranch_execz .LBB309_3035
; %bb.3028:                             ;   in Loop: Header=BB309_1567 Depth=1
	v_bfrev_b32_e32 v163, 1
	s_mov_b32 s14, exec_lo
	v_cmpx_ne_u16_e32 0x80, v0
	s_cbranch_execz .LBB309_3034
; %bb.3029:                             ;   in Loop: Header=BB309_1567 Depth=1
	v_and_b32_e32 v165, 0xffff, v0
	v_mov_b32_e32 v163, 0x7c010000
	s_mov_b32 s15, exec_lo
	s_delay_alu instid0(VALU_DEP_2) | instskip(NEXT) | instid1(VALU_DEP_1)
	v_and_b32_e32 v167, 0x7f, v165
	v_cmpx_ne_u32_e32 0x7f, v167
	s_cbranch_execz .LBB309_3033
; %bb.3030:                             ;   in Loop: Header=BB309_1567 Depth=1
	v_and_b32_e32 v163, 7, v165
	v_lshrrev_b32_e32 v166, 3, v167
	s_mov_b32 s16, exec_lo
	v_cmpx_gt_u32_e32 8, v167
; %bb.3031:                             ;   in Loop: Header=BB309_1567 Depth=1
	s_delay_alu instid0(VALU_DEP_3) | instskip(NEXT) | instid1(VALU_DEP_1)
	v_clz_i32_u32_e32 v6, v163
	v_min_u32_e32 v6, 32, v6
	s_delay_alu instid0(VALU_DEP_1) | instskip(SKIP_1) | instid1(VALU_DEP_2)
	v_subrev_nc_u32_e32 v163, 28, v6
	v_sub_nc_u32_e32 v166, 29, v6
	v_lshlrev_b64_e32 v[176:177], v163, v[0:1]
	s_delay_alu instid0(VALU_DEP_1)
	v_and_b32_e32 v163, 7, v176
; %bb.3032:                             ;   in Loop: Header=BB309_1567 Depth=1
	s_wait_alu 0xfffe
	s_or_b32 exec_lo, exec_lo, s16
	v_lshlrev_b32_e32 v0, 8, v165
	v_lshl_add_u32 v6, v166, 10, 0x2000
	s_delay_alu instid0(VALU_DEP_1) | instskip(SKIP_1) | instid1(VALU_DEP_1)
	v_and_or_b32 v0, 0x8000, v0, v6
	v_lshlrev_b32_e32 v6, 23, v163
	v_lshl_or_b32 v163, v0, 16, v6
.LBB309_3033:                           ;   in Loop: Header=BB309_1567 Depth=1
	s_wait_alu 0xfffe
	s_or_b32 exec_lo, exec_lo, s15
.LBB309_3034:                           ;   in Loop: Header=BB309_1567 Depth=1
	s_wait_alu 0xfffe
	s_or_b32 exec_lo, exec_lo, s14
.LBB309_3035:                           ;   in Loop: Header=BB309_1567 Depth=1
	s_wait_alu 0xfffe
	s_or_b32 exec_lo, exec_lo, s13
	v_lshrrev_b32_e32 v0, 16, v9
	v_mov_b32_e32 v165, 0
	s_mov_b32 s13, exec_lo
	s_delay_alu instid0(VALU_DEP_2) | instskip(NEXT) | instid1(VALU_DEP_1)
	v_dual_mov_b32 v166, 0 :: v_dual_and_b32 v167, 0xff, v0
	v_cmpx_ne_u16_e64 0, v167
	s_cbranch_execz .LBB309_3043
; %bb.3036:                             ;   in Loop: Header=BB309_1567 Depth=1
	v_mov_b32_e32 v166, 0x8000
	s_mov_b32 s14, exec_lo
	v_cmpx_ne_u16_e64 0x80, v167
	s_cbranch_execz .LBB309_3042
; %bb.3037:                             ;   in Loop: Header=BB309_1567 Depth=1
	v_bfe_u32 v176, v9, 16, 7
	v_mov_b32_e32 v166, 0x7c01
	s_mov_b32 s15, exec_lo
	s_delay_alu instid0(VALU_DEP_2)
	v_cmpx_ne_u32_e32 0x7f, v176
	s_cbranch_execz .LBB309_3041
; %bb.3038:                             ;   in Loop: Header=BB309_1567 Depth=1
	v_and_b32_e32 v166, 7, v0
	v_lshrrev_b32_e32 v167, 3, v176
	s_mov_b32 s16, exec_lo
	v_cmpx_gt_u32_e32 8, v176
; %bb.3039:                             ;   in Loop: Header=BB309_1567 Depth=1
	s_delay_alu instid0(VALU_DEP_3) | instskip(NEXT) | instid1(VALU_DEP_1)
	v_clz_i32_u32_e32 v6, v166
	v_min_u32_e32 v6, 32, v6
	s_delay_alu instid0(VALU_DEP_1) | instskip(NEXT) | instid1(VALU_DEP_1)
	v_subrev_nc_u32_e32 v166, 28, v6
	v_lshlrev_b64_e32 v[166:167], v166, v[0:1]
	v_sub_nc_u32_e32 v167, 29, v6
	s_delay_alu instid0(VALU_DEP_2)
	v_and_b32_e32 v166, 7, v166
; %bb.3040:                             ;   in Loop: Header=BB309_1567 Depth=1
	s_wait_alu 0xfffe
	s_or_b32 exec_lo, exec_lo, s16
	v_lshlrev_b32_e32 v0, 8, v0
	v_lshl_add_u32 v6, v167, 10, 0x2000
	v_lshlrev_b32_e32 v166, 7, v166
	s_delay_alu instid0(VALU_DEP_3) | instskip(NEXT) | instid1(VALU_DEP_3)
	v_and_b32_e32 v0, 0x8000, v0
	v_and_b32_e32 v6, 0xfc00, v6
	s_delay_alu instid0(VALU_DEP_1)
	v_or3_b32 v166, v0, v6, v166
.LBB309_3041:                           ;   in Loop: Header=BB309_1567 Depth=1
	s_wait_alu 0xfffe
	s_or_b32 exec_lo, exec_lo, s15
.LBB309_3042:                           ;   in Loop: Header=BB309_1567 Depth=1
	s_wait_alu 0xfffe
	s_or_b32 exec_lo, exec_lo, s14
.LBB309_3043:                           ;   in Loop: Header=BB309_1567 Depth=1
	s_wait_alu 0xfffe
	s_or_b32 exec_lo, exec_lo, s13
	s_delay_alu instid0(SALU_CYCLE_1)
	s_mov_b32 s13, exec_lo
	v_cmpx_lt_u32_e32 0xffffff, v9
	s_cbranch_execz .LBB309_3051
; %bb.3044:                             ;   in Loop: Header=BB309_1567 Depth=1
	v_lshrrev_b32_e32 v0, 24, v9
	v_bfrev_b32_e32 v165, 1
	s_mov_b32 s14, exec_lo
	s_delay_alu instid0(VALU_DEP_2)
	v_cmpx_ne_u32_e32 0x80, v0
	s_cbranch_execz .LBB309_3050
; %bb.3045:                             ;   in Loop: Header=BB309_1567 Depth=1
	v_and_b32_e32 v176, 0x7f, v0
	v_mov_b32_e32 v165, 0x7c010000
	s_mov_b32 s15, exec_lo
	s_delay_alu instid0(VALU_DEP_2)
	v_cmpx_ne_u32_e32 0x7f, v176
	s_cbranch_execz .LBB309_3049
; %bb.3046:                             ;   in Loop: Header=BB309_1567 Depth=1
	v_and_b32_e32 v165, 7, v0
	v_lshrrev_b32_e32 v167, 3, v176
	s_mov_b32 s16, exec_lo
	v_cmpx_gt_u32_e32 8, v176
; %bb.3047:                             ;   in Loop: Header=BB309_1567 Depth=1
	s_delay_alu instid0(VALU_DEP_3) | instskip(NEXT) | instid1(VALU_DEP_1)
	v_clz_i32_u32_e32 v6, v165
	v_min_u32_e32 v6, 32, v6
	s_delay_alu instid0(VALU_DEP_1) | instskip(SKIP_1) | instid1(VALU_DEP_2)
	v_subrev_nc_u32_e32 v165, 28, v6
	v_sub_nc_u32_e32 v167, 29, v6
	v_lshlrev_b64_e32 v[176:177], v165, v[0:1]
	s_delay_alu instid0(VALU_DEP_1)
	v_and_b32_e32 v165, 7, v176
; %bb.3048:                             ;   in Loop: Header=BB309_1567 Depth=1
	s_wait_alu 0xfffe
	s_or_b32 exec_lo, exec_lo, s16
	v_lshlrev_b32_e32 v0, 8, v0
	v_lshl_add_u32 v6, v167, 10, 0x2000
	s_delay_alu instid0(VALU_DEP_1) | instskip(SKIP_1) | instid1(VALU_DEP_1)
	v_and_or_b32 v0, 0x8000, v0, v6
	v_lshlrev_b32_e32 v6, 23, v165
	v_lshl_or_b32 v165, v0, 16, v6
.LBB309_3049:                           ;   in Loop: Header=BB309_1567 Depth=1
	s_wait_alu 0xfffe
	s_or_b32 exec_lo, exec_lo, s15
.LBB309_3050:                           ;   in Loop: Header=BB309_1567 Depth=1
	s_wait_alu 0xfffe
	s_or_b32 exec_lo, exec_lo, s14
.LBB309_3051:                           ;   in Loop: Header=BB309_1567 Depth=1
	s_wait_alu 0xfffe
	s_or_b32 exec_lo, exec_lo, s13
	v_dual_mov_b32 v0, v10 :: v_dual_and_b32 v177, 0xff, v10
	v_dual_mov_b32 v167, 0 :: v_dual_mov_b32 v176, 0
	s_mov_b32 s13, exec_lo
	s_delay_alu instid0(VALU_DEP_2)
	v_cmpx_ne_u16_e64 0, v177
	s_cbranch_execz .LBB309_3059
; %bb.3052:                             ;   in Loop: Header=BB309_1567 Depth=1
	v_mov_b32_e32 v176, 0x8000
	s_mov_b32 s14, exec_lo
	v_cmpx_ne_u16_e64 0x80, v177
	s_cbranch_execz .LBB309_3058
; %bb.3053:                             ;   in Loop: Header=BB309_1567 Depth=1
	v_and_b32_e32 v178, 0x7f, v10
	v_mov_b32_e32 v176, 0x7c01
	s_mov_b32 s15, exec_lo
	s_delay_alu instid0(VALU_DEP_2)
	v_cmpx_ne_u32_e32 0x7f, v178
	s_cbranch_execz .LBB309_3057
; %bb.3054:                             ;   in Loop: Header=BB309_1567 Depth=1
	v_and_b32_e32 v176, 7, v10
	v_lshrrev_b32_e32 v177, 3, v178
	s_mov_b32 s16, exec_lo
	v_cmpx_gt_u32_e32 8, v178
; %bb.3055:                             ;   in Loop: Header=BB309_1567 Depth=1
	s_delay_alu instid0(VALU_DEP_3) | instskip(NEXT) | instid1(VALU_DEP_1)
	v_clz_i32_u32_e32 v6, v176
	v_min_u32_e32 v6, 32, v6
	s_delay_alu instid0(VALU_DEP_1) | instskip(NEXT) | instid1(VALU_DEP_1)
	v_subrev_nc_u32_e32 v176, 28, v6
	v_lshlrev_b64_e32 v[176:177], v176, v[0:1]
	v_sub_nc_u32_e32 v177, 29, v6
	s_delay_alu instid0(VALU_DEP_2)
	v_and_b32_e32 v176, 7, v176
; %bb.3056:                             ;   in Loop: Header=BB309_1567 Depth=1
	s_wait_alu 0xfffe
	s_or_b32 exec_lo, exec_lo, s16
	v_lshlrev_b32_e32 v6, 8, v10
	v_lshl_add_u32 v177, v177, 10, 0x2000
	v_lshlrev_b32_e32 v176, 7, v176
	s_delay_alu instid0(VALU_DEP_3) | instskip(NEXT) | instid1(VALU_DEP_3)
	v_and_b32_e32 v6, 0x8000, v6
	v_and_b32_e32 v177, 0xfc00, v177
	s_delay_alu instid0(VALU_DEP_1)
	v_or3_b32 v176, v6, v177, v176
.LBB309_3057:                           ;   in Loop: Header=BB309_1567 Depth=1
	s_wait_alu 0xfffe
	s_or_b32 exec_lo, exec_lo, s15
.LBB309_3058:                           ;   in Loop: Header=BB309_1567 Depth=1
	s_wait_alu 0xfffe
	s_or_b32 exec_lo, exec_lo, s14
.LBB309_3059:                           ;   in Loop: Header=BB309_1567 Depth=1
	s_wait_alu 0xfffe
	s_or_b32 exec_lo, exec_lo, s13
	v_lshrrev_b16 v0, 8, v0
	v_mov_b32_e32 v177, 0
	s_mov_b32 s13, exec_lo
	s_delay_alu instid0(VALU_DEP_2)
	v_cmpx_ne_u16_e32 0, v0
	s_cbranch_execz .LBB309_3067
; %bb.3060:                             ;   in Loop: Header=BB309_1567 Depth=1
	v_bfrev_b32_e32 v177, 1
	s_mov_b32 s14, exec_lo
	v_cmpx_ne_u16_e32 0x80, v0
	s_cbranch_execz .LBB309_3066
; %bb.3061:                             ;   in Loop: Header=BB309_1567 Depth=1
	v_and_b32_e32 v178, 0xffff, v0
	v_mov_b32_e32 v177, 0x7c010000
	s_mov_b32 s15, exec_lo
	s_delay_alu instid0(VALU_DEP_2) | instskip(NEXT) | instid1(VALU_DEP_1)
	v_and_b32_e32 v180, 0x7f, v178
	v_cmpx_ne_u32_e32 0x7f, v180
	s_cbranch_execz .LBB309_3065
; %bb.3062:                             ;   in Loop: Header=BB309_1567 Depth=1
	v_and_b32_e32 v177, 7, v178
	v_lshrrev_b32_e32 v179, 3, v180
	s_mov_b32 s16, exec_lo
	v_cmpx_gt_u32_e32 8, v180
; %bb.3063:                             ;   in Loop: Header=BB309_1567 Depth=1
	s_delay_alu instid0(VALU_DEP_3) | instskip(NEXT) | instid1(VALU_DEP_1)
	v_clz_i32_u32_e32 v6, v177
	v_min_u32_e32 v6, 32, v6
	s_delay_alu instid0(VALU_DEP_1) | instskip(SKIP_1) | instid1(VALU_DEP_2)
	v_subrev_nc_u32_e32 v177, 28, v6
	v_sub_nc_u32_e32 v179, 29, v6
	v_lshlrev_b64_e32 v[180:181], v177, v[0:1]
	s_delay_alu instid0(VALU_DEP_1)
	v_and_b32_e32 v177, 7, v180
; %bb.3064:                             ;   in Loop: Header=BB309_1567 Depth=1
	s_wait_alu 0xfffe
	s_or_b32 exec_lo, exec_lo, s16
	v_lshlrev_b32_e32 v0, 8, v178
	v_lshl_add_u32 v6, v179, 10, 0x2000
	s_delay_alu instid0(VALU_DEP_1) | instskip(SKIP_1) | instid1(VALU_DEP_1)
	v_and_or_b32 v0, 0x8000, v0, v6
	v_lshlrev_b32_e32 v6, 23, v177
	v_lshl_or_b32 v177, v0, 16, v6
.LBB309_3065:                           ;   in Loop: Header=BB309_1567 Depth=1
	s_wait_alu 0xfffe
	s_or_b32 exec_lo, exec_lo, s15
.LBB309_3066:                           ;   in Loop: Header=BB309_1567 Depth=1
	s_wait_alu 0xfffe
	s_or_b32 exec_lo, exec_lo, s14
.LBB309_3067:                           ;   in Loop: Header=BB309_1567 Depth=1
	s_wait_alu 0xfffe
	s_or_b32 exec_lo, exec_lo, s13
	v_lshrrev_b32_e32 v0, 16, v10
	s_mov_b32 s13, exec_lo
	s_delay_alu instid0(VALU_DEP_1) | instskip(NEXT) | instid1(VALU_DEP_1)
	v_and_b32_e32 v178, 0xff, v0
	v_cmpx_ne_u16_e64 0, v178
	s_cbranch_execz .LBB309_3075
; %bb.3068:                             ;   in Loop: Header=BB309_1567 Depth=1
	v_mov_b32_e32 v167, 0x8000
	s_mov_b32 s14, exec_lo
	v_cmpx_ne_u16_e64 0x80, v178
	s_cbranch_execz .LBB309_3074
; %bb.3069:                             ;   in Loop: Header=BB309_1567 Depth=1
	v_bfe_u32 v179, v10, 16, 7
	v_mov_b32_e32 v167, 0x7c01
	s_mov_b32 s15, exec_lo
	s_delay_alu instid0(VALU_DEP_2)
	v_cmpx_ne_u32_e32 0x7f, v179
	s_cbranch_execz .LBB309_3073
; %bb.3070:                             ;   in Loop: Header=BB309_1567 Depth=1
	v_and_b32_e32 v167, 7, v0
	v_lshrrev_b32_e32 v178, 3, v179
	s_mov_b32 s16, exec_lo
	v_cmpx_gt_u32_e32 8, v179
; %bb.3071:                             ;   in Loop: Header=BB309_1567 Depth=1
	s_delay_alu instid0(VALU_DEP_3) | instskip(NEXT) | instid1(VALU_DEP_1)
	v_clz_i32_u32_e32 v6, v167
	v_min_u32_e32 v6, 32, v6
	s_delay_alu instid0(VALU_DEP_1) | instskip(SKIP_1) | instid1(VALU_DEP_2)
	v_subrev_nc_u32_e32 v167, 28, v6
	v_sub_nc_u32_e32 v178, 29, v6
	v_lshlrev_b64_e32 v[179:180], v167, v[0:1]
	s_delay_alu instid0(VALU_DEP_1)
	v_and_b32_e32 v167, 7, v179
; %bb.3072:                             ;   in Loop: Header=BB309_1567 Depth=1
	s_wait_alu 0xfffe
	s_or_b32 exec_lo, exec_lo, s16
	v_lshlrev_b32_e32 v0, 8, v0
	v_lshl_add_u32 v6, v178, 10, 0x2000
	v_lshlrev_b32_e32 v167, 7, v167
	s_delay_alu instid0(VALU_DEP_3) | instskip(NEXT) | instid1(VALU_DEP_3)
	v_and_b32_e32 v0, 0x8000, v0
	v_and_b32_e32 v6, 0xfc00, v6
	s_delay_alu instid0(VALU_DEP_1)
	v_or3_b32 v167, v0, v6, v167
.LBB309_3073:                           ;   in Loop: Header=BB309_1567 Depth=1
	s_wait_alu 0xfffe
	s_or_b32 exec_lo, exec_lo, s15
.LBB309_3074:                           ;   in Loop: Header=BB309_1567 Depth=1
	s_wait_alu 0xfffe
	s_or_b32 exec_lo, exec_lo, s14
.LBB309_3075:                           ;   in Loop: Header=BB309_1567 Depth=1
	s_wait_alu 0xfffe
	s_or_b32 exec_lo, exec_lo, s13
	v_cmp_lt_u64_e64 s0, s[8:9], v[9:10]
	v_mov_b32_e32 v9, 0
	s_and_saveexec_b32 s13, s0
	s_cbranch_execz .LBB309_3083
; %bb.3076:                             ;   in Loop: Header=BB309_1567 Depth=1
	v_lshrrev_b32_e32 v0, 24, v10
	v_bfrev_b32_e32 v9, 1
	s_mov_b32 s14, exec_lo
	s_delay_alu instid0(VALU_DEP_2)
	v_cmpx_ne_u32_e32 0x80, v0
	s_cbranch_execz .LBB309_3082
; %bb.3077:                             ;   in Loop: Header=BB309_1567 Depth=1
	v_and_b32_e32 v178, 0x7f, v0
	v_mov_b32_e32 v9, 0x7c010000
	s_mov_b32 s15, exec_lo
	s_delay_alu instid0(VALU_DEP_2)
	v_cmpx_ne_u32_e32 0x7f, v178
	s_cbranch_execz .LBB309_3081
; %bb.3078:                             ;   in Loop: Header=BB309_1567 Depth=1
	v_and_b32_e32 v9, 7, v0
	v_lshrrev_b32_e32 v10, 3, v178
	s_mov_b32 s16, exec_lo
	v_cmpx_gt_u32_e32 8, v178
; %bb.3079:                             ;   in Loop: Header=BB309_1567 Depth=1
	s_delay_alu instid0(VALU_DEP_3) | instskip(NEXT) | instid1(VALU_DEP_1)
	v_clz_i32_u32_e32 v6, v9
	v_min_u32_e32 v6, 32, v6
	s_delay_alu instid0(VALU_DEP_1) | instskip(NEXT) | instid1(VALU_DEP_1)
	v_subrev_nc_u32_e32 v9, 28, v6
	v_lshlrev_b64_e32 v[9:10], v9, v[0:1]
	v_sub_nc_u32_e32 v10, 29, v6
	s_delay_alu instid0(VALU_DEP_2)
	v_and_b32_e32 v9, 7, v9
; %bb.3080:                             ;   in Loop: Header=BB309_1567 Depth=1
	s_wait_alu 0xfffe
	s_or_b32 exec_lo, exec_lo, s16
	v_lshlrev_b32_e32 v0, 8, v0
	v_lshl_add_u32 v6, v10, 10, 0x2000
	s_delay_alu instid0(VALU_DEP_1) | instskip(SKIP_1) | instid1(VALU_DEP_1)
	v_and_or_b32 v0, 0x8000, v0, v6
	v_lshlrev_b32_e32 v6, 23, v9
	v_lshl_or_b32 v9, v0, 16, v6
.LBB309_3081:                           ;   in Loop: Header=BB309_1567 Depth=1
	s_wait_alu 0xfffe
	s_or_b32 exec_lo, exec_lo, s15
.LBB309_3082:                           ;   in Loop: Header=BB309_1567 Depth=1
	s_wait_alu 0xfffe
	s_or_b32 exec_lo, exec_lo, s14
.LBB309_3083:                           ;   in Loop: Header=BB309_1567 Depth=1
	s_wait_alu 0xfffe
	s_or_b32 exec_lo, exec_lo, s13
	v_or_b32_e32 v0, v165, v166
	s_wait_loadcnt_dscnt 0x0
	v_fma_mixlo_f16 v6, v162, v165, 0 op_sel:[0,1,0] op_sel_hi:[0,1,0]
	v_or_b32_e32 v10, v163, v164
	v_fma_mixlo_f16 v163, v162, v163, 0 op_sel:[0,1,0] op_sel_hi:[0,1,0]
	v_or_b32_e32 v165, v177, v176
	v_or_b32_e32 v167, v9, v167
	v_fma_mixlo_f16 v166, v162, v0, 0 op_sel_hi:[0,1,0]
	v_lshlrev_b32_e32 v0, 16, v6
	v_lshlrev_b32_e32 v164, 16, v163
	v_fma_mixlo_f16 v6, v162, v10, 0 op_sel_hi:[0,1,0]
	v_fma_mixlo_f16 v163, v162, v177, 0 op_sel:[0,1,0] op_sel_hi:[0,1,0]
	v_fma_mixlo_f16 v165, v162, v165, 0 op_sel_hi:[0,1,0]
	v_fma_mixlo_f16 v9, v162, v9, 0 op_sel:[0,1,0] op_sel_hi:[0,1,0]
	v_fma_mixlo_f16 v167, v162, v167, 0 op_sel_hi:[0,1,0]
	v_and_b32_e32 v10, 0xffff, v166
	v_and_b32_e32 v178, 0xffff, v6
	v_lshlrev_b32_e32 v162, 16, v163
	v_and_b32_e32 v166, 0xffff, v165
	v_lshlrev_b32_e32 v9, 16, v9
	v_and_b32_e32 v163, 0xffff, v167
	v_or_b32_e32 v165, v0, v10
	v_or_b32_e32 v177, v164, v178
	;; [unrolled: 1-line block ×3, first 2 shown]
	s_delay_alu instid0(VALU_DEP_4)
	v_or_b32_e32 v167, v9, v163
	s_and_saveexec_b32 s13, vcc_lo
	s_cbranch_execz .LBB309_3085
; %bb.3084:                             ;   in Loop: Header=BB309_1567 Depth=1
	v_cmp_lt_i32_e64 s0, v17, v33
	s_wait_alu 0xf1ff
	s_delay_alu instid0(VALU_DEP_1) | instskip(SKIP_2) | instid1(VALU_DEP_1)
	v_cndmask_b32_e64 v6, 0, v178, s0
	v_cmp_lt_i32_e64 s0, v86, v33
	s_wait_alu 0xf1ff
	v_cndmask_b32_e64 v164, 0, v164, s0
	v_cmp_lt_i32_e64 s0, v85, v33
	s_delay_alu instid0(VALU_DEP_2) | instskip(SKIP_1) | instid1(VALU_DEP_2)
	v_or_b32_e32 v177, v6, v164
	s_wait_alu 0xf1ff
	v_cndmask_b32_e64 v10, 0, v10, s0
	v_cmp_lt_i32_e64 s0, v84, v33
	s_wait_alu 0xf1ff
	s_delay_alu instid0(VALU_DEP_1) | instskip(SKIP_1) | instid1(VALU_DEP_2)
	v_cndmask_b32_e64 v0, 0, v0, s0
	v_cmp_lt_i32_e64 s0, v83, v33
	v_or_b32_e32 v165, v10, v0
	s_wait_alu 0xf1ff
	s_delay_alu instid0(VALU_DEP_2) | instskip(SKIP_2) | instid1(VALU_DEP_1)
	v_cndmask_b32_e64 v166, 0, v166, s0
	v_cmp_lt_i32_e64 s0, v82, v33
	s_wait_alu 0xf1ff
	v_cndmask_b32_e64 v162, 0, v162, s0
	v_cmp_lt_i32_e64 s0, v81, v33
	s_delay_alu instid0(VALU_DEP_2) | instskip(SKIP_1) | instid1(VALU_DEP_2)
	v_or_b32_e32 v176, v166, v162
	s_wait_alu 0xf1ff
	v_cndmask_b32_e64 v163, 0, v163, s0
	v_cmp_lt_i32_e64 s0, v80, v33
	s_wait_alu 0xf1ff
	s_delay_alu instid0(VALU_DEP_1) | instskip(NEXT) | instid1(VALU_DEP_1)
	v_cndmask_b32_e64 v9, 0, v9, s0
	v_or_b32_e32 v167, v163, v9
.LBB309_3085:                           ;   in Loop: Header=BB309_1567 Depth=1
	s_wait_alu 0xfffe
	s_or_b32 exec_lo, exec_lo, s13
	;;#ASMSTART
	v_pk_mul_f16 v0, v69, v177;

	;;#ASMEND
	;;#ASMSTART
	v_pk_mul_f16 v6, v37, v165;

	;;#ASMEND
	;; [unrolled: 4-line block ×4, first 2 shown]
	;;#ASMSTART
	v_pk_add_f16 v0, v0, v6;

	;;#ASMEND
	;;#ASMSTART
	v_pk_add_f16 v0, v0, v9;

	;;#ASMEND
	;; [unrolled: 4-line block ×3, first 2 shown]
	v_dual_mov_b32 v163, 0 :: v_dual_and_b32 v6, 0xffff, v0
	v_lshrrev_b32_e32 v0, 16, v0
	;;#ASMSTART
	v_cvt_f32_f16 v9, v6;
	;;#ASMEND
	;;#ASMSTART
	v_cvt_f32_f16 v10, v0;
	;;#ASMEND
	flat_load_b64 v[7:8], v[7:8] offset:5888
	flat_load_b32 v162, v[26:27]
	v_mov_b32_e32 v164, 0
	s_mov_b32 s13, exec_lo
	s_wait_loadcnt_dscnt 0x101
	v_and_b32_e32 v0, 0xff, v7
	s_delay_alu instid0(VALU_DEP_1)
	v_cmpx_ne_u16_e32 0, v0
	s_cbranch_execz .LBB309_3093
; %bb.3086:                             ;   in Loop: Header=BB309_1567 Depth=1
	v_mov_b32_e32 v164, 0x8000
	s_mov_b32 s14, exec_lo
	v_cmpx_ne_u16_e32 0x80, v0
	s_cbranch_execz .LBB309_3092
; %bb.3087:                             ;   in Loop: Header=BB309_1567 Depth=1
	v_and_b32_e32 v165, 0x7f, v7
	v_mov_b32_e32 v164, 0x7c01
	s_mov_b32 s15, exec_lo
	s_delay_alu instid0(VALU_DEP_2)
	v_cmpx_ne_u32_e32 0x7f, v165
	s_cbranch_execz .LBB309_3091
; %bb.3088:                             ;   in Loop: Header=BB309_1567 Depth=1
	v_and_b32_e32 v0, 7, v7
	v_lshrrev_b32_e32 v164, 3, v165
	s_mov_b32 s16, exec_lo
	v_cmpx_gt_u32_e32 8, v165
; %bb.3089:                             ;   in Loop: Header=BB309_1567 Depth=1
	s_delay_alu instid0(VALU_DEP_3) | instskip(NEXT) | instid1(VALU_DEP_1)
	v_clz_i32_u32_e32 v0, v0
	v_min_u32_e32 v0, 32, v0
	s_delay_alu instid0(VALU_DEP_1) | instskip(SKIP_1) | instid1(VALU_DEP_2)
	v_subrev_nc_u32_e32 v6, 28, v0
	v_sub_nc_u32_e32 v164, 29, v0
	v_lshlrev_b64_e32 v[165:166], v6, v[7:8]
	s_delay_alu instid0(VALU_DEP_1)
	v_and_b32_e32 v0, 7, v165
; %bb.3090:                             ;   in Loop: Header=BB309_1567 Depth=1
	s_wait_alu 0xfffe
	s_or_b32 exec_lo, exec_lo, s16
	v_lshlrev_b32_e32 v6, 8, v7
	v_lshl_add_u32 v164, v164, 10, 0x2000
	v_lshlrev_b32_e32 v0, 7, v0
	s_delay_alu instid0(VALU_DEP_3) | instskip(NEXT) | instid1(VALU_DEP_3)
	v_and_b32_e32 v6, 0x8000, v6
	v_and_b32_e32 v164, 0xfc00, v164
	s_delay_alu instid0(VALU_DEP_1)
	v_or3_b32 v164, v6, v164, v0
.LBB309_3091:                           ;   in Loop: Header=BB309_1567 Depth=1
	s_wait_alu 0xfffe
	s_or_b32 exec_lo, exec_lo, s15
.LBB309_3092:                           ;   in Loop: Header=BB309_1567 Depth=1
	s_wait_alu 0xfffe
	s_or_b32 exec_lo, exec_lo, s14
.LBB309_3093:                           ;   in Loop: Header=BB309_1567 Depth=1
	s_wait_alu 0xfffe
	s_or_b32 exec_lo, exec_lo, s13
	v_lshrrev_b16 v0, 8, v7
	s_mov_b32 s13, exec_lo
	s_delay_alu instid0(VALU_DEP_1)
	v_cmpx_ne_u16_e32 0, v0
	s_cbranch_execz .LBB309_3101
; %bb.3094:                             ;   in Loop: Header=BB309_1567 Depth=1
	v_bfrev_b32_e32 v163, 1
	s_mov_b32 s14, exec_lo
	v_cmpx_ne_u16_e32 0x80, v0
	s_cbranch_execz .LBB309_3100
; %bb.3095:                             ;   in Loop: Header=BB309_1567 Depth=1
	v_and_b32_e32 v165, 0xffff, v0
	v_mov_b32_e32 v163, 0x7c010000
	s_mov_b32 s15, exec_lo
	s_delay_alu instid0(VALU_DEP_2) | instskip(NEXT) | instid1(VALU_DEP_1)
	v_and_b32_e32 v167, 0x7f, v165
	v_cmpx_ne_u32_e32 0x7f, v167
	s_cbranch_execz .LBB309_3099
; %bb.3096:                             ;   in Loop: Header=BB309_1567 Depth=1
	v_and_b32_e32 v163, 7, v165
	v_lshrrev_b32_e32 v166, 3, v167
	s_mov_b32 s16, exec_lo
	v_cmpx_gt_u32_e32 8, v167
; %bb.3097:                             ;   in Loop: Header=BB309_1567 Depth=1
	s_delay_alu instid0(VALU_DEP_3) | instskip(NEXT) | instid1(VALU_DEP_1)
	v_clz_i32_u32_e32 v6, v163
	v_min_u32_e32 v6, 32, v6
	s_delay_alu instid0(VALU_DEP_1) | instskip(SKIP_1) | instid1(VALU_DEP_2)
	v_subrev_nc_u32_e32 v163, 28, v6
	v_sub_nc_u32_e32 v166, 29, v6
	v_lshlrev_b64_e32 v[176:177], v163, v[0:1]
	s_delay_alu instid0(VALU_DEP_1)
	v_and_b32_e32 v163, 7, v176
; %bb.3098:                             ;   in Loop: Header=BB309_1567 Depth=1
	s_wait_alu 0xfffe
	s_or_b32 exec_lo, exec_lo, s16
	v_lshlrev_b32_e32 v0, 8, v165
	v_lshl_add_u32 v6, v166, 10, 0x2000
	s_delay_alu instid0(VALU_DEP_1) | instskip(SKIP_1) | instid1(VALU_DEP_1)
	v_and_or_b32 v0, 0x8000, v0, v6
	v_lshlrev_b32_e32 v6, 23, v163
	v_lshl_or_b32 v163, v0, 16, v6
.LBB309_3099:                           ;   in Loop: Header=BB309_1567 Depth=1
	s_wait_alu 0xfffe
	s_or_b32 exec_lo, exec_lo, s15
.LBB309_3100:                           ;   in Loop: Header=BB309_1567 Depth=1
	s_wait_alu 0xfffe
	s_or_b32 exec_lo, exec_lo, s14
.LBB309_3101:                           ;   in Loop: Header=BB309_1567 Depth=1
	s_wait_alu 0xfffe
	s_or_b32 exec_lo, exec_lo, s13
	v_lshrrev_b32_e32 v0, 16, v7
	v_mov_b32_e32 v165, 0
	s_mov_b32 s13, exec_lo
	s_delay_alu instid0(VALU_DEP_2) | instskip(NEXT) | instid1(VALU_DEP_1)
	v_dual_mov_b32 v166, 0 :: v_dual_and_b32 v167, 0xff, v0
	v_cmpx_ne_u16_e64 0, v167
	s_cbranch_execz .LBB309_3109
; %bb.3102:                             ;   in Loop: Header=BB309_1567 Depth=1
	v_mov_b32_e32 v166, 0x8000
	s_mov_b32 s14, exec_lo
	v_cmpx_ne_u16_e64 0x80, v167
	s_cbranch_execz .LBB309_3108
; %bb.3103:                             ;   in Loop: Header=BB309_1567 Depth=1
	v_bfe_u32 v176, v7, 16, 7
	v_mov_b32_e32 v166, 0x7c01
	s_mov_b32 s15, exec_lo
	s_delay_alu instid0(VALU_DEP_2)
	v_cmpx_ne_u32_e32 0x7f, v176
	s_cbranch_execz .LBB309_3107
; %bb.3104:                             ;   in Loop: Header=BB309_1567 Depth=1
	v_and_b32_e32 v166, 7, v0
	v_lshrrev_b32_e32 v167, 3, v176
	s_mov_b32 s16, exec_lo
	v_cmpx_gt_u32_e32 8, v176
; %bb.3105:                             ;   in Loop: Header=BB309_1567 Depth=1
	s_delay_alu instid0(VALU_DEP_3) | instskip(NEXT) | instid1(VALU_DEP_1)
	v_clz_i32_u32_e32 v6, v166
	v_min_u32_e32 v6, 32, v6
	s_delay_alu instid0(VALU_DEP_1) | instskip(NEXT) | instid1(VALU_DEP_1)
	v_subrev_nc_u32_e32 v166, 28, v6
	v_lshlrev_b64_e32 v[166:167], v166, v[0:1]
	v_sub_nc_u32_e32 v167, 29, v6
	s_delay_alu instid0(VALU_DEP_2)
	v_and_b32_e32 v166, 7, v166
; %bb.3106:                             ;   in Loop: Header=BB309_1567 Depth=1
	s_wait_alu 0xfffe
	s_or_b32 exec_lo, exec_lo, s16
	v_lshlrev_b32_e32 v0, 8, v0
	v_lshl_add_u32 v6, v167, 10, 0x2000
	v_lshlrev_b32_e32 v166, 7, v166
	s_delay_alu instid0(VALU_DEP_3) | instskip(NEXT) | instid1(VALU_DEP_3)
	v_and_b32_e32 v0, 0x8000, v0
	v_and_b32_e32 v6, 0xfc00, v6
	s_delay_alu instid0(VALU_DEP_1)
	v_or3_b32 v166, v0, v6, v166
.LBB309_3107:                           ;   in Loop: Header=BB309_1567 Depth=1
	s_wait_alu 0xfffe
	s_or_b32 exec_lo, exec_lo, s15
.LBB309_3108:                           ;   in Loop: Header=BB309_1567 Depth=1
	s_wait_alu 0xfffe
	s_or_b32 exec_lo, exec_lo, s14
.LBB309_3109:                           ;   in Loop: Header=BB309_1567 Depth=1
	s_wait_alu 0xfffe
	s_or_b32 exec_lo, exec_lo, s13
	s_delay_alu instid0(SALU_CYCLE_1)
	s_mov_b32 s13, exec_lo
	v_cmpx_lt_u32_e32 0xffffff, v7
	s_cbranch_execz .LBB309_3117
; %bb.3110:                             ;   in Loop: Header=BB309_1567 Depth=1
	v_lshrrev_b32_e32 v0, 24, v7
	v_bfrev_b32_e32 v165, 1
	s_mov_b32 s14, exec_lo
	s_delay_alu instid0(VALU_DEP_2)
	v_cmpx_ne_u32_e32 0x80, v0
	s_cbranch_execz .LBB309_3116
; %bb.3111:                             ;   in Loop: Header=BB309_1567 Depth=1
	v_and_b32_e32 v176, 0x7f, v0
	v_mov_b32_e32 v165, 0x7c010000
	s_mov_b32 s15, exec_lo
	s_delay_alu instid0(VALU_DEP_2)
	v_cmpx_ne_u32_e32 0x7f, v176
	s_cbranch_execz .LBB309_3115
; %bb.3112:                             ;   in Loop: Header=BB309_1567 Depth=1
	v_and_b32_e32 v165, 7, v0
	v_lshrrev_b32_e32 v167, 3, v176
	s_mov_b32 s16, exec_lo
	v_cmpx_gt_u32_e32 8, v176
; %bb.3113:                             ;   in Loop: Header=BB309_1567 Depth=1
	s_delay_alu instid0(VALU_DEP_3) | instskip(NEXT) | instid1(VALU_DEP_1)
	v_clz_i32_u32_e32 v6, v165
	v_min_u32_e32 v6, 32, v6
	s_delay_alu instid0(VALU_DEP_1) | instskip(SKIP_1) | instid1(VALU_DEP_2)
	v_subrev_nc_u32_e32 v165, 28, v6
	v_sub_nc_u32_e32 v167, 29, v6
	v_lshlrev_b64_e32 v[176:177], v165, v[0:1]
	s_delay_alu instid0(VALU_DEP_1)
	v_and_b32_e32 v165, 7, v176
; %bb.3114:                             ;   in Loop: Header=BB309_1567 Depth=1
	s_wait_alu 0xfffe
	s_or_b32 exec_lo, exec_lo, s16
	v_lshlrev_b32_e32 v0, 8, v0
	v_lshl_add_u32 v6, v167, 10, 0x2000
	s_delay_alu instid0(VALU_DEP_1) | instskip(SKIP_1) | instid1(VALU_DEP_1)
	v_and_or_b32 v0, 0x8000, v0, v6
	v_lshlrev_b32_e32 v6, 23, v165
	v_lshl_or_b32 v165, v0, 16, v6
.LBB309_3115:                           ;   in Loop: Header=BB309_1567 Depth=1
	s_wait_alu 0xfffe
	s_or_b32 exec_lo, exec_lo, s15
.LBB309_3116:                           ;   in Loop: Header=BB309_1567 Depth=1
	s_wait_alu 0xfffe
	s_or_b32 exec_lo, exec_lo, s14
.LBB309_3117:                           ;   in Loop: Header=BB309_1567 Depth=1
	s_wait_alu 0xfffe
	s_or_b32 exec_lo, exec_lo, s13
	v_dual_mov_b32 v0, v8 :: v_dual_and_b32 v177, 0xff, v8
	v_dual_mov_b32 v167, 0 :: v_dual_mov_b32 v176, 0
	s_mov_b32 s13, exec_lo
	s_delay_alu instid0(VALU_DEP_2)
	v_cmpx_ne_u16_e64 0, v177
	s_cbranch_execz .LBB309_3125
; %bb.3118:                             ;   in Loop: Header=BB309_1567 Depth=1
	v_mov_b32_e32 v176, 0x8000
	s_mov_b32 s14, exec_lo
	v_cmpx_ne_u16_e64 0x80, v177
	s_cbranch_execz .LBB309_3124
; %bb.3119:                             ;   in Loop: Header=BB309_1567 Depth=1
	v_and_b32_e32 v178, 0x7f, v8
	v_mov_b32_e32 v176, 0x7c01
	s_mov_b32 s15, exec_lo
	s_delay_alu instid0(VALU_DEP_2)
	v_cmpx_ne_u32_e32 0x7f, v178
	s_cbranch_execz .LBB309_3123
; %bb.3120:                             ;   in Loop: Header=BB309_1567 Depth=1
	v_and_b32_e32 v176, 7, v8
	v_lshrrev_b32_e32 v177, 3, v178
	s_mov_b32 s16, exec_lo
	v_cmpx_gt_u32_e32 8, v178
; %bb.3121:                             ;   in Loop: Header=BB309_1567 Depth=1
	s_delay_alu instid0(VALU_DEP_3) | instskip(NEXT) | instid1(VALU_DEP_1)
	v_clz_i32_u32_e32 v6, v176
	v_min_u32_e32 v6, 32, v6
	s_delay_alu instid0(VALU_DEP_1) | instskip(NEXT) | instid1(VALU_DEP_1)
	v_subrev_nc_u32_e32 v176, 28, v6
	v_lshlrev_b64_e32 v[176:177], v176, v[0:1]
	v_sub_nc_u32_e32 v177, 29, v6
	s_delay_alu instid0(VALU_DEP_2)
	v_and_b32_e32 v176, 7, v176
; %bb.3122:                             ;   in Loop: Header=BB309_1567 Depth=1
	s_wait_alu 0xfffe
	s_or_b32 exec_lo, exec_lo, s16
	v_lshlrev_b32_e32 v6, 8, v8
	v_lshl_add_u32 v177, v177, 10, 0x2000
	v_lshlrev_b32_e32 v176, 7, v176
	s_delay_alu instid0(VALU_DEP_3) | instskip(NEXT) | instid1(VALU_DEP_3)
	v_and_b32_e32 v6, 0x8000, v6
	v_and_b32_e32 v177, 0xfc00, v177
	s_delay_alu instid0(VALU_DEP_1)
	v_or3_b32 v176, v6, v177, v176
.LBB309_3123:                           ;   in Loop: Header=BB309_1567 Depth=1
	s_wait_alu 0xfffe
	s_or_b32 exec_lo, exec_lo, s15
.LBB309_3124:                           ;   in Loop: Header=BB309_1567 Depth=1
	s_wait_alu 0xfffe
	s_or_b32 exec_lo, exec_lo, s14
.LBB309_3125:                           ;   in Loop: Header=BB309_1567 Depth=1
	s_wait_alu 0xfffe
	s_or_b32 exec_lo, exec_lo, s13
	v_lshrrev_b16 v0, 8, v0
	v_mov_b32_e32 v177, 0
	s_mov_b32 s13, exec_lo
	s_delay_alu instid0(VALU_DEP_2)
	v_cmpx_ne_u16_e32 0, v0
	s_cbranch_execz .LBB309_3133
; %bb.3126:                             ;   in Loop: Header=BB309_1567 Depth=1
	v_bfrev_b32_e32 v177, 1
	s_mov_b32 s14, exec_lo
	v_cmpx_ne_u16_e32 0x80, v0
	s_cbranch_execz .LBB309_3132
; %bb.3127:                             ;   in Loop: Header=BB309_1567 Depth=1
	v_and_b32_e32 v178, 0xffff, v0
	v_mov_b32_e32 v177, 0x7c010000
	s_mov_b32 s15, exec_lo
	s_delay_alu instid0(VALU_DEP_2) | instskip(NEXT) | instid1(VALU_DEP_1)
	v_and_b32_e32 v180, 0x7f, v178
	v_cmpx_ne_u32_e32 0x7f, v180
	s_cbranch_execz .LBB309_3131
; %bb.3128:                             ;   in Loop: Header=BB309_1567 Depth=1
	v_and_b32_e32 v177, 7, v178
	v_lshrrev_b32_e32 v179, 3, v180
	s_mov_b32 s16, exec_lo
	v_cmpx_gt_u32_e32 8, v180
; %bb.3129:                             ;   in Loop: Header=BB309_1567 Depth=1
	s_delay_alu instid0(VALU_DEP_3) | instskip(NEXT) | instid1(VALU_DEP_1)
	v_clz_i32_u32_e32 v6, v177
	v_min_u32_e32 v6, 32, v6
	s_delay_alu instid0(VALU_DEP_1) | instskip(SKIP_1) | instid1(VALU_DEP_2)
	v_subrev_nc_u32_e32 v177, 28, v6
	v_sub_nc_u32_e32 v179, 29, v6
	v_lshlrev_b64_e32 v[180:181], v177, v[0:1]
	s_delay_alu instid0(VALU_DEP_1)
	v_and_b32_e32 v177, 7, v180
; %bb.3130:                             ;   in Loop: Header=BB309_1567 Depth=1
	s_wait_alu 0xfffe
	s_or_b32 exec_lo, exec_lo, s16
	v_lshlrev_b32_e32 v0, 8, v178
	v_lshl_add_u32 v6, v179, 10, 0x2000
	s_delay_alu instid0(VALU_DEP_1) | instskip(SKIP_1) | instid1(VALU_DEP_1)
	v_and_or_b32 v0, 0x8000, v0, v6
	v_lshlrev_b32_e32 v6, 23, v177
	v_lshl_or_b32 v177, v0, 16, v6
.LBB309_3131:                           ;   in Loop: Header=BB309_1567 Depth=1
	s_wait_alu 0xfffe
	s_or_b32 exec_lo, exec_lo, s15
.LBB309_3132:                           ;   in Loop: Header=BB309_1567 Depth=1
	s_wait_alu 0xfffe
	s_or_b32 exec_lo, exec_lo, s14
.LBB309_3133:                           ;   in Loop: Header=BB309_1567 Depth=1
	s_wait_alu 0xfffe
	s_or_b32 exec_lo, exec_lo, s13
	v_lshrrev_b32_e32 v0, 16, v8
	s_mov_b32 s13, exec_lo
	s_delay_alu instid0(VALU_DEP_1) | instskip(NEXT) | instid1(VALU_DEP_1)
	v_and_b32_e32 v178, 0xff, v0
	v_cmpx_ne_u16_e64 0, v178
	s_cbranch_execz .LBB309_3141
; %bb.3134:                             ;   in Loop: Header=BB309_1567 Depth=1
	v_mov_b32_e32 v167, 0x8000
	s_mov_b32 s14, exec_lo
	v_cmpx_ne_u16_e64 0x80, v178
	s_cbranch_execz .LBB309_3140
; %bb.3135:                             ;   in Loop: Header=BB309_1567 Depth=1
	v_bfe_u32 v179, v8, 16, 7
	v_mov_b32_e32 v167, 0x7c01
	s_mov_b32 s15, exec_lo
	s_delay_alu instid0(VALU_DEP_2)
	v_cmpx_ne_u32_e32 0x7f, v179
	s_cbranch_execz .LBB309_3139
; %bb.3136:                             ;   in Loop: Header=BB309_1567 Depth=1
	v_and_b32_e32 v167, 7, v0
	v_lshrrev_b32_e32 v178, 3, v179
	s_mov_b32 s16, exec_lo
	v_cmpx_gt_u32_e32 8, v179
; %bb.3137:                             ;   in Loop: Header=BB309_1567 Depth=1
	s_delay_alu instid0(VALU_DEP_3) | instskip(NEXT) | instid1(VALU_DEP_1)
	v_clz_i32_u32_e32 v6, v167
	v_min_u32_e32 v6, 32, v6
	s_delay_alu instid0(VALU_DEP_1) | instskip(SKIP_1) | instid1(VALU_DEP_2)
	v_subrev_nc_u32_e32 v167, 28, v6
	v_sub_nc_u32_e32 v178, 29, v6
	v_lshlrev_b64_e32 v[179:180], v167, v[0:1]
	s_delay_alu instid0(VALU_DEP_1)
	v_and_b32_e32 v167, 7, v179
; %bb.3138:                             ;   in Loop: Header=BB309_1567 Depth=1
	s_wait_alu 0xfffe
	s_or_b32 exec_lo, exec_lo, s16
	v_lshlrev_b32_e32 v0, 8, v0
	v_lshl_add_u32 v6, v178, 10, 0x2000
	v_lshlrev_b32_e32 v167, 7, v167
	s_delay_alu instid0(VALU_DEP_3) | instskip(NEXT) | instid1(VALU_DEP_3)
	v_and_b32_e32 v0, 0x8000, v0
	v_and_b32_e32 v6, 0xfc00, v6
	s_delay_alu instid0(VALU_DEP_1)
	v_or3_b32 v167, v0, v6, v167
.LBB309_3139:                           ;   in Loop: Header=BB309_1567 Depth=1
	s_wait_alu 0xfffe
	s_or_b32 exec_lo, exec_lo, s15
.LBB309_3140:                           ;   in Loop: Header=BB309_1567 Depth=1
	s_wait_alu 0xfffe
	s_or_b32 exec_lo, exec_lo, s14
.LBB309_3141:                           ;   in Loop: Header=BB309_1567 Depth=1
	s_wait_alu 0xfffe
	s_or_b32 exec_lo, exec_lo, s13
	v_cmp_lt_u64_e64 s0, s[8:9], v[7:8]
	v_mov_b32_e32 v7, 0
	s_and_saveexec_b32 s13, s0
	s_cbranch_execz .LBB309_3149
; %bb.3142:                             ;   in Loop: Header=BB309_1567 Depth=1
	v_lshrrev_b32_e32 v0, 24, v8
	v_bfrev_b32_e32 v7, 1
	s_mov_b32 s14, exec_lo
	s_delay_alu instid0(VALU_DEP_2)
	v_cmpx_ne_u32_e32 0x80, v0
	s_cbranch_execz .LBB309_3148
; %bb.3143:                             ;   in Loop: Header=BB309_1567 Depth=1
	v_and_b32_e32 v178, 0x7f, v0
	v_mov_b32_e32 v7, 0x7c010000
	s_mov_b32 s15, exec_lo
	s_delay_alu instid0(VALU_DEP_2)
	v_cmpx_ne_u32_e32 0x7f, v178
	s_cbranch_execz .LBB309_3147
; %bb.3144:                             ;   in Loop: Header=BB309_1567 Depth=1
	v_and_b32_e32 v7, 7, v0
	v_lshrrev_b32_e32 v8, 3, v178
	s_mov_b32 s16, exec_lo
	v_cmpx_gt_u32_e32 8, v178
; %bb.3145:                             ;   in Loop: Header=BB309_1567 Depth=1
	s_delay_alu instid0(VALU_DEP_3) | instskip(NEXT) | instid1(VALU_DEP_1)
	v_clz_i32_u32_e32 v6, v7
	v_min_u32_e32 v8, 32, v6
	s_delay_alu instid0(VALU_DEP_1) | instskip(SKIP_1) | instid1(VALU_DEP_2)
	v_subrev_nc_u32_e32 v6, 28, v8
	v_sub_nc_u32_e32 v8, 29, v8
	v_lshlrev_b64_e32 v[6:7], v6, v[0:1]
	s_delay_alu instid0(VALU_DEP_1)
	v_and_b32_e32 v7, 7, v6
; %bb.3146:                             ;   in Loop: Header=BB309_1567 Depth=1
	s_wait_alu 0xfffe
	s_or_b32 exec_lo, exec_lo, s16
	v_lshlrev_b32_e32 v0, 8, v0
	v_lshl_add_u32 v6, v8, 10, 0x2000
	s_delay_alu instid0(VALU_DEP_1) | instskip(SKIP_1) | instid1(VALU_DEP_1)
	v_and_or_b32 v0, 0x8000, v0, v6
	v_lshlrev_b32_e32 v6, 23, v7
	v_lshl_or_b32 v7, v0, 16, v6
.LBB309_3147:                           ;   in Loop: Header=BB309_1567 Depth=1
	s_wait_alu 0xfffe
	s_or_b32 exec_lo, exec_lo, s15
.LBB309_3148:                           ;   in Loop: Header=BB309_1567 Depth=1
	s_wait_alu 0xfffe
	s_or_b32 exec_lo, exec_lo, s14
.LBB309_3149:                           ;   in Loop: Header=BB309_1567 Depth=1
	s_wait_alu 0xfffe
	s_or_b32 exec_lo, exec_lo, s13
	v_or_b32_e32 v0, v165, v166
	s_wait_loadcnt_dscnt 0x0
	v_fma_mixlo_f16 v6, v162, v165, 0 op_sel:[0,1,0] op_sel_hi:[0,1,0]
	v_or_b32_e32 v8, v163, v164
	v_or_b32_e32 v166, v177, v176
	;; [unrolled: 1-line block ×3, first 2 shown]
	v_fma_mixlo_f16 v0, v162, v0, 0 op_sel_hi:[0,1,0]
	v_fma_mixlo_f16 v164, v162, v163, 0 op_sel:[0,1,0] op_sel_hi:[0,1,0]
	v_lshlrev_b32_e32 v163, 16, v6
	v_fma_mixlo_f16 v6, v162, v8, 0 op_sel_hi:[0,1,0]
	v_fma_mixlo_f16 v8, v162, v166, 0 op_sel_hi:[0,1,0]
	v_and_b32_e32 v165, 0xffff, v0
	v_fma_mixlo_f16 v0, v162, v177, 0 op_sel:[0,1,0] op_sel_hi:[0,1,0]
	v_fma_mixlo_f16 v7, v162, v7, 0 op_sel:[0,1,0] op_sel_hi:[0,1,0]
	v_fma_mixlo_f16 v162, v162, v167, 0 op_sel_hi:[0,1,0]
	v_lshlrev_b32_e32 v176, 16, v164
	v_and_b32_e32 v178, 0xffff, v6
	v_lshlrev_b32_e32 v166, 16, v0
	v_and_b32_e32 v177, 0xffff, v8
	;; [unrolled: 2-line block ×3, first 2 shown]
	v_or_b32_e32 v0, v163, v165
	v_or_b32_e32 v162, v176, v178
	;; [unrolled: 1-line block ×3, first 2 shown]
	s_delay_alu instid0(VALU_DEP_4)
	v_or_b32_e32 v7, v164, v167
	s_and_saveexec_b32 s0, vcc_lo
	s_cbranch_execz .LBB309_1566
; %bb.3150:                             ;   in Loop: Header=BB309_1567 Depth=1
	v_cmp_lt_i32_e32 vcc_lo, v17, v33
	s_wait_alu 0xfffd
	v_cndmask_b32_e32 v0, 0, v178, vcc_lo
	v_cmp_lt_i32_e32 vcc_lo, v86, v33
	s_wait_alu 0xfffd
	v_cndmask_b32_e32 v6, 0, v176, vcc_lo
	;; [unrolled: 3-line block ×5, first 2 shown]
	v_cmp_lt_i32_e32 vcc_lo, v82, v33
	v_or_b32_e32 v162, v0, v6
	v_or_b32_e32 v0, v7, v8
	s_wait_alu 0xfffd
	v_cndmask_b32_e32 v82, 0, v166, vcc_lo
	v_cmp_lt_i32_e32 vcc_lo, v81, v33
	s_wait_alu 0xfffd
	v_cndmask_b32_e32 v81, 0, v167, vcc_lo
	v_cmp_lt_i32_e32 vcc_lo, v80, v33
	v_or_b32_e32 v8, v17, v82
	s_wait_alu 0xfffd
	v_cndmask_b32_e32 v80, 0, v164, vcc_lo
	s_delay_alu instid0(VALU_DEP_1)
	v_or_b32_e32 v7, v81, v80
	s_branch .LBB309_1566
.LBB309_3151:
	s_or_b32 exec_lo, exec_lo, s12
	v_dual_mov_b32 v0, s6 :: v_dual_mov_b32 v1, s7
.LBB309_3152:
	s_or_b32 exec_lo, exec_lo, s3
	s_delay_alu instid0(VALU_DEP_1)
	v_lshlrev_b64_e32 v[0:1], 2, v[0:1]
	s_getpc_b64 s[6:7]
	s_wait_alu 0xfffe
	s_sext_i32_i16 s7, s7
	s_add_co_u32 s6, s6, llvm.amdgcn.dynlds.offset.table@rel32@lo+12
	s_wait_alu 0xfffe
	s_add_co_ci_u32 s7, s7, llvm.amdgcn.dynlds.offset.table@rel32@hi+24
	s_wait_storecnt 0x0
	s_wait_loadcnt_dscnt 0x0
	s_barrier_signal -1
	s_barrier_wait -1
	global_inv scope:SCOPE_SE
	v_add_co_u32 v0, vcc_lo, s6, v0
	s_wait_alu 0xfffc
	v_add_co_ci_u32_e64 v1, null, s7, v1, vcc_lo
	ds_bpermute_b32 v3, v18, v65
	ds_bpermute_b32 v9, v18, v51
	;; [unrolled: 1-line block ×3, first 2 shown]
	global_load_b32 v26, v[0:1], off
	ds_bpermute_b32 v0, v18, v66
	ds_bpermute_b32 v1, v18, v68
	;; [unrolled: 1-line block ×21, first 2 shown]
	s_wait_dscnt 0x14
	v_dual_add_f32 v0, v66, v0 :: v_dual_and_b32 v37, 28, v43
	s_wait_dscnt 0x12
	v_dual_add_f32 v1, v68, v1 :: v_dual_add_f32 v6, v54, v6
	v_dual_add_f32 v3, v65, v3 :: v_dual_add_f32 v4, v64, v4
	s_wait_dscnt 0x11
	v_dual_add_f32 v9, v51, v9 :: v_dual_add_f32 v48, v48, v12
	s_wait_dscnt 0x10
	v_add_f32_e32 v39, v39, v14
	s_wait_dscnt 0xf
	v_add_f32_e32 v31, v31, v16
	ds_bpermute_b32 v12, v13, v0
	ds_bpermute_b32 v14, v13, v1
	;; [unrolled: 1-line block ×4, first 2 shown]
	s_wait_dscnt 0x12
	v_dual_add_f32 v2, v67, v2 :: v_dual_and_b32 v69, 0x3c3, v40
	s_wait_dscnt 0xf
	v_dual_add_f32 v5, v55, v5 :: v_dual_add_f32 v8, v52, v8
	s_wait_dscnt 0xe
	v_dual_add_f32 v7, v53, v7 :: v_dual_add_f32 v10, v50, v10
	s_wait_dscnt 0xb
	v_dual_add_f32 v11, v49, v11 :: v_dual_add_f32 v30, v30, v17
	s_wait_dscnt 0xa
	v_dual_add_f32 v38, v38, v15 :: v_dual_add_f32 v29, v29, v22
	s_wait_dscnt 0x8
	v_dual_add_f32 v28, v28, v23 :: v_dual_add_f32 v25, v25, v33
	s_wait_dscnt 0x6
	v_dual_add_f32 v24, v24, v34 :: v_dual_add_f32 v33, v21, v35
	s_wait_dscnt 0x4
	v_dual_add_f32 v34, v20, v36 :: v_dual_add_f32 v35, v19, v18
	ds_bpermute_b32 v15, v13, v2
	ds_bpermute_b32 v17, v13, v4
	;; [unrolled: 1-line block ×18, first 2 shown]
	s_wait_dscnt 0x14
	v_dual_add_f32 v23, v0, v12 :: v_dual_add_f32 v22, v1, v14
	s_wait_dscnt 0x13
	v_add_f32_e32 v20, v3, v16
	ds_bpermute_b32 v80, v13, v33
	s_wait_dscnt 0x13
	v_add_f32_e32 v14, v9, v51
	ds_bpermute_b32 v82, v13, v35
	v_lshrrev_b32_e32 v27, 2, v43
	v_mul_u32_u24_e32 v32, 0x300, v41
	s_wait_dscnt 0x11
	v_dual_add_f32 v21, v2, v15 :: v_dual_add_f32 v18, v5, v18
	v_add_f32_e32 v19, v4, v17
	s_wait_dscnt 0xf
	v_dual_add_f32 v17, v6, v36 :: v_dual_add_f32 v16, v7, v49
	s_wait_dscnt 0xc
	v_dual_add_f32 v15, v8, v50 :: v_dual_add_f32 v12, v11, v53
	;; [unrolled: 2-line block ×4, first 2 shown]
	v_dual_add_f32 v10, v39, v55 :: v_dual_add_f32 v9, v38, v64
	s_wait_dscnt 0x4
	v_add_f32_e32 v4, v25, v70
	s_wait_dscnt 0x1
	v_dual_add_f32 v7, v30, v66 :: v_dual_add_f32 v2, v33, v80
	s_wait_dscnt 0x0
	v_dual_add_f32 v5, v28, v68 :: v_dual_add_f32 v0, v35, v82
	v_add_f32_e32 v3, v24, v71
	v_add_f32_e32 v1, v34, v81
	s_mov_b32 s0, exec_lo
	s_wait_loadcnt 0x0
	v_add_nc_u32_e32 v25, v26, v37
	v_cmpx_eq_u32_e32 64, v69
	s_cbranch_execz .LBB309_3154
; %bb.3153:
	s_delay_alu instid0(VALU_DEP_2) | instskip(NEXT) | instid1(VALU_DEP_1)
	v_add_nc_u32_e32 v24, v25, v32
	v_add_nc_u32_e32 v28, 0xfffffa00, v24
	;; [unrolled: 1-line block ×9, first 2 shown]
	ds_store_b32 v28, v23
	ds_store_b32 v29, v22
	;; [unrolled: 1-line block ×8, first 2 shown]
	v_add_nc_u32_e32 v28, 0xfffffb00, v24
	v_add_nc_u32_e32 v29, 0xfffffb20, v24
	v_add_nc_u32_e32 v30, 0xfffffb40, v24
	v_add_nc_u32_e32 v31, 0xfffffb60, v24
	v_add_nc_u32_e32 v33, 0xfffffb80, v24
	v_add_nc_u32_e32 v34, 0xfffffba0, v24
	v_add_nc_u32_e32 v35, 0xfffffbc0, v24
	v_add_nc_u32_e32 v36, 0xfffffbe0, v24
	ds_store_b32 v28, v15
	ds_store_b32 v29, v14
	;; [unrolled: 1-line block ×8, first 2 shown]
	v_add_nc_u32_e32 v28, 0xfffffc00, v24
	v_add_nc_u32_e32 v29, 0xfffffc20, v24
	;; [unrolled: 1-line block ×8, first 2 shown]
	ds_store_b32 v28, v7
	ds_store_b32 v29, v6
	;; [unrolled: 1-line block ×8, first 2 shown]
.LBB309_3154:
	s_wait_alu 0xfffe
	s_or_b32 exec_lo, exec_lo, s0
	v_and_b32_e32 v24, 3, v40
	v_lshlrev_b32_e32 v27, 2, v27
	s_mov_b32 s3, exec_lo
	s_wait_dscnt 0x0
	s_barrier_signal -1
	v_cmp_eq_u32_e32 vcc_lo, 0, v24
	v_add3_u32 v24, v26, v32, v27
	s_barrier_wait -1
	global_inv scope:SCOPE_SE
	v_cmpx_gt_u32_e32 64, v40
	s_cbranch_execz .LBB309_3181
; %bb.3155:
	s_and_saveexec_b32 s0, vcc_lo
	s_cbranch_execnz .LBB309_3213
; %bb.3156:
	s_wait_alu 0xfffe
	s_or_b32 exec_lo, exec_lo, s0
	s_and_saveexec_b32 s0, vcc_lo
	s_cbranch_execnz .LBB309_3214
.LBB309_3157:
	s_wait_alu 0xfffe
	s_or_b32 exec_lo, exec_lo, s0
	s_and_saveexec_b32 s0, vcc_lo
	s_cbranch_execnz .LBB309_3215
.LBB309_3158:
	s_wait_alu 0xfffe
	s_or_b32 exec_lo, exec_lo, s0
	s_and_saveexec_b32 s0, vcc_lo
	s_cbranch_execnz .LBB309_3216
.LBB309_3159:
	s_wait_alu 0xfffe
	s_or_b32 exec_lo, exec_lo, s0
	s_and_saveexec_b32 s0, vcc_lo
	s_cbranch_execnz .LBB309_3217
.LBB309_3160:
	s_wait_alu 0xfffe
	s_or_b32 exec_lo, exec_lo, s0
	s_and_saveexec_b32 s0, vcc_lo
	s_cbranch_execnz .LBB309_3218
.LBB309_3161:
	s_wait_alu 0xfffe
	s_or_b32 exec_lo, exec_lo, s0
	s_and_saveexec_b32 s0, vcc_lo
	s_cbranch_execnz .LBB309_3219
.LBB309_3162:
	s_wait_alu 0xfffe
	s_or_b32 exec_lo, exec_lo, s0
	s_and_saveexec_b32 s0, vcc_lo
	s_cbranch_execnz .LBB309_3220
.LBB309_3163:
	s_wait_alu 0xfffe
	s_or_b32 exec_lo, exec_lo, s0
	s_and_saveexec_b32 s0, vcc_lo
	s_cbranch_execnz .LBB309_3221
.LBB309_3164:
	s_wait_alu 0xfffe
	s_or_b32 exec_lo, exec_lo, s0
	s_and_saveexec_b32 s0, vcc_lo
	s_cbranch_execnz .LBB309_3222
.LBB309_3165:
	s_wait_alu 0xfffe
	s_or_b32 exec_lo, exec_lo, s0
	s_and_saveexec_b32 s0, vcc_lo
	s_cbranch_execnz .LBB309_3223
.LBB309_3166:
	s_wait_alu 0xfffe
	s_or_b32 exec_lo, exec_lo, s0
	s_and_saveexec_b32 s0, vcc_lo
	s_cbranch_execnz .LBB309_3224
.LBB309_3167:
	s_wait_alu 0xfffe
	s_or_b32 exec_lo, exec_lo, s0
	s_and_saveexec_b32 s0, vcc_lo
	s_cbranch_execnz .LBB309_3225
.LBB309_3168:
	s_wait_alu 0xfffe
	s_or_b32 exec_lo, exec_lo, s0
	s_and_saveexec_b32 s0, vcc_lo
	s_cbranch_execnz .LBB309_3226
.LBB309_3169:
	s_wait_alu 0xfffe
	s_or_b32 exec_lo, exec_lo, s0
	s_and_saveexec_b32 s0, vcc_lo
	s_cbranch_execnz .LBB309_3227
.LBB309_3170:
	s_wait_alu 0xfffe
	s_or_b32 exec_lo, exec_lo, s0
	s_and_saveexec_b32 s0, vcc_lo
	s_cbranch_execnz .LBB309_3228
.LBB309_3171:
	s_wait_alu 0xfffe
	s_or_b32 exec_lo, exec_lo, s0
	s_and_saveexec_b32 s0, vcc_lo
	s_cbranch_execnz .LBB309_3229
.LBB309_3172:
	s_wait_alu 0xfffe
	s_or_b32 exec_lo, exec_lo, s0
	s_and_saveexec_b32 s0, vcc_lo
	s_cbranch_execnz .LBB309_3230
.LBB309_3173:
	s_wait_alu 0xfffe
	s_or_b32 exec_lo, exec_lo, s0
	s_and_saveexec_b32 s0, vcc_lo
	s_cbranch_execnz .LBB309_3231
.LBB309_3174:
	s_wait_alu 0xfffe
	s_or_b32 exec_lo, exec_lo, s0
	s_and_saveexec_b32 s0, vcc_lo
	s_cbranch_execnz .LBB309_3232
.LBB309_3175:
	s_wait_alu 0xfffe
	s_or_b32 exec_lo, exec_lo, s0
	s_and_saveexec_b32 s0, vcc_lo
	s_cbranch_execnz .LBB309_3233
.LBB309_3176:
	s_wait_alu 0xfffe
	s_or_b32 exec_lo, exec_lo, s0
	s_and_saveexec_b32 s0, vcc_lo
	s_cbranch_execnz .LBB309_3234
.LBB309_3177:
	s_wait_alu 0xfffe
	s_or_b32 exec_lo, exec_lo, s0
	s_and_saveexec_b32 s0, vcc_lo
	s_cbranch_execnz .LBB309_3235
.LBB309_3178:
	s_wait_alu 0xfffe
	s_or_b32 exec_lo, exec_lo, s0
	s_and_saveexec_b32 s0, vcc_lo
	s_cbranch_execz .LBB309_3180
.LBB309_3179:
	ds_load_b32 v26, v24 offset:736
	s_wait_dscnt 0x0
	v_add_f32_e32 v0, v26, v0
.LBB309_3180:
	s_wait_alu 0xfffe
	s_or_b32 exec_lo, exec_lo, s0
.LBB309_3181:
	s_wait_alu 0xfffe
	s_or_b32 exec_lo, exec_lo, s3
	v_and_b32_e32 v26, 0x3e3, v40
	s_mov_b32 s3, exec_lo
	s_wait_loadcnt 0x0
	s_barrier_signal -1
	s_barrier_wait -1
	global_inv scope:SCOPE_SE
	v_cmpx_eq_u32_e32 32, v26
	s_cbranch_execz .LBB309_3183
; %bb.3182:
	ds_store_2addr_b32 v25, v23, v22 offset1:8
	ds_store_2addr_b32 v25, v21, v20 offset0:16 offset1:24
	ds_store_2addr_b32 v25, v19, v18 offset0:32 offset1:40
	;; [unrolled: 1-line block ×11, first 2 shown]
.LBB309_3183:
	s_wait_alu 0xfffe
	s_or_b32 exec_lo, exec_lo, s3
	s_delay_alu instid0(SALU_CYCLE_1)
	s_mov_b32 s3, exec_lo
	s_wait_loadcnt_dscnt 0x0
	s_barrier_signal -1
	s_barrier_wait -1
	global_inv scope:SCOPE_SE
	v_cmpx_gt_u32_e32 32, v40
	s_cbranch_execz .LBB309_3210
; %bb.3184:
	s_and_saveexec_b32 s0, vcc_lo
	s_cbranch_execnz .LBB309_3236
; %bb.3185:
	s_wait_alu 0xfffe
	s_or_b32 exec_lo, exec_lo, s0
	s_and_saveexec_b32 s0, vcc_lo
	s_cbranch_execnz .LBB309_3237
.LBB309_3186:
	s_wait_alu 0xfffe
	s_or_b32 exec_lo, exec_lo, s0
	s_and_saveexec_b32 s0, vcc_lo
	s_cbranch_execnz .LBB309_3238
.LBB309_3187:
	s_wait_alu 0xfffe
	s_or_b32 exec_lo, exec_lo, s0
	s_and_saveexec_b32 s0, vcc_lo
	s_cbranch_execnz .LBB309_3239
.LBB309_3188:
	s_wait_alu 0xfffe
	s_or_b32 exec_lo, exec_lo, s0
	s_and_saveexec_b32 s0, vcc_lo
	s_cbranch_execnz .LBB309_3240
.LBB309_3189:
	s_wait_alu 0xfffe
	s_or_b32 exec_lo, exec_lo, s0
	s_and_saveexec_b32 s0, vcc_lo
	s_cbranch_execnz .LBB309_3241
.LBB309_3190:
	s_wait_alu 0xfffe
	s_or_b32 exec_lo, exec_lo, s0
	s_and_saveexec_b32 s0, vcc_lo
	s_cbranch_execnz .LBB309_3242
.LBB309_3191:
	s_wait_alu 0xfffe
	s_or_b32 exec_lo, exec_lo, s0
	s_and_saveexec_b32 s0, vcc_lo
	s_cbranch_execnz .LBB309_3243
.LBB309_3192:
	s_wait_alu 0xfffe
	s_or_b32 exec_lo, exec_lo, s0
	s_and_saveexec_b32 s0, vcc_lo
	s_cbranch_execnz .LBB309_3244
.LBB309_3193:
	s_wait_alu 0xfffe
	s_or_b32 exec_lo, exec_lo, s0
	s_and_saveexec_b32 s0, vcc_lo
	s_cbranch_execnz .LBB309_3245
.LBB309_3194:
	s_wait_alu 0xfffe
	s_or_b32 exec_lo, exec_lo, s0
	s_and_saveexec_b32 s0, vcc_lo
	s_cbranch_execnz .LBB309_3246
.LBB309_3195:
	s_wait_alu 0xfffe
	s_or_b32 exec_lo, exec_lo, s0
	s_and_saveexec_b32 s0, vcc_lo
	s_cbranch_execnz .LBB309_3247
.LBB309_3196:
	s_wait_alu 0xfffe
	s_or_b32 exec_lo, exec_lo, s0
	s_and_saveexec_b32 s0, vcc_lo
	s_cbranch_execnz .LBB309_3248
.LBB309_3197:
	s_wait_alu 0xfffe
	s_or_b32 exec_lo, exec_lo, s0
	s_and_saveexec_b32 s0, vcc_lo
	s_cbranch_execnz .LBB309_3249
.LBB309_3198:
	s_wait_alu 0xfffe
	s_or_b32 exec_lo, exec_lo, s0
	s_and_saveexec_b32 s0, vcc_lo
	s_cbranch_execnz .LBB309_3250
.LBB309_3199:
	s_wait_alu 0xfffe
	s_or_b32 exec_lo, exec_lo, s0
	s_and_saveexec_b32 s0, vcc_lo
	s_cbranch_execnz .LBB309_3251
.LBB309_3200:
	s_wait_alu 0xfffe
	s_or_b32 exec_lo, exec_lo, s0
	s_and_saveexec_b32 s0, vcc_lo
	s_cbranch_execnz .LBB309_3252
.LBB309_3201:
	s_wait_alu 0xfffe
	s_or_b32 exec_lo, exec_lo, s0
	s_and_saveexec_b32 s0, vcc_lo
	s_cbranch_execnz .LBB309_3253
.LBB309_3202:
	s_wait_alu 0xfffe
	s_or_b32 exec_lo, exec_lo, s0
	s_and_saveexec_b32 s0, vcc_lo
	s_cbranch_execnz .LBB309_3254
.LBB309_3203:
	s_wait_alu 0xfffe
	s_or_b32 exec_lo, exec_lo, s0
	s_and_saveexec_b32 s0, vcc_lo
	s_cbranch_execnz .LBB309_3255
.LBB309_3204:
	s_wait_alu 0xfffe
	s_or_b32 exec_lo, exec_lo, s0
	s_and_saveexec_b32 s0, vcc_lo
	s_cbranch_execnz .LBB309_3256
.LBB309_3205:
	s_wait_alu 0xfffe
	s_or_b32 exec_lo, exec_lo, s0
	s_and_saveexec_b32 s0, vcc_lo
	s_cbranch_execnz .LBB309_3257
.LBB309_3206:
	s_wait_alu 0xfffe
	s_or_b32 exec_lo, exec_lo, s0
	s_and_saveexec_b32 s0, vcc_lo
	s_cbranch_execnz .LBB309_3258
.LBB309_3207:
	s_wait_alu 0xfffe
	s_or_b32 exec_lo, exec_lo, s0
	s_and_saveexec_b32 s0, vcc_lo
	s_cbranch_execz .LBB309_3209
.LBB309_3208:
	ds_load_b32 v24, v24 offset:736
	s_wait_dscnt 0x0
	v_add_f32_e32 v0, v24, v0
.LBB309_3209:
	s_wait_alu 0xfffe
	s_or_b32 exec_lo, exec_lo, s0
.LBB309_3210:
	s_wait_alu 0xfffe
	s_or_b32 exec_lo, exec_lo, s3
	v_cmp_eq_u32_e32 vcc_lo, 0, v26
	s_wait_loadcnt 0x0
	s_barrier_signal -1
	s_barrier_wait -1
	global_inv scope:SCOPE_SE
	s_and_b32 exec_lo, exec_lo, vcc_lo
	s_cbranch_execz .LBB309_3212
; %bb.3211:
	s_mul_i32 s0, s2, 0xc0
	s_mul_i32 s2, s4, s1
	s_wait_alu 0xfffe
	s_ashr_i32 s1, s0, 31
	s_ashr_i32 s3, s2, 31
	s_wait_alu 0xfffe
	s_lshl_b64 s[0:1], s[0:1], 1
	s_mulk_i32 s11, 0x180
	s_wait_alu 0xfffe
	v_add_co_u32 v24, vcc_lo, v183, s0
	s_wait_alu 0xfffd
	v_add_co_ci_u32_e64 v25, null, s1, v182, vcc_lo
	s_lshl_b64 s[0:1], s[2:3], 1
	v_lshrrev_b32_e32 v26, 1, v40
	s_wait_alu 0xfffe
	v_add_co_u32 v24, vcc_lo, v24, s0
	s_wait_alu 0xfffd
	v_add_co_ci_u32_e64 v25, null, s1, v25, vcc_lo
	;;#ASMSTART
	v_cvt_f16_f32 v23, v23;

	;;#ASMEND
	s_delay_alu instid0(VALU_DEP_2) | instskip(SKIP_1) | instid1(VALU_DEP_2)
	v_add_co_u32 v24, vcc_lo, v24, s11
	s_wait_alu 0xfffd
	v_add_co_ci_u32_e64 v25, null, 0, v25, vcc_lo
	s_delay_alu instid0(VALU_DEP_2) | instskip(SKIP_1) | instid1(VALU_DEP_2)
	v_add_co_u32 v24, vcc_lo, v24, v26
	s_wait_alu 0xfffd
	v_add_co_ci_u32_e64 v25, null, 0, v25, vcc_lo
	flat_store_b16 v[24:25], v23
	;;#ASMSTART
	v_cvt_f16_f32 v22, v22;

	;;#ASMEND
	flat_store_b16 v[24:25], v22 offset:16
	;;#ASMSTART
	v_cvt_f16_f32 v21, v21;

	;;#ASMEND
	flat_store_b16 v[24:25], v21 offset:32
	;; [unrolled: 5-line block ×23, first 2 shown]
.LBB309_3212:
	s_or_b32 exec_lo, exec_lo, s10
	s_clause 0x1f
	scratch_load_b32 v191, off, s32
	scratch_load_b32 v190, off, s32 offset:4
	scratch_load_b32 v189, off, s32 offset:8
	;; [unrolled: 1-line block ×31, first 2 shown]
	s_clause 0x1f
	scratch_load_b32 v127, off, s32 offset:128
	scratch_load_b32 v126, off, s32 offset:132
	;; [unrolled: 1-line block ×32, first 2 shown]
	s_clause 0xf
	scratch_load_b32 v63, off, s32 offset:256
	scratch_load_b32 v62, off, s32 offset:260
	;; [unrolled: 1-line block ×16, first 2 shown]
	s_wait_loadcnt_dscnt 0x0
	s_setpc_b64 s[30:31]
.LBB309_3213:
	ds_load_b32 v26, v24
	s_wait_dscnt 0x0
	v_add_f32_e32 v23, v26, v23
	s_wait_alu 0xfffe
	s_or_b32 exec_lo, exec_lo, s0
	s_and_saveexec_b32 s0, vcc_lo
	s_cbranch_execz .LBB309_3157
.LBB309_3214:
	ds_load_b32 v26, v24 offset:32
	s_wait_dscnt 0x0
	v_add_f32_e32 v22, v26, v22
	s_wait_alu 0xfffe
	s_or_b32 exec_lo, exec_lo, s0
	s_and_saveexec_b32 s0, vcc_lo
	s_cbranch_execz .LBB309_3158
.LBB309_3215:
	ds_load_b32 v26, v24 offset:64
	s_wait_dscnt 0x0
	v_add_f32_e32 v21, v26, v21
	s_wait_alu 0xfffe
	s_or_b32 exec_lo, exec_lo, s0
	s_and_saveexec_b32 s0, vcc_lo
	s_cbranch_execz .LBB309_3159
.LBB309_3216:
	ds_load_b32 v26, v24 offset:96
	s_wait_dscnt 0x0
	v_add_f32_e32 v20, v26, v20
	s_wait_alu 0xfffe
	s_or_b32 exec_lo, exec_lo, s0
	s_and_saveexec_b32 s0, vcc_lo
	s_cbranch_execz .LBB309_3160
.LBB309_3217:
	ds_load_b32 v26, v24 offset:128
	s_wait_dscnt 0x0
	v_add_f32_e32 v19, v26, v19
	s_wait_alu 0xfffe
	s_or_b32 exec_lo, exec_lo, s0
	s_and_saveexec_b32 s0, vcc_lo
	s_cbranch_execz .LBB309_3161
.LBB309_3218:
	ds_load_b32 v26, v24 offset:160
	s_wait_dscnt 0x0
	v_add_f32_e32 v18, v26, v18
	s_wait_alu 0xfffe
	s_or_b32 exec_lo, exec_lo, s0
	s_and_saveexec_b32 s0, vcc_lo
	s_cbranch_execz .LBB309_3162
.LBB309_3219:
	ds_load_b32 v26, v24 offset:192
	s_wait_dscnt 0x0
	v_add_f32_e32 v17, v26, v17
	s_wait_alu 0xfffe
	s_or_b32 exec_lo, exec_lo, s0
	s_and_saveexec_b32 s0, vcc_lo
	s_cbranch_execz .LBB309_3163
.LBB309_3220:
	ds_load_b32 v26, v24 offset:224
	s_wait_dscnt 0x0
	v_add_f32_e32 v16, v26, v16
	s_wait_alu 0xfffe
	s_or_b32 exec_lo, exec_lo, s0
	s_and_saveexec_b32 s0, vcc_lo
	s_cbranch_execz .LBB309_3164
.LBB309_3221:
	ds_load_b32 v26, v24 offset:256
	s_wait_dscnt 0x0
	v_add_f32_e32 v15, v26, v15
	s_wait_alu 0xfffe
	s_or_b32 exec_lo, exec_lo, s0
	s_and_saveexec_b32 s0, vcc_lo
	s_cbranch_execz .LBB309_3165
.LBB309_3222:
	ds_load_b32 v26, v24 offset:288
	s_wait_dscnt 0x0
	v_add_f32_e32 v14, v26, v14
	s_wait_alu 0xfffe
	s_or_b32 exec_lo, exec_lo, s0
	s_and_saveexec_b32 s0, vcc_lo
	s_cbranch_execz .LBB309_3166
.LBB309_3223:
	ds_load_b32 v26, v24 offset:320
	s_wait_dscnt 0x0
	v_add_f32_e32 v13, v26, v13
	s_wait_alu 0xfffe
	s_or_b32 exec_lo, exec_lo, s0
	s_and_saveexec_b32 s0, vcc_lo
	s_cbranch_execz .LBB309_3167
.LBB309_3224:
	ds_load_b32 v26, v24 offset:352
	s_wait_dscnt 0x0
	v_add_f32_e32 v12, v26, v12
	s_wait_alu 0xfffe
	s_or_b32 exec_lo, exec_lo, s0
	s_and_saveexec_b32 s0, vcc_lo
	s_cbranch_execz .LBB309_3168
.LBB309_3225:
	ds_load_b32 v26, v24 offset:384
	s_wait_dscnt 0x0
	v_add_f32_e32 v11, v26, v11
	s_wait_alu 0xfffe
	s_or_b32 exec_lo, exec_lo, s0
	s_and_saveexec_b32 s0, vcc_lo
	s_cbranch_execz .LBB309_3169
.LBB309_3226:
	ds_load_b32 v26, v24 offset:416
	s_wait_dscnt 0x0
	v_add_f32_e32 v10, v26, v10
	s_wait_alu 0xfffe
	s_or_b32 exec_lo, exec_lo, s0
	s_and_saveexec_b32 s0, vcc_lo
	s_cbranch_execz .LBB309_3170
.LBB309_3227:
	ds_load_b32 v26, v24 offset:448
	s_wait_dscnt 0x0
	v_add_f32_e32 v9, v26, v9
	s_wait_alu 0xfffe
	s_or_b32 exec_lo, exec_lo, s0
	s_and_saveexec_b32 s0, vcc_lo
	s_cbranch_execz .LBB309_3171
.LBB309_3228:
	ds_load_b32 v26, v24 offset:480
	s_wait_dscnt 0x0
	v_add_f32_e32 v8, v26, v8
	s_wait_alu 0xfffe
	s_or_b32 exec_lo, exec_lo, s0
	s_and_saveexec_b32 s0, vcc_lo
	s_cbranch_execz .LBB309_3172
.LBB309_3229:
	ds_load_b32 v26, v24 offset:512
	s_wait_dscnt 0x0
	v_add_f32_e32 v7, v26, v7
	s_wait_alu 0xfffe
	s_or_b32 exec_lo, exec_lo, s0
	s_and_saveexec_b32 s0, vcc_lo
	s_cbranch_execz .LBB309_3173
.LBB309_3230:
	ds_load_b32 v26, v24 offset:544
	s_wait_dscnt 0x0
	v_add_f32_e32 v6, v26, v6
	s_wait_alu 0xfffe
	s_or_b32 exec_lo, exec_lo, s0
	s_and_saveexec_b32 s0, vcc_lo
	s_cbranch_execz .LBB309_3174
.LBB309_3231:
	ds_load_b32 v26, v24 offset:576
	s_wait_dscnt 0x0
	v_add_f32_e32 v5, v26, v5
	s_wait_alu 0xfffe
	s_or_b32 exec_lo, exec_lo, s0
	s_and_saveexec_b32 s0, vcc_lo
	s_cbranch_execz .LBB309_3175
.LBB309_3232:
	ds_load_b32 v26, v24 offset:608
	s_wait_dscnt 0x0
	v_add_f32_e32 v4, v26, v4
	s_wait_alu 0xfffe
	s_or_b32 exec_lo, exec_lo, s0
	s_and_saveexec_b32 s0, vcc_lo
	s_cbranch_execz .LBB309_3176
.LBB309_3233:
	ds_load_b32 v26, v24 offset:640
	s_wait_dscnt 0x0
	v_add_f32_e32 v3, v26, v3
	s_wait_alu 0xfffe
	s_or_b32 exec_lo, exec_lo, s0
	s_and_saveexec_b32 s0, vcc_lo
	s_cbranch_execz .LBB309_3177
.LBB309_3234:
	ds_load_b32 v26, v24 offset:672
	s_wait_dscnt 0x0
	v_add_f32_e32 v2, v26, v2
	s_wait_alu 0xfffe
	s_or_b32 exec_lo, exec_lo, s0
	s_and_saveexec_b32 s0, vcc_lo
	s_cbranch_execz .LBB309_3178
.LBB309_3235:
	ds_load_b32 v26, v24 offset:704
	s_wait_dscnt 0x0
	v_add_f32_e32 v1, v26, v1
	s_wait_alu 0xfffe
	s_or_b32 exec_lo, exec_lo, s0
	s_and_saveexec_b32 s0, vcc_lo
	s_cbranch_execnz .LBB309_3179
	s_branch .LBB309_3180
.LBB309_3236:
	ds_load_b32 v25, v24
	s_wait_dscnt 0x0
	v_add_f32_e32 v23, v25, v23
	s_wait_alu 0xfffe
	s_or_b32 exec_lo, exec_lo, s0
	s_and_saveexec_b32 s0, vcc_lo
	s_cbranch_execz .LBB309_3186
.LBB309_3237:
	ds_load_b32 v25, v24 offset:32
	s_wait_dscnt 0x0
	v_add_f32_e32 v22, v25, v22
	s_wait_alu 0xfffe
	s_or_b32 exec_lo, exec_lo, s0
	s_and_saveexec_b32 s0, vcc_lo
	s_cbranch_execz .LBB309_3187
.LBB309_3238:
	ds_load_b32 v25, v24 offset:64
	s_wait_dscnt 0x0
	v_add_f32_e32 v21, v25, v21
	s_wait_alu 0xfffe
	s_or_b32 exec_lo, exec_lo, s0
	s_and_saveexec_b32 s0, vcc_lo
	s_cbranch_execz .LBB309_3188
.LBB309_3239:
	ds_load_b32 v25, v24 offset:96
	s_wait_dscnt 0x0
	v_add_f32_e32 v20, v25, v20
	s_wait_alu 0xfffe
	s_or_b32 exec_lo, exec_lo, s0
	s_and_saveexec_b32 s0, vcc_lo
	s_cbranch_execz .LBB309_3189
.LBB309_3240:
	ds_load_b32 v25, v24 offset:128
	s_wait_dscnt 0x0
	v_add_f32_e32 v19, v25, v19
	s_wait_alu 0xfffe
	s_or_b32 exec_lo, exec_lo, s0
	s_and_saveexec_b32 s0, vcc_lo
	s_cbranch_execz .LBB309_3190
.LBB309_3241:
	ds_load_b32 v25, v24 offset:160
	s_wait_dscnt 0x0
	v_add_f32_e32 v18, v25, v18
	s_wait_alu 0xfffe
	s_or_b32 exec_lo, exec_lo, s0
	s_and_saveexec_b32 s0, vcc_lo
	s_cbranch_execz .LBB309_3191
.LBB309_3242:
	ds_load_b32 v25, v24 offset:192
	s_wait_dscnt 0x0
	v_add_f32_e32 v17, v25, v17
	s_wait_alu 0xfffe
	s_or_b32 exec_lo, exec_lo, s0
	s_and_saveexec_b32 s0, vcc_lo
	s_cbranch_execz .LBB309_3192
.LBB309_3243:
	ds_load_b32 v25, v24 offset:224
	s_wait_dscnt 0x0
	v_add_f32_e32 v16, v25, v16
	s_wait_alu 0xfffe
	s_or_b32 exec_lo, exec_lo, s0
	s_and_saveexec_b32 s0, vcc_lo
	s_cbranch_execz .LBB309_3193
.LBB309_3244:
	ds_load_b32 v25, v24 offset:256
	s_wait_dscnt 0x0
	v_add_f32_e32 v15, v25, v15
	s_wait_alu 0xfffe
	s_or_b32 exec_lo, exec_lo, s0
	s_and_saveexec_b32 s0, vcc_lo
	s_cbranch_execz .LBB309_3194
.LBB309_3245:
	ds_load_b32 v25, v24 offset:288
	s_wait_dscnt 0x0
	v_add_f32_e32 v14, v25, v14
	s_wait_alu 0xfffe
	s_or_b32 exec_lo, exec_lo, s0
	s_and_saveexec_b32 s0, vcc_lo
	s_cbranch_execz .LBB309_3195
.LBB309_3246:
	ds_load_b32 v25, v24 offset:320
	s_wait_dscnt 0x0
	v_add_f32_e32 v13, v25, v13
	s_wait_alu 0xfffe
	s_or_b32 exec_lo, exec_lo, s0
	s_and_saveexec_b32 s0, vcc_lo
	s_cbranch_execz .LBB309_3196
.LBB309_3247:
	ds_load_b32 v25, v24 offset:352
	s_wait_dscnt 0x0
	v_add_f32_e32 v12, v25, v12
	s_wait_alu 0xfffe
	s_or_b32 exec_lo, exec_lo, s0
	s_and_saveexec_b32 s0, vcc_lo
	s_cbranch_execz .LBB309_3197
.LBB309_3248:
	ds_load_b32 v25, v24 offset:384
	s_wait_dscnt 0x0
	v_add_f32_e32 v11, v25, v11
	s_wait_alu 0xfffe
	s_or_b32 exec_lo, exec_lo, s0
	s_and_saveexec_b32 s0, vcc_lo
	s_cbranch_execz .LBB309_3198
.LBB309_3249:
	ds_load_b32 v25, v24 offset:416
	s_wait_dscnt 0x0
	v_add_f32_e32 v10, v25, v10
	s_wait_alu 0xfffe
	s_or_b32 exec_lo, exec_lo, s0
	s_and_saveexec_b32 s0, vcc_lo
	s_cbranch_execz .LBB309_3199
.LBB309_3250:
	ds_load_b32 v25, v24 offset:448
	s_wait_dscnt 0x0
	v_add_f32_e32 v9, v25, v9
	s_wait_alu 0xfffe
	s_or_b32 exec_lo, exec_lo, s0
	s_and_saveexec_b32 s0, vcc_lo
	s_cbranch_execz .LBB309_3200
.LBB309_3251:
	ds_load_b32 v25, v24 offset:480
	s_wait_dscnt 0x0
	v_add_f32_e32 v8, v25, v8
	s_wait_alu 0xfffe
	s_or_b32 exec_lo, exec_lo, s0
	s_and_saveexec_b32 s0, vcc_lo
	s_cbranch_execz .LBB309_3201
.LBB309_3252:
	ds_load_b32 v25, v24 offset:512
	s_wait_dscnt 0x0
	v_add_f32_e32 v7, v25, v7
	s_wait_alu 0xfffe
	s_or_b32 exec_lo, exec_lo, s0
	s_and_saveexec_b32 s0, vcc_lo
	s_cbranch_execz .LBB309_3202
.LBB309_3253:
	ds_load_b32 v25, v24 offset:544
	s_wait_dscnt 0x0
	v_add_f32_e32 v6, v25, v6
	s_wait_alu 0xfffe
	s_or_b32 exec_lo, exec_lo, s0
	s_and_saveexec_b32 s0, vcc_lo
	s_cbranch_execz .LBB309_3203
.LBB309_3254:
	ds_load_b32 v25, v24 offset:576
	s_wait_dscnt 0x0
	v_add_f32_e32 v5, v25, v5
	s_wait_alu 0xfffe
	s_or_b32 exec_lo, exec_lo, s0
	s_and_saveexec_b32 s0, vcc_lo
	s_cbranch_execz .LBB309_3204
.LBB309_3255:
	ds_load_b32 v25, v24 offset:608
	s_wait_dscnt 0x0
	v_add_f32_e32 v4, v25, v4
	s_wait_alu 0xfffe
	s_or_b32 exec_lo, exec_lo, s0
	s_and_saveexec_b32 s0, vcc_lo
	s_cbranch_execz .LBB309_3205
.LBB309_3256:
	ds_load_b32 v25, v24 offset:640
	s_wait_dscnt 0x0
	v_add_f32_e32 v3, v25, v3
	s_wait_alu 0xfffe
	s_or_b32 exec_lo, exec_lo, s0
	s_and_saveexec_b32 s0, vcc_lo
	s_cbranch_execz .LBB309_3206
.LBB309_3257:
	ds_load_b32 v25, v24 offset:672
	s_wait_dscnt 0x0
	v_add_f32_e32 v2, v25, v2
	s_wait_alu 0xfffe
	s_or_b32 exec_lo, exec_lo, s0
	s_and_saveexec_b32 s0, vcc_lo
	s_cbranch_execz .LBB309_3207
.LBB309_3258:
	ds_load_b32 v25, v24 offset:704
	s_wait_dscnt 0x0
	v_add_f32_e32 v1, v25, v1
	s_wait_alu 0xfffe
	s_or_b32 exec_lo, exec_lo, s0
	s_and_saveexec_b32 s0, vcc_lo
	s_cbranch_execnz .LBB309_3208
	s_branch .LBB309_3209
.Lfunc_end309:
	.size	_ZN4vllm22paged_attention_kernelIthLi192ELi32ELi128ELNS_18Fp8KVCacheDataTypeE1ELb0ELi512EEEvPfS2_PT_PKS3_PKT0_S9_ifPKiSB_iPKfiiiSD_SD_iiiii, .Lfunc_end309-_ZN4vllm22paged_attention_kernelIthLi192ELi32ELi128ELNS_18Fp8KVCacheDataTypeE1ELb0ELi512EEEvPfS2_PT_PKS3_PKT0_S9_ifPKiSB_iPKfiiiSD_SD_iiiii
                                        ; -- End function
	.set .L_ZN4vllm22paged_attention_kernelIthLi192ELi32ELi128ELNS_18Fp8KVCacheDataTypeE1ELb0ELi512EEEvPfS2_PT_PKS3_PKT0_S9_ifPKiSB_iPKfiiiSD_SD_iiiii.num_vgpr, 192
	.set .L_ZN4vllm22paged_attention_kernelIthLi192ELi32ELi128ELNS_18Fp8KVCacheDataTypeE1ELb0ELi512EEEvPfS2_PT_PKS3_PKT0_S9_ifPKiSB_iPKfiiiSD_SD_iiiii.num_agpr, 0
	.set .L_ZN4vllm22paged_attention_kernelIthLi192ELi32ELi128ELNS_18Fp8KVCacheDataTypeE1ELb0ELi512EEEvPfS2_PT_PKS3_PKT0_S9_ifPKiSB_iPKfiiiSD_SD_iiiii.numbered_sgpr, 33
	.set .L_ZN4vllm22paged_attention_kernelIthLi192ELi32ELi128ELNS_18Fp8KVCacheDataTypeE1ELb0ELi512EEEvPfS2_PT_PKS3_PKT0_S9_ifPKiSB_iPKfiiiSD_SD_iiiii.num_named_barrier, 0
	.set .L_ZN4vllm22paged_attention_kernelIthLi192ELi32ELi128ELNS_18Fp8KVCacheDataTypeE1ELb0ELi512EEEvPfS2_PT_PKS3_PKT0_S9_ifPKiSB_iPKfiiiSD_SD_iiiii.private_seg_size, 620
	.set .L_ZN4vllm22paged_attention_kernelIthLi192ELi32ELi128ELNS_18Fp8KVCacheDataTypeE1ELb0ELi512EEEvPfS2_PT_PKS3_PKT0_S9_ifPKiSB_iPKfiiiSD_SD_iiiii.uses_vcc, 1
	.set .L_ZN4vllm22paged_attention_kernelIthLi192ELi32ELi128ELNS_18Fp8KVCacheDataTypeE1ELb0ELi512EEEvPfS2_PT_PKS3_PKT0_S9_ifPKiSB_iPKfiiiSD_SD_iiiii.uses_flat_scratch, 1
	.set .L_ZN4vllm22paged_attention_kernelIthLi192ELi32ELi128ELNS_18Fp8KVCacheDataTypeE1ELb0ELi512EEEvPfS2_PT_PKS3_PKT0_S9_ifPKiSB_iPKfiiiSD_SD_iiiii.has_dyn_sized_stack, 0
	.set .L_ZN4vllm22paged_attention_kernelIthLi192ELi32ELi128ELNS_18Fp8KVCacheDataTypeE1ELb0ELi512EEEvPfS2_PT_PKS3_PKT0_S9_ifPKiSB_iPKfiiiSD_SD_iiiii.has_recursion, 0
	.set .L_ZN4vllm22paged_attention_kernelIthLi192ELi32ELi128ELNS_18Fp8KVCacheDataTypeE1ELb0ELi512EEEvPfS2_PT_PKS3_PKT0_S9_ifPKiSB_iPKfiiiSD_SD_iiiii.has_indirect_call, 0
	.section	.AMDGPU.csdata,"",@progbits
; Function info:
; codeLenInByte = 126632
; TotalNumSgprs: 35
; NumVgprs: 192
; ScratchSize: 620
; MemoryBound: 0
	.section	.text._ZN4vllm25paged_attention_v2_kernelIthLi192ELi32ELi128ELNS_18Fp8KVCacheDataTypeE1ELb0ELi512EEEvPfS2_PT_PKS3_PKT0_S9_ifPKiSB_iPKfiiiSD_SD_iiiii,"axG",@progbits,_ZN4vllm25paged_attention_v2_kernelIthLi192ELi32ELi128ELNS_18Fp8KVCacheDataTypeE1ELb0ELi512EEEvPfS2_PT_PKS3_PKT0_S9_ifPKiSB_iPKfiiiSD_SD_iiiii,comdat
	.protected	_ZN4vllm25paged_attention_v2_kernelIthLi192ELi32ELi128ELNS_18Fp8KVCacheDataTypeE1ELb0ELi512EEEvPfS2_PT_PKS3_PKT0_S9_ifPKiSB_iPKfiiiSD_SD_iiiii ; -- Begin function _ZN4vllm25paged_attention_v2_kernelIthLi192ELi32ELi128ELNS_18Fp8KVCacheDataTypeE1ELb0ELi512EEEvPfS2_PT_PKS3_PKT0_S9_ifPKiSB_iPKfiiiSD_SD_iiiii
	.globl	_ZN4vllm25paged_attention_v2_kernelIthLi192ELi32ELi128ELNS_18Fp8KVCacheDataTypeE1ELb0ELi512EEEvPfS2_PT_PKS3_PKT0_S9_ifPKiSB_iPKfiiiSD_SD_iiiii
	.p2align	8
	.type	_ZN4vllm25paged_attention_v2_kernelIthLi192ELi32ELi128ELNS_18Fp8KVCacheDataTypeE1ELb0ELi512EEEvPfS2_PT_PKS3_PKT0_S9_ifPKiSB_iPKfiiiSD_SD_iiiii,@function
_ZN4vllm25paged_attention_v2_kernelIthLi192ELi32ELi128ELNS_18Fp8KVCacheDataTypeE1ELb0ELi512EEEvPfS2_PT_PKS3_PKT0_S9_ifPKiSB_iPKfiiiSD_SD_iiiii: ; @_ZN4vllm25paged_attention_v2_kernelIthLi192ELi32ELi128ELNS_18Fp8KVCacheDataTypeE1ELb0ELi512EEEvPfS2_PT_PKS3_PKT0_S9_ifPKiSB_iPKfiiiSD_SD_iiiii
; %bb.0:
	s_clause 0x5
	s_load_b256 s[20:27], s[0:1], 0x0
	s_load_b256 s[12:19], s[0:1], 0x20
	s_load_b96 s[28:30], s[0:1], 0x40
	s_load_b64 s[10:11], s[0:1], 0x50
	s_load_b96 s[36:38], s[0:1], 0x58
	s_load_b128 s[4:7], s[0:1], 0x68
	v_mov_b32_e32 v31, v0
	s_getpc_b64 s[2:3]
	s_sext_i32_i16 s3, s3
	s_add_co_u32 s2, s2, _ZN4vllm22paged_attention_kernelIthLi192ELi32ELi128ELNS_18Fp8KVCacheDataTypeE1ELb0ELi512EEEvPfS2_PT_PKS3_PKT0_S9_ifPKiSB_iPKfiiiSD_SD_iiiii@rel32@lo+8
	s_add_co_ci_u32 s3, s3, _ZN4vllm22paged_attention_kernelIthLi192ELi32ELi128ELNS_18Fp8KVCacheDataTypeE1ELb0ELi512EEEvPfS2_PT_PKS3_PKT0_S9_ifPKiSB_iPKfiiiSD_SD_iiiii@rel32@hi+16
	s_add_nc_u64 s[8:9], s[0:1], 0x90
	s_mov_b32 s32, 0
	s_wait_kmcnt 0x0
	v_dual_mov_b32 v17, s29 :: v_dual_mov_b32 v18, s30
	v_dual_mov_b32 v0, s20 :: v_dual_mov_b32 v1, s21
	;; [unrolled: 1-line block ×14, first 2 shown]
	s_mov_b32 s15, 8
	s_wait_alu 0xfffe
	s_swappc_b64 s[30:31], s[2:3]
	s_endpgm
	.section	.rodata,"a",@progbits
	.p2align	6, 0x0
	.amdhsa_kernel _ZN4vllm25paged_attention_v2_kernelIthLi192ELi32ELi128ELNS_18Fp8KVCacheDataTypeE1ELb0ELi512EEEvPfS2_PT_PKS3_PKT0_S9_ifPKiSB_iPKfiiiSD_SD_iiiii
		.amdhsa_group_segment_fixed_size 416
		.amdhsa_private_segment_fixed_size 620
		.amdhsa_kernarg_size 400
		.amdhsa_user_sgpr_count 2
		.amdhsa_user_sgpr_dispatch_ptr 0
		.amdhsa_user_sgpr_queue_ptr 0
		.amdhsa_user_sgpr_kernarg_segment_ptr 1
		.amdhsa_user_sgpr_dispatch_id 0
		.amdhsa_user_sgpr_private_segment_size 0
		.amdhsa_wavefront_size32 1
		.amdhsa_uses_dynamic_stack 0
		.amdhsa_enable_private_segment 1
		.amdhsa_system_sgpr_workgroup_id_x 1
		.amdhsa_system_sgpr_workgroup_id_y 1
		.amdhsa_system_sgpr_workgroup_id_z 1
		.amdhsa_system_sgpr_workgroup_info 0
		.amdhsa_system_vgpr_workitem_id 0
		.amdhsa_next_free_vgpr 192
		.amdhsa_next_free_sgpr 39
		.amdhsa_reserve_vcc 1
		.amdhsa_float_round_mode_32 0
		.amdhsa_float_round_mode_16_64 0
		.amdhsa_float_denorm_mode_32 3
		.amdhsa_float_denorm_mode_16_64 3
		.amdhsa_fp16_overflow 0
		.amdhsa_workgroup_processor_mode 1
		.amdhsa_memory_ordered 1
		.amdhsa_forward_progress 1
		.amdhsa_inst_pref_size 2
		.amdhsa_round_robin_scheduling 0
		.amdhsa_exception_fp_ieee_invalid_op 0
		.amdhsa_exception_fp_denorm_src 0
		.amdhsa_exception_fp_ieee_div_zero 0
		.amdhsa_exception_fp_ieee_overflow 0
		.amdhsa_exception_fp_ieee_underflow 0
		.amdhsa_exception_fp_ieee_inexact 0
		.amdhsa_exception_int_div_zero 0
	.end_amdhsa_kernel
	.section	.text._ZN4vllm25paged_attention_v2_kernelIthLi192ELi32ELi128ELNS_18Fp8KVCacheDataTypeE1ELb0ELi512EEEvPfS2_PT_PKS3_PKT0_S9_ifPKiSB_iPKfiiiSD_SD_iiiii,"axG",@progbits,_ZN4vllm25paged_attention_v2_kernelIthLi192ELi32ELi128ELNS_18Fp8KVCacheDataTypeE1ELb0ELi512EEEvPfS2_PT_PKS3_PKT0_S9_ifPKiSB_iPKfiiiSD_SD_iiiii,comdat
.Lfunc_end310:
	.size	_ZN4vllm25paged_attention_v2_kernelIthLi192ELi32ELi128ELNS_18Fp8KVCacheDataTypeE1ELb0ELi512EEEvPfS2_PT_PKS3_PKT0_S9_ifPKiSB_iPKfiiiSD_SD_iiiii, .Lfunc_end310-_ZN4vllm25paged_attention_v2_kernelIthLi192ELi32ELi128ELNS_18Fp8KVCacheDataTypeE1ELb0ELi512EEEvPfS2_PT_PKS3_PKT0_S9_ifPKiSB_iPKfiiiSD_SD_iiiii
                                        ; -- End function
	.set _ZN4vllm25paged_attention_v2_kernelIthLi192ELi32ELi128ELNS_18Fp8KVCacheDataTypeE1ELb0ELi512EEEvPfS2_PT_PKS3_PKT0_S9_ifPKiSB_iPKfiiiSD_SD_iiiii.num_vgpr, max(32, .L_ZN4vllm22paged_attention_kernelIthLi192ELi32ELi128ELNS_18Fp8KVCacheDataTypeE1ELb0ELi512EEEvPfS2_PT_PKS3_PKT0_S9_ifPKiSB_iPKfiiiSD_SD_iiiii.num_vgpr)
	.set _ZN4vllm25paged_attention_v2_kernelIthLi192ELi32ELi128ELNS_18Fp8KVCacheDataTypeE1ELb0ELi512EEEvPfS2_PT_PKS3_PKT0_S9_ifPKiSB_iPKfiiiSD_SD_iiiii.num_agpr, max(0, .L_ZN4vllm22paged_attention_kernelIthLi192ELi32ELi128ELNS_18Fp8KVCacheDataTypeE1ELb0ELi512EEEvPfS2_PT_PKS3_PKT0_S9_ifPKiSB_iPKfiiiSD_SD_iiiii.num_agpr)
	.set _ZN4vllm25paged_attention_v2_kernelIthLi192ELi32ELi128ELNS_18Fp8KVCacheDataTypeE1ELb0ELi512EEEvPfS2_PT_PKS3_PKT0_S9_ifPKiSB_iPKfiiiSD_SD_iiiii.numbered_sgpr, max(39, .L_ZN4vllm22paged_attention_kernelIthLi192ELi32ELi128ELNS_18Fp8KVCacheDataTypeE1ELb0ELi512EEEvPfS2_PT_PKS3_PKT0_S9_ifPKiSB_iPKfiiiSD_SD_iiiii.numbered_sgpr)
	.set _ZN4vllm25paged_attention_v2_kernelIthLi192ELi32ELi128ELNS_18Fp8KVCacheDataTypeE1ELb0ELi512EEEvPfS2_PT_PKS3_PKT0_S9_ifPKiSB_iPKfiiiSD_SD_iiiii.num_named_barrier, max(0, .L_ZN4vllm22paged_attention_kernelIthLi192ELi32ELi128ELNS_18Fp8KVCacheDataTypeE1ELb0ELi512EEEvPfS2_PT_PKS3_PKT0_S9_ifPKiSB_iPKfiiiSD_SD_iiiii.num_named_barrier)
	.set _ZN4vllm25paged_attention_v2_kernelIthLi192ELi32ELi128ELNS_18Fp8KVCacheDataTypeE1ELb0ELi512EEEvPfS2_PT_PKS3_PKT0_S9_ifPKiSB_iPKfiiiSD_SD_iiiii.private_seg_size, 0+max(.L_ZN4vllm22paged_attention_kernelIthLi192ELi32ELi128ELNS_18Fp8KVCacheDataTypeE1ELb0ELi512EEEvPfS2_PT_PKS3_PKT0_S9_ifPKiSB_iPKfiiiSD_SD_iiiii.private_seg_size)
	.set _ZN4vllm25paged_attention_v2_kernelIthLi192ELi32ELi128ELNS_18Fp8KVCacheDataTypeE1ELb0ELi512EEEvPfS2_PT_PKS3_PKT0_S9_ifPKiSB_iPKfiiiSD_SD_iiiii.uses_vcc, or(1, .L_ZN4vllm22paged_attention_kernelIthLi192ELi32ELi128ELNS_18Fp8KVCacheDataTypeE1ELb0ELi512EEEvPfS2_PT_PKS3_PKT0_S9_ifPKiSB_iPKfiiiSD_SD_iiiii.uses_vcc)
	.set _ZN4vllm25paged_attention_v2_kernelIthLi192ELi32ELi128ELNS_18Fp8KVCacheDataTypeE1ELb0ELi512EEEvPfS2_PT_PKS3_PKT0_S9_ifPKiSB_iPKfiiiSD_SD_iiiii.uses_flat_scratch, or(0, .L_ZN4vllm22paged_attention_kernelIthLi192ELi32ELi128ELNS_18Fp8KVCacheDataTypeE1ELb0ELi512EEEvPfS2_PT_PKS3_PKT0_S9_ifPKiSB_iPKfiiiSD_SD_iiiii.uses_flat_scratch)
	.set _ZN4vllm25paged_attention_v2_kernelIthLi192ELi32ELi128ELNS_18Fp8KVCacheDataTypeE1ELb0ELi512EEEvPfS2_PT_PKS3_PKT0_S9_ifPKiSB_iPKfiiiSD_SD_iiiii.has_dyn_sized_stack, or(0, .L_ZN4vllm22paged_attention_kernelIthLi192ELi32ELi128ELNS_18Fp8KVCacheDataTypeE1ELb0ELi512EEEvPfS2_PT_PKS3_PKT0_S9_ifPKiSB_iPKfiiiSD_SD_iiiii.has_dyn_sized_stack)
	.set _ZN4vllm25paged_attention_v2_kernelIthLi192ELi32ELi128ELNS_18Fp8KVCacheDataTypeE1ELb0ELi512EEEvPfS2_PT_PKS3_PKT0_S9_ifPKiSB_iPKfiiiSD_SD_iiiii.has_recursion, or(0, .L_ZN4vllm22paged_attention_kernelIthLi192ELi32ELi128ELNS_18Fp8KVCacheDataTypeE1ELb0ELi512EEEvPfS2_PT_PKS3_PKT0_S9_ifPKiSB_iPKfiiiSD_SD_iiiii.has_recursion)
	.set _ZN4vllm25paged_attention_v2_kernelIthLi192ELi32ELi128ELNS_18Fp8KVCacheDataTypeE1ELb0ELi512EEEvPfS2_PT_PKS3_PKT0_S9_ifPKiSB_iPKfiiiSD_SD_iiiii.has_indirect_call, or(0, .L_ZN4vllm22paged_attention_kernelIthLi192ELi32ELi128ELNS_18Fp8KVCacheDataTypeE1ELb0ELi512EEEvPfS2_PT_PKS3_PKT0_S9_ifPKiSB_iPKfiiiSD_SD_iiiii.has_indirect_call)
	.section	.AMDGPU.csdata,"",@progbits
; Kernel info:
; codeLenInByte = 224
; TotalNumSgprs: 41
; NumVgprs: 192
; ScratchSize: 620
; MemoryBound: 0
; FloatMode: 240
; IeeeMode: 1
; LDSByteSize: 416 bytes/workgroup (compile time only)
; SGPRBlocks: 0
; VGPRBlocks: 23
; NumSGPRsForWavesPerEU: 41
; NumVGPRsForWavesPerEU: 192
; Occupancy: 8
; WaveLimiterHint : 1
; COMPUTE_PGM_RSRC2:SCRATCH_EN: 1
; COMPUTE_PGM_RSRC2:USER_SGPR: 2
; COMPUTE_PGM_RSRC2:TRAP_HANDLER: 0
; COMPUTE_PGM_RSRC2:TGID_X_EN: 1
; COMPUTE_PGM_RSRC2:TGID_Y_EN: 1
; COMPUTE_PGM_RSRC2:TGID_Z_EN: 1
; COMPUTE_PGM_RSRC2:TIDIG_COMP_CNT: 0
	.text
	.p2align	2                               ; -- Begin function _ZN4vllm22paged_attention_kernelIthLi256ELi32ELi128ELNS_18Fp8KVCacheDataTypeE1ELb0ELi512EEEvPfS2_PT_PKS3_PKT0_S9_ifPKiSB_iPKfiiiSD_SD_iiiii
	.type	_ZN4vllm22paged_attention_kernelIthLi256ELi32ELi128ELNS_18Fp8KVCacheDataTypeE1ELb0ELi512EEEvPfS2_PT_PKS3_PKT0_S9_ifPKiSB_iPKfiiiSD_SD_iiiii,@function
_ZN4vllm22paged_attention_kernelIthLi256ELi32ELi128ELNS_18Fp8KVCacheDataTypeE1ELb0ELi512EEEvPfS2_PT_PKS3_PKT0_S9_ifPKiSB_iPKfiiiSD_SD_iiiii: ; @_ZN4vllm22paged_attention_kernelIthLi256ELi32ELi128ELNS_18Fp8KVCacheDataTypeE1ELb0ELi512EEEvPfS2_PT_PKS3_PKT0_S9_ifPKiSB_iPKfiiiSD_SD_iiiii
; %bb.0:
	s_wait_loadcnt_dscnt 0x0
	s_wait_expcnt 0x0
	s_wait_samplecnt 0x0
	s_wait_bvhcnt 0x0
	s_wait_kmcnt 0x0
	s_and_b32 s5, ttmp7, 0xffff
	s_clause 0x1f
	scratch_store_b32 off, v40, s32 offset:316
	; meta instruction
	scratch_store_b32 off, v41, s32 offset:312
	; meta instruction
	;; [unrolled: 2-line block ×31, first 2 shown]
	scratch_store_b32 off, v95, s32 offset:192
	s_clause 0x1f
	scratch_store_b32 off, v104, s32 offset:188
	; meta instruction
	scratch_store_b32 off, v105, s32 offset:184
	; meta instruction
	scratch_store_b32 off, v106, s32 offset:180
	; meta instruction
	scratch_store_b32 off, v107, s32 offset:176
	; meta instruction
	scratch_store_b32 off, v108, s32 offset:172
	; meta instruction
	scratch_store_b32 off, v109, s32 offset:168
	; meta instruction
	scratch_store_b32 off, v110, s32 offset:164
	; meta instruction
	scratch_store_b32 off, v111, s32 offset:160
	; meta instruction
	scratch_store_b32 off, v120, s32 offset:156
	; meta instruction
	scratch_store_b32 off, v121, s32 offset:152
	; meta instruction
	scratch_store_b32 off, v122, s32 offset:148
	; meta instruction
	scratch_store_b32 off, v123, s32 offset:144
	; meta instruction
	scratch_store_b32 off, v124, s32 offset:140
	; meta instruction
	scratch_store_b32 off, v125, s32 offset:136
	; meta instruction
	scratch_store_b32 off, v126, s32 offset:132
	; meta instruction
	scratch_store_b32 off, v127, s32 offset:128
	; meta instruction
	scratch_store_b32 off, v136, s32 offset:124
	; meta instruction
	scratch_store_b32 off, v137, s32 offset:120
	; meta instruction
	scratch_store_b32 off, v138, s32 offset:116
	; meta instruction
	scratch_store_b32 off, v139, s32 offset:112
	; meta instruction
	scratch_store_b32 off, v140, s32 offset:108
	; meta instruction
	scratch_store_b32 off, v141, s32 offset:104
	; meta instruction
	scratch_store_b32 off, v142, s32 offset:100
	; meta instruction
	scratch_store_b32 off, v143, s32 offset:96
	; meta instruction
	scratch_store_b32 off, v152, s32 offset:92
	; meta instruction
	scratch_store_b32 off, v153, s32 offset:88
	; meta instruction
	scratch_store_b32 off, v154, s32 offset:84
	; meta instruction
	scratch_store_b32 off, v155, s32 offset:80
	; meta instruction
	scratch_store_b32 off, v156, s32 offset:76
	; meta instruction
	scratch_store_b32 off, v157, s32 offset:72
	; meta instruction
	scratch_store_b32 off, v158, s32 offset:68
	; meta instruction
	scratch_store_b32 off, v159, s32 offset:64
	s_clause 0x14
	scratch_store_b32 off, v168, s32 offset:60
	; meta instruction
	scratch_store_b32 off, v169, s32 offset:56
	; meta instruction
	;; [unrolled: 2-line block ×15, first 2 shown]
	scratch_store_b32 off, v191, s32
	; meta instruction
	scratch_store_b64 off, v[24:25], s32 offset:980
	scratch_store_b32 off, v22, s32 offset:648
	scratch_store_b32 off, v13, s32 offset:988
	;; [unrolled: 1-line block ×4, first 2 shown]
	s_wait_alu 0xfffe
	s_lshl_b32 s0, s5, 2
	v_mov_b32_e32 v24, v0
	s_wait_alu 0xfffe
	v_add_co_u32 v0, vcc_lo, v16, s0
	v_mov_b32_e32 v22, v1
	s_wait_alu 0xfffd
	v_add_co_ci_u32_e64 v1, null, 0, v17, vcc_lo
	v_dual_mov_b32 v25, v3 :: v_dual_mov_b32 v28, v2
	s_lshr_b32 s4, ttmp7, 16
	flat_load_b32 v63, v[0:1]
	s_wait_alu 0xfffe
	s_lshl_b32 s19, s4, 9
	s_mov_b32 s18, exec_lo
	s_wait_loadcnt_dscnt 0x0
	s_wait_alu 0xfffe
	v_cmpx_lt_i32_e64 s19, v63
	s_cbranch_execnz .LBB311_1
; %bb.4203:
	s_getpc_b64 s[24:25]
.Lpost_getpc1:
	s_wait_alu 0xfffe
	s_add_co_u32 s24, s24, (.LBB311_4202-.Lpost_getpc1)&4294967295
	s_add_co_ci_u32 s25, s25, (.LBB311_4202-.Lpost_getpc1)>>32
	s_wait_alu 0xfffe
	s_setpc_b64 s[24:25]
.LBB311_1:
	v_dual_mov_b32 v1, 0 :: v_dual_mov_b32 v0, 0
	s_clause 0x1
	s_load_u16 s0, s[8:9], 0x12
	s_load_b32 s1, s[8:9], 0x0
	s_mov_b32 s12, s15
	global_load_u16 v2, v1, s[8:9] offset:22
	scratch_store_b32 off, v0, s32 offset:992 ; 4-byte Folded Spill
	v_sub_nc_u32_e32 v0, 0, v12
	s_delay_alu instid0(VALU_DEP_1) | instskip(NEXT) | instid1(VALU_DEP_1)
	v_max_i32_e32 v0, v12, v0
	v_cvt_f32_u32_e32 v1, v0
	v_sub_nc_u32_e32 v3, 0, v0
	s_delay_alu instid0(VALU_DEP_2)
	v_rcp_iflag_f32_e32 v1, v1
	s_wait_kmcnt 0x0
	s_cmp_lg_u32 s0, 0
	s_cselect_b32 s0, -1, 0
	s_wait_alu 0xfffe
	s_cmp_lg_u32 s0, 0
	s_add_co_ci_u32 s6, s1, 0
	s_mov_b32 s1, exec_lo
	s_wait_alu 0xfffe
	s_abs_i32 s0, s6
	v_mul_f32_e32 v1, 0x4f7ffffe, v1
	s_delay_alu instid0(VALU_DEP_1) | instskip(NEXT) | instid1(VALU_DEP_1)
	v_cvt_u32_f32_e32 v1, v1
	v_mul_lo_u32 v3, v3, v1
	s_delay_alu instid0(VALU_DEP_1) | instskip(NEXT) | instid1(VALU_DEP_1)
	v_mul_hi_u32 v3, v1, v3
	v_add_nc_u32_e32 v1, v1, v3
	s_wait_alu 0xfffe
	s_delay_alu instid0(VALU_DEP_1) | instskip(NEXT) | instid1(VALU_DEP_1)
	v_mul_hi_u32 v1, s0, v1
	v_mul_lo_u32 v3, v1, v0
	v_add_nc_u32_e32 v4, 1, v1
	s_delay_alu instid0(VALU_DEP_2) | instskip(SKIP_1) | instid1(VALU_DEP_1)
	v_sub_nc_u32_e32 v3, s0, v3
	s_abs_i32 s0, ttmp9
	v_sub_nc_u32_e32 v5, v3, v0
	v_cmp_ge_u32_e32 vcc_lo, v3, v0
	s_wait_alu 0xfffd
	v_cndmask_b32_e32 v1, v1, v4, vcc_lo
	s_delay_alu instid0(VALU_DEP_3) | instskip(SKIP_1) | instid1(VALU_DEP_3)
	v_cndmask_b32_e32 v3, v3, v5, vcc_lo
	v_xor_b32_e32 v4, s6, v12
	v_add_nc_u32_e32 v5, 1, v1
	s_delay_alu instid0(VALU_DEP_3) | instskip(NEXT) | instid1(VALU_DEP_3)
	v_cmp_ge_u32_e32 vcc_lo, v3, v0
	v_ashrrev_i32_e32 v4, 31, v4
	s_wait_alu 0xfffd
	s_delay_alu instid0(VALU_DEP_3) | instskip(NEXT) | instid1(VALU_DEP_1)
	v_cndmask_b32_e32 v0, v1, v5, vcc_lo
	v_xor_b32_e32 v0, v0, v4
	s_delay_alu instid0(VALU_DEP_1) | instskip(NEXT) | instid1(VALU_DEP_1)
	v_sub_nc_u32_e32 v1, v0, v4
	v_sub_nc_u32_e32 v0, 0, v1
	s_delay_alu instid0(VALU_DEP_1) | instskip(NEXT) | instid1(VALU_DEP_1)
	v_max_i32_e32 v0, v1, v0
	v_cvt_f32_u32_e32 v3, v0
	v_sub_nc_u32_e32 v4, 0, v0
	s_delay_alu instid0(VALU_DEP_2) | instskip(NEXT) | instid1(TRANS32_DEP_1)
	v_rcp_iflag_f32_e32 v3, v3
	v_mul_f32_e32 v3, 0x4f7ffffe, v3
	s_delay_alu instid0(VALU_DEP_1) | instskip(NEXT) | instid1(VALU_DEP_1)
	v_cvt_u32_f32_e32 v3, v3
	v_mul_lo_u32 v4, v4, v3
	s_delay_alu instid0(VALU_DEP_1) | instskip(NEXT) | instid1(VALU_DEP_1)
	v_mul_hi_u32 v4, v3, v4
	v_add_nc_u32_e32 v3, v3, v4
	s_wait_alu 0xfffe
	s_delay_alu instid0(VALU_DEP_1)
	v_mad_co_u64_u32 v[16:17], null, s0, v3, 0
	s_wait_loadcnt 0x0
	v_readfirstlane_b32 s7, v2
	v_cmpx_ne_u64_e32 0, v[19:20]
	s_cbranch_execz .LBB311_3
; %bb.2:
	s_mov_b32 s2, ttmp9
	s_ashr_i32 s3, ttmp9, 31
	s_wait_alu 0xfffe
	s_lshl_b64 s[2:3], s[2:3], 2
	s_wait_alu 0xfffe
	v_add_co_u32 v2, vcc_lo, v19, s2
	s_wait_alu 0xfffd
	v_add_co_ci_u32_e64 v3, null, s3, v20, vcc_lo
	flat_load_b32 v2, v[2:3]
	s_wait_loadcnt_dscnt 0x0
	scratch_store_b32 off, v2, s32 offset:992 ; 4-byte Folded Spill
.LBB311_3:
	s_or_b32 exec_lo, exec_lo, s1
	v_and_b32_e32 v12, 0x3ff, v31
	v_ashrrev_i32_e32 v1, 31, v1
	s_ashr_i32 s1, ttmp9, 31
	s_lshl_b32 s10, ttmp9, 8
	s_mov_b32 s2, exec_lo
	v_cmpx_gt_u32_e32 32, v12
	s_cbranch_execz .LBB311_5
; %bb.4:
	v_mul_lo_u32 v2, v21, s5
	s_wait_alu 0xfffe
	s_ashr_i32 s11, s10, 31
	v_lshlrev_b32_e32 v13, 4, v12
	s_wait_alu 0xfffe
	s_lshl_b64 s[14:15], s[10:11], 1
	s_delay_alu instid0(VALU_DEP_2) | instskip(NEXT) | instid1(VALU_DEP_1)
	v_ashrrev_i32_e32 v3, 31, v2
	v_lshlrev_b64_e32 v[2:3], 1, v[2:3]
	s_delay_alu instid0(VALU_DEP_1) | instskip(SKIP_1) | instid1(VALU_DEP_2)
	v_add_co_u32 v2, vcc_lo, v6, v2
	s_wait_alu 0xfffd
	v_add_co_ci_u32_e64 v3, null, v7, v3, vcc_lo
	s_wait_alu 0xfffe
	s_delay_alu instid0(VALU_DEP_2) | instskip(SKIP_1) | instid1(VALU_DEP_2)
	v_add_co_u32 v2, vcc_lo, v2, s14
	s_wait_alu 0xfffd
	v_add_co_ci_u32_e64 v3, null, s15, v3, vcc_lo
	s_delay_alu instid0(VALU_DEP_2) | instskip(SKIP_1) | instid1(VALU_DEP_2)
	v_add_co_u32 v2, vcc_lo, v2, v13
	s_wait_alu 0xfffd
	v_add_co_ci_u32_e64 v3, null, 0, v3, vcc_lo
	flat_load_b128 v[2:5], v[2:3]
	s_wait_loadcnt_dscnt 0x0
	ds_store_b128 v13, v[2:5]
.LBB311_5:
	s_wait_alu 0xfffe
	s_or_b32 exec_lo, exec_lo, s2
	v_mul_lo_u32 v2, v17, v0
	v_xor_b32_e32 v1, s1, v1
	s_load_b32 s8, s[8:9], 0x8
	s_lshl_b32 s9, s4, 4
	s_mov_b32 s11, exec_lo
	s_delay_alu instid0(VALU_DEP_2) | instskip(SKIP_2) | instid1(VALU_DEP_1)
	v_sub_nc_u32_e32 v2, s0, v2
	s_wait_alu 0xfffe
	s_add_co_i32 s0, s9, 16
	v_sub_nc_u32_e32 v4, v2, v0
	v_cmp_ge_u32_e32 vcc_lo, v2, v0
	s_wait_alu 0xfffd
	s_delay_alu instid0(VALU_DEP_2) | instskip(NEXT) | instid1(VALU_DEP_1)
	v_dual_cndmask_b32 v2, v2, v4 :: v_dual_add_nc_u32 v3, 1, v17
	v_cndmask_b32_e32 v3, v17, v3, vcc_lo
	s_delay_alu instid0(VALU_DEP_2) | instskip(NEXT) | instid1(VALU_DEP_2)
	v_cmp_ge_u32_e32 vcc_lo, v2, v0
	v_add_nc_u32_e32 v4, 1, v3
	v_add_nc_u32_e32 v5, 31, v63
	v_mul_lo_u32 v0, v18, s5
	s_wait_alu 0xfffd
	s_delay_alu instid0(VALU_DEP_3) | instskip(NEXT) | instid1(VALU_DEP_3)
	v_cndmask_b32_e32 v2, v3, v4, vcc_lo
	v_ashrrev_i32_e32 v6, 31, v5
	v_lshrrev_b32_e32 v4, 5, v12
	scratch_store_b32 off, v12, s32 offset:1008 ; 4-byte Folded Spill
	v_xor_b32_e32 v2, v2, v1
	v_lshrrev_b32_e32 v3, 27, v6
	v_mov_b32_e32 v6, 0xff7fffff
	scratch_store_b32 off, v4, s32 offset:1016 ; 4-byte Folded Spill
	v_lshlrev_b32_e32 v13, 5, v4
	v_sub_nc_u32_e32 v2, v2, v1
	v_add_nc_u32_e32 v3, v5, v3
	v_and_b32_e32 v5, 31, v12
	v_ashrrev_i32_e32 v1, 31, v0
	s_delay_alu instid0(VALU_DEP_4) | instskip(NEXT) | instid1(VALU_DEP_4)
	v_mul_lo_u32 v23, v2, v23
	v_ashrrev_i32_e32 v12, 5, v3
	v_add_nc_u32_e32 v3, s9, v4
	s_delay_alu instid0(VALU_DEP_4) | instskip(SKIP_1) | instid1(VALU_DEP_3)
	v_lshlrev_b64_e32 v[30:31], 2, v[0:1]
	s_wait_alu 0xfffe
	v_min_i32_e32 v2, s0, v12
	s_delay_alu instid0(VALU_DEP_3)
	v_lshlrev_b32_e32 v32, 2, v3
	v_ashrrev_i32_e32 v0, 31, v23
	s_clause 0x1
	scratch_store_b32 off, v3, s32 offset:320
	scratch_store_b32 off, v2, s32 offset:652
	v_cmp_ge_i32_e64 s0, v3, v2
	s_clause 0x1
	scratch_store_b32 off, v0, s32 offset:1032
	scratch_store_b32 off, v5, s32 offset:1012
	v_lshlrev_b32_e32 v0, 2, v5
	scratch_store_b32 off, v0, s32 offset:1028 ; 4-byte Folded Spill
	s_wait_storecnt_dscnt 0x0
	s_barrier_signal -1
	s_barrier_wait -1
	global_inv scope:SCOPE_SE
	v_cmpx_lt_i32_e64 v3, v2
	s_cbranch_execz .LBB311_2057
; %bb.6:
	s_clause 0x7
	scratch_store_b32 off, v12, s32 offset:1068
	scratch_store_b32 off, v28, s32 offset:1064
	;; [unrolled: 1-line block ×8, first 2 shown]
	s_clause 0x2
	scratch_load_b32 v1, off, s32 offset:1032
	scratch_load_b32 v5, off, s32 offset:1012
	;; [unrolled: 1-line block ×3, first 2 shown]
	s_getpc_b64 s[2:3]
	s_wait_alu 0xfffe
	s_sext_i32_i16 s3, s3
	s_add_co_u32 s2, s2, llvm.amdgcn.dynlds.offset.table@rel32@lo+12
	s_wait_alu 0xfffe
	s_add_co_ci_u32 s3, s3, llvm.amdgcn.dynlds.offset.table@rel32@hi+24
	s_ashr_i32 s13, s12, 31
	v_add_co_u32 v0, vcc_lo, v8, v23
	s_wait_alu 0xfffe
	s_lshl_b64 s[14:15], s[12:13], 2
	s_clause 0x3
	scratch_store_b32 off, v23, s32 offset:1076
	scratch_store_b32 off, v32, s32 offset:1088
	scratch_store_b64 off, v[30:31], s32 offset:1080
	scratch_store_b32 off, v13, s32 offset:1072
	s_wait_alu 0xfffe
	s_add_nc_u64 s[2:3], s[2:3], s[14:15]
	s_mov_b32 s13, 0
	s_load_b32 s2, s[2:3], 0x0
	s_wait_loadcnt 0x2
	v_add_co_ci_u32_e64 v1, null, v9, v1, vcc_lo
	s_wait_loadcnt 0x1
	v_dual_mov_b32 v9, 0 :: v_dual_lshlrev_b32 v2, 4, v5
	s_wait_loadcnt 0x0
	v_cmp_neq_f32_e32 vcc_lo, 0, v3
	v_add_co_u32 v3, s1, v30, v32
	v_add3_u32 v139, s19, v13, v5
	s_clause 0x1
	scratch_load_b32 v5, off, s32 offset:1016
	scratch_load_b32 v6, off, s32 offset:1028
	s_wait_alu 0xf1ff
	v_add_co_ci_u32_e64 v4, null, 0, v31, s1
	v_add_co_u32 v0, s1, v0, v2
	s_wait_alu 0xf1ff
	v_add_co_ci_u32_e64 v1, null, 0, v1, s1
	s_clause 0x1
	scratch_store_b64 off, v[0:1], s32 offset:1000
	scratch_store_b32 off, v14, s32 offset:1040
	scratch_load_b32 v111, off, s32 offset:320 ; 4-byte Folded Reload
	v_add_co_u32 v31, s1, v14, v3
	s_wait_alu 0xf1ff
	v_add_co_ci_u32_e64 v32, null, v15, v4, s1
	scratch_store_b32 off, v15, s32 offset:1036 ; 4-byte Folded Spill
	s_wait_loadcnt 0x1
	v_lshl_or_b32 v5, v5, 7, v6
	s_wait_kmcnt 0x0
	s_delay_alu instid0(VALU_DEP_1)
	v_dual_mov_b32 v6, 0xff7fffff :: v_dual_add_nc_u32 v65, s2, v5
	s_mov_b32 s2, -1
	s_mov_b32 s3, 0xffffff
	s_branch .LBB311_11
.LBB311_7:                              ;   in Loop: Header=BB311_11 Depth=1
	s_wait_alu 0xfffe
	s_or_b32 exec_lo, exec_lo, s17
	v_lshlrev_b32_e32 v8, 8, v8
	v_lshl_add_u32 v21, v21, 10, 0x2000
	v_lshlrev_b32_e32 v20, 23, v20
	s_delay_alu instid0(VALU_DEP_2) | instskip(NEXT) | instid1(VALU_DEP_1)
	v_and_or_b32 v8, 0x8000, v8, v21
	v_lshl_or_b32 v20, v8, 16, v20
.LBB311_8:                              ;   in Loop: Header=BB311_11 Depth=1
	s_wait_alu 0xfffe
	s_or_b32 exec_lo, exec_lo, s16
.LBB311_9:                              ;   in Loop: Header=BB311_11 Depth=1
	s_wait_alu 0xfffe
	s_or_b32 exec_lo, exec_lo, s15
	s_wait_loadcnt 0x2
	scratch_load_b32 v139, off, s32 offset:608 ; 4-byte Folded Reload
	s_wait_loadcnt 0x2
	scratch_load_b32 v65, off, s32 offset:612 ; 4-byte Folded Reload
	;; [unrolled: 2-line block ×3, first 2 shown]
.LBB311_10:                             ;   in Loop: Header=BB311_11 Depth=1
	s_or_b32 exec_lo, exec_lo, s14
	v_or_b32_e32 v8, v126, v120
	v_fma_mixlo_f16 v21, v53, v126, 0 op_sel:[0,1,0] op_sel_hi:[0,1,0]
	s_wait_loadcnt 0x0
	v_add_nc_u32_e32 v111, 4, v111
	s_delay_alu instid0(VALU_DEP_3) | instskip(SKIP_2) | instid1(VALU_DEP_1)
	v_fma_mixlo_f16 v8, v53, v8, 0 op_sel_hi:[0,1,0]
	scratch_store_b32 off, v8, s32 offset:680 ; 4-byte Folded Spill
	v_or_b32_e32 v8, v91, v50
	v_fma_mixlo_f16 v8, v53, v8, 0 op_sel_hi:[0,1,0]
	scratch_store_b32 off, v8, s32 offset:688 ; 4-byte Folded Spill
	v_or_b32_e32 v8, v104, v132
	s_delay_alu instid0(VALU_DEP_1) | instskip(SKIP_2) | instid1(VALU_DEP_1)
	v_fma_mixlo_f16 v8, v53, v8, 0 op_sel_hi:[0,1,0]
	scratch_store_b32 off, v8, s32 offset:672 ; 4-byte Folded Spill
	v_or_b32_e32 v8, v146, v135
	v_fma_mixlo_f16 v8, v53, v8, 0 op_sel_hi:[0,1,0]
	scratch_store_b32 off, v21, s32 offset:676 ; 4-byte Folded Spill
	v_fma_mixlo_f16 v21, v53, v91, 0 op_sel:[0,1,0] op_sel_hi:[0,1,0]
	scratch_store_b32 off, v8, s32 offset:664 ; 4-byte Folded Spill
	v_fma_mixlo_f16 v8, v53, v146, 0 op_sel:[0,1,0] op_sel_hi:[0,1,0]
	;; [unrolled: 2-line block ×3, first 2 shown]
	v_fma_mixlo_f16 v104, v53, v108, 0 op_sel:[0,1,0] op_sel_hi:[0,1,0]
	scratch_store_b32 off, v8, s32 offset:660 ; 4-byte Folded Spill
	v_or_b32_e32 v8, v186, v78
	scratch_store_b32 off, v21, s32 offset:668 ; 4-byte Folded Spill
	v_fma_mixlo_f16 v21, v53, v186, 0 op_sel:[0,1,0] op_sel_hi:[0,1,0]
	v_fma_mixlo_f16 v78, v53, v93, 0 op_sel:[0,1,0] op_sel_hi:[0,1,0]
	v_fma_mixlo_f16 v8, v53, v8, 0 op_sel_hi:[0,1,0]
	scratch_store_b32 off, v8, s32 offset:712 ; 4-byte Folded Spill
	v_or_b32_e32 v8, v75, v73
	s_delay_alu instid0(VALU_DEP_1) | instskip(SKIP_2) | instid1(VALU_DEP_1)
	v_fma_mixlo_f16 v8, v53, v8, 0 op_sel_hi:[0,1,0]
	scratch_store_b32 off, v8, s32 offset:720 ; 4-byte Folded Spill
	v_or_b32_e32 v8, v116, v175
	v_fma_mixlo_f16 v8, v53, v8, 0 op_sel_hi:[0,1,0]
	scratch_store_b32 off, v8, s32 offset:704 ; 4-byte Folded Spill
	v_or_b32_e32 v8, v89, v88
	v_fma_mixlo_f16 v88, v53, v92, 0 op_sel:[0,1,0] op_sel_hi:[0,1,0]
	s_delay_alu instid0(VALU_DEP_2)
	v_fma_mixlo_f16 v8, v53, v8, 0 op_sel_hi:[0,1,0]
	scratch_store_b32 off, v21, s32 offset:708 ; 4-byte Folded Spill
	v_fma_mixlo_f16 v21, v53, v75, 0 op_sel:[0,1,0] op_sel_hi:[0,1,0]
	v_fma_mixlo_f16 v75, v53, v58, 0 op_sel:[0,1,0] op_sel_hi:[0,1,0]
	scratch_store_b32 off, v8, s32 offset:696 ; 4-byte Folded Spill
	v_fma_mixlo_f16 v8, v53, v89, 0 op_sel:[0,1,0] op_sel_hi:[0,1,0]
	scratch_store_b32 off, v21, s32 offset:716 ; 4-byte Folded Spill
	;; [unrolled: 2-line block ×3, first 2 shown]
	v_or_b32_e32 v8, v172, v159
	scratch_store_b32 off, v21, s32 offset:700 ; 4-byte Folded Spill
	v_fma_mixlo_f16 v21, v53, v172, 0 op_sel:[0,1,0] op_sel_hi:[0,1,0]
	v_fma_mixlo_f16 v8, v53, v8, 0 op_sel_hi:[0,1,0]
	scratch_store_b32 off, v8, s32 offset:744 ; 4-byte Folded Spill
	v_or_b32_e32 v8, v157, v149
	s_delay_alu instid0(VALU_DEP_1) | instskip(SKIP_2) | instid1(VALU_DEP_1)
	v_fma_mixlo_f16 v8, v53, v8, 0 op_sel_hi:[0,1,0]
	scratch_store_b32 off, v8, s32 offset:752 ; 4-byte Folded Spill
	v_or_b32_e32 v8, v57, v169
	v_fma_mixlo_f16 v8, v53, v8, 0 op_sel_hi:[0,1,0]
	scratch_store_b32 off, v8, s32 offset:736 ; 4-byte Folded Spill
	v_or_b32_e32 v8, v72, v56
	s_delay_alu instid0(VALU_DEP_1)
	v_fma_mixlo_f16 v8, v53, v8, 0 op_sel_hi:[0,1,0]
	scratch_store_b32 off, v21, s32 offset:740 ; 4-byte Folded Spill
	v_fma_mixlo_f16 v21, v53, v157, 0 op_sel:[0,1,0] op_sel_hi:[0,1,0]
	scratch_store_b32 off, v8, s32 offset:728 ; 4-byte Folded Spill
	v_fma_mixlo_f16 v8, v53, v72, 0 op_sel:[0,1,0] op_sel_hi:[0,1,0]
	;; [unrolled: 2-line block ×3, first 2 shown]
	v_fma_mixlo_f16 v72, v53, v76, 0 op_sel:[0,1,0] op_sel_hi:[0,1,0]
	v_fma_mixlo_f16 v57, v53, v60, 0 op_sel:[0,1,0] op_sel_hi:[0,1,0]
	scratch_store_b32 off, v8, s32 offset:724 ; 4-byte Folded Spill
	v_or_b32_e32 v8, v114, v112
	scratch_store_b32 off, v21, s32 offset:732 ; 4-byte Folded Spill
	v_fma_mixlo_f16 v21, v53, v114, 0 op_sel:[0,1,0] op_sel_hi:[0,1,0]
	v_fma_mixlo_f16 v8, v53, v8, 0 op_sel_hi:[0,1,0]
	scratch_store_b32 off, v8, s32 offset:776 ; 4-byte Folded Spill
	v_or_b32_e32 v8, v52, v51
	s_delay_alu instid0(VALU_DEP_1) | instskip(SKIP_2) | instid1(VALU_DEP_1)
	v_fma_mixlo_f16 v8, v53, v8, 0 op_sel_hi:[0,1,0]
	scratch_store_b32 off, v8, s32 offset:784 ; 4-byte Folded Spill
	v_or_b32_e32 v8, v119, v113
	v_fma_mixlo_f16 v8, v53, v8, 0 op_sel_hi:[0,1,0]
	scratch_store_b32 off, v8, s32 offset:768 ; 4-byte Folded Spill
	v_or_b32_e32 v8, v133, v117
	s_delay_alu instid0(VALU_DEP_1)
	v_fma_mixlo_f16 v8, v53, v8, 0 op_sel_hi:[0,1,0]
	scratch_store_b32 off, v21, s32 offset:772 ; 4-byte Folded Spill
	v_fma_mixlo_f16 v21, v53, v52, 0 op_sel:[0,1,0] op_sel_hi:[0,1,0]
	scratch_store_b32 off, v8, s32 offset:760 ; 4-byte Folded Spill
	v_fma_mixlo_f16 v8, v53, v133, 0 op_sel:[0,1,0] op_sel_hi:[0,1,0]
	;; [unrolled: 2-line block ×3, first 2 shown]
	scratch_store_b32 off, v8, s32 offset:756 ; 4-byte Folded Spill
	v_or_b32_e32 v8, v100, v98
	scratch_store_b32 off, v21, s32 offset:764 ; 4-byte Folded Spill
	v_fma_mixlo_f16 v21, v53, v100, 0 op_sel:[0,1,0] op_sel_hi:[0,1,0]
	v_fma_mixlo_f16 v8, v53, v8, 0 op_sel_hi:[0,1,0]
	scratch_store_b32 off, v8, s32 offset:808 ; 4-byte Folded Spill
	v_or_b32_e32 v8, v87, v48
	v_fma_mixlo_f16 v48, v53, v178, 0 op_sel:[0,1,0] op_sel_hi:[0,1,0]
	s_delay_alu instid0(VALU_DEP_2) | instskip(SKIP_2) | instid1(VALU_DEP_1)
	v_fma_mixlo_f16 v8, v53, v8, 0 op_sel_hi:[0,1,0]
	scratch_store_b32 off, v8, s32 offset:816 ; 4-byte Folded Spill
	v_or_b32_e32 v8, v103, v34
	v_fma_mixlo_f16 v8, v53, v8, 0 op_sel_hi:[0,1,0]
	scratch_store_b32 off, v8, s32 offset:800 ; 4-byte Folded Spill
	v_or_b32_e32 v8, v49, v101
	s_delay_alu instid0(VALU_DEP_1)
	v_fma_mixlo_f16 v8, v53, v8, 0 op_sel_hi:[0,1,0]
	scratch_store_b32 off, v21, s32 offset:804 ; 4-byte Folded Spill
	v_fma_mixlo_f16 v21, v53, v87, 0 op_sel:[0,1,0] op_sel_hi:[0,1,0]
	scratch_store_b32 off, v8, s32 offset:792 ; 4-byte Folded Spill
	v_fma_mixlo_f16 v8, v53, v49, 0 op_sel:[0,1,0] op_sel_hi:[0,1,0]
	;; [unrolled: 2-line block ×3, first 2 shown]
	scratch_store_b32 off, v8, s32 offset:788 ; 4-byte Folded Spill
	v_or_b32_e32 v8, v22, v13
	scratch_store_b32 off, v21, s32 offset:796 ; 4-byte Folded Spill
	v_fma_mixlo_f16 v13, v53, v22, 0 op_sel:[0,1,0] op_sel_hi:[0,1,0]
	v_fma_mixlo_f16 v22, v53, v69, 0 op_sel:[0,1,0] op_sel_hi:[0,1,0]
	;; [unrolled: 1-line block ×3, first 2 shown]
	v_fma_mixlo_f16 v8, v53, v8, 0 op_sel_hi:[0,1,0]
	scratch_store_b32 off, v8, s32 offset:840 ; 4-byte Folded Spill
	v_or_b32_e32 v8, v17, v15
	s_delay_alu instid0(VALU_DEP_1) | instskip(SKIP_3) | instid1(VALU_DEP_2)
	v_fma_mixlo_f16 v8, v53, v8, 0 op_sel_hi:[0,1,0]
	scratch_store_b32 off, v8, s32 offset:848 ; 4-byte Folded Spill
	v_or_b32_e32 v8, v102, v84
	v_fma_mixlo_f16 v84, v53, v183, 0 op_sel:[0,1,0] op_sel_hi:[0,1,0]
	v_fma_mixlo_f16 v8, v53, v8, 0 op_sel_hi:[0,1,0]
	scratch_store_b32 off, v8, s32 offset:832 ; 4-byte Folded Spill
	v_or_b32_e32 v8, v23, v85
	s_delay_alu instid0(VALU_DEP_1)
	v_fma_mixlo_f16 v8, v53, v8, 0 op_sel_hi:[0,1,0]
	scratch_store_b32 off, v13, s32 offset:836 ; 4-byte Folded Spill
	v_fma_mixlo_f16 v13, v53, v17, 0 op_sel:[0,1,0] op_sel_hi:[0,1,0]
	v_fma_mixlo_f16 v17, v53, v191, 0 op_sel:[0,1,0] op_sel_hi:[0,1,0]
	scratch_store_b32 off, v8, s32 offset:824 ; 4-byte Folded Spill
	v_fma_mixlo_f16 v8, v53, v23, 0 op_sel:[0,1,0] op_sel_hi:[0,1,0]
	scratch_store_b32 off, v13, s32 offset:844 ; 4-byte Folded Spill
	v_fma_mixlo_f16 v13, v53, v102, 0 op_sel:[0,1,0] op_sel_hi:[0,1,0]
	v_fma_mixlo_f16 v102, v53, v25, 0 op_sel:[0,1,0] op_sel_hi:[0,1,0]
	;; [unrolled: 1-line block ×3, first 2 shown]
	scratch_store_b32 off, v8, s32 offset:820 ; 4-byte Folded Spill
	v_or_b32_e32 v8, v99, v96
	scratch_store_b32 off, v13, s32 offset:828 ; 4-byte Folded Spill
	v_fma_mixlo_f16 v13, v53, v99, 0 op_sel:[0,1,0] op_sel_hi:[0,1,0]
	v_fma_mixlo_f16 v8, v53, v8, 0 op_sel_hi:[0,1,0]
	scratch_store_b32 off, v8, s32 offset:872 ; 4-byte Folded Spill
	v_or_b32_e32 v8, v86, v24
	s_delay_alu instid0(VALU_DEP_1) | instskip(SKIP_3) | instid1(VALU_DEP_2)
	v_fma_mixlo_f16 v8, v53, v8, 0 op_sel_hi:[0,1,0]
	scratch_store_b32 off, v8, s32 offset:880 ; 4-byte Folded Spill
	v_or_b32_e32 v8, v109, v97
	v_fma_mixlo_f16 v97, v53, v1, 0 op_sel:[0,1,0] op_sel_hi:[0,1,0]
	v_fma_mixlo_f16 v8, v53, v8, 0 op_sel_hi:[0,1,0]
	scratch_store_b32 off, v13, s32 offset:868 ; 4-byte Folded Spill
	v_fma_mixlo_f16 v13, v53, v86, 0 op_sel:[0,1,0] op_sel_hi:[0,1,0]
	v_fma_mixlo_f16 v86, v53, v30, 0 op_sel:[0,1,0] op_sel_hi:[0,1,0]
	scratch_store_b32 off, v8, s32 offset:864 ; 4-byte Folded Spill
	v_or_b32_e32 v8, v0, v134
	scratch_store_b32 off, v13, s32 offset:876 ; 4-byte Folded Spill
	v_fma_mixlo_f16 v13, v53, v109, 0 op_sel:[0,1,0] op_sel_hi:[0,1,0]
	v_fma_mixlo_f16 v0, v53, v0, 0 op_sel:[0,1,0] op_sel_hi:[0,1,0]
	v_fma_mixlo_f16 v8, v53, v8, 0 op_sel_hi:[0,1,0]
	s_clause 0x1
	scratch_store_b32 off, v13, s32 offset:860
	scratch_store_b32 off, v0, s32 offset:852
	v_or_b32_e32 v0, v131, v128
	scratch_store_b32 off, v8, s32 offset:856 ; 4-byte Folded Spill
	v_fma_mixlo_f16 v8, v53, v131, 0 op_sel:[0,1,0] op_sel_hi:[0,1,0]
	v_fma_mixlo_f16 v13, v53, v155, 0 op_sel:[0,1,0] op_sel_hi:[0,1,0]
	;; [unrolled: 1-line block ×3, first 2 shown]
	v_fma_mixlo_f16 v0, v53, v0, 0 op_sel_hi:[0,1,0]
	v_fma_mixlo_f16 v131, v53, v70, 0 op_sel:[0,1,0] op_sel_hi:[0,1,0]
	scratch_store_b32 off, v0, s32 offset:904 ; 4-byte Folded Spill
	v_or_b32_e32 v0, v118, v115
	s_delay_alu instid0(VALU_DEP_1) | instskip(SKIP_2) | instid1(VALU_DEP_1)
	v_fma_mixlo_f16 v0, v53, v0, 0 op_sel_hi:[0,1,0]
	scratch_store_b32 off, v0, s32 offset:912 ; 4-byte Folded Spill
	v_or_b32_e32 v0, v140, v129
	v_fma_mixlo_f16 v0, v53, v0, 0 op_sel_hi:[0,1,0]
	scratch_store_b32 off, v0, s32 offset:896 ; 4-byte Folded Spill
	v_or_b32_e32 v0, v141, v161
	v_fma_mixlo_f16 v161, v53, v152, 0 op_sel:[0,1,0] op_sel_hi:[0,1,0]
	s_delay_alu instid0(VALU_DEP_2)
	v_fma_mixlo_f16 v0, v53, v0, 0 op_sel_hi:[0,1,0]
	scratch_store_b32 off, v8, s32 offset:900 ; 4-byte Folded Spill
	v_fma_mixlo_f16 v8, v53, v118, 0 op_sel:[0,1,0] op_sel_hi:[0,1,0]
	v_fma_mixlo_f16 v118, v53, v67, 0 op_sel:[0,1,0] op_sel_hi:[0,1,0]
	scratch_store_b32 off, v0, s32 offset:888 ; 4-byte Folded Spill
	v_fma_mixlo_f16 v0, v53, v141, 0 op_sel:[0,1,0] op_sel_hi:[0,1,0]
	scratch_store_b32 off, v8, s32 offset:908 ; 4-byte Folded Spill
	v_fma_mixlo_f16 v8, v53, v140, 0 op_sel:[0,1,0] op_sel_hi:[0,1,0]
	v_fma_mixlo_f16 v140, v53, v40, 0 op_sel:[0,1,0] op_sel_hi:[0,1,0]
	scratch_store_b32 off, v0, s32 offset:884 ; 4-byte Folded Spill
	v_or_b32_e32 v0, v160, v150
	scratch_store_b32 off, v8, s32 offset:892 ; 4-byte Folded Spill
	v_fma_mixlo_f16 v8, v53, v160, 0 op_sel:[0,1,0] op_sel_hi:[0,1,0]
	v_fma_mixlo_f16 v150, v53, v173, 0 op_sel:[0,1,0] op_sel_hi:[0,1,0]
	;; [unrolled: 1-line block ×3, first 2 shown]
	v_fma_mixlo_f16 v0, v53, v0, 0 op_sel_hi:[0,1,0]
	scratch_store_b32 off, v0, s32 offset:936 ; 4-byte Folded Spill
	v_or_b32_e32 v0, v7, v147
	v_fma_mixlo_f16 v7, v53, v7, 0 op_sel:[0,1,0] op_sel_hi:[0,1,0]
	s_delay_alu instid0(VALU_DEP_2) | instskip(SKIP_3) | instid1(VALU_DEP_2)
	v_fma_mixlo_f16 v0, v53, v0, 0 op_sel_hi:[0,1,0]
	scratch_store_b32 off, v0, s32 offset:944 ; 4-byte Folded Spill
	v_or_b32_e32 v0, v123, v46
	v_fma_mixlo_f16 v46, v53, v189, 0 op_sel:[0,1,0] op_sel_hi:[0,1,0]
	v_fma_mixlo_f16 v0, v53, v0, 0 op_sel_hi:[0,1,0]
	scratch_store_b32 off, v7, s32 offset:940 ; 4-byte Folded Spill
	v_fma_mixlo_f16 v7, v53, v123, 0 op_sel:[0,1,0] op_sel_hi:[0,1,0]
	scratch_store_b32 off, v0, s32 offset:928 ; 4-byte Folded Spill
	v_or_b32_e32 v0, v154, v121
	v_fma_mixlo_f16 v121, v53, v179, 0 op_sel:[0,1,0] op_sel_hi:[0,1,0]
	s_delay_alu instid0(VALU_DEP_2)
	v_fma_mixlo_f16 v0, v53, v0, 0 op_sel_hi:[0,1,0]
	s_clause 0x1
	scratch_store_b32 off, v8, s32 offset:932
	scratch_store_b32 off, v0, s32 offset:920
	v_fma_mixlo_f16 v0, v53, v154, 0 op_sel:[0,1,0] op_sel_hi:[0,1,0]
	scratch_store_b32 off, v7, s32 offset:924 ; 4-byte Folded Spill
	v_fma_mixlo_f16 v7, v53, v176, 0 op_sel:[0,1,0] op_sel_hi:[0,1,0]
	v_fma_mixlo_f16 v154, v53, v3, 0 op_sel:[0,1,0] op_sel_hi:[0,1,0]
	scratch_store_b32 off, v0, s32 offset:916 ; 4-byte Folded Spill
	v_or_b32_e32 v0, v176, v33
	v_fma_mixlo_f16 v33, v53, v171, 0 op_sel:[0,1,0] op_sel_hi:[0,1,0]
	s_delay_alu instid0(VALU_DEP_2) | instskip(SKIP_4) | instid1(VALU_DEP_3)
	v_fma_mixlo_f16 v0, v53, v0, 0 op_sel_hi:[0,1,0]
	scratch_store_b32 off, v0, s32 offset:968 ; 4-byte Folded Spill
	v_or_b32_e32 v0, v2, v163
	v_fma_mixlo_f16 v2, v53, v2, 0 op_sel:[0,1,0] op_sel_hi:[0,1,0]
	v_fma_mixlo_f16 v163, v53, v188, 0 op_sel:[0,1,0] op_sel_hi:[0,1,0]
	v_fma_mixlo_f16 v0, v53, v0, 0 op_sel_hi:[0,1,0]
	scratch_store_b32 off, v0, s32 offset:976 ; 4-byte Folded Spill
	v_or_b32_e32 v0, v182, v166
	s_delay_alu instid0(VALU_DEP_1) | instskip(SKIP_4) | instid1(VALU_DEP_1)
	v_fma_mixlo_f16 v0, v53, v0, 0 op_sel_hi:[0,1,0]
	scratch_store_b32 off, v2, s32 offset:972 ; 4-byte Folded Spill
	v_fma_mixlo_f16 v2, v53, v182, 0 op_sel:[0,1,0] op_sel_hi:[0,1,0]
	scratch_store_b32 off, v0, s32 offset:960 ; 4-byte Folded Spill
	v_or_b32_e32 v0, v41, v6
	v_fma_mixlo_f16 v0, v53, v0, 0 op_sel_hi:[0,1,0]
	s_clause 0x1
	scratch_store_b32 off, v7, s32 offset:964
	scratch_store_b32 off, v0, s32 offset:952
	v_fma_mixlo_f16 v0, v53, v41, 0 op_sel:[0,1,0] op_sel_hi:[0,1,0]
	s_clause 0x1
	scratch_store_b32 off, v2, s32 offset:956
	scratch_store_b32 off, v0, s32 offset:948
	v_or_b32_e32 v0, v179, v66
	v_fma_mixlo_f16 v179, v53, v11, 0 op_sel:[0,1,0] op_sel_hi:[0,1,0]
	v_fma_mixlo_f16 v66, v53, v36, 0 op_sel:[0,1,0] op_sel_hi:[0,1,0]
	s_delay_alu instid0(VALU_DEP_3) | instskip(SKIP_1) | instid1(VALU_DEP_1)
	v_fma_mixlo_f16 v109, v53, v0, 0 op_sel_hi:[0,1,0]
	v_or_b32_e32 v0, v11, v4
	v_fma_mixlo_f16 v182, v53, v0, 0 op_sel_hi:[0,1,0]
	v_or_b32_e32 v0, v40, v177
	v_fma_mixlo_f16 v40, v53, v5, 0 op_sel:[0,1,0] op_sel_hi:[0,1,0]
	v_fma_mixlo_f16 v177, v53, v38, 0 op_sel:[0,1,0] op_sel_hi:[0,1,0]
	s_delay_alu instid0(VALU_DEP_3) | instskip(SKIP_2) | instid1(VALU_DEP_2)
	v_fma_mixlo_f16 v123, v53, v0, 0 op_sel_hi:[0,1,0]
	v_or_b32_e32 v0, v3, v10
	v_fma_mixlo_f16 v10, v53, v127, 0 op_sel:[0,1,0] op_sel_hi:[0,1,0]
	v_fma_mixlo_f16 v141, v53, v0, 0 op_sel_hi:[0,1,0]
	v_or_b32_e32 v0, v5, v184
	s_delay_alu instid0(VALU_DEP_1) | instskip(SKIP_2) | instid1(VALU_DEP_2)
	v_fma_mixlo_f16 v166, v53, v0, 0 op_sel_hi:[0,1,0]
	v_or_b32_e32 v0, v188, v143
	v_fma_mixlo_f16 v143, v53, v43, 0 op_sel:[0,1,0] op_sel_hi:[0,1,0]
	v_fma_mixlo_f16 v41, v53, v0, 0 op_sel_hi:[0,1,0]
	v_or_b32_e32 v0, v38, v39
	v_fma_mixlo_f16 v38, v53, v138, 0 op_sel:[0,1,0] op_sel_hi:[0,1,0]
	s_delay_alu instid0(VALU_DEP_2) | instskip(SKIP_1) | instid1(VALU_DEP_1)
	v_fma_mixlo_f16 v176, v53, v0, 0 op_sel_hi:[0,1,0]
	v_or_b32_e32 v0, v43, v185
	v_fma_mixlo_f16 v188, v53, v0, 0 op_sel_hi:[0,1,0]
	v_or_b32_e32 v0, v170, v156
	v_fma_mixlo_f16 v170, v53, v170, 0 op_sel:[0,1,0] op_sel_hi:[0,1,0]
	s_delay_alu instid0(VALU_DEP_2) | instskip(SKIP_2) | instid1(VALU_DEP_2)
	v_fma_mixlo_f16 v43, v53, v0, 0 op_sel_hi:[0,1,0]
	v_or_b32_e32 v0, v55, v153
	v_fma_mixlo_f16 v153, v53, v187, 0 op_sel:[0,1,0] op_sel_hi:[0,1,0]
	v_fma_mixlo_f16 v134, v53, v0, 0 op_sel_hi:[0,1,0]
	v_or_b32_e32 v0, v173, v94
	s_delay_alu instid0(VALU_DEP_1) | instskip(SKIP_2) | instid1(VALU_DEP_2)
	v_fma_mixlo_f16 v147, v53, v0, 0 op_sel_hi:[0,1,0]
	v_or_b32_e32 v0, v187, v95
	v_fma_mixlo_f16 v187, v53, v122, 0 op_sel:[0,1,0] op_sel_hi:[0,1,0]
	v_fma_mixlo_f16 v156, v53, v0, 0 op_sel_hi:[0,1,0]
	v_or_b32_e32 v0, v122, v83
	v_fma_mixlo_f16 v122, v53, v145, 0 op_sel:[0,1,0] op_sel_hi:[0,1,0]
	s_delay_alu instid0(VALU_DEP_2) | instskip(SKIP_1) | instid1(VALU_DEP_1)
	v_fma_mixlo_f16 v95, v53, v0, 0 op_sel_hi:[0,1,0]
	v_or_b32_e32 v0, v70, v81
	v_fma_mixlo_f16 v129, v53, v0, 0 op_sel_hi:[0,1,0]
	v_or_b32_e32 v0, v145, v19
	s_delay_alu instid0(VALU_DEP_1) | instskip(SKIP_1) | instid1(VALU_DEP_1)
	v_fma_mixlo_f16 v173, v53, v0, 0 op_sel_hi:[0,1,0]
	v_or_b32_e32 v0, v152, v162
	v_fma_mixlo_f16 v145, v53, v0, 0 op_sel_hi:[0,1,0]
	v_or_b32_e32 v0, v25, v62
	v_fma_mixlo_f16 v62, v53, v77, 0 op_sel:[0,1,0] op_sel_hi:[0,1,0]
	s_delay_alu instid0(VALU_DEP_2) | instskip(SKIP_1) | instid1(VALU_DEP_1)
	v_fma_mixlo_f16 v99, v53, v0, 0 op_sel_hi:[0,1,0]
	v_or_b32_e32 v0, v1, v59
	v_fma_mixlo_f16 v96, v53, v0, 0 op_sel_hi:[0,1,0]
	v_or_b32_e32 v0, v67, v54
	v_fma_mixlo_f16 v67, v53, v37, 0 op_sel:[0,1,0] op_sel_hi:[0,1,0]
	s_delay_alu instid0(VALU_DEP_2) | instskip(SKIP_1) | instid1(VALU_DEP_1)
	v_fma_mixlo_f16 v115, v53, v0, 0 op_sel_hi:[0,1,0]
	v_or_b32_e32 v0, v80, v18
	v_fma_mixlo_f16 v152, v53, v0, 0 op_sel_hi:[0,1,0]
	v_or_b32_e32 v0, v37, v142
	s_delay_alu instid0(VALU_DEP_1) | instskip(SKIP_1) | instid1(VALU_DEP_1)
	v_fma_mixlo_f16 v55, v53, v0, 0 op_sel_hi:[0,1,0]
	v_or_b32_e32 v0, v189, v107
	v_fma_mixlo_f16 v39, v53, v0, 0 op_sel_hi:[0,1,0]
	v_or_b32_e32 v0, v36, v174
	s_delay_alu instid0(VALU_DEP_1) | instskip(SKIP_1) | instid1(VALU_DEP_1)
	v_fma_mixlo_f16 v185, v53, v0, 0 op_sel_hi:[0,1,0]
	v_or_b32_e32 v0, v30, v12
	v_fma_mixlo_f16 v189, v53, v0, 0 op_sel_hi:[0,1,0]
	v_or_b32_e32 v0, v158, v64
	v_fma_mixlo_f16 v158, v53, v158, 0 op_sel:[0,1,0] op_sel_hi:[0,1,0]
	s_delay_alu instid0(VALU_DEP_2) | instskip(SKIP_1) | instid1(VALU_DEP_1)
	v_fma_mixlo_f16 v37, v53, v0, 0 op_sel_hi:[0,1,0]
	v_or_b32_e32 v0, v69, v137
	v_fma_mixlo_f16 v25, v53, v0, 0 op_sel_hi:[0,1,0]
	v_or_b32_e32 v0, v171, v125
	v_fma_mixlo_f16 v171, v53, v144, 0 op_sel:[0,1,0] op_sel_hi:[0,1,0]
	s_delay_alu instid0(VALU_DEP_2) | instskip(SKIP_1) | instid1(VALU_DEP_1)
	v_fma_mixlo_f16 v24, v53, v0, 0 op_sel_hi:[0,1,0]
	v_or_b32_e32 v0, v138, v168
	v_fma_mixlo_f16 v69, v53, v0, 0 op_sel_hi:[0,1,0]
	scratch_load_b32 v0, off, s32 offset:324 th:TH_LOAD_LU ; 4-byte Folded Reload
	s_wait_loadcnt 0x0
	v_or_b32_e32 v0, v155, v0
	s_delay_alu instid0(VALU_DEP_1) | instskip(SKIP_3) | instid1(VALU_DEP_1)
	v_fma_mixlo_f16 v168, v53, v0, 0 op_sel_hi:[0,1,0]
	scratch_load_b32 v0, off, s32 offset:604 th:TH_LOAD_LU ; 4-byte Folded Reload
	s_wait_loadcnt 0x0
	v_or_b32_e32 v0, v144, v0
	v_fma_mixlo_f16 v11, v53, v0, 0 op_sel_hi:[0,1,0]
	v_or_b32_e32 v0, v191, v124
	s_delay_alu instid0(VALU_DEP_1) | instskip(SKIP_1) | instid1(VALU_DEP_1)
	v_fma_mixlo_f16 v15, v53, v0, 0 op_sel_hi:[0,1,0]
	v_or_b32_e32 v0, v136, v190
	v_fma_mixlo_f16 v19, v53, v0, 0 op_sel_hi:[0,1,0]
	scratch_load_b32 v0, off, s32 offset:592 th:TH_LOAD_LU ; 4-byte Folded Reload
	s_wait_loadcnt 0x0
	v_or_b32_e32 v0, v106, v0
	v_fma_mixlo_f16 v106, v53, v106, 0 op_sel:[0,1,0] op_sel_hi:[0,1,0]
	s_delay_alu instid0(VALU_DEP_2) | instskip(SKIP_4) | instid1(VALU_DEP_2)
	v_fma_mixlo_f16 v191, v53, v0, 0 op_sel_hi:[0,1,0]
	scratch_load_b32 v0, off, s32 offset:588 th:TH_LOAD_LU ; 4-byte Folded Reload
	s_wait_loadcnt 0x0
	v_or_b32_e32 v0, v127, v0
	v_fma_mixlo_f16 v127, v53, v110, 0 op_sel:[0,1,0] op_sel_hi:[0,1,0]
	v_fma_mixlo_f16 v8, v53, v0, 0 op_sel_hi:[0,1,0]
	scratch_load_b32 v0, off, s32 offset:596 th:TH_LOAD_LU ; 4-byte Folded Reload
	s_wait_loadcnt 0x0
	v_or_b32_e32 v0, v108, v0
	v_fma_mixlo_f16 v108, v53, v79, 0 op_sel:[0,1,0] op_sel_hi:[0,1,0]
	s_delay_alu instid0(VALU_DEP_2) | instskip(SKIP_3) | instid1(VALU_DEP_1)
	v_fma_mixlo_f16 v105, v53, v0, 0 op_sel_hi:[0,1,0]
	scratch_load_b32 v0, off, s32 offset:600 th:TH_LOAD_LU ; 4-byte Folded Reload
	s_wait_loadcnt 0x0
	v_or_b32_e32 v0, v110, v0
	v_fma_mixlo_f16 v30, v53, v0, 0 op_sel_hi:[0,1,0]
	scratch_load_b32 v0, off, s32 offset:576 th:TH_LOAD_LU ; 4-byte Folded Reload
	s_wait_loadcnt 0x0
	v_or_b32_e32 v0, v90, v0
	v_fma_mixlo_f16 v90, v53, v90, 0 op_sel:[0,1,0] op_sel_hi:[0,1,0]
	s_delay_alu instid0(VALU_DEP_2) | instskip(SKIP_3) | instid1(VALU_DEP_1)
	v_fma_mixlo_f16 v107, v53, v0, 0 op_sel_hi:[0,1,0]
	scratch_load_b32 v0, off, s32 offset:572 th:TH_LOAD_LU ; 4-byte Folded Reload
	s_wait_loadcnt 0x0
	v_or_b32_e32 v0, v79, v0
	;; [unrolled: 10-line block ×4, first 2 shown]
	v_fma_mixlo_f16 v93, v53, v0, 0 op_sel_hi:[0,1,0]
	scratch_load_b32 v0, off, s32 offset:564 th:TH_LOAD_LU ; 4-byte Folded Reload
	s_wait_loadcnt 0x0
	v_or_b32_e32 v0, v76, v0
	s_delay_alu instid0(VALU_DEP_1) | instskip(SKIP_4) | instid1(VALU_DEP_2)
	v_fma_mixlo_f16 v73, v53, v0, 0 op_sel_hi:[0,1,0]
	scratch_load_b32 v0, off, s32 offset:568 th:TH_LOAD_LU ; 4-byte Folded Reload
	s_wait_loadcnt 0x0
	v_or_b32_e32 v0, v77, v0
	v_fma_mixlo_f16 v77, v53, v47, 0 op_sel:[0,1,0] op_sel_hi:[0,1,0]
	v_fma_mixlo_f16 v63, v53, v0, 0 op_sel_hi:[0,1,0]
	scratch_load_b32 v0, off, s32 offset:544 th:TH_LOAD_LU ; 4-byte Folded Reload
	s_wait_loadcnt 0x0
	v_or_b32_e32 v0, v58, v0
	s_delay_alu instid0(VALU_DEP_1) | instskip(SKIP_4) | instid1(VALU_DEP_2)
	v_fma_mixlo_f16 v76, v53, v0, 0 op_sel_hi:[0,1,0]
	scratch_load_b32 v0, off, s32 offset:540 th:TH_LOAD_LU ; 4-byte Folded Reload
	s_wait_loadcnt 0x0
	v_or_b32_e32 v0, v47, v0
	v_fma_mixlo_f16 v47, v53, v61, 0 op_sel:[0,1,0] op_sel_hi:[0,1,0]
	v_fma_mixlo_f16 v36, v53, v0, 0 op_sel_hi:[0,1,0]
	scratch_load_b32 v0, off, s32 offset:548 th:TH_LOAD_LU ; 4-byte Folded Reload
	s_wait_loadcnt 0x0
	v_or_b32_e32 v0, v60, v0
	v_fma_mixlo_f16 v60, v53, v42, 0 op_sel:[0,1,0] op_sel_hi:[0,1,0]
	s_delay_alu instid0(VALU_DEP_2) | instskip(SKIP_3) | instid1(VALU_DEP_1)
	v_fma_mixlo_f16 v58, v53, v0, 0 op_sel_hi:[0,1,0]
	scratch_load_b32 v0, off, s32 offset:552 th:TH_LOAD_LU ; 4-byte Folded Reload
	s_wait_loadcnt 0x0
	v_or_b32_e32 v0, v61, v0
	v_fma_mixlo_f16 v56, v53, v0, 0 op_sel_hi:[0,1,0]
	scratch_load_b32 v0, off, s32 offset:528 th:TH_LOAD_LU ; 4-byte Folded Reload
	s_wait_loadcnt 0x0
	v_or_b32_e32 v0, v42, v0
	s_delay_alu instid0(VALU_DEP_1) | instskip(SKIP_4) | instid1(VALU_DEP_2)
	v_fma_mixlo_f16 v61, v53, v0, 0 op_sel_hi:[0,1,0]
	scratch_load_b32 v0, off, s32 offset:524 th:TH_LOAD_LU ; 4-byte Folded Reload
	s_wait_loadcnt 0x0
	v_or_b32_e32 v0, v183, v0
	v_fma_mixlo_f16 v183, v53, v45, 0 op_sel:[0,1,0] op_sel_hi:[0,1,0]
	v_fma_mixlo_f16 v85, v53, v0, 0 op_sel_hi:[0,1,0]
	scratch_load_b32 v0, off, s32 offset:532 th:TH_LOAD_LU ; 4-byte Folded Reload
	s_wait_loadcnt 0x0
	v_or_b32_e32 v0, v44, v0
	v_fma_mixlo_f16 v44, v53, v44, 0 op_sel:[0,1,0] op_sel_hi:[0,1,0]
	s_delay_alu instid0(VALU_DEP_2) | instskip(SKIP_3) | instid1(VALU_DEP_1)
	v_fma_mixlo_f16 v59, v53, v0, 0 op_sel_hi:[0,1,0]
	scratch_load_b32 v0, off, s32 offset:536 th:TH_LOAD_LU ; 4-byte Folded Reload
	s_wait_loadcnt 0x0
	v_or_b32_e32 v0, v45, v0
	;; [unrolled: 20-line block ×3, first 2 shown]
	v_fma_mixlo_f16 v178, v53, v0, 0 op_sel_hi:[0,1,0]
	s_clause 0x1
	scratch_load_b32 v0, off, s32 offset:492 th:TH_LOAD_LU
	scratch_load_b32 v1, off, s32 offset:500 th:TH_LOAD_LU
	s_wait_loadcnt 0x0
	v_or_b32_e32 v0, v1, v0
	v_fma_mixlo_f16 v34, v53, v1, 0 op_sel:[0,1,0] op_sel_hi:[0,1,0]
	scratch_load_b32 v1, off, s32 offset:488 th:TH_LOAD_LU ; 4-byte Folded Reload
	v_fma_mixlo_f16 v100, v53, v0, 0 op_sel_hi:[0,1,0]
	s_wait_loadcnt 0x0
	v_or_b32_e32 v0, v1, v164
	v_fma_mixlo_f16 v101, v53, v1, 0 op_sel:[0,1,0] op_sel_hi:[0,1,0]
	v_fma_mixlo_f16 v164, v53, v151, 0 op_sel:[0,1,0] op_sel_hi:[0,1,0]
	s_delay_alu instid0(VALU_DEP_3) | instskip(SKIP_4) | instid1(VALU_DEP_2)
	v_fma_mixlo_f16 v103, v53, v0, 0 op_sel_hi:[0,1,0]
	scratch_load_b32 v0, off, s32 offset:496 th:TH_LOAD_LU ; 4-byte Folded Reload
	s_wait_loadcnt 0x0
	v_or_b32_e32 v0, v151, v0
	v_fma_mixlo_f16 v151, v53, v68, 0 op_sel:[0,1,0] op_sel_hi:[0,1,0]
	v_fma_mixlo_f16 v181, v53, v0, 0 op_sel_hi:[0,1,0]
	scratch_load_b32 v0, off, s32 offset:504 th:TH_LOAD_LU ; 4-byte Folded Reload
	s_wait_loadcnt 0x0
	v_or_b32_e32 v0, v68, v0
	s_delay_alu instid0(VALU_DEP_1)
	v_fma_mixlo_f16 v162, v53, v0, 0 op_sel_hi:[0,1,0]
	s_clause 0x1
	scratch_load_b32 v0, off, s32 offset:468 th:TH_LOAD_LU
	scratch_load_b32 v1, off, s32 offset:476 th:TH_LOAD_LU
	s_wait_loadcnt 0x0
	v_or_b32_e32 v0, v1, v0
	v_fma_mixlo_f16 v51, v53, v1, 0 op_sel:[0,1,0] op_sel_hi:[0,1,0]
	scratch_load_b32 v1, off, s32 offset:464 th:TH_LOAD_LU ; 4-byte Folded Reload
	v_fma_mixlo_f16 v112, v53, v0, 0 op_sel_hi:[0,1,0]
	s_wait_loadcnt 0x0
	v_or_b32_e32 v0, v1, v165
	v_fma_mixlo_f16 v113, v53, v1, 0 op_sel:[0,1,0] op_sel_hi:[0,1,0]
	s_delay_alu instid0(VALU_DEP_2)
	v_fma_mixlo_f16 v114, v53, v0, 0 op_sel_hi:[0,1,0]
	s_clause 0x1
	scratch_load_b32 v0, off, s32 offset:472 th:TH_LOAD_LU
	scratch_load_b32 v1, off, s32 offset:484 th:TH_LOAD_LU
	s_wait_loadcnt 0x0
	v_or_b32_e32 v0, v1, v0
	v_fma_mixlo_f16 v148, v53, v1, 0 op_sel:[0,1,0] op_sel_hi:[0,1,0]
	s_delay_alu instid0(VALU_DEP_2)
	v_fma_mixlo_f16 v165, v53, v0, 0 op_sel_hi:[0,1,0]
	s_clause 0x1
	scratch_load_b32 v0, off, s32 offset:480 th:TH_LOAD_LU
	scratch_load_b32 v1, off, s32 offset:644 th:TH_LOAD_LU
	;; [unrolled: 8-line block ×17, first 2 shown]
	v_and_b32_e32 v70, 0xffff, v70
	v_and_b32_e32 v68, 0xffff, v68
	s_wait_loadcnt 0x0
	v_or_b32_e32 v0, v1, v0
	v_fma_mixlo_f16 v83, v53, v1, 0 op_sel:[0,1,0] op_sel_hi:[0,1,0]
	s_delay_alu instid0(VALU_DEP_2)
	v_fma_mixlo_f16 v94, v53, v0, 0 op_sel_hi:[0,1,0]
	s_clause 0x1
	scratch_load_b32 v0, off, s32 offset:372 th:TH_LOAD_LU
	scratch_load_b32 v1, off, s32 offset:628 th:TH_LOAD_LU
	s_wait_loadcnt 0x0
	v_or_b32_e32 v0, v1, v0
	v_fma_mixlo_f16 v12, v53, v1, 0 op_sel:[0,1,0] op_sel_hi:[0,1,0]
	s_delay_alu instid0(VALU_DEP_2)
	v_fma_mixlo_f16 v126, v53, v0, 0 op_sel_hi:[0,1,0]
	s_clause 0x1
	scratch_load_b32 v0, off, s32 offset:332 th:TH_LOAD_LU
	scratch_load_b32 v1, off, s32 offset:340 th:TH_LOAD_LU
	;; [unrolled: 8-line block ×5, first 2 shown]
	scratch_load_b32 v2, off, s32 offset:992
	s_wait_loadcnt 0x1
	v_or_b32_e32 v0, v1, v0
	v_fma_mixlo_f16 v7, v53, v1, 0 op_sel:[0,1,0] op_sel_hi:[0,1,0]
	scratch_load_b32 v1, off, s32 offset:996 ; 4-byte Folded Reload
	v_fma_mixlo_f16 v6, v53, v0, 0 op_sel_hi:[0,1,0]
	s_wait_loadcnt 0x0
	v_sub_nc_u32_e32 v0, 1, v1
	v_cmp_lt_i32_e64 s1, v139, v1
	s_delay_alu instid0(VALU_DEP_2) | instskip(SKIP_1) | instid1(VALU_DEP_2)
	v_add_nc_u32_e32 v0, v0, v139
	v_add_nc_u32_e32 v139, 0x80, v139
	v_cvt_f32_i32_e32 v0, v0
	s_delay_alu instid0(VALU_DEP_1) | instskip(SKIP_2) | instid1(VALU_DEP_2)
	v_mul_f32_e32 v0, v2, v0
	v_fma_mixlo_f16 v2, v53, v35, 0 op_sel:[0,1,0] op_sel_hi:[0,1,0]
	s_wait_alu 0xfffd
	v_cndmask_b32_e32 v54, 0, v0, vcc_lo
	v_or_b32_e32 v0, v35, v71
	s_delay_alu instid0(VALU_DEP_1) | instskip(SKIP_2) | instid1(VALU_DEP_1)
	v_fma_mixlo_f16 v0, v53, v0, 0 op_sel_hi:[0,1,0]
	scratch_store_b32 off, v0, s32 offset:340 ; 4-byte Folded Spill
	v_or_b32_e32 v0, v29, v28
	v_fma_mixlo_f16 v0, v53, v0, 0 op_sel_hi:[0,1,0]
	scratch_store_b32 off, v0, s32 offset:348 ; 4-byte Folded Spill
	v_or_b32_e32 v0, v14, v82
	s_delay_alu instid0(VALU_DEP_1)
	v_fma_mixlo_f16 v0, v53, v0, 0 op_sel_hi:[0,1,0]
	scratch_store_b32 off, v2, s32 offset:336 ; 4-byte Folded Spill
	v_fma_mixlo_f16 v2, v53, v29, 0 op_sel:[0,1,0] op_sel_hi:[0,1,0]
	scratch_store_b32 off, v0, s32 offset:332 ; 4-byte Folded Spill
	v_or_b32_e32 v0, v20, v16
	scratch_store_b32 off, v2, s32 offset:344 ; 4-byte Folded Spill
	v_fma_mixlo_f16 v2, v53, v14, 0 op_sel:[0,1,0] op_sel_hi:[0,1,0]
	v_fma_mixlo_f16 v0, v53, v0, 0 op_sel_hi:[0,1,0]
	v_fma_mixlo_f16 v53, v53, v20, 0 op_sel:[0,1,0] op_sel_hi:[0,1,0]
	s_clause 0x1
	scratch_store_b32 off, v2, s32 offset:328
	scratch_store_b32 off, v0, s32 offset:324
	ds_load_b128 v[0:3], v9
	s_wait_dscnt 0x0
	v_lshrrev_b32_e32 v14, 16, v0
	v_and_b32_e32 v0, 0xffff, v0
	;;#ASMSTART
	v_cvt_f32_f16 v20, v0;
	;;#ASMEND
	v_and_b32_e32 v0, 0xffff, v136
	;;#ASMSTART
	v_cvt_f32_f16 v28, v14;
	;;#ASMEND
	;;#ASMSTART
	v_cvt_f32_f16 v29, v0;
	;;#ASMEND
	v_and_b32_e32 v0, 0xffff, v190
	;;#ASMSTART
	v_cvt_f32_f16 v35, v0;
	;;#ASMEND
	v_lshrrev_b32_e32 v0, 16, v1
	v_and_b32_e32 v1, 0xffff, v1
	;;#ASMSTART
	v_cvt_f32_f16 v82, v1;
	;;#ASMEND
	;;#ASMSTART
	v_cvt_f32_f16 v136, v0;
	;;#ASMEND
	v_and_b32_e32 v0, 0xffff, v142
	;;#ASMSTART
	v_cvt_f32_f16 v142, v0;
	;;#ASMEND
	v_and_b32_e32 v0, 0xffff, v4
	;;#ASMSTART
	v_cvt_f32_f16 v4, v0;
	;;#ASMEND
	v_lshrrev_b32_e32 v0, 16, v2
	v_and_b32_e32 v1, 0xffff, v2
	;;#ASMSTART
	v_cvt_f32_f16 v190, v1;
	;;#ASMEND
	;;#ASMSTART
	v_cvt_f32_f16 v138, v0;
	;;#ASMEND
	v_and_b32_e32 v0, 0xffff, v137
	;; [unrolled: 16-line block ×3, first 2 shown]
	;;#ASMSTART
	v_cvt_f32_f16 v6, v0;
	;;#ASMEND
	v_and_b32_e32 v0, 0xffff, v7
	;;#ASMSTART
	v_cvt_f32_f16 v7, v0;
	;;#ASMEND
	ds_load_b128 v[0:3], v9 offset:16
	s_wait_dscnt 0x0
	v_lshrrev_b32_e32 v71, 16, v0
	v_and_b32_e32 v0, 0xffff, v0
	;;#ASMSTART
	v_cvt_f32_f16 v0, v0;
	;;#ASMEND
	;;#ASMSTART
	v_cvt_f32_f16 v71, v71;
	;;#ASMEND
	;; [unrolled: 3-line block ×4, first 2 shown]
	v_mul_f32_e32 v70, v0, v68
	v_dual_mul_f32 v71, v71, v184 :: v_dual_and_b32 v0, 0xffff, v1
	;;#ASMSTART
	v_cvt_f32_f16 v0, v0;
	;;#ASMEND
	s_delay_alu instid0(VALU_DEP_2)
	v_fmac_f32_e32 v70, v20, v29
	v_lshrrev_b32_e32 v20, 16, v1
	;;#ASMSTART
	v_cvt_f32_f16 v1, v20;
	;;#ASMEND
	v_dual_fmac_f32 v71, v28, v35 :: v_dual_and_b32 v20, 0xffff, v81
	;;#ASMSTART
	v_cvt_f32_f16 v20, v20;
	;;#ASMEND
	v_and_b32_e32 v28, 0xffff, v80
	s_delay_alu instid0(VALU_DEP_2) | instskip(SKIP_1) | instid1(VALU_DEP_2)
	v_mul_f32_e32 v81, v0, v20
	;;#ASMSTART
	v_cvt_f32_f16 v28, v28;
	;;#ASMEND
	v_mul_f32_e32 v80, v1, v28
	v_lshrrev_b32_e32 v1, 16, v2
	v_and_b32_e32 v0, 0xffff, v2
	v_fmac_f32_e32 v81, v82, v142
	v_and_b32_e32 v2, 0xffff, v94
	v_fmac_f32_e32 v80, v136, v4
	;;#ASMSTART
	v_cvt_f32_f16 v0, v0;
	;;#ASMEND
	;;#ASMSTART
	v_cvt_f32_f16 v1, v1;
	;;#ASMEND
	;; [unrolled: 3-line block ×3, first 2 shown]
	v_and_b32_e32 v4, 0xffff, v83
	;;#ASMSTART
	v_cvt_f32_f16 v4, v4;
	;;#ASMEND
	s_delay_alu instid0(VALU_DEP_1)
	v_dual_mul_f32 v83, v0, v2 :: v_dual_mul_f32 v82, v1, v4
	v_lshrrev_b32_e32 v1, 16, v3
	v_and_b32_e32 v0, 0xffff, v3
	v_and_b32_e32 v2, 0xffff, v126
	;; [unrolled: 1-line block ×3, first 2 shown]
	;;#ASMSTART
	v_cvt_f32_f16 v0, v0;
	;;#ASMEND
	;;#ASMSTART
	v_cvt_f32_f16 v1, v1;
	;;#ASMEND
	;; [unrolled: 3-line block ×4, first 2 shown]
	v_dual_mul_f32 v35, v0, v2 :: v_dual_mul_f32 v12, v1, v3
	ds_load_b128 v[0:3], v9 offset:32
	v_fmac_f32_e32 v83, v190, v137
	v_dual_fmac_f32 v82, v138, v5 :: v_dual_fmac_f32 v35, v16, v6
	v_and_b32_e32 v5, 0xffff, v155
	v_and_b32_e32 v6, 0xffff, v125
	s_wait_dscnt 0x0
	v_lshrrev_b32_e32 v4, 16, v0
	v_and_b32_e32 v0, 0xffff, v0
	;;#ASMSTART
	v_cvt_f32_f16 v0, v0;
	;;#ASMEND
	;;#ASMSTART
	v_cvt_f32_f16 v4, v4;
	;;#ASMEND
	;; [unrolled: 3-line block ×4, first 2 shown]
	v_fmac_f32_e32 v70, v0, v5
	v_fmac_f32_e32 v71, v4, v6
	v_lshrrev_b32_e32 v4, 16, v1
	v_and_b32_e32 v0, 0xffff, v1
	;;#ASMSTART
	v_cvt_f32_f16 v0, v0;
	;;#ASMEND
	;;#ASMSTART
	v_cvt_f32_f16 v1, v4;
	;;#ASMEND
	v_and_b32_e32 v4, 0xffff, v124
	v_and_b32_e32 v5, 0xffff, v144
	;;#ASMSTART
	v_cvt_f32_f16 v4, v4;
	;;#ASMEND
	;;#ASMSTART
	v_cvt_f32_f16 v5, v5;
	;;#ASMEND
	s_delay_alu instid0(VALU_DEP_1)
	v_dual_fmac_f32 v81, v0, v4 :: v_dual_fmac_f32 v80, v1, v5
	v_lshrrev_b32_e32 v1, 16, v2
	v_and_b32_e32 v0, 0xffff, v2
	v_and_b32_e32 v2, 0xffff, v64
	;;#ASMSTART
	v_cvt_f32_f16 v0, v0;
	;;#ASMEND
	;;#ASMSTART
	v_cvt_f32_f16 v1, v1;
	;;#ASMEND
	;; [unrolled: 3-line block ×3, first 2 shown]
	s_delay_alu instid0(VALU_DEP_1) | instskip(SKIP_2) | instid1(VALU_DEP_1)
	v_dual_fmac_f32 v83, v0, v2 :: v_dual_fmac_f32 v12, v14, v7
	v_and_b32_e32 v4, 0xffff, v18
	;;#ASMSTART
	v_cvt_f32_f16 v4, v4;
	;;#ASMEND
	v_fmac_f32_e32 v82, v1, v4
	v_lshrrev_b32_e32 v1, 16, v3
	v_and_b32_e32 v0, 0xffff, v3
	v_and_b32_e32 v2, 0xffff, v186
	;; [unrolled: 1-line block ×3, first 2 shown]
	;;#ASMSTART
	v_cvt_f32_f16 v0, v0;
	;;#ASMEND
	;;#ASMSTART
	v_cvt_f32_f16 v1, v1;
	;;#ASMEND
	;; [unrolled: 3-line block ×4, first 2 shown]
	v_dual_fmac_f32 v35, v0, v2 :: v_dual_fmac_f32 v12, v1, v3
	ds_load_b128 v[0:3], v9 offset:48
	v_and_b32_e32 v5, 0xffff, v174
	v_and_b32_e32 v6, 0xffff, v172
	s_wait_dscnt 0x0
	v_lshrrev_b32_e32 v4, 16, v0
	v_and_b32_e32 v0, 0xffff, v0
	;;#ASMSTART
	v_cvt_f32_f16 v0, v0;
	;;#ASMEND
	;;#ASMSTART
	v_cvt_f32_f16 v4, v4;
	;;#ASMEND
	;;#ASMSTART
	v_cvt_f32_f16 v5, v5;
	;;#ASMEND
	;;#ASMSTART
	v_cvt_f32_f16 v6, v6;
	;;#ASMEND
	v_fmac_f32_e32 v70, v0, v5
	v_fmac_f32_e32 v71, v4, v6
	v_lshrrev_b32_e32 v4, 16, v1
	v_and_b32_e32 v0, 0xffff, v1
	;;#ASMSTART
	v_cvt_f32_f16 v0, v0;
	;;#ASMEND
	;;#ASMSTART
	v_cvt_f32_f16 v1, v4;
	;;#ASMEND
	v_and_b32_e32 v4, 0xffff, v149
	v_and_b32_e32 v5, 0xffff, v169
	;;#ASMSTART
	v_cvt_f32_f16 v4, v4;
	;;#ASMEND
	;;#ASMSTART
	v_cvt_f32_f16 v5, v5;
	;;#ASMEND
	s_delay_alu instid0(VALU_DEP_1)
	v_dual_fmac_f32 v81, v0, v4 :: v_dual_fmac_f32 v80, v1, v5
	v_lshrrev_b32_e32 v1, 16, v2
	v_and_b32_e32 v0, 0xffff, v2
	v_and_b32_e32 v2, 0xffff, v159
	;;#ASMSTART
	v_cvt_f32_f16 v0, v0;
	;;#ASMEND
	;;#ASMSTART
	v_cvt_f32_f16 v1, v1;
	;;#ASMEND
	;; [unrolled: 3-line block ×3, first 2 shown]
	v_and_b32_e32 v4, 0xffff, v157
	;;#ASMSTART
	v_cvt_f32_f16 v4, v4;
	;;#ASMEND
	s_delay_alu instid0(VALU_DEP_1)
	v_dual_fmac_f32 v83, v0, v2 :: v_dual_fmac_f32 v82, v1, v4
	v_lshrrev_b32_e32 v1, 16, v3
	v_and_b32_e32 v0, 0xffff, v3
	v_and_b32_e32 v2, 0xffff, v133
	;; [unrolled: 1-line block ×3, first 2 shown]
	;;#ASMSTART
	v_cvt_f32_f16 v0, v0;
	;;#ASMEND
	;;#ASMSTART
	v_cvt_f32_f16 v1, v1;
	;;#ASMEND
	;; [unrolled: 3-line block ×4, first 2 shown]
	v_dual_fmac_f32 v35, v0, v2 :: v_dual_fmac_f32 v12, v1, v3
	ds_load_b128 v[0:3], v9 offset:64
	v_and_b32_e32 v5, 0xffff, v130
	v_and_b32_e32 v6, 0xffff, v119
	s_wait_dscnt 0x0
	v_lshrrev_b32_e32 v4, 16, v0
	v_and_b32_e32 v0, 0xffff, v0
	;;#ASMSTART
	v_cvt_f32_f16 v0, v0;
	;;#ASMEND
	;;#ASMSTART
	v_cvt_f32_f16 v4, v4;
	;;#ASMEND
	;;#ASMSTART
	v_cvt_f32_f16 v5, v5;
	;;#ASMEND
	;;#ASMSTART
	v_cvt_f32_f16 v6, v6;
	;;#ASMEND
	v_fmac_f32_e32 v70, v0, v5
	v_fmac_f32_e32 v71, v4, v6
	v_lshrrev_b32_e32 v4, 16, v1
	v_and_b32_e32 v0, 0xffff, v1
	;;#ASMSTART
	v_cvt_f32_f16 v0, v0;
	;;#ASMEND
	;;#ASMSTART
	v_cvt_f32_f16 v1, v4;
	;;#ASMEND
	v_and_b32_e32 v4, 0xffff, v50
	v_and_b32_e32 v5, 0xffff, v117
	;;#ASMSTART
	v_cvt_f32_f16 v4, v4;
	;;#ASMEND
	;;#ASMSTART
	v_cvt_f32_f16 v5, v5;
	;;#ASMEND
	s_delay_alu instid0(VALU_DEP_1)
	v_dual_fmac_f32 v81, v0, v4 :: v_dual_fmac_f32 v80, v1, v5
	v_lshrrev_b32_e32 v1, 16, v2
	v_and_b32_e32 v0, 0xffff, v2
	v_and_b32_e32 v2, 0xffff, v120
	;;#ASMSTART
	v_cvt_f32_f16 v0, v0;
	;;#ASMEND
	;;#ASMSTART
	v_cvt_f32_f16 v1, v1;
	;;#ASMEND
	;;#ASMSTART
	v_cvt_f32_f16 v2, v2;
	;;#ASMEND
	v_and_b32_e32 v4, 0xffff, v116
	;;#ASMSTART
	v_cvt_f32_f16 v4, v4;
	;;#ASMEND
	s_delay_alu instid0(VALU_DEP_1)
	v_dual_fmac_f32 v83, v0, v2 :: v_dual_fmac_f32 v82, v1, v4
	v_lshrrev_b32_e32 v1, 16, v3
	v_and_b32_e32 v0, 0xffff, v3
	v_and_b32_e32 v2, 0xffff, v49
	;; [unrolled: 1-line block ×3, first 2 shown]
	;;#ASMSTART
	v_cvt_f32_f16 v0, v0;
	;;#ASMEND
	;;#ASMSTART
	v_cvt_f32_f16 v1, v1;
	;;#ASMEND
	;; [unrolled: 3-line block ×4, first 2 shown]
	v_dual_fmac_f32 v35, v0, v2 :: v_dual_fmac_f32 v12, v1, v3
	ds_load_b128 v[0:3], v9 offset:80
	v_and_b32_e32 v5, 0xffff, v114
	v_and_b32_e32 v6, 0xffff, v113
	s_wait_dscnt 0x0
	v_lshrrev_b32_e32 v4, 16, v0
	v_and_b32_e32 v0, 0xffff, v0
	;;#ASMSTART
	v_cvt_f32_f16 v0, v0;
	;;#ASMEND
	;;#ASMSTART
	v_cvt_f32_f16 v4, v4;
	;;#ASMEND
	;; [unrolled: 3-line block ×4, first 2 shown]
	v_fmac_f32_e32 v70, v0, v5
	v_fmac_f32_e32 v71, v4, v6
	v_lshrrev_b32_e32 v4, 16, v1
	v_and_b32_e32 v0, 0xffff, v1
	;;#ASMSTART
	v_cvt_f32_f16 v0, v0;
	;;#ASMEND
	;;#ASMSTART
	v_cvt_f32_f16 v1, v4;
	;;#ASMEND
	v_and_b32_e32 v4, 0xffff, v112
	v_and_b32_e32 v5, 0xffff, v51
	;;#ASMSTART
	v_cvt_f32_f16 v4, v4;
	;;#ASMEND
	;;#ASMSTART
	v_cvt_f32_f16 v5, v5;
	;;#ASMEND
	s_delay_alu instid0(VALU_DEP_1)
	v_dual_fmac_f32 v81, v0, v4 :: v_dual_fmac_f32 v80, v1, v5
	v_lshrrev_b32_e32 v1, 16, v2
	v_and_b32_e32 v0, 0xffff, v2
	v_and_b32_e32 v2, 0xffff, v165
	;;#ASMSTART
	v_cvt_f32_f16 v0, v0;
	;;#ASMEND
	;;#ASMSTART
	v_cvt_f32_f16 v1, v1;
	;;#ASMEND
	;;#ASMSTART
	v_cvt_f32_f16 v2, v2;
	;;#ASMEND
	v_and_b32_e32 v4, 0xffff, v148
	;;#ASMSTART
	v_cvt_f32_f16 v4, v4;
	;;#ASMEND
	s_delay_alu instid0(VALU_DEP_1)
	v_dual_fmac_f32 v83, v0, v2 :: v_dual_fmac_f32 v82, v1, v4
	v_lshrrev_b32_e32 v1, 16, v3
	v_and_b32_e32 v0, 0xffff, v3
	v_and_b32_e32 v2, 0xffff, v146
	;; [unrolled: 1-line block ×3, first 2 shown]
	;;#ASMSTART
	v_cvt_f32_f16 v0, v0;
	;;#ASMEND
	;;#ASMSTART
	v_cvt_f32_f16 v1, v1;
	;;#ASMEND
	;; [unrolled: 3-line block ×4, first 2 shown]
	v_dual_fmac_f32 v35, v0, v2 :: v_dual_fmac_f32 v12, v1, v3
	ds_load_b128 v[0:3], v9 offset:96
	v_and_b32_e32 v5, 0xffff, v103
	v_and_b32_e32 v6, 0xffff, v101
	s_wait_dscnt 0x0
	v_lshrrev_b32_e32 v4, 16, v0
	v_and_b32_e32 v0, 0xffff, v0
	;;#ASMSTART
	v_cvt_f32_f16 v0, v0;
	;;#ASMEND
	;;#ASMSTART
	v_cvt_f32_f16 v4, v4;
	;;#ASMEND
	;; [unrolled: 3-line block ×4, first 2 shown]
	v_fmac_f32_e32 v70, v0, v5
	v_fmac_f32_e32 v71, v4, v6
	v_lshrrev_b32_e32 v4, 16, v1
	v_and_b32_e32 v0, 0xffff, v1
	;;#ASMSTART
	v_cvt_f32_f16 v0, v0;
	;;#ASMEND
	;;#ASMSTART
	v_cvt_f32_f16 v1, v4;
	;;#ASMEND
	v_and_b32_e32 v4, 0xffff, v100
	v_and_b32_e32 v5, 0xffff, v34
	;;#ASMSTART
	v_cvt_f32_f16 v4, v4;
	;;#ASMEND
	;;#ASMSTART
	v_cvt_f32_f16 v5, v5;
	;;#ASMEND
	s_delay_alu instid0(VALU_DEP_1)
	v_dual_fmac_f32 v81, v0, v4 :: v_dual_fmac_f32 v80, v1, v5
	v_lshrrev_b32_e32 v1, 16, v2
	v_and_b32_e32 v0, 0xffff, v2
	v_and_b32_e32 v2, 0xffff, v181
	;;#ASMSTART
	v_cvt_f32_f16 v0, v0;
	;;#ASMEND
	;;#ASMSTART
	v_cvt_f32_f16 v1, v1;
	;;#ASMEND
	;; [unrolled: 3-line block ×3, first 2 shown]
	v_and_b32_e32 v4, 0xffff, v164
	;;#ASMSTART
	v_cvt_f32_f16 v4, v4;
	;;#ASMEND
	s_delay_alu instid0(VALU_DEP_1)
	v_dual_fmac_f32 v83, v0, v2 :: v_dual_fmac_f32 v82, v1, v4
	v_lshrrev_b32_e32 v1, 16, v3
	v_and_b32_e32 v0, 0xffff, v3
	v_and_b32_e32 v2, 0xffff, v162
	;; [unrolled: 1-line block ×3, first 2 shown]
	;;#ASMSTART
	v_cvt_f32_f16 v0, v0;
	;;#ASMEND
	;;#ASMSTART
	v_cvt_f32_f16 v1, v1;
	;;#ASMEND
	;; [unrolled: 3-line block ×4, first 2 shown]
	v_dual_fmac_f32 v35, v0, v2 :: v_dual_fmac_f32 v12, v1, v3
	ds_load_b128 v[0:3], v9 offset:112
	v_and_b32_e32 v5, 0xffff, v98
	v_and_b32_e32 v6, 0xffff, v23
	s_wait_dscnt 0x0
	v_lshrrev_b32_e32 v4, 16, v0
	v_and_b32_e32 v0, 0xffff, v0
	;;#ASMSTART
	v_cvt_f32_f16 v0, v0;
	;;#ASMEND
	;;#ASMSTART
	v_cvt_f32_f16 v4, v4;
	;;#ASMEND
	;; [unrolled: 3-line block ×4, first 2 shown]
	v_fmac_f32_e32 v70, v0, v5
	v_fmac_f32_e32 v71, v4, v6
	v_lshrrev_b32_e32 v4, 16, v1
	v_and_b32_e32 v0, 0xffff, v1
	;;#ASMSTART
	v_cvt_f32_f16 v0, v0;
	;;#ASMEND
	;;#ASMSTART
	v_cvt_f32_f16 v1, v4;
	;;#ASMEND
	v_and_b32_e32 v4, 0xffff, v87
	v_and_b32_e32 v5, 0xffff, v48
	;;#ASMSTART
	v_cvt_f32_f16 v4, v4;
	;;#ASMEND
	;;#ASMSTART
	v_cvt_f32_f16 v5, v5;
	;;#ASMEND
	s_delay_alu instid0(VALU_DEP_1)
	v_dual_fmac_f32 v81, v0, v4 :: v_dual_fmac_f32 v80, v1, v5
	v_lshrrev_b32_e32 v1, 16, v2
	v_and_b32_e32 v0, 0xffff, v2
	v_and_b32_e32 v2, 0xffff, v45
	;;#ASMSTART
	v_cvt_f32_f16 v0, v0;
	;;#ASMEND
	;;#ASMSTART
	v_cvt_f32_f16 v1, v1;
	;;#ASMEND
	;; [unrolled: 3-line block ×3, first 2 shown]
	v_and_b32_e32 v4, 0xffff, v180
	;;#ASMSTART
	v_cvt_f32_f16 v4, v4;
	;;#ASMEND
	s_delay_alu instid0(VALU_DEP_1)
	v_dual_fmac_f32 v83, v0, v2 :: v_dual_fmac_f32 v82, v1, v4
	v_lshrrev_b32_e32 v1, 16, v3
	v_and_b32_e32 v0, 0xffff, v3
	v_and_b32_e32 v2, 0xffff, v178
	;; [unrolled: 1-line block ×3, first 2 shown]
	;;#ASMSTART
	v_cvt_f32_f16 v0, v0;
	;;#ASMEND
	;;#ASMSTART
	v_cvt_f32_f16 v1, v1;
	;;#ASMEND
	;; [unrolled: 3-line block ×4, first 2 shown]
	v_dual_fmac_f32 v35, v0, v2 :: v_dual_fmac_f32 v12, v1, v3
	ds_load_b128 v[0:3], v9 offset:128
	v_and_b32_e32 v5, 0xffff, v85
	v_and_b32_e32 v6, 0xffff, v84
	s_wait_dscnt 0x0
	v_lshrrev_b32_e32 v4, 16, v0
	v_and_b32_e32 v0, 0xffff, v0
	;;#ASMSTART
	v_cvt_f32_f16 v0, v0;
	;;#ASMEND
	;;#ASMSTART
	v_cvt_f32_f16 v4, v4;
	;;#ASMEND
	;; [unrolled: 3-line block ×4, first 2 shown]
	v_fmac_f32_e32 v70, v0, v5
	v_fmac_f32_e32 v71, v4, v6
	v_lshrrev_b32_e32 v4, 16, v1
	v_and_b32_e32 v0, 0xffff, v1
	;;#ASMSTART
	v_cvt_f32_f16 v0, v0;
	;;#ASMEND
	;;#ASMSTART
	v_cvt_f32_f16 v1, v4;
	;;#ASMEND
	v_and_b32_e32 v4, 0xffff, v61
	v_and_b32_e32 v5, 0xffff, v60
	;;#ASMSTART
	v_cvt_f32_f16 v4, v4;
	;;#ASMEND
	;;#ASMSTART
	v_cvt_f32_f16 v5, v5;
	;;#ASMEND
	s_delay_alu instid0(VALU_DEP_1)
	v_dual_fmac_f32 v81, v0, v4 :: v_dual_fmac_f32 v80, v1, v5
	v_lshrrev_b32_e32 v1, 16, v2
	v_and_b32_e32 v0, 0xffff, v2
	v_and_b32_e32 v2, 0xffff, v59
	;;#ASMSTART
	v_cvt_f32_f16 v0, v0;
	;;#ASMEND
	;;#ASMSTART
	v_cvt_f32_f16 v1, v1;
	;;#ASMEND
	;; [unrolled: 3-line block ×3, first 2 shown]
	v_and_b32_e32 v4, 0xffff, v44
	;;#ASMSTART
	v_cvt_f32_f16 v4, v4;
	;;#ASMEND
	s_delay_alu instid0(VALU_DEP_1)
	v_dual_fmac_f32 v83, v0, v2 :: v_dual_fmac_f32 v82, v1, v4
	v_lshrrev_b32_e32 v1, 16, v3
	v_and_b32_e32 v0, 0xffff, v3
	v_and_b32_e32 v2, 0xffff, v42
	;; [unrolled: 1-line block ×3, first 2 shown]
	;;#ASMSTART
	v_cvt_f32_f16 v0, v0;
	;;#ASMEND
	;;#ASMSTART
	v_cvt_f32_f16 v1, v1;
	;;#ASMEND
	;; [unrolled: 3-line block ×4, first 2 shown]
	v_dual_fmac_f32 v35, v0, v2 :: v_dual_fmac_f32 v12, v1, v3
	ds_load_b128 v[0:3], v9 offset:144
	v_and_b32_e32 v5, 0xffff, v36
	v_and_b32_e32 v6, 0xffff, v77
	s_wait_dscnt 0x0
	v_lshrrev_b32_e32 v4, 16, v0
	v_and_b32_e32 v0, 0xffff, v0
	;;#ASMSTART
	v_cvt_f32_f16 v0, v0;
	;;#ASMEND
	;;#ASMSTART
	v_cvt_f32_f16 v4, v4;
	;;#ASMEND
	;; [unrolled: 3-line block ×4, first 2 shown]
	v_fmac_f32_e32 v70, v0, v5
	v_fmac_f32_e32 v71, v4, v6
	v_lshrrev_b32_e32 v4, 16, v1
	v_and_b32_e32 v0, 0xffff, v1
	;;#ASMSTART
	v_cvt_f32_f16 v0, v0;
	;;#ASMEND
	;;#ASMSTART
	v_cvt_f32_f16 v1, v4;
	;;#ASMEND
	v_and_b32_e32 v4, 0xffff, v76
	v_and_b32_e32 v5, 0xffff, v75
	;;#ASMSTART
	v_cvt_f32_f16 v4, v4;
	;;#ASMEND
	;;#ASMSTART
	v_cvt_f32_f16 v5, v5;
	;;#ASMEND
	s_delay_alu instid0(VALU_DEP_1)
	v_dual_fmac_f32 v81, v0, v4 :: v_dual_fmac_f32 v80, v1, v5
	v_lshrrev_b32_e32 v1, 16, v2
	v_and_b32_e32 v0, 0xffff, v2
	v_and_b32_e32 v2, 0xffff, v58
	;;#ASMSTART
	v_cvt_f32_f16 v0, v0;
	;;#ASMEND
	;;#ASMSTART
	v_cvt_f32_f16 v1, v1;
	;;#ASMEND
	;; [unrolled: 3-line block ×3, first 2 shown]
	v_and_b32_e32 v4, 0xffff, v57
	;;#ASMSTART
	v_cvt_f32_f16 v4, v4;
	;;#ASMEND
	s_delay_alu instid0(VALU_DEP_1)
	v_dual_fmac_f32 v83, v0, v2 :: v_dual_fmac_f32 v82, v1, v4
	v_lshrrev_b32_e32 v1, 16, v3
	v_and_b32_e32 v0, 0xffff, v3
	v_and_b32_e32 v2, 0xffff, v56
	;; [unrolled: 1-line block ×3, first 2 shown]
	;;#ASMSTART
	v_cvt_f32_f16 v0, v0;
	;;#ASMEND
	;;#ASMSTART
	v_cvt_f32_f16 v1, v1;
	;;#ASMEND
	;; [unrolled: 3-line block ×4, first 2 shown]
	v_dual_fmac_f32 v35, v0, v2 :: v_dual_fmac_f32 v12, v1, v3
	ds_load_b128 v[0:3], v9 offset:160
	v_and_b32_e32 v5, 0xffff, v93
	v_and_b32_e32 v6, 0xffff, v92
	s_wait_dscnt 0x0
	v_lshrrev_b32_e32 v4, 16, v0
	v_and_b32_e32 v0, 0xffff, v0
	;;#ASMSTART
	v_cvt_f32_f16 v0, v0;
	;;#ASMEND
	;;#ASMSTART
	v_cvt_f32_f16 v4, v4;
	;;#ASMEND
	;; [unrolled: 3-line block ×4, first 2 shown]
	v_fmac_f32_e32 v70, v0, v5
	v_fmac_f32_e32 v71, v4, v6
	v_lshrrev_b32_e32 v4, 16, v1
	v_and_b32_e32 v0, 0xffff, v1
	;;#ASMSTART
	v_cvt_f32_f16 v0, v0;
	;;#ASMEND
	;;#ASMSTART
	v_cvt_f32_f16 v1, v4;
	;;#ASMEND
	v_and_b32_e32 v4, 0xffff, v91
	v_and_b32_e32 v5, 0xffff, v74
	;;#ASMSTART
	v_cvt_f32_f16 v4, v4;
	;;#ASMEND
	;;#ASMSTART
	v_cvt_f32_f16 v5, v5;
	;;#ASMEND
	s_delay_alu instid0(VALU_DEP_1)
	v_dual_fmac_f32 v81, v0, v4 :: v_dual_fmac_f32 v80, v1, v5
	v_lshrrev_b32_e32 v1, 16, v2
	v_and_b32_e32 v0, 0xffff, v2
	v_and_b32_e32 v2, 0xffff, v73
	;;#ASMSTART
	v_cvt_f32_f16 v0, v0;
	;;#ASMEND
	;;#ASMSTART
	v_cvt_f32_f16 v1, v1;
	;;#ASMEND
	;;#ASMSTART
	v_cvt_f32_f16 v2, v2;
	;;#ASMEND
	v_and_b32_e32 v4, 0xffff, v72
	;;#ASMSTART
	v_cvt_f32_f16 v4, v4;
	;;#ASMEND
	s_delay_alu instid0(VALU_DEP_1)
	v_dual_fmac_f32 v83, v0, v2 :: v_dual_fmac_f32 v82, v1, v4
	v_lshrrev_b32_e32 v1, 16, v3
	v_and_b32_e32 v0, 0xffff, v3
	v_and_b32_e32 v2, 0xffff, v63
	v_and_b32_e32 v3, 0xffff, v62
	;;#ASMSTART
	v_cvt_f32_f16 v0, v0;
	;;#ASMEND
	;;#ASMSTART
	v_cvt_f32_f16 v1, v1;
	;;#ASMEND
	;; [unrolled: 3-line block ×4, first 2 shown]
	v_dual_fmac_f32 v35, v0, v2 :: v_dual_fmac_f32 v12, v1, v3
	ds_load_b128 v[0:3], v9 offset:176
	v_and_b32_e32 v5, 0xffff, v110
	v_and_b32_e32 v6, 0xffff, v108
	s_wait_dscnt 0x0
	v_lshrrev_b32_e32 v4, 16, v0
	v_and_b32_e32 v0, 0xffff, v0
	;;#ASMSTART
	v_cvt_f32_f16 v0, v0;
	;;#ASMEND
	;;#ASMSTART
	v_cvt_f32_f16 v4, v4;
	;;#ASMEND
	;; [unrolled: 3-line block ×4, first 2 shown]
	v_fmac_f32_e32 v70, v0, v5
	v_fmac_f32_e32 v71, v4, v6
	v_lshrrev_b32_e32 v4, 16, v1
	v_and_b32_e32 v0, 0xffff, v1
	;;#ASMSTART
	v_cvt_f32_f16 v0, v0;
	;;#ASMEND
	;;#ASMSTART
	v_cvt_f32_f16 v1, v4;
	;;#ASMEND
	v_and_b32_e32 v4, 0xffff, v107
	v_and_b32_e32 v5, 0xffff, v90
	;;#ASMSTART
	v_cvt_f32_f16 v4, v4;
	;;#ASMEND
	;;#ASMSTART
	v_cvt_f32_f16 v5, v5;
	;;#ASMEND
	s_delay_alu instid0(VALU_DEP_1)
	v_dual_fmac_f32 v81, v0, v4 :: v_dual_fmac_f32 v80, v1, v5
	v_lshrrev_b32_e32 v1, 16, v2
	v_and_b32_e32 v0, 0xffff, v2
	v_and_b32_e32 v2, 0xffff, v89
	;;#ASMSTART
	v_cvt_f32_f16 v0, v0;
	;;#ASMEND
	;;#ASMSTART
	v_cvt_f32_f16 v1, v1;
	;;#ASMEND
	;; [unrolled: 3-line block ×3, first 2 shown]
	v_and_b32_e32 v4, 0xffff, v88
	;;#ASMSTART
	v_cvt_f32_f16 v4, v4;
	;;#ASMEND
	s_delay_alu instid0(VALU_DEP_1)
	v_dual_fmac_f32 v83, v0, v2 :: v_dual_fmac_f32 v82, v1, v4
	v_lshrrev_b32_e32 v1, 16, v3
	v_and_b32_e32 v0, 0xffff, v3
	v_and_b32_e32 v2, 0xffff, v79
	;; [unrolled: 1-line block ×3, first 2 shown]
	;;#ASMSTART
	v_cvt_f32_f16 v0, v0;
	;;#ASMEND
	;;#ASMSTART
	v_cvt_f32_f16 v1, v1;
	;;#ASMEND
	;; [unrolled: 3-line block ×4, first 2 shown]
	v_dual_fmac_f32 v35, v0, v2 :: v_dual_fmac_f32 v12, v1, v3
	ds_load_b128 v[0:3], v9 offset:192
	v_and_b32_e32 v5, 0xffff, v8
	v_and_b32_e32 v6, 0xffff, v10
	s_wait_dscnt 0x0
	v_lshrrev_b32_e32 v4, 16, v0
	v_and_b32_e32 v0, 0xffff, v0
	;;#ASMSTART
	v_cvt_f32_f16 v0, v0;
	;;#ASMEND
	;;#ASMSTART
	v_cvt_f32_f16 v4, v4;
	;;#ASMEND
	;;#ASMSTART
	v_cvt_f32_f16 v5, v5;
	;;#ASMEND
	;;#ASMSTART
	v_cvt_f32_f16 v6, v6;
	;;#ASMEND
	v_fmac_f32_e32 v70, v0, v5
	v_fmac_f32_e32 v71, v4, v6
	v_lshrrev_b32_e32 v4, 16, v1
	v_and_b32_e32 v0, 0xffff, v1
	;;#ASMSTART
	v_cvt_f32_f16 v0, v0;
	;;#ASMEND
	;;#ASMSTART
	v_cvt_f32_f16 v1, v4;
	;;#ASMEND
	v_and_b32_e32 v4, 0xffff, v191
	v_and_b32_e32 v5, 0xffff, v106
	;;#ASMSTART
	v_cvt_f32_f16 v4, v4;
	;;#ASMEND
	;;#ASMSTART
	v_cvt_f32_f16 v5, v5;
	;;#ASMEND
	s_delay_alu instid0(VALU_DEP_1)
	v_dual_fmac_f32 v81, v0, v4 :: v_dual_fmac_f32 v80, v1, v5
	v_lshrrev_b32_e32 v1, 16, v2
	v_and_b32_e32 v0, 0xffff, v2
	v_and_b32_e32 v2, 0xffff, v105
	;;#ASMSTART
	v_cvt_f32_f16 v0, v0;
	;;#ASMEND
	;;#ASMSTART
	v_cvt_f32_f16 v1, v1;
	;;#ASMEND
	;; [unrolled: 3-line block ×3, first 2 shown]
	v_and_b32_e32 v4, 0xffff, v104
	;;#ASMSTART
	v_cvt_f32_f16 v4, v4;
	;;#ASMEND
	s_delay_alu instid0(VALU_DEP_1)
	v_dual_fmac_f32 v83, v0, v2 :: v_dual_fmac_f32 v82, v1, v4
	v_lshrrev_b32_e32 v1, 16, v3
	v_and_b32_e32 v0, 0xffff, v3
	v_and_b32_e32 v2, 0xffff, v30
	;; [unrolled: 1-line block ×3, first 2 shown]
	;;#ASMSTART
	v_cvt_f32_f16 v0, v0;
	;;#ASMEND
	;;#ASMSTART
	v_cvt_f32_f16 v1, v1;
	;;#ASMEND
	;; [unrolled: 3-line block ×4, first 2 shown]
	v_dual_fmac_f32 v35, v0, v2 :: v_dual_fmac_f32 v12, v1, v3
	ds_load_b128 v[0:3], v9 offset:208
	v_and_b32_e32 v5, 0xffff, v11
	v_and_b32_e32 v6, 0xffff, v171
	s_wait_dscnt 0x0
	v_lshrrev_b32_e32 v4, 16, v0
	v_and_b32_e32 v0, 0xffff, v0
	;;#ASMSTART
	v_cvt_f32_f16 v0, v0;
	;;#ASMEND
	;;#ASMSTART
	v_cvt_f32_f16 v4, v4;
	;;#ASMEND
	;; [unrolled: 3-line block ×4, first 2 shown]
	v_fmac_f32_e32 v70, v0, v5
	v_fmac_f32_e32 v71, v4, v6
	v_lshrrev_b32_e32 v4, 16, v1
	v_and_b32_e32 v0, 0xffff, v1
	;;#ASMSTART
	v_cvt_f32_f16 v0, v0;
	;;#ASMEND
	;;#ASMSTART
	v_cvt_f32_f16 v1, v4;
	;;#ASMEND
	v_and_b32_e32 v4, 0xffff, v168
	v_and_b32_e32 v5, 0xffff, v13
	;;#ASMSTART
	v_cvt_f32_f16 v4, v4;
	;;#ASMEND
	;;#ASMSTART
	v_cvt_f32_f16 v5, v5;
	;;#ASMEND
	s_delay_alu instid0(VALU_DEP_1)
	v_dual_fmac_f32 v81, v0, v4 :: v_dual_fmac_f32 v80, v1, v5
	v_lshrrev_b32_e32 v1, 16, v2
	v_and_b32_e32 v0, 0xffff, v2
	v_and_b32_e32 v2, 0xffff, v15
	;;#ASMSTART
	v_cvt_f32_f16 v0, v0;
	;;#ASMEND
	;;#ASMSTART
	v_cvt_f32_f16 v1, v1;
	;;#ASMEND
	;; [unrolled: 3-line block ×3, first 2 shown]
	v_and_b32_e32 v4, 0xffff, v17
	;;#ASMSTART
	v_cvt_f32_f16 v4, v4;
	;;#ASMEND
	s_delay_alu instid0(VALU_DEP_1)
	v_dual_fmac_f32 v83, v0, v2 :: v_dual_fmac_f32 v82, v1, v4
	v_lshrrev_b32_e32 v1, 16, v3
	v_and_b32_e32 v0, 0xffff, v3
	v_and_b32_e32 v2, 0xffff, v19
	;; [unrolled: 1-line block ×3, first 2 shown]
	;;#ASMSTART
	v_cvt_f32_f16 v0, v0;
	;;#ASMEND
	;;#ASMSTART
	v_cvt_f32_f16 v1, v1;
	;;#ASMEND
	;; [unrolled: 3-line block ×4, first 2 shown]
	v_dual_fmac_f32 v35, v0, v2 :: v_dual_fmac_f32 v12, v1, v3
	ds_load_b128 v[0:3], v9 offset:224
	v_and_b32_e32 v5, 0xffff, v25
	v_and_b32_e32 v6, 0xffff, v22
	s_wait_dscnt 0x0
	v_lshrrev_b32_e32 v4, 16, v0
	v_and_b32_e32 v0, 0xffff, v0
	;;#ASMSTART
	v_cvt_f32_f16 v0, v0;
	;;#ASMEND
	;;#ASMSTART
	v_cvt_f32_f16 v4, v4;
	;;#ASMEND
	;; [unrolled: 3-line block ×4, first 2 shown]
	v_fmac_f32_e32 v70, v0, v5
	v_fmac_f32_e32 v71, v4, v6
	v_lshrrev_b32_e32 v4, 16, v1
	v_and_b32_e32 v0, 0xffff, v1
	;;#ASMSTART
	v_cvt_f32_f16 v0, v0;
	;;#ASMEND
	;;#ASMSTART
	v_cvt_f32_f16 v1, v4;
	;;#ASMEND
	v_and_b32_e32 v4, 0xffff, v37
	v_and_b32_e32 v5, 0xffff, v158
	;;#ASMSTART
	v_cvt_f32_f16 v4, v4;
	;;#ASMEND
	;;#ASMSTART
	v_cvt_f32_f16 v5, v5;
	;;#ASMEND
	s_delay_alu instid0(VALU_DEP_1)
	v_dual_fmac_f32 v81, v0, v4 :: v_dual_fmac_f32 v80, v1, v5
	v_lshrrev_b32_e32 v1, 16, v2
	v_and_b32_e32 v0, 0xffff, v2
	v_and_b32_e32 v2, 0xffff, v24
	;;#ASMSTART
	v_cvt_f32_f16 v0, v0;
	;;#ASMEND
	;;#ASMSTART
	v_cvt_f32_f16 v1, v1;
	;;#ASMEND
	;; [unrolled: 3-line block ×3, first 2 shown]
	v_and_b32_e32 v4, 0xffff, v33
	;;#ASMSTART
	v_cvt_f32_f16 v4, v4;
	;;#ASMEND
	s_delay_alu instid0(VALU_DEP_1)
	v_dual_fmac_f32 v83, v0, v2 :: v_dual_fmac_f32 v82, v1, v4
	v_lshrrev_b32_e32 v1, 16, v3
	v_and_b32_e32 v0, 0xffff, v3
	v_and_b32_e32 v2, 0xffff, v69
	;; [unrolled: 1-line block ×3, first 2 shown]
	;;#ASMSTART
	v_cvt_f32_f16 v0, v0;
	;;#ASMEND
	;;#ASMSTART
	v_cvt_f32_f16 v1, v1;
	;;#ASMEND
	;;#ASMSTART
	v_cvt_f32_f16 v2, v2;
	;;#ASMEND
	;;#ASMSTART
	v_cvt_f32_f16 v3, v3;
	;;#ASMEND
	v_dual_fmac_f32 v35, v0, v2 :: v_dual_fmac_f32 v12, v1, v3
	ds_load_b128 v[0:3], v9 offset:240
	v_and_b32_e32 v5, 0xffff, v39
	v_and_b32_e32 v6, 0xffff, v46
	s_wait_dscnt 0x0
	v_lshrrev_b32_e32 v4, 16, v0
	v_and_b32_e32 v0, 0xffff, v0
	;;#ASMSTART
	v_cvt_f32_f16 v0, v0;
	;;#ASMEND
	;;#ASMSTART
	v_cvt_f32_f16 v4, v4;
	;;#ASMEND
	;;#ASMSTART
	v_cvt_f32_f16 v5, v5;
	;;#ASMEND
	;;#ASMSTART
	v_cvt_f32_f16 v6, v6;
	;;#ASMEND
	v_fmac_f32_e32 v70, v0, v5
	v_fmac_f32_e32 v71, v4, v6
	v_lshrrev_b32_e32 v4, 16, v1
	v_and_b32_e32 v0, 0xffff, v1
	;;#ASMSTART
	v_cvt_f32_f16 v0, v0;
	;;#ASMEND
	;;#ASMSTART
	v_cvt_f32_f16 v1, v4;
	;;#ASMEND
	v_and_b32_e32 v4, 0xffff, v55
	v_and_b32_e32 v5, 0xffff, v67
	;;#ASMSTART
	v_cvt_f32_f16 v4, v4;
	;;#ASMEND
	;;#ASMSTART
	v_cvt_f32_f16 v5, v5;
	;;#ASMEND
	s_delay_alu instid0(VALU_DEP_1)
	v_dual_fmac_f32 v81, v0, v4 :: v_dual_fmac_f32 v80, v1, v5
	v_lshrrev_b32_e32 v1, 16, v2
	v_and_b32_e32 v0, 0xffff, v2
	v_and_b32_e32 v2, 0xffff, v185
	;;#ASMSTART
	v_cvt_f32_f16 v0, v0;
	;;#ASMEND
	;;#ASMSTART
	v_cvt_f32_f16 v1, v1;
	;;#ASMEND
	;; [unrolled: 3-line block ×3, first 2 shown]
	v_and_b32_e32 v4, 0xffff, v66
	;;#ASMSTART
	v_cvt_f32_f16 v4, v4;
	;;#ASMEND
	s_delay_alu instid0(VALU_DEP_1)
	v_dual_fmac_f32 v83, v0, v2 :: v_dual_fmac_f32 v82, v1, v4
	v_lshrrev_b32_e32 v1, 16, v3
	v_and_b32_e32 v0, 0xffff, v3
	v_and_b32_e32 v2, 0xffff, v189
	;; [unrolled: 1-line block ×3, first 2 shown]
	;;#ASMSTART
	v_cvt_f32_f16 v0, v0;
	;;#ASMEND
	;;#ASMSTART
	v_cvt_f32_f16 v1, v1;
	;;#ASMEND
	;; [unrolled: 3-line block ×4, first 2 shown]
	v_dual_fmac_f32 v35, v0, v2 :: v_dual_fmac_f32 v12, v1, v3
	ds_load_b128 v[0:3], v9 offset:256
	v_and_b32_e32 v5, 0xffff, v96
	v_and_b32_e32 v6, 0xffff, v97
	s_wait_dscnt 0x0
	v_lshrrev_b32_e32 v4, 16, v0
	v_and_b32_e32 v0, 0xffff, v0
	;;#ASMSTART
	v_cvt_f32_f16 v0, v0;
	;;#ASMEND
	;;#ASMSTART
	v_cvt_f32_f16 v4, v4;
	;;#ASMEND
	;; [unrolled: 3-line block ×4, first 2 shown]
	v_fmac_f32_e32 v70, v0, v5
	v_fmac_f32_e32 v71, v4, v6
	v_lshrrev_b32_e32 v4, 16, v1
	v_and_b32_e32 v0, 0xffff, v1
	;;#ASMSTART
	v_cvt_f32_f16 v0, v0;
	;;#ASMEND
	;;#ASMSTART
	v_cvt_f32_f16 v1, v4;
	;;#ASMEND
	v_and_b32_e32 v4, 0xffff, v99
	v_and_b32_e32 v5, 0xffff, v102
	;;#ASMSTART
	v_cvt_f32_f16 v4, v4;
	;;#ASMEND
	;;#ASMSTART
	v_cvt_f32_f16 v5, v5;
	;;#ASMEND
	s_delay_alu instid0(VALU_DEP_1)
	v_dual_fmac_f32 v81, v0, v4 :: v_dual_fmac_f32 v80, v1, v5
	v_lshrrev_b32_e32 v1, 16, v2
	v_and_b32_e32 v0, 0xffff, v2
	v_and_b32_e32 v2, 0xffff, v115
	;;#ASMSTART
	v_cvt_f32_f16 v0, v0;
	;;#ASMEND
	;;#ASMSTART
	v_cvt_f32_f16 v1, v1;
	;;#ASMEND
	;; [unrolled: 3-line block ×3, first 2 shown]
	v_and_b32_e32 v4, 0xffff, v118
	;;#ASMSTART
	v_cvt_f32_f16 v4, v4;
	;;#ASMEND
	s_delay_alu instid0(VALU_DEP_1)
	v_dual_fmac_f32 v83, v0, v2 :: v_dual_fmac_f32 v82, v1, v4
	v_lshrrev_b32_e32 v1, 16, v3
	v_and_b32_e32 v0, 0xffff, v3
	v_and_b32_e32 v2, 0xffff, v152
	;; [unrolled: 1-line block ×3, first 2 shown]
	;;#ASMSTART
	v_cvt_f32_f16 v0, v0;
	;;#ASMEND
	;;#ASMSTART
	v_cvt_f32_f16 v1, v1;
	;;#ASMEND
	;; [unrolled: 3-line block ×4, first 2 shown]
	v_dual_fmac_f32 v35, v0, v2 :: v_dual_fmac_f32 v12, v1, v3
	ds_load_b128 v[0:3], v9 offset:272
	v_and_b32_e32 v5, 0xffff, v129
	v_and_b32_e32 v6, 0xffff, v131
	s_wait_dscnt 0x0
	v_lshrrev_b32_e32 v4, 16, v0
	v_and_b32_e32 v0, 0xffff, v0
	;;#ASMSTART
	v_cvt_f32_f16 v0, v0;
	;;#ASMEND
	;;#ASMSTART
	v_cvt_f32_f16 v4, v4;
	;;#ASMEND
	;; [unrolled: 3-line block ×4, first 2 shown]
	v_fmac_f32_e32 v70, v0, v5
	v_fmac_f32_e32 v71, v4, v6
	v_lshrrev_b32_e32 v4, 16, v1
	v_and_b32_e32 v0, 0xffff, v1
	;;#ASMSTART
	v_cvt_f32_f16 v0, v0;
	;;#ASMEND
	;;#ASMSTART
	v_cvt_f32_f16 v1, v4;
	;;#ASMEND
	v_and_b32_e32 v4, 0xffff, v95
	v_and_b32_e32 v5, 0xffff, v187
	;;#ASMSTART
	v_cvt_f32_f16 v4, v4;
	;;#ASMEND
	;;#ASMSTART
	v_cvt_f32_f16 v5, v5;
	;;#ASMEND
	s_delay_alu instid0(VALU_DEP_1)
	v_dual_fmac_f32 v81, v0, v4 :: v_dual_fmac_f32 v80, v1, v5
	v_lshrrev_b32_e32 v1, 16, v2
	v_and_b32_e32 v0, 0xffff, v2
	v_and_b32_e32 v2, 0xffff, v173
	;;#ASMSTART
	v_cvt_f32_f16 v0, v0;
	;;#ASMEND
	;;#ASMSTART
	v_cvt_f32_f16 v1, v1;
	;;#ASMEND
	;; [unrolled: 3-line block ×3, first 2 shown]
	v_and_b32_e32 v4, 0xffff, v122
	;;#ASMSTART
	v_cvt_f32_f16 v4, v4;
	;;#ASMEND
	s_delay_alu instid0(VALU_DEP_1)
	v_dual_fmac_f32 v83, v0, v2 :: v_dual_fmac_f32 v82, v1, v4
	v_lshrrev_b32_e32 v1, 16, v3
	v_and_b32_e32 v0, 0xffff, v3
	v_and_b32_e32 v2, 0xffff, v145
	;; [unrolled: 1-line block ×3, first 2 shown]
	;;#ASMSTART
	v_cvt_f32_f16 v0, v0;
	;;#ASMEND
	;;#ASMSTART
	v_cvt_f32_f16 v1, v1;
	;;#ASMEND
	;; [unrolled: 3-line block ×4, first 2 shown]
	v_dual_fmac_f32 v35, v0, v2 :: v_dual_fmac_f32 v12, v1, v3
	ds_load_b128 v[0:3], v9 offset:288
	v_and_b32_e32 v5, 0xffff, v134
	v_and_b32_e32 v6, 0xffff, v160
	s_wait_dscnt 0x0
	v_lshrrev_b32_e32 v4, 16, v0
	v_and_b32_e32 v0, 0xffff, v0
	;;#ASMSTART
	v_cvt_f32_f16 v0, v0;
	;;#ASMEND
	;;#ASMSTART
	v_cvt_f32_f16 v4, v4;
	;;#ASMEND
	;;#ASMSTART
	v_cvt_f32_f16 v5, v5;
	;;#ASMEND
	;;#ASMSTART
	v_cvt_f32_f16 v6, v6;
	;;#ASMEND
	v_fmac_f32_e32 v70, v0, v5
	v_fmac_f32_e32 v71, v4, v6
	v_lshrrev_b32_e32 v4, 16, v1
	v_and_b32_e32 v0, 0xffff, v1
	;;#ASMSTART
	v_cvt_f32_f16 v0, v0;
	;;#ASMEND
	;;#ASMSTART
	v_cvt_f32_f16 v1, v4;
	;;#ASMEND
	v_and_b32_e32 v4, 0xffff, v43
	v_and_b32_e32 v5, 0xffff, v170
	;;#ASMSTART
	v_cvt_f32_f16 v4, v4;
	;;#ASMEND
	;;#ASMSTART
	v_cvt_f32_f16 v5, v5;
	;;#ASMEND
	s_delay_alu instid0(VALU_DEP_1)
	v_dual_fmac_f32 v81, v0, v4 :: v_dual_fmac_f32 v80, v1, v5
	v_lshrrev_b32_e32 v1, 16, v2
	v_and_b32_e32 v0, 0xffff, v2
	v_and_b32_e32 v2, 0xffff, v147
	;;#ASMSTART
	v_cvt_f32_f16 v0, v0;
	;;#ASMEND
	;;#ASMSTART
	v_cvt_f32_f16 v1, v1;
	;;#ASMEND
	;; [unrolled: 3-line block ×3, first 2 shown]
	v_and_b32_e32 v4, 0xffff, v150
	;;#ASMSTART
	v_cvt_f32_f16 v4, v4;
	;;#ASMEND
	s_delay_alu instid0(VALU_DEP_1)
	v_dual_fmac_f32 v83, v0, v2 :: v_dual_fmac_f32 v82, v1, v4
	v_lshrrev_b32_e32 v1, 16, v3
	v_and_b32_e32 v0, 0xffff, v3
	v_and_b32_e32 v2, 0xffff, v156
	;; [unrolled: 1-line block ×3, first 2 shown]
	;;#ASMSTART
	v_cvt_f32_f16 v0, v0;
	;;#ASMEND
	;;#ASMSTART
	v_cvt_f32_f16 v1, v1;
	;;#ASMEND
	;; [unrolled: 3-line block ×4, first 2 shown]
	v_dual_fmac_f32 v35, v0, v2 :: v_dual_fmac_f32 v12, v1, v3
	ds_load_b128 v[0:3], v9 offset:304
	v_and_b32_e32 v5, 0xffff, v41
	v_and_b32_e32 v6, 0xffff, v163
	s_wait_dscnt 0x0
	v_lshrrev_b32_e32 v4, 16, v0
	v_and_b32_e32 v0, 0xffff, v0
	;;#ASMSTART
	v_cvt_f32_f16 v0, v0;
	;;#ASMEND
	;;#ASMSTART
	v_cvt_f32_f16 v4, v4;
	;;#ASMEND
	;; [unrolled: 3-line block ×4, first 2 shown]
	v_fmac_f32_e32 v70, v0, v5
	v_fmac_f32_e32 v71, v4, v6
	v_lshrrev_b32_e32 v4, 16, v1
	v_and_b32_e32 v0, 0xffff, v1
	;;#ASMSTART
	v_cvt_f32_f16 v0, v0;
	;;#ASMEND
	;;#ASMSTART
	v_cvt_f32_f16 v1, v4;
	;;#ASMEND
	v_and_b32_e32 v4, 0xffff, v166
	v_and_b32_e32 v5, 0xffff, v40
	;;#ASMSTART
	v_cvt_f32_f16 v4, v4;
	;;#ASMEND
	;;#ASMSTART
	v_cvt_f32_f16 v5, v5;
	;;#ASMEND
	s_delay_alu instid0(VALU_DEP_1)
	v_dual_fmac_f32 v81, v0, v4 :: v_dual_fmac_f32 v80, v1, v5
	v_lshrrev_b32_e32 v1, 16, v2
	v_and_b32_e32 v0, 0xffff, v2
	v_and_b32_e32 v2, 0xffff, v176
	;;#ASMSTART
	v_cvt_f32_f16 v0, v0;
	;;#ASMEND
	;;#ASMSTART
	v_cvt_f32_f16 v1, v1;
	;;#ASMEND
	;; [unrolled: 3-line block ×3, first 2 shown]
	v_and_b32_e32 v4, 0xffff, v177
	;;#ASMSTART
	v_cvt_f32_f16 v4, v4;
	;;#ASMEND
	s_delay_alu instid0(VALU_DEP_1)
	v_dual_fmac_f32 v83, v0, v2 :: v_dual_fmac_f32 v82, v1, v4
	v_lshrrev_b32_e32 v1, 16, v3
	v_and_b32_e32 v0, 0xffff, v3
	v_and_b32_e32 v2, 0xffff, v188
	v_and_b32_e32 v3, 0xffff, v143
	;;#ASMSTART
	v_cvt_f32_f16 v0, v0;
	;;#ASMEND
	;;#ASMSTART
	v_cvt_f32_f16 v1, v1;
	;;#ASMEND
	;; [unrolled: 3-line block ×4, first 2 shown]
	v_dual_fmac_f32 v35, v0, v2 :: v_dual_fmac_f32 v12, v1, v3
	ds_load_b128 v[0:3], v9 offset:320
	v_and_b32_e32 v5, 0xffff, v182
	v_and_b32_e32 v6, 0xffff, v179
	s_wait_dscnt 0x0
	v_lshrrev_b32_e32 v4, 16, v0
	v_and_b32_e32 v0, 0xffff, v0
	;;#ASMSTART
	v_cvt_f32_f16 v0, v0;
	;;#ASMEND
	;;#ASMSTART
	v_cvt_f32_f16 v4, v4;
	;;#ASMEND
	;;#ASMSTART
	v_cvt_f32_f16 v5, v5;
	;;#ASMEND
	;;#ASMSTART
	v_cvt_f32_f16 v6, v6;
	;;#ASMEND
	v_fmac_f32_e32 v70, v0, v5
	v_fmac_f32_e32 v71, v4, v6
	v_lshrrev_b32_e32 v4, 16, v1
	v_and_b32_e32 v0, 0xffff, v1
	;;#ASMSTART
	v_cvt_f32_f16 v0, v0;
	;;#ASMEND
	;;#ASMSTART
	v_cvt_f32_f16 v1, v4;
	;;#ASMEND
	v_and_b32_e32 v4, 0xffff, v109
	v_and_b32_e32 v5, 0xffff, v121
	;;#ASMSTART
	v_cvt_f32_f16 v4, v4;
	;;#ASMEND
	;;#ASMSTART
	v_cvt_f32_f16 v5, v5;
	;;#ASMEND
	s_delay_alu instid0(VALU_DEP_1)
	v_dual_fmac_f32 v81, v0, v4 :: v_dual_fmac_f32 v80, v1, v5
	v_lshrrev_b32_e32 v1, 16, v2
	v_and_b32_e32 v0, 0xffff, v2
	v_and_b32_e32 v2, 0xffff, v123
	;;#ASMSTART
	v_cvt_f32_f16 v0, v0;
	;;#ASMEND
	;;#ASMSTART
	v_cvt_f32_f16 v1, v1;
	;;#ASMEND
	;; [unrolled: 3-line block ×3, first 2 shown]
	v_and_b32_e32 v4, 0xffff, v140
	;;#ASMSTART
	v_cvt_f32_f16 v4, v4;
	;;#ASMEND
	s_delay_alu instid0(VALU_DEP_1)
	v_dual_fmac_f32 v83, v0, v2 :: v_dual_fmac_f32 v82, v1, v4
	v_lshrrev_b32_e32 v1, 16, v3
	v_and_b32_e32 v0, 0xffff, v3
	v_and_b32_e32 v2, 0xffff, v141
	;; [unrolled: 1-line block ×3, first 2 shown]
	;;#ASMSTART
	v_cvt_f32_f16 v0, v0;
	;;#ASMEND
	;;#ASMSTART
	v_cvt_f32_f16 v1, v1;
	;;#ASMEND
	;;#ASMSTART
	v_cvt_f32_f16 v2, v2;
	;;#ASMEND
	;;#ASMSTART
	v_cvt_f32_f16 v3, v3;
	;;#ASMEND
	v_dual_fmac_f32 v35, v0, v2 :: v_dual_fmac_f32 v12, v1, v3
	ds_load_b128 v[0:3], v9 offset:336
	s_wait_dscnt 0x0
	v_lshrrev_b32_e32 v4, 16, v0
	v_and_b32_e32 v0, 0xffff, v0
	;;#ASMSTART
	v_cvt_f32_f16 v0, v0;
	;;#ASMEND
	;;#ASMSTART
	v_cvt_f32_f16 v4, v4;
	;;#ASMEND
	scratch_load_b32 v5, off, s32 offset:976 th:TH_LOAD_LU ; 4-byte Folded Reload
	s_wait_loadcnt 0x0
	v_and_b32_e32 v5, 0xffff, v5
	;;#ASMSTART
	v_cvt_f32_f16 v5, v5;
	;;#ASMEND
	scratch_load_b32 v6, off, s32 offset:972 th:TH_LOAD_LU ; 4-byte Folded Reload
	v_fmac_f32_e32 v70, v0, v5
	v_and_b32_e32 v0, 0xffff, v1
	s_wait_loadcnt 0x0
	v_and_b32_e32 v6, 0xffff, v6
	;;#ASMSTART
	v_cvt_f32_f16 v6, v6;
	;;#ASMEND
	s_delay_alu instid0(VALU_DEP_1)
	v_fmac_f32_e32 v71, v4, v6
	v_lshrrev_b32_e32 v4, 16, v1
	;;#ASMSTART
	v_cvt_f32_f16 v0, v0;
	;;#ASMEND
	;;#ASMSTART
	v_cvt_f32_f16 v1, v4;
	;;#ASMEND
	scratch_load_b32 v4, off, s32 offset:968 th:TH_LOAD_LU ; 4-byte Folded Reload
	s_wait_loadcnt 0x0
	v_and_b32_e32 v4, 0xffff, v4
	;;#ASMSTART
	v_cvt_f32_f16 v4, v4;
	;;#ASMEND
	scratch_load_b32 v5, off, s32 offset:964 th:TH_LOAD_LU ; 4-byte Folded Reload
	v_dual_fmac_f32 v81, v0, v4 :: v_dual_and_b32 v0, 0xffff, v2
	s_wait_loadcnt 0x0
	v_and_b32_e32 v5, 0xffff, v5
	;;#ASMSTART
	v_cvt_f32_f16 v5, v5;
	;;#ASMEND
	s_delay_alu instid0(VALU_DEP_1)
	v_fmac_f32_e32 v80, v1, v5
	v_lshrrev_b32_e32 v1, 16, v2
	;;#ASMSTART
	v_cvt_f32_f16 v0, v0;
	;;#ASMEND
	;;#ASMSTART
	v_cvt_f32_f16 v1, v1;
	;;#ASMEND
	scratch_load_b32 v2, off, s32 offset:960 th:TH_LOAD_LU ; 4-byte Folded Reload
	s_wait_loadcnt 0x0
	v_and_b32_e32 v2, 0xffff, v2
	;;#ASMSTART
	v_cvt_f32_f16 v2, v2;
	;;#ASMEND
	scratch_load_b32 v4, off, s32 offset:956 th:TH_LOAD_LU ; 4-byte Folded Reload
	v_dual_fmac_f32 v83, v0, v2 :: v_dual_and_b32 v0, 0xffff, v3
	s_wait_loadcnt 0x0
	v_and_b32_e32 v4, 0xffff, v4
	;;#ASMSTART
	v_cvt_f32_f16 v4, v4;
	;;#ASMEND
	s_delay_alu instid0(VALU_DEP_1)
	v_fmac_f32_e32 v82, v1, v4
	v_lshrrev_b32_e32 v1, 16, v3
	;;#ASMSTART
	v_cvt_f32_f16 v0, v0;
	;;#ASMEND
	;;#ASMSTART
	v_cvt_f32_f16 v1, v1;
	;;#ASMEND
	scratch_load_b32 v2, off, s32 offset:952 th:TH_LOAD_LU ; 4-byte Folded Reload
	s_wait_loadcnt 0x0
	v_and_b32_e32 v2, 0xffff, v2
	;;#ASMSTART
	v_cvt_f32_f16 v2, v2;
	;;#ASMEND
	scratch_load_b32 v3, off, s32 offset:948 th:TH_LOAD_LU ; 4-byte Folded Reload
	v_fmac_f32_e32 v35, v0, v2
	s_wait_loadcnt 0x0
	v_and_b32_e32 v3, 0xffff, v3
	;;#ASMSTART
	v_cvt_f32_f16 v3, v3;
	;;#ASMEND
	s_delay_alu instid0(VALU_DEP_1)
	v_fmac_f32_e32 v12, v1, v3
	ds_load_b128 v[0:3], v9 offset:352
	s_wait_dscnt 0x0
	v_lshrrev_b32_e32 v4, 16, v0
	v_and_b32_e32 v0, 0xffff, v0
	;;#ASMSTART
	v_cvt_f32_f16 v0, v0;
	;;#ASMEND
	;;#ASMSTART
	v_cvt_f32_f16 v4, v4;
	;;#ASMEND
	scratch_load_b32 v5, off, s32 offset:944 th:TH_LOAD_LU ; 4-byte Folded Reload
	s_wait_loadcnt 0x0
	v_and_b32_e32 v5, 0xffff, v5
	;;#ASMSTART
	v_cvt_f32_f16 v5, v5;
	;;#ASMEND
	scratch_load_b32 v6, off, s32 offset:940 th:TH_LOAD_LU ; 4-byte Folded Reload
	v_fmac_f32_e32 v70, v0, v5
	v_and_b32_e32 v0, 0xffff, v1
	s_wait_loadcnt 0x0
	v_and_b32_e32 v6, 0xffff, v6
	;;#ASMSTART
	v_cvt_f32_f16 v6, v6;
	;;#ASMEND
	s_delay_alu instid0(VALU_DEP_1)
	v_fmac_f32_e32 v71, v4, v6
	v_lshrrev_b32_e32 v4, 16, v1
	;;#ASMSTART
	v_cvt_f32_f16 v0, v0;
	;;#ASMEND
	;;#ASMSTART
	v_cvt_f32_f16 v1, v4;
	;;#ASMEND
	scratch_load_b32 v4, off, s32 offset:936 th:TH_LOAD_LU ; 4-byte Folded Reload
	s_wait_loadcnt 0x0
	v_and_b32_e32 v4, 0xffff, v4
	;;#ASMSTART
	v_cvt_f32_f16 v4, v4;
	;;#ASMEND
	scratch_load_b32 v5, off, s32 offset:932 th:TH_LOAD_LU ; 4-byte Folded Reload
	v_dual_fmac_f32 v81, v0, v4 :: v_dual_and_b32 v0, 0xffff, v2
	s_wait_loadcnt 0x0
	v_and_b32_e32 v5, 0xffff, v5
	;;#ASMSTART
	v_cvt_f32_f16 v5, v5;
	;;#ASMEND
	s_delay_alu instid0(VALU_DEP_1)
	v_fmac_f32_e32 v80, v1, v5
	v_lshrrev_b32_e32 v1, 16, v2
	;;#ASMSTART
	v_cvt_f32_f16 v0, v0;
	;;#ASMEND
	;;#ASMSTART
	v_cvt_f32_f16 v1, v1;
	;;#ASMEND
	scratch_load_b32 v2, off, s32 offset:928 th:TH_LOAD_LU ; 4-byte Folded Reload
	s_wait_loadcnt 0x0
	v_and_b32_e32 v2, 0xffff, v2
	;;#ASMSTART
	v_cvt_f32_f16 v2, v2;
	;;#ASMEND
	scratch_load_b32 v4, off, s32 offset:924 th:TH_LOAD_LU ; 4-byte Folded Reload
	v_dual_fmac_f32 v83, v0, v2 :: v_dual_and_b32 v0, 0xffff, v3
	s_wait_loadcnt 0x0
	v_and_b32_e32 v4, 0xffff, v4
	;;#ASMSTART
	v_cvt_f32_f16 v4, v4;
	;;#ASMEND
	s_delay_alu instid0(VALU_DEP_1)
	v_fmac_f32_e32 v82, v1, v4
	v_lshrrev_b32_e32 v1, 16, v3
	;;#ASMSTART
	v_cvt_f32_f16 v0, v0;
	;;#ASMEND
	;;#ASMSTART
	v_cvt_f32_f16 v1, v1;
	;;#ASMEND
	scratch_load_b32 v2, off, s32 offset:920 th:TH_LOAD_LU ; 4-byte Folded Reload
	s_wait_loadcnt 0x0
	v_and_b32_e32 v2, 0xffff, v2
	;;#ASMSTART
	v_cvt_f32_f16 v2, v2;
	;;#ASMEND
	scratch_load_b32 v3, off, s32 offset:916 th:TH_LOAD_LU ; 4-byte Folded Reload
	v_fmac_f32_e32 v35, v0, v2
	s_wait_loadcnt 0x0
	v_and_b32_e32 v3, 0xffff, v3
	;;#ASMSTART
	v_cvt_f32_f16 v3, v3;
	;;#ASMEND
	s_delay_alu instid0(VALU_DEP_1)
	v_fmac_f32_e32 v12, v1, v3
	ds_load_b128 v[0:3], v9 offset:368
	s_wait_dscnt 0x0
	v_lshrrev_b32_e32 v4, 16, v0
	v_and_b32_e32 v0, 0xffff, v0
	;;#ASMSTART
	v_cvt_f32_f16 v0, v0;
	;;#ASMEND
	;;#ASMSTART
	v_cvt_f32_f16 v4, v4;
	;;#ASMEND
	scratch_load_b32 v5, off, s32 offset:912 th:TH_LOAD_LU ; 4-byte Folded Reload
	s_wait_loadcnt 0x0
	v_and_b32_e32 v5, 0xffff, v5
	;;#ASMSTART
	v_cvt_f32_f16 v5, v5;
	;;#ASMEND
	scratch_load_b32 v6, off, s32 offset:908 th:TH_LOAD_LU ; 4-byte Folded Reload
	v_fmac_f32_e32 v70, v0, v5
	v_and_b32_e32 v0, 0xffff, v1
	s_wait_loadcnt 0x0
	v_and_b32_e32 v6, 0xffff, v6
	;;#ASMSTART
	v_cvt_f32_f16 v6, v6;
	;;#ASMEND
	s_delay_alu instid0(VALU_DEP_1)
	v_fmac_f32_e32 v71, v4, v6
	v_lshrrev_b32_e32 v4, 16, v1
	;;#ASMSTART
	v_cvt_f32_f16 v0, v0;
	;;#ASMEND
	;;#ASMSTART
	v_cvt_f32_f16 v1, v4;
	;;#ASMEND
	scratch_load_b32 v4, off, s32 offset:904 th:TH_LOAD_LU ; 4-byte Folded Reload
	s_wait_loadcnt 0x0
	v_and_b32_e32 v4, 0xffff, v4
	;;#ASMSTART
	v_cvt_f32_f16 v4, v4;
	;;#ASMEND
	scratch_load_b32 v5, off, s32 offset:900 th:TH_LOAD_LU ; 4-byte Folded Reload
	v_dual_fmac_f32 v81, v0, v4 :: v_dual_and_b32 v0, 0xffff, v2
	s_wait_loadcnt 0x0
	v_and_b32_e32 v5, 0xffff, v5
	;;#ASMSTART
	v_cvt_f32_f16 v5, v5;
	;;#ASMEND
	s_delay_alu instid0(VALU_DEP_1)
	v_fmac_f32_e32 v80, v1, v5
	v_lshrrev_b32_e32 v1, 16, v2
	;;#ASMSTART
	v_cvt_f32_f16 v0, v0;
	;;#ASMEND
	;;#ASMSTART
	v_cvt_f32_f16 v1, v1;
	;;#ASMEND
	scratch_load_b32 v2, off, s32 offset:896 th:TH_LOAD_LU ; 4-byte Folded Reload
	s_wait_loadcnt 0x0
	v_and_b32_e32 v2, 0xffff, v2
	;;#ASMSTART
	v_cvt_f32_f16 v2, v2;
	;;#ASMEND
	scratch_load_b32 v4, off, s32 offset:892 th:TH_LOAD_LU ; 4-byte Folded Reload
	v_dual_fmac_f32 v83, v0, v2 :: v_dual_and_b32 v0, 0xffff, v3
	s_wait_loadcnt 0x0
	v_and_b32_e32 v4, 0xffff, v4
	;;#ASMSTART
	v_cvt_f32_f16 v4, v4;
	;;#ASMEND
	s_delay_alu instid0(VALU_DEP_1)
	v_fmac_f32_e32 v82, v1, v4
	v_lshrrev_b32_e32 v1, 16, v3
	;;#ASMSTART
	v_cvt_f32_f16 v0, v0;
	;;#ASMEND
	;;#ASMSTART
	v_cvt_f32_f16 v1, v1;
	;;#ASMEND
	scratch_load_b32 v2, off, s32 offset:888 th:TH_LOAD_LU ; 4-byte Folded Reload
	s_wait_loadcnt 0x0
	v_and_b32_e32 v2, 0xffff, v2
	;;#ASMSTART
	v_cvt_f32_f16 v2, v2;
	;;#ASMEND
	scratch_load_b32 v3, off, s32 offset:884 th:TH_LOAD_LU ; 4-byte Folded Reload
	v_fmac_f32_e32 v35, v0, v2
	s_wait_loadcnt 0x0
	v_and_b32_e32 v3, 0xffff, v3
	;;#ASMSTART
	v_cvt_f32_f16 v3, v3;
	;;#ASMEND
	s_delay_alu instid0(VALU_DEP_1)
	v_fmac_f32_e32 v12, v1, v3
	ds_load_b128 v[0:3], v9 offset:384
	s_wait_dscnt 0x0
	v_lshrrev_b32_e32 v4, 16, v0
	v_and_b32_e32 v0, 0xffff, v0
	;;#ASMSTART
	v_cvt_f32_f16 v0, v0;
	;;#ASMEND
	;;#ASMSTART
	v_cvt_f32_f16 v4, v4;
	;;#ASMEND
	scratch_load_b32 v5, off, s32 offset:880 th:TH_LOAD_LU ; 4-byte Folded Reload
	s_wait_loadcnt 0x0
	v_and_b32_e32 v5, 0xffff, v5
	;;#ASMSTART
	v_cvt_f32_f16 v5, v5;
	;;#ASMEND
	scratch_load_b32 v6, off, s32 offset:876 th:TH_LOAD_LU ; 4-byte Folded Reload
	v_fmac_f32_e32 v70, v0, v5
	v_and_b32_e32 v0, 0xffff, v1
	s_wait_loadcnt 0x0
	v_and_b32_e32 v6, 0xffff, v6
	;;#ASMSTART
	v_cvt_f32_f16 v6, v6;
	;;#ASMEND
	s_delay_alu instid0(VALU_DEP_1)
	v_fmac_f32_e32 v71, v4, v6
	v_lshrrev_b32_e32 v4, 16, v1
	;;#ASMSTART
	v_cvt_f32_f16 v0, v0;
	;;#ASMEND
	;;#ASMSTART
	v_cvt_f32_f16 v1, v4;
	;;#ASMEND
	scratch_load_b32 v4, off, s32 offset:872 th:TH_LOAD_LU ; 4-byte Folded Reload
	s_wait_loadcnt 0x0
	v_and_b32_e32 v4, 0xffff, v4
	;;#ASMSTART
	v_cvt_f32_f16 v4, v4;
	;;#ASMEND
	scratch_load_b32 v5, off, s32 offset:868 th:TH_LOAD_LU ; 4-byte Folded Reload
	v_dual_fmac_f32 v81, v0, v4 :: v_dual_and_b32 v0, 0xffff, v2
	s_wait_loadcnt 0x0
	v_and_b32_e32 v5, 0xffff, v5
	;;#ASMSTART
	v_cvt_f32_f16 v5, v5;
	;;#ASMEND
	s_delay_alu instid0(VALU_DEP_1)
	v_fmac_f32_e32 v80, v1, v5
	v_lshrrev_b32_e32 v1, 16, v2
	;;#ASMSTART
	v_cvt_f32_f16 v0, v0;
	;;#ASMEND
	;;#ASMSTART
	v_cvt_f32_f16 v1, v1;
	;;#ASMEND
	scratch_load_b32 v2, off, s32 offset:864 th:TH_LOAD_LU ; 4-byte Folded Reload
	s_wait_loadcnt 0x0
	v_and_b32_e32 v2, 0xffff, v2
	;;#ASMSTART
	v_cvt_f32_f16 v2, v2;
	;;#ASMEND
	scratch_load_b32 v4, off, s32 offset:860 th:TH_LOAD_LU ; 4-byte Folded Reload
	v_dual_fmac_f32 v83, v0, v2 :: v_dual_and_b32 v0, 0xffff, v3
	s_wait_loadcnt 0x0
	v_and_b32_e32 v4, 0xffff, v4
	;;#ASMSTART
	v_cvt_f32_f16 v4, v4;
	;;#ASMEND
	s_delay_alu instid0(VALU_DEP_1)
	v_fmac_f32_e32 v82, v1, v4
	v_lshrrev_b32_e32 v1, 16, v3
	;;#ASMSTART
	v_cvt_f32_f16 v0, v0;
	;;#ASMEND
	;;#ASMSTART
	v_cvt_f32_f16 v1, v1;
	;;#ASMEND
	scratch_load_b32 v2, off, s32 offset:856 th:TH_LOAD_LU ; 4-byte Folded Reload
	s_wait_loadcnt 0x0
	v_and_b32_e32 v2, 0xffff, v2
	;;#ASMSTART
	v_cvt_f32_f16 v2, v2;
	;;#ASMEND
	scratch_load_b32 v3, off, s32 offset:852 th:TH_LOAD_LU ; 4-byte Folded Reload
	v_fmac_f32_e32 v35, v0, v2
	s_wait_loadcnt 0x0
	v_and_b32_e32 v3, 0xffff, v3
	;;#ASMSTART
	v_cvt_f32_f16 v3, v3;
	;;#ASMEND
	s_delay_alu instid0(VALU_DEP_1)
	v_fmac_f32_e32 v12, v1, v3
	ds_load_b128 v[0:3], v9 offset:400
	s_wait_dscnt 0x0
	v_lshrrev_b32_e32 v4, 16, v0
	v_and_b32_e32 v0, 0xffff, v0
	;;#ASMSTART
	v_cvt_f32_f16 v0, v0;
	;;#ASMEND
	;;#ASMSTART
	v_cvt_f32_f16 v4, v4;
	;;#ASMEND
	scratch_load_b32 v5, off, s32 offset:848 th:TH_LOAD_LU ; 4-byte Folded Reload
	s_wait_loadcnt 0x0
	v_and_b32_e32 v5, 0xffff, v5
	;;#ASMSTART
	v_cvt_f32_f16 v5, v5;
	;;#ASMEND
	scratch_load_b32 v6, off, s32 offset:844 th:TH_LOAD_LU ; 4-byte Folded Reload
	v_fmac_f32_e32 v70, v0, v5
	v_and_b32_e32 v0, 0xffff, v1
	s_wait_loadcnt 0x0
	v_and_b32_e32 v6, 0xffff, v6
	;;#ASMSTART
	v_cvt_f32_f16 v6, v6;
	;;#ASMEND
	s_delay_alu instid0(VALU_DEP_1)
	v_fmac_f32_e32 v71, v4, v6
	v_lshrrev_b32_e32 v4, 16, v1
	;;#ASMSTART
	v_cvt_f32_f16 v0, v0;
	;;#ASMEND
	;;#ASMSTART
	v_cvt_f32_f16 v1, v4;
	;;#ASMEND
	scratch_load_b32 v4, off, s32 offset:840 th:TH_LOAD_LU ; 4-byte Folded Reload
	s_wait_loadcnt 0x0
	v_and_b32_e32 v4, 0xffff, v4
	;;#ASMSTART
	v_cvt_f32_f16 v4, v4;
	;;#ASMEND
	scratch_load_b32 v5, off, s32 offset:836 th:TH_LOAD_LU ; 4-byte Folded Reload
	v_dual_fmac_f32 v81, v0, v4 :: v_dual_and_b32 v0, 0xffff, v2
	s_wait_loadcnt 0x0
	v_and_b32_e32 v5, 0xffff, v5
	;;#ASMSTART
	v_cvt_f32_f16 v5, v5;
	;;#ASMEND
	s_delay_alu instid0(VALU_DEP_1)
	v_fmac_f32_e32 v80, v1, v5
	v_lshrrev_b32_e32 v1, 16, v2
	;;#ASMSTART
	v_cvt_f32_f16 v0, v0;
	;;#ASMEND
	;;#ASMSTART
	v_cvt_f32_f16 v1, v1;
	;;#ASMEND
	scratch_load_b32 v2, off, s32 offset:832 th:TH_LOAD_LU ; 4-byte Folded Reload
	s_wait_loadcnt 0x0
	v_and_b32_e32 v2, 0xffff, v2
	;;#ASMSTART
	v_cvt_f32_f16 v2, v2;
	;;#ASMEND
	scratch_load_b32 v4, off, s32 offset:828 th:TH_LOAD_LU ; 4-byte Folded Reload
	v_dual_fmac_f32 v83, v0, v2 :: v_dual_and_b32 v0, 0xffff, v3
	s_wait_loadcnt 0x0
	v_and_b32_e32 v4, 0xffff, v4
	;;#ASMSTART
	v_cvt_f32_f16 v4, v4;
	;;#ASMEND
	s_delay_alu instid0(VALU_DEP_1)
	v_fmac_f32_e32 v82, v1, v4
	v_lshrrev_b32_e32 v1, 16, v3
	;;#ASMSTART
	v_cvt_f32_f16 v0, v0;
	;;#ASMEND
	;;#ASMSTART
	v_cvt_f32_f16 v1, v1;
	;;#ASMEND
	scratch_load_b32 v2, off, s32 offset:824 th:TH_LOAD_LU ; 4-byte Folded Reload
	s_wait_loadcnt 0x0
	v_and_b32_e32 v2, 0xffff, v2
	;;#ASMSTART
	v_cvt_f32_f16 v2, v2;
	;;#ASMEND
	scratch_load_b32 v3, off, s32 offset:820 th:TH_LOAD_LU ; 4-byte Folded Reload
	v_fmac_f32_e32 v35, v0, v2
	s_wait_loadcnt 0x0
	v_and_b32_e32 v3, 0xffff, v3
	;;#ASMSTART
	v_cvt_f32_f16 v3, v3;
	;;#ASMEND
	s_delay_alu instid0(VALU_DEP_1)
	v_fmac_f32_e32 v12, v1, v3
	ds_load_b128 v[0:3], v9 offset:416
	s_wait_dscnt 0x0
	v_lshrrev_b32_e32 v4, 16, v0
	v_and_b32_e32 v0, 0xffff, v0
	;;#ASMSTART
	v_cvt_f32_f16 v0, v0;
	;;#ASMEND
	;;#ASMSTART
	v_cvt_f32_f16 v4, v4;
	;;#ASMEND
	scratch_load_b32 v5, off, s32 offset:816 th:TH_LOAD_LU ; 4-byte Folded Reload
	s_wait_loadcnt 0x0
	v_and_b32_e32 v5, 0xffff, v5
	;;#ASMSTART
	v_cvt_f32_f16 v5, v5;
	;;#ASMEND
	scratch_load_b32 v6, off, s32 offset:812 th:TH_LOAD_LU ; 4-byte Folded Reload
	v_fmac_f32_e32 v70, v0, v5
	v_and_b32_e32 v0, 0xffff, v1
	s_wait_loadcnt 0x0
	v_and_b32_e32 v6, 0xffff, v6
	;;#ASMSTART
	v_cvt_f32_f16 v6, v6;
	;;#ASMEND
	s_delay_alu instid0(VALU_DEP_1)
	v_fmac_f32_e32 v71, v4, v6
	v_lshrrev_b32_e32 v4, 16, v1
	;;#ASMSTART
	v_cvt_f32_f16 v0, v0;
	;;#ASMEND
	;;#ASMSTART
	v_cvt_f32_f16 v1, v4;
	;;#ASMEND
	scratch_load_b32 v4, off, s32 offset:808 th:TH_LOAD_LU ; 4-byte Folded Reload
	s_wait_loadcnt 0x0
	v_and_b32_e32 v4, 0xffff, v4
	;;#ASMSTART
	v_cvt_f32_f16 v4, v4;
	;;#ASMEND
	scratch_load_b32 v5, off, s32 offset:804 th:TH_LOAD_LU ; 4-byte Folded Reload
	v_dual_fmac_f32 v81, v0, v4 :: v_dual_and_b32 v0, 0xffff, v2
	s_wait_loadcnt 0x0
	v_and_b32_e32 v5, 0xffff, v5
	;;#ASMSTART
	v_cvt_f32_f16 v5, v5;
	;;#ASMEND
	s_delay_alu instid0(VALU_DEP_1)
	v_fmac_f32_e32 v80, v1, v5
	v_lshrrev_b32_e32 v1, 16, v2
	;;#ASMSTART
	v_cvt_f32_f16 v0, v0;
	;;#ASMEND
	;;#ASMSTART
	v_cvt_f32_f16 v1, v1;
	;;#ASMEND
	scratch_load_b32 v2, off, s32 offset:800 th:TH_LOAD_LU ; 4-byte Folded Reload
	s_wait_loadcnt 0x0
	v_and_b32_e32 v2, 0xffff, v2
	;;#ASMSTART
	v_cvt_f32_f16 v2, v2;
	;;#ASMEND
	scratch_load_b32 v4, off, s32 offset:796 th:TH_LOAD_LU ; 4-byte Folded Reload
	v_dual_fmac_f32 v83, v0, v2 :: v_dual_and_b32 v0, 0xffff, v3
	s_wait_loadcnt 0x0
	v_and_b32_e32 v4, 0xffff, v4
	;;#ASMSTART
	v_cvt_f32_f16 v4, v4;
	;;#ASMEND
	s_delay_alu instid0(VALU_DEP_1)
	v_fmac_f32_e32 v82, v1, v4
	v_lshrrev_b32_e32 v1, 16, v3
	;;#ASMSTART
	v_cvt_f32_f16 v0, v0;
	;;#ASMEND
	;;#ASMSTART
	v_cvt_f32_f16 v1, v1;
	;;#ASMEND
	scratch_load_b32 v2, off, s32 offset:792 th:TH_LOAD_LU ; 4-byte Folded Reload
	s_wait_loadcnt 0x0
	v_and_b32_e32 v2, 0xffff, v2
	;;#ASMSTART
	v_cvt_f32_f16 v2, v2;
	;;#ASMEND
	scratch_load_b32 v3, off, s32 offset:788 th:TH_LOAD_LU ; 4-byte Folded Reload
	v_fmac_f32_e32 v35, v0, v2
	s_wait_loadcnt 0x0
	v_and_b32_e32 v3, 0xffff, v3
	;;#ASMSTART
	v_cvt_f32_f16 v3, v3;
	;;#ASMEND
	s_delay_alu instid0(VALU_DEP_1)
	v_fmac_f32_e32 v12, v1, v3
	ds_load_b128 v[0:3], v9 offset:432
	s_wait_dscnt 0x0
	v_lshrrev_b32_e32 v4, 16, v0
	v_and_b32_e32 v0, 0xffff, v0
	;;#ASMSTART
	v_cvt_f32_f16 v0, v0;
	;;#ASMEND
	;;#ASMSTART
	v_cvt_f32_f16 v4, v4;
	;;#ASMEND
	scratch_load_b32 v5, off, s32 offset:784 th:TH_LOAD_LU ; 4-byte Folded Reload
	s_wait_loadcnt 0x0
	v_and_b32_e32 v5, 0xffff, v5
	;;#ASMSTART
	v_cvt_f32_f16 v5, v5;
	;;#ASMEND
	scratch_load_b32 v6, off, s32 offset:780 th:TH_LOAD_LU ; 4-byte Folded Reload
	v_fmac_f32_e32 v70, v0, v5
	v_and_b32_e32 v0, 0xffff, v1
	s_wait_loadcnt 0x0
	v_and_b32_e32 v6, 0xffff, v6
	;;#ASMSTART
	v_cvt_f32_f16 v6, v6;
	;;#ASMEND
	s_delay_alu instid0(VALU_DEP_1)
	v_fmac_f32_e32 v71, v4, v6
	v_lshrrev_b32_e32 v4, 16, v1
	;;#ASMSTART
	v_cvt_f32_f16 v0, v0;
	;;#ASMEND
	;;#ASMSTART
	v_cvt_f32_f16 v1, v4;
	;;#ASMEND
	scratch_load_b32 v4, off, s32 offset:776 th:TH_LOAD_LU ; 4-byte Folded Reload
	s_wait_loadcnt 0x0
	v_and_b32_e32 v4, 0xffff, v4
	;;#ASMSTART
	v_cvt_f32_f16 v4, v4;
	;;#ASMEND
	scratch_load_b32 v5, off, s32 offset:772 th:TH_LOAD_LU ; 4-byte Folded Reload
	v_dual_fmac_f32 v81, v0, v4 :: v_dual_and_b32 v0, 0xffff, v2
	s_wait_loadcnt 0x0
	v_and_b32_e32 v5, 0xffff, v5
	;;#ASMSTART
	v_cvt_f32_f16 v5, v5;
	;;#ASMEND
	s_delay_alu instid0(VALU_DEP_1)
	v_fmac_f32_e32 v80, v1, v5
	v_lshrrev_b32_e32 v1, 16, v2
	;;#ASMSTART
	v_cvt_f32_f16 v0, v0;
	;;#ASMEND
	;;#ASMSTART
	v_cvt_f32_f16 v1, v1;
	;;#ASMEND
	scratch_load_b32 v2, off, s32 offset:768 th:TH_LOAD_LU ; 4-byte Folded Reload
	s_wait_loadcnt 0x0
	v_and_b32_e32 v2, 0xffff, v2
	;;#ASMSTART
	v_cvt_f32_f16 v2, v2;
	;;#ASMEND
	scratch_load_b32 v4, off, s32 offset:764 th:TH_LOAD_LU ; 4-byte Folded Reload
	v_dual_fmac_f32 v83, v0, v2 :: v_dual_and_b32 v0, 0xffff, v3
	s_wait_loadcnt 0x0
	v_and_b32_e32 v4, 0xffff, v4
	;;#ASMSTART
	v_cvt_f32_f16 v4, v4;
	;;#ASMEND
	s_delay_alu instid0(VALU_DEP_1)
	v_fmac_f32_e32 v82, v1, v4
	v_lshrrev_b32_e32 v1, 16, v3
	;;#ASMSTART
	v_cvt_f32_f16 v0, v0;
	;;#ASMEND
	;;#ASMSTART
	v_cvt_f32_f16 v1, v1;
	;;#ASMEND
	scratch_load_b32 v2, off, s32 offset:760 th:TH_LOAD_LU ; 4-byte Folded Reload
	s_wait_loadcnt 0x0
	v_and_b32_e32 v2, 0xffff, v2
	;;#ASMSTART
	v_cvt_f32_f16 v2, v2;
	;;#ASMEND
	scratch_load_b32 v3, off, s32 offset:756 th:TH_LOAD_LU ; 4-byte Folded Reload
	v_fmac_f32_e32 v35, v0, v2
	s_wait_loadcnt 0x0
	v_and_b32_e32 v3, 0xffff, v3
	;;#ASMSTART
	v_cvt_f32_f16 v3, v3;
	;;#ASMEND
	s_delay_alu instid0(VALU_DEP_1)
	v_fmac_f32_e32 v12, v1, v3
	ds_load_b128 v[0:3], v9 offset:448
	s_wait_dscnt 0x0
	v_lshrrev_b32_e32 v4, 16, v0
	v_and_b32_e32 v0, 0xffff, v0
	;;#ASMSTART
	v_cvt_f32_f16 v0, v0;
	;;#ASMEND
	;;#ASMSTART
	v_cvt_f32_f16 v4, v4;
	;;#ASMEND
	scratch_load_b32 v5, off, s32 offset:752 th:TH_LOAD_LU ; 4-byte Folded Reload
	s_wait_loadcnt 0x0
	v_and_b32_e32 v5, 0xffff, v5
	;;#ASMSTART
	v_cvt_f32_f16 v5, v5;
	;;#ASMEND
	scratch_load_b32 v6, off, s32 offset:748 th:TH_LOAD_LU ; 4-byte Folded Reload
	v_fmac_f32_e32 v70, v0, v5
	v_and_b32_e32 v0, 0xffff, v1
	s_wait_loadcnt 0x0
	v_and_b32_e32 v6, 0xffff, v6
	;;#ASMSTART
	v_cvt_f32_f16 v6, v6;
	;;#ASMEND
	s_delay_alu instid0(VALU_DEP_1)
	v_fmac_f32_e32 v71, v4, v6
	v_lshrrev_b32_e32 v4, 16, v1
	;;#ASMSTART
	v_cvt_f32_f16 v0, v0;
	;;#ASMEND
	;;#ASMSTART
	v_cvt_f32_f16 v1, v4;
	;;#ASMEND
	scratch_load_b32 v4, off, s32 offset:744 th:TH_LOAD_LU ; 4-byte Folded Reload
	s_wait_loadcnt 0x0
	v_and_b32_e32 v4, 0xffff, v4
	;;#ASMSTART
	v_cvt_f32_f16 v4, v4;
	;;#ASMEND
	scratch_load_b32 v5, off, s32 offset:740 th:TH_LOAD_LU ; 4-byte Folded Reload
	v_dual_fmac_f32 v81, v0, v4 :: v_dual_and_b32 v0, 0xffff, v2
	s_wait_loadcnt 0x0
	v_and_b32_e32 v5, 0xffff, v5
	;;#ASMSTART
	v_cvt_f32_f16 v5, v5;
	;;#ASMEND
	s_delay_alu instid0(VALU_DEP_1)
	v_fmac_f32_e32 v80, v1, v5
	v_lshrrev_b32_e32 v1, 16, v2
	;;#ASMSTART
	v_cvt_f32_f16 v0, v0;
	;;#ASMEND
	;;#ASMSTART
	v_cvt_f32_f16 v1, v1;
	;;#ASMEND
	scratch_load_b32 v2, off, s32 offset:736 th:TH_LOAD_LU ; 4-byte Folded Reload
	s_wait_loadcnt 0x0
	v_and_b32_e32 v2, 0xffff, v2
	;;#ASMSTART
	v_cvt_f32_f16 v2, v2;
	;;#ASMEND
	scratch_load_b32 v4, off, s32 offset:732 th:TH_LOAD_LU ; 4-byte Folded Reload
	v_dual_fmac_f32 v83, v0, v2 :: v_dual_and_b32 v0, 0xffff, v3
	s_wait_loadcnt 0x0
	v_and_b32_e32 v4, 0xffff, v4
	;;#ASMSTART
	v_cvt_f32_f16 v4, v4;
	;;#ASMEND
	s_delay_alu instid0(VALU_DEP_1)
	v_fmac_f32_e32 v82, v1, v4
	v_lshrrev_b32_e32 v1, 16, v3
	;;#ASMSTART
	v_cvt_f32_f16 v0, v0;
	;;#ASMEND
	;;#ASMSTART
	v_cvt_f32_f16 v1, v1;
	;;#ASMEND
	scratch_load_b32 v2, off, s32 offset:728 th:TH_LOAD_LU ; 4-byte Folded Reload
	s_wait_loadcnt 0x0
	v_and_b32_e32 v2, 0xffff, v2
	;;#ASMSTART
	v_cvt_f32_f16 v2, v2;
	;;#ASMEND
	scratch_load_b32 v3, off, s32 offset:724 th:TH_LOAD_LU ; 4-byte Folded Reload
	v_fmac_f32_e32 v35, v0, v2
	s_wait_loadcnt 0x0
	v_and_b32_e32 v3, 0xffff, v3
	;;#ASMSTART
	v_cvt_f32_f16 v3, v3;
	;;#ASMEND
	s_delay_alu instid0(VALU_DEP_1)
	v_fmac_f32_e32 v12, v1, v3
	ds_load_b128 v[0:3], v9 offset:464
	s_wait_dscnt 0x0
	v_lshrrev_b32_e32 v4, 16, v0
	v_and_b32_e32 v0, 0xffff, v0
	;;#ASMSTART
	v_cvt_f32_f16 v0, v0;
	;;#ASMEND
	;;#ASMSTART
	v_cvt_f32_f16 v4, v4;
	;;#ASMEND
	scratch_load_b32 v5, off, s32 offset:720 th:TH_LOAD_LU ; 4-byte Folded Reload
	s_wait_loadcnt 0x0
	v_and_b32_e32 v5, 0xffff, v5
	;;#ASMSTART
	v_cvt_f32_f16 v5, v5;
	;;#ASMEND
	scratch_load_b32 v6, off, s32 offset:716 th:TH_LOAD_LU ; 4-byte Folded Reload
	v_fmac_f32_e32 v70, v0, v5
	v_and_b32_e32 v0, 0xffff, v1
	s_wait_loadcnt 0x0
	v_and_b32_e32 v6, 0xffff, v6
	;;#ASMSTART
	v_cvt_f32_f16 v6, v6;
	;;#ASMEND
	s_delay_alu instid0(VALU_DEP_1)
	v_fmac_f32_e32 v71, v4, v6
	v_lshrrev_b32_e32 v4, 16, v1
	;;#ASMSTART
	v_cvt_f32_f16 v0, v0;
	;;#ASMEND
	;;#ASMSTART
	v_cvt_f32_f16 v1, v4;
	;;#ASMEND
	scratch_load_b32 v4, off, s32 offset:712 th:TH_LOAD_LU ; 4-byte Folded Reload
	s_wait_loadcnt 0x0
	v_and_b32_e32 v4, 0xffff, v4
	;;#ASMSTART
	v_cvt_f32_f16 v4, v4;
	;;#ASMEND
	scratch_load_b32 v5, off, s32 offset:708 th:TH_LOAD_LU ; 4-byte Folded Reload
	v_dual_fmac_f32 v81, v0, v4 :: v_dual_and_b32 v0, 0xffff, v2
	s_wait_loadcnt 0x0
	v_and_b32_e32 v5, 0xffff, v5
	;;#ASMSTART
	v_cvt_f32_f16 v5, v5;
	;;#ASMEND
	s_delay_alu instid0(VALU_DEP_1)
	v_fmac_f32_e32 v80, v1, v5
	v_lshrrev_b32_e32 v1, 16, v2
	;;#ASMSTART
	v_cvt_f32_f16 v0, v0;
	;;#ASMEND
	;;#ASMSTART
	v_cvt_f32_f16 v1, v1;
	;;#ASMEND
	scratch_load_b32 v2, off, s32 offset:704 th:TH_LOAD_LU ; 4-byte Folded Reload
	s_wait_loadcnt 0x0
	v_and_b32_e32 v2, 0xffff, v2
	;;#ASMSTART
	v_cvt_f32_f16 v2, v2;
	;;#ASMEND
	scratch_load_b32 v4, off, s32 offset:700 th:TH_LOAD_LU ; 4-byte Folded Reload
	v_dual_fmac_f32 v83, v0, v2 :: v_dual_and_b32 v0, 0xffff, v3
	s_wait_loadcnt 0x0
	v_and_b32_e32 v4, 0xffff, v4
	;;#ASMSTART
	v_cvt_f32_f16 v4, v4;
	;;#ASMEND
	s_delay_alu instid0(VALU_DEP_1)
	v_fmac_f32_e32 v82, v1, v4
	v_lshrrev_b32_e32 v1, 16, v3
	;;#ASMSTART
	v_cvt_f32_f16 v0, v0;
	;;#ASMEND
	;;#ASMSTART
	v_cvt_f32_f16 v1, v1;
	;;#ASMEND
	scratch_load_b32 v2, off, s32 offset:696 th:TH_LOAD_LU ; 4-byte Folded Reload
	s_wait_loadcnt 0x0
	v_and_b32_e32 v2, 0xffff, v2
	;;#ASMSTART
	v_cvt_f32_f16 v2, v2;
	;;#ASMEND
	scratch_load_b32 v3, off, s32 offset:692 th:TH_LOAD_LU ; 4-byte Folded Reload
	v_fmac_f32_e32 v35, v0, v2
	s_wait_loadcnt 0x0
	v_and_b32_e32 v3, 0xffff, v3
	;;#ASMSTART
	v_cvt_f32_f16 v3, v3;
	;;#ASMEND
	s_delay_alu instid0(VALU_DEP_1)
	v_fmac_f32_e32 v12, v1, v3
	ds_load_b128 v[0:3], v9 offset:480
	s_wait_dscnt 0x0
	v_lshrrev_b32_e32 v4, 16, v0
	v_and_b32_e32 v0, 0xffff, v0
	;;#ASMSTART
	v_cvt_f32_f16 v0, v0;
	;;#ASMEND
	;;#ASMSTART
	v_cvt_f32_f16 v4, v4;
	;;#ASMEND
	scratch_load_b32 v5, off, s32 offset:688 th:TH_LOAD_LU ; 4-byte Folded Reload
	s_wait_loadcnt 0x0
	v_and_b32_e32 v5, 0xffff, v5
	;;#ASMSTART
	v_cvt_f32_f16 v5, v5;
	;;#ASMEND
	scratch_load_b32 v6, off, s32 offset:684 th:TH_LOAD_LU ; 4-byte Folded Reload
	v_fmac_f32_e32 v70, v0, v5
	v_and_b32_e32 v0, 0xffff, v1
	s_wait_loadcnt 0x0
	v_and_b32_e32 v6, 0xffff, v6
	;;#ASMSTART
	v_cvt_f32_f16 v6, v6;
	;;#ASMEND
	s_delay_alu instid0(VALU_DEP_1)
	v_fmac_f32_e32 v71, v4, v6
	v_lshrrev_b32_e32 v4, 16, v1
	;;#ASMSTART
	v_cvt_f32_f16 v0, v0;
	;;#ASMEND
	;;#ASMSTART
	v_cvt_f32_f16 v1, v4;
	;;#ASMEND
	scratch_load_b32 v4, off, s32 offset:680 th:TH_LOAD_LU ; 4-byte Folded Reload
	s_wait_loadcnt 0x0
	v_and_b32_e32 v4, 0xffff, v4
	;;#ASMSTART
	v_cvt_f32_f16 v4, v4;
	;;#ASMEND
	scratch_load_b32 v5, off, s32 offset:676 th:TH_LOAD_LU ; 4-byte Folded Reload
	v_dual_fmac_f32 v81, v0, v4 :: v_dual_and_b32 v0, 0xffff, v2
	s_wait_loadcnt 0x0
	v_and_b32_e32 v5, 0xffff, v5
	;;#ASMSTART
	v_cvt_f32_f16 v5, v5;
	;;#ASMEND
	s_delay_alu instid0(VALU_DEP_1)
	v_fmac_f32_e32 v80, v1, v5
	v_lshrrev_b32_e32 v1, 16, v2
	;;#ASMSTART
	v_cvt_f32_f16 v0, v0;
	;;#ASMEND
	;;#ASMSTART
	v_cvt_f32_f16 v1, v1;
	;;#ASMEND
	scratch_load_b32 v2, off, s32 offset:672 th:TH_LOAD_LU ; 4-byte Folded Reload
	s_wait_loadcnt 0x0
	v_and_b32_e32 v2, 0xffff, v2
	;;#ASMSTART
	v_cvt_f32_f16 v2, v2;
	;;#ASMEND
	scratch_load_b32 v4, off, s32 offset:668 th:TH_LOAD_LU ; 4-byte Folded Reload
	v_dual_fmac_f32 v83, v0, v2 :: v_dual_and_b32 v0, 0xffff, v3
	s_wait_loadcnt 0x0
	v_and_b32_e32 v4, 0xffff, v4
	;;#ASMSTART
	v_cvt_f32_f16 v4, v4;
	;;#ASMEND
	s_delay_alu instid0(VALU_DEP_1)
	v_fmac_f32_e32 v82, v1, v4
	v_lshrrev_b32_e32 v1, 16, v3
	;;#ASMSTART
	v_cvt_f32_f16 v0, v0;
	;;#ASMEND
	;;#ASMSTART
	v_cvt_f32_f16 v1, v1;
	;;#ASMEND
	scratch_load_b32 v2, off, s32 offset:664 th:TH_LOAD_LU ; 4-byte Folded Reload
	s_wait_loadcnt 0x0
	v_and_b32_e32 v2, 0xffff, v2
	;;#ASMSTART
	v_cvt_f32_f16 v2, v2;
	;;#ASMEND
	scratch_load_b32 v3, off, s32 offset:660 th:TH_LOAD_LU ; 4-byte Folded Reload
	v_fmac_f32_e32 v35, v0, v2
	s_wait_loadcnt 0x0
	v_and_b32_e32 v3, 0xffff, v3
	;;#ASMSTART
	v_cvt_f32_f16 v3, v3;
	;;#ASMEND
	s_delay_alu instid0(VALU_DEP_1)
	v_fmac_f32_e32 v12, v1, v3
	ds_load_b128 v[0:3], v9 offset:496
	s_wait_dscnt 0x0
	v_lshrrev_b32_e32 v4, 16, v0
	v_and_b32_e32 v0, 0xffff, v0
	;;#ASMSTART
	v_cvt_f32_f16 v0, v0;
	;;#ASMEND
	;;#ASMSTART
	v_cvt_f32_f16 v4, v4;
	;;#ASMEND
	scratch_load_b32 v5, off, s32 offset:348 th:TH_LOAD_LU ; 4-byte Folded Reload
	s_wait_loadcnt 0x0
	v_and_b32_e32 v5, 0xffff, v5
	;;#ASMSTART
	v_cvt_f32_f16 v5, v5;
	;;#ASMEND
	scratch_load_b32 v6, off, s32 offset:344 th:TH_LOAD_LU ; 4-byte Folded Reload
	v_fmac_f32_e32 v70, v0, v5
	v_and_b32_e32 v0, 0xffff, v1
	s_wait_loadcnt 0x0
	v_and_b32_e32 v6, 0xffff, v6
	;;#ASMSTART
	v_cvt_f32_f16 v6, v6;
	;;#ASMEND
	s_delay_alu instid0(VALU_DEP_1)
	v_fmac_f32_e32 v71, v4, v6
	v_lshrrev_b32_e32 v4, 16, v1
	;;#ASMSTART
	v_cvt_f32_f16 v0, v0;
	;;#ASMEND
	;;#ASMSTART
	v_cvt_f32_f16 v1, v4;
	;;#ASMEND
	scratch_load_b32 v4, off, s32 offset:340 th:TH_LOAD_LU ; 4-byte Folded Reload
	s_wait_loadcnt 0x0
	v_and_b32_e32 v4, 0xffff, v4
	;;#ASMSTART
	v_cvt_f32_f16 v4, v4;
	;;#ASMEND
	scratch_load_b32 v5, off, s32 offset:336 th:TH_LOAD_LU ; 4-byte Folded Reload
	v_dual_fmac_f32 v81, v0, v4 :: v_dual_and_b32 v0, 0xffff, v2
	s_wait_loadcnt 0x0
	v_and_b32_e32 v5, 0xffff, v5
	;;#ASMSTART
	v_cvt_f32_f16 v5, v5;
	;;#ASMEND
	s_delay_alu instid0(VALU_DEP_1)
	v_fmac_f32_e32 v80, v1, v5
	v_lshrrev_b32_e32 v1, 16, v2
	;;#ASMSTART
	v_cvt_f32_f16 v0, v0;
	;;#ASMEND
	;;#ASMSTART
	v_cvt_f32_f16 v1, v1;
	;;#ASMEND
	scratch_load_b32 v2, off, s32 offset:332 th:TH_LOAD_LU ; 4-byte Folded Reload
	s_wait_loadcnt 0x0
	v_and_b32_e32 v2, 0xffff, v2
	;;#ASMSTART
	v_cvt_f32_f16 v2, v2;
	;;#ASMEND
	scratch_load_b32 v4, off, s32 offset:328 th:TH_LOAD_LU ; 4-byte Folded Reload
	v_dual_fmac_f32 v83, v0, v2 :: v_dual_and_b32 v0, 0xffff, v3
	s_wait_loadcnt 0x0
	v_and_b32_e32 v4, 0xffff, v4
	;;#ASMSTART
	v_cvt_f32_f16 v4, v4;
	;;#ASMEND
	s_delay_alu instid0(VALU_DEP_1)
	v_fmac_f32_e32 v82, v1, v4
	v_lshrrev_b32_e32 v1, 16, v3
	;;#ASMSTART
	v_cvt_f32_f16 v0, v0;
	;;#ASMEND
	;;#ASMSTART
	v_cvt_f32_f16 v1, v1;
	;;#ASMEND
	scratch_load_b32 v2, off, s32 offset:324 th:TH_LOAD_LU ; 4-byte Folded Reload
	v_and_b32_e32 v3, 0xffff, v53
	s_wait_loadcnt 0x0
	v_and_b32_e32 v2, 0xffff, v2
	;;#ASMSTART
	v_cvt_f32_f16 v2, v2;
	;;#ASMEND
	;;#ASMSTART
	v_cvt_f32_f16 v3, v3;
	;;#ASMEND
	v_fmac_f32_e32 v12, v1, v3
	s_clause 0x1
	scratch_load_b32 v1, off, s32 offset:988
	scratch_load_b32 v6, off, s32 offset:656 th:TH_LOAD_LU
	v_dual_fmac_f32 v35, v0, v2 :: v_dual_add_f32 v0, v70, v71
	s_delay_alu instid0(VALU_DEP_1) | instskip(NEXT) | instid1(VALU_DEP_1)
	v_add_f32_e32 v0, v0, v81
	v_add_f32_e32 v0, v80, v0
	s_delay_alu instid0(VALU_DEP_1) | instskip(NEXT) | instid1(VALU_DEP_1)
	v_add_f32_e32 v0, v0, v83
	v_add_f32_e32 v0, v82, v0
	;; [unrolled: 3-line block ×3, first 2 shown]
	s_wait_loadcnt 0x1
	s_delay_alu instid0(VALU_DEP_1) | instskip(SKIP_1) | instid1(VALU_DEP_1)
	v_fmac_f32_e32 v54, v1, v0
	s_wait_alu 0xf1ff
	v_cndmask_b32_e64 v0, 0, v54, s1
	ds_store_b32 v65, v0
	s_wait_loadcnt 0x0
	v_dual_max_num_f32 v0, v6, v6 :: v_dual_add_nc_u32 v65, 0x200, v65
	s_delay_alu instid0(VALU_DEP_1) | instskip(NEXT) | instid1(VALU_DEP_1)
	v_max_num_f32_e32 v0, v0, v54
	v_cndmask_b32_e64 v6, v6, v0, s1
	scratch_load_b32 v0, off, s32 offset:652 ; 4-byte Folded Reload
	v_add_co_u32 v31, s1, v31, 16
	s_wait_alu 0xf1ff
	v_add_co_ci_u32_e64 v32, null, 0, v32, s1
	s_wait_loadcnt 0x0
	v_cmp_ge_i32_e64 s1, v111, v0
	s_or_b32 s13, s1, s13
	s_wait_alu 0xfffe
	s_and_not1_b32 exec_lo, exec_lo, s13
	s_cbranch_execz .LBB311_2056
.LBB311_11:                             ; =>This Inner Loop Header: Depth=1
	s_wait_loadcnt 0x0
	s_clause 0x3
	scratch_store_b32 off, v111, s32 offset:616
	scratch_store_b32 off, v65, s32 offset:612
	;; [unrolled: 1-line block ×4, first 2 shown]
	flat_load_b32 v0, v[31:32]
	s_clause 0x1
	scratch_load_b32 v1, off, s32 offset:648
	scratch_load_b64 v[2:3], off, s32 offset:1000
	s_mov_b32 s14, exec_lo
	s_wait_loadcnt_dscnt 0x0
	v_mad_co_i64_i32 v[20:21], null, v0, v1, v[2:3]
	flat_load_b64 v[28:29], v[20:21]
	scratch_load_b64 v[0:1], off, s32 offset:980 ; 8-byte Folded Reload
	s_wait_loadcnt 0x0
	flat_load_b32 v53, v[0:1]
	s_wait_dscnt 0x1
	v_dual_mov_b32 v1, 0 :: v_dual_and_b32 v0, 0xff, v28
	scratch_store_b32 off, v1, s32 offset:620 ; 4-byte Folded Spill
	v_cmpx_ne_u16_e32 0, v0
	s_cbranch_execz .LBB311_19
; %bb.12:                               ;   in Loop: Header=BB311_11 Depth=1
	v_cmp_ne_u16_e64 s1, 0x80, v0
	v_mov_b32_e32 v0, 0x8000
	s_and_saveexec_b32 s15, s1
	s_cbranch_execz .LBB311_18
; %bb.13:                               ;   in Loop: Header=BB311_11 Depth=1
	v_and_b32_e32 v2, 0x7f, v28
	v_mov_b32_e32 v0, 0x7c01
	s_mov_b32 s16, exec_lo
	s_delay_alu instid0(VALU_DEP_2)
	v_cmpx_ne_u32_e32 0x7f, v2
	s_cbranch_execz .LBB311_17
; %bb.14:                               ;   in Loop: Header=BB311_11 Depth=1
	v_and_b32_e32 v0, 7, v28
	v_lshrrev_b32_e32 v1, 3, v2
	s_mov_b32 s17, exec_lo
	v_cmpx_gt_u32_e32 8, v2
; %bb.15:                               ;   in Loop: Header=BB311_11 Depth=1
	s_delay_alu instid0(VALU_DEP_3) | instskip(NEXT) | instid1(VALU_DEP_1)
	v_clz_i32_u32_e32 v0, v0
	v_min_u32_e32 v2, 32, v0
	s_delay_alu instid0(VALU_DEP_1) | instskip(NEXT) | instid1(VALU_DEP_1)
	v_subrev_nc_u32_e32 v0, 28, v2
	v_lshlrev_b64_e32 v[0:1], v0, v[28:29]
	v_sub_nc_u32_e32 v1, 29, v2
	s_delay_alu instid0(VALU_DEP_2)
	v_and_b32_e32 v0, 7, v0
; %bb.16:                               ;   in Loop: Header=BB311_11 Depth=1
	s_wait_alu 0xfffe
	s_or_b32 exec_lo, exec_lo, s17
	v_lshlrev_b32_e32 v2, 8, v28
	v_lshl_add_u32 v1, v1, 10, 0x2000
	v_lshlrev_b32_e32 v0, 7, v0
	s_delay_alu instid0(VALU_DEP_3) | instskip(NEXT) | instid1(VALU_DEP_3)
	v_and_b32_e32 v2, 0x8000, v2
	v_and_b32_e32 v1, 0xfc00, v1
	s_delay_alu instid0(VALU_DEP_1)
	v_or3_b32 v0, v2, v1, v0
.LBB311_17:                             ;   in Loop: Header=BB311_11 Depth=1
	s_wait_alu 0xfffe
	s_or_b32 exec_lo, exec_lo, s16
.LBB311_18:                             ;   in Loop: Header=BB311_11 Depth=1
	s_wait_alu 0xfffe
	s_or_b32 exec_lo, exec_lo, s15
	scratch_store_b32 off, v0, s32 offset:620 ; 4-byte Folded Spill
.LBB311_19:                             ;   in Loop: Header=BB311_11 Depth=1
	s_wait_alu 0xfffe
	s_or_b32 exec_lo, exec_lo, s14
	v_mov_b32_e32 v0, 0
	v_lshrrev_b16 v8, 8, v28
	s_mov_b32 s14, exec_lo
	scratch_store_b32 off, v0, s32 offset:332 ; 4-byte Folded Spill
	v_mov_b32_e32 v0, 0
	scratch_store_b32 off, v0, s32 offset:328 ; 4-byte Folded Spill
	v_cmpx_ne_u16_e32 0, v8
	s_cbranch_execz .LBB311_27
; %bb.20:                               ;   in Loop: Header=BB311_11 Depth=1
	v_bfrev_b32_e32 v0, 1
	s_mov_b32 s15, exec_lo
	scratch_store_b32 off, v0, s32 offset:328 ; 4-byte Folded Spill
	v_cmpx_ne_u16_e32 0x80, v8
	s_cbranch_execz .LBB311_26
; %bb.21:                               ;   in Loop: Header=BB311_11 Depth=1
	v_and_b32_e32 v0, 0xffff, v8
	v_mov_b32_e32 v1, 0x7c010000
	s_mov_b32 s16, exec_lo
	s_delay_alu instid0(VALU_DEP_2)
	v_and_b32_e32 v3, 0x7f, v0
	scratch_store_b32 off, v1, s32 offset:328 ; 4-byte Folded Spill
	v_cmpx_ne_u32_e32 0x7f, v3
	s_cbranch_execz .LBB311_25
; %bb.22:                               ;   in Loop: Header=BB311_11 Depth=1
	v_and_b32_e32 v1, 7, v0
	v_lshrrev_b32_e32 v2, 3, v3
	s_mov_b32 s17, exec_lo
	v_cmpx_gt_u32_e32 8, v3
; %bb.23:                               ;   in Loop: Header=BB311_11 Depth=1
	s_delay_alu instid0(VALU_DEP_3) | instskip(NEXT) | instid1(VALU_DEP_1)
	v_clz_i32_u32_e32 v1, v1
	v_min_u32_e32 v3, 32, v1
	s_delay_alu instid0(VALU_DEP_1) | instskip(NEXT) | instid1(VALU_DEP_1)
	v_subrev_nc_u32_e32 v1, 28, v3
	v_lshlrev_b64_e32 v[1:2], v1, v[8:9]
	v_sub_nc_u32_e32 v2, 29, v3
	s_delay_alu instid0(VALU_DEP_2)
	v_and_b32_e32 v1, 7, v1
; %bb.24:                               ;   in Loop: Header=BB311_11 Depth=1
	s_wait_alu 0xfffe
	s_or_b32 exec_lo, exec_lo, s17
	v_lshlrev_b32_e32 v0, 8, v0
	v_lshl_add_u32 v2, v2, 10, 0x2000
	v_lshlrev_b32_e32 v1, 23, v1
	s_delay_alu instid0(VALU_DEP_2) | instskip(NEXT) | instid1(VALU_DEP_1)
	v_and_or_b32 v0, 0x8000, v0, v2
	v_lshl_or_b32 v0, v0, 16, v1
	scratch_store_b32 off, v0, s32 offset:328 ; 4-byte Folded Spill
.LBB311_25:                             ;   in Loop: Header=BB311_11 Depth=1
	s_wait_alu 0xfffe
	s_or_b32 exec_lo, exec_lo, s16
.LBB311_26:                             ;   in Loop: Header=BB311_11 Depth=1
	s_wait_alu 0xfffe
	s_or_b32 exec_lo, exec_lo, s15
.LBB311_27:                             ;   in Loop: Header=BB311_11 Depth=1
	s_wait_alu 0xfffe
	s_or_b32 exec_lo, exec_lo, s14
	v_lshrrev_b32_e32 v8, 16, v28
	s_mov_b32 s14, exec_lo
	s_delay_alu instid0(VALU_DEP_1) | instskip(NEXT) | instid1(VALU_DEP_1)
	v_and_b32_e32 v0, 0xff, v8
	v_cmpx_ne_u16_e32 0, v0
	s_cbranch_execz .LBB311_35
; %bb.28:                               ;   in Loop: Header=BB311_11 Depth=1
	v_cmp_ne_u16_e64 s1, 0x80, v0
	v_mov_b32_e32 v0, 0x8000
	scratch_store_b32 off, v0, s32 offset:332 ; 4-byte Folded Spill
	s_and_saveexec_b32 s15, s1
	s_cbranch_execz .LBB311_34
; %bb.29:                               ;   in Loop: Header=BB311_11 Depth=1
	v_bfe_u32 v2, v28, 16, 7
	v_mov_b32_e32 v0, 0x7c01
	s_mov_b32 s16, exec_lo
	scratch_store_b32 off, v0, s32 offset:332 ; 4-byte Folded Spill
	v_cmpx_ne_u32_e32 0x7f, v2
	s_cbranch_execz .LBB311_33
; %bb.30:                               ;   in Loop: Header=BB311_11 Depth=1
	v_and_b32_e32 v0, 7, v8
	v_lshrrev_b32_e32 v1, 3, v2
	s_mov_b32 s17, exec_lo
	v_cmpx_gt_u32_e32 8, v2
; %bb.31:                               ;   in Loop: Header=BB311_11 Depth=1
	s_delay_alu instid0(VALU_DEP_3) | instskip(NEXT) | instid1(VALU_DEP_1)
	v_clz_i32_u32_e32 v0, v0
	v_min_u32_e32 v2, 32, v0
	s_delay_alu instid0(VALU_DEP_1) | instskip(NEXT) | instid1(VALU_DEP_1)
	v_subrev_nc_u32_e32 v0, 28, v2
	v_lshlrev_b64_e32 v[0:1], v0, v[8:9]
	v_sub_nc_u32_e32 v1, 29, v2
	s_delay_alu instid0(VALU_DEP_2)
	v_and_b32_e32 v0, 7, v0
; %bb.32:                               ;   in Loop: Header=BB311_11 Depth=1
	s_wait_alu 0xfffe
	s_or_b32 exec_lo, exec_lo, s17
	v_lshlrev_b32_e32 v2, 8, v8
	v_lshl_add_u32 v1, v1, 10, 0x2000
	v_lshlrev_b32_e32 v0, 7, v0
	s_delay_alu instid0(VALU_DEP_3) | instskip(NEXT) | instid1(VALU_DEP_3)
	v_and_b32_e32 v2, 0x8000, v2
	v_and_b32_e32 v1, 0xfc00, v1
	s_delay_alu instid0(VALU_DEP_1)
	v_or3_b32 v0, v2, v1, v0
	scratch_store_b32 off, v0, s32 offset:332 ; 4-byte Folded Spill
.LBB311_33:                             ;   in Loop: Header=BB311_11 Depth=1
	s_wait_alu 0xfffe
	s_or_b32 exec_lo, exec_lo, s16
.LBB311_34:                             ;   in Loop: Header=BB311_11 Depth=1
	s_wait_alu 0xfffe
	s_or_b32 exec_lo, exec_lo, s15
.LBB311_35:                             ;   in Loop: Header=BB311_11 Depth=1
	s_wait_alu 0xfffe
	s_or_b32 exec_lo, exec_lo, s14
	v_mov_b32_e32 v0, 0
	s_mov_b32 s14, exec_lo
	scratch_store_b32 off, v0, s32 offset:336 ; 4-byte Folded Spill
	v_mov_b32_e32 v0, 0
	scratch_store_b32 off, v0, s32 offset:340 ; 4-byte Folded Spill
	v_cmpx_lt_u32_e32 0xffffff, v28
	s_cbranch_execz .LBB311_43
; %bb.36:                               ;   in Loop: Header=BB311_11 Depth=1
	v_lshrrev_b32_e32 v8, 24, v28
	v_bfrev_b32_e32 v0, 1
	s_mov_b32 s15, exec_lo
	scratch_store_b32 off, v0, s32 offset:340 ; 4-byte Folded Spill
	v_cmpx_ne_u32_e32 0x80, v8
	s_cbranch_execz .LBB311_42
; %bb.37:                               ;   in Loop: Header=BB311_11 Depth=1
	v_and_b32_e32 v2, 0x7f, v8
	v_mov_b32_e32 v0, 0x7c010000
	s_mov_b32 s16, exec_lo
	scratch_store_b32 off, v0, s32 offset:340 ; 4-byte Folded Spill
	v_cmpx_ne_u32_e32 0x7f, v2
	s_cbranch_execz .LBB311_41
; %bb.38:                               ;   in Loop: Header=BB311_11 Depth=1
	v_and_b32_e32 v0, 7, v8
	v_lshrrev_b32_e32 v1, 3, v2
	s_mov_b32 s17, exec_lo
	v_cmpx_gt_u32_e32 8, v2
; %bb.39:                               ;   in Loop: Header=BB311_11 Depth=1
	s_delay_alu instid0(VALU_DEP_3) | instskip(NEXT) | instid1(VALU_DEP_1)
	v_clz_i32_u32_e32 v0, v0
	v_min_u32_e32 v2, 32, v0
	s_delay_alu instid0(VALU_DEP_1) | instskip(NEXT) | instid1(VALU_DEP_1)
	v_subrev_nc_u32_e32 v0, 28, v2
	v_lshlrev_b64_e32 v[0:1], v0, v[8:9]
	v_sub_nc_u32_e32 v1, 29, v2
	s_delay_alu instid0(VALU_DEP_2)
	v_and_b32_e32 v0, 7, v0
; %bb.40:                               ;   in Loop: Header=BB311_11 Depth=1
	s_wait_alu 0xfffe
	s_or_b32 exec_lo, exec_lo, s17
	v_lshlrev_b32_e32 v2, 8, v8
	v_lshl_add_u32 v1, v1, 10, 0x2000
	v_lshlrev_b32_e32 v0, 23, v0
	s_delay_alu instid0(VALU_DEP_2) | instskip(NEXT) | instid1(VALU_DEP_1)
	v_and_or_b32 v1, 0x8000, v2, v1
	v_lshl_or_b32 v0, v1, 16, v0
	scratch_store_b32 off, v0, s32 offset:340 ; 4-byte Folded Spill
.LBB311_41:                             ;   in Loop: Header=BB311_11 Depth=1
	s_wait_alu 0xfffe
	s_or_b32 exec_lo, exec_lo, s16
.LBB311_42:                             ;   in Loop: Header=BB311_11 Depth=1
	s_wait_alu 0xfffe
	s_or_b32 exec_lo, exec_lo, s15
.LBB311_43:                             ;   in Loop: Header=BB311_11 Depth=1
	s_wait_alu 0xfffe
	s_or_b32 exec_lo, exec_lo, s14
	v_and_b32_e32 v0, 0xff, v29
	v_mov_b32_e32 v8, v29
	s_mov_b32 s14, exec_lo
	s_delay_alu instid0(VALU_DEP_2)
	v_cmpx_ne_u16_e32 0, v0
	s_cbranch_execz .LBB311_51
; %bb.44:                               ;   in Loop: Header=BB311_11 Depth=1
	v_cmp_ne_u16_e64 s1, 0x80, v0
	v_mov_b32_e32 v0, 0x8000
	scratch_store_b32 off, v0, s32 offset:336 ; 4-byte Folded Spill
	s_and_saveexec_b32 s15, s1
	s_cbranch_execz .LBB311_50
; %bb.45:                               ;   in Loop: Header=BB311_11 Depth=1
	v_and_b32_e32 v2, 0x7f, v29
	v_mov_b32_e32 v0, 0x7c01
	s_mov_b32 s16, exec_lo
	scratch_store_b32 off, v0, s32 offset:336 ; 4-byte Folded Spill
	v_cmpx_ne_u32_e32 0x7f, v2
	s_cbranch_execz .LBB311_49
; %bb.46:                               ;   in Loop: Header=BB311_11 Depth=1
	v_and_b32_e32 v0, 7, v29
	v_lshrrev_b32_e32 v1, 3, v2
	s_mov_b32 s17, exec_lo
	v_cmpx_gt_u32_e32 8, v2
; %bb.47:                               ;   in Loop: Header=BB311_11 Depth=1
	s_delay_alu instid0(VALU_DEP_3) | instskip(NEXT) | instid1(VALU_DEP_1)
	v_clz_i32_u32_e32 v0, v0
	v_min_u32_e32 v2, 32, v0
	s_delay_alu instid0(VALU_DEP_1) | instskip(NEXT) | instid1(VALU_DEP_1)
	v_subrev_nc_u32_e32 v0, 28, v2
	v_lshlrev_b64_e32 v[0:1], v0, v[8:9]
	v_sub_nc_u32_e32 v1, 29, v2
	s_delay_alu instid0(VALU_DEP_2)
	v_and_b32_e32 v0, 7, v0
; %bb.48:                               ;   in Loop: Header=BB311_11 Depth=1
	s_wait_alu 0xfffe
	s_or_b32 exec_lo, exec_lo, s17
	v_lshlrev_b32_e32 v2, 8, v29
	v_lshl_add_u32 v1, v1, 10, 0x2000
	v_lshlrev_b32_e32 v0, 7, v0
	s_delay_alu instid0(VALU_DEP_3) | instskip(NEXT) | instid1(VALU_DEP_3)
	v_and_b32_e32 v2, 0x8000, v2
	v_and_b32_e32 v1, 0xfc00, v1
	s_delay_alu instid0(VALU_DEP_1)
	v_or3_b32 v0, v2, v1, v0
	scratch_store_b32 off, v0, s32 offset:336 ; 4-byte Folded Spill
.LBB311_49:                             ;   in Loop: Header=BB311_11 Depth=1
	s_wait_alu 0xfffe
	s_or_b32 exec_lo, exec_lo, s16
.LBB311_50:                             ;   in Loop: Header=BB311_11 Depth=1
	s_wait_alu 0xfffe
	s_or_b32 exec_lo, exec_lo, s15
.LBB311_51:                             ;   in Loop: Header=BB311_11 Depth=1
	s_wait_alu 0xfffe
	s_or_b32 exec_lo, exec_lo, s14
	v_mov_b32_e32 v0, 0
	v_lshrrev_b16 v8, 8, v8
	s_mov_b32 s14, exec_lo
	scratch_store_b32 off, v0, s32 offset:344 ; 4-byte Folded Spill
	v_mov_b32_e32 v0, 0
	scratch_store_b32 off, v0, s32 offset:348 ; 4-byte Folded Spill
	v_cmpx_ne_u16_e32 0, v8
	s_cbranch_execz .LBB311_59
; %bb.52:                               ;   in Loop: Header=BB311_11 Depth=1
	v_bfrev_b32_e32 v0, 1
	s_mov_b32 s15, exec_lo
	scratch_store_b32 off, v0, s32 offset:348 ; 4-byte Folded Spill
	v_cmpx_ne_u16_e32 0x80, v8
	s_cbranch_execz .LBB311_58
; %bb.53:                               ;   in Loop: Header=BB311_11 Depth=1
	v_and_b32_e32 v0, 0xffff, v8
	v_mov_b32_e32 v1, 0x7c010000
	s_mov_b32 s16, exec_lo
	s_delay_alu instid0(VALU_DEP_2)
	v_and_b32_e32 v3, 0x7f, v0
	scratch_store_b32 off, v1, s32 offset:348 ; 4-byte Folded Spill
	v_cmpx_ne_u32_e32 0x7f, v3
	s_cbranch_execz .LBB311_57
; %bb.54:                               ;   in Loop: Header=BB311_11 Depth=1
	v_and_b32_e32 v1, 7, v0
	v_lshrrev_b32_e32 v2, 3, v3
	s_mov_b32 s17, exec_lo
	v_cmpx_gt_u32_e32 8, v3
; %bb.55:                               ;   in Loop: Header=BB311_11 Depth=1
	s_delay_alu instid0(VALU_DEP_3) | instskip(NEXT) | instid1(VALU_DEP_1)
	v_clz_i32_u32_e32 v1, v1
	v_min_u32_e32 v3, 32, v1
	s_delay_alu instid0(VALU_DEP_1) | instskip(NEXT) | instid1(VALU_DEP_1)
	v_subrev_nc_u32_e32 v1, 28, v3
	v_lshlrev_b64_e32 v[1:2], v1, v[8:9]
	v_sub_nc_u32_e32 v2, 29, v3
	s_delay_alu instid0(VALU_DEP_2)
	v_and_b32_e32 v1, 7, v1
; %bb.56:                               ;   in Loop: Header=BB311_11 Depth=1
	s_wait_alu 0xfffe
	s_or_b32 exec_lo, exec_lo, s17
	v_lshlrev_b32_e32 v0, 8, v0
	v_lshl_add_u32 v2, v2, 10, 0x2000
	v_lshlrev_b32_e32 v1, 23, v1
	s_delay_alu instid0(VALU_DEP_2) | instskip(NEXT) | instid1(VALU_DEP_1)
	v_and_or_b32 v0, 0x8000, v0, v2
	v_lshl_or_b32 v0, v0, 16, v1
	scratch_store_b32 off, v0, s32 offset:348 ; 4-byte Folded Spill
.LBB311_57:                             ;   in Loop: Header=BB311_11 Depth=1
	s_wait_alu 0xfffe
	s_or_b32 exec_lo, exec_lo, s16
.LBB311_58:                             ;   in Loop: Header=BB311_11 Depth=1
	s_wait_alu 0xfffe
	s_or_b32 exec_lo, exec_lo, s15
.LBB311_59:                             ;   in Loop: Header=BB311_11 Depth=1
	s_wait_alu 0xfffe
	s_or_b32 exec_lo, exec_lo, s14
	v_lshrrev_b32_e32 v8, 16, v29
	s_mov_b32 s14, exec_lo
	s_delay_alu instid0(VALU_DEP_1) | instskip(NEXT) | instid1(VALU_DEP_1)
	v_and_b32_e32 v0, 0xff, v8
	v_cmpx_ne_u16_e32 0, v0
	s_cbranch_execz .LBB311_67
; %bb.60:                               ;   in Loop: Header=BB311_11 Depth=1
	v_cmp_ne_u16_e64 s1, 0x80, v0
	v_mov_b32_e32 v0, 0x8000
	scratch_store_b32 off, v0, s32 offset:344 ; 4-byte Folded Spill
	s_and_saveexec_b32 s15, s1
	s_cbranch_execz .LBB311_66
; %bb.61:                               ;   in Loop: Header=BB311_11 Depth=1
	v_bfe_u32 v2, v29, 16, 7
	v_mov_b32_e32 v0, 0x7c01
	s_mov_b32 s16, exec_lo
	scratch_store_b32 off, v0, s32 offset:344 ; 4-byte Folded Spill
	v_cmpx_ne_u32_e32 0x7f, v2
	s_cbranch_execz .LBB311_65
; %bb.62:                               ;   in Loop: Header=BB311_11 Depth=1
	v_and_b32_e32 v0, 7, v8
	v_lshrrev_b32_e32 v1, 3, v2
	s_mov_b32 s17, exec_lo
	v_cmpx_gt_u32_e32 8, v2
; %bb.63:                               ;   in Loop: Header=BB311_11 Depth=1
	s_delay_alu instid0(VALU_DEP_3) | instskip(NEXT) | instid1(VALU_DEP_1)
	v_clz_i32_u32_e32 v0, v0
	v_min_u32_e32 v2, 32, v0
	s_delay_alu instid0(VALU_DEP_1) | instskip(NEXT) | instid1(VALU_DEP_1)
	v_subrev_nc_u32_e32 v0, 28, v2
	v_lshlrev_b64_e32 v[0:1], v0, v[8:9]
	v_sub_nc_u32_e32 v1, 29, v2
	s_delay_alu instid0(VALU_DEP_2)
	v_and_b32_e32 v0, 7, v0
; %bb.64:                               ;   in Loop: Header=BB311_11 Depth=1
	s_wait_alu 0xfffe
	s_or_b32 exec_lo, exec_lo, s17
	v_lshlrev_b32_e32 v2, 8, v8
	v_lshl_add_u32 v1, v1, 10, 0x2000
	v_lshlrev_b32_e32 v0, 7, v0
	s_delay_alu instid0(VALU_DEP_3) | instskip(NEXT) | instid1(VALU_DEP_3)
	v_and_b32_e32 v2, 0x8000, v2
	v_and_b32_e32 v1, 0xfc00, v1
	s_delay_alu instid0(VALU_DEP_1)
	v_or3_b32 v0, v2, v1, v0
	scratch_store_b32 off, v0, s32 offset:344 ; 4-byte Folded Spill
.LBB311_65:                             ;   in Loop: Header=BB311_11 Depth=1
	s_wait_alu 0xfffe
	s_or_b32 exec_lo, exec_lo, s16
.LBB311_66:                             ;   in Loop: Header=BB311_11 Depth=1
	s_wait_alu 0xfffe
	s_or_b32 exec_lo, exec_lo, s15
.LBB311_67:                             ;   in Loop: Header=BB311_11 Depth=1
	s_wait_alu 0xfffe
	s_or_b32 exec_lo, exec_lo, s14
	v_mov_b32_e32 v0, 0
	s_mov_b32 s14, exec_lo
	scratch_store_b32 off, v0, s32 offset:352 ; 4-byte Folded Spill
	v_mov_b32_e32 v0, 0
	scratch_store_b32 off, v0, s32 offset:624 ; 4-byte Folded Spill
	v_cmpx_lt_u64_e64 s[2:3], v[28:29]
	s_cbranch_execz .LBB311_75
; %bb.68:                               ;   in Loop: Header=BB311_11 Depth=1
	v_lshrrev_b32_e32 v8, 24, v29
	v_bfrev_b32_e32 v0, 1
	s_mov_b32 s15, exec_lo
	s_delay_alu instid0(VALU_DEP_2)
	v_cmpx_ne_u32_e32 0x80, v8
	s_cbranch_execz .LBB311_74
; %bb.69:                               ;   in Loop: Header=BB311_11 Depth=1
	v_and_b32_e32 v2, 0x7f, v8
	v_mov_b32_e32 v0, 0x7c010000
	s_mov_b32 s16, exec_lo
	s_delay_alu instid0(VALU_DEP_2)
	v_cmpx_ne_u32_e32 0x7f, v2
	s_cbranch_execz .LBB311_73
; %bb.70:                               ;   in Loop: Header=BB311_11 Depth=1
	v_and_b32_e32 v0, 7, v8
	v_lshrrev_b32_e32 v1, 3, v2
	s_mov_b32 s17, exec_lo
	v_cmpx_gt_u32_e32 8, v2
; %bb.71:                               ;   in Loop: Header=BB311_11 Depth=1
	s_delay_alu instid0(VALU_DEP_3) | instskip(NEXT) | instid1(VALU_DEP_1)
	v_clz_i32_u32_e32 v0, v0
	v_min_u32_e32 v2, 32, v0
	s_delay_alu instid0(VALU_DEP_1) | instskip(NEXT) | instid1(VALU_DEP_1)
	v_subrev_nc_u32_e32 v0, 28, v2
	v_lshlrev_b64_e32 v[0:1], v0, v[8:9]
	v_sub_nc_u32_e32 v1, 29, v2
	s_delay_alu instid0(VALU_DEP_2)
	v_and_b32_e32 v0, 7, v0
; %bb.72:                               ;   in Loop: Header=BB311_11 Depth=1
	s_wait_alu 0xfffe
	s_or_b32 exec_lo, exec_lo, s17
	v_lshlrev_b32_e32 v2, 8, v8
	v_lshl_add_u32 v1, v1, 10, 0x2000
	v_lshlrev_b32_e32 v0, 23, v0
	s_delay_alu instid0(VALU_DEP_2) | instskip(NEXT) | instid1(VALU_DEP_1)
	v_and_or_b32 v1, 0x8000, v2, v1
	v_lshl_or_b32 v0, v1, 16, v0
.LBB311_73:                             ;   in Loop: Header=BB311_11 Depth=1
	s_wait_alu 0xfffe
	s_or_b32 exec_lo, exec_lo, s16
.LBB311_74:                             ;   in Loop: Header=BB311_11 Depth=1
	s_wait_alu 0xfffe
	s_or_b32 exec_lo, exec_lo, s15
	scratch_store_b32 off, v0, s32 offset:624 ; 4-byte Folded Spill
.LBB311_75:                             ;   in Loop: Header=BB311_11 Depth=1
	s_wait_alu 0xfffe
	s_or_b32 exec_lo, exec_lo, s14
	flat_load_b64 v[28:29], v[20:21] offset:8
	s_mov_b32 s14, exec_lo
	s_wait_loadcnt_dscnt 0x0
	v_and_b32_e32 v0, 0xff, v28
	s_delay_alu instid0(VALU_DEP_1)
	v_cmpx_ne_u16_e32 0, v0
	s_cbranch_execz .LBB311_83
; %bb.76:                               ;   in Loop: Header=BB311_11 Depth=1
	v_cmp_ne_u16_e64 s1, 0x80, v0
	v_mov_b32_e32 v0, 0x8000
	scratch_store_b32 off, v0, s32 offset:352 ; 4-byte Folded Spill
	s_and_saveexec_b32 s15, s1
	s_cbranch_execz .LBB311_82
; %bb.77:                               ;   in Loop: Header=BB311_11 Depth=1
	v_and_b32_e32 v2, 0x7f, v28
	v_mov_b32_e32 v0, 0x7c01
	s_mov_b32 s16, exec_lo
	scratch_store_b32 off, v0, s32 offset:352 ; 4-byte Folded Spill
	v_cmpx_ne_u32_e32 0x7f, v2
	s_cbranch_execz .LBB311_81
; %bb.78:                               ;   in Loop: Header=BB311_11 Depth=1
	v_and_b32_e32 v0, 7, v28
	v_lshrrev_b32_e32 v1, 3, v2
	s_mov_b32 s17, exec_lo
	v_cmpx_gt_u32_e32 8, v2
; %bb.79:                               ;   in Loop: Header=BB311_11 Depth=1
	s_delay_alu instid0(VALU_DEP_3) | instskip(NEXT) | instid1(VALU_DEP_1)
	v_clz_i32_u32_e32 v0, v0
	v_min_u32_e32 v2, 32, v0
	s_delay_alu instid0(VALU_DEP_1) | instskip(NEXT) | instid1(VALU_DEP_1)
	v_subrev_nc_u32_e32 v0, 28, v2
	v_lshlrev_b64_e32 v[0:1], v0, v[28:29]
	v_sub_nc_u32_e32 v1, 29, v2
	s_delay_alu instid0(VALU_DEP_2)
	v_and_b32_e32 v0, 7, v0
; %bb.80:                               ;   in Loop: Header=BB311_11 Depth=1
	s_wait_alu 0xfffe
	s_or_b32 exec_lo, exec_lo, s17
	v_lshlrev_b32_e32 v2, 8, v28
	v_lshl_add_u32 v1, v1, 10, 0x2000
	v_lshlrev_b32_e32 v0, 7, v0
	s_delay_alu instid0(VALU_DEP_3) | instskip(NEXT) | instid1(VALU_DEP_3)
	v_and_b32_e32 v2, 0x8000, v2
	v_and_b32_e32 v1, 0xfc00, v1
	s_delay_alu instid0(VALU_DEP_1)
	v_or3_b32 v0, v2, v1, v0
	scratch_store_b32 off, v0, s32 offset:352 ; 4-byte Folded Spill
.LBB311_81:                             ;   in Loop: Header=BB311_11 Depth=1
	s_wait_alu 0xfffe
	s_or_b32 exec_lo, exec_lo, s16
.LBB311_82:                             ;   in Loop: Header=BB311_11 Depth=1
	s_wait_alu 0xfffe
	s_or_b32 exec_lo, exec_lo, s15
.LBB311_83:                             ;   in Loop: Header=BB311_11 Depth=1
	s_wait_alu 0xfffe
	s_or_b32 exec_lo, exec_lo, s14
	v_mov_b32_e32 v0, 0
	v_lshrrev_b16 v8, 8, v28
	s_mov_b32 s14, exec_lo
	scratch_store_b32 off, v0, s32 offset:360 ; 4-byte Folded Spill
	v_mov_b32_e32 v0, 0
	scratch_store_b32 off, v0, s32 offset:356 ; 4-byte Folded Spill
	v_cmpx_ne_u16_e32 0, v8
	s_cbranch_execz .LBB311_91
; %bb.84:                               ;   in Loop: Header=BB311_11 Depth=1
	v_bfrev_b32_e32 v0, 1
	s_mov_b32 s15, exec_lo
	scratch_store_b32 off, v0, s32 offset:356 ; 4-byte Folded Spill
	v_cmpx_ne_u16_e32 0x80, v8
	s_cbranch_execz .LBB311_90
; %bb.85:                               ;   in Loop: Header=BB311_11 Depth=1
	v_and_b32_e32 v0, 0xffff, v8
	v_mov_b32_e32 v1, 0x7c010000
	s_mov_b32 s16, exec_lo
	s_delay_alu instid0(VALU_DEP_2)
	v_and_b32_e32 v3, 0x7f, v0
	scratch_store_b32 off, v1, s32 offset:356 ; 4-byte Folded Spill
	v_cmpx_ne_u32_e32 0x7f, v3
	s_cbranch_execz .LBB311_89
; %bb.86:                               ;   in Loop: Header=BB311_11 Depth=1
	v_and_b32_e32 v1, 7, v0
	v_lshrrev_b32_e32 v2, 3, v3
	s_mov_b32 s17, exec_lo
	v_cmpx_gt_u32_e32 8, v3
; %bb.87:                               ;   in Loop: Header=BB311_11 Depth=1
	s_delay_alu instid0(VALU_DEP_3) | instskip(NEXT) | instid1(VALU_DEP_1)
	v_clz_i32_u32_e32 v1, v1
	v_min_u32_e32 v3, 32, v1
	s_delay_alu instid0(VALU_DEP_1) | instskip(NEXT) | instid1(VALU_DEP_1)
	v_subrev_nc_u32_e32 v1, 28, v3
	v_lshlrev_b64_e32 v[1:2], v1, v[8:9]
	v_sub_nc_u32_e32 v2, 29, v3
	s_delay_alu instid0(VALU_DEP_2)
	v_and_b32_e32 v1, 7, v1
; %bb.88:                               ;   in Loop: Header=BB311_11 Depth=1
	s_wait_alu 0xfffe
	s_or_b32 exec_lo, exec_lo, s17
	v_lshlrev_b32_e32 v0, 8, v0
	v_lshl_add_u32 v2, v2, 10, 0x2000
	v_lshlrev_b32_e32 v1, 23, v1
	s_delay_alu instid0(VALU_DEP_2) | instskip(NEXT) | instid1(VALU_DEP_1)
	v_and_or_b32 v0, 0x8000, v0, v2
	v_lshl_or_b32 v0, v0, 16, v1
	scratch_store_b32 off, v0, s32 offset:356 ; 4-byte Folded Spill
.LBB311_89:                             ;   in Loop: Header=BB311_11 Depth=1
	s_wait_alu 0xfffe
	s_or_b32 exec_lo, exec_lo, s16
.LBB311_90:                             ;   in Loop: Header=BB311_11 Depth=1
	s_wait_alu 0xfffe
	s_or_b32 exec_lo, exec_lo, s15
.LBB311_91:                             ;   in Loop: Header=BB311_11 Depth=1
	s_wait_alu 0xfffe
	s_or_b32 exec_lo, exec_lo, s14
	v_lshrrev_b32_e32 v8, 16, v28
	s_mov_b32 s14, exec_lo
	s_delay_alu instid0(VALU_DEP_1) | instskip(NEXT) | instid1(VALU_DEP_1)
	v_and_b32_e32 v0, 0xff, v8
	v_cmpx_ne_u16_e32 0, v0
	s_cbranch_execz .LBB311_99
; %bb.92:                               ;   in Loop: Header=BB311_11 Depth=1
	v_cmp_ne_u16_e64 s1, 0x80, v0
	v_mov_b32_e32 v0, 0x8000
	scratch_store_b32 off, v0, s32 offset:360 ; 4-byte Folded Spill
	s_and_saveexec_b32 s15, s1
	s_cbranch_execz .LBB311_98
; %bb.93:                               ;   in Loop: Header=BB311_11 Depth=1
	v_bfe_u32 v2, v28, 16, 7
	v_mov_b32_e32 v0, 0x7c01
	s_mov_b32 s16, exec_lo
	scratch_store_b32 off, v0, s32 offset:360 ; 4-byte Folded Spill
	v_cmpx_ne_u32_e32 0x7f, v2
	s_cbranch_execz .LBB311_97
; %bb.94:                               ;   in Loop: Header=BB311_11 Depth=1
	v_and_b32_e32 v0, 7, v8
	v_lshrrev_b32_e32 v1, 3, v2
	s_mov_b32 s17, exec_lo
	v_cmpx_gt_u32_e32 8, v2
; %bb.95:                               ;   in Loop: Header=BB311_11 Depth=1
	s_delay_alu instid0(VALU_DEP_3) | instskip(NEXT) | instid1(VALU_DEP_1)
	v_clz_i32_u32_e32 v0, v0
	v_min_u32_e32 v2, 32, v0
	s_delay_alu instid0(VALU_DEP_1) | instskip(NEXT) | instid1(VALU_DEP_1)
	v_subrev_nc_u32_e32 v0, 28, v2
	v_lshlrev_b64_e32 v[0:1], v0, v[8:9]
	v_sub_nc_u32_e32 v1, 29, v2
	s_delay_alu instid0(VALU_DEP_2)
	v_and_b32_e32 v0, 7, v0
; %bb.96:                               ;   in Loop: Header=BB311_11 Depth=1
	s_wait_alu 0xfffe
	s_or_b32 exec_lo, exec_lo, s17
	v_lshlrev_b32_e32 v2, 8, v8
	v_lshl_add_u32 v1, v1, 10, 0x2000
	v_lshlrev_b32_e32 v0, 7, v0
	s_delay_alu instid0(VALU_DEP_3) | instskip(NEXT) | instid1(VALU_DEP_3)
	v_and_b32_e32 v2, 0x8000, v2
	v_and_b32_e32 v1, 0xfc00, v1
	s_delay_alu instid0(VALU_DEP_1)
	v_or3_b32 v0, v2, v1, v0
	scratch_store_b32 off, v0, s32 offset:360 ; 4-byte Folded Spill
.LBB311_97:                             ;   in Loop: Header=BB311_11 Depth=1
	s_wait_alu 0xfffe
	s_or_b32 exec_lo, exec_lo, s16
.LBB311_98:                             ;   in Loop: Header=BB311_11 Depth=1
	s_wait_alu 0xfffe
	s_or_b32 exec_lo, exec_lo, s15
.LBB311_99:                             ;   in Loop: Header=BB311_11 Depth=1
	s_wait_alu 0xfffe
	s_or_b32 exec_lo, exec_lo, s14
	v_mov_b32_e32 v0, 0
	s_mov_b32 s14, exec_lo
	scratch_store_b32 off, v0, s32 offset:364 ; 4-byte Folded Spill
	v_mov_b32_e32 v0, 0
	scratch_store_b32 off, v0, s32 offset:368 ; 4-byte Folded Spill
	v_cmpx_lt_u32_e32 0xffffff, v28
	s_cbranch_execz .LBB311_107
; %bb.100:                              ;   in Loop: Header=BB311_11 Depth=1
	v_lshrrev_b32_e32 v8, 24, v28
	v_bfrev_b32_e32 v0, 1
	s_mov_b32 s15, exec_lo
	scratch_store_b32 off, v0, s32 offset:368 ; 4-byte Folded Spill
	v_cmpx_ne_u32_e32 0x80, v8
	s_cbranch_execz .LBB311_106
; %bb.101:                              ;   in Loop: Header=BB311_11 Depth=1
	v_and_b32_e32 v2, 0x7f, v8
	v_mov_b32_e32 v0, 0x7c010000
	s_mov_b32 s16, exec_lo
	scratch_store_b32 off, v0, s32 offset:368 ; 4-byte Folded Spill
	v_cmpx_ne_u32_e32 0x7f, v2
	s_cbranch_execz .LBB311_105
; %bb.102:                              ;   in Loop: Header=BB311_11 Depth=1
	v_and_b32_e32 v0, 7, v8
	v_lshrrev_b32_e32 v1, 3, v2
	s_mov_b32 s17, exec_lo
	v_cmpx_gt_u32_e32 8, v2
; %bb.103:                              ;   in Loop: Header=BB311_11 Depth=1
	s_delay_alu instid0(VALU_DEP_3) | instskip(NEXT) | instid1(VALU_DEP_1)
	v_clz_i32_u32_e32 v0, v0
	v_min_u32_e32 v2, 32, v0
	s_delay_alu instid0(VALU_DEP_1) | instskip(NEXT) | instid1(VALU_DEP_1)
	v_subrev_nc_u32_e32 v0, 28, v2
	v_lshlrev_b64_e32 v[0:1], v0, v[8:9]
	v_sub_nc_u32_e32 v1, 29, v2
	s_delay_alu instid0(VALU_DEP_2)
	v_and_b32_e32 v0, 7, v0
; %bb.104:                              ;   in Loop: Header=BB311_11 Depth=1
	s_wait_alu 0xfffe
	s_or_b32 exec_lo, exec_lo, s17
	v_lshlrev_b32_e32 v2, 8, v8
	v_lshl_add_u32 v1, v1, 10, 0x2000
	v_lshlrev_b32_e32 v0, 23, v0
	s_delay_alu instid0(VALU_DEP_2) | instskip(NEXT) | instid1(VALU_DEP_1)
	v_and_or_b32 v1, 0x8000, v2, v1
	v_lshl_or_b32 v0, v1, 16, v0
	scratch_store_b32 off, v0, s32 offset:368 ; 4-byte Folded Spill
.LBB311_105:                            ;   in Loop: Header=BB311_11 Depth=1
	s_wait_alu 0xfffe
	s_or_b32 exec_lo, exec_lo, s16
.LBB311_106:                            ;   in Loop: Header=BB311_11 Depth=1
	s_wait_alu 0xfffe
	s_or_b32 exec_lo, exec_lo, s15
.LBB311_107:                            ;   in Loop: Header=BB311_11 Depth=1
	s_wait_alu 0xfffe
	s_or_b32 exec_lo, exec_lo, s14
	v_and_b32_e32 v0, 0xff, v29
	v_mov_b32_e32 v8, v29
	s_mov_b32 s14, exec_lo
	s_delay_alu instid0(VALU_DEP_2)
	v_cmpx_ne_u16_e32 0, v0
	s_cbranch_execz .LBB311_115
; %bb.108:                              ;   in Loop: Header=BB311_11 Depth=1
	v_cmp_ne_u16_e64 s1, 0x80, v0
	v_mov_b32_e32 v0, 0x8000
	scratch_store_b32 off, v0, s32 offset:364 ; 4-byte Folded Spill
	s_and_saveexec_b32 s15, s1
	s_cbranch_execz .LBB311_114
; %bb.109:                              ;   in Loop: Header=BB311_11 Depth=1
	v_and_b32_e32 v2, 0x7f, v29
	v_mov_b32_e32 v0, 0x7c01
	s_mov_b32 s16, exec_lo
	scratch_store_b32 off, v0, s32 offset:364 ; 4-byte Folded Spill
	v_cmpx_ne_u32_e32 0x7f, v2
	s_cbranch_execz .LBB311_113
; %bb.110:                              ;   in Loop: Header=BB311_11 Depth=1
	v_and_b32_e32 v0, 7, v29
	v_lshrrev_b32_e32 v1, 3, v2
	s_mov_b32 s17, exec_lo
	v_cmpx_gt_u32_e32 8, v2
; %bb.111:                              ;   in Loop: Header=BB311_11 Depth=1
	s_delay_alu instid0(VALU_DEP_3) | instskip(NEXT) | instid1(VALU_DEP_1)
	v_clz_i32_u32_e32 v0, v0
	v_min_u32_e32 v2, 32, v0
	s_delay_alu instid0(VALU_DEP_1) | instskip(NEXT) | instid1(VALU_DEP_1)
	v_subrev_nc_u32_e32 v0, 28, v2
	v_lshlrev_b64_e32 v[0:1], v0, v[8:9]
	v_sub_nc_u32_e32 v1, 29, v2
	s_delay_alu instid0(VALU_DEP_2)
	v_and_b32_e32 v0, 7, v0
; %bb.112:                              ;   in Loop: Header=BB311_11 Depth=1
	s_wait_alu 0xfffe
	s_or_b32 exec_lo, exec_lo, s17
	v_lshlrev_b32_e32 v2, 8, v29
	v_lshl_add_u32 v1, v1, 10, 0x2000
	v_lshlrev_b32_e32 v0, 7, v0
	s_delay_alu instid0(VALU_DEP_3) | instskip(NEXT) | instid1(VALU_DEP_3)
	v_and_b32_e32 v2, 0x8000, v2
	v_and_b32_e32 v1, 0xfc00, v1
	s_delay_alu instid0(VALU_DEP_1)
	v_or3_b32 v0, v2, v1, v0
	scratch_store_b32 off, v0, s32 offset:364 ; 4-byte Folded Spill
.LBB311_113:                            ;   in Loop: Header=BB311_11 Depth=1
	s_wait_alu 0xfffe
	s_or_b32 exec_lo, exec_lo, s16
.LBB311_114:                            ;   in Loop: Header=BB311_11 Depth=1
	s_wait_alu 0xfffe
	s_or_b32 exec_lo, exec_lo, s15
.LBB311_115:                            ;   in Loop: Header=BB311_11 Depth=1
	s_wait_alu 0xfffe
	s_or_b32 exec_lo, exec_lo, s14
	v_mov_b32_e32 v0, 0
	v_lshrrev_b16 v8, 8, v8
	s_mov_b32 s14, exec_lo
	scratch_store_b32 off, v0, s32 offset:372 ; 4-byte Folded Spill
	v_mov_b32_e32 v0, 0
	scratch_store_b32 off, v0, s32 offset:376 ; 4-byte Folded Spill
	v_cmpx_ne_u16_e32 0, v8
	s_cbranch_execz .LBB311_123
; %bb.116:                              ;   in Loop: Header=BB311_11 Depth=1
	v_bfrev_b32_e32 v0, 1
	s_mov_b32 s15, exec_lo
	scratch_store_b32 off, v0, s32 offset:376 ; 4-byte Folded Spill
	v_cmpx_ne_u16_e32 0x80, v8
	s_cbranch_execz .LBB311_122
; %bb.117:                              ;   in Loop: Header=BB311_11 Depth=1
	v_and_b32_e32 v0, 0xffff, v8
	v_mov_b32_e32 v1, 0x7c010000
	s_mov_b32 s16, exec_lo
	s_delay_alu instid0(VALU_DEP_2)
	v_and_b32_e32 v3, 0x7f, v0
	scratch_store_b32 off, v1, s32 offset:376 ; 4-byte Folded Spill
	v_cmpx_ne_u32_e32 0x7f, v3
	s_cbranch_execz .LBB311_121
; %bb.118:                              ;   in Loop: Header=BB311_11 Depth=1
	v_and_b32_e32 v1, 7, v0
	v_lshrrev_b32_e32 v2, 3, v3
	s_mov_b32 s17, exec_lo
	v_cmpx_gt_u32_e32 8, v3
; %bb.119:                              ;   in Loop: Header=BB311_11 Depth=1
	s_delay_alu instid0(VALU_DEP_3) | instskip(NEXT) | instid1(VALU_DEP_1)
	v_clz_i32_u32_e32 v1, v1
	v_min_u32_e32 v3, 32, v1
	s_delay_alu instid0(VALU_DEP_1) | instskip(NEXT) | instid1(VALU_DEP_1)
	v_subrev_nc_u32_e32 v1, 28, v3
	v_lshlrev_b64_e32 v[1:2], v1, v[8:9]
	v_sub_nc_u32_e32 v2, 29, v3
	s_delay_alu instid0(VALU_DEP_2)
	v_and_b32_e32 v1, 7, v1
; %bb.120:                              ;   in Loop: Header=BB311_11 Depth=1
	s_wait_alu 0xfffe
	s_or_b32 exec_lo, exec_lo, s17
	v_lshlrev_b32_e32 v0, 8, v0
	v_lshl_add_u32 v2, v2, 10, 0x2000
	v_lshlrev_b32_e32 v1, 23, v1
	s_delay_alu instid0(VALU_DEP_2) | instskip(NEXT) | instid1(VALU_DEP_1)
	v_and_or_b32 v0, 0x8000, v0, v2
	v_lshl_or_b32 v0, v0, 16, v1
	scratch_store_b32 off, v0, s32 offset:376 ; 4-byte Folded Spill
.LBB311_121:                            ;   in Loop: Header=BB311_11 Depth=1
	s_wait_alu 0xfffe
	s_or_b32 exec_lo, exec_lo, s16
.LBB311_122:                            ;   in Loop: Header=BB311_11 Depth=1
	s_wait_alu 0xfffe
	s_or_b32 exec_lo, exec_lo, s15
.LBB311_123:                            ;   in Loop: Header=BB311_11 Depth=1
	s_wait_alu 0xfffe
	s_or_b32 exec_lo, exec_lo, s14
	v_lshrrev_b32_e32 v8, 16, v29
	s_mov_b32 s14, exec_lo
	s_delay_alu instid0(VALU_DEP_1) | instskip(NEXT) | instid1(VALU_DEP_1)
	v_and_b32_e32 v0, 0xff, v8
	v_cmpx_ne_u16_e32 0, v0
	s_cbranch_execz .LBB311_131
; %bb.124:                              ;   in Loop: Header=BB311_11 Depth=1
	v_cmp_ne_u16_e64 s1, 0x80, v0
	v_mov_b32_e32 v0, 0x8000
	scratch_store_b32 off, v0, s32 offset:372 ; 4-byte Folded Spill
	s_and_saveexec_b32 s15, s1
	s_cbranch_execz .LBB311_130
; %bb.125:                              ;   in Loop: Header=BB311_11 Depth=1
	v_bfe_u32 v2, v29, 16, 7
	v_mov_b32_e32 v0, 0x7c01
	s_mov_b32 s16, exec_lo
	scratch_store_b32 off, v0, s32 offset:372 ; 4-byte Folded Spill
	v_cmpx_ne_u32_e32 0x7f, v2
	s_cbranch_execz .LBB311_129
; %bb.126:                              ;   in Loop: Header=BB311_11 Depth=1
	v_and_b32_e32 v0, 7, v8
	v_lshrrev_b32_e32 v1, 3, v2
	s_mov_b32 s17, exec_lo
	v_cmpx_gt_u32_e32 8, v2
; %bb.127:                              ;   in Loop: Header=BB311_11 Depth=1
	s_delay_alu instid0(VALU_DEP_3) | instskip(NEXT) | instid1(VALU_DEP_1)
	v_clz_i32_u32_e32 v0, v0
	v_min_u32_e32 v2, 32, v0
	s_delay_alu instid0(VALU_DEP_1) | instskip(NEXT) | instid1(VALU_DEP_1)
	v_subrev_nc_u32_e32 v0, 28, v2
	v_lshlrev_b64_e32 v[0:1], v0, v[8:9]
	v_sub_nc_u32_e32 v1, 29, v2
	s_delay_alu instid0(VALU_DEP_2)
	v_and_b32_e32 v0, 7, v0
; %bb.128:                              ;   in Loop: Header=BB311_11 Depth=1
	s_wait_alu 0xfffe
	s_or_b32 exec_lo, exec_lo, s17
	v_lshlrev_b32_e32 v2, 8, v8
	v_lshl_add_u32 v1, v1, 10, 0x2000
	v_lshlrev_b32_e32 v0, 7, v0
	s_delay_alu instid0(VALU_DEP_3) | instskip(NEXT) | instid1(VALU_DEP_3)
	v_and_b32_e32 v2, 0x8000, v2
	v_and_b32_e32 v1, 0xfc00, v1
	s_delay_alu instid0(VALU_DEP_1)
	v_or3_b32 v0, v2, v1, v0
	scratch_store_b32 off, v0, s32 offset:372 ; 4-byte Folded Spill
.LBB311_129:                            ;   in Loop: Header=BB311_11 Depth=1
	s_wait_alu 0xfffe
	s_or_b32 exec_lo, exec_lo, s16
.LBB311_130:                            ;   in Loop: Header=BB311_11 Depth=1
	s_wait_alu 0xfffe
	s_or_b32 exec_lo, exec_lo, s15
.LBB311_131:                            ;   in Loop: Header=BB311_11 Depth=1
	s_wait_alu 0xfffe
	s_or_b32 exec_lo, exec_lo, s14
	v_mov_b32_e32 v0, 0
	s_mov_b32 s14, exec_lo
	scratch_store_b32 off, v0, s32 offset:380 ; 4-byte Folded Spill
	v_mov_b32_e32 v0, 0
	scratch_store_b32 off, v0, s32 offset:628 ; 4-byte Folded Spill
	v_cmpx_lt_u64_e64 s[2:3], v[28:29]
	s_cbranch_execz .LBB311_139
; %bb.132:                              ;   in Loop: Header=BB311_11 Depth=1
	v_lshrrev_b32_e32 v8, 24, v29
	v_bfrev_b32_e32 v0, 1
	s_mov_b32 s15, exec_lo
	s_delay_alu instid0(VALU_DEP_2)
	v_cmpx_ne_u32_e32 0x80, v8
	s_cbranch_execz .LBB311_138
; %bb.133:                              ;   in Loop: Header=BB311_11 Depth=1
	v_and_b32_e32 v2, 0x7f, v8
	v_mov_b32_e32 v0, 0x7c010000
	s_mov_b32 s16, exec_lo
	s_delay_alu instid0(VALU_DEP_2)
	v_cmpx_ne_u32_e32 0x7f, v2
	s_cbranch_execz .LBB311_137
; %bb.134:                              ;   in Loop: Header=BB311_11 Depth=1
	v_and_b32_e32 v0, 7, v8
	v_lshrrev_b32_e32 v1, 3, v2
	s_mov_b32 s17, exec_lo
	v_cmpx_gt_u32_e32 8, v2
; %bb.135:                              ;   in Loop: Header=BB311_11 Depth=1
	s_delay_alu instid0(VALU_DEP_3) | instskip(NEXT) | instid1(VALU_DEP_1)
	v_clz_i32_u32_e32 v0, v0
	v_min_u32_e32 v2, 32, v0
	s_delay_alu instid0(VALU_DEP_1) | instskip(NEXT) | instid1(VALU_DEP_1)
	v_subrev_nc_u32_e32 v0, 28, v2
	v_lshlrev_b64_e32 v[0:1], v0, v[8:9]
	v_sub_nc_u32_e32 v1, 29, v2
	s_delay_alu instid0(VALU_DEP_2)
	v_and_b32_e32 v0, 7, v0
; %bb.136:                              ;   in Loop: Header=BB311_11 Depth=1
	s_wait_alu 0xfffe
	s_or_b32 exec_lo, exec_lo, s17
	v_lshlrev_b32_e32 v2, 8, v8
	v_lshl_add_u32 v1, v1, 10, 0x2000
	v_lshlrev_b32_e32 v0, 23, v0
	s_delay_alu instid0(VALU_DEP_2) | instskip(NEXT) | instid1(VALU_DEP_1)
	v_and_or_b32 v1, 0x8000, v2, v1
	v_lshl_or_b32 v0, v1, 16, v0
.LBB311_137:                            ;   in Loop: Header=BB311_11 Depth=1
	s_wait_alu 0xfffe
	s_or_b32 exec_lo, exec_lo, s16
.LBB311_138:                            ;   in Loop: Header=BB311_11 Depth=1
	s_wait_alu 0xfffe
	s_or_b32 exec_lo, exec_lo, s15
	scratch_store_b32 off, v0, s32 offset:628 ; 4-byte Folded Spill
.LBB311_139:                            ;   in Loop: Header=BB311_11 Depth=1
	s_wait_alu 0xfffe
	s_or_b32 exec_lo, exec_lo, s14
	flat_load_b64 v[28:29], v[20:21] offset:512
	s_mov_b32 s14, exec_lo
	s_wait_loadcnt_dscnt 0x0
	v_and_b32_e32 v0, 0xff, v28
	s_delay_alu instid0(VALU_DEP_1)
	v_cmpx_ne_u16_e32 0, v0
	s_cbranch_execz .LBB311_147
; %bb.140:                              ;   in Loop: Header=BB311_11 Depth=1
	v_cmp_ne_u16_e64 s1, 0x80, v0
	v_mov_b32_e32 v0, 0x8000
	scratch_store_b32 off, v0, s32 offset:380 ; 4-byte Folded Spill
	s_and_saveexec_b32 s15, s1
	s_cbranch_execz .LBB311_146
; %bb.141:                              ;   in Loop: Header=BB311_11 Depth=1
	v_and_b32_e32 v2, 0x7f, v28
	v_mov_b32_e32 v0, 0x7c01
	s_mov_b32 s16, exec_lo
	scratch_store_b32 off, v0, s32 offset:380 ; 4-byte Folded Spill
	v_cmpx_ne_u32_e32 0x7f, v2
	s_cbranch_execz .LBB311_145
; %bb.142:                              ;   in Loop: Header=BB311_11 Depth=1
	v_and_b32_e32 v0, 7, v28
	v_lshrrev_b32_e32 v1, 3, v2
	s_mov_b32 s17, exec_lo
	v_cmpx_gt_u32_e32 8, v2
; %bb.143:                              ;   in Loop: Header=BB311_11 Depth=1
	s_delay_alu instid0(VALU_DEP_3) | instskip(NEXT) | instid1(VALU_DEP_1)
	v_clz_i32_u32_e32 v0, v0
	v_min_u32_e32 v2, 32, v0
	s_delay_alu instid0(VALU_DEP_1) | instskip(NEXT) | instid1(VALU_DEP_1)
	v_subrev_nc_u32_e32 v0, 28, v2
	v_lshlrev_b64_e32 v[0:1], v0, v[28:29]
	v_sub_nc_u32_e32 v1, 29, v2
	s_delay_alu instid0(VALU_DEP_2)
	v_and_b32_e32 v0, 7, v0
; %bb.144:                              ;   in Loop: Header=BB311_11 Depth=1
	s_wait_alu 0xfffe
	s_or_b32 exec_lo, exec_lo, s17
	v_lshlrev_b32_e32 v2, 8, v28
	v_lshl_add_u32 v1, v1, 10, 0x2000
	v_lshlrev_b32_e32 v0, 7, v0
	s_delay_alu instid0(VALU_DEP_3) | instskip(NEXT) | instid1(VALU_DEP_3)
	v_and_b32_e32 v2, 0x8000, v2
	v_and_b32_e32 v1, 0xfc00, v1
	s_delay_alu instid0(VALU_DEP_1)
	v_or3_b32 v0, v2, v1, v0
	scratch_store_b32 off, v0, s32 offset:380 ; 4-byte Folded Spill
.LBB311_145:                            ;   in Loop: Header=BB311_11 Depth=1
	s_wait_alu 0xfffe
	s_or_b32 exec_lo, exec_lo, s16
.LBB311_146:                            ;   in Loop: Header=BB311_11 Depth=1
	s_wait_alu 0xfffe
	s_or_b32 exec_lo, exec_lo, s15
.LBB311_147:                            ;   in Loop: Header=BB311_11 Depth=1
	s_wait_alu 0xfffe
	s_or_b32 exec_lo, exec_lo, s14
	v_mov_b32_e32 v0, 0
	v_lshrrev_b16 v8, 8, v28
	s_mov_b32 s14, exec_lo
	scratch_store_b32 off, v0, s32 offset:388 ; 4-byte Folded Spill
	v_mov_b32_e32 v0, 0
	scratch_store_b32 off, v0, s32 offset:384 ; 4-byte Folded Spill
	v_cmpx_ne_u16_e32 0, v8
	s_cbranch_execz .LBB311_155
; %bb.148:                              ;   in Loop: Header=BB311_11 Depth=1
	v_bfrev_b32_e32 v0, 1
	s_mov_b32 s15, exec_lo
	scratch_store_b32 off, v0, s32 offset:384 ; 4-byte Folded Spill
	v_cmpx_ne_u16_e32 0x80, v8
	s_cbranch_execz .LBB311_154
; %bb.149:                              ;   in Loop: Header=BB311_11 Depth=1
	v_and_b32_e32 v0, 0xffff, v8
	v_mov_b32_e32 v1, 0x7c010000
	s_mov_b32 s16, exec_lo
	s_delay_alu instid0(VALU_DEP_2)
	v_and_b32_e32 v3, 0x7f, v0
	scratch_store_b32 off, v1, s32 offset:384 ; 4-byte Folded Spill
	v_cmpx_ne_u32_e32 0x7f, v3
	s_cbranch_execz .LBB311_153
; %bb.150:                              ;   in Loop: Header=BB311_11 Depth=1
	v_and_b32_e32 v1, 7, v0
	v_lshrrev_b32_e32 v2, 3, v3
	s_mov_b32 s17, exec_lo
	v_cmpx_gt_u32_e32 8, v3
; %bb.151:                              ;   in Loop: Header=BB311_11 Depth=1
	s_delay_alu instid0(VALU_DEP_3) | instskip(NEXT) | instid1(VALU_DEP_1)
	v_clz_i32_u32_e32 v1, v1
	v_min_u32_e32 v3, 32, v1
	s_delay_alu instid0(VALU_DEP_1) | instskip(NEXT) | instid1(VALU_DEP_1)
	v_subrev_nc_u32_e32 v1, 28, v3
	v_lshlrev_b64_e32 v[1:2], v1, v[8:9]
	v_sub_nc_u32_e32 v2, 29, v3
	s_delay_alu instid0(VALU_DEP_2)
	v_and_b32_e32 v1, 7, v1
; %bb.152:                              ;   in Loop: Header=BB311_11 Depth=1
	s_wait_alu 0xfffe
	s_or_b32 exec_lo, exec_lo, s17
	v_lshlrev_b32_e32 v0, 8, v0
	v_lshl_add_u32 v2, v2, 10, 0x2000
	v_lshlrev_b32_e32 v1, 23, v1
	s_delay_alu instid0(VALU_DEP_2) | instskip(NEXT) | instid1(VALU_DEP_1)
	v_and_or_b32 v0, 0x8000, v0, v2
	v_lshl_or_b32 v0, v0, 16, v1
	scratch_store_b32 off, v0, s32 offset:384 ; 4-byte Folded Spill
.LBB311_153:                            ;   in Loop: Header=BB311_11 Depth=1
	s_wait_alu 0xfffe
	s_or_b32 exec_lo, exec_lo, s16
.LBB311_154:                            ;   in Loop: Header=BB311_11 Depth=1
	s_wait_alu 0xfffe
	s_or_b32 exec_lo, exec_lo, s15
.LBB311_155:                            ;   in Loop: Header=BB311_11 Depth=1
	s_wait_alu 0xfffe
	s_or_b32 exec_lo, exec_lo, s14
	v_lshrrev_b32_e32 v8, 16, v28
	s_mov_b32 s14, exec_lo
	s_delay_alu instid0(VALU_DEP_1) | instskip(NEXT) | instid1(VALU_DEP_1)
	v_and_b32_e32 v0, 0xff, v8
	v_cmpx_ne_u16_e32 0, v0
	s_cbranch_execz .LBB311_163
; %bb.156:                              ;   in Loop: Header=BB311_11 Depth=1
	v_cmp_ne_u16_e64 s1, 0x80, v0
	v_mov_b32_e32 v0, 0x8000
	scratch_store_b32 off, v0, s32 offset:388 ; 4-byte Folded Spill
	s_and_saveexec_b32 s15, s1
	s_cbranch_execz .LBB311_162
; %bb.157:                              ;   in Loop: Header=BB311_11 Depth=1
	v_bfe_u32 v2, v28, 16, 7
	v_mov_b32_e32 v0, 0x7c01
	s_mov_b32 s16, exec_lo
	scratch_store_b32 off, v0, s32 offset:388 ; 4-byte Folded Spill
	v_cmpx_ne_u32_e32 0x7f, v2
	s_cbranch_execz .LBB311_161
; %bb.158:                              ;   in Loop: Header=BB311_11 Depth=1
	v_and_b32_e32 v0, 7, v8
	v_lshrrev_b32_e32 v1, 3, v2
	s_mov_b32 s17, exec_lo
	v_cmpx_gt_u32_e32 8, v2
; %bb.159:                              ;   in Loop: Header=BB311_11 Depth=1
	s_delay_alu instid0(VALU_DEP_3) | instskip(NEXT) | instid1(VALU_DEP_1)
	v_clz_i32_u32_e32 v0, v0
	v_min_u32_e32 v2, 32, v0
	s_delay_alu instid0(VALU_DEP_1) | instskip(NEXT) | instid1(VALU_DEP_1)
	v_subrev_nc_u32_e32 v0, 28, v2
	v_lshlrev_b64_e32 v[0:1], v0, v[8:9]
	v_sub_nc_u32_e32 v1, 29, v2
	s_delay_alu instid0(VALU_DEP_2)
	v_and_b32_e32 v0, 7, v0
; %bb.160:                              ;   in Loop: Header=BB311_11 Depth=1
	s_wait_alu 0xfffe
	s_or_b32 exec_lo, exec_lo, s17
	v_lshlrev_b32_e32 v2, 8, v8
	v_lshl_add_u32 v1, v1, 10, 0x2000
	v_lshlrev_b32_e32 v0, 7, v0
	s_delay_alu instid0(VALU_DEP_3) | instskip(NEXT) | instid1(VALU_DEP_3)
	v_and_b32_e32 v2, 0x8000, v2
	v_and_b32_e32 v1, 0xfc00, v1
	s_delay_alu instid0(VALU_DEP_1)
	v_or3_b32 v0, v2, v1, v0
	scratch_store_b32 off, v0, s32 offset:388 ; 4-byte Folded Spill
.LBB311_161:                            ;   in Loop: Header=BB311_11 Depth=1
	s_wait_alu 0xfffe
	s_or_b32 exec_lo, exec_lo, s16
.LBB311_162:                            ;   in Loop: Header=BB311_11 Depth=1
	s_wait_alu 0xfffe
	s_or_b32 exec_lo, exec_lo, s15
.LBB311_163:                            ;   in Loop: Header=BB311_11 Depth=1
	s_wait_alu 0xfffe
	s_or_b32 exec_lo, exec_lo, s14
	v_mov_b32_e32 v0, 0
	s_mov_b32 s14, exec_lo
	scratch_store_b32 off, v0, s32 offset:392 ; 4-byte Folded Spill
	v_mov_b32_e32 v0, 0
	scratch_store_b32 off, v0, s32 offset:396 ; 4-byte Folded Spill
	v_cmpx_lt_u32_e32 0xffffff, v28
	s_cbranch_execz .LBB311_171
; %bb.164:                              ;   in Loop: Header=BB311_11 Depth=1
	v_lshrrev_b32_e32 v8, 24, v28
	v_bfrev_b32_e32 v0, 1
	s_mov_b32 s15, exec_lo
	scratch_store_b32 off, v0, s32 offset:396 ; 4-byte Folded Spill
	v_cmpx_ne_u32_e32 0x80, v8
	s_cbranch_execz .LBB311_170
; %bb.165:                              ;   in Loop: Header=BB311_11 Depth=1
	v_and_b32_e32 v2, 0x7f, v8
	v_mov_b32_e32 v0, 0x7c010000
	s_mov_b32 s16, exec_lo
	scratch_store_b32 off, v0, s32 offset:396 ; 4-byte Folded Spill
	v_cmpx_ne_u32_e32 0x7f, v2
	s_cbranch_execz .LBB311_169
; %bb.166:                              ;   in Loop: Header=BB311_11 Depth=1
	v_and_b32_e32 v0, 7, v8
	v_lshrrev_b32_e32 v1, 3, v2
	s_mov_b32 s17, exec_lo
	v_cmpx_gt_u32_e32 8, v2
; %bb.167:                              ;   in Loop: Header=BB311_11 Depth=1
	s_delay_alu instid0(VALU_DEP_3) | instskip(NEXT) | instid1(VALU_DEP_1)
	v_clz_i32_u32_e32 v0, v0
	v_min_u32_e32 v2, 32, v0
	s_delay_alu instid0(VALU_DEP_1) | instskip(NEXT) | instid1(VALU_DEP_1)
	v_subrev_nc_u32_e32 v0, 28, v2
	v_lshlrev_b64_e32 v[0:1], v0, v[8:9]
	v_sub_nc_u32_e32 v1, 29, v2
	s_delay_alu instid0(VALU_DEP_2)
	v_and_b32_e32 v0, 7, v0
; %bb.168:                              ;   in Loop: Header=BB311_11 Depth=1
	s_wait_alu 0xfffe
	s_or_b32 exec_lo, exec_lo, s17
	v_lshlrev_b32_e32 v2, 8, v8
	v_lshl_add_u32 v1, v1, 10, 0x2000
	v_lshlrev_b32_e32 v0, 23, v0
	s_delay_alu instid0(VALU_DEP_2) | instskip(NEXT) | instid1(VALU_DEP_1)
	v_and_or_b32 v1, 0x8000, v2, v1
	v_lshl_or_b32 v0, v1, 16, v0
	scratch_store_b32 off, v0, s32 offset:396 ; 4-byte Folded Spill
.LBB311_169:                            ;   in Loop: Header=BB311_11 Depth=1
	s_wait_alu 0xfffe
	s_or_b32 exec_lo, exec_lo, s16
.LBB311_170:                            ;   in Loop: Header=BB311_11 Depth=1
	s_wait_alu 0xfffe
	s_or_b32 exec_lo, exec_lo, s15
.LBB311_171:                            ;   in Loop: Header=BB311_11 Depth=1
	s_wait_alu 0xfffe
	s_or_b32 exec_lo, exec_lo, s14
	v_and_b32_e32 v0, 0xff, v29
	v_mov_b32_e32 v8, v29
	s_mov_b32 s14, exec_lo
	s_delay_alu instid0(VALU_DEP_2)
	v_cmpx_ne_u16_e32 0, v0
	s_cbranch_execz .LBB311_179
; %bb.172:                              ;   in Loop: Header=BB311_11 Depth=1
	v_cmp_ne_u16_e64 s1, 0x80, v0
	v_mov_b32_e32 v0, 0x8000
	scratch_store_b32 off, v0, s32 offset:392 ; 4-byte Folded Spill
	s_and_saveexec_b32 s15, s1
	s_cbranch_execz .LBB311_178
; %bb.173:                              ;   in Loop: Header=BB311_11 Depth=1
	v_and_b32_e32 v2, 0x7f, v29
	v_mov_b32_e32 v0, 0x7c01
	s_mov_b32 s16, exec_lo
	scratch_store_b32 off, v0, s32 offset:392 ; 4-byte Folded Spill
	v_cmpx_ne_u32_e32 0x7f, v2
	s_cbranch_execz .LBB311_177
; %bb.174:                              ;   in Loop: Header=BB311_11 Depth=1
	v_and_b32_e32 v0, 7, v29
	v_lshrrev_b32_e32 v1, 3, v2
	s_mov_b32 s17, exec_lo
	v_cmpx_gt_u32_e32 8, v2
; %bb.175:                              ;   in Loop: Header=BB311_11 Depth=1
	s_delay_alu instid0(VALU_DEP_3) | instskip(NEXT) | instid1(VALU_DEP_1)
	v_clz_i32_u32_e32 v0, v0
	v_min_u32_e32 v2, 32, v0
	s_delay_alu instid0(VALU_DEP_1) | instskip(NEXT) | instid1(VALU_DEP_1)
	v_subrev_nc_u32_e32 v0, 28, v2
	v_lshlrev_b64_e32 v[0:1], v0, v[8:9]
	v_sub_nc_u32_e32 v1, 29, v2
	s_delay_alu instid0(VALU_DEP_2)
	v_and_b32_e32 v0, 7, v0
; %bb.176:                              ;   in Loop: Header=BB311_11 Depth=1
	s_wait_alu 0xfffe
	s_or_b32 exec_lo, exec_lo, s17
	v_lshlrev_b32_e32 v2, 8, v29
	v_lshl_add_u32 v1, v1, 10, 0x2000
	v_lshlrev_b32_e32 v0, 7, v0
	s_delay_alu instid0(VALU_DEP_3) | instskip(NEXT) | instid1(VALU_DEP_3)
	v_and_b32_e32 v2, 0x8000, v2
	v_and_b32_e32 v1, 0xfc00, v1
	s_delay_alu instid0(VALU_DEP_1)
	v_or3_b32 v0, v2, v1, v0
	scratch_store_b32 off, v0, s32 offset:392 ; 4-byte Folded Spill
.LBB311_177:                            ;   in Loop: Header=BB311_11 Depth=1
	s_wait_alu 0xfffe
	s_or_b32 exec_lo, exec_lo, s16
.LBB311_178:                            ;   in Loop: Header=BB311_11 Depth=1
	s_wait_alu 0xfffe
	s_or_b32 exec_lo, exec_lo, s15
.LBB311_179:                            ;   in Loop: Header=BB311_11 Depth=1
	s_wait_alu 0xfffe
	s_or_b32 exec_lo, exec_lo, s14
	v_mov_b32_e32 v0, 0
	v_lshrrev_b16 v8, 8, v8
	s_mov_b32 s14, exec_lo
	scratch_store_b32 off, v0, s32 offset:400 ; 4-byte Folded Spill
	v_mov_b32_e32 v0, 0
	scratch_store_b32 off, v0, s32 offset:404 ; 4-byte Folded Spill
	v_cmpx_ne_u16_e32 0, v8
	s_cbranch_execz .LBB311_187
; %bb.180:                              ;   in Loop: Header=BB311_11 Depth=1
	v_bfrev_b32_e32 v0, 1
	s_mov_b32 s15, exec_lo
	scratch_store_b32 off, v0, s32 offset:404 ; 4-byte Folded Spill
	v_cmpx_ne_u16_e32 0x80, v8
	s_cbranch_execz .LBB311_186
; %bb.181:                              ;   in Loop: Header=BB311_11 Depth=1
	v_and_b32_e32 v0, 0xffff, v8
	v_mov_b32_e32 v1, 0x7c010000
	s_mov_b32 s16, exec_lo
	s_delay_alu instid0(VALU_DEP_2)
	v_and_b32_e32 v3, 0x7f, v0
	scratch_store_b32 off, v1, s32 offset:404 ; 4-byte Folded Spill
	v_cmpx_ne_u32_e32 0x7f, v3
	s_cbranch_execz .LBB311_185
; %bb.182:                              ;   in Loop: Header=BB311_11 Depth=1
	v_and_b32_e32 v1, 7, v0
	v_lshrrev_b32_e32 v2, 3, v3
	s_mov_b32 s17, exec_lo
	v_cmpx_gt_u32_e32 8, v3
; %bb.183:                              ;   in Loop: Header=BB311_11 Depth=1
	s_delay_alu instid0(VALU_DEP_3) | instskip(NEXT) | instid1(VALU_DEP_1)
	v_clz_i32_u32_e32 v1, v1
	v_min_u32_e32 v3, 32, v1
	s_delay_alu instid0(VALU_DEP_1) | instskip(NEXT) | instid1(VALU_DEP_1)
	v_subrev_nc_u32_e32 v1, 28, v3
	v_lshlrev_b64_e32 v[1:2], v1, v[8:9]
	v_sub_nc_u32_e32 v2, 29, v3
	s_delay_alu instid0(VALU_DEP_2)
	v_and_b32_e32 v1, 7, v1
; %bb.184:                              ;   in Loop: Header=BB311_11 Depth=1
	s_wait_alu 0xfffe
	s_or_b32 exec_lo, exec_lo, s17
	v_lshlrev_b32_e32 v0, 8, v0
	v_lshl_add_u32 v2, v2, 10, 0x2000
	v_lshlrev_b32_e32 v1, 23, v1
	s_delay_alu instid0(VALU_DEP_2) | instskip(NEXT) | instid1(VALU_DEP_1)
	v_and_or_b32 v0, 0x8000, v0, v2
	v_lshl_or_b32 v0, v0, 16, v1
	scratch_store_b32 off, v0, s32 offset:404 ; 4-byte Folded Spill
.LBB311_185:                            ;   in Loop: Header=BB311_11 Depth=1
	s_wait_alu 0xfffe
	s_or_b32 exec_lo, exec_lo, s16
.LBB311_186:                            ;   in Loop: Header=BB311_11 Depth=1
	s_wait_alu 0xfffe
	s_or_b32 exec_lo, exec_lo, s15
.LBB311_187:                            ;   in Loop: Header=BB311_11 Depth=1
	s_wait_alu 0xfffe
	s_or_b32 exec_lo, exec_lo, s14
	v_lshrrev_b32_e32 v8, 16, v29
	s_mov_b32 s14, exec_lo
	s_delay_alu instid0(VALU_DEP_1) | instskip(NEXT) | instid1(VALU_DEP_1)
	v_and_b32_e32 v0, 0xff, v8
	v_cmpx_ne_u16_e32 0, v0
	s_cbranch_execz .LBB311_195
; %bb.188:                              ;   in Loop: Header=BB311_11 Depth=1
	v_cmp_ne_u16_e64 s1, 0x80, v0
	v_mov_b32_e32 v0, 0x8000
	scratch_store_b32 off, v0, s32 offset:400 ; 4-byte Folded Spill
	s_and_saveexec_b32 s15, s1
	s_cbranch_execz .LBB311_194
; %bb.189:                              ;   in Loop: Header=BB311_11 Depth=1
	v_bfe_u32 v2, v29, 16, 7
	v_mov_b32_e32 v0, 0x7c01
	s_mov_b32 s16, exec_lo
	scratch_store_b32 off, v0, s32 offset:400 ; 4-byte Folded Spill
	v_cmpx_ne_u32_e32 0x7f, v2
	s_cbranch_execz .LBB311_193
; %bb.190:                              ;   in Loop: Header=BB311_11 Depth=1
	v_and_b32_e32 v0, 7, v8
	v_lshrrev_b32_e32 v1, 3, v2
	s_mov_b32 s17, exec_lo
	v_cmpx_gt_u32_e32 8, v2
; %bb.191:                              ;   in Loop: Header=BB311_11 Depth=1
	s_delay_alu instid0(VALU_DEP_3) | instskip(NEXT) | instid1(VALU_DEP_1)
	v_clz_i32_u32_e32 v0, v0
	v_min_u32_e32 v2, 32, v0
	s_delay_alu instid0(VALU_DEP_1) | instskip(NEXT) | instid1(VALU_DEP_1)
	v_subrev_nc_u32_e32 v0, 28, v2
	v_lshlrev_b64_e32 v[0:1], v0, v[8:9]
	v_sub_nc_u32_e32 v1, 29, v2
	s_delay_alu instid0(VALU_DEP_2)
	v_and_b32_e32 v0, 7, v0
; %bb.192:                              ;   in Loop: Header=BB311_11 Depth=1
	s_wait_alu 0xfffe
	s_or_b32 exec_lo, exec_lo, s17
	v_lshlrev_b32_e32 v2, 8, v8
	v_lshl_add_u32 v1, v1, 10, 0x2000
	v_lshlrev_b32_e32 v0, 7, v0
	s_delay_alu instid0(VALU_DEP_3) | instskip(NEXT) | instid1(VALU_DEP_3)
	v_and_b32_e32 v2, 0x8000, v2
	v_and_b32_e32 v1, 0xfc00, v1
	s_delay_alu instid0(VALU_DEP_1)
	v_or3_b32 v0, v2, v1, v0
	scratch_store_b32 off, v0, s32 offset:400 ; 4-byte Folded Spill
.LBB311_193:                            ;   in Loop: Header=BB311_11 Depth=1
	s_wait_alu 0xfffe
	s_or_b32 exec_lo, exec_lo, s16
.LBB311_194:                            ;   in Loop: Header=BB311_11 Depth=1
	s_wait_alu 0xfffe
	s_or_b32 exec_lo, exec_lo, s15
.LBB311_195:                            ;   in Loop: Header=BB311_11 Depth=1
	s_wait_alu 0xfffe
	s_or_b32 exec_lo, exec_lo, s14
	v_mov_b32_e32 v0, 0
	s_mov_b32 s14, exec_lo
	scratch_store_b32 off, v0, s32 offset:408 ; 4-byte Folded Spill
	v_mov_b32_e32 v0, 0
	scratch_store_b32 off, v0, s32 offset:632 ; 4-byte Folded Spill
	v_cmpx_lt_u64_e64 s[2:3], v[28:29]
	s_cbranch_execz .LBB311_203
; %bb.196:                              ;   in Loop: Header=BB311_11 Depth=1
	v_lshrrev_b32_e32 v8, 24, v29
	v_bfrev_b32_e32 v0, 1
	s_mov_b32 s15, exec_lo
	s_delay_alu instid0(VALU_DEP_2)
	v_cmpx_ne_u32_e32 0x80, v8
	s_cbranch_execz .LBB311_202
; %bb.197:                              ;   in Loop: Header=BB311_11 Depth=1
	v_and_b32_e32 v2, 0x7f, v8
	v_mov_b32_e32 v0, 0x7c010000
	s_mov_b32 s16, exec_lo
	s_delay_alu instid0(VALU_DEP_2)
	v_cmpx_ne_u32_e32 0x7f, v2
	s_cbranch_execz .LBB311_201
; %bb.198:                              ;   in Loop: Header=BB311_11 Depth=1
	v_and_b32_e32 v0, 7, v8
	v_lshrrev_b32_e32 v1, 3, v2
	s_mov_b32 s17, exec_lo
	v_cmpx_gt_u32_e32 8, v2
; %bb.199:                              ;   in Loop: Header=BB311_11 Depth=1
	s_delay_alu instid0(VALU_DEP_3) | instskip(NEXT) | instid1(VALU_DEP_1)
	v_clz_i32_u32_e32 v0, v0
	v_min_u32_e32 v2, 32, v0
	s_delay_alu instid0(VALU_DEP_1) | instskip(NEXT) | instid1(VALU_DEP_1)
	v_subrev_nc_u32_e32 v0, 28, v2
	v_lshlrev_b64_e32 v[0:1], v0, v[8:9]
	v_sub_nc_u32_e32 v1, 29, v2
	s_delay_alu instid0(VALU_DEP_2)
	v_and_b32_e32 v0, 7, v0
; %bb.200:                              ;   in Loop: Header=BB311_11 Depth=1
	s_wait_alu 0xfffe
	s_or_b32 exec_lo, exec_lo, s17
	v_lshlrev_b32_e32 v2, 8, v8
	v_lshl_add_u32 v1, v1, 10, 0x2000
	v_lshlrev_b32_e32 v0, 23, v0
	s_delay_alu instid0(VALU_DEP_2) | instskip(NEXT) | instid1(VALU_DEP_1)
	v_and_or_b32 v1, 0x8000, v2, v1
	v_lshl_or_b32 v0, v1, 16, v0
.LBB311_201:                            ;   in Loop: Header=BB311_11 Depth=1
	s_wait_alu 0xfffe
	s_or_b32 exec_lo, exec_lo, s16
.LBB311_202:                            ;   in Loop: Header=BB311_11 Depth=1
	s_wait_alu 0xfffe
	s_or_b32 exec_lo, exec_lo, s15
	scratch_store_b32 off, v0, s32 offset:632 ; 4-byte Folded Spill
.LBB311_203:                            ;   in Loop: Header=BB311_11 Depth=1
	s_wait_alu 0xfffe
	s_or_b32 exec_lo, exec_lo, s14
	flat_load_b64 v[28:29], v[20:21] offset:520
	s_mov_b32 s14, exec_lo
	s_wait_loadcnt_dscnt 0x0
	v_and_b32_e32 v0, 0xff, v28
	s_delay_alu instid0(VALU_DEP_1)
	v_cmpx_ne_u16_e32 0, v0
	s_cbranch_execz .LBB311_211
; %bb.204:                              ;   in Loop: Header=BB311_11 Depth=1
	v_cmp_ne_u16_e64 s1, 0x80, v0
	v_mov_b32_e32 v0, 0x8000
	scratch_store_b32 off, v0, s32 offset:408 ; 4-byte Folded Spill
	s_and_saveexec_b32 s15, s1
	s_cbranch_execz .LBB311_210
; %bb.205:                              ;   in Loop: Header=BB311_11 Depth=1
	v_and_b32_e32 v2, 0x7f, v28
	v_mov_b32_e32 v0, 0x7c01
	s_mov_b32 s16, exec_lo
	scratch_store_b32 off, v0, s32 offset:408 ; 4-byte Folded Spill
	v_cmpx_ne_u32_e32 0x7f, v2
	s_cbranch_execz .LBB311_209
; %bb.206:                              ;   in Loop: Header=BB311_11 Depth=1
	v_and_b32_e32 v0, 7, v28
	v_lshrrev_b32_e32 v1, 3, v2
	s_mov_b32 s17, exec_lo
	v_cmpx_gt_u32_e32 8, v2
; %bb.207:                              ;   in Loop: Header=BB311_11 Depth=1
	s_delay_alu instid0(VALU_DEP_3) | instskip(NEXT) | instid1(VALU_DEP_1)
	v_clz_i32_u32_e32 v0, v0
	v_min_u32_e32 v2, 32, v0
	s_delay_alu instid0(VALU_DEP_1) | instskip(NEXT) | instid1(VALU_DEP_1)
	v_subrev_nc_u32_e32 v0, 28, v2
	v_lshlrev_b64_e32 v[0:1], v0, v[28:29]
	v_sub_nc_u32_e32 v1, 29, v2
	s_delay_alu instid0(VALU_DEP_2)
	v_and_b32_e32 v0, 7, v0
; %bb.208:                              ;   in Loop: Header=BB311_11 Depth=1
	s_wait_alu 0xfffe
	s_or_b32 exec_lo, exec_lo, s17
	v_lshlrev_b32_e32 v2, 8, v28
	v_lshl_add_u32 v1, v1, 10, 0x2000
	v_lshlrev_b32_e32 v0, 7, v0
	s_delay_alu instid0(VALU_DEP_3) | instskip(NEXT) | instid1(VALU_DEP_3)
	v_and_b32_e32 v2, 0x8000, v2
	v_and_b32_e32 v1, 0xfc00, v1
	s_delay_alu instid0(VALU_DEP_1)
	v_or3_b32 v0, v2, v1, v0
	scratch_store_b32 off, v0, s32 offset:408 ; 4-byte Folded Spill
.LBB311_209:                            ;   in Loop: Header=BB311_11 Depth=1
	s_wait_alu 0xfffe
	s_or_b32 exec_lo, exec_lo, s16
.LBB311_210:                            ;   in Loop: Header=BB311_11 Depth=1
	s_wait_alu 0xfffe
	s_or_b32 exec_lo, exec_lo, s15
.LBB311_211:                            ;   in Loop: Header=BB311_11 Depth=1
	s_wait_alu 0xfffe
	s_or_b32 exec_lo, exec_lo, s14
	v_mov_b32_e32 v0, 0
	v_lshrrev_b16 v8, 8, v28
	s_mov_b32 s14, exec_lo
	scratch_store_b32 off, v0, s32 offset:416 ; 4-byte Folded Spill
	v_mov_b32_e32 v0, 0
	scratch_store_b32 off, v0, s32 offset:412 ; 4-byte Folded Spill
	v_cmpx_ne_u16_e32 0, v8
	s_cbranch_execz .LBB311_219
; %bb.212:                              ;   in Loop: Header=BB311_11 Depth=1
	v_bfrev_b32_e32 v0, 1
	s_mov_b32 s15, exec_lo
	scratch_store_b32 off, v0, s32 offset:412 ; 4-byte Folded Spill
	v_cmpx_ne_u16_e32 0x80, v8
	s_cbranch_execz .LBB311_218
; %bb.213:                              ;   in Loop: Header=BB311_11 Depth=1
	v_and_b32_e32 v0, 0xffff, v8
	v_mov_b32_e32 v1, 0x7c010000
	s_mov_b32 s16, exec_lo
	s_delay_alu instid0(VALU_DEP_2)
	v_and_b32_e32 v3, 0x7f, v0
	scratch_store_b32 off, v1, s32 offset:412 ; 4-byte Folded Spill
	v_cmpx_ne_u32_e32 0x7f, v3
	s_cbranch_execz .LBB311_217
; %bb.214:                              ;   in Loop: Header=BB311_11 Depth=1
	v_and_b32_e32 v1, 7, v0
	v_lshrrev_b32_e32 v2, 3, v3
	s_mov_b32 s17, exec_lo
	v_cmpx_gt_u32_e32 8, v3
; %bb.215:                              ;   in Loop: Header=BB311_11 Depth=1
	s_delay_alu instid0(VALU_DEP_3) | instskip(NEXT) | instid1(VALU_DEP_1)
	v_clz_i32_u32_e32 v1, v1
	v_min_u32_e32 v3, 32, v1
	s_delay_alu instid0(VALU_DEP_1) | instskip(NEXT) | instid1(VALU_DEP_1)
	v_subrev_nc_u32_e32 v1, 28, v3
	v_lshlrev_b64_e32 v[1:2], v1, v[8:9]
	v_sub_nc_u32_e32 v2, 29, v3
	s_delay_alu instid0(VALU_DEP_2)
	v_and_b32_e32 v1, 7, v1
; %bb.216:                              ;   in Loop: Header=BB311_11 Depth=1
	s_wait_alu 0xfffe
	s_or_b32 exec_lo, exec_lo, s17
	v_lshlrev_b32_e32 v0, 8, v0
	v_lshl_add_u32 v2, v2, 10, 0x2000
	v_lshlrev_b32_e32 v1, 23, v1
	s_delay_alu instid0(VALU_DEP_2) | instskip(NEXT) | instid1(VALU_DEP_1)
	v_and_or_b32 v0, 0x8000, v0, v2
	v_lshl_or_b32 v0, v0, 16, v1
	scratch_store_b32 off, v0, s32 offset:412 ; 4-byte Folded Spill
.LBB311_217:                            ;   in Loop: Header=BB311_11 Depth=1
	s_wait_alu 0xfffe
	s_or_b32 exec_lo, exec_lo, s16
.LBB311_218:                            ;   in Loop: Header=BB311_11 Depth=1
	s_wait_alu 0xfffe
	s_or_b32 exec_lo, exec_lo, s15
.LBB311_219:                            ;   in Loop: Header=BB311_11 Depth=1
	s_wait_alu 0xfffe
	s_or_b32 exec_lo, exec_lo, s14
	v_lshrrev_b32_e32 v8, 16, v28
	s_mov_b32 s14, exec_lo
	s_delay_alu instid0(VALU_DEP_1) | instskip(NEXT) | instid1(VALU_DEP_1)
	v_and_b32_e32 v0, 0xff, v8
	v_cmpx_ne_u16_e32 0, v0
	s_cbranch_execz .LBB311_227
; %bb.220:                              ;   in Loop: Header=BB311_11 Depth=1
	v_cmp_ne_u16_e64 s1, 0x80, v0
	v_mov_b32_e32 v0, 0x8000
	scratch_store_b32 off, v0, s32 offset:416 ; 4-byte Folded Spill
	s_and_saveexec_b32 s15, s1
	s_cbranch_execz .LBB311_226
; %bb.221:                              ;   in Loop: Header=BB311_11 Depth=1
	v_bfe_u32 v2, v28, 16, 7
	v_mov_b32_e32 v0, 0x7c01
	s_mov_b32 s16, exec_lo
	scratch_store_b32 off, v0, s32 offset:416 ; 4-byte Folded Spill
	v_cmpx_ne_u32_e32 0x7f, v2
	s_cbranch_execz .LBB311_225
; %bb.222:                              ;   in Loop: Header=BB311_11 Depth=1
	v_and_b32_e32 v0, 7, v8
	v_lshrrev_b32_e32 v1, 3, v2
	s_mov_b32 s17, exec_lo
	v_cmpx_gt_u32_e32 8, v2
; %bb.223:                              ;   in Loop: Header=BB311_11 Depth=1
	s_delay_alu instid0(VALU_DEP_3) | instskip(NEXT) | instid1(VALU_DEP_1)
	v_clz_i32_u32_e32 v0, v0
	v_min_u32_e32 v2, 32, v0
	s_delay_alu instid0(VALU_DEP_1) | instskip(NEXT) | instid1(VALU_DEP_1)
	v_subrev_nc_u32_e32 v0, 28, v2
	v_lshlrev_b64_e32 v[0:1], v0, v[8:9]
	v_sub_nc_u32_e32 v1, 29, v2
	s_delay_alu instid0(VALU_DEP_2)
	v_and_b32_e32 v0, 7, v0
; %bb.224:                              ;   in Loop: Header=BB311_11 Depth=1
	s_wait_alu 0xfffe
	s_or_b32 exec_lo, exec_lo, s17
	v_lshlrev_b32_e32 v2, 8, v8
	v_lshl_add_u32 v1, v1, 10, 0x2000
	v_lshlrev_b32_e32 v0, 7, v0
	s_delay_alu instid0(VALU_DEP_3) | instskip(NEXT) | instid1(VALU_DEP_3)
	v_and_b32_e32 v2, 0x8000, v2
	v_and_b32_e32 v1, 0xfc00, v1
	s_delay_alu instid0(VALU_DEP_1)
	v_or3_b32 v0, v2, v1, v0
	scratch_store_b32 off, v0, s32 offset:416 ; 4-byte Folded Spill
.LBB311_225:                            ;   in Loop: Header=BB311_11 Depth=1
	s_wait_alu 0xfffe
	s_or_b32 exec_lo, exec_lo, s16
.LBB311_226:                            ;   in Loop: Header=BB311_11 Depth=1
	s_wait_alu 0xfffe
	s_or_b32 exec_lo, exec_lo, s15
.LBB311_227:                            ;   in Loop: Header=BB311_11 Depth=1
	s_wait_alu 0xfffe
	s_or_b32 exec_lo, exec_lo, s14
	v_mov_b32_e32 v0, 0
	s_mov_b32 s14, exec_lo
	scratch_store_b32 off, v0, s32 offset:420 ; 4-byte Folded Spill
	v_mov_b32_e32 v0, 0
	scratch_store_b32 off, v0, s32 offset:424 ; 4-byte Folded Spill
	v_cmpx_lt_u32_e32 0xffffff, v28
	s_cbranch_execz .LBB311_235
; %bb.228:                              ;   in Loop: Header=BB311_11 Depth=1
	v_lshrrev_b32_e32 v8, 24, v28
	v_bfrev_b32_e32 v0, 1
	s_mov_b32 s15, exec_lo
	scratch_store_b32 off, v0, s32 offset:424 ; 4-byte Folded Spill
	v_cmpx_ne_u32_e32 0x80, v8
	s_cbranch_execz .LBB311_234
; %bb.229:                              ;   in Loop: Header=BB311_11 Depth=1
	v_and_b32_e32 v2, 0x7f, v8
	v_mov_b32_e32 v0, 0x7c010000
	s_mov_b32 s16, exec_lo
	scratch_store_b32 off, v0, s32 offset:424 ; 4-byte Folded Spill
	v_cmpx_ne_u32_e32 0x7f, v2
	s_cbranch_execz .LBB311_233
; %bb.230:                              ;   in Loop: Header=BB311_11 Depth=1
	v_and_b32_e32 v0, 7, v8
	v_lshrrev_b32_e32 v1, 3, v2
	s_mov_b32 s17, exec_lo
	v_cmpx_gt_u32_e32 8, v2
; %bb.231:                              ;   in Loop: Header=BB311_11 Depth=1
	s_delay_alu instid0(VALU_DEP_3) | instskip(NEXT) | instid1(VALU_DEP_1)
	v_clz_i32_u32_e32 v0, v0
	v_min_u32_e32 v2, 32, v0
	s_delay_alu instid0(VALU_DEP_1) | instskip(NEXT) | instid1(VALU_DEP_1)
	v_subrev_nc_u32_e32 v0, 28, v2
	v_lshlrev_b64_e32 v[0:1], v0, v[8:9]
	v_sub_nc_u32_e32 v1, 29, v2
	s_delay_alu instid0(VALU_DEP_2)
	v_and_b32_e32 v0, 7, v0
; %bb.232:                              ;   in Loop: Header=BB311_11 Depth=1
	s_wait_alu 0xfffe
	s_or_b32 exec_lo, exec_lo, s17
	v_lshlrev_b32_e32 v2, 8, v8
	v_lshl_add_u32 v1, v1, 10, 0x2000
	v_lshlrev_b32_e32 v0, 23, v0
	s_delay_alu instid0(VALU_DEP_2) | instskip(NEXT) | instid1(VALU_DEP_1)
	v_and_or_b32 v1, 0x8000, v2, v1
	v_lshl_or_b32 v0, v1, 16, v0
	scratch_store_b32 off, v0, s32 offset:424 ; 4-byte Folded Spill
.LBB311_233:                            ;   in Loop: Header=BB311_11 Depth=1
	s_wait_alu 0xfffe
	s_or_b32 exec_lo, exec_lo, s16
.LBB311_234:                            ;   in Loop: Header=BB311_11 Depth=1
	s_wait_alu 0xfffe
	s_or_b32 exec_lo, exec_lo, s15
.LBB311_235:                            ;   in Loop: Header=BB311_11 Depth=1
	s_wait_alu 0xfffe
	s_or_b32 exec_lo, exec_lo, s14
	v_and_b32_e32 v0, 0xff, v29
	v_mov_b32_e32 v8, v29
	s_mov_b32 s14, exec_lo
	s_delay_alu instid0(VALU_DEP_2)
	v_cmpx_ne_u16_e32 0, v0
	s_cbranch_execz .LBB311_243
; %bb.236:                              ;   in Loop: Header=BB311_11 Depth=1
	v_cmp_ne_u16_e64 s1, 0x80, v0
	v_mov_b32_e32 v0, 0x8000
	scratch_store_b32 off, v0, s32 offset:420 ; 4-byte Folded Spill
	s_and_saveexec_b32 s15, s1
	s_cbranch_execz .LBB311_242
; %bb.237:                              ;   in Loop: Header=BB311_11 Depth=1
	v_and_b32_e32 v2, 0x7f, v29
	v_mov_b32_e32 v0, 0x7c01
	s_mov_b32 s16, exec_lo
	scratch_store_b32 off, v0, s32 offset:420 ; 4-byte Folded Spill
	v_cmpx_ne_u32_e32 0x7f, v2
	s_cbranch_execz .LBB311_241
; %bb.238:                              ;   in Loop: Header=BB311_11 Depth=1
	v_and_b32_e32 v0, 7, v29
	v_lshrrev_b32_e32 v1, 3, v2
	s_mov_b32 s17, exec_lo
	v_cmpx_gt_u32_e32 8, v2
; %bb.239:                              ;   in Loop: Header=BB311_11 Depth=1
	s_delay_alu instid0(VALU_DEP_3) | instskip(NEXT) | instid1(VALU_DEP_1)
	v_clz_i32_u32_e32 v0, v0
	v_min_u32_e32 v2, 32, v0
	s_delay_alu instid0(VALU_DEP_1) | instskip(NEXT) | instid1(VALU_DEP_1)
	v_subrev_nc_u32_e32 v0, 28, v2
	v_lshlrev_b64_e32 v[0:1], v0, v[8:9]
	v_sub_nc_u32_e32 v1, 29, v2
	s_delay_alu instid0(VALU_DEP_2)
	v_and_b32_e32 v0, 7, v0
; %bb.240:                              ;   in Loop: Header=BB311_11 Depth=1
	s_wait_alu 0xfffe
	s_or_b32 exec_lo, exec_lo, s17
	v_lshlrev_b32_e32 v2, 8, v29
	v_lshl_add_u32 v1, v1, 10, 0x2000
	v_lshlrev_b32_e32 v0, 7, v0
	s_delay_alu instid0(VALU_DEP_3) | instskip(NEXT) | instid1(VALU_DEP_3)
	v_and_b32_e32 v2, 0x8000, v2
	v_and_b32_e32 v1, 0xfc00, v1
	s_delay_alu instid0(VALU_DEP_1)
	v_or3_b32 v0, v2, v1, v0
	scratch_store_b32 off, v0, s32 offset:420 ; 4-byte Folded Spill
.LBB311_241:                            ;   in Loop: Header=BB311_11 Depth=1
	s_wait_alu 0xfffe
	s_or_b32 exec_lo, exec_lo, s16
.LBB311_242:                            ;   in Loop: Header=BB311_11 Depth=1
	s_wait_alu 0xfffe
	s_or_b32 exec_lo, exec_lo, s15
.LBB311_243:                            ;   in Loop: Header=BB311_11 Depth=1
	s_wait_alu 0xfffe
	s_or_b32 exec_lo, exec_lo, s14
	v_mov_b32_e32 v0, 0
	v_lshrrev_b16 v8, 8, v8
	s_mov_b32 s14, exec_lo
	scratch_store_b32 off, v0, s32 offset:428 ; 4-byte Folded Spill
	v_mov_b32_e32 v0, 0
	scratch_store_b32 off, v0, s32 offset:432 ; 4-byte Folded Spill
	v_cmpx_ne_u16_e32 0, v8
	s_cbranch_execz .LBB311_251
; %bb.244:                              ;   in Loop: Header=BB311_11 Depth=1
	v_bfrev_b32_e32 v0, 1
	s_mov_b32 s15, exec_lo
	scratch_store_b32 off, v0, s32 offset:432 ; 4-byte Folded Spill
	v_cmpx_ne_u16_e32 0x80, v8
	s_cbranch_execz .LBB311_250
; %bb.245:                              ;   in Loop: Header=BB311_11 Depth=1
	v_and_b32_e32 v0, 0xffff, v8
	v_mov_b32_e32 v1, 0x7c010000
	s_mov_b32 s16, exec_lo
	s_delay_alu instid0(VALU_DEP_2)
	v_and_b32_e32 v3, 0x7f, v0
	scratch_store_b32 off, v1, s32 offset:432 ; 4-byte Folded Spill
	v_cmpx_ne_u32_e32 0x7f, v3
	s_cbranch_execz .LBB311_249
; %bb.246:                              ;   in Loop: Header=BB311_11 Depth=1
	v_and_b32_e32 v1, 7, v0
	v_lshrrev_b32_e32 v2, 3, v3
	s_mov_b32 s17, exec_lo
	v_cmpx_gt_u32_e32 8, v3
; %bb.247:                              ;   in Loop: Header=BB311_11 Depth=1
	s_delay_alu instid0(VALU_DEP_3) | instskip(NEXT) | instid1(VALU_DEP_1)
	v_clz_i32_u32_e32 v1, v1
	v_min_u32_e32 v3, 32, v1
	s_delay_alu instid0(VALU_DEP_1) | instskip(NEXT) | instid1(VALU_DEP_1)
	v_subrev_nc_u32_e32 v1, 28, v3
	v_lshlrev_b64_e32 v[1:2], v1, v[8:9]
	v_sub_nc_u32_e32 v2, 29, v3
	s_delay_alu instid0(VALU_DEP_2)
	v_and_b32_e32 v1, 7, v1
; %bb.248:                              ;   in Loop: Header=BB311_11 Depth=1
	s_wait_alu 0xfffe
	s_or_b32 exec_lo, exec_lo, s17
	v_lshlrev_b32_e32 v0, 8, v0
	v_lshl_add_u32 v2, v2, 10, 0x2000
	v_lshlrev_b32_e32 v1, 23, v1
	s_delay_alu instid0(VALU_DEP_2) | instskip(NEXT) | instid1(VALU_DEP_1)
	v_and_or_b32 v0, 0x8000, v0, v2
	v_lshl_or_b32 v0, v0, 16, v1
	scratch_store_b32 off, v0, s32 offset:432 ; 4-byte Folded Spill
.LBB311_249:                            ;   in Loop: Header=BB311_11 Depth=1
	s_wait_alu 0xfffe
	s_or_b32 exec_lo, exec_lo, s16
.LBB311_250:                            ;   in Loop: Header=BB311_11 Depth=1
	s_wait_alu 0xfffe
	s_or_b32 exec_lo, exec_lo, s15
.LBB311_251:                            ;   in Loop: Header=BB311_11 Depth=1
	s_wait_alu 0xfffe
	s_or_b32 exec_lo, exec_lo, s14
	v_lshrrev_b32_e32 v8, 16, v29
	s_mov_b32 s14, exec_lo
	s_delay_alu instid0(VALU_DEP_1) | instskip(NEXT) | instid1(VALU_DEP_1)
	v_and_b32_e32 v0, 0xff, v8
	v_cmpx_ne_u16_e32 0, v0
	s_cbranch_execz .LBB311_259
; %bb.252:                              ;   in Loop: Header=BB311_11 Depth=1
	v_cmp_ne_u16_e64 s1, 0x80, v0
	v_mov_b32_e32 v0, 0x8000
	scratch_store_b32 off, v0, s32 offset:428 ; 4-byte Folded Spill
	s_and_saveexec_b32 s15, s1
	s_cbranch_execz .LBB311_258
; %bb.253:                              ;   in Loop: Header=BB311_11 Depth=1
	v_bfe_u32 v2, v29, 16, 7
	v_mov_b32_e32 v0, 0x7c01
	s_mov_b32 s16, exec_lo
	scratch_store_b32 off, v0, s32 offset:428 ; 4-byte Folded Spill
	v_cmpx_ne_u32_e32 0x7f, v2
	s_cbranch_execz .LBB311_257
; %bb.254:                              ;   in Loop: Header=BB311_11 Depth=1
	v_and_b32_e32 v0, 7, v8
	v_lshrrev_b32_e32 v1, 3, v2
	s_mov_b32 s17, exec_lo
	v_cmpx_gt_u32_e32 8, v2
; %bb.255:                              ;   in Loop: Header=BB311_11 Depth=1
	s_delay_alu instid0(VALU_DEP_3) | instskip(NEXT) | instid1(VALU_DEP_1)
	v_clz_i32_u32_e32 v0, v0
	v_min_u32_e32 v2, 32, v0
	s_delay_alu instid0(VALU_DEP_1) | instskip(NEXT) | instid1(VALU_DEP_1)
	v_subrev_nc_u32_e32 v0, 28, v2
	v_lshlrev_b64_e32 v[0:1], v0, v[8:9]
	v_sub_nc_u32_e32 v1, 29, v2
	s_delay_alu instid0(VALU_DEP_2)
	v_and_b32_e32 v0, 7, v0
; %bb.256:                              ;   in Loop: Header=BB311_11 Depth=1
	s_wait_alu 0xfffe
	s_or_b32 exec_lo, exec_lo, s17
	v_lshlrev_b32_e32 v2, 8, v8
	v_lshl_add_u32 v1, v1, 10, 0x2000
	v_lshlrev_b32_e32 v0, 7, v0
	s_delay_alu instid0(VALU_DEP_3) | instskip(NEXT) | instid1(VALU_DEP_3)
	v_and_b32_e32 v2, 0x8000, v2
	v_and_b32_e32 v1, 0xfc00, v1
	s_delay_alu instid0(VALU_DEP_1)
	v_or3_b32 v0, v2, v1, v0
	scratch_store_b32 off, v0, s32 offset:428 ; 4-byte Folded Spill
.LBB311_257:                            ;   in Loop: Header=BB311_11 Depth=1
	s_wait_alu 0xfffe
	s_or_b32 exec_lo, exec_lo, s16
.LBB311_258:                            ;   in Loop: Header=BB311_11 Depth=1
	s_wait_alu 0xfffe
	s_or_b32 exec_lo, exec_lo, s15
.LBB311_259:                            ;   in Loop: Header=BB311_11 Depth=1
	s_wait_alu 0xfffe
	s_or_b32 exec_lo, exec_lo, s14
	v_mov_b32_e32 v0, 0
	s_mov_b32 s14, exec_lo
	scratch_store_b32 off, v0, s32 offset:436 ; 4-byte Folded Spill
	v_mov_b32_e32 v0, 0
	scratch_store_b32 off, v0, s32 offset:636 ; 4-byte Folded Spill
	v_cmpx_lt_u64_e64 s[2:3], v[28:29]
	s_cbranch_execz .LBB311_267
; %bb.260:                              ;   in Loop: Header=BB311_11 Depth=1
	v_lshrrev_b32_e32 v8, 24, v29
	v_bfrev_b32_e32 v0, 1
	s_mov_b32 s15, exec_lo
	s_delay_alu instid0(VALU_DEP_2)
	v_cmpx_ne_u32_e32 0x80, v8
	s_cbranch_execz .LBB311_266
; %bb.261:                              ;   in Loop: Header=BB311_11 Depth=1
	v_and_b32_e32 v2, 0x7f, v8
	v_mov_b32_e32 v0, 0x7c010000
	s_mov_b32 s16, exec_lo
	s_delay_alu instid0(VALU_DEP_2)
	v_cmpx_ne_u32_e32 0x7f, v2
	s_cbranch_execz .LBB311_265
; %bb.262:                              ;   in Loop: Header=BB311_11 Depth=1
	v_and_b32_e32 v0, 7, v8
	v_lshrrev_b32_e32 v1, 3, v2
	s_mov_b32 s17, exec_lo
	v_cmpx_gt_u32_e32 8, v2
; %bb.263:                              ;   in Loop: Header=BB311_11 Depth=1
	s_delay_alu instid0(VALU_DEP_3) | instskip(NEXT) | instid1(VALU_DEP_1)
	v_clz_i32_u32_e32 v0, v0
	v_min_u32_e32 v2, 32, v0
	s_delay_alu instid0(VALU_DEP_1) | instskip(NEXT) | instid1(VALU_DEP_1)
	v_subrev_nc_u32_e32 v0, 28, v2
	v_lshlrev_b64_e32 v[0:1], v0, v[8:9]
	v_sub_nc_u32_e32 v1, 29, v2
	s_delay_alu instid0(VALU_DEP_2)
	v_and_b32_e32 v0, 7, v0
; %bb.264:                              ;   in Loop: Header=BB311_11 Depth=1
	s_wait_alu 0xfffe
	s_or_b32 exec_lo, exec_lo, s17
	v_lshlrev_b32_e32 v2, 8, v8
	v_lshl_add_u32 v1, v1, 10, 0x2000
	v_lshlrev_b32_e32 v0, 23, v0
	s_delay_alu instid0(VALU_DEP_2) | instskip(NEXT) | instid1(VALU_DEP_1)
	v_and_or_b32 v1, 0x8000, v2, v1
	v_lshl_or_b32 v0, v1, 16, v0
.LBB311_265:                            ;   in Loop: Header=BB311_11 Depth=1
	s_wait_alu 0xfffe
	s_or_b32 exec_lo, exec_lo, s16
.LBB311_266:                            ;   in Loop: Header=BB311_11 Depth=1
	s_wait_alu 0xfffe
	s_or_b32 exec_lo, exec_lo, s15
	scratch_store_b32 off, v0, s32 offset:636 ; 4-byte Folded Spill
.LBB311_267:                            ;   in Loop: Header=BB311_11 Depth=1
	s_wait_alu 0xfffe
	s_or_b32 exec_lo, exec_lo, s14
	flat_load_b64 v[28:29], v[20:21] offset:1024
	s_mov_b32 s14, exec_lo
	s_wait_loadcnt_dscnt 0x0
	v_and_b32_e32 v0, 0xff, v28
	s_delay_alu instid0(VALU_DEP_1)
	v_cmpx_ne_u16_e32 0, v0
	s_cbranch_execz .LBB311_275
; %bb.268:                              ;   in Loop: Header=BB311_11 Depth=1
	v_cmp_ne_u16_e64 s1, 0x80, v0
	v_mov_b32_e32 v0, 0x8000
	scratch_store_b32 off, v0, s32 offset:436 ; 4-byte Folded Spill
	s_and_saveexec_b32 s15, s1
	s_cbranch_execz .LBB311_274
; %bb.269:                              ;   in Loop: Header=BB311_11 Depth=1
	v_and_b32_e32 v2, 0x7f, v28
	v_mov_b32_e32 v0, 0x7c01
	s_mov_b32 s16, exec_lo
	scratch_store_b32 off, v0, s32 offset:436 ; 4-byte Folded Spill
	v_cmpx_ne_u32_e32 0x7f, v2
	s_cbranch_execz .LBB311_273
; %bb.270:                              ;   in Loop: Header=BB311_11 Depth=1
	v_and_b32_e32 v0, 7, v28
	v_lshrrev_b32_e32 v1, 3, v2
	s_mov_b32 s17, exec_lo
	v_cmpx_gt_u32_e32 8, v2
; %bb.271:                              ;   in Loop: Header=BB311_11 Depth=1
	s_delay_alu instid0(VALU_DEP_3) | instskip(NEXT) | instid1(VALU_DEP_1)
	v_clz_i32_u32_e32 v0, v0
	v_min_u32_e32 v2, 32, v0
	s_delay_alu instid0(VALU_DEP_1) | instskip(NEXT) | instid1(VALU_DEP_1)
	v_subrev_nc_u32_e32 v0, 28, v2
	v_lshlrev_b64_e32 v[0:1], v0, v[28:29]
	v_sub_nc_u32_e32 v1, 29, v2
	s_delay_alu instid0(VALU_DEP_2)
	v_and_b32_e32 v0, 7, v0
; %bb.272:                              ;   in Loop: Header=BB311_11 Depth=1
	s_wait_alu 0xfffe
	s_or_b32 exec_lo, exec_lo, s17
	v_lshlrev_b32_e32 v2, 8, v28
	v_lshl_add_u32 v1, v1, 10, 0x2000
	v_lshlrev_b32_e32 v0, 7, v0
	s_delay_alu instid0(VALU_DEP_3) | instskip(NEXT) | instid1(VALU_DEP_3)
	v_and_b32_e32 v2, 0x8000, v2
	v_and_b32_e32 v1, 0xfc00, v1
	s_delay_alu instid0(VALU_DEP_1)
	v_or3_b32 v0, v2, v1, v0
	scratch_store_b32 off, v0, s32 offset:436 ; 4-byte Folded Spill
.LBB311_273:                            ;   in Loop: Header=BB311_11 Depth=1
	s_wait_alu 0xfffe
	s_or_b32 exec_lo, exec_lo, s16
.LBB311_274:                            ;   in Loop: Header=BB311_11 Depth=1
	s_wait_alu 0xfffe
	s_or_b32 exec_lo, exec_lo, s15
.LBB311_275:                            ;   in Loop: Header=BB311_11 Depth=1
	s_wait_alu 0xfffe
	s_or_b32 exec_lo, exec_lo, s14
	v_mov_b32_e32 v0, 0
	v_lshrrev_b16 v8, 8, v28
	s_mov_b32 s14, exec_lo
	scratch_store_b32 off, v0, s32 offset:444 ; 4-byte Folded Spill
	v_mov_b32_e32 v0, 0
	scratch_store_b32 off, v0, s32 offset:440 ; 4-byte Folded Spill
	v_cmpx_ne_u16_e32 0, v8
	s_cbranch_execz .LBB311_283
; %bb.276:                              ;   in Loop: Header=BB311_11 Depth=1
	v_bfrev_b32_e32 v0, 1
	s_mov_b32 s15, exec_lo
	scratch_store_b32 off, v0, s32 offset:440 ; 4-byte Folded Spill
	v_cmpx_ne_u16_e32 0x80, v8
	s_cbranch_execz .LBB311_282
; %bb.277:                              ;   in Loop: Header=BB311_11 Depth=1
	v_and_b32_e32 v0, 0xffff, v8
	v_mov_b32_e32 v1, 0x7c010000
	s_mov_b32 s16, exec_lo
	s_delay_alu instid0(VALU_DEP_2)
	v_and_b32_e32 v3, 0x7f, v0
	scratch_store_b32 off, v1, s32 offset:440 ; 4-byte Folded Spill
	v_cmpx_ne_u32_e32 0x7f, v3
	s_cbranch_execz .LBB311_281
; %bb.278:                              ;   in Loop: Header=BB311_11 Depth=1
	v_and_b32_e32 v1, 7, v0
	v_lshrrev_b32_e32 v2, 3, v3
	s_mov_b32 s17, exec_lo
	v_cmpx_gt_u32_e32 8, v3
; %bb.279:                              ;   in Loop: Header=BB311_11 Depth=1
	s_delay_alu instid0(VALU_DEP_3) | instskip(NEXT) | instid1(VALU_DEP_1)
	v_clz_i32_u32_e32 v1, v1
	v_min_u32_e32 v3, 32, v1
	s_delay_alu instid0(VALU_DEP_1) | instskip(NEXT) | instid1(VALU_DEP_1)
	v_subrev_nc_u32_e32 v1, 28, v3
	v_lshlrev_b64_e32 v[1:2], v1, v[8:9]
	v_sub_nc_u32_e32 v2, 29, v3
	s_delay_alu instid0(VALU_DEP_2)
	v_and_b32_e32 v1, 7, v1
; %bb.280:                              ;   in Loop: Header=BB311_11 Depth=1
	s_wait_alu 0xfffe
	s_or_b32 exec_lo, exec_lo, s17
	v_lshlrev_b32_e32 v0, 8, v0
	v_lshl_add_u32 v2, v2, 10, 0x2000
	v_lshlrev_b32_e32 v1, 23, v1
	s_delay_alu instid0(VALU_DEP_2) | instskip(NEXT) | instid1(VALU_DEP_1)
	v_and_or_b32 v0, 0x8000, v0, v2
	v_lshl_or_b32 v0, v0, 16, v1
	scratch_store_b32 off, v0, s32 offset:440 ; 4-byte Folded Spill
.LBB311_281:                            ;   in Loop: Header=BB311_11 Depth=1
	s_wait_alu 0xfffe
	s_or_b32 exec_lo, exec_lo, s16
.LBB311_282:                            ;   in Loop: Header=BB311_11 Depth=1
	s_wait_alu 0xfffe
	s_or_b32 exec_lo, exec_lo, s15
.LBB311_283:                            ;   in Loop: Header=BB311_11 Depth=1
	s_wait_alu 0xfffe
	s_or_b32 exec_lo, exec_lo, s14
	v_lshrrev_b32_e32 v8, 16, v28
	s_mov_b32 s14, exec_lo
	s_delay_alu instid0(VALU_DEP_1) | instskip(NEXT) | instid1(VALU_DEP_1)
	v_and_b32_e32 v0, 0xff, v8
	v_cmpx_ne_u16_e32 0, v0
	s_cbranch_execz .LBB311_291
; %bb.284:                              ;   in Loop: Header=BB311_11 Depth=1
	v_cmp_ne_u16_e64 s1, 0x80, v0
	v_mov_b32_e32 v0, 0x8000
	scratch_store_b32 off, v0, s32 offset:444 ; 4-byte Folded Spill
	s_and_saveexec_b32 s15, s1
	s_cbranch_execz .LBB311_290
; %bb.285:                              ;   in Loop: Header=BB311_11 Depth=1
	v_bfe_u32 v2, v28, 16, 7
	v_mov_b32_e32 v0, 0x7c01
	s_mov_b32 s16, exec_lo
	scratch_store_b32 off, v0, s32 offset:444 ; 4-byte Folded Spill
	v_cmpx_ne_u32_e32 0x7f, v2
	s_cbranch_execz .LBB311_289
; %bb.286:                              ;   in Loop: Header=BB311_11 Depth=1
	v_and_b32_e32 v0, 7, v8
	v_lshrrev_b32_e32 v1, 3, v2
	s_mov_b32 s17, exec_lo
	v_cmpx_gt_u32_e32 8, v2
; %bb.287:                              ;   in Loop: Header=BB311_11 Depth=1
	s_delay_alu instid0(VALU_DEP_3) | instskip(NEXT) | instid1(VALU_DEP_1)
	v_clz_i32_u32_e32 v0, v0
	v_min_u32_e32 v2, 32, v0
	s_delay_alu instid0(VALU_DEP_1) | instskip(NEXT) | instid1(VALU_DEP_1)
	v_subrev_nc_u32_e32 v0, 28, v2
	v_lshlrev_b64_e32 v[0:1], v0, v[8:9]
	v_sub_nc_u32_e32 v1, 29, v2
	s_delay_alu instid0(VALU_DEP_2)
	v_and_b32_e32 v0, 7, v0
; %bb.288:                              ;   in Loop: Header=BB311_11 Depth=1
	s_wait_alu 0xfffe
	s_or_b32 exec_lo, exec_lo, s17
	v_lshlrev_b32_e32 v2, 8, v8
	v_lshl_add_u32 v1, v1, 10, 0x2000
	v_lshlrev_b32_e32 v0, 7, v0
	s_delay_alu instid0(VALU_DEP_3) | instskip(NEXT) | instid1(VALU_DEP_3)
	v_and_b32_e32 v2, 0x8000, v2
	v_and_b32_e32 v1, 0xfc00, v1
	s_delay_alu instid0(VALU_DEP_1)
	v_or3_b32 v0, v2, v1, v0
	scratch_store_b32 off, v0, s32 offset:444 ; 4-byte Folded Spill
.LBB311_289:                            ;   in Loop: Header=BB311_11 Depth=1
	s_wait_alu 0xfffe
	s_or_b32 exec_lo, exec_lo, s16
.LBB311_290:                            ;   in Loop: Header=BB311_11 Depth=1
	s_wait_alu 0xfffe
	s_or_b32 exec_lo, exec_lo, s15
.LBB311_291:                            ;   in Loop: Header=BB311_11 Depth=1
	s_wait_alu 0xfffe
	s_or_b32 exec_lo, exec_lo, s14
	v_mov_b32_e32 v0, 0
	s_mov_b32 s14, exec_lo
	scratch_store_b32 off, v0, s32 offset:448 ; 4-byte Folded Spill
	v_mov_b32_e32 v0, 0
	scratch_store_b32 off, v0, s32 offset:452 ; 4-byte Folded Spill
	v_cmpx_lt_u32_e32 0xffffff, v28
	s_cbranch_execz .LBB311_299
; %bb.292:                              ;   in Loop: Header=BB311_11 Depth=1
	v_lshrrev_b32_e32 v8, 24, v28
	v_bfrev_b32_e32 v0, 1
	s_mov_b32 s15, exec_lo
	scratch_store_b32 off, v0, s32 offset:452 ; 4-byte Folded Spill
	v_cmpx_ne_u32_e32 0x80, v8
	s_cbranch_execz .LBB311_298
; %bb.293:                              ;   in Loop: Header=BB311_11 Depth=1
	v_and_b32_e32 v2, 0x7f, v8
	v_mov_b32_e32 v0, 0x7c010000
	s_mov_b32 s16, exec_lo
	scratch_store_b32 off, v0, s32 offset:452 ; 4-byte Folded Spill
	v_cmpx_ne_u32_e32 0x7f, v2
	s_cbranch_execz .LBB311_297
; %bb.294:                              ;   in Loop: Header=BB311_11 Depth=1
	v_and_b32_e32 v0, 7, v8
	v_lshrrev_b32_e32 v1, 3, v2
	s_mov_b32 s17, exec_lo
	v_cmpx_gt_u32_e32 8, v2
; %bb.295:                              ;   in Loop: Header=BB311_11 Depth=1
	s_delay_alu instid0(VALU_DEP_3) | instskip(NEXT) | instid1(VALU_DEP_1)
	v_clz_i32_u32_e32 v0, v0
	v_min_u32_e32 v2, 32, v0
	s_delay_alu instid0(VALU_DEP_1) | instskip(NEXT) | instid1(VALU_DEP_1)
	v_subrev_nc_u32_e32 v0, 28, v2
	v_lshlrev_b64_e32 v[0:1], v0, v[8:9]
	v_sub_nc_u32_e32 v1, 29, v2
	s_delay_alu instid0(VALU_DEP_2)
	v_and_b32_e32 v0, 7, v0
; %bb.296:                              ;   in Loop: Header=BB311_11 Depth=1
	s_wait_alu 0xfffe
	s_or_b32 exec_lo, exec_lo, s17
	v_lshlrev_b32_e32 v2, 8, v8
	v_lshl_add_u32 v1, v1, 10, 0x2000
	v_lshlrev_b32_e32 v0, 23, v0
	s_delay_alu instid0(VALU_DEP_2) | instskip(NEXT) | instid1(VALU_DEP_1)
	v_and_or_b32 v1, 0x8000, v2, v1
	v_lshl_or_b32 v0, v1, 16, v0
	scratch_store_b32 off, v0, s32 offset:452 ; 4-byte Folded Spill
.LBB311_297:                            ;   in Loop: Header=BB311_11 Depth=1
	s_wait_alu 0xfffe
	s_or_b32 exec_lo, exec_lo, s16
.LBB311_298:                            ;   in Loop: Header=BB311_11 Depth=1
	s_wait_alu 0xfffe
	s_or_b32 exec_lo, exec_lo, s15
.LBB311_299:                            ;   in Loop: Header=BB311_11 Depth=1
	s_wait_alu 0xfffe
	s_or_b32 exec_lo, exec_lo, s14
	v_and_b32_e32 v0, 0xff, v29
	v_mov_b32_e32 v8, v29
	s_mov_b32 s14, exec_lo
	s_delay_alu instid0(VALU_DEP_2)
	v_cmpx_ne_u16_e32 0, v0
	s_cbranch_execz .LBB311_307
; %bb.300:                              ;   in Loop: Header=BB311_11 Depth=1
	v_cmp_ne_u16_e64 s1, 0x80, v0
	v_mov_b32_e32 v0, 0x8000
	scratch_store_b32 off, v0, s32 offset:448 ; 4-byte Folded Spill
	s_and_saveexec_b32 s15, s1
	s_cbranch_execz .LBB311_306
; %bb.301:                              ;   in Loop: Header=BB311_11 Depth=1
	v_and_b32_e32 v2, 0x7f, v29
	v_mov_b32_e32 v0, 0x7c01
	s_mov_b32 s16, exec_lo
	scratch_store_b32 off, v0, s32 offset:448 ; 4-byte Folded Spill
	v_cmpx_ne_u32_e32 0x7f, v2
	s_cbranch_execz .LBB311_305
; %bb.302:                              ;   in Loop: Header=BB311_11 Depth=1
	v_and_b32_e32 v0, 7, v29
	v_lshrrev_b32_e32 v1, 3, v2
	s_mov_b32 s17, exec_lo
	v_cmpx_gt_u32_e32 8, v2
; %bb.303:                              ;   in Loop: Header=BB311_11 Depth=1
	s_delay_alu instid0(VALU_DEP_3) | instskip(NEXT) | instid1(VALU_DEP_1)
	v_clz_i32_u32_e32 v0, v0
	v_min_u32_e32 v2, 32, v0
	s_delay_alu instid0(VALU_DEP_1) | instskip(NEXT) | instid1(VALU_DEP_1)
	v_subrev_nc_u32_e32 v0, 28, v2
	v_lshlrev_b64_e32 v[0:1], v0, v[8:9]
	v_sub_nc_u32_e32 v1, 29, v2
	s_delay_alu instid0(VALU_DEP_2)
	v_and_b32_e32 v0, 7, v0
; %bb.304:                              ;   in Loop: Header=BB311_11 Depth=1
	s_wait_alu 0xfffe
	s_or_b32 exec_lo, exec_lo, s17
	v_lshlrev_b32_e32 v2, 8, v29
	v_lshl_add_u32 v1, v1, 10, 0x2000
	v_lshlrev_b32_e32 v0, 7, v0
	s_delay_alu instid0(VALU_DEP_3) | instskip(NEXT) | instid1(VALU_DEP_3)
	v_and_b32_e32 v2, 0x8000, v2
	v_and_b32_e32 v1, 0xfc00, v1
	s_delay_alu instid0(VALU_DEP_1)
	v_or3_b32 v0, v2, v1, v0
	scratch_store_b32 off, v0, s32 offset:448 ; 4-byte Folded Spill
.LBB311_305:                            ;   in Loop: Header=BB311_11 Depth=1
	s_wait_alu 0xfffe
	s_or_b32 exec_lo, exec_lo, s16
.LBB311_306:                            ;   in Loop: Header=BB311_11 Depth=1
	s_wait_alu 0xfffe
	s_or_b32 exec_lo, exec_lo, s15
.LBB311_307:                            ;   in Loop: Header=BB311_11 Depth=1
	s_wait_alu 0xfffe
	s_or_b32 exec_lo, exec_lo, s14
	v_mov_b32_e32 v0, 0
	v_lshrrev_b16 v8, 8, v8
	s_mov_b32 s14, exec_lo
	scratch_store_b32 off, v0, s32 offset:456 ; 4-byte Folded Spill
	v_mov_b32_e32 v0, 0
	scratch_store_b32 off, v0, s32 offset:460 ; 4-byte Folded Spill
	v_cmpx_ne_u16_e32 0, v8
	s_cbranch_execz .LBB311_315
; %bb.308:                              ;   in Loop: Header=BB311_11 Depth=1
	v_bfrev_b32_e32 v0, 1
	s_mov_b32 s15, exec_lo
	scratch_store_b32 off, v0, s32 offset:460 ; 4-byte Folded Spill
	v_cmpx_ne_u16_e32 0x80, v8
	s_cbranch_execz .LBB311_314
; %bb.309:                              ;   in Loop: Header=BB311_11 Depth=1
	v_and_b32_e32 v0, 0xffff, v8
	v_mov_b32_e32 v1, 0x7c010000
	s_mov_b32 s16, exec_lo
	s_delay_alu instid0(VALU_DEP_2)
	v_and_b32_e32 v3, 0x7f, v0
	scratch_store_b32 off, v1, s32 offset:460 ; 4-byte Folded Spill
	v_cmpx_ne_u32_e32 0x7f, v3
	s_cbranch_execz .LBB311_313
; %bb.310:                              ;   in Loop: Header=BB311_11 Depth=1
	v_and_b32_e32 v1, 7, v0
	v_lshrrev_b32_e32 v2, 3, v3
	s_mov_b32 s17, exec_lo
	v_cmpx_gt_u32_e32 8, v3
; %bb.311:                              ;   in Loop: Header=BB311_11 Depth=1
	s_delay_alu instid0(VALU_DEP_3) | instskip(NEXT) | instid1(VALU_DEP_1)
	v_clz_i32_u32_e32 v1, v1
	v_min_u32_e32 v3, 32, v1
	s_delay_alu instid0(VALU_DEP_1) | instskip(NEXT) | instid1(VALU_DEP_1)
	v_subrev_nc_u32_e32 v1, 28, v3
	v_lshlrev_b64_e32 v[1:2], v1, v[8:9]
	v_sub_nc_u32_e32 v2, 29, v3
	s_delay_alu instid0(VALU_DEP_2)
	v_and_b32_e32 v1, 7, v1
; %bb.312:                              ;   in Loop: Header=BB311_11 Depth=1
	s_wait_alu 0xfffe
	s_or_b32 exec_lo, exec_lo, s17
	v_lshlrev_b32_e32 v0, 8, v0
	v_lshl_add_u32 v2, v2, 10, 0x2000
	v_lshlrev_b32_e32 v1, 23, v1
	s_delay_alu instid0(VALU_DEP_2) | instskip(NEXT) | instid1(VALU_DEP_1)
	v_and_or_b32 v0, 0x8000, v0, v2
	v_lshl_or_b32 v0, v0, 16, v1
	scratch_store_b32 off, v0, s32 offset:460 ; 4-byte Folded Spill
.LBB311_313:                            ;   in Loop: Header=BB311_11 Depth=1
	s_wait_alu 0xfffe
	s_or_b32 exec_lo, exec_lo, s16
.LBB311_314:                            ;   in Loop: Header=BB311_11 Depth=1
	s_wait_alu 0xfffe
	s_or_b32 exec_lo, exec_lo, s15
.LBB311_315:                            ;   in Loop: Header=BB311_11 Depth=1
	s_wait_alu 0xfffe
	s_or_b32 exec_lo, exec_lo, s14
	v_lshrrev_b32_e32 v8, 16, v29
	s_mov_b32 s14, exec_lo
	s_delay_alu instid0(VALU_DEP_1) | instskip(NEXT) | instid1(VALU_DEP_1)
	v_and_b32_e32 v0, 0xff, v8
	v_cmpx_ne_u16_e32 0, v0
	s_cbranch_execz .LBB311_323
; %bb.316:                              ;   in Loop: Header=BB311_11 Depth=1
	v_cmp_ne_u16_e64 s1, 0x80, v0
	v_mov_b32_e32 v0, 0x8000
	scratch_store_b32 off, v0, s32 offset:456 ; 4-byte Folded Spill
	s_and_saveexec_b32 s15, s1
	s_cbranch_execz .LBB311_322
; %bb.317:                              ;   in Loop: Header=BB311_11 Depth=1
	v_bfe_u32 v2, v29, 16, 7
	v_mov_b32_e32 v0, 0x7c01
	s_mov_b32 s16, exec_lo
	scratch_store_b32 off, v0, s32 offset:456 ; 4-byte Folded Spill
	v_cmpx_ne_u32_e32 0x7f, v2
	s_cbranch_execz .LBB311_321
; %bb.318:                              ;   in Loop: Header=BB311_11 Depth=1
	v_and_b32_e32 v0, 7, v8
	v_lshrrev_b32_e32 v1, 3, v2
	s_mov_b32 s17, exec_lo
	v_cmpx_gt_u32_e32 8, v2
; %bb.319:                              ;   in Loop: Header=BB311_11 Depth=1
	s_delay_alu instid0(VALU_DEP_3) | instskip(NEXT) | instid1(VALU_DEP_1)
	v_clz_i32_u32_e32 v0, v0
	v_min_u32_e32 v2, 32, v0
	s_delay_alu instid0(VALU_DEP_1) | instskip(NEXT) | instid1(VALU_DEP_1)
	v_subrev_nc_u32_e32 v0, 28, v2
	v_lshlrev_b64_e32 v[0:1], v0, v[8:9]
	v_sub_nc_u32_e32 v1, 29, v2
	s_delay_alu instid0(VALU_DEP_2)
	v_and_b32_e32 v0, 7, v0
; %bb.320:                              ;   in Loop: Header=BB311_11 Depth=1
	s_wait_alu 0xfffe
	s_or_b32 exec_lo, exec_lo, s17
	v_lshlrev_b32_e32 v2, 8, v8
	v_lshl_add_u32 v1, v1, 10, 0x2000
	v_lshlrev_b32_e32 v0, 7, v0
	s_delay_alu instid0(VALU_DEP_3) | instskip(NEXT) | instid1(VALU_DEP_3)
	v_and_b32_e32 v2, 0x8000, v2
	v_and_b32_e32 v1, 0xfc00, v1
	s_delay_alu instid0(VALU_DEP_1)
	v_or3_b32 v0, v2, v1, v0
	scratch_store_b32 off, v0, s32 offset:456 ; 4-byte Folded Spill
.LBB311_321:                            ;   in Loop: Header=BB311_11 Depth=1
	s_wait_alu 0xfffe
	s_or_b32 exec_lo, exec_lo, s16
.LBB311_322:                            ;   in Loop: Header=BB311_11 Depth=1
	s_wait_alu 0xfffe
	s_or_b32 exec_lo, exec_lo, s15
.LBB311_323:                            ;   in Loop: Header=BB311_11 Depth=1
	s_wait_alu 0xfffe
	s_or_b32 exec_lo, exec_lo, s14
	v_dual_mov_b32 v165, 0 :: v_dual_mov_b32 v0, 0
	s_mov_b32 s14, exec_lo
	scratch_store_b32 off, v0, s32 offset:640 ; 4-byte Folded Spill
	v_cmpx_lt_u64_e64 s[2:3], v[28:29]
	s_cbranch_execz .LBB311_331
; %bb.324:                              ;   in Loop: Header=BB311_11 Depth=1
	v_lshrrev_b32_e32 v8, 24, v29
	v_bfrev_b32_e32 v0, 1
	s_mov_b32 s15, exec_lo
	s_delay_alu instid0(VALU_DEP_2)
	v_cmpx_ne_u32_e32 0x80, v8
	s_cbranch_execz .LBB311_330
; %bb.325:                              ;   in Loop: Header=BB311_11 Depth=1
	v_and_b32_e32 v2, 0x7f, v8
	v_mov_b32_e32 v0, 0x7c010000
	s_mov_b32 s16, exec_lo
	s_delay_alu instid0(VALU_DEP_2)
	v_cmpx_ne_u32_e32 0x7f, v2
	s_cbranch_execz .LBB311_329
; %bb.326:                              ;   in Loop: Header=BB311_11 Depth=1
	v_and_b32_e32 v0, 7, v8
	v_lshrrev_b32_e32 v1, 3, v2
	s_mov_b32 s17, exec_lo
	v_cmpx_gt_u32_e32 8, v2
; %bb.327:                              ;   in Loop: Header=BB311_11 Depth=1
	s_delay_alu instid0(VALU_DEP_3) | instskip(NEXT) | instid1(VALU_DEP_1)
	v_clz_i32_u32_e32 v0, v0
	v_min_u32_e32 v2, 32, v0
	s_delay_alu instid0(VALU_DEP_1) | instskip(NEXT) | instid1(VALU_DEP_1)
	v_subrev_nc_u32_e32 v0, 28, v2
	v_lshlrev_b64_e32 v[0:1], v0, v[8:9]
	v_sub_nc_u32_e32 v1, 29, v2
	s_delay_alu instid0(VALU_DEP_2)
	v_and_b32_e32 v0, 7, v0
; %bb.328:                              ;   in Loop: Header=BB311_11 Depth=1
	s_wait_alu 0xfffe
	s_or_b32 exec_lo, exec_lo, s17
	v_lshlrev_b32_e32 v2, 8, v8
	v_lshl_add_u32 v1, v1, 10, 0x2000
	v_lshlrev_b32_e32 v0, 23, v0
	s_delay_alu instid0(VALU_DEP_2) | instskip(NEXT) | instid1(VALU_DEP_1)
	v_and_or_b32 v1, 0x8000, v2, v1
	v_lshl_or_b32 v0, v1, 16, v0
.LBB311_329:                            ;   in Loop: Header=BB311_11 Depth=1
	s_wait_alu 0xfffe
	s_or_b32 exec_lo, exec_lo, s16
.LBB311_330:                            ;   in Loop: Header=BB311_11 Depth=1
	s_wait_alu 0xfffe
	s_or_b32 exec_lo, exec_lo, s15
	scratch_store_b32 off, v0, s32 offset:640 ; 4-byte Folded Spill
.LBB311_331:                            ;   in Loop: Header=BB311_11 Depth=1
	s_wait_alu 0xfffe
	s_or_b32 exec_lo, exec_lo, s14
	flat_load_b64 v[28:29], v[20:21] offset:1032
	s_mov_b32 s14, exec_lo
	s_wait_loadcnt_dscnt 0x0
	v_and_b32_e32 v0, 0xff, v28
	s_delay_alu instid0(VALU_DEP_1)
	v_cmpx_ne_u16_e32 0, v0
	s_cbranch_execz .LBB311_339
; %bb.332:                              ;   in Loop: Header=BB311_11 Depth=1
	v_mov_b32_e32 v165, 0x8000
	s_mov_b32 s15, exec_lo
	v_cmpx_ne_u16_e32 0x80, v0
	s_cbranch_execz .LBB311_338
; %bb.333:                              ;   in Loop: Header=BB311_11 Depth=1
	v_and_b32_e32 v2, 0x7f, v28
	v_mov_b32_e32 v165, 0x7c01
	s_mov_b32 s16, exec_lo
	s_delay_alu instid0(VALU_DEP_2)
	v_cmpx_ne_u32_e32 0x7f, v2
	s_cbranch_execz .LBB311_337
; %bb.334:                              ;   in Loop: Header=BB311_11 Depth=1
	v_and_b32_e32 v0, 7, v28
	v_lshrrev_b32_e32 v1, 3, v2
	s_mov_b32 s17, exec_lo
	v_cmpx_gt_u32_e32 8, v2
; %bb.335:                              ;   in Loop: Header=BB311_11 Depth=1
	s_delay_alu instid0(VALU_DEP_3) | instskip(NEXT) | instid1(VALU_DEP_1)
	v_clz_i32_u32_e32 v0, v0
	v_min_u32_e32 v2, 32, v0
	s_delay_alu instid0(VALU_DEP_1) | instskip(NEXT) | instid1(VALU_DEP_1)
	v_subrev_nc_u32_e32 v0, 28, v2
	v_lshlrev_b64_e32 v[0:1], v0, v[28:29]
	v_sub_nc_u32_e32 v1, 29, v2
	s_delay_alu instid0(VALU_DEP_2)
	v_and_b32_e32 v0, 7, v0
; %bb.336:                              ;   in Loop: Header=BB311_11 Depth=1
	s_wait_alu 0xfffe
	s_or_b32 exec_lo, exec_lo, s17
	v_lshlrev_b32_e32 v2, 8, v28
	v_lshl_add_u32 v1, v1, 10, 0x2000
	v_lshlrev_b32_e32 v0, 7, v0
	s_delay_alu instid0(VALU_DEP_3) | instskip(NEXT) | instid1(VALU_DEP_3)
	v_and_b32_e32 v2, 0x8000, v2
	v_and_b32_e32 v1, 0xfc00, v1
	s_delay_alu instid0(VALU_DEP_1)
	v_or3_b32 v165, v2, v1, v0
.LBB311_337:                            ;   in Loop: Header=BB311_11 Depth=1
	s_wait_alu 0xfffe
	s_or_b32 exec_lo, exec_lo, s16
.LBB311_338:                            ;   in Loop: Header=BB311_11 Depth=1
	s_wait_alu 0xfffe
	s_or_b32 exec_lo, exec_lo, s15
.LBB311_339:                            ;   in Loop: Header=BB311_11 Depth=1
	s_wait_alu 0xfffe
	s_or_b32 exec_lo, exec_lo, s14
	v_mov_b32_e32 v0, 0
	v_lshrrev_b16 v8, 8, v28
	s_mov_b32 s14, exec_lo
	scratch_store_b32 off, v0, s32 offset:468 ; 4-byte Folded Spill
	v_mov_b32_e32 v0, 0
	scratch_store_b32 off, v0, s32 offset:464 ; 4-byte Folded Spill
	v_cmpx_ne_u16_e32 0, v8
	s_cbranch_execz .LBB311_347
; %bb.340:                              ;   in Loop: Header=BB311_11 Depth=1
	v_bfrev_b32_e32 v0, 1
	s_mov_b32 s15, exec_lo
	scratch_store_b32 off, v0, s32 offset:464 ; 4-byte Folded Spill
	v_cmpx_ne_u16_e32 0x80, v8
	s_cbranch_execz .LBB311_346
; %bb.341:                              ;   in Loop: Header=BB311_11 Depth=1
	v_and_b32_e32 v0, 0xffff, v8
	v_mov_b32_e32 v1, 0x7c010000
	s_mov_b32 s16, exec_lo
	s_delay_alu instid0(VALU_DEP_2)
	v_and_b32_e32 v3, 0x7f, v0
	scratch_store_b32 off, v1, s32 offset:464 ; 4-byte Folded Spill
	v_cmpx_ne_u32_e32 0x7f, v3
	s_cbranch_execz .LBB311_345
; %bb.342:                              ;   in Loop: Header=BB311_11 Depth=1
	v_and_b32_e32 v1, 7, v0
	v_lshrrev_b32_e32 v2, 3, v3
	s_mov_b32 s17, exec_lo
	v_cmpx_gt_u32_e32 8, v3
; %bb.343:                              ;   in Loop: Header=BB311_11 Depth=1
	s_delay_alu instid0(VALU_DEP_3) | instskip(NEXT) | instid1(VALU_DEP_1)
	v_clz_i32_u32_e32 v1, v1
	v_min_u32_e32 v3, 32, v1
	s_delay_alu instid0(VALU_DEP_1) | instskip(NEXT) | instid1(VALU_DEP_1)
	v_subrev_nc_u32_e32 v1, 28, v3
	v_lshlrev_b64_e32 v[1:2], v1, v[8:9]
	v_sub_nc_u32_e32 v2, 29, v3
	s_delay_alu instid0(VALU_DEP_2)
	v_and_b32_e32 v1, 7, v1
; %bb.344:                              ;   in Loop: Header=BB311_11 Depth=1
	s_wait_alu 0xfffe
	s_or_b32 exec_lo, exec_lo, s17
	v_lshlrev_b32_e32 v0, 8, v0
	v_lshl_add_u32 v2, v2, 10, 0x2000
	v_lshlrev_b32_e32 v1, 23, v1
	s_delay_alu instid0(VALU_DEP_2) | instskip(NEXT) | instid1(VALU_DEP_1)
	v_and_or_b32 v0, 0x8000, v0, v2
	v_lshl_or_b32 v0, v0, 16, v1
	scratch_store_b32 off, v0, s32 offset:464 ; 4-byte Folded Spill
.LBB311_345:                            ;   in Loop: Header=BB311_11 Depth=1
	s_wait_alu 0xfffe
	s_or_b32 exec_lo, exec_lo, s16
.LBB311_346:                            ;   in Loop: Header=BB311_11 Depth=1
	s_wait_alu 0xfffe
	s_or_b32 exec_lo, exec_lo, s15
.LBB311_347:                            ;   in Loop: Header=BB311_11 Depth=1
	s_wait_alu 0xfffe
	s_or_b32 exec_lo, exec_lo, s14
	v_lshrrev_b32_e32 v8, 16, v28
	s_mov_b32 s14, exec_lo
	s_delay_alu instid0(VALU_DEP_1) | instskip(NEXT) | instid1(VALU_DEP_1)
	v_and_b32_e32 v0, 0xff, v8
	v_cmpx_ne_u16_e32 0, v0
	s_cbranch_execz .LBB311_355
; %bb.348:                              ;   in Loop: Header=BB311_11 Depth=1
	v_cmp_ne_u16_e64 s1, 0x80, v0
	v_mov_b32_e32 v0, 0x8000
	scratch_store_b32 off, v0, s32 offset:468 ; 4-byte Folded Spill
	s_and_saveexec_b32 s15, s1
	s_cbranch_execz .LBB311_354
; %bb.349:                              ;   in Loop: Header=BB311_11 Depth=1
	v_bfe_u32 v2, v28, 16, 7
	v_mov_b32_e32 v0, 0x7c01
	s_mov_b32 s16, exec_lo
	scratch_store_b32 off, v0, s32 offset:468 ; 4-byte Folded Spill
	v_cmpx_ne_u32_e32 0x7f, v2
	s_cbranch_execz .LBB311_353
; %bb.350:                              ;   in Loop: Header=BB311_11 Depth=1
	v_and_b32_e32 v0, 7, v8
	v_lshrrev_b32_e32 v1, 3, v2
	s_mov_b32 s17, exec_lo
	v_cmpx_gt_u32_e32 8, v2
; %bb.351:                              ;   in Loop: Header=BB311_11 Depth=1
	s_delay_alu instid0(VALU_DEP_3) | instskip(NEXT) | instid1(VALU_DEP_1)
	v_clz_i32_u32_e32 v0, v0
	v_min_u32_e32 v2, 32, v0
	s_delay_alu instid0(VALU_DEP_1) | instskip(NEXT) | instid1(VALU_DEP_1)
	v_subrev_nc_u32_e32 v0, 28, v2
	v_lshlrev_b64_e32 v[0:1], v0, v[8:9]
	v_sub_nc_u32_e32 v1, 29, v2
	s_delay_alu instid0(VALU_DEP_2)
	v_and_b32_e32 v0, 7, v0
; %bb.352:                              ;   in Loop: Header=BB311_11 Depth=1
	s_wait_alu 0xfffe
	s_or_b32 exec_lo, exec_lo, s17
	v_lshlrev_b32_e32 v2, 8, v8
	v_lshl_add_u32 v1, v1, 10, 0x2000
	v_lshlrev_b32_e32 v0, 7, v0
	s_delay_alu instid0(VALU_DEP_3) | instskip(NEXT) | instid1(VALU_DEP_3)
	v_and_b32_e32 v2, 0x8000, v2
	v_and_b32_e32 v1, 0xfc00, v1
	s_delay_alu instid0(VALU_DEP_1)
	v_or3_b32 v0, v2, v1, v0
	scratch_store_b32 off, v0, s32 offset:468 ; 4-byte Folded Spill
.LBB311_353:                            ;   in Loop: Header=BB311_11 Depth=1
	s_wait_alu 0xfffe
	s_or_b32 exec_lo, exec_lo, s16
.LBB311_354:                            ;   in Loop: Header=BB311_11 Depth=1
	s_wait_alu 0xfffe
	s_or_b32 exec_lo, exec_lo, s15
.LBB311_355:                            ;   in Loop: Header=BB311_11 Depth=1
	s_wait_alu 0xfffe
	s_or_b32 exec_lo, exec_lo, s14
	v_mov_b32_e32 v0, 0
	s_mov_b32 s14, exec_lo
	scratch_store_b32 off, v0, s32 offset:472 ; 4-byte Folded Spill
	v_mov_b32_e32 v0, 0
	scratch_store_b32 off, v0, s32 offset:476 ; 4-byte Folded Spill
	v_cmpx_lt_u32_e32 0xffffff, v28
	s_cbranch_execz .LBB311_363
; %bb.356:                              ;   in Loop: Header=BB311_11 Depth=1
	v_lshrrev_b32_e32 v8, 24, v28
	v_bfrev_b32_e32 v0, 1
	s_mov_b32 s15, exec_lo
	scratch_store_b32 off, v0, s32 offset:476 ; 4-byte Folded Spill
	v_cmpx_ne_u32_e32 0x80, v8
	s_cbranch_execz .LBB311_362
; %bb.357:                              ;   in Loop: Header=BB311_11 Depth=1
	v_and_b32_e32 v2, 0x7f, v8
	v_mov_b32_e32 v0, 0x7c010000
	s_mov_b32 s16, exec_lo
	scratch_store_b32 off, v0, s32 offset:476 ; 4-byte Folded Spill
	v_cmpx_ne_u32_e32 0x7f, v2
	s_cbranch_execz .LBB311_361
; %bb.358:                              ;   in Loop: Header=BB311_11 Depth=1
	v_and_b32_e32 v0, 7, v8
	v_lshrrev_b32_e32 v1, 3, v2
	s_mov_b32 s17, exec_lo
	v_cmpx_gt_u32_e32 8, v2
; %bb.359:                              ;   in Loop: Header=BB311_11 Depth=1
	s_delay_alu instid0(VALU_DEP_3) | instskip(NEXT) | instid1(VALU_DEP_1)
	v_clz_i32_u32_e32 v0, v0
	v_min_u32_e32 v2, 32, v0
	s_delay_alu instid0(VALU_DEP_1) | instskip(NEXT) | instid1(VALU_DEP_1)
	v_subrev_nc_u32_e32 v0, 28, v2
	v_lshlrev_b64_e32 v[0:1], v0, v[8:9]
	v_sub_nc_u32_e32 v1, 29, v2
	s_delay_alu instid0(VALU_DEP_2)
	v_and_b32_e32 v0, 7, v0
; %bb.360:                              ;   in Loop: Header=BB311_11 Depth=1
	s_wait_alu 0xfffe
	s_or_b32 exec_lo, exec_lo, s17
	v_lshlrev_b32_e32 v2, 8, v8
	v_lshl_add_u32 v1, v1, 10, 0x2000
	v_lshlrev_b32_e32 v0, 23, v0
	s_delay_alu instid0(VALU_DEP_2) | instskip(NEXT) | instid1(VALU_DEP_1)
	v_and_or_b32 v1, 0x8000, v2, v1
	v_lshl_or_b32 v0, v1, 16, v0
	scratch_store_b32 off, v0, s32 offset:476 ; 4-byte Folded Spill
.LBB311_361:                            ;   in Loop: Header=BB311_11 Depth=1
	s_wait_alu 0xfffe
	s_or_b32 exec_lo, exec_lo, s16
.LBB311_362:                            ;   in Loop: Header=BB311_11 Depth=1
	s_wait_alu 0xfffe
	s_or_b32 exec_lo, exec_lo, s15
.LBB311_363:                            ;   in Loop: Header=BB311_11 Depth=1
	s_wait_alu 0xfffe
	s_or_b32 exec_lo, exec_lo, s14
	v_and_b32_e32 v0, 0xff, v29
	v_mov_b32_e32 v8, v29
	s_mov_b32 s14, exec_lo
	s_delay_alu instid0(VALU_DEP_2)
	v_cmpx_ne_u16_e32 0, v0
	s_cbranch_execz .LBB311_371
; %bb.364:                              ;   in Loop: Header=BB311_11 Depth=1
	v_cmp_ne_u16_e64 s1, 0x80, v0
	v_mov_b32_e32 v0, 0x8000
	scratch_store_b32 off, v0, s32 offset:472 ; 4-byte Folded Spill
	s_and_saveexec_b32 s15, s1
	s_cbranch_execz .LBB311_370
; %bb.365:                              ;   in Loop: Header=BB311_11 Depth=1
	v_and_b32_e32 v2, 0x7f, v29
	v_mov_b32_e32 v0, 0x7c01
	s_mov_b32 s16, exec_lo
	scratch_store_b32 off, v0, s32 offset:472 ; 4-byte Folded Spill
	v_cmpx_ne_u32_e32 0x7f, v2
	s_cbranch_execz .LBB311_369
; %bb.366:                              ;   in Loop: Header=BB311_11 Depth=1
	v_and_b32_e32 v0, 7, v29
	v_lshrrev_b32_e32 v1, 3, v2
	s_mov_b32 s17, exec_lo
	v_cmpx_gt_u32_e32 8, v2
; %bb.367:                              ;   in Loop: Header=BB311_11 Depth=1
	s_delay_alu instid0(VALU_DEP_3) | instskip(NEXT) | instid1(VALU_DEP_1)
	v_clz_i32_u32_e32 v0, v0
	v_min_u32_e32 v2, 32, v0
	s_delay_alu instid0(VALU_DEP_1) | instskip(NEXT) | instid1(VALU_DEP_1)
	v_subrev_nc_u32_e32 v0, 28, v2
	v_lshlrev_b64_e32 v[0:1], v0, v[8:9]
	v_sub_nc_u32_e32 v1, 29, v2
	s_delay_alu instid0(VALU_DEP_2)
	v_and_b32_e32 v0, 7, v0
; %bb.368:                              ;   in Loop: Header=BB311_11 Depth=1
	s_wait_alu 0xfffe
	s_or_b32 exec_lo, exec_lo, s17
	v_lshlrev_b32_e32 v2, 8, v29
	v_lshl_add_u32 v1, v1, 10, 0x2000
	v_lshlrev_b32_e32 v0, 7, v0
	s_delay_alu instid0(VALU_DEP_3) | instskip(NEXT) | instid1(VALU_DEP_3)
	v_and_b32_e32 v2, 0x8000, v2
	v_and_b32_e32 v1, 0xfc00, v1
	s_delay_alu instid0(VALU_DEP_1)
	v_or3_b32 v0, v2, v1, v0
	scratch_store_b32 off, v0, s32 offset:472 ; 4-byte Folded Spill
.LBB311_369:                            ;   in Loop: Header=BB311_11 Depth=1
	s_wait_alu 0xfffe
	s_or_b32 exec_lo, exec_lo, s16
.LBB311_370:                            ;   in Loop: Header=BB311_11 Depth=1
	s_wait_alu 0xfffe
	s_or_b32 exec_lo, exec_lo, s15
.LBB311_371:                            ;   in Loop: Header=BB311_11 Depth=1
	s_wait_alu 0xfffe
	s_or_b32 exec_lo, exec_lo, s14
	v_mov_b32_e32 v0, 0
	v_lshrrev_b16 v8, 8, v8
	s_mov_b32 s14, exec_lo
	scratch_store_b32 off, v0, s32 offset:480 ; 4-byte Folded Spill
	v_mov_b32_e32 v0, 0
	scratch_store_b32 off, v0, s32 offset:484 ; 4-byte Folded Spill
	v_cmpx_ne_u16_e32 0, v8
	s_cbranch_execz .LBB311_379
; %bb.372:                              ;   in Loop: Header=BB311_11 Depth=1
	v_bfrev_b32_e32 v0, 1
	s_mov_b32 s15, exec_lo
	scratch_store_b32 off, v0, s32 offset:484 ; 4-byte Folded Spill
	v_cmpx_ne_u16_e32 0x80, v8
	s_cbranch_execz .LBB311_378
; %bb.373:                              ;   in Loop: Header=BB311_11 Depth=1
	v_and_b32_e32 v0, 0xffff, v8
	v_mov_b32_e32 v1, 0x7c010000
	s_mov_b32 s16, exec_lo
	s_delay_alu instid0(VALU_DEP_2)
	v_and_b32_e32 v3, 0x7f, v0
	scratch_store_b32 off, v1, s32 offset:484 ; 4-byte Folded Spill
	v_cmpx_ne_u32_e32 0x7f, v3
	s_cbranch_execz .LBB311_377
; %bb.374:                              ;   in Loop: Header=BB311_11 Depth=1
	v_and_b32_e32 v1, 7, v0
	v_lshrrev_b32_e32 v2, 3, v3
	s_mov_b32 s17, exec_lo
	v_cmpx_gt_u32_e32 8, v3
; %bb.375:                              ;   in Loop: Header=BB311_11 Depth=1
	s_delay_alu instid0(VALU_DEP_3) | instskip(NEXT) | instid1(VALU_DEP_1)
	v_clz_i32_u32_e32 v1, v1
	v_min_u32_e32 v3, 32, v1
	s_delay_alu instid0(VALU_DEP_1) | instskip(NEXT) | instid1(VALU_DEP_1)
	v_subrev_nc_u32_e32 v1, 28, v3
	v_lshlrev_b64_e32 v[1:2], v1, v[8:9]
	v_sub_nc_u32_e32 v2, 29, v3
	s_delay_alu instid0(VALU_DEP_2)
	v_and_b32_e32 v1, 7, v1
; %bb.376:                              ;   in Loop: Header=BB311_11 Depth=1
	s_wait_alu 0xfffe
	s_or_b32 exec_lo, exec_lo, s17
	v_lshlrev_b32_e32 v0, 8, v0
	v_lshl_add_u32 v2, v2, 10, 0x2000
	v_lshlrev_b32_e32 v1, 23, v1
	s_delay_alu instid0(VALU_DEP_2) | instskip(NEXT) | instid1(VALU_DEP_1)
	v_and_or_b32 v0, 0x8000, v0, v2
	v_lshl_or_b32 v0, v0, 16, v1
	scratch_store_b32 off, v0, s32 offset:484 ; 4-byte Folded Spill
.LBB311_377:                            ;   in Loop: Header=BB311_11 Depth=1
	s_wait_alu 0xfffe
	s_or_b32 exec_lo, exec_lo, s16
.LBB311_378:                            ;   in Loop: Header=BB311_11 Depth=1
	s_wait_alu 0xfffe
	s_or_b32 exec_lo, exec_lo, s15
.LBB311_379:                            ;   in Loop: Header=BB311_11 Depth=1
	s_wait_alu 0xfffe
	s_or_b32 exec_lo, exec_lo, s14
	v_lshrrev_b32_e32 v8, 16, v29
	s_mov_b32 s14, exec_lo
	s_delay_alu instid0(VALU_DEP_1) | instskip(NEXT) | instid1(VALU_DEP_1)
	v_and_b32_e32 v0, 0xff, v8
	v_cmpx_ne_u16_e32 0, v0
	s_cbranch_execz .LBB311_387
; %bb.380:                              ;   in Loop: Header=BB311_11 Depth=1
	v_cmp_ne_u16_e64 s1, 0x80, v0
	v_mov_b32_e32 v0, 0x8000
	scratch_store_b32 off, v0, s32 offset:480 ; 4-byte Folded Spill
	s_and_saveexec_b32 s15, s1
	s_cbranch_execz .LBB311_386
; %bb.381:                              ;   in Loop: Header=BB311_11 Depth=1
	v_bfe_u32 v2, v29, 16, 7
	v_mov_b32_e32 v0, 0x7c01
	s_mov_b32 s16, exec_lo
	scratch_store_b32 off, v0, s32 offset:480 ; 4-byte Folded Spill
	v_cmpx_ne_u32_e32 0x7f, v2
	s_cbranch_execz .LBB311_385
; %bb.382:                              ;   in Loop: Header=BB311_11 Depth=1
	v_and_b32_e32 v0, 7, v8
	v_lshrrev_b32_e32 v1, 3, v2
	s_mov_b32 s17, exec_lo
	v_cmpx_gt_u32_e32 8, v2
; %bb.383:                              ;   in Loop: Header=BB311_11 Depth=1
	s_delay_alu instid0(VALU_DEP_3) | instskip(NEXT) | instid1(VALU_DEP_1)
	v_clz_i32_u32_e32 v0, v0
	v_min_u32_e32 v2, 32, v0
	s_delay_alu instid0(VALU_DEP_1) | instskip(NEXT) | instid1(VALU_DEP_1)
	v_subrev_nc_u32_e32 v0, 28, v2
	v_lshlrev_b64_e32 v[0:1], v0, v[8:9]
	v_sub_nc_u32_e32 v1, 29, v2
	s_delay_alu instid0(VALU_DEP_2)
	v_and_b32_e32 v0, 7, v0
; %bb.384:                              ;   in Loop: Header=BB311_11 Depth=1
	s_wait_alu 0xfffe
	s_or_b32 exec_lo, exec_lo, s17
	v_lshlrev_b32_e32 v2, 8, v8
	v_lshl_add_u32 v1, v1, 10, 0x2000
	v_lshlrev_b32_e32 v0, 7, v0
	s_delay_alu instid0(VALU_DEP_3) | instskip(NEXT) | instid1(VALU_DEP_3)
	v_and_b32_e32 v2, 0x8000, v2
	v_and_b32_e32 v1, 0xfc00, v1
	s_delay_alu instid0(VALU_DEP_1)
	v_or3_b32 v0, v2, v1, v0
	scratch_store_b32 off, v0, s32 offset:480 ; 4-byte Folded Spill
.LBB311_385:                            ;   in Loop: Header=BB311_11 Depth=1
	s_wait_alu 0xfffe
	s_or_b32 exec_lo, exec_lo, s16
.LBB311_386:                            ;   in Loop: Header=BB311_11 Depth=1
	s_wait_alu 0xfffe
	s_or_b32 exec_lo, exec_lo, s15
.LBB311_387:                            ;   in Loop: Header=BB311_11 Depth=1
	s_wait_alu 0xfffe
	s_or_b32 exec_lo, exec_lo, s14
	v_mov_b32_e32 v164, 0
	v_mov_b32_e32 v0, 0
	s_mov_b32 s14, exec_lo
	scratch_store_b32 off, v0, s32 offset:644 ; 4-byte Folded Spill
	v_cmpx_lt_u64_e64 s[2:3], v[28:29]
	s_cbranch_execz .LBB311_395
; %bb.388:                              ;   in Loop: Header=BB311_11 Depth=1
	v_lshrrev_b32_e32 v8, 24, v29
	v_bfrev_b32_e32 v0, 1
	s_mov_b32 s15, exec_lo
	s_delay_alu instid0(VALU_DEP_2)
	v_cmpx_ne_u32_e32 0x80, v8
	s_cbranch_execz .LBB311_394
; %bb.389:                              ;   in Loop: Header=BB311_11 Depth=1
	v_and_b32_e32 v2, 0x7f, v8
	v_mov_b32_e32 v0, 0x7c010000
	s_mov_b32 s16, exec_lo
	s_delay_alu instid0(VALU_DEP_2)
	v_cmpx_ne_u32_e32 0x7f, v2
	s_cbranch_execz .LBB311_393
; %bb.390:                              ;   in Loop: Header=BB311_11 Depth=1
	v_and_b32_e32 v0, 7, v8
	v_lshrrev_b32_e32 v1, 3, v2
	s_mov_b32 s17, exec_lo
	v_cmpx_gt_u32_e32 8, v2
; %bb.391:                              ;   in Loop: Header=BB311_11 Depth=1
	s_delay_alu instid0(VALU_DEP_3) | instskip(NEXT) | instid1(VALU_DEP_1)
	v_clz_i32_u32_e32 v0, v0
	v_min_u32_e32 v2, 32, v0
	s_delay_alu instid0(VALU_DEP_1) | instskip(NEXT) | instid1(VALU_DEP_1)
	v_subrev_nc_u32_e32 v0, 28, v2
	v_lshlrev_b64_e32 v[0:1], v0, v[8:9]
	v_sub_nc_u32_e32 v1, 29, v2
	s_delay_alu instid0(VALU_DEP_2)
	v_and_b32_e32 v0, 7, v0
; %bb.392:                              ;   in Loop: Header=BB311_11 Depth=1
	s_wait_alu 0xfffe
	s_or_b32 exec_lo, exec_lo, s17
	v_lshlrev_b32_e32 v2, 8, v8
	v_lshl_add_u32 v1, v1, 10, 0x2000
	v_lshlrev_b32_e32 v0, 23, v0
	s_delay_alu instid0(VALU_DEP_2) | instskip(NEXT) | instid1(VALU_DEP_1)
	v_and_or_b32 v1, 0x8000, v2, v1
	v_lshl_or_b32 v0, v1, 16, v0
.LBB311_393:                            ;   in Loop: Header=BB311_11 Depth=1
	s_wait_alu 0xfffe
	s_or_b32 exec_lo, exec_lo, s16
.LBB311_394:                            ;   in Loop: Header=BB311_11 Depth=1
	s_wait_alu 0xfffe
	s_or_b32 exec_lo, exec_lo, s15
	scratch_store_b32 off, v0, s32 offset:644 ; 4-byte Folded Spill
.LBB311_395:                            ;   in Loop: Header=BB311_11 Depth=1
	s_wait_alu 0xfffe
	s_or_b32 exec_lo, exec_lo, s14
	flat_load_b64 v[28:29], v[20:21] offset:1536
	s_mov_b32 s14, exec_lo
	s_wait_loadcnt_dscnt 0x0
	v_and_b32_e32 v0, 0xff, v28
	s_delay_alu instid0(VALU_DEP_1)
	v_cmpx_ne_u16_e32 0, v0
	s_cbranch_execz .LBB311_403
; %bb.396:                              ;   in Loop: Header=BB311_11 Depth=1
	v_mov_b32_e32 v164, 0x8000
	s_mov_b32 s15, exec_lo
	v_cmpx_ne_u16_e32 0x80, v0
	s_cbranch_execz .LBB311_402
; %bb.397:                              ;   in Loop: Header=BB311_11 Depth=1
	v_and_b32_e32 v2, 0x7f, v28
	v_mov_b32_e32 v164, 0x7c01
	s_mov_b32 s16, exec_lo
	s_delay_alu instid0(VALU_DEP_2)
	v_cmpx_ne_u32_e32 0x7f, v2
	s_cbranch_execz .LBB311_401
; %bb.398:                              ;   in Loop: Header=BB311_11 Depth=1
	v_and_b32_e32 v0, 7, v28
	v_lshrrev_b32_e32 v1, 3, v2
	s_mov_b32 s17, exec_lo
	v_cmpx_gt_u32_e32 8, v2
; %bb.399:                              ;   in Loop: Header=BB311_11 Depth=1
	s_delay_alu instid0(VALU_DEP_3) | instskip(NEXT) | instid1(VALU_DEP_1)
	v_clz_i32_u32_e32 v0, v0
	v_min_u32_e32 v2, 32, v0
	s_delay_alu instid0(VALU_DEP_1) | instskip(NEXT) | instid1(VALU_DEP_1)
	v_subrev_nc_u32_e32 v0, 28, v2
	v_lshlrev_b64_e32 v[0:1], v0, v[28:29]
	v_sub_nc_u32_e32 v1, 29, v2
	s_delay_alu instid0(VALU_DEP_2)
	v_and_b32_e32 v0, 7, v0
; %bb.400:                              ;   in Loop: Header=BB311_11 Depth=1
	s_wait_alu 0xfffe
	s_or_b32 exec_lo, exec_lo, s17
	v_lshlrev_b32_e32 v2, 8, v28
	v_lshl_add_u32 v1, v1, 10, 0x2000
	v_lshlrev_b32_e32 v0, 7, v0
	s_delay_alu instid0(VALU_DEP_3) | instskip(NEXT) | instid1(VALU_DEP_3)
	v_and_b32_e32 v2, 0x8000, v2
	v_and_b32_e32 v1, 0xfc00, v1
	s_delay_alu instid0(VALU_DEP_1)
	v_or3_b32 v164, v2, v1, v0
.LBB311_401:                            ;   in Loop: Header=BB311_11 Depth=1
	s_wait_alu 0xfffe
	s_or_b32 exec_lo, exec_lo, s16
.LBB311_402:                            ;   in Loop: Header=BB311_11 Depth=1
	s_wait_alu 0xfffe
	s_or_b32 exec_lo, exec_lo, s15
.LBB311_403:                            ;   in Loop: Header=BB311_11 Depth=1
	s_wait_alu 0xfffe
	s_or_b32 exec_lo, exec_lo, s14
	v_mov_b32_e32 v0, 0
	v_lshrrev_b16 v8, 8, v28
	s_mov_b32 s14, exec_lo
	scratch_store_b32 off, v0, s32 offset:492 ; 4-byte Folded Spill
	v_mov_b32_e32 v0, 0
	scratch_store_b32 off, v0, s32 offset:488 ; 4-byte Folded Spill
	v_cmpx_ne_u16_e32 0, v8
	s_cbranch_execz .LBB311_411
; %bb.404:                              ;   in Loop: Header=BB311_11 Depth=1
	v_bfrev_b32_e32 v0, 1
	s_mov_b32 s15, exec_lo
	scratch_store_b32 off, v0, s32 offset:488 ; 4-byte Folded Spill
	v_cmpx_ne_u16_e32 0x80, v8
	s_cbranch_execz .LBB311_410
; %bb.405:                              ;   in Loop: Header=BB311_11 Depth=1
	v_and_b32_e32 v0, 0xffff, v8
	v_mov_b32_e32 v1, 0x7c010000
	s_mov_b32 s16, exec_lo
	s_delay_alu instid0(VALU_DEP_2)
	v_and_b32_e32 v3, 0x7f, v0
	scratch_store_b32 off, v1, s32 offset:488 ; 4-byte Folded Spill
	v_cmpx_ne_u32_e32 0x7f, v3
	s_cbranch_execz .LBB311_409
; %bb.406:                              ;   in Loop: Header=BB311_11 Depth=1
	v_and_b32_e32 v1, 7, v0
	v_lshrrev_b32_e32 v2, 3, v3
	s_mov_b32 s17, exec_lo
	v_cmpx_gt_u32_e32 8, v3
; %bb.407:                              ;   in Loop: Header=BB311_11 Depth=1
	s_delay_alu instid0(VALU_DEP_3) | instskip(NEXT) | instid1(VALU_DEP_1)
	v_clz_i32_u32_e32 v1, v1
	v_min_u32_e32 v3, 32, v1
	s_delay_alu instid0(VALU_DEP_1) | instskip(NEXT) | instid1(VALU_DEP_1)
	v_subrev_nc_u32_e32 v1, 28, v3
	v_lshlrev_b64_e32 v[1:2], v1, v[8:9]
	v_sub_nc_u32_e32 v2, 29, v3
	s_delay_alu instid0(VALU_DEP_2)
	v_and_b32_e32 v1, 7, v1
; %bb.408:                              ;   in Loop: Header=BB311_11 Depth=1
	s_wait_alu 0xfffe
	s_or_b32 exec_lo, exec_lo, s17
	v_lshlrev_b32_e32 v0, 8, v0
	v_lshl_add_u32 v2, v2, 10, 0x2000
	v_lshlrev_b32_e32 v1, 23, v1
	s_delay_alu instid0(VALU_DEP_2) | instskip(NEXT) | instid1(VALU_DEP_1)
	v_and_or_b32 v0, 0x8000, v0, v2
	v_lshl_or_b32 v0, v0, 16, v1
	scratch_store_b32 off, v0, s32 offset:488 ; 4-byte Folded Spill
.LBB311_409:                            ;   in Loop: Header=BB311_11 Depth=1
	s_wait_alu 0xfffe
	s_or_b32 exec_lo, exec_lo, s16
.LBB311_410:                            ;   in Loop: Header=BB311_11 Depth=1
	s_wait_alu 0xfffe
	s_or_b32 exec_lo, exec_lo, s15
.LBB311_411:                            ;   in Loop: Header=BB311_11 Depth=1
	s_wait_alu 0xfffe
	s_or_b32 exec_lo, exec_lo, s14
	v_lshrrev_b32_e32 v8, 16, v28
	s_mov_b32 s14, exec_lo
	s_delay_alu instid0(VALU_DEP_1) | instskip(NEXT) | instid1(VALU_DEP_1)
	v_and_b32_e32 v0, 0xff, v8
	v_cmpx_ne_u16_e32 0, v0
	s_cbranch_execz .LBB311_419
; %bb.412:                              ;   in Loop: Header=BB311_11 Depth=1
	v_cmp_ne_u16_e64 s1, 0x80, v0
	v_mov_b32_e32 v0, 0x8000
	scratch_store_b32 off, v0, s32 offset:492 ; 4-byte Folded Spill
	s_and_saveexec_b32 s15, s1
	s_cbranch_execz .LBB311_418
; %bb.413:                              ;   in Loop: Header=BB311_11 Depth=1
	v_bfe_u32 v2, v28, 16, 7
	v_mov_b32_e32 v0, 0x7c01
	s_mov_b32 s16, exec_lo
	scratch_store_b32 off, v0, s32 offset:492 ; 4-byte Folded Spill
	v_cmpx_ne_u32_e32 0x7f, v2
	s_cbranch_execz .LBB311_417
; %bb.414:                              ;   in Loop: Header=BB311_11 Depth=1
	v_and_b32_e32 v0, 7, v8
	v_lshrrev_b32_e32 v1, 3, v2
	s_mov_b32 s17, exec_lo
	v_cmpx_gt_u32_e32 8, v2
; %bb.415:                              ;   in Loop: Header=BB311_11 Depth=1
	s_delay_alu instid0(VALU_DEP_3) | instskip(NEXT) | instid1(VALU_DEP_1)
	v_clz_i32_u32_e32 v0, v0
	v_min_u32_e32 v2, 32, v0
	s_delay_alu instid0(VALU_DEP_1) | instskip(NEXT) | instid1(VALU_DEP_1)
	v_subrev_nc_u32_e32 v0, 28, v2
	v_lshlrev_b64_e32 v[0:1], v0, v[8:9]
	v_sub_nc_u32_e32 v1, 29, v2
	s_delay_alu instid0(VALU_DEP_2)
	v_and_b32_e32 v0, 7, v0
; %bb.416:                              ;   in Loop: Header=BB311_11 Depth=1
	s_wait_alu 0xfffe
	s_or_b32 exec_lo, exec_lo, s17
	v_lshlrev_b32_e32 v2, 8, v8
	v_lshl_add_u32 v1, v1, 10, 0x2000
	v_lshlrev_b32_e32 v0, 7, v0
	s_delay_alu instid0(VALU_DEP_3) | instskip(NEXT) | instid1(VALU_DEP_3)
	v_and_b32_e32 v2, 0x8000, v2
	v_and_b32_e32 v1, 0xfc00, v1
	s_delay_alu instid0(VALU_DEP_1)
	v_or3_b32 v0, v2, v1, v0
	scratch_store_b32 off, v0, s32 offset:492 ; 4-byte Folded Spill
.LBB311_417:                            ;   in Loop: Header=BB311_11 Depth=1
	s_wait_alu 0xfffe
	s_or_b32 exec_lo, exec_lo, s16
.LBB311_418:                            ;   in Loop: Header=BB311_11 Depth=1
	s_wait_alu 0xfffe
	s_or_b32 exec_lo, exec_lo, s15
.LBB311_419:                            ;   in Loop: Header=BB311_11 Depth=1
	s_wait_alu 0xfffe
	s_or_b32 exec_lo, exec_lo, s14
	v_mov_b32_e32 v0, 0
	s_mov_b32 s14, exec_lo
	scratch_store_b32 off, v0, s32 offset:496 ; 4-byte Folded Spill
	v_mov_b32_e32 v0, 0
	scratch_store_b32 off, v0, s32 offset:500 ; 4-byte Folded Spill
	v_cmpx_lt_u32_e32 0xffffff, v28
	s_cbranch_execz .LBB311_427
; %bb.420:                              ;   in Loop: Header=BB311_11 Depth=1
	v_lshrrev_b32_e32 v8, 24, v28
	v_bfrev_b32_e32 v0, 1
	s_mov_b32 s15, exec_lo
	scratch_store_b32 off, v0, s32 offset:500 ; 4-byte Folded Spill
	v_cmpx_ne_u32_e32 0x80, v8
	s_cbranch_execz .LBB311_426
; %bb.421:                              ;   in Loop: Header=BB311_11 Depth=1
	v_and_b32_e32 v2, 0x7f, v8
	v_mov_b32_e32 v0, 0x7c010000
	s_mov_b32 s16, exec_lo
	scratch_store_b32 off, v0, s32 offset:500 ; 4-byte Folded Spill
	v_cmpx_ne_u32_e32 0x7f, v2
	s_cbranch_execz .LBB311_425
; %bb.422:                              ;   in Loop: Header=BB311_11 Depth=1
	v_and_b32_e32 v0, 7, v8
	v_lshrrev_b32_e32 v1, 3, v2
	s_mov_b32 s17, exec_lo
	v_cmpx_gt_u32_e32 8, v2
; %bb.423:                              ;   in Loop: Header=BB311_11 Depth=1
	s_delay_alu instid0(VALU_DEP_3) | instskip(NEXT) | instid1(VALU_DEP_1)
	v_clz_i32_u32_e32 v0, v0
	v_min_u32_e32 v2, 32, v0
	s_delay_alu instid0(VALU_DEP_1) | instskip(NEXT) | instid1(VALU_DEP_1)
	v_subrev_nc_u32_e32 v0, 28, v2
	v_lshlrev_b64_e32 v[0:1], v0, v[8:9]
	v_sub_nc_u32_e32 v1, 29, v2
	s_delay_alu instid0(VALU_DEP_2)
	v_and_b32_e32 v0, 7, v0
; %bb.424:                              ;   in Loop: Header=BB311_11 Depth=1
	s_wait_alu 0xfffe
	s_or_b32 exec_lo, exec_lo, s17
	v_lshlrev_b32_e32 v2, 8, v8
	v_lshl_add_u32 v1, v1, 10, 0x2000
	v_lshlrev_b32_e32 v0, 23, v0
	s_delay_alu instid0(VALU_DEP_2) | instskip(NEXT) | instid1(VALU_DEP_1)
	v_and_or_b32 v1, 0x8000, v2, v1
	v_lshl_or_b32 v0, v1, 16, v0
	scratch_store_b32 off, v0, s32 offset:500 ; 4-byte Folded Spill
.LBB311_425:                            ;   in Loop: Header=BB311_11 Depth=1
	s_wait_alu 0xfffe
	s_or_b32 exec_lo, exec_lo, s16
.LBB311_426:                            ;   in Loop: Header=BB311_11 Depth=1
	s_wait_alu 0xfffe
	s_or_b32 exec_lo, exec_lo, s15
.LBB311_427:                            ;   in Loop: Header=BB311_11 Depth=1
	s_wait_alu 0xfffe
	s_or_b32 exec_lo, exec_lo, s14
	v_and_b32_e32 v0, 0xff, v29
	v_mov_b32_e32 v8, v29
	s_mov_b32 s14, exec_lo
	s_delay_alu instid0(VALU_DEP_2)
	v_cmpx_ne_u16_e32 0, v0
	s_cbranch_execz .LBB311_435
; %bb.428:                              ;   in Loop: Header=BB311_11 Depth=1
	v_cmp_ne_u16_e64 s1, 0x80, v0
	v_mov_b32_e32 v0, 0x8000
	scratch_store_b32 off, v0, s32 offset:496 ; 4-byte Folded Spill
	s_and_saveexec_b32 s15, s1
	s_cbranch_execz .LBB311_434
; %bb.429:                              ;   in Loop: Header=BB311_11 Depth=1
	v_and_b32_e32 v2, 0x7f, v29
	v_mov_b32_e32 v0, 0x7c01
	s_mov_b32 s16, exec_lo
	scratch_store_b32 off, v0, s32 offset:496 ; 4-byte Folded Spill
	v_cmpx_ne_u32_e32 0x7f, v2
	s_cbranch_execz .LBB311_433
; %bb.430:                              ;   in Loop: Header=BB311_11 Depth=1
	v_and_b32_e32 v0, 7, v29
	v_lshrrev_b32_e32 v1, 3, v2
	s_mov_b32 s17, exec_lo
	v_cmpx_gt_u32_e32 8, v2
; %bb.431:                              ;   in Loop: Header=BB311_11 Depth=1
	s_delay_alu instid0(VALU_DEP_3) | instskip(NEXT) | instid1(VALU_DEP_1)
	v_clz_i32_u32_e32 v0, v0
	v_min_u32_e32 v2, 32, v0
	s_delay_alu instid0(VALU_DEP_1) | instskip(NEXT) | instid1(VALU_DEP_1)
	v_subrev_nc_u32_e32 v0, 28, v2
	v_lshlrev_b64_e32 v[0:1], v0, v[8:9]
	v_sub_nc_u32_e32 v1, 29, v2
	s_delay_alu instid0(VALU_DEP_2)
	v_and_b32_e32 v0, 7, v0
; %bb.432:                              ;   in Loop: Header=BB311_11 Depth=1
	s_wait_alu 0xfffe
	s_or_b32 exec_lo, exec_lo, s17
	v_lshlrev_b32_e32 v2, 8, v29
	v_lshl_add_u32 v1, v1, 10, 0x2000
	v_lshlrev_b32_e32 v0, 7, v0
	s_delay_alu instid0(VALU_DEP_3) | instskip(NEXT) | instid1(VALU_DEP_3)
	v_and_b32_e32 v2, 0x8000, v2
	v_and_b32_e32 v1, 0xfc00, v1
	s_delay_alu instid0(VALU_DEP_1)
	v_or3_b32 v0, v2, v1, v0
	scratch_store_b32 off, v0, s32 offset:496 ; 4-byte Folded Spill
.LBB311_433:                            ;   in Loop: Header=BB311_11 Depth=1
	s_wait_alu 0xfffe
	s_or_b32 exec_lo, exec_lo, s16
.LBB311_434:                            ;   in Loop: Header=BB311_11 Depth=1
	s_wait_alu 0xfffe
	s_or_b32 exec_lo, exec_lo, s15
.LBB311_435:                            ;   in Loop: Header=BB311_11 Depth=1
	s_wait_alu 0xfffe
	s_or_b32 exec_lo, exec_lo, s14
	v_lshrrev_b16 v8, 8, v8
	v_dual_mov_b32 v0, 0 :: v_dual_mov_b32 v151, 0
	s_mov_b32 s14, exec_lo
	scratch_store_b32 off, v0, s32 offset:504 ; 4-byte Folded Spill
	v_cmpx_ne_u16_e32 0, v8
	s_cbranch_execz .LBB311_443
; %bb.436:                              ;   in Loop: Header=BB311_11 Depth=1
	v_bfrev_b32_e32 v151, 1
	s_mov_b32 s15, exec_lo
	v_cmpx_ne_u16_e32 0x80, v8
	s_cbranch_execz .LBB311_442
; %bb.437:                              ;   in Loop: Header=BB311_11 Depth=1
	v_and_b32_e32 v0, 0xffff, v8
	v_mov_b32_e32 v151, 0x7c010000
	s_mov_b32 s16, exec_lo
	s_delay_alu instid0(VALU_DEP_2) | instskip(NEXT) | instid1(VALU_DEP_1)
	v_and_b32_e32 v3, 0x7f, v0
	v_cmpx_ne_u32_e32 0x7f, v3
	s_cbranch_execz .LBB311_441
; %bb.438:                              ;   in Loop: Header=BB311_11 Depth=1
	v_and_b32_e32 v1, 7, v0
	v_lshrrev_b32_e32 v2, 3, v3
	s_mov_b32 s17, exec_lo
	v_cmpx_gt_u32_e32 8, v3
; %bb.439:                              ;   in Loop: Header=BB311_11 Depth=1
	s_delay_alu instid0(VALU_DEP_3) | instskip(NEXT) | instid1(VALU_DEP_1)
	v_clz_i32_u32_e32 v1, v1
	v_min_u32_e32 v3, 32, v1
	s_delay_alu instid0(VALU_DEP_1) | instskip(NEXT) | instid1(VALU_DEP_1)
	v_subrev_nc_u32_e32 v1, 28, v3
	v_lshlrev_b64_e32 v[1:2], v1, v[8:9]
	v_sub_nc_u32_e32 v2, 29, v3
	s_delay_alu instid0(VALU_DEP_2)
	v_and_b32_e32 v1, 7, v1
; %bb.440:                              ;   in Loop: Header=BB311_11 Depth=1
	s_wait_alu 0xfffe
	s_or_b32 exec_lo, exec_lo, s17
	v_lshlrev_b32_e32 v0, 8, v0
	v_lshl_add_u32 v2, v2, 10, 0x2000
	v_lshlrev_b32_e32 v1, 23, v1
	s_delay_alu instid0(VALU_DEP_2) | instskip(NEXT) | instid1(VALU_DEP_1)
	v_and_or_b32 v0, 0x8000, v0, v2
	v_lshl_or_b32 v151, v0, 16, v1
.LBB311_441:                            ;   in Loop: Header=BB311_11 Depth=1
	s_wait_alu 0xfffe
	s_or_b32 exec_lo, exec_lo, s16
.LBB311_442:                            ;   in Loop: Header=BB311_11 Depth=1
	s_wait_alu 0xfffe
	s_or_b32 exec_lo, exec_lo, s15
.LBB311_443:                            ;   in Loop: Header=BB311_11 Depth=1
	s_wait_alu 0xfffe
	s_or_b32 exec_lo, exec_lo, s14
	v_lshrrev_b32_e32 v8, 16, v29
	s_mov_b32 s14, exec_lo
	s_delay_alu instid0(VALU_DEP_1) | instskip(NEXT) | instid1(VALU_DEP_1)
	v_and_b32_e32 v0, 0xff, v8
	v_cmpx_ne_u16_e32 0, v0
	s_cbranch_execz .LBB311_451
; %bb.444:                              ;   in Loop: Header=BB311_11 Depth=1
	v_cmp_ne_u16_e64 s1, 0x80, v0
	v_mov_b32_e32 v0, 0x8000
	scratch_store_b32 off, v0, s32 offset:504 ; 4-byte Folded Spill
	s_and_saveexec_b32 s15, s1
	s_cbranch_execz .LBB311_450
; %bb.445:                              ;   in Loop: Header=BB311_11 Depth=1
	v_bfe_u32 v2, v29, 16, 7
	v_mov_b32_e32 v0, 0x7c01
	s_mov_b32 s16, exec_lo
	scratch_store_b32 off, v0, s32 offset:504 ; 4-byte Folded Spill
	v_cmpx_ne_u32_e32 0x7f, v2
	s_cbranch_execz .LBB311_449
; %bb.446:                              ;   in Loop: Header=BB311_11 Depth=1
	v_and_b32_e32 v0, 7, v8
	v_lshrrev_b32_e32 v1, 3, v2
	s_mov_b32 s17, exec_lo
	v_cmpx_gt_u32_e32 8, v2
; %bb.447:                              ;   in Loop: Header=BB311_11 Depth=1
	s_delay_alu instid0(VALU_DEP_3) | instskip(NEXT) | instid1(VALU_DEP_1)
	v_clz_i32_u32_e32 v0, v0
	v_min_u32_e32 v2, 32, v0
	s_delay_alu instid0(VALU_DEP_1) | instskip(NEXT) | instid1(VALU_DEP_1)
	v_subrev_nc_u32_e32 v0, 28, v2
	v_lshlrev_b64_e32 v[0:1], v0, v[8:9]
	v_sub_nc_u32_e32 v1, 29, v2
	s_delay_alu instid0(VALU_DEP_2)
	v_and_b32_e32 v0, 7, v0
; %bb.448:                              ;   in Loop: Header=BB311_11 Depth=1
	s_wait_alu 0xfffe
	s_or_b32 exec_lo, exec_lo, s17
	v_lshlrev_b32_e32 v2, 8, v8
	v_lshl_add_u32 v1, v1, 10, 0x2000
	v_lshlrev_b32_e32 v0, 7, v0
	s_delay_alu instid0(VALU_DEP_3) | instskip(NEXT) | instid1(VALU_DEP_3)
	v_and_b32_e32 v2, 0x8000, v2
	v_and_b32_e32 v1, 0xfc00, v1
	s_delay_alu instid0(VALU_DEP_1)
	v_or3_b32 v0, v2, v1, v0
	scratch_store_b32 off, v0, s32 offset:504 ; 4-byte Folded Spill
.LBB311_449:                            ;   in Loop: Header=BB311_11 Depth=1
	s_wait_alu 0xfffe
	s_or_b32 exec_lo, exec_lo, s16
.LBB311_450:                            ;   in Loop: Header=BB311_11 Depth=1
	s_wait_alu 0xfffe
	s_or_b32 exec_lo, exec_lo, s15
.LBB311_451:                            ;   in Loop: Header=BB311_11 Depth=1
	s_wait_alu 0xfffe
	s_or_b32 exec_lo, exec_lo, s14
	v_mov_b32_e32 v0, 0
	v_mov_b32_e32 v68, 0
	s_mov_b32 s14, exec_lo
	scratch_store_b32 off, v0, s32 offset:508 ; 4-byte Folded Spill
	v_cmpx_lt_u64_e64 s[2:3], v[28:29]
	s_cbranch_execz .LBB311_459
; %bb.452:                              ;   in Loop: Header=BB311_11 Depth=1
	v_lshrrev_b32_e32 v8, 24, v29
	v_bfrev_b32_e32 v68, 1
	s_mov_b32 s15, exec_lo
	s_delay_alu instid0(VALU_DEP_2)
	v_cmpx_ne_u32_e32 0x80, v8
	s_cbranch_execz .LBB311_458
; %bb.453:                              ;   in Loop: Header=BB311_11 Depth=1
	v_and_b32_e32 v2, 0x7f, v8
	v_mov_b32_e32 v68, 0x7c010000
	s_mov_b32 s16, exec_lo
	s_delay_alu instid0(VALU_DEP_2)
	v_cmpx_ne_u32_e32 0x7f, v2
	s_cbranch_execz .LBB311_457
; %bb.454:                              ;   in Loop: Header=BB311_11 Depth=1
	v_and_b32_e32 v0, 7, v8
	v_lshrrev_b32_e32 v1, 3, v2
	s_mov_b32 s17, exec_lo
	v_cmpx_gt_u32_e32 8, v2
; %bb.455:                              ;   in Loop: Header=BB311_11 Depth=1
	s_delay_alu instid0(VALU_DEP_3) | instskip(NEXT) | instid1(VALU_DEP_1)
	v_clz_i32_u32_e32 v0, v0
	v_min_u32_e32 v2, 32, v0
	s_delay_alu instid0(VALU_DEP_1) | instskip(NEXT) | instid1(VALU_DEP_1)
	v_subrev_nc_u32_e32 v0, 28, v2
	v_lshlrev_b64_e32 v[0:1], v0, v[8:9]
	v_sub_nc_u32_e32 v1, 29, v2
	s_delay_alu instid0(VALU_DEP_2)
	v_and_b32_e32 v0, 7, v0
; %bb.456:                              ;   in Loop: Header=BB311_11 Depth=1
	s_wait_alu 0xfffe
	s_or_b32 exec_lo, exec_lo, s17
	v_lshlrev_b32_e32 v2, 8, v8
	v_lshl_add_u32 v1, v1, 10, 0x2000
	v_lshlrev_b32_e32 v0, 23, v0
	s_delay_alu instid0(VALU_DEP_2) | instskip(NEXT) | instid1(VALU_DEP_1)
	v_and_or_b32 v1, 0x8000, v2, v1
	v_lshl_or_b32 v68, v1, 16, v0
.LBB311_457:                            ;   in Loop: Header=BB311_11 Depth=1
	s_wait_alu 0xfffe
	s_or_b32 exec_lo, exec_lo, s16
.LBB311_458:                            ;   in Loop: Header=BB311_11 Depth=1
	s_wait_alu 0xfffe
	s_or_b32 exec_lo, exec_lo, s15
.LBB311_459:                            ;   in Loop: Header=BB311_11 Depth=1
	s_wait_alu 0xfffe
	s_or_b32 exec_lo, exec_lo, s14
	flat_load_b64 v[28:29], v[20:21] offset:1544
	s_mov_b32 s14, exec_lo
	s_wait_loadcnt_dscnt 0x0
	v_and_b32_e32 v0, 0xff, v28
	s_delay_alu instid0(VALU_DEP_1)
	v_cmpx_ne_u16_e32 0, v0
	s_cbranch_execz .LBB311_467
; %bb.460:                              ;   in Loop: Header=BB311_11 Depth=1
	v_cmp_ne_u16_e64 s1, 0x80, v0
	v_mov_b32_e32 v0, 0x8000
	scratch_store_b32 off, v0, s32 offset:508 ; 4-byte Folded Spill
	s_and_saveexec_b32 s15, s1
	s_cbranch_execz .LBB311_466
; %bb.461:                              ;   in Loop: Header=BB311_11 Depth=1
	v_and_b32_e32 v2, 0x7f, v28
	v_mov_b32_e32 v0, 0x7c01
	s_mov_b32 s16, exec_lo
	scratch_store_b32 off, v0, s32 offset:508 ; 4-byte Folded Spill
	v_cmpx_ne_u32_e32 0x7f, v2
	s_cbranch_execz .LBB311_465
; %bb.462:                              ;   in Loop: Header=BB311_11 Depth=1
	v_and_b32_e32 v0, 7, v28
	v_lshrrev_b32_e32 v1, 3, v2
	s_mov_b32 s17, exec_lo
	v_cmpx_gt_u32_e32 8, v2
; %bb.463:                              ;   in Loop: Header=BB311_11 Depth=1
	s_delay_alu instid0(VALU_DEP_3) | instskip(NEXT) | instid1(VALU_DEP_1)
	v_clz_i32_u32_e32 v0, v0
	v_min_u32_e32 v2, 32, v0
	s_delay_alu instid0(VALU_DEP_1) | instskip(NEXT) | instid1(VALU_DEP_1)
	v_subrev_nc_u32_e32 v0, 28, v2
	v_lshlrev_b64_e32 v[0:1], v0, v[28:29]
	v_sub_nc_u32_e32 v1, 29, v2
	s_delay_alu instid0(VALU_DEP_2)
	v_and_b32_e32 v0, 7, v0
; %bb.464:                              ;   in Loop: Header=BB311_11 Depth=1
	s_wait_alu 0xfffe
	s_or_b32 exec_lo, exec_lo, s17
	v_lshlrev_b32_e32 v2, 8, v28
	v_lshl_add_u32 v1, v1, 10, 0x2000
	v_lshlrev_b32_e32 v0, 7, v0
	s_delay_alu instid0(VALU_DEP_3) | instskip(NEXT) | instid1(VALU_DEP_3)
	v_and_b32_e32 v2, 0x8000, v2
	v_and_b32_e32 v1, 0xfc00, v1
	s_delay_alu instid0(VALU_DEP_1)
	v_or3_b32 v0, v2, v1, v0
	scratch_store_b32 off, v0, s32 offset:508 ; 4-byte Folded Spill
.LBB311_465:                            ;   in Loop: Header=BB311_11 Depth=1
	s_wait_alu 0xfffe
	s_or_b32 exec_lo, exec_lo, s16
.LBB311_466:                            ;   in Loop: Header=BB311_11 Depth=1
	s_wait_alu 0xfffe
	s_or_b32 exec_lo, exec_lo, s15
.LBB311_467:                            ;   in Loop: Header=BB311_11 Depth=1
	s_wait_alu 0xfffe
	s_or_b32 exec_lo, exec_lo, s14
	v_lshrrev_b16 v8, 8, v28
	v_dual_mov_b32 v0, 0 :: v_dual_mov_b32 v167, 0
	s_mov_b32 s14, exec_lo
	scratch_store_b32 off, v0, s32 offset:512 ; 4-byte Folded Spill
	v_cmpx_ne_u16_e32 0, v8
	s_cbranch_execz .LBB311_475
; %bb.468:                              ;   in Loop: Header=BB311_11 Depth=1
	v_bfrev_b32_e32 v167, 1
	s_mov_b32 s15, exec_lo
	v_cmpx_ne_u16_e32 0x80, v8
	s_cbranch_execz .LBB311_474
; %bb.469:                              ;   in Loop: Header=BB311_11 Depth=1
	v_and_b32_e32 v0, 0xffff, v8
	v_mov_b32_e32 v167, 0x7c010000
	s_mov_b32 s16, exec_lo
	s_delay_alu instid0(VALU_DEP_2) | instskip(NEXT) | instid1(VALU_DEP_1)
	v_and_b32_e32 v3, 0x7f, v0
	v_cmpx_ne_u32_e32 0x7f, v3
	s_cbranch_execz .LBB311_473
; %bb.470:                              ;   in Loop: Header=BB311_11 Depth=1
	v_and_b32_e32 v1, 7, v0
	v_lshrrev_b32_e32 v2, 3, v3
	s_mov_b32 s17, exec_lo
	v_cmpx_gt_u32_e32 8, v3
; %bb.471:                              ;   in Loop: Header=BB311_11 Depth=1
	s_delay_alu instid0(VALU_DEP_3) | instskip(NEXT) | instid1(VALU_DEP_1)
	v_clz_i32_u32_e32 v1, v1
	v_min_u32_e32 v3, 32, v1
	s_delay_alu instid0(VALU_DEP_1) | instskip(NEXT) | instid1(VALU_DEP_1)
	v_subrev_nc_u32_e32 v1, 28, v3
	v_lshlrev_b64_e32 v[1:2], v1, v[8:9]
	v_sub_nc_u32_e32 v2, 29, v3
	s_delay_alu instid0(VALU_DEP_2)
	v_and_b32_e32 v1, 7, v1
; %bb.472:                              ;   in Loop: Header=BB311_11 Depth=1
	s_wait_alu 0xfffe
	s_or_b32 exec_lo, exec_lo, s17
	v_lshlrev_b32_e32 v0, 8, v0
	v_lshl_add_u32 v2, v2, 10, 0x2000
	v_lshlrev_b32_e32 v1, 23, v1
	s_delay_alu instid0(VALU_DEP_2) | instskip(NEXT) | instid1(VALU_DEP_1)
	v_and_or_b32 v0, 0x8000, v0, v2
	v_lshl_or_b32 v167, v0, 16, v1
.LBB311_473:                            ;   in Loop: Header=BB311_11 Depth=1
	s_wait_alu 0xfffe
	s_or_b32 exec_lo, exec_lo, s16
.LBB311_474:                            ;   in Loop: Header=BB311_11 Depth=1
	s_wait_alu 0xfffe
	s_or_b32 exec_lo, exec_lo, s15
.LBB311_475:                            ;   in Loop: Header=BB311_11 Depth=1
	s_wait_alu 0xfffe
	s_or_b32 exec_lo, exec_lo, s14
	v_lshrrev_b32_e32 v8, 16, v28
	s_mov_b32 s14, exec_lo
	s_delay_alu instid0(VALU_DEP_1) | instskip(NEXT) | instid1(VALU_DEP_1)
	v_and_b32_e32 v0, 0xff, v8
	v_cmpx_ne_u16_e32 0, v0
	s_cbranch_execz .LBB311_483
; %bb.476:                              ;   in Loop: Header=BB311_11 Depth=1
	v_cmp_ne_u16_e64 s1, 0x80, v0
	v_mov_b32_e32 v0, 0x8000
	scratch_store_b32 off, v0, s32 offset:512 ; 4-byte Folded Spill
	s_and_saveexec_b32 s15, s1
	s_cbranch_execz .LBB311_482
; %bb.477:                              ;   in Loop: Header=BB311_11 Depth=1
	v_bfe_u32 v2, v28, 16, 7
	v_mov_b32_e32 v0, 0x7c01
	s_mov_b32 s16, exec_lo
	scratch_store_b32 off, v0, s32 offset:512 ; 4-byte Folded Spill
	v_cmpx_ne_u32_e32 0x7f, v2
	s_cbranch_execz .LBB311_481
; %bb.478:                              ;   in Loop: Header=BB311_11 Depth=1
	v_and_b32_e32 v0, 7, v8
	v_lshrrev_b32_e32 v1, 3, v2
	s_mov_b32 s17, exec_lo
	v_cmpx_gt_u32_e32 8, v2
; %bb.479:                              ;   in Loop: Header=BB311_11 Depth=1
	s_delay_alu instid0(VALU_DEP_3) | instskip(NEXT) | instid1(VALU_DEP_1)
	v_clz_i32_u32_e32 v0, v0
	v_min_u32_e32 v2, 32, v0
	s_delay_alu instid0(VALU_DEP_1) | instskip(NEXT) | instid1(VALU_DEP_1)
	v_subrev_nc_u32_e32 v0, 28, v2
	v_lshlrev_b64_e32 v[0:1], v0, v[8:9]
	v_sub_nc_u32_e32 v1, 29, v2
	s_delay_alu instid0(VALU_DEP_2)
	v_and_b32_e32 v0, 7, v0
; %bb.480:                              ;   in Loop: Header=BB311_11 Depth=1
	s_wait_alu 0xfffe
	s_or_b32 exec_lo, exec_lo, s17
	v_lshlrev_b32_e32 v2, 8, v8
	v_lshl_add_u32 v1, v1, 10, 0x2000
	v_lshlrev_b32_e32 v0, 7, v0
	s_delay_alu instid0(VALU_DEP_3) | instskip(NEXT) | instid1(VALU_DEP_3)
	v_and_b32_e32 v2, 0x8000, v2
	v_and_b32_e32 v1, 0xfc00, v1
	s_delay_alu instid0(VALU_DEP_1)
	v_or3_b32 v0, v2, v1, v0
	scratch_store_b32 off, v0, s32 offset:512 ; 4-byte Folded Spill
.LBB311_481:                            ;   in Loop: Header=BB311_11 Depth=1
	s_wait_alu 0xfffe
	s_or_b32 exec_lo, exec_lo, s16
.LBB311_482:                            ;   in Loop: Header=BB311_11 Depth=1
	s_wait_alu 0xfffe
	s_or_b32 exec_lo, exec_lo, s15
.LBB311_483:                            ;   in Loop: Header=BB311_11 Depth=1
	s_wait_alu 0xfffe
	s_or_b32 exec_lo, exec_lo, s14
	v_mov_b32_e32 v0, 0
	v_mov_b32_e32 v178, 0
	s_mov_b32 s14, exec_lo
	scratch_store_b32 off, v0, s32 offset:516 ; 4-byte Folded Spill
	v_cmpx_lt_u32_e32 0xffffff, v28
	s_cbranch_execz .LBB311_491
; %bb.484:                              ;   in Loop: Header=BB311_11 Depth=1
	v_lshrrev_b32_e32 v8, 24, v28
	v_bfrev_b32_e32 v178, 1
	s_mov_b32 s15, exec_lo
	s_delay_alu instid0(VALU_DEP_2)
	v_cmpx_ne_u32_e32 0x80, v8
	s_cbranch_execz .LBB311_490
; %bb.485:                              ;   in Loop: Header=BB311_11 Depth=1
	v_and_b32_e32 v2, 0x7f, v8
	v_mov_b32_e32 v178, 0x7c010000
	s_mov_b32 s16, exec_lo
	s_delay_alu instid0(VALU_DEP_2)
	v_cmpx_ne_u32_e32 0x7f, v2
	s_cbranch_execz .LBB311_489
; %bb.486:                              ;   in Loop: Header=BB311_11 Depth=1
	v_and_b32_e32 v0, 7, v8
	v_lshrrev_b32_e32 v1, 3, v2
	s_mov_b32 s17, exec_lo
	v_cmpx_gt_u32_e32 8, v2
; %bb.487:                              ;   in Loop: Header=BB311_11 Depth=1
	s_delay_alu instid0(VALU_DEP_3) | instskip(NEXT) | instid1(VALU_DEP_1)
	v_clz_i32_u32_e32 v0, v0
	v_min_u32_e32 v2, 32, v0
	s_delay_alu instid0(VALU_DEP_1) | instskip(NEXT) | instid1(VALU_DEP_1)
	v_subrev_nc_u32_e32 v0, 28, v2
	v_lshlrev_b64_e32 v[0:1], v0, v[8:9]
	v_sub_nc_u32_e32 v1, 29, v2
	s_delay_alu instid0(VALU_DEP_2)
	v_and_b32_e32 v0, 7, v0
; %bb.488:                              ;   in Loop: Header=BB311_11 Depth=1
	s_wait_alu 0xfffe
	s_or_b32 exec_lo, exec_lo, s17
	v_lshlrev_b32_e32 v2, 8, v8
	v_lshl_add_u32 v1, v1, 10, 0x2000
	v_lshlrev_b32_e32 v0, 23, v0
	s_delay_alu instid0(VALU_DEP_2) | instskip(NEXT) | instid1(VALU_DEP_1)
	v_and_or_b32 v1, 0x8000, v2, v1
	v_lshl_or_b32 v178, v1, 16, v0
.LBB311_489:                            ;   in Loop: Header=BB311_11 Depth=1
	s_wait_alu 0xfffe
	s_or_b32 exec_lo, exec_lo, s16
.LBB311_490:                            ;   in Loop: Header=BB311_11 Depth=1
	s_wait_alu 0xfffe
	s_or_b32 exec_lo, exec_lo, s15
.LBB311_491:                            ;   in Loop: Header=BB311_11 Depth=1
	s_wait_alu 0xfffe
	s_or_b32 exec_lo, exec_lo, s14
	v_and_b32_e32 v0, 0xff, v29
	v_mov_b32_e32 v8, v29
	s_mov_b32 s14, exec_lo
	s_delay_alu instid0(VALU_DEP_2)
	v_cmpx_ne_u16_e32 0, v0
	s_cbranch_execz .LBB311_499
; %bb.492:                              ;   in Loop: Header=BB311_11 Depth=1
	v_cmp_ne_u16_e64 s1, 0x80, v0
	v_mov_b32_e32 v0, 0x8000
	scratch_store_b32 off, v0, s32 offset:516 ; 4-byte Folded Spill
	s_and_saveexec_b32 s15, s1
	s_cbranch_execz .LBB311_498
; %bb.493:                              ;   in Loop: Header=BB311_11 Depth=1
	v_and_b32_e32 v2, 0x7f, v29
	v_mov_b32_e32 v0, 0x7c01
	s_mov_b32 s16, exec_lo
	scratch_store_b32 off, v0, s32 offset:516 ; 4-byte Folded Spill
	v_cmpx_ne_u32_e32 0x7f, v2
	s_cbranch_execz .LBB311_497
; %bb.494:                              ;   in Loop: Header=BB311_11 Depth=1
	v_and_b32_e32 v0, 7, v29
	v_lshrrev_b32_e32 v1, 3, v2
	s_mov_b32 s17, exec_lo
	v_cmpx_gt_u32_e32 8, v2
; %bb.495:                              ;   in Loop: Header=BB311_11 Depth=1
	s_delay_alu instid0(VALU_DEP_3) | instskip(NEXT) | instid1(VALU_DEP_1)
	v_clz_i32_u32_e32 v0, v0
	v_min_u32_e32 v2, 32, v0
	s_delay_alu instid0(VALU_DEP_1) | instskip(NEXT) | instid1(VALU_DEP_1)
	v_subrev_nc_u32_e32 v0, 28, v2
	v_lshlrev_b64_e32 v[0:1], v0, v[8:9]
	v_sub_nc_u32_e32 v1, 29, v2
	s_delay_alu instid0(VALU_DEP_2)
	v_and_b32_e32 v0, 7, v0
; %bb.496:                              ;   in Loop: Header=BB311_11 Depth=1
	s_wait_alu 0xfffe
	s_or_b32 exec_lo, exec_lo, s17
	v_lshlrev_b32_e32 v2, 8, v29
	v_lshl_add_u32 v1, v1, 10, 0x2000
	v_lshlrev_b32_e32 v0, 7, v0
	s_delay_alu instid0(VALU_DEP_3) | instskip(NEXT) | instid1(VALU_DEP_3)
	v_and_b32_e32 v2, 0x8000, v2
	v_and_b32_e32 v1, 0xfc00, v1
	s_delay_alu instid0(VALU_DEP_1)
	v_or3_b32 v0, v2, v1, v0
	scratch_store_b32 off, v0, s32 offset:516 ; 4-byte Folded Spill
.LBB311_497:                            ;   in Loop: Header=BB311_11 Depth=1
	s_wait_alu 0xfffe
	s_or_b32 exec_lo, exec_lo, s16
.LBB311_498:                            ;   in Loop: Header=BB311_11 Depth=1
	s_wait_alu 0xfffe
	s_or_b32 exec_lo, exec_lo, s15
.LBB311_499:                            ;   in Loop: Header=BB311_11 Depth=1
	s_wait_alu 0xfffe
	s_or_b32 exec_lo, exec_lo, s14
	v_lshrrev_b16 v8, 8, v8
	v_mov_b32_e32 v0, 0
	v_mov_b32_e32 v180, 0
	s_mov_b32 s14, exec_lo
	scratch_store_b32 off, v0, s32 offset:520 ; 4-byte Folded Spill
	v_cmpx_ne_u16_e32 0, v8
	s_cbranch_execz .LBB311_507
; %bb.500:                              ;   in Loop: Header=BB311_11 Depth=1
	v_bfrev_b32_e32 v180, 1
	s_mov_b32 s15, exec_lo
	v_cmpx_ne_u16_e32 0x80, v8
	s_cbranch_execz .LBB311_506
; %bb.501:                              ;   in Loop: Header=BB311_11 Depth=1
	v_and_b32_e32 v0, 0xffff, v8
	v_mov_b32_e32 v180, 0x7c010000
	s_mov_b32 s16, exec_lo
	s_delay_alu instid0(VALU_DEP_2) | instskip(NEXT) | instid1(VALU_DEP_1)
	v_and_b32_e32 v3, 0x7f, v0
	v_cmpx_ne_u32_e32 0x7f, v3
	s_cbranch_execz .LBB311_505
; %bb.502:                              ;   in Loop: Header=BB311_11 Depth=1
	v_and_b32_e32 v1, 7, v0
	v_lshrrev_b32_e32 v2, 3, v3
	s_mov_b32 s17, exec_lo
	v_cmpx_gt_u32_e32 8, v3
; %bb.503:                              ;   in Loop: Header=BB311_11 Depth=1
	s_delay_alu instid0(VALU_DEP_3) | instskip(NEXT) | instid1(VALU_DEP_1)
	v_clz_i32_u32_e32 v1, v1
	v_min_u32_e32 v3, 32, v1
	s_delay_alu instid0(VALU_DEP_1) | instskip(NEXT) | instid1(VALU_DEP_1)
	v_subrev_nc_u32_e32 v1, 28, v3
	v_lshlrev_b64_e32 v[1:2], v1, v[8:9]
	v_sub_nc_u32_e32 v2, 29, v3
	s_delay_alu instid0(VALU_DEP_2)
	v_and_b32_e32 v1, 7, v1
; %bb.504:                              ;   in Loop: Header=BB311_11 Depth=1
	s_wait_alu 0xfffe
	s_or_b32 exec_lo, exec_lo, s17
	v_lshlrev_b32_e32 v0, 8, v0
	v_lshl_add_u32 v2, v2, 10, 0x2000
	v_lshlrev_b32_e32 v1, 23, v1
	s_delay_alu instid0(VALU_DEP_2) | instskip(NEXT) | instid1(VALU_DEP_1)
	v_and_or_b32 v0, 0x8000, v0, v2
	v_lshl_or_b32 v180, v0, 16, v1
.LBB311_505:                            ;   in Loop: Header=BB311_11 Depth=1
	s_wait_alu 0xfffe
	s_or_b32 exec_lo, exec_lo, s16
.LBB311_506:                            ;   in Loop: Header=BB311_11 Depth=1
	s_wait_alu 0xfffe
	s_or_b32 exec_lo, exec_lo, s15
.LBB311_507:                            ;   in Loop: Header=BB311_11 Depth=1
	s_wait_alu 0xfffe
	s_or_b32 exec_lo, exec_lo, s14
	v_lshrrev_b32_e32 v8, 16, v29
	s_mov_b32 s14, exec_lo
	s_delay_alu instid0(VALU_DEP_1) | instskip(NEXT) | instid1(VALU_DEP_1)
	v_and_b32_e32 v0, 0xff, v8
	v_cmpx_ne_u16_e32 0, v0
	s_cbranch_execz .LBB311_515
; %bb.508:                              ;   in Loop: Header=BB311_11 Depth=1
	v_cmp_ne_u16_e64 s1, 0x80, v0
	v_mov_b32_e32 v0, 0x8000
	scratch_store_b32 off, v0, s32 offset:520 ; 4-byte Folded Spill
	s_and_saveexec_b32 s15, s1
	s_cbranch_execz .LBB311_514
; %bb.509:                              ;   in Loop: Header=BB311_11 Depth=1
	v_bfe_u32 v2, v29, 16, 7
	v_mov_b32_e32 v0, 0x7c01
	s_mov_b32 s16, exec_lo
	scratch_store_b32 off, v0, s32 offset:520 ; 4-byte Folded Spill
	v_cmpx_ne_u32_e32 0x7f, v2
	s_cbranch_execz .LBB311_513
; %bb.510:                              ;   in Loop: Header=BB311_11 Depth=1
	v_and_b32_e32 v0, 7, v8
	v_lshrrev_b32_e32 v1, 3, v2
	s_mov_b32 s17, exec_lo
	v_cmpx_gt_u32_e32 8, v2
; %bb.511:                              ;   in Loop: Header=BB311_11 Depth=1
	s_delay_alu instid0(VALU_DEP_3) | instskip(NEXT) | instid1(VALU_DEP_1)
	v_clz_i32_u32_e32 v0, v0
	v_min_u32_e32 v2, 32, v0
	s_delay_alu instid0(VALU_DEP_1) | instskip(NEXT) | instid1(VALU_DEP_1)
	v_subrev_nc_u32_e32 v0, 28, v2
	v_lshlrev_b64_e32 v[0:1], v0, v[8:9]
	v_sub_nc_u32_e32 v1, 29, v2
	s_delay_alu instid0(VALU_DEP_2)
	v_and_b32_e32 v0, 7, v0
; %bb.512:                              ;   in Loop: Header=BB311_11 Depth=1
	s_wait_alu 0xfffe
	s_or_b32 exec_lo, exec_lo, s17
	v_lshlrev_b32_e32 v2, 8, v8
	v_lshl_add_u32 v1, v1, 10, 0x2000
	v_lshlrev_b32_e32 v0, 7, v0
	s_delay_alu instid0(VALU_DEP_3) | instskip(NEXT) | instid1(VALU_DEP_3)
	v_and_b32_e32 v2, 0x8000, v2
	v_and_b32_e32 v1, 0xfc00, v1
	s_delay_alu instid0(VALU_DEP_1)
	v_or3_b32 v0, v2, v1, v0
	scratch_store_b32 off, v0, s32 offset:520 ; 4-byte Folded Spill
.LBB311_513:                            ;   in Loop: Header=BB311_11 Depth=1
	s_wait_alu 0xfffe
	s_or_b32 exec_lo, exec_lo, s16
.LBB311_514:                            ;   in Loop: Header=BB311_11 Depth=1
	s_wait_alu 0xfffe
	s_or_b32 exec_lo, exec_lo, s15
.LBB311_515:                            ;   in Loop: Header=BB311_11 Depth=1
	s_wait_alu 0xfffe
	s_or_b32 exec_lo, exec_lo, s14
	v_dual_mov_b32 v0, 0 :: v_dual_mov_b32 v181, 0
	s_mov_b32 s14, exec_lo
	scratch_store_b32 off, v0, s32 offset:524 ; 4-byte Folded Spill
	v_cmpx_lt_u64_e64 s[2:3], v[28:29]
	s_cbranch_execz .LBB311_523
; %bb.516:                              ;   in Loop: Header=BB311_11 Depth=1
	v_lshrrev_b32_e32 v8, 24, v29
	v_bfrev_b32_e32 v181, 1
	s_mov_b32 s15, exec_lo
	s_delay_alu instid0(VALU_DEP_2)
	v_cmpx_ne_u32_e32 0x80, v8
	s_cbranch_execz .LBB311_522
; %bb.517:                              ;   in Loop: Header=BB311_11 Depth=1
	v_and_b32_e32 v2, 0x7f, v8
	v_mov_b32_e32 v181, 0x7c010000
	s_mov_b32 s16, exec_lo
	s_delay_alu instid0(VALU_DEP_2)
	v_cmpx_ne_u32_e32 0x7f, v2
	s_cbranch_execz .LBB311_521
; %bb.518:                              ;   in Loop: Header=BB311_11 Depth=1
	v_and_b32_e32 v0, 7, v8
	v_lshrrev_b32_e32 v1, 3, v2
	s_mov_b32 s17, exec_lo
	v_cmpx_gt_u32_e32 8, v2
; %bb.519:                              ;   in Loop: Header=BB311_11 Depth=1
	s_delay_alu instid0(VALU_DEP_3) | instskip(NEXT) | instid1(VALU_DEP_1)
	v_clz_i32_u32_e32 v0, v0
	v_min_u32_e32 v2, 32, v0
	s_delay_alu instid0(VALU_DEP_1) | instskip(NEXT) | instid1(VALU_DEP_1)
	v_subrev_nc_u32_e32 v0, 28, v2
	v_lshlrev_b64_e32 v[0:1], v0, v[8:9]
	v_sub_nc_u32_e32 v1, 29, v2
	s_delay_alu instid0(VALU_DEP_2)
	v_and_b32_e32 v0, 7, v0
; %bb.520:                              ;   in Loop: Header=BB311_11 Depth=1
	s_wait_alu 0xfffe
	s_or_b32 exec_lo, exec_lo, s17
	v_lshlrev_b32_e32 v2, 8, v8
	v_lshl_add_u32 v1, v1, 10, 0x2000
	v_lshlrev_b32_e32 v0, 23, v0
	s_delay_alu instid0(VALU_DEP_2) | instskip(NEXT) | instid1(VALU_DEP_1)
	v_and_or_b32 v1, 0x8000, v2, v1
	v_lshl_or_b32 v181, v1, 16, v0
.LBB311_521:                            ;   in Loop: Header=BB311_11 Depth=1
	s_wait_alu 0xfffe
	s_or_b32 exec_lo, exec_lo, s16
.LBB311_522:                            ;   in Loop: Header=BB311_11 Depth=1
	s_wait_alu 0xfffe
	s_or_b32 exec_lo, exec_lo, s15
.LBB311_523:                            ;   in Loop: Header=BB311_11 Depth=1
	s_wait_alu 0xfffe
	s_or_b32 exec_lo, exec_lo, s14
	flat_load_b64 v[28:29], v[20:21] offset:2048
	s_mov_b32 s14, exec_lo
	s_wait_loadcnt_dscnt 0x0
	v_and_b32_e32 v0, 0xff, v28
	s_delay_alu instid0(VALU_DEP_1)
	v_cmpx_ne_u16_e32 0, v0
	s_cbranch_execz .LBB311_531
; %bb.524:                              ;   in Loop: Header=BB311_11 Depth=1
	v_cmp_ne_u16_e64 s1, 0x80, v0
	v_mov_b32_e32 v0, 0x8000
	scratch_store_b32 off, v0, s32 offset:524 ; 4-byte Folded Spill
	s_and_saveexec_b32 s15, s1
	s_cbranch_execz .LBB311_530
; %bb.525:                              ;   in Loop: Header=BB311_11 Depth=1
	v_and_b32_e32 v2, 0x7f, v28
	v_mov_b32_e32 v0, 0x7c01
	s_mov_b32 s16, exec_lo
	scratch_store_b32 off, v0, s32 offset:524 ; 4-byte Folded Spill
	v_cmpx_ne_u32_e32 0x7f, v2
	s_cbranch_execz .LBB311_529
; %bb.526:                              ;   in Loop: Header=BB311_11 Depth=1
	v_and_b32_e32 v0, 7, v28
	v_lshrrev_b32_e32 v1, 3, v2
	s_mov_b32 s17, exec_lo
	v_cmpx_gt_u32_e32 8, v2
; %bb.527:                              ;   in Loop: Header=BB311_11 Depth=1
	s_delay_alu instid0(VALU_DEP_3) | instskip(NEXT) | instid1(VALU_DEP_1)
	v_clz_i32_u32_e32 v0, v0
	v_min_u32_e32 v2, 32, v0
	s_delay_alu instid0(VALU_DEP_1) | instskip(NEXT) | instid1(VALU_DEP_1)
	v_subrev_nc_u32_e32 v0, 28, v2
	v_lshlrev_b64_e32 v[0:1], v0, v[28:29]
	v_sub_nc_u32_e32 v1, 29, v2
	s_delay_alu instid0(VALU_DEP_2)
	v_and_b32_e32 v0, 7, v0
; %bb.528:                              ;   in Loop: Header=BB311_11 Depth=1
	s_wait_alu 0xfffe
	s_or_b32 exec_lo, exec_lo, s17
	v_lshlrev_b32_e32 v2, 8, v28
	v_lshl_add_u32 v1, v1, 10, 0x2000
	v_lshlrev_b32_e32 v0, 7, v0
	s_delay_alu instid0(VALU_DEP_3) | instskip(NEXT) | instid1(VALU_DEP_3)
	v_and_b32_e32 v2, 0x8000, v2
	v_and_b32_e32 v1, 0xfc00, v1
	s_delay_alu instid0(VALU_DEP_1)
	v_or3_b32 v0, v2, v1, v0
	scratch_store_b32 off, v0, s32 offset:524 ; 4-byte Folded Spill
.LBB311_529:                            ;   in Loop: Header=BB311_11 Depth=1
	s_wait_alu 0xfffe
	s_or_b32 exec_lo, exec_lo, s16
.LBB311_530:                            ;   in Loop: Header=BB311_11 Depth=1
	s_wait_alu 0xfffe
	s_or_b32 exec_lo, exec_lo, s15
.LBB311_531:                            ;   in Loop: Header=BB311_11 Depth=1
	s_wait_alu 0xfffe
	s_or_b32 exec_lo, exec_lo, s14
	v_lshrrev_b16 v8, 8, v28
	v_dual_mov_b32 v0, 0 :: v_dual_mov_b32 v183, 0
	s_mov_b32 s14, exec_lo
	scratch_store_b32 off, v0, s32 offset:528 ; 4-byte Folded Spill
	v_cmpx_ne_u16_e32 0, v8
	s_cbranch_execz .LBB311_539
; %bb.532:                              ;   in Loop: Header=BB311_11 Depth=1
	v_bfrev_b32_e32 v183, 1
	s_mov_b32 s15, exec_lo
	v_cmpx_ne_u16_e32 0x80, v8
	s_cbranch_execz .LBB311_538
; %bb.533:                              ;   in Loop: Header=BB311_11 Depth=1
	v_and_b32_e32 v0, 0xffff, v8
	v_mov_b32_e32 v183, 0x7c010000
	s_mov_b32 s16, exec_lo
	s_delay_alu instid0(VALU_DEP_2) | instskip(NEXT) | instid1(VALU_DEP_1)
	v_and_b32_e32 v3, 0x7f, v0
	v_cmpx_ne_u32_e32 0x7f, v3
	s_cbranch_execz .LBB311_537
; %bb.534:                              ;   in Loop: Header=BB311_11 Depth=1
	v_and_b32_e32 v1, 7, v0
	v_lshrrev_b32_e32 v2, 3, v3
	s_mov_b32 s17, exec_lo
	v_cmpx_gt_u32_e32 8, v3
; %bb.535:                              ;   in Loop: Header=BB311_11 Depth=1
	s_delay_alu instid0(VALU_DEP_3) | instskip(NEXT) | instid1(VALU_DEP_1)
	v_clz_i32_u32_e32 v1, v1
	v_min_u32_e32 v3, 32, v1
	s_delay_alu instid0(VALU_DEP_1) | instskip(NEXT) | instid1(VALU_DEP_1)
	v_subrev_nc_u32_e32 v1, 28, v3
	v_lshlrev_b64_e32 v[1:2], v1, v[8:9]
	v_sub_nc_u32_e32 v2, 29, v3
	s_delay_alu instid0(VALU_DEP_2)
	v_and_b32_e32 v1, 7, v1
; %bb.536:                              ;   in Loop: Header=BB311_11 Depth=1
	s_wait_alu 0xfffe
	s_or_b32 exec_lo, exec_lo, s17
	v_lshlrev_b32_e32 v0, 8, v0
	v_lshl_add_u32 v2, v2, 10, 0x2000
	v_lshlrev_b32_e32 v1, 23, v1
	s_delay_alu instid0(VALU_DEP_2) | instskip(NEXT) | instid1(VALU_DEP_1)
	v_and_or_b32 v0, 0x8000, v0, v2
	v_lshl_or_b32 v183, v0, 16, v1
.LBB311_537:                            ;   in Loop: Header=BB311_11 Depth=1
	s_wait_alu 0xfffe
	s_or_b32 exec_lo, exec_lo, s16
.LBB311_538:                            ;   in Loop: Header=BB311_11 Depth=1
	s_wait_alu 0xfffe
	s_or_b32 exec_lo, exec_lo, s15
.LBB311_539:                            ;   in Loop: Header=BB311_11 Depth=1
	s_wait_alu 0xfffe
	s_or_b32 exec_lo, exec_lo, s14
	v_lshrrev_b32_e32 v8, 16, v28
	s_mov_b32 s14, exec_lo
	s_delay_alu instid0(VALU_DEP_1) | instskip(NEXT) | instid1(VALU_DEP_1)
	v_and_b32_e32 v0, 0xff, v8
	v_cmpx_ne_u16_e32 0, v0
	s_cbranch_execz .LBB311_547
; %bb.540:                              ;   in Loop: Header=BB311_11 Depth=1
	v_cmp_ne_u16_e64 s1, 0x80, v0
	v_mov_b32_e32 v0, 0x8000
	scratch_store_b32 off, v0, s32 offset:528 ; 4-byte Folded Spill
	s_and_saveexec_b32 s15, s1
	s_cbranch_execz .LBB311_546
; %bb.541:                              ;   in Loop: Header=BB311_11 Depth=1
	v_bfe_u32 v2, v28, 16, 7
	v_mov_b32_e32 v0, 0x7c01
	s_mov_b32 s16, exec_lo
	scratch_store_b32 off, v0, s32 offset:528 ; 4-byte Folded Spill
	v_cmpx_ne_u32_e32 0x7f, v2
	s_cbranch_execz .LBB311_545
; %bb.542:                              ;   in Loop: Header=BB311_11 Depth=1
	v_and_b32_e32 v0, 7, v8
	v_lshrrev_b32_e32 v1, 3, v2
	s_mov_b32 s17, exec_lo
	v_cmpx_gt_u32_e32 8, v2
; %bb.543:                              ;   in Loop: Header=BB311_11 Depth=1
	s_delay_alu instid0(VALU_DEP_3) | instskip(NEXT) | instid1(VALU_DEP_1)
	v_clz_i32_u32_e32 v0, v0
	v_min_u32_e32 v2, 32, v0
	s_delay_alu instid0(VALU_DEP_1) | instskip(NEXT) | instid1(VALU_DEP_1)
	v_subrev_nc_u32_e32 v0, 28, v2
	v_lshlrev_b64_e32 v[0:1], v0, v[8:9]
	v_sub_nc_u32_e32 v1, 29, v2
	s_delay_alu instid0(VALU_DEP_2)
	v_and_b32_e32 v0, 7, v0
; %bb.544:                              ;   in Loop: Header=BB311_11 Depth=1
	s_wait_alu 0xfffe
	s_or_b32 exec_lo, exec_lo, s17
	v_lshlrev_b32_e32 v2, 8, v8
	v_lshl_add_u32 v1, v1, 10, 0x2000
	v_lshlrev_b32_e32 v0, 7, v0
	s_delay_alu instid0(VALU_DEP_3) | instskip(NEXT) | instid1(VALU_DEP_3)
	v_and_b32_e32 v2, 0x8000, v2
	v_and_b32_e32 v1, 0xfc00, v1
	s_delay_alu instid0(VALU_DEP_1)
	v_or3_b32 v0, v2, v1, v0
	scratch_store_b32 off, v0, s32 offset:528 ; 4-byte Folded Spill
.LBB311_545:                            ;   in Loop: Header=BB311_11 Depth=1
	s_wait_alu 0xfffe
	s_or_b32 exec_lo, exec_lo, s16
.LBB311_546:                            ;   in Loop: Header=BB311_11 Depth=1
	s_wait_alu 0xfffe
	s_or_b32 exec_lo, exec_lo, s15
.LBB311_547:                            ;   in Loop: Header=BB311_11 Depth=1
	s_wait_alu 0xfffe
	s_or_b32 exec_lo, exec_lo, s14
	v_mov_b32_e32 v0, 0
	v_mov_b32_e32 v42, 0
	s_mov_b32 s14, exec_lo
	scratch_store_b32 off, v0, s32 offset:532 ; 4-byte Folded Spill
	v_cmpx_lt_u32_e32 0xffffff, v28
	s_cbranch_execz .LBB311_555
; %bb.548:                              ;   in Loop: Header=BB311_11 Depth=1
	v_lshrrev_b32_e32 v8, 24, v28
	v_bfrev_b32_e32 v42, 1
	s_mov_b32 s15, exec_lo
	s_delay_alu instid0(VALU_DEP_2)
	v_cmpx_ne_u32_e32 0x80, v8
	s_cbranch_execz .LBB311_554
; %bb.549:                              ;   in Loop: Header=BB311_11 Depth=1
	v_and_b32_e32 v2, 0x7f, v8
	v_mov_b32_e32 v42, 0x7c010000
	s_mov_b32 s16, exec_lo
	s_delay_alu instid0(VALU_DEP_2)
	v_cmpx_ne_u32_e32 0x7f, v2
	s_cbranch_execz .LBB311_553
; %bb.550:                              ;   in Loop: Header=BB311_11 Depth=1
	v_and_b32_e32 v0, 7, v8
	v_lshrrev_b32_e32 v1, 3, v2
	s_mov_b32 s17, exec_lo
	v_cmpx_gt_u32_e32 8, v2
; %bb.551:                              ;   in Loop: Header=BB311_11 Depth=1
	s_delay_alu instid0(VALU_DEP_3) | instskip(NEXT) | instid1(VALU_DEP_1)
	v_clz_i32_u32_e32 v0, v0
	v_min_u32_e32 v2, 32, v0
	s_delay_alu instid0(VALU_DEP_1) | instskip(NEXT) | instid1(VALU_DEP_1)
	v_subrev_nc_u32_e32 v0, 28, v2
	v_lshlrev_b64_e32 v[0:1], v0, v[8:9]
	v_sub_nc_u32_e32 v1, 29, v2
	s_delay_alu instid0(VALU_DEP_2)
	v_and_b32_e32 v0, 7, v0
; %bb.552:                              ;   in Loop: Header=BB311_11 Depth=1
	s_wait_alu 0xfffe
	s_or_b32 exec_lo, exec_lo, s17
	v_lshlrev_b32_e32 v2, 8, v8
	v_lshl_add_u32 v1, v1, 10, 0x2000
	v_lshlrev_b32_e32 v0, 23, v0
	s_delay_alu instid0(VALU_DEP_2) | instskip(NEXT) | instid1(VALU_DEP_1)
	v_and_or_b32 v1, 0x8000, v2, v1
	v_lshl_or_b32 v42, v1, 16, v0
.LBB311_553:                            ;   in Loop: Header=BB311_11 Depth=1
	s_wait_alu 0xfffe
	s_or_b32 exec_lo, exec_lo, s16
.LBB311_554:                            ;   in Loop: Header=BB311_11 Depth=1
	s_wait_alu 0xfffe
	s_or_b32 exec_lo, exec_lo, s15
.LBB311_555:                            ;   in Loop: Header=BB311_11 Depth=1
	s_wait_alu 0xfffe
	s_or_b32 exec_lo, exec_lo, s14
	v_and_b32_e32 v0, 0xff, v29
	v_mov_b32_e32 v8, v29
	s_mov_b32 s14, exec_lo
	s_delay_alu instid0(VALU_DEP_2)
	v_cmpx_ne_u16_e32 0, v0
	s_cbranch_execz .LBB311_563
; %bb.556:                              ;   in Loop: Header=BB311_11 Depth=1
	v_cmp_ne_u16_e64 s1, 0x80, v0
	v_mov_b32_e32 v0, 0x8000
	scratch_store_b32 off, v0, s32 offset:532 ; 4-byte Folded Spill
	s_and_saveexec_b32 s15, s1
	s_cbranch_execz .LBB311_562
; %bb.557:                              ;   in Loop: Header=BB311_11 Depth=1
	v_and_b32_e32 v2, 0x7f, v29
	v_mov_b32_e32 v0, 0x7c01
	s_mov_b32 s16, exec_lo
	scratch_store_b32 off, v0, s32 offset:532 ; 4-byte Folded Spill
	v_cmpx_ne_u32_e32 0x7f, v2
	s_cbranch_execz .LBB311_561
; %bb.558:                              ;   in Loop: Header=BB311_11 Depth=1
	v_and_b32_e32 v0, 7, v29
	v_lshrrev_b32_e32 v1, 3, v2
	s_mov_b32 s17, exec_lo
	v_cmpx_gt_u32_e32 8, v2
; %bb.559:                              ;   in Loop: Header=BB311_11 Depth=1
	s_delay_alu instid0(VALU_DEP_3) | instskip(NEXT) | instid1(VALU_DEP_1)
	v_clz_i32_u32_e32 v0, v0
	v_min_u32_e32 v2, 32, v0
	s_delay_alu instid0(VALU_DEP_1) | instskip(NEXT) | instid1(VALU_DEP_1)
	v_subrev_nc_u32_e32 v0, 28, v2
	v_lshlrev_b64_e32 v[0:1], v0, v[8:9]
	v_sub_nc_u32_e32 v1, 29, v2
	s_delay_alu instid0(VALU_DEP_2)
	v_and_b32_e32 v0, 7, v0
; %bb.560:                              ;   in Loop: Header=BB311_11 Depth=1
	s_wait_alu 0xfffe
	s_or_b32 exec_lo, exec_lo, s17
	v_lshlrev_b32_e32 v2, 8, v29
	v_lshl_add_u32 v1, v1, 10, 0x2000
	v_lshlrev_b32_e32 v0, 7, v0
	s_delay_alu instid0(VALU_DEP_3) | instskip(NEXT) | instid1(VALU_DEP_3)
	v_and_b32_e32 v2, 0x8000, v2
	v_and_b32_e32 v1, 0xfc00, v1
	s_delay_alu instid0(VALU_DEP_1)
	v_or3_b32 v0, v2, v1, v0
	scratch_store_b32 off, v0, s32 offset:532 ; 4-byte Folded Spill
.LBB311_561:                            ;   in Loop: Header=BB311_11 Depth=1
	s_wait_alu 0xfffe
	s_or_b32 exec_lo, exec_lo, s16
.LBB311_562:                            ;   in Loop: Header=BB311_11 Depth=1
	s_wait_alu 0xfffe
	s_or_b32 exec_lo, exec_lo, s15
.LBB311_563:                            ;   in Loop: Header=BB311_11 Depth=1
	s_wait_alu 0xfffe
	s_or_b32 exec_lo, exec_lo, s14
	v_lshrrev_b16 v8, 8, v8
	v_mov_b32_e32 v0, 0
	v_mov_b32_e32 v44, 0
	s_mov_b32 s14, exec_lo
	scratch_store_b32 off, v0, s32 offset:536 ; 4-byte Folded Spill
	v_cmpx_ne_u16_e32 0, v8
	s_cbranch_execz .LBB311_571
; %bb.564:                              ;   in Loop: Header=BB311_11 Depth=1
	v_bfrev_b32_e32 v44, 1
	s_mov_b32 s15, exec_lo
	v_cmpx_ne_u16_e32 0x80, v8
	s_cbranch_execz .LBB311_570
; %bb.565:                              ;   in Loop: Header=BB311_11 Depth=1
	v_and_b32_e32 v0, 0xffff, v8
	v_mov_b32_e32 v44, 0x7c010000
	s_mov_b32 s16, exec_lo
	s_delay_alu instid0(VALU_DEP_2) | instskip(NEXT) | instid1(VALU_DEP_1)
	v_and_b32_e32 v3, 0x7f, v0
	v_cmpx_ne_u32_e32 0x7f, v3
	s_cbranch_execz .LBB311_569
; %bb.566:                              ;   in Loop: Header=BB311_11 Depth=1
	v_and_b32_e32 v1, 7, v0
	v_lshrrev_b32_e32 v2, 3, v3
	s_mov_b32 s17, exec_lo
	v_cmpx_gt_u32_e32 8, v3
; %bb.567:                              ;   in Loop: Header=BB311_11 Depth=1
	s_delay_alu instid0(VALU_DEP_3) | instskip(NEXT) | instid1(VALU_DEP_1)
	v_clz_i32_u32_e32 v1, v1
	v_min_u32_e32 v3, 32, v1
	s_delay_alu instid0(VALU_DEP_1) | instskip(NEXT) | instid1(VALU_DEP_1)
	v_subrev_nc_u32_e32 v1, 28, v3
	v_lshlrev_b64_e32 v[1:2], v1, v[8:9]
	v_sub_nc_u32_e32 v2, 29, v3
	s_delay_alu instid0(VALU_DEP_2)
	v_and_b32_e32 v1, 7, v1
; %bb.568:                              ;   in Loop: Header=BB311_11 Depth=1
	s_wait_alu 0xfffe
	s_or_b32 exec_lo, exec_lo, s17
	v_lshlrev_b32_e32 v0, 8, v0
	v_lshl_add_u32 v2, v2, 10, 0x2000
	v_lshlrev_b32_e32 v1, 23, v1
	s_delay_alu instid0(VALU_DEP_2) | instskip(NEXT) | instid1(VALU_DEP_1)
	v_and_or_b32 v0, 0x8000, v0, v2
	v_lshl_or_b32 v44, v0, 16, v1
.LBB311_569:                            ;   in Loop: Header=BB311_11 Depth=1
	s_wait_alu 0xfffe
	s_or_b32 exec_lo, exec_lo, s16
.LBB311_570:                            ;   in Loop: Header=BB311_11 Depth=1
	s_wait_alu 0xfffe
	s_or_b32 exec_lo, exec_lo, s15
.LBB311_571:                            ;   in Loop: Header=BB311_11 Depth=1
	s_wait_alu 0xfffe
	s_or_b32 exec_lo, exec_lo, s14
	v_lshrrev_b32_e32 v8, 16, v29
	s_mov_b32 s14, exec_lo
	s_delay_alu instid0(VALU_DEP_1) | instskip(NEXT) | instid1(VALU_DEP_1)
	v_and_b32_e32 v0, 0xff, v8
	v_cmpx_ne_u16_e32 0, v0
	s_cbranch_execz .LBB311_579
; %bb.572:                              ;   in Loop: Header=BB311_11 Depth=1
	v_cmp_ne_u16_e64 s1, 0x80, v0
	v_mov_b32_e32 v0, 0x8000
	scratch_store_b32 off, v0, s32 offset:536 ; 4-byte Folded Spill
	s_and_saveexec_b32 s15, s1
	s_cbranch_execz .LBB311_578
; %bb.573:                              ;   in Loop: Header=BB311_11 Depth=1
	v_bfe_u32 v2, v29, 16, 7
	v_mov_b32_e32 v0, 0x7c01
	s_mov_b32 s16, exec_lo
	scratch_store_b32 off, v0, s32 offset:536 ; 4-byte Folded Spill
	v_cmpx_ne_u32_e32 0x7f, v2
	s_cbranch_execz .LBB311_577
; %bb.574:                              ;   in Loop: Header=BB311_11 Depth=1
	v_and_b32_e32 v0, 7, v8
	v_lshrrev_b32_e32 v1, 3, v2
	s_mov_b32 s17, exec_lo
	v_cmpx_gt_u32_e32 8, v2
; %bb.575:                              ;   in Loop: Header=BB311_11 Depth=1
	s_delay_alu instid0(VALU_DEP_3) | instskip(NEXT) | instid1(VALU_DEP_1)
	v_clz_i32_u32_e32 v0, v0
	v_min_u32_e32 v2, 32, v0
	s_delay_alu instid0(VALU_DEP_1) | instskip(NEXT) | instid1(VALU_DEP_1)
	v_subrev_nc_u32_e32 v0, 28, v2
	v_lshlrev_b64_e32 v[0:1], v0, v[8:9]
	v_sub_nc_u32_e32 v1, 29, v2
	s_delay_alu instid0(VALU_DEP_2)
	v_and_b32_e32 v0, 7, v0
; %bb.576:                              ;   in Loop: Header=BB311_11 Depth=1
	s_wait_alu 0xfffe
	s_or_b32 exec_lo, exec_lo, s17
	v_lshlrev_b32_e32 v2, 8, v8
	v_lshl_add_u32 v1, v1, 10, 0x2000
	v_lshlrev_b32_e32 v0, 7, v0
	s_delay_alu instid0(VALU_DEP_3) | instskip(NEXT) | instid1(VALU_DEP_3)
	v_and_b32_e32 v2, 0x8000, v2
	v_and_b32_e32 v1, 0xfc00, v1
	s_delay_alu instid0(VALU_DEP_1)
	v_or3_b32 v0, v2, v1, v0
	scratch_store_b32 off, v0, s32 offset:536 ; 4-byte Folded Spill
.LBB311_577:                            ;   in Loop: Header=BB311_11 Depth=1
	s_wait_alu 0xfffe
	s_or_b32 exec_lo, exec_lo, s16
.LBB311_578:                            ;   in Loop: Header=BB311_11 Depth=1
	s_wait_alu 0xfffe
	s_or_b32 exec_lo, exec_lo, s15
.LBB311_579:                            ;   in Loop: Header=BB311_11 Depth=1
	s_wait_alu 0xfffe
	s_or_b32 exec_lo, exec_lo, s14
	v_dual_mov_b32 v0, 0 :: v_dual_mov_b32 v45, 0
	s_mov_b32 s14, exec_lo
	scratch_store_b32 off, v0, s32 offset:540 ; 4-byte Folded Spill
	v_cmpx_lt_u64_e64 s[2:3], v[28:29]
	s_cbranch_execz .LBB311_587
; %bb.580:                              ;   in Loop: Header=BB311_11 Depth=1
	v_lshrrev_b32_e32 v8, 24, v29
	v_bfrev_b32_e32 v45, 1
	s_mov_b32 s15, exec_lo
	s_delay_alu instid0(VALU_DEP_2)
	v_cmpx_ne_u32_e32 0x80, v8
	s_cbranch_execz .LBB311_586
; %bb.581:                              ;   in Loop: Header=BB311_11 Depth=1
	v_and_b32_e32 v2, 0x7f, v8
	v_mov_b32_e32 v45, 0x7c010000
	s_mov_b32 s16, exec_lo
	s_delay_alu instid0(VALU_DEP_2)
	v_cmpx_ne_u32_e32 0x7f, v2
	s_cbranch_execz .LBB311_585
; %bb.582:                              ;   in Loop: Header=BB311_11 Depth=1
	v_and_b32_e32 v0, 7, v8
	v_lshrrev_b32_e32 v1, 3, v2
	s_mov_b32 s17, exec_lo
	v_cmpx_gt_u32_e32 8, v2
; %bb.583:                              ;   in Loop: Header=BB311_11 Depth=1
	s_delay_alu instid0(VALU_DEP_3) | instskip(NEXT) | instid1(VALU_DEP_1)
	v_clz_i32_u32_e32 v0, v0
	v_min_u32_e32 v2, 32, v0
	s_delay_alu instid0(VALU_DEP_1) | instskip(NEXT) | instid1(VALU_DEP_1)
	v_subrev_nc_u32_e32 v0, 28, v2
	v_lshlrev_b64_e32 v[0:1], v0, v[8:9]
	v_sub_nc_u32_e32 v1, 29, v2
	s_delay_alu instid0(VALU_DEP_2)
	v_and_b32_e32 v0, 7, v0
; %bb.584:                              ;   in Loop: Header=BB311_11 Depth=1
	s_wait_alu 0xfffe
	s_or_b32 exec_lo, exec_lo, s17
	v_lshlrev_b32_e32 v2, 8, v8
	v_lshl_add_u32 v1, v1, 10, 0x2000
	v_lshlrev_b32_e32 v0, 23, v0
	s_delay_alu instid0(VALU_DEP_2) | instskip(NEXT) | instid1(VALU_DEP_1)
	v_and_or_b32 v1, 0x8000, v2, v1
	v_lshl_or_b32 v45, v1, 16, v0
.LBB311_585:                            ;   in Loop: Header=BB311_11 Depth=1
	s_wait_alu 0xfffe
	s_or_b32 exec_lo, exec_lo, s16
.LBB311_586:                            ;   in Loop: Header=BB311_11 Depth=1
	s_wait_alu 0xfffe
	s_or_b32 exec_lo, exec_lo, s15
.LBB311_587:                            ;   in Loop: Header=BB311_11 Depth=1
	s_wait_alu 0xfffe
	s_or_b32 exec_lo, exec_lo, s14
	flat_load_b64 v[28:29], v[20:21] offset:2056
	s_mov_b32 s14, exec_lo
	s_wait_loadcnt_dscnt 0x0
	v_and_b32_e32 v0, 0xff, v28
	s_delay_alu instid0(VALU_DEP_1)
	v_cmpx_ne_u16_e32 0, v0
	s_cbranch_execz .LBB311_595
; %bb.588:                              ;   in Loop: Header=BB311_11 Depth=1
	v_cmp_ne_u16_e64 s1, 0x80, v0
	v_mov_b32_e32 v0, 0x8000
	scratch_store_b32 off, v0, s32 offset:540 ; 4-byte Folded Spill
	s_and_saveexec_b32 s15, s1
	s_cbranch_execz .LBB311_594
; %bb.589:                              ;   in Loop: Header=BB311_11 Depth=1
	v_and_b32_e32 v2, 0x7f, v28
	v_mov_b32_e32 v0, 0x7c01
	s_mov_b32 s16, exec_lo
	scratch_store_b32 off, v0, s32 offset:540 ; 4-byte Folded Spill
	v_cmpx_ne_u32_e32 0x7f, v2
	s_cbranch_execz .LBB311_593
; %bb.590:                              ;   in Loop: Header=BB311_11 Depth=1
	v_and_b32_e32 v0, 7, v28
	v_lshrrev_b32_e32 v1, 3, v2
	s_mov_b32 s17, exec_lo
	v_cmpx_gt_u32_e32 8, v2
; %bb.591:                              ;   in Loop: Header=BB311_11 Depth=1
	s_delay_alu instid0(VALU_DEP_3) | instskip(NEXT) | instid1(VALU_DEP_1)
	v_clz_i32_u32_e32 v0, v0
	v_min_u32_e32 v2, 32, v0
	s_delay_alu instid0(VALU_DEP_1) | instskip(NEXT) | instid1(VALU_DEP_1)
	v_subrev_nc_u32_e32 v0, 28, v2
	v_lshlrev_b64_e32 v[0:1], v0, v[28:29]
	v_sub_nc_u32_e32 v1, 29, v2
	s_delay_alu instid0(VALU_DEP_2)
	v_and_b32_e32 v0, 7, v0
; %bb.592:                              ;   in Loop: Header=BB311_11 Depth=1
	s_wait_alu 0xfffe
	s_or_b32 exec_lo, exec_lo, s17
	v_lshlrev_b32_e32 v2, 8, v28
	v_lshl_add_u32 v1, v1, 10, 0x2000
	v_lshlrev_b32_e32 v0, 7, v0
	s_delay_alu instid0(VALU_DEP_3) | instskip(NEXT) | instid1(VALU_DEP_3)
	v_and_b32_e32 v2, 0x8000, v2
	v_and_b32_e32 v1, 0xfc00, v1
	s_delay_alu instid0(VALU_DEP_1)
	v_or3_b32 v0, v2, v1, v0
	scratch_store_b32 off, v0, s32 offset:540 ; 4-byte Folded Spill
.LBB311_593:                            ;   in Loop: Header=BB311_11 Depth=1
	s_wait_alu 0xfffe
	s_or_b32 exec_lo, exec_lo, s16
.LBB311_594:                            ;   in Loop: Header=BB311_11 Depth=1
	s_wait_alu 0xfffe
	s_or_b32 exec_lo, exec_lo, s15
.LBB311_595:                            ;   in Loop: Header=BB311_11 Depth=1
	s_wait_alu 0xfffe
	s_or_b32 exec_lo, exec_lo, s14
	v_lshrrev_b16 v8, 8, v28
	v_dual_mov_b32 v0, 0 :: v_dual_mov_b32 v47, 0
	s_mov_b32 s14, exec_lo
	scratch_store_b32 off, v0, s32 offset:544 ; 4-byte Folded Spill
	v_cmpx_ne_u16_e32 0, v8
	s_cbranch_execz .LBB311_603
; %bb.596:                              ;   in Loop: Header=BB311_11 Depth=1
	v_bfrev_b32_e32 v47, 1
	s_mov_b32 s15, exec_lo
	v_cmpx_ne_u16_e32 0x80, v8
	s_cbranch_execz .LBB311_602
; %bb.597:                              ;   in Loop: Header=BB311_11 Depth=1
	v_and_b32_e32 v0, 0xffff, v8
	v_mov_b32_e32 v47, 0x7c010000
	s_mov_b32 s16, exec_lo
	s_delay_alu instid0(VALU_DEP_2) | instskip(NEXT) | instid1(VALU_DEP_1)
	v_and_b32_e32 v3, 0x7f, v0
	v_cmpx_ne_u32_e32 0x7f, v3
	s_cbranch_execz .LBB311_601
; %bb.598:                              ;   in Loop: Header=BB311_11 Depth=1
	v_and_b32_e32 v1, 7, v0
	v_lshrrev_b32_e32 v2, 3, v3
	s_mov_b32 s17, exec_lo
	v_cmpx_gt_u32_e32 8, v3
; %bb.599:                              ;   in Loop: Header=BB311_11 Depth=1
	s_delay_alu instid0(VALU_DEP_3) | instskip(NEXT) | instid1(VALU_DEP_1)
	v_clz_i32_u32_e32 v1, v1
	v_min_u32_e32 v3, 32, v1
	s_delay_alu instid0(VALU_DEP_1) | instskip(NEXT) | instid1(VALU_DEP_1)
	v_subrev_nc_u32_e32 v1, 28, v3
	v_lshlrev_b64_e32 v[1:2], v1, v[8:9]
	v_sub_nc_u32_e32 v2, 29, v3
	s_delay_alu instid0(VALU_DEP_2)
	v_and_b32_e32 v1, 7, v1
; %bb.600:                              ;   in Loop: Header=BB311_11 Depth=1
	s_wait_alu 0xfffe
	s_or_b32 exec_lo, exec_lo, s17
	v_lshlrev_b32_e32 v0, 8, v0
	v_lshl_add_u32 v2, v2, 10, 0x2000
	v_lshlrev_b32_e32 v1, 23, v1
	s_delay_alu instid0(VALU_DEP_2) | instskip(NEXT) | instid1(VALU_DEP_1)
	v_and_or_b32 v0, 0x8000, v0, v2
	v_lshl_or_b32 v47, v0, 16, v1
.LBB311_601:                            ;   in Loop: Header=BB311_11 Depth=1
	s_wait_alu 0xfffe
	s_or_b32 exec_lo, exec_lo, s16
.LBB311_602:                            ;   in Loop: Header=BB311_11 Depth=1
	s_wait_alu 0xfffe
	s_or_b32 exec_lo, exec_lo, s15
.LBB311_603:                            ;   in Loop: Header=BB311_11 Depth=1
	s_wait_alu 0xfffe
	s_or_b32 exec_lo, exec_lo, s14
	v_lshrrev_b32_e32 v8, 16, v28
	s_mov_b32 s14, exec_lo
	s_delay_alu instid0(VALU_DEP_1) | instskip(NEXT) | instid1(VALU_DEP_1)
	v_and_b32_e32 v0, 0xff, v8
	v_cmpx_ne_u16_e32 0, v0
	s_cbranch_execz .LBB311_611
; %bb.604:                              ;   in Loop: Header=BB311_11 Depth=1
	v_cmp_ne_u16_e64 s1, 0x80, v0
	v_mov_b32_e32 v0, 0x8000
	scratch_store_b32 off, v0, s32 offset:544 ; 4-byte Folded Spill
	s_and_saveexec_b32 s15, s1
	s_cbranch_execz .LBB311_610
; %bb.605:                              ;   in Loop: Header=BB311_11 Depth=1
	v_bfe_u32 v2, v28, 16, 7
	v_mov_b32_e32 v0, 0x7c01
	s_mov_b32 s16, exec_lo
	scratch_store_b32 off, v0, s32 offset:544 ; 4-byte Folded Spill
	v_cmpx_ne_u32_e32 0x7f, v2
	s_cbranch_execz .LBB311_609
; %bb.606:                              ;   in Loop: Header=BB311_11 Depth=1
	v_and_b32_e32 v0, 7, v8
	v_lshrrev_b32_e32 v1, 3, v2
	s_mov_b32 s17, exec_lo
	v_cmpx_gt_u32_e32 8, v2
; %bb.607:                              ;   in Loop: Header=BB311_11 Depth=1
	s_delay_alu instid0(VALU_DEP_3) | instskip(NEXT) | instid1(VALU_DEP_1)
	v_clz_i32_u32_e32 v0, v0
	v_min_u32_e32 v2, 32, v0
	s_delay_alu instid0(VALU_DEP_1) | instskip(NEXT) | instid1(VALU_DEP_1)
	v_subrev_nc_u32_e32 v0, 28, v2
	v_lshlrev_b64_e32 v[0:1], v0, v[8:9]
	v_sub_nc_u32_e32 v1, 29, v2
	s_delay_alu instid0(VALU_DEP_2)
	v_and_b32_e32 v0, 7, v0
; %bb.608:                              ;   in Loop: Header=BB311_11 Depth=1
	s_wait_alu 0xfffe
	s_or_b32 exec_lo, exec_lo, s17
	v_lshlrev_b32_e32 v2, 8, v8
	v_lshl_add_u32 v1, v1, 10, 0x2000
	v_lshlrev_b32_e32 v0, 7, v0
	s_delay_alu instid0(VALU_DEP_3) | instskip(NEXT) | instid1(VALU_DEP_3)
	v_and_b32_e32 v2, 0x8000, v2
	v_and_b32_e32 v1, 0xfc00, v1
	s_delay_alu instid0(VALU_DEP_1)
	v_or3_b32 v0, v2, v1, v0
	scratch_store_b32 off, v0, s32 offset:544 ; 4-byte Folded Spill
.LBB311_609:                            ;   in Loop: Header=BB311_11 Depth=1
	s_wait_alu 0xfffe
	s_or_b32 exec_lo, exec_lo, s16
.LBB311_610:                            ;   in Loop: Header=BB311_11 Depth=1
	s_wait_alu 0xfffe
	s_or_b32 exec_lo, exec_lo, s15
.LBB311_611:                            ;   in Loop: Header=BB311_11 Depth=1
	s_wait_alu 0xfffe
	s_or_b32 exec_lo, exec_lo, s14
	v_mov_b32_e32 v0, 0
	v_mov_b32_e32 v58, 0
	s_mov_b32 s14, exec_lo
	scratch_store_b32 off, v0, s32 offset:548 ; 4-byte Folded Spill
	v_cmpx_lt_u32_e32 0xffffff, v28
	s_cbranch_execz .LBB311_619
; %bb.612:                              ;   in Loop: Header=BB311_11 Depth=1
	v_lshrrev_b32_e32 v8, 24, v28
	v_bfrev_b32_e32 v58, 1
	s_mov_b32 s15, exec_lo
	s_delay_alu instid0(VALU_DEP_2)
	v_cmpx_ne_u32_e32 0x80, v8
	s_cbranch_execz .LBB311_618
; %bb.613:                              ;   in Loop: Header=BB311_11 Depth=1
	v_and_b32_e32 v2, 0x7f, v8
	v_mov_b32_e32 v58, 0x7c010000
	s_mov_b32 s16, exec_lo
	s_delay_alu instid0(VALU_DEP_2)
	v_cmpx_ne_u32_e32 0x7f, v2
	s_cbranch_execz .LBB311_617
; %bb.614:                              ;   in Loop: Header=BB311_11 Depth=1
	v_and_b32_e32 v0, 7, v8
	v_lshrrev_b32_e32 v1, 3, v2
	s_mov_b32 s17, exec_lo
	v_cmpx_gt_u32_e32 8, v2
; %bb.615:                              ;   in Loop: Header=BB311_11 Depth=1
	s_delay_alu instid0(VALU_DEP_3) | instskip(NEXT) | instid1(VALU_DEP_1)
	v_clz_i32_u32_e32 v0, v0
	v_min_u32_e32 v2, 32, v0
	s_delay_alu instid0(VALU_DEP_1) | instskip(NEXT) | instid1(VALU_DEP_1)
	v_subrev_nc_u32_e32 v0, 28, v2
	v_lshlrev_b64_e32 v[0:1], v0, v[8:9]
	v_sub_nc_u32_e32 v1, 29, v2
	s_delay_alu instid0(VALU_DEP_2)
	v_and_b32_e32 v0, 7, v0
; %bb.616:                              ;   in Loop: Header=BB311_11 Depth=1
	s_wait_alu 0xfffe
	s_or_b32 exec_lo, exec_lo, s17
	v_lshlrev_b32_e32 v2, 8, v8
	v_lshl_add_u32 v1, v1, 10, 0x2000
	v_lshlrev_b32_e32 v0, 23, v0
	s_delay_alu instid0(VALU_DEP_2) | instskip(NEXT) | instid1(VALU_DEP_1)
	v_and_or_b32 v1, 0x8000, v2, v1
	v_lshl_or_b32 v58, v1, 16, v0
.LBB311_617:                            ;   in Loop: Header=BB311_11 Depth=1
	s_wait_alu 0xfffe
	s_or_b32 exec_lo, exec_lo, s16
.LBB311_618:                            ;   in Loop: Header=BB311_11 Depth=1
	s_wait_alu 0xfffe
	s_or_b32 exec_lo, exec_lo, s15
.LBB311_619:                            ;   in Loop: Header=BB311_11 Depth=1
	s_wait_alu 0xfffe
	s_or_b32 exec_lo, exec_lo, s14
	v_and_b32_e32 v0, 0xff, v29
	v_mov_b32_e32 v8, v29
	s_mov_b32 s14, exec_lo
	s_delay_alu instid0(VALU_DEP_2)
	v_cmpx_ne_u16_e32 0, v0
	s_cbranch_execz .LBB311_627
; %bb.620:                              ;   in Loop: Header=BB311_11 Depth=1
	v_cmp_ne_u16_e64 s1, 0x80, v0
	v_mov_b32_e32 v0, 0x8000
	scratch_store_b32 off, v0, s32 offset:548 ; 4-byte Folded Spill
	s_and_saveexec_b32 s15, s1
	s_cbranch_execz .LBB311_626
; %bb.621:                              ;   in Loop: Header=BB311_11 Depth=1
	v_and_b32_e32 v2, 0x7f, v29
	v_mov_b32_e32 v0, 0x7c01
	s_mov_b32 s16, exec_lo
	scratch_store_b32 off, v0, s32 offset:548 ; 4-byte Folded Spill
	v_cmpx_ne_u32_e32 0x7f, v2
	s_cbranch_execz .LBB311_625
; %bb.622:                              ;   in Loop: Header=BB311_11 Depth=1
	v_and_b32_e32 v0, 7, v29
	v_lshrrev_b32_e32 v1, 3, v2
	s_mov_b32 s17, exec_lo
	v_cmpx_gt_u32_e32 8, v2
; %bb.623:                              ;   in Loop: Header=BB311_11 Depth=1
	s_delay_alu instid0(VALU_DEP_3) | instskip(NEXT) | instid1(VALU_DEP_1)
	v_clz_i32_u32_e32 v0, v0
	v_min_u32_e32 v2, 32, v0
	s_delay_alu instid0(VALU_DEP_1) | instskip(NEXT) | instid1(VALU_DEP_1)
	v_subrev_nc_u32_e32 v0, 28, v2
	v_lshlrev_b64_e32 v[0:1], v0, v[8:9]
	v_sub_nc_u32_e32 v1, 29, v2
	s_delay_alu instid0(VALU_DEP_2)
	v_and_b32_e32 v0, 7, v0
; %bb.624:                              ;   in Loop: Header=BB311_11 Depth=1
	s_wait_alu 0xfffe
	s_or_b32 exec_lo, exec_lo, s17
	v_lshlrev_b32_e32 v2, 8, v29
	v_lshl_add_u32 v1, v1, 10, 0x2000
	v_lshlrev_b32_e32 v0, 7, v0
	s_delay_alu instid0(VALU_DEP_3) | instskip(NEXT) | instid1(VALU_DEP_3)
	v_and_b32_e32 v2, 0x8000, v2
	v_and_b32_e32 v1, 0xfc00, v1
	s_delay_alu instid0(VALU_DEP_1)
	v_or3_b32 v0, v2, v1, v0
	scratch_store_b32 off, v0, s32 offset:548 ; 4-byte Folded Spill
.LBB311_625:                            ;   in Loop: Header=BB311_11 Depth=1
	s_wait_alu 0xfffe
	s_or_b32 exec_lo, exec_lo, s16
.LBB311_626:                            ;   in Loop: Header=BB311_11 Depth=1
	s_wait_alu 0xfffe
	s_or_b32 exec_lo, exec_lo, s15
.LBB311_627:                            ;   in Loop: Header=BB311_11 Depth=1
	s_wait_alu 0xfffe
	s_or_b32 exec_lo, exec_lo, s14
	v_lshrrev_b16 v8, 8, v8
	v_mov_b32_e32 v0, 0
	v_mov_b32_e32 v60, 0
	s_mov_b32 s14, exec_lo
	scratch_store_b32 off, v0, s32 offset:552 ; 4-byte Folded Spill
	v_cmpx_ne_u16_e32 0, v8
	s_cbranch_execz .LBB311_635
; %bb.628:                              ;   in Loop: Header=BB311_11 Depth=1
	v_bfrev_b32_e32 v60, 1
	s_mov_b32 s15, exec_lo
	v_cmpx_ne_u16_e32 0x80, v8
	s_cbranch_execz .LBB311_634
; %bb.629:                              ;   in Loop: Header=BB311_11 Depth=1
	v_and_b32_e32 v0, 0xffff, v8
	v_mov_b32_e32 v60, 0x7c010000
	s_mov_b32 s16, exec_lo
	s_delay_alu instid0(VALU_DEP_2) | instskip(NEXT) | instid1(VALU_DEP_1)
	v_and_b32_e32 v3, 0x7f, v0
	v_cmpx_ne_u32_e32 0x7f, v3
	s_cbranch_execz .LBB311_633
; %bb.630:                              ;   in Loop: Header=BB311_11 Depth=1
	v_and_b32_e32 v1, 7, v0
	v_lshrrev_b32_e32 v2, 3, v3
	s_mov_b32 s17, exec_lo
	v_cmpx_gt_u32_e32 8, v3
; %bb.631:                              ;   in Loop: Header=BB311_11 Depth=1
	s_delay_alu instid0(VALU_DEP_3) | instskip(NEXT) | instid1(VALU_DEP_1)
	v_clz_i32_u32_e32 v1, v1
	v_min_u32_e32 v3, 32, v1
	s_delay_alu instid0(VALU_DEP_1) | instskip(NEXT) | instid1(VALU_DEP_1)
	v_subrev_nc_u32_e32 v1, 28, v3
	v_lshlrev_b64_e32 v[1:2], v1, v[8:9]
	v_sub_nc_u32_e32 v2, 29, v3
	s_delay_alu instid0(VALU_DEP_2)
	v_and_b32_e32 v1, 7, v1
; %bb.632:                              ;   in Loop: Header=BB311_11 Depth=1
	s_wait_alu 0xfffe
	s_or_b32 exec_lo, exec_lo, s17
	v_lshlrev_b32_e32 v0, 8, v0
	v_lshl_add_u32 v2, v2, 10, 0x2000
	v_lshlrev_b32_e32 v1, 23, v1
	s_delay_alu instid0(VALU_DEP_2) | instskip(NEXT) | instid1(VALU_DEP_1)
	v_and_or_b32 v0, 0x8000, v0, v2
	v_lshl_or_b32 v60, v0, 16, v1
.LBB311_633:                            ;   in Loop: Header=BB311_11 Depth=1
	s_wait_alu 0xfffe
	s_or_b32 exec_lo, exec_lo, s16
.LBB311_634:                            ;   in Loop: Header=BB311_11 Depth=1
	s_wait_alu 0xfffe
	s_or_b32 exec_lo, exec_lo, s15
.LBB311_635:                            ;   in Loop: Header=BB311_11 Depth=1
	s_wait_alu 0xfffe
	s_or_b32 exec_lo, exec_lo, s14
	v_lshrrev_b32_e32 v8, 16, v29
	s_mov_b32 s14, exec_lo
	s_delay_alu instid0(VALU_DEP_1) | instskip(NEXT) | instid1(VALU_DEP_1)
	v_and_b32_e32 v0, 0xff, v8
	v_cmpx_ne_u16_e32 0, v0
	s_cbranch_execz .LBB311_643
; %bb.636:                              ;   in Loop: Header=BB311_11 Depth=1
	v_cmp_ne_u16_e64 s1, 0x80, v0
	v_mov_b32_e32 v0, 0x8000
	scratch_store_b32 off, v0, s32 offset:552 ; 4-byte Folded Spill
	s_and_saveexec_b32 s15, s1
	s_cbranch_execz .LBB311_642
; %bb.637:                              ;   in Loop: Header=BB311_11 Depth=1
	v_bfe_u32 v2, v29, 16, 7
	v_mov_b32_e32 v0, 0x7c01
	s_mov_b32 s16, exec_lo
	scratch_store_b32 off, v0, s32 offset:552 ; 4-byte Folded Spill
	v_cmpx_ne_u32_e32 0x7f, v2
	s_cbranch_execz .LBB311_641
; %bb.638:                              ;   in Loop: Header=BB311_11 Depth=1
	v_and_b32_e32 v0, 7, v8
	v_lshrrev_b32_e32 v1, 3, v2
	s_mov_b32 s17, exec_lo
	v_cmpx_gt_u32_e32 8, v2
; %bb.639:                              ;   in Loop: Header=BB311_11 Depth=1
	s_delay_alu instid0(VALU_DEP_3) | instskip(NEXT) | instid1(VALU_DEP_1)
	v_clz_i32_u32_e32 v0, v0
	v_min_u32_e32 v2, 32, v0
	s_delay_alu instid0(VALU_DEP_1) | instskip(NEXT) | instid1(VALU_DEP_1)
	v_subrev_nc_u32_e32 v0, 28, v2
	v_lshlrev_b64_e32 v[0:1], v0, v[8:9]
	v_sub_nc_u32_e32 v1, 29, v2
	s_delay_alu instid0(VALU_DEP_2)
	v_and_b32_e32 v0, 7, v0
; %bb.640:                              ;   in Loop: Header=BB311_11 Depth=1
	s_wait_alu 0xfffe
	s_or_b32 exec_lo, exec_lo, s17
	v_lshlrev_b32_e32 v2, 8, v8
	v_lshl_add_u32 v1, v1, 10, 0x2000
	v_lshlrev_b32_e32 v0, 7, v0
	s_delay_alu instid0(VALU_DEP_3) | instskip(NEXT) | instid1(VALU_DEP_3)
	v_and_b32_e32 v2, 0x8000, v2
	v_and_b32_e32 v1, 0xfc00, v1
	s_delay_alu instid0(VALU_DEP_1)
	v_or3_b32 v0, v2, v1, v0
	scratch_store_b32 off, v0, s32 offset:552 ; 4-byte Folded Spill
.LBB311_641:                            ;   in Loop: Header=BB311_11 Depth=1
	s_wait_alu 0xfffe
	s_or_b32 exec_lo, exec_lo, s16
.LBB311_642:                            ;   in Loop: Header=BB311_11 Depth=1
	s_wait_alu 0xfffe
	s_or_b32 exec_lo, exec_lo, s15
.LBB311_643:                            ;   in Loop: Header=BB311_11 Depth=1
	s_wait_alu 0xfffe
	s_or_b32 exec_lo, exec_lo, s14
	v_dual_mov_b32 v0, 0 :: v_dual_mov_b32 v61, 0
	s_mov_b32 s14, exec_lo
	scratch_store_b32 off, v0, s32 offset:556 ; 4-byte Folded Spill
	v_cmpx_lt_u64_e64 s[2:3], v[28:29]
	s_cbranch_execz .LBB311_651
; %bb.644:                              ;   in Loop: Header=BB311_11 Depth=1
	v_lshrrev_b32_e32 v8, 24, v29
	v_bfrev_b32_e32 v61, 1
	s_mov_b32 s15, exec_lo
	s_delay_alu instid0(VALU_DEP_2)
	v_cmpx_ne_u32_e32 0x80, v8
	s_cbranch_execz .LBB311_650
; %bb.645:                              ;   in Loop: Header=BB311_11 Depth=1
	v_and_b32_e32 v2, 0x7f, v8
	v_mov_b32_e32 v61, 0x7c010000
	s_mov_b32 s16, exec_lo
	s_delay_alu instid0(VALU_DEP_2)
	v_cmpx_ne_u32_e32 0x7f, v2
	s_cbranch_execz .LBB311_649
; %bb.646:                              ;   in Loop: Header=BB311_11 Depth=1
	v_and_b32_e32 v0, 7, v8
	v_lshrrev_b32_e32 v1, 3, v2
	s_mov_b32 s17, exec_lo
	v_cmpx_gt_u32_e32 8, v2
; %bb.647:                              ;   in Loop: Header=BB311_11 Depth=1
	s_delay_alu instid0(VALU_DEP_3) | instskip(NEXT) | instid1(VALU_DEP_1)
	v_clz_i32_u32_e32 v0, v0
	v_min_u32_e32 v2, 32, v0
	s_delay_alu instid0(VALU_DEP_1) | instskip(NEXT) | instid1(VALU_DEP_1)
	v_subrev_nc_u32_e32 v0, 28, v2
	v_lshlrev_b64_e32 v[0:1], v0, v[8:9]
	v_sub_nc_u32_e32 v1, 29, v2
	s_delay_alu instid0(VALU_DEP_2)
	v_and_b32_e32 v0, 7, v0
; %bb.648:                              ;   in Loop: Header=BB311_11 Depth=1
	s_wait_alu 0xfffe
	s_or_b32 exec_lo, exec_lo, s17
	v_lshlrev_b32_e32 v2, 8, v8
	v_lshl_add_u32 v1, v1, 10, 0x2000
	v_lshlrev_b32_e32 v0, 23, v0
	s_delay_alu instid0(VALU_DEP_2) | instskip(NEXT) | instid1(VALU_DEP_1)
	v_and_or_b32 v1, 0x8000, v2, v1
	v_lshl_or_b32 v61, v1, 16, v0
.LBB311_649:                            ;   in Loop: Header=BB311_11 Depth=1
	s_wait_alu 0xfffe
	s_or_b32 exec_lo, exec_lo, s16
.LBB311_650:                            ;   in Loop: Header=BB311_11 Depth=1
	s_wait_alu 0xfffe
	s_or_b32 exec_lo, exec_lo, s15
.LBB311_651:                            ;   in Loop: Header=BB311_11 Depth=1
	s_wait_alu 0xfffe
	s_or_b32 exec_lo, exec_lo, s14
	flat_load_b64 v[28:29], v[20:21] offset:2560
	s_mov_b32 s14, exec_lo
	s_wait_loadcnt_dscnt 0x0
	v_and_b32_e32 v0, 0xff, v28
	s_delay_alu instid0(VALU_DEP_1)
	v_cmpx_ne_u16_e32 0, v0
	s_cbranch_execz .LBB311_659
; %bb.652:                              ;   in Loop: Header=BB311_11 Depth=1
	v_cmp_ne_u16_e64 s1, 0x80, v0
	v_mov_b32_e32 v0, 0x8000
	scratch_store_b32 off, v0, s32 offset:556 ; 4-byte Folded Spill
	s_and_saveexec_b32 s15, s1
	s_cbranch_execz .LBB311_658
; %bb.653:                              ;   in Loop: Header=BB311_11 Depth=1
	v_and_b32_e32 v2, 0x7f, v28
	v_mov_b32_e32 v0, 0x7c01
	s_mov_b32 s16, exec_lo
	scratch_store_b32 off, v0, s32 offset:556 ; 4-byte Folded Spill
	v_cmpx_ne_u32_e32 0x7f, v2
	s_cbranch_execz .LBB311_657
; %bb.654:                              ;   in Loop: Header=BB311_11 Depth=1
	v_and_b32_e32 v0, 7, v28
	v_lshrrev_b32_e32 v1, 3, v2
	s_mov_b32 s17, exec_lo
	v_cmpx_gt_u32_e32 8, v2
; %bb.655:                              ;   in Loop: Header=BB311_11 Depth=1
	s_delay_alu instid0(VALU_DEP_3) | instskip(NEXT) | instid1(VALU_DEP_1)
	v_clz_i32_u32_e32 v0, v0
	v_min_u32_e32 v2, 32, v0
	s_delay_alu instid0(VALU_DEP_1) | instskip(NEXT) | instid1(VALU_DEP_1)
	v_subrev_nc_u32_e32 v0, 28, v2
	v_lshlrev_b64_e32 v[0:1], v0, v[28:29]
	v_sub_nc_u32_e32 v1, 29, v2
	s_delay_alu instid0(VALU_DEP_2)
	v_and_b32_e32 v0, 7, v0
; %bb.656:                              ;   in Loop: Header=BB311_11 Depth=1
	s_wait_alu 0xfffe
	s_or_b32 exec_lo, exec_lo, s17
	v_lshlrev_b32_e32 v2, 8, v28
	v_lshl_add_u32 v1, v1, 10, 0x2000
	v_lshlrev_b32_e32 v0, 7, v0
	s_delay_alu instid0(VALU_DEP_3) | instskip(NEXT) | instid1(VALU_DEP_3)
	v_and_b32_e32 v2, 0x8000, v2
	v_and_b32_e32 v1, 0xfc00, v1
	s_delay_alu instid0(VALU_DEP_1)
	v_or3_b32 v0, v2, v1, v0
	scratch_store_b32 off, v0, s32 offset:556 ; 4-byte Folded Spill
.LBB311_657:                            ;   in Loop: Header=BB311_11 Depth=1
	s_wait_alu 0xfffe
	s_or_b32 exec_lo, exec_lo, s16
.LBB311_658:                            ;   in Loop: Header=BB311_11 Depth=1
	s_wait_alu 0xfffe
	s_or_b32 exec_lo, exec_lo, s15
.LBB311_659:                            ;   in Loop: Header=BB311_11 Depth=1
	s_wait_alu 0xfffe
	s_or_b32 exec_lo, exec_lo, s14
	v_lshrrev_b16 v8, 8, v28
	v_dual_mov_b32 v0, 0 :: v_dual_mov_b32 v63, 0
	s_mov_b32 s14, exec_lo
	scratch_store_b32 off, v0, s32 offset:560 ; 4-byte Folded Spill
	v_cmpx_ne_u16_e32 0, v8
	s_cbranch_execz .LBB311_667
; %bb.660:                              ;   in Loop: Header=BB311_11 Depth=1
	v_bfrev_b32_e32 v63, 1
	s_mov_b32 s15, exec_lo
	v_cmpx_ne_u16_e32 0x80, v8
	s_cbranch_execz .LBB311_666
; %bb.661:                              ;   in Loop: Header=BB311_11 Depth=1
	v_and_b32_e32 v0, 0xffff, v8
	v_mov_b32_e32 v63, 0x7c010000
	s_mov_b32 s16, exec_lo
	s_delay_alu instid0(VALU_DEP_2) | instskip(NEXT) | instid1(VALU_DEP_1)
	v_and_b32_e32 v3, 0x7f, v0
	v_cmpx_ne_u32_e32 0x7f, v3
	s_cbranch_execz .LBB311_665
; %bb.662:                              ;   in Loop: Header=BB311_11 Depth=1
	v_and_b32_e32 v1, 7, v0
	v_lshrrev_b32_e32 v2, 3, v3
	s_mov_b32 s17, exec_lo
	v_cmpx_gt_u32_e32 8, v3
; %bb.663:                              ;   in Loop: Header=BB311_11 Depth=1
	s_delay_alu instid0(VALU_DEP_3) | instskip(NEXT) | instid1(VALU_DEP_1)
	v_clz_i32_u32_e32 v1, v1
	v_min_u32_e32 v3, 32, v1
	s_delay_alu instid0(VALU_DEP_1) | instskip(NEXT) | instid1(VALU_DEP_1)
	v_subrev_nc_u32_e32 v1, 28, v3
	v_lshlrev_b64_e32 v[1:2], v1, v[8:9]
	v_sub_nc_u32_e32 v2, 29, v3
	s_delay_alu instid0(VALU_DEP_2)
	v_and_b32_e32 v1, 7, v1
; %bb.664:                              ;   in Loop: Header=BB311_11 Depth=1
	s_wait_alu 0xfffe
	s_or_b32 exec_lo, exec_lo, s17
	v_lshlrev_b32_e32 v0, 8, v0
	v_lshl_add_u32 v2, v2, 10, 0x2000
	v_lshlrev_b32_e32 v1, 23, v1
	s_delay_alu instid0(VALU_DEP_2) | instskip(NEXT) | instid1(VALU_DEP_1)
	v_and_or_b32 v0, 0x8000, v0, v2
	v_lshl_or_b32 v63, v0, 16, v1
.LBB311_665:                            ;   in Loop: Header=BB311_11 Depth=1
	s_wait_alu 0xfffe
	s_or_b32 exec_lo, exec_lo, s16
.LBB311_666:                            ;   in Loop: Header=BB311_11 Depth=1
	s_wait_alu 0xfffe
	s_or_b32 exec_lo, exec_lo, s15
.LBB311_667:                            ;   in Loop: Header=BB311_11 Depth=1
	s_wait_alu 0xfffe
	s_or_b32 exec_lo, exec_lo, s14
	v_lshrrev_b32_e32 v8, 16, v28
	s_mov_b32 s14, exec_lo
	s_delay_alu instid0(VALU_DEP_1) | instskip(NEXT) | instid1(VALU_DEP_1)
	v_and_b32_e32 v0, 0xff, v8
	v_cmpx_ne_u16_e32 0, v0
	s_cbranch_execz .LBB311_675
; %bb.668:                              ;   in Loop: Header=BB311_11 Depth=1
	v_cmp_ne_u16_e64 s1, 0x80, v0
	v_mov_b32_e32 v0, 0x8000
	scratch_store_b32 off, v0, s32 offset:560 ; 4-byte Folded Spill
	s_and_saveexec_b32 s15, s1
	s_cbranch_execz .LBB311_674
; %bb.669:                              ;   in Loop: Header=BB311_11 Depth=1
	v_bfe_u32 v2, v28, 16, 7
	v_mov_b32_e32 v0, 0x7c01
	s_mov_b32 s16, exec_lo
	scratch_store_b32 off, v0, s32 offset:560 ; 4-byte Folded Spill
	v_cmpx_ne_u32_e32 0x7f, v2
	s_cbranch_execz .LBB311_673
; %bb.670:                              ;   in Loop: Header=BB311_11 Depth=1
	v_and_b32_e32 v0, 7, v8
	v_lshrrev_b32_e32 v1, 3, v2
	s_mov_b32 s17, exec_lo
	v_cmpx_gt_u32_e32 8, v2
; %bb.671:                              ;   in Loop: Header=BB311_11 Depth=1
	s_delay_alu instid0(VALU_DEP_3) | instskip(NEXT) | instid1(VALU_DEP_1)
	v_clz_i32_u32_e32 v0, v0
	v_min_u32_e32 v2, 32, v0
	s_delay_alu instid0(VALU_DEP_1) | instskip(NEXT) | instid1(VALU_DEP_1)
	v_subrev_nc_u32_e32 v0, 28, v2
	v_lshlrev_b64_e32 v[0:1], v0, v[8:9]
	v_sub_nc_u32_e32 v1, 29, v2
	s_delay_alu instid0(VALU_DEP_2)
	v_and_b32_e32 v0, 7, v0
; %bb.672:                              ;   in Loop: Header=BB311_11 Depth=1
	s_wait_alu 0xfffe
	s_or_b32 exec_lo, exec_lo, s17
	v_lshlrev_b32_e32 v2, 8, v8
	v_lshl_add_u32 v1, v1, 10, 0x2000
	v_lshlrev_b32_e32 v0, 7, v0
	s_delay_alu instid0(VALU_DEP_3) | instskip(NEXT) | instid1(VALU_DEP_3)
	v_and_b32_e32 v2, 0x8000, v2
	v_and_b32_e32 v1, 0xfc00, v1
	s_delay_alu instid0(VALU_DEP_1)
	v_or3_b32 v0, v2, v1, v0
	scratch_store_b32 off, v0, s32 offset:560 ; 4-byte Folded Spill
.LBB311_673:                            ;   in Loop: Header=BB311_11 Depth=1
	s_wait_alu 0xfffe
	s_or_b32 exec_lo, exec_lo, s16
.LBB311_674:                            ;   in Loop: Header=BB311_11 Depth=1
	s_wait_alu 0xfffe
	s_or_b32 exec_lo, exec_lo, s15
.LBB311_675:                            ;   in Loop: Header=BB311_11 Depth=1
	s_wait_alu 0xfffe
	s_or_b32 exec_lo, exec_lo, s14
	v_mov_b32_e32 v0, 0
	v_mov_b32_e32 v74, 0
	s_mov_b32 s14, exec_lo
	scratch_store_b32 off, v0, s32 offset:564 ; 4-byte Folded Spill
	v_cmpx_lt_u32_e32 0xffffff, v28
	s_cbranch_execz .LBB311_683
; %bb.676:                              ;   in Loop: Header=BB311_11 Depth=1
	v_lshrrev_b32_e32 v8, 24, v28
	v_bfrev_b32_e32 v74, 1
	s_mov_b32 s15, exec_lo
	s_delay_alu instid0(VALU_DEP_2)
	v_cmpx_ne_u32_e32 0x80, v8
	s_cbranch_execz .LBB311_682
; %bb.677:                              ;   in Loop: Header=BB311_11 Depth=1
	v_and_b32_e32 v2, 0x7f, v8
	v_mov_b32_e32 v74, 0x7c010000
	s_mov_b32 s16, exec_lo
	s_delay_alu instid0(VALU_DEP_2)
	v_cmpx_ne_u32_e32 0x7f, v2
	s_cbranch_execz .LBB311_681
; %bb.678:                              ;   in Loop: Header=BB311_11 Depth=1
	v_and_b32_e32 v0, 7, v8
	v_lshrrev_b32_e32 v1, 3, v2
	s_mov_b32 s17, exec_lo
	v_cmpx_gt_u32_e32 8, v2
; %bb.679:                              ;   in Loop: Header=BB311_11 Depth=1
	s_delay_alu instid0(VALU_DEP_3) | instskip(NEXT) | instid1(VALU_DEP_1)
	v_clz_i32_u32_e32 v0, v0
	v_min_u32_e32 v2, 32, v0
	s_delay_alu instid0(VALU_DEP_1) | instskip(NEXT) | instid1(VALU_DEP_1)
	v_subrev_nc_u32_e32 v0, 28, v2
	v_lshlrev_b64_e32 v[0:1], v0, v[8:9]
	v_sub_nc_u32_e32 v1, 29, v2
	s_delay_alu instid0(VALU_DEP_2)
	v_and_b32_e32 v0, 7, v0
; %bb.680:                              ;   in Loop: Header=BB311_11 Depth=1
	s_wait_alu 0xfffe
	s_or_b32 exec_lo, exec_lo, s17
	v_lshlrev_b32_e32 v2, 8, v8
	v_lshl_add_u32 v1, v1, 10, 0x2000
	v_lshlrev_b32_e32 v0, 23, v0
	s_delay_alu instid0(VALU_DEP_2) | instskip(NEXT) | instid1(VALU_DEP_1)
	v_and_or_b32 v1, 0x8000, v2, v1
	v_lshl_or_b32 v74, v1, 16, v0
.LBB311_681:                            ;   in Loop: Header=BB311_11 Depth=1
	s_wait_alu 0xfffe
	s_or_b32 exec_lo, exec_lo, s16
.LBB311_682:                            ;   in Loop: Header=BB311_11 Depth=1
	s_wait_alu 0xfffe
	s_or_b32 exec_lo, exec_lo, s15
.LBB311_683:                            ;   in Loop: Header=BB311_11 Depth=1
	s_wait_alu 0xfffe
	s_or_b32 exec_lo, exec_lo, s14
	v_and_b32_e32 v0, 0xff, v29
	v_mov_b32_e32 v8, v29
	s_mov_b32 s14, exec_lo
	s_delay_alu instid0(VALU_DEP_2)
	v_cmpx_ne_u16_e32 0, v0
	s_cbranch_execz .LBB311_691
; %bb.684:                              ;   in Loop: Header=BB311_11 Depth=1
	v_cmp_ne_u16_e64 s1, 0x80, v0
	v_mov_b32_e32 v0, 0x8000
	scratch_store_b32 off, v0, s32 offset:564 ; 4-byte Folded Spill
	s_and_saveexec_b32 s15, s1
	s_cbranch_execz .LBB311_690
; %bb.685:                              ;   in Loop: Header=BB311_11 Depth=1
	v_and_b32_e32 v2, 0x7f, v29
	v_mov_b32_e32 v0, 0x7c01
	s_mov_b32 s16, exec_lo
	scratch_store_b32 off, v0, s32 offset:564 ; 4-byte Folded Spill
	v_cmpx_ne_u32_e32 0x7f, v2
	s_cbranch_execz .LBB311_689
; %bb.686:                              ;   in Loop: Header=BB311_11 Depth=1
	v_and_b32_e32 v0, 7, v29
	v_lshrrev_b32_e32 v1, 3, v2
	s_mov_b32 s17, exec_lo
	v_cmpx_gt_u32_e32 8, v2
; %bb.687:                              ;   in Loop: Header=BB311_11 Depth=1
	s_delay_alu instid0(VALU_DEP_3) | instskip(NEXT) | instid1(VALU_DEP_1)
	v_clz_i32_u32_e32 v0, v0
	v_min_u32_e32 v2, 32, v0
	s_delay_alu instid0(VALU_DEP_1) | instskip(NEXT) | instid1(VALU_DEP_1)
	v_subrev_nc_u32_e32 v0, 28, v2
	v_lshlrev_b64_e32 v[0:1], v0, v[8:9]
	v_sub_nc_u32_e32 v1, 29, v2
	s_delay_alu instid0(VALU_DEP_2)
	v_and_b32_e32 v0, 7, v0
; %bb.688:                              ;   in Loop: Header=BB311_11 Depth=1
	s_wait_alu 0xfffe
	s_or_b32 exec_lo, exec_lo, s17
	v_lshlrev_b32_e32 v2, 8, v29
	v_lshl_add_u32 v1, v1, 10, 0x2000
	v_lshlrev_b32_e32 v0, 7, v0
	s_delay_alu instid0(VALU_DEP_3) | instskip(NEXT) | instid1(VALU_DEP_3)
	v_and_b32_e32 v2, 0x8000, v2
	v_and_b32_e32 v1, 0xfc00, v1
	s_delay_alu instid0(VALU_DEP_1)
	v_or3_b32 v0, v2, v1, v0
	scratch_store_b32 off, v0, s32 offset:564 ; 4-byte Folded Spill
.LBB311_689:                            ;   in Loop: Header=BB311_11 Depth=1
	s_wait_alu 0xfffe
	s_or_b32 exec_lo, exec_lo, s16
.LBB311_690:                            ;   in Loop: Header=BB311_11 Depth=1
	s_wait_alu 0xfffe
	s_or_b32 exec_lo, exec_lo, s15
.LBB311_691:                            ;   in Loop: Header=BB311_11 Depth=1
	s_wait_alu 0xfffe
	s_or_b32 exec_lo, exec_lo, s14
	v_lshrrev_b16 v8, 8, v8
	v_mov_b32_e32 v0, 0
	v_mov_b32_e32 v76, 0
	s_mov_b32 s14, exec_lo
	scratch_store_b32 off, v0, s32 offset:568 ; 4-byte Folded Spill
	v_cmpx_ne_u16_e32 0, v8
	s_cbranch_execz .LBB311_699
; %bb.692:                              ;   in Loop: Header=BB311_11 Depth=1
	v_bfrev_b32_e32 v76, 1
	s_mov_b32 s15, exec_lo
	v_cmpx_ne_u16_e32 0x80, v8
	s_cbranch_execz .LBB311_698
; %bb.693:                              ;   in Loop: Header=BB311_11 Depth=1
	v_and_b32_e32 v0, 0xffff, v8
	v_mov_b32_e32 v76, 0x7c010000
	s_mov_b32 s16, exec_lo
	s_delay_alu instid0(VALU_DEP_2) | instskip(NEXT) | instid1(VALU_DEP_1)
	v_and_b32_e32 v3, 0x7f, v0
	v_cmpx_ne_u32_e32 0x7f, v3
	s_cbranch_execz .LBB311_697
; %bb.694:                              ;   in Loop: Header=BB311_11 Depth=1
	v_and_b32_e32 v1, 7, v0
	v_lshrrev_b32_e32 v2, 3, v3
	s_mov_b32 s17, exec_lo
	v_cmpx_gt_u32_e32 8, v3
; %bb.695:                              ;   in Loop: Header=BB311_11 Depth=1
	s_delay_alu instid0(VALU_DEP_3) | instskip(NEXT) | instid1(VALU_DEP_1)
	v_clz_i32_u32_e32 v1, v1
	v_min_u32_e32 v3, 32, v1
	s_delay_alu instid0(VALU_DEP_1) | instskip(NEXT) | instid1(VALU_DEP_1)
	v_subrev_nc_u32_e32 v1, 28, v3
	v_lshlrev_b64_e32 v[1:2], v1, v[8:9]
	v_sub_nc_u32_e32 v2, 29, v3
	s_delay_alu instid0(VALU_DEP_2)
	v_and_b32_e32 v1, 7, v1
; %bb.696:                              ;   in Loop: Header=BB311_11 Depth=1
	s_wait_alu 0xfffe
	s_or_b32 exec_lo, exec_lo, s17
	v_lshlrev_b32_e32 v0, 8, v0
	v_lshl_add_u32 v2, v2, 10, 0x2000
	v_lshlrev_b32_e32 v1, 23, v1
	s_delay_alu instid0(VALU_DEP_2) | instskip(NEXT) | instid1(VALU_DEP_1)
	v_and_or_b32 v0, 0x8000, v0, v2
	v_lshl_or_b32 v76, v0, 16, v1
.LBB311_697:                            ;   in Loop: Header=BB311_11 Depth=1
	s_wait_alu 0xfffe
	s_or_b32 exec_lo, exec_lo, s16
.LBB311_698:                            ;   in Loop: Header=BB311_11 Depth=1
	s_wait_alu 0xfffe
	s_or_b32 exec_lo, exec_lo, s15
.LBB311_699:                            ;   in Loop: Header=BB311_11 Depth=1
	s_wait_alu 0xfffe
	s_or_b32 exec_lo, exec_lo, s14
	v_lshrrev_b32_e32 v8, 16, v29
	s_mov_b32 s14, exec_lo
	s_delay_alu instid0(VALU_DEP_1) | instskip(NEXT) | instid1(VALU_DEP_1)
	v_and_b32_e32 v0, 0xff, v8
	v_cmpx_ne_u16_e32 0, v0
	s_cbranch_execz .LBB311_707
; %bb.700:                              ;   in Loop: Header=BB311_11 Depth=1
	v_cmp_ne_u16_e64 s1, 0x80, v0
	v_mov_b32_e32 v0, 0x8000
	scratch_store_b32 off, v0, s32 offset:568 ; 4-byte Folded Spill
	s_and_saveexec_b32 s15, s1
	s_cbranch_execz .LBB311_706
; %bb.701:                              ;   in Loop: Header=BB311_11 Depth=1
	v_bfe_u32 v2, v29, 16, 7
	v_mov_b32_e32 v0, 0x7c01
	s_mov_b32 s16, exec_lo
	scratch_store_b32 off, v0, s32 offset:568 ; 4-byte Folded Spill
	v_cmpx_ne_u32_e32 0x7f, v2
	s_cbranch_execz .LBB311_705
; %bb.702:                              ;   in Loop: Header=BB311_11 Depth=1
	v_and_b32_e32 v0, 7, v8
	v_lshrrev_b32_e32 v1, 3, v2
	s_mov_b32 s17, exec_lo
	v_cmpx_gt_u32_e32 8, v2
; %bb.703:                              ;   in Loop: Header=BB311_11 Depth=1
	s_delay_alu instid0(VALU_DEP_3) | instskip(NEXT) | instid1(VALU_DEP_1)
	v_clz_i32_u32_e32 v0, v0
	v_min_u32_e32 v2, 32, v0
	s_delay_alu instid0(VALU_DEP_1) | instskip(NEXT) | instid1(VALU_DEP_1)
	v_subrev_nc_u32_e32 v0, 28, v2
	v_lshlrev_b64_e32 v[0:1], v0, v[8:9]
	v_sub_nc_u32_e32 v1, 29, v2
	s_delay_alu instid0(VALU_DEP_2)
	v_and_b32_e32 v0, 7, v0
; %bb.704:                              ;   in Loop: Header=BB311_11 Depth=1
	s_wait_alu 0xfffe
	s_or_b32 exec_lo, exec_lo, s17
	v_lshlrev_b32_e32 v2, 8, v8
	v_lshl_add_u32 v1, v1, 10, 0x2000
	v_lshlrev_b32_e32 v0, 7, v0
	s_delay_alu instid0(VALU_DEP_3) | instskip(NEXT) | instid1(VALU_DEP_3)
	v_and_b32_e32 v2, 0x8000, v2
	v_and_b32_e32 v1, 0xfc00, v1
	s_delay_alu instid0(VALU_DEP_1)
	v_or3_b32 v0, v2, v1, v0
	scratch_store_b32 off, v0, s32 offset:568 ; 4-byte Folded Spill
.LBB311_705:                            ;   in Loop: Header=BB311_11 Depth=1
	s_wait_alu 0xfffe
	s_or_b32 exec_lo, exec_lo, s16
.LBB311_706:                            ;   in Loop: Header=BB311_11 Depth=1
	s_wait_alu 0xfffe
	s_or_b32 exec_lo, exec_lo, s15
.LBB311_707:                            ;   in Loop: Header=BB311_11 Depth=1
	s_wait_alu 0xfffe
	s_or_b32 exec_lo, exec_lo, s14
	v_dual_mov_b32 v0, 0 :: v_dual_mov_b32 v77, 0
	s_mov_b32 s14, exec_lo
	scratch_store_b32 off, v0, s32 offset:572 ; 4-byte Folded Spill
	v_cmpx_lt_u64_e64 s[2:3], v[28:29]
	s_cbranch_execz .LBB311_715
; %bb.708:                              ;   in Loop: Header=BB311_11 Depth=1
	v_lshrrev_b32_e32 v8, 24, v29
	v_bfrev_b32_e32 v77, 1
	s_mov_b32 s15, exec_lo
	s_delay_alu instid0(VALU_DEP_2)
	v_cmpx_ne_u32_e32 0x80, v8
	s_cbranch_execz .LBB311_714
; %bb.709:                              ;   in Loop: Header=BB311_11 Depth=1
	v_and_b32_e32 v2, 0x7f, v8
	v_mov_b32_e32 v77, 0x7c010000
	s_mov_b32 s16, exec_lo
	s_delay_alu instid0(VALU_DEP_2)
	v_cmpx_ne_u32_e32 0x7f, v2
	s_cbranch_execz .LBB311_713
; %bb.710:                              ;   in Loop: Header=BB311_11 Depth=1
	v_and_b32_e32 v0, 7, v8
	v_lshrrev_b32_e32 v1, 3, v2
	s_mov_b32 s17, exec_lo
	v_cmpx_gt_u32_e32 8, v2
; %bb.711:                              ;   in Loop: Header=BB311_11 Depth=1
	s_delay_alu instid0(VALU_DEP_3) | instskip(NEXT) | instid1(VALU_DEP_1)
	v_clz_i32_u32_e32 v0, v0
	v_min_u32_e32 v2, 32, v0
	s_delay_alu instid0(VALU_DEP_1) | instskip(NEXT) | instid1(VALU_DEP_1)
	v_subrev_nc_u32_e32 v0, 28, v2
	v_lshlrev_b64_e32 v[0:1], v0, v[8:9]
	v_sub_nc_u32_e32 v1, 29, v2
	s_delay_alu instid0(VALU_DEP_2)
	v_and_b32_e32 v0, 7, v0
; %bb.712:                              ;   in Loop: Header=BB311_11 Depth=1
	s_wait_alu 0xfffe
	s_or_b32 exec_lo, exec_lo, s17
	v_lshlrev_b32_e32 v2, 8, v8
	v_lshl_add_u32 v1, v1, 10, 0x2000
	v_lshlrev_b32_e32 v0, 23, v0
	s_delay_alu instid0(VALU_DEP_2) | instskip(NEXT) | instid1(VALU_DEP_1)
	v_and_or_b32 v1, 0x8000, v2, v1
	v_lshl_or_b32 v77, v1, 16, v0
.LBB311_713:                            ;   in Loop: Header=BB311_11 Depth=1
	s_wait_alu 0xfffe
	s_or_b32 exec_lo, exec_lo, s16
.LBB311_714:                            ;   in Loop: Header=BB311_11 Depth=1
	s_wait_alu 0xfffe
	s_or_b32 exec_lo, exec_lo, s15
.LBB311_715:                            ;   in Loop: Header=BB311_11 Depth=1
	s_wait_alu 0xfffe
	s_or_b32 exec_lo, exec_lo, s14
	flat_load_b64 v[28:29], v[20:21] offset:2568
	s_mov_b32 s14, exec_lo
	s_wait_loadcnt_dscnt 0x0
	v_and_b32_e32 v0, 0xff, v28
	s_delay_alu instid0(VALU_DEP_1)
	v_cmpx_ne_u16_e32 0, v0
	s_cbranch_execz .LBB311_723
; %bb.716:                              ;   in Loop: Header=BB311_11 Depth=1
	v_cmp_ne_u16_e64 s1, 0x80, v0
	v_mov_b32_e32 v0, 0x8000
	scratch_store_b32 off, v0, s32 offset:572 ; 4-byte Folded Spill
	s_and_saveexec_b32 s15, s1
	s_cbranch_execz .LBB311_722
; %bb.717:                              ;   in Loop: Header=BB311_11 Depth=1
	v_and_b32_e32 v2, 0x7f, v28
	v_mov_b32_e32 v0, 0x7c01
	s_mov_b32 s16, exec_lo
	scratch_store_b32 off, v0, s32 offset:572 ; 4-byte Folded Spill
	v_cmpx_ne_u32_e32 0x7f, v2
	s_cbranch_execz .LBB311_721
; %bb.718:                              ;   in Loop: Header=BB311_11 Depth=1
	v_and_b32_e32 v0, 7, v28
	v_lshrrev_b32_e32 v1, 3, v2
	s_mov_b32 s17, exec_lo
	v_cmpx_gt_u32_e32 8, v2
; %bb.719:                              ;   in Loop: Header=BB311_11 Depth=1
	s_delay_alu instid0(VALU_DEP_3) | instskip(NEXT) | instid1(VALU_DEP_1)
	v_clz_i32_u32_e32 v0, v0
	v_min_u32_e32 v2, 32, v0
	s_delay_alu instid0(VALU_DEP_1) | instskip(NEXT) | instid1(VALU_DEP_1)
	v_subrev_nc_u32_e32 v0, 28, v2
	v_lshlrev_b64_e32 v[0:1], v0, v[28:29]
	v_sub_nc_u32_e32 v1, 29, v2
	s_delay_alu instid0(VALU_DEP_2)
	v_and_b32_e32 v0, 7, v0
; %bb.720:                              ;   in Loop: Header=BB311_11 Depth=1
	s_wait_alu 0xfffe
	s_or_b32 exec_lo, exec_lo, s17
	v_lshlrev_b32_e32 v2, 8, v28
	v_lshl_add_u32 v1, v1, 10, 0x2000
	v_lshlrev_b32_e32 v0, 7, v0
	s_delay_alu instid0(VALU_DEP_3) | instskip(NEXT) | instid1(VALU_DEP_3)
	v_and_b32_e32 v2, 0x8000, v2
	v_and_b32_e32 v1, 0xfc00, v1
	s_delay_alu instid0(VALU_DEP_1)
	v_or3_b32 v0, v2, v1, v0
	scratch_store_b32 off, v0, s32 offset:572 ; 4-byte Folded Spill
.LBB311_721:                            ;   in Loop: Header=BB311_11 Depth=1
	s_wait_alu 0xfffe
	s_or_b32 exec_lo, exec_lo, s16
.LBB311_722:                            ;   in Loop: Header=BB311_11 Depth=1
	s_wait_alu 0xfffe
	s_or_b32 exec_lo, exec_lo, s15
.LBB311_723:                            ;   in Loop: Header=BB311_11 Depth=1
	s_wait_alu 0xfffe
	s_or_b32 exec_lo, exec_lo, s14
	v_lshrrev_b16 v8, 8, v28
	v_dual_mov_b32 v0, 0 :: v_dual_mov_b32 v79, 0
	s_mov_b32 s14, exec_lo
	scratch_store_b32 off, v0, s32 offset:576 ; 4-byte Folded Spill
	v_cmpx_ne_u16_e32 0, v8
	s_cbranch_execz .LBB311_731
; %bb.724:                              ;   in Loop: Header=BB311_11 Depth=1
	v_bfrev_b32_e32 v79, 1
	s_mov_b32 s15, exec_lo
	v_cmpx_ne_u16_e32 0x80, v8
	s_cbranch_execz .LBB311_730
; %bb.725:                              ;   in Loop: Header=BB311_11 Depth=1
	v_and_b32_e32 v0, 0xffff, v8
	v_mov_b32_e32 v79, 0x7c010000
	s_mov_b32 s16, exec_lo
	s_delay_alu instid0(VALU_DEP_2) | instskip(NEXT) | instid1(VALU_DEP_1)
	v_and_b32_e32 v3, 0x7f, v0
	v_cmpx_ne_u32_e32 0x7f, v3
	s_cbranch_execz .LBB311_729
; %bb.726:                              ;   in Loop: Header=BB311_11 Depth=1
	v_and_b32_e32 v1, 7, v0
	v_lshrrev_b32_e32 v2, 3, v3
	s_mov_b32 s17, exec_lo
	v_cmpx_gt_u32_e32 8, v3
; %bb.727:                              ;   in Loop: Header=BB311_11 Depth=1
	s_delay_alu instid0(VALU_DEP_3) | instskip(NEXT) | instid1(VALU_DEP_1)
	v_clz_i32_u32_e32 v1, v1
	v_min_u32_e32 v3, 32, v1
	s_delay_alu instid0(VALU_DEP_1) | instskip(NEXT) | instid1(VALU_DEP_1)
	v_subrev_nc_u32_e32 v1, 28, v3
	v_lshlrev_b64_e32 v[1:2], v1, v[8:9]
	v_sub_nc_u32_e32 v2, 29, v3
	s_delay_alu instid0(VALU_DEP_2)
	v_and_b32_e32 v1, 7, v1
; %bb.728:                              ;   in Loop: Header=BB311_11 Depth=1
	s_wait_alu 0xfffe
	s_or_b32 exec_lo, exec_lo, s17
	v_lshlrev_b32_e32 v0, 8, v0
	v_lshl_add_u32 v2, v2, 10, 0x2000
	v_lshlrev_b32_e32 v1, 23, v1
	s_delay_alu instid0(VALU_DEP_2) | instskip(NEXT) | instid1(VALU_DEP_1)
	v_and_or_b32 v0, 0x8000, v0, v2
	v_lshl_or_b32 v79, v0, 16, v1
.LBB311_729:                            ;   in Loop: Header=BB311_11 Depth=1
	s_wait_alu 0xfffe
	s_or_b32 exec_lo, exec_lo, s16
.LBB311_730:                            ;   in Loop: Header=BB311_11 Depth=1
	s_wait_alu 0xfffe
	s_or_b32 exec_lo, exec_lo, s15
.LBB311_731:                            ;   in Loop: Header=BB311_11 Depth=1
	s_wait_alu 0xfffe
	s_or_b32 exec_lo, exec_lo, s14
	v_lshrrev_b32_e32 v8, 16, v28
	s_mov_b32 s14, exec_lo
	s_delay_alu instid0(VALU_DEP_1) | instskip(NEXT) | instid1(VALU_DEP_1)
	v_and_b32_e32 v0, 0xff, v8
	v_cmpx_ne_u16_e32 0, v0
	s_cbranch_execz .LBB311_739
; %bb.732:                              ;   in Loop: Header=BB311_11 Depth=1
	v_cmp_ne_u16_e64 s1, 0x80, v0
	v_mov_b32_e32 v0, 0x8000
	scratch_store_b32 off, v0, s32 offset:576 ; 4-byte Folded Spill
	s_and_saveexec_b32 s15, s1
	s_cbranch_execz .LBB311_738
; %bb.733:                              ;   in Loop: Header=BB311_11 Depth=1
	v_bfe_u32 v2, v28, 16, 7
	v_mov_b32_e32 v0, 0x7c01
	s_mov_b32 s16, exec_lo
	scratch_store_b32 off, v0, s32 offset:576 ; 4-byte Folded Spill
	v_cmpx_ne_u32_e32 0x7f, v2
	s_cbranch_execz .LBB311_737
; %bb.734:                              ;   in Loop: Header=BB311_11 Depth=1
	v_and_b32_e32 v0, 7, v8
	v_lshrrev_b32_e32 v1, 3, v2
	s_mov_b32 s17, exec_lo
	v_cmpx_gt_u32_e32 8, v2
; %bb.735:                              ;   in Loop: Header=BB311_11 Depth=1
	s_delay_alu instid0(VALU_DEP_3) | instskip(NEXT) | instid1(VALU_DEP_1)
	v_clz_i32_u32_e32 v0, v0
	v_min_u32_e32 v2, 32, v0
	s_delay_alu instid0(VALU_DEP_1) | instskip(NEXT) | instid1(VALU_DEP_1)
	v_subrev_nc_u32_e32 v0, 28, v2
	v_lshlrev_b64_e32 v[0:1], v0, v[8:9]
	v_sub_nc_u32_e32 v1, 29, v2
	s_delay_alu instid0(VALU_DEP_2)
	v_and_b32_e32 v0, 7, v0
; %bb.736:                              ;   in Loop: Header=BB311_11 Depth=1
	s_wait_alu 0xfffe
	s_or_b32 exec_lo, exec_lo, s17
	v_lshlrev_b32_e32 v2, 8, v8
	v_lshl_add_u32 v1, v1, 10, 0x2000
	v_lshlrev_b32_e32 v0, 7, v0
	s_delay_alu instid0(VALU_DEP_3) | instskip(NEXT) | instid1(VALU_DEP_3)
	v_and_b32_e32 v2, 0x8000, v2
	v_and_b32_e32 v1, 0xfc00, v1
	s_delay_alu instid0(VALU_DEP_1)
	v_or3_b32 v0, v2, v1, v0
	scratch_store_b32 off, v0, s32 offset:576 ; 4-byte Folded Spill
.LBB311_737:                            ;   in Loop: Header=BB311_11 Depth=1
	s_wait_alu 0xfffe
	s_or_b32 exec_lo, exec_lo, s16
.LBB311_738:                            ;   in Loop: Header=BB311_11 Depth=1
	s_wait_alu 0xfffe
	s_or_b32 exec_lo, exec_lo, s15
.LBB311_739:                            ;   in Loop: Header=BB311_11 Depth=1
	s_wait_alu 0xfffe
	s_or_b32 exec_lo, exec_lo, s14
	v_mov_b32_e32 v0, 0
	v_mov_b32_e32 v90, 0
	s_mov_b32 s14, exec_lo
	scratch_store_b32 off, v0, s32 offset:580 ; 4-byte Folded Spill
	v_cmpx_lt_u32_e32 0xffffff, v28
	s_cbranch_execz .LBB311_747
; %bb.740:                              ;   in Loop: Header=BB311_11 Depth=1
	v_lshrrev_b32_e32 v8, 24, v28
	v_bfrev_b32_e32 v90, 1
	s_mov_b32 s15, exec_lo
	s_delay_alu instid0(VALU_DEP_2)
	v_cmpx_ne_u32_e32 0x80, v8
	s_cbranch_execz .LBB311_746
; %bb.741:                              ;   in Loop: Header=BB311_11 Depth=1
	v_and_b32_e32 v2, 0x7f, v8
	v_mov_b32_e32 v90, 0x7c010000
	s_mov_b32 s16, exec_lo
	s_delay_alu instid0(VALU_DEP_2)
	v_cmpx_ne_u32_e32 0x7f, v2
	s_cbranch_execz .LBB311_745
; %bb.742:                              ;   in Loop: Header=BB311_11 Depth=1
	v_and_b32_e32 v0, 7, v8
	v_lshrrev_b32_e32 v1, 3, v2
	s_mov_b32 s17, exec_lo
	v_cmpx_gt_u32_e32 8, v2
; %bb.743:                              ;   in Loop: Header=BB311_11 Depth=1
	s_delay_alu instid0(VALU_DEP_3) | instskip(NEXT) | instid1(VALU_DEP_1)
	v_clz_i32_u32_e32 v0, v0
	v_min_u32_e32 v2, 32, v0
	s_delay_alu instid0(VALU_DEP_1) | instskip(NEXT) | instid1(VALU_DEP_1)
	v_subrev_nc_u32_e32 v0, 28, v2
	v_lshlrev_b64_e32 v[0:1], v0, v[8:9]
	v_sub_nc_u32_e32 v1, 29, v2
	s_delay_alu instid0(VALU_DEP_2)
	v_and_b32_e32 v0, 7, v0
; %bb.744:                              ;   in Loop: Header=BB311_11 Depth=1
	s_wait_alu 0xfffe
	s_or_b32 exec_lo, exec_lo, s17
	v_lshlrev_b32_e32 v2, 8, v8
	v_lshl_add_u32 v1, v1, 10, 0x2000
	v_lshlrev_b32_e32 v0, 23, v0
	s_delay_alu instid0(VALU_DEP_2) | instskip(NEXT) | instid1(VALU_DEP_1)
	v_and_or_b32 v1, 0x8000, v2, v1
	v_lshl_or_b32 v90, v1, 16, v0
.LBB311_745:                            ;   in Loop: Header=BB311_11 Depth=1
	s_wait_alu 0xfffe
	s_or_b32 exec_lo, exec_lo, s16
.LBB311_746:                            ;   in Loop: Header=BB311_11 Depth=1
	s_wait_alu 0xfffe
	s_or_b32 exec_lo, exec_lo, s15
.LBB311_747:                            ;   in Loop: Header=BB311_11 Depth=1
	s_wait_alu 0xfffe
	s_or_b32 exec_lo, exec_lo, s14
	v_and_b32_e32 v0, 0xff, v29
	v_mov_b32_e32 v8, v29
	s_mov_b32 s14, exec_lo
	s_delay_alu instid0(VALU_DEP_2)
	v_cmpx_ne_u16_e32 0, v0
	s_cbranch_execz .LBB311_755
; %bb.748:                              ;   in Loop: Header=BB311_11 Depth=1
	v_cmp_ne_u16_e64 s1, 0x80, v0
	v_mov_b32_e32 v0, 0x8000
	scratch_store_b32 off, v0, s32 offset:580 ; 4-byte Folded Spill
	s_and_saveexec_b32 s15, s1
	s_cbranch_execz .LBB311_754
; %bb.749:                              ;   in Loop: Header=BB311_11 Depth=1
	v_and_b32_e32 v2, 0x7f, v29
	v_mov_b32_e32 v0, 0x7c01
	s_mov_b32 s16, exec_lo
	scratch_store_b32 off, v0, s32 offset:580 ; 4-byte Folded Spill
	v_cmpx_ne_u32_e32 0x7f, v2
	s_cbranch_execz .LBB311_753
; %bb.750:                              ;   in Loop: Header=BB311_11 Depth=1
	v_and_b32_e32 v0, 7, v29
	v_lshrrev_b32_e32 v1, 3, v2
	s_mov_b32 s17, exec_lo
	v_cmpx_gt_u32_e32 8, v2
; %bb.751:                              ;   in Loop: Header=BB311_11 Depth=1
	s_delay_alu instid0(VALU_DEP_3) | instskip(NEXT) | instid1(VALU_DEP_1)
	v_clz_i32_u32_e32 v0, v0
	v_min_u32_e32 v2, 32, v0
	s_delay_alu instid0(VALU_DEP_1) | instskip(NEXT) | instid1(VALU_DEP_1)
	v_subrev_nc_u32_e32 v0, 28, v2
	v_lshlrev_b64_e32 v[0:1], v0, v[8:9]
	v_sub_nc_u32_e32 v1, 29, v2
	s_delay_alu instid0(VALU_DEP_2)
	v_and_b32_e32 v0, 7, v0
; %bb.752:                              ;   in Loop: Header=BB311_11 Depth=1
	s_wait_alu 0xfffe
	s_or_b32 exec_lo, exec_lo, s17
	v_lshlrev_b32_e32 v2, 8, v29
	v_lshl_add_u32 v1, v1, 10, 0x2000
	v_lshlrev_b32_e32 v0, 7, v0
	s_delay_alu instid0(VALU_DEP_3) | instskip(NEXT) | instid1(VALU_DEP_3)
	v_and_b32_e32 v2, 0x8000, v2
	v_and_b32_e32 v1, 0xfc00, v1
	s_delay_alu instid0(VALU_DEP_1)
	v_or3_b32 v0, v2, v1, v0
	scratch_store_b32 off, v0, s32 offset:580 ; 4-byte Folded Spill
.LBB311_753:                            ;   in Loop: Header=BB311_11 Depth=1
	s_wait_alu 0xfffe
	s_or_b32 exec_lo, exec_lo, s16
.LBB311_754:                            ;   in Loop: Header=BB311_11 Depth=1
	s_wait_alu 0xfffe
	s_or_b32 exec_lo, exec_lo, s15
.LBB311_755:                            ;   in Loop: Header=BB311_11 Depth=1
	s_wait_alu 0xfffe
	s_or_b32 exec_lo, exec_lo, s14
	v_lshrrev_b16 v8, 8, v8
	v_mov_b32_e32 v0, 0
	v_mov_b32_e32 v92, 0
	s_mov_b32 s14, exec_lo
	scratch_store_b32 off, v0, s32 offset:584 ; 4-byte Folded Spill
	v_cmpx_ne_u16_e32 0, v8
	s_cbranch_execz .LBB311_763
; %bb.756:                              ;   in Loop: Header=BB311_11 Depth=1
	v_bfrev_b32_e32 v92, 1
	s_mov_b32 s15, exec_lo
	v_cmpx_ne_u16_e32 0x80, v8
	s_cbranch_execz .LBB311_762
; %bb.757:                              ;   in Loop: Header=BB311_11 Depth=1
	v_and_b32_e32 v0, 0xffff, v8
	v_mov_b32_e32 v92, 0x7c010000
	s_mov_b32 s16, exec_lo
	s_delay_alu instid0(VALU_DEP_2) | instskip(NEXT) | instid1(VALU_DEP_1)
	v_and_b32_e32 v3, 0x7f, v0
	v_cmpx_ne_u32_e32 0x7f, v3
	s_cbranch_execz .LBB311_761
; %bb.758:                              ;   in Loop: Header=BB311_11 Depth=1
	v_and_b32_e32 v1, 7, v0
	v_lshrrev_b32_e32 v2, 3, v3
	s_mov_b32 s17, exec_lo
	v_cmpx_gt_u32_e32 8, v3
; %bb.759:                              ;   in Loop: Header=BB311_11 Depth=1
	s_delay_alu instid0(VALU_DEP_3) | instskip(NEXT) | instid1(VALU_DEP_1)
	v_clz_i32_u32_e32 v1, v1
	v_min_u32_e32 v3, 32, v1
	s_delay_alu instid0(VALU_DEP_1) | instskip(NEXT) | instid1(VALU_DEP_1)
	v_subrev_nc_u32_e32 v1, 28, v3
	v_lshlrev_b64_e32 v[1:2], v1, v[8:9]
	v_sub_nc_u32_e32 v2, 29, v3
	s_delay_alu instid0(VALU_DEP_2)
	v_and_b32_e32 v1, 7, v1
; %bb.760:                              ;   in Loop: Header=BB311_11 Depth=1
	s_wait_alu 0xfffe
	s_or_b32 exec_lo, exec_lo, s17
	v_lshlrev_b32_e32 v0, 8, v0
	v_lshl_add_u32 v2, v2, 10, 0x2000
	v_lshlrev_b32_e32 v1, 23, v1
	s_delay_alu instid0(VALU_DEP_2) | instskip(NEXT) | instid1(VALU_DEP_1)
	v_and_or_b32 v0, 0x8000, v0, v2
	v_lshl_or_b32 v92, v0, 16, v1
.LBB311_761:                            ;   in Loop: Header=BB311_11 Depth=1
	s_wait_alu 0xfffe
	s_or_b32 exec_lo, exec_lo, s16
.LBB311_762:                            ;   in Loop: Header=BB311_11 Depth=1
	s_wait_alu 0xfffe
	s_or_b32 exec_lo, exec_lo, s15
.LBB311_763:                            ;   in Loop: Header=BB311_11 Depth=1
	s_wait_alu 0xfffe
	s_or_b32 exec_lo, exec_lo, s14
	v_lshrrev_b32_e32 v8, 16, v29
	s_mov_b32 s14, exec_lo
	s_delay_alu instid0(VALU_DEP_1) | instskip(NEXT) | instid1(VALU_DEP_1)
	v_and_b32_e32 v0, 0xff, v8
	v_cmpx_ne_u16_e32 0, v0
	s_cbranch_execz .LBB311_771
; %bb.764:                              ;   in Loop: Header=BB311_11 Depth=1
	v_cmp_ne_u16_e64 s1, 0x80, v0
	v_mov_b32_e32 v0, 0x8000
	scratch_store_b32 off, v0, s32 offset:584 ; 4-byte Folded Spill
	s_and_saveexec_b32 s15, s1
	s_cbranch_execz .LBB311_770
; %bb.765:                              ;   in Loop: Header=BB311_11 Depth=1
	v_bfe_u32 v2, v29, 16, 7
	v_mov_b32_e32 v0, 0x7c01
	s_mov_b32 s16, exec_lo
	scratch_store_b32 off, v0, s32 offset:584 ; 4-byte Folded Spill
	v_cmpx_ne_u32_e32 0x7f, v2
	s_cbranch_execz .LBB311_769
; %bb.766:                              ;   in Loop: Header=BB311_11 Depth=1
	v_and_b32_e32 v0, 7, v8
	v_lshrrev_b32_e32 v1, 3, v2
	s_mov_b32 s17, exec_lo
	v_cmpx_gt_u32_e32 8, v2
; %bb.767:                              ;   in Loop: Header=BB311_11 Depth=1
	s_delay_alu instid0(VALU_DEP_3) | instskip(NEXT) | instid1(VALU_DEP_1)
	v_clz_i32_u32_e32 v0, v0
	v_min_u32_e32 v2, 32, v0
	s_delay_alu instid0(VALU_DEP_1) | instskip(NEXT) | instid1(VALU_DEP_1)
	v_subrev_nc_u32_e32 v0, 28, v2
	v_lshlrev_b64_e32 v[0:1], v0, v[8:9]
	v_sub_nc_u32_e32 v1, 29, v2
	s_delay_alu instid0(VALU_DEP_2)
	v_and_b32_e32 v0, 7, v0
; %bb.768:                              ;   in Loop: Header=BB311_11 Depth=1
	s_wait_alu 0xfffe
	s_or_b32 exec_lo, exec_lo, s17
	v_lshlrev_b32_e32 v2, 8, v8
	v_lshl_add_u32 v1, v1, 10, 0x2000
	v_lshlrev_b32_e32 v0, 7, v0
	s_delay_alu instid0(VALU_DEP_3) | instskip(NEXT) | instid1(VALU_DEP_3)
	v_and_b32_e32 v2, 0x8000, v2
	v_and_b32_e32 v1, 0xfc00, v1
	s_delay_alu instid0(VALU_DEP_1)
	v_or3_b32 v0, v2, v1, v0
	scratch_store_b32 off, v0, s32 offset:584 ; 4-byte Folded Spill
.LBB311_769:                            ;   in Loop: Header=BB311_11 Depth=1
	s_wait_alu 0xfffe
	s_or_b32 exec_lo, exec_lo, s16
.LBB311_770:                            ;   in Loop: Header=BB311_11 Depth=1
	s_wait_alu 0xfffe
	s_or_b32 exec_lo, exec_lo, s15
.LBB311_771:                            ;   in Loop: Header=BB311_11 Depth=1
	s_wait_alu 0xfffe
	s_or_b32 exec_lo, exec_lo, s14
	v_dual_mov_b32 v0, 0 :: v_dual_mov_b32 v93, 0
	s_mov_b32 s14, exec_lo
	scratch_store_b32 off, v0, s32 offset:588 ; 4-byte Folded Spill
	v_cmpx_lt_u64_e64 s[2:3], v[28:29]
	s_cbranch_execz .LBB311_779
; %bb.772:                              ;   in Loop: Header=BB311_11 Depth=1
	v_lshrrev_b32_e32 v8, 24, v29
	v_bfrev_b32_e32 v93, 1
	s_mov_b32 s15, exec_lo
	s_delay_alu instid0(VALU_DEP_2)
	v_cmpx_ne_u32_e32 0x80, v8
	s_cbranch_execz .LBB311_778
; %bb.773:                              ;   in Loop: Header=BB311_11 Depth=1
	v_and_b32_e32 v2, 0x7f, v8
	v_mov_b32_e32 v93, 0x7c010000
	s_mov_b32 s16, exec_lo
	s_delay_alu instid0(VALU_DEP_2)
	v_cmpx_ne_u32_e32 0x7f, v2
	s_cbranch_execz .LBB311_777
; %bb.774:                              ;   in Loop: Header=BB311_11 Depth=1
	v_and_b32_e32 v0, 7, v8
	v_lshrrev_b32_e32 v1, 3, v2
	s_mov_b32 s17, exec_lo
	v_cmpx_gt_u32_e32 8, v2
; %bb.775:                              ;   in Loop: Header=BB311_11 Depth=1
	s_delay_alu instid0(VALU_DEP_3) | instskip(NEXT) | instid1(VALU_DEP_1)
	v_clz_i32_u32_e32 v0, v0
	v_min_u32_e32 v2, 32, v0
	s_delay_alu instid0(VALU_DEP_1) | instskip(NEXT) | instid1(VALU_DEP_1)
	v_subrev_nc_u32_e32 v0, 28, v2
	v_lshlrev_b64_e32 v[0:1], v0, v[8:9]
	v_sub_nc_u32_e32 v1, 29, v2
	s_delay_alu instid0(VALU_DEP_2)
	v_and_b32_e32 v0, 7, v0
; %bb.776:                              ;   in Loop: Header=BB311_11 Depth=1
	s_wait_alu 0xfffe
	s_or_b32 exec_lo, exec_lo, s17
	v_lshlrev_b32_e32 v2, 8, v8
	v_lshl_add_u32 v1, v1, 10, 0x2000
	v_lshlrev_b32_e32 v0, 23, v0
	s_delay_alu instid0(VALU_DEP_2) | instskip(NEXT) | instid1(VALU_DEP_1)
	v_and_or_b32 v1, 0x8000, v2, v1
	v_lshl_or_b32 v93, v1, 16, v0
.LBB311_777:                            ;   in Loop: Header=BB311_11 Depth=1
	s_wait_alu 0xfffe
	s_or_b32 exec_lo, exec_lo, s16
.LBB311_778:                            ;   in Loop: Header=BB311_11 Depth=1
	s_wait_alu 0xfffe
	s_or_b32 exec_lo, exec_lo, s15
.LBB311_779:                            ;   in Loop: Header=BB311_11 Depth=1
	s_wait_alu 0xfffe
	s_or_b32 exec_lo, exec_lo, s14
	flat_load_b64 v[28:29], v[20:21] offset:3072
	s_mov_b32 s14, exec_lo
	s_wait_loadcnt_dscnt 0x0
	v_and_b32_e32 v0, 0xff, v28
	s_delay_alu instid0(VALU_DEP_1)
	v_cmpx_ne_u16_e32 0, v0
	s_cbranch_execz .LBB311_787
; %bb.780:                              ;   in Loop: Header=BB311_11 Depth=1
	v_cmp_ne_u16_e64 s1, 0x80, v0
	v_mov_b32_e32 v0, 0x8000
	scratch_store_b32 off, v0, s32 offset:588 ; 4-byte Folded Spill
	s_and_saveexec_b32 s15, s1
	s_cbranch_execz .LBB311_786
; %bb.781:                              ;   in Loop: Header=BB311_11 Depth=1
	v_and_b32_e32 v2, 0x7f, v28
	v_mov_b32_e32 v0, 0x7c01
	s_mov_b32 s16, exec_lo
	scratch_store_b32 off, v0, s32 offset:588 ; 4-byte Folded Spill
	v_cmpx_ne_u32_e32 0x7f, v2
	s_cbranch_execz .LBB311_785
; %bb.782:                              ;   in Loop: Header=BB311_11 Depth=1
	v_and_b32_e32 v0, 7, v28
	v_lshrrev_b32_e32 v1, 3, v2
	s_mov_b32 s17, exec_lo
	v_cmpx_gt_u32_e32 8, v2
; %bb.783:                              ;   in Loop: Header=BB311_11 Depth=1
	s_delay_alu instid0(VALU_DEP_3) | instskip(NEXT) | instid1(VALU_DEP_1)
	v_clz_i32_u32_e32 v0, v0
	v_min_u32_e32 v2, 32, v0
	s_delay_alu instid0(VALU_DEP_1) | instskip(NEXT) | instid1(VALU_DEP_1)
	v_subrev_nc_u32_e32 v0, 28, v2
	v_lshlrev_b64_e32 v[0:1], v0, v[28:29]
	v_sub_nc_u32_e32 v1, 29, v2
	s_delay_alu instid0(VALU_DEP_2)
	v_and_b32_e32 v0, 7, v0
; %bb.784:                              ;   in Loop: Header=BB311_11 Depth=1
	s_wait_alu 0xfffe
	s_or_b32 exec_lo, exec_lo, s17
	v_lshlrev_b32_e32 v2, 8, v28
	v_lshl_add_u32 v1, v1, 10, 0x2000
	v_lshlrev_b32_e32 v0, 7, v0
	s_delay_alu instid0(VALU_DEP_3) | instskip(NEXT) | instid1(VALU_DEP_3)
	v_and_b32_e32 v2, 0x8000, v2
	v_and_b32_e32 v1, 0xfc00, v1
	s_delay_alu instid0(VALU_DEP_1)
	v_or3_b32 v0, v2, v1, v0
	scratch_store_b32 off, v0, s32 offset:588 ; 4-byte Folded Spill
.LBB311_785:                            ;   in Loop: Header=BB311_11 Depth=1
	s_wait_alu 0xfffe
	s_or_b32 exec_lo, exec_lo, s16
.LBB311_786:                            ;   in Loop: Header=BB311_11 Depth=1
	s_wait_alu 0xfffe
	s_or_b32 exec_lo, exec_lo, s15
.LBB311_787:                            ;   in Loop: Header=BB311_11 Depth=1
	s_wait_alu 0xfffe
	s_or_b32 exec_lo, exec_lo, s14
	v_lshrrev_b16 v8, 8, v28
	v_dual_mov_b32 v0, 0 :: v_dual_mov_b32 v127, 0
	s_mov_b32 s14, exec_lo
	scratch_store_b32 off, v0, s32 offset:592 ; 4-byte Folded Spill
	v_cmpx_ne_u16_e32 0, v8
	s_cbranch_execz .LBB311_795
; %bb.788:                              ;   in Loop: Header=BB311_11 Depth=1
	v_bfrev_b32_e32 v127, 1
	s_mov_b32 s15, exec_lo
	v_cmpx_ne_u16_e32 0x80, v8
	s_cbranch_execz .LBB311_794
; %bb.789:                              ;   in Loop: Header=BB311_11 Depth=1
	v_and_b32_e32 v0, 0xffff, v8
	v_mov_b32_e32 v127, 0x7c010000
	s_mov_b32 s16, exec_lo
	s_delay_alu instid0(VALU_DEP_2) | instskip(NEXT) | instid1(VALU_DEP_1)
	v_and_b32_e32 v3, 0x7f, v0
	v_cmpx_ne_u32_e32 0x7f, v3
	s_cbranch_execz .LBB311_793
; %bb.790:                              ;   in Loop: Header=BB311_11 Depth=1
	v_and_b32_e32 v1, 7, v0
	v_lshrrev_b32_e32 v2, 3, v3
	s_mov_b32 s17, exec_lo
	v_cmpx_gt_u32_e32 8, v3
; %bb.791:                              ;   in Loop: Header=BB311_11 Depth=1
	s_delay_alu instid0(VALU_DEP_3) | instskip(NEXT) | instid1(VALU_DEP_1)
	v_clz_i32_u32_e32 v1, v1
	v_min_u32_e32 v3, 32, v1
	s_delay_alu instid0(VALU_DEP_1) | instskip(NEXT) | instid1(VALU_DEP_1)
	v_subrev_nc_u32_e32 v1, 28, v3
	v_lshlrev_b64_e32 v[1:2], v1, v[8:9]
	v_sub_nc_u32_e32 v2, 29, v3
	s_delay_alu instid0(VALU_DEP_2)
	v_and_b32_e32 v1, 7, v1
; %bb.792:                              ;   in Loop: Header=BB311_11 Depth=1
	s_wait_alu 0xfffe
	s_or_b32 exec_lo, exec_lo, s17
	v_lshlrev_b32_e32 v0, 8, v0
	v_lshl_add_u32 v2, v2, 10, 0x2000
	v_lshlrev_b32_e32 v1, 23, v1
	s_delay_alu instid0(VALU_DEP_2) | instskip(NEXT) | instid1(VALU_DEP_1)
	v_and_or_b32 v0, 0x8000, v0, v2
	v_lshl_or_b32 v127, v0, 16, v1
.LBB311_793:                            ;   in Loop: Header=BB311_11 Depth=1
	s_wait_alu 0xfffe
	s_or_b32 exec_lo, exec_lo, s16
.LBB311_794:                            ;   in Loop: Header=BB311_11 Depth=1
	s_wait_alu 0xfffe
	s_or_b32 exec_lo, exec_lo, s15
.LBB311_795:                            ;   in Loop: Header=BB311_11 Depth=1
	s_wait_alu 0xfffe
	s_or_b32 exec_lo, exec_lo, s14
	v_lshrrev_b32_e32 v8, 16, v28
	s_mov_b32 s14, exec_lo
	s_delay_alu instid0(VALU_DEP_1) | instskip(NEXT) | instid1(VALU_DEP_1)
	v_and_b32_e32 v0, 0xff, v8
	v_cmpx_ne_u16_e32 0, v0
	s_cbranch_execz .LBB311_803
; %bb.796:                              ;   in Loop: Header=BB311_11 Depth=1
	v_cmp_ne_u16_e64 s1, 0x80, v0
	v_mov_b32_e32 v0, 0x8000
	scratch_store_b32 off, v0, s32 offset:592 ; 4-byte Folded Spill
	s_and_saveexec_b32 s15, s1
	s_cbranch_execz .LBB311_802
; %bb.797:                              ;   in Loop: Header=BB311_11 Depth=1
	v_bfe_u32 v2, v28, 16, 7
	v_mov_b32_e32 v0, 0x7c01
	s_mov_b32 s16, exec_lo
	scratch_store_b32 off, v0, s32 offset:592 ; 4-byte Folded Spill
	v_cmpx_ne_u32_e32 0x7f, v2
	s_cbranch_execz .LBB311_801
; %bb.798:                              ;   in Loop: Header=BB311_11 Depth=1
	v_and_b32_e32 v0, 7, v8
	v_lshrrev_b32_e32 v1, 3, v2
	s_mov_b32 s17, exec_lo
	v_cmpx_gt_u32_e32 8, v2
; %bb.799:                              ;   in Loop: Header=BB311_11 Depth=1
	s_delay_alu instid0(VALU_DEP_3) | instskip(NEXT) | instid1(VALU_DEP_1)
	v_clz_i32_u32_e32 v0, v0
	v_min_u32_e32 v2, 32, v0
	s_delay_alu instid0(VALU_DEP_1) | instskip(NEXT) | instid1(VALU_DEP_1)
	v_subrev_nc_u32_e32 v0, 28, v2
	v_lshlrev_b64_e32 v[0:1], v0, v[8:9]
	v_sub_nc_u32_e32 v1, 29, v2
	s_delay_alu instid0(VALU_DEP_2)
	v_and_b32_e32 v0, 7, v0
; %bb.800:                              ;   in Loop: Header=BB311_11 Depth=1
	s_wait_alu 0xfffe
	s_or_b32 exec_lo, exec_lo, s17
	v_lshlrev_b32_e32 v2, 8, v8
	v_lshl_add_u32 v1, v1, 10, 0x2000
	v_lshlrev_b32_e32 v0, 7, v0
	s_delay_alu instid0(VALU_DEP_3) | instskip(NEXT) | instid1(VALU_DEP_3)
	v_and_b32_e32 v2, 0x8000, v2
	v_and_b32_e32 v1, 0xfc00, v1
	s_delay_alu instid0(VALU_DEP_1)
	v_or3_b32 v0, v2, v1, v0
	scratch_store_b32 off, v0, s32 offset:592 ; 4-byte Folded Spill
.LBB311_801:                            ;   in Loop: Header=BB311_11 Depth=1
	s_wait_alu 0xfffe
	s_or_b32 exec_lo, exec_lo, s16
.LBB311_802:                            ;   in Loop: Header=BB311_11 Depth=1
	s_wait_alu 0xfffe
	s_or_b32 exec_lo, exec_lo, s15
.LBB311_803:                            ;   in Loop: Header=BB311_11 Depth=1
	s_wait_alu 0xfffe
	s_or_b32 exec_lo, exec_lo, s14
	v_mov_b32_e32 v0, 0
	v_mov_b32_e32 v106, 0
	s_mov_b32 s14, exec_lo
	scratch_store_b32 off, v0, s32 offset:596 ; 4-byte Folded Spill
	v_cmpx_lt_u32_e32 0xffffff, v28
	s_cbranch_execz .LBB311_811
; %bb.804:                              ;   in Loop: Header=BB311_11 Depth=1
	v_lshrrev_b32_e32 v8, 24, v28
	v_bfrev_b32_e32 v106, 1
	s_mov_b32 s15, exec_lo
	s_delay_alu instid0(VALU_DEP_2)
	v_cmpx_ne_u32_e32 0x80, v8
	s_cbranch_execz .LBB311_810
; %bb.805:                              ;   in Loop: Header=BB311_11 Depth=1
	v_and_b32_e32 v2, 0x7f, v8
	v_mov_b32_e32 v106, 0x7c010000
	s_mov_b32 s16, exec_lo
	s_delay_alu instid0(VALU_DEP_2)
	v_cmpx_ne_u32_e32 0x7f, v2
	s_cbranch_execz .LBB311_809
; %bb.806:                              ;   in Loop: Header=BB311_11 Depth=1
	v_and_b32_e32 v0, 7, v8
	v_lshrrev_b32_e32 v1, 3, v2
	s_mov_b32 s17, exec_lo
	v_cmpx_gt_u32_e32 8, v2
; %bb.807:                              ;   in Loop: Header=BB311_11 Depth=1
	s_delay_alu instid0(VALU_DEP_3) | instskip(NEXT) | instid1(VALU_DEP_1)
	v_clz_i32_u32_e32 v0, v0
	v_min_u32_e32 v2, 32, v0
	s_delay_alu instid0(VALU_DEP_1) | instskip(NEXT) | instid1(VALU_DEP_1)
	v_subrev_nc_u32_e32 v0, 28, v2
	v_lshlrev_b64_e32 v[0:1], v0, v[8:9]
	v_sub_nc_u32_e32 v1, 29, v2
	s_delay_alu instid0(VALU_DEP_2)
	v_and_b32_e32 v0, 7, v0
; %bb.808:                              ;   in Loop: Header=BB311_11 Depth=1
	s_wait_alu 0xfffe
	s_or_b32 exec_lo, exec_lo, s17
	v_lshlrev_b32_e32 v2, 8, v8
	v_lshl_add_u32 v1, v1, 10, 0x2000
	v_lshlrev_b32_e32 v0, 23, v0
	s_delay_alu instid0(VALU_DEP_2) | instskip(NEXT) | instid1(VALU_DEP_1)
	v_and_or_b32 v1, 0x8000, v2, v1
	v_lshl_or_b32 v106, v1, 16, v0
.LBB311_809:                            ;   in Loop: Header=BB311_11 Depth=1
	s_wait_alu 0xfffe
	s_or_b32 exec_lo, exec_lo, s16
.LBB311_810:                            ;   in Loop: Header=BB311_11 Depth=1
	s_wait_alu 0xfffe
	s_or_b32 exec_lo, exec_lo, s15
.LBB311_811:                            ;   in Loop: Header=BB311_11 Depth=1
	s_wait_alu 0xfffe
	s_or_b32 exec_lo, exec_lo, s14
	v_and_b32_e32 v0, 0xff, v29
	v_mov_b32_e32 v8, v29
	s_mov_b32 s14, exec_lo
	s_delay_alu instid0(VALU_DEP_2)
	v_cmpx_ne_u16_e32 0, v0
	s_cbranch_execz .LBB311_819
; %bb.812:                              ;   in Loop: Header=BB311_11 Depth=1
	v_cmp_ne_u16_e64 s1, 0x80, v0
	v_mov_b32_e32 v0, 0x8000
	scratch_store_b32 off, v0, s32 offset:596 ; 4-byte Folded Spill
	s_and_saveexec_b32 s15, s1
	s_cbranch_execz .LBB311_818
; %bb.813:                              ;   in Loop: Header=BB311_11 Depth=1
	v_and_b32_e32 v2, 0x7f, v29
	v_mov_b32_e32 v0, 0x7c01
	s_mov_b32 s16, exec_lo
	scratch_store_b32 off, v0, s32 offset:596 ; 4-byte Folded Spill
	v_cmpx_ne_u32_e32 0x7f, v2
	s_cbranch_execz .LBB311_817
; %bb.814:                              ;   in Loop: Header=BB311_11 Depth=1
	v_and_b32_e32 v0, 7, v29
	v_lshrrev_b32_e32 v1, 3, v2
	s_mov_b32 s17, exec_lo
	v_cmpx_gt_u32_e32 8, v2
; %bb.815:                              ;   in Loop: Header=BB311_11 Depth=1
	s_delay_alu instid0(VALU_DEP_3) | instskip(NEXT) | instid1(VALU_DEP_1)
	v_clz_i32_u32_e32 v0, v0
	v_min_u32_e32 v2, 32, v0
	s_delay_alu instid0(VALU_DEP_1) | instskip(NEXT) | instid1(VALU_DEP_1)
	v_subrev_nc_u32_e32 v0, 28, v2
	v_lshlrev_b64_e32 v[0:1], v0, v[8:9]
	v_sub_nc_u32_e32 v1, 29, v2
	s_delay_alu instid0(VALU_DEP_2)
	v_and_b32_e32 v0, 7, v0
; %bb.816:                              ;   in Loop: Header=BB311_11 Depth=1
	s_wait_alu 0xfffe
	s_or_b32 exec_lo, exec_lo, s17
	v_lshlrev_b32_e32 v2, 8, v29
	v_lshl_add_u32 v1, v1, 10, 0x2000
	v_lshlrev_b32_e32 v0, 7, v0
	s_delay_alu instid0(VALU_DEP_3) | instskip(NEXT) | instid1(VALU_DEP_3)
	v_and_b32_e32 v2, 0x8000, v2
	v_and_b32_e32 v1, 0xfc00, v1
	s_delay_alu instid0(VALU_DEP_1)
	v_or3_b32 v0, v2, v1, v0
	scratch_store_b32 off, v0, s32 offset:596 ; 4-byte Folded Spill
.LBB311_817:                            ;   in Loop: Header=BB311_11 Depth=1
	s_wait_alu 0xfffe
	s_or_b32 exec_lo, exec_lo, s16
.LBB311_818:                            ;   in Loop: Header=BB311_11 Depth=1
	s_wait_alu 0xfffe
	s_or_b32 exec_lo, exec_lo, s15
.LBB311_819:                            ;   in Loop: Header=BB311_11 Depth=1
	s_wait_alu 0xfffe
	s_or_b32 exec_lo, exec_lo, s14
	v_lshrrev_b16 v8, 8, v8
	v_mov_b32_e32 v0, 0
	v_mov_b32_e32 v108, 0
	s_mov_b32 s14, exec_lo
	scratch_store_b32 off, v0, s32 offset:600 ; 4-byte Folded Spill
	v_cmpx_ne_u16_e32 0, v8
	s_cbranch_execz .LBB311_827
; %bb.820:                              ;   in Loop: Header=BB311_11 Depth=1
	v_bfrev_b32_e32 v108, 1
	s_mov_b32 s15, exec_lo
	v_cmpx_ne_u16_e32 0x80, v8
	s_cbranch_execz .LBB311_826
; %bb.821:                              ;   in Loop: Header=BB311_11 Depth=1
	v_and_b32_e32 v0, 0xffff, v8
	v_mov_b32_e32 v108, 0x7c010000
	s_mov_b32 s16, exec_lo
	s_delay_alu instid0(VALU_DEP_2) | instskip(NEXT) | instid1(VALU_DEP_1)
	v_and_b32_e32 v3, 0x7f, v0
	v_cmpx_ne_u32_e32 0x7f, v3
	s_cbranch_execz .LBB311_825
; %bb.822:                              ;   in Loop: Header=BB311_11 Depth=1
	v_and_b32_e32 v1, 7, v0
	v_lshrrev_b32_e32 v2, 3, v3
	s_mov_b32 s17, exec_lo
	v_cmpx_gt_u32_e32 8, v3
; %bb.823:                              ;   in Loop: Header=BB311_11 Depth=1
	s_delay_alu instid0(VALU_DEP_3) | instskip(NEXT) | instid1(VALU_DEP_1)
	v_clz_i32_u32_e32 v1, v1
	v_min_u32_e32 v3, 32, v1
	s_delay_alu instid0(VALU_DEP_1) | instskip(NEXT) | instid1(VALU_DEP_1)
	v_subrev_nc_u32_e32 v1, 28, v3
	v_lshlrev_b64_e32 v[1:2], v1, v[8:9]
	v_sub_nc_u32_e32 v2, 29, v3
	s_delay_alu instid0(VALU_DEP_2)
	v_and_b32_e32 v1, 7, v1
; %bb.824:                              ;   in Loop: Header=BB311_11 Depth=1
	s_wait_alu 0xfffe
	s_or_b32 exec_lo, exec_lo, s17
	v_lshlrev_b32_e32 v0, 8, v0
	v_lshl_add_u32 v2, v2, 10, 0x2000
	v_lshlrev_b32_e32 v1, 23, v1
	s_delay_alu instid0(VALU_DEP_2) | instskip(NEXT) | instid1(VALU_DEP_1)
	v_and_or_b32 v0, 0x8000, v0, v2
	v_lshl_or_b32 v108, v0, 16, v1
.LBB311_825:                            ;   in Loop: Header=BB311_11 Depth=1
	s_wait_alu 0xfffe
	s_or_b32 exec_lo, exec_lo, s16
.LBB311_826:                            ;   in Loop: Header=BB311_11 Depth=1
	s_wait_alu 0xfffe
	s_or_b32 exec_lo, exec_lo, s15
.LBB311_827:                            ;   in Loop: Header=BB311_11 Depth=1
	s_wait_alu 0xfffe
	s_or_b32 exec_lo, exec_lo, s14
	v_lshrrev_b32_e32 v8, 16, v29
	s_mov_b32 s14, exec_lo
	s_delay_alu instid0(VALU_DEP_1) | instskip(NEXT) | instid1(VALU_DEP_1)
	v_and_b32_e32 v0, 0xff, v8
	v_cmpx_ne_u16_e32 0, v0
	s_cbranch_execz .LBB311_835
; %bb.828:                              ;   in Loop: Header=BB311_11 Depth=1
	v_cmp_ne_u16_e64 s1, 0x80, v0
	v_mov_b32_e32 v0, 0x8000
	scratch_store_b32 off, v0, s32 offset:600 ; 4-byte Folded Spill
	s_and_saveexec_b32 s15, s1
	s_cbranch_execz .LBB311_834
; %bb.829:                              ;   in Loop: Header=BB311_11 Depth=1
	v_bfe_u32 v2, v29, 16, 7
	v_mov_b32_e32 v0, 0x7c01
	s_mov_b32 s16, exec_lo
	scratch_store_b32 off, v0, s32 offset:600 ; 4-byte Folded Spill
	v_cmpx_ne_u32_e32 0x7f, v2
	s_cbranch_execz .LBB311_833
; %bb.830:                              ;   in Loop: Header=BB311_11 Depth=1
	v_and_b32_e32 v0, 7, v8
	v_lshrrev_b32_e32 v1, 3, v2
	s_mov_b32 s17, exec_lo
	v_cmpx_gt_u32_e32 8, v2
; %bb.831:                              ;   in Loop: Header=BB311_11 Depth=1
	s_delay_alu instid0(VALU_DEP_3) | instskip(NEXT) | instid1(VALU_DEP_1)
	v_clz_i32_u32_e32 v0, v0
	v_min_u32_e32 v2, 32, v0
	s_delay_alu instid0(VALU_DEP_1) | instskip(NEXT) | instid1(VALU_DEP_1)
	v_subrev_nc_u32_e32 v0, 28, v2
	v_lshlrev_b64_e32 v[0:1], v0, v[8:9]
	v_sub_nc_u32_e32 v1, 29, v2
	s_delay_alu instid0(VALU_DEP_2)
	v_and_b32_e32 v0, 7, v0
; %bb.832:                              ;   in Loop: Header=BB311_11 Depth=1
	s_wait_alu 0xfffe
	s_or_b32 exec_lo, exec_lo, s17
	v_lshlrev_b32_e32 v2, 8, v8
	v_lshl_add_u32 v1, v1, 10, 0x2000
	v_lshlrev_b32_e32 v0, 7, v0
	s_delay_alu instid0(VALU_DEP_3) | instskip(NEXT) | instid1(VALU_DEP_3)
	v_and_b32_e32 v2, 0x8000, v2
	v_and_b32_e32 v1, 0xfc00, v1
	s_delay_alu instid0(VALU_DEP_1)
	v_or3_b32 v0, v2, v1, v0
	scratch_store_b32 off, v0, s32 offset:600 ; 4-byte Folded Spill
.LBB311_833:                            ;   in Loop: Header=BB311_11 Depth=1
	s_wait_alu 0xfffe
	s_or_b32 exec_lo, exec_lo, s16
.LBB311_834:                            ;   in Loop: Header=BB311_11 Depth=1
	s_wait_alu 0xfffe
	s_or_b32 exec_lo, exec_lo, s15
.LBB311_835:                            ;   in Loop: Header=BB311_11 Depth=1
	s_wait_alu 0xfffe
	s_or_b32 exec_lo, exec_lo, s14
	v_mov_b32_e32 v0, 0
	v_mov_b32_e32 v110, 0
	s_mov_b32 s14, exec_lo
	scratch_store_b32 off, v0, s32 offset:604 ; 4-byte Folded Spill
	v_cmpx_lt_u64_e64 s[2:3], v[28:29]
	s_cbranch_execz .LBB311_843
; %bb.836:                              ;   in Loop: Header=BB311_11 Depth=1
	v_lshrrev_b32_e32 v8, 24, v29
	v_bfrev_b32_e32 v110, 1
	s_mov_b32 s15, exec_lo
	s_delay_alu instid0(VALU_DEP_2)
	v_cmpx_ne_u32_e32 0x80, v8
	s_cbranch_execz .LBB311_842
; %bb.837:                              ;   in Loop: Header=BB311_11 Depth=1
	v_and_b32_e32 v2, 0x7f, v8
	v_mov_b32_e32 v110, 0x7c010000
	s_mov_b32 s16, exec_lo
	s_delay_alu instid0(VALU_DEP_2)
	v_cmpx_ne_u32_e32 0x7f, v2
	s_cbranch_execz .LBB311_841
; %bb.838:                              ;   in Loop: Header=BB311_11 Depth=1
	v_and_b32_e32 v0, 7, v8
	v_lshrrev_b32_e32 v1, 3, v2
	s_mov_b32 s17, exec_lo
	v_cmpx_gt_u32_e32 8, v2
; %bb.839:                              ;   in Loop: Header=BB311_11 Depth=1
	s_delay_alu instid0(VALU_DEP_3) | instskip(NEXT) | instid1(VALU_DEP_1)
	v_clz_i32_u32_e32 v0, v0
	v_min_u32_e32 v2, 32, v0
	s_delay_alu instid0(VALU_DEP_1) | instskip(NEXT) | instid1(VALU_DEP_1)
	v_subrev_nc_u32_e32 v0, 28, v2
	v_lshlrev_b64_e32 v[0:1], v0, v[8:9]
	v_sub_nc_u32_e32 v1, 29, v2
	s_delay_alu instid0(VALU_DEP_2)
	v_and_b32_e32 v0, 7, v0
; %bb.840:                              ;   in Loop: Header=BB311_11 Depth=1
	s_wait_alu 0xfffe
	s_or_b32 exec_lo, exec_lo, s17
	v_lshlrev_b32_e32 v2, 8, v8
	v_lshl_add_u32 v1, v1, 10, 0x2000
	v_lshlrev_b32_e32 v0, 23, v0
	s_delay_alu instid0(VALU_DEP_2) | instskip(NEXT) | instid1(VALU_DEP_1)
	v_and_or_b32 v1, 0x8000, v2, v1
	v_lshl_or_b32 v110, v1, 16, v0
.LBB311_841:                            ;   in Loop: Header=BB311_11 Depth=1
	s_wait_alu 0xfffe
	s_or_b32 exec_lo, exec_lo, s16
.LBB311_842:                            ;   in Loop: Header=BB311_11 Depth=1
	s_wait_alu 0xfffe
	s_or_b32 exec_lo, exec_lo, s15
.LBB311_843:                            ;   in Loop: Header=BB311_11 Depth=1
	s_wait_alu 0xfffe
	s_or_b32 exec_lo, exec_lo, s14
	flat_load_b64 v[28:29], v[20:21] offset:3080
	s_mov_b32 s14, exec_lo
	s_wait_loadcnt_dscnt 0x0
	v_and_b32_e32 v0, 0xff, v28
	s_delay_alu instid0(VALU_DEP_1)
	v_cmpx_ne_u16_e32 0, v0
	s_cbranch_execz .LBB311_851
; %bb.844:                              ;   in Loop: Header=BB311_11 Depth=1
	v_cmp_ne_u16_e64 s1, 0x80, v0
	v_mov_b32_e32 v0, 0x8000
	scratch_store_b32 off, v0, s32 offset:604 ; 4-byte Folded Spill
	s_and_saveexec_b32 s15, s1
	s_cbranch_execz .LBB311_850
; %bb.845:                              ;   in Loop: Header=BB311_11 Depth=1
	v_and_b32_e32 v2, 0x7f, v28
	v_mov_b32_e32 v0, 0x7c01
	s_mov_b32 s16, exec_lo
	scratch_store_b32 off, v0, s32 offset:604 ; 4-byte Folded Spill
	v_cmpx_ne_u32_e32 0x7f, v2
	s_cbranch_execz .LBB311_849
; %bb.846:                              ;   in Loop: Header=BB311_11 Depth=1
	v_and_b32_e32 v0, 7, v28
	v_lshrrev_b32_e32 v1, 3, v2
	s_mov_b32 s17, exec_lo
	v_cmpx_gt_u32_e32 8, v2
; %bb.847:                              ;   in Loop: Header=BB311_11 Depth=1
	s_delay_alu instid0(VALU_DEP_3) | instskip(NEXT) | instid1(VALU_DEP_1)
	v_clz_i32_u32_e32 v0, v0
	v_min_u32_e32 v2, 32, v0
	s_delay_alu instid0(VALU_DEP_1) | instskip(NEXT) | instid1(VALU_DEP_1)
	v_subrev_nc_u32_e32 v0, 28, v2
	v_lshlrev_b64_e32 v[0:1], v0, v[28:29]
	v_sub_nc_u32_e32 v1, 29, v2
	s_delay_alu instid0(VALU_DEP_2)
	v_and_b32_e32 v0, 7, v0
; %bb.848:                              ;   in Loop: Header=BB311_11 Depth=1
	s_wait_alu 0xfffe
	s_or_b32 exec_lo, exec_lo, s17
	v_lshlrev_b32_e32 v2, 8, v28
	v_lshl_add_u32 v1, v1, 10, 0x2000
	v_lshlrev_b32_e32 v0, 7, v0
	s_delay_alu instid0(VALU_DEP_3) | instskip(NEXT) | instid1(VALU_DEP_3)
	v_and_b32_e32 v2, 0x8000, v2
	v_and_b32_e32 v1, 0xfc00, v1
	s_delay_alu instid0(VALU_DEP_1)
	v_or3_b32 v0, v2, v1, v0
	scratch_store_b32 off, v0, s32 offset:604 ; 4-byte Folded Spill
.LBB311_849:                            ;   in Loop: Header=BB311_11 Depth=1
	s_wait_alu 0xfffe
	s_or_b32 exec_lo, exec_lo, s16
.LBB311_850:                            ;   in Loop: Header=BB311_11 Depth=1
	s_wait_alu 0xfffe
	s_or_b32 exec_lo, exec_lo, s15
.LBB311_851:                            ;   in Loop: Header=BB311_11 Depth=1
	s_wait_alu 0xfffe
	s_or_b32 exec_lo, exec_lo, s14
	v_lshrrev_b16 v8, 8, v28
	v_mov_b32_e32 v0, 0
	v_mov_b32_e32 v144, 0
	s_mov_b32 s14, exec_lo
	scratch_store_b32 off, v0, s32 offset:324 ; 4-byte Folded Spill
	v_cmpx_ne_u16_e32 0, v8
	s_cbranch_execz .LBB311_859
; %bb.852:                              ;   in Loop: Header=BB311_11 Depth=1
	v_bfrev_b32_e32 v144, 1
	s_mov_b32 s15, exec_lo
	v_cmpx_ne_u16_e32 0x80, v8
	s_cbranch_execz .LBB311_858
; %bb.853:                              ;   in Loop: Header=BB311_11 Depth=1
	v_and_b32_e32 v0, 0xffff, v8
	v_mov_b32_e32 v144, 0x7c010000
	s_mov_b32 s16, exec_lo
	s_delay_alu instid0(VALU_DEP_2) | instskip(NEXT) | instid1(VALU_DEP_1)
	v_and_b32_e32 v3, 0x7f, v0
	v_cmpx_ne_u32_e32 0x7f, v3
	s_cbranch_execz .LBB311_857
; %bb.854:                              ;   in Loop: Header=BB311_11 Depth=1
	v_and_b32_e32 v1, 7, v0
	v_lshrrev_b32_e32 v2, 3, v3
	s_mov_b32 s17, exec_lo
	v_cmpx_gt_u32_e32 8, v3
; %bb.855:                              ;   in Loop: Header=BB311_11 Depth=1
	s_delay_alu instid0(VALU_DEP_3) | instskip(NEXT) | instid1(VALU_DEP_1)
	v_clz_i32_u32_e32 v1, v1
	v_min_u32_e32 v3, 32, v1
	s_delay_alu instid0(VALU_DEP_1) | instskip(NEXT) | instid1(VALU_DEP_1)
	v_subrev_nc_u32_e32 v1, 28, v3
	v_lshlrev_b64_e32 v[1:2], v1, v[8:9]
	v_sub_nc_u32_e32 v2, 29, v3
	s_delay_alu instid0(VALU_DEP_2)
	v_and_b32_e32 v1, 7, v1
; %bb.856:                              ;   in Loop: Header=BB311_11 Depth=1
	s_wait_alu 0xfffe
	s_or_b32 exec_lo, exec_lo, s17
	v_lshlrev_b32_e32 v0, 8, v0
	v_lshl_add_u32 v2, v2, 10, 0x2000
	v_lshlrev_b32_e32 v1, 23, v1
	s_delay_alu instid0(VALU_DEP_2) | instskip(NEXT) | instid1(VALU_DEP_1)
	v_and_or_b32 v0, 0x8000, v0, v2
	v_lshl_or_b32 v144, v0, 16, v1
.LBB311_857:                            ;   in Loop: Header=BB311_11 Depth=1
	s_wait_alu 0xfffe
	s_or_b32 exec_lo, exec_lo, s16
.LBB311_858:                            ;   in Loop: Header=BB311_11 Depth=1
	s_wait_alu 0xfffe
	s_or_b32 exec_lo, exec_lo, s15
.LBB311_859:                            ;   in Loop: Header=BB311_11 Depth=1
	s_wait_alu 0xfffe
	s_or_b32 exec_lo, exec_lo, s14
	v_lshrrev_b32_e32 v8, 16, v28
	s_mov_b32 s14, exec_lo
	s_delay_alu instid0(VALU_DEP_1) | instskip(NEXT) | instid1(VALU_DEP_1)
	v_and_b32_e32 v0, 0xff, v8
	v_cmpx_ne_u16_e32 0, v0
	s_cbranch_execz .LBB311_867
; %bb.860:                              ;   in Loop: Header=BB311_11 Depth=1
	v_cmp_ne_u16_e64 s1, 0x80, v0
	v_mov_b32_e32 v0, 0x8000
	scratch_store_b32 off, v0, s32 offset:324 ; 4-byte Folded Spill
	s_and_saveexec_b32 s15, s1
	s_cbranch_execz .LBB311_866
; %bb.861:                              ;   in Loop: Header=BB311_11 Depth=1
	v_bfe_u32 v2, v28, 16, 7
	v_mov_b32_e32 v0, 0x7c01
	s_mov_b32 s16, exec_lo
	scratch_store_b32 off, v0, s32 offset:324 ; 4-byte Folded Spill
	v_cmpx_ne_u32_e32 0x7f, v2
	s_cbranch_execz .LBB311_865
; %bb.862:                              ;   in Loop: Header=BB311_11 Depth=1
	v_and_b32_e32 v0, 7, v8
	v_lshrrev_b32_e32 v1, 3, v2
	s_mov_b32 s17, exec_lo
	v_cmpx_gt_u32_e32 8, v2
; %bb.863:                              ;   in Loop: Header=BB311_11 Depth=1
	s_delay_alu instid0(VALU_DEP_3) | instskip(NEXT) | instid1(VALU_DEP_1)
	v_clz_i32_u32_e32 v0, v0
	v_min_u32_e32 v2, 32, v0
	s_delay_alu instid0(VALU_DEP_1) | instskip(NEXT) | instid1(VALU_DEP_1)
	v_subrev_nc_u32_e32 v0, 28, v2
	v_lshlrev_b64_e32 v[0:1], v0, v[8:9]
	v_sub_nc_u32_e32 v1, 29, v2
	s_delay_alu instid0(VALU_DEP_2)
	v_and_b32_e32 v0, 7, v0
; %bb.864:                              ;   in Loop: Header=BB311_11 Depth=1
	s_wait_alu 0xfffe
	s_or_b32 exec_lo, exec_lo, s17
	v_lshlrev_b32_e32 v2, 8, v8
	v_lshl_add_u32 v1, v1, 10, 0x2000
	v_lshlrev_b32_e32 v0, 7, v0
	s_delay_alu instid0(VALU_DEP_3) | instskip(NEXT) | instid1(VALU_DEP_3)
	v_and_b32_e32 v2, 0x8000, v2
	v_and_b32_e32 v1, 0xfc00, v1
	s_delay_alu instid0(VALU_DEP_1)
	v_or3_b32 v0, v2, v1, v0
	scratch_store_b32 off, v0, s32 offset:324 ; 4-byte Folded Spill
.LBB311_865:                            ;   in Loop: Header=BB311_11 Depth=1
	s_wait_alu 0xfffe
	s_or_b32 exec_lo, exec_lo, s16
.LBB311_866:                            ;   in Loop: Header=BB311_11 Depth=1
	s_wait_alu 0xfffe
	s_or_b32 exec_lo, exec_lo, s15
.LBB311_867:                            ;   in Loop: Header=BB311_11 Depth=1
	s_wait_alu 0xfffe
	s_or_b32 exec_lo, exec_lo, s14
	v_dual_mov_b32 v124, 0 :: v_dual_mov_b32 v155, 0
	s_mov_b32 s14, exec_lo
	v_cmpx_lt_u32_e32 0xffffff, v28
	s_cbranch_execz .LBB311_875
; %bb.868:                              ;   in Loop: Header=BB311_11 Depth=1
	v_lshrrev_b32_e32 v8, 24, v28
	v_bfrev_b32_e32 v155, 1
	s_mov_b32 s15, exec_lo
	s_delay_alu instid0(VALU_DEP_2)
	v_cmpx_ne_u32_e32 0x80, v8
	s_cbranch_execz .LBB311_874
; %bb.869:                              ;   in Loop: Header=BB311_11 Depth=1
	v_and_b32_e32 v2, 0x7f, v8
	v_mov_b32_e32 v155, 0x7c010000
	s_mov_b32 s16, exec_lo
	s_delay_alu instid0(VALU_DEP_2)
	v_cmpx_ne_u32_e32 0x7f, v2
	s_cbranch_execz .LBB311_873
; %bb.870:                              ;   in Loop: Header=BB311_11 Depth=1
	v_and_b32_e32 v0, 7, v8
	v_lshrrev_b32_e32 v1, 3, v2
	s_mov_b32 s17, exec_lo
	v_cmpx_gt_u32_e32 8, v2
; %bb.871:                              ;   in Loop: Header=BB311_11 Depth=1
	s_delay_alu instid0(VALU_DEP_3) | instskip(NEXT) | instid1(VALU_DEP_1)
	v_clz_i32_u32_e32 v0, v0
	v_min_u32_e32 v2, 32, v0
	s_delay_alu instid0(VALU_DEP_1) | instskip(NEXT) | instid1(VALU_DEP_1)
	v_subrev_nc_u32_e32 v0, 28, v2
	v_lshlrev_b64_e32 v[0:1], v0, v[8:9]
	v_sub_nc_u32_e32 v1, 29, v2
	s_delay_alu instid0(VALU_DEP_2)
	v_and_b32_e32 v0, 7, v0
; %bb.872:                              ;   in Loop: Header=BB311_11 Depth=1
	s_wait_alu 0xfffe
	s_or_b32 exec_lo, exec_lo, s17
	v_lshlrev_b32_e32 v2, 8, v8
	v_lshl_add_u32 v1, v1, 10, 0x2000
	v_lshlrev_b32_e32 v0, 23, v0
	s_delay_alu instid0(VALU_DEP_2) | instskip(NEXT) | instid1(VALU_DEP_1)
	v_and_or_b32 v1, 0x8000, v2, v1
	v_lshl_or_b32 v155, v1, 16, v0
.LBB311_873:                            ;   in Loop: Header=BB311_11 Depth=1
	s_wait_alu 0xfffe
	s_or_b32 exec_lo, exec_lo, s16
.LBB311_874:                            ;   in Loop: Header=BB311_11 Depth=1
	s_wait_alu 0xfffe
	s_or_b32 exec_lo, exec_lo, s15
.LBB311_875:                            ;   in Loop: Header=BB311_11 Depth=1
	s_wait_alu 0xfffe
	s_or_b32 exec_lo, exec_lo, s14
	v_and_b32_e32 v0, 0xff, v29
	v_mov_b32_e32 v8, v29
	s_mov_b32 s14, exec_lo
	s_delay_alu instid0(VALU_DEP_2)
	v_cmpx_ne_u16_e32 0, v0
	s_cbranch_execz .LBB311_883
; %bb.876:                              ;   in Loop: Header=BB311_11 Depth=1
	v_mov_b32_e32 v124, 0x8000
	s_mov_b32 s15, exec_lo
	v_cmpx_ne_u16_e32 0x80, v0
	s_cbranch_execz .LBB311_882
; %bb.877:                              ;   in Loop: Header=BB311_11 Depth=1
	v_and_b32_e32 v2, 0x7f, v29
	v_mov_b32_e32 v124, 0x7c01
	s_mov_b32 s16, exec_lo
	s_delay_alu instid0(VALU_DEP_2)
	v_cmpx_ne_u32_e32 0x7f, v2
	s_cbranch_execz .LBB311_881
; %bb.878:                              ;   in Loop: Header=BB311_11 Depth=1
	v_and_b32_e32 v0, 7, v29
	v_lshrrev_b32_e32 v1, 3, v2
	s_mov_b32 s17, exec_lo
	v_cmpx_gt_u32_e32 8, v2
; %bb.879:                              ;   in Loop: Header=BB311_11 Depth=1
	s_delay_alu instid0(VALU_DEP_3) | instskip(NEXT) | instid1(VALU_DEP_1)
	v_clz_i32_u32_e32 v0, v0
	v_min_u32_e32 v2, 32, v0
	s_delay_alu instid0(VALU_DEP_1) | instskip(NEXT) | instid1(VALU_DEP_1)
	v_subrev_nc_u32_e32 v0, 28, v2
	v_lshlrev_b64_e32 v[0:1], v0, v[8:9]
	v_sub_nc_u32_e32 v1, 29, v2
	s_delay_alu instid0(VALU_DEP_2)
	v_and_b32_e32 v0, 7, v0
; %bb.880:                              ;   in Loop: Header=BB311_11 Depth=1
	s_wait_alu 0xfffe
	s_or_b32 exec_lo, exec_lo, s17
	v_lshlrev_b32_e32 v2, 8, v29
	v_lshl_add_u32 v1, v1, 10, 0x2000
	v_lshlrev_b32_e32 v0, 7, v0
	s_delay_alu instid0(VALU_DEP_3) | instskip(NEXT) | instid1(VALU_DEP_3)
	v_and_b32_e32 v2, 0x8000, v2
	v_and_b32_e32 v1, 0xfc00, v1
	s_delay_alu instid0(VALU_DEP_1)
	v_or3_b32 v124, v2, v1, v0
.LBB311_881:                            ;   in Loop: Header=BB311_11 Depth=1
	s_wait_alu 0xfffe
	s_or_b32 exec_lo, exec_lo, s16
.LBB311_882:                            ;   in Loop: Header=BB311_11 Depth=1
	s_wait_alu 0xfffe
	s_or_b32 exec_lo, exec_lo, s15
.LBB311_883:                            ;   in Loop: Header=BB311_11 Depth=1
	s_wait_alu 0xfffe
	s_or_b32 exec_lo, exec_lo, s14
	v_lshrrev_b16 v8, 8, v8
	v_dual_mov_b32 v190, 0 :: v_dual_mov_b32 v191, 0
	s_mov_b32 s14, exec_lo
	s_delay_alu instid0(VALU_DEP_2)
	v_cmpx_ne_u16_e32 0, v8
	s_cbranch_execz .LBB311_891
; %bb.884:                              ;   in Loop: Header=BB311_11 Depth=1
	v_bfrev_b32_e32 v191, 1
	s_mov_b32 s15, exec_lo
	v_cmpx_ne_u16_e32 0x80, v8
	s_cbranch_execz .LBB311_890
; %bb.885:                              ;   in Loop: Header=BB311_11 Depth=1
	v_and_b32_e32 v0, 0xffff, v8
	v_mov_b32_e32 v191, 0x7c010000
	s_mov_b32 s16, exec_lo
	s_delay_alu instid0(VALU_DEP_2) | instskip(NEXT) | instid1(VALU_DEP_1)
	v_and_b32_e32 v3, 0x7f, v0
	v_cmpx_ne_u32_e32 0x7f, v3
	s_cbranch_execz .LBB311_889
; %bb.886:                              ;   in Loop: Header=BB311_11 Depth=1
	v_and_b32_e32 v1, 7, v0
	v_lshrrev_b32_e32 v2, 3, v3
	s_mov_b32 s17, exec_lo
	v_cmpx_gt_u32_e32 8, v3
; %bb.887:                              ;   in Loop: Header=BB311_11 Depth=1
	s_delay_alu instid0(VALU_DEP_3) | instskip(NEXT) | instid1(VALU_DEP_1)
	v_clz_i32_u32_e32 v1, v1
	v_min_u32_e32 v3, 32, v1
	s_delay_alu instid0(VALU_DEP_1) | instskip(NEXT) | instid1(VALU_DEP_1)
	v_subrev_nc_u32_e32 v1, 28, v3
	v_lshlrev_b64_e32 v[1:2], v1, v[8:9]
	v_sub_nc_u32_e32 v2, 29, v3
	s_delay_alu instid0(VALU_DEP_2)
	v_and_b32_e32 v1, 7, v1
; %bb.888:                              ;   in Loop: Header=BB311_11 Depth=1
	s_wait_alu 0xfffe
	s_or_b32 exec_lo, exec_lo, s17
	v_lshlrev_b32_e32 v0, 8, v0
	v_lshl_add_u32 v2, v2, 10, 0x2000
	v_lshlrev_b32_e32 v1, 23, v1
	s_delay_alu instid0(VALU_DEP_2) | instskip(NEXT) | instid1(VALU_DEP_1)
	v_and_or_b32 v0, 0x8000, v0, v2
	v_lshl_or_b32 v191, v0, 16, v1
.LBB311_889:                            ;   in Loop: Header=BB311_11 Depth=1
	s_wait_alu 0xfffe
	s_or_b32 exec_lo, exec_lo, s16
.LBB311_890:                            ;   in Loop: Header=BB311_11 Depth=1
	s_wait_alu 0xfffe
	s_or_b32 exec_lo, exec_lo, s15
.LBB311_891:                            ;   in Loop: Header=BB311_11 Depth=1
	s_wait_alu 0xfffe
	s_or_b32 exec_lo, exec_lo, s14
	v_lshrrev_b32_e32 v8, 16, v29
	s_mov_b32 s14, exec_lo
	s_delay_alu instid0(VALU_DEP_1) | instskip(NEXT) | instid1(VALU_DEP_1)
	v_and_b32_e32 v0, 0xff, v8
	v_cmpx_ne_u16_e32 0, v0
	s_cbranch_execz .LBB311_899
; %bb.892:                              ;   in Loop: Header=BB311_11 Depth=1
	v_mov_b32_e32 v190, 0x8000
	s_mov_b32 s15, exec_lo
	v_cmpx_ne_u16_e32 0x80, v0
	s_cbranch_execz .LBB311_898
; %bb.893:                              ;   in Loop: Header=BB311_11 Depth=1
	v_bfe_u32 v2, v29, 16, 7
	v_mov_b32_e32 v190, 0x7c01
	s_mov_b32 s16, exec_lo
	s_delay_alu instid0(VALU_DEP_2)
	v_cmpx_ne_u32_e32 0x7f, v2
	s_cbranch_execz .LBB311_897
; %bb.894:                              ;   in Loop: Header=BB311_11 Depth=1
	v_and_b32_e32 v0, 7, v8
	v_lshrrev_b32_e32 v1, 3, v2
	s_mov_b32 s17, exec_lo
	v_cmpx_gt_u32_e32 8, v2
; %bb.895:                              ;   in Loop: Header=BB311_11 Depth=1
	s_delay_alu instid0(VALU_DEP_3) | instskip(NEXT) | instid1(VALU_DEP_1)
	v_clz_i32_u32_e32 v0, v0
	v_min_u32_e32 v2, 32, v0
	s_delay_alu instid0(VALU_DEP_1) | instskip(NEXT) | instid1(VALU_DEP_1)
	v_subrev_nc_u32_e32 v0, 28, v2
	v_lshlrev_b64_e32 v[0:1], v0, v[8:9]
	v_sub_nc_u32_e32 v1, 29, v2
	s_delay_alu instid0(VALU_DEP_2)
	v_and_b32_e32 v0, 7, v0
; %bb.896:                              ;   in Loop: Header=BB311_11 Depth=1
	s_wait_alu 0xfffe
	s_or_b32 exec_lo, exec_lo, s17
	v_lshlrev_b32_e32 v2, 8, v8
	v_lshl_add_u32 v1, v1, 10, 0x2000
	v_lshlrev_b32_e32 v0, 7, v0
	s_delay_alu instid0(VALU_DEP_3) | instskip(NEXT) | instid1(VALU_DEP_3)
	v_and_b32_e32 v2, 0x8000, v2
	v_and_b32_e32 v1, 0xfc00, v1
	s_delay_alu instid0(VALU_DEP_1)
	v_or3_b32 v190, v2, v1, v0
.LBB311_897:                            ;   in Loop: Header=BB311_11 Depth=1
	s_wait_alu 0xfffe
	s_or_b32 exec_lo, exec_lo, s16
.LBB311_898:                            ;   in Loop: Header=BB311_11 Depth=1
	s_wait_alu 0xfffe
	s_or_b32 exec_lo, exec_lo, s15
.LBB311_899:                            ;   in Loop: Header=BB311_11 Depth=1
	s_wait_alu 0xfffe
	s_or_b32 exec_lo, exec_lo, s14
	v_dual_mov_b32 v137, 0 :: v_dual_mov_b32 v136, 0
	s_mov_b32 s14, exec_lo
	v_cmpx_lt_u64_e64 s[2:3], v[28:29]
	s_cbranch_execz .LBB311_907
; %bb.900:                              ;   in Loop: Header=BB311_11 Depth=1
	v_lshrrev_b32_e32 v8, 24, v29
	v_bfrev_b32_e32 v136, 1
	s_mov_b32 s15, exec_lo
	s_delay_alu instid0(VALU_DEP_2)
	v_cmpx_ne_u32_e32 0x80, v8
	s_cbranch_execz .LBB311_906
; %bb.901:                              ;   in Loop: Header=BB311_11 Depth=1
	v_and_b32_e32 v2, 0x7f, v8
	v_mov_b32_e32 v136, 0x7c010000
	s_mov_b32 s16, exec_lo
	s_delay_alu instid0(VALU_DEP_2)
	v_cmpx_ne_u32_e32 0x7f, v2
	s_cbranch_execz .LBB311_905
; %bb.902:                              ;   in Loop: Header=BB311_11 Depth=1
	v_and_b32_e32 v0, 7, v8
	v_lshrrev_b32_e32 v1, 3, v2
	s_mov_b32 s17, exec_lo
	v_cmpx_gt_u32_e32 8, v2
; %bb.903:                              ;   in Loop: Header=BB311_11 Depth=1
	s_delay_alu instid0(VALU_DEP_3) | instskip(NEXT) | instid1(VALU_DEP_1)
	v_clz_i32_u32_e32 v0, v0
	v_min_u32_e32 v2, 32, v0
	s_delay_alu instid0(VALU_DEP_1) | instskip(NEXT) | instid1(VALU_DEP_1)
	v_subrev_nc_u32_e32 v0, 28, v2
	v_lshlrev_b64_e32 v[0:1], v0, v[8:9]
	v_sub_nc_u32_e32 v1, 29, v2
	s_delay_alu instid0(VALU_DEP_2)
	v_and_b32_e32 v0, 7, v0
; %bb.904:                              ;   in Loop: Header=BB311_11 Depth=1
	s_wait_alu 0xfffe
	s_or_b32 exec_lo, exec_lo, s17
	v_lshlrev_b32_e32 v2, 8, v8
	v_lshl_add_u32 v1, v1, 10, 0x2000
	v_lshlrev_b32_e32 v0, 23, v0
	s_delay_alu instid0(VALU_DEP_2) | instskip(NEXT) | instid1(VALU_DEP_1)
	v_and_or_b32 v1, 0x8000, v2, v1
	v_lshl_or_b32 v136, v1, 16, v0
.LBB311_905:                            ;   in Loop: Header=BB311_11 Depth=1
	s_wait_alu 0xfffe
	s_or_b32 exec_lo, exec_lo, s16
.LBB311_906:                            ;   in Loop: Header=BB311_11 Depth=1
	s_wait_alu 0xfffe
	s_or_b32 exec_lo, exec_lo, s15
.LBB311_907:                            ;   in Loop: Header=BB311_11 Depth=1
	s_wait_alu 0xfffe
	s_or_b32 exec_lo, exec_lo, s14
	flat_load_b64 v[28:29], v[20:21] offset:3584
	s_mov_b32 s14, exec_lo
	s_wait_loadcnt_dscnt 0x0
	v_and_b32_e32 v0, 0xff, v28
	s_delay_alu instid0(VALU_DEP_1)
	v_cmpx_ne_u16_e32 0, v0
	s_cbranch_execz .LBB311_915
; %bb.908:                              ;   in Loop: Header=BB311_11 Depth=1
	v_mov_b32_e32 v137, 0x8000
	s_mov_b32 s15, exec_lo
	v_cmpx_ne_u16_e32 0x80, v0
	s_cbranch_execz .LBB311_914
; %bb.909:                              ;   in Loop: Header=BB311_11 Depth=1
	v_and_b32_e32 v2, 0x7f, v28
	v_mov_b32_e32 v137, 0x7c01
	s_mov_b32 s16, exec_lo
	s_delay_alu instid0(VALU_DEP_2)
	v_cmpx_ne_u32_e32 0x7f, v2
	s_cbranch_execz .LBB311_913
; %bb.910:                              ;   in Loop: Header=BB311_11 Depth=1
	v_and_b32_e32 v0, 7, v28
	v_lshrrev_b32_e32 v1, 3, v2
	s_mov_b32 s17, exec_lo
	v_cmpx_gt_u32_e32 8, v2
; %bb.911:                              ;   in Loop: Header=BB311_11 Depth=1
	s_delay_alu instid0(VALU_DEP_3) | instskip(NEXT) | instid1(VALU_DEP_1)
	v_clz_i32_u32_e32 v0, v0
	v_min_u32_e32 v2, 32, v0
	s_delay_alu instid0(VALU_DEP_1) | instskip(NEXT) | instid1(VALU_DEP_1)
	v_subrev_nc_u32_e32 v0, 28, v2
	v_lshlrev_b64_e32 v[0:1], v0, v[28:29]
	v_sub_nc_u32_e32 v1, 29, v2
	s_delay_alu instid0(VALU_DEP_2)
	v_and_b32_e32 v0, 7, v0
; %bb.912:                              ;   in Loop: Header=BB311_11 Depth=1
	s_wait_alu 0xfffe
	s_or_b32 exec_lo, exec_lo, s17
	v_lshlrev_b32_e32 v2, 8, v28
	v_lshl_add_u32 v1, v1, 10, 0x2000
	v_lshlrev_b32_e32 v0, 7, v0
	s_delay_alu instid0(VALU_DEP_3) | instskip(NEXT) | instid1(VALU_DEP_3)
	v_and_b32_e32 v2, 0x8000, v2
	v_and_b32_e32 v1, 0xfc00, v1
	s_delay_alu instid0(VALU_DEP_1)
	v_or3_b32 v137, v2, v1, v0
.LBB311_913:                            ;   in Loop: Header=BB311_11 Depth=1
	s_wait_alu 0xfffe
	s_or_b32 exec_lo, exec_lo, s16
.LBB311_914:                            ;   in Loop: Header=BB311_11 Depth=1
	s_wait_alu 0xfffe
	s_or_b32 exec_lo, exec_lo, s15
.LBB311_915:                            ;   in Loop: Header=BB311_11 Depth=1
	s_wait_alu 0xfffe
	s_or_b32 exec_lo, exec_lo, s14
	v_lshrrev_b16 v8, 8, v28
	v_dual_mov_b32 v64, 0 :: v_dual_mov_b32 v69, 0
	s_mov_b32 s14, exec_lo
	s_delay_alu instid0(VALU_DEP_2)
	v_cmpx_ne_u16_e32 0, v8
	s_cbranch_execz .LBB311_923
; %bb.916:                              ;   in Loop: Header=BB311_11 Depth=1
	v_bfrev_b32_e32 v69, 1
	s_mov_b32 s15, exec_lo
	v_cmpx_ne_u16_e32 0x80, v8
	s_cbranch_execz .LBB311_922
; %bb.917:                              ;   in Loop: Header=BB311_11 Depth=1
	v_and_b32_e32 v0, 0xffff, v8
	v_mov_b32_e32 v69, 0x7c010000
	s_mov_b32 s16, exec_lo
	s_delay_alu instid0(VALU_DEP_2) | instskip(NEXT) | instid1(VALU_DEP_1)
	v_and_b32_e32 v3, 0x7f, v0
	v_cmpx_ne_u32_e32 0x7f, v3
	s_cbranch_execz .LBB311_921
; %bb.918:                              ;   in Loop: Header=BB311_11 Depth=1
	v_and_b32_e32 v1, 7, v0
	v_lshrrev_b32_e32 v2, 3, v3
	s_mov_b32 s17, exec_lo
	v_cmpx_gt_u32_e32 8, v3
; %bb.919:                              ;   in Loop: Header=BB311_11 Depth=1
	s_delay_alu instid0(VALU_DEP_3) | instskip(NEXT) | instid1(VALU_DEP_1)
	v_clz_i32_u32_e32 v1, v1
	v_min_u32_e32 v3, 32, v1
	s_delay_alu instid0(VALU_DEP_1) | instskip(NEXT) | instid1(VALU_DEP_1)
	v_subrev_nc_u32_e32 v1, 28, v3
	v_lshlrev_b64_e32 v[1:2], v1, v[8:9]
	v_sub_nc_u32_e32 v2, 29, v3
	s_delay_alu instid0(VALU_DEP_2)
	v_and_b32_e32 v1, 7, v1
; %bb.920:                              ;   in Loop: Header=BB311_11 Depth=1
	s_wait_alu 0xfffe
	s_or_b32 exec_lo, exec_lo, s17
	v_lshlrev_b32_e32 v0, 8, v0
	v_lshl_add_u32 v2, v2, 10, 0x2000
	v_lshlrev_b32_e32 v1, 23, v1
	s_delay_alu instid0(VALU_DEP_2) | instskip(NEXT) | instid1(VALU_DEP_1)
	v_and_or_b32 v0, 0x8000, v0, v2
	v_lshl_or_b32 v69, v0, 16, v1
.LBB311_921:                            ;   in Loop: Header=BB311_11 Depth=1
	s_wait_alu 0xfffe
	s_or_b32 exec_lo, exec_lo, s16
.LBB311_922:                            ;   in Loop: Header=BB311_11 Depth=1
	s_wait_alu 0xfffe
	s_or_b32 exec_lo, exec_lo, s15
.LBB311_923:                            ;   in Loop: Header=BB311_11 Depth=1
	s_wait_alu 0xfffe
	s_or_b32 exec_lo, exec_lo, s14
	v_lshrrev_b32_e32 v8, 16, v28
	s_mov_b32 s14, exec_lo
	s_delay_alu instid0(VALU_DEP_1) | instskip(NEXT) | instid1(VALU_DEP_1)
	v_and_b32_e32 v0, 0xff, v8
	v_cmpx_ne_u16_e32 0, v0
	s_cbranch_execz .LBB311_931
; %bb.924:                              ;   in Loop: Header=BB311_11 Depth=1
	v_mov_b32_e32 v64, 0x8000
	s_mov_b32 s15, exec_lo
	v_cmpx_ne_u16_e32 0x80, v0
	s_cbranch_execz .LBB311_930
; %bb.925:                              ;   in Loop: Header=BB311_11 Depth=1
	v_bfe_u32 v2, v28, 16, 7
	v_mov_b32_e32 v64, 0x7c01
	s_mov_b32 s16, exec_lo
	s_delay_alu instid0(VALU_DEP_2)
	v_cmpx_ne_u32_e32 0x7f, v2
	s_cbranch_execz .LBB311_929
; %bb.926:                              ;   in Loop: Header=BB311_11 Depth=1
	v_and_b32_e32 v0, 7, v8
	v_lshrrev_b32_e32 v1, 3, v2
	s_mov_b32 s17, exec_lo
	v_cmpx_gt_u32_e32 8, v2
; %bb.927:                              ;   in Loop: Header=BB311_11 Depth=1
	s_delay_alu instid0(VALU_DEP_3) | instskip(NEXT) | instid1(VALU_DEP_1)
	v_clz_i32_u32_e32 v0, v0
	v_min_u32_e32 v2, 32, v0
	s_delay_alu instid0(VALU_DEP_1) | instskip(NEXT) | instid1(VALU_DEP_1)
	v_subrev_nc_u32_e32 v0, 28, v2
	v_lshlrev_b64_e32 v[0:1], v0, v[8:9]
	v_sub_nc_u32_e32 v1, 29, v2
	s_delay_alu instid0(VALU_DEP_2)
	v_and_b32_e32 v0, 7, v0
; %bb.928:                              ;   in Loop: Header=BB311_11 Depth=1
	s_wait_alu 0xfffe
	s_or_b32 exec_lo, exec_lo, s17
	v_lshlrev_b32_e32 v2, 8, v8
	v_lshl_add_u32 v1, v1, 10, 0x2000
	v_lshlrev_b32_e32 v0, 7, v0
	s_delay_alu instid0(VALU_DEP_3) | instskip(NEXT) | instid1(VALU_DEP_3)
	v_and_b32_e32 v2, 0x8000, v2
	v_and_b32_e32 v1, 0xfc00, v1
	s_delay_alu instid0(VALU_DEP_1)
	v_or3_b32 v64, v2, v1, v0
.LBB311_929:                            ;   in Loop: Header=BB311_11 Depth=1
	s_wait_alu 0xfffe
	s_or_b32 exec_lo, exec_lo, s16
.LBB311_930:                            ;   in Loop: Header=BB311_11 Depth=1
	s_wait_alu 0xfffe
	s_or_b32 exec_lo, exec_lo, s15
.LBB311_931:                            ;   in Loop: Header=BB311_11 Depth=1
	s_wait_alu 0xfffe
	s_or_b32 exec_lo, exec_lo, s14
	v_dual_mov_b32 v125, 0 :: v_dual_mov_b32 v158, 0
	s_mov_b32 s14, exec_lo
	v_cmpx_lt_u32_e32 0xffffff, v28
	s_cbranch_execz .LBB311_939
; %bb.932:                              ;   in Loop: Header=BB311_11 Depth=1
	v_lshrrev_b32_e32 v8, 24, v28
	v_bfrev_b32_e32 v158, 1
	s_mov_b32 s15, exec_lo
	s_delay_alu instid0(VALU_DEP_2)
	v_cmpx_ne_u32_e32 0x80, v8
	s_cbranch_execz .LBB311_938
; %bb.933:                              ;   in Loop: Header=BB311_11 Depth=1
	v_and_b32_e32 v2, 0x7f, v8
	v_mov_b32_e32 v158, 0x7c010000
	s_mov_b32 s16, exec_lo
	s_delay_alu instid0(VALU_DEP_2)
	v_cmpx_ne_u32_e32 0x7f, v2
	s_cbranch_execz .LBB311_937
; %bb.934:                              ;   in Loop: Header=BB311_11 Depth=1
	v_and_b32_e32 v0, 7, v8
	v_lshrrev_b32_e32 v1, 3, v2
	s_mov_b32 s17, exec_lo
	v_cmpx_gt_u32_e32 8, v2
; %bb.935:                              ;   in Loop: Header=BB311_11 Depth=1
	s_delay_alu instid0(VALU_DEP_3) | instskip(NEXT) | instid1(VALU_DEP_1)
	v_clz_i32_u32_e32 v0, v0
	v_min_u32_e32 v2, 32, v0
	s_delay_alu instid0(VALU_DEP_1) | instskip(NEXT) | instid1(VALU_DEP_1)
	v_subrev_nc_u32_e32 v0, 28, v2
	v_lshlrev_b64_e32 v[0:1], v0, v[8:9]
	v_sub_nc_u32_e32 v1, 29, v2
	s_delay_alu instid0(VALU_DEP_2)
	v_and_b32_e32 v0, 7, v0
; %bb.936:                              ;   in Loop: Header=BB311_11 Depth=1
	s_wait_alu 0xfffe
	s_or_b32 exec_lo, exec_lo, s17
	v_lshlrev_b32_e32 v2, 8, v8
	v_lshl_add_u32 v1, v1, 10, 0x2000
	v_lshlrev_b32_e32 v0, 23, v0
	s_delay_alu instid0(VALU_DEP_2) | instskip(NEXT) | instid1(VALU_DEP_1)
	v_and_or_b32 v1, 0x8000, v2, v1
	v_lshl_or_b32 v158, v1, 16, v0
.LBB311_937:                            ;   in Loop: Header=BB311_11 Depth=1
	s_wait_alu 0xfffe
	s_or_b32 exec_lo, exec_lo, s16
.LBB311_938:                            ;   in Loop: Header=BB311_11 Depth=1
	s_wait_alu 0xfffe
	s_or_b32 exec_lo, exec_lo, s15
.LBB311_939:                            ;   in Loop: Header=BB311_11 Depth=1
	s_wait_alu 0xfffe
	s_or_b32 exec_lo, exec_lo, s14
	v_and_b32_e32 v0, 0xff, v29
	v_mov_b32_e32 v8, v29
	s_mov_b32 s14, exec_lo
	s_delay_alu instid0(VALU_DEP_2)
	v_cmpx_ne_u16_e32 0, v0
	s_cbranch_execz .LBB311_947
; %bb.940:                              ;   in Loop: Header=BB311_11 Depth=1
	v_mov_b32_e32 v125, 0x8000
	s_mov_b32 s15, exec_lo
	v_cmpx_ne_u16_e32 0x80, v0
	s_cbranch_execz .LBB311_946
; %bb.941:                              ;   in Loop: Header=BB311_11 Depth=1
	v_and_b32_e32 v2, 0x7f, v29
	v_mov_b32_e32 v125, 0x7c01
	s_mov_b32 s16, exec_lo
	s_delay_alu instid0(VALU_DEP_2)
	v_cmpx_ne_u32_e32 0x7f, v2
	s_cbranch_execz .LBB311_945
; %bb.942:                              ;   in Loop: Header=BB311_11 Depth=1
	v_and_b32_e32 v0, 7, v29
	v_lshrrev_b32_e32 v1, 3, v2
	s_mov_b32 s17, exec_lo
	v_cmpx_gt_u32_e32 8, v2
; %bb.943:                              ;   in Loop: Header=BB311_11 Depth=1
	s_delay_alu instid0(VALU_DEP_3) | instskip(NEXT) | instid1(VALU_DEP_1)
	v_clz_i32_u32_e32 v0, v0
	v_min_u32_e32 v2, 32, v0
	s_delay_alu instid0(VALU_DEP_1) | instskip(NEXT) | instid1(VALU_DEP_1)
	v_subrev_nc_u32_e32 v0, 28, v2
	v_lshlrev_b64_e32 v[0:1], v0, v[8:9]
	v_sub_nc_u32_e32 v1, 29, v2
	s_delay_alu instid0(VALU_DEP_2)
	v_and_b32_e32 v0, 7, v0
; %bb.944:                              ;   in Loop: Header=BB311_11 Depth=1
	s_wait_alu 0xfffe
	s_or_b32 exec_lo, exec_lo, s17
	v_lshlrev_b32_e32 v2, 8, v29
	v_lshl_add_u32 v1, v1, 10, 0x2000
	v_lshlrev_b32_e32 v0, 7, v0
	s_delay_alu instid0(VALU_DEP_3) | instskip(NEXT) | instid1(VALU_DEP_3)
	v_and_b32_e32 v2, 0x8000, v2
	v_and_b32_e32 v1, 0xfc00, v1
	s_delay_alu instid0(VALU_DEP_1)
	v_or3_b32 v125, v2, v1, v0
.LBB311_945:                            ;   in Loop: Header=BB311_11 Depth=1
	s_wait_alu 0xfffe
	s_or_b32 exec_lo, exec_lo, s16
.LBB311_946:                            ;   in Loop: Header=BB311_11 Depth=1
	s_wait_alu 0xfffe
	s_or_b32 exec_lo, exec_lo, s15
.LBB311_947:                            ;   in Loop: Header=BB311_11 Depth=1
	s_wait_alu 0xfffe
	s_or_b32 exec_lo, exec_lo, s14
	v_lshrrev_b16 v8, 8, v8
	v_dual_mov_b32 v168, 0 :: v_dual_mov_b32 v171, 0
	s_mov_b32 s14, exec_lo
	s_delay_alu instid0(VALU_DEP_2)
	v_cmpx_ne_u16_e32 0, v8
	s_cbranch_execz .LBB311_955
; %bb.948:                              ;   in Loop: Header=BB311_11 Depth=1
	v_bfrev_b32_e32 v171, 1
	s_mov_b32 s15, exec_lo
	v_cmpx_ne_u16_e32 0x80, v8
	s_cbranch_execz .LBB311_954
; %bb.949:                              ;   in Loop: Header=BB311_11 Depth=1
	v_and_b32_e32 v0, 0xffff, v8
	v_mov_b32_e32 v171, 0x7c010000
	s_mov_b32 s16, exec_lo
	s_delay_alu instid0(VALU_DEP_2) | instskip(NEXT) | instid1(VALU_DEP_1)
	v_and_b32_e32 v3, 0x7f, v0
	v_cmpx_ne_u32_e32 0x7f, v3
	s_cbranch_execz .LBB311_953
; %bb.950:                              ;   in Loop: Header=BB311_11 Depth=1
	v_and_b32_e32 v1, 7, v0
	v_lshrrev_b32_e32 v2, 3, v3
	s_mov_b32 s17, exec_lo
	v_cmpx_gt_u32_e32 8, v3
; %bb.951:                              ;   in Loop: Header=BB311_11 Depth=1
	s_delay_alu instid0(VALU_DEP_3) | instskip(NEXT) | instid1(VALU_DEP_1)
	v_clz_i32_u32_e32 v1, v1
	v_min_u32_e32 v3, 32, v1
	s_delay_alu instid0(VALU_DEP_1) | instskip(NEXT) | instid1(VALU_DEP_1)
	v_subrev_nc_u32_e32 v1, 28, v3
	v_lshlrev_b64_e32 v[1:2], v1, v[8:9]
	v_sub_nc_u32_e32 v2, 29, v3
	s_delay_alu instid0(VALU_DEP_2)
	v_and_b32_e32 v1, 7, v1
; %bb.952:                              ;   in Loop: Header=BB311_11 Depth=1
	s_wait_alu 0xfffe
	s_or_b32 exec_lo, exec_lo, s17
	v_lshlrev_b32_e32 v0, 8, v0
	v_lshl_add_u32 v2, v2, 10, 0x2000
	v_lshlrev_b32_e32 v1, 23, v1
	s_delay_alu instid0(VALU_DEP_2) | instskip(NEXT) | instid1(VALU_DEP_1)
	v_and_or_b32 v0, 0x8000, v0, v2
	v_lshl_or_b32 v171, v0, 16, v1
.LBB311_953:                            ;   in Loop: Header=BB311_11 Depth=1
	s_wait_alu 0xfffe
	s_or_b32 exec_lo, exec_lo, s16
.LBB311_954:                            ;   in Loop: Header=BB311_11 Depth=1
	s_wait_alu 0xfffe
	s_or_b32 exec_lo, exec_lo, s15
.LBB311_955:                            ;   in Loop: Header=BB311_11 Depth=1
	s_wait_alu 0xfffe
	s_or_b32 exec_lo, exec_lo, s14
	v_lshrrev_b32_e32 v8, 16, v29
	s_mov_b32 s14, exec_lo
	s_delay_alu instid0(VALU_DEP_1) | instskip(NEXT) | instid1(VALU_DEP_1)
	v_and_b32_e32 v0, 0xff, v8
	v_cmpx_ne_u16_e32 0, v0
	s_cbranch_execz .LBB311_963
; %bb.956:                              ;   in Loop: Header=BB311_11 Depth=1
	v_mov_b32_e32 v168, 0x8000
	s_mov_b32 s15, exec_lo
	v_cmpx_ne_u16_e32 0x80, v0
	s_cbranch_execz .LBB311_962
; %bb.957:                              ;   in Loop: Header=BB311_11 Depth=1
	v_bfe_u32 v2, v29, 16, 7
	v_mov_b32_e32 v168, 0x7c01
	s_mov_b32 s16, exec_lo
	s_delay_alu instid0(VALU_DEP_2)
	v_cmpx_ne_u32_e32 0x7f, v2
	s_cbranch_execz .LBB311_961
; %bb.958:                              ;   in Loop: Header=BB311_11 Depth=1
	v_and_b32_e32 v0, 7, v8
	v_lshrrev_b32_e32 v1, 3, v2
	s_mov_b32 s17, exec_lo
	v_cmpx_gt_u32_e32 8, v2
; %bb.959:                              ;   in Loop: Header=BB311_11 Depth=1
	s_delay_alu instid0(VALU_DEP_3) | instskip(NEXT) | instid1(VALU_DEP_1)
	v_clz_i32_u32_e32 v0, v0
	v_min_u32_e32 v2, 32, v0
	s_delay_alu instid0(VALU_DEP_1) | instskip(NEXT) | instid1(VALU_DEP_1)
	v_subrev_nc_u32_e32 v0, 28, v2
	v_lshlrev_b64_e32 v[0:1], v0, v[8:9]
	v_sub_nc_u32_e32 v1, 29, v2
	s_delay_alu instid0(VALU_DEP_2)
	v_and_b32_e32 v0, 7, v0
; %bb.960:                              ;   in Loop: Header=BB311_11 Depth=1
	s_wait_alu 0xfffe
	s_or_b32 exec_lo, exec_lo, s17
	v_lshlrev_b32_e32 v2, 8, v8
	v_lshl_add_u32 v1, v1, 10, 0x2000
	v_lshlrev_b32_e32 v0, 7, v0
	s_delay_alu instid0(VALU_DEP_3) | instskip(NEXT) | instid1(VALU_DEP_3)
	v_and_b32_e32 v2, 0x8000, v2
	v_and_b32_e32 v1, 0xfc00, v1
	s_delay_alu instid0(VALU_DEP_1)
	v_or3_b32 v168, v2, v1, v0
.LBB311_961:                            ;   in Loop: Header=BB311_11 Depth=1
	s_wait_alu 0xfffe
	s_or_b32 exec_lo, exec_lo, s16
.LBB311_962:                            ;   in Loop: Header=BB311_11 Depth=1
	s_wait_alu 0xfffe
	s_or_b32 exec_lo, exec_lo, s15
.LBB311_963:                            ;   in Loop: Header=BB311_11 Depth=1
	s_wait_alu 0xfffe
	s_or_b32 exec_lo, exec_lo, s14
	v_dual_mov_b32 v107, 0 :: v_dual_mov_b32 v138, 0
	s_mov_b32 s14, exec_lo
	v_cmpx_lt_u64_e64 s[2:3], v[28:29]
	s_cbranch_execz .LBB311_971
; %bb.964:                              ;   in Loop: Header=BB311_11 Depth=1
	v_lshrrev_b32_e32 v8, 24, v29
	v_bfrev_b32_e32 v138, 1
	s_mov_b32 s15, exec_lo
	s_delay_alu instid0(VALU_DEP_2)
	v_cmpx_ne_u32_e32 0x80, v8
	s_cbranch_execz .LBB311_970
; %bb.965:                              ;   in Loop: Header=BB311_11 Depth=1
	v_and_b32_e32 v2, 0x7f, v8
	v_mov_b32_e32 v138, 0x7c010000
	s_mov_b32 s16, exec_lo
	s_delay_alu instid0(VALU_DEP_2)
	v_cmpx_ne_u32_e32 0x7f, v2
	s_cbranch_execz .LBB311_969
; %bb.966:                              ;   in Loop: Header=BB311_11 Depth=1
	v_and_b32_e32 v0, 7, v8
	v_lshrrev_b32_e32 v1, 3, v2
	s_mov_b32 s17, exec_lo
	v_cmpx_gt_u32_e32 8, v2
; %bb.967:                              ;   in Loop: Header=BB311_11 Depth=1
	s_delay_alu instid0(VALU_DEP_3) | instskip(NEXT) | instid1(VALU_DEP_1)
	v_clz_i32_u32_e32 v0, v0
	v_min_u32_e32 v2, 32, v0
	s_delay_alu instid0(VALU_DEP_1) | instskip(NEXT) | instid1(VALU_DEP_1)
	v_subrev_nc_u32_e32 v0, 28, v2
	v_lshlrev_b64_e32 v[0:1], v0, v[8:9]
	v_sub_nc_u32_e32 v1, 29, v2
	s_delay_alu instid0(VALU_DEP_2)
	v_and_b32_e32 v0, 7, v0
; %bb.968:                              ;   in Loop: Header=BB311_11 Depth=1
	s_wait_alu 0xfffe
	s_or_b32 exec_lo, exec_lo, s17
	v_lshlrev_b32_e32 v2, 8, v8
	v_lshl_add_u32 v1, v1, 10, 0x2000
	v_lshlrev_b32_e32 v0, 23, v0
	s_delay_alu instid0(VALU_DEP_2) | instskip(NEXT) | instid1(VALU_DEP_1)
	v_and_or_b32 v1, 0x8000, v2, v1
	v_lshl_or_b32 v138, v1, 16, v0
.LBB311_969:                            ;   in Loop: Header=BB311_11 Depth=1
	s_wait_alu 0xfffe
	s_or_b32 exec_lo, exec_lo, s16
.LBB311_970:                            ;   in Loop: Header=BB311_11 Depth=1
	s_wait_alu 0xfffe
	s_or_b32 exec_lo, exec_lo, s15
.LBB311_971:                            ;   in Loop: Header=BB311_11 Depth=1
	s_wait_alu 0xfffe
	s_or_b32 exec_lo, exec_lo, s14
	flat_load_b64 v[28:29], v[20:21] offset:3592
	s_mov_b32 s14, exec_lo
	s_wait_loadcnt_dscnt 0x0
	v_and_b32_e32 v0, 0xff, v28
	s_delay_alu instid0(VALU_DEP_1)
	v_cmpx_ne_u16_e32 0, v0
	s_cbranch_execz .LBB311_979
; %bb.972:                              ;   in Loop: Header=BB311_11 Depth=1
	v_mov_b32_e32 v107, 0x8000
	s_mov_b32 s15, exec_lo
	v_cmpx_ne_u16_e32 0x80, v0
	s_cbranch_execz .LBB311_978
; %bb.973:                              ;   in Loop: Header=BB311_11 Depth=1
	v_and_b32_e32 v2, 0x7f, v28
	v_mov_b32_e32 v107, 0x7c01
	s_mov_b32 s16, exec_lo
	s_delay_alu instid0(VALU_DEP_2)
	v_cmpx_ne_u32_e32 0x7f, v2
	s_cbranch_execz .LBB311_977
; %bb.974:                              ;   in Loop: Header=BB311_11 Depth=1
	v_and_b32_e32 v0, 7, v28
	v_lshrrev_b32_e32 v1, 3, v2
	s_mov_b32 s17, exec_lo
	v_cmpx_gt_u32_e32 8, v2
; %bb.975:                              ;   in Loop: Header=BB311_11 Depth=1
	s_delay_alu instid0(VALU_DEP_3) | instskip(NEXT) | instid1(VALU_DEP_1)
	v_clz_i32_u32_e32 v0, v0
	v_min_u32_e32 v2, 32, v0
	s_delay_alu instid0(VALU_DEP_1) | instskip(NEXT) | instid1(VALU_DEP_1)
	v_subrev_nc_u32_e32 v0, 28, v2
	v_lshlrev_b64_e32 v[0:1], v0, v[28:29]
	v_sub_nc_u32_e32 v1, 29, v2
	s_delay_alu instid0(VALU_DEP_2)
	v_and_b32_e32 v0, 7, v0
; %bb.976:                              ;   in Loop: Header=BB311_11 Depth=1
	s_wait_alu 0xfffe
	s_or_b32 exec_lo, exec_lo, s17
	v_lshlrev_b32_e32 v2, 8, v28
	v_lshl_add_u32 v1, v1, 10, 0x2000
	v_lshlrev_b32_e32 v0, 7, v0
	s_delay_alu instid0(VALU_DEP_3) | instskip(NEXT) | instid1(VALU_DEP_3)
	v_and_b32_e32 v2, 0x8000, v2
	v_and_b32_e32 v1, 0xfc00, v1
	s_delay_alu instid0(VALU_DEP_1)
	v_or3_b32 v107, v2, v1, v0
.LBB311_977:                            ;   in Loop: Header=BB311_11 Depth=1
	s_wait_alu 0xfffe
	s_or_b32 exec_lo, exec_lo, s16
.LBB311_978:                            ;   in Loop: Header=BB311_11 Depth=1
	s_wait_alu 0xfffe
	s_or_b32 exec_lo, exec_lo, s15
.LBB311_979:                            ;   in Loop: Header=BB311_11 Depth=1
	s_wait_alu 0xfffe
	s_or_b32 exec_lo, exec_lo, s14
	v_lshrrev_b16 v8, 8, v28
	v_dual_mov_b32 v142, 0 :: v_dual_mov_b32 v189, 0
	s_mov_b32 s14, exec_lo
	s_delay_alu instid0(VALU_DEP_2)
	v_cmpx_ne_u16_e32 0, v8
	s_cbranch_execz .LBB311_987
; %bb.980:                              ;   in Loop: Header=BB311_11 Depth=1
	v_bfrev_b32_e32 v189, 1
	s_mov_b32 s15, exec_lo
	v_cmpx_ne_u16_e32 0x80, v8
	s_cbranch_execz .LBB311_986
; %bb.981:                              ;   in Loop: Header=BB311_11 Depth=1
	v_and_b32_e32 v0, 0xffff, v8
	v_mov_b32_e32 v189, 0x7c010000
	s_mov_b32 s16, exec_lo
	s_delay_alu instid0(VALU_DEP_2) | instskip(NEXT) | instid1(VALU_DEP_1)
	v_and_b32_e32 v3, 0x7f, v0
	v_cmpx_ne_u32_e32 0x7f, v3
	s_cbranch_execz .LBB311_985
; %bb.982:                              ;   in Loop: Header=BB311_11 Depth=1
	v_and_b32_e32 v1, 7, v0
	v_lshrrev_b32_e32 v2, 3, v3
	s_mov_b32 s17, exec_lo
	v_cmpx_gt_u32_e32 8, v3
; %bb.983:                              ;   in Loop: Header=BB311_11 Depth=1
	s_delay_alu instid0(VALU_DEP_3) | instskip(NEXT) | instid1(VALU_DEP_1)
	v_clz_i32_u32_e32 v1, v1
	v_min_u32_e32 v3, 32, v1
	s_delay_alu instid0(VALU_DEP_1) | instskip(NEXT) | instid1(VALU_DEP_1)
	v_subrev_nc_u32_e32 v1, 28, v3
	v_lshlrev_b64_e32 v[1:2], v1, v[8:9]
	v_sub_nc_u32_e32 v2, 29, v3
	s_delay_alu instid0(VALU_DEP_2)
	v_and_b32_e32 v1, 7, v1
; %bb.984:                              ;   in Loop: Header=BB311_11 Depth=1
	s_wait_alu 0xfffe
	s_or_b32 exec_lo, exec_lo, s17
	v_lshlrev_b32_e32 v0, 8, v0
	v_lshl_add_u32 v2, v2, 10, 0x2000
	v_lshlrev_b32_e32 v1, 23, v1
	s_delay_alu instid0(VALU_DEP_2) | instskip(NEXT) | instid1(VALU_DEP_1)
	v_and_or_b32 v0, 0x8000, v0, v2
	v_lshl_or_b32 v189, v0, 16, v1
.LBB311_985:                            ;   in Loop: Header=BB311_11 Depth=1
	s_wait_alu 0xfffe
	s_or_b32 exec_lo, exec_lo, s16
.LBB311_986:                            ;   in Loop: Header=BB311_11 Depth=1
	s_wait_alu 0xfffe
	s_or_b32 exec_lo, exec_lo, s15
.LBB311_987:                            ;   in Loop: Header=BB311_11 Depth=1
	s_wait_alu 0xfffe
	s_or_b32 exec_lo, exec_lo, s14
	v_lshrrev_b32_e32 v8, 16, v28
	s_mov_b32 s14, exec_lo
	s_delay_alu instid0(VALU_DEP_1) | instskip(NEXT) | instid1(VALU_DEP_1)
	v_and_b32_e32 v0, 0xff, v8
	v_cmpx_ne_u16_e32 0, v0
	s_cbranch_execz .LBB311_995
; %bb.988:                              ;   in Loop: Header=BB311_11 Depth=1
	v_mov_b32_e32 v142, 0x8000
	s_mov_b32 s15, exec_lo
	v_cmpx_ne_u16_e32 0x80, v0
	s_cbranch_execz .LBB311_994
; %bb.989:                              ;   in Loop: Header=BB311_11 Depth=1
	v_bfe_u32 v2, v28, 16, 7
	v_mov_b32_e32 v142, 0x7c01
	s_mov_b32 s16, exec_lo
	s_delay_alu instid0(VALU_DEP_2)
	v_cmpx_ne_u32_e32 0x7f, v2
	s_cbranch_execz .LBB311_993
; %bb.990:                              ;   in Loop: Header=BB311_11 Depth=1
	v_and_b32_e32 v0, 7, v8
	v_lshrrev_b32_e32 v1, 3, v2
	s_mov_b32 s17, exec_lo
	v_cmpx_gt_u32_e32 8, v2
; %bb.991:                              ;   in Loop: Header=BB311_11 Depth=1
	s_delay_alu instid0(VALU_DEP_3) | instskip(NEXT) | instid1(VALU_DEP_1)
	v_clz_i32_u32_e32 v0, v0
	v_min_u32_e32 v2, 32, v0
	s_delay_alu instid0(VALU_DEP_1) | instskip(NEXT) | instid1(VALU_DEP_1)
	v_subrev_nc_u32_e32 v0, 28, v2
	v_lshlrev_b64_e32 v[0:1], v0, v[8:9]
	v_sub_nc_u32_e32 v1, 29, v2
	s_delay_alu instid0(VALU_DEP_2)
	v_and_b32_e32 v0, 7, v0
; %bb.992:                              ;   in Loop: Header=BB311_11 Depth=1
	s_wait_alu 0xfffe
	s_or_b32 exec_lo, exec_lo, s17
	v_lshlrev_b32_e32 v2, 8, v8
	v_lshl_add_u32 v1, v1, 10, 0x2000
	v_lshlrev_b32_e32 v0, 7, v0
	s_delay_alu instid0(VALU_DEP_3) | instskip(NEXT) | instid1(VALU_DEP_3)
	v_and_b32_e32 v2, 0x8000, v2
	v_and_b32_e32 v1, 0xfc00, v1
	s_delay_alu instid0(VALU_DEP_1)
	v_or3_b32 v142, v2, v1, v0
.LBB311_993:                            ;   in Loop: Header=BB311_11 Depth=1
	s_wait_alu 0xfffe
	s_or_b32 exec_lo, exec_lo, s16
.LBB311_994:                            ;   in Loop: Header=BB311_11 Depth=1
	s_wait_alu 0xfffe
	s_or_b32 exec_lo, exec_lo, s15
.LBB311_995:                            ;   in Loop: Header=BB311_11 Depth=1
	s_wait_alu 0xfffe
	s_or_b32 exec_lo, exec_lo, s14
	v_dual_mov_b32 v174, 0 :: v_dual_mov_b32 v37, 0
	s_mov_b32 s14, exec_lo
	v_cmpx_lt_u32_e32 0xffffff, v28
	s_cbranch_execz .LBB311_1003
; %bb.996:                              ;   in Loop: Header=BB311_11 Depth=1
	v_lshrrev_b32_e32 v8, 24, v28
	v_bfrev_b32_e32 v37, 1
	s_mov_b32 s15, exec_lo
	s_delay_alu instid0(VALU_DEP_2)
	v_cmpx_ne_u32_e32 0x80, v8
	s_cbranch_execz .LBB311_1002
; %bb.997:                              ;   in Loop: Header=BB311_11 Depth=1
	v_and_b32_e32 v2, 0x7f, v8
	v_mov_b32_e32 v37, 0x7c010000
	s_mov_b32 s16, exec_lo
	s_delay_alu instid0(VALU_DEP_2)
	v_cmpx_ne_u32_e32 0x7f, v2
	s_cbranch_execz .LBB311_1001
; %bb.998:                              ;   in Loop: Header=BB311_11 Depth=1
	v_and_b32_e32 v0, 7, v8
	v_lshrrev_b32_e32 v1, 3, v2
	s_mov_b32 s17, exec_lo
	v_cmpx_gt_u32_e32 8, v2
; %bb.999:                              ;   in Loop: Header=BB311_11 Depth=1
	s_delay_alu instid0(VALU_DEP_3) | instskip(NEXT) | instid1(VALU_DEP_1)
	v_clz_i32_u32_e32 v0, v0
	v_min_u32_e32 v2, 32, v0
	s_delay_alu instid0(VALU_DEP_1) | instskip(NEXT) | instid1(VALU_DEP_1)
	v_subrev_nc_u32_e32 v0, 28, v2
	v_lshlrev_b64_e32 v[0:1], v0, v[8:9]
	v_sub_nc_u32_e32 v1, 29, v2
	s_delay_alu instid0(VALU_DEP_2)
	v_and_b32_e32 v0, 7, v0
; %bb.1000:                             ;   in Loop: Header=BB311_11 Depth=1
	s_wait_alu 0xfffe
	s_or_b32 exec_lo, exec_lo, s17
	v_lshlrev_b32_e32 v2, 8, v8
	v_lshl_add_u32 v1, v1, 10, 0x2000
	v_lshlrev_b32_e32 v0, 23, v0
	s_delay_alu instid0(VALU_DEP_2) | instskip(NEXT) | instid1(VALU_DEP_1)
	v_and_or_b32 v1, 0x8000, v2, v1
	v_lshl_or_b32 v37, v1, 16, v0
.LBB311_1001:                           ;   in Loop: Header=BB311_11 Depth=1
	s_wait_alu 0xfffe
	s_or_b32 exec_lo, exec_lo, s16
.LBB311_1002:                           ;   in Loop: Header=BB311_11 Depth=1
	s_wait_alu 0xfffe
	s_or_b32 exec_lo, exec_lo, s15
.LBB311_1003:                           ;   in Loop: Header=BB311_11 Depth=1
	s_wait_alu 0xfffe
	s_or_b32 exec_lo, exec_lo, s14
	v_and_b32_e32 v0, 0xff, v29
	v_mov_b32_e32 v8, v29
	s_mov_b32 s14, exec_lo
	s_delay_alu instid0(VALU_DEP_2)
	v_cmpx_ne_u16_e32 0, v0
	s_cbranch_execz .LBB311_1011
; %bb.1004:                             ;   in Loop: Header=BB311_11 Depth=1
	v_mov_b32_e32 v174, 0x8000
	s_mov_b32 s15, exec_lo
	v_cmpx_ne_u16_e32 0x80, v0
	s_cbranch_execz .LBB311_1010
; %bb.1005:                             ;   in Loop: Header=BB311_11 Depth=1
	v_and_b32_e32 v2, 0x7f, v29
	v_mov_b32_e32 v174, 0x7c01
	s_mov_b32 s16, exec_lo
	s_delay_alu instid0(VALU_DEP_2)
	v_cmpx_ne_u32_e32 0x7f, v2
	s_cbranch_execz .LBB311_1009
; %bb.1006:                             ;   in Loop: Header=BB311_11 Depth=1
	v_and_b32_e32 v0, 7, v29
	v_lshrrev_b32_e32 v1, 3, v2
	s_mov_b32 s17, exec_lo
	v_cmpx_gt_u32_e32 8, v2
; %bb.1007:                             ;   in Loop: Header=BB311_11 Depth=1
	s_delay_alu instid0(VALU_DEP_3) | instskip(NEXT) | instid1(VALU_DEP_1)
	v_clz_i32_u32_e32 v0, v0
	v_min_u32_e32 v2, 32, v0
	s_delay_alu instid0(VALU_DEP_1) | instskip(NEXT) | instid1(VALU_DEP_1)
	v_subrev_nc_u32_e32 v0, 28, v2
	v_lshlrev_b64_e32 v[0:1], v0, v[8:9]
	v_sub_nc_u32_e32 v1, 29, v2
	s_delay_alu instid0(VALU_DEP_2)
	v_and_b32_e32 v0, 7, v0
; %bb.1008:                             ;   in Loop: Header=BB311_11 Depth=1
	s_wait_alu 0xfffe
	s_or_b32 exec_lo, exec_lo, s17
	v_lshlrev_b32_e32 v2, 8, v29
	v_lshl_add_u32 v1, v1, 10, 0x2000
	v_lshlrev_b32_e32 v0, 7, v0
	s_delay_alu instid0(VALU_DEP_3) | instskip(NEXT) | instid1(VALU_DEP_3)
	v_and_b32_e32 v2, 0x8000, v2
	v_and_b32_e32 v1, 0xfc00, v1
	s_delay_alu instid0(VALU_DEP_1)
	v_or3_b32 v174, v2, v1, v0
.LBB311_1009:                           ;   in Loop: Header=BB311_11 Depth=1
	s_wait_alu 0xfffe
	s_or_b32 exec_lo, exec_lo, s16
.LBB311_1010:                           ;   in Loop: Header=BB311_11 Depth=1
	s_wait_alu 0xfffe
	s_or_b32 exec_lo, exec_lo, s15
.LBB311_1011:                           ;   in Loop: Header=BB311_11 Depth=1
	s_wait_alu 0xfffe
	s_or_b32 exec_lo, exec_lo, s14
	v_lshrrev_b16 v8, 8, v8
	v_mov_b32_e32 v12, 0
	v_mov_b32_e32 v36, 0
	s_mov_b32 s14, exec_lo
	s_delay_alu instid0(VALU_DEP_3)
	v_cmpx_ne_u16_e32 0, v8
	s_cbranch_execz .LBB311_1019
; %bb.1012:                             ;   in Loop: Header=BB311_11 Depth=1
	v_bfrev_b32_e32 v36, 1
	s_mov_b32 s15, exec_lo
	v_cmpx_ne_u16_e32 0x80, v8
	s_cbranch_execz .LBB311_1018
; %bb.1013:                             ;   in Loop: Header=BB311_11 Depth=1
	v_and_b32_e32 v0, 0xffff, v8
	v_mov_b32_e32 v36, 0x7c010000
	s_mov_b32 s16, exec_lo
	s_delay_alu instid0(VALU_DEP_2) | instskip(NEXT) | instid1(VALU_DEP_1)
	v_and_b32_e32 v3, 0x7f, v0
	v_cmpx_ne_u32_e32 0x7f, v3
	s_cbranch_execz .LBB311_1017
; %bb.1014:                             ;   in Loop: Header=BB311_11 Depth=1
	v_and_b32_e32 v1, 7, v0
	v_lshrrev_b32_e32 v2, 3, v3
	s_mov_b32 s17, exec_lo
	v_cmpx_gt_u32_e32 8, v3
; %bb.1015:                             ;   in Loop: Header=BB311_11 Depth=1
	s_delay_alu instid0(VALU_DEP_3) | instskip(NEXT) | instid1(VALU_DEP_1)
	v_clz_i32_u32_e32 v1, v1
	v_min_u32_e32 v3, 32, v1
	s_delay_alu instid0(VALU_DEP_1) | instskip(NEXT) | instid1(VALU_DEP_1)
	v_subrev_nc_u32_e32 v1, 28, v3
	v_lshlrev_b64_e32 v[1:2], v1, v[8:9]
	v_sub_nc_u32_e32 v2, 29, v3
	s_delay_alu instid0(VALU_DEP_2)
	v_and_b32_e32 v1, 7, v1
; %bb.1016:                             ;   in Loop: Header=BB311_11 Depth=1
	s_wait_alu 0xfffe
	s_or_b32 exec_lo, exec_lo, s17
	v_lshlrev_b32_e32 v0, 8, v0
	v_lshl_add_u32 v2, v2, 10, 0x2000
	v_lshlrev_b32_e32 v1, 23, v1
	s_delay_alu instid0(VALU_DEP_2) | instskip(NEXT) | instid1(VALU_DEP_1)
	v_and_or_b32 v0, 0x8000, v0, v2
	v_lshl_or_b32 v36, v0, 16, v1
.LBB311_1017:                           ;   in Loop: Header=BB311_11 Depth=1
	s_wait_alu 0xfffe
	s_or_b32 exec_lo, exec_lo, s16
.LBB311_1018:                           ;   in Loop: Header=BB311_11 Depth=1
	s_wait_alu 0xfffe
	s_or_b32 exec_lo, exec_lo, s15
.LBB311_1019:                           ;   in Loop: Header=BB311_11 Depth=1
	s_wait_alu 0xfffe
	s_or_b32 exec_lo, exec_lo, s14
	v_lshrrev_b32_e32 v8, 16, v29
	s_mov_b32 s14, exec_lo
	s_delay_alu instid0(VALU_DEP_1) | instskip(NEXT) | instid1(VALU_DEP_1)
	v_and_b32_e32 v0, 0xff, v8
	v_cmpx_ne_u16_e32 0, v0
	s_cbranch_execz .LBB311_1027
; %bb.1020:                             ;   in Loop: Header=BB311_11 Depth=1
	v_mov_b32_e32 v12, 0x8000
	s_mov_b32 s15, exec_lo
	v_cmpx_ne_u16_e32 0x80, v0
	s_cbranch_execz .LBB311_1026
; %bb.1021:                             ;   in Loop: Header=BB311_11 Depth=1
	v_bfe_u32 v2, v29, 16, 7
	v_mov_b32_e32 v12, 0x7c01
	s_mov_b32 s16, exec_lo
	s_delay_alu instid0(VALU_DEP_2)
	v_cmpx_ne_u32_e32 0x7f, v2
	s_cbranch_execz .LBB311_1025
; %bb.1022:                             ;   in Loop: Header=BB311_11 Depth=1
	v_and_b32_e32 v0, 7, v8
	v_lshrrev_b32_e32 v1, 3, v2
	s_mov_b32 s17, exec_lo
	v_cmpx_gt_u32_e32 8, v2
; %bb.1023:                             ;   in Loop: Header=BB311_11 Depth=1
	s_delay_alu instid0(VALU_DEP_3) | instskip(NEXT) | instid1(VALU_DEP_1)
	v_clz_i32_u32_e32 v0, v0
	v_min_u32_e32 v2, 32, v0
	s_delay_alu instid0(VALU_DEP_1) | instskip(NEXT) | instid1(VALU_DEP_1)
	v_subrev_nc_u32_e32 v0, 28, v2
	v_lshlrev_b64_e32 v[0:1], v0, v[8:9]
	v_sub_nc_u32_e32 v1, 29, v2
	s_delay_alu instid0(VALU_DEP_2)
	v_and_b32_e32 v0, 7, v0
; %bb.1024:                             ;   in Loop: Header=BB311_11 Depth=1
	s_wait_alu 0xfffe
	s_or_b32 exec_lo, exec_lo, s17
	v_lshlrev_b32_e32 v2, 8, v8
	v_lshl_add_u32 v1, v1, 10, 0x2000
	v_lshlrev_b32_e32 v0, 7, v0
	s_delay_alu instid0(VALU_DEP_3) | instskip(NEXT) | instid1(VALU_DEP_3)
	v_and_b32_e32 v2, 0x8000, v2
	v_and_b32_e32 v1, 0xfc00, v1
	s_delay_alu instid0(VALU_DEP_1)
	v_or3_b32 v12, v2, v1, v0
.LBB311_1025:                           ;   in Loop: Header=BB311_11 Depth=1
	s_wait_alu 0xfffe
	s_or_b32 exec_lo, exec_lo, s16
.LBB311_1026:                           ;   in Loop: Header=BB311_11 Depth=1
	s_wait_alu 0xfffe
	s_or_b32 exec_lo, exec_lo, s15
.LBB311_1027:                           ;   in Loop: Header=BB311_11 Depth=1
	s_wait_alu 0xfffe
	s_or_b32 exec_lo, exec_lo, s14
	v_dual_mov_b32 v59, 0 :: v_dual_mov_b32 v30, 0
	s_mov_b32 s14, exec_lo
	v_cmpx_lt_u64_e64 s[2:3], v[28:29]
	s_cbranch_execz .LBB311_1035
; %bb.1028:                             ;   in Loop: Header=BB311_11 Depth=1
	v_lshrrev_b32_e32 v8, 24, v29
	v_bfrev_b32_e32 v30, 1
	s_mov_b32 s15, exec_lo
	s_delay_alu instid0(VALU_DEP_2)
	v_cmpx_ne_u32_e32 0x80, v8
	s_cbranch_execz .LBB311_1034
; %bb.1029:                             ;   in Loop: Header=BB311_11 Depth=1
	v_and_b32_e32 v2, 0x7f, v8
	v_mov_b32_e32 v30, 0x7c010000
	s_mov_b32 s16, exec_lo
	s_delay_alu instid0(VALU_DEP_2)
	v_cmpx_ne_u32_e32 0x7f, v2
	s_cbranch_execz .LBB311_1033
; %bb.1030:                             ;   in Loop: Header=BB311_11 Depth=1
	v_and_b32_e32 v0, 7, v8
	v_lshrrev_b32_e32 v1, 3, v2
	s_mov_b32 s17, exec_lo
	v_cmpx_gt_u32_e32 8, v2
; %bb.1031:                             ;   in Loop: Header=BB311_11 Depth=1
	s_delay_alu instid0(VALU_DEP_3) | instskip(NEXT) | instid1(VALU_DEP_1)
	v_clz_i32_u32_e32 v0, v0
	v_min_u32_e32 v2, 32, v0
	s_delay_alu instid0(VALU_DEP_1) | instskip(NEXT) | instid1(VALU_DEP_1)
	v_subrev_nc_u32_e32 v0, 28, v2
	v_lshlrev_b64_e32 v[0:1], v0, v[8:9]
	v_sub_nc_u32_e32 v1, 29, v2
	s_delay_alu instid0(VALU_DEP_2)
	v_and_b32_e32 v0, 7, v0
; %bb.1032:                             ;   in Loop: Header=BB311_11 Depth=1
	s_wait_alu 0xfffe
	s_or_b32 exec_lo, exec_lo, s17
	v_lshlrev_b32_e32 v2, 8, v8
	v_lshl_add_u32 v1, v1, 10, 0x2000
	v_lshlrev_b32_e32 v0, 23, v0
	s_delay_alu instid0(VALU_DEP_2) | instskip(NEXT) | instid1(VALU_DEP_1)
	v_and_or_b32 v1, 0x8000, v2, v1
	v_lshl_or_b32 v30, v1, 16, v0
.LBB311_1033:                           ;   in Loop: Header=BB311_11 Depth=1
	s_wait_alu 0xfffe
	s_or_b32 exec_lo, exec_lo, s16
.LBB311_1034:                           ;   in Loop: Header=BB311_11 Depth=1
	s_wait_alu 0xfffe
	s_or_b32 exec_lo, exec_lo, s15
.LBB311_1035:                           ;   in Loop: Header=BB311_11 Depth=1
	s_wait_alu 0xfffe
	s_or_b32 exec_lo, exec_lo, s14
	flat_load_b64 v[28:29], v[20:21] offset:4096
	s_mov_b32 s14, exec_lo
	s_wait_loadcnt_dscnt 0x0
	v_and_b32_e32 v0, 0xff, v28
	s_delay_alu instid0(VALU_DEP_1)
	v_cmpx_ne_u16_e32 0, v0
	s_cbranch_execz .LBB311_1043
; %bb.1036:                             ;   in Loop: Header=BB311_11 Depth=1
	v_mov_b32_e32 v59, 0x8000
	s_mov_b32 s15, exec_lo
	v_cmpx_ne_u16_e32 0x80, v0
	s_cbranch_execz .LBB311_1042
; %bb.1037:                             ;   in Loop: Header=BB311_11 Depth=1
	v_and_b32_e32 v2, 0x7f, v28
	v_mov_b32_e32 v59, 0x7c01
	s_mov_b32 s16, exec_lo
	s_delay_alu instid0(VALU_DEP_2)
	v_cmpx_ne_u32_e32 0x7f, v2
	s_cbranch_execz .LBB311_1041
; %bb.1038:                             ;   in Loop: Header=BB311_11 Depth=1
	v_and_b32_e32 v0, 7, v28
	v_lshrrev_b32_e32 v1, 3, v2
	s_mov_b32 s17, exec_lo
	v_cmpx_gt_u32_e32 8, v2
; %bb.1039:                             ;   in Loop: Header=BB311_11 Depth=1
	s_delay_alu instid0(VALU_DEP_3) | instskip(NEXT) | instid1(VALU_DEP_1)
	v_clz_i32_u32_e32 v0, v0
	v_min_u32_e32 v2, 32, v0
	s_delay_alu instid0(VALU_DEP_1) | instskip(NEXT) | instid1(VALU_DEP_1)
	v_subrev_nc_u32_e32 v0, 28, v2
	v_lshlrev_b64_e32 v[0:1], v0, v[28:29]
	v_sub_nc_u32_e32 v1, 29, v2
	s_delay_alu instid0(VALU_DEP_2)
	v_and_b32_e32 v0, 7, v0
; %bb.1040:                             ;   in Loop: Header=BB311_11 Depth=1
	s_wait_alu 0xfffe
	s_or_b32 exec_lo, exec_lo, s17
	v_lshlrev_b32_e32 v2, 8, v28
	v_lshl_add_u32 v1, v1, 10, 0x2000
	v_lshlrev_b32_e32 v0, 7, v0
	s_delay_alu instid0(VALU_DEP_3) | instskip(NEXT) | instid1(VALU_DEP_3)
	v_and_b32_e32 v2, 0x8000, v2
	v_and_b32_e32 v1, 0xfc00, v1
	s_delay_alu instid0(VALU_DEP_1)
	v_or3_b32 v59, v2, v1, v0
.LBB311_1041:                           ;   in Loop: Header=BB311_11 Depth=1
	s_wait_alu 0xfffe
	s_or_b32 exec_lo, exec_lo, s16
.LBB311_1042:                           ;   in Loop: Header=BB311_11 Depth=1
	s_wait_alu 0xfffe
	s_or_b32 exec_lo, exec_lo, s15
.LBB311_1043:                           ;   in Loop: Header=BB311_11 Depth=1
	s_wait_alu 0xfffe
	s_or_b32 exec_lo, exec_lo, s14
	v_lshrrev_b16 v8, 8, v28
	v_dual_mov_b32 v62, 0 :: v_dual_mov_b32 v1, 0
	s_mov_b32 s14, exec_lo
	s_delay_alu instid0(VALU_DEP_2)
	v_cmpx_ne_u16_e32 0, v8
	s_cbranch_execz .LBB311_1051
; %bb.1044:                             ;   in Loop: Header=BB311_11 Depth=1
	v_bfrev_b32_e32 v1, 1
	s_mov_b32 s15, exec_lo
	v_cmpx_ne_u16_e32 0x80, v8
	s_cbranch_execz .LBB311_1050
; %bb.1045:                             ;   in Loop: Header=BB311_11 Depth=1
	v_and_b32_e32 v0, 0xffff, v8
	v_mov_b32_e32 v1, 0x7c010000
	s_mov_b32 s16, exec_lo
	s_delay_alu instid0(VALU_DEP_2) | instskip(NEXT) | instid1(VALU_DEP_1)
	v_and_b32_e32 v3, 0x7f, v0
	v_cmpx_ne_u32_e32 0x7f, v3
	s_cbranch_execz .LBB311_1049
; %bb.1046:                             ;   in Loop: Header=BB311_11 Depth=1
	v_and_b32_e32 v1, 7, v0
	v_lshrrev_b32_e32 v2, 3, v3
	s_mov_b32 s17, exec_lo
	v_cmpx_gt_u32_e32 8, v3
; %bb.1047:                             ;   in Loop: Header=BB311_11 Depth=1
	s_delay_alu instid0(VALU_DEP_3) | instskip(NEXT) | instid1(VALU_DEP_1)
	v_clz_i32_u32_e32 v1, v1
	v_min_u32_e32 v3, 32, v1
	s_delay_alu instid0(VALU_DEP_1) | instskip(NEXT) | instid1(VALU_DEP_1)
	v_subrev_nc_u32_e32 v1, 28, v3
	v_lshlrev_b64_e32 v[1:2], v1, v[8:9]
	v_sub_nc_u32_e32 v2, 29, v3
	s_delay_alu instid0(VALU_DEP_2)
	v_and_b32_e32 v1, 7, v1
; %bb.1048:                             ;   in Loop: Header=BB311_11 Depth=1
	s_wait_alu 0xfffe
	s_or_b32 exec_lo, exec_lo, s17
	v_lshlrev_b32_e32 v0, 8, v0
	v_lshl_add_u32 v2, v2, 10, 0x2000
	v_lshlrev_b32_e32 v1, 23, v1
	s_delay_alu instid0(VALU_DEP_2) | instskip(NEXT) | instid1(VALU_DEP_1)
	v_and_or_b32 v0, 0x8000, v0, v2
	v_lshl_or_b32 v1, v0, 16, v1
.LBB311_1049:                           ;   in Loop: Header=BB311_11 Depth=1
	s_wait_alu 0xfffe
	s_or_b32 exec_lo, exec_lo, s16
.LBB311_1050:                           ;   in Loop: Header=BB311_11 Depth=1
	s_wait_alu 0xfffe
	s_or_b32 exec_lo, exec_lo, s15
.LBB311_1051:                           ;   in Loop: Header=BB311_11 Depth=1
	s_wait_alu 0xfffe
	s_or_b32 exec_lo, exec_lo, s14
	v_lshrrev_b32_e32 v8, 16, v28
	s_mov_b32 s14, exec_lo
	s_delay_alu instid0(VALU_DEP_1) | instskip(NEXT) | instid1(VALU_DEP_1)
	v_and_b32_e32 v0, 0xff, v8
	v_cmpx_ne_u16_e32 0, v0
	s_cbranch_execz .LBB311_1059
; %bb.1052:                             ;   in Loop: Header=BB311_11 Depth=1
	v_mov_b32_e32 v62, 0x8000
	s_mov_b32 s15, exec_lo
	v_cmpx_ne_u16_e32 0x80, v0
	s_cbranch_execz .LBB311_1058
; %bb.1053:                             ;   in Loop: Header=BB311_11 Depth=1
	v_bfe_u32 v3, v28, 16, 7
	v_mov_b32_e32 v62, 0x7c01
	s_mov_b32 s16, exec_lo
	s_delay_alu instid0(VALU_DEP_2)
	v_cmpx_ne_u32_e32 0x7f, v3
	s_cbranch_execz .LBB311_1057
; %bb.1054:                             ;   in Loop: Header=BB311_11 Depth=1
	v_and_b32_e32 v0, 7, v8
	v_lshrrev_b32_e32 v2, 3, v3
	s_mov_b32 s17, exec_lo
	v_cmpx_gt_u32_e32 8, v3
; %bb.1055:                             ;   in Loop: Header=BB311_11 Depth=1
	s_delay_alu instid0(VALU_DEP_3) | instskip(NEXT) | instid1(VALU_DEP_1)
	v_clz_i32_u32_e32 v0, v0
	v_min_u32_e32 v0, 32, v0
	s_delay_alu instid0(VALU_DEP_1) | instskip(NEXT) | instid1(VALU_DEP_1)
	v_subrev_nc_u32_e32 v2, 28, v0
	v_lshlrev_b64_e32 v[3:4], v2, v[8:9]
	v_sub_nc_u32_e32 v2, 29, v0
	s_delay_alu instid0(VALU_DEP_2)
	v_and_b32_e32 v0, 7, v3
; %bb.1056:                             ;   in Loop: Header=BB311_11 Depth=1
	s_wait_alu 0xfffe
	s_or_b32 exec_lo, exec_lo, s17
	v_lshlrev_b32_e32 v3, 8, v8
	v_lshl_add_u32 v2, v2, 10, 0x2000
	v_lshlrev_b32_e32 v0, 7, v0
	s_delay_alu instid0(VALU_DEP_3) | instskip(NEXT) | instid1(VALU_DEP_3)
	v_and_b32_e32 v3, 0x8000, v3
	v_and_b32_e32 v2, 0xfc00, v2
	s_delay_alu instid0(VALU_DEP_1)
	v_or3_b32 v62, v3, v2, v0
.LBB311_1057:                           ;   in Loop: Header=BB311_11 Depth=1
	s_wait_alu 0xfffe
	s_or_b32 exec_lo, exec_lo, s16
.LBB311_1058:                           ;   in Loop: Header=BB311_11 Depth=1
	s_wait_alu 0xfffe
	s_or_b32 exec_lo, exec_lo, s15
.LBB311_1059:                           ;   in Loop: Header=BB311_11 Depth=1
	s_wait_alu 0xfffe
	s_or_b32 exec_lo, exec_lo, s14
	v_dual_mov_b32 v54, 0 :: v_dual_mov_b32 v25, 0
	s_mov_b32 s14, exec_lo
	v_cmpx_lt_u32_e32 0xffffff, v28
	s_cbranch_execz .LBB311_1067
; %bb.1060:                             ;   in Loop: Header=BB311_11 Depth=1
	v_lshrrev_b32_e32 v8, 24, v28
	v_bfrev_b32_e32 v25, 1
	s_mov_b32 s15, exec_lo
	s_delay_alu instid0(VALU_DEP_2)
	v_cmpx_ne_u32_e32 0x80, v8
	s_cbranch_execz .LBB311_1066
; %bb.1061:                             ;   in Loop: Header=BB311_11 Depth=1
	v_and_b32_e32 v3, 0x7f, v8
	v_mov_b32_e32 v25, 0x7c010000
	s_mov_b32 s16, exec_lo
	s_delay_alu instid0(VALU_DEP_2)
	v_cmpx_ne_u32_e32 0x7f, v3
	s_cbranch_execz .LBB311_1065
; %bb.1062:                             ;   in Loop: Header=BB311_11 Depth=1
	v_and_b32_e32 v0, 7, v8
	v_lshrrev_b32_e32 v2, 3, v3
	s_mov_b32 s17, exec_lo
	v_cmpx_gt_u32_e32 8, v3
; %bb.1063:                             ;   in Loop: Header=BB311_11 Depth=1
	s_delay_alu instid0(VALU_DEP_3) | instskip(NEXT) | instid1(VALU_DEP_1)
	v_clz_i32_u32_e32 v0, v0
	v_min_u32_e32 v0, 32, v0
	s_delay_alu instid0(VALU_DEP_1) | instskip(NEXT) | instid1(VALU_DEP_1)
	v_subrev_nc_u32_e32 v2, 28, v0
	v_lshlrev_b64_e32 v[3:4], v2, v[8:9]
	v_sub_nc_u32_e32 v2, 29, v0
	s_delay_alu instid0(VALU_DEP_2)
	v_and_b32_e32 v0, 7, v3
; %bb.1064:                             ;   in Loop: Header=BB311_11 Depth=1
	s_wait_alu 0xfffe
	s_or_b32 exec_lo, exec_lo, s17
	v_lshlrev_b32_e32 v3, 8, v8
	v_lshl_add_u32 v2, v2, 10, 0x2000
	v_lshlrev_b32_e32 v0, 23, v0
	s_delay_alu instid0(VALU_DEP_2) | instskip(NEXT) | instid1(VALU_DEP_1)
	v_and_or_b32 v2, 0x8000, v3, v2
	v_lshl_or_b32 v25, v2, 16, v0
.LBB311_1065:                           ;   in Loop: Header=BB311_11 Depth=1
	s_wait_alu 0xfffe
	s_or_b32 exec_lo, exec_lo, s16
.LBB311_1066:                           ;   in Loop: Header=BB311_11 Depth=1
	s_wait_alu 0xfffe
	s_or_b32 exec_lo, exec_lo, s15
.LBB311_1067:                           ;   in Loop: Header=BB311_11 Depth=1
	s_wait_alu 0xfffe
	s_or_b32 exec_lo, exec_lo, s14
	v_and_b32_e32 v0, 0xff, v29
	v_mov_b32_e32 v8, v29
	s_mov_b32 s14, exec_lo
	s_delay_alu instid0(VALU_DEP_2)
	v_cmpx_ne_u16_e32 0, v0
	s_cbranch_execz .LBB311_1075
; %bb.1068:                             ;   in Loop: Header=BB311_11 Depth=1
	v_mov_b32_e32 v54, 0x8000
	s_mov_b32 s15, exec_lo
	v_cmpx_ne_u16_e32 0x80, v0
	s_cbranch_execz .LBB311_1074
; %bb.1069:                             ;   in Loop: Header=BB311_11 Depth=1
	v_and_b32_e32 v3, 0x7f, v29
	v_mov_b32_e32 v54, 0x7c01
	s_mov_b32 s16, exec_lo
	s_delay_alu instid0(VALU_DEP_2)
	v_cmpx_ne_u32_e32 0x7f, v3
	s_cbranch_execz .LBB311_1073
; %bb.1070:                             ;   in Loop: Header=BB311_11 Depth=1
	v_and_b32_e32 v0, 7, v29
	v_lshrrev_b32_e32 v2, 3, v3
	s_mov_b32 s17, exec_lo
	v_cmpx_gt_u32_e32 8, v3
; %bb.1071:                             ;   in Loop: Header=BB311_11 Depth=1
	s_delay_alu instid0(VALU_DEP_3) | instskip(NEXT) | instid1(VALU_DEP_1)
	v_clz_i32_u32_e32 v0, v0
	v_min_u32_e32 v0, 32, v0
	s_delay_alu instid0(VALU_DEP_1) | instskip(NEXT) | instid1(VALU_DEP_1)
	v_subrev_nc_u32_e32 v2, 28, v0
	v_lshlrev_b64_e32 v[3:4], v2, v[8:9]
	v_sub_nc_u32_e32 v2, 29, v0
	s_delay_alu instid0(VALU_DEP_2)
	v_and_b32_e32 v0, 7, v3
; %bb.1072:                             ;   in Loop: Header=BB311_11 Depth=1
	s_wait_alu 0xfffe
	s_or_b32 exec_lo, exec_lo, s17
	v_lshlrev_b32_e32 v3, 8, v29
	v_lshl_add_u32 v2, v2, 10, 0x2000
	v_lshlrev_b32_e32 v0, 7, v0
	s_delay_alu instid0(VALU_DEP_3) | instskip(NEXT) | instid1(VALU_DEP_3)
	v_and_b32_e32 v3, 0x8000, v3
	v_and_b32_e32 v2, 0xfc00, v2
	s_delay_alu instid0(VALU_DEP_1)
	v_or3_b32 v54, v3, v2, v0
.LBB311_1073:                           ;   in Loop: Header=BB311_11 Depth=1
	s_wait_alu 0xfffe
	s_or_b32 exec_lo, exec_lo, s16
.LBB311_1074:                           ;   in Loop: Header=BB311_11 Depth=1
	s_wait_alu 0xfffe
	s_or_b32 exec_lo, exec_lo, s15
.LBB311_1075:                           ;   in Loop: Header=BB311_11 Depth=1
	s_wait_alu 0xfffe
	s_or_b32 exec_lo, exec_lo, s14
	v_lshrrev_b16 v8, 8, v8
	v_dual_mov_b32 v18, 0 :: v_dual_mov_b32 v67, 0
	s_mov_b32 s14, exec_lo
	s_delay_alu instid0(VALU_DEP_2)
	v_cmpx_ne_u16_e32 0, v8
	s_cbranch_execz .LBB311_1083
; %bb.1076:                             ;   in Loop: Header=BB311_11 Depth=1
	v_bfrev_b32_e32 v67, 1
	s_mov_b32 s15, exec_lo
	v_cmpx_ne_u16_e32 0x80, v8
	s_cbranch_execz .LBB311_1082
; %bb.1077:                             ;   in Loop: Header=BB311_11 Depth=1
	v_and_b32_e32 v0, 0xffff, v8
	v_mov_b32_e32 v67, 0x7c010000
	s_mov_b32 s16, exec_lo
	s_delay_alu instid0(VALU_DEP_2) | instskip(NEXT) | instid1(VALU_DEP_1)
	v_and_b32_e32 v4, 0x7f, v0
	v_cmpx_ne_u32_e32 0x7f, v4
	s_cbranch_execz .LBB311_1081
; %bb.1078:                             ;   in Loop: Header=BB311_11 Depth=1
	v_and_b32_e32 v2, 7, v0
	v_lshrrev_b32_e32 v3, 3, v4
	s_mov_b32 s17, exec_lo
	v_cmpx_gt_u32_e32 8, v4
; %bb.1079:                             ;   in Loop: Header=BB311_11 Depth=1
	s_delay_alu instid0(VALU_DEP_3) | instskip(NEXT) | instid1(VALU_DEP_1)
	v_clz_i32_u32_e32 v2, v2
	v_min_u32_e32 v4, 32, v2
	s_delay_alu instid0(VALU_DEP_1) | instskip(NEXT) | instid1(VALU_DEP_1)
	v_subrev_nc_u32_e32 v2, 28, v4
	v_lshlrev_b64_e32 v[2:3], v2, v[8:9]
	v_sub_nc_u32_e32 v3, 29, v4
	s_delay_alu instid0(VALU_DEP_2)
	v_and_b32_e32 v2, 7, v2
; %bb.1080:                             ;   in Loop: Header=BB311_11 Depth=1
	s_wait_alu 0xfffe
	s_or_b32 exec_lo, exec_lo, s17
	v_lshlrev_b32_e32 v0, 8, v0
	v_lshl_add_u32 v3, v3, 10, 0x2000
	v_lshlrev_b32_e32 v2, 23, v2
	s_delay_alu instid0(VALU_DEP_2) | instskip(NEXT) | instid1(VALU_DEP_1)
	v_and_or_b32 v0, 0x8000, v0, v3
	v_lshl_or_b32 v67, v0, 16, v2
.LBB311_1081:                           ;   in Loop: Header=BB311_11 Depth=1
	s_wait_alu 0xfffe
	s_or_b32 exec_lo, exec_lo, s16
.LBB311_1082:                           ;   in Loop: Header=BB311_11 Depth=1
	s_wait_alu 0xfffe
	s_or_b32 exec_lo, exec_lo, s15
.LBB311_1083:                           ;   in Loop: Header=BB311_11 Depth=1
	s_wait_alu 0xfffe
	s_or_b32 exec_lo, exec_lo, s14
	v_lshrrev_b32_e32 v8, 16, v29
	s_mov_b32 s14, exec_lo
	s_delay_alu instid0(VALU_DEP_1) | instskip(NEXT) | instid1(VALU_DEP_1)
	v_and_b32_e32 v0, 0xff, v8
	v_cmpx_ne_u16_e32 0, v0
	s_cbranch_execz .LBB311_1091
; %bb.1084:                             ;   in Loop: Header=BB311_11 Depth=1
	v_mov_b32_e32 v18, 0x8000
	s_mov_b32 s15, exec_lo
	v_cmpx_ne_u16_e32 0x80, v0
	s_cbranch_execz .LBB311_1090
; %bb.1085:                             ;   in Loop: Header=BB311_11 Depth=1
	v_bfe_u32 v3, v29, 16, 7
	v_mov_b32_e32 v18, 0x7c01
	s_mov_b32 s16, exec_lo
	s_delay_alu instid0(VALU_DEP_2)
	v_cmpx_ne_u32_e32 0x7f, v3
	s_cbranch_execz .LBB311_1089
; %bb.1086:                             ;   in Loop: Header=BB311_11 Depth=1
	v_and_b32_e32 v0, 7, v8
	v_lshrrev_b32_e32 v2, 3, v3
	s_mov_b32 s17, exec_lo
	v_cmpx_gt_u32_e32 8, v3
; %bb.1087:                             ;   in Loop: Header=BB311_11 Depth=1
	s_delay_alu instid0(VALU_DEP_3) | instskip(NEXT) | instid1(VALU_DEP_1)
	v_clz_i32_u32_e32 v0, v0
	v_min_u32_e32 v0, 32, v0
	s_delay_alu instid0(VALU_DEP_1) | instskip(NEXT) | instid1(VALU_DEP_1)
	v_subrev_nc_u32_e32 v2, 28, v0
	v_lshlrev_b64_e32 v[3:4], v2, v[8:9]
	v_sub_nc_u32_e32 v2, 29, v0
	s_delay_alu instid0(VALU_DEP_2)
	v_and_b32_e32 v0, 7, v3
; %bb.1088:                             ;   in Loop: Header=BB311_11 Depth=1
	s_wait_alu 0xfffe
	s_or_b32 exec_lo, exec_lo, s17
	v_lshlrev_b32_e32 v3, 8, v8
	v_lshl_add_u32 v2, v2, 10, 0x2000
	v_lshlrev_b32_e32 v0, 7, v0
	s_delay_alu instid0(VALU_DEP_3) | instskip(NEXT) | instid1(VALU_DEP_3)
	v_and_b32_e32 v3, 0x8000, v3
	v_and_b32_e32 v2, 0xfc00, v2
	s_delay_alu instid0(VALU_DEP_1)
	v_or3_b32 v18, v3, v2, v0
.LBB311_1089:                           ;   in Loop: Header=BB311_11 Depth=1
	s_wait_alu 0xfffe
	s_or_b32 exec_lo, exec_lo, s16
.LBB311_1090:                           ;   in Loop: Header=BB311_11 Depth=1
	s_wait_alu 0xfffe
	s_or_b32 exec_lo, exec_lo, s15
.LBB311_1091:                           ;   in Loop: Header=BB311_11 Depth=1
	s_wait_alu 0xfffe
	s_or_b32 exec_lo, exec_lo, s14
	v_dual_mov_b32 v81, 0 :: v_dual_mov_b32 v80, 0
	s_mov_b32 s14, exec_lo
	v_cmpx_lt_u64_e64 s[2:3], v[28:29]
	s_cbranch_execz .LBB311_1099
; %bb.1092:                             ;   in Loop: Header=BB311_11 Depth=1
	v_lshrrev_b32_e32 v8, 24, v29
	v_bfrev_b32_e32 v80, 1
	s_mov_b32 s15, exec_lo
	s_delay_alu instid0(VALU_DEP_2)
	v_cmpx_ne_u32_e32 0x80, v8
	s_cbranch_execz .LBB311_1098
; %bb.1093:                             ;   in Loop: Header=BB311_11 Depth=1
	v_and_b32_e32 v3, 0x7f, v8
	v_mov_b32_e32 v80, 0x7c010000
	s_mov_b32 s16, exec_lo
	s_delay_alu instid0(VALU_DEP_2)
	v_cmpx_ne_u32_e32 0x7f, v3
	s_cbranch_execz .LBB311_1097
; %bb.1094:                             ;   in Loop: Header=BB311_11 Depth=1
	v_and_b32_e32 v0, 7, v8
	v_lshrrev_b32_e32 v2, 3, v3
	s_mov_b32 s17, exec_lo
	v_cmpx_gt_u32_e32 8, v3
; %bb.1095:                             ;   in Loop: Header=BB311_11 Depth=1
	s_delay_alu instid0(VALU_DEP_3) | instskip(NEXT) | instid1(VALU_DEP_1)
	v_clz_i32_u32_e32 v0, v0
	v_min_u32_e32 v0, 32, v0
	s_delay_alu instid0(VALU_DEP_1) | instskip(NEXT) | instid1(VALU_DEP_1)
	v_subrev_nc_u32_e32 v2, 28, v0
	v_lshlrev_b64_e32 v[3:4], v2, v[8:9]
	v_sub_nc_u32_e32 v2, 29, v0
	s_delay_alu instid0(VALU_DEP_2)
	v_and_b32_e32 v0, 7, v3
; %bb.1096:                             ;   in Loop: Header=BB311_11 Depth=1
	s_wait_alu 0xfffe
	s_or_b32 exec_lo, exec_lo, s17
	v_lshlrev_b32_e32 v3, 8, v8
	v_lshl_add_u32 v2, v2, 10, 0x2000
	v_lshlrev_b32_e32 v0, 23, v0
	s_delay_alu instid0(VALU_DEP_2) | instskip(NEXT) | instid1(VALU_DEP_1)
	v_and_or_b32 v2, 0x8000, v3, v2
	v_lshl_or_b32 v80, v2, 16, v0
.LBB311_1097:                           ;   in Loop: Header=BB311_11 Depth=1
	s_wait_alu 0xfffe
	s_or_b32 exec_lo, exec_lo, s16
.LBB311_1098:                           ;   in Loop: Header=BB311_11 Depth=1
	s_wait_alu 0xfffe
	s_or_b32 exec_lo, exec_lo, s15
.LBB311_1099:                           ;   in Loop: Header=BB311_11 Depth=1
	s_wait_alu 0xfffe
	s_or_b32 exec_lo, exec_lo, s14
	flat_load_b64 v[28:29], v[20:21] offset:4104
	s_mov_b32 s14, exec_lo
	s_wait_loadcnt_dscnt 0x0
	v_and_b32_e32 v0, 0xff, v28
	s_delay_alu instid0(VALU_DEP_1)
	v_cmpx_ne_u16_e32 0, v0
	s_cbranch_execz .LBB311_1107
; %bb.1100:                             ;   in Loop: Header=BB311_11 Depth=1
	v_mov_b32_e32 v81, 0x8000
	s_mov_b32 s15, exec_lo
	v_cmpx_ne_u16_e32 0x80, v0
	s_cbranch_execz .LBB311_1106
; %bb.1101:                             ;   in Loop: Header=BB311_11 Depth=1
	v_and_b32_e32 v3, 0x7f, v28
	v_mov_b32_e32 v81, 0x7c01
	s_mov_b32 s16, exec_lo
	s_delay_alu instid0(VALU_DEP_2)
	v_cmpx_ne_u32_e32 0x7f, v3
	s_cbranch_execz .LBB311_1105
; %bb.1102:                             ;   in Loop: Header=BB311_11 Depth=1
	v_and_b32_e32 v0, 7, v28
	v_lshrrev_b32_e32 v2, 3, v3
	s_mov_b32 s17, exec_lo
	v_cmpx_gt_u32_e32 8, v3
; %bb.1103:                             ;   in Loop: Header=BB311_11 Depth=1
	s_delay_alu instid0(VALU_DEP_3) | instskip(NEXT) | instid1(VALU_DEP_1)
	v_clz_i32_u32_e32 v0, v0
	v_min_u32_e32 v0, 32, v0
	s_delay_alu instid0(VALU_DEP_1) | instskip(NEXT) | instid1(VALU_DEP_1)
	v_subrev_nc_u32_e32 v2, 28, v0
	v_lshlrev_b64_e32 v[3:4], v2, v[28:29]
	v_sub_nc_u32_e32 v2, 29, v0
	s_delay_alu instid0(VALU_DEP_2)
	v_and_b32_e32 v0, 7, v3
; %bb.1104:                             ;   in Loop: Header=BB311_11 Depth=1
	s_wait_alu 0xfffe
	s_or_b32 exec_lo, exec_lo, s17
	v_lshlrev_b32_e32 v3, 8, v28
	v_lshl_add_u32 v2, v2, 10, 0x2000
	v_lshlrev_b32_e32 v0, 7, v0
	s_delay_alu instid0(VALU_DEP_3) | instskip(NEXT) | instid1(VALU_DEP_3)
	v_and_b32_e32 v3, 0x8000, v3
	v_and_b32_e32 v2, 0xfc00, v2
	s_delay_alu instid0(VALU_DEP_1)
	v_or3_b32 v81, v3, v2, v0
.LBB311_1105:                           ;   in Loop: Header=BB311_11 Depth=1
	s_wait_alu 0xfffe
	s_or_b32 exec_lo, exec_lo, s16
.LBB311_1106:                           ;   in Loop: Header=BB311_11 Depth=1
	s_wait_alu 0xfffe
	s_or_b32 exec_lo, exec_lo, s15
.LBB311_1107:                           ;   in Loop: Header=BB311_11 Depth=1
	s_wait_alu 0xfffe
	s_or_b32 exec_lo, exec_lo, s14
	v_lshrrev_b16 v8, 8, v28
	v_dual_mov_b32 v83, 0 :: v_dual_mov_b32 v70, 0
	s_mov_b32 s14, exec_lo
	s_delay_alu instid0(VALU_DEP_2)
	v_cmpx_ne_u16_e32 0, v8
	s_cbranch_execz .LBB311_1115
; %bb.1108:                             ;   in Loop: Header=BB311_11 Depth=1
	v_bfrev_b32_e32 v70, 1
	s_mov_b32 s15, exec_lo
	v_cmpx_ne_u16_e32 0x80, v8
	s_cbranch_execz .LBB311_1114
; %bb.1109:                             ;   in Loop: Header=BB311_11 Depth=1
	v_and_b32_e32 v0, 0xffff, v8
	v_mov_b32_e32 v70, 0x7c010000
	s_mov_b32 s16, exec_lo
	s_delay_alu instid0(VALU_DEP_2) | instskip(NEXT) | instid1(VALU_DEP_1)
	v_and_b32_e32 v4, 0x7f, v0
	v_cmpx_ne_u32_e32 0x7f, v4
	s_cbranch_execz .LBB311_1113
; %bb.1110:                             ;   in Loop: Header=BB311_11 Depth=1
	v_and_b32_e32 v2, 7, v0
	v_lshrrev_b32_e32 v3, 3, v4
	s_mov_b32 s17, exec_lo
	v_cmpx_gt_u32_e32 8, v4
; %bb.1111:                             ;   in Loop: Header=BB311_11 Depth=1
	s_delay_alu instid0(VALU_DEP_3) | instskip(NEXT) | instid1(VALU_DEP_1)
	v_clz_i32_u32_e32 v2, v2
	v_min_u32_e32 v4, 32, v2
	s_delay_alu instid0(VALU_DEP_1) | instskip(NEXT) | instid1(VALU_DEP_1)
	v_subrev_nc_u32_e32 v2, 28, v4
	v_lshlrev_b64_e32 v[2:3], v2, v[8:9]
	v_sub_nc_u32_e32 v3, 29, v4
	s_delay_alu instid0(VALU_DEP_2)
	v_and_b32_e32 v2, 7, v2
; %bb.1112:                             ;   in Loop: Header=BB311_11 Depth=1
	s_wait_alu 0xfffe
	s_or_b32 exec_lo, exec_lo, s17
	v_lshlrev_b32_e32 v0, 8, v0
	v_lshl_add_u32 v3, v3, 10, 0x2000
	v_lshlrev_b32_e32 v2, 23, v2
	s_delay_alu instid0(VALU_DEP_2) | instskip(NEXT) | instid1(VALU_DEP_1)
	v_and_or_b32 v0, 0x8000, v0, v3
	v_lshl_or_b32 v70, v0, 16, v2
.LBB311_1113:                           ;   in Loop: Header=BB311_11 Depth=1
	s_wait_alu 0xfffe
	s_or_b32 exec_lo, exec_lo, s16
.LBB311_1114:                           ;   in Loop: Header=BB311_11 Depth=1
	s_wait_alu 0xfffe
	s_or_b32 exec_lo, exec_lo, s15
.LBB311_1115:                           ;   in Loop: Header=BB311_11 Depth=1
	s_wait_alu 0xfffe
	s_or_b32 exec_lo, exec_lo, s14
	v_lshrrev_b32_e32 v8, 16, v28
	s_mov_b32 s14, exec_lo
	s_delay_alu instid0(VALU_DEP_1) | instskip(NEXT) | instid1(VALU_DEP_1)
	v_and_b32_e32 v0, 0xff, v8
	v_cmpx_ne_u16_e32 0, v0
	s_cbranch_execz .LBB311_1123
; %bb.1116:                             ;   in Loop: Header=BB311_11 Depth=1
	v_mov_b32_e32 v83, 0x8000
	s_mov_b32 s15, exec_lo
	v_cmpx_ne_u16_e32 0x80, v0
	s_cbranch_execz .LBB311_1122
; %bb.1117:                             ;   in Loop: Header=BB311_11 Depth=1
	v_bfe_u32 v3, v28, 16, 7
	v_mov_b32_e32 v83, 0x7c01
	s_mov_b32 s16, exec_lo
	s_delay_alu instid0(VALU_DEP_2)
	v_cmpx_ne_u32_e32 0x7f, v3
	s_cbranch_execz .LBB311_1121
; %bb.1118:                             ;   in Loop: Header=BB311_11 Depth=1
	v_and_b32_e32 v0, 7, v8
	v_lshrrev_b32_e32 v2, 3, v3
	s_mov_b32 s17, exec_lo
	v_cmpx_gt_u32_e32 8, v3
; %bb.1119:                             ;   in Loop: Header=BB311_11 Depth=1
	s_delay_alu instid0(VALU_DEP_3) | instskip(NEXT) | instid1(VALU_DEP_1)
	v_clz_i32_u32_e32 v0, v0
	v_min_u32_e32 v0, 32, v0
	s_delay_alu instid0(VALU_DEP_1) | instskip(NEXT) | instid1(VALU_DEP_1)
	v_subrev_nc_u32_e32 v2, 28, v0
	v_lshlrev_b64_e32 v[3:4], v2, v[8:9]
	v_sub_nc_u32_e32 v2, 29, v0
	s_delay_alu instid0(VALU_DEP_2)
	v_and_b32_e32 v0, 7, v3
; %bb.1120:                             ;   in Loop: Header=BB311_11 Depth=1
	s_wait_alu 0xfffe
	s_or_b32 exec_lo, exec_lo, s17
	v_lshlrev_b32_e32 v3, 8, v8
	v_lshl_add_u32 v2, v2, 10, 0x2000
	v_lshlrev_b32_e32 v0, 7, v0
	s_delay_alu instid0(VALU_DEP_3) | instskip(NEXT) | instid1(VALU_DEP_3)
	v_and_b32_e32 v3, 0x8000, v3
	v_and_b32_e32 v2, 0xfc00, v2
	s_delay_alu instid0(VALU_DEP_1)
	v_or3_b32 v83, v3, v2, v0
.LBB311_1121:                           ;   in Loop: Header=BB311_11 Depth=1
	s_wait_alu 0xfffe
	s_or_b32 exec_lo, exec_lo, s16
.LBB311_1122:                           ;   in Loop: Header=BB311_11 Depth=1
	s_wait_alu 0xfffe
	s_or_b32 exec_lo, exec_lo, s15
.LBB311_1123:                           ;   in Loop: Header=BB311_11 Depth=1
	s_wait_alu 0xfffe
	s_or_b32 exec_lo, exec_lo, s14
	v_dual_mov_b32 v19, 0 :: v_dual_mov_b32 v122, 0
	s_mov_b32 s14, exec_lo
	v_cmpx_lt_u32_e32 0xffffff, v28
	s_cbranch_execz .LBB311_1131
; %bb.1124:                             ;   in Loop: Header=BB311_11 Depth=1
	v_lshrrev_b32_e32 v8, 24, v28
	v_bfrev_b32_e32 v122, 1
	s_mov_b32 s15, exec_lo
	s_delay_alu instid0(VALU_DEP_2)
	v_cmpx_ne_u32_e32 0x80, v8
	s_cbranch_execz .LBB311_1130
; %bb.1125:                             ;   in Loop: Header=BB311_11 Depth=1
	v_and_b32_e32 v3, 0x7f, v8
	v_mov_b32_e32 v122, 0x7c010000
	s_mov_b32 s16, exec_lo
	s_delay_alu instid0(VALU_DEP_2)
	v_cmpx_ne_u32_e32 0x7f, v3
	s_cbranch_execz .LBB311_1129
; %bb.1126:                             ;   in Loop: Header=BB311_11 Depth=1
	v_and_b32_e32 v0, 7, v8
	v_lshrrev_b32_e32 v2, 3, v3
	s_mov_b32 s17, exec_lo
	v_cmpx_gt_u32_e32 8, v3
; %bb.1127:                             ;   in Loop: Header=BB311_11 Depth=1
	s_delay_alu instid0(VALU_DEP_3) | instskip(NEXT) | instid1(VALU_DEP_1)
	v_clz_i32_u32_e32 v0, v0
	v_min_u32_e32 v0, 32, v0
	s_delay_alu instid0(VALU_DEP_1) | instskip(NEXT) | instid1(VALU_DEP_1)
	v_subrev_nc_u32_e32 v2, 28, v0
	v_lshlrev_b64_e32 v[3:4], v2, v[8:9]
	v_sub_nc_u32_e32 v2, 29, v0
	s_delay_alu instid0(VALU_DEP_2)
	v_and_b32_e32 v0, 7, v3
; %bb.1128:                             ;   in Loop: Header=BB311_11 Depth=1
	s_wait_alu 0xfffe
	s_or_b32 exec_lo, exec_lo, s17
	v_lshlrev_b32_e32 v3, 8, v8
	v_lshl_add_u32 v2, v2, 10, 0x2000
	v_lshlrev_b32_e32 v0, 23, v0
	s_delay_alu instid0(VALU_DEP_2) | instskip(NEXT) | instid1(VALU_DEP_1)
	v_and_or_b32 v2, 0x8000, v3, v2
	v_lshl_or_b32 v122, v2, 16, v0
.LBB311_1129:                           ;   in Loop: Header=BB311_11 Depth=1
	s_wait_alu 0xfffe
	s_or_b32 exec_lo, exec_lo, s16
.LBB311_1130:                           ;   in Loop: Header=BB311_11 Depth=1
	s_wait_alu 0xfffe
	s_or_b32 exec_lo, exec_lo, s15
.LBB311_1131:                           ;   in Loop: Header=BB311_11 Depth=1
	s_wait_alu 0xfffe
	s_or_b32 exec_lo, exec_lo, s14
	v_and_b32_e32 v0, 0xff, v29
	v_mov_b32_e32 v8, v29
	s_mov_b32 s14, exec_lo
	s_delay_alu instid0(VALU_DEP_2)
	v_cmpx_ne_u16_e32 0, v0
	s_cbranch_execz .LBB311_1139
; %bb.1132:                             ;   in Loop: Header=BB311_11 Depth=1
	v_mov_b32_e32 v19, 0x8000
	s_mov_b32 s15, exec_lo
	v_cmpx_ne_u16_e32 0x80, v0
	s_cbranch_execz .LBB311_1138
; %bb.1133:                             ;   in Loop: Header=BB311_11 Depth=1
	v_and_b32_e32 v3, 0x7f, v29
	v_mov_b32_e32 v19, 0x7c01
	s_mov_b32 s16, exec_lo
	s_delay_alu instid0(VALU_DEP_2)
	v_cmpx_ne_u32_e32 0x7f, v3
	s_cbranch_execz .LBB311_1137
; %bb.1134:                             ;   in Loop: Header=BB311_11 Depth=1
	v_and_b32_e32 v0, 7, v29
	v_lshrrev_b32_e32 v2, 3, v3
	s_mov_b32 s17, exec_lo
	v_cmpx_gt_u32_e32 8, v3
; %bb.1135:                             ;   in Loop: Header=BB311_11 Depth=1
	s_delay_alu instid0(VALU_DEP_3) | instskip(NEXT) | instid1(VALU_DEP_1)
	v_clz_i32_u32_e32 v0, v0
	v_min_u32_e32 v0, 32, v0
	s_delay_alu instid0(VALU_DEP_1) | instskip(NEXT) | instid1(VALU_DEP_1)
	v_subrev_nc_u32_e32 v2, 28, v0
	v_lshlrev_b64_e32 v[3:4], v2, v[8:9]
	v_sub_nc_u32_e32 v2, 29, v0
	s_delay_alu instid0(VALU_DEP_2)
	v_and_b32_e32 v0, 7, v3
; %bb.1136:                             ;   in Loop: Header=BB311_11 Depth=1
	s_wait_alu 0xfffe
	s_or_b32 exec_lo, exec_lo, s17
	v_lshlrev_b32_e32 v3, 8, v29
	v_lshl_add_u32 v2, v2, 10, 0x2000
	v_lshlrev_b32_e32 v0, 7, v0
	s_delay_alu instid0(VALU_DEP_3) | instskip(NEXT) | instid1(VALU_DEP_3)
	v_and_b32_e32 v3, 0x8000, v3
	v_and_b32_e32 v2, 0xfc00, v2
	s_delay_alu instid0(VALU_DEP_1)
	v_or3_b32 v19, v3, v2, v0
.LBB311_1137:                           ;   in Loop: Header=BB311_11 Depth=1
	s_wait_alu 0xfffe
	s_or_b32 exec_lo, exec_lo, s16
.LBB311_1138:                           ;   in Loop: Header=BB311_11 Depth=1
	s_wait_alu 0xfffe
	s_or_b32 exec_lo, exec_lo, s15
.LBB311_1139:                           ;   in Loop: Header=BB311_11 Depth=1
	s_wait_alu 0xfffe
	s_or_b32 exec_lo, exec_lo, s14
	v_lshrrev_b16 v8, 8, v8
	v_dual_mov_b32 v162, 0 :: v_dual_mov_b32 v145, 0
	s_mov_b32 s14, exec_lo
	s_delay_alu instid0(VALU_DEP_2)
	v_cmpx_ne_u16_e32 0, v8
	s_cbranch_execz .LBB311_1147
; %bb.1140:                             ;   in Loop: Header=BB311_11 Depth=1
	v_bfrev_b32_e32 v145, 1
	s_mov_b32 s15, exec_lo
	v_cmpx_ne_u16_e32 0x80, v8
	s_cbranch_execz .LBB311_1146
; %bb.1141:                             ;   in Loop: Header=BB311_11 Depth=1
	v_and_b32_e32 v0, 0xffff, v8
	v_mov_b32_e32 v145, 0x7c010000
	s_mov_b32 s16, exec_lo
	s_delay_alu instid0(VALU_DEP_2) | instskip(NEXT) | instid1(VALU_DEP_1)
	v_and_b32_e32 v4, 0x7f, v0
	v_cmpx_ne_u32_e32 0x7f, v4
	s_cbranch_execz .LBB311_1145
; %bb.1142:                             ;   in Loop: Header=BB311_11 Depth=1
	v_and_b32_e32 v2, 7, v0
	v_lshrrev_b32_e32 v3, 3, v4
	s_mov_b32 s17, exec_lo
	v_cmpx_gt_u32_e32 8, v4
; %bb.1143:                             ;   in Loop: Header=BB311_11 Depth=1
	s_delay_alu instid0(VALU_DEP_3) | instskip(NEXT) | instid1(VALU_DEP_1)
	v_clz_i32_u32_e32 v2, v2
	v_min_u32_e32 v4, 32, v2
	s_delay_alu instid0(VALU_DEP_1) | instskip(NEXT) | instid1(VALU_DEP_1)
	v_subrev_nc_u32_e32 v2, 28, v4
	v_lshlrev_b64_e32 v[2:3], v2, v[8:9]
	v_sub_nc_u32_e32 v3, 29, v4
	s_delay_alu instid0(VALU_DEP_2)
	v_and_b32_e32 v2, 7, v2
; %bb.1144:                             ;   in Loop: Header=BB311_11 Depth=1
	s_wait_alu 0xfffe
	s_or_b32 exec_lo, exec_lo, s17
	v_lshlrev_b32_e32 v0, 8, v0
	v_lshl_add_u32 v3, v3, 10, 0x2000
	v_lshlrev_b32_e32 v2, 23, v2
	s_delay_alu instid0(VALU_DEP_2) | instskip(NEXT) | instid1(VALU_DEP_1)
	v_and_or_b32 v0, 0x8000, v0, v3
	v_lshl_or_b32 v145, v0, 16, v2
.LBB311_1145:                           ;   in Loop: Header=BB311_11 Depth=1
	s_wait_alu 0xfffe
	s_or_b32 exec_lo, exec_lo, s16
.LBB311_1146:                           ;   in Loop: Header=BB311_11 Depth=1
	s_wait_alu 0xfffe
	s_or_b32 exec_lo, exec_lo, s15
.LBB311_1147:                           ;   in Loop: Header=BB311_11 Depth=1
	s_wait_alu 0xfffe
	s_or_b32 exec_lo, exec_lo, s14
	v_lshrrev_b32_e32 v8, 16, v29
	s_mov_b32 s14, exec_lo
	s_delay_alu instid0(VALU_DEP_1) | instskip(NEXT) | instid1(VALU_DEP_1)
	v_and_b32_e32 v0, 0xff, v8
	v_cmpx_ne_u16_e32 0, v0
	s_cbranch_execz .LBB311_1155
; %bb.1148:                             ;   in Loop: Header=BB311_11 Depth=1
	v_mov_b32_e32 v162, 0x8000
	s_mov_b32 s15, exec_lo
	v_cmpx_ne_u16_e32 0x80, v0
	s_cbranch_execz .LBB311_1154
; %bb.1149:                             ;   in Loop: Header=BB311_11 Depth=1
	v_bfe_u32 v3, v29, 16, 7
	v_mov_b32_e32 v162, 0x7c01
	s_mov_b32 s16, exec_lo
	s_delay_alu instid0(VALU_DEP_2)
	v_cmpx_ne_u32_e32 0x7f, v3
	s_cbranch_execz .LBB311_1153
; %bb.1150:                             ;   in Loop: Header=BB311_11 Depth=1
	v_and_b32_e32 v0, 7, v8
	v_lshrrev_b32_e32 v2, 3, v3
	s_mov_b32 s17, exec_lo
	v_cmpx_gt_u32_e32 8, v3
; %bb.1151:                             ;   in Loop: Header=BB311_11 Depth=1
	s_delay_alu instid0(VALU_DEP_3) | instskip(NEXT) | instid1(VALU_DEP_1)
	v_clz_i32_u32_e32 v0, v0
	v_min_u32_e32 v0, 32, v0
	s_delay_alu instid0(VALU_DEP_1) | instskip(NEXT) | instid1(VALU_DEP_1)
	v_subrev_nc_u32_e32 v2, 28, v0
	v_lshlrev_b64_e32 v[3:4], v2, v[8:9]
	v_sub_nc_u32_e32 v2, 29, v0
	s_delay_alu instid0(VALU_DEP_2)
	v_and_b32_e32 v0, 7, v3
; %bb.1152:                             ;   in Loop: Header=BB311_11 Depth=1
	s_wait_alu 0xfffe
	s_or_b32 exec_lo, exec_lo, s17
	v_lshlrev_b32_e32 v3, 8, v8
	v_lshl_add_u32 v2, v2, 10, 0x2000
	v_lshlrev_b32_e32 v0, 7, v0
	s_delay_alu instid0(VALU_DEP_3) | instskip(NEXT) | instid1(VALU_DEP_3)
	v_and_b32_e32 v3, 0x8000, v3
	v_and_b32_e32 v2, 0xfc00, v2
	s_delay_alu instid0(VALU_DEP_1)
	v_or3_b32 v162, v3, v2, v0
.LBB311_1153:                           ;   in Loop: Header=BB311_11 Depth=1
	s_wait_alu 0xfffe
	s_or_b32 exec_lo, exec_lo, s16
.LBB311_1154:                           ;   in Loop: Header=BB311_11 Depth=1
	s_wait_alu 0xfffe
	s_or_b32 exec_lo, exec_lo, s15
.LBB311_1155:                           ;   in Loop: Header=BB311_11 Depth=1
	s_wait_alu 0xfffe
	s_or_b32 exec_lo, exec_lo, s14
	v_dual_mov_b32 v153, 0 :: v_dual_mov_b32 v152, 0
	s_mov_b32 s14, exec_lo
	v_cmpx_lt_u64_e64 s[2:3], v[28:29]
	s_cbranch_execz .LBB311_1163
; %bb.1156:                             ;   in Loop: Header=BB311_11 Depth=1
	v_lshrrev_b32_e32 v8, 24, v29
	v_bfrev_b32_e32 v152, 1
	s_mov_b32 s15, exec_lo
	s_delay_alu instid0(VALU_DEP_2)
	v_cmpx_ne_u32_e32 0x80, v8
	s_cbranch_execz .LBB311_1162
; %bb.1157:                             ;   in Loop: Header=BB311_11 Depth=1
	v_and_b32_e32 v3, 0x7f, v8
	v_mov_b32_e32 v152, 0x7c010000
	s_mov_b32 s16, exec_lo
	s_delay_alu instid0(VALU_DEP_2)
	v_cmpx_ne_u32_e32 0x7f, v3
	s_cbranch_execz .LBB311_1161
; %bb.1158:                             ;   in Loop: Header=BB311_11 Depth=1
	v_and_b32_e32 v0, 7, v8
	v_lshrrev_b32_e32 v2, 3, v3
	s_mov_b32 s17, exec_lo
	v_cmpx_gt_u32_e32 8, v3
; %bb.1159:                             ;   in Loop: Header=BB311_11 Depth=1
	s_delay_alu instid0(VALU_DEP_3) | instskip(NEXT) | instid1(VALU_DEP_1)
	v_clz_i32_u32_e32 v0, v0
	v_min_u32_e32 v0, 32, v0
	s_delay_alu instid0(VALU_DEP_1) | instskip(NEXT) | instid1(VALU_DEP_1)
	v_subrev_nc_u32_e32 v2, 28, v0
	v_lshlrev_b64_e32 v[3:4], v2, v[8:9]
	v_sub_nc_u32_e32 v2, 29, v0
	s_delay_alu instid0(VALU_DEP_2)
	v_and_b32_e32 v0, 7, v3
; %bb.1160:                             ;   in Loop: Header=BB311_11 Depth=1
	s_wait_alu 0xfffe
	s_or_b32 exec_lo, exec_lo, s17
	v_lshlrev_b32_e32 v3, 8, v8
	v_lshl_add_u32 v2, v2, 10, 0x2000
	v_lshlrev_b32_e32 v0, 23, v0
	s_delay_alu instid0(VALU_DEP_2) | instskip(NEXT) | instid1(VALU_DEP_1)
	v_and_or_b32 v2, 0x8000, v3, v2
	v_lshl_or_b32 v152, v2, 16, v0
.LBB311_1161:                           ;   in Loop: Header=BB311_11 Depth=1
	s_wait_alu 0xfffe
	s_or_b32 exec_lo, exec_lo, s16
.LBB311_1162:                           ;   in Loop: Header=BB311_11 Depth=1
	s_wait_alu 0xfffe
	s_or_b32 exec_lo, exec_lo, s15
.LBB311_1163:                           ;   in Loop: Header=BB311_11 Depth=1
	s_wait_alu 0xfffe
	s_or_b32 exec_lo, exec_lo, s14
	flat_load_b64 v[28:29], v[20:21] offset:4608
	s_mov_b32 s14, exec_lo
	s_wait_loadcnt_dscnt 0x0
	v_and_b32_e32 v0, 0xff, v28
	s_delay_alu instid0(VALU_DEP_1)
	v_cmpx_ne_u16_e32 0, v0
	s_cbranch_execz .LBB311_1171
; %bb.1164:                             ;   in Loop: Header=BB311_11 Depth=1
	v_mov_b32_e32 v153, 0x8000
	s_mov_b32 s15, exec_lo
	v_cmpx_ne_u16_e32 0x80, v0
	s_cbranch_execz .LBB311_1170
; %bb.1165:                             ;   in Loop: Header=BB311_11 Depth=1
	v_and_b32_e32 v3, 0x7f, v28
	v_mov_b32_e32 v153, 0x7c01
	s_mov_b32 s16, exec_lo
	s_delay_alu instid0(VALU_DEP_2)
	v_cmpx_ne_u32_e32 0x7f, v3
	s_cbranch_execz .LBB311_1169
; %bb.1166:                             ;   in Loop: Header=BB311_11 Depth=1
	v_and_b32_e32 v0, 7, v28
	v_lshrrev_b32_e32 v2, 3, v3
	s_mov_b32 s17, exec_lo
	v_cmpx_gt_u32_e32 8, v3
; %bb.1167:                             ;   in Loop: Header=BB311_11 Depth=1
	s_delay_alu instid0(VALU_DEP_3) | instskip(NEXT) | instid1(VALU_DEP_1)
	v_clz_i32_u32_e32 v0, v0
	v_min_u32_e32 v0, 32, v0
	s_delay_alu instid0(VALU_DEP_1) | instskip(NEXT) | instid1(VALU_DEP_1)
	v_subrev_nc_u32_e32 v2, 28, v0
	v_lshlrev_b64_e32 v[3:4], v2, v[28:29]
	v_sub_nc_u32_e32 v2, 29, v0
	s_delay_alu instid0(VALU_DEP_2)
	v_and_b32_e32 v0, 7, v3
; %bb.1168:                             ;   in Loop: Header=BB311_11 Depth=1
	s_wait_alu 0xfffe
	s_or_b32 exec_lo, exec_lo, s17
	v_lshlrev_b32_e32 v3, 8, v28
	v_lshl_add_u32 v2, v2, 10, 0x2000
	v_lshlrev_b32_e32 v0, 7, v0
	s_delay_alu instid0(VALU_DEP_3) | instskip(NEXT) | instid1(VALU_DEP_3)
	v_and_b32_e32 v3, 0x8000, v3
	v_and_b32_e32 v2, 0xfc00, v2
	s_delay_alu instid0(VALU_DEP_1)
	v_or3_b32 v153, v3, v2, v0
.LBB311_1169:                           ;   in Loop: Header=BB311_11 Depth=1
	s_wait_alu 0xfffe
	s_or_b32 exec_lo, exec_lo, s16
.LBB311_1170:                           ;   in Loop: Header=BB311_11 Depth=1
	s_wait_alu 0xfffe
	s_or_b32 exec_lo, exec_lo, s15
.LBB311_1171:                           ;   in Loop: Header=BB311_11 Depth=1
	s_wait_alu 0xfffe
	s_or_b32 exec_lo, exec_lo, s14
	v_lshrrev_b16 v8, 8, v28
	v_dual_mov_b32 v156, 0 :: v_dual_mov_b32 v55, 0
	s_mov_b32 s14, exec_lo
	s_delay_alu instid0(VALU_DEP_2)
	v_cmpx_ne_u16_e32 0, v8
	s_cbranch_execz .LBB311_1179
; %bb.1172:                             ;   in Loop: Header=BB311_11 Depth=1
	v_bfrev_b32_e32 v55, 1
	s_mov_b32 s15, exec_lo
	v_cmpx_ne_u16_e32 0x80, v8
	s_cbranch_execz .LBB311_1178
; %bb.1173:                             ;   in Loop: Header=BB311_11 Depth=1
	v_and_b32_e32 v0, 0xffff, v8
	v_mov_b32_e32 v55, 0x7c010000
	s_mov_b32 s16, exec_lo
	s_delay_alu instid0(VALU_DEP_2) | instskip(NEXT) | instid1(VALU_DEP_1)
	v_and_b32_e32 v4, 0x7f, v0
	v_cmpx_ne_u32_e32 0x7f, v4
	s_cbranch_execz .LBB311_1177
; %bb.1174:                             ;   in Loop: Header=BB311_11 Depth=1
	v_and_b32_e32 v2, 7, v0
	v_lshrrev_b32_e32 v3, 3, v4
	s_mov_b32 s17, exec_lo
	v_cmpx_gt_u32_e32 8, v4
; %bb.1175:                             ;   in Loop: Header=BB311_11 Depth=1
	s_delay_alu instid0(VALU_DEP_3) | instskip(NEXT) | instid1(VALU_DEP_1)
	v_clz_i32_u32_e32 v2, v2
	v_min_u32_e32 v4, 32, v2
	s_delay_alu instid0(VALU_DEP_1) | instskip(NEXT) | instid1(VALU_DEP_1)
	v_subrev_nc_u32_e32 v2, 28, v4
	v_lshlrev_b64_e32 v[2:3], v2, v[8:9]
	v_sub_nc_u32_e32 v3, 29, v4
	s_delay_alu instid0(VALU_DEP_2)
	v_and_b32_e32 v2, 7, v2
; %bb.1176:                             ;   in Loop: Header=BB311_11 Depth=1
	s_wait_alu 0xfffe
	s_or_b32 exec_lo, exec_lo, s17
	v_lshlrev_b32_e32 v0, 8, v0
	v_lshl_add_u32 v3, v3, 10, 0x2000
	v_lshlrev_b32_e32 v2, 23, v2
	s_delay_alu instid0(VALU_DEP_2) | instskip(NEXT) | instid1(VALU_DEP_1)
	v_and_or_b32 v0, 0x8000, v0, v3
	v_lshl_or_b32 v55, v0, 16, v2
.LBB311_1177:                           ;   in Loop: Header=BB311_11 Depth=1
	s_wait_alu 0xfffe
	s_or_b32 exec_lo, exec_lo, s16
.LBB311_1178:                           ;   in Loop: Header=BB311_11 Depth=1
	s_wait_alu 0xfffe
	s_or_b32 exec_lo, exec_lo, s15
.LBB311_1179:                           ;   in Loop: Header=BB311_11 Depth=1
	s_wait_alu 0xfffe
	s_or_b32 exec_lo, exec_lo, s14
	v_lshrrev_b32_e32 v8, 16, v28
	s_mov_b32 s14, exec_lo
	s_delay_alu instid0(VALU_DEP_1) | instskip(NEXT) | instid1(VALU_DEP_1)
	v_and_b32_e32 v0, 0xff, v8
	v_cmpx_ne_u16_e32 0, v0
	s_cbranch_execz .LBB311_1187
; %bb.1180:                             ;   in Loop: Header=BB311_11 Depth=1
	v_mov_b32_e32 v156, 0x8000
	s_mov_b32 s15, exec_lo
	v_cmpx_ne_u16_e32 0x80, v0
	s_cbranch_execz .LBB311_1186
; %bb.1181:                             ;   in Loop: Header=BB311_11 Depth=1
	v_bfe_u32 v3, v28, 16, 7
	v_mov_b32_e32 v156, 0x7c01
	s_mov_b32 s16, exec_lo
	s_delay_alu instid0(VALU_DEP_2)
	v_cmpx_ne_u32_e32 0x7f, v3
	s_cbranch_execz .LBB311_1185
; %bb.1182:                             ;   in Loop: Header=BB311_11 Depth=1
	v_and_b32_e32 v0, 7, v8
	v_lshrrev_b32_e32 v2, 3, v3
	s_mov_b32 s17, exec_lo
	v_cmpx_gt_u32_e32 8, v3
; %bb.1183:                             ;   in Loop: Header=BB311_11 Depth=1
	s_delay_alu instid0(VALU_DEP_3) | instskip(NEXT) | instid1(VALU_DEP_1)
	v_clz_i32_u32_e32 v0, v0
	v_min_u32_e32 v0, 32, v0
	s_delay_alu instid0(VALU_DEP_1) | instskip(NEXT) | instid1(VALU_DEP_1)
	v_subrev_nc_u32_e32 v2, 28, v0
	v_lshlrev_b64_e32 v[3:4], v2, v[8:9]
	v_sub_nc_u32_e32 v2, 29, v0
	s_delay_alu instid0(VALU_DEP_2)
	v_and_b32_e32 v0, 7, v3
; %bb.1184:                             ;   in Loop: Header=BB311_11 Depth=1
	s_wait_alu 0xfffe
	s_or_b32 exec_lo, exec_lo, s17
	v_lshlrev_b32_e32 v3, 8, v8
	v_lshl_add_u32 v2, v2, 10, 0x2000
	v_lshlrev_b32_e32 v0, 7, v0
	s_delay_alu instid0(VALU_DEP_3) | instskip(NEXT) | instid1(VALU_DEP_3)
	v_and_b32_e32 v3, 0x8000, v3
	v_and_b32_e32 v2, 0xfc00, v2
	s_delay_alu instid0(VALU_DEP_1)
	v_or3_b32 v156, v3, v2, v0
.LBB311_1185:                           ;   in Loop: Header=BB311_11 Depth=1
	s_wait_alu 0xfffe
	s_or_b32 exec_lo, exec_lo, s16
.LBB311_1186:                           ;   in Loop: Header=BB311_11 Depth=1
	s_wait_alu 0xfffe
	s_or_b32 exec_lo, exec_lo, s15
.LBB311_1187:                           ;   in Loop: Header=BB311_11 Depth=1
	s_wait_alu 0xfffe
	s_or_b32 exec_lo, exec_lo, s14
	v_mov_b32_e32 v94, 0
	v_mov_b32_e32 v170, 0
	s_mov_b32 s14, exec_lo
	v_cmpx_lt_u32_e32 0xffffff, v28
	s_cbranch_execz .LBB311_1195
; %bb.1188:                             ;   in Loop: Header=BB311_11 Depth=1
	v_lshrrev_b32_e32 v8, 24, v28
	v_bfrev_b32_e32 v170, 1
	s_mov_b32 s15, exec_lo
	s_delay_alu instid0(VALU_DEP_2)
	v_cmpx_ne_u32_e32 0x80, v8
	s_cbranch_execz .LBB311_1194
; %bb.1189:                             ;   in Loop: Header=BB311_11 Depth=1
	v_and_b32_e32 v3, 0x7f, v8
	v_mov_b32_e32 v170, 0x7c010000
	s_mov_b32 s16, exec_lo
	s_delay_alu instid0(VALU_DEP_2)
	v_cmpx_ne_u32_e32 0x7f, v3
	s_cbranch_execz .LBB311_1193
; %bb.1190:                             ;   in Loop: Header=BB311_11 Depth=1
	v_and_b32_e32 v0, 7, v8
	v_lshrrev_b32_e32 v2, 3, v3
	s_mov_b32 s17, exec_lo
	v_cmpx_gt_u32_e32 8, v3
; %bb.1191:                             ;   in Loop: Header=BB311_11 Depth=1
	s_delay_alu instid0(VALU_DEP_3) | instskip(NEXT) | instid1(VALU_DEP_1)
	v_clz_i32_u32_e32 v0, v0
	v_min_u32_e32 v0, 32, v0
	s_delay_alu instid0(VALU_DEP_1) | instskip(NEXT) | instid1(VALU_DEP_1)
	v_subrev_nc_u32_e32 v2, 28, v0
	v_lshlrev_b64_e32 v[3:4], v2, v[8:9]
	v_sub_nc_u32_e32 v2, 29, v0
	s_delay_alu instid0(VALU_DEP_2)
	v_and_b32_e32 v0, 7, v3
; %bb.1192:                             ;   in Loop: Header=BB311_11 Depth=1
	s_wait_alu 0xfffe
	s_or_b32 exec_lo, exec_lo, s17
	v_lshlrev_b32_e32 v3, 8, v8
	v_lshl_add_u32 v2, v2, 10, 0x2000
	v_lshlrev_b32_e32 v0, 23, v0
	s_delay_alu instid0(VALU_DEP_2) | instskip(NEXT) | instid1(VALU_DEP_1)
	v_and_or_b32 v2, 0x8000, v3, v2
	v_lshl_or_b32 v170, v2, 16, v0
.LBB311_1193:                           ;   in Loop: Header=BB311_11 Depth=1
	s_wait_alu 0xfffe
	s_or_b32 exec_lo, exec_lo, s16
.LBB311_1194:                           ;   in Loop: Header=BB311_11 Depth=1
	s_wait_alu 0xfffe
	s_or_b32 exec_lo, exec_lo, s15
.LBB311_1195:                           ;   in Loop: Header=BB311_11 Depth=1
	s_wait_alu 0xfffe
	s_or_b32 exec_lo, exec_lo, s14
	v_and_b32_e32 v0, 0xff, v29
	v_mov_b32_e32 v8, v29
	s_mov_b32 s14, exec_lo
	s_delay_alu instid0(VALU_DEP_2)
	v_cmpx_ne_u16_e32 0, v0
	s_cbranch_execz .LBB311_1203
; %bb.1196:                             ;   in Loop: Header=BB311_11 Depth=1
	v_mov_b32_e32 v94, 0x8000
	s_mov_b32 s15, exec_lo
	v_cmpx_ne_u16_e32 0x80, v0
	s_cbranch_execz .LBB311_1202
; %bb.1197:                             ;   in Loop: Header=BB311_11 Depth=1
	v_and_b32_e32 v3, 0x7f, v29
	v_mov_b32_e32 v94, 0x7c01
	s_mov_b32 s16, exec_lo
	s_delay_alu instid0(VALU_DEP_2)
	v_cmpx_ne_u32_e32 0x7f, v3
	s_cbranch_execz .LBB311_1201
; %bb.1198:                             ;   in Loop: Header=BB311_11 Depth=1
	v_and_b32_e32 v0, 7, v29
	v_lshrrev_b32_e32 v2, 3, v3
	s_mov_b32 s17, exec_lo
	v_cmpx_gt_u32_e32 8, v3
; %bb.1199:                             ;   in Loop: Header=BB311_11 Depth=1
	s_delay_alu instid0(VALU_DEP_3) | instskip(NEXT) | instid1(VALU_DEP_1)
	v_clz_i32_u32_e32 v0, v0
	v_min_u32_e32 v0, 32, v0
	s_delay_alu instid0(VALU_DEP_1) | instskip(NEXT) | instid1(VALU_DEP_1)
	v_subrev_nc_u32_e32 v2, 28, v0
	v_lshlrev_b64_e32 v[3:4], v2, v[8:9]
	v_sub_nc_u32_e32 v2, 29, v0
	s_delay_alu instid0(VALU_DEP_2)
	v_and_b32_e32 v0, 7, v3
; %bb.1200:                             ;   in Loop: Header=BB311_11 Depth=1
	s_wait_alu 0xfffe
	s_or_b32 exec_lo, exec_lo, s17
	v_lshlrev_b32_e32 v3, 8, v29
	v_lshl_add_u32 v2, v2, 10, 0x2000
	v_lshlrev_b32_e32 v0, 7, v0
	s_delay_alu instid0(VALU_DEP_3) | instskip(NEXT) | instid1(VALU_DEP_3)
	v_and_b32_e32 v3, 0x8000, v3
	v_and_b32_e32 v2, 0xfc00, v2
	s_delay_alu instid0(VALU_DEP_1)
	v_or3_b32 v94, v3, v2, v0
.LBB311_1201:                           ;   in Loop: Header=BB311_11 Depth=1
	s_wait_alu 0xfffe
	s_or_b32 exec_lo, exec_lo, s16
.LBB311_1202:                           ;   in Loop: Header=BB311_11 Depth=1
	s_wait_alu 0xfffe
	s_or_b32 exec_lo, exec_lo, s15
.LBB311_1203:                           ;   in Loop: Header=BB311_11 Depth=1
	s_wait_alu 0xfffe
	s_or_b32 exec_lo, exec_lo, s14
	v_lshrrev_b16 v8, 8, v8
	v_mov_b32_e32 v95, 0
	v_mov_b32_e32 v173, 0
	s_mov_b32 s14, exec_lo
	s_delay_alu instid0(VALU_DEP_3)
	v_cmpx_ne_u16_e32 0, v8
	s_cbranch_execz .LBB311_1211
; %bb.1204:                             ;   in Loop: Header=BB311_11 Depth=1
	v_bfrev_b32_e32 v173, 1
	s_mov_b32 s15, exec_lo
	v_cmpx_ne_u16_e32 0x80, v8
	s_cbranch_execz .LBB311_1210
; %bb.1205:                             ;   in Loop: Header=BB311_11 Depth=1
	v_and_b32_e32 v0, 0xffff, v8
	v_mov_b32_e32 v173, 0x7c010000
	s_mov_b32 s16, exec_lo
	s_delay_alu instid0(VALU_DEP_2) | instskip(NEXT) | instid1(VALU_DEP_1)
	v_and_b32_e32 v4, 0x7f, v0
	v_cmpx_ne_u32_e32 0x7f, v4
	s_cbranch_execz .LBB311_1209
; %bb.1206:                             ;   in Loop: Header=BB311_11 Depth=1
	v_and_b32_e32 v2, 7, v0
	v_lshrrev_b32_e32 v3, 3, v4
	s_mov_b32 s17, exec_lo
	v_cmpx_gt_u32_e32 8, v4
; %bb.1207:                             ;   in Loop: Header=BB311_11 Depth=1
	s_delay_alu instid0(VALU_DEP_3) | instskip(NEXT) | instid1(VALU_DEP_1)
	v_clz_i32_u32_e32 v2, v2
	v_min_u32_e32 v4, 32, v2
	s_delay_alu instid0(VALU_DEP_1) | instskip(NEXT) | instid1(VALU_DEP_1)
	v_subrev_nc_u32_e32 v2, 28, v4
	v_lshlrev_b64_e32 v[2:3], v2, v[8:9]
	v_sub_nc_u32_e32 v3, 29, v4
	s_delay_alu instid0(VALU_DEP_2)
	v_and_b32_e32 v2, 7, v2
; %bb.1208:                             ;   in Loop: Header=BB311_11 Depth=1
	s_wait_alu 0xfffe
	s_or_b32 exec_lo, exec_lo, s17
	v_lshlrev_b32_e32 v0, 8, v0
	v_lshl_add_u32 v3, v3, 10, 0x2000
	v_lshlrev_b32_e32 v2, 23, v2
	s_delay_alu instid0(VALU_DEP_2) | instskip(NEXT) | instid1(VALU_DEP_1)
	v_and_or_b32 v0, 0x8000, v0, v3
	v_lshl_or_b32 v173, v0, 16, v2
.LBB311_1209:                           ;   in Loop: Header=BB311_11 Depth=1
	s_wait_alu 0xfffe
	s_or_b32 exec_lo, exec_lo, s16
.LBB311_1210:                           ;   in Loop: Header=BB311_11 Depth=1
	s_wait_alu 0xfffe
	s_or_b32 exec_lo, exec_lo, s15
.LBB311_1211:                           ;   in Loop: Header=BB311_11 Depth=1
	s_wait_alu 0xfffe
	s_or_b32 exec_lo, exec_lo, s14
	v_lshrrev_b32_e32 v8, 16, v29
	s_mov_b32 s14, exec_lo
	s_delay_alu instid0(VALU_DEP_1) | instskip(NEXT) | instid1(VALU_DEP_1)
	v_and_b32_e32 v0, 0xff, v8
	v_cmpx_ne_u16_e32 0, v0
	s_cbranch_execz .LBB311_1219
; %bb.1212:                             ;   in Loop: Header=BB311_11 Depth=1
	v_mov_b32_e32 v95, 0x8000
	s_mov_b32 s15, exec_lo
	v_cmpx_ne_u16_e32 0x80, v0
	s_cbranch_execz .LBB311_1218
; %bb.1213:                             ;   in Loop: Header=BB311_11 Depth=1
	v_bfe_u32 v3, v29, 16, 7
	v_mov_b32_e32 v95, 0x7c01
	s_mov_b32 s16, exec_lo
	s_delay_alu instid0(VALU_DEP_2)
	v_cmpx_ne_u32_e32 0x7f, v3
	s_cbranch_execz .LBB311_1217
; %bb.1214:                             ;   in Loop: Header=BB311_11 Depth=1
	v_and_b32_e32 v0, 7, v8
	v_lshrrev_b32_e32 v2, 3, v3
	s_mov_b32 s17, exec_lo
	v_cmpx_gt_u32_e32 8, v3
; %bb.1215:                             ;   in Loop: Header=BB311_11 Depth=1
	s_delay_alu instid0(VALU_DEP_3) | instskip(NEXT) | instid1(VALU_DEP_1)
	v_clz_i32_u32_e32 v0, v0
	v_min_u32_e32 v0, 32, v0
	s_delay_alu instid0(VALU_DEP_1) | instskip(NEXT) | instid1(VALU_DEP_1)
	v_subrev_nc_u32_e32 v2, 28, v0
	v_lshlrev_b64_e32 v[3:4], v2, v[8:9]
	v_sub_nc_u32_e32 v2, 29, v0
	s_delay_alu instid0(VALU_DEP_2)
	v_and_b32_e32 v0, 7, v3
; %bb.1216:                             ;   in Loop: Header=BB311_11 Depth=1
	s_wait_alu 0xfffe
	s_or_b32 exec_lo, exec_lo, s17
	v_lshlrev_b32_e32 v3, 8, v8
	v_lshl_add_u32 v2, v2, 10, 0x2000
	v_lshlrev_b32_e32 v0, 7, v0
	s_delay_alu instid0(VALU_DEP_3) | instskip(NEXT) | instid1(VALU_DEP_3)
	v_and_b32_e32 v3, 0x8000, v3
	v_and_b32_e32 v2, 0xfc00, v2
	s_delay_alu instid0(VALU_DEP_1)
	v_or3_b32 v95, v3, v2, v0
.LBB311_1217:                           ;   in Loop: Header=BB311_11 Depth=1
	s_wait_alu 0xfffe
	s_or_b32 exec_lo, exec_lo, s16
.LBB311_1218:                           ;   in Loop: Header=BB311_11 Depth=1
	s_wait_alu 0xfffe
	s_or_b32 exec_lo, exec_lo, s15
.LBB311_1219:                           ;   in Loop: Header=BB311_11 Depth=1
	s_wait_alu 0xfffe
	s_or_b32 exec_lo, exec_lo, s14
	v_mov_b32_e32 v143, 0
	v_mov_b32_e32 v187, 0
	s_mov_b32 s14, exec_lo
	v_cmpx_lt_u64_e64 s[2:3], v[28:29]
	s_cbranch_execz .LBB311_1227
; %bb.1220:                             ;   in Loop: Header=BB311_11 Depth=1
	v_lshrrev_b32_e32 v8, 24, v29
	v_bfrev_b32_e32 v187, 1
	s_mov_b32 s15, exec_lo
	s_delay_alu instid0(VALU_DEP_2)
	v_cmpx_ne_u32_e32 0x80, v8
	s_cbranch_execz .LBB311_1226
; %bb.1221:                             ;   in Loop: Header=BB311_11 Depth=1
	v_and_b32_e32 v3, 0x7f, v8
	v_mov_b32_e32 v187, 0x7c010000
	s_mov_b32 s16, exec_lo
	s_delay_alu instid0(VALU_DEP_2)
	v_cmpx_ne_u32_e32 0x7f, v3
	s_cbranch_execz .LBB311_1225
; %bb.1222:                             ;   in Loop: Header=BB311_11 Depth=1
	v_and_b32_e32 v0, 7, v8
	v_lshrrev_b32_e32 v2, 3, v3
	s_mov_b32 s17, exec_lo
	v_cmpx_gt_u32_e32 8, v3
; %bb.1223:                             ;   in Loop: Header=BB311_11 Depth=1
	s_delay_alu instid0(VALU_DEP_3) | instskip(NEXT) | instid1(VALU_DEP_1)
	v_clz_i32_u32_e32 v0, v0
	v_min_u32_e32 v0, 32, v0
	s_delay_alu instid0(VALU_DEP_1) | instskip(NEXT) | instid1(VALU_DEP_1)
	v_subrev_nc_u32_e32 v2, 28, v0
	v_lshlrev_b64_e32 v[3:4], v2, v[8:9]
	v_sub_nc_u32_e32 v2, 29, v0
	s_delay_alu instid0(VALU_DEP_2)
	v_and_b32_e32 v0, 7, v3
; %bb.1224:                             ;   in Loop: Header=BB311_11 Depth=1
	s_wait_alu 0xfffe
	s_or_b32 exec_lo, exec_lo, s17
	v_lshlrev_b32_e32 v3, 8, v8
	v_lshl_add_u32 v2, v2, 10, 0x2000
	v_lshlrev_b32_e32 v0, 23, v0
	s_delay_alu instid0(VALU_DEP_2) | instskip(NEXT) | instid1(VALU_DEP_1)
	v_and_or_b32 v2, 0x8000, v3, v2
	v_lshl_or_b32 v187, v2, 16, v0
.LBB311_1225:                           ;   in Loop: Header=BB311_11 Depth=1
	s_wait_alu 0xfffe
	s_or_b32 exec_lo, exec_lo, s16
.LBB311_1226:                           ;   in Loop: Header=BB311_11 Depth=1
	s_wait_alu 0xfffe
	s_or_b32 exec_lo, exec_lo, s15
.LBB311_1227:                           ;   in Loop: Header=BB311_11 Depth=1
	s_wait_alu 0xfffe
	s_or_b32 exec_lo, exec_lo, s14
	flat_load_b64 v[28:29], v[20:21] offset:4616
	s_mov_b32 s14, exec_lo
	s_wait_loadcnt_dscnt 0x0
	v_and_b32_e32 v0, 0xff, v28
	s_delay_alu instid0(VALU_DEP_1)
	v_cmpx_ne_u16_e32 0, v0
	s_cbranch_execz .LBB311_1235
; %bb.1228:                             ;   in Loop: Header=BB311_11 Depth=1
	v_mov_b32_e32 v143, 0x8000
	s_mov_b32 s15, exec_lo
	v_cmpx_ne_u16_e32 0x80, v0
	s_cbranch_execz .LBB311_1234
; %bb.1229:                             ;   in Loop: Header=BB311_11 Depth=1
	v_and_b32_e32 v3, 0x7f, v28
	v_mov_b32_e32 v143, 0x7c01
	s_mov_b32 s16, exec_lo
	s_delay_alu instid0(VALU_DEP_2)
	v_cmpx_ne_u32_e32 0x7f, v3
	s_cbranch_execz .LBB311_1233
; %bb.1230:                             ;   in Loop: Header=BB311_11 Depth=1
	v_and_b32_e32 v0, 7, v28
	v_lshrrev_b32_e32 v2, 3, v3
	s_mov_b32 s17, exec_lo
	v_cmpx_gt_u32_e32 8, v3
; %bb.1231:                             ;   in Loop: Header=BB311_11 Depth=1
	s_delay_alu instid0(VALU_DEP_3) | instskip(NEXT) | instid1(VALU_DEP_1)
	v_clz_i32_u32_e32 v0, v0
	v_min_u32_e32 v0, 32, v0
	s_delay_alu instid0(VALU_DEP_1) | instskip(NEXT) | instid1(VALU_DEP_1)
	v_subrev_nc_u32_e32 v2, 28, v0
	v_lshlrev_b64_e32 v[3:4], v2, v[28:29]
	v_sub_nc_u32_e32 v2, 29, v0
	s_delay_alu instid0(VALU_DEP_2)
	v_and_b32_e32 v0, 7, v3
; %bb.1232:                             ;   in Loop: Header=BB311_11 Depth=1
	s_wait_alu 0xfffe
	s_or_b32 exec_lo, exec_lo, s17
	v_lshlrev_b32_e32 v3, 8, v28
	v_lshl_add_u32 v2, v2, 10, 0x2000
	v_lshlrev_b32_e32 v0, 7, v0
	s_delay_alu instid0(VALU_DEP_3) | instskip(NEXT) | instid1(VALU_DEP_3)
	v_and_b32_e32 v3, 0x8000, v3
	v_and_b32_e32 v2, 0xfc00, v2
	s_delay_alu instid0(VALU_DEP_1)
	v_or3_b32 v143, v3, v2, v0
.LBB311_1233:                           ;   in Loop: Header=BB311_11 Depth=1
	s_wait_alu 0xfffe
	s_or_b32 exec_lo, exec_lo, s16
.LBB311_1234:                           ;   in Loop: Header=BB311_11 Depth=1
	s_wait_alu 0xfffe
	s_or_b32 exec_lo, exec_lo, s15
.LBB311_1235:                           ;   in Loop: Header=BB311_11 Depth=1
	s_wait_alu 0xfffe
	s_or_b32 exec_lo, exec_lo, s14
	v_lshrrev_b16 v8, 8, v28
	v_mov_b32_e32 v184, 0
	v_mov_b32_e32 v188, 0
	s_mov_b32 s14, exec_lo
	s_delay_alu instid0(VALU_DEP_3)
	v_cmpx_ne_u16_e32 0, v8
	s_cbranch_execz .LBB311_1243
; %bb.1236:                             ;   in Loop: Header=BB311_11 Depth=1
	v_bfrev_b32_e32 v188, 1
	s_mov_b32 s15, exec_lo
	v_cmpx_ne_u16_e32 0x80, v8
	s_cbranch_execz .LBB311_1242
; %bb.1237:                             ;   in Loop: Header=BB311_11 Depth=1
	v_and_b32_e32 v0, 0xffff, v8
	v_mov_b32_e32 v188, 0x7c010000
	s_mov_b32 s16, exec_lo
	s_delay_alu instid0(VALU_DEP_2) | instskip(NEXT) | instid1(VALU_DEP_1)
	v_and_b32_e32 v4, 0x7f, v0
	v_cmpx_ne_u32_e32 0x7f, v4
	s_cbranch_execz .LBB311_1241
; %bb.1238:                             ;   in Loop: Header=BB311_11 Depth=1
	v_and_b32_e32 v2, 7, v0
	v_lshrrev_b32_e32 v3, 3, v4
	s_mov_b32 s17, exec_lo
	v_cmpx_gt_u32_e32 8, v4
; %bb.1239:                             ;   in Loop: Header=BB311_11 Depth=1
	s_delay_alu instid0(VALU_DEP_3) | instskip(NEXT) | instid1(VALU_DEP_1)
	v_clz_i32_u32_e32 v2, v2
	v_min_u32_e32 v4, 32, v2
	s_delay_alu instid0(VALU_DEP_1) | instskip(NEXT) | instid1(VALU_DEP_1)
	v_subrev_nc_u32_e32 v2, 28, v4
	v_lshlrev_b64_e32 v[2:3], v2, v[8:9]
	v_sub_nc_u32_e32 v3, 29, v4
	s_delay_alu instid0(VALU_DEP_2)
	v_and_b32_e32 v2, 7, v2
; %bb.1240:                             ;   in Loop: Header=BB311_11 Depth=1
	s_wait_alu 0xfffe
	s_or_b32 exec_lo, exec_lo, s17
	v_lshlrev_b32_e32 v0, 8, v0
	v_lshl_add_u32 v3, v3, 10, 0x2000
	v_lshlrev_b32_e32 v2, 23, v2
	s_delay_alu instid0(VALU_DEP_2) | instskip(NEXT) | instid1(VALU_DEP_1)
	v_and_or_b32 v0, 0x8000, v0, v3
	v_lshl_or_b32 v188, v0, 16, v2
.LBB311_1241:                           ;   in Loop: Header=BB311_11 Depth=1
	s_wait_alu 0xfffe
	s_or_b32 exec_lo, exec_lo, s16
.LBB311_1242:                           ;   in Loop: Header=BB311_11 Depth=1
	s_wait_alu 0xfffe
	s_or_b32 exec_lo, exec_lo, s15
.LBB311_1243:                           ;   in Loop: Header=BB311_11 Depth=1
	s_wait_alu 0xfffe
	s_or_b32 exec_lo, exec_lo, s14
	v_lshrrev_b32_e32 v8, 16, v28
	s_mov_b32 s14, exec_lo
	s_delay_alu instid0(VALU_DEP_1) | instskip(NEXT) | instid1(VALU_DEP_1)
	v_and_b32_e32 v0, 0xff, v8
	v_cmpx_ne_u16_e32 0, v0
	s_cbranch_execz .LBB311_1251
; %bb.1244:                             ;   in Loop: Header=BB311_11 Depth=1
	v_mov_b32_e32 v184, 0x8000
	s_mov_b32 s15, exec_lo
	v_cmpx_ne_u16_e32 0x80, v0
	s_cbranch_execz .LBB311_1250
; %bb.1245:                             ;   in Loop: Header=BB311_11 Depth=1
	v_bfe_u32 v3, v28, 16, 7
	v_mov_b32_e32 v184, 0x7c01
	s_mov_b32 s16, exec_lo
	s_delay_alu instid0(VALU_DEP_2)
	v_cmpx_ne_u32_e32 0x7f, v3
	s_cbranch_execz .LBB311_1249
; %bb.1246:                             ;   in Loop: Header=BB311_11 Depth=1
	v_and_b32_e32 v0, 7, v8
	v_lshrrev_b32_e32 v2, 3, v3
	s_mov_b32 s17, exec_lo
	v_cmpx_gt_u32_e32 8, v3
; %bb.1247:                             ;   in Loop: Header=BB311_11 Depth=1
	s_delay_alu instid0(VALU_DEP_3) | instskip(NEXT) | instid1(VALU_DEP_1)
	v_clz_i32_u32_e32 v0, v0
	v_min_u32_e32 v0, 32, v0
	s_delay_alu instid0(VALU_DEP_1) | instskip(NEXT) | instid1(VALU_DEP_1)
	v_subrev_nc_u32_e32 v2, 28, v0
	v_lshlrev_b64_e32 v[3:4], v2, v[8:9]
	v_sub_nc_u32_e32 v2, 29, v0
	s_delay_alu instid0(VALU_DEP_2)
	v_and_b32_e32 v0, 7, v3
; %bb.1248:                             ;   in Loop: Header=BB311_11 Depth=1
	s_wait_alu 0xfffe
	s_or_b32 exec_lo, exec_lo, s17
	v_lshlrev_b32_e32 v3, 8, v8
	v_lshl_add_u32 v2, v2, 10, 0x2000
	v_lshlrev_b32_e32 v0, 7, v0
	s_delay_alu instid0(VALU_DEP_3) | instskip(NEXT) | instid1(VALU_DEP_3)
	v_and_b32_e32 v3, 0x8000, v3
	v_and_b32_e32 v2, 0xfc00, v2
	s_delay_alu instid0(VALU_DEP_1)
	v_or3_b32 v184, v3, v2, v0
.LBB311_1249:                           ;   in Loop: Header=BB311_11 Depth=1
	s_wait_alu 0xfffe
	s_or_b32 exec_lo, exec_lo, s16
.LBB311_1250:                           ;   in Loop: Header=BB311_11 Depth=1
	s_wait_alu 0xfffe
	s_or_b32 exec_lo, exec_lo, s15
.LBB311_1251:                           ;   in Loop: Header=BB311_11 Depth=1
	s_wait_alu 0xfffe
	s_or_b32 exec_lo, exec_lo, s14
	v_mov_b32_e32 v39, 0
	v_mov_b32_e32 v5, 0
	s_mov_b32 s14, exec_lo
	v_cmpx_lt_u32_e32 0xffffff, v28
	s_cbranch_execz .LBB311_1259
; %bb.1252:                             ;   in Loop: Header=BB311_11 Depth=1
	v_lshrrev_b32_e32 v8, 24, v28
	v_bfrev_b32_e32 v5, 1
	s_mov_b32 s15, exec_lo
	s_delay_alu instid0(VALU_DEP_2)
	v_cmpx_ne_u32_e32 0x80, v8
	s_cbranch_execz .LBB311_1258
; %bb.1253:                             ;   in Loop: Header=BB311_11 Depth=1
	v_and_b32_e32 v3, 0x7f, v8
	v_mov_b32_e32 v5, 0x7c010000
	s_mov_b32 s16, exec_lo
	s_delay_alu instid0(VALU_DEP_2)
	v_cmpx_ne_u32_e32 0x7f, v3
	s_cbranch_execz .LBB311_1257
; %bb.1254:                             ;   in Loop: Header=BB311_11 Depth=1
	v_and_b32_e32 v0, 7, v8
	v_lshrrev_b32_e32 v2, 3, v3
	s_mov_b32 s17, exec_lo
	v_cmpx_gt_u32_e32 8, v3
; %bb.1255:                             ;   in Loop: Header=BB311_11 Depth=1
	s_delay_alu instid0(VALU_DEP_3) | instskip(NEXT) | instid1(VALU_DEP_1)
	v_clz_i32_u32_e32 v0, v0
	v_min_u32_e32 v0, 32, v0
	s_delay_alu instid0(VALU_DEP_1) | instskip(NEXT) | instid1(VALU_DEP_1)
	v_subrev_nc_u32_e32 v2, 28, v0
	v_lshlrev_b64_e32 v[3:4], v2, v[8:9]
	v_sub_nc_u32_e32 v2, 29, v0
	s_delay_alu instid0(VALU_DEP_2)
	v_and_b32_e32 v0, 7, v3
; %bb.1256:                             ;   in Loop: Header=BB311_11 Depth=1
	s_wait_alu 0xfffe
	s_or_b32 exec_lo, exec_lo, s17
	v_lshlrev_b32_e32 v3, 8, v8
	v_lshl_add_u32 v2, v2, 10, 0x2000
	v_lshlrev_b32_e32 v0, 23, v0
	s_delay_alu instid0(VALU_DEP_2) | instskip(NEXT) | instid1(VALU_DEP_1)
	v_and_or_b32 v2, 0x8000, v3, v2
	v_lshl_or_b32 v5, v2, 16, v0
.LBB311_1257:                           ;   in Loop: Header=BB311_11 Depth=1
	s_wait_alu 0xfffe
	s_or_b32 exec_lo, exec_lo, s16
.LBB311_1258:                           ;   in Loop: Header=BB311_11 Depth=1
	s_wait_alu 0xfffe
	s_or_b32 exec_lo, exec_lo, s15
.LBB311_1259:                           ;   in Loop: Header=BB311_11 Depth=1
	s_wait_alu 0xfffe
	s_or_b32 exec_lo, exec_lo, s14
	v_and_b32_e32 v0, 0xff, v29
	v_mov_b32_e32 v8, v29
	s_mov_b32 s14, exec_lo
	s_delay_alu instid0(VALU_DEP_2)
	v_cmpx_ne_u16_e32 0, v0
	s_cbranch_execz .LBB311_1267
; %bb.1260:                             ;   in Loop: Header=BB311_11 Depth=1
	v_mov_b32_e32 v39, 0x8000
	s_mov_b32 s15, exec_lo
	v_cmpx_ne_u16_e32 0x80, v0
	s_cbranch_execz .LBB311_1266
; %bb.1261:                             ;   in Loop: Header=BB311_11 Depth=1
	v_and_b32_e32 v3, 0x7f, v29
	v_mov_b32_e32 v39, 0x7c01
	s_mov_b32 s16, exec_lo
	s_delay_alu instid0(VALU_DEP_2)
	v_cmpx_ne_u32_e32 0x7f, v3
	s_cbranch_execz .LBB311_1265
; %bb.1262:                             ;   in Loop: Header=BB311_11 Depth=1
	v_and_b32_e32 v0, 7, v29
	v_lshrrev_b32_e32 v2, 3, v3
	s_mov_b32 s17, exec_lo
	v_cmpx_gt_u32_e32 8, v3
; %bb.1263:                             ;   in Loop: Header=BB311_11 Depth=1
	s_delay_alu instid0(VALU_DEP_3) | instskip(NEXT) | instid1(VALU_DEP_1)
	v_clz_i32_u32_e32 v0, v0
	v_min_u32_e32 v0, 32, v0
	s_delay_alu instid0(VALU_DEP_1) | instskip(NEXT) | instid1(VALU_DEP_1)
	v_subrev_nc_u32_e32 v2, 28, v0
	v_lshlrev_b64_e32 v[3:4], v2, v[8:9]
	v_sub_nc_u32_e32 v2, 29, v0
	s_delay_alu instid0(VALU_DEP_2)
	v_and_b32_e32 v0, 7, v3
; %bb.1264:                             ;   in Loop: Header=BB311_11 Depth=1
	s_wait_alu 0xfffe
	s_or_b32 exec_lo, exec_lo, s17
	v_lshlrev_b32_e32 v3, 8, v29
	v_lshl_add_u32 v2, v2, 10, 0x2000
	v_lshlrev_b32_e32 v0, 7, v0
	s_delay_alu instid0(VALU_DEP_3) | instskip(NEXT) | instid1(VALU_DEP_3)
	v_and_b32_e32 v3, 0x8000, v3
	v_and_b32_e32 v2, 0xfc00, v2
	s_delay_alu instid0(VALU_DEP_1)
	v_or3_b32 v39, v3, v2, v0
.LBB311_1265:                           ;   in Loop: Header=BB311_11 Depth=1
	s_wait_alu 0xfffe
	s_or_b32 exec_lo, exec_lo, s16
.LBB311_1266:                           ;   in Loop: Header=BB311_11 Depth=1
	s_wait_alu 0xfffe
	s_or_b32 exec_lo, exec_lo, s15
.LBB311_1267:                           ;   in Loop: Header=BB311_11 Depth=1
	s_wait_alu 0xfffe
	s_or_b32 exec_lo, exec_lo, s14
	v_lshrrev_b16 v8, 8, v8
	v_dual_mov_b32 v185, 0 :: v_dual_mov_b32 v38, 0
	s_mov_b32 s14, exec_lo
	s_delay_alu instid0(VALU_DEP_2)
	v_cmpx_ne_u16_e32 0, v8
	s_cbranch_execz .LBB311_1275
; %bb.1268:                             ;   in Loop: Header=BB311_11 Depth=1
	v_bfrev_b32_e32 v38, 1
	s_mov_b32 s15, exec_lo
	v_cmpx_ne_u16_e32 0x80, v8
	s_cbranch_execz .LBB311_1274
; %bb.1269:                             ;   in Loop: Header=BB311_11 Depth=1
	v_and_b32_e32 v0, 0xffff, v8
	v_mov_b32_e32 v38, 0x7c010000
	s_mov_b32 s16, exec_lo
	s_delay_alu instid0(VALU_DEP_2) | instskip(NEXT) | instid1(VALU_DEP_1)
	v_and_b32_e32 v4, 0x7f, v0
	v_cmpx_ne_u32_e32 0x7f, v4
	s_cbranch_execz .LBB311_1273
; %bb.1270:                             ;   in Loop: Header=BB311_11 Depth=1
	v_and_b32_e32 v2, 7, v0
	v_lshrrev_b32_e32 v3, 3, v4
	s_mov_b32 s17, exec_lo
	v_cmpx_gt_u32_e32 8, v4
; %bb.1271:                             ;   in Loop: Header=BB311_11 Depth=1
	s_delay_alu instid0(VALU_DEP_3) | instskip(NEXT) | instid1(VALU_DEP_1)
	v_clz_i32_u32_e32 v2, v2
	v_min_u32_e32 v4, 32, v2
	s_delay_alu instid0(VALU_DEP_1) | instskip(NEXT) | instid1(VALU_DEP_1)
	v_subrev_nc_u32_e32 v2, 28, v4
	v_lshlrev_b64_e32 v[2:3], v2, v[8:9]
	v_sub_nc_u32_e32 v3, 29, v4
	s_delay_alu instid0(VALU_DEP_2)
	v_and_b32_e32 v2, 7, v2
; %bb.1272:                             ;   in Loop: Header=BB311_11 Depth=1
	s_wait_alu 0xfffe
	s_or_b32 exec_lo, exec_lo, s17
	v_lshlrev_b32_e32 v0, 8, v0
	v_lshl_add_u32 v3, v3, 10, 0x2000
	v_lshlrev_b32_e32 v2, 23, v2
	s_delay_alu instid0(VALU_DEP_2) | instskip(NEXT) | instid1(VALU_DEP_1)
	v_and_or_b32 v0, 0x8000, v0, v3
	v_lshl_or_b32 v38, v0, 16, v2
.LBB311_1273:                           ;   in Loop: Header=BB311_11 Depth=1
	s_wait_alu 0xfffe
	s_or_b32 exec_lo, exec_lo, s16
.LBB311_1274:                           ;   in Loop: Header=BB311_11 Depth=1
	s_wait_alu 0xfffe
	s_or_b32 exec_lo, exec_lo, s15
.LBB311_1275:                           ;   in Loop: Header=BB311_11 Depth=1
	s_wait_alu 0xfffe
	s_or_b32 exec_lo, exec_lo, s14
	v_lshrrev_b32_e32 v8, 16, v29
	s_mov_b32 s14, exec_lo
	s_delay_alu instid0(VALU_DEP_1) | instskip(NEXT) | instid1(VALU_DEP_1)
	v_and_b32_e32 v0, 0xff, v8
	v_cmpx_ne_u16_e32 0, v0
	s_cbranch_execz .LBB311_1283
; %bb.1276:                             ;   in Loop: Header=BB311_11 Depth=1
	v_mov_b32_e32 v185, 0x8000
	s_mov_b32 s15, exec_lo
	v_cmpx_ne_u16_e32 0x80, v0
	s_cbranch_execz .LBB311_1282
; %bb.1277:                             ;   in Loop: Header=BB311_11 Depth=1
	v_bfe_u32 v3, v29, 16, 7
	v_mov_b32_e32 v185, 0x7c01
	s_mov_b32 s16, exec_lo
	s_delay_alu instid0(VALU_DEP_2)
	v_cmpx_ne_u32_e32 0x7f, v3
	s_cbranch_execz .LBB311_1281
; %bb.1278:                             ;   in Loop: Header=BB311_11 Depth=1
	v_and_b32_e32 v0, 7, v8
	v_lshrrev_b32_e32 v2, 3, v3
	s_mov_b32 s17, exec_lo
	v_cmpx_gt_u32_e32 8, v3
; %bb.1279:                             ;   in Loop: Header=BB311_11 Depth=1
	s_delay_alu instid0(VALU_DEP_3) | instskip(NEXT) | instid1(VALU_DEP_1)
	v_clz_i32_u32_e32 v0, v0
	v_min_u32_e32 v0, 32, v0
	s_delay_alu instid0(VALU_DEP_1) | instskip(NEXT) | instid1(VALU_DEP_1)
	v_subrev_nc_u32_e32 v2, 28, v0
	v_lshlrev_b64_e32 v[3:4], v2, v[8:9]
	v_sub_nc_u32_e32 v2, 29, v0
	s_delay_alu instid0(VALU_DEP_2)
	v_and_b32_e32 v0, 7, v3
; %bb.1280:                             ;   in Loop: Header=BB311_11 Depth=1
	s_wait_alu 0xfffe
	s_or_b32 exec_lo, exec_lo, s17
	v_lshlrev_b32_e32 v3, 8, v8
	v_lshl_add_u32 v2, v2, 10, 0x2000
	v_lshlrev_b32_e32 v0, 7, v0
	s_delay_alu instid0(VALU_DEP_3) | instskip(NEXT) | instid1(VALU_DEP_3)
	v_and_b32_e32 v3, 0x8000, v3
	v_and_b32_e32 v2, 0xfc00, v2
	s_delay_alu instid0(VALU_DEP_1)
	v_or3_b32 v185, v3, v2, v0
.LBB311_1281:                           ;   in Loop: Header=BB311_11 Depth=1
	s_wait_alu 0xfffe
	s_or_b32 exec_lo, exec_lo, s16
.LBB311_1282:                           ;   in Loop: Header=BB311_11 Depth=1
	s_wait_alu 0xfffe
	s_or_b32 exec_lo, exec_lo, s15
.LBB311_1283:                           ;   in Loop: Header=BB311_11 Depth=1
	s_wait_alu 0xfffe
	s_or_b32 exec_lo, exec_lo, s14
	v_dual_mov_b32 v4, 0 :: v_dual_mov_b32 v43, 0
	s_mov_b32 s14, exec_lo
	v_cmpx_lt_u64_e64 s[2:3], v[28:29]
	s_cbranch_execz .LBB311_1291
; %bb.1284:                             ;   in Loop: Header=BB311_11 Depth=1
	v_lshrrev_b32_e32 v8, 24, v29
	v_bfrev_b32_e32 v43, 1
	s_mov_b32 s15, exec_lo
	s_delay_alu instid0(VALU_DEP_2)
	v_cmpx_ne_u32_e32 0x80, v8
	s_cbranch_execz .LBB311_1290
; %bb.1285:                             ;   in Loop: Header=BB311_11 Depth=1
	v_and_b32_e32 v3, 0x7f, v8
	v_mov_b32_e32 v43, 0x7c010000
	s_mov_b32 s16, exec_lo
	s_delay_alu instid0(VALU_DEP_2)
	v_cmpx_ne_u32_e32 0x7f, v3
	s_cbranch_execz .LBB311_1289
; %bb.1286:                             ;   in Loop: Header=BB311_11 Depth=1
	v_and_b32_e32 v0, 7, v8
	v_lshrrev_b32_e32 v2, 3, v3
	s_mov_b32 s17, exec_lo
	v_cmpx_gt_u32_e32 8, v3
; %bb.1287:                             ;   in Loop: Header=BB311_11 Depth=1
	s_delay_alu instid0(VALU_DEP_3) | instskip(NEXT) | instid1(VALU_DEP_1)
	v_clz_i32_u32_e32 v0, v0
	v_min_u32_e32 v0, 32, v0
	s_delay_alu instid0(VALU_DEP_1) | instskip(NEXT) | instid1(VALU_DEP_1)
	v_subrev_nc_u32_e32 v2, 28, v0
	v_lshlrev_b64_e32 v[6:7], v2, v[8:9]
	v_sub_nc_u32_e32 v2, 29, v0
	s_delay_alu instid0(VALU_DEP_2)
	v_and_b32_e32 v0, 7, v6
; %bb.1288:                             ;   in Loop: Header=BB311_11 Depth=1
	s_wait_alu 0xfffe
	s_or_b32 exec_lo, exec_lo, s17
	v_lshlrev_b32_e32 v3, 8, v8
	v_lshl_add_u32 v2, v2, 10, 0x2000
	v_lshlrev_b32_e32 v0, 23, v0
	s_delay_alu instid0(VALU_DEP_2) | instskip(NEXT) | instid1(VALU_DEP_1)
	v_and_or_b32 v2, 0x8000, v3, v2
	v_lshl_or_b32 v43, v2, 16, v0
.LBB311_1289:                           ;   in Loop: Header=BB311_11 Depth=1
	s_wait_alu 0xfffe
	s_or_b32 exec_lo, exec_lo, s16
.LBB311_1290:                           ;   in Loop: Header=BB311_11 Depth=1
	s_wait_alu 0xfffe
	s_or_b32 exec_lo, exec_lo, s15
.LBB311_1291:                           ;   in Loop: Header=BB311_11 Depth=1
	s_wait_alu 0xfffe
	s_or_b32 exec_lo, exec_lo, s14
	flat_load_b64 v[28:29], v[20:21] offset:5120
	s_mov_b32 s14, exec_lo
	s_wait_loadcnt_dscnt 0x0
	v_and_b32_e32 v0, 0xff, v28
	s_delay_alu instid0(VALU_DEP_1)
	v_cmpx_ne_u16_e32 0, v0
	s_cbranch_execz .LBB311_1299
; %bb.1292:                             ;   in Loop: Header=BB311_11 Depth=1
	v_mov_b32_e32 v4, 0x8000
	s_mov_b32 s15, exec_lo
	v_cmpx_ne_u16_e32 0x80, v0
	s_cbranch_execz .LBB311_1298
; %bb.1293:                             ;   in Loop: Header=BB311_11 Depth=1
	v_and_b32_e32 v3, 0x7f, v28
	v_mov_b32_e32 v4, 0x7c01
	s_mov_b32 s16, exec_lo
	s_delay_alu instid0(VALU_DEP_2)
	v_cmpx_ne_u32_e32 0x7f, v3
	s_cbranch_execz .LBB311_1297
; %bb.1294:                             ;   in Loop: Header=BB311_11 Depth=1
	v_and_b32_e32 v0, 7, v28
	v_lshrrev_b32_e32 v2, 3, v3
	s_mov_b32 s17, exec_lo
	v_cmpx_gt_u32_e32 8, v3
; %bb.1295:                             ;   in Loop: Header=BB311_11 Depth=1
	s_delay_alu instid0(VALU_DEP_3) | instskip(NEXT) | instid1(VALU_DEP_1)
	v_clz_i32_u32_e32 v0, v0
	v_min_u32_e32 v0, 32, v0
	s_delay_alu instid0(VALU_DEP_1) | instskip(NEXT) | instid1(VALU_DEP_1)
	v_subrev_nc_u32_e32 v2, 28, v0
	v_lshlrev_b64_e32 v[3:4], v2, v[28:29]
	v_sub_nc_u32_e32 v2, 29, v0
	s_delay_alu instid0(VALU_DEP_2)
	v_and_b32_e32 v0, 7, v3
; %bb.1296:                             ;   in Loop: Header=BB311_11 Depth=1
	s_wait_alu 0xfffe
	s_or_b32 exec_lo, exec_lo, s17
	v_lshlrev_b32_e32 v3, 8, v28
	v_lshl_add_u32 v2, v2, 10, 0x2000
	v_lshlrev_b32_e32 v0, 7, v0
	s_delay_alu instid0(VALU_DEP_3) | instskip(NEXT) | instid1(VALU_DEP_3)
	v_and_b32_e32 v3, 0x8000, v3
	v_and_b32_e32 v2, 0xfc00, v2
	s_delay_alu instid0(VALU_DEP_1)
	v_or3_b32 v4, v3, v2, v0
.LBB311_1297:                           ;   in Loop: Header=BB311_11 Depth=1
	s_wait_alu 0xfffe
	s_or_b32 exec_lo, exec_lo, s16
.LBB311_1298:                           ;   in Loop: Header=BB311_11 Depth=1
	s_wait_alu 0xfffe
	s_or_b32 exec_lo, exec_lo, s15
.LBB311_1299:                           ;   in Loop: Header=BB311_11 Depth=1
	s_wait_alu 0xfffe
	s_or_b32 exec_lo, exec_lo, s14
	v_lshrrev_b16 v8, 8, v28
	v_dual_mov_b32 v66, 0 :: v_dual_mov_b32 v11, 0
	s_mov_b32 s14, exec_lo
	s_delay_alu instid0(VALU_DEP_2)
	v_cmpx_ne_u16_e32 0, v8
	s_cbranch_execz .LBB311_1307
; %bb.1300:                             ;   in Loop: Header=BB311_11 Depth=1
	v_bfrev_b32_e32 v11, 1
	s_mov_b32 s15, exec_lo
	v_cmpx_ne_u16_e32 0x80, v8
	s_cbranch_execz .LBB311_1306
; %bb.1301:                             ;   in Loop: Header=BB311_11 Depth=1
	v_and_b32_e32 v0, 0xffff, v8
	v_mov_b32_e32 v11, 0x7c010000
	s_mov_b32 s16, exec_lo
	s_delay_alu instid0(VALU_DEP_2) | instskip(NEXT) | instid1(VALU_DEP_1)
	v_and_b32_e32 v6, 0x7f, v0
	v_cmpx_ne_u32_e32 0x7f, v6
	s_cbranch_execz .LBB311_1305
; %bb.1302:                             ;   in Loop: Header=BB311_11 Depth=1
	v_and_b32_e32 v2, 7, v0
	v_lshrrev_b32_e32 v3, 3, v6
	s_mov_b32 s17, exec_lo
	v_cmpx_gt_u32_e32 8, v6
; %bb.1303:                             ;   in Loop: Header=BB311_11 Depth=1
	s_delay_alu instid0(VALU_DEP_3) | instskip(NEXT) | instid1(VALU_DEP_1)
	v_clz_i32_u32_e32 v2, v2
	v_min_u32_e32 v6, 32, v2
	s_delay_alu instid0(VALU_DEP_1) | instskip(NEXT) | instid1(VALU_DEP_1)
	v_subrev_nc_u32_e32 v2, 28, v6
	v_lshlrev_b64_e32 v[2:3], v2, v[8:9]
	v_sub_nc_u32_e32 v3, 29, v6
	s_delay_alu instid0(VALU_DEP_2)
	v_and_b32_e32 v2, 7, v2
; %bb.1304:                             ;   in Loop: Header=BB311_11 Depth=1
	s_wait_alu 0xfffe
	s_or_b32 exec_lo, exec_lo, s17
	v_lshlrev_b32_e32 v0, 8, v0
	v_lshl_add_u32 v3, v3, 10, 0x2000
	v_lshlrev_b32_e32 v2, 23, v2
	s_delay_alu instid0(VALU_DEP_2) | instskip(NEXT) | instid1(VALU_DEP_1)
	v_and_or_b32 v0, 0x8000, v0, v3
	v_lshl_or_b32 v11, v0, 16, v2
.LBB311_1305:                           ;   in Loop: Header=BB311_11 Depth=1
	s_wait_alu 0xfffe
	s_or_b32 exec_lo, exec_lo, s16
.LBB311_1306:                           ;   in Loop: Header=BB311_11 Depth=1
	s_wait_alu 0xfffe
	s_or_b32 exec_lo, exec_lo, s15
.LBB311_1307:                           ;   in Loop: Header=BB311_11 Depth=1
	s_wait_alu 0xfffe
	s_or_b32 exec_lo, exec_lo, s14
	v_lshrrev_b32_e32 v8, 16, v28
	s_mov_b32 s14, exec_lo
	s_delay_alu instid0(VALU_DEP_1) | instskip(NEXT) | instid1(VALU_DEP_1)
	v_and_b32_e32 v0, 0xff, v8
	v_cmpx_ne_u16_e32 0, v0
	s_cbranch_execz .LBB311_1315
; %bb.1308:                             ;   in Loop: Header=BB311_11 Depth=1
	v_mov_b32_e32 v66, 0x8000
	s_mov_b32 s15, exec_lo
	v_cmpx_ne_u16_e32 0x80, v0
	s_cbranch_execz .LBB311_1314
; %bb.1309:                             ;   in Loop: Header=BB311_11 Depth=1
	v_bfe_u32 v3, v28, 16, 7
	v_mov_b32_e32 v66, 0x7c01
	s_mov_b32 s16, exec_lo
	s_delay_alu instid0(VALU_DEP_2)
	v_cmpx_ne_u32_e32 0x7f, v3
	s_cbranch_execz .LBB311_1313
; %bb.1310:                             ;   in Loop: Header=BB311_11 Depth=1
	v_and_b32_e32 v0, 7, v8
	v_lshrrev_b32_e32 v2, 3, v3
	s_mov_b32 s17, exec_lo
	v_cmpx_gt_u32_e32 8, v3
; %bb.1311:                             ;   in Loop: Header=BB311_11 Depth=1
	s_delay_alu instid0(VALU_DEP_3) | instskip(NEXT) | instid1(VALU_DEP_1)
	v_clz_i32_u32_e32 v0, v0
	v_min_u32_e32 v0, 32, v0
	s_delay_alu instid0(VALU_DEP_1) | instskip(NEXT) | instid1(VALU_DEP_1)
	v_subrev_nc_u32_e32 v2, 28, v0
	v_lshlrev_b64_e32 v[6:7], v2, v[8:9]
	v_sub_nc_u32_e32 v2, 29, v0
	s_delay_alu instid0(VALU_DEP_2)
	v_and_b32_e32 v0, 7, v6
; %bb.1312:                             ;   in Loop: Header=BB311_11 Depth=1
	s_wait_alu 0xfffe
	s_or_b32 exec_lo, exec_lo, s17
	v_lshlrev_b32_e32 v3, 8, v8
	v_lshl_add_u32 v2, v2, 10, 0x2000
	v_lshlrev_b32_e32 v0, 7, v0
	s_delay_alu instid0(VALU_DEP_3) | instskip(NEXT) | instid1(VALU_DEP_3)
	v_and_b32_e32 v3, 0x8000, v3
	v_and_b32_e32 v2, 0xfc00, v2
	s_delay_alu instid0(VALU_DEP_1)
	v_or3_b32 v66, v3, v2, v0
.LBB311_1313:                           ;   in Loop: Header=BB311_11 Depth=1
	s_wait_alu 0xfffe
	s_or_b32 exec_lo, exec_lo, s16
.LBB311_1314:                           ;   in Loop: Header=BB311_11 Depth=1
	s_wait_alu 0xfffe
	s_or_b32 exec_lo, exec_lo, s15
.LBB311_1315:                           ;   in Loop: Header=BB311_11 Depth=1
	s_wait_alu 0xfffe
	s_or_b32 exec_lo, exec_lo, s14
	v_mov_b32_e32 v177, 0
	v_mov_b32_e32 v179, 0
	s_mov_b32 s14, exec_lo
	v_cmpx_lt_u32_e32 0xffffff, v28
	s_cbranch_execz .LBB311_1323
; %bb.1316:                             ;   in Loop: Header=BB311_11 Depth=1
	v_lshrrev_b32_e32 v8, 24, v28
	v_bfrev_b32_e32 v179, 1
	s_mov_b32 s15, exec_lo
	s_delay_alu instid0(VALU_DEP_2)
	v_cmpx_ne_u32_e32 0x80, v8
	s_cbranch_execz .LBB311_1322
; %bb.1317:                             ;   in Loop: Header=BB311_11 Depth=1
	v_and_b32_e32 v3, 0x7f, v8
	v_mov_b32_e32 v179, 0x7c010000
	s_mov_b32 s16, exec_lo
	s_delay_alu instid0(VALU_DEP_2)
	v_cmpx_ne_u32_e32 0x7f, v3
	s_cbranch_execz .LBB311_1321
; %bb.1318:                             ;   in Loop: Header=BB311_11 Depth=1
	v_and_b32_e32 v0, 7, v8
	v_lshrrev_b32_e32 v2, 3, v3
	s_mov_b32 s17, exec_lo
	v_cmpx_gt_u32_e32 8, v3
; %bb.1319:                             ;   in Loop: Header=BB311_11 Depth=1
	s_delay_alu instid0(VALU_DEP_3) | instskip(NEXT) | instid1(VALU_DEP_1)
	v_clz_i32_u32_e32 v0, v0
	v_min_u32_e32 v0, 32, v0
	s_delay_alu instid0(VALU_DEP_1) | instskip(NEXT) | instid1(VALU_DEP_1)
	v_subrev_nc_u32_e32 v2, 28, v0
	v_lshlrev_b64_e32 v[6:7], v2, v[8:9]
	v_sub_nc_u32_e32 v2, 29, v0
	s_delay_alu instid0(VALU_DEP_2)
	v_and_b32_e32 v0, 7, v6
; %bb.1320:                             ;   in Loop: Header=BB311_11 Depth=1
	s_wait_alu 0xfffe
	s_or_b32 exec_lo, exec_lo, s17
	v_lshlrev_b32_e32 v3, 8, v8
	v_lshl_add_u32 v2, v2, 10, 0x2000
	v_lshlrev_b32_e32 v0, 23, v0
	s_delay_alu instid0(VALU_DEP_2) | instskip(NEXT) | instid1(VALU_DEP_1)
	v_and_or_b32 v2, 0x8000, v3, v2
	v_lshl_or_b32 v179, v2, 16, v0
.LBB311_1321:                           ;   in Loop: Header=BB311_11 Depth=1
	s_wait_alu 0xfffe
	s_or_b32 exec_lo, exec_lo, s16
.LBB311_1322:                           ;   in Loop: Header=BB311_11 Depth=1
	s_wait_alu 0xfffe
	s_or_b32 exec_lo, exec_lo, s15
.LBB311_1323:                           ;   in Loop: Header=BB311_11 Depth=1
	s_wait_alu 0xfffe
	s_or_b32 exec_lo, exec_lo, s14
	v_and_b32_e32 v0, 0xff, v29
	v_mov_b32_e32 v8, v29
	s_mov_b32 s14, exec_lo
	s_delay_alu instid0(VALU_DEP_2)
	v_cmpx_ne_u16_e32 0, v0
	s_cbranch_execz .LBB311_1331
; %bb.1324:                             ;   in Loop: Header=BB311_11 Depth=1
	v_mov_b32_e32 v177, 0x8000
	s_mov_b32 s15, exec_lo
	v_cmpx_ne_u16_e32 0x80, v0
	s_cbranch_execz .LBB311_1330
; %bb.1325:                             ;   in Loop: Header=BB311_11 Depth=1
	v_and_b32_e32 v3, 0x7f, v29
	v_mov_b32_e32 v177, 0x7c01
	s_mov_b32 s16, exec_lo
	s_delay_alu instid0(VALU_DEP_2)
	v_cmpx_ne_u32_e32 0x7f, v3
	s_cbranch_execz .LBB311_1329
; %bb.1326:                             ;   in Loop: Header=BB311_11 Depth=1
	v_and_b32_e32 v0, 7, v29
	v_lshrrev_b32_e32 v2, 3, v3
	s_mov_b32 s17, exec_lo
	v_cmpx_gt_u32_e32 8, v3
; %bb.1327:                             ;   in Loop: Header=BB311_11 Depth=1
	s_delay_alu instid0(VALU_DEP_3) | instskip(NEXT) | instid1(VALU_DEP_1)
	v_clz_i32_u32_e32 v0, v0
	v_min_u32_e32 v0, 32, v0
	s_delay_alu instid0(VALU_DEP_1) | instskip(NEXT) | instid1(VALU_DEP_1)
	v_subrev_nc_u32_e32 v2, 28, v0
	v_lshlrev_b64_e32 v[6:7], v2, v[8:9]
	v_sub_nc_u32_e32 v2, 29, v0
	s_delay_alu instid0(VALU_DEP_2)
	v_and_b32_e32 v0, 7, v6
; %bb.1328:                             ;   in Loop: Header=BB311_11 Depth=1
	s_wait_alu 0xfffe
	s_or_b32 exec_lo, exec_lo, s17
	v_lshlrev_b32_e32 v3, 8, v29
	v_lshl_add_u32 v2, v2, 10, 0x2000
	v_lshlrev_b32_e32 v0, 7, v0
	s_delay_alu instid0(VALU_DEP_3) | instskip(NEXT) | instid1(VALU_DEP_3)
	v_and_b32_e32 v3, 0x8000, v3
	v_and_b32_e32 v2, 0xfc00, v2
	s_delay_alu instid0(VALU_DEP_1)
	v_or3_b32 v177, v3, v2, v0
.LBB311_1329:                           ;   in Loop: Header=BB311_11 Depth=1
	s_wait_alu 0xfffe
	s_or_b32 exec_lo, exec_lo, s16
.LBB311_1330:                           ;   in Loop: Header=BB311_11 Depth=1
	s_wait_alu 0xfffe
	s_or_b32 exec_lo, exec_lo, s15
.LBB311_1331:                           ;   in Loop: Header=BB311_11 Depth=1
	s_wait_alu 0xfffe
	s_or_b32 exec_lo, exec_lo, s14
	v_lshrrev_b16 v8, 8, v8
	v_mov_b32_e32 v10, 0
	v_mov_b32_e32 v40, 0
	s_mov_b32 s14, exec_lo
	s_delay_alu instid0(VALU_DEP_3)
	v_cmpx_ne_u16_e32 0, v8
	s_cbranch_execz .LBB311_1339
; %bb.1332:                             ;   in Loop: Header=BB311_11 Depth=1
	v_bfrev_b32_e32 v40, 1
	s_mov_b32 s15, exec_lo
	v_cmpx_ne_u16_e32 0x80, v8
	s_cbranch_execz .LBB311_1338
; %bb.1333:                             ;   in Loop: Header=BB311_11 Depth=1
	v_and_b32_e32 v0, 0xffff, v8
	v_mov_b32_e32 v40, 0x7c010000
	s_mov_b32 s16, exec_lo
	s_delay_alu instid0(VALU_DEP_2) | instskip(NEXT) | instid1(VALU_DEP_1)
	v_and_b32_e32 v6, 0x7f, v0
	v_cmpx_ne_u32_e32 0x7f, v6
	s_cbranch_execz .LBB311_1337
; %bb.1334:                             ;   in Loop: Header=BB311_11 Depth=1
	v_and_b32_e32 v2, 7, v0
	v_lshrrev_b32_e32 v3, 3, v6
	s_mov_b32 s17, exec_lo
	v_cmpx_gt_u32_e32 8, v6
; %bb.1335:                             ;   in Loop: Header=BB311_11 Depth=1
	s_delay_alu instid0(VALU_DEP_3) | instskip(NEXT) | instid1(VALU_DEP_1)
	v_clz_i32_u32_e32 v2, v2
	v_min_u32_e32 v6, 32, v2
	s_delay_alu instid0(VALU_DEP_1) | instskip(NEXT) | instid1(VALU_DEP_1)
	v_subrev_nc_u32_e32 v2, 28, v6
	v_lshlrev_b64_e32 v[2:3], v2, v[8:9]
	v_sub_nc_u32_e32 v3, 29, v6
	s_delay_alu instid0(VALU_DEP_2)
	v_and_b32_e32 v2, 7, v2
; %bb.1336:                             ;   in Loop: Header=BB311_11 Depth=1
	s_wait_alu 0xfffe
	s_or_b32 exec_lo, exec_lo, s17
	v_lshlrev_b32_e32 v0, 8, v0
	v_lshl_add_u32 v3, v3, 10, 0x2000
	v_lshlrev_b32_e32 v2, 23, v2
	s_delay_alu instid0(VALU_DEP_2) | instskip(NEXT) | instid1(VALU_DEP_1)
	v_and_or_b32 v0, 0x8000, v0, v3
	v_lshl_or_b32 v40, v0, 16, v2
.LBB311_1337:                           ;   in Loop: Header=BB311_11 Depth=1
	s_wait_alu 0xfffe
	s_or_b32 exec_lo, exec_lo, s16
.LBB311_1338:                           ;   in Loop: Header=BB311_11 Depth=1
	s_wait_alu 0xfffe
	s_or_b32 exec_lo, exec_lo, s15
.LBB311_1339:                           ;   in Loop: Header=BB311_11 Depth=1
	s_wait_alu 0xfffe
	s_or_b32 exec_lo, exec_lo, s14
	v_lshrrev_b32_e32 v8, 16, v29
	s_mov_b32 s14, exec_lo
	s_delay_alu instid0(VALU_DEP_1) | instskip(NEXT) | instid1(VALU_DEP_1)
	v_and_b32_e32 v0, 0xff, v8
	v_cmpx_ne_u16_e32 0, v0
	s_cbranch_execz .LBB311_1347
; %bb.1340:                             ;   in Loop: Header=BB311_11 Depth=1
	v_mov_b32_e32 v10, 0x8000
	s_mov_b32 s15, exec_lo
	v_cmpx_ne_u16_e32 0x80, v0
	s_cbranch_execz .LBB311_1346
; %bb.1341:                             ;   in Loop: Header=BB311_11 Depth=1
	v_bfe_u32 v3, v29, 16, 7
	v_mov_b32_e32 v10, 0x7c01
	s_mov_b32 s16, exec_lo
	s_delay_alu instid0(VALU_DEP_2)
	v_cmpx_ne_u32_e32 0x7f, v3
	s_cbranch_execz .LBB311_1345
; %bb.1342:                             ;   in Loop: Header=BB311_11 Depth=1
	v_and_b32_e32 v0, 7, v8
	v_lshrrev_b32_e32 v2, 3, v3
	s_mov_b32 s17, exec_lo
	v_cmpx_gt_u32_e32 8, v3
; %bb.1343:                             ;   in Loop: Header=BB311_11 Depth=1
	s_delay_alu instid0(VALU_DEP_3) | instskip(NEXT) | instid1(VALU_DEP_1)
	v_clz_i32_u32_e32 v0, v0
	v_min_u32_e32 v0, 32, v0
	s_delay_alu instid0(VALU_DEP_1) | instskip(NEXT) | instid1(VALU_DEP_1)
	v_subrev_nc_u32_e32 v2, 28, v0
	v_lshlrev_b64_e32 v[6:7], v2, v[8:9]
	v_sub_nc_u32_e32 v2, 29, v0
	s_delay_alu instid0(VALU_DEP_2)
	v_and_b32_e32 v0, 7, v6
; %bb.1344:                             ;   in Loop: Header=BB311_11 Depth=1
	s_wait_alu 0xfffe
	s_or_b32 exec_lo, exec_lo, s17
	v_lshlrev_b32_e32 v3, 8, v8
	v_lshl_add_u32 v2, v2, 10, 0x2000
	v_lshlrev_b32_e32 v0, 7, v0
	s_delay_alu instid0(VALU_DEP_3) | instskip(NEXT) | instid1(VALU_DEP_3)
	v_and_b32_e32 v3, 0x8000, v3
	v_and_b32_e32 v2, 0xfc00, v2
	s_delay_alu instid0(VALU_DEP_1)
	v_or3_b32 v10, v3, v2, v0
.LBB311_1345:                           ;   in Loop: Header=BB311_11 Depth=1
	s_wait_alu 0xfffe
	s_or_b32 exec_lo, exec_lo, s16
.LBB311_1346:                           ;   in Loop: Header=BB311_11 Depth=1
	s_wait_alu 0xfffe
	s_or_b32 exec_lo, exec_lo, s15
.LBB311_1347:                           ;   in Loop: Header=BB311_11 Depth=1
	s_wait_alu 0xfffe
	s_or_b32 exec_lo, exec_lo, s14
	v_mov_b32_e32 v163, 0
	v_mov_b32_e32 v3, 0
	s_mov_b32 s14, exec_lo
	v_cmpx_lt_u64_e64 s[2:3], v[28:29]
	s_cbranch_execz .LBB311_1355
; %bb.1348:                             ;   in Loop: Header=BB311_11 Depth=1
	v_lshrrev_b32_e32 v8, 24, v29
	v_bfrev_b32_e32 v3, 1
	s_mov_b32 s15, exec_lo
	s_delay_alu instid0(VALU_DEP_2)
	v_cmpx_ne_u32_e32 0x80, v8
	s_cbranch_execz .LBB311_1354
; %bb.1349:                             ;   in Loop: Header=BB311_11 Depth=1
	v_and_b32_e32 v6, 0x7f, v8
	v_mov_b32_e32 v3, 0x7c010000
	s_mov_b32 s16, exec_lo
	s_delay_alu instid0(VALU_DEP_2)
	v_cmpx_ne_u32_e32 0x7f, v6
	s_cbranch_execz .LBB311_1353
; %bb.1350:                             ;   in Loop: Header=BB311_11 Depth=1
	v_and_b32_e32 v0, 7, v8
	v_lshrrev_b32_e32 v2, 3, v6
	s_mov_b32 s17, exec_lo
	v_cmpx_gt_u32_e32 8, v6
; %bb.1351:                             ;   in Loop: Header=BB311_11 Depth=1
	s_delay_alu instid0(VALU_DEP_3) | instskip(NEXT) | instid1(VALU_DEP_1)
	v_clz_i32_u32_e32 v0, v0
	v_min_u32_e32 v0, 32, v0
	s_delay_alu instid0(VALU_DEP_1) | instskip(NEXT) | instid1(VALU_DEP_1)
	v_subrev_nc_u32_e32 v2, 28, v0
	v_lshlrev_b64_e32 v[6:7], v2, v[8:9]
	v_sub_nc_u32_e32 v2, 29, v0
	s_delay_alu instid0(VALU_DEP_2)
	v_and_b32_e32 v0, 7, v6
; %bb.1352:                             ;   in Loop: Header=BB311_11 Depth=1
	s_wait_alu 0xfffe
	s_or_b32 exec_lo, exec_lo, s17
	v_lshlrev_b32_e32 v3, 8, v8
	v_lshl_add_u32 v2, v2, 10, 0x2000
	v_lshlrev_b32_e32 v0, 23, v0
	s_delay_alu instid0(VALU_DEP_2) | instskip(NEXT) | instid1(VALU_DEP_1)
	v_and_or_b32 v2, 0x8000, v3, v2
	v_lshl_or_b32 v3, v2, 16, v0
.LBB311_1353:                           ;   in Loop: Header=BB311_11 Depth=1
	s_wait_alu 0xfffe
	s_or_b32 exec_lo, exec_lo, s16
.LBB311_1354:                           ;   in Loop: Header=BB311_11 Depth=1
	s_wait_alu 0xfffe
	s_or_b32 exec_lo, exec_lo, s15
.LBB311_1355:                           ;   in Loop: Header=BB311_11 Depth=1
	s_wait_alu 0xfffe
	s_or_b32 exec_lo, exec_lo, s14
	flat_load_b64 v[28:29], v[20:21] offset:5128
	s_mov_b32 s14, exec_lo
	s_wait_loadcnt_dscnt 0x0
	v_and_b32_e32 v0, 0xff, v28
	s_delay_alu instid0(VALU_DEP_1)
	v_cmpx_ne_u16_e32 0, v0
	s_cbranch_execz .LBB311_1363
; %bb.1356:                             ;   in Loop: Header=BB311_11 Depth=1
	v_mov_b32_e32 v163, 0x8000
	s_mov_b32 s15, exec_lo
	v_cmpx_ne_u16_e32 0x80, v0
	s_cbranch_execz .LBB311_1362
; %bb.1357:                             ;   in Loop: Header=BB311_11 Depth=1
	v_and_b32_e32 v6, 0x7f, v28
	v_mov_b32_e32 v163, 0x7c01
	s_mov_b32 s16, exec_lo
	s_delay_alu instid0(VALU_DEP_2)
	v_cmpx_ne_u32_e32 0x7f, v6
	s_cbranch_execz .LBB311_1361
; %bb.1358:                             ;   in Loop: Header=BB311_11 Depth=1
	v_and_b32_e32 v0, 7, v28
	v_lshrrev_b32_e32 v2, 3, v6
	s_mov_b32 s17, exec_lo
	v_cmpx_gt_u32_e32 8, v6
; %bb.1359:                             ;   in Loop: Header=BB311_11 Depth=1
	s_delay_alu instid0(VALU_DEP_3) | instskip(NEXT) | instid1(VALU_DEP_1)
	v_clz_i32_u32_e32 v0, v0
	v_min_u32_e32 v0, 32, v0
	s_delay_alu instid0(VALU_DEP_1) | instskip(NEXT) | instid1(VALU_DEP_1)
	v_subrev_nc_u32_e32 v2, 28, v0
	v_lshlrev_b64_e32 v[6:7], v2, v[28:29]
	v_sub_nc_u32_e32 v2, 29, v0
	s_delay_alu instid0(VALU_DEP_2)
	v_and_b32_e32 v0, 7, v6
; %bb.1360:                             ;   in Loop: Header=BB311_11 Depth=1
	s_wait_alu 0xfffe
	s_or_b32 exec_lo, exec_lo, s17
	v_lshlrev_b32_e32 v6, 8, v28
	v_lshl_add_u32 v2, v2, 10, 0x2000
	v_lshlrev_b32_e32 v0, 7, v0
	s_delay_alu instid0(VALU_DEP_3) | instskip(NEXT) | instid1(VALU_DEP_3)
	v_and_b32_e32 v6, 0x8000, v6
	v_and_b32_e32 v2, 0xfc00, v2
	s_delay_alu instid0(VALU_DEP_1)
	v_or3_b32 v163, v6, v2, v0
.LBB311_1361:                           ;   in Loop: Header=BB311_11 Depth=1
	s_wait_alu 0xfffe
	s_or_b32 exec_lo, exec_lo, s16
.LBB311_1362:                           ;   in Loop: Header=BB311_11 Depth=1
	s_wait_alu 0xfffe
	s_or_b32 exec_lo, exec_lo, s15
.LBB311_1363:                           ;   in Loop: Header=BB311_11 Depth=1
	s_wait_alu 0xfffe
	s_or_b32 exec_lo, exec_lo, s14
	v_lshrrev_b16 v8, 8, v28
	v_dual_mov_b32 v33, 0 :: v_dual_mov_b32 v2, 0
	s_mov_b32 s14, exec_lo
	s_delay_alu instid0(VALU_DEP_2)
	v_cmpx_ne_u16_e32 0, v8
	s_cbranch_execz .LBB311_1371
; %bb.1364:                             ;   in Loop: Header=BB311_11 Depth=1
	v_bfrev_b32_e32 v2, 1
	s_mov_b32 s15, exec_lo
	v_cmpx_ne_u16_e32 0x80, v8
	s_cbranch_execz .LBB311_1370
; %bb.1365:                             ;   in Loop: Header=BB311_11 Depth=1
	v_and_b32_e32 v0, 0xffff, v8
	v_mov_b32_e32 v2, 0x7c010000
	s_mov_b32 s16, exec_lo
	s_delay_alu instid0(VALU_DEP_2) | instskip(NEXT) | instid1(VALU_DEP_1)
	v_and_b32_e32 v7, 0x7f, v0
	v_cmpx_ne_u32_e32 0x7f, v7
	s_cbranch_execz .LBB311_1369
; %bb.1366:                             ;   in Loop: Header=BB311_11 Depth=1
	v_and_b32_e32 v2, 7, v0
	v_lshrrev_b32_e32 v6, 3, v7
	s_mov_b32 s17, exec_lo
	v_cmpx_gt_u32_e32 8, v7
; %bb.1367:                             ;   in Loop: Header=BB311_11 Depth=1
	s_delay_alu instid0(VALU_DEP_3) | instskip(NEXT) | instid1(VALU_DEP_1)
	v_clz_i32_u32_e32 v2, v2
	v_min_u32_e32 v2, 32, v2
	s_delay_alu instid0(VALU_DEP_1) | instskip(NEXT) | instid1(VALU_DEP_1)
	v_subrev_nc_u32_e32 v6, 28, v2
	v_lshlrev_b64_e32 v[7:8], v6, v[8:9]
	v_sub_nc_u32_e32 v6, 29, v2
	s_delay_alu instid0(VALU_DEP_2)
	v_and_b32_e32 v2, 7, v7
; %bb.1368:                             ;   in Loop: Header=BB311_11 Depth=1
	s_wait_alu 0xfffe
	s_or_b32 exec_lo, exec_lo, s17
	v_lshlrev_b32_e32 v0, 8, v0
	v_lshl_add_u32 v6, v6, 10, 0x2000
	v_lshlrev_b32_e32 v2, 23, v2
	s_delay_alu instid0(VALU_DEP_2) | instskip(NEXT) | instid1(VALU_DEP_1)
	v_and_or_b32 v0, 0x8000, v0, v6
	v_lshl_or_b32 v2, v0, 16, v2
.LBB311_1369:                           ;   in Loop: Header=BB311_11 Depth=1
	s_wait_alu 0xfffe
	s_or_b32 exec_lo, exec_lo, s16
.LBB311_1370:                           ;   in Loop: Header=BB311_11 Depth=1
	s_wait_alu 0xfffe
	s_or_b32 exec_lo, exec_lo, s15
.LBB311_1371:                           ;   in Loop: Header=BB311_11 Depth=1
	s_wait_alu 0xfffe
	s_or_b32 exec_lo, exec_lo, s14
	v_lshrrev_b32_e32 v8, 16, v28
	s_mov_b32 s14, exec_lo
	s_delay_alu instid0(VALU_DEP_1) | instskip(NEXT) | instid1(VALU_DEP_1)
	v_and_b32_e32 v0, 0xff, v8
	v_cmpx_ne_u16_e32 0, v0
	s_cbranch_execz .LBB311_1379
; %bb.1372:                             ;   in Loop: Header=BB311_11 Depth=1
	v_mov_b32_e32 v33, 0x8000
	s_mov_b32 s15, exec_lo
	v_cmpx_ne_u16_e32 0x80, v0
	s_cbranch_execz .LBB311_1378
; %bb.1373:                             ;   in Loop: Header=BB311_11 Depth=1
	v_bfe_u32 v7, v28, 16, 7
	v_mov_b32_e32 v33, 0x7c01
	s_mov_b32 s16, exec_lo
	s_delay_alu instid0(VALU_DEP_2)
	v_cmpx_ne_u32_e32 0x7f, v7
	s_cbranch_execz .LBB311_1377
; %bb.1374:                             ;   in Loop: Header=BB311_11 Depth=1
	v_and_b32_e32 v0, 7, v8
	v_lshrrev_b32_e32 v6, 3, v7
	s_mov_b32 s17, exec_lo
	v_cmpx_gt_u32_e32 8, v7
; %bb.1375:                             ;   in Loop: Header=BB311_11 Depth=1
	s_delay_alu instid0(VALU_DEP_3) | instskip(NEXT) | instid1(VALU_DEP_1)
	v_clz_i32_u32_e32 v0, v0
	v_min_u32_e32 v0, 32, v0
	s_delay_alu instid0(VALU_DEP_1) | instskip(NEXT) | instid1(VALU_DEP_1)
	v_subrev_nc_u32_e32 v6, 28, v0
	v_lshlrev_b64_e32 v[13:14], v6, v[8:9]
	v_sub_nc_u32_e32 v6, 29, v0
	s_delay_alu instid0(VALU_DEP_2)
	v_and_b32_e32 v0, 7, v13
; %bb.1376:                             ;   in Loop: Header=BB311_11 Depth=1
	s_wait_alu 0xfffe
	s_or_b32 exec_lo, exec_lo, s17
	v_lshlrev_b32_e32 v7, 8, v8
	v_lshl_add_u32 v6, v6, 10, 0x2000
	v_lshlrev_b32_e32 v0, 7, v0
	s_delay_alu instid0(VALU_DEP_3) | instskip(NEXT) | instid1(VALU_DEP_3)
	v_and_b32_e32 v7, 0x8000, v7
	v_and_b32_e32 v6, 0xfc00, v6
	s_delay_alu instid0(VALU_DEP_1)
	v_or3_b32 v33, v7, v6, v0
.LBB311_1377:                           ;   in Loop: Header=BB311_11 Depth=1
	s_wait_alu 0xfffe
	s_or_b32 exec_lo, exec_lo, s16
.LBB311_1378:                           ;   in Loop: Header=BB311_11 Depth=1
	s_wait_alu 0xfffe
	s_or_b32 exec_lo, exec_lo, s15
.LBB311_1379:                           ;   in Loop: Header=BB311_11 Depth=1
	s_wait_alu 0xfffe
	s_or_b32 exec_lo, exec_lo, s14
	v_mov_b32_e32 v166, 0
	v_mov_b32_e32 v176, 0
	s_mov_b32 s14, exec_lo
	v_cmpx_lt_u32_e32 0xffffff, v28
	s_cbranch_execz .LBB311_1387
; %bb.1380:                             ;   in Loop: Header=BB311_11 Depth=1
	v_lshrrev_b32_e32 v8, 24, v28
	v_bfrev_b32_e32 v176, 1
	s_mov_b32 s15, exec_lo
	s_delay_alu instid0(VALU_DEP_2)
	v_cmpx_ne_u32_e32 0x80, v8
	s_cbranch_execz .LBB311_1386
; %bb.1381:                             ;   in Loop: Header=BB311_11 Depth=1
	v_and_b32_e32 v7, 0x7f, v8
	v_mov_b32_e32 v176, 0x7c010000
	s_mov_b32 s16, exec_lo
	s_delay_alu instid0(VALU_DEP_2)
	v_cmpx_ne_u32_e32 0x7f, v7
	s_cbranch_execz .LBB311_1385
; %bb.1382:                             ;   in Loop: Header=BB311_11 Depth=1
	v_and_b32_e32 v0, 7, v8
	v_lshrrev_b32_e32 v6, 3, v7
	s_mov_b32 s17, exec_lo
	v_cmpx_gt_u32_e32 8, v7
; %bb.1383:                             ;   in Loop: Header=BB311_11 Depth=1
	s_delay_alu instid0(VALU_DEP_3) | instskip(NEXT) | instid1(VALU_DEP_1)
	v_clz_i32_u32_e32 v0, v0
	v_min_u32_e32 v0, 32, v0
	s_delay_alu instid0(VALU_DEP_1) | instskip(NEXT) | instid1(VALU_DEP_1)
	v_subrev_nc_u32_e32 v6, 28, v0
	v_lshlrev_b64_e32 v[13:14], v6, v[8:9]
	v_sub_nc_u32_e32 v6, 29, v0
	s_delay_alu instid0(VALU_DEP_2)
	v_and_b32_e32 v0, 7, v13
; %bb.1384:                             ;   in Loop: Header=BB311_11 Depth=1
	s_wait_alu 0xfffe
	s_or_b32 exec_lo, exec_lo, s17
	v_lshlrev_b32_e32 v7, 8, v8
	v_lshl_add_u32 v6, v6, 10, 0x2000
	v_lshlrev_b32_e32 v0, 23, v0
	s_delay_alu instid0(VALU_DEP_2) | instskip(NEXT) | instid1(VALU_DEP_1)
	v_and_or_b32 v6, 0x8000, v7, v6
	v_lshl_or_b32 v176, v6, 16, v0
.LBB311_1385:                           ;   in Loop: Header=BB311_11 Depth=1
	s_wait_alu 0xfffe
	s_or_b32 exec_lo, exec_lo, s16
.LBB311_1386:                           ;   in Loop: Header=BB311_11 Depth=1
	s_wait_alu 0xfffe
	s_or_b32 exec_lo, exec_lo, s15
.LBB311_1387:                           ;   in Loop: Header=BB311_11 Depth=1
	s_wait_alu 0xfffe
	s_or_b32 exec_lo, exec_lo, s14
	v_and_b32_e32 v0, 0xff, v29
	v_mov_b32_e32 v8, v29
	s_mov_b32 s14, exec_lo
	s_delay_alu instid0(VALU_DEP_2)
	v_cmpx_ne_u16_e32 0, v0
	s_cbranch_execz .LBB311_1395
; %bb.1388:                             ;   in Loop: Header=BB311_11 Depth=1
	v_mov_b32_e32 v166, 0x8000
	s_mov_b32 s15, exec_lo
	v_cmpx_ne_u16_e32 0x80, v0
	s_cbranch_execz .LBB311_1394
; %bb.1389:                             ;   in Loop: Header=BB311_11 Depth=1
	v_and_b32_e32 v7, 0x7f, v29
	v_mov_b32_e32 v166, 0x7c01
	s_mov_b32 s16, exec_lo
	s_delay_alu instid0(VALU_DEP_2)
	v_cmpx_ne_u32_e32 0x7f, v7
	s_cbranch_execz .LBB311_1393
; %bb.1390:                             ;   in Loop: Header=BB311_11 Depth=1
	v_and_b32_e32 v0, 7, v29
	v_lshrrev_b32_e32 v6, 3, v7
	s_mov_b32 s17, exec_lo
	v_cmpx_gt_u32_e32 8, v7
; %bb.1391:                             ;   in Loop: Header=BB311_11 Depth=1
	s_delay_alu instid0(VALU_DEP_3) | instskip(NEXT) | instid1(VALU_DEP_1)
	v_clz_i32_u32_e32 v0, v0
	v_min_u32_e32 v0, 32, v0
	s_delay_alu instid0(VALU_DEP_1) | instskip(NEXT) | instid1(VALU_DEP_1)
	v_subrev_nc_u32_e32 v6, 28, v0
	v_lshlrev_b64_e32 v[13:14], v6, v[8:9]
	v_sub_nc_u32_e32 v6, 29, v0
	s_delay_alu instid0(VALU_DEP_2)
	v_and_b32_e32 v0, 7, v13
; %bb.1392:                             ;   in Loop: Header=BB311_11 Depth=1
	s_wait_alu 0xfffe
	s_or_b32 exec_lo, exec_lo, s17
	v_lshlrev_b32_e32 v7, 8, v29
	v_lshl_add_u32 v6, v6, 10, 0x2000
	v_lshlrev_b32_e32 v0, 7, v0
	s_delay_alu instid0(VALU_DEP_3) | instskip(NEXT) | instid1(VALU_DEP_3)
	v_and_b32_e32 v7, 0x8000, v7
	v_and_b32_e32 v6, 0xfc00, v6
	s_delay_alu instid0(VALU_DEP_1)
	v_or3_b32 v166, v7, v6, v0
.LBB311_1393:                           ;   in Loop: Header=BB311_11 Depth=1
	s_wait_alu 0xfffe
	s_or_b32 exec_lo, exec_lo, s16
.LBB311_1394:                           ;   in Loop: Header=BB311_11 Depth=1
	s_wait_alu 0xfffe
	s_or_b32 exec_lo, exec_lo, s15
.LBB311_1395:                           ;   in Loop: Header=BB311_11 Depth=1
	s_wait_alu 0xfffe
	s_or_b32 exec_lo, exec_lo, s14
	v_lshrrev_b16 v8, 8, v8
	v_mov_b32_e32 v6, 0
	v_mov_b32_e32 v182, 0
	s_mov_b32 s14, exec_lo
	s_delay_alu instid0(VALU_DEP_3)
	v_cmpx_ne_u16_e32 0, v8
	s_cbranch_execz .LBB311_1403
; %bb.1396:                             ;   in Loop: Header=BB311_11 Depth=1
	v_bfrev_b32_e32 v182, 1
	s_mov_b32 s15, exec_lo
	v_cmpx_ne_u16_e32 0x80, v8
	s_cbranch_execz .LBB311_1402
; %bb.1397:                             ;   in Loop: Header=BB311_11 Depth=1
	v_and_b32_e32 v0, 0xffff, v8
	v_mov_b32_e32 v182, 0x7c010000
	s_mov_b32 s16, exec_lo
	s_delay_alu instid0(VALU_DEP_2) | instskip(NEXT) | instid1(VALU_DEP_1)
	v_and_b32_e32 v14, 0x7f, v0
	v_cmpx_ne_u32_e32 0x7f, v14
	s_cbranch_execz .LBB311_1401
; %bb.1398:                             ;   in Loop: Header=BB311_11 Depth=1
	v_and_b32_e32 v7, 7, v0
	v_lshrrev_b32_e32 v13, 3, v14
	s_mov_b32 s17, exec_lo
	v_cmpx_gt_u32_e32 8, v14
; %bb.1399:                             ;   in Loop: Header=BB311_11 Depth=1
	s_delay_alu instid0(VALU_DEP_3) | instskip(NEXT) | instid1(VALU_DEP_1)
	v_clz_i32_u32_e32 v7, v7
	v_min_u32_e32 v13, 32, v7
	s_delay_alu instid0(VALU_DEP_1) | instskip(SKIP_1) | instid1(VALU_DEP_2)
	v_subrev_nc_u32_e32 v7, 28, v13
	v_sub_nc_u32_e32 v13, 29, v13
	v_lshlrev_b64_e32 v[7:8], v7, v[8:9]
	s_delay_alu instid0(VALU_DEP_1)
	v_and_b32_e32 v7, 7, v7
; %bb.1400:                             ;   in Loop: Header=BB311_11 Depth=1
	s_wait_alu 0xfffe
	s_or_b32 exec_lo, exec_lo, s17
	v_lshlrev_b32_e32 v0, 8, v0
	v_lshl_add_u32 v8, v13, 10, 0x2000
	v_lshlrev_b32_e32 v7, 23, v7
	s_delay_alu instid0(VALU_DEP_2) | instskip(NEXT) | instid1(VALU_DEP_1)
	v_and_or_b32 v0, 0x8000, v0, v8
	v_lshl_or_b32 v182, v0, 16, v7
.LBB311_1401:                           ;   in Loop: Header=BB311_11 Depth=1
	s_wait_alu 0xfffe
	s_or_b32 exec_lo, exec_lo, s16
.LBB311_1402:                           ;   in Loop: Header=BB311_11 Depth=1
	s_wait_alu 0xfffe
	s_or_b32 exec_lo, exec_lo, s15
.LBB311_1403:                           ;   in Loop: Header=BB311_11 Depth=1
	s_wait_alu 0xfffe
	s_or_b32 exec_lo, exec_lo, s14
	v_lshrrev_b32_e32 v8, 16, v29
	s_mov_b32 s14, exec_lo
	s_delay_alu instid0(VALU_DEP_1) | instskip(NEXT) | instid1(VALU_DEP_1)
	v_and_b32_e32 v0, 0xff, v8
	v_cmpx_ne_u16_e32 0, v0
	s_cbranch_execz .LBB311_1411
; %bb.1404:                             ;   in Loop: Header=BB311_11 Depth=1
	v_mov_b32_e32 v6, 0x8000
	s_mov_b32 s15, exec_lo
	v_cmpx_ne_u16_e32 0x80, v0
	s_cbranch_execz .LBB311_1410
; %bb.1405:                             ;   in Loop: Header=BB311_11 Depth=1
	v_bfe_u32 v7, v29, 16, 7
	v_mov_b32_e32 v6, 0x7c01
	s_mov_b32 s16, exec_lo
	s_delay_alu instid0(VALU_DEP_2)
	v_cmpx_ne_u32_e32 0x7f, v7
	s_cbranch_execz .LBB311_1409
; %bb.1406:                             ;   in Loop: Header=BB311_11 Depth=1
	v_and_b32_e32 v0, 7, v8
	v_lshrrev_b32_e32 v6, 3, v7
	s_mov_b32 s17, exec_lo
	v_cmpx_gt_u32_e32 8, v7
; %bb.1407:                             ;   in Loop: Header=BB311_11 Depth=1
	s_delay_alu instid0(VALU_DEP_3) | instskip(NEXT) | instid1(VALU_DEP_1)
	v_clz_i32_u32_e32 v0, v0
	v_min_u32_e32 v0, 32, v0
	s_delay_alu instid0(VALU_DEP_1) | instskip(NEXT) | instid1(VALU_DEP_1)
	v_subrev_nc_u32_e32 v6, 28, v0
	v_lshlrev_b64_e32 v[13:14], v6, v[8:9]
	v_sub_nc_u32_e32 v6, 29, v0
	s_delay_alu instid0(VALU_DEP_2)
	v_and_b32_e32 v0, 7, v13
; %bb.1408:                             ;   in Loop: Header=BB311_11 Depth=1
	s_wait_alu 0xfffe
	s_or_b32 exec_lo, exec_lo, s17
	v_lshlrev_b32_e32 v7, 8, v8
	v_lshl_add_u32 v6, v6, 10, 0x2000
	v_lshlrev_b32_e32 v0, 7, v0
	s_delay_alu instid0(VALU_DEP_3) | instskip(NEXT) | instid1(VALU_DEP_3)
	v_and_b32_e32 v7, 0x8000, v7
	v_and_b32_e32 v6, 0xfc00, v6
	s_delay_alu instid0(VALU_DEP_1)
	v_or3_b32 v6, v7, v6, v0
.LBB311_1409:                           ;   in Loop: Header=BB311_11 Depth=1
	s_wait_alu 0xfffe
	s_or_b32 exec_lo, exec_lo, s16
.LBB311_1410:                           ;   in Loop: Header=BB311_11 Depth=1
	s_wait_alu 0xfffe
	s_or_b32 exec_lo, exec_lo, s15
.LBB311_1411:                           ;   in Loop: Header=BB311_11 Depth=1
	s_wait_alu 0xfffe
	s_or_b32 exec_lo, exec_lo, s14
	v_mov_b32_e32 v147, 0
	v_mov_b32_e32 v41, 0
	s_mov_b32 s14, exec_lo
	v_cmpx_lt_u64_e64 s[2:3], v[28:29]
	s_cbranch_execz .LBB311_1419
; %bb.1412:                             ;   in Loop: Header=BB311_11 Depth=1
	v_lshrrev_b32_e32 v8, 24, v29
	v_bfrev_b32_e32 v41, 1
	s_mov_b32 s15, exec_lo
	s_delay_alu instid0(VALU_DEP_2)
	v_cmpx_ne_u32_e32 0x80, v8
	s_cbranch_execz .LBB311_1418
; %bb.1413:                             ;   in Loop: Header=BB311_11 Depth=1
	v_and_b32_e32 v13, 0x7f, v8
	v_mov_b32_e32 v41, 0x7c010000
	s_mov_b32 s16, exec_lo
	s_delay_alu instid0(VALU_DEP_2)
	v_cmpx_ne_u32_e32 0x7f, v13
	s_cbranch_execz .LBB311_1417
; %bb.1414:                             ;   in Loop: Header=BB311_11 Depth=1
	v_and_b32_e32 v0, 7, v8
	v_lshrrev_b32_e32 v7, 3, v13
	s_mov_b32 s17, exec_lo
	v_cmpx_gt_u32_e32 8, v13
; %bb.1415:                             ;   in Loop: Header=BB311_11 Depth=1
	s_delay_alu instid0(VALU_DEP_3) | instskip(NEXT) | instid1(VALU_DEP_1)
	v_clz_i32_u32_e32 v0, v0
	v_min_u32_e32 v0, 32, v0
	s_delay_alu instid0(VALU_DEP_1) | instskip(NEXT) | instid1(VALU_DEP_1)
	v_subrev_nc_u32_e32 v7, 28, v0
	v_lshlrev_b64_e32 v[13:14], v7, v[8:9]
	v_sub_nc_u32_e32 v7, 29, v0
	s_delay_alu instid0(VALU_DEP_2)
	v_and_b32_e32 v0, 7, v13
; %bb.1416:                             ;   in Loop: Header=BB311_11 Depth=1
	s_wait_alu 0xfffe
	s_or_b32 exec_lo, exec_lo, s17
	v_lshlrev_b32_e32 v8, 8, v8
	v_lshl_add_u32 v7, v7, 10, 0x2000
	v_lshlrev_b32_e32 v0, 23, v0
	s_delay_alu instid0(VALU_DEP_2) | instskip(NEXT) | instid1(VALU_DEP_1)
	v_and_or_b32 v7, 0x8000, v8, v7
	v_lshl_or_b32 v41, v7, 16, v0
.LBB311_1417:                           ;   in Loop: Header=BB311_11 Depth=1
	s_wait_alu 0xfffe
	s_or_b32 exec_lo, exec_lo, s16
.LBB311_1418:                           ;   in Loop: Header=BB311_11 Depth=1
	s_wait_alu 0xfffe
	s_or_b32 exec_lo, exec_lo, s15
.LBB311_1419:                           ;   in Loop: Header=BB311_11 Depth=1
	s_wait_alu 0xfffe
	s_or_b32 exec_lo, exec_lo, s14
	flat_load_b64 v[28:29], v[20:21] offset:5632
	s_mov_b32 s14, exec_lo
	s_wait_loadcnt_dscnt 0x0
	v_and_b32_e32 v0, 0xff, v28
	s_delay_alu instid0(VALU_DEP_1)
	v_cmpx_ne_u16_e32 0, v0
	s_cbranch_execz .LBB311_1427
; %bb.1420:                             ;   in Loop: Header=BB311_11 Depth=1
	v_mov_b32_e32 v147, 0x8000
	s_mov_b32 s15, exec_lo
	v_cmpx_ne_u16_e32 0x80, v0
	s_cbranch_execz .LBB311_1426
; %bb.1421:                             ;   in Loop: Header=BB311_11 Depth=1
	v_and_b32_e32 v8, 0x7f, v28
	v_mov_b32_e32 v147, 0x7c01
	s_mov_b32 s16, exec_lo
	s_delay_alu instid0(VALU_DEP_2)
	v_cmpx_ne_u32_e32 0x7f, v8
	s_cbranch_execz .LBB311_1425
; %bb.1422:                             ;   in Loop: Header=BB311_11 Depth=1
	v_and_b32_e32 v0, 7, v28
	v_lshrrev_b32_e32 v7, 3, v8
	s_mov_b32 s17, exec_lo
	v_cmpx_gt_u32_e32 8, v8
; %bb.1423:                             ;   in Loop: Header=BB311_11 Depth=1
	s_delay_alu instid0(VALU_DEP_3) | instskip(NEXT) | instid1(VALU_DEP_1)
	v_clz_i32_u32_e32 v0, v0
	v_min_u32_e32 v0, 32, v0
	s_delay_alu instid0(VALU_DEP_1) | instskip(NEXT) | instid1(VALU_DEP_1)
	v_subrev_nc_u32_e32 v7, 28, v0
	v_lshlrev_b64_e32 v[13:14], v7, v[28:29]
	v_sub_nc_u32_e32 v7, 29, v0
	s_delay_alu instid0(VALU_DEP_2)
	v_and_b32_e32 v0, 7, v13
; %bb.1424:                             ;   in Loop: Header=BB311_11 Depth=1
	s_wait_alu 0xfffe
	s_or_b32 exec_lo, exec_lo, s17
	v_lshlrev_b32_e32 v8, 8, v28
	v_lshl_add_u32 v7, v7, 10, 0x2000
	v_lshlrev_b32_e32 v0, 7, v0
	s_delay_alu instid0(VALU_DEP_3) | instskip(NEXT) | instid1(VALU_DEP_3)
	v_and_b32_e32 v8, 0x8000, v8
	v_and_b32_e32 v7, 0xfc00, v7
	s_delay_alu instid0(VALU_DEP_1)
	v_or3_b32 v147, v8, v7, v0
.LBB311_1425:                           ;   in Loop: Header=BB311_11 Depth=1
	s_wait_alu 0xfffe
	s_or_b32 exec_lo, exec_lo, s16
.LBB311_1426:                           ;   in Loop: Header=BB311_11 Depth=1
	s_wait_alu 0xfffe
	s_or_b32 exec_lo, exec_lo, s15
.LBB311_1427:                           ;   in Loop: Header=BB311_11 Depth=1
	s_wait_alu 0xfffe
	s_or_b32 exec_lo, exec_lo, s14
	v_lshrrev_b16 v8, 8, v28
	v_dual_mov_b32 v150, 0 :: v_dual_mov_b32 v7, 0
	s_mov_b32 s14, exec_lo
	s_delay_alu instid0(VALU_DEP_2)
	v_cmpx_ne_u16_e32 0, v8
	s_cbranch_execz .LBB311_1435
; %bb.1428:                             ;   in Loop: Header=BB311_11 Depth=1
	v_bfrev_b32_e32 v7, 1
	s_mov_b32 s15, exec_lo
	v_cmpx_ne_u16_e32 0x80, v8
	s_cbranch_execz .LBB311_1434
; %bb.1429:                             ;   in Loop: Header=BB311_11 Depth=1
	v_and_b32_e32 v0, 0xffff, v8
	v_mov_b32_e32 v7, 0x7c010000
	s_mov_b32 s16, exec_lo
	s_delay_alu instid0(VALU_DEP_2) | instskip(NEXT) | instid1(VALU_DEP_1)
	v_and_b32_e32 v14, 0x7f, v0
	v_cmpx_ne_u32_e32 0x7f, v14
	s_cbranch_execz .LBB311_1433
; %bb.1430:                             ;   in Loop: Header=BB311_11 Depth=1
	v_and_b32_e32 v7, 7, v0
	v_lshrrev_b32_e32 v13, 3, v14
	s_mov_b32 s17, exec_lo
	v_cmpx_gt_u32_e32 8, v14
; %bb.1431:                             ;   in Loop: Header=BB311_11 Depth=1
	s_delay_alu instid0(VALU_DEP_3) | instskip(NEXT) | instid1(VALU_DEP_1)
	v_clz_i32_u32_e32 v7, v7
	v_min_u32_e32 v13, 32, v7
	s_delay_alu instid0(VALU_DEP_1) | instskip(SKIP_1) | instid1(VALU_DEP_2)
	v_subrev_nc_u32_e32 v7, 28, v13
	v_sub_nc_u32_e32 v13, 29, v13
	v_lshlrev_b64_e32 v[7:8], v7, v[8:9]
	s_delay_alu instid0(VALU_DEP_1)
	v_and_b32_e32 v7, 7, v7
; %bb.1432:                             ;   in Loop: Header=BB311_11 Depth=1
	s_wait_alu 0xfffe
	s_or_b32 exec_lo, exec_lo, s17
	v_lshlrev_b32_e32 v0, 8, v0
	v_lshl_add_u32 v8, v13, 10, 0x2000
	v_lshlrev_b32_e32 v7, 23, v7
	s_delay_alu instid0(VALU_DEP_2) | instskip(NEXT) | instid1(VALU_DEP_1)
	v_and_or_b32 v0, 0x8000, v0, v8
	v_lshl_or_b32 v7, v0, 16, v7
.LBB311_1433:                           ;   in Loop: Header=BB311_11 Depth=1
	s_wait_alu 0xfffe
	s_or_b32 exec_lo, exec_lo, s16
.LBB311_1434:                           ;   in Loop: Header=BB311_11 Depth=1
	s_wait_alu 0xfffe
	s_or_b32 exec_lo, exec_lo, s15
.LBB311_1435:                           ;   in Loop: Header=BB311_11 Depth=1
	s_wait_alu 0xfffe
	s_or_b32 exec_lo, exec_lo, s14
	v_lshrrev_b32_e32 v8, 16, v28
	s_mov_b32 s14, exec_lo
	s_delay_alu instid0(VALU_DEP_1) | instskip(NEXT) | instid1(VALU_DEP_1)
	v_and_b32_e32 v0, 0xff, v8
	v_cmpx_ne_u16_e32 0, v0
	s_cbranch_execz .LBB311_1443
; %bb.1436:                             ;   in Loop: Header=BB311_11 Depth=1
	v_mov_b32_e32 v150, 0x8000
	s_mov_b32 s15, exec_lo
	v_cmpx_ne_u16_e32 0x80, v0
	s_cbranch_execz .LBB311_1442
; %bb.1437:                             ;   in Loop: Header=BB311_11 Depth=1
	v_bfe_u32 v14, v28, 16, 7
	v_mov_b32_e32 v150, 0x7c01
	s_mov_b32 s16, exec_lo
	s_delay_alu instid0(VALU_DEP_2)
	v_cmpx_ne_u32_e32 0x7f, v14
	s_cbranch_execz .LBB311_1441
; %bb.1438:                             ;   in Loop: Header=BB311_11 Depth=1
	v_and_b32_e32 v0, 7, v8
	v_lshrrev_b32_e32 v13, 3, v14
	s_mov_b32 s17, exec_lo
	v_cmpx_gt_u32_e32 8, v14
; %bb.1439:                             ;   in Loop: Header=BB311_11 Depth=1
	s_delay_alu instid0(VALU_DEP_3) | instskip(NEXT) | instid1(VALU_DEP_1)
	v_clz_i32_u32_e32 v0, v0
	v_min_u32_e32 v0, 32, v0
	s_delay_alu instid0(VALU_DEP_1) | instskip(NEXT) | instid1(VALU_DEP_1)
	v_subrev_nc_u32_e32 v13, 28, v0
	v_lshlrev_b64_e32 v[14:15], v13, v[8:9]
	v_sub_nc_u32_e32 v13, 29, v0
	s_delay_alu instid0(VALU_DEP_2)
	v_and_b32_e32 v0, 7, v14
; %bb.1440:                             ;   in Loop: Header=BB311_11 Depth=1
	s_wait_alu 0xfffe
	s_or_b32 exec_lo, exec_lo, s17
	v_lshlrev_b32_e32 v8, 8, v8
	v_lshl_add_u32 v13, v13, 10, 0x2000
	v_lshlrev_b32_e32 v0, 7, v0
	s_delay_alu instid0(VALU_DEP_3) | instskip(NEXT) | instid1(VALU_DEP_3)
	v_and_b32_e32 v8, 0x8000, v8
	v_and_b32_e32 v13, 0xfc00, v13
	s_delay_alu instid0(VALU_DEP_1)
	v_or3_b32 v150, v8, v13, v0
.LBB311_1441:                           ;   in Loop: Header=BB311_11 Depth=1
	s_wait_alu 0xfffe
	s_or_b32 exec_lo, exec_lo, s16
.LBB311_1442:                           ;   in Loop: Header=BB311_11 Depth=1
	s_wait_alu 0xfffe
	s_or_b32 exec_lo, exec_lo, s15
.LBB311_1443:                           ;   in Loop: Header=BB311_11 Depth=1
	s_wait_alu 0xfffe
	s_or_b32 exec_lo, exec_lo, s14
	v_mov_b32_e32 v46, 0
	v_mov_b32_e32 v160, 0
	s_mov_b32 s14, exec_lo
	v_cmpx_lt_u32_e32 0xffffff, v28
	s_cbranch_execz .LBB311_1451
; %bb.1444:                             ;   in Loop: Header=BB311_11 Depth=1
	v_lshrrev_b32_e32 v8, 24, v28
	v_bfrev_b32_e32 v160, 1
	s_mov_b32 s15, exec_lo
	s_delay_alu instid0(VALU_DEP_2)
	v_cmpx_ne_u32_e32 0x80, v8
	s_cbranch_execz .LBB311_1450
; %bb.1445:                             ;   in Loop: Header=BB311_11 Depth=1
	v_and_b32_e32 v14, 0x7f, v8
	v_mov_b32_e32 v160, 0x7c010000
	s_mov_b32 s16, exec_lo
	s_delay_alu instid0(VALU_DEP_2)
	v_cmpx_ne_u32_e32 0x7f, v14
	s_cbranch_execz .LBB311_1449
; %bb.1446:                             ;   in Loop: Header=BB311_11 Depth=1
	v_and_b32_e32 v0, 7, v8
	v_lshrrev_b32_e32 v13, 3, v14
	s_mov_b32 s17, exec_lo
	v_cmpx_gt_u32_e32 8, v14
; %bb.1447:                             ;   in Loop: Header=BB311_11 Depth=1
	s_delay_alu instid0(VALU_DEP_3) | instskip(NEXT) | instid1(VALU_DEP_1)
	v_clz_i32_u32_e32 v0, v0
	v_min_u32_e32 v0, 32, v0
	s_delay_alu instid0(VALU_DEP_1) | instskip(NEXT) | instid1(VALU_DEP_1)
	v_subrev_nc_u32_e32 v13, 28, v0
	v_lshlrev_b64_e32 v[14:15], v13, v[8:9]
	v_sub_nc_u32_e32 v13, 29, v0
	s_delay_alu instid0(VALU_DEP_2)
	v_and_b32_e32 v0, 7, v14
; %bb.1448:                             ;   in Loop: Header=BB311_11 Depth=1
	s_wait_alu 0xfffe
	s_or_b32 exec_lo, exec_lo, s17
	v_lshlrev_b32_e32 v8, 8, v8
	v_lshl_add_u32 v13, v13, 10, 0x2000
	v_lshlrev_b32_e32 v0, 23, v0
	s_delay_alu instid0(VALU_DEP_2) | instskip(NEXT) | instid1(VALU_DEP_1)
	v_and_or_b32 v8, 0x8000, v8, v13
	v_lshl_or_b32 v160, v8, 16, v0
.LBB311_1449:                           ;   in Loop: Header=BB311_11 Depth=1
	s_wait_alu 0xfffe
	s_or_b32 exec_lo, exec_lo, s16
.LBB311_1450:                           ;   in Loop: Header=BB311_11 Depth=1
	s_wait_alu 0xfffe
	s_or_b32 exec_lo, exec_lo, s15
.LBB311_1451:                           ;   in Loop: Header=BB311_11 Depth=1
	s_wait_alu 0xfffe
	s_or_b32 exec_lo, exec_lo, s14
	v_and_b32_e32 v0, 0xff, v29
	v_mov_b32_e32 v8, v29
	s_mov_b32 s14, exec_lo
	s_delay_alu instid0(VALU_DEP_2)
	v_cmpx_ne_u16_e32 0, v0
	s_cbranch_execz .LBB311_1459
; %bb.1452:                             ;   in Loop: Header=BB311_11 Depth=1
	v_mov_b32_e32 v46, 0x8000
	s_mov_b32 s15, exec_lo
	v_cmpx_ne_u16_e32 0x80, v0
	s_cbranch_execz .LBB311_1458
; %bb.1453:                             ;   in Loop: Header=BB311_11 Depth=1
	v_and_b32_e32 v14, 0x7f, v29
	v_mov_b32_e32 v46, 0x7c01
	s_mov_b32 s16, exec_lo
	s_delay_alu instid0(VALU_DEP_2)
	v_cmpx_ne_u32_e32 0x7f, v14
	s_cbranch_execz .LBB311_1457
; %bb.1454:                             ;   in Loop: Header=BB311_11 Depth=1
	v_and_b32_e32 v0, 7, v29
	v_lshrrev_b32_e32 v13, 3, v14
	s_mov_b32 s17, exec_lo
	v_cmpx_gt_u32_e32 8, v14
; %bb.1455:                             ;   in Loop: Header=BB311_11 Depth=1
	s_delay_alu instid0(VALU_DEP_3) | instskip(NEXT) | instid1(VALU_DEP_1)
	v_clz_i32_u32_e32 v0, v0
	v_min_u32_e32 v0, 32, v0
	s_delay_alu instid0(VALU_DEP_1) | instskip(NEXT) | instid1(VALU_DEP_1)
	v_subrev_nc_u32_e32 v13, 28, v0
	v_lshlrev_b64_e32 v[14:15], v13, v[8:9]
	v_sub_nc_u32_e32 v13, 29, v0
	s_delay_alu instid0(VALU_DEP_2)
	v_and_b32_e32 v0, 7, v14
; %bb.1456:                             ;   in Loop: Header=BB311_11 Depth=1
	s_wait_alu 0xfffe
	s_or_b32 exec_lo, exec_lo, s17
	v_lshlrev_b32_e32 v14, 8, v29
	v_lshl_add_u32 v13, v13, 10, 0x2000
	v_lshlrev_b32_e32 v0, 7, v0
	s_delay_alu instid0(VALU_DEP_3) | instskip(NEXT) | instid1(VALU_DEP_3)
	v_and_b32_e32 v14, 0x8000, v14
	v_and_b32_e32 v13, 0xfc00, v13
	s_delay_alu instid0(VALU_DEP_1)
	v_or3_b32 v46, v14, v13, v0
.LBB311_1457:                           ;   in Loop: Header=BB311_11 Depth=1
	s_wait_alu 0xfffe
	s_or_b32 exec_lo, exec_lo, s16
.LBB311_1458:                           ;   in Loop: Header=BB311_11 Depth=1
	s_wait_alu 0xfffe
	s_or_b32 exec_lo, exec_lo, s15
.LBB311_1459:                           ;   in Loop: Header=BB311_11 Depth=1
	s_wait_alu 0xfffe
	s_or_b32 exec_lo, exec_lo, s14
	v_lshrrev_b16 v8, 8, v8
	v_mov_b32_e32 v121, 0
	v_mov_b32_e32 v123, 0
	s_mov_b32 s14, exec_lo
	s_delay_alu instid0(VALU_DEP_3)
	v_cmpx_ne_u16_e32 0, v8
	s_cbranch_execz .LBB311_1467
; %bb.1460:                             ;   in Loop: Header=BB311_11 Depth=1
	v_bfrev_b32_e32 v123, 1
	s_mov_b32 s15, exec_lo
	v_cmpx_ne_u16_e32 0x80, v8
	s_cbranch_execz .LBB311_1466
; %bb.1461:                             ;   in Loop: Header=BB311_11 Depth=1
	v_and_b32_e32 v0, 0xffff, v8
	v_mov_b32_e32 v123, 0x7c010000
	s_mov_b32 s16, exec_lo
	s_delay_alu instid0(VALU_DEP_2) | instskip(NEXT) | instid1(VALU_DEP_1)
	v_and_b32_e32 v15, 0x7f, v0
	v_cmpx_ne_u32_e32 0x7f, v15
	s_cbranch_execz .LBB311_1465
; %bb.1462:                             ;   in Loop: Header=BB311_11 Depth=1
	v_and_b32_e32 v13, 7, v0
	v_lshrrev_b32_e32 v14, 3, v15
	s_mov_b32 s17, exec_lo
	v_cmpx_gt_u32_e32 8, v15
; %bb.1463:                             ;   in Loop: Header=BB311_11 Depth=1
	s_delay_alu instid0(VALU_DEP_3) | instskip(NEXT) | instid1(VALU_DEP_1)
	v_clz_i32_u32_e32 v13, v13
	v_min_u32_e32 v15, 32, v13
	s_delay_alu instid0(VALU_DEP_1) | instskip(NEXT) | instid1(VALU_DEP_1)
	v_subrev_nc_u32_e32 v13, 28, v15
	v_lshlrev_b64_e32 v[13:14], v13, v[8:9]
	v_sub_nc_u32_e32 v14, 29, v15
	s_delay_alu instid0(VALU_DEP_2)
	v_and_b32_e32 v13, 7, v13
; %bb.1464:                             ;   in Loop: Header=BB311_11 Depth=1
	s_wait_alu 0xfffe
	s_or_b32 exec_lo, exec_lo, s17
	v_lshlrev_b32_e32 v0, 8, v0
	v_lshl_add_u32 v8, v14, 10, 0x2000
	s_delay_alu instid0(VALU_DEP_1) | instskip(SKIP_1) | instid1(VALU_DEP_1)
	v_and_or_b32 v0, 0x8000, v0, v8
	v_lshlrev_b32_e32 v8, 23, v13
	v_lshl_or_b32 v123, v0, 16, v8
.LBB311_1465:                           ;   in Loop: Header=BB311_11 Depth=1
	s_wait_alu 0xfffe
	s_or_b32 exec_lo, exec_lo, s16
.LBB311_1466:                           ;   in Loop: Header=BB311_11 Depth=1
	s_wait_alu 0xfffe
	s_or_b32 exec_lo, exec_lo, s15
.LBB311_1467:                           ;   in Loop: Header=BB311_11 Depth=1
	s_wait_alu 0xfffe
	s_or_b32 exec_lo, exec_lo, s14
	v_lshrrev_b32_e32 v8, 16, v29
	s_mov_b32 s14, exec_lo
	s_delay_alu instid0(VALU_DEP_1) | instskip(NEXT) | instid1(VALU_DEP_1)
	v_and_b32_e32 v0, 0xff, v8
	v_cmpx_ne_u16_e32 0, v0
	s_cbranch_execz .LBB311_1475
; %bb.1468:                             ;   in Loop: Header=BB311_11 Depth=1
	v_mov_b32_e32 v121, 0x8000
	s_mov_b32 s15, exec_lo
	v_cmpx_ne_u16_e32 0x80, v0
	s_cbranch_execz .LBB311_1474
; %bb.1469:                             ;   in Loop: Header=BB311_11 Depth=1
	v_bfe_u32 v14, v29, 16, 7
	v_mov_b32_e32 v121, 0x7c01
	s_mov_b32 s16, exec_lo
	s_delay_alu instid0(VALU_DEP_2)
	v_cmpx_ne_u32_e32 0x7f, v14
	s_cbranch_execz .LBB311_1473
; %bb.1470:                             ;   in Loop: Header=BB311_11 Depth=1
	v_and_b32_e32 v0, 7, v8
	v_lshrrev_b32_e32 v13, 3, v14
	s_mov_b32 s17, exec_lo
	v_cmpx_gt_u32_e32 8, v14
; %bb.1471:                             ;   in Loop: Header=BB311_11 Depth=1
	s_delay_alu instid0(VALU_DEP_3) | instskip(NEXT) | instid1(VALU_DEP_1)
	v_clz_i32_u32_e32 v0, v0
	v_min_u32_e32 v0, 32, v0
	s_delay_alu instid0(VALU_DEP_1) | instskip(NEXT) | instid1(VALU_DEP_1)
	v_subrev_nc_u32_e32 v13, 28, v0
	v_lshlrev_b64_e32 v[14:15], v13, v[8:9]
	v_sub_nc_u32_e32 v13, 29, v0
	s_delay_alu instid0(VALU_DEP_2)
	v_and_b32_e32 v0, 7, v14
; %bb.1472:                             ;   in Loop: Header=BB311_11 Depth=1
	s_wait_alu 0xfffe
	s_or_b32 exec_lo, exec_lo, s17
	v_lshlrev_b32_e32 v8, 8, v8
	v_lshl_add_u32 v13, v13, 10, 0x2000
	v_lshlrev_b32_e32 v0, 7, v0
	s_delay_alu instid0(VALU_DEP_3) | instskip(NEXT) | instid1(VALU_DEP_3)
	v_and_b32_e32 v8, 0x8000, v8
	v_and_b32_e32 v13, 0xfc00, v13
	s_delay_alu instid0(VALU_DEP_1)
	v_or3_b32 v121, v8, v13, v0
.LBB311_1473:                           ;   in Loop: Header=BB311_11 Depth=1
	s_wait_alu 0xfffe
	s_or_b32 exec_lo, exec_lo, s16
.LBB311_1474:                           ;   in Loop: Header=BB311_11 Depth=1
	s_wait_alu 0xfffe
	s_or_b32 exec_lo, exec_lo, s15
.LBB311_1475:                           ;   in Loop: Header=BB311_11 Depth=1
	s_wait_alu 0xfffe
	s_or_b32 exec_lo, exec_lo, s14
	v_dual_mov_b32 v115, 0 :: v_dual_mov_b32 v154, 0
	s_mov_b32 s14, exec_lo
	v_cmpx_lt_u64_e64 s[2:3], v[28:29]
	s_cbranch_execz .LBB311_1483
; %bb.1476:                             ;   in Loop: Header=BB311_11 Depth=1
	v_lshrrev_b32_e32 v8, 24, v29
	v_bfrev_b32_e32 v154, 1
	s_mov_b32 s15, exec_lo
	s_delay_alu instid0(VALU_DEP_2)
	v_cmpx_ne_u32_e32 0x80, v8
	s_cbranch_execz .LBB311_1482
; %bb.1477:                             ;   in Loop: Header=BB311_11 Depth=1
	v_and_b32_e32 v14, 0x7f, v8
	v_mov_b32_e32 v154, 0x7c010000
	s_mov_b32 s16, exec_lo
	s_delay_alu instid0(VALU_DEP_2)
	v_cmpx_ne_u32_e32 0x7f, v14
	s_cbranch_execz .LBB311_1481
; %bb.1478:                             ;   in Loop: Header=BB311_11 Depth=1
	v_and_b32_e32 v0, 7, v8
	v_lshrrev_b32_e32 v13, 3, v14
	s_mov_b32 s17, exec_lo
	v_cmpx_gt_u32_e32 8, v14
; %bb.1479:                             ;   in Loop: Header=BB311_11 Depth=1
	s_delay_alu instid0(VALU_DEP_3) | instskip(NEXT) | instid1(VALU_DEP_1)
	v_clz_i32_u32_e32 v0, v0
	v_min_u32_e32 v0, 32, v0
	s_delay_alu instid0(VALU_DEP_1) | instskip(NEXT) | instid1(VALU_DEP_1)
	v_subrev_nc_u32_e32 v13, 28, v0
	v_lshlrev_b64_e32 v[14:15], v13, v[8:9]
	v_sub_nc_u32_e32 v13, 29, v0
	s_delay_alu instid0(VALU_DEP_2)
	v_and_b32_e32 v0, 7, v14
; %bb.1480:                             ;   in Loop: Header=BB311_11 Depth=1
	s_wait_alu 0xfffe
	s_or_b32 exec_lo, exec_lo, s17
	v_lshlrev_b32_e32 v8, 8, v8
	v_lshl_add_u32 v13, v13, 10, 0x2000
	v_lshlrev_b32_e32 v0, 23, v0
	s_delay_alu instid0(VALU_DEP_2) | instskip(NEXT) | instid1(VALU_DEP_1)
	v_and_or_b32 v8, 0x8000, v8, v13
	v_lshl_or_b32 v154, v8, 16, v0
.LBB311_1481:                           ;   in Loop: Header=BB311_11 Depth=1
	s_wait_alu 0xfffe
	s_or_b32 exec_lo, exec_lo, s16
.LBB311_1482:                           ;   in Loop: Header=BB311_11 Depth=1
	s_wait_alu 0xfffe
	s_or_b32 exec_lo, exec_lo, s15
.LBB311_1483:                           ;   in Loop: Header=BB311_11 Depth=1
	s_wait_alu 0xfffe
	s_or_b32 exec_lo, exec_lo, s14
	flat_load_b64 v[28:29], v[20:21] offset:5640
	s_mov_b32 s14, exec_lo
	s_wait_loadcnt_dscnt 0x0
	v_and_b32_e32 v0, 0xff, v28
	s_delay_alu instid0(VALU_DEP_1)
	v_cmpx_ne_u16_e32 0, v0
	s_cbranch_execz .LBB311_1491
; %bb.1484:                             ;   in Loop: Header=BB311_11 Depth=1
	v_mov_b32_e32 v115, 0x8000
	s_mov_b32 s15, exec_lo
	v_cmpx_ne_u16_e32 0x80, v0
	s_cbranch_execz .LBB311_1490
; %bb.1485:                             ;   in Loop: Header=BB311_11 Depth=1
	v_and_b32_e32 v13, 0x7f, v28
	v_mov_b32_e32 v115, 0x7c01
	s_mov_b32 s16, exec_lo
	s_delay_alu instid0(VALU_DEP_2)
	v_cmpx_ne_u32_e32 0x7f, v13
	s_cbranch_execz .LBB311_1489
; %bb.1486:                             ;   in Loop: Header=BB311_11 Depth=1
	v_and_b32_e32 v0, 7, v28
	v_lshrrev_b32_e32 v8, 3, v13
	s_mov_b32 s17, exec_lo
	v_cmpx_gt_u32_e32 8, v13
; %bb.1487:                             ;   in Loop: Header=BB311_11 Depth=1
	s_delay_alu instid0(VALU_DEP_3) | instskip(NEXT) | instid1(VALU_DEP_1)
	v_clz_i32_u32_e32 v0, v0
	v_min_u32_e32 v0, 32, v0
	s_delay_alu instid0(VALU_DEP_1) | instskip(NEXT) | instid1(VALU_DEP_1)
	v_subrev_nc_u32_e32 v8, 28, v0
	v_lshlrev_b64_e32 v[13:14], v8, v[28:29]
	v_sub_nc_u32_e32 v8, 29, v0
	s_delay_alu instid0(VALU_DEP_2)
	v_and_b32_e32 v0, 7, v13
; %bb.1488:                             ;   in Loop: Header=BB311_11 Depth=1
	s_wait_alu 0xfffe
	s_or_b32 exec_lo, exec_lo, s17
	v_lshlrev_b32_e32 v13, 8, v28
	v_lshl_add_u32 v8, v8, 10, 0x2000
	v_lshlrev_b32_e32 v0, 7, v0
	s_delay_alu instid0(VALU_DEP_3) | instskip(NEXT) | instid1(VALU_DEP_3)
	v_and_b32_e32 v13, 0x8000, v13
	v_and_b32_e32 v8, 0xfc00, v8
	s_delay_alu instid0(VALU_DEP_1)
	v_or3_b32 v115, v13, v8, v0
.LBB311_1489:                           ;   in Loop: Header=BB311_11 Depth=1
	s_wait_alu 0xfffe
	s_or_b32 exec_lo, exec_lo, s16
.LBB311_1490:                           ;   in Loop: Header=BB311_11 Depth=1
	s_wait_alu 0xfffe
	s_or_b32 exec_lo, exec_lo, s15
.LBB311_1491:                           ;   in Loop: Header=BB311_11 Depth=1
	s_wait_alu 0xfffe
	s_or_b32 exec_lo, exec_lo, s14
	v_lshrrev_b16 v8, 8, v28
	v_mov_b32_e32 v128, 0
	v_mov_b32_e32 v118, 0
	s_mov_b32 s14, exec_lo
	s_delay_alu instid0(VALU_DEP_3)
	v_cmpx_ne_u16_e32 0, v8
	s_cbranch_execz .LBB311_1499
; %bb.1492:                             ;   in Loop: Header=BB311_11 Depth=1
	v_bfrev_b32_e32 v118, 1
	s_mov_b32 s15, exec_lo
	v_cmpx_ne_u16_e32 0x80, v8
	s_cbranch_execz .LBB311_1498
; %bb.1493:                             ;   in Loop: Header=BB311_11 Depth=1
	v_and_b32_e32 v0, 0xffff, v8
	v_mov_b32_e32 v118, 0x7c010000
	s_mov_b32 s16, exec_lo
	s_delay_alu instid0(VALU_DEP_2) | instskip(NEXT) | instid1(VALU_DEP_1)
	v_and_b32_e32 v15, 0x7f, v0
	v_cmpx_ne_u32_e32 0x7f, v15
	s_cbranch_execz .LBB311_1497
; %bb.1494:                             ;   in Loop: Header=BB311_11 Depth=1
	v_and_b32_e32 v13, 7, v0
	v_lshrrev_b32_e32 v14, 3, v15
	s_mov_b32 s17, exec_lo
	v_cmpx_gt_u32_e32 8, v15
; %bb.1495:                             ;   in Loop: Header=BB311_11 Depth=1
	s_delay_alu instid0(VALU_DEP_3) | instskip(NEXT) | instid1(VALU_DEP_1)
	v_clz_i32_u32_e32 v13, v13
	v_min_u32_e32 v15, 32, v13
	s_delay_alu instid0(VALU_DEP_1) | instskip(NEXT) | instid1(VALU_DEP_1)
	v_subrev_nc_u32_e32 v13, 28, v15
	v_lshlrev_b64_e32 v[13:14], v13, v[8:9]
	v_sub_nc_u32_e32 v14, 29, v15
	s_delay_alu instid0(VALU_DEP_2)
	v_and_b32_e32 v13, 7, v13
; %bb.1496:                             ;   in Loop: Header=BB311_11 Depth=1
	s_wait_alu 0xfffe
	s_or_b32 exec_lo, exec_lo, s17
	v_lshlrev_b32_e32 v0, 8, v0
	v_lshl_add_u32 v8, v14, 10, 0x2000
	s_delay_alu instid0(VALU_DEP_1) | instskip(SKIP_1) | instid1(VALU_DEP_1)
	v_and_or_b32 v0, 0x8000, v0, v8
	v_lshlrev_b32_e32 v8, 23, v13
	v_lshl_or_b32 v118, v0, 16, v8
.LBB311_1497:                           ;   in Loop: Header=BB311_11 Depth=1
	s_wait_alu 0xfffe
	s_or_b32 exec_lo, exec_lo, s16
.LBB311_1498:                           ;   in Loop: Header=BB311_11 Depth=1
	s_wait_alu 0xfffe
	s_or_b32 exec_lo, exec_lo, s15
.LBB311_1499:                           ;   in Loop: Header=BB311_11 Depth=1
	s_wait_alu 0xfffe
	s_or_b32 exec_lo, exec_lo, s14
	v_lshrrev_b32_e32 v8, 16, v28
	s_mov_b32 s14, exec_lo
	s_delay_alu instid0(VALU_DEP_1) | instskip(NEXT) | instid1(VALU_DEP_1)
	v_and_b32_e32 v0, 0xff, v8
	v_cmpx_ne_u16_e32 0, v0
	s_cbranch_execz .LBB311_1507
; %bb.1500:                             ;   in Loop: Header=BB311_11 Depth=1
	v_mov_b32_e32 v128, 0x8000
	s_mov_b32 s15, exec_lo
	v_cmpx_ne_u16_e32 0x80, v0
	s_cbranch_execz .LBB311_1506
; %bb.1501:                             ;   in Loop: Header=BB311_11 Depth=1
	v_bfe_u32 v14, v28, 16, 7
	v_mov_b32_e32 v128, 0x7c01
	s_mov_b32 s16, exec_lo
	s_delay_alu instid0(VALU_DEP_2)
	v_cmpx_ne_u32_e32 0x7f, v14
	s_cbranch_execz .LBB311_1505
; %bb.1502:                             ;   in Loop: Header=BB311_11 Depth=1
	v_and_b32_e32 v0, 7, v8
	v_lshrrev_b32_e32 v13, 3, v14
	s_mov_b32 s17, exec_lo
	v_cmpx_gt_u32_e32 8, v14
; %bb.1503:                             ;   in Loop: Header=BB311_11 Depth=1
	s_delay_alu instid0(VALU_DEP_3) | instskip(NEXT) | instid1(VALU_DEP_1)
	v_clz_i32_u32_e32 v0, v0
	v_min_u32_e32 v0, 32, v0
	s_delay_alu instid0(VALU_DEP_1) | instskip(NEXT) | instid1(VALU_DEP_1)
	v_subrev_nc_u32_e32 v13, 28, v0
	v_lshlrev_b64_e32 v[14:15], v13, v[8:9]
	v_sub_nc_u32_e32 v13, 29, v0
	s_delay_alu instid0(VALU_DEP_2)
	v_and_b32_e32 v0, 7, v14
; %bb.1504:                             ;   in Loop: Header=BB311_11 Depth=1
	s_wait_alu 0xfffe
	s_or_b32 exec_lo, exec_lo, s17
	v_lshlrev_b32_e32 v8, 8, v8
	v_lshl_add_u32 v13, v13, 10, 0x2000
	v_lshlrev_b32_e32 v0, 7, v0
	s_delay_alu instid0(VALU_DEP_3) | instskip(NEXT) | instid1(VALU_DEP_3)
	v_and_b32_e32 v8, 0x8000, v8
	v_and_b32_e32 v13, 0xfc00, v13
	s_delay_alu instid0(VALU_DEP_1)
	v_or3_b32 v128, v8, v13, v0
.LBB311_1505:                           ;   in Loop: Header=BB311_11 Depth=1
	s_wait_alu 0xfffe
	s_or_b32 exec_lo, exec_lo, s16
.LBB311_1506:                           ;   in Loop: Header=BB311_11 Depth=1
	s_wait_alu 0xfffe
	s_or_b32 exec_lo, exec_lo, s15
.LBB311_1507:                           ;   in Loop: Header=BB311_11 Depth=1
	s_wait_alu 0xfffe
	s_or_b32 exec_lo, exec_lo, s14
	v_mov_b32_e32 v129, 0
	v_mov_b32_e32 v131, 0
	s_mov_b32 s14, exec_lo
	v_cmpx_lt_u32_e32 0xffffff, v28
	s_cbranch_execz .LBB311_1515
; %bb.1508:                             ;   in Loop: Header=BB311_11 Depth=1
	v_lshrrev_b32_e32 v8, 24, v28
	v_bfrev_b32_e32 v131, 1
	s_mov_b32 s15, exec_lo
	s_delay_alu instid0(VALU_DEP_2)
	v_cmpx_ne_u32_e32 0x80, v8
	s_cbranch_execz .LBB311_1514
; %bb.1509:                             ;   in Loop: Header=BB311_11 Depth=1
	v_and_b32_e32 v14, 0x7f, v8
	v_mov_b32_e32 v131, 0x7c010000
	s_mov_b32 s16, exec_lo
	s_delay_alu instid0(VALU_DEP_2)
	v_cmpx_ne_u32_e32 0x7f, v14
	s_cbranch_execz .LBB311_1513
; %bb.1510:                             ;   in Loop: Header=BB311_11 Depth=1
	v_and_b32_e32 v0, 7, v8
	v_lshrrev_b32_e32 v13, 3, v14
	s_mov_b32 s17, exec_lo
	v_cmpx_gt_u32_e32 8, v14
; %bb.1511:                             ;   in Loop: Header=BB311_11 Depth=1
	s_delay_alu instid0(VALU_DEP_3) | instskip(NEXT) | instid1(VALU_DEP_1)
	v_clz_i32_u32_e32 v0, v0
	v_min_u32_e32 v0, 32, v0
	s_delay_alu instid0(VALU_DEP_1) | instskip(NEXT) | instid1(VALU_DEP_1)
	v_subrev_nc_u32_e32 v13, 28, v0
	v_lshlrev_b64_e32 v[14:15], v13, v[8:9]
	v_sub_nc_u32_e32 v13, 29, v0
	s_delay_alu instid0(VALU_DEP_2)
	v_and_b32_e32 v0, 7, v14
; %bb.1512:                             ;   in Loop: Header=BB311_11 Depth=1
	s_wait_alu 0xfffe
	s_or_b32 exec_lo, exec_lo, s17
	v_lshlrev_b32_e32 v8, 8, v8
	v_lshl_add_u32 v13, v13, 10, 0x2000
	v_lshlrev_b32_e32 v0, 23, v0
	s_delay_alu instid0(VALU_DEP_2) | instskip(NEXT) | instid1(VALU_DEP_1)
	v_and_or_b32 v8, 0x8000, v8, v13
	v_lshl_or_b32 v131, v8, 16, v0
.LBB311_1513:                           ;   in Loop: Header=BB311_11 Depth=1
	s_wait_alu 0xfffe
	s_or_b32 exec_lo, exec_lo, s16
.LBB311_1514:                           ;   in Loop: Header=BB311_11 Depth=1
	s_wait_alu 0xfffe
	s_or_b32 exec_lo, exec_lo, s15
.LBB311_1515:                           ;   in Loop: Header=BB311_11 Depth=1
	s_wait_alu 0xfffe
	s_or_b32 exec_lo, exec_lo, s14
	v_and_b32_e32 v0, 0xff, v29
	v_mov_b32_e32 v8, v29
	s_mov_b32 s14, exec_lo
	s_delay_alu instid0(VALU_DEP_2)
	v_cmpx_ne_u16_e32 0, v0
	s_cbranch_execz .LBB311_1523
; %bb.1516:                             ;   in Loop: Header=BB311_11 Depth=1
	v_mov_b32_e32 v129, 0x8000
	s_mov_b32 s15, exec_lo
	v_cmpx_ne_u16_e32 0x80, v0
	s_cbranch_execz .LBB311_1522
; %bb.1517:                             ;   in Loop: Header=BB311_11 Depth=1
	v_and_b32_e32 v14, 0x7f, v29
	v_mov_b32_e32 v129, 0x7c01
	s_mov_b32 s16, exec_lo
	s_delay_alu instid0(VALU_DEP_2)
	v_cmpx_ne_u32_e32 0x7f, v14
	s_cbranch_execz .LBB311_1521
; %bb.1518:                             ;   in Loop: Header=BB311_11 Depth=1
	v_and_b32_e32 v0, 7, v29
	v_lshrrev_b32_e32 v13, 3, v14
	s_mov_b32 s17, exec_lo
	v_cmpx_gt_u32_e32 8, v14
; %bb.1519:                             ;   in Loop: Header=BB311_11 Depth=1
	s_delay_alu instid0(VALU_DEP_3) | instskip(NEXT) | instid1(VALU_DEP_1)
	v_clz_i32_u32_e32 v0, v0
	v_min_u32_e32 v0, 32, v0
	s_delay_alu instid0(VALU_DEP_1) | instskip(NEXT) | instid1(VALU_DEP_1)
	v_subrev_nc_u32_e32 v13, 28, v0
	v_lshlrev_b64_e32 v[14:15], v13, v[8:9]
	v_sub_nc_u32_e32 v13, 29, v0
	s_delay_alu instid0(VALU_DEP_2)
	v_and_b32_e32 v0, 7, v14
; %bb.1520:                             ;   in Loop: Header=BB311_11 Depth=1
	s_wait_alu 0xfffe
	s_or_b32 exec_lo, exec_lo, s17
	v_lshlrev_b32_e32 v14, 8, v29
	v_lshl_add_u32 v13, v13, 10, 0x2000
	v_lshlrev_b32_e32 v0, 7, v0
	s_delay_alu instid0(VALU_DEP_3) | instskip(NEXT) | instid1(VALU_DEP_3)
	v_and_b32_e32 v14, 0x8000, v14
	v_and_b32_e32 v13, 0xfc00, v13
	s_delay_alu instid0(VALU_DEP_1)
	v_or3_b32 v129, v14, v13, v0
.LBB311_1521:                           ;   in Loop: Header=BB311_11 Depth=1
	s_wait_alu 0xfffe
	s_or_b32 exec_lo, exec_lo, s16
.LBB311_1522:                           ;   in Loop: Header=BB311_11 Depth=1
	s_wait_alu 0xfffe
	s_or_b32 exec_lo, exec_lo, s15
.LBB311_1523:                           ;   in Loop: Header=BB311_11 Depth=1
	s_wait_alu 0xfffe
	s_or_b32 exec_lo, exec_lo, s14
	v_lshrrev_b16 v8, 8, v8
	v_dual_mov_b32 v161, 0 :: v_dual_mov_b32 v140, 0
	s_mov_b32 s14, exec_lo
	s_delay_alu instid0(VALU_DEP_2)
	v_cmpx_ne_u16_e32 0, v8
	s_cbranch_execz .LBB311_1531
; %bb.1524:                             ;   in Loop: Header=BB311_11 Depth=1
	v_bfrev_b32_e32 v140, 1
	s_mov_b32 s15, exec_lo
	v_cmpx_ne_u16_e32 0x80, v8
	s_cbranch_execz .LBB311_1530
; %bb.1525:                             ;   in Loop: Header=BB311_11 Depth=1
	v_and_b32_e32 v0, 0xffff, v8
	v_mov_b32_e32 v140, 0x7c010000
	s_mov_b32 s16, exec_lo
	s_delay_alu instid0(VALU_DEP_2) | instskip(NEXT) | instid1(VALU_DEP_1)
	v_and_b32_e32 v15, 0x7f, v0
	v_cmpx_ne_u32_e32 0x7f, v15
	s_cbranch_execz .LBB311_1529
; %bb.1526:                             ;   in Loop: Header=BB311_11 Depth=1
	v_and_b32_e32 v13, 7, v0
	v_lshrrev_b32_e32 v14, 3, v15
	s_mov_b32 s17, exec_lo
	v_cmpx_gt_u32_e32 8, v15
; %bb.1527:                             ;   in Loop: Header=BB311_11 Depth=1
	s_delay_alu instid0(VALU_DEP_3) | instskip(NEXT) | instid1(VALU_DEP_1)
	v_clz_i32_u32_e32 v13, v13
	v_min_u32_e32 v15, 32, v13
	s_delay_alu instid0(VALU_DEP_1) | instskip(NEXT) | instid1(VALU_DEP_1)
	v_subrev_nc_u32_e32 v13, 28, v15
	v_lshlrev_b64_e32 v[13:14], v13, v[8:9]
	v_sub_nc_u32_e32 v14, 29, v15
	s_delay_alu instid0(VALU_DEP_2)
	v_and_b32_e32 v13, 7, v13
; %bb.1528:                             ;   in Loop: Header=BB311_11 Depth=1
	s_wait_alu 0xfffe
	s_or_b32 exec_lo, exec_lo, s17
	v_lshlrev_b32_e32 v0, 8, v0
	v_lshl_add_u32 v8, v14, 10, 0x2000
	s_delay_alu instid0(VALU_DEP_1) | instskip(SKIP_1) | instid1(VALU_DEP_1)
	v_and_or_b32 v0, 0x8000, v0, v8
	v_lshlrev_b32_e32 v8, 23, v13
	v_lshl_or_b32 v140, v0, 16, v8
.LBB311_1529:                           ;   in Loop: Header=BB311_11 Depth=1
	s_wait_alu 0xfffe
	s_or_b32 exec_lo, exec_lo, s16
.LBB311_1530:                           ;   in Loop: Header=BB311_11 Depth=1
	s_wait_alu 0xfffe
	s_or_b32 exec_lo, exec_lo, s15
.LBB311_1531:                           ;   in Loop: Header=BB311_11 Depth=1
	s_wait_alu 0xfffe
	s_or_b32 exec_lo, exec_lo, s14
	v_lshrrev_b32_e32 v8, 16, v29
	s_mov_b32 s14, exec_lo
	s_delay_alu instid0(VALU_DEP_1) | instskip(NEXT) | instid1(VALU_DEP_1)
	v_and_b32_e32 v0, 0xff, v8
	v_cmpx_ne_u16_e32 0, v0
	s_cbranch_execz .LBB311_1539
; %bb.1532:                             ;   in Loop: Header=BB311_11 Depth=1
	v_mov_b32_e32 v161, 0x8000
	s_mov_b32 s15, exec_lo
	v_cmpx_ne_u16_e32 0x80, v0
	s_cbranch_execz .LBB311_1538
; %bb.1533:                             ;   in Loop: Header=BB311_11 Depth=1
	v_bfe_u32 v14, v29, 16, 7
	v_mov_b32_e32 v161, 0x7c01
	s_mov_b32 s16, exec_lo
	s_delay_alu instid0(VALU_DEP_2)
	v_cmpx_ne_u32_e32 0x7f, v14
	s_cbranch_execz .LBB311_1537
; %bb.1534:                             ;   in Loop: Header=BB311_11 Depth=1
	v_and_b32_e32 v0, 7, v8
	v_lshrrev_b32_e32 v13, 3, v14
	s_mov_b32 s17, exec_lo
	v_cmpx_gt_u32_e32 8, v14
; %bb.1535:                             ;   in Loop: Header=BB311_11 Depth=1
	s_delay_alu instid0(VALU_DEP_3) | instskip(NEXT) | instid1(VALU_DEP_1)
	v_clz_i32_u32_e32 v0, v0
	v_min_u32_e32 v0, 32, v0
	s_delay_alu instid0(VALU_DEP_1) | instskip(NEXT) | instid1(VALU_DEP_1)
	v_subrev_nc_u32_e32 v13, 28, v0
	v_lshlrev_b64_e32 v[14:15], v13, v[8:9]
	v_sub_nc_u32_e32 v13, 29, v0
	s_delay_alu instid0(VALU_DEP_2)
	v_and_b32_e32 v0, 7, v14
; %bb.1536:                             ;   in Loop: Header=BB311_11 Depth=1
	s_wait_alu 0xfffe
	s_or_b32 exec_lo, exec_lo, s17
	v_lshlrev_b32_e32 v8, 8, v8
	v_lshl_add_u32 v13, v13, 10, 0x2000
	v_lshlrev_b32_e32 v0, 7, v0
	s_delay_alu instid0(VALU_DEP_3) | instskip(NEXT) | instid1(VALU_DEP_3)
	v_and_b32_e32 v8, 0x8000, v8
	v_and_b32_e32 v13, 0xfc00, v13
	s_delay_alu instid0(VALU_DEP_1)
	v_or3_b32 v161, v8, v13, v0
.LBB311_1537:                           ;   in Loop: Header=BB311_11 Depth=1
	s_wait_alu 0xfffe
	s_or_b32 exec_lo, exec_lo, s16
.LBB311_1538:                           ;   in Loop: Header=BB311_11 Depth=1
	s_wait_alu 0xfffe
	s_or_b32 exec_lo, exec_lo, s15
.LBB311_1539:                           ;   in Loop: Header=BB311_11 Depth=1
	s_wait_alu 0xfffe
	s_or_b32 exec_lo, exec_lo, s14
	v_dual_mov_b32 v24, 0 :: v_dual_mov_b32 v141, 0
	s_mov_b32 s14, exec_lo
	v_cmpx_lt_u64_e64 s[2:3], v[28:29]
	s_cbranch_execz .LBB311_1547
; %bb.1540:                             ;   in Loop: Header=BB311_11 Depth=1
	v_lshrrev_b32_e32 v8, 24, v29
	v_bfrev_b32_e32 v141, 1
	s_mov_b32 s15, exec_lo
	s_delay_alu instid0(VALU_DEP_2)
	v_cmpx_ne_u32_e32 0x80, v8
	s_cbranch_execz .LBB311_1546
; %bb.1541:                             ;   in Loop: Header=BB311_11 Depth=1
	v_and_b32_e32 v14, 0x7f, v8
	v_mov_b32_e32 v141, 0x7c010000
	s_mov_b32 s16, exec_lo
	s_delay_alu instid0(VALU_DEP_2)
	v_cmpx_ne_u32_e32 0x7f, v14
	s_cbranch_execz .LBB311_1545
; %bb.1542:                             ;   in Loop: Header=BB311_11 Depth=1
	v_and_b32_e32 v0, 7, v8
	v_lshrrev_b32_e32 v13, 3, v14
	s_mov_b32 s17, exec_lo
	v_cmpx_gt_u32_e32 8, v14
; %bb.1543:                             ;   in Loop: Header=BB311_11 Depth=1
	s_delay_alu instid0(VALU_DEP_3) | instskip(NEXT) | instid1(VALU_DEP_1)
	v_clz_i32_u32_e32 v0, v0
	v_min_u32_e32 v0, 32, v0
	s_delay_alu instid0(VALU_DEP_1) | instskip(NEXT) | instid1(VALU_DEP_1)
	v_subrev_nc_u32_e32 v13, 28, v0
	v_lshlrev_b64_e32 v[14:15], v13, v[8:9]
	v_sub_nc_u32_e32 v13, 29, v0
	s_delay_alu instid0(VALU_DEP_2)
	v_and_b32_e32 v0, 7, v14
; %bb.1544:                             ;   in Loop: Header=BB311_11 Depth=1
	s_wait_alu 0xfffe
	s_or_b32 exec_lo, exec_lo, s17
	v_lshlrev_b32_e32 v8, 8, v8
	v_lshl_add_u32 v13, v13, 10, 0x2000
	v_lshlrev_b32_e32 v0, 23, v0
	s_delay_alu instid0(VALU_DEP_2) | instskip(NEXT) | instid1(VALU_DEP_1)
	v_and_or_b32 v8, 0x8000, v8, v13
	v_lshl_or_b32 v141, v8, 16, v0
.LBB311_1545:                           ;   in Loop: Header=BB311_11 Depth=1
	s_wait_alu 0xfffe
	s_or_b32 exec_lo, exec_lo, s16
.LBB311_1546:                           ;   in Loop: Header=BB311_11 Depth=1
	s_wait_alu 0xfffe
	s_or_b32 exec_lo, exec_lo, s15
.LBB311_1547:                           ;   in Loop: Header=BB311_11 Depth=1
	s_wait_alu 0xfffe
	s_or_b32 exec_lo, exec_lo, s14
	flat_load_b64 v[28:29], v[20:21] offset:6144
	s_mov_b32 s14, exec_lo
	s_wait_loadcnt_dscnt 0x0
	v_and_b32_e32 v0, 0xff, v28
	s_delay_alu instid0(VALU_DEP_1)
	v_cmpx_ne_u16_e32 0, v0
	s_cbranch_execz .LBB311_1555
; %bb.1548:                             ;   in Loop: Header=BB311_11 Depth=1
	v_mov_b32_e32 v24, 0x8000
	s_mov_b32 s15, exec_lo
	v_cmpx_ne_u16_e32 0x80, v0
	s_cbranch_execz .LBB311_1554
; %bb.1549:                             ;   in Loop: Header=BB311_11 Depth=1
	v_and_b32_e32 v13, 0x7f, v28
	v_mov_b32_e32 v24, 0x7c01
	s_mov_b32 s16, exec_lo
	s_delay_alu instid0(VALU_DEP_2)
	v_cmpx_ne_u32_e32 0x7f, v13
	s_cbranch_execz .LBB311_1553
; %bb.1550:                             ;   in Loop: Header=BB311_11 Depth=1
	v_and_b32_e32 v0, 7, v28
	v_lshrrev_b32_e32 v8, 3, v13
	s_mov_b32 s17, exec_lo
	v_cmpx_gt_u32_e32 8, v13
; %bb.1551:                             ;   in Loop: Header=BB311_11 Depth=1
	s_delay_alu instid0(VALU_DEP_3) | instskip(NEXT) | instid1(VALU_DEP_1)
	v_clz_i32_u32_e32 v0, v0
	v_min_u32_e32 v0, 32, v0
	s_delay_alu instid0(VALU_DEP_1) | instskip(NEXT) | instid1(VALU_DEP_1)
	v_subrev_nc_u32_e32 v8, 28, v0
	v_lshlrev_b64_e32 v[13:14], v8, v[28:29]
	v_sub_nc_u32_e32 v8, 29, v0
	s_delay_alu instid0(VALU_DEP_2)
	v_and_b32_e32 v0, 7, v13
; %bb.1552:                             ;   in Loop: Header=BB311_11 Depth=1
	s_wait_alu 0xfffe
	s_or_b32 exec_lo, exec_lo, s17
	v_lshlrev_b32_e32 v13, 8, v28
	v_lshl_add_u32 v8, v8, 10, 0x2000
	v_lshlrev_b32_e32 v0, 7, v0
	s_delay_alu instid0(VALU_DEP_3) | instskip(NEXT) | instid1(VALU_DEP_3)
	v_and_b32_e32 v13, 0x8000, v13
	v_and_b32_e32 v8, 0xfc00, v8
	s_delay_alu instid0(VALU_DEP_1)
	v_or3_b32 v24, v13, v8, v0
.LBB311_1553:                           ;   in Loop: Header=BB311_11 Depth=1
	s_wait_alu 0xfffe
	s_or_b32 exec_lo, exec_lo, s16
.LBB311_1554:                           ;   in Loop: Header=BB311_11 Depth=1
	s_wait_alu 0xfffe
	s_or_b32 exec_lo, exec_lo, s15
.LBB311_1555:                           ;   in Loop: Header=BB311_11 Depth=1
	s_wait_alu 0xfffe
	s_or_b32 exec_lo, exec_lo, s14
	v_lshrrev_b16 v8, 8, v28
	v_mov_b32_e32 v96, 0
	v_mov_b32_e32 v86, 0
	s_mov_b32 s14, exec_lo
	s_delay_alu instid0(VALU_DEP_3)
	v_cmpx_ne_u16_e32 0, v8
	s_cbranch_execz .LBB311_1563
; %bb.1556:                             ;   in Loop: Header=BB311_11 Depth=1
	v_bfrev_b32_e32 v86, 1
	s_mov_b32 s15, exec_lo
	v_cmpx_ne_u16_e32 0x80, v8
	s_cbranch_execz .LBB311_1562
; %bb.1557:                             ;   in Loop: Header=BB311_11 Depth=1
	v_and_b32_e32 v0, 0xffff, v8
	v_mov_b32_e32 v86, 0x7c010000
	s_mov_b32 s16, exec_lo
	s_delay_alu instid0(VALU_DEP_2) | instskip(NEXT) | instid1(VALU_DEP_1)
	v_and_b32_e32 v15, 0x7f, v0
	v_cmpx_ne_u32_e32 0x7f, v15
	s_cbranch_execz .LBB311_1561
; %bb.1558:                             ;   in Loop: Header=BB311_11 Depth=1
	v_and_b32_e32 v13, 7, v0
	v_lshrrev_b32_e32 v14, 3, v15
	s_mov_b32 s17, exec_lo
	v_cmpx_gt_u32_e32 8, v15
; %bb.1559:                             ;   in Loop: Header=BB311_11 Depth=1
	s_delay_alu instid0(VALU_DEP_3) | instskip(NEXT) | instid1(VALU_DEP_1)
	v_clz_i32_u32_e32 v13, v13
	v_min_u32_e32 v15, 32, v13
	s_delay_alu instid0(VALU_DEP_1) | instskip(NEXT) | instid1(VALU_DEP_1)
	v_subrev_nc_u32_e32 v13, 28, v15
	v_lshlrev_b64_e32 v[13:14], v13, v[8:9]
	v_sub_nc_u32_e32 v14, 29, v15
	s_delay_alu instid0(VALU_DEP_2)
	v_and_b32_e32 v13, 7, v13
; %bb.1560:                             ;   in Loop: Header=BB311_11 Depth=1
	s_wait_alu 0xfffe
	s_or_b32 exec_lo, exec_lo, s17
	v_lshlrev_b32_e32 v0, 8, v0
	v_lshl_add_u32 v8, v14, 10, 0x2000
	s_delay_alu instid0(VALU_DEP_1) | instskip(SKIP_1) | instid1(VALU_DEP_1)
	v_and_or_b32 v0, 0x8000, v0, v8
	v_lshlrev_b32_e32 v8, 23, v13
	v_lshl_or_b32 v86, v0, 16, v8
.LBB311_1561:                           ;   in Loop: Header=BB311_11 Depth=1
	s_wait_alu 0xfffe
	s_or_b32 exec_lo, exec_lo, s16
.LBB311_1562:                           ;   in Loop: Header=BB311_11 Depth=1
	s_wait_alu 0xfffe
	s_or_b32 exec_lo, exec_lo, s15
.LBB311_1563:                           ;   in Loop: Header=BB311_11 Depth=1
	s_wait_alu 0xfffe
	s_or_b32 exec_lo, exec_lo, s14
	v_lshrrev_b32_e32 v8, 16, v28
	s_mov_b32 s14, exec_lo
	s_delay_alu instid0(VALU_DEP_1) | instskip(NEXT) | instid1(VALU_DEP_1)
	v_and_b32_e32 v0, 0xff, v8
	v_cmpx_ne_u16_e32 0, v0
	s_cbranch_execz .LBB311_1571
; %bb.1564:                             ;   in Loop: Header=BB311_11 Depth=1
	v_mov_b32_e32 v96, 0x8000
	s_mov_b32 s15, exec_lo
	v_cmpx_ne_u16_e32 0x80, v0
	s_cbranch_execz .LBB311_1570
; %bb.1565:                             ;   in Loop: Header=BB311_11 Depth=1
	v_bfe_u32 v14, v28, 16, 7
	v_mov_b32_e32 v96, 0x7c01
	s_mov_b32 s16, exec_lo
	s_delay_alu instid0(VALU_DEP_2)
	v_cmpx_ne_u32_e32 0x7f, v14
	s_cbranch_execz .LBB311_1569
; %bb.1566:                             ;   in Loop: Header=BB311_11 Depth=1
	v_and_b32_e32 v0, 7, v8
	v_lshrrev_b32_e32 v13, 3, v14
	s_mov_b32 s17, exec_lo
	v_cmpx_gt_u32_e32 8, v14
; %bb.1567:                             ;   in Loop: Header=BB311_11 Depth=1
	s_delay_alu instid0(VALU_DEP_3) | instskip(NEXT) | instid1(VALU_DEP_1)
	v_clz_i32_u32_e32 v0, v0
	v_min_u32_e32 v0, 32, v0
	s_delay_alu instid0(VALU_DEP_1) | instskip(NEXT) | instid1(VALU_DEP_1)
	v_subrev_nc_u32_e32 v13, 28, v0
	v_lshlrev_b64_e32 v[14:15], v13, v[8:9]
	v_sub_nc_u32_e32 v13, 29, v0
	s_delay_alu instid0(VALU_DEP_2)
	v_and_b32_e32 v0, 7, v14
; %bb.1568:                             ;   in Loop: Header=BB311_11 Depth=1
	s_wait_alu 0xfffe
	s_or_b32 exec_lo, exec_lo, s17
	v_lshlrev_b32_e32 v8, 8, v8
	v_lshl_add_u32 v13, v13, 10, 0x2000
	v_lshlrev_b32_e32 v0, 7, v0
	s_delay_alu instid0(VALU_DEP_3) | instskip(NEXT) | instid1(VALU_DEP_3)
	v_and_b32_e32 v8, 0x8000, v8
	v_and_b32_e32 v13, 0xfc00, v13
	s_delay_alu instid0(VALU_DEP_1)
	v_or3_b32 v96, v8, v13, v0
.LBB311_1569:                           ;   in Loop: Header=BB311_11 Depth=1
	s_wait_alu 0xfffe
	s_or_b32 exec_lo, exec_lo, s16
.LBB311_1570:                           ;   in Loop: Header=BB311_11 Depth=1
	s_wait_alu 0xfffe
	s_or_b32 exec_lo, exec_lo, s15
.LBB311_1571:                           ;   in Loop: Header=BB311_11 Depth=1
	s_wait_alu 0xfffe
	s_or_b32 exec_lo, exec_lo, s14
	v_mov_b32_e32 v97, 0
	v_mov_b32_e32 v99, 0
	s_mov_b32 s14, exec_lo
	v_cmpx_lt_u32_e32 0xffffff, v28
	s_cbranch_execz .LBB311_1579
; %bb.1572:                             ;   in Loop: Header=BB311_11 Depth=1
	v_lshrrev_b32_e32 v8, 24, v28
	v_bfrev_b32_e32 v99, 1
	s_mov_b32 s15, exec_lo
	s_delay_alu instid0(VALU_DEP_2)
	v_cmpx_ne_u32_e32 0x80, v8
	s_cbranch_execz .LBB311_1578
; %bb.1573:                             ;   in Loop: Header=BB311_11 Depth=1
	v_and_b32_e32 v14, 0x7f, v8
	v_mov_b32_e32 v99, 0x7c010000
	s_mov_b32 s16, exec_lo
	s_delay_alu instid0(VALU_DEP_2)
	v_cmpx_ne_u32_e32 0x7f, v14
	s_cbranch_execz .LBB311_1577
; %bb.1574:                             ;   in Loop: Header=BB311_11 Depth=1
	v_and_b32_e32 v0, 7, v8
	v_lshrrev_b32_e32 v13, 3, v14
	s_mov_b32 s17, exec_lo
	v_cmpx_gt_u32_e32 8, v14
; %bb.1575:                             ;   in Loop: Header=BB311_11 Depth=1
	s_delay_alu instid0(VALU_DEP_3) | instskip(NEXT) | instid1(VALU_DEP_1)
	v_clz_i32_u32_e32 v0, v0
	v_min_u32_e32 v0, 32, v0
	s_delay_alu instid0(VALU_DEP_1) | instskip(NEXT) | instid1(VALU_DEP_1)
	v_subrev_nc_u32_e32 v13, 28, v0
	v_lshlrev_b64_e32 v[14:15], v13, v[8:9]
	v_sub_nc_u32_e32 v13, 29, v0
	s_delay_alu instid0(VALU_DEP_2)
	v_and_b32_e32 v0, 7, v14
; %bb.1576:                             ;   in Loop: Header=BB311_11 Depth=1
	s_wait_alu 0xfffe
	s_or_b32 exec_lo, exec_lo, s17
	v_lshlrev_b32_e32 v8, 8, v8
	v_lshl_add_u32 v13, v13, 10, 0x2000
	v_lshlrev_b32_e32 v0, 23, v0
	s_delay_alu instid0(VALU_DEP_2) | instskip(NEXT) | instid1(VALU_DEP_1)
	v_and_or_b32 v8, 0x8000, v8, v13
	v_lshl_or_b32 v99, v8, 16, v0
.LBB311_1577:                           ;   in Loop: Header=BB311_11 Depth=1
	s_wait_alu 0xfffe
	s_or_b32 exec_lo, exec_lo, s16
.LBB311_1578:                           ;   in Loop: Header=BB311_11 Depth=1
	s_wait_alu 0xfffe
	s_or_b32 exec_lo, exec_lo, s15
.LBB311_1579:                           ;   in Loop: Header=BB311_11 Depth=1
	s_wait_alu 0xfffe
	s_or_b32 exec_lo, exec_lo, s14
	v_and_b32_e32 v0, 0xff, v29
	v_mov_b32_e32 v8, v29
	s_mov_b32 s14, exec_lo
	s_delay_alu instid0(VALU_DEP_2)
	v_cmpx_ne_u16_e32 0, v0
	s_cbranch_execz .LBB311_1587
; %bb.1580:                             ;   in Loop: Header=BB311_11 Depth=1
	v_mov_b32_e32 v97, 0x8000
	s_mov_b32 s15, exec_lo
	v_cmpx_ne_u16_e32 0x80, v0
	s_cbranch_execz .LBB311_1586
; %bb.1581:                             ;   in Loop: Header=BB311_11 Depth=1
	v_and_b32_e32 v14, 0x7f, v29
	v_mov_b32_e32 v97, 0x7c01
	s_mov_b32 s16, exec_lo
	s_delay_alu instid0(VALU_DEP_2)
	v_cmpx_ne_u32_e32 0x7f, v14
	s_cbranch_execz .LBB311_1585
; %bb.1582:                             ;   in Loop: Header=BB311_11 Depth=1
	v_and_b32_e32 v0, 7, v29
	v_lshrrev_b32_e32 v13, 3, v14
	s_mov_b32 s17, exec_lo
	v_cmpx_gt_u32_e32 8, v14
; %bb.1583:                             ;   in Loop: Header=BB311_11 Depth=1
	s_delay_alu instid0(VALU_DEP_3) | instskip(NEXT) | instid1(VALU_DEP_1)
	v_clz_i32_u32_e32 v0, v0
	v_min_u32_e32 v0, 32, v0
	s_delay_alu instid0(VALU_DEP_1) | instskip(NEXT) | instid1(VALU_DEP_1)
	v_subrev_nc_u32_e32 v13, 28, v0
	v_lshlrev_b64_e32 v[14:15], v13, v[8:9]
	v_sub_nc_u32_e32 v13, 29, v0
	s_delay_alu instid0(VALU_DEP_2)
	v_and_b32_e32 v0, 7, v14
; %bb.1584:                             ;   in Loop: Header=BB311_11 Depth=1
	s_wait_alu 0xfffe
	s_or_b32 exec_lo, exec_lo, s17
	v_lshlrev_b32_e32 v14, 8, v29
	v_lshl_add_u32 v13, v13, 10, 0x2000
	v_lshlrev_b32_e32 v0, 7, v0
	s_delay_alu instid0(VALU_DEP_3) | instskip(NEXT) | instid1(VALU_DEP_3)
	v_and_b32_e32 v14, 0x8000, v14
	v_and_b32_e32 v13, 0xfc00, v13
	s_delay_alu instid0(VALU_DEP_1)
	v_or3_b32 v97, v14, v13, v0
.LBB311_1585:                           ;   in Loop: Header=BB311_11 Depth=1
	s_wait_alu 0xfffe
	s_or_b32 exec_lo, exec_lo, s16
.LBB311_1586:                           ;   in Loop: Header=BB311_11 Depth=1
	s_wait_alu 0xfffe
	s_or_b32 exec_lo, exec_lo, s15
.LBB311_1587:                           ;   in Loop: Header=BB311_11 Depth=1
	s_wait_alu 0xfffe
	s_or_b32 exec_lo, exec_lo, s14
	v_lshrrev_b16 v8, 8, v8
	v_dual_mov_b32 v134, 0 :: v_dual_mov_b32 v109, 0
	s_mov_b32 s14, exec_lo
	s_delay_alu instid0(VALU_DEP_2)
	v_cmpx_ne_u16_e32 0, v8
	s_cbranch_execz .LBB311_1595
; %bb.1588:                             ;   in Loop: Header=BB311_11 Depth=1
	v_bfrev_b32_e32 v109, 1
	s_mov_b32 s15, exec_lo
	v_cmpx_ne_u16_e32 0x80, v8
	s_cbranch_execz .LBB311_1594
; %bb.1589:                             ;   in Loop: Header=BB311_11 Depth=1
	v_and_b32_e32 v0, 0xffff, v8
	v_mov_b32_e32 v109, 0x7c010000
	s_mov_b32 s16, exec_lo
	s_delay_alu instid0(VALU_DEP_2) | instskip(NEXT) | instid1(VALU_DEP_1)
	v_and_b32_e32 v15, 0x7f, v0
	v_cmpx_ne_u32_e32 0x7f, v15
	s_cbranch_execz .LBB311_1593
; %bb.1590:                             ;   in Loop: Header=BB311_11 Depth=1
	v_and_b32_e32 v13, 7, v0
	v_lshrrev_b32_e32 v14, 3, v15
	s_mov_b32 s17, exec_lo
	v_cmpx_gt_u32_e32 8, v15
; %bb.1591:                             ;   in Loop: Header=BB311_11 Depth=1
	s_delay_alu instid0(VALU_DEP_3) | instskip(NEXT) | instid1(VALU_DEP_1)
	v_clz_i32_u32_e32 v13, v13
	v_min_u32_e32 v15, 32, v13
	s_delay_alu instid0(VALU_DEP_1) | instskip(NEXT) | instid1(VALU_DEP_1)
	v_subrev_nc_u32_e32 v13, 28, v15
	v_lshlrev_b64_e32 v[13:14], v13, v[8:9]
	v_sub_nc_u32_e32 v14, 29, v15
	s_delay_alu instid0(VALU_DEP_2)
	v_and_b32_e32 v13, 7, v13
; %bb.1592:                             ;   in Loop: Header=BB311_11 Depth=1
	s_wait_alu 0xfffe
	s_or_b32 exec_lo, exec_lo, s17
	v_lshlrev_b32_e32 v0, 8, v0
	v_lshl_add_u32 v8, v14, 10, 0x2000
	s_delay_alu instid0(VALU_DEP_1) | instskip(SKIP_1) | instid1(VALU_DEP_1)
	v_and_or_b32 v0, 0x8000, v0, v8
	v_lshlrev_b32_e32 v8, 23, v13
	v_lshl_or_b32 v109, v0, 16, v8
.LBB311_1593:                           ;   in Loop: Header=BB311_11 Depth=1
	s_wait_alu 0xfffe
	s_or_b32 exec_lo, exec_lo, s16
.LBB311_1594:                           ;   in Loop: Header=BB311_11 Depth=1
	s_wait_alu 0xfffe
	s_or_b32 exec_lo, exec_lo, s15
.LBB311_1595:                           ;   in Loop: Header=BB311_11 Depth=1
	s_wait_alu 0xfffe
	s_or_b32 exec_lo, exec_lo, s14
	v_lshrrev_b32_e32 v8, 16, v29
	s_mov_b32 s14, exec_lo
	s_delay_alu instid0(VALU_DEP_1) | instskip(NEXT) | instid1(VALU_DEP_1)
	v_and_b32_e32 v0, 0xff, v8
	v_cmpx_ne_u16_e32 0, v0
	s_cbranch_execz .LBB311_1603
; %bb.1596:                             ;   in Loop: Header=BB311_11 Depth=1
	v_mov_b32_e32 v134, 0x8000
	s_mov_b32 s15, exec_lo
	v_cmpx_ne_u16_e32 0x80, v0
	s_cbranch_execz .LBB311_1602
; %bb.1597:                             ;   in Loop: Header=BB311_11 Depth=1
	v_bfe_u32 v14, v29, 16, 7
	v_mov_b32_e32 v134, 0x7c01
	s_mov_b32 s16, exec_lo
	s_delay_alu instid0(VALU_DEP_2)
	v_cmpx_ne_u32_e32 0x7f, v14
	s_cbranch_execz .LBB311_1601
; %bb.1598:                             ;   in Loop: Header=BB311_11 Depth=1
	v_and_b32_e32 v0, 7, v8
	v_lshrrev_b32_e32 v13, 3, v14
	s_mov_b32 s17, exec_lo
	v_cmpx_gt_u32_e32 8, v14
; %bb.1599:                             ;   in Loop: Header=BB311_11 Depth=1
	s_delay_alu instid0(VALU_DEP_3) | instskip(NEXT) | instid1(VALU_DEP_1)
	v_clz_i32_u32_e32 v0, v0
	v_min_u32_e32 v0, 32, v0
	s_delay_alu instid0(VALU_DEP_1) | instskip(NEXT) | instid1(VALU_DEP_1)
	v_subrev_nc_u32_e32 v13, 28, v0
	v_lshlrev_b64_e32 v[14:15], v13, v[8:9]
	v_sub_nc_u32_e32 v13, 29, v0
	s_delay_alu instid0(VALU_DEP_2)
	v_and_b32_e32 v0, 7, v14
; %bb.1600:                             ;   in Loop: Header=BB311_11 Depth=1
	s_wait_alu 0xfffe
	s_or_b32 exec_lo, exec_lo, s17
	v_lshlrev_b32_e32 v8, 8, v8
	v_lshl_add_u32 v13, v13, 10, 0x2000
	v_lshlrev_b32_e32 v0, 7, v0
	s_delay_alu instid0(VALU_DEP_3) | instskip(NEXT) | instid1(VALU_DEP_3)
	v_and_b32_e32 v8, 0x8000, v8
	v_and_b32_e32 v13, 0xfc00, v13
	s_delay_alu instid0(VALU_DEP_1)
	v_or3_b32 v134, v8, v13, v0
.LBB311_1601:                           ;   in Loop: Header=BB311_11 Depth=1
	s_wait_alu 0xfffe
	s_or_b32 exec_lo, exec_lo, s16
.LBB311_1602:                           ;   in Loop: Header=BB311_11 Depth=1
	s_wait_alu 0xfffe
	s_or_b32 exec_lo, exec_lo, s15
.LBB311_1603:                           ;   in Loop: Header=BB311_11 Depth=1
	s_wait_alu 0xfffe
	s_or_b32 exec_lo, exec_lo, s14
	v_dual_mov_b32 v15, 0 :: v_dual_mov_b32 v0, 0
	s_mov_b32 s14, exec_lo
	v_cmpx_lt_u64_e64 s[2:3], v[28:29]
	s_cbranch_execz .LBB311_1611
; %bb.1604:                             ;   in Loop: Header=BB311_11 Depth=1
	v_lshrrev_b32_e32 v8, 24, v29
	v_bfrev_b32_e32 v0, 1
	s_mov_b32 s15, exec_lo
	s_delay_alu instid0(VALU_DEP_2)
	v_cmpx_ne_u32_e32 0x80, v8
	s_cbranch_execz .LBB311_1610
; %bb.1605:                             ;   in Loop: Header=BB311_11 Depth=1
	v_and_b32_e32 v14, 0x7f, v8
	v_mov_b32_e32 v0, 0x7c010000
	s_mov_b32 s16, exec_lo
	s_delay_alu instid0(VALU_DEP_2)
	v_cmpx_ne_u32_e32 0x7f, v14
	s_cbranch_execz .LBB311_1609
; %bb.1606:                             ;   in Loop: Header=BB311_11 Depth=1
	v_and_b32_e32 v0, 7, v8
	v_lshrrev_b32_e32 v13, 3, v14
	s_mov_b32 s17, exec_lo
	v_cmpx_gt_u32_e32 8, v14
; %bb.1607:                             ;   in Loop: Header=BB311_11 Depth=1
	s_delay_alu instid0(VALU_DEP_3) | instskip(NEXT) | instid1(VALU_DEP_1)
	v_clz_i32_u32_e32 v0, v0
	v_min_u32_e32 v0, 32, v0
	s_delay_alu instid0(VALU_DEP_1) | instskip(NEXT) | instid1(VALU_DEP_1)
	v_subrev_nc_u32_e32 v13, 28, v0
	v_lshlrev_b64_e32 v[16:17], v13, v[8:9]
	v_sub_nc_u32_e32 v13, 29, v0
	s_delay_alu instid0(VALU_DEP_2)
	v_and_b32_e32 v0, 7, v16
; %bb.1608:                             ;   in Loop: Header=BB311_11 Depth=1
	s_wait_alu 0xfffe
	s_or_b32 exec_lo, exec_lo, s17
	v_lshlrev_b32_e32 v8, 8, v8
	v_lshl_add_u32 v13, v13, 10, 0x2000
	v_lshlrev_b32_e32 v0, 23, v0
	s_delay_alu instid0(VALU_DEP_2) | instskip(NEXT) | instid1(VALU_DEP_1)
	v_and_or_b32 v8, 0x8000, v8, v13
	v_lshl_or_b32 v0, v8, 16, v0
.LBB311_1609:                           ;   in Loop: Header=BB311_11 Depth=1
	s_wait_alu 0xfffe
	s_or_b32 exec_lo, exec_lo, s16
.LBB311_1610:                           ;   in Loop: Header=BB311_11 Depth=1
	s_wait_alu 0xfffe
	s_or_b32 exec_lo, exec_lo, s15
.LBB311_1611:                           ;   in Loop: Header=BB311_11 Depth=1
	s_wait_alu 0xfffe
	s_or_b32 exec_lo, exec_lo, s14
	flat_load_b64 v[28:29], v[20:21] offset:6152
	s_mov_b32 s14, exec_lo
	s_wait_loadcnt_dscnt 0x0
	v_and_b32_e32 v8, 0xff, v28
	s_delay_alu instid0(VALU_DEP_1)
	v_cmpx_ne_u16_e32 0, v8
	s_cbranch_execz .LBB311_1619
; %bb.1612:                             ;   in Loop: Header=BB311_11 Depth=1
	v_mov_b32_e32 v15, 0x8000
	s_mov_b32 s15, exec_lo
	v_cmpx_ne_u16_e32 0x80, v8
	s_cbranch_execz .LBB311_1618
; %bb.1613:                             ;   in Loop: Header=BB311_11 Depth=1
	v_and_b32_e32 v14, 0x7f, v28
	v_mov_b32_e32 v15, 0x7c01
	s_mov_b32 s16, exec_lo
	s_delay_alu instid0(VALU_DEP_2)
	v_cmpx_ne_u32_e32 0x7f, v14
	s_cbranch_execz .LBB311_1617
; %bb.1614:                             ;   in Loop: Header=BB311_11 Depth=1
	v_and_b32_e32 v8, 7, v28
	v_lshrrev_b32_e32 v13, 3, v14
	s_mov_b32 s17, exec_lo
	v_cmpx_gt_u32_e32 8, v14
; %bb.1615:                             ;   in Loop: Header=BB311_11 Depth=1
	s_delay_alu instid0(VALU_DEP_3) | instskip(NEXT) | instid1(VALU_DEP_1)
	v_clz_i32_u32_e32 v8, v8
	v_min_u32_e32 v8, 32, v8
	s_delay_alu instid0(VALU_DEP_1) | instskip(NEXT) | instid1(VALU_DEP_1)
	v_subrev_nc_u32_e32 v13, 28, v8
	v_lshlrev_b64_e32 v[14:15], v13, v[28:29]
	v_sub_nc_u32_e32 v13, 29, v8
	s_delay_alu instid0(VALU_DEP_2)
	v_and_b32_e32 v8, 7, v14
; %bb.1616:                             ;   in Loop: Header=BB311_11 Depth=1
	s_wait_alu 0xfffe
	s_or_b32 exec_lo, exec_lo, s17
	v_lshlrev_b32_e32 v14, 8, v28
	v_lshl_add_u32 v13, v13, 10, 0x2000
	v_lshlrev_b32_e32 v8, 7, v8
	s_delay_alu instid0(VALU_DEP_3) | instskip(NEXT) | instid1(VALU_DEP_3)
	v_and_b32_e32 v14, 0x8000, v14
	v_and_b32_e32 v13, 0xfc00, v13
	s_delay_alu instid0(VALU_DEP_1)
	v_or3_b32 v15, v14, v13, v8
.LBB311_1617:                           ;   in Loop: Header=BB311_11 Depth=1
	s_wait_alu 0xfffe
	s_or_b32 exec_lo, exec_lo, s16
.LBB311_1618:                           ;   in Loop: Header=BB311_11 Depth=1
	s_wait_alu 0xfffe
	s_or_b32 exec_lo, exec_lo, s15
.LBB311_1619:                           ;   in Loop: Header=BB311_11 Depth=1
	s_wait_alu 0xfffe
	s_or_b32 exec_lo, exec_lo, s14
	v_lshrrev_b16 v8, 8, v28
	v_mov_b32_e32 v13, 0
	v_mov_b32_e32 v17, 0
	s_mov_b32 s14, exec_lo
	s_delay_alu instid0(VALU_DEP_3)
	v_cmpx_ne_u16_e32 0, v8
	s_cbranch_execz .LBB311_1627
; %bb.1620:                             ;   in Loop: Header=BB311_11 Depth=1
	v_bfrev_b32_e32 v17, 1
	s_mov_b32 s15, exec_lo
	v_cmpx_ne_u16_e32 0x80, v8
	s_cbranch_execz .LBB311_1626
; %bb.1621:                             ;   in Loop: Header=BB311_11 Depth=1
	v_and_b32_e32 v14, 0xffff, v8
	v_mov_b32_e32 v17, 0x7c010000
	s_mov_b32 s16, exec_lo
	s_delay_alu instid0(VALU_DEP_2) | instskip(NEXT) | instid1(VALU_DEP_1)
	v_and_b32_e32 v22, 0x7f, v14
	v_cmpx_ne_u32_e32 0x7f, v22
	s_cbranch_execz .LBB311_1625
; %bb.1622:                             ;   in Loop: Header=BB311_11 Depth=1
	v_and_b32_e32 v16, 7, v14
	v_lshrrev_b32_e32 v17, 3, v22
	s_mov_b32 s17, exec_lo
	v_cmpx_gt_u32_e32 8, v22
; %bb.1623:                             ;   in Loop: Header=BB311_11 Depth=1
	s_delay_alu instid0(VALU_DEP_3) | instskip(NEXT) | instid1(VALU_DEP_1)
	v_clz_i32_u32_e32 v16, v16
	v_min_u32_e32 v22, 32, v16
	s_delay_alu instid0(VALU_DEP_1) | instskip(NEXT) | instid1(VALU_DEP_1)
	v_subrev_nc_u32_e32 v16, 28, v22
	v_lshlrev_b64_e32 v[16:17], v16, v[8:9]
	v_sub_nc_u32_e32 v17, 29, v22
	s_delay_alu instid0(VALU_DEP_2)
	v_and_b32_e32 v16, 7, v16
; %bb.1624:                             ;   in Loop: Header=BB311_11 Depth=1
	s_wait_alu 0xfffe
	s_or_b32 exec_lo, exec_lo, s17
	v_lshlrev_b32_e32 v8, 8, v14
	v_lshl_add_u32 v14, v17, 10, 0x2000
	s_delay_alu instid0(VALU_DEP_1) | instskip(SKIP_1) | instid1(VALU_DEP_1)
	v_and_or_b32 v8, 0x8000, v8, v14
	v_lshlrev_b32_e32 v14, 23, v16
	v_lshl_or_b32 v17, v8, 16, v14
.LBB311_1625:                           ;   in Loop: Header=BB311_11 Depth=1
	s_wait_alu 0xfffe
	s_or_b32 exec_lo, exec_lo, s16
.LBB311_1626:                           ;   in Loop: Header=BB311_11 Depth=1
	s_wait_alu 0xfffe
	s_or_b32 exec_lo, exec_lo, s15
.LBB311_1627:                           ;   in Loop: Header=BB311_11 Depth=1
	s_wait_alu 0xfffe
	s_or_b32 exec_lo, exec_lo, s14
	v_lshrrev_b32_e32 v8, 16, v28
	s_mov_b32 s14, exec_lo
	s_delay_alu instid0(VALU_DEP_1) | instskip(NEXT) | instid1(VALU_DEP_1)
	v_and_b32_e32 v14, 0xff, v8
	v_cmpx_ne_u16_e32 0, v14
	s_cbranch_execz .LBB311_1635
; %bb.1628:                             ;   in Loop: Header=BB311_11 Depth=1
	v_mov_b32_e32 v13, 0x8000
	s_mov_b32 s15, exec_lo
	v_cmpx_ne_u16_e32 0x80, v14
	s_cbranch_execz .LBB311_1634
; %bb.1629:                             ;   in Loop: Header=BB311_11 Depth=1
	v_bfe_u32 v16, v28, 16, 7
	v_mov_b32_e32 v13, 0x7c01
	s_mov_b32 s16, exec_lo
	s_delay_alu instid0(VALU_DEP_2)
	v_cmpx_ne_u32_e32 0x7f, v16
	s_cbranch_execz .LBB311_1633
; %bb.1630:                             ;   in Loop: Header=BB311_11 Depth=1
	v_and_b32_e32 v13, 7, v8
	v_lshrrev_b32_e32 v14, 3, v16
	s_mov_b32 s17, exec_lo
	v_cmpx_gt_u32_e32 8, v16
; %bb.1631:                             ;   in Loop: Header=BB311_11 Depth=1
	s_delay_alu instid0(VALU_DEP_3) | instskip(NEXT) | instid1(VALU_DEP_1)
	v_clz_i32_u32_e32 v13, v13
	v_min_u32_e32 v16, 32, v13
	s_delay_alu instid0(VALU_DEP_1) | instskip(NEXT) | instid1(VALU_DEP_1)
	v_subrev_nc_u32_e32 v13, 28, v16
	v_lshlrev_b64_e32 v[13:14], v13, v[8:9]
	v_sub_nc_u32_e32 v14, 29, v16
	s_delay_alu instid0(VALU_DEP_2)
	v_and_b32_e32 v13, 7, v13
; %bb.1632:                             ;   in Loop: Header=BB311_11 Depth=1
	s_wait_alu 0xfffe
	s_or_b32 exec_lo, exec_lo, s17
	v_lshlrev_b32_e32 v8, 8, v8
	v_lshl_add_u32 v14, v14, 10, 0x2000
	v_lshlrev_b32_e32 v13, 7, v13
	s_delay_alu instid0(VALU_DEP_3) | instskip(NEXT) | instid1(VALU_DEP_3)
	v_and_b32_e32 v8, 0x8000, v8
	v_and_b32_e32 v14, 0xfc00, v14
	s_delay_alu instid0(VALU_DEP_1)
	v_or3_b32 v13, v8, v14, v13
.LBB311_1633:                           ;   in Loop: Header=BB311_11 Depth=1
	s_wait_alu 0xfffe
	s_or_b32 exec_lo, exec_lo, s16
.LBB311_1634:                           ;   in Loop: Header=BB311_11 Depth=1
	s_wait_alu 0xfffe
	s_or_b32 exec_lo, exec_lo, s15
.LBB311_1635:                           ;   in Loop: Header=BB311_11 Depth=1
	s_wait_alu 0xfffe
	s_or_b32 exec_lo, exec_lo, s14
	v_mov_b32_e32 v84, 0
	v_mov_b32_e32 v22, 0
	s_mov_b32 s14, exec_lo
	v_cmpx_lt_u32_e32 0xffffff, v28
	s_cbranch_execz .LBB311_1643
; %bb.1636:                             ;   in Loop: Header=BB311_11 Depth=1
	v_lshrrev_b32_e32 v8, 24, v28
	v_bfrev_b32_e32 v22, 1
	s_mov_b32 s15, exec_lo
	s_delay_alu instid0(VALU_DEP_2)
	v_cmpx_ne_u32_e32 0x80, v8
	s_cbranch_execz .LBB311_1642
; %bb.1637:                             ;   in Loop: Header=BB311_11 Depth=1
	v_and_b32_e32 v23, 0x7f, v8
	v_mov_b32_e32 v22, 0x7c010000
	s_mov_b32 s16, exec_lo
	s_delay_alu instid0(VALU_DEP_2)
	v_cmpx_ne_u32_e32 0x7f, v23
	s_cbranch_execz .LBB311_1641
; %bb.1638:                             ;   in Loop: Header=BB311_11 Depth=1
	v_and_b32_e32 v14, 7, v8
	v_lshrrev_b32_e32 v16, 3, v23
	s_mov_b32 s17, exec_lo
	v_cmpx_gt_u32_e32 8, v23
; %bb.1639:                             ;   in Loop: Header=BB311_11 Depth=1
	s_delay_alu instid0(VALU_DEP_3) | instskip(NEXT) | instid1(VALU_DEP_1)
	v_clz_i32_u32_e32 v14, v14
	v_min_u32_e32 v14, 32, v14
	s_delay_alu instid0(VALU_DEP_1) | instskip(NEXT) | instid1(VALU_DEP_1)
	v_subrev_nc_u32_e32 v16, 28, v14
	v_lshlrev_b64_e32 v[22:23], v16, v[8:9]
	v_sub_nc_u32_e32 v16, 29, v14
	s_delay_alu instid0(VALU_DEP_2)
	v_and_b32_e32 v14, 7, v22
; %bb.1640:                             ;   in Loop: Header=BB311_11 Depth=1
	s_wait_alu 0xfffe
	s_or_b32 exec_lo, exec_lo, s17
	v_lshlrev_b32_e32 v8, 8, v8
	v_lshl_add_u32 v16, v16, 10, 0x2000
	v_lshlrev_b32_e32 v14, 23, v14
	s_delay_alu instid0(VALU_DEP_2) | instskip(NEXT) | instid1(VALU_DEP_1)
	v_and_or_b32 v8, 0x8000, v8, v16
	v_lshl_or_b32 v22, v8, 16, v14
.LBB311_1641:                           ;   in Loop: Header=BB311_11 Depth=1
	s_wait_alu 0xfffe
	s_or_b32 exec_lo, exec_lo, s16
.LBB311_1642:                           ;   in Loop: Header=BB311_11 Depth=1
	s_wait_alu 0xfffe
	s_or_b32 exec_lo, exec_lo, s15
.LBB311_1643:                           ;   in Loop: Header=BB311_11 Depth=1
	s_wait_alu 0xfffe
	s_or_b32 exec_lo, exec_lo, s14
	v_and_b32_e32 v14, 0xff, v29
	v_mov_b32_e32 v8, v29
	s_mov_b32 s14, exec_lo
	s_delay_alu instid0(VALU_DEP_2)
	v_cmpx_ne_u16_e32 0, v14
	s_cbranch_execz .LBB311_1651
; %bb.1644:                             ;   in Loop: Header=BB311_11 Depth=1
	v_mov_b32_e32 v84, 0x8000
	s_mov_b32 s15, exec_lo
	v_cmpx_ne_u16_e32 0x80, v14
	s_cbranch_execz .LBB311_1650
; %bb.1645:                             ;   in Loop: Header=BB311_11 Depth=1
	v_and_b32_e32 v23, 0x7f, v29
	v_mov_b32_e32 v84, 0x7c01
	s_mov_b32 s16, exec_lo
	s_delay_alu instid0(VALU_DEP_2)
	v_cmpx_ne_u32_e32 0x7f, v23
	s_cbranch_execz .LBB311_1649
; %bb.1646:                             ;   in Loop: Header=BB311_11 Depth=1
	v_and_b32_e32 v14, 7, v29
	v_lshrrev_b32_e32 v16, 3, v23
	s_mov_b32 s17, exec_lo
	v_cmpx_gt_u32_e32 8, v23
; %bb.1647:                             ;   in Loop: Header=BB311_11 Depth=1
	s_delay_alu instid0(VALU_DEP_3) | instskip(NEXT) | instid1(VALU_DEP_1)
	v_clz_i32_u32_e32 v14, v14
	v_min_u32_e32 v14, 32, v14
	s_delay_alu instid0(VALU_DEP_1) | instskip(NEXT) | instid1(VALU_DEP_1)
	v_subrev_nc_u32_e32 v16, 28, v14
	v_lshlrev_b64_e32 v[34:35], v16, v[8:9]
	v_sub_nc_u32_e32 v16, 29, v14
	s_delay_alu instid0(VALU_DEP_2)
	v_and_b32_e32 v14, 7, v34
; %bb.1648:                             ;   in Loop: Header=BB311_11 Depth=1
	s_wait_alu 0xfffe
	s_or_b32 exec_lo, exec_lo, s17
	v_lshlrev_b32_e32 v23, 8, v29
	v_lshl_add_u32 v16, v16, 10, 0x2000
	v_lshlrev_b32_e32 v14, 7, v14
	s_delay_alu instid0(VALU_DEP_3) | instskip(NEXT) | instid1(VALU_DEP_3)
	v_and_b32_e32 v23, 0x8000, v23
	v_and_b32_e32 v16, 0xfc00, v16
	s_delay_alu instid0(VALU_DEP_1)
	v_or3_b32 v84, v23, v16, v14
.LBB311_1649:                           ;   in Loop: Header=BB311_11 Depth=1
	s_wait_alu 0xfffe
	s_or_b32 exec_lo, exec_lo, s16
.LBB311_1650:                           ;   in Loop: Header=BB311_11 Depth=1
	s_wait_alu 0xfffe
	s_or_b32 exec_lo, exec_lo, s15
.LBB311_1651:                           ;   in Loop: Header=BB311_11 Depth=1
	s_wait_alu 0xfffe
	s_or_b32 exec_lo, exec_lo, s14
	v_lshrrev_b16 v8, 8, v8
	v_dual_mov_b32 v85, 0 :: v_dual_mov_b32 v102, 0
	s_mov_b32 s14, exec_lo
	s_delay_alu instid0(VALU_DEP_2)
	v_cmpx_ne_u16_e32 0, v8
	s_cbranch_execz .LBB311_1659
; %bb.1652:                             ;   in Loop: Header=BB311_11 Depth=1
	v_bfrev_b32_e32 v102, 1
	s_mov_b32 s15, exec_lo
	v_cmpx_ne_u16_e32 0x80, v8
	s_cbranch_execz .LBB311_1658
; %bb.1653:                             ;   in Loop: Header=BB311_11 Depth=1
	v_and_b32_e32 v14, 0xffff, v8
	v_mov_b32_e32 v102, 0x7c010000
	s_mov_b32 s16, exec_lo
	s_delay_alu instid0(VALU_DEP_2) | instskip(NEXT) | instid1(VALU_DEP_1)
	v_and_b32_e32 v34, 0x7f, v14
	v_cmpx_ne_u32_e32 0x7f, v34
	s_cbranch_execz .LBB311_1657
; %bb.1654:                             ;   in Loop: Header=BB311_11 Depth=1
	v_and_b32_e32 v16, 7, v14
	v_lshrrev_b32_e32 v23, 3, v34
	s_mov_b32 s17, exec_lo
	v_cmpx_gt_u32_e32 8, v34
; %bb.1655:                             ;   in Loop: Header=BB311_11 Depth=1
	s_delay_alu instid0(VALU_DEP_3) | instskip(NEXT) | instid1(VALU_DEP_1)
	v_clz_i32_u32_e32 v16, v16
	v_min_u32_e32 v16, 32, v16
	s_delay_alu instid0(VALU_DEP_1) | instskip(NEXT) | instid1(VALU_DEP_1)
	v_subrev_nc_u32_e32 v23, 28, v16
	v_lshlrev_b64_e32 v[34:35], v23, v[8:9]
	v_sub_nc_u32_e32 v23, 29, v16
	s_delay_alu instid0(VALU_DEP_2)
	v_and_b32_e32 v16, 7, v34
; %bb.1656:                             ;   in Loop: Header=BB311_11 Depth=1
	s_wait_alu 0xfffe
	s_or_b32 exec_lo, exec_lo, s17
	v_lshlrev_b32_e32 v8, 8, v14
	v_lshl_add_u32 v14, v23, 10, 0x2000
	s_delay_alu instid0(VALU_DEP_1) | instskip(SKIP_1) | instid1(VALU_DEP_1)
	v_and_or_b32 v8, 0x8000, v8, v14
	v_lshlrev_b32_e32 v14, 23, v16
	v_lshl_or_b32 v102, v8, 16, v14
.LBB311_1657:                           ;   in Loop: Header=BB311_11 Depth=1
	s_wait_alu 0xfffe
	s_or_b32 exec_lo, exec_lo, s16
.LBB311_1658:                           ;   in Loop: Header=BB311_11 Depth=1
	s_wait_alu 0xfffe
	s_or_b32 exec_lo, exec_lo, s15
.LBB311_1659:                           ;   in Loop: Header=BB311_11 Depth=1
	s_wait_alu 0xfffe
	s_or_b32 exec_lo, exec_lo, s14
	v_lshrrev_b32_e32 v8, 16, v29
	s_mov_b32 s14, exec_lo
	s_delay_alu instid0(VALU_DEP_1) | instskip(NEXT) | instid1(VALU_DEP_1)
	v_and_b32_e32 v14, 0xff, v8
	v_cmpx_ne_u16_e32 0, v14
	s_cbranch_execz .LBB311_1667
; %bb.1660:                             ;   in Loop: Header=BB311_11 Depth=1
	v_mov_b32_e32 v85, 0x8000
	s_mov_b32 s15, exec_lo
	v_cmpx_ne_u16_e32 0x80, v14
	s_cbranch_execz .LBB311_1666
; %bb.1661:                             ;   in Loop: Header=BB311_11 Depth=1
	v_bfe_u32 v23, v29, 16, 7
	v_mov_b32_e32 v85, 0x7c01
	s_mov_b32 s16, exec_lo
	s_delay_alu instid0(VALU_DEP_2)
	v_cmpx_ne_u32_e32 0x7f, v23
	s_cbranch_execz .LBB311_1665
; %bb.1662:                             ;   in Loop: Header=BB311_11 Depth=1
	v_and_b32_e32 v14, 7, v8
	v_lshrrev_b32_e32 v16, 3, v23
	s_mov_b32 s17, exec_lo
	v_cmpx_gt_u32_e32 8, v23
; %bb.1663:                             ;   in Loop: Header=BB311_11 Depth=1
	s_delay_alu instid0(VALU_DEP_3) | instskip(NEXT) | instid1(VALU_DEP_1)
	v_clz_i32_u32_e32 v14, v14
	v_min_u32_e32 v14, 32, v14
	s_delay_alu instid0(VALU_DEP_1) | instskip(NEXT) | instid1(VALU_DEP_1)
	v_subrev_nc_u32_e32 v16, 28, v14
	v_lshlrev_b64_e32 v[34:35], v16, v[8:9]
	v_sub_nc_u32_e32 v16, 29, v14
	s_delay_alu instid0(VALU_DEP_2)
	v_and_b32_e32 v14, 7, v34
; %bb.1664:                             ;   in Loop: Header=BB311_11 Depth=1
	s_wait_alu 0xfffe
	s_or_b32 exec_lo, exec_lo, s17
	v_lshlrev_b32_e32 v8, 8, v8
	v_lshl_add_u32 v16, v16, 10, 0x2000
	v_lshlrev_b32_e32 v14, 7, v14
	s_delay_alu instid0(VALU_DEP_3) | instskip(NEXT) | instid1(VALU_DEP_3)
	v_and_b32_e32 v8, 0x8000, v8
	v_and_b32_e32 v16, 0xfc00, v16
	s_delay_alu instid0(VALU_DEP_1)
	v_or3_b32 v85, v8, v16, v14
.LBB311_1665:                           ;   in Loop: Header=BB311_11 Depth=1
	s_wait_alu 0xfffe
	s_or_b32 exec_lo, exec_lo, s16
.LBB311_1666:                           ;   in Loop: Header=BB311_11 Depth=1
	s_wait_alu 0xfffe
	s_or_b32 exec_lo, exec_lo, s15
.LBB311_1667:                           ;   in Loop: Header=BB311_11 Depth=1
	s_wait_alu 0xfffe
	s_or_b32 exec_lo, exec_lo, s14
	v_dual_mov_b32 v48, 0 :: v_dual_mov_b32 v23, 0
	s_mov_b32 s14, exec_lo
	v_cmpx_lt_u64_e64 s[2:3], v[28:29]
	s_cbranch_execz .LBB311_1675
; %bb.1668:                             ;   in Loop: Header=BB311_11 Depth=1
	v_lshrrev_b32_e32 v8, 24, v29
	v_bfrev_b32_e32 v23, 1
	s_mov_b32 s15, exec_lo
	s_delay_alu instid0(VALU_DEP_2)
	v_cmpx_ne_u32_e32 0x80, v8
	s_cbranch_execz .LBB311_1674
; %bb.1669:                             ;   in Loop: Header=BB311_11 Depth=1
	v_and_b32_e32 v28, 0x7f, v8
	v_mov_b32_e32 v23, 0x7c010000
	s_mov_b32 s16, exec_lo
	s_delay_alu instid0(VALU_DEP_2)
	v_cmpx_ne_u32_e32 0x7f, v28
	s_cbranch_execz .LBB311_1673
; %bb.1670:                             ;   in Loop: Header=BB311_11 Depth=1
	v_and_b32_e32 v14, 7, v8
	v_lshrrev_b32_e32 v16, 3, v28
	s_mov_b32 s17, exec_lo
	v_cmpx_gt_u32_e32 8, v28
; %bb.1671:                             ;   in Loop: Header=BB311_11 Depth=1
	s_delay_alu instid0(VALU_DEP_3) | instskip(NEXT) | instid1(VALU_DEP_1)
	v_clz_i32_u32_e32 v14, v14
	v_min_u32_e32 v14, 32, v14
	s_delay_alu instid0(VALU_DEP_1) | instskip(NEXT) | instid1(VALU_DEP_1)
	v_subrev_nc_u32_e32 v16, 28, v14
	v_lshlrev_b64_e32 v[28:29], v16, v[8:9]
	v_sub_nc_u32_e32 v16, 29, v14
	s_delay_alu instid0(VALU_DEP_2)
	v_and_b32_e32 v14, 7, v28
; %bb.1672:                             ;   in Loop: Header=BB311_11 Depth=1
	s_wait_alu 0xfffe
	s_or_b32 exec_lo, exec_lo, s17
	v_lshlrev_b32_e32 v8, 8, v8
	v_lshl_add_u32 v16, v16, 10, 0x2000
	v_lshlrev_b32_e32 v14, 23, v14
	s_delay_alu instid0(VALU_DEP_2) | instskip(NEXT) | instid1(VALU_DEP_1)
	v_and_or_b32 v8, 0x8000, v8, v16
	v_lshl_or_b32 v23, v8, 16, v14
.LBB311_1673:                           ;   in Loop: Header=BB311_11 Depth=1
	s_wait_alu 0xfffe
	s_or_b32 exec_lo, exec_lo, s16
.LBB311_1674:                           ;   in Loop: Header=BB311_11 Depth=1
	s_wait_alu 0xfffe
	s_or_b32 exec_lo, exec_lo, s15
.LBB311_1675:                           ;   in Loop: Header=BB311_11 Depth=1
	s_wait_alu 0xfffe
	s_or_b32 exec_lo, exec_lo, s14
	flat_load_b64 v[28:29], v[20:21] offset:6656
	s_mov_b32 s14, exec_lo
	s_wait_loadcnt_dscnt 0x0
	v_and_b32_e32 v8, 0xff, v28
	s_delay_alu instid0(VALU_DEP_1)
	v_cmpx_ne_u16_e32 0, v8
	s_cbranch_execz .LBB311_1683
; %bb.1676:                             ;   in Loop: Header=BB311_11 Depth=1
	v_mov_b32_e32 v48, 0x8000
	s_mov_b32 s15, exec_lo
	v_cmpx_ne_u16_e32 0x80, v8
	s_cbranch_execz .LBB311_1682
; %bb.1677:                             ;   in Loop: Header=BB311_11 Depth=1
	v_and_b32_e32 v16, 0x7f, v28
	v_mov_b32_e32 v48, 0x7c01
	s_mov_b32 s16, exec_lo
	s_delay_alu instid0(VALU_DEP_2)
	v_cmpx_ne_u32_e32 0x7f, v16
	s_cbranch_execz .LBB311_1681
; %bb.1678:                             ;   in Loop: Header=BB311_11 Depth=1
	v_and_b32_e32 v8, 7, v28
	v_lshrrev_b32_e32 v14, 3, v16
	s_mov_b32 s17, exec_lo
	v_cmpx_gt_u32_e32 8, v16
; %bb.1679:                             ;   in Loop: Header=BB311_11 Depth=1
	s_delay_alu instid0(VALU_DEP_3) | instskip(NEXT) | instid1(VALU_DEP_1)
	v_clz_i32_u32_e32 v8, v8
	v_min_u32_e32 v8, 32, v8
	s_delay_alu instid0(VALU_DEP_1) | instskip(NEXT) | instid1(VALU_DEP_1)
	v_subrev_nc_u32_e32 v14, 28, v8
	v_lshlrev_b64_e32 v[34:35], v14, v[28:29]
	v_sub_nc_u32_e32 v14, 29, v8
	s_delay_alu instid0(VALU_DEP_2)
	v_and_b32_e32 v8, 7, v34
; %bb.1680:                             ;   in Loop: Header=BB311_11 Depth=1
	s_wait_alu 0xfffe
	s_or_b32 exec_lo, exec_lo, s17
	v_lshlrev_b32_e32 v16, 8, v28
	v_lshl_add_u32 v14, v14, 10, 0x2000
	v_lshlrev_b32_e32 v8, 7, v8
	s_delay_alu instid0(VALU_DEP_3) | instskip(NEXT) | instid1(VALU_DEP_3)
	v_and_b32_e32 v16, 0x8000, v16
	v_and_b32_e32 v14, 0xfc00, v14
	s_delay_alu instid0(VALU_DEP_1)
	v_or3_b32 v48, v16, v14, v8
.LBB311_1681:                           ;   in Loop: Header=BB311_11 Depth=1
	s_wait_alu 0xfffe
	s_or_b32 exec_lo, exec_lo, s16
.LBB311_1682:                           ;   in Loop: Header=BB311_11 Depth=1
	s_wait_alu 0xfffe
	s_or_b32 exec_lo, exec_lo, s15
.LBB311_1683:                           ;   in Loop: Header=BB311_11 Depth=1
	s_wait_alu 0xfffe
	s_or_b32 exec_lo, exec_lo, s14
	v_lshrrev_b16 v8, 8, v28
	v_dual_mov_b32 v98, 0 :: v_dual_mov_b32 v87, 0
	s_mov_b32 s14, exec_lo
	s_delay_alu instid0(VALU_DEP_2)
	v_cmpx_ne_u16_e32 0, v8
	s_cbranch_execz .LBB311_1691
; %bb.1684:                             ;   in Loop: Header=BB311_11 Depth=1
	v_bfrev_b32_e32 v87, 1
	s_mov_b32 s15, exec_lo
	v_cmpx_ne_u16_e32 0x80, v8
	s_cbranch_execz .LBB311_1690
; %bb.1685:                             ;   in Loop: Header=BB311_11 Depth=1
	v_and_b32_e32 v14, 0xffff, v8
	v_mov_b32_e32 v87, 0x7c010000
	s_mov_b32 s16, exec_lo
	s_delay_alu instid0(VALU_DEP_2) | instskip(NEXT) | instid1(VALU_DEP_1)
	v_and_b32_e32 v35, 0x7f, v14
	v_cmpx_ne_u32_e32 0x7f, v35
	s_cbranch_execz .LBB311_1689
; %bb.1686:                             ;   in Loop: Header=BB311_11 Depth=1
	v_and_b32_e32 v16, 7, v14
	v_lshrrev_b32_e32 v34, 3, v35
	s_mov_b32 s17, exec_lo
	v_cmpx_gt_u32_e32 8, v35
; %bb.1687:                             ;   in Loop: Header=BB311_11 Depth=1
	s_delay_alu instid0(VALU_DEP_3) | instskip(NEXT) | instid1(VALU_DEP_1)
	v_clz_i32_u32_e32 v16, v16
	v_min_u32_e32 v16, 32, v16
	s_delay_alu instid0(VALU_DEP_1) | instskip(NEXT) | instid1(VALU_DEP_1)
	v_subrev_nc_u32_e32 v34, 28, v16
	v_lshlrev_b64_e32 v[49:50], v34, v[8:9]
	v_sub_nc_u32_e32 v34, 29, v16
	s_delay_alu instid0(VALU_DEP_2)
	v_and_b32_e32 v16, 7, v49
; %bb.1688:                             ;   in Loop: Header=BB311_11 Depth=1
	s_wait_alu 0xfffe
	s_or_b32 exec_lo, exec_lo, s17
	v_lshlrev_b32_e32 v8, 8, v14
	v_lshl_add_u32 v14, v34, 10, 0x2000
	s_delay_alu instid0(VALU_DEP_1) | instskip(SKIP_1) | instid1(VALU_DEP_1)
	v_and_or_b32 v8, 0x8000, v8, v14
	v_lshlrev_b32_e32 v14, 23, v16
	v_lshl_or_b32 v87, v8, 16, v14
.LBB311_1689:                           ;   in Loop: Header=BB311_11 Depth=1
	s_wait_alu 0xfffe
	s_or_b32 exec_lo, exec_lo, s16
.LBB311_1690:                           ;   in Loop: Header=BB311_11 Depth=1
	s_wait_alu 0xfffe
	s_or_b32 exec_lo, exec_lo, s15
.LBB311_1691:                           ;   in Loop: Header=BB311_11 Depth=1
	s_wait_alu 0xfffe
	s_or_b32 exec_lo, exec_lo, s14
	v_lshrrev_b32_e32 v8, 16, v28
	s_mov_b32 s14, exec_lo
	s_delay_alu instid0(VALU_DEP_1) | instskip(NEXT) | instid1(VALU_DEP_1)
	v_and_b32_e32 v14, 0xff, v8
	v_cmpx_ne_u16_e32 0, v14
	s_cbranch_execz .LBB311_1699
; %bb.1692:                             ;   in Loop: Header=BB311_11 Depth=1
	v_mov_b32_e32 v98, 0x8000
	s_mov_b32 s15, exec_lo
	v_cmpx_ne_u16_e32 0x80, v14
	s_cbranch_execz .LBB311_1698
; %bb.1693:                             ;   in Loop: Header=BB311_11 Depth=1
	v_bfe_u32 v34, v28, 16, 7
	v_mov_b32_e32 v98, 0x7c01
	s_mov_b32 s16, exec_lo
	s_delay_alu instid0(VALU_DEP_2)
	v_cmpx_ne_u32_e32 0x7f, v34
	s_cbranch_execz .LBB311_1697
; %bb.1694:                             ;   in Loop: Header=BB311_11 Depth=1
	v_and_b32_e32 v14, 7, v8
	v_lshrrev_b32_e32 v16, 3, v34
	s_mov_b32 s17, exec_lo
	v_cmpx_gt_u32_e32 8, v34
; %bb.1695:                             ;   in Loop: Header=BB311_11 Depth=1
	s_delay_alu instid0(VALU_DEP_3) | instskip(NEXT) | instid1(VALU_DEP_1)
	v_clz_i32_u32_e32 v14, v14
	v_min_u32_e32 v14, 32, v14
	s_delay_alu instid0(VALU_DEP_1) | instskip(NEXT) | instid1(VALU_DEP_1)
	v_subrev_nc_u32_e32 v16, 28, v14
	v_lshlrev_b64_e32 v[34:35], v16, v[8:9]
	v_sub_nc_u32_e32 v16, 29, v14
	s_delay_alu instid0(VALU_DEP_2)
	v_and_b32_e32 v14, 7, v34
; %bb.1696:                             ;   in Loop: Header=BB311_11 Depth=1
	s_wait_alu 0xfffe
	s_or_b32 exec_lo, exec_lo, s17
	v_lshlrev_b32_e32 v8, 8, v8
	v_lshl_add_u32 v16, v16, 10, 0x2000
	v_lshlrev_b32_e32 v14, 7, v14
	s_delay_alu instid0(VALU_DEP_3) | instskip(NEXT) | instid1(VALU_DEP_3)
	v_and_b32_e32 v8, 0x8000, v8
	v_and_b32_e32 v16, 0xfc00, v16
	s_delay_alu instid0(VALU_DEP_1)
	v_or3_b32 v98, v8, v16, v14
.LBB311_1697:                           ;   in Loop: Header=BB311_11 Depth=1
	s_wait_alu 0xfffe
	s_or_b32 exec_lo, exec_lo, s16
.LBB311_1698:                           ;   in Loop: Header=BB311_11 Depth=1
	s_wait_alu 0xfffe
	s_or_b32 exec_lo, exec_lo, s15
.LBB311_1699:                           ;   in Loop: Header=BB311_11 Depth=1
	s_wait_alu 0xfffe
	s_or_b32 exec_lo, exec_lo, s14
	v_mov_b32_e32 v34, 0
	v_mov_b32_e32 v100, 0
	s_mov_b32 s14, exec_lo
	v_cmpx_lt_u32_e32 0xffffff, v28
	s_cbranch_execz .LBB311_1707
; %bb.1700:                             ;   in Loop: Header=BB311_11 Depth=1
	v_lshrrev_b32_e32 v8, 24, v28
	v_bfrev_b32_e32 v100, 1
	s_mov_b32 s15, exec_lo
	s_delay_alu instid0(VALU_DEP_2)
	v_cmpx_ne_u32_e32 0x80, v8
	s_cbranch_execz .LBB311_1706
; %bb.1701:                             ;   in Loop: Header=BB311_11 Depth=1
	v_and_b32_e32 v35, 0x7f, v8
	v_mov_b32_e32 v100, 0x7c010000
	s_mov_b32 s16, exec_lo
	s_delay_alu instid0(VALU_DEP_2)
	v_cmpx_ne_u32_e32 0x7f, v35
	s_cbranch_execz .LBB311_1705
; %bb.1702:                             ;   in Loop: Header=BB311_11 Depth=1
	v_and_b32_e32 v14, 7, v8
	v_lshrrev_b32_e32 v16, 3, v35
	s_mov_b32 s17, exec_lo
	v_cmpx_gt_u32_e32 8, v35
; %bb.1703:                             ;   in Loop: Header=BB311_11 Depth=1
	s_delay_alu instid0(VALU_DEP_3) | instskip(NEXT) | instid1(VALU_DEP_1)
	v_clz_i32_u32_e32 v14, v14
	v_min_u32_e32 v14, 32, v14
	s_delay_alu instid0(VALU_DEP_1) | instskip(NEXT) | instid1(VALU_DEP_1)
	v_subrev_nc_u32_e32 v16, 28, v14
	v_lshlrev_b64_e32 v[49:50], v16, v[8:9]
	v_sub_nc_u32_e32 v16, 29, v14
	s_delay_alu instid0(VALU_DEP_2)
	v_and_b32_e32 v14, 7, v49
; %bb.1704:                             ;   in Loop: Header=BB311_11 Depth=1
	s_wait_alu 0xfffe
	s_or_b32 exec_lo, exec_lo, s17
	v_lshlrev_b32_e32 v8, 8, v8
	v_lshl_add_u32 v16, v16, 10, 0x2000
	v_lshlrev_b32_e32 v14, 23, v14
	s_delay_alu instid0(VALU_DEP_2) | instskip(NEXT) | instid1(VALU_DEP_1)
	v_and_or_b32 v8, 0x8000, v8, v16
	v_lshl_or_b32 v100, v8, 16, v14
.LBB311_1705:                           ;   in Loop: Header=BB311_11 Depth=1
	s_wait_alu 0xfffe
	s_or_b32 exec_lo, exec_lo, s16
.LBB311_1706:                           ;   in Loop: Header=BB311_11 Depth=1
	s_wait_alu 0xfffe
	s_or_b32 exec_lo, exec_lo, s15
.LBB311_1707:                           ;   in Loop: Header=BB311_11 Depth=1
	s_wait_alu 0xfffe
	s_or_b32 exec_lo, exec_lo, s14
	v_and_b32_e32 v14, 0xff, v29
	v_mov_b32_e32 v8, v29
	s_mov_b32 s14, exec_lo
	s_delay_alu instid0(VALU_DEP_2)
	v_cmpx_ne_u16_e32 0, v14
	s_cbranch_execz .LBB311_1715
; %bb.1708:                             ;   in Loop: Header=BB311_11 Depth=1
	v_mov_b32_e32 v34, 0x8000
	s_mov_b32 s15, exec_lo
	v_cmpx_ne_u16_e32 0x80, v14
	s_cbranch_execz .LBB311_1714
; %bb.1709:                             ;   in Loop: Header=BB311_11 Depth=1
	v_and_b32_e32 v35, 0x7f, v29
	v_mov_b32_e32 v34, 0x7c01
	s_mov_b32 s16, exec_lo
	s_delay_alu instid0(VALU_DEP_2)
	v_cmpx_ne_u32_e32 0x7f, v35
	s_cbranch_execz .LBB311_1713
; %bb.1710:                             ;   in Loop: Header=BB311_11 Depth=1
	v_and_b32_e32 v14, 7, v29
	v_lshrrev_b32_e32 v16, 3, v35
	s_mov_b32 s17, exec_lo
	v_cmpx_gt_u32_e32 8, v35
; %bb.1711:                             ;   in Loop: Header=BB311_11 Depth=1
	s_delay_alu instid0(VALU_DEP_3) | instskip(NEXT) | instid1(VALU_DEP_1)
	v_clz_i32_u32_e32 v14, v14
	v_min_u32_e32 v14, 32, v14
	s_delay_alu instid0(VALU_DEP_1) | instskip(NEXT) | instid1(VALU_DEP_1)
	v_subrev_nc_u32_e32 v16, 28, v14
	v_lshlrev_b64_e32 v[34:35], v16, v[8:9]
	v_sub_nc_u32_e32 v16, 29, v14
	s_delay_alu instid0(VALU_DEP_2)
	v_and_b32_e32 v14, 7, v34
; %bb.1712:                             ;   in Loop: Header=BB311_11 Depth=1
	s_wait_alu 0xfffe
	s_or_b32 exec_lo, exec_lo, s17
	v_lshlrev_b32_e32 v34, 8, v29
	v_lshl_add_u32 v16, v16, 10, 0x2000
	v_lshlrev_b32_e32 v14, 7, v14
	s_delay_alu instid0(VALU_DEP_3) | instskip(NEXT) | instid1(VALU_DEP_3)
	v_and_b32_e32 v34, 0x8000, v34
	v_and_b32_e32 v16, 0xfc00, v16
	s_delay_alu instid0(VALU_DEP_1)
	v_or3_b32 v34, v34, v16, v14
.LBB311_1713:                           ;   in Loop: Header=BB311_11 Depth=1
	s_wait_alu 0xfffe
	s_or_b32 exec_lo, exec_lo, s16
.LBB311_1714:                           ;   in Loop: Header=BB311_11 Depth=1
	s_wait_alu 0xfffe
	s_or_b32 exec_lo, exec_lo, s15
.LBB311_1715:                           ;   in Loop: Header=BB311_11 Depth=1
	s_wait_alu 0xfffe
	s_or_b32 exec_lo, exec_lo, s14
	v_lshrrev_b16 v8, 8, v8
	v_mov_b32_e32 v101, 0
	v_mov_b32_e32 v103, 0
	s_mov_b32 s14, exec_lo
	s_delay_alu instid0(VALU_DEP_3)
	v_cmpx_ne_u16_e32 0, v8
	s_cbranch_execz .LBB311_1723
; %bb.1716:                             ;   in Loop: Header=BB311_11 Depth=1
	v_bfrev_b32_e32 v103, 1
	s_mov_b32 s15, exec_lo
	v_cmpx_ne_u16_e32 0x80, v8
	s_cbranch_execz .LBB311_1722
; %bb.1717:                             ;   in Loop: Header=BB311_11 Depth=1
	v_and_b32_e32 v14, 0xffff, v8
	v_mov_b32_e32 v103, 0x7c010000
	s_mov_b32 s16, exec_lo
	s_delay_alu instid0(VALU_DEP_2) | instskip(NEXT) | instid1(VALU_DEP_1)
	v_and_b32_e32 v49, 0x7f, v14
	v_cmpx_ne_u32_e32 0x7f, v49
	s_cbranch_execz .LBB311_1721
; %bb.1718:                             ;   in Loop: Header=BB311_11 Depth=1
	v_and_b32_e32 v16, 7, v14
	v_lshrrev_b32_e32 v35, 3, v49
	s_mov_b32 s17, exec_lo
	v_cmpx_gt_u32_e32 8, v49
; %bb.1719:                             ;   in Loop: Header=BB311_11 Depth=1
	s_delay_alu instid0(VALU_DEP_3) | instskip(NEXT) | instid1(VALU_DEP_1)
	v_clz_i32_u32_e32 v16, v16
	v_min_u32_e32 v16, 32, v16
	s_delay_alu instid0(VALU_DEP_1) | instskip(NEXT) | instid1(VALU_DEP_1)
	v_subrev_nc_u32_e32 v35, 28, v16
	v_lshlrev_b64_e32 v[49:50], v35, v[8:9]
	v_sub_nc_u32_e32 v35, 29, v16
	s_delay_alu instid0(VALU_DEP_2)
	v_and_b32_e32 v16, 7, v49
; %bb.1720:                             ;   in Loop: Header=BB311_11 Depth=1
	s_wait_alu 0xfffe
	s_or_b32 exec_lo, exec_lo, s17
	v_lshlrev_b32_e32 v8, 8, v14
	v_lshl_add_u32 v14, v35, 10, 0x2000
	s_delay_alu instid0(VALU_DEP_1) | instskip(SKIP_1) | instid1(VALU_DEP_1)
	v_and_or_b32 v8, 0x8000, v8, v14
	v_lshlrev_b32_e32 v14, 23, v16
	v_lshl_or_b32 v103, v8, 16, v14
.LBB311_1721:                           ;   in Loop: Header=BB311_11 Depth=1
	s_wait_alu 0xfffe
	s_or_b32 exec_lo, exec_lo, s16
.LBB311_1722:                           ;   in Loop: Header=BB311_11 Depth=1
	s_wait_alu 0xfffe
	s_or_b32 exec_lo, exec_lo, s15
.LBB311_1723:                           ;   in Loop: Header=BB311_11 Depth=1
	s_wait_alu 0xfffe
	s_or_b32 exec_lo, exec_lo, s14
	v_lshrrev_b32_e32 v8, 16, v29
	s_mov_b32 s14, exec_lo
	s_delay_alu instid0(VALU_DEP_1) | instskip(NEXT) | instid1(VALU_DEP_1)
	v_and_b32_e32 v14, 0xff, v8
	v_cmpx_ne_u16_e32 0, v14
	s_cbranch_execz .LBB311_1731
; %bb.1724:                             ;   in Loop: Header=BB311_11 Depth=1
	v_mov_b32_e32 v101, 0x8000
	s_mov_b32 s15, exec_lo
	v_cmpx_ne_u16_e32 0x80, v14
	s_cbranch_execz .LBB311_1730
; %bb.1725:                             ;   in Loop: Header=BB311_11 Depth=1
	v_bfe_u32 v35, v29, 16, 7
	v_mov_b32_e32 v101, 0x7c01
	s_mov_b32 s16, exec_lo
	s_delay_alu instid0(VALU_DEP_2)
	v_cmpx_ne_u32_e32 0x7f, v35
	s_cbranch_execz .LBB311_1729
; %bb.1726:                             ;   in Loop: Header=BB311_11 Depth=1
	v_and_b32_e32 v14, 7, v8
	v_lshrrev_b32_e32 v16, 3, v35
	s_mov_b32 s17, exec_lo
	v_cmpx_gt_u32_e32 8, v35
; %bb.1727:                             ;   in Loop: Header=BB311_11 Depth=1
	s_delay_alu instid0(VALU_DEP_3) | instskip(NEXT) | instid1(VALU_DEP_1)
	v_clz_i32_u32_e32 v14, v14
	v_min_u32_e32 v14, 32, v14
	s_delay_alu instid0(VALU_DEP_1) | instskip(NEXT) | instid1(VALU_DEP_1)
	v_subrev_nc_u32_e32 v16, 28, v14
	v_lshlrev_b64_e32 v[49:50], v16, v[8:9]
	v_sub_nc_u32_e32 v16, 29, v14
	s_delay_alu instid0(VALU_DEP_2)
	v_and_b32_e32 v14, 7, v49
; %bb.1728:                             ;   in Loop: Header=BB311_11 Depth=1
	s_wait_alu 0xfffe
	s_or_b32 exec_lo, exec_lo, s17
	v_lshlrev_b32_e32 v8, 8, v8
	v_lshl_add_u32 v16, v16, 10, 0x2000
	v_lshlrev_b32_e32 v14, 7, v14
	s_delay_alu instid0(VALU_DEP_3) | instskip(NEXT) | instid1(VALU_DEP_3)
	v_and_b32_e32 v8, 0x8000, v8
	v_and_b32_e32 v16, 0xfc00, v16
	s_delay_alu instid0(VALU_DEP_1)
	v_or3_b32 v101, v8, v16, v14
.LBB311_1729:                           ;   in Loop: Header=BB311_11 Depth=1
	s_wait_alu 0xfffe
	s_or_b32 exec_lo, exec_lo, s16
.LBB311_1730:                           ;   in Loop: Header=BB311_11 Depth=1
	s_wait_alu 0xfffe
	s_or_b32 exec_lo, exec_lo, s15
.LBB311_1731:                           ;   in Loop: Header=BB311_11 Depth=1
	s_wait_alu 0xfffe
	s_or_b32 exec_lo, exec_lo, s14
	v_mov_b32_e32 v51, 0
	v_mov_b32_e32 v49, 0
	s_mov_b32 s14, exec_lo
	v_cmpx_lt_u64_e64 s[2:3], v[28:29]
	s_cbranch_execz .LBB311_1739
; %bb.1732:                             ;   in Loop: Header=BB311_11 Depth=1
	v_lshrrev_b32_e32 v8, 24, v29
	v_bfrev_b32_e32 v49, 1
	s_mov_b32 s15, exec_lo
	s_delay_alu instid0(VALU_DEP_2)
	v_cmpx_ne_u32_e32 0x80, v8
	s_cbranch_execz .LBB311_1738
; %bb.1733:                             ;   in Loop: Header=BB311_11 Depth=1
	v_and_b32_e32 v28, 0x7f, v8
	v_mov_b32_e32 v49, 0x7c010000
	s_mov_b32 s16, exec_lo
	s_delay_alu instid0(VALU_DEP_2)
	v_cmpx_ne_u32_e32 0x7f, v28
	s_cbranch_execz .LBB311_1737
; %bb.1734:                             ;   in Loop: Header=BB311_11 Depth=1
	v_and_b32_e32 v14, 7, v8
	v_lshrrev_b32_e32 v16, 3, v28
	s_mov_b32 s17, exec_lo
	v_cmpx_gt_u32_e32 8, v28
; %bb.1735:                             ;   in Loop: Header=BB311_11 Depth=1
	s_delay_alu instid0(VALU_DEP_3) | instskip(NEXT) | instid1(VALU_DEP_1)
	v_clz_i32_u32_e32 v14, v14
	v_min_u32_e32 v14, 32, v14
	s_delay_alu instid0(VALU_DEP_1) | instskip(NEXT) | instid1(VALU_DEP_1)
	v_subrev_nc_u32_e32 v16, 28, v14
	v_lshlrev_b64_e32 v[28:29], v16, v[8:9]
	v_sub_nc_u32_e32 v16, 29, v14
	s_delay_alu instid0(VALU_DEP_2)
	v_and_b32_e32 v14, 7, v28
; %bb.1736:                             ;   in Loop: Header=BB311_11 Depth=1
	s_wait_alu 0xfffe
	s_or_b32 exec_lo, exec_lo, s17
	v_lshlrev_b32_e32 v8, 8, v8
	v_lshl_add_u32 v16, v16, 10, 0x2000
	v_lshlrev_b32_e32 v14, 23, v14
	s_delay_alu instid0(VALU_DEP_2) | instskip(NEXT) | instid1(VALU_DEP_1)
	v_and_or_b32 v8, 0x8000, v8, v16
	v_lshl_or_b32 v49, v8, 16, v14
.LBB311_1737:                           ;   in Loop: Header=BB311_11 Depth=1
	s_wait_alu 0xfffe
	s_or_b32 exec_lo, exec_lo, s16
.LBB311_1738:                           ;   in Loop: Header=BB311_11 Depth=1
	s_wait_alu 0xfffe
	s_or_b32 exec_lo, exec_lo, s15
.LBB311_1739:                           ;   in Loop: Header=BB311_11 Depth=1
	s_wait_alu 0xfffe
	s_or_b32 exec_lo, exec_lo, s14
	flat_load_b64 v[28:29], v[20:21] offset:6664
	s_mov_b32 s14, exec_lo
	s_wait_loadcnt_dscnt 0x0
	v_and_b32_e32 v8, 0xff, v28
	s_delay_alu instid0(VALU_DEP_1)
	v_cmpx_ne_u16_e32 0, v8
	s_cbranch_execz .LBB311_1747
; %bb.1740:                             ;   in Loop: Header=BB311_11 Depth=1
	v_mov_b32_e32 v51, 0x8000
	s_mov_b32 s15, exec_lo
	v_cmpx_ne_u16_e32 0x80, v8
	s_cbranch_execz .LBB311_1746
; %bb.1741:                             ;   in Loop: Header=BB311_11 Depth=1
	v_and_b32_e32 v16, 0x7f, v28
	v_mov_b32_e32 v51, 0x7c01
	s_mov_b32 s16, exec_lo
	s_delay_alu instid0(VALU_DEP_2)
	v_cmpx_ne_u32_e32 0x7f, v16
	s_cbranch_execz .LBB311_1745
; %bb.1742:                             ;   in Loop: Header=BB311_11 Depth=1
	v_and_b32_e32 v8, 7, v28
	v_lshrrev_b32_e32 v14, 3, v16
	s_mov_b32 s17, exec_lo
	v_cmpx_gt_u32_e32 8, v16
; %bb.1743:                             ;   in Loop: Header=BB311_11 Depth=1
	s_delay_alu instid0(VALU_DEP_3) | instskip(NEXT) | instid1(VALU_DEP_1)
	v_clz_i32_u32_e32 v8, v8
	v_min_u32_e32 v8, 32, v8
	s_delay_alu instid0(VALU_DEP_1) | instskip(NEXT) | instid1(VALU_DEP_1)
	v_subrev_nc_u32_e32 v14, 28, v8
	v_lshlrev_b64_e32 v[50:51], v14, v[28:29]
	v_sub_nc_u32_e32 v14, 29, v8
	s_delay_alu instid0(VALU_DEP_2)
	v_and_b32_e32 v8, 7, v50
; %bb.1744:                             ;   in Loop: Header=BB311_11 Depth=1
	s_wait_alu 0xfffe
	s_or_b32 exec_lo, exec_lo, s17
	v_lshlrev_b32_e32 v16, 8, v28
	v_lshl_add_u32 v14, v14, 10, 0x2000
	v_lshlrev_b32_e32 v8, 7, v8
	s_delay_alu instid0(VALU_DEP_3) | instskip(NEXT) | instid1(VALU_DEP_3)
	v_and_b32_e32 v16, 0x8000, v16
	v_and_b32_e32 v14, 0xfc00, v14
	s_delay_alu instid0(VALU_DEP_1)
	v_or3_b32 v51, v16, v14, v8
.LBB311_1745:                           ;   in Loop: Header=BB311_11 Depth=1
	s_wait_alu 0xfffe
	s_or_b32 exec_lo, exec_lo, s16
.LBB311_1746:                           ;   in Loop: Header=BB311_11 Depth=1
	s_wait_alu 0xfffe
	s_or_b32 exec_lo, exec_lo, s15
.LBB311_1747:                           ;   in Loop: Header=BB311_11 Depth=1
	s_wait_alu 0xfffe
	s_or_b32 exec_lo, exec_lo, s14
	v_lshrrev_b16 v8, 8, v28
	v_mov_b32_e32 v112, 0
	v_mov_b32_e32 v52, 0
	s_mov_b32 s14, exec_lo
	s_delay_alu instid0(VALU_DEP_3)
	v_cmpx_ne_u16_e32 0, v8
	s_cbranch_execz .LBB311_1755
; %bb.1748:                             ;   in Loop: Header=BB311_11 Depth=1
	v_bfrev_b32_e32 v52, 1
	s_mov_b32 s15, exec_lo
	v_cmpx_ne_u16_e32 0x80, v8
	s_cbranch_execz .LBB311_1754
; %bb.1749:                             ;   in Loop: Header=BB311_11 Depth=1
	v_and_b32_e32 v14, 0xffff, v8
	v_mov_b32_e32 v52, 0x7c010000
	s_mov_b32 s16, exec_lo
	s_delay_alu instid0(VALU_DEP_2) | instskip(NEXT) | instid1(VALU_DEP_1)
	v_and_b32_e32 v50, 0x7f, v14
	v_cmpx_ne_u32_e32 0x7f, v50
	s_cbranch_execz .LBB311_1753
; %bb.1750:                             ;   in Loop: Header=BB311_11 Depth=1
	v_and_b32_e32 v16, 7, v14
	v_lshrrev_b32_e32 v35, 3, v50
	s_mov_b32 s17, exec_lo
	v_cmpx_gt_u32_e32 8, v50
; %bb.1751:                             ;   in Loop: Header=BB311_11 Depth=1
	s_delay_alu instid0(VALU_DEP_3) | instskip(NEXT) | instid1(VALU_DEP_1)
	v_clz_i32_u32_e32 v16, v16
	v_min_u32_e32 v16, 32, v16
	s_delay_alu instid0(VALU_DEP_1) | instskip(NEXT) | instid1(VALU_DEP_1)
	v_subrev_nc_u32_e32 v35, 28, v16
	v_lshlrev_b64_e32 v[113:114], v35, v[8:9]
	v_sub_nc_u32_e32 v35, 29, v16
	s_delay_alu instid0(VALU_DEP_2)
	v_and_b32_e32 v16, 7, v113
; %bb.1752:                             ;   in Loop: Header=BB311_11 Depth=1
	s_wait_alu 0xfffe
	s_or_b32 exec_lo, exec_lo, s17
	v_lshlrev_b32_e32 v8, 8, v14
	v_lshl_add_u32 v14, v35, 10, 0x2000
	s_delay_alu instid0(VALU_DEP_1) | instskip(SKIP_1) | instid1(VALU_DEP_1)
	v_and_or_b32 v8, 0x8000, v8, v14
	v_lshlrev_b32_e32 v14, 23, v16
	v_lshl_or_b32 v52, v8, 16, v14
.LBB311_1753:                           ;   in Loop: Header=BB311_11 Depth=1
	s_wait_alu 0xfffe
	s_or_b32 exec_lo, exec_lo, s16
.LBB311_1754:                           ;   in Loop: Header=BB311_11 Depth=1
	s_wait_alu 0xfffe
	s_or_b32 exec_lo, exec_lo, s15
.LBB311_1755:                           ;   in Loop: Header=BB311_11 Depth=1
	s_wait_alu 0xfffe
	s_or_b32 exec_lo, exec_lo, s14
	v_lshrrev_b32_e32 v8, 16, v28
	s_mov_b32 s14, exec_lo
	s_delay_alu instid0(VALU_DEP_1) | instskip(NEXT) | instid1(VALU_DEP_1)
	v_and_b32_e32 v14, 0xff, v8
	v_cmpx_ne_u16_e32 0, v14
	s_cbranch_execz .LBB311_1763
; %bb.1756:                             ;   in Loop: Header=BB311_11 Depth=1
	v_mov_b32_e32 v112, 0x8000
	s_mov_b32 s15, exec_lo
	v_cmpx_ne_u16_e32 0x80, v14
	s_cbranch_execz .LBB311_1762
; %bb.1757:                             ;   in Loop: Header=BB311_11 Depth=1
	v_bfe_u32 v35, v28, 16, 7
	v_mov_b32_e32 v112, 0x7c01
	s_mov_b32 s16, exec_lo
	s_delay_alu instid0(VALU_DEP_2)
	v_cmpx_ne_u32_e32 0x7f, v35
	s_cbranch_execz .LBB311_1761
; %bb.1758:                             ;   in Loop: Header=BB311_11 Depth=1
	v_and_b32_e32 v14, 7, v8
	v_lshrrev_b32_e32 v16, 3, v35
	s_mov_b32 s17, exec_lo
	v_cmpx_gt_u32_e32 8, v35
; %bb.1759:                             ;   in Loop: Header=BB311_11 Depth=1
	s_delay_alu instid0(VALU_DEP_3) | instskip(NEXT) | instid1(VALU_DEP_1)
	v_clz_i32_u32_e32 v14, v14
	v_min_u32_e32 v14, 32, v14
	s_delay_alu instid0(VALU_DEP_1) | instskip(NEXT) | instid1(VALU_DEP_1)
	v_subrev_nc_u32_e32 v16, 28, v14
	v_lshlrev_b64_e32 v[112:113], v16, v[8:9]
	v_sub_nc_u32_e32 v16, 29, v14
	s_delay_alu instid0(VALU_DEP_2)
	v_and_b32_e32 v14, 7, v112
; %bb.1760:                             ;   in Loop: Header=BB311_11 Depth=1
	s_wait_alu 0xfffe
	s_or_b32 exec_lo, exec_lo, s17
	v_lshlrev_b32_e32 v8, 8, v8
	v_lshl_add_u32 v16, v16, 10, 0x2000
	v_lshlrev_b32_e32 v14, 7, v14
	s_delay_alu instid0(VALU_DEP_3) | instskip(NEXT) | instid1(VALU_DEP_3)
	v_and_b32_e32 v8, 0x8000, v8
	v_and_b32_e32 v16, 0xfc00, v16
	s_delay_alu instid0(VALU_DEP_1)
	v_or3_b32 v112, v8, v16, v14
.LBB311_1761:                           ;   in Loop: Header=BB311_11 Depth=1
	s_wait_alu 0xfffe
	s_or_b32 exec_lo, exec_lo, s16
.LBB311_1762:                           ;   in Loop: Header=BB311_11 Depth=1
	s_wait_alu 0xfffe
	s_or_b32 exec_lo, exec_lo, s15
.LBB311_1763:                           ;   in Loop: Header=BB311_11 Depth=1
	s_wait_alu 0xfffe
	s_or_b32 exec_lo, exec_lo, s14
	v_dual_mov_b32 v113, 0 :: v_dual_mov_b32 v114, 0
	s_mov_b32 s14, exec_lo
	v_cmpx_lt_u32_e32 0xffffff, v28
	s_cbranch_execz .LBB311_1771
; %bb.1764:                             ;   in Loop: Header=BB311_11 Depth=1
	v_lshrrev_b32_e32 v8, 24, v28
	v_bfrev_b32_e32 v114, 1
	s_mov_b32 s15, exec_lo
	s_delay_alu instid0(VALU_DEP_2)
	v_cmpx_ne_u32_e32 0x80, v8
	s_cbranch_execz .LBB311_1770
; %bb.1765:                             ;   in Loop: Header=BB311_11 Depth=1
	v_and_b32_e32 v35, 0x7f, v8
	v_mov_b32_e32 v114, 0x7c010000
	s_mov_b32 s16, exec_lo
	s_delay_alu instid0(VALU_DEP_2)
	v_cmpx_ne_u32_e32 0x7f, v35
	s_cbranch_execz .LBB311_1769
; %bb.1766:                             ;   in Loop: Header=BB311_11 Depth=1
	v_and_b32_e32 v14, 7, v8
	v_lshrrev_b32_e32 v16, 3, v35
	s_mov_b32 s17, exec_lo
	v_cmpx_gt_u32_e32 8, v35
; %bb.1767:                             ;   in Loop: Header=BB311_11 Depth=1
	s_delay_alu instid0(VALU_DEP_3) | instskip(NEXT) | instid1(VALU_DEP_1)
	v_clz_i32_u32_e32 v14, v14
	v_min_u32_e32 v14, 32, v14
	s_delay_alu instid0(VALU_DEP_1) | instskip(NEXT) | instid1(VALU_DEP_1)
	v_subrev_nc_u32_e32 v16, 28, v14
	v_lshlrev_b64_e32 v[116:117], v16, v[8:9]
	v_sub_nc_u32_e32 v16, 29, v14
	s_delay_alu instid0(VALU_DEP_2)
	v_and_b32_e32 v14, 7, v116
; %bb.1768:                             ;   in Loop: Header=BB311_11 Depth=1
	s_wait_alu 0xfffe
	s_or_b32 exec_lo, exec_lo, s17
	v_lshlrev_b32_e32 v8, 8, v8
	v_lshl_add_u32 v16, v16, 10, 0x2000
	v_lshlrev_b32_e32 v14, 23, v14
	s_delay_alu instid0(VALU_DEP_2) | instskip(NEXT) | instid1(VALU_DEP_1)
	v_and_or_b32 v8, 0x8000, v8, v16
	v_lshl_or_b32 v114, v8, 16, v14
.LBB311_1769:                           ;   in Loop: Header=BB311_11 Depth=1
	s_wait_alu 0xfffe
	s_or_b32 exec_lo, exec_lo, s16
.LBB311_1770:                           ;   in Loop: Header=BB311_11 Depth=1
	s_wait_alu 0xfffe
	s_or_b32 exec_lo, exec_lo, s15
.LBB311_1771:                           ;   in Loop: Header=BB311_11 Depth=1
	s_wait_alu 0xfffe
	s_or_b32 exec_lo, exec_lo, s14
	v_and_b32_e32 v14, 0xff, v29
	v_mov_b32_e32 v8, v29
	s_mov_b32 s14, exec_lo
	s_delay_alu instid0(VALU_DEP_2)
	v_cmpx_ne_u16_e32 0, v14
	s_cbranch_execz .LBB311_1779
; %bb.1772:                             ;   in Loop: Header=BB311_11 Depth=1
	v_mov_b32_e32 v113, 0x8000
	s_mov_b32 s15, exec_lo
	v_cmpx_ne_u16_e32 0x80, v14
	s_cbranch_execz .LBB311_1778
; %bb.1773:                             ;   in Loop: Header=BB311_11 Depth=1
	v_and_b32_e32 v35, 0x7f, v29
	v_mov_b32_e32 v113, 0x7c01
	s_mov_b32 s16, exec_lo
	s_delay_alu instid0(VALU_DEP_2)
	v_cmpx_ne_u32_e32 0x7f, v35
	s_cbranch_execz .LBB311_1777
; %bb.1774:                             ;   in Loop: Header=BB311_11 Depth=1
	v_and_b32_e32 v14, 7, v29
	v_lshrrev_b32_e32 v16, 3, v35
	s_mov_b32 s17, exec_lo
	v_cmpx_gt_u32_e32 8, v35
; %bb.1775:                             ;   in Loop: Header=BB311_11 Depth=1
	s_delay_alu instid0(VALU_DEP_3) | instskip(NEXT) | instid1(VALU_DEP_1)
	v_clz_i32_u32_e32 v14, v14
	v_min_u32_e32 v14, 32, v14
	s_delay_alu instid0(VALU_DEP_1) | instskip(NEXT) | instid1(VALU_DEP_1)
	v_subrev_nc_u32_e32 v16, 28, v14
	v_lshlrev_b64_e32 v[116:117], v16, v[8:9]
	v_sub_nc_u32_e32 v16, 29, v14
	s_delay_alu instid0(VALU_DEP_2)
	v_and_b32_e32 v14, 7, v116
; %bb.1776:                             ;   in Loop: Header=BB311_11 Depth=1
	s_wait_alu 0xfffe
	s_or_b32 exec_lo, exec_lo, s17
	v_lshlrev_b32_e32 v35, 8, v29
	v_lshl_add_u32 v16, v16, 10, 0x2000
	v_lshlrev_b32_e32 v14, 7, v14
	s_delay_alu instid0(VALU_DEP_3) | instskip(NEXT) | instid1(VALU_DEP_3)
	v_and_b32_e32 v35, 0x8000, v35
	v_and_b32_e32 v16, 0xfc00, v16
	s_delay_alu instid0(VALU_DEP_1)
	v_or3_b32 v113, v35, v16, v14
.LBB311_1777:                           ;   in Loop: Header=BB311_11 Depth=1
	s_wait_alu 0xfffe
	s_or_b32 exec_lo, exec_lo, s16
.LBB311_1778:                           ;   in Loop: Header=BB311_11 Depth=1
	s_wait_alu 0xfffe
	s_or_b32 exec_lo, exec_lo, s15
.LBB311_1779:                           ;   in Loop: Header=BB311_11 Depth=1
	s_wait_alu 0xfffe
	s_or_b32 exec_lo, exec_lo, s14
	v_lshrrev_b16 v8, 8, v8
	v_mov_b32_e32 v117, 0
	v_mov_b32_e32 v119, 0
	s_mov_b32 s14, exec_lo
	s_delay_alu instid0(VALU_DEP_3)
	v_cmpx_ne_u16_e32 0, v8
	s_cbranch_execz .LBB311_1787
; %bb.1780:                             ;   in Loop: Header=BB311_11 Depth=1
	v_bfrev_b32_e32 v119, 1
	s_mov_b32 s15, exec_lo
	v_cmpx_ne_u16_e32 0x80, v8
	s_cbranch_execz .LBB311_1786
; %bb.1781:                             ;   in Loop: Header=BB311_11 Depth=1
	v_and_b32_e32 v14, 0xffff, v8
	v_mov_b32_e32 v119, 0x7c010000
	s_mov_b32 s16, exec_lo
	s_delay_alu instid0(VALU_DEP_2) | instskip(NEXT) | instid1(VALU_DEP_1)
	v_and_b32_e32 v50, 0x7f, v14
	v_cmpx_ne_u32_e32 0x7f, v50
	s_cbranch_execz .LBB311_1785
; %bb.1782:                             ;   in Loop: Header=BB311_11 Depth=1
	v_and_b32_e32 v16, 7, v14
	v_lshrrev_b32_e32 v35, 3, v50
	s_mov_b32 s17, exec_lo
	v_cmpx_gt_u32_e32 8, v50
; %bb.1783:                             ;   in Loop: Header=BB311_11 Depth=1
	s_delay_alu instid0(VALU_DEP_3) | instskip(NEXT) | instid1(VALU_DEP_1)
	v_clz_i32_u32_e32 v16, v16
	v_min_u32_e32 v16, 32, v16
	s_delay_alu instid0(VALU_DEP_1) | instskip(NEXT) | instid1(VALU_DEP_1)
	v_subrev_nc_u32_e32 v35, 28, v16
	v_lshlrev_b64_e32 v[132:133], v35, v[8:9]
	v_sub_nc_u32_e32 v35, 29, v16
	s_delay_alu instid0(VALU_DEP_2)
	v_and_b32_e32 v16, 7, v132
; %bb.1784:                             ;   in Loop: Header=BB311_11 Depth=1
	s_wait_alu 0xfffe
	s_or_b32 exec_lo, exec_lo, s17
	v_lshlrev_b32_e32 v8, 8, v14
	v_lshl_add_u32 v14, v35, 10, 0x2000
	s_delay_alu instid0(VALU_DEP_1) | instskip(SKIP_1) | instid1(VALU_DEP_1)
	v_and_or_b32 v8, 0x8000, v8, v14
	v_lshlrev_b32_e32 v14, 23, v16
	v_lshl_or_b32 v119, v8, 16, v14
.LBB311_1785:                           ;   in Loop: Header=BB311_11 Depth=1
	s_wait_alu 0xfffe
	s_or_b32 exec_lo, exec_lo, s16
.LBB311_1786:                           ;   in Loop: Header=BB311_11 Depth=1
	s_wait_alu 0xfffe
	s_or_b32 exec_lo, exec_lo, s15
.LBB311_1787:                           ;   in Loop: Header=BB311_11 Depth=1
	s_wait_alu 0xfffe
	s_or_b32 exec_lo, exec_lo, s14
	v_lshrrev_b32_e32 v8, 16, v29
	s_mov_b32 s14, exec_lo
	s_delay_alu instid0(VALU_DEP_1) | instskip(NEXT) | instid1(VALU_DEP_1)
	v_and_b32_e32 v14, 0xff, v8
	v_cmpx_ne_u16_e32 0, v14
	s_cbranch_execz .LBB311_1795
; %bb.1788:                             ;   in Loop: Header=BB311_11 Depth=1
	v_mov_b32_e32 v117, 0x8000
	s_mov_b32 s15, exec_lo
	v_cmpx_ne_u16_e32 0x80, v14
	s_cbranch_execz .LBB311_1794
; %bb.1789:                             ;   in Loop: Header=BB311_11 Depth=1
	v_bfe_u32 v35, v29, 16, 7
	v_mov_b32_e32 v117, 0x7c01
	s_mov_b32 s16, exec_lo
	s_delay_alu instid0(VALU_DEP_2)
	v_cmpx_ne_u32_e32 0x7f, v35
	s_cbranch_execz .LBB311_1793
; %bb.1790:                             ;   in Loop: Header=BB311_11 Depth=1
	v_and_b32_e32 v14, 7, v8
	v_lshrrev_b32_e32 v16, 3, v35
	s_mov_b32 s17, exec_lo
	v_cmpx_gt_u32_e32 8, v35
; %bb.1791:                             ;   in Loop: Header=BB311_11 Depth=1
	s_delay_alu instid0(VALU_DEP_3) | instskip(NEXT) | instid1(VALU_DEP_1)
	v_clz_i32_u32_e32 v14, v14
	v_min_u32_e32 v14, 32, v14
	s_delay_alu instid0(VALU_DEP_1) | instskip(NEXT) | instid1(VALU_DEP_1)
	v_subrev_nc_u32_e32 v16, 28, v14
	v_lshlrev_b64_e32 v[116:117], v16, v[8:9]
	v_sub_nc_u32_e32 v16, 29, v14
	s_delay_alu instid0(VALU_DEP_2)
	v_and_b32_e32 v14, 7, v116
; %bb.1792:                             ;   in Loop: Header=BB311_11 Depth=1
	s_wait_alu 0xfffe
	s_or_b32 exec_lo, exec_lo, s17
	v_lshlrev_b32_e32 v8, 8, v8
	v_lshl_add_u32 v16, v16, 10, 0x2000
	v_lshlrev_b32_e32 v14, 7, v14
	s_delay_alu instid0(VALU_DEP_3) | instskip(NEXT) | instid1(VALU_DEP_3)
	v_and_b32_e32 v8, 0x8000, v8
	v_and_b32_e32 v16, 0xfc00, v16
	s_delay_alu instid0(VALU_DEP_1)
	v_or3_b32 v117, v8, v16, v14
.LBB311_1793:                           ;   in Loop: Header=BB311_11 Depth=1
	s_wait_alu 0xfffe
	s_or_b32 exec_lo, exec_lo, s16
.LBB311_1794:                           ;   in Loop: Header=BB311_11 Depth=1
	s_wait_alu 0xfffe
	s_or_b32 exec_lo, exec_lo, s15
.LBB311_1795:                           ;   in Loop: Header=BB311_11 Depth=1
	s_wait_alu 0xfffe
	s_or_b32 exec_lo, exec_lo, s14
	v_mov_b32_e32 v149, 0
	v_mov_b32_e32 v133, 0
	s_mov_b32 s14, exec_lo
	v_cmpx_lt_u64_e64 s[2:3], v[28:29]
	s_cbranch_execz .LBB311_1803
; %bb.1796:                             ;   in Loop: Header=BB311_11 Depth=1
	v_lshrrev_b32_e32 v8, 24, v29
	v_bfrev_b32_e32 v133, 1
	s_mov_b32 s15, exec_lo
	s_delay_alu instid0(VALU_DEP_2)
	v_cmpx_ne_u32_e32 0x80, v8
	s_cbranch_execz .LBB311_1802
; %bb.1797:                             ;   in Loop: Header=BB311_11 Depth=1
	v_and_b32_e32 v28, 0x7f, v8
	v_mov_b32_e32 v133, 0x7c010000
	s_mov_b32 s16, exec_lo
	s_delay_alu instid0(VALU_DEP_2)
	v_cmpx_ne_u32_e32 0x7f, v28
	s_cbranch_execz .LBB311_1801
; %bb.1798:                             ;   in Loop: Header=BB311_11 Depth=1
	v_and_b32_e32 v14, 7, v8
	v_lshrrev_b32_e32 v16, 3, v28
	s_mov_b32 s17, exec_lo
	v_cmpx_gt_u32_e32 8, v28
; %bb.1799:                             ;   in Loop: Header=BB311_11 Depth=1
	s_delay_alu instid0(VALU_DEP_3) | instskip(NEXT) | instid1(VALU_DEP_1)
	v_clz_i32_u32_e32 v14, v14
	v_min_u32_e32 v14, 32, v14
	s_delay_alu instid0(VALU_DEP_1) | instskip(NEXT) | instid1(VALU_DEP_1)
	v_subrev_nc_u32_e32 v16, 28, v14
	v_lshlrev_b64_e32 v[28:29], v16, v[8:9]
	v_sub_nc_u32_e32 v16, 29, v14
	s_delay_alu instid0(VALU_DEP_2)
	v_and_b32_e32 v14, 7, v28
; %bb.1800:                             ;   in Loop: Header=BB311_11 Depth=1
	s_wait_alu 0xfffe
	s_or_b32 exec_lo, exec_lo, s17
	v_lshlrev_b32_e32 v8, 8, v8
	v_lshl_add_u32 v16, v16, 10, 0x2000
	v_lshlrev_b32_e32 v14, 23, v14
	s_delay_alu instid0(VALU_DEP_2) | instskip(NEXT) | instid1(VALU_DEP_1)
	v_and_or_b32 v8, 0x8000, v8, v16
	v_lshl_or_b32 v133, v8, 16, v14
.LBB311_1801:                           ;   in Loop: Header=BB311_11 Depth=1
	s_wait_alu 0xfffe
	s_or_b32 exec_lo, exec_lo, s16
.LBB311_1802:                           ;   in Loop: Header=BB311_11 Depth=1
	s_wait_alu 0xfffe
	s_or_b32 exec_lo, exec_lo, s15
.LBB311_1803:                           ;   in Loop: Header=BB311_11 Depth=1
	s_wait_alu 0xfffe
	s_or_b32 exec_lo, exec_lo, s14
	flat_load_b64 v[28:29], v[20:21] offset:7168
	s_mov_b32 s14, exec_lo
	s_wait_loadcnt_dscnt 0x0
	v_and_b32_e32 v8, 0xff, v28
	s_delay_alu instid0(VALU_DEP_1)
	v_cmpx_ne_u16_e32 0, v8
	s_cbranch_execz .LBB311_1811
; %bb.1804:                             ;   in Loop: Header=BB311_11 Depth=1
	v_mov_b32_e32 v149, 0x8000
	s_mov_b32 s15, exec_lo
	v_cmpx_ne_u16_e32 0x80, v8
	s_cbranch_execz .LBB311_1810
; %bb.1805:                             ;   in Loop: Header=BB311_11 Depth=1
	v_and_b32_e32 v16, 0x7f, v28
	v_mov_b32_e32 v149, 0x7c01
	s_mov_b32 s16, exec_lo
	s_delay_alu instid0(VALU_DEP_2)
	v_cmpx_ne_u32_e32 0x7f, v16
	s_cbranch_execz .LBB311_1809
; %bb.1806:                             ;   in Loop: Header=BB311_11 Depth=1
	v_and_b32_e32 v8, 7, v28
	v_lshrrev_b32_e32 v14, 3, v16
	s_mov_b32 s17, exec_lo
	v_cmpx_gt_u32_e32 8, v16
; %bb.1807:                             ;   in Loop: Header=BB311_11 Depth=1
	s_delay_alu instid0(VALU_DEP_3) | instskip(NEXT) | instid1(VALU_DEP_1)
	v_clz_i32_u32_e32 v8, v8
	v_min_u32_e32 v8, 32, v8
	s_delay_alu instid0(VALU_DEP_1) | instskip(NEXT) | instid1(VALU_DEP_1)
	v_subrev_nc_u32_e32 v14, 28, v8
	v_lshlrev_b64_e32 v[148:149], v14, v[28:29]
	v_sub_nc_u32_e32 v14, 29, v8
	s_delay_alu instid0(VALU_DEP_2)
	v_and_b32_e32 v8, 7, v148
; %bb.1808:                             ;   in Loop: Header=BB311_11 Depth=1
	s_wait_alu 0xfffe
	s_or_b32 exec_lo, exec_lo, s17
	v_lshlrev_b32_e32 v16, 8, v28
	v_lshl_add_u32 v14, v14, 10, 0x2000
	v_lshlrev_b32_e32 v8, 7, v8
	s_delay_alu instid0(VALU_DEP_3) | instskip(NEXT) | instid1(VALU_DEP_3)
	v_and_b32_e32 v16, 0x8000, v16
	v_and_b32_e32 v14, 0xfc00, v14
	s_delay_alu instid0(VALU_DEP_1)
	v_or3_b32 v149, v16, v14, v8
.LBB311_1809:                           ;   in Loop: Header=BB311_11 Depth=1
	s_wait_alu 0xfffe
	s_or_b32 exec_lo, exec_lo, s16
.LBB311_1810:                           ;   in Loop: Header=BB311_11 Depth=1
	s_wait_alu 0xfffe
	s_or_b32 exec_lo, exec_lo, s15
.LBB311_1811:                           ;   in Loop: Header=BB311_11 Depth=1
	s_wait_alu 0xfffe
	s_or_b32 exec_lo, exec_lo, s14
	v_lshrrev_b16 v8, 8, v28
	v_mov_b32_e32 v159, 0
	v_mov_b32_e32 v157, 0
	s_mov_b32 s14, exec_lo
	s_delay_alu instid0(VALU_DEP_3)
	v_cmpx_ne_u16_e32 0, v8
	s_cbranch_execz .LBB311_1819
; %bb.1812:                             ;   in Loop: Header=BB311_11 Depth=1
	v_bfrev_b32_e32 v157, 1
	s_mov_b32 s15, exec_lo
	v_cmpx_ne_u16_e32 0x80, v8
	s_cbranch_execz .LBB311_1818
; %bb.1813:                             ;   in Loop: Header=BB311_11 Depth=1
	v_and_b32_e32 v14, 0xffff, v8
	v_mov_b32_e32 v157, 0x7c010000
	s_mov_b32 s16, exec_lo
	s_delay_alu instid0(VALU_DEP_2) | instskip(NEXT) | instid1(VALU_DEP_1)
	v_and_b32_e32 v50, 0x7f, v14
	v_cmpx_ne_u32_e32 0x7f, v50
	s_cbranch_execz .LBB311_1817
; %bb.1814:                             ;   in Loop: Header=BB311_11 Depth=1
	v_and_b32_e32 v16, 7, v14
	v_lshrrev_b32_e32 v35, 3, v50
	s_mov_b32 s17, exec_lo
	v_cmpx_gt_u32_e32 8, v50
; %bb.1815:                             ;   in Loop: Header=BB311_11 Depth=1
	s_delay_alu instid0(VALU_DEP_3) | instskip(NEXT) | instid1(VALU_DEP_1)
	v_clz_i32_u32_e32 v16, v16
	v_min_u32_e32 v16, 32, v16
	s_delay_alu instid0(VALU_DEP_1) | instskip(NEXT) | instid1(VALU_DEP_1)
	v_subrev_nc_u32_e32 v35, 28, v16
	v_lshlrev_b64_e32 v[56:57], v35, v[8:9]
	v_sub_nc_u32_e32 v35, 29, v16
	s_delay_alu instid0(VALU_DEP_2)
	v_and_b32_e32 v16, 7, v56
; %bb.1816:                             ;   in Loop: Header=BB311_11 Depth=1
	s_wait_alu 0xfffe
	s_or_b32 exec_lo, exec_lo, s17
	v_lshlrev_b32_e32 v8, 8, v14
	v_lshl_add_u32 v14, v35, 10, 0x2000
	s_delay_alu instid0(VALU_DEP_1) | instskip(SKIP_1) | instid1(VALU_DEP_1)
	v_and_or_b32 v8, 0x8000, v8, v14
	v_lshlrev_b32_e32 v14, 23, v16
	v_lshl_or_b32 v157, v8, 16, v14
.LBB311_1817:                           ;   in Loop: Header=BB311_11 Depth=1
	s_wait_alu 0xfffe
	s_or_b32 exec_lo, exec_lo, s16
.LBB311_1818:                           ;   in Loop: Header=BB311_11 Depth=1
	s_wait_alu 0xfffe
	s_or_b32 exec_lo, exec_lo, s15
.LBB311_1819:                           ;   in Loop: Header=BB311_11 Depth=1
	s_wait_alu 0xfffe
	s_or_b32 exec_lo, exec_lo, s14
	v_lshrrev_b32_e32 v8, 16, v28
	s_mov_b32 s14, exec_lo
	s_delay_alu instid0(VALU_DEP_1) | instskip(NEXT) | instid1(VALU_DEP_1)
	v_and_b32_e32 v14, 0xff, v8
	v_cmpx_ne_u16_e32 0, v14
	s_cbranch_execz .LBB311_1827
; %bb.1820:                             ;   in Loop: Header=BB311_11 Depth=1
	v_mov_b32_e32 v159, 0x8000
	s_mov_b32 s15, exec_lo
	v_cmpx_ne_u16_e32 0x80, v14
	s_cbranch_execz .LBB311_1826
; %bb.1821:                             ;   in Loop: Header=BB311_11 Depth=1
	v_bfe_u32 v35, v28, 16, 7
	v_mov_b32_e32 v159, 0x7c01
	s_mov_b32 s16, exec_lo
	s_delay_alu instid0(VALU_DEP_2)
	v_cmpx_ne_u32_e32 0x7f, v35
	s_cbranch_execz .LBB311_1825
; %bb.1822:                             ;   in Loop: Header=BB311_11 Depth=1
	v_and_b32_e32 v14, 7, v8
	v_lshrrev_b32_e32 v16, 3, v35
	s_mov_b32 s17, exec_lo
	v_cmpx_gt_u32_e32 8, v35
; %bb.1823:                             ;   in Loop: Header=BB311_11 Depth=1
	s_delay_alu instid0(VALU_DEP_3) | instskip(NEXT) | instid1(VALU_DEP_1)
	v_clz_i32_u32_e32 v14, v14
	v_min_u32_e32 v14, 32, v14
	s_delay_alu instid0(VALU_DEP_1) | instskip(NEXT) | instid1(VALU_DEP_1)
	v_subrev_nc_u32_e32 v16, 28, v14
	v_lshlrev_b64_e32 v[56:57], v16, v[8:9]
	v_sub_nc_u32_e32 v16, 29, v14
	s_delay_alu instid0(VALU_DEP_2)
	v_and_b32_e32 v14, 7, v56
; %bb.1824:                             ;   in Loop: Header=BB311_11 Depth=1
	s_wait_alu 0xfffe
	s_or_b32 exec_lo, exec_lo, s17
	v_lshlrev_b32_e32 v8, 8, v8
	v_lshl_add_u32 v16, v16, 10, 0x2000
	v_lshlrev_b32_e32 v14, 7, v14
	s_delay_alu instid0(VALU_DEP_3) | instskip(NEXT) | instid1(VALU_DEP_3)
	v_and_b32_e32 v8, 0x8000, v8
	v_and_b32_e32 v16, 0xfc00, v16
	s_delay_alu instid0(VALU_DEP_1)
	v_or3_b32 v159, v8, v16, v14
.LBB311_1825:                           ;   in Loop: Header=BB311_11 Depth=1
	s_wait_alu 0xfffe
	s_or_b32 exec_lo, exec_lo, s16
.LBB311_1826:                           ;   in Loop: Header=BB311_11 Depth=1
	s_wait_alu 0xfffe
	s_or_b32 exec_lo, exec_lo, s15
.LBB311_1827:                           ;   in Loop: Header=BB311_11 Depth=1
	s_wait_alu 0xfffe
	s_or_b32 exec_lo, exec_lo, s14
	v_dual_mov_b32 v169, 0 :: v_dual_mov_b32 v172, 0
	s_mov_b32 s14, exec_lo
	v_cmpx_lt_u32_e32 0xffffff, v28
	s_cbranch_execz .LBB311_1835
; %bb.1828:                             ;   in Loop: Header=BB311_11 Depth=1
	v_lshrrev_b32_e32 v8, 24, v28
	v_bfrev_b32_e32 v172, 1
	s_mov_b32 s15, exec_lo
	s_delay_alu instid0(VALU_DEP_2)
	v_cmpx_ne_u32_e32 0x80, v8
	s_cbranch_execz .LBB311_1834
; %bb.1829:                             ;   in Loop: Header=BB311_11 Depth=1
	v_and_b32_e32 v35, 0x7f, v8
	v_mov_b32_e32 v172, 0x7c010000
	s_mov_b32 s16, exec_lo
	s_delay_alu instid0(VALU_DEP_2)
	v_cmpx_ne_u32_e32 0x7f, v35
	s_cbranch_execz .LBB311_1833
; %bb.1830:                             ;   in Loop: Header=BB311_11 Depth=1
	v_and_b32_e32 v14, 7, v8
	v_lshrrev_b32_e32 v16, 3, v35
	s_mov_b32 s17, exec_lo
	v_cmpx_gt_u32_e32 8, v35
; %bb.1831:                             ;   in Loop: Header=BB311_11 Depth=1
	s_delay_alu instid0(VALU_DEP_3) | instskip(NEXT) | instid1(VALU_DEP_1)
	v_clz_i32_u32_e32 v14, v14
	v_min_u32_e32 v14, 32, v14
	s_delay_alu instid0(VALU_DEP_1) | instskip(NEXT) | instid1(VALU_DEP_1)
	v_subrev_nc_u32_e32 v16, 28, v14
	v_lshlrev_b64_e32 v[56:57], v16, v[8:9]
	v_sub_nc_u32_e32 v16, 29, v14
	s_delay_alu instid0(VALU_DEP_2)
	v_and_b32_e32 v14, 7, v56
; %bb.1832:                             ;   in Loop: Header=BB311_11 Depth=1
	s_wait_alu 0xfffe
	s_or_b32 exec_lo, exec_lo, s17
	v_lshlrev_b32_e32 v8, 8, v8
	v_lshl_add_u32 v16, v16, 10, 0x2000
	v_lshlrev_b32_e32 v14, 23, v14
	s_delay_alu instid0(VALU_DEP_2) | instskip(NEXT) | instid1(VALU_DEP_1)
	v_and_or_b32 v8, 0x8000, v8, v16
	v_lshl_or_b32 v172, v8, 16, v14
.LBB311_1833:                           ;   in Loop: Header=BB311_11 Depth=1
	s_wait_alu 0xfffe
	s_or_b32 exec_lo, exec_lo, s16
.LBB311_1834:                           ;   in Loop: Header=BB311_11 Depth=1
	s_wait_alu 0xfffe
	s_or_b32 exec_lo, exec_lo, s15
.LBB311_1835:                           ;   in Loop: Header=BB311_11 Depth=1
	s_wait_alu 0xfffe
	s_or_b32 exec_lo, exec_lo, s14
	v_and_b32_e32 v14, 0xff, v29
	v_mov_b32_e32 v8, v29
	s_mov_b32 s14, exec_lo
	s_delay_alu instid0(VALU_DEP_2)
	v_cmpx_ne_u16_e32 0, v14
	s_cbranch_execz .LBB311_1843
; %bb.1836:                             ;   in Loop: Header=BB311_11 Depth=1
	v_mov_b32_e32 v169, 0x8000
	s_mov_b32 s15, exec_lo
	v_cmpx_ne_u16_e32 0x80, v14
	s_cbranch_execz .LBB311_1842
; %bb.1837:                             ;   in Loop: Header=BB311_11 Depth=1
	v_and_b32_e32 v35, 0x7f, v29
	v_mov_b32_e32 v169, 0x7c01
	s_mov_b32 s16, exec_lo
	s_delay_alu instid0(VALU_DEP_2)
	v_cmpx_ne_u32_e32 0x7f, v35
	s_cbranch_execz .LBB311_1841
; %bb.1838:                             ;   in Loop: Header=BB311_11 Depth=1
	v_and_b32_e32 v14, 7, v29
	v_lshrrev_b32_e32 v16, 3, v35
	s_mov_b32 s17, exec_lo
	v_cmpx_gt_u32_e32 8, v35
; %bb.1839:                             ;   in Loop: Header=BB311_11 Depth=1
	s_delay_alu instid0(VALU_DEP_3) | instskip(NEXT) | instid1(VALU_DEP_1)
	v_clz_i32_u32_e32 v14, v14
	v_min_u32_e32 v14, 32, v14
	s_delay_alu instid0(VALU_DEP_1) | instskip(NEXT) | instid1(VALU_DEP_1)
	v_subrev_nc_u32_e32 v16, 28, v14
	v_lshlrev_b64_e32 v[56:57], v16, v[8:9]
	v_sub_nc_u32_e32 v16, 29, v14
	s_delay_alu instid0(VALU_DEP_2)
	v_and_b32_e32 v14, 7, v56
; %bb.1840:                             ;   in Loop: Header=BB311_11 Depth=1
	s_wait_alu 0xfffe
	s_or_b32 exec_lo, exec_lo, s17
	v_lshlrev_b32_e32 v35, 8, v29
	v_lshl_add_u32 v16, v16, 10, 0x2000
	v_lshlrev_b32_e32 v14, 7, v14
	s_delay_alu instid0(VALU_DEP_3) | instskip(NEXT) | instid1(VALU_DEP_3)
	v_and_b32_e32 v35, 0x8000, v35
	v_and_b32_e32 v16, 0xfc00, v16
	s_delay_alu instid0(VALU_DEP_1)
	v_or3_b32 v169, v35, v16, v14
.LBB311_1841:                           ;   in Loop: Header=BB311_11 Depth=1
	s_wait_alu 0xfffe
	s_or_b32 exec_lo, exec_lo, s16
.LBB311_1842:                           ;   in Loop: Header=BB311_11 Depth=1
	s_wait_alu 0xfffe
	s_or_b32 exec_lo, exec_lo, s15
.LBB311_1843:                           ;   in Loop: Header=BB311_11 Depth=1
	s_wait_alu 0xfffe
	s_or_b32 exec_lo, exec_lo, s14
	v_lshrrev_b16 v8, 8, v8
	v_dual_mov_b32 v56, 0 :: v_dual_mov_b32 v57, 0
	s_mov_b32 s14, exec_lo
	s_delay_alu instid0(VALU_DEP_2)
	v_cmpx_ne_u16_e32 0, v8
	s_cbranch_execz .LBB311_1851
; %bb.1844:                             ;   in Loop: Header=BB311_11 Depth=1
	v_bfrev_b32_e32 v57, 1
	s_mov_b32 s15, exec_lo
	v_cmpx_ne_u16_e32 0x80, v8
	s_cbranch_execz .LBB311_1850
; %bb.1845:                             ;   in Loop: Header=BB311_11 Depth=1
	v_and_b32_e32 v14, 0xffff, v8
	v_mov_b32_e32 v57, 0x7c010000
	s_mov_b32 s16, exec_lo
	s_delay_alu instid0(VALU_DEP_2) | instskip(NEXT) | instid1(VALU_DEP_1)
	v_and_b32_e32 v50, 0x7f, v14
	v_cmpx_ne_u32_e32 0x7f, v50
	s_cbranch_execz .LBB311_1849
; %bb.1846:                             ;   in Loop: Header=BB311_11 Depth=1
	v_and_b32_e32 v16, 7, v14
	v_lshrrev_b32_e32 v35, 3, v50
	s_mov_b32 s17, exec_lo
	v_cmpx_gt_u32_e32 8, v50
; %bb.1847:                             ;   in Loop: Header=BB311_11 Depth=1
	s_delay_alu instid0(VALU_DEP_3) | instskip(NEXT) | instid1(VALU_DEP_1)
	v_clz_i32_u32_e32 v16, v16
	v_min_u32_e32 v16, 32, v16
	s_delay_alu instid0(VALU_DEP_1) | instskip(NEXT) | instid1(VALU_DEP_1)
	v_subrev_nc_u32_e32 v35, 28, v16
	v_lshlrev_b64_e32 v[71:72], v35, v[8:9]
	v_sub_nc_u32_e32 v35, 29, v16
	s_delay_alu instid0(VALU_DEP_2)
	v_and_b32_e32 v16, 7, v71
; %bb.1848:                             ;   in Loop: Header=BB311_11 Depth=1
	s_wait_alu 0xfffe
	s_or_b32 exec_lo, exec_lo, s17
	v_lshlrev_b32_e32 v8, 8, v14
	v_lshl_add_u32 v14, v35, 10, 0x2000
	s_delay_alu instid0(VALU_DEP_1) | instskip(SKIP_1) | instid1(VALU_DEP_1)
	v_and_or_b32 v8, 0x8000, v8, v14
	v_lshlrev_b32_e32 v14, 23, v16
	v_lshl_or_b32 v57, v8, 16, v14
.LBB311_1849:                           ;   in Loop: Header=BB311_11 Depth=1
	s_wait_alu 0xfffe
	s_or_b32 exec_lo, exec_lo, s16
.LBB311_1850:                           ;   in Loop: Header=BB311_11 Depth=1
	s_wait_alu 0xfffe
	s_or_b32 exec_lo, exec_lo, s15
.LBB311_1851:                           ;   in Loop: Header=BB311_11 Depth=1
	s_wait_alu 0xfffe
	s_or_b32 exec_lo, exec_lo, s14
	v_lshrrev_b32_e32 v8, 16, v29
	s_mov_b32 s14, exec_lo
	s_delay_alu instid0(VALU_DEP_1) | instskip(NEXT) | instid1(VALU_DEP_1)
	v_and_b32_e32 v14, 0xff, v8
	v_cmpx_ne_u16_e32 0, v14
	s_cbranch_execz .LBB311_1859
; %bb.1852:                             ;   in Loop: Header=BB311_11 Depth=1
	v_mov_b32_e32 v56, 0x8000
	s_mov_b32 s15, exec_lo
	v_cmpx_ne_u16_e32 0x80, v14
	s_cbranch_execz .LBB311_1858
; %bb.1853:                             ;   in Loop: Header=BB311_11 Depth=1
	v_bfe_u32 v35, v29, 16, 7
	v_mov_b32_e32 v56, 0x7c01
	s_mov_b32 s16, exec_lo
	s_delay_alu instid0(VALU_DEP_2)
	v_cmpx_ne_u32_e32 0x7f, v35
	s_cbranch_execz .LBB311_1857
; %bb.1854:                             ;   in Loop: Header=BB311_11 Depth=1
	v_and_b32_e32 v14, 7, v8
	v_lshrrev_b32_e32 v16, 3, v35
	s_mov_b32 s17, exec_lo
	v_cmpx_gt_u32_e32 8, v35
; %bb.1855:                             ;   in Loop: Header=BB311_11 Depth=1
	s_delay_alu instid0(VALU_DEP_3) | instskip(NEXT) | instid1(VALU_DEP_1)
	v_clz_i32_u32_e32 v14, v14
	v_min_u32_e32 v14, 32, v14
	s_delay_alu instid0(VALU_DEP_1) | instskip(NEXT) | instid1(VALU_DEP_1)
	v_subrev_nc_u32_e32 v16, 28, v14
	v_lshlrev_b64_e32 v[71:72], v16, v[8:9]
	v_sub_nc_u32_e32 v16, 29, v14
	s_delay_alu instid0(VALU_DEP_2)
	v_and_b32_e32 v14, 7, v71
; %bb.1856:                             ;   in Loop: Header=BB311_11 Depth=1
	s_wait_alu 0xfffe
	s_or_b32 exec_lo, exec_lo, s17
	v_lshlrev_b32_e32 v8, 8, v8
	v_lshl_add_u32 v16, v16, 10, 0x2000
	v_lshlrev_b32_e32 v14, 7, v14
	s_delay_alu instid0(VALU_DEP_3) | instskip(NEXT) | instid1(VALU_DEP_3)
	v_and_b32_e32 v8, 0x8000, v8
	v_and_b32_e32 v16, 0xfc00, v16
	s_delay_alu instid0(VALU_DEP_1)
	v_or3_b32 v56, v8, v16, v14
.LBB311_1857:                           ;   in Loop: Header=BB311_11 Depth=1
	s_wait_alu 0xfffe
	s_or_b32 exec_lo, exec_lo, s16
.LBB311_1858:                           ;   in Loop: Header=BB311_11 Depth=1
	s_wait_alu 0xfffe
	s_or_b32 exec_lo, exec_lo, s15
.LBB311_1859:                           ;   in Loop: Header=BB311_11 Depth=1
	s_wait_alu 0xfffe
	s_or_b32 exec_lo, exec_lo, s14
	v_dual_mov_b32 v73, 0 :: v_dual_mov_b32 v72, 0
	s_mov_b32 s14, exec_lo
	v_cmpx_lt_u64_e64 s[2:3], v[28:29]
	s_cbranch_execz .LBB311_1867
; %bb.1860:                             ;   in Loop: Header=BB311_11 Depth=1
	v_lshrrev_b32_e32 v8, 24, v29
	v_bfrev_b32_e32 v72, 1
	s_mov_b32 s15, exec_lo
	s_delay_alu instid0(VALU_DEP_2)
	v_cmpx_ne_u32_e32 0x80, v8
	s_cbranch_execz .LBB311_1866
; %bb.1861:                             ;   in Loop: Header=BB311_11 Depth=1
	v_and_b32_e32 v28, 0x7f, v8
	v_mov_b32_e32 v72, 0x7c010000
	s_mov_b32 s16, exec_lo
	s_delay_alu instid0(VALU_DEP_2)
	v_cmpx_ne_u32_e32 0x7f, v28
	s_cbranch_execz .LBB311_1865
; %bb.1862:                             ;   in Loop: Header=BB311_11 Depth=1
	v_and_b32_e32 v14, 7, v8
	v_lshrrev_b32_e32 v16, 3, v28
	s_mov_b32 s17, exec_lo
	v_cmpx_gt_u32_e32 8, v28
; %bb.1863:                             ;   in Loop: Header=BB311_11 Depth=1
	s_delay_alu instid0(VALU_DEP_3) | instskip(NEXT) | instid1(VALU_DEP_1)
	v_clz_i32_u32_e32 v14, v14
	v_min_u32_e32 v14, 32, v14
	s_delay_alu instid0(VALU_DEP_1) | instskip(NEXT) | instid1(VALU_DEP_1)
	v_subrev_nc_u32_e32 v16, 28, v14
	v_lshlrev_b64_e32 v[28:29], v16, v[8:9]
	v_sub_nc_u32_e32 v16, 29, v14
	s_delay_alu instid0(VALU_DEP_2)
	v_and_b32_e32 v14, 7, v28
; %bb.1864:                             ;   in Loop: Header=BB311_11 Depth=1
	s_wait_alu 0xfffe
	s_or_b32 exec_lo, exec_lo, s17
	v_lshlrev_b32_e32 v8, 8, v8
	v_lshl_add_u32 v16, v16, 10, 0x2000
	v_lshlrev_b32_e32 v14, 23, v14
	s_delay_alu instid0(VALU_DEP_2) | instskip(NEXT) | instid1(VALU_DEP_1)
	v_and_or_b32 v8, 0x8000, v8, v16
	v_lshl_or_b32 v72, v8, 16, v14
.LBB311_1865:                           ;   in Loop: Header=BB311_11 Depth=1
	s_wait_alu 0xfffe
	s_or_b32 exec_lo, exec_lo, s16
.LBB311_1866:                           ;   in Loop: Header=BB311_11 Depth=1
	s_wait_alu 0xfffe
	s_or_b32 exec_lo, exec_lo, s15
.LBB311_1867:                           ;   in Loop: Header=BB311_11 Depth=1
	s_wait_alu 0xfffe
	s_or_b32 exec_lo, exec_lo, s14
	flat_load_b64 v[28:29], v[20:21] offset:7176
	s_mov_b32 s14, exec_lo
	s_wait_loadcnt_dscnt 0x0
	v_and_b32_e32 v8, 0xff, v28
	s_delay_alu instid0(VALU_DEP_1)
	v_cmpx_ne_u16_e32 0, v8
	s_cbranch_execz .LBB311_1875
; %bb.1868:                             ;   in Loop: Header=BB311_11 Depth=1
	v_mov_b32_e32 v73, 0x8000
	s_mov_b32 s15, exec_lo
	v_cmpx_ne_u16_e32 0x80, v8
	s_cbranch_execz .LBB311_1874
; %bb.1869:                             ;   in Loop: Header=BB311_11 Depth=1
	v_and_b32_e32 v16, 0x7f, v28
	v_mov_b32_e32 v73, 0x7c01
	s_mov_b32 s16, exec_lo
	s_delay_alu instid0(VALU_DEP_2)
	v_cmpx_ne_u32_e32 0x7f, v16
	s_cbranch_execz .LBB311_1873
; %bb.1870:                             ;   in Loop: Header=BB311_11 Depth=1
	v_and_b32_e32 v8, 7, v28
	v_lshrrev_b32_e32 v14, 3, v16
	s_mov_b32 s17, exec_lo
	v_cmpx_gt_u32_e32 8, v16
; %bb.1871:                             ;   in Loop: Header=BB311_11 Depth=1
	s_delay_alu instid0(VALU_DEP_3) | instskip(NEXT) | instid1(VALU_DEP_1)
	v_clz_i32_u32_e32 v8, v8
	v_min_u32_e32 v8, 32, v8
	s_delay_alu instid0(VALU_DEP_1) | instskip(NEXT) | instid1(VALU_DEP_1)
	v_subrev_nc_u32_e32 v14, 28, v8
	v_lshlrev_b64_e32 v[88:89], v14, v[28:29]
	v_sub_nc_u32_e32 v14, 29, v8
	s_delay_alu instid0(VALU_DEP_2)
	v_and_b32_e32 v8, 7, v88
; %bb.1872:                             ;   in Loop: Header=BB311_11 Depth=1
	s_wait_alu 0xfffe
	s_or_b32 exec_lo, exec_lo, s17
	v_lshlrev_b32_e32 v16, 8, v28
	v_lshl_add_u32 v14, v14, 10, 0x2000
	v_lshlrev_b32_e32 v8, 7, v8
	s_delay_alu instid0(VALU_DEP_3) | instskip(NEXT) | instid1(VALU_DEP_3)
	v_and_b32_e32 v16, 0x8000, v16
	v_and_b32_e32 v14, 0xfc00, v14
	s_delay_alu instid0(VALU_DEP_1)
	v_or3_b32 v73, v16, v14, v8
.LBB311_1873:                           ;   in Loop: Header=BB311_11 Depth=1
	s_wait_alu 0xfffe
	s_or_b32 exec_lo, exec_lo, s16
.LBB311_1874:                           ;   in Loop: Header=BB311_11 Depth=1
	s_wait_alu 0xfffe
	s_or_b32 exec_lo, exec_lo, s15
.LBB311_1875:                           ;   in Loop: Header=BB311_11 Depth=1
	s_wait_alu 0xfffe
	s_or_b32 exec_lo, exec_lo, s14
	v_lshrrev_b16 v8, 8, v28
	v_dual_mov_b32 v78, 0 :: v_dual_mov_b32 v75, 0
	s_mov_b32 s14, exec_lo
	s_delay_alu instid0(VALU_DEP_2)
	v_cmpx_ne_u16_e32 0, v8
	s_cbranch_execz .LBB311_1883
; %bb.1876:                             ;   in Loop: Header=BB311_11 Depth=1
	v_bfrev_b32_e32 v75, 1
	s_mov_b32 s15, exec_lo
	v_cmpx_ne_u16_e32 0x80, v8
	s_cbranch_execz .LBB311_1882
; %bb.1877:                             ;   in Loop: Header=BB311_11 Depth=1
	v_and_b32_e32 v14, 0xffff, v8
	v_mov_b32_e32 v75, 0x7c010000
	s_mov_b32 s16, exec_lo
	s_delay_alu instid0(VALU_DEP_2) | instskip(NEXT) | instid1(VALU_DEP_1)
	v_and_b32_e32 v50, 0x7f, v14
	v_cmpx_ne_u32_e32 0x7f, v50
	s_cbranch_execz .LBB311_1881
; %bb.1878:                             ;   in Loop: Header=BB311_11 Depth=1
	v_and_b32_e32 v16, 7, v14
	v_lshrrev_b32_e32 v35, 3, v50
	s_mov_b32 s17, exec_lo
	v_cmpx_gt_u32_e32 8, v50
; %bb.1879:                             ;   in Loop: Header=BB311_11 Depth=1
	s_delay_alu instid0(VALU_DEP_3) | instskip(NEXT) | instid1(VALU_DEP_1)
	v_clz_i32_u32_e32 v16, v16
	v_min_u32_e32 v16, 32, v16
	s_delay_alu instid0(VALU_DEP_1) | instskip(NEXT) | instid1(VALU_DEP_1)
	v_subrev_nc_u32_e32 v35, 28, v16
	v_lshlrev_b64_e32 v[88:89], v35, v[8:9]
	v_sub_nc_u32_e32 v35, 29, v16
	s_delay_alu instid0(VALU_DEP_2)
	v_and_b32_e32 v16, 7, v88
; %bb.1880:                             ;   in Loop: Header=BB311_11 Depth=1
	s_wait_alu 0xfffe
	s_or_b32 exec_lo, exec_lo, s17
	v_lshlrev_b32_e32 v8, 8, v14
	v_lshl_add_u32 v14, v35, 10, 0x2000
	s_delay_alu instid0(VALU_DEP_1) | instskip(SKIP_1) | instid1(VALU_DEP_1)
	v_and_or_b32 v8, 0x8000, v8, v14
	v_lshlrev_b32_e32 v14, 23, v16
	v_lshl_or_b32 v75, v8, 16, v14
.LBB311_1881:                           ;   in Loop: Header=BB311_11 Depth=1
	s_wait_alu 0xfffe
	s_or_b32 exec_lo, exec_lo, s16
.LBB311_1882:                           ;   in Loop: Header=BB311_11 Depth=1
	s_wait_alu 0xfffe
	s_or_b32 exec_lo, exec_lo, s15
.LBB311_1883:                           ;   in Loop: Header=BB311_11 Depth=1
	s_wait_alu 0xfffe
	s_or_b32 exec_lo, exec_lo, s14
	v_lshrrev_b32_e32 v8, 16, v28
	s_mov_b32 s14, exec_lo
	s_delay_alu instid0(VALU_DEP_1) | instskip(NEXT) | instid1(VALU_DEP_1)
	v_and_b32_e32 v14, 0xff, v8
	v_cmpx_ne_u16_e32 0, v14
	s_cbranch_execz .LBB311_1891
; %bb.1884:                             ;   in Loop: Header=BB311_11 Depth=1
	v_mov_b32_e32 v78, 0x8000
	s_mov_b32 s15, exec_lo
	v_cmpx_ne_u16_e32 0x80, v14
	s_cbranch_execz .LBB311_1890
; %bb.1885:                             ;   in Loop: Header=BB311_11 Depth=1
	v_bfe_u32 v35, v28, 16, 7
	v_mov_b32_e32 v78, 0x7c01
	s_mov_b32 s16, exec_lo
	s_delay_alu instid0(VALU_DEP_2)
	v_cmpx_ne_u32_e32 0x7f, v35
	s_cbranch_execz .LBB311_1889
; %bb.1886:                             ;   in Loop: Header=BB311_11 Depth=1
	v_and_b32_e32 v14, 7, v8
	v_lshrrev_b32_e32 v16, 3, v35
	s_mov_b32 s17, exec_lo
	v_cmpx_gt_u32_e32 8, v35
; %bb.1887:                             ;   in Loop: Header=BB311_11 Depth=1
	s_delay_alu instid0(VALU_DEP_3) | instskip(NEXT) | instid1(VALU_DEP_1)
	v_clz_i32_u32_e32 v14, v14
	v_min_u32_e32 v14, 32, v14
	s_delay_alu instid0(VALU_DEP_1) | instskip(NEXT) | instid1(VALU_DEP_1)
	v_subrev_nc_u32_e32 v16, 28, v14
	v_lshlrev_b64_e32 v[88:89], v16, v[8:9]
	v_sub_nc_u32_e32 v16, 29, v14
	s_delay_alu instid0(VALU_DEP_2)
	v_and_b32_e32 v14, 7, v88
; %bb.1888:                             ;   in Loop: Header=BB311_11 Depth=1
	s_wait_alu 0xfffe
	s_or_b32 exec_lo, exec_lo, s17
	v_lshlrev_b32_e32 v8, 8, v8
	v_lshl_add_u32 v16, v16, 10, 0x2000
	v_lshlrev_b32_e32 v14, 7, v14
	s_delay_alu instid0(VALU_DEP_3) | instskip(NEXT) | instid1(VALU_DEP_3)
	v_and_b32_e32 v8, 0x8000, v8
	v_and_b32_e32 v16, 0xfc00, v16
	s_delay_alu instid0(VALU_DEP_1)
	v_or3_b32 v78, v8, v16, v14
.LBB311_1889:                           ;   in Loop: Header=BB311_11 Depth=1
	s_wait_alu 0xfffe
	s_or_b32 exec_lo, exec_lo, s16
.LBB311_1890:                           ;   in Loop: Header=BB311_11 Depth=1
	s_wait_alu 0xfffe
	s_or_b32 exec_lo, exec_lo, s15
.LBB311_1891:                           ;   in Loop: Header=BB311_11 Depth=1
	s_wait_alu 0xfffe
	s_or_b32 exec_lo, exec_lo, s14
	v_dual_mov_b32 v175, 0 :: v_dual_mov_b32 v186, 0
	s_mov_b32 s14, exec_lo
	v_cmpx_lt_u32_e32 0xffffff, v28
	s_cbranch_execz .LBB311_1899
; %bb.1892:                             ;   in Loop: Header=BB311_11 Depth=1
	v_lshrrev_b32_e32 v8, 24, v28
	v_bfrev_b32_e32 v186, 1
	s_mov_b32 s15, exec_lo
	s_delay_alu instid0(VALU_DEP_2)
	v_cmpx_ne_u32_e32 0x80, v8
	s_cbranch_execz .LBB311_1898
; %bb.1893:                             ;   in Loop: Header=BB311_11 Depth=1
	v_and_b32_e32 v35, 0x7f, v8
	v_mov_b32_e32 v186, 0x7c010000
	s_mov_b32 s16, exec_lo
	s_delay_alu instid0(VALU_DEP_2)
	v_cmpx_ne_u32_e32 0x7f, v35
	s_cbranch_execz .LBB311_1897
; %bb.1894:                             ;   in Loop: Header=BB311_11 Depth=1
	v_and_b32_e32 v14, 7, v8
	v_lshrrev_b32_e32 v16, 3, v35
	s_mov_b32 s17, exec_lo
	v_cmpx_gt_u32_e32 8, v35
; %bb.1895:                             ;   in Loop: Header=BB311_11 Depth=1
	s_delay_alu instid0(VALU_DEP_3) | instskip(NEXT) | instid1(VALU_DEP_1)
	v_clz_i32_u32_e32 v14, v14
	v_min_u32_e32 v14, 32, v14
	s_delay_alu instid0(VALU_DEP_1) | instskip(NEXT) | instid1(VALU_DEP_1)
	v_subrev_nc_u32_e32 v16, 28, v14
	v_lshlrev_b64_e32 v[88:89], v16, v[8:9]
	v_sub_nc_u32_e32 v16, 29, v14
	s_delay_alu instid0(VALU_DEP_2)
	v_and_b32_e32 v14, 7, v88
; %bb.1896:                             ;   in Loop: Header=BB311_11 Depth=1
	s_wait_alu 0xfffe
	s_or_b32 exec_lo, exec_lo, s17
	v_lshlrev_b32_e32 v8, 8, v8
	v_lshl_add_u32 v16, v16, 10, 0x2000
	v_lshlrev_b32_e32 v14, 23, v14
	s_delay_alu instid0(VALU_DEP_2) | instskip(NEXT) | instid1(VALU_DEP_1)
	v_and_or_b32 v8, 0x8000, v8, v16
	v_lshl_or_b32 v186, v8, 16, v14
.LBB311_1897:                           ;   in Loop: Header=BB311_11 Depth=1
	s_wait_alu 0xfffe
	s_or_b32 exec_lo, exec_lo, s16
.LBB311_1898:                           ;   in Loop: Header=BB311_11 Depth=1
	s_wait_alu 0xfffe
	s_or_b32 exec_lo, exec_lo, s15
.LBB311_1899:                           ;   in Loop: Header=BB311_11 Depth=1
	s_wait_alu 0xfffe
	s_or_b32 exec_lo, exec_lo, s14
	v_and_b32_e32 v14, 0xff, v29
	v_mov_b32_e32 v8, v29
	s_mov_b32 s14, exec_lo
	s_delay_alu instid0(VALU_DEP_2)
	v_cmpx_ne_u16_e32 0, v14
	s_cbranch_execz .LBB311_1907
; %bb.1900:                             ;   in Loop: Header=BB311_11 Depth=1
	v_mov_b32_e32 v175, 0x8000
	s_mov_b32 s15, exec_lo
	v_cmpx_ne_u16_e32 0x80, v14
	s_cbranch_execz .LBB311_1906
; %bb.1901:                             ;   in Loop: Header=BB311_11 Depth=1
	v_and_b32_e32 v35, 0x7f, v29
	v_mov_b32_e32 v175, 0x7c01
	s_mov_b32 s16, exec_lo
	s_delay_alu instid0(VALU_DEP_2)
	v_cmpx_ne_u32_e32 0x7f, v35
	s_cbranch_execz .LBB311_1905
; %bb.1902:                             ;   in Loop: Header=BB311_11 Depth=1
	v_and_b32_e32 v14, 7, v29
	v_lshrrev_b32_e32 v16, 3, v35
	s_mov_b32 s17, exec_lo
	v_cmpx_gt_u32_e32 8, v35
; %bb.1903:                             ;   in Loop: Header=BB311_11 Depth=1
	s_delay_alu instid0(VALU_DEP_3) | instskip(NEXT) | instid1(VALU_DEP_1)
	v_clz_i32_u32_e32 v14, v14
	v_min_u32_e32 v14, 32, v14
	s_delay_alu instid0(VALU_DEP_1) | instskip(NEXT) | instid1(VALU_DEP_1)
	v_subrev_nc_u32_e32 v16, 28, v14
	v_lshlrev_b64_e32 v[88:89], v16, v[8:9]
	v_sub_nc_u32_e32 v16, 29, v14
	s_delay_alu instid0(VALU_DEP_2)
	v_and_b32_e32 v14, 7, v88
; %bb.1904:                             ;   in Loop: Header=BB311_11 Depth=1
	s_wait_alu 0xfffe
	s_or_b32 exec_lo, exec_lo, s17
	v_lshlrev_b32_e32 v35, 8, v29
	v_lshl_add_u32 v16, v16, 10, 0x2000
	v_lshlrev_b32_e32 v14, 7, v14
	s_delay_alu instid0(VALU_DEP_3) | instskip(NEXT) | instid1(VALU_DEP_3)
	v_and_b32_e32 v35, 0x8000, v35
	v_and_b32_e32 v16, 0xfc00, v16
	s_delay_alu instid0(VALU_DEP_1)
	v_or3_b32 v175, v35, v16, v14
.LBB311_1905:                           ;   in Loop: Header=BB311_11 Depth=1
	s_wait_alu 0xfffe
	s_or_b32 exec_lo, exec_lo, s16
.LBB311_1906:                           ;   in Loop: Header=BB311_11 Depth=1
	s_wait_alu 0xfffe
	s_or_b32 exec_lo, exec_lo, s15
.LBB311_1907:                           ;   in Loop: Header=BB311_11 Depth=1
	s_wait_alu 0xfffe
	s_or_b32 exec_lo, exec_lo, s14
	v_lshrrev_b16 v8, 8, v8
	v_mov_b32_e32 v88, 0
	v_mov_b32_e32 v116, 0
	s_mov_b32 s14, exec_lo
	s_delay_alu instid0(VALU_DEP_3)
	v_cmpx_ne_u16_e32 0, v8
	s_cbranch_execz .LBB311_1915
; %bb.1908:                             ;   in Loop: Header=BB311_11 Depth=1
	v_bfrev_b32_e32 v116, 1
	s_mov_b32 s15, exec_lo
	v_cmpx_ne_u16_e32 0x80, v8
	s_cbranch_execz .LBB311_1914
; %bb.1909:                             ;   in Loop: Header=BB311_11 Depth=1
	v_and_b32_e32 v14, 0xffff, v8
	v_mov_b32_e32 v116, 0x7c010000
	s_mov_b32 s16, exec_lo
	s_delay_alu instid0(VALU_DEP_2) | instskip(NEXT) | instid1(VALU_DEP_1)
	v_and_b32_e32 v50, 0x7f, v14
	v_cmpx_ne_u32_e32 0x7f, v50
	s_cbranch_execz .LBB311_1913
; %bb.1910:                             ;   in Loop: Header=BB311_11 Depth=1
	v_and_b32_e32 v16, 7, v14
	v_lshrrev_b32_e32 v35, 3, v50
	s_mov_b32 s17, exec_lo
	v_cmpx_gt_u32_e32 8, v50
; %bb.1911:                             ;   in Loop: Header=BB311_11 Depth=1
	s_delay_alu instid0(VALU_DEP_3) | instskip(NEXT) | instid1(VALU_DEP_1)
	v_clz_i32_u32_e32 v16, v16
	v_min_u32_e32 v16, 32, v16
	s_delay_alu instid0(VALU_DEP_1) | instskip(NEXT) | instid1(VALU_DEP_1)
	v_subrev_nc_u32_e32 v35, 28, v16
	v_lshlrev_b64_e32 v[104:105], v35, v[8:9]
	v_sub_nc_u32_e32 v35, 29, v16
	s_delay_alu instid0(VALU_DEP_2)
	v_and_b32_e32 v16, 7, v104
; %bb.1912:                             ;   in Loop: Header=BB311_11 Depth=1
	s_wait_alu 0xfffe
	s_or_b32 exec_lo, exec_lo, s17
	v_lshlrev_b32_e32 v8, 8, v14
	v_lshl_add_u32 v14, v35, 10, 0x2000
	s_delay_alu instid0(VALU_DEP_1) | instskip(SKIP_1) | instid1(VALU_DEP_1)
	v_and_or_b32 v8, 0x8000, v8, v14
	v_lshlrev_b32_e32 v14, 23, v16
	v_lshl_or_b32 v116, v8, 16, v14
.LBB311_1913:                           ;   in Loop: Header=BB311_11 Depth=1
	s_wait_alu 0xfffe
	s_or_b32 exec_lo, exec_lo, s16
.LBB311_1914:                           ;   in Loop: Header=BB311_11 Depth=1
	s_wait_alu 0xfffe
	s_or_b32 exec_lo, exec_lo, s15
.LBB311_1915:                           ;   in Loop: Header=BB311_11 Depth=1
	s_wait_alu 0xfffe
	s_or_b32 exec_lo, exec_lo, s14
	v_lshrrev_b32_e32 v8, 16, v29
	s_mov_b32 s14, exec_lo
	s_delay_alu instid0(VALU_DEP_1) | instskip(NEXT) | instid1(VALU_DEP_1)
	v_and_b32_e32 v14, 0xff, v8
	v_cmpx_ne_u16_e32 0, v14
	s_cbranch_execz .LBB311_1923
; %bb.1916:                             ;   in Loop: Header=BB311_11 Depth=1
	v_mov_b32_e32 v88, 0x8000
	s_mov_b32 s15, exec_lo
	v_cmpx_ne_u16_e32 0x80, v14
	s_cbranch_execz .LBB311_1922
; %bb.1917:                             ;   in Loop: Header=BB311_11 Depth=1
	v_bfe_u32 v35, v29, 16, 7
	v_mov_b32_e32 v88, 0x7c01
	s_mov_b32 s16, exec_lo
	s_delay_alu instid0(VALU_DEP_2)
	v_cmpx_ne_u32_e32 0x7f, v35
	s_cbranch_execz .LBB311_1921
; %bb.1918:                             ;   in Loop: Header=BB311_11 Depth=1
	v_and_b32_e32 v14, 7, v8
	v_lshrrev_b32_e32 v16, 3, v35
	s_mov_b32 s17, exec_lo
	v_cmpx_gt_u32_e32 8, v35
; %bb.1919:                             ;   in Loop: Header=BB311_11 Depth=1
	s_delay_alu instid0(VALU_DEP_3) | instskip(NEXT) | instid1(VALU_DEP_1)
	v_clz_i32_u32_e32 v14, v14
	v_min_u32_e32 v14, 32, v14
	s_delay_alu instid0(VALU_DEP_1) | instskip(NEXT) | instid1(VALU_DEP_1)
	v_subrev_nc_u32_e32 v16, 28, v14
	v_lshlrev_b64_e32 v[88:89], v16, v[8:9]
	v_sub_nc_u32_e32 v16, 29, v14
	s_delay_alu instid0(VALU_DEP_2)
	v_and_b32_e32 v14, 7, v88
; %bb.1920:                             ;   in Loop: Header=BB311_11 Depth=1
	s_wait_alu 0xfffe
	s_or_b32 exec_lo, exec_lo, s17
	v_lshlrev_b32_e32 v8, 8, v8
	v_lshl_add_u32 v16, v16, 10, 0x2000
	v_lshlrev_b32_e32 v14, 7, v14
	s_delay_alu instid0(VALU_DEP_3) | instskip(NEXT) | instid1(VALU_DEP_3)
	v_and_b32_e32 v8, 0x8000, v8
	v_and_b32_e32 v16, 0xfc00, v16
	s_delay_alu instid0(VALU_DEP_1)
	v_or3_b32 v88, v8, v16, v14
.LBB311_1921:                           ;   in Loop: Header=BB311_11 Depth=1
	s_wait_alu 0xfffe
	s_or_b32 exec_lo, exec_lo, s16
.LBB311_1922:                           ;   in Loop: Header=BB311_11 Depth=1
	s_wait_alu 0xfffe
	s_or_b32 exec_lo, exec_lo, s15
.LBB311_1923:                           ;   in Loop: Header=BB311_11 Depth=1
	s_wait_alu 0xfffe
	s_or_b32 exec_lo, exec_lo, s14
	v_dual_mov_b32 v50, 0 :: v_dual_mov_b32 v89, 0
	s_mov_b32 s14, exec_lo
	v_cmpx_lt_u64_e64 s[2:3], v[28:29]
	s_cbranch_execz .LBB311_1931
; %bb.1924:                             ;   in Loop: Header=BB311_11 Depth=1
	v_lshrrev_b32_e32 v8, 24, v29
	v_bfrev_b32_e32 v89, 1
	s_mov_b32 s15, exec_lo
	s_delay_alu instid0(VALU_DEP_2)
	v_cmpx_ne_u32_e32 0x80, v8
	s_cbranch_execz .LBB311_1930
; %bb.1925:                             ;   in Loop: Header=BB311_11 Depth=1
	v_and_b32_e32 v28, 0x7f, v8
	v_mov_b32_e32 v89, 0x7c010000
	s_mov_b32 s16, exec_lo
	s_delay_alu instid0(VALU_DEP_2)
	v_cmpx_ne_u32_e32 0x7f, v28
	s_cbranch_execz .LBB311_1929
; %bb.1926:                             ;   in Loop: Header=BB311_11 Depth=1
	v_and_b32_e32 v14, 7, v8
	v_lshrrev_b32_e32 v16, 3, v28
	s_mov_b32 s17, exec_lo
	v_cmpx_gt_u32_e32 8, v28
; %bb.1927:                             ;   in Loop: Header=BB311_11 Depth=1
	s_delay_alu instid0(VALU_DEP_3) | instskip(NEXT) | instid1(VALU_DEP_1)
	v_clz_i32_u32_e32 v14, v14
	v_min_u32_e32 v14, 32, v14
	s_delay_alu instid0(VALU_DEP_1) | instskip(NEXT) | instid1(VALU_DEP_1)
	v_subrev_nc_u32_e32 v16, 28, v14
	v_lshlrev_b64_e32 v[28:29], v16, v[8:9]
	v_sub_nc_u32_e32 v16, 29, v14
	s_delay_alu instid0(VALU_DEP_2)
	v_and_b32_e32 v14, 7, v28
; %bb.1928:                             ;   in Loop: Header=BB311_11 Depth=1
	s_wait_alu 0xfffe
	s_or_b32 exec_lo, exec_lo, s17
	v_lshlrev_b32_e32 v8, 8, v8
	v_lshl_add_u32 v16, v16, 10, 0x2000
	v_lshlrev_b32_e32 v14, 23, v14
	s_delay_alu instid0(VALU_DEP_2) | instskip(NEXT) | instid1(VALU_DEP_1)
	v_and_or_b32 v8, 0x8000, v8, v16
	v_lshl_or_b32 v89, v8, 16, v14
.LBB311_1929:                           ;   in Loop: Header=BB311_11 Depth=1
	s_wait_alu 0xfffe
	s_or_b32 exec_lo, exec_lo, s16
.LBB311_1930:                           ;   in Loop: Header=BB311_11 Depth=1
	s_wait_alu 0xfffe
	s_or_b32 exec_lo, exec_lo, s15
.LBB311_1931:                           ;   in Loop: Header=BB311_11 Depth=1
	s_wait_alu 0xfffe
	s_or_b32 exec_lo, exec_lo, s14
	flat_load_b64 v[28:29], v[20:21] offset:7680
	s_mov_b32 s14, exec_lo
	s_wait_loadcnt_dscnt 0x0
	v_and_b32_e32 v8, 0xff, v28
	s_delay_alu instid0(VALU_DEP_1)
	v_cmpx_ne_u16_e32 0, v8
	s_cbranch_execz .LBB311_1939
; %bb.1932:                             ;   in Loop: Header=BB311_11 Depth=1
	v_mov_b32_e32 v50, 0x8000
	s_mov_b32 s15, exec_lo
	v_cmpx_ne_u16_e32 0x80, v8
	s_cbranch_execz .LBB311_1938
; %bb.1933:                             ;   in Loop: Header=BB311_11 Depth=1
	v_and_b32_e32 v16, 0x7f, v28
	v_mov_b32_e32 v50, 0x7c01
	s_mov_b32 s16, exec_lo
	s_delay_alu instid0(VALU_DEP_2)
	v_cmpx_ne_u32_e32 0x7f, v16
	s_cbranch_execz .LBB311_1937
; %bb.1934:                             ;   in Loop: Header=BB311_11 Depth=1
	v_and_b32_e32 v8, 7, v28
	v_lshrrev_b32_e32 v14, 3, v16
	s_mov_b32 s17, exec_lo
	v_cmpx_gt_u32_e32 8, v16
; %bb.1935:                             ;   in Loop: Header=BB311_11 Depth=1
	s_delay_alu instid0(VALU_DEP_3) | instskip(NEXT) | instid1(VALU_DEP_1)
	v_clz_i32_u32_e32 v8, v8
	v_min_u32_e32 v8, 32, v8
	s_delay_alu instid0(VALU_DEP_1) | instskip(NEXT) | instid1(VALU_DEP_1)
	v_subrev_nc_u32_e32 v14, 28, v8
	v_lshlrev_b64_e32 v[104:105], v14, v[28:29]
	v_sub_nc_u32_e32 v14, 29, v8
	s_delay_alu instid0(VALU_DEP_2)
	v_and_b32_e32 v8, 7, v104
; %bb.1936:                             ;   in Loop: Header=BB311_11 Depth=1
	s_wait_alu 0xfffe
	s_or_b32 exec_lo, exec_lo, s17
	v_lshlrev_b32_e32 v16, 8, v28
	v_lshl_add_u32 v14, v14, 10, 0x2000
	v_lshlrev_b32_e32 v8, 7, v8
	s_delay_alu instid0(VALU_DEP_3) | instskip(NEXT) | instid1(VALU_DEP_3)
	v_and_b32_e32 v16, 0x8000, v16
	v_and_b32_e32 v14, 0xfc00, v14
	s_delay_alu instid0(VALU_DEP_1)
	v_or3_b32 v50, v16, v14, v8
.LBB311_1937:                           ;   in Loop: Header=BB311_11 Depth=1
	s_wait_alu 0xfffe
	s_or_b32 exec_lo, exec_lo, s16
.LBB311_1938:                           ;   in Loop: Header=BB311_11 Depth=1
	s_wait_alu 0xfffe
	s_or_b32 exec_lo, exec_lo, s15
.LBB311_1939:                           ;   in Loop: Header=BB311_11 Depth=1
	s_wait_alu 0xfffe
	s_or_b32 exec_lo, exec_lo, s14
	v_lshrrev_b16 v8, 8, v28
	v_dual_mov_b32 v120, 0 :: v_dual_mov_b32 v91, 0
	s_mov_b32 s14, exec_lo
	s_delay_alu instid0(VALU_DEP_2)
	v_cmpx_ne_u16_e32 0, v8
	s_cbranch_execz .LBB311_1947
; %bb.1940:                             ;   in Loop: Header=BB311_11 Depth=1
	v_bfrev_b32_e32 v91, 1
	s_mov_b32 s15, exec_lo
	v_cmpx_ne_u16_e32 0x80, v8
	s_cbranch_execz .LBB311_1946
; %bb.1941:                             ;   in Loop: Header=BB311_11 Depth=1
	v_and_b32_e32 v14, 0xffff, v8
	v_mov_b32_e32 v91, 0x7c010000
	s_mov_b32 s16, exec_lo
	s_delay_alu instid0(VALU_DEP_2) | instskip(NEXT) | instid1(VALU_DEP_1)
	v_and_b32_e32 v71, 0x7f, v14
	v_cmpx_ne_u32_e32 0x7f, v71
	s_cbranch_execz .LBB311_1945
; %bb.1942:                             ;   in Loop: Header=BB311_11 Depth=1
	v_and_b32_e32 v16, 7, v14
	v_lshrrev_b32_e32 v35, 3, v71
	s_mov_b32 s17, exec_lo
	v_cmpx_gt_u32_e32 8, v71
; %bb.1943:                             ;   in Loop: Header=BB311_11 Depth=1
	s_delay_alu instid0(VALU_DEP_3) | instskip(NEXT) | instid1(VALU_DEP_1)
	v_clz_i32_u32_e32 v16, v16
	v_min_u32_e32 v16, 32, v16
	s_delay_alu instid0(VALU_DEP_1) | instskip(NEXT) | instid1(VALU_DEP_1)
	v_subrev_nc_u32_e32 v35, 28, v16
	v_lshlrev_b64_e32 v[104:105], v35, v[8:9]
	v_sub_nc_u32_e32 v35, 29, v16
	s_delay_alu instid0(VALU_DEP_2)
	v_and_b32_e32 v16, 7, v104
; %bb.1944:                             ;   in Loop: Header=BB311_11 Depth=1
	s_wait_alu 0xfffe
	s_or_b32 exec_lo, exec_lo, s17
	v_lshlrev_b32_e32 v8, 8, v14
	v_lshl_add_u32 v14, v35, 10, 0x2000
	s_delay_alu instid0(VALU_DEP_1) | instskip(SKIP_1) | instid1(VALU_DEP_1)
	v_and_or_b32 v8, 0x8000, v8, v14
	v_lshlrev_b32_e32 v14, 23, v16
	v_lshl_or_b32 v91, v8, 16, v14
.LBB311_1945:                           ;   in Loop: Header=BB311_11 Depth=1
	s_wait_alu 0xfffe
	s_or_b32 exec_lo, exec_lo, s16
.LBB311_1946:                           ;   in Loop: Header=BB311_11 Depth=1
	s_wait_alu 0xfffe
	s_or_b32 exec_lo, exec_lo, s15
.LBB311_1947:                           ;   in Loop: Header=BB311_11 Depth=1
	s_wait_alu 0xfffe
	s_or_b32 exec_lo, exec_lo, s14
	v_lshrrev_b32_e32 v8, 16, v28
	s_mov_b32 s14, exec_lo
	s_delay_alu instid0(VALU_DEP_1) | instskip(NEXT) | instid1(VALU_DEP_1)
	v_and_b32_e32 v14, 0xff, v8
	v_cmpx_ne_u16_e32 0, v14
	s_cbranch_execz .LBB311_1955
; %bb.1948:                             ;   in Loop: Header=BB311_11 Depth=1
	v_mov_b32_e32 v120, 0x8000
	s_mov_b32 s15, exec_lo
	v_cmpx_ne_u16_e32 0x80, v14
	s_cbranch_execz .LBB311_1954
; %bb.1949:                             ;   in Loop: Header=BB311_11 Depth=1
	v_bfe_u32 v35, v28, 16, 7
	v_mov_b32_e32 v120, 0x7c01
	s_mov_b32 s16, exec_lo
	s_delay_alu instid0(VALU_DEP_2)
	v_cmpx_ne_u32_e32 0x7f, v35
	s_cbranch_execz .LBB311_1953
; %bb.1950:                             ;   in Loop: Header=BB311_11 Depth=1
	v_and_b32_e32 v14, 7, v8
	v_lshrrev_b32_e32 v16, 3, v35
	s_mov_b32 s17, exec_lo
	v_cmpx_gt_u32_e32 8, v35
; %bb.1951:                             ;   in Loop: Header=BB311_11 Depth=1
	s_delay_alu instid0(VALU_DEP_3) | instskip(NEXT) | instid1(VALU_DEP_1)
	v_clz_i32_u32_e32 v14, v14
	v_min_u32_e32 v14, 32, v14
	s_delay_alu instid0(VALU_DEP_1) | instskip(NEXT) | instid1(VALU_DEP_1)
	v_subrev_nc_u32_e32 v16, 28, v14
	v_lshlrev_b64_e32 v[104:105], v16, v[8:9]
	v_sub_nc_u32_e32 v16, 29, v14
	s_delay_alu instid0(VALU_DEP_2)
	v_and_b32_e32 v14, 7, v104
; %bb.1952:                             ;   in Loop: Header=BB311_11 Depth=1
	s_wait_alu 0xfffe
	s_or_b32 exec_lo, exec_lo, s17
	v_lshlrev_b32_e32 v8, 8, v8
	v_lshl_add_u32 v16, v16, 10, 0x2000
	v_lshlrev_b32_e32 v14, 7, v14
	s_delay_alu instid0(VALU_DEP_3) | instskip(NEXT) | instid1(VALU_DEP_3)
	v_and_b32_e32 v8, 0x8000, v8
	v_and_b32_e32 v16, 0xfc00, v16
	s_delay_alu instid0(VALU_DEP_1)
	v_or3_b32 v120, v8, v16, v14
.LBB311_1953:                           ;   in Loop: Header=BB311_11 Depth=1
	s_wait_alu 0xfffe
	s_or_b32 exec_lo, exec_lo, s16
.LBB311_1954:                           ;   in Loop: Header=BB311_11 Depth=1
	s_wait_alu 0xfffe
	s_or_b32 exec_lo, exec_lo, s15
.LBB311_1955:                           ;   in Loop: Header=BB311_11 Depth=1
	s_wait_alu 0xfffe
	s_or_b32 exec_lo, exec_lo, s14
	v_mov_b32_e32 v132, 0
	v_mov_b32_e32 v126, 0
	s_mov_b32 s14, exec_lo
	v_cmpx_lt_u32_e32 0xffffff, v28
	s_cbranch_execz .LBB311_1963
; %bb.1956:                             ;   in Loop: Header=BB311_11 Depth=1
	v_lshrrev_b32_e32 v8, 24, v28
	v_bfrev_b32_e32 v126, 1
	s_mov_b32 s15, exec_lo
	s_delay_alu instid0(VALU_DEP_2)
	v_cmpx_ne_u32_e32 0x80, v8
	s_cbranch_execz .LBB311_1962
; %bb.1957:                             ;   in Loop: Header=BB311_11 Depth=1
	v_and_b32_e32 v35, 0x7f, v8
	v_mov_b32_e32 v126, 0x7c010000
	s_mov_b32 s16, exec_lo
	s_delay_alu instid0(VALU_DEP_2)
	v_cmpx_ne_u32_e32 0x7f, v35
	s_cbranch_execz .LBB311_1961
; %bb.1958:                             ;   in Loop: Header=BB311_11 Depth=1
	v_and_b32_e32 v14, 7, v8
	v_lshrrev_b32_e32 v16, 3, v35
	s_mov_b32 s17, exec_lo
	v_cmpx_gt_u32_e32 8, v35
; %bb.1959:                             ;   in Loop: Header=BB311_11 Depth=1
	s_delay_alu instid0(VALU_DEP_3) | instskip(NEXT) | instid1(VALU_DEP_1)
	v_clz_i32_u32_e32 v14, v14
	v_min_u32_e32 v14, 32, v14
	s_delay_alu instid0(VALU_DEP_1) | instskip(NEXT) | instid1(VALU_DEP_1)
	v_subrev_nc_u32_e32 v16, 28, v14
	v_lshlrev_b64_e32 v[104:105], v16, v[8:9]
	v_sub_nc_u32_e32 v16, 29, v14
	s_delay_alu instid0(VALU_DEP_2)
	v_and_b32_e32 v14, 7, v104
; %bb.1960:                             ;   in Loop: Header=BB311_11 Depth=1
	s_wait_alu 0xfffe
	s_or_b32 exec_lo, exec_lo, s17
	v_lshlrev_b32_e32 v8, 8, v8
	v_lshl_add_u32 v16, v16, 10, 0x2000
	v_lshlrev_b32_e32 v14, 23, v14
	s_delay_alu instid0(VALU_DEP_2) | instskip(NEXT) | instid1(VALU_DEP_1)
	v_and_or_b32 v8, 0x8000, v8, v16
	v_lshl_or_b32 v126, v8, 16, v14
.LBB311_1961:                           ;   in Loop: Header=BB311_11 Depth=1
	s_wait_alu 0xfffe
	s_or_b32 exec_lo, exec_lo, s16
.LBB311_1962:                           ;   in Loop: Header=BB311_11 Depth=1
	s_wait_alu 0xfffe
	s_or_b32 exec_lo, exec_lo, s15
.LBB311_1963:                           ;   in Loop: Header=BB311_11 Depth=1
	s_wait_alu 0xfffe
	s_or_b32 exec_lo, exec_lo, s14
	v_and_b32_e32 v14, 0xff, v29
	v_mov_b32_e32 v8, v29
	s_mov_b32 s14, exec_lo
	s_delay_alu instid0(VALU_DEP_2)
	v_cmpx_ne_u16_e32 0, v14
	s_cbranch_execz .LBB311_1971
; %bb.1964:                             ;   in Loop: Header=BB311_11 Depth=1
	v_mov_b32_e32 v132, 0x8000
	s_mov_b32 s15, exec_lo
	v_cmpx_ne_u16_e32 0x80, v14
	s_cbranch_execz .LBB311_1970
; %bb.1965:                             ;   in Loop: Header=BB311_11 Depth=1
	v_and_b32_e32 v35, 0x7f, v29
	v_mov_b32_e32 v132, 0x7c01
	s_mov_b32 s16, exec_lo
	s_delay_alu instid0(VALU_DEP_2)
	v_cmpx_ne_u32_e32 0x7f, v35
	s_cbranch_execz .LBB311_1969
; %bb.1966:                             ;   in Loop: Header=BB311_11 Depth=1
	v_and_b32_e32 v14, 7, v29
	v_lshrrev_b32_e32 v16, 3, v35
	s_mov_b32 s17, exec_lo
	v_cmpx_gt_u32_e32 8, v35
; %bb.1967:                             ;   in Loop: Header=BB311_11 Depth=1
	s_delay_alu instid0(VALU_DEP_3) | instskip(NEXT) | instid1(VALU_DEP_1)
	v_clz_i32_u32_e32 v14, v14
	v_min_u32_e32 v14, 32, v14
	s_delay_alu instid0(VALU_DEP_1) | instskip(NEXT) | instid1(VALU_DEP_1)
	v_subrev_nc_u32_e32 v16, 28, v14
	v_lshlrev_b64_e32 v[104:105], v16, v[8:9]
	v_sub_nc_u32_e32 v16, 29, v14
	s_delay_alu instid0(VALU_DEP_2)
	v_and_b32_e32 v14, 7, v104
; %bb.1968:                             ;   in Loop: Header=BB311_11 Depth=1
	s_wait_alu 0xfffe
	s_or_b32 exec_lo, exec_lo, s17
	v_lshlrev_b32_e32 v35, 8, v29
	v_lshl_add_u32 v16, v16, 10, 0x2000
	v_lshlrev_b32_e32 v14, 7, v14
	s_delay_alu instid0(VALU_DEP_3) | instskip(NEXT) | instid1(VALU_DEP_3)
	v_and_b32_e32 v35, 0x8000, v35
	v_and_b32_e32 v16, 0xfc00, v16
	s_delay_alu instid0(VALU_DEP_1)
	v_or3_b32 v132, v35, v16, v14
.LBB311_1969:                           ;   in Loop: Header=BB311_11 Depth=1
	s_wait_alu 0xfffe
	s_or_b32 exec_lo, exec_lo, s16
.LBB311_1970:                           ;   in Loop: Header=BB311_11 Depth=1
	s_wait_alu 0xfffe
	s_or_b32 exec_lo, exec_lo, s15
.LBB311_1971:                           ;   in Loop: Header=BB311_11 Depth=1
	s_wait_alu 0xfffe
	s_or_b32 exec_lo, exec_lo, s14
	v_lshrrev_b16 v8, 8, v8
	v_dual_mov_b32 v135, 0 :: v_dual_mov_b32 v104, 0
	s_mov_b32 s14, exec_lo
	s_delay_alu instid0(VALU_DEP_2)
	v_cmpx_ne_u16_e32 0, v8
	s_cbranch_execz .LBB311_1979
; %bb.1972:                             ;   in Loop: Header=BB311_11 Depth=1
	v_bfrev_b32_e32 v104, 1
	s_mov_b32 s15, exec_lo
	v_cmpx_ne_u16_e32 0x80, v8
	s_cbranch_execz .LBB311_1978
; %bb.1973:                             ;   in Loop: Header=BB311_11 Depth=1
	v_and_b32_e32 v14, 0xffff, v8
	v_mov_b32_e32 v104, 0x7c010000
	s_mov_b32 s16, exec_lo
	s_delay_alu instid0(VALU_DEP_2) | instskip(NEXT) | instid1(VALU_DEP_1)
	v_and_b32_e32 v71, 0x7f, v14
	v_cmpx_ne_u32_e32 0x7f, v71
	s_cbranch_execz .LBB311_1977
; %bb.1974:                             ;   in Loop: Header=BB311_11 Depth=1
	v_and_b32_e32 v16, 7, v14
	v_lshrrev_b32_e32 v35, 3, v71
	s_mov_b32 s17, exec_lo
	v_cmpx_gt_u32_e32 8, v71
; %bb.1975:                             ;   in Loop: Header=BB311_11 Depth=1
	s_delay_alu instid0(VALU_DEP_3) | instskip(NEXT) | instid1(VALU_DEP_1)
	v_clz_i32_u32_e32 v16, v16
	v_min_u32_e32 v16, 32, v16
	s_delay_alu instid0(VALU_DEP_1) | instskip(NEXT) | instid1(VALU_DEP_1)
	v_subrev_nc_u32_e32 v35, 28, v16
	v_lshlrev_b64_e32 v[104:105], v35, v[8:9]
	v_sub_nc_u32_e32 v35, 29, v16
	s_delay_alu instid0(VALU_DEP_2)
	v_and_b32_e32 v16, 7, v104
; %bb.1976:                             ;   in Loop: Header=BB311_11 Depth=1
	s_wait_alu 0xfffe
	s_or_b32 exec_lo, exec_lo, s17
	v_lshlrev_b32_e32 v8, 8, v14
	v_lshl_add_u32 v14, v35, 10, 0x2000
	s_delay_alu instid0(VALU_DEP_1) | instskip(SKIP_1) | instid1(VALU_DEP_1)
	v_and_or_b32 v8, 0x8000, v8, v14
	v_lshlrev_b32_e32 v14, 23, v16
	v_lshl_or_b32 v104, v8, 16, v14
.LBB311_1977:                           ;   in Loop: Header=BB311_11 Depth=1
	s_wait_alu 0xfffe
	s_or_b32 exec_lo, exec_lo, s16
.LBB311_1978:                           ;   in Loop: Header=BB311_11 Depth=1
	s_wait_alu 0xfffe
	s_or_b32 exec_lo, exec_lo, s15
.LBB311_1979:                           ;   in Loop: Header=BB311_11 Depth=1
	s_wait_alu 0xfffe
	s_or_b32 exec_lo, exec_lo, s14
	v_lshrrev_b32_e32 v8, 16, v29
	s_mov_b32 s14, exec_lo
	s_delay_alu instid0(VALU_DEP_1) | instskip(NEXT) | instid1(VALU_DEP_1)
	v_and_b32_e32 v14, 0xff, v8
	v_cmpx_ne_u16_e32 0, v14
	s_cbranch_execz .LBB311_1987
; %bb.1980:                             ;   in Loop: Header=BB311_11 Depth=1
	v_mov_b32_e32 v135, 0x8000
	s_mov_b32 s15, exec_lo
	v_cmpx_ne_u16_e32 0x80, v14
	s_cbranch_execz .LBB311_1986
; %bb.1981:                             ;   in Loop: Header=BB311_11 Depth=1
	v_bfe_u32 v35, v29, 16, 7
	v_mov_b32_e32 v135, 0x7c01
	s_mov_b32 s16, exec_lo
	s_delay_alu instid0(VALU_DEP_2)
	v_cmpx_ne_u32_e32 0x7f, v35
	s_cbranch_execz .LBB311_1985
; %bb.1982:                             ;   in Loop: Header=BB311_11 Depth=1
	v_and_b32_e32 v14, 7, v8
	v_lshrrev_b32_e32 v16, 3, v35
	s_mov_b32 s17, exec_lo
	v_cmpx_gt_u32_e32 8, v35
	s_cbranch_execz .LBB311_1984
; %bb.1983:                             ;   in Loop: Header=BB311_11 Depth=1
	v_clz_i32_u32_e32 v14, v14
	v_mov_b32_e32 v35, v165
	v_mov_b32_e32 v65, v164
	s_delay_alu instid0(VALU_DEP_3) | instskip(NEXT) | instid1(VALU_DEP_1)
	v_min_u32_e32 v14, 32, v14
	v_subrev_nc_u32_e32 v16, 28, v14
	s_delay_alu instid0(VALU_DEP_1) | instskip(SKIP_1) | instid1(VALU_DEP_2)
	v_lshlrev_b64_e32 v[164:165], v16, v[8:9]
	v_sub_nc_u32_e32 v16, 29, v14
	v_dual_mov_b32 v165, v35 :: v_dual_and_b32 v14, 7, v164
	v_mov_b32_e32 v164, v65
.LBB311_1984:                           ;   in Loop: Header=BB311_11 Depth=1
	s_wait_alu 0xfffe
	s_or_b32 exec_lo, exec_lo, s17
	v_lshlrev_b32_e32 v8, 8, v8
	v_lshl_add_u32 v16, v16, 10, 0x2000
	v_lshlrev_b32_e32 v14, 7, v14
	s_delay_alu instid0(VALU_DEP_3) | instskip(NEXT) | instid1(VALU_DEP_3)
	v_and_b32_e32 v8, 0x8000, v8
	v_and_b32_e32 v16, 0xfc00, v16
	s_delay_alu instid0(VALU_DEP_1)
	v_or3_b32 v135, v8, v16, v14
.LBB311_1985:                           ;   in Loop: Header=BB311_11 Depth=1
	s_wait_alu 0xfffe
	s_or_b32 exec_lo, exec_lo, s16
.LBB311_1986:                           ;   in Loop: Header=BB311_11 Depth=1
	s_wait_alu 0xfffe
	s_or_b32 exec_lo, exec_lo, s15
.LBB311_1987:                           ;   in Loop: Header=BB311_11 Depth=1
	s_wait_alu 0xfffe
	s_or_b32 exec_lo, exec_lo, s14
	v_cmp_lt_u64_e64 s1, s[2:3], v[28:29]
	v_mov_b32_e32 v28, 0
	v_mov_b32_e32 v146, 0
	s_and_saveexec_b32 s14, s1
	s_cbranch_execz .LBB311_1995
; %bb.1988:                             ;   in Loop: Header=BB311_11 Depth=1
	v_lshrrev_b32_e32 v8, 24, v29
	v_bfrev_b32_e32 v146, 1
	s_mov_b32 s15, exec_lo
	s_delay_alu instid0(VALU_DEP_2)
	v_cmpx_ne_u32_e32 0x80, v8
	s_cbranch_execz .LBB311_1994
; %bb.1989:                             ;   in Loop: Header=BB311_11 Depth=1
	v_and_b32_e32 v29, 0x7f, v8
	v_mov_b32_e32 v146, 0x7c010000
	s_mov_b32 s16, exec_lo
	s_delay_alu instid0(VALU_DEP_2)
	v_cmpx_ne_u32_e32 0x7f, v29
	s_cbranch_execz .LBB311_1993
; %bb.1990:                             ;   in Loop: Header=BB311_11 Depth=1
	v_and_b32_e32 v14, 7, v8
	v_lshrrev_b32_e32 v16, 3, v29
	s_mov_b32 s17, exec_lo
	v_cmpx_gt_u32_e32 8, v29
	s_cbranch_execz .LBB311_1992
; %bb.1991:                             ;   in Loop: Header=BB311_11 Depth=1
	v_clz_i32_u32_e32 v14, v14
	v_mov_b32_e32 v29, v165
	v_mov_b32_e32 v35, v164
	s_delay_alu instid0(VALU_DEP_3) | instskip(NEXT) | instid1(VALU_DEP_1)
	v_min_u32_e32 v14, 32, v14
	v_subrev_nc_u32_e32 v16, 28, v14
	s_delay_alu instid0(VALU_DEP_1) | instskip(SKIP_1) | instid1(VALU_DEP_2)
	v_lshlrev_b64_e32 v[164:165], v16, v[8:9]
	v_sub_nc_u32_e32 v16, 29, v14
	v_dual_mov_b32 v165, v29 :: v_dual_and_b32 v14, 7, v164
	v_mov_b32_e32 v164, v35
.LBB311_1992:                           ;   in Loop: Header=BB311_11 Depth=1
	s_wait_alu 0xfffe
	s_or_b32 exec_lo, exec_lo, s17
	v_lshlrev_b32_e32 v8, 8, v8
	v_lshl_add_u32 v16, v16, 10, 0x2000
	v_lshlrev_b32_e32 v14, 23, v14
	s_delay_alu instid0(VALU_DEP_2) | instskip(NEXT) | instid1(VALU_DEP_1)
	v_and_or_b32 v8, 0x8000, v8, v16
	v_lshl_or_b32 v146, v8, 16, v14
.LBB311_1993:                           ;   in Loop: Header=BB311_11 Depth=1
	s_wait_alu 0xfffe
	s_or_b32 exec_lo, exec_lo, s16
.LBB311_1994:                           ;   in Loop: Header=BB311_11 Depth=1
	s_wait_alu 0xfffe
	s_or_b32 exec_lo, exec_lo, s15
.LBB311_1995:                           ;   in Loop: Header=BB311_11 Depth=1
	s_wait_alu 0xfffe
	s_or_b32 exec_lo, exec_lo, s14
	flat_load_b64 v[20:21], v[20:21] offset:7688
	s_mov_b32 s14, exec_lo
	s_wait_loadcnt_dscnt 0x0
	v_and_b32_e32 v8, 0xff, v20
	s_delay_alu instid0(VALU_DEP_1)
	v_cmpx_ne_u16_e32 0, v8
	s_cbranch_execz .LBB311_2003
; %bb.1996:                             ;   in Loop: Header=BB311_11 Depth=1
	v_mov_b32_e32 v28, 0x8000
	s_mov_b32 s15, exec_lo
	v_cmpx_ne_u16_e32 0x80, v8
	s_cbranch_execz .LBB311_2002
; %bb.1997:                             ;   in Loop: Header=BB311_11 Depth=1
	v_and_b32_e32 v16, 0x7f, v20
	v_mov_b32_e32 v28, 0x7c01
	s_mov_b32 s16, exec_lo
	s_delay_alu instid0(VALU_DEP_2)
	v_cmpx_ne_u32_e32 0x7f, v16
	s_cbranch_execz .LBB311_2001
; %bb.1998:                             ;   in Loop: Header=BB311_11 Depth=1
	v_and_b32_e32 v8, 7, v20
	v_lshrrev_b32_e32 v14, 3, v16
	s_mov_b32 s17, exec_lo
	v_cmpx_gt_u32_e32 8, v16
; %bb.1999:                             ;   in Loop: Header=BB311_11 Depth=1
	s_delay_alu instid0(VALU_DEP_3) | instskip(NEXT) | instid1(VALU_DEP_1)
	v_clz_i32_u32_e32 v8, v8
	v_min_u32_e32 v8, 32, v8
	s_delay_alu instid0(VALU_DEP_1) | instskip(NEXT) | instid1(VALU_DEP_1)
	v_subrev_nc_u32_e32 v14, 28, v8
	v_lshlrev_b64_e32 v[28:29], v14, v[20:21]
	v_sub_nc_u32_e32 v14, 29, v8
	s_delay_alu instid0(VALU_DEP_2)
	v_and_b32_e32 v8, 7, v28
; %bb.2000:                             ;   in Loop: Header=BB311_11 Depth=1
	s_wait_alu 0xfffe
	s_or_b32 exec_lo, exec_lo, s17
	v_lshlrev_b32_e32 v16, 8, v20
	v_lshl_add_u32 v14, v14, 10, 0x2000
	v_lshlrev_b32_e32 v8, 7, v8
	s_delay_alu instid0(VALU_DEP_3) | instskip(NEXT) | instid1(VALU_DEP_3)
	v_and_b32_e32 v16, 0x8000, v16
	v_and_b32_e32 v14, 0xfc00, v14
	s_delay_alu instid0(VALU_DEP_1)
	v_or3_b32 v28, v16, v14, v8
.LBB311_2001:                           ;   in Loop: Header=BB311_11 Depth=1
	s_wait_alu 0xfffe
	s_or_b32 exec_lo, exec_lo, s16
.LBB311_2002:                           ;   in Loop: Header=BB311_11 Depth=1
	s_wait_alu 0xfffe
	s_or_b32 exec_lo, exec_lo, s15
.LBB311_2003:                           ;   in Loop: Header=BB311_11 Depth=1
	s_wait_alu 0xfffe
	s_or_b32 exec_lo, exec_lo, s14
	v_lshrrev_b16 v8, 8, v20
	v_mov_b32_e32 v71, 0
	v_mov_b32_e32 v29, 0
	s_mov_b32 s14, exec_lo
	s_delay_alu instid0(VALU_DEP_3)
	v_cmpx_ne_u16_e32 0, v8
	s_cbranch_execz .LBB311_2011
; %bb.2004:                             ;   in Loop: Header=BB311_11 Depth=1
	v_bfrev_b32_e32 v29, 1
	s_mov_b32 s15, exec_lo
	v_cmpx_ne_u16_e32 0x80, v8
	s_cbranch_execz .LBB311_2010
; %bb.2005:                             ;   in Loop: Header=BB311_11 Depth=1
	v_and_b32_e32 v14, 0xffff, v8
	v_mov_b32_e32 v29, 0x7c010000
	s_mov_b32 s16, exec_lo
	s_delay_alu instid0(VALU_DEP_2) | instskip(NEXT) | instid1(VALU_DEP_1)
	v_and_b32_e32 v35, 0x7f, v14
	v_cmpx_ne_u32_e32 0x7f, v35
	s_cbranch_execz .LBB311_2009
; %bb.2006:                             ;   in Loop: Header=BB311_11 Depth=1
	v_and_b32_e32 v16, 7, v14
	v_lshrrev_b32_e32 v29, 3, v35
	s_mov_b32 s17, exec_lo
	v_cmpx_gt_u32_e32 8, v35
	s_cbranch_execz .LBB311_2008
; %bb.2007:                             ;   in Loop: Header=BB311_11 Depth=1
	v_clz_i32_u32_e32 v16, v16
	v_mov_b32_e32 v35, v165
	v_mov_b32_e32 v65, v164
	s_delay_alu instid0(VALU_DEP_3) | instskip(NEXT) | instid1(VALU_DEP_1)
	v_min_u32_e32 v16, 32, v16
	v_subrev_nc_u32_e32 v29, 28, v16
	s_delay_alu instid0(VALU_DEP_1) | instskip(SKIP_1) | instid1(VALU_DEP_2)
	v_lshlrev_b64_e32 v[164:165], v29, v[8:9]
	v_sub_nc_u32_e32 v29, 29, v16
	v_dual_mov_b32 v165, v35 :: v_dual_and_b32 v16, 7, v164
	v_mov_b32_e32 v164, v65
.LBB311_2008:                           ;   in Loop: Header=BB311_11 Depth=1
	s_wait_alu 0xfffe
	s_or_b32 exec_lo, exec_lo, s17
	v_lshlrev_b32_e32 v8, 8, v14
	v_lshl_add_u32 v14, v29, 10, 0x2000
	s_delay_alu instid0(VALU_DEP_1) | instskip(SKIP_1) | instid1(VALU_DEP_1)
	v_and_or_b32 v8, 0x8000, v8, v14
	v_lshlrev_b32_e32 v14, 23, v16
	v_lshl_or_b32 v29, v8, 16, v14
.LBB311_2009:                           ;   in Loop: Header=BB311_11 Depth=1
	s_wait_alu 0xfffe
	s_or_b32 exec_lo, exec_lo, s16
.LBB311_2010:                           ;   in Loop: Header=BB311_11 Depth=1
	s_wait_alu 0xfffe
	s_or_b32 exec_lo, exec_lo, s15
.LBB311_2011:                           ;   in Loop: Header=BB311_11 Depth=1
	s_wait_alu 0xfffe
	s_or_b32 exec_lo, exec_lo, s14
	v_lshrrev_b32_e32 v8, 16, v20
	s_mov_b32 s14, exec_lo
	s_delay_alu instid0(VALU_DEP_1) | instskip(NEXT) | instid1(VALU_DEP_1)
	v_and_b32_e32 v14, 0xff, v8
	v_cmpx_ne_u16_e32 0, v14
	s_cbranch_execz .LBB311_2019
; %bb.2012:                             ;   in Loop: Header=BB311_11 Depth=1
	v_mov_b32_e32 v71, 0x8000
	s_mov_b32 s15, exec_lo
	v_cmpx_ne_u16_e32 0x80, v14
	s_cbranch_execz .LBB311_2018
; %bb.2013:                             ;   in Loop: Header=BB311_11 Depth=1
	v_bfe_u32 v35, v20, 16, 7
	v_mov_b32_e32 v71, 0x7c01
	s_mov_b32 s16, exec_lo
	s_delay_alu instid0(VALU_DEP_2)
	v_cmpx_ne_u32_e32 0x7f, v35
	s_cbranch_execz .LBB311_2017
; %bb.2014:                             ;   in Loop: Header=BB311_11 Depth=1
	v_and_b32_e32 v14, 7, v8
	v_lshrrev_b32_e32 v16, 3, v35
	s_mov_b32 s17, exec_lo
	v_cmpx_gt_u32_e32 8, v35
	s_cbranch_execz .LBB311_2016
; %bb.2015:                             ;   in Loop: Header=BB311_11 Depth=1
	v_clz_i32_u32_e32 v14, v14
	v_mov_b32_e32 v35, v165
	v_mov_b32_e32 v65, v164
	s_delay_alu instid0(VALU_DEP_3) | instskip(NEXT) | instid1(VALU_DEP_1)
	v_min_u32_e32 v14, 32, v14
	v_subrev_nc_u32_e32 v16, 28, v14
	s_delay_alu instid0(VALU_DEP_1) | instskip(SKIP_1) | instid1(VALU_DEP_2)
	v_lshlrev_b64_e32 v[164:165], v16, v[8:9]
	v_sub_nc_u32_e32 v16, 29, v14
	v_dual_mov_b32 v165, v35 :: v_dual_and_b32 v14, 7, v164
	v_mov_b32_e32 v164, v65
.LBB311_2016:                           ;   in Loop: Header=BB311_11 Depth=1
	s_wait_alu 0xfffe
	s_or_b32 exec_lo, exec_lo, s17
	v_lshlrev_b32_e32 v8, 8, v8
	v_lshl_add_u32 v16, v16, 10, 0x2000
	v_lshlrev_b32_e32 v14, 7, v14
	s_delay_alu instid0(VALU_DEP_3) | instskip(NEXT) | instid1(VALU_DEP_3)
	v_and_b32_e32 v8, 0x8000, v8
	v_and_b32_e32 v16, 0xfc00, v16
	s_delay_alu instid0(VALU_DEP_1)
	v_or3_b32 v71, v8, v16, v14
.LBB311_2017:                           ;   in Loop: Header=BB311_11 Depth=1
	s_wait_alu 0xfffe
	s_or_b32 exec_lo, exec_lo, s16
.LBB311_2018:                           ;   in Loop: Header=BB311_11 Depth=1
	s_wait_alu 0xfffe
	s_or_b32 exec_lo, exec_lo, s15
.LBB311_2019:                           ;   in Loop: Header=BB311_11 Depth=1
	s_wait_alu 0xfffe
	s_or_b32 exec_lo, exec_lo, s14
	v_dual_mov_b32 v82, 0 :: v_dual_mov_b32 v35, 0
	s_mov_b32 s14, exec_lo
	v_cmpx_lt_u32_e32 0xffffff, v20
	s_cbranch_execz .LBB311_2027
; %bb.2020:                             ;   in Loop: Header=BB311_11 Depth=1
	v_lshrrev_b32_e32 v8, 24, v20
	v_bfrev_b32_e32 v35, 1
	s_mov_b32 s15, exec_lo
	s_delay_alu instid0(VALU_DEP_2)
	v_cmpx_ne_u32_e32 0x80, v8
	s_cbranch_execz .LBB311_2026
; %bb.2021:                             ;   in Loop: Header=BB311_11 Depth=1
	v_and_b32_e32 v148, 0x7f, v8
	v_mov_b32_e32 v35, 0x7c010000
	s_mov_b32 s16, exec_lo
	s_delay_alu instid0(VALU_DEP_2)
	v_cmpx_ne_u32_e32 0x7f, v148
	s_cbranch_execz .LBB311_2025
; %bb.2022:                             ;   in Loop: Header=BB311_11 Depth=1
	v_and_b32_e32 v14, 7, v8
	v_lshrrev_b32_e32 v16, 3, v148
	s_mov_b32 s17, exec_lo
	v_cmpx_gt_u32_e32 8, v148
	s_cbranch_execz .LBB311_2024
; %bb.2023:                             ;   in Loop: Header=BB311_11 Depth=1
	v_clz_i32_u32_e32 v14, v14
	v_mov_b32_e32 v35, v165
	v_mov_b32_e32 v65, v164
	s_delay_alu instid0(VALU_DEP_3) | instskip(NEXT) | instid1(VALU_DEP_1)
	v_min_u32_e32 v14, 32, v14
	v_subrev_nc_u32_e32 v16, 28, v14
	s_delay_alu instid0(VALU_DEP_1) | instskip(SKIP_1) | instid1(VALU_DEP_2)
	v_lshlrev_b64_e32 v[164:165], v16, v[8:9]
	v_sub_nc_u32_e32 v16, 29, v14
	v_dual_mov_b32 v165, v35 :: v_dual_and_b32 v14, 7, v164
	v_mov_b32_e32 v164, v65
.LBB311_2024:                           ;   in Loop: Header=BB311_11 Depth=1
	s_wait_alu 0xfffe
	s_or_b32 exec_lo, exec_lo, s17
	v_lshlrev_b32_e32 v8, 8, v8
	v_lshl_add_u32 v16, v16, 10, 0x2000
	v_lshlrev_b32_e32 v14, 23, v14
	s_delay_alu instid0(VALU_DEP_2) | instskip(NEXT) | instid1(VALU_DEP_1)
	v_and_or_b32 v8, 0x8000, v8, v16
	v_lshl_or_b32 v35, v8, 16, v14
.LBB311_2025:                           ;   in Loop: Header=BB311_11 Depth=1
	s_wait_alu 0xfffe
	s_or_b32 exec_lo, exec_lo, s16
.LBB311_2026:                           ;   in Loop: Header=BB311_11 Depth=1
	s_wait_alu 0xfffe
	s_or_b32 exec_lo, exec_lo, s15
.LBB311_2027:                           ;   in Loop: Header=BB311_11 Depth=1
	s_wait_alu 0xfffe
	s_or_b32 exec_lo, exec_lo, s14
	v_and_b32_e32 v14, 0xff, v21
	v_mov_b32_e32 v8, v21
	s_mov_b32 s14, exec_lo
	s_delay_alu instid0(VALU_DEP_2)
	v_cmpx_ne_u16_e32 0, v14
	s_cbranch_execz .LBB311_2035
; %bb.2028:                             ;   in Loop: Header=BB311_11 Depth=1
	v_mov_b32_e32 v82, 0x8000
	s_mov_b32 s15, exec_lo
	v_cmpx_ne_u16_e32 0x80, v14
	s_cbranch_execz .LBB311_2034
; %bb.2029:                             ;   in Loop: Header=BB311_11 Depth=1
	v_and_b32_e32 v148, 0x7f, v21
	v_mov_b32_e32 v82, 0x7c01
	s_mov_b32 s16, exec_lo
	s_delay_alu instid0(VALU_DEP_2)
	v_cmpx_ne_u32_e32 0x7f, v148
	s_cbranch_execz .LBB311_2033
; %bb.2030:                             ;   in Loop: Header=BB311_11 Depth=1
	v_and_b32_e32 v14, 7, v21
	v_lshrrev_b32_e32 v16, 3, v148
	s_mov_b32 s17, exec_lo
	v_cmpx_gt_u32_e32 8, v148
	s_cbranch_execz .LBB311_2032
; %bb.2031:                             ;   in Loop: Header=BB311_11 Depth=1
	v_clz_i32_u32_e32 v14, v14
	v_dual_mov_b32 v65, v165 :: v_dual_mov_b32 v82, v164
	s_delay_alu instid0(VALU_DEP_2) | instskip(NEXT) | instid1(VALU_DEP_1)
	v_min_u32_e32 v14, 32, v14
	v_subrev_nc_u32_e32 v16, 28, v14
	s_delay_alu instid0(VALU_DEP_1) | instskip(NEXT) | instid1(VALU_DEP_4)
	v_lshlrev_b64_e32 v[164:165], v16, v[8:9]
	v_mov_b32_e32 v165, v65
	v_sub_nc_u32_e32 v16, 29, v14
	s_delay_alu instid0(VALU_DEP_3)
	v_and_b32_e32 v14, 7, v164
	v_mov_b32_e32 v164, v82
.LBB311_2032:                           ;   in Loop: Header=BB311_11 Depth=1
	s_wait_alu 0xfffe
	s_or_b32 exec_lo, exec_lo, s17
	v_lshlrev_b32_e32 v82, 8, v21
	v_lshl_add_u32 v16, v16, 10, 0x2000
	v_lshlrev_b32_e32 v14, 7, v14
	s_delay_alu instid0(VALU_DEP_3) | instskip(NEXT) | instid1(VALU_DEP_3)
	v_and_b32_e32 v82, 0x8000, v82
	v_and_b32_e32 v16, 0xfc00, v16
	s_delay_alu instid0(VALU_DEP_1)
	v_or3_b32 v82, v82, v16, v14
.LBB311_2033:                           ;   in Loop: Header=BB311_11 Depth=1
	s_wait_alu 0xfffe
	s_or_b32 exec_lo, exec_lo, s16
.LBB311_2034:                           ;   in Loop: Header=BB311_11 Depth=1
	s_wait_alu 0xfffe
	s_or_b32 exec_lo, exec_lo, s15
.LBB311_2035:                           ;   in Loop: Header=BB311_11 Depth=1
	s_wait_alu 0xfffe
	s_or_b32 exec_lo, exec_lo, s14
	v_lshrrev_b16 v8, 8, v8
	v_mov_b32_e32 v16, 0
	v_mov_b32_e32 v14, 0
	s_mov_b32 s14, exec_lo
	s_delay_alu instid0(VALU_DEP_3)
	v_cmpx_ne_u16_e32 0, v8
	s_cbranch_execz .LBB311_2043
; %bb.2036:                             ;   in Loop: Header=BB311_11 Depth=1
	v_bfrev_b32_e32 v14, 1
	s_mov_b32 s15, exec_lo
	v_cmpx_ne_u16_e32 0x80, v8
	s_cbranch_execz .LBB311_2042
; %bb.2037:                             ;   in Loop: Header=BB311_11 Depth=1
	v_and_b32_e32 v105, 0xffff, v8
	v_mov_b32_e32 v14, 0x7c010000
	s_mov_b32 s16, exec_lo
	s_delay_alu instid0(VALU_DEP_2) | instskip(NEXT) | instid1(VALU_DEP_1)
	v_and_b32_e32 v130, 0x7f, v105
	v_cmpx_ne_u32_e32 0x7f, v130
	s_cbranch_execz .LBB311_2041
; %bb.2038:                             ;   in Loop: Header=BB311_11 Depth=1
	v_and_b32_e32 v14, 7, v105
	v_lshrrev_b32_e32 v148, 3, v130
	s_mov_b32 s17, exec_lo
	v_cmpx_gt_u32_e32 8, v130
	s_cbranch_execz .LBB311_2040
; %bb.2039:                             ;   in Loop: Header=BB311_11 Depth=1
	v_clz_i32_u32_e32 v14, v14
	v_mov_b32_e32 v65, v165
	v_mov_b32_e32 v111, v164
	s_delay_alu instid0(VALU_DEP_3) | instskip(NEXT) | instid1(VALU_DEP_1)
	v_min_u32_e32 v14, 32, v14
	v_subrev_nc_u32_e32 v130, 28, v14
	v_sub_nc_u32_e32 v148, 29, v14
	s_delay_alu instid0(VALU_DEP_2) | instskip(NEXT) | instid1(VALU_DEP_1)
	v_lshlrev_b64_e32 v[164:165], v130, v[8:9]
	v_dual_mov_b32 v165, v65 :: v_dual_and_b32 v14, 7, v164
	v_mov_b32_e32 v164, v111
.LBB311_2040:                           ;   in Loop: Header=BB311_11 Depth=1
	s_wait_alu 0xfffe
	s_or_b32 exec_lo, exec_lo, s17
	v_lshlrev_b32_e32 v8, 8, v105
	v_lshl_add_u32 v130, v148, 10, 0x2000
	v_lshlrev_b32_e32 v14, 23, v14
	s_delay_alu instid0(VALU_DEP_2) | instskip(NEXT) | instid1(VALU_DEP_1)
	v_and_or_b32 v8, 0x8000, v8, v130
	v_lshl_or_b32 v14, v8, 16, v14
.LBB311_2041:                           ;   in Loop: Header=BB311_11 Depth=1
	s_wait_alu 0xfffe
	s_or_b32 exec_lo, exec_lo, s16
.LBB311_2042:                           ;   in Loop: Header=BB311_11 Depth=1
	s_wait_alu 0xfffe
	s_or_b32 exec_lo, exec_lo, s15
.LBB311_2043:                           ;   in Loop: Header=BB311_11 Depth=1
	s_wait_alu 0xfffe
	s_or_b32 exec_lo, exec_lo, s14
	v_lshrrev_b32_e32 v8, 16, v21
	s_mov_b32 s14, exec_lo
	s_delay_alu instid0(VALU_DEP_1) | instskip(NEXT) | instid1(VALU_DEP_1)
	v_and_b32_e32 v130, 0xff, v8
	v_cmpx_ne_u16_e64 0, v130
	s_cbranch_execz .LBB311_2051
; %bb.2044:                             ;   in Loop: Header=BB311_11 Depth=1
	v_mov_b32_e32 v16, 0x8000
	s_mov_b32 s15, exec_lo
	v_cmpx_ne_u16_e64 0x80, v130
	s_cbranch_execz .LBB311_2050
; %bb.2045:                             ;   in Loop: Header=BB311_11 Depth=1
	v_bfe_u32 v130, v21, 16, 7
	v_mov_b32_e32 v16, 0x7c01
	s_mov_b32 s16, exec_lo
	s_delay_alu instid0(VALU_DEP_2)
	v_cmpx_ne_u32_e32 0x7f, v130
	s_cbranch_execz .LBB311_2049
; %bb.2046:                             ;   in Loop: Header=BB311_11 Depth=1
	v_and_b32_e32 v16, 7, v8
	v_lshrrev_b32_e32 v105, 3, v130
	s_mov_b32 s17, exec_lo
	v_cmpx_gt_u32_e32 8, v130
	s_cbranch_execz .LBB311_2048
; %bb.2047:                             ;   in Loop: Header=BB311_11 Depth=1
	v_clz_i32_u32_e32 v16, v16
	v_dual_mov_b32 v65, v165 :: v_dual_mov_b32 v148, v164
	s_delay_alu instid0(VALU_DEP_2) | instskip(NEXT) | instid1(VALU_DEP_1)
	v_min_u32_e32 v16, 32, v16
	v_subrev_nc_u32_e32 v130, 28, v16
	v_sub_nc_u32_e32 v105, 29, v16
	s_delay_alu instid0(VALU_DEP_2) | instskip(NEXT) | instid1(VALU_DEP_1)
	v_lshlrev_b64_e32 v[164:165], v130, v[8:9]
	v_dual_mov_b32 v165, v65 :: v_dual_and_b32 v16, 7, v164
	v_mov_b32_e32 v164, v148
.LBB311_2048:                           ;   in Loop: Header=BB311_11 Depth=1
	s_wait_alu 0xfffe
	s_or_b32 exec_lo, exec_lo, s17
	v_lshlrev_b32_e32 v8, 8, v8
	v_lshl_add_u32 v130, v105, 10, 0x2000
	v_lshlrev_b32_e32 v16, 7, v16
	s_delay_alu instid0(VALU_DEP_3) | instskip(NEXT) | instid1(VALU_DEP_3)
	v_and_b32_e32 v8, 0x8000, v8
	v_and_b32_e32 v130, 0xfc00, v130
	s_delay_alu instid0(VALU_DEP_1)
	v_or3_b32 v16, v8, v130, v16
.LBB311_2049:                           ;   in Loop: Header=BB311_11 Depth=1
	s_wait_alu 0xfffe
	s_or_b32 exec_lo, exec_lo, s16
.LBB311_2050:                           ;   in Loop: Header=BB311_11 Depth=1
	s_wait_alu 0xfffe
	s_or_b32 exec_lo, exec_lo, s15
.LBB311_2051:                           ;   in Loop: Header=BB311_11 Depth=1
	s_wait_alu 0xfffe
	s_or_b32 exec_lo, exec_lo, s14
	v_cmp_lt_u64_e64 s1, s[2:3], v[20:21]
	v_mov_b32_e32 v20, 0
	s_mov_b32 s14, exec_lo
	s_clause 0x2
	scratch_load_b32 v139, off, s32 offset:608
	scratch_load_b32 v65, off, s32 offset:612
	;; [unrolled: 1-line block ×3, first 2 shown]
	s_wait_alu 0xfffe
	s_and_b32 s1, s14, s1
	s_wait_alu 0xfffe
	s_mov_b32 exec_lo, s1
	s_cbranch_execz .LBB311_10
; %bb.2052:                             ;   in Loop: Header=BB311_11 Depth=1
	v_lshrrev_b32_e32 v8, 24, v21
	v_bfrev_b32_e32 v20, 1
	s_mov_b32 s15, exec_lo
	s_delay_alu instid0(VALU_DEP_2)
	v_cmpx_ne_u32_e32 0x80, v8
	s_cbranch_execz .LBB311_9
; %bb.2053:                             ;   in Loop: Header=BB311_11 Depth=1
	v_and_b32_e32 v148, 0x7f, v8
	v_mov_b32_e32 v20, 0x7c010000
	s_mov_b32 s16, exec_lo
	s_delay_alu instid0(VALU_DEP_2)
	v_cmpx_ne_u32_e32 0x7f, v148
	s_cbranch_execz .LBB311_8
; %bb.2054:                             ;   in Loop: Header=BB311_11 Depth=1
	v_and_b32_e32 v20, 7, v8
	v_lshrrev_b32_e32 v21, 3, v148
	s_mov_b32 s17, exec_lo
	v_cmpx_gt_u32_e32 8, v148
	s_cbranch_execz .LBB311_7
; %bb.2055:                             ;   in Loop: Header=BB311_11 Depth=1
	v_clz_i32_u32_e32 v20, v20
	s_delay_alu instid0(VALU_DEP_1) | instskip(NEXT) | instid1(VALU_DEP_1)
	v_min_u32_e32 v130, 32, v20
	v_subrev_nc_u32_e32 v20, 28, v130
	s_delay_alu instid0(VALU_DEP_1) | instskip(SKIP_1) | instid1(VALU_DEP_2)
	v_lshlrev_b64_e32 v[20:21], v20, v[8:9]
	v_sub_nc_u32_e32 v21, 29, v130
	v_and_b32_e32 v20, 7, v20
	s_branch .LBB311_7
.LBB311_2056:
	s_or_b32 exec_lo, exec_lo, s13
	s_clause 0xd
	scratch_load_b32 v63, off, s32 offset:996
	scratch_load_b32 v15, off, s32 offset:1036
	;; [unrolled: 1-line block ×12, first 2 shown]
	scratch_load_b64 v[30:31], off, s32 offset:1080
	scratch_load_b32 v32, off, s32 offset:1088
.LBB311_2057:
	s_or_b32 exec_lo, exec_lo, s11
	v_mbcnt_lo_u32_b32 v0, -1, 0
	v_max_num_f32_e32 v4, v6, v6
	s_delay_alu instid0(VALU_DEP_2) | instskip(SKIP_2) | instid1(VALU_DEP_3)
	v_xor_b32_e32 v1, 16, v0
	v_xor_b32_e32 v3, 8, v0
	;; [unrolled: 1-line block ×3, first 2 shown]
	v_cmp_gt_i32_e32 vcc_lo, 32, v1
	s_wait_alu 0xfffd
	v_cndmask_b32_e32 v1, v0, v1, vcc_lo
	v_cmp_gt_i32_e32 vcc_lo, 32, v3
	s_wait_alu 0xfffd
	s_delay_alu instid0(VALU_DEP_2)
	v_dual_cndmask_b32 v3, v0, v3 :: v_dual_lshlrev_b32 v2, 2, v1
	v_cmp_gt_i32_e32 vcc_lo, 32, v5
	ds_bpermute_b32 v1, v2, v6
	v_lshlrev_b32_e32 v3, 2, v3
	s_wait_alu 0xfffd
	v_cndmask_b32_e32 v5, v0, v5, vcc_lo
	s_wait_dscnt 0x0
	v_max_num_f32_e32 v1, v1, v1
	s_delay_alu instid0(VALU_DEP_1) | instskip(SKIP_3) | instid1(VALU_DEP_1)
	v_max_num_f32_e32 v1, v4, v1
	ds_bpermute_b32 v4, v3, v1
	s_wait_dscnt 0x0
	v_max_num_f32_e32 v6, v4, v4
	v_dual_max_num_f32 v1, v1, v6 :: v_dual_lshlrev_b32 v4, 2, v5
	v_xor_b32_e32 v6, 2, v0
	ds_bpermute_b32 v5, v4, v1
	v_cmp_gt_i32_e32 vcc_lo, 32, v6
	s_wait_alu 0xfffd
	v_cndmask_b32_e32 v6, v0, v6, vcc_lo
	s_delay_alu instid0(VALU_DEP_1) | instskip(SKIP_1) | instid1(VALU_DEP_1)
	v_lshlrev_b32_e32 v17, 2, v6
	v_xor_b32_e32 v6, 1, v0
	v_cmp_gt_i32_e32 vcc_lo, 32, v6
	s_wait_dscnt 0x0
	s_wait_alu 0xfffd
	v_dual_max_num_f32 v5, v5, v5 :: v_dual_cndmask_b32 v6, v0, v6
	s_delay_alu instid0(VALU_DEP_1) | instskip(SKIP_3) | instid1(VALU_DEP_1)
	v_dual_max_num_f32 v1, v1, v5 :: v_dual_lshlrev_b32 v16, 2, v6
	ds_bpermute_b32 v5, v17, v1
	s_wait_dscnt 0x0
	v_max_num_f32_e32 v5, v5, v5
	v_max_num_f32_e32 v0, v1, v5
	scratch_load_b32 v5, off, s32 offset:1012 ; 4-byte Folded Reload
	ds_bpermute_b32 v1, v16, v0
	s_wait_loadcnt 0x0
	v_cmp_eq_u32_e32 vcc_lo, 0, v5
	scratch_load_b32 v5, off, s32 offset:1016 ; 4-byte Folded Reload
	s_wait_loadcnt 0x0
	v_lshlrev_b32_e32 v5, 2, v5
	s_mov_b32 s1, exec_lo
	scratch_load_b32 v8, off, s32 offset:1008 ; 4-byte Folded Reload
	s_wait_alu 0xfffe
	s_and_b32 s2, s1, vcc_lo
	s_wait_alu 0xfffe
	s_mov_b32 exec_lo, s2
	s_cbranch_execz .LBB311_2059
; %bb.2058:
	s_wait_dscnt 0x0
	v_dual_max_num_f32 v1, v1, v1 :: v_dual_max_num_f32 v0, v0, v0
	s_delay_alu instid0(VALU_DEP_1)
	v_max_num_f32_e32 v0, v0, v1
	ds_store_b32 v5, v0 offset:512
.LBB311_2059:
	s_or_b32 exec_lo, exec_lo, s1
	scratch_load_b32 v0, off, s32 offset:1012 ; 4-byte Folded Reload
	s_wait_storecnt 0x0
	s_wait_loadcnt_dscnt 0x0
	s_barrier_signal -1
	s_barrier_wait -1
	global_inv scope:SCOPE_SE
	v_cmp_gt_u32_e64 s1, 4, v0
	v_mov_b32_e32 v0, 0xff7fffff
	s_and_saveexec_b32 s2, s1
	s_cbranch_execz .LBB311_2061
; %bb.2060:
	scratch_load_b32 v0, off, s32 offset:1028 ; 4-byte Folded Reload
	s_wait_loadcnt 0x0
	ds_load_b32 v0, v0 offset:512
.LBB311_2061:
	s_wait_alu 0xfffe
	s_or_b32 exec_lo, exec_lo, s2
	scratch_load_b32 v6, off, s32 offset:652 ; 4-byte Folded Reload
	s_wait_dscnt 0x0
	ds_bpermute_b32 v1, v17, v0
	s_wait_dscnt 0x0
	v_dual_max_num_f32 v0, v0, v0 :: v_dual_max_num_f32 v1, v1, v1
	s_delay_alu instid0(VALU_DEP_1)
	v_max_num_f32_e32 v0, v0, v1
	ds_bpermute_b32 v1, v16, v0
	s_wait_dscnt 0x0
	v_max_num_f32_e32 v1, v1, v1
	s_wait_loadcnt 0x0
	v_subrev_nc_u32_e32 v7, s9, v6
	v_mov_b32_e32 v6, 0
	s_delay_alu instid0(VALU_DEP_3) | instskip(NEXT) | instid1(VALU_DEP_3)
	v_max_num_f32_e32 v0, v0, v1
	v_lshl_add_u32 v1, v7, 5, s19
	ds_bpermute_b32 v0, v6, v0
	v_min_i32_e32 v1, v1, v63
	s_delay_alu instid0(VALU_DEP_1) | instskip(NEXT) | instid1(VALU_DEP_1)
	v_subrev_nc_u32_e32 v1, s19, v1
	v_cmp_lt_i32_e64 s2, v8, v1
	s_and_saveexec_b32 s9, s2
	s_cbranch_execz .LBB311_2065
; %bb.2062:
	s_getpc_b64 s[14:15]
	s_wait_alu 0xfffe
	s_sext_i32_i16 s15, s15
	s_add_co_u32 s14, s14, llvm.amdgcn.dynlds.offset.table@rel32@lo+12
	s_wait_alu 0xfffe
	s_add_co_ci_u32 s15, s15, llvm.amdgcn.dynlds.offset.table@rel32@hi+24
	s_ashr_i32 s13, s12, 31
	v_mov_b32_e32 v6, 0
	s_wait_alu 0xfffe
	s_lshl_b64 s[16:17], s[12:13], 2
	s_mov_b32 s11, 0
	s_wait_alu 0xfffe
	s_add_nc_u64 s[14:15], s[14:15], s[16:17]
	s_load_b32 s3, s[14:15], 0x0
	s_wait_kmcnt 0x0
	v_lshl_add_u32 v7, v8, 2, s3
.LBB311_2063:                           ; =>This Inner Loop Header: Depth=1
	ds_load_b32 v9, v7
	v_add_nc_u32_e32 v8, 0x80, v8
	s_delay_alu instid0(VALU_DEP_1) | instskip(SKIP_3) | instid1(VALU_DEP_1)
	v_cmp_ge_i32_e64 s3, v8, v1
	s_or_b32 s11, s3, s11
	s_wait_dscnt 0x0
	v_sub_f32_e32 v9, v9, v0
	v_mul_f32_e32 v9, 0x3fb8aa3b, v9
	s_delay_alu instid0(VALU_DEP_1)
	v_exp_f32_e32 v9, v9
	ds_store_b32 v7, v9
	v_dual_add_f32 v6, v6, v9 :: v_dual_add_nc_u32 v7, 0x200, v7
	s_wait_alu 0xfffe
	s_and_not1_b32 exec_lo, exec_lo, s11
	s_cbranch_execnz .LBB311_2063
; %bb.2064:
	s_or_b32 exec_lo, exec_lo, s11
	scratch_load_b32 v8, off, s32 offset:1008 ; 4-byte Folded Reload
.LBB311_2065:
	s_wait_alu 0xfffe
	s_or_b32 exec_lo, exec_lo, s9
	ds_bpermute_b32 v2, v2, v6
	s_wait_dscnt 0x0
	v_add_f32_e32 v2, v6, v2
	ds_bpermute_b32 v3, v3, v2
	s_wait_dscnt 0x0
	v_add_f32_e32 v2, v2, v3
	;; [unrolled: 3-line block ×5, first 2 shown]
	s_and_saveexec_b32 s3, vcc_lo
; %bb.2066:
	ds_store_b32 v5, v2 offset:528
; %bb.2067:
	s_wait_alu 0xfffe
	s_or_b32 exec_lo, exec_lo, s3
	s_wait_loadcnt_dscnt 0x0
	s_barrier_signal -1
	s_barrier_wait -1
	global_inv scope:SCOPE_SE
	s_and_saveexec_b32 s3, s1
	s_cbranch_execz .LBB311_2069
; %bb.2068:
	scratch_load_b32 v2, off, s32 offset:1028 th:TH_LOAD_LU ; 4-byte Folded Reload
	s_wait_loadcnt 0x0
	ds_load_b32 v2, v2 offset:528
.LBB311_2069:
	s_wait_alu 0xfffe
	s_or_b32 exec_lo, exec_lo, s3
	s_wait_dscnt 0x0
	ds_bpermute_b32 v3, v17, v2
	s_wait_dscnt 0x0
	v_add_f32_e32 v2, v2, v3
	ds_bpermute_b32 v3, v16, v2
	s_wait_dscnt 0x0
	v_dual_add_f32 v2, v2, v3 :: v_dual_mov_b32 v3, 0
	ds_bpermute_b32 v2, v3, v2
	s_and_saveexec_b32 s1, s2
	s_cbranch_execz .LBB311_2072
; %bb.2070:
	s_wait_dscnt 0x0
	v_add_f32_e32 v4, 0x358637bd, v2
	s_ashr_i32 s13, s12, 31
	s_getpc_b64 s[2:3]
	s_wait_alu 0xfffe
	s_sext_i32_i16 s3, s3
	s_add_co_u32 s2, s2, llvm.amdgcn.dynlds.offset.table@rel32@lo+12
	s_wait_alu 0xfffe
	s_add_co_ci_u32 s3, s3, llvm.amdgcn.dynlds.offset.table@rel32@hi+24
	s_lshl_b64 s[14:15], s[12:13], 2
	s_wait_alu 0xfffe
	s_add_nc_u64 s[2:3], s[2:3], s[14:15]
	v_div_scale_f32 v3, null, v4, v4, 1.0
	s_load_b32 s2, s[2:3], 0x0
	v_rcp_f32_e32 v5, v3
	s_delay_alu instid0(TRANS32_DEP_1) | instskip(NEXT) | instid1(VALU_DEP_1)
	v_fma_f32 v6, -v3, v5, 1.0
	v_fmac_f32_e32 v5, v6, v5
	v_div_scale_f32 v7, vcc_lo, 1.0, v4, 1.0
	s_delay_alu instid0(VALU_DEP_1) | instskip(NEXT) | instid1(VALU_DEP_1)
	v_mul_f32_e32 v6, v7, v5
	v_fma_f32 v8, -v3, v6, v7
	s_delay_alu instid0(VALU_DEP_1) | instskip(SKIP_3) | instid1(VALU_DEP_1)
	v_fmac_f32_e32 v6, v8, v5
	scratch_load_b32 v8, off, s32 offset:1008 ; 4-byte Folded Reload
	v_fma_f32 v3, -v3, v6, v7
	s_wait_alu 0xfffd
	v_div_fmas_f32 v5, v3, v5, v6
	s_delay_alu instid0(VALU_DEP_1)
	v_div_fixup_f32 v4, v5, v4, 1.0
	s_wait_loadcnt 0x0
	s_wait_kmcnt 0x0
	v_lshl_add_u32 v3, v8, 2, s2
	v_mov_b32_e32 v5, v8
	s_mov_b32 s2, 0
.LBB311_2071:                           ; =>This Inner Loop Header: Depth=1
	ds_load_b32 v6, v3
	s_wait_dscnt 0x0
	v_dual_mul_f32 v6, v4, v6 :: v_dual_add_nc_u32 v5, 0x80, v5
	s_delay_alu instid0(VALU_DEP_1)
	v_cmp_ge_i32_e32 vcc_lo, v5, v1
	ds_store_b32 v3, v6
	v_add_nc_u32_e32 v3, 0x200, v3
	s_wait_alu 0xfffe
	s_or_b32 s2, vcc_lo, s2
	s_wait_alu 0xfffe
	s_and_not1_b32 exec_lo, exec_lo, s2
	s_cbranch_execnz .LBB311_2071
.LBB311_2072:
	s_wait_alu 0xfffe
	s_or_b32 exec_lo, exec_lo, s1
	s_and_b32 s1, 0xffff, s7
	s_wait_loadcnt_dscnt 0x0
	s_wait_alu 0xfffe
	s_cmp_lg_u32 s1, 0
	s_barrier_signal -1
	s_cselect_b32 s1, -1, 0
	s_barrier_wait -1
	s_wait_alu 0xfffe
	s_cmp_lg_u32 s1, 0
	global_inv scope:SCOPE_SE
	s_wait_kmcnt 0x0
	s_add_co_ci_u32 s9, s8, 0
	s_wait_alu 0xfffe
	s_mul_i32 s1, s9, s5
	s_wait_alu 0xfffe
	s_mul_i32 s14, s1, s6
	s_mov_b32 s1, exec_lo
	v_cmpx_eq_u32_e32 0, v8
	s_cbranch_execz .LBB311_2074
; %bb.2073:
	s_wait_alu 0xfffe
	s_ashr_i32 s15, s14, 31
	s_mul_i32 s2, s9, ttmp9
	s_wait_alu 0xfffe
	s_lshl_b64 s[6:7], s[14:15], 2
	s_ashr_i32 s3, s2, 31
	s_wait_alu 0xfffe
	v_add_co_u32 v1, vcc_lo, v28, s6
	s_wait_alu 0xfffd
	v_add_co_ci_u32_e64 v3, null, s7, v25, vcc_lo
	s_lshl_b64 s[2:3], s[2:3], 2
	s_lshl_b32 s4, s4, 2
	s_wait_alu 0xfffe
	v_add_co_u32 v1, vcc_lo, v1, s2
	s_wait_alu 0xfffd
	v_add_co_ci_u32_e64 v4, null, s3, v3, vcc_lo
	v_add_co_u32 v3, vcc_lo, v24, s6
	s_wait_alu 0xfffd
	v_add_co_ci_u32_e64 v5, null, s7, v22, vcc_lo
	s_delay_alu instid0(VALU_DEP_2) | instskip(SKIP_1) | instid1(VALU_DEP_2)
	v_add_co_u32 v6, vcc_lo, v3, s2
	s_wait_alu 0xfffd
	v_add_co_ci_u32_e64 v7, null, s3, v5, vcc_lo
	v_add_co_u32 v3, vcc_lo, v1, s4
	s_wait_alu 0xfffd
	v_add_co_ci_u32_e64 v4, null, 0, v4, vcc_lo
	;; [unrolled: 3-line block ×3, first 2 shown]
	flat_store_b32 v[3:4], v0
	flat_store_b32 v[5:6], v2
.LBB311_2074:
	s_wait_alu 0xfffe
	s_or_b32 exec_lo, exec_lo, s1
	s_and_saveexec_b32 s1, s0
	s_wait_alu 0xfffe
	s_xor_b32 s0, exec_lo, s1
; %bb.2075:
                                        ; implicit-def: $vgpr0
	s_ashr_i32 s13, s12, 31
                                        ; kill: killed $vgpr0
                                        ; implicit-def: $vgpr0
                                        ; kill: killed $vgpr0
                                        ; implicit-def: $vgpr63
                                        ; implicit-def: $vgpr12
                                        ; implicit-def: $vgpr10
                                        ; implicit-def: $vgpr11
                                        ; implicit-def: $vgpr14
                                        ; implicit-def: $vgpr15
                                        ; implicit-def: $vgpr26_vgpr27
                                        ; implicit-def: $vgpr23
                                        ; implicit-def: $vgpr30_vgpr31
                                        ; implicit-def: $vgpr32
                                        ; implicit-def: $vgpr13
                                        ; implicit-def: $vgpr0
                                        ; kill: killed $vgpr0
                                        ; implicit-def: $vgpr0
                                        ; kill: killed $vgpr0
; %bb.2076:
	s_wait_alu 0xfffe
	s_or_saveexec_b32 s11, s0
	v_dual_mov_b32 v0, s12 :: v_dual_mov_b32 v85, 0
	v_dual_mov_b32 v84, 0 :: v_dual_mov_b32 v1, s13
	;; [unrolled: 1-line block ×17, first 2 shown]
	s_wait_alu 0xfffe
	s_xor_b32 exec_lo, exec_lo, s11
	s_cbranch_execz .LBB311_4192
; %bb.2077:
	v_dual_mov_b32 v3, 0 :: v_dual_lshlrev_b32 v2, 3, v8
	scratch_load_b32 v1, off, s32 offset:1032 th:TH_LOAD_LU ; 4-byte Folded Reload
	v_dual_mov_b32 v19, 0 :: v_dual_and_b32 v4, 3, v8
	v_dual_mov_b32 v29, 0 :: v_dual_and_b32 v8, 24, v2
	;; [unrolled: 1-line block ×3, first 2 shown]
	v_or_b32_e32 v38, 0x1f00, v2
	scratch_load_b32 v2, off, s32 offset:1016 ; 4-byte Folded Reload
	s_getpc_b64 s[0:1]
	s_wait_alu 0xfffe
	s_sext_i32_i16 s1, s1
	s_add_co_u32 s0, s0, llvm.amdgcn.dynlds.offset.table@rel32@lo+12
	s_wait_alu 0xfffe
	s_add_co_ci_u32 s1, s1, llvm.amdgcn.dynlds.offset.table@rel32@hi+24
	s_ashr_i32 s13, s12, 31
	v_dual_mov_b32 v25, 0 :: v_dual_lshlrev_b32 v4, 5, v4
	s_wait_alu 0xfffe
	s_lshl_b64 s[2:3], s[12:13], 2
	v_add_co_u32 v0, vcc_lo, v10, v23
	s_wait_alu 0xfffe
	s_add_nc_u64 s[0:1], s[0:1], s[2:3]
	v_dual_mov_b32 v21, 0 :: v_dual_add_nc_u32 v36, -1, v12
	s_load_b32 s0, s[0:1], 0x0
	v_dual_mov_b32 v24, 0 :: v_dual_mov_b32 v39, 0
	v_dual_mov_b32 v28, 0 :: v_dual_mov_b32 v49, 0
	;; [unrolled: 1-line block ×12, first 2 shown]
	v_mov_b32_e32 v86, 0
	v_mov_b32_e32 v84, 0
	s_mov_b32 s16, -1
	s_mov_b32 s17, 0xffffff
	s_mov_b32 s15, 0
	v_mov_b32_e32 v20, 0
	s_wait_loadcnt 0x1
	v_add_co_ci_u32_e64 v1, null, v11, v1, vcc_lo
	v_add_co_u32 v5, vcc_lo, v30, v32
	s_wait_alu 0xfffd
	v_add_co_ci_u32_e64 v7, null, 0, v31, vcc_lo
	s_delay_alu instid0(VALU_DEP_2)
	v_add_co_u32 v6, vcc_lo, v14, v5
	s_wait_loadcnt 0x0
	v_lshl_or_b32 v2, v2, 7, v4
	s_wait_alu 0xfffd
	v_add_co_ci_u32_e64 v7, null, v15, v7, vcc_lo
	v_add3_u32 v14, s19, v13, v8
	s_wait_kmcnt 0x0
	v_add_nc_u32_e32 v15, s0, v2
	s_branch .LBB311_2079
.LBB311_2078:                           ;   in Loop: Header=BB311_2079 Depth=1
	s_wait_alu 0xfffe
	s_or_b32 exec_lo, exec_lo, s8
	v_dual_add_f32 v10, v10, v11 :: v_dual_add_f32 v11, v12, v13
	v_dual_add_f32 v12, v41, v42 :: v_dual_add_f32 v167, v167, v176
	v_dual_add_f32 v4, v4, v5 :: v_dual_add_f32 v5, v162, v163
	s_delay_alu instid0(VALU_DEP_3) | instskip(SKIP_1) | instid1(VALU_DEP_4)
	v_dual_add_f32 v19, v19, v10 :: v_dual_add_f32 v20, v20, v11
	v_dual_add_f32 v10, v183, v40 :: v_dual_add_f32 v11, v181, v182
	v_add_f32_e32 v21, v21, v12
	v_dual_add_f32 v12, v179, v180 :: v_dual_add_f32 v13, v177, v178
	s_delay_alu instid0(VALU_DEP_3) | instskip(SKIP_1) | instid1(VALU_DEP_3)
	v_dual_add_f32 v24, v24, v10 :: v_dual_add_f32 v39, v39, v167
	v_add_f32_e32 v10, v165, v166
	v_dual_add_f32 v25, v25, v11 :: v_dual_add_f32 v28, v28, v12
	v_dual_add_f32 v11, v34, v164 :: v_dual_add_f32 v12, v32, v33
	;; [unrolled: 1-line block ×3, first 2 shown]
	s_delay_alu instid0(VALU_DEP_4) | instskip(NEXT) | instid1(VALU_DEP_3)
	v_dual_add_f32 v13, v30, v31 :: v_dual_add_f32 v48, v48, v10
	v_dual_add_f32 v10, v160, v161 :: v_dual_add_f32 v49, v49, v11
	s_delay_alu instid0(VALU_DEP_4) | instskip(SKIP_2) | instid1(VALU_DEP_4)
	v_add_f32_e32 v50, v50, v12
	v_dual_add_f32 v11, v150, v151 :: v_dual_add_f32 v12, v148, v149
	v_dual_add_f32 v53, v53, v4 :: v_dual_add_f32 v4, v146, v147
	;; [unrolled: 1-line block ×4, first 2 shown]
	s_delay_alu instid0(VALU_DEP_4) | instskip(NEXT) | instid1(VALU_DEP_4)
	v_dual_add_f32 v64, v64, v11 :: v_dual_add_f32 v65, v65, v12
	v_dual_add_f32 v11, v132, v133 :: v_dual_add_f32 v66, v66, v4
	v_add_f32_e32 v4, v128, v129
	s_delay_alu instid0(VALU_DEP_4) | instskip(SKIP_1) | instid1(VALU_DEP_4)
	v_dual_add_f32 v12, v130, v131 :: v_dual_add_f32 v67, v67, v5
	v_dual_add_f32 v68, v68, v10 :: v_dual_add_f32 v5, v118, v119
	v_add_f32_e32 v69, v69, v11
	v_dual_add_f32 v11, v114, v115 :: v_dual_add_f32 v10, v116, v117
	v_add_f32_e32 v71, v71, v4
	;;#ASMSTART
	v_pk_mul_f16 v4, v98, v43;

	;;#ASMEND
	;;#ASMSTART
	v_pk_mul_f16 v2, v96, v2;

	;;#ASMEND
	s_delay_alu instid0(VALU_DEP_2)
	v_dual_add_f32 v70, v70, v12 :: v_dual_add_f32 v81, v81, v10
	v_add_f32_e32 v12, v112, v113
	v_add_f32_e32 v80, v80, v5
	;;#ASMSTART
	v_pk_mul_f16 v5, v87, v9;

	;;#ASMEND
	;;#ASMSTART
	v_pk_mul_f16 v8, v35, v8;

	;;#ASMEND
	;;#ASMSTART
	v_pk_add_f16 v2, v4, v2;

	;;#ASMEND
	;;#ASMSTART
	v_pk_add_f16 v2, v2, v5;
	;; [unrolled: 4-line block ×3, first 2 shown]

	;;#ASMEND
	v_and_b32_e32 v8, 0xffff, v2
	v_lshrrev_b32_e32 v9, 16, v2
	;;#ASMSTART
	v_cvt_f32_f16 v8, v8;
	;;#ASMEND
	;;#ASMSTART
	v_cvt_f32_f16 v9, v9;
	;;#ASMEND
	v_add_f32_e32 v2, v102, v103
	s_delay_alu instid0(VALU_DEP_2)
	v_dual_add_f32 v8, v8, v9 :: v_dual_add_nc_u32 v15, 0x200, v15
	scratch_load_b32 v9, off, s32 offset:320 th:TH_LOAD_LU ; 4-byte Folded Reload
	v_dual_add_f32 v4, v100, v101 :: v_dual_add_f32 v85, v85, v2
	scratch_load_b32 v2, off, s32 offset:652 ; 4-byte Folded Reload
	v_add_f32_e32 v82, v82, v11
	v_add_f32_e32 v5, v97, v99
	v_add_co_u32 v6, s0, v6, 16
	v_dual_add_f32 v51, v51, v13 :: v_dual_add_f32 v52, v52, v22
	v_add_f32_e32 v83, v83, v12
	v_add_f32_e32 v86, v86, v4
	v_add_f32_e32 v84, v84, v5
	v_add_f32_e32 v18, v18, v8
	s_wait_alu 0xf1ff
	v_add_co_ci_u32_e64 v7, null, 0, v7, s0
	v_add_nc_u32_e32 v14, 0x80, v14
	s_wait_loadcnt 0x1
	v_add_nc_u32_e32 v9, 4, v9
	s_wait_loadcnt 0x0
	s_delay_alu instid0(VALU_DEP_1)
	v_cmp_ge_i32_e32 vcc_lo, v9, v2
	scratch_store_b32 off, v9, s32 offset:320 ; 4-byte Folded Spill
	s_or_b32 s15, vcc_lo, s15
	s_wait_alu 0xfffe
	s_and_not1_b32 exec_lo, exec_lo, s15
	s_cbranch_execz .LBB311_4191
.LBB311_2079:                           ; =>This Inner Loop Header: Depth=1
	flat_load_b32 v2, v[6:7]
	ds_load_2addr_b64 v[10:13], v15 offset1:1
	ds_load_2addr_b64 v[32:35], v15 offset0:2 offset1:3
	scratch_load_b32 v4, off, s32 offset:648 ; 4-byte Folded Reload
	s_mov_b32 s0, exec_lo
	s_wait_dscnt 0x1
	;;#ASMSTART
	v_cvt_f16_f32 v30, v10;

	;;#ASMEND
	s_wait_loadcnt 0x0
	v_mad_co_i64_i32 v[8:9], null, v2, v4, v[0:1]
	;;#ASMSTART
	v_cvt_f16_f32 v4, v11;

	;;#ASMEND
	;;#ASMSTART
	v_cvt_f16_f32 v31, v12;

	;;#ASMEND
	;; [unrolled: 4-line block ×3, first 2 shown]
	s_wait_dscnt 0x0
	;;#ASMSTART
	v_cvt_f16_f32 v32, v32;

	;;#ASMEND
	;;#ASMSTART
	v_cvt_f16_f32 v22, v33;

	;;#ASMEND
	;; [unrolled: 4-line block ×3, first 2 shown]
	v_add_co_u32 v10, vcc_lo, v8, v37
	s_wait_alu 0xfffd
	v_add_co_ci_u32_e64 v11, null, 0, v9, vcc_lo
	;;#ASMSTART
	v_cvt_f16_f32 v23, v35;

	;;#ASMEND
	flat_load_b64 v[12:13], v[10:11]
	flat_load_b32 v34, v[26:27]
	s_wait_loadcnt_dscnt 0x101
	v_dual_mov_b32 v35, 0 :: v_dual_and_b32 v2, 0xff, v12
	s_delay_alu instid0(VALU_DEP_1)
	v_cmpx_ne_u16_e32 0, v2
	s_cbranch_execz .LBB311_2087
; %bb.2080:                             ;   in Loop: Header=BB311_2079 Depth=1
	v_mov_b32_e32 v35, 0x8000
	s_mov_b32 s1, exec_lo
	v_cmpx_ne_u16_e32 0x80, v2
	s_cbranch_execz .LBB311_2086
; %bb.2081:                             ;   in Loop: Header=BB311_2079 Depth=1
	v_and_b32_e32 v87, 0x7f, v12
	v_mov_b32_e32 v35, 0x7c01
	s_mov_b32 s2, exec_lo
	s_delay_alu instid0(VALU_DEP_2)
	v_cmpx_ne_u32_e32 0x7f, v87
	s_cbranch_execz .LBB311_2085
; %bb.2082:                             ;   in Loop: Header=BB311_2079 Depth=1
	v_and_b32_e32 v2, 7, v12
	v_lshrrev_b32_e32 v35, 3, v87
	s_mov_b32 s3, exec_lo
	v_cmpx_gt_u32_e32 8, v87
; %bb.2083:                             ;   in Loop: Header=BB311_2079 Depth=1
	s_delay_alu instid0(VALU_DEP_3) | instskip(NEXT) | instid1(VALU_DEP_1)
	v_clz_i32_u32_e32 v2, v2
	v_min_u32_e32 v2, 32, v2
	s_delay_alu instid0(VALU_DEP_1) | instskip(NEXT) | instid1(VALU_DEP_1)
	v_subrev_nc_u32_e32 v35, 28, v2
	v_lshlrev_b64_e32 v[96:97], v35, v[12:13]
	v_sub_nc_u32_e32 v35, 29, v2
	s_delay_alu instid0(VALU_DEP_2)
	v_and_b32_e32 v2, 7, v96
; %bb.2084:                             ;   in Loop: Header=BB311_2079 Depth=1
	s_wait_alu 0xfffe
	s_or_b32 exec_lo, exec_lo, s3
	v_lshlrev_b32_e32 v87, 8, v12
	v_lshl_add_u32 v35, v35, 10, 0x2000
	v_lshlrev_b32_e32 v2, 7, v2
	s_delay_alu instid0(VALU_DEP_3) | instskip(NEXT) | instid1(VALU_DEP_3)
	v_and_b32_e32 v87, 0x8000, v87
	v_and_b32_e32 v35, 0xfc00, v35
	s_delay_alu instid0(VALU_DEP_1)
	v_or3_b32 v35, v87, v35, v2
.LBB311_2085:                           ;   in Loop: Header=BB311_2079 Depth=1
	s_wait_alu 0xfffe
	s_or_b32 exec_lo, exec_lo, s2
.LBB311_2086:                           ;   in Loop: Header=BB311_2079 Depth=1
	s_wait_alu 0xfffe
	s_or_b32 exec_lo, exec_lo, s1
.LBB311_2087:                           ;   in Loop: Header=BB311_2079 Depth=1
	s_wait_alu 0xfffe
	s_or_b32 exec_lo, exec_lo, s0
	v_lshrrev_b16 v2, 8, v12
	v_dual_mov_b32 v96, 0 :: v_dual_mov_b32 v87, 0
	s_mov_b32 s0, exec_lo
	s_delay_alu instid0(VALU_DEP_2)
	v_cmpx_ne_u16_e32 0, v2
	s_cbranch_execz .LBB311_2095
; %bb.2088:                             ;   in Loop: Header=BB311_2079 Depth=1
	v_bfrev_b32_e32 v87, 1
	s_mov_b32 s1, exec_lo
	v_cmpx_ne_u16_e32 0x80, v2
	s_cbranch_execz .LBB311_2094
; %bb.2089:                             ;   in Loop: Header=BB311_2079 Depth=1
	v_and_b32_e32 v97, 0xffff, v2
	v_mov_b32_e32 v87, 0x7c010000
	s_mov_b32 s2, exec_lo
	s_delay_alu instid0(VALU_DEP_2) | instskip(NEXT) | instid1(VALU_DEP_1)
	v_and_b32_e32 v99, 0x7f, v97
	v_cmpx_ne_u32_e32 0x7f, v99
	s_cbranch_execz .LBB311_2093
; %bb.2090:                             ;   in Loop: Header=BB311_2079 Depth=1
	v_and_b32_e32 v87, 7, v97
	v_lshrrev_b32_e32 v98, 3, v99
	s_mov_b32 s3, exec_lo
	v_cmpx_gt_u32_e32 8, v99
; %bb.2091:                             ;   in Loop: Header=BB311_2079 Depth=1
	s_delay_alu instid0(VALU_DEP_3) | instskip(NEXT) | instid1(VALU_DEP_1)
	v_clz_i32_u32_e32 v87, v87
	v_min_u32_e32 v87, 32, v87
	s_delay_alu instid0(VALU_DEP_1) | instskip(NEXT) | instid1(VALU_DEP_1)
	v_subrev_nc_u32_e32 v98, 28, v87
	v_lshlrev_b64_e32 v[99:100], v98, v[2:3]
	v_sub_nc_u32_e32 v98, 29, v87
	s_delay_alu instid0(VALU_DEP_2)
	v_and_b32_e32 v87, 7, v99
; %bb.2092:                             ;   in Loop: Header=BB311_2079 Depth=1
	s_wait_alu 0xfffe
	s_or_b32 exec_lo, exec_lo, s3
	v_lshlrev_b32_e32 v2, 8, v97
	v_lshl_add_u32 v97, v98, 10, 0x2000
	v_lshlrev_b32_e32 v87, 23, v87
	s_delay_alu instid0(VALU_DEP_2) | instskip(NEXT) | instid1(VALU_DEP_1)
	v_and_or_b32 v2, 0x8000, v2, v97
	v_lshl_or_b32 v87, v2, 16, v87
.LBB311_2093:                           ;   in Loop: Header=BB311_2079 Depth=1
	s_wait_alu 0xfffe
	s_or_b32 exec_lo, exec_lo, s2
.LBB311_2094:                           ;   in Loop: Header=BB311_2079 Depth=1
	s_wait_alu 0xfffe
	s_or_b32 exec_lo, exec_lo, s1
.LBB311_2095:                           ;   in Loop: Header=BB311_2079 Depth=1
	s_wait_alu 0xfffe
	s_or_b32 exec_lo, exec_lo, s0
	v_lshrrev_b32_e32 v2, 16, v12
	s_mov_b32 s0, exec_lo
	s_delay_alu instid0(VALU_DEP_1) | instskip(NEXT) | instid1(VALU_DEP_1)
	v_and_b32_e32 v97, 0xff, v2
	v_cmpx_ne_u16_e32 0, v97
	s_cbranch_execz .LBB311_2103
; %bb.2096:                             ;   in Loop: Header=BB311_2079 Depth=1
	v_mov_b32_e32 v96, 0x8000
	s_mov_b32 s1, exec_lo
	v_cmpx_ne_u16_e32 0x80, v97
	s_cbranch_execz .LBB311_2102
; %bb.2097:                             ;   in Loop: Header=BB311_2079 Depth=1
	v_bfe_u32 v98, v12, 16, 7
	v_mov_b32_e32 v96, 0x7c01
	s_mov_b32 s2, exec_lo
	s_delay_alu instid0(VALU_DEP_2)
	v_cmpx_ne_u32_e32 0x7f, v98
	s_cbranch_execz .LBB311_2101
; %bb.2098:                             ;   in Loop: Header=BB311_2079 Depth=1
	v_and_b32_e32 v96, 7, v2
	v_lshrrev_b32_e32 v97, 3, v98
	s_mov_b32 s3, exec_lo
	v_cmpx_gt_u32_e32 8, v98
; %bb.2099:                             ;   in Loop: Header=BB311_2079 Depth=1
	s_delay_alu instid0(VALU_DEP_3) | instskip(NEXT) | instid1(VALU_DEP_1)
	v_clz_i32_u32_e32 v96, v96
	v_min_u32_e32 v98, 32, v96
	s_delay_alu instid0(VALU_DEP_1) | instskip(NEXT) | instid1(VALU_DEP_1)
	v_subrev_nc_u32_e32 v96, 28, v98
	v_lshlrev_b64_e32 v[96:97], v96, v[2:3]
	v_sub_nc_u32_e32 v97, 29, v98
	s_delay_alu instid0(VALU_DEP_2)
	v_and_b32_e32 v96, 7, v96
; %bb.2100:                             ;   in Loop: Header=BB311_2079 Depth=1
	s_wait_alu 0xfffe
	s_or_b32 exec_lo, exec_lo, s3
	v_lshlrev_b32_e32 v2, 8, v2
	v_lshl_add_u32 v97, v97, 10, 0x2000
	v_lshlrev_b32_e32 v96, 7, v96
	s_delay_alu instid0(VALU_DEP_3) | instskip(NEXT) | instid1(VALU_DEP_3)
	v_and_b32_e32 v2, 0x8000, v2
	v_and_b32_e32 v97, 0xfc00, v97
	s_delay_alu instid0(VALU_DEP_1)
	v_or3_b32 v96, v2, v97, v96
.LBB311_2101:                           ;   in Loop: Header=BB311_2079 Depth=1
	s_wait_alu 0xfffe
	s_or_b32 exec_lo, exec_lo, s2
.LBB311_2102:                           ;   in Loop: Header=BB311_2079 Depth=1
	s_wait_alu 0xfffe
	s_or_b32 exec_lo, exec_lo, s1
.LBB311_2103:                           ;   in Loop: Header=BB311_2079 Depth=1
	s_wait_alu 0xfffe
	s_or_b32 exec_lo, exec_lo, s0
	v_dual_mov_b32 v97, 0 :: v_dual_mov_b32 v98, 0
	s_mov_b32 s0, exec_lo
	v_cmpx_lt_u32_e32 0xffffff, v12
	s_cbranch_execz .LBB311_2111
; %bb.2104:                             ;   in Loop: Header=BB311_2079 Depth=1
	v_lshrrev_b32_e32 v2, 24, v12
	v_bfrev_b32_e32 v98, 1
	s_mov_b32 s1, exec_lo
	s_delay_alu instid0(VALU_DEP_2)
	v_cmpx_ne_u32_e32 0x80, v2
	s_cbranch_execz .LBB311_2110
; %bb.2105:                             ;   in Loop: Header=BB311_2079 Depth=1
	v_and_b32_e32 v100, 0x7f, v2
	v_mov_b32_e32 v98, 0x7c010000
	s_mov_b32 s2, exec_lo
	s_delay_alu instid0(VALU_DEP_2)
	v_cmpx_ne_u32_e32 0x7f, v100
	s_cbranch_execz .LBB311_2109
; %bb.2106:                             ;   in Loop: Header=BB311_2079 Depth=1
	v_and_b32_e32 v98, 7, v2
	v_lshrrev_b32_e32 v99, 3, v100
	s_mov_b32 s3, exec_lo
	v_cmpx_gt_u32_e32 8, v100
; %bb.2107:                             ;   in Loop: Header=BB311_2079 Depth=1
	s_delay_alu instid0(VALU_DEP_3) | instskip(NEXT) | instid1(VALU_DEP_1)
	v_clz_i32_u32_e32 v98, v98
	v_min_u32_e32 v100, 32, v98
	s_delay_alu instid0(VALU_DEP_1) | instskip(NEXT) | instid1(VALU_DEP_1)
	v_subrev_nc_u32_e32 v98, 28, v100
	v_lshlrev_b64_e32 v[98:99], v98, v[2:3]
	v_sub_nc_u32_e32 v99, 29, v100
	s_delay_alu instid0(VALU_DEP_2)
	v_and_b32_e32 v98, 7, v98
; %bb.2108:                             ;   in Loop: Header=BB311_2079 Depth=1
	s_wait_alu 0xfffe
	s_or_b32 exec_lo, exec_lo, s3
	v_lshlrev_b32_e32 v2, 8, v2
	v_lshl_add_u32 v99, v99, 10, 0x2000
	v_lshlrev_b32_e32 v98, 23, v98
	s_delay_alu instid0(VALU_DEP_2) | instskip(NEXT) | instid1(VALU_DEP_1)
	v_and_or_b32 v2, 0x8000, v2, v99
	v_lshl_or_b32 v98, v2, 16, v98
.LBB311_2109:                           ;   in Loop: Header=BB311_2079 Depth=1
	s_wait_alu 0xfffe
	s_or_b32 exec_lo, exec_lo, s2
.LBB311_2110:                           ;   in Loop: Header=BB311_2079 Depth=1
	s_wait_alu 0xfffe
	s_or_b32 exec_lo, exec_lo, s1
.LBB311_2111:                           ;   in Loop: Header=BB311_2079 Depth=1
	s_wait_alu 0xfffe
	s_or_b32 exec_lo, exec_lo, s0
	v_dual_mov_b32 v2, v13 :: v_dual_and_b32 v99, 0xff, v13
	s_mov_b32 s0, exec_lo
	s_delay_alu instid0(VALU_DEP_1)
	v_cmpx_ne_u16_e32 0, v99
	s_cbranch_execz .LBB311_2119
; %bb.2112:                             ;   in Loop: Header=BB311_2079 Depth=1
	v_mov_b32_e32 v97, 0x8000
	s_mov_b32 s1, exec_lo
	v_cmpx_ne_u16_e32 0x80, v99
	s_cbranch_execz .LBB311_2118
; %bb.2113:                             ;   in Loop: Header=BB311_2079 Depth=1
	v_and_b32_e32 v100, 0x7f, v13
	v_mov_b32_e32 v97, 0x7c01
	s_mov_b32 s2, exec_lo
	s_delay_alu instid0(VALU_DEP_2)
	v_cmpx_ne_u32_e32 0x7f, v100
	s_cbranch_execz .LBB311_2117
; %bb.2114:                             ;   in Loop: Header=BB311_2079 Depth=1
	v_and_b32_e32 v97, 7, v13
	v_lshrrev_b32_e32 v99, 3, v100
	s_mov_b32 s3, exec_lo
	v_cmpx_gt_u32_e32 8, v100
; %bb.2115:                             ;   in Loop: Header=BB311_2079 Depth=1
	s_delay_alu instid0(VALU_DEP_3) | instskip(NEXT) | instid1(VALU_DEP_1)
	v_clz_i32_u32_e32 v97, v97
	v_min_u32_e32 v97, 32, v97
	s_delay_alu instid0(VALU_DEP_1) | instskip(NEXT) | instid1(VALU_DEP_1)
	v_subrev_nc_u32_e32 v99, 28, v97
	v_lshlrev_b64_e32 v[100:101], v99, v[2:3]
	v_sub_nc_u32_e32 v99, 29, v97
	s_delay_alu instid0(VALU_DEP_2)
	v_and_b32_e32 v97, 7, v100
; %bb.2116:                             ;   in Loop: Header=BB311_2079 Depth=1
	s_wait_alu 0xfffe
	s_or_b32 exec_lo, exec_lo, s3
	v_lshlrev_b32_e32 v100, 8, v13
	v_lshl_add_u32 v99, v99, 10, 0x2000
	v_lshlrev_b32_e32 v97, 7, v97
	s_delay_alu instid0(VALU_DEP_3) | instskip(NEXT) | instid1(VALU_DEP_3)
	v_and_b32_e32 v100, 0x8000, v100
	v_and_b32_e32 v99, 0xfc00, v99
	s_delay_alu instid0(VALU_DEP_1)
	v_or3_b32 v97, v100, v99, v97
.LBB311_2117:                           ;   in Loop: Header=BB311_2079 Depth=1
	s_wait_alu 0xfffe
	s_or_b32 exec_lo, exec_lo, s2
.LBB311_2118:                           ;   in Loop: Header=BB311_2079 Depth=1
	s_wait_alu 0xfffe
	s_or_b32 exec_lo, exec_lo, s1
.LBB311_2119:                           ;   in Loop: Header=BB311_2079 Depth=1
	s_wait_alu 0xfffe
	s_or_b32 exec_lo, exec_lo, s0
	v_lshrrev_b16 v2, 8, v2
	v_dual_mov_b32 v100, 0 :: v_dual_mov_b32 v99, 0
	s_mov_b32 s0, exec_lo
	s_delay_alu instid0(VALU_DEP_2)
	v_cmpx_ne_u16_e32 0, v2
	s_cbranch_execz .LBB311_2127
; %bb.2120:                             ;   in Loop: Header=BB311_2079 Depth=1
	v_bfrev_b32_e32 v99, 1
	s_mov_b32 s1, exec_lo
	v_cmpx_ne_u16_e32 0x80, v2
	s_cbranch_execz .LBB311_2126
; %bb.2121:                             ;   in Loop: Header=BB311_2079 Depth=1
	v_and_b32_e32 v101, 0xffff, v2
	v_mov_b32_e32 v99, 0x7c010000
	s_mov_b32 s2, exec_lo
	s_delay_alu instid0(VALU_DEP_2) | instskip(NEXT) | instid1(VALU_DEP_1)
	v_and_b32_e32 v103, 0x7f, v101
	v_cmpx_ne_u32_e32 0x7f, v103
	s_cbranch_execz .LBB311_2125
; %bb.2122:                             ;   in Loop: Header=BB311_2079 Depth=1
	v_and_b32_e32 v99, 7, v101
	v_lshrrev_b32_e32 v102, 3, v103
	s_mov_b32 s3, exec_lo
	v_cmpx_gt_u32_e32 8, v103
; %bb.2123:                             ;   in Loop: Header=BB311_2079 Depth=1
	s_delay_alu instid0(VALU_DEP_3) | instskip(NEXT) | instid1(VALU_DEP_1)
	v_clz_i32_u32_e32 v99, v99
	v_min_u32_e32 v99, 32, v99
	s_delay_alu instid0(VALU_DEP_1) | instskip(NEXT) | instid1(VALU_DEP_1)
	v_subrev_nc_u32_e32 v102, 28, v99
	v_lshlrev_b64_e32 v[112:113], v102, v[2:3]
	v_sub_nc_u32_e32 v102, 29, v99
	s_delay_alu instid0(VALU_DEP_2)
	v_and_b32_e32 v99, 7, v112
; %bb.2124:                             ;   in Loop: Header=BB311_2079 Depth=1
	s_wait_alu 0xfffe
	s_or_b32 exec_lo, exec_lo, s3
	v_lshlrev_b32_e32 v2, 8, v101
	v_lshl_add_u32 v101, v102, 10, 0x2000
	v_lshlrev_b32_e32 v99, 23, v99
	s_delay_alu instid0(VALU_DEP_2) | instskip(NEXT) | instid1(VALU_DEP_1)
	v_and_or_b32 v2, 0x8000, v2, v101
	v_lshl_or_b32 v99, v2, 16, v99
.LBB311_2125:                           ;   in Loop: Header=BB311_2079 Depth=1
	s_wait_alu 0xfffe
	s_or_b32 exec_lo, exec_lo, s2
.LBB311_2126:                           ;   in Loop: Header=BB311_2079 Depth=1
	s_wait_alu 0xfffe
	s_or_b32 exec_lo, exec_lo, s1
.LBB311_2127:                           ;   in Loop: Header=BB311_2079 Depth=1
	s_wait_alu 0xfffe
	s_or_b32 exec_lo, exec_lo, s0
	v_lshrrev_b32_e32 v2, 16, v13
	s_mov_b32 s0, exec_lo
	s_delay_alu instid0(VALU_DEP_1) | instskip(NEXT) | instid1(VALU_DEP_1)
	v_and_b32_e32 v101, 0xff, v2
	v_cmpx_ne_u16_e32 0, v101
	s_cbranch_execz .LBB311_2135
; %bb.2128:                             ;   in Loop: Header=BB311_2079 Depth=1
	v_mov_b32_e32 v100, 0x8000
	s_mov_b32 s1, exec_lo
	v_cmpx_ne_u16_e32 0x80, v101
	s_cbranch_execz .LBB311_2134
; %bb.2129:                             ;   in Loop: Header=BB311_2079 Depth=1
	v_bfe_u32 v102, v13, 16, 7
	v_mov_b32_e32 v100, 0x7c01
	s_mov_b32 s2, exec_lo
	s_delay_alu instid0(VALU_DEP_2)
	v_cmpx_ne_u32_e32 0x7f, v102
	s_cbranch_execz .LBB311_2133
; %bb.2130:                             ;   in Loop: Header=BB311_2079 Depth=1
	v_and_b32_e32 v100, 7, v2
	v_lshrrev_b32_e32 v101, 3, v102
	s_mov_b32 s3, exec_lo
	v_cmpx_gt_u32_e32 8, v102
; %bb.2131:                             ;   in Loop: Header=BB311_2079 Depth=1
	s_delay_alu instid0(VALU_DEP_3) | instskip(NEXT) | instid1(VALU_DEP_1)
	v_clz_i32_u32_e32 v100, v100
	v_min_u32_e32 v102, 32, v100
	s_delay_alu instid0(VALU_DEP_1) | instskip(NEXT) | instid1(VALU_DEP_1)
	v_subrev_nc_u32_e32 v100, 28, v102
	v_lshlrev_b64_e32 v[100:101], v100, v[2:3]
	v_sub_nc_u32_e32 v101, 29, v102
	s_delay_alu instid0(VALU_DEP_2)
	v_and_b32_e32 v100, 7, v100
; %bb.2132:                             ;   in Loop: Header=BB311_2079 Depth=1
	s_wait_alu 0xfffe
	s_or_b32 exec_lo, exec_lo, s3
	v_lshlrev_b32_e32 v2, 8, v2
	v_lshl_add_u32 v101, v101, 10, 0x2000
	v_lshlrev_b32_e32 v100, 7, v100
	s_delay_alu instid0(VALU_DEP_3) | instskip(NEXT) | instid1(VALU_DEP_3)
	v_and_b32_e32 v2, 0x8000, v2
	v_and_b32_e32 v101, 0xfc00, v101
	s_delay_alu instid0(VALU_DEP_1)
	v_or3_b32 v100, v2, v101, v100
.LBB311_2133:                           ;   in Loop: Header=BB311_2079 Depth=1
	s_wait_alu 0xfffe
	s_or_b32 exec_lo, exec_lo, s2
.LBB311_2134:                           ;   in Loop: Header=BB311_2079 Depth=1
	s_wait_alu 0xfffe
	s_or_b32 exec_lo, exec_lo, s1
.LBB311_2135:                           ;   in Loop: Header=BB311_2079 Depth=1
	s_wait_alu 0xfffe
	s_or_b32 exec_lo, exec_lo, s0
	v_cmp_lt_u64_e32 vcc_lo, s[16:17], v[12:13]
	v_mov_b32_e32 v12, 0
	s_and_saveexec_b32 s0, vcc_lo
	s_cbranch_execz .LBB311_2143
; %bb.2136:                             ;   in Loop: Header=BB311_2079 Depth=1
	v_lshrrev_b32_e32 v2, 24, v13
	v_bfrev_b32_e32 v12, 1
	s_mov_b32 s1, exec_lo
	s_delay_alu instid0(VALU_DEP_2)
	v_cmpx_ne_u32_e32 0x80, v2
	s_cbranch_execz .LBB311_2142
; %bb.2137:                             ;   in Loop: Header=BB311_2079 Depth=1
	v_and_b32_e32 v101, 0x7f, v2
	v_mov_b32_e32 v12, 0x7c010000
	s_mov_b32 s2, exec_lo
	s_delay_alu instid0(VALU_DEP_2)
	v_cmpx_ne_u32_e32 0x7f, v101
	s_cbranch_execz .LBB311_2141
; %bb.2138:                             ;   in Loop: Header=BB311_2079 Depth=1
	v_and_b32_e32 v12, 7, v2
	v_lshrrev_b32_e32 v13, 3, v101
	s_mov_b32 s3, exec_lo
	v_cmpx_gt_u32_e32 8, v101
; %bb.2139:                             ;   in Loop: Header=BB311_2079 Depth=1
	s_delay_alu instid0(VALU_DEP_3) | instskip(NEXT) | instid1(VALU_DEP_1)
	v_clz_i32_u32_e32 v12, v12
	v_min_u32_e32 v101, 32, v12
	s_delay_alu instid0(VALU_DEP_1) | instskip(NEXT) | instid1(VALU_DEP_1)
	v_subrev_nc_u32_e32 v12, 28, v101
	v_lshlrev_b64_e32 v[12:13], v12, v[2:3]
	v_sub_nc_u32_e32 v13, 29, v101
	s_delay_alu instid0(VALU_DEP_2)
	v_and_b32_e32 v12, 7, v12
; %bb.2140:                             ;   in Loop: Header=BB311_2079 Depth=1
	s_wait_alu 0xfffe
	s_or_b32 exec_lo, exec_lo, s3
	v_lshlrev_b32_e32 v2, 8, v2
	v_lshl_add_u32 v13, v13, 10, 0x2000
	v_lshlrev_b32_e32 v12, 23, v12
	s_delay_alu instid0(VALU_DEP_2) | instskip(NEXT) | instid1(VALU_DEP_1)
	v_and_or_b32 v2, 0x8000, v2, v13
	v_lshl_or_b32 v12, v2, 16, v12
.LBB311_2141:                           ;   in Loop: Header=BB311_2079 Depth=1
	s_wait_alu 0xfffe
	s_or_b32 exec_lo, exec_lo, s2
.LBB311_2142:                           ;   in Loop: Header=BB311_2079 Depth=1
	s_wait_alu 0xfffe
	s_or_b32 exec_lo, exec_lo, s1
.LBB311_2143:                           ;   in Loop: Header=BB311_2079 Depth=1
	s_wait_alu 0xfffe
	s_or_b32 exec_lo, exec_lo, s0
	scratch_load_b32 v101, off, s32 offset:320 ; 4-byte Folded Reload
	v_add_nc_u32_e32 v13, 2, v14
	v_or_b32_e32 v96, v98, v96
	v_add_nc_u32_e32 v2, 1, v14
	v_or_b32_e32 v97, v99, v97
	v_add_nc_u32_e32 v102, 7, v14
	v_cmp_lt_i32_e64 s0, v13, v63
	v_add_nc_u32_e32 v13, 5, v14
	v_cmp_lt_i32_e64 s1, v2, v63
	v_add_nc_u32_e32 v2, 4, v14
	s_wait_loadcnt_dscnt 0x100
	v_fma_mixlo_f16 v97, v34, v97, 0 op_sel_hi:[0,1,0]
	v_cmp_lt_i32_e64 s7, v102, v63
	v_cmp_lt_i32_e64 s5, v13, v63
	v_fma_mixlo_f16 v13, v34, v96, 0 op_sel_hi:[0,1,0]
	v_fma_mixlo_f16 v96, v34, v87, 0 op_sel:[0,1,0] op_sel_hi:[0,1,0]
	v_or_b32_e32 v87, v87, v35
	v_cmp_lt_i32_e64 s4, v2, v63
	v_fma_mixlo_f16 v2, v34, v98, 0 op_sel:[0,1,0] op_sel_hi:[0,1,0]
	v_fma_mixlo_f16 v98, v34, v99, 0 op_sel:[0,1,0] op_sel_hi:[0,1,0]
	v_lshlrev_b32_e32 v35, 16, v96
	v_or_b32_e32 v96, v12, v100
	v_fma_mixlo_f16 v87, v34, v87, 0 op_sel_hi:[0,1,0]
	v_fma_mixlo_f16 v12, v34, v12, 0 op_sel:[0,1,0] op_sel_hi:[0,1,0]
	v_lshlrev_b32_e32 v2, 16, v2
	v_and_b32_e32 v13, 0xffff, v13
	v_fma_mixlo_f16 v34, v34, v96, 0 op_sel_hi:[0,1,0]
	v_lshlrev_b32_e32 v96, 16, v98
	v_and_b32_e32 v100, 0xffff, v97
	v_cmp_lt_i32_e32 vcc_lo, v14, v63
	s_delay_alu instid0(VALU_DEP_4) | instskip(NEXT) | instid1(VALU_DEP_3)
	v_and_b32_e32 v98, 0xffff, v34
	v_or_b32_e32 v97, v96, v100
	s_wait_loadcnt 0x0
	v_cmp_eq_u32_e64 s2, v36, v101
	v_add_nc_u32_e32 v101, 3, v14
	s_delay_alu instid0(VALU_DEP_1) | instskip(SKIP_1) | instid1(VALU_DEP_1)
	v_cmp_lt_i32_e64 s3, v101, v63
	v_add_nc_u32_e32 v101, 6, v14
	v_cmp_lt_i32_e64 s6, v101, v63
	v_and_b32_e32 v101, 0xffff, v87
	v_lshlrev_b32_e32 v87, 16, v12
	v_or_b32_e32 v12, v2, v13
	s_delay_alu instid0(VALU_DEP_3) | instskip(NEXT) | instid1(VALU_DEP_3)
	v_or_b32_e32 v34, v35, v101
	v_or_b32_e32 v99, v87, v98
	s_and_saveexec_b32 s8, s2
	s_cbranch_execz .LBB311_2145
; %bb.2144:                             ;   in Loop: Header=BB311_2079 Depth=1
	s_wait_alu 0xfffd
	v_cndmask_b32_e32 v12, 0, v101, vcc_lo
	v_cndmask_b32_e64 v34, 0, v35, s1
	v_cndmask_b32_e64 v13, 0, v13, s0
	;; [unrolled: 1-line block ×7, first 2 shown]
	v_or_b32_e32 v34, v12, v34
	v_or_b32_e32 v12, v13, v2
	;; [unrolled: 1-line block ×3, first 2 shown]
	s_delay_alu instid0(VALU_DEP_4)
	v_or_b32_e32 v99, v98, v87
.LBB311_2145:                           ;   in Loop: Header=BB311_2079 Depth=1
	s_wait_alu 0xfffe
	s_or_b32 exec_lo, exec_lo, s8
	v_and_b32_e32 v2, 0xffff, v30
	v_and_b32_e32 v13, 0xffff, v31
	v_and_b32_e32 v30, 0xffff, v32
	v_and_b32_e32 v31, 0xffff, v33
	s_mov_b32 s20, exec_lo
	v_lshl_or_b32 v98, v4, 16, v2
	;;#ASMSTART
	v_pk_mul_f16 v2, v98, v34;

	;;#ASMEND
	v_lshl_or_b32 v87, v22, 16, v30
	v_lshl_or_b32 v35, v23, 16, v31
	v_mov_b32_e32 v22, 0
	v_lshl_or_b32 v96, v5, 16, v13
	;;#ASMSTART
	v_pk_mul_f16 v4, v96, v12;

	;;#ASMEND
	;;#ASMSTART
	v_pk_mul_f16 v5, v87, v97;

	;;#ASMEND
	;; [unrolled: 4-line block ×3, first 2 shown]
	;;#ASMSTART
	v_pk_add_f16 v2, v2, v4;

	;;#ASMEND
	;;#ASMSTART
	v_pk_add_f16 v2, v2, v5;

	;;#ASMEND
	;; [unrolled: 4-line block ×3, first 2 shown]
	v_and_b32_e32 v4, 0xffff, v2
	v_lshrrev_b32_e32 v2, 16, v2
	;;#ASMSTART
	v_cvt_f32_f16 v97, v4;
	;;#ASMEND
	;;#ASMSTART
	v_cvt_f32_f16 v99, v2;
	;;#ASMEND
	flat_load_b64 v[12:13], v[10:11] offset:256
	flat_load_b32 v4, v[26:27]
	s_wait_loadcnt_dscnt 0x101
	v_dual_mov_b32 v5, 0 :: v_dual_and_b32 v2, 0xff, v12
	s_delay_alu instid0(VALU_DEP_1)
	v_cmpx_ne_u16_e32 0, v2
	s_cbranch_execz .LBB311_2153
; %bb.2146:                             ;   in Loop: Header=BB311_2079 Depth=1
	v_mov_b32_e32 v22, 0x8000
	s_mov_b32 s21, exec_lo
	v_cmpx_ne_u16_e32 0x80, v2
	s_cbranch_execz .LBB311_2152
; %bb.2147:                             ;   in Loop: Header=BB311_2079 Depth=1
	v_and_b32_e32 v23, 0x7f, v12
	v_mov_b32_e32 v22, 0x7c01
	s_mov_b32 s22, exec_lo
	s_delay_alu instid0(VALU_DEP_2)
	v_cmpx_ne_u32_e32 0x7f, v23
	s_cbranch_execz .LBB311_2151
; %bb.2148:                             ;   in Loop: Header=BB311_2079 Depth=1
	v_and_b32_e32 v2, 7, v12
	v_lshrrev_b32_e32 v22, 3, v23
	s_mov_b32 s23, exec_lo
	v_cmpx_gt_u32_e32 8, v23
; %bb.2149:                             ;   in Loop: Header=BB311_2079 Depth=1
	s_delay_alu instid0(VALU_DEP_3) | instskip(NEXT) | instid1(VALU_DEP_1)
	v_clz_i32_u32_e32 v2, v2
	v_min_u32_e32 v2, 32, v2
	s_delay_alu instid0(VALU_DEP_1) | instskip(NEXT) | instid1(VALU_DEP_1)
	v_subrev_nc_u32_e32 v22, 28, v2
	v_lshlrev_b64_e32 v[30:31], v22, v[12:13]
	v_sub_nc_u32_e32 v22, 29, v2
	s_delay_alu instid0(VALU_DEP_2)
	v_and_b32_e32 v2, 7, v30
; %bb.2150:                             ;   in Loop: Header=BB311_2079 Depth=1
	s_wait_alu 0xfffe
	s_or_b32 exec_lo, exec_lo, s23
	v_lshlrev_b32_e32 v23, 8, v12
	v_lshl_add_u32 v22, v22, 10, 0x2000
	v_lshlrev_b32_e32 v2, 7, v2
	s_delay_alu instid0(VALU_DEP_3) | instskip(NEXT) | instid1(VALU_DEP_3)
	v_and_b32_e32 v23, 0x8000, v23
	v_and_b32_e32 v22, 0xfc00, v22
	s_delay_alu instid0(VALU_DEP_1)
	v_or3_b32 v22, v23, v22, v2
.LBB311_2151:                           ;   in Loop: Header=BB311_2079 Depth=1
	s_wait_alu 0xfffe
	s_or_b32 exec_lo, exec_lo, s22
.LBB311_2152:                           ;   in Loop: Header=BB311_2079 Depth=1
	s_wait_alu 0xfffe
	s_or_b32 exec_lo, exec_lo, s21
.LBB311_2153:                           ;   in Loop: Header=BB311_2079 Depth=1
	s_wait_alu 0xfffe
	s_or_b32 exec_lo, exec_lo, s20
	v_lshrrev_b16 v2, 8, v12
	s_mov_b32 s20, exec_lo
	s_delay_alu instid0(VALU_DEP_1)
	v_cmpx_ne_u16_e32 0, v2
	s_cbranch_execz .LBB311_2161
; %bb.2154:                             ;   in Loop: Header=BB311_2079 Depth=1
	v_bfrev_b32_e32 v5, 1
	s_mov_b32 s21, exec_lo
	v_cmpx_ne_u16_e32 0x80, v2
	s_cbranch_execz .LBB311_2160
; %bb.2155:                             ;   in Loop: Header=BB311_2079 Depth=1
	v_and_b32_e32 v23, 0xffff, v2
	v_mov_b32_e32 v5, 0x7c010000
	s_mov_b32 s22, exec_lo
	s_delay_alu instid0(VALU_DEP_2) | instskip(NEXT) | instid1(VALU_DEP_1)
	v_and_b32_e32 v31, 0x7f, v23
	v_cmpx_ne_u32_e32 0x7f, v31
	s_cbranch_execz .LBB311_2159
; %bb.2156:                             ;   in Loop: Header=BB311_2079 Depth=1
	v_and_b32_e32 v5, 7, v23
	v_lshrrev_b32_e32 v30, 3, v31
	s_mov_b32 s23, exec_lo
	v_cmpx_gt_u32_e32 8, v31
; %bb.2157:                             ;   in Loop: Header=BB311_2079 Depth=1
	s_delay_alu instid0(VALU_DEP_3) | instskip(NEXT) | instid1(VALU_DEP_1)
	v_clz_i32_u32_e32 v5, v5
	v_min_u32_e32 v5, 32, v5
	s_delay_alu instid0(VALU_DEP_1) | instskip(NEXT) | instid1(VALU_DEP_1)
	v_subrev_nc_u32_e32 v30, 28, v5
	v_lshlrev_b64_e32 v[31:32], v30, v[2:3]
	v_sub_nc_u32_e32 v30, 29, v5
	s_delay_alu instid0(VALU_DEP_2)
	v_and_b32_e32 v5, 7, v31
; %bb.2158:                             ;   in Loop: Header=BB311_2079 Depth=1
	s_wait_alu 0xfffe
	s_or_b32 exec_lo, exec_lo, s23
	v_lshlrev_b32_e32 v2, 8, v23
	v_lshl_add_u32 v23, v30, 10, 0x2000
	v_lshlrev_b32_e32 v5, 23, v5
	s_delay_alu instid0(VALU_DEP_2) | instskip(NEXT) | instid1(VALU_DEP_1)
	v_and_or_b32 v2, 0x8000, v2, v23
	v_lshl_or_b32 v5, v2, 16, v5
.LBB311_2159:                           ;   in Loop: Header=BB311_2079 Depth=1
	s_wait_alu 0xfffe
	s_or_b32 exec_lo, exec_lo, s22
.LBB311_2160:                           ;   in Loop: Header=BB311_2079 Depth=1
	s_wait_alu 0xfffe
	s_or_b32 exec_lo, exec_lo, s21
.LBB311_2161:                           ;   in Loop: Header=BB311_2079 Depth=1
	s_wait_alu 0xfffe
	s_or_b32 exec_lo, exec_lo, s20
	v_lshrrev_b32_e32 v2, 16, v12
	v_mov_b32_e32 v23, 0
	s_mov_b32 s20, exec_lo
	s_delay_alu instid0(VALU_DEP_2) | instskip(NEXT) | instid1(VALU_DEP_1)
	v_dual_mov_b32 v30, 0 :: v_dual_and_b32 v31, 0xff, v2
	v_cmpx_ne_u16_e32 0, v31
	s_cbranch_execz .LBB311_2169
; %bb.2162:                             ;   in Loop: Header=BB311_2079 Depth=1
	v_mov_b32_e32 v30, 0x8000
	s_mov_b32 s21, exec_lo
	v_cmpx_ne_u16_e32 0x80, v31
	s_cbranch_execz .LBB311_2168
; %bb.2163:                             ;   in Loop: Header=BB311_2079 Depth=1
	v_bfe_u32 v32, v12, 16, 7
	v_mov_b32_e32 v30, 0x7c01
	s_mov_b32 s22, exec_lo
	s_delay_alu instid0(VALU_DEP_2)
	v_cmpx_ne_u32_e32 0x7f, v32
	s_cbranch_execz .LBB311_2167
; %bb.2164:                             ;   in Loop: Header=BB311_2079 Depth=1
	v_and_b32_e32 v30, 7, v2
	v_lshrrev_b32_e32 v31, 3, v32
	s_mov_b32 s23, exec_lo
	v_cmpx_gt_u32_e32 8, v32
; %bb.2165:                             ;   in Loop: Header=BB311_2079 Depth=1
	s_delay_alu instid0(VALU_DEP_3) | instskip(NEXT) | instid1(VALU_DEP_1)
	v_clz_i32_u32_e32 v30, v30
	v_min_u32_e32 v32, 32, v30
	s_delay_alu instid0(VALU_DEP_1) | instskip(NEXT) | instid1(VALU_DEP_1)
	v_subrev_nc_u32_e32 v30, 28, v32
	v_lshlrev_b64_e32 v[30:31], v30, v[2:3]
	v_sub_nc_u32_e32 v31, 29, v32
	s_delay_alu instid0(VALU_DEP_2)
	v_and_b32_e32 v30, 7, v30
; %bb.2166:                             ;   in Loop: Header=BB311_2079 Depth=1
	s_wait_alu 0xfffe
	s_or_b32 exec_lo, exec_lo, s23
	v_lshlrev_b32_e32 v2, 8, v2
	v_lshl_add_u32 v31, v31, 10, 0x2000
	v_lshlrev_b32_e32 v30, 7, v30
	s_delay_alu instid0(VALU_DEP_3) | instskip(NEXT) | instid1(VALU_DEP_3)
	v_and_b32_e32 v2, 0x8000, v2
	v_and_b32_e32 v31, 0xfc00, v31
	s_delay_alu instid0(VALU_DEP_1)
	v_or3_b32 v30, v2, v31, v30
.LBB311_2167:                           ;   in Loop: Header=BB311_2079 Depth=1
	s_wait_alu 0xfffe
	s_or_b32 exec_lo, exec_lo, s22
.LBB311_2168:                           ;   in Loop: Header=BB311_2079 Depth=1
	s_wait_alu 0xfffe
	s_or_b32 exec_lo, exec_lo, s21
.LBB311_2169:                           ;   in Loop: Header=BB311_2079 Depth=1
	s_wait_alu 0xfffe
	s_or_b32 exec_lo, exec_lo, s20
	s_delay_alu instid0(SALU_CYCLE_1)
	s_mov_b32 s20, exec_lo
	v_cmpx_lt_u32_e32 0xffffff, v12
	s_cbranch_execz .LBB311_2177
; %bb.2170:                             ;   in Loop: Header=BB311_2079 Depth=1
	v_lshrrev_b32_e32 v2, 24, v12
	v_bfrev_b32_e32 v23, 1
	s_mov_b32 s21, exec_lo
	s_delay_alu instid0(VALU_DEP_2)
	v_cmpx_ne_u32_e32 0x80, v2
	s_cbranch_execz .LBB311_2176
; %bb.2171:                             ;   in Loop: Header=BB311_2079 Depth=1
	v_and_b32_e32 v32, 0x7f, v2
	v_mov_b32_e32 v23, 0x7c010000
	s_mov_b32 s22, exec_lo
	s_delay_alu instid0(VALU_DEP_2)
	v_cmpx_ne_u32_e32 0x7f, v32
	s_cbranch_execz .LBB311_2175
; %bb.2172:                             ;   in Loop: Header=BB311_2079 Depth=1
	v_and_b32_e32 v23, 7, v2
	v_lshrrev_b32_e32 v31, 3, v32
	s_mov_b32 s23, exec_lo
	v_cmpx_gt_u32_e32 8, v32
; %bb.2173:                             ;   in Loop: Header=BB311_2079 Depth=1
	s_delay_alu instid0(VALU_DEP_3) | instskip(NEXT) | instid1(VALU_DEP_1)
	v_clz_i32_u32_e32 v23, v23
	v_min_u32_e32 v23, 32, v23
	s_delay_alu instid0(VALU_DEP_1) | instskip(NEXT) | instid1(VALU_DEP_1)
	v_subrev_nc_u32_e32 v31, 28, v23
	v_lshlrev_b64_e32 v[32:33], v31, v[2:3]
	v_sub_nc_u32_e32 v31, 29, v23
	s_delay_alu instid0(VALU_DEP_2)
	v_and_b32_e32 v23, 7, v32
; %bb.2174:                             ;   in Loop: Header=BB311_2079 Depth=1
	s_wait_alu 0xfffe
	s_or_b32 exec_lo, exec_lo, s23
	v_lshlrev_b32_e32 v2, 8, v2
	v_lshl_add_u32 v31, v31, 10, 0x2000
	v_lshlrev_b32_e32 v23, 23, v23
	s_delay_alu instid0(VALU_DEP_2) | instskip(NEXT) | instid1(VALU_DEP_1)
	v_and_or_b32 v2, 0x8000, v2, v31
	v_lshl_or_b32 v23, v2, 16, v23
.LBB311_2175:                           ;   in Loop: Header=BB311_2079 Depth=1
	s_wait_alu 0xfffe
	s_or_b32 exec_lo, exec_lo, s22
.LBB311_2176:                           ;   in Loop: Header=BB311_2079 Depth=1
	s_wait_alu 0xfffe
	s_or_b32 exec_lo, exec_lo, s21
.LBB311_2177:                           ;   in Loop: Header=BB311_2079 Depth=1
	s_wait_alu 0xfffe
	s_or_b32 exec_lo, exec_lo, s20
	v_dual_mov_b32 v2, v13 :: v_dual_and_b32 v33, 0xff, v13
	v_dual_mov_b32 v31, 0 :: v_dual_mov_b32 v32, 0
	s_mov_b32 s20, exec_lo
	s_delay_alu instid0(VALU_DEP_2)
	v_cmpx_ne_u16_e32 0, v33
	s_cbranch_execz .LBB311_2185
; %bb.2178:                             ;   in Loop: Header=BB311_2079 Depth=1
	v_mov_b32_e32 v32, 0x8000
	s_mov_b32 s21, exec_lo
	v_cmpx_ne_u16_e32 0x80, v33
	s_cbranch_execz .LBB311_2184
; %bb.2179:                             ;   in Loop: Header=BB311_2079 Depth=1
	v_and_b32_e32 v34, 0x7f, v13
	v_mov_b32_e32 v32, 0x7c01
	s_mov_b32 s22, exec_lo
	s_delay_alu instid0(VALU_DEP_2)
	v_cmpx_ne_u32_e32 0x7f, v34
	s_cbranch_execz .LBB311_2183
; %bb.2180:                             ;   in Loop: Header=BB311_2079 Depth=1
	v_and_b32_e32 v32, 7, v13
	v_lshrrev_b32_e32 v33, 3, v34
	s_mov_b32 s23, exec_lo
	v_cmpx_gt_u32_e32 8, v34
; %bb.2181:                             ;   in Loop: Header=BB311_2079 Depth=1
	s_delay_alu instid0(VALU_DEP_3) | instskip(NEXT) | instid1(VALU_DEP_1)
	v_clz_i32_u32_e32 v32, v32
	v_min_u32_e32 v34, 32, v32
	s_delay_alu instid0(VALU_DEP_1) | instskip(NEXT) | instid1(VALU_DEP_1)
	v_subrev_nc_u32_e32 v32, 28, v34
	v_lshlrev_b64_e32 v[32:33], v32, v[2:3]
	v_sub_nc_u32_e32 v33, 29, v34
	s_delay_alu instid0(VALU_DEP_2)
	v_and_b32_e32 v32, 7, v32
; %bb.2182:                             ;   in Loop: Header=BB311_2079 Depth=1
	s_wait_alu 0xfffe
	s_or_b32 exec_lo, exec_lo, s23
	v_lshlrev_b32_e32 v34, 8, v13
	v_lshl_add_u32 v33, v33, 10, 0x2000
	v_lshlrev_b32_e32 v32, 7, v32
	s_delay_alu instid0(VALU_DEP_3) | instskip(NEXT) | instid1(VALU_DEP_3)
	v_and_b32_e32 v34, 0x8000, v34
	v_and_b32_e32 v33, 0xfc00, v33
	s_delay_alu instid0(VALU_DEP_1)
	v_or3_b32 v32, v34, v33, v32
.LBB311_2183:                           ;   in Loop: Header=BB311_2079 Depth=1
	s_wait_alu 0xfffe
	s_or_b32 exec_lo, exec_lo, s22
.LBB311_2184:                           ;   in Loop: Header=BB311_2079 Depth=1
	s_wait_alu 0xfffe
	s_or_b32 exec_lo, exec_lo, s21
.LBB311_2185:                           ;   in Loop: Header=BB311_2079 Depth=1
	s_wait_alu 0xfffe
	s_or_b32 exec_lo, exec_lo, s20
	v_lshrrev_b16 v2, 8, v2
	v_mov_b32_e32 v33, 0
	s_mov_b32 s20, exec_lo
	s_delay_alu instid0(VALU_DEP_2)
	v_cmpx_ne_u16_e32 0, v2
	s_cbranch_execz .LBB311_2193
; %bb.2186:                             ;   in Loop: Header=BB311_2079 Depth=1
	v_bfrev_b32_e32 v33, 1
	s_mov_b32 s21, exec_lo
	v_cmpx_ne_u16_e32 0x80, v2
	s_cbranch_execz .LBB311_2192
; %bb.2187:                             ;   in Loop: Header=BB311_2079 Depth=1
	v_and_b32_e32 v34, 0xffff, v2
	v_mov_b32_e32 v33, 0x7c010000
	s_mov_b32 s22, exec_lo
	s_delay_alu instid0(VALU_DEP_2) | instskip(NEXT) | instid1(VALU_DEP_1)
	v_and_b32_e32 v101, 0x7f, v34
	v_cmpx_ne_u32_e32 0x7f, v101
	s_cbranch_execz .LBB311_2191
; %bb.2188:                             ;   in Loop: Header=BB311_2079 Depth=1
	v_and_b32_e32 v33, 7, v34
	v_lshrrev_b32_e32 v100, 3, v101
	s_mov_b32 s23, exec_lo
	v_cmpx_gt_u32_e32 8, v101
; %bb.2189:                             ;   in Loop: Header=BB311_2079 Depth=1
	s_delay_alu instid0(VALU_DEP_3) | instskip(NEXT) | instid1(VALU_DEP_1)
	v_clz_i32_u32_e32 v33, v33
	v_min_u32_e32 v33, 32, v33
	s_delay_alu instid0(VALU_DEP_1) | instskip(NEXT) | instid1(VALU_DEP_1)
	v_subrev_nc_u32_e32 v100, 28, v33
	v_lshlrev_b64_e32 v[101:102], v100, v[2:3]
	v_sub_nc_u32_e32 v100, 29, v33
	s_delay_alu instid0(VALU_DEP_2)
	v_and_b32_e32 v33, 7, v101
; %bb.2190:                             ;   in Loop: Header=BB311_2079 Depth=1
	s_wait_alu 0xfffe
	s_or_b32 exec_lo, exec_lo, s23
	v_lshlrev_b32_e32 v2, 8, v34
	v_lshl_add_u32 v34, v100, 10, 0x2000
	v_lshlrev_b32_e32 v33, 23, v33
	s_delay_alu instid0(VALU_DEP_2) | instskip(NEXT) | instid1(VALU_DEP_1)
	v_and_or_b32 v2, 0x8000, v2, v34
	v_lshl_or_b32 v33, v2, 16, v33
.LBB311_2191:                           ;   in Loop: Header=BB311_2079 Depth=1
	s_wait_alu 0xfffe
	s_or_b32 exec_lo, exec_lo, s22
.LBB311_2192:                           ;   in Loop: Header=BB311_2079 Depth=1
	s_wait_alu 0xfffe
	s_or_b32 exec_lo, exec_lo, s21
.LBB311_2193:                           ;   in Loop: Header=BB311_2079 Depth=1
	s_wait_alu 0xfffe
	s_or_b32 exec_lo, exec_lo, s20
	v_lshrrev_b32_e32 v2, 16, v13
	s_mov_b32 s20, exec_lo
	s_delay_alu instid0(VALU_DEP_1) | instskip(NEXT) | instid1(VALU_DEP_1)
	v_and_b32_e32 v34, 0xff, v2
	v_cmpx_ne_u16_e32 0, v34
	s_cbranch_execz .LBB311_2201
; %bb.2194:                             ;   in Loop: Header=BB311_2079 Depth=1
	v_mov_b32_e32 v31, 0x8000
	s_mov_b32 s21, exec_lo
	v_cmpx_ne_u16_e32 0x80, v34
	s_cbranch_execz .LBB311_2200
; %bb.2195:                             ;   in Loop: Header=BB311_2079 Depth=1
	v_bfe_u32 v100, v13, 16, 7
	v_mov_b32_e32 v31, 0x7c01
	s_mov_b32 s22, exec_lo
	s_delay_alu instid0(VALU_DEP_2)
	v_cmpx_ne_u32_e32 0x7f, v100
	s_cbranch_execz .LBB311_2199
; %bb.2196:                             ;   in Loop: Header=BB311_2079 Depth=1
	v_and_b32_e32 v31, 7, v2
	v_lshrrev_b32_e32 v34, 3, v100
	s_mov_b32 s23, exec_lo
	v_cmpx_gt_u32_e32 8, v100
; %bb.2197:                             ;   in Loop: Header=BB311_2079 Depth=1
	s_delay_alu instid0(VALU_DEP_3) | instskip(NEXT) | instid1(VALU_DEP_1)
	v_clz_i32_u32_e32 v31, v31
	v_min_u32_e32 v31, 32, v31
	s_delay_alu instid0(VALU_DEP_1) | instskip(NEXT) | instid1(VALU_DEP_1)
	v_subrev_nc_u32_e32 v34, 28, v31
	v_lshlrev_b64_e32 v[100:101], v34, v[2:3]
	v_sub_nc_u32_e32 v34, 29, v31
	s_delay_alu instid0(VALU_DEP_2)
	v_and_b32_e32 v31, 7, v100
; %bb.2198:                             ;   in Loop: Header=BB311_2079 Depth=1
	s_wait_alu 0xfffe
	s_or_b32 exec_lo, exec_lo, s23
	v_lshlrev_b32_e32 v2, 8, v2
	v_lshl_add_u32 v34, v34, 10, 0x2000
	v_lshlrev_b32_e32 v31, 7, v31
	s_delay_alu instid0(VALU_DEP_3) | instskip(NEXT) | instid1(VALU_DEP_3)
	v_and_b32_e32 v2, 0x8000, v2
	v_and_b32_e32 v34, 0xfc00, v34
	s_delay_alu instid0(VALU_DEP_1)
	v_or3_b32 v31, v2, v34, v31
.LBB311_2199:                           ;   in Loop: Header=BB311_2079 Depth=1
	s_wait_alu 0xfffe
	s_or_b32 exec_lo, exec_lo, s22
.LBB311_2200:                           ;   in Loop: Header=BB311_2079 Depth=1
	s_wait_alu 0xfffe
	s_or_b32 exec_lo, exec_lo, s21
.LBB311_2201:                           ;   in Loop: Header=BB311_2079 Depth=1
	s_wait_alu 0xfffe
	s_or_b32 exec_lo, exec_lo, s20
	v_cmp_lt_u64_e64 s8, s[16:17], v[12:13]
	v_mov_b32_e32 v12, 0
	s_and_saveexec_b32 s20, s8
	s_cbranch_execz .LBB311_2209
; %bb.2202:                             ;   in Loop: Header=BB311_2079 Depth=1
	v_lshrrev_b32_e32 v2, 24, v13
	v_bfrev_b32_e32 v12, 1
	s_mov_b32 s21, exec_lo
	s_delay_alu instid0(VALU_DEP_2)
	v_cmpx_ne_u32_e32 0x80, v2
	s_cbranch_execz .LBB311_2208
; %bb.2203:                             ;   in Loop: Header=BB311_2079 Depth=1
	v_and_b32_e32 v34, 0x7f, v2
	v_mov_b32_e32 v12, 0x7c010000
	s_mov_b32 s22, exec_lo
	s_delay_alu instid0(VALU_DEP_2)
	v_cmpx_ne_u32_e32 0x7f, v34
	s_cbranch_execz .LBB311_2207
; %bb.2204:                             ;   in Loop: Header=BB311_2079 Depth=1
	v_and_b32_e32 v12, 7, v2
	v_lshrrev_b32_e32 v13, 3, v34
	s_mov_b32 s23, exec_lo
	v_cmpx_gt_u32_e32 8, v34
; %bb.2205:                             ;   in Loop: Header=BB311_2079 Depth=1
	s_delay_alu instid0(VALU_DEP_3) | instskip(NEXT) | instid1(VALU_DEP_1)
	v_clz_i32_u32_e32 v12, v12
	v_min_u32_e32 v34, 32, v12
	s_delay_alu instid0(VALU_DEP_1) | instskip(NEXT) | instid1(VALU_DEP_1)
	v_subrev_nc_u32_e32 v12, 28, v34
	v_lshlrev_b64_e32 v[12:13], v12, v[2:3]
	v_sub_nc_u32_e32 v13, 29, v34
	s_delay_alu instid0(VALU_DEP_2)
	v_and_b32_e32 v12, 7, v12
; %bb.2206:                             ;   in Loop: Header=BB311_2079 Depth=1
	s_wait_alu 0xfffe
	s_or_b32 exec_lo, exec_lo, s23
	v_lshlrev_b32_e32 v2, 8, v2
	v_lshl_add_u32 v13, v13, 10, 0x2000
	v_lshlrev_b32_e32 v12, 23, v12
	s_delay_alu instid0(VALU_DEP_2) | instskip(NEXT) | instid1(VALU_DEP_1)
	v_and_or_b32 v2, 0x8000, v2, v13
	v_lshl_or_b32 v12, v2, 16, v12
.LBB311_2207:                           ;   in Loop: Header=BB311_2079 Depth=1
	s_wait_alu 0xfffe
	s_or_b32 exec_lo, exec_lo, s22
.LBB311_2208:                           ;   in Loop: Header=BB311_2079 Depth=1
	s_wait_alu 0xfffe
	s_or_b32 exec_lo, exec_lo, s21
.LBB311_2209:                           ;   in Loop: Header=BB311_2079 Depth=1
	s_wait_alu 0xfffe
	s_or_b32 exec_lo, exec_lo, s20
	v_or_b32_e32 v2, v23, v30
	s_wait_loadcnt_dscnt 0x0
	v_fma_mixlo_f16 v13, v4, v23, 0 op_sel:[0,1,0] op_sel_hi:[0,1,0]
	v_or_b32_e32 v22, v5, v22
	v_fma_mixlo_f16 v5, v4, v5, 0 op_sel:[0,1,0] op_sel_hi:[0,1,0]
	v_or_b32_e32 v23, v33, v32
	v_fma_mixlo_f16 v30, v4, v2, 0 op_sel_hi:[0,1,0]
	v_or_b32_e32 v31, v12, v31
	v_lshlrev_b32_e32 v2, 16, v13
	v_lshlrev_b32_e32 v13, 16, v5
	v_fma_mixlo_f16 v22, v4, v22, 0 op_sel_hi:[0,1,0]
	v_and_b32_e32 v5, 0xffff, v30
	v_fma_mixlo_f16 v30, v4, v33, 0 op_sel:[0,1,0] op_sel_hi:[0,1,0]
	v_fma_mixlo_f16 v23, v4, v23, 0 op_sel_hi:[0,1,0]
	v_fma_mixlo_f16 v12, v4, v12, 0 op_sel:[0,1,0] op_sel_hi:[0,1,0]
	v_fma_mixlo_f16 v4, v4, v31, 0 op_sel_hi:[0,1,0]
	v_and_b32_e32 v34, 0xffff, v22
	v_lshlrev_b32_e32 v31, 16, v30
	v_and_b32_e32 v33, 0xffff, v23
	v_lshlrev_b32_e32 v30, 16, v12
	v_and_b32_e32 v32, 0xffff, v4
	v_or_b32_e32 v4, v2, v5
	v_or_b32_e32 v23, v13, v34
	;; [unrolled: 1-line block ×3, first 2 shown]
	s_delay_alu instid0(VALU_DEP_4)
	v_or_b32_e32 v12, v30, v32
	s_and_saveexec_b32 s8, s2
	s_cbranch_execz .LBB311_2211
; %bb.2210:                             ;   in Loop: Header=BB311_2079 Depth=1
	s_wait_alu 0xfffd
	v_cndmask_b32_e32 v4, 0, v34, vcc_lo
	v_cndmask_b32_e64 v12, 0, v13, s1
	v_cndmask_b32_e64 v5, 0, v5, s0
	;; [unrolled: 1-line block ×7, first 2 shown]
	v_or_b32_e32 v23, v4, v12
	v_or_b32_e32 v4, v5, v2
	;; [unrolled: 1-line block ×3, first 2 shown]
	s_delay_alu instid0(VALU_DEP_4)
	v_or_b32_e32 v12, v31, v30
.LBB311_2211:                           ;   in Loop: Header=BB311_2079 Depth=1
	s_wait_alu 0xfffe
	s_or_b32 exec_lo, exec_lo, s8
	;;#ASMSTART
	v_pk_mul_f16 v2, v98, v23;

	;;#ASMEND
	;;#ASMSTART
	v_pk_mul_f16 v4, v96, v4;

	;;#ASMEND
	;; [unrolled: 4-line block ×4, first 2 shown]
	;;#ASMSTART
	v_pk_add_f16 v2, v2, v4;

	;;#ASMEND
	;;#ASMSTART
	v_pk_add_f16 v2, v2, v5;

	;;#ASMEND
	;;#ASMSTART
	v_pk_add_f16 v2, v2, v12;

	;;#ASMEND
	v_dual_mov_b32 v5, 0 :: v_dual_and_b32 v4, 0xffff, v2
	v_lshrrev_b32_e32 v2, 16, v2
	;;#ASMSTART
	v_cvt_f32_f16 v100, v4;
	;;#ASMEND
	;;#ASMSTART
	v_cvt_f32_f16 v101, v2;
	;;#ASMEND
	flat_load_b64 v[12:13], v[10:11] offset:512
	flat_load_b32 v4, v[26:27]
	v_mov_b32_e32 v22, 0
	s_mov_b32 s20, exec_lo
	s_wait_loadcnt_dscnt 0x101
	v_and_b32_e32 v2, 0xff, v12
	s_delay_alu instid0(VALU_DEP_1)
	v_cmpx_ne_u16_e32 0, v2
	s_cbranch_execz .LBB311_2219
; %bb.2212:                             ;   in Loop: Header=BB311_2079 Depth=1
	v_mov_b32_e32 v22, 0x8000
	s_mov_b32 s21, exec_lo
	v_cmpx_ne_u16_e32 0x80, v2
	s_cbranch_execz .LBB311_2218
; %bb.2213:                             ;   in Loop: Header=BB311_2079 Depth=1
	v_and_b32_e32 v23, 0x7f, v12
	v_mov_b32_e32 v22, 0x7c01
	s_mov_b32 s22, exec_lo
	s_delay_alu instid0(VALU_DEP_2)
	v_cmpx_ne_u32_e32 0x7f, v23
	s_cbranch_execz .LBB311_2217
; %bb.2214:                             ;   in Loop: Header=BB311_2079 Depth=1
	v_and_b32_e32 v2, 7, v12
	v_lshrrev_b32_e32 v22, 3, v23
	s_mov_b32 s23, exec_lo
	v_cmpx_gt_u32_e32 8, v23
; %bb.2215:                             ;   in Loop: Header=BB311_2079 Depth=1
	s_delay_alu instid0(VALU_DEP_3) | instskip(NEXT) | instid1(VALU_DEP_1)
	v_clz_i32_u32_e32 v2, v2
	v_min_u32_e32 v2, 32, v2
	s_delay_alu instid0(VALU_DEP_1) | instskip(NEXT) | instid1(VALU_DEP_1)
	v_subrev_nc_u32_e32 v22, 28, v2
	v_lshlrev_b64_e32 v[30:31], v22, v[12:13]
	v_sub_nc_u32_e32 v22, 29, v2
	s_delay_alu instid0(VALU_DEP_2)
	v_and_b32_e32 v2, 7, v30
; %bb.2216:                             ;   in Loop: Header=BB311_2079 Depth=1
	s_wait_alu 0xfffe
	s_or_b32 exec_lo, exec_lo, s23
	v_lshlrev_b32_e32 v23, 8, v12
	v_lshl_add_u32 v22, v22, 10, 0x2000
	v_lshlrev_b32_e32 v2, 7, v2
	s_delay_alu instid0(VALU_DEP_3) | instskip(NEXT) | instid1(VALU_DEP_3)
	v_and_b32_e32 v23, 0x8000, v23
	v_and_b32_e32 v22, 0xfc00, v22
	s_delay_alu instid0(VALU_DEP_1)
	v_or3_b32 v22, v23, v22, v2
.LBB311_2217:                           ;   in Loop: Header=BB311_2079 Depth=1
	s_wait_alu 0xfffe
	s_or_b32 exec_lo, exec_lo, s22
.LBB311_2218:                           ;   in Loop: Header=BB311_2079 Depth=1
	s_wait_alu 0xfffe
	s_or_b32 exec_lo, exec_lo, s21
.LBB311_2219:                           ;   in Loop: Header=BB311_2079 Depth=1
	s_wait_alu 0xfffe
	s_or_b32 exec_lo, exec_lo, s20
	v_lshrrev_b16 v2, 8, v12
	s_mov_b32 s20, exec_lo
	s_delay_alu instid0(VALU_DEP_1)
	v_cmpx_ne_u16_e32 0, v2
	s_cbranch_execz .LBB311_2227
; %bb.2220:                             ;   in Loop: Header=BB311_2079 Depth=1
	v_bfrev_b32_e32 v5, 1
	s_mov_b32 s21, exec_lo
	v_cmpx_ne_u16_e32 0x80, v2
	s_cbranch_execz .LBB311_2226
; %bb.2221:                             ;   in Loop: Header=BB311_2079 Depth=1
	v_and_b32_e32 v23, 0xffff, v2
	v_mov_b32_e32 v5, 0x7c010000
	s_mov_b32 s22, exec_lo
	s_delay_alu instid0(VALU_DEP_2) | instskip(NEXT) | instid1(VALU_DEP_1)
	v_and_b32_e32 v31, 0x7f, v23
	v_cmpx_ne_u32_e32 0x7f, v31
	s_cbranch_execz .LBB311_2225
; %bb.2222:                             ;   in Loop: Header=BB311_2079 Depth=1
	v_and_b32_e32 v5, 7, v23
	v_lshrrev_b32_e32 v30, 3, v31
	s_mov_b32 s23, exec_lo
	v_cmpx_gt_u32_e32 8, v31
; %bb.2223:                             ;   in Loop: Header=BB311_2079 Depth=1
	s_delay_alu instid0(VALU_DEP_3) | instskip(NEXT) | instid1(VALU_DEP_1)
	v_clz_i32_u32_e32 v5, v5
	v_min_u32_e32 v5, 32, v5
	s_delay_alu instid0(VALU_DEP_1) | instskip(NEXT) | instid1(VALU_DEP_1)
	v_subrev_nc_u32_e32 v30, 28, v5
	v_lshlrev_b64_e32 v[31:32], v30, v[2:3]
	v_sub_nc_u32_e32 v30, 29, v5
	s_delay_alu instid0(VALU_DEP_2)
	v_and_b32_e32 v5, 7, v31
; %bb.2224:                             ;   in Loop: Header=BB311_2079 Depth=1
	s_wait_alu 0xfffe
	s_or_b32 exec_lo, exec_lo, s23
	v_lshlrev_b32_e32 v2, 8, v23
	v_lshl_add_u32 v23, v30, 10, 0x2000
	v_lshlrev_b32_e32 v5, 23, v5
	s_delay_alu instid0(VALU_DEP_2) | instskip(NEXT) | instid1(VALU_DEP_1)
	v_and_or_b32 v2, 0x8000, v2, v23
	v_lshl_or_b32 v5, v2, 16, v5
.LBB311_2225:                           ;   in Loop: Header=BB311_2079 Depth=1
	s_wait_alu 0xfffe
	s_or_b32 exec_lo, exec_lo, s22
.LBB311_2226:                           ;   in Loop: Header=BB311_2079 Depth=1
	s_wait_alu 0xfffe
	s_or_b32 exec_lo, exec_lo, s21
.LBB311_2227:                           ;   in Loop: Header=BB311_2079 Depth=1
	s_wait_alu 0xfffe
	s_or_b32 exec_lo, exec_lo, s20
	v_lshrrev_b32_e32 v2, 16, v12
	v_mov_b32_e32 v23, 0
	s_mov_b32 s20, exec_lo
	s_delay_alu instid0(VALU_DEP_2) | instskip(NEXT) | instid1(VALU_DEP_1)
	v_dual_mov_b32 v30, 0 :: v_dual_and_b32 v31, 0xff, v2
	v_cmpx_ne_u16_e32 0, v31
	s_cbranch_execz .LBB311_2235
; %bb.2228:                             ;   in Loop: Header=BB311_2079 Depth=1
	v_mov_b32_e32 v30, 0x8000
	s_mov_b32 s21, exec_lo
	v_cmpx_ne_u16_e32 0x80, v31
	s_cbranch_execz .LBB311_2234
; %bb.2229:                             ;   in Loop: Header=BB311_2079 Depth=1
	v_bfe_u32 v32, v12, 16, 7
	v_mov_b32_e32 v30, 0x7c01
	s_mov_b32 s22, exec_lo
	s_delay_alu instid0(VALU_DEP_2)
	v_cmpx_ne_u32_e32 0x7f, v32
	s_cbranch_execz .LBB311_2233
; %bb.2230:                             ;   in Loop: Header=BB311_2079 Depth=1
	v_and_b32_e32 v30, 7, v2
	v_lshrrev_b32_e32 v31, 3, v32
	s_mov_b32 s23, exec_lo
	v_cmpx_gt_u32_e32 8, v32
; %bb.2231:                             ;   in Loop: Header=BB311_2079 Depth=1
	s_delay_alu instid0(VALU_DEP_3) | instskip(NEXT) | instid1(VALU_DEP_1)
	v_clz_i32_u32_e32 v30, v30
	v_min_u32_e32 v32, 32, v30
	s_delay_alu instid0(VALU_DEP_1) | instskip(NEXT) | instid1(VALU_DEP_1)
	v_subrev_nc_u32_e32 v30, 28, v32
	v_lshlrev_b64_e32 v[30:31], v30, v[2:3]
	v_sub_nc_u32_e32 v31, 29, v32
	s_delay_alu instid0(VALU_DEP_2)
	v_and_b32_e32 v30, 7, v30
; %bb.2232:                             ;   in Loop: Header=BB311_2079 Depth=1
	s_wait_alu 0xfffe
	s_or_b32 exec_lo, exec_lo, s23
	v_lshlrev_b32_e32 v2, 8, v2
	v_lshl_add_u32 v31, v31, 10, 0x2000
	v_lshlrev_b32_e32 v30, 7, v30
	s_delay_alu instid0(VALU_DEP_3) | instskip(NEXT) | instid1(VALU_DEP_3)
	v_and_b32_e32 v2, 0x8000, v2
	v_and_b32_e32 v31, 0xfc00, v31
	s_delay_alu instid0(VALU_DEP_1)
	v_or3_b32 v30, v2, v31, v30
.LBB311_2233:                           ;   in Loop: Header=BB311_2079 Depth=1
	s_wait_alu 0xfffe
	s_or_b32 exec_lo, exec_lo, s22
.LBB311_2234:                           ;   in Loop: Header=BB311_2079 Depth=1
	s_wait_alu 0xfffe
	s_or_b32 exec_lo, exec_lo, s21
.LBB311_2235:                           ;   in Loop: Header=BB311_2079 Depth=1
	s_wait_alu 0xfffe
	s_or_b32 exec_lo, exec_lo, s20
	s_delay_alu instid0(SALU_CYCLE_1)
	s_mov_b32 s20, exec_lo
	v_cmpx_lt_u32_e32 0xffffff, v12
	s_cbranch_execz .LBB311_2243
; %bb.2236:                             ;   in Loop: Header=BB311_2079 Depth=1
	v_lshrrev_b32_e32 v2, 24, v12
	v_bfrev_b32_e32 v23, 1
	s_mov_b32 s21, exec_lo
	s_delay_alu instid0(VALU_DEP_2)
	v_cmpx_ne_u32_e32 0x80, v2
	s_cbranch_execz .LBB311_2242
; %bb.2237:                             ;   in Loop: Header=BB311_2079 Depth=1
	v_and_b32_e32 v32, 0x7f, v2
	v_mov_b32_e32 v23, 0x7c010000
	s_mov_b32 s22, exec_lo
	s_delay_alu instid0(VALU_DEP_2)
	v_cmpx_ne_u32_e32 0x7f, v32
	s_cbranch_execz .LBB311_2241
; %bb.2238:                             ;   in Loop: Header=BB311_2079 Depth=1
	v_and_b32_e32 v23, 7, v2
	v_lshrrev_b32_e32 v31, 3, v32
	s_mov_b32 s23, exec_lo
	v_cmpx_gt_u32_e32 8, v32
; %bb.2239:                             ;   in Loop: Header=BB311_2079 Depth=1
	s_delay_alu instid0(VALU_DEP_3) | instskip(NEXT) | instid1(VALU_DEP_1)
	v_clz_i32_u32_e32 v23, v23
	v_min_u32_e32 v23, 32, v23
	s_delay_alu instid0(VALU_DEP_1) | instskip(NEXT) | instid1(VALU_DEP_1)
	v_subrev_nc_u32_e32 v31, 28, v23
	v_lshlrev_b64_e32 v[32:33], v31, v[2:3]
	v_sub_nc_u32_e32 v31, 29, v23
	s_delay_alu instid0(VALU_DEP_2)
	v_and_b32_e32 v23, 7, v32
; %bb.2240:                             ;   in Loop: Header=BB311_2079 Depth=1
	s_wait_alu 0xfffe
	s_or_b32 exec_lo, exec_lo, s23
	v_lshlrev_b32_e32 v2, 8, v2
	v_lshl_add_u32 v31, v31, 10, 0x2000
	v_lshlrev_b32_e32 v23, 23, v23
	s_delay_alu instid0(VALU_DEP_2) | instskip(NEXT) | instid1(VALU_DEP_1)
	v_and_or_b32 v2, 0x8000, v2, v31
	v_lshl_or_b32 v23, v2, 16, v23
.LBB311_2241:                           ;   in Loop: Header=BB311_2079 Depth=1
	s_wait_alu 0xfffe
	s_or_b32 exec_lo, exec_lo, s22
.LBB311_2242:                           ;   in Loop: Header=BB311_2079 Depth=1
	s_wait_alu 0xfffe
	s_or_b32 exec_lo, exec_lo, s21
.LBB311_2243:                           ;   in Loop: Header=BB311_2079 Depth=1
	s_wait_alu 0xfffe
	s_or_b32 exec_lo, exec_lo, s20
	v_dual_mov_b32 v2, v13 :: v_dual_and_b32 v33, 0xff, v13
	v_dual_mov_b32 v31, 0 :: v_dual_mov_b32 v32, 0
	s_mov_b32 s20, exec_lo
	s_delay_alu instid0(VALU_DEP_2)
	v_cmpx_ne_u16_e32 0, v33
	s_cbranch_execz .LBB311_2251
; %bb.2244:                             ;   in Loop: Header=BB311_2079 Depth=1
	v_mov_b32_e32 v32, 0x8000
	s_mov_b32 s21, exec_lo
	v_cmpx_ne_u16_e32 0x80, v33
	s_cbranch_execz .LBB311_2250
; %bb.2245:                             ;   in Loop: Header=BB311_2079 Depth=1
	v_and_b32_e32 v34, 0x7f, v13
	v_mov_b32_e32 v32, 0x7c01
	s_mov_b32 s22, exec_lo
	s_delay_alu instid0(VALU_DEP_2)
	v_cmpx_ne_u32_e32 0x7f, v34
	s_cbranch_execz .LBB311_2249
; %bb.2246:                             ;   in Loop: Header=BB311_2079 Depth=1
	v_and_b32_e32 v32, 7, v13
	v_lshrrev_b32_e32 v33, 3, v34
	s_mov_b32 s23, exec_lo
	v_cmpx_gt_u32_e32 8, v34
; %bb.2247:                             ;   in Loop: Header=BB311_2079 Depth=1
	s_delay_alu instid0(VALU_DEP_3) | instskip(NEXT) | instid1(VALU_DEP_1)
	v_clz_i32_u32_e32 v32, v32
	v_min_u32_e32 v34, 32, v32
	s_delay_alu instid0(VALU_DEP_1) | instskip(NEXT) | instid1(VALU_DEP_1)
	v_subrev_nc_u32_e32 v32, 28, v34
	v_lshlrev_b64_e32 v[32:33], v32, v[2:3]
	v_sub_nc_u32_e32 v33, 29, v34
	s_delay_alu instid0(VALU_DEP_2)
	v_and_b32_e32 v32, 7, v32
; %bb.2248:                             ;   in Loop: Header=BB311_2079 Depth=1
	s_wait_alu 0xfffe
	s_or_b32 exec_lo, exec_lo, s23
	v_lshlrev_b32_e32 v34, 8, v13
	v_lshl_add_u32 v33, v33, 10, 0x2000
	v_lshlrev_b32_e32 v32, 7, v32
	s_delay_alu instid0(VALU_DEP_3) | instskip(NEXT) | instid1(VALU_DEP_3)
	v_and_b32_e32 v34, 0x8000, v34
	v_and_b32_e32 v33, 0xfc00, v33
	s_delay_alu instid0(VALU_DEP_1)
	v_or3_b32 v32, v34, v33, v32
.LBB311_2249:                           ;   in Loop: Header=BB311_2079 Depth=1
	s_wait_alu 0xfffe
	s_or_b32 exec_lo, exec_lo, s22
.LBB311_2250:                           ;   in Loop: Header=BB311_2079 Depth=1
	s_wait_alu 0xfffe
	s_or_b32 exec_lo, exec_lo, s21
.LBB311_2251:                           ;   in Loop: Header=BB311_2079 Depth=1
	s_wait_alu 0xfffe
	s_or_b32 exec_lo, exec_lo, s20
	v_lshrrev_b16 v2, 8, v2
	v_mov_b32_e32 v33, 0
	s_mov_b32 s20, exec_lo
	s_delay_alu instid0(VALU_DEP_2)
	v_cmpx_ne_u16_e32 0, v2
	s_cbranch_execz .LBB311_2259
; %bb.2252:                             ;   in Loop: Header=BB311_2079 Depth=1
	v_bfrev_b32_e32 v33, 1
	s_mov_b32 s21, exec_lo
	v_cmpx_ne_u16_e32 0x80, v2
	s_cbranch_execz .LBB311_2258
; %bb.2253:                             ;   in Loop: Header=BB311_2079 Depth=1
	v_and_b32_e32 v34, 0xffff, v2
	v_mov_b32_e32 v33, 0x7c010000
	s_mov_b32 s22, exec_lo
	s_delay_alu instid0(VALU_DEP_2) | instskip(NEXT) | instid1(VALU_DEP_1)
	v_and_b32_e32 v103, 0x7f, v34
	v_cmpx_ne_u32_e32 0x7f, v103
	s_cbranch_execz .LBB311_2257
; %bb.2254:                             ;   in Loop: Header=BB311_2079 Depth=1
	v_and_b32_e32 v33, 7, v34
	v_lshrrev_b32_e32 v102, 3, v103
	s_mov_b32 s23, exec_lo
	v_cmpx_gt_u32_e32 8, v103
; %bb.2255:                             ;   in Loop: Header=BB311_2079 Depth=1
	s_delay_alu instid0(VALU_DEP_3) | instskip(NEXT) | instid1(VALU_DEP_1)
	v_clz_i32_u32_e32 v33, v33
	v_min_u32_e32 v33, 32, v33
	s_delay_alu instid0(VALU_DEP_1) | instskip(NEXT) | instid1(VALU_DEP_1)
	v_subrev_nc_u32_e32 v102, 28, v33
	v_lshlrev_b64_e32 v[112:113], v102, v[2:3]
	v_sub_nc_u32_e32 v102, 29, v33
	s_delay_alu instid0(VALU_DEP_2)
	v_and_b32_e32 v33, 7, v112
; %bb.2256:                             ;   in Loop: Header=BB311_2079 Depth=1
	s_wait_alu 0xfffe
	s_or_b32 exec_lo, exec_lo, s23
	v_lshlrev_b32_e32 v2, 8, v34
	v_lshl_add_u32 v34, v102, 10, 0x2000
	v_lshlrev_b32_e32 v33, 23, v33
	s_delay_alu instid0(VALU_DEP_2) | instskip(NEXT) | instid1(VALU_DEP_1)
	v_and_or_b32 v2, 0x8000, v2, v34
	v_lshl_or_b32 v33, v2, 16, v33
.LBB311_2257:                           ;   in Loop: Header=BB311_2079 Depth=1
	s_wait_alu 0xfffe
	s_or_b32 exec_lo, exec_lo, s22
.LBB311_2258:                           ;   in Loop: Header=BB311_2079 Depth=1
	s_wait_alu 0xfffe
	s_or_b32 exec_lo, exec_lo, s21
.LBB311_2259:                           ;   in Loop: Header=BB311_2079 Depth=1
	s_wait_alu 0xfffe
	s_or_b32 exec_lo, exec_lo, s20
	v_lshrrev_b32_e32 v2, 16, v13
	s_mov_b32 s20, exec_lo
	s_delay_alu instid0(VALU_DEP_1) | instskip(NEXT) | instid1(VALU_DEP_1)
	v_and_b32_e32 v34, 0xff, v2
	v_cmpx_ne_u16_e32 0, v34
	s_cbranch_execz .LBB311_2267
; %bb.2260:                             ;   in Loop: Header=BB311_2079 Depth=1
	v_mov_b32_e32 v31, 0x8000
	s_mov_b32 s21, exec_lo
	v_cmpx_ne_u16_e32 0x80, v34
	s_cbranch_execz .LBB311_2266
; %bb.2261:                             ;   in Loop: Header=BB311_2079 Depth=1
	v_bfe_u32 v102, v13, 16, 7
	v_mov_b32_e32 v31, 0x7c01
	s_mov_b32 s22, exec_lo
	s_delay_alu instid0(VALU_DEP_2)
	v_cmpx_ne_u32_e32 0x7f, v102
	s_cbranch_execz .LBB311_2265
; %bb.2262:                             ;   in Loop: Header=BB311_2079 Depth=1
	v_and_b32_e32 v31, 7, v2
	v_lshrrev_b32_e32 v34, 3, v102
	s_mov_b32 s23, exec_lo
	v_cmpx_gt_u32_e32 8, v102
; %bb.2263:                             ;   in Loop: Header=BB311_2079 Depth=1
	s_delay_alu instid0(VALU_DEP_3) | instskip(NEXT) | instid1(VALU_DEP_1)
	v_clz_i32_u32_e32 v31, v31
	v_min_u32_e32 v31, 32, v31
	s_delay_alu instid0(VALU_DEP_1) | instskip(NEXT) | instid1(VALU_DEP_1)
	v_subrev_nc_u32_e32 v34, 28, v31
	v_lshlrev_b64_e32 v[102:103], v34, v[2:3]
	v_sub_nc_u32_e32 v34, 29, v31
	s_delay_alu instid0(VALU_DEP_2)
	v_and_b32_e32 v31, 7, v102
; %bb.2264:                             ;   in Loop: Header=BB311_2079 Depth=1
	s_wait_alu 0xfffe
	s_or_b32 exec_lo, exec_lo, s23
	v_lshlrev_b32_e32 v2, 8, v2
	v_lshl_add_u32 v34, v34, 10, 0x2000
	v_lshlrev_b32_e32 v31, 7, v31
	s_delay_alu instid0(VALU_DEP_3) | instskip(NEXT) | instid1(VALU_DEP_3)
	v_and_b32_e32 v2, 0x8000, v2
	v_and_b32_e32 v34, 0xfc00, v34
	s_delay_alu instid0(VALU_DEP_1)
	v_or3_b32 v31, v2, v34, v31
.LBB311_2265:                           ;   in Loop: Header=BB311_2079 Depth=1
	s_wait_alu 0xfffe
	s_or_b32 exec_lo, exec_lo, s22
.LBB311_2266:                           ;   in Loop: Header=BB311_2079 Depth=1
	s_wait_alu 0xfffe
	s_or_b32 exec_lo, exec_lo, s21
.LBB311_2267:                           ;   in Loop: Header=BB311_2079 Depth=1
	s_wait_alu 0xfffe
	s_or_b32 exec_lo, exec_lo, s20
	v_cmp_lt_u64_e64 s8, s[16:17], v[12:13]
	v_mov_b32_e32 v12, 0
	s_and_saveexec_b32 s20, s8
	s_cbranch_execz .LBB311_2275
; %bb.2268:                             ;   in Loop: Header=BB311_2079 Depth=1
	v_lshrrev_b32_e32 v2, 24, v13
	v_bfrev_b32_e32 v12, 1
	s_mov_b32 s21, exec_lo
	s_delay_alu instid0(VALU_DEP_2)
	v_cmpx_ne_u32_e32 0x80, v2
	s_cbranch_execz .LBB311_2274
; %bb.2269:                             ;   in Loop: Header=BB311_2079 Depth=1
	v_and_b32_e32 v34, 0x7f, v2
	v_mov_b32_e32 v12, 0x7c010000
	s_mov_b32 s22, exec_lo
	s_delay_alu instid0(VALU_DEP_2)
	v_cmpx_ne_u32_e32 0x7f, v34
	s_cbranch_execz .LBB311_2273
; %bb.2270:                             ;   in Loop: Header=BB311_2079 Depth=1
	v_and_b32_e32 v12, 7, v2
	v_lshrrev_b32_e32 v13, 3, v34
	s_mov_b32 s23, exec_lo
	v_cmpx_gt_u32_e32 8, v34
; %bb.2271:                             ;   in Loop: Header=BB311_2079 Depth=1
	s_delay_alu instid0(VALU_DEP_3) | instskip(NEXT) | instid1(VALU_DEP_1)
	v_clz_i32_u32_e32 v12, v12
	v_min_u32_e32 v34, 32, v12
	s_delay_alu instid0(VALU_DEP_1) | instskip(NEXT) | instid1(VALU_DEP_1)
	v_subrev_nc_u32_e32 v12, 28, v34
	v_lshlrev_b64_e32 v[12:13], v12, v[2:3]
	v_sub_nc_u32_e32 v13, 29, v34
	s_delay_alu instid0(VALU_DEP_2)
	v_and_b32_e32 v12, 7, v12
; %bb.2272:                             ;   in Loop: Header=BB311_2079 Depth=1
	s_wait_alu 0xfffe
	s_or_b32 exec_lo, exec_lo, s23
	v_lshlrev_b32_e32 v2, 8, v2
	v_lshl_add_u32 v13, v13, 10, 0x2000
	v_lshlrev_b32_e32 v12, 23, v12
	s_delay_alu instid0(VALU_DEP_2) | instskip(NEXT) | instid1(VALU_DEP_1)
	v_and_or_b32 v2, 0x8000, v2, v13
	v_lshl_or_b32 v12, v2, 16, v12
.LBB311_2273:                           ;   in Loop: Header=BB311_2079 Depth=1
	s_wait_alu 0xfffe
	s_or_b32 exec_lo, exec_lo, s22
.LBB311_2274:                           ;   in Loop: Header=BB311_2079 Depth=1
	s_wait_alu 0xfffe
	s_or_b32 exec_lo, exec_lo, s21
.LBB311_2275:                           ;   in Loop: Header=BB311_2079 Depth=1
	s_wait_alu 0xfffe
	s_or_b32 exec_lo, exec_lo, s20
	v_or_b32_e32 v2, v23, v30
	s_wait_loadcnt_dscnt 0x0
	v_fma_mixlo_f16 v13, v4, v23, 0 op_sel:[0,1,0] op_sel_hi:[0,1,0]
	v_or_b32_e32 v22, v5, v22
	v_fma_mixlo_f16 v5, v4, v5, 0 op_sel:[0,1,0] op_sel_hi:[0,1,0]
	v_or_b32_e32 v23, v33, v32
	v_fma_mixlo_f16 v30, v4, v2, 0 op_sel_hi:[0,1,0]
	v_or_b32_e32 v31, v12, v31
	v_lshlrev_b32_e32 v2, 16, v13
	v_lshlrev_b32_e32 v13, 16, v5
	v_fma_mixlo_f16 v22, v4, v22, 0 op_sel_hi:[0,1,0]
	v_and_b32_e32 v5, 0xffff, v30
	v_fma_mixlo_f16 v30, v4, v33, 0 op_sel:[0,1,0] op_sel_hi:[0,1,0]
	v_fma_mixlo_f16 v23, v4, v23, 0 op_sel_hi:[0,1,0]
	v_fma_mixlo_f16 v12, v4, v12, 0 op_sel:[0,1,0] op_sel_hi:[0,1,0]
	v_fma_mixlo_f16 v4, v4, v31, 0 op_sel_hi:[0,1,0]
	v_and_b32_e32 v34, 0xffff, v22
	v_lshlrev_b32_e32 v31, 16, v30
	v_and_b32_e32 v33, 0xffff, v23
	v_lshlrev_b32_e32 v30, 16, v12
	v_and_b32_e32 v32, 0xffff, v4
	v_or_b32_e32 v4, v2, v5
	v_or_b32_e32 v23, v13, v34
	v_or_b32_e32 v22, v31, v33
	s_delay_alu instid0(VALU_DEP_4)
	v_or_b32_e32 v12, v30, v32
	s_and_saveexec_b32 s8, s2
	s_cbranch_execz .LBB311_2277
; %bb.2276:                             ;   in Loop: Header=BB311_2079 Depth=1
	s_wait_alu 0xfffd
	v_cndmask_b32_e32 v4, 0, v34, vcc_lo
	v_cndmask_b32_e64 v12, 0, v13, s1
	v_cndmask_b32_e64 v5, 0, v5, s0
	;; [unrolled: 1-line block ×7, first 2 shown]
	v_or_b32_e32 v23, v4, v12
	v_or_b32_e32 v4, v5, v2
	;; [unrolled: 1-line block ×3, first 2 shown]
	s_delay_alu instid0(VALU_DEP_4)
	v_or_b32_e32 v12, v31, v30
.LBB311_2277:                           ;   in Loop: Header=BB311_2079 Depth=1
	s_wait_alu 0xfffe
	s_or_b32 exec_lo, exec_lo, s8
	;;#ASMSTART
	v_pk_mul_f16 v2, v98, v23;

	;;#ASMEND
	;;#ASMSTART
	v_pk_mul_f16 v4, v96, v4;

	;;#ASMEND
	;;#ASMSTART
	v_pk_mul_f16 v5, v87, v22;

	;;#ASMEND
	;;#ASMSTART
	v_pk_mul_f16 v12, v35, v12;

	;;#ASMEND
	;;#ASMSTART
	v_pk_add_f16 v2, v2, v4;

	;;#ASMEND
	;;#ASMSTART
	v_pk_add_f16 v2, v2, v5;

	;;#ASMEND
	;; [unrolled: 4-line block ×3, first 2 shown]
	v_dual_mov_b32 v5, 0 :: v_dual_and_b32 v4, 0xffff, v2
	v_lshrrev_b32_e32 v2, 16, v2
	;;#ASMSTART
	v_cvt_f32_f16 v102, v4;
	;;#ASMEND
	;;#ASMSTART
	v_cvt_f32_f16 v103, v2;
	;;#ASMEND
	flat_load_b64 v[12:13], v[10:11] offset:768
	flat_load_b32 v4, v[26:27]
	v_mov_b32_e32 v22, 0
	s_mov_b32 s20, exec_lo
	s_wait_loadcnt_dscnt 0x101
	v_and_b32_e32 v2, 0xff, v12
	s_delay_alu instid0(VALU_DEP_1)
	v_cmpx_ne_u16_e32 0, v2
	s_cbranch_execz .LBB311_2285
; %bb.2278:                             ;   in Loop: Header=BB311_2079 Depth=1
	v_mov_b32_e32 v22, 0x8000
	s_mov_b32 s21, exec_lo
	v_cmpx_ne_u16_e32 0x80, v2
	s_cbranch_execz .LBB311_2284
; %bb.2279:                             ;   in Loop: Header=BB311_2079 Depth=1
	v_and_b32_e32 v23, 0x7f, v12
	v_mov_b32_e32 v22, 0x7c01
	s_mov_b32 s22, exec_lo
	s_delay_alu instid0(VALU_DEP_2)
	v_cmpx_ne_u32_e32 0x7f, v23
	s_cbranch_execz .LBB311_2283
; %bb.2280:                             ;   in Loop: Header=BB311_2079 Depth=1
	v_and_b32_e32 v2, 7, v12
	v_lshrrev_b32_e32 v22, 3, v23
	s_mov_b32 s23, exec_lo
	v_cmpx_gt_u32_e32 8, v23
; %bb.2281:                             ;   in Loop: Header=BB311_2079 Depth=1
	s_delay_alu instid0(VALU_DEP_3) | instskip(NEXT) | instid1(VALU_DEP_1)
	v_clz_i32_u32_e32 v2, v2
	v_min_u32_e32 v2, 32, v2
	s_delay_alu instid0(VALU_DEP_1) | instskip(NEXT) | instid1(VALU_DEP_1)
	v_subrev_nc_u32_e32 v22, 28, v2
	v_lshlrev_b64_e32 v[30:31], v22, v[12:13]
	v_sub_nc_u32_e32 v22, 29, v2
	s_delay_alu instid0(VALU_DEP_2)
	v_and_b32_e32 v2, 7, v30
; %bb.2282:                             ;   in Loop: Header=BB311_2079 Depth=1
	s_wait_alu 0xfffe
	s_or_b32 exec_lo, exec_lo, s23
	v_lshlrev_b32_e32 v23, 8, v12
	v_lshl_add_u32 v22, v22, 10, 0x2000
	v_lshlrev_b32_e32 v2, 7, v2
	s_delay_alu instid0(VALU_DEP_3) | instskip(NEXT) | instid1(VALU_DEP_3)
	v_and_b32_e32 v23, 0x8000, v23
	v_and_b32_e32 v22, 0xfc00, v22
	s_delay_alu instid0(VALU_DEP_1)
	v_or3_b32 v22, v23, v22, v2
.LBB311_2283:                           ;   in Loop: Header=BB311_2079 Depth=1
	s_wait_alu 0xfffe
	s_or_b32 exec_lo, exec_lo, s22
.LBB311_2284:                           ;   in Loop: Header=BB311_2079 Depth=1
	s_wait_alu 0xfffe
	s_or_b32 exec_lo, exec_lo, s21
.LBB311_2285:                           ;   in Loop: Header=BB311_2079 Depth=1
	s_wait_alu 0xfffe
	s_or_b32 exec_lo, exec_lo, s20
	v_lshrrev_b16 v2, 8, v12
	s_mov_b32 s20, exec_lo
	s_delay_alu instid0(VALU_DEP_1)
	v_cmpx_ne_u16_e32 0, v2
	s_cbranch_execz .LBB311_2293
; %bb.2286:                             ;   in Loop: Header=BB311_2079 Depth=1
	v_bfrev_b32_e32 v5, 1
	s_mov_b32 s21, exec_lo
	v_cmpx_ne_u16_e32 0x80, v2
	s_cbranch_execz .LBB311_2292
; %bb.2287:                             ;   in Loop: Header=BB311_2079 Depth=1
	v_and_b32_e32 v23, 0xffff, v2
	v_mov_b32_e32 v5, 0x7c010000
	s_mov_b32 s22, exec_lo
	s_delay_alu instid0(VALU_DEP_2) | instskip(NEXT) | instid1(VALU_DEP_1)
	v_and_b32_e32 v31, 0x7f, v23
	v_cmpx_ne_u32_e32 0x7f, v31
	s_cbranch_execz .LBB311_2291
; %bb.2288:                             ;   in Loop: Header=BB311_2079 Depth=1
	v_and_b32_e32 v5, 7, v23
	v_lshrrev_b32_e32 v30, 3, v31
	s_mov_b32 s23, exec_lo
	v_cmpx_gt_u32_e32 8, v31
; %bb.2289:                             ;   in Loop: Header=BB311_2079 Depth=1
	s_delay_alu instid0(VALU_DEP_3) | instskip(NEXT) | instid1(VALU_DEP_1)
	v_clz_i32_u32_e32 v5, v5
	v_min_u32_e32 v5, 32, v5
	s_delay_alu instid0(VALU_DEP_1) | instskip(NEXT) | instid1(VALU_DEP_1)
	v_subrev_nc_u32_e32 v30, 28, v5
	v_lshlrev_b64_e32 v[31:32], v30, v[2:3]
	v_sub_nc_u32_e32 v30, 29, v5
	s_delay_alu instid0(VALU_DEP_2)
	v_and_b32_e32 v5, 7, v31
; %bb.2290:                             ;   in Loop: Header=BB311_2079 Depth=1
	s_wait_alu 0xfffe
	s_or_b32 exec_lo, exec_lo, s23
	v_lshlrev_b32_e32 v2, 8, v23
	v_lshl_add_u32 v23, v30, 10, 0x2000
	v_lshlrev_b32_e32 v5, 23, v5
	s_delay_alu instid0(VALU_DEP_2) | instskip(NEXT) | instid1(VALU_DEP_1)
	v_and_or_b32 v2, 0x8000, v2, v23
	v_lshl_or_b32 v5, v2, 16, v5
.LBB311_2291:                           ;   in Loop: Header=BB311_2079 Depth=1
	s_wait_alu 0xfffe
	s_or_b32 exec_lo, exec_lo, s22
.LBB311_2292:                           ;   in Loop: Header=BB311_2079 Depth=1
	s_wait_alu 0xfffe
	s_or_b32 exec_lo, exec_lo, s21
.LBB311_2293:                           ;   in Loop: Header=BB311_2079 Depth=1
	s_wait_alu 0xfffe
	s_or_b32 exec_lo, exec_lo, s20
	v_lshrrev_b32_e32 v2, 16, v12
	v_mov_b32_e32 v23, 0
	s_mov_b32 s20, exec_lo
	s_delay_alu instid0(VALU_DEP_2) | instskip(NEXT) | instid1(VALU_DEP_1)
	v_dual_mov_b32 v30, 0 :: v_dual_and_b32 v31, 0xff, v2
	v_cmpx_ne_u16_e32 0, v31
	s_cbranch_execz .LBB311_2301
; %bb.2294:                             ;   in Loop: Header=BB311_2079 Depth=1
	v_mov_b32_e32 v30, 0x8000
	s_mov_b32 s21, exec_lo
	v_cmpx_ne_u16_e32 0x80, v31
	s_cbranch_execz .LBB311_2300
; %bb.2295:                             ;   in Loop: Header=BB311_2079 Depth=1
	v_bfe_u32 v32, v12, 16, 7
	v_mov_b32_e32 v30, 0x7c01
	s_mov_b32 s22, exec_lo
	s_delay_alu instid0(VALU_DEP_2)
	v_cmpx_ne_u32_e32 0x7f, v32
	s_cbranch_execz .LBB311_2299
; %bb.2296:                             ;   in Loop: Header=BB311_2079 Depth=1
	v_and_b32_e32 v30, 7, v2
	v_lshrrev_b32_e32 v31, 3, v32
	s_mov_b32 s23, exec_lo
	v_cmpx_gt_u32_e32 8, v32
; %bb.2297:                             ;   in Loop: Header=BB311_2079 Depth=1
	s_delay_alu instid0(VALU_DEP_3) | instskip(NEXT) | instid1(VALU_DEP_1)
	v_clz_i32_u32_e32 v30, v30
	v_min_u32_e32 v32, 32, v30
	s_delay_alu instid0(VALU_DEP_1) | instskip(NEXT) | instid1(VALU_DEP_1)
	v_subrev_nc_u32_e32 v30, 28, v32
	v_lshlrev_b64_e32 v[30:31], v30, v[2:3]
	v_sub_nc_u32_e32 v31, 29, v32
	s_delay_alu instid0(VALU_DEP_2)
	v_and_b32_e32 v30, 7, v30
; %bb.2298:                             ;   in Loop: Header=BB311_2079 Depth=1
	s_wait_alu 0xfffe
	s_or_b32 exec_lo, exec_lo, s23
	v_lshlrev_b32_e32 v2, 8, v2
	v_lshl_add_u32 v31, v31, 10, 0x2000
	v_lshlrev_b32_e32 v30, 7, v30
	s_delay_alu instid0(VALU_DEP_3) | instskip(NEXT) | instid1(VALU_DEP_3)
	v_and_b32_e32 v2, 0x8000, v2
	v_and_b32_e32 v31, 0xfc00, v31
	s_delay_alu instid0(VALU_DEP_1)
	v_or3_b32 v30, v2, v31, v30
.LBB311_2299:                           ;   in Loop: Header=BB311_2079 Depth=1
	s_wait_alu 0xfffe
	s_or_b32 exec_lo, exec_lo, s22
.LBB311_2300:                           ;   in Loop: Header=BB311_2079 Depth=1
	s_wait_alu 0xfffe
	s_or_b32 exec_lo, exec_lo, s21
.LBB311_2301:                           ;   in Loop: Header=BB311_2079 Depth=1
	s_wait_alu 0xfffe
	s_or_b32 exec_lo, exec_lo, s20
	s_delay_alu instid0(SALU_CYCLE_1)
	s_mov_b32 s20, exec_lo
	v_cmpx_lt_u32_e32 0xffffff, v12
	s_cbranch_execz .LBB311_2309
; %bb.2302:                             ;   in Loop: Header=BB311_2079 Depth=1
	v_lshrrev_b32_e32 v2, 24, v12
	v_bfrev_b32_e32 v23, 1
	s_mov_b32 s21, exec_lo
	s_delay_alu instid0(VALU_DEP_2)
	v_cmpx_ne_u32_e32 0x80, v2
	s_cbranch_execz .LBB311_2308
; %bb.2303:                             ;   in Loop: Header=BB311_2079 Depth=1
	v_and_b32_e32 v32, 0x7f, v2
	v_mov_b32_e32 v23, 0x7c010000
	s_mov_b32 s22, exec_lo
	s_delay_alu instid0(VALU_DEP_2)
	v_cmpx_ne_u32_e32 0x7f, v32
	s_cbranch_execz .LBB311_2307
; %bb.2304:                             ;   in Loop: Header=BB311_2079 Depth=1
	v_and_b32_e32 v23, 7, v2
	v_lshrrev_b32_e32 v31, 3, v32
	s_mov_b32 s23, exec_lo
	v_cmpx_gt_u32_e32 8, v32
; %bb.2305:                             ;   in Loop: Header=BB311_2079 Depth=1
	s_delay_alu instid0(VALU_DEP_3) | instskip(NEXT) | instid1(VALU_DEP_1)
	v_clz_i32_u32_e32 v23, v23
	v_min_u32_e32 v23, 32, v23
	s_delay_alu instid0(VALU_DEP_1) | instskip(NEXT) | instid1(VALU_DEP_1)
	v_subrev_nc_u32_e32 v31, 28, v23
	v_lshlrev_b64_e32 v[32:33], v31, v[2:3]
	v_sub_nc_u32_e32 v31, 29, v23
	s_delay_alu instid0(VALU_DEP_2)
	v_and_b32_e32 v23, 7, v32
; %bb.2306:                             ;   in Loop: Header=BB311_2079 Depth=1
	s_wait_alu 0xfffe
	s_or_b32 exec_lo, exec_lo, s23
	v_lshlrev_b32_e32 v2, 8, v2
	v_lshl_add_u32 v31, v31, 10, 0x2000
	v_lshlrev_b32_e32 v23, 23, v23
	s_delay_alu instid0(VALU_DEP_2) | instskip(NEXT) | instid1(VALU_DEP_1)
	v_and_or_b32 v2, 0x8000, v2, v31
	v_lshl_or_b32 v23, v2, 16, v23
.LBB311_2307:                           ;   in Loop: Header=BB311_2079 Depth=1
	s_wait_alu 0xfffe
	s_or_b32 exec_lo, exec_lo, s22
.LBB311_2308:                           ;   in Loop: Header=BB311_2079 Depth=1
	s_wait_alu 0xfffe
	s_or_b32 exec_lo, exec_lo, s21
.LBB311_2309:                           ;   in Loop: Header=BB311_2079 Depth=1
	s_wait_alu 0xfffe
	s_or_b32 exec_lo, exec_lo, s20
	v_dual_mov_b32 v2, v13 :: v_dual_and_b32 v33, 0xff, v13
	v_dual_mov_b32 v31, 0 :: v_dual_mov_b32 v32, 0
	s_mov_b32 s20, exec_lo
	s_delay_alu instid0(VALU_DEP_2)
	v_cmpx_ne_u16_e32 0, v33
	s_cbranch_execz .LBB311_2317
; %bb.2310:                             ;   in Loop: Header=BB311_2079 Depth=1
	v_mov_b32_e32 v32, 0x8000
	s_mov_b32 s21, exec_lo
	v_cmpx_ne_u16_e32 0x80, v33
	s_cbranch_execz .LBB311_2316
; %bb.2311:                             ;   in Loop: Header=BB311_2079 Depth=1
	v_and_b32_e32 v34, 0x7f, v13
	v_mov_b32_e32 v32, 0x7c01
	s_mov_b32 s22, exec_lo
	s_delay_alu instid0(VALU_DEP_2)
	v_cmpx_ne_u32_e32 0x7f, v34
	s_cbranch_execz .LBB311_2315
; %bb.2312:                             ;   in Loop: Header=BB311_2079 Depth=1
	v_and_b32_e32 v32, 7, v13
	v_lshrrev_b32_e32 v33, 3, v34
	s_mov_b32 s23, exec_lo
	v_cmpx_gt_u32_e32 8, v34
; %bb.2313:                             ;   in Loop: Header=BB311_2079 Depth=1
	s_delay_alu instid0(VALU_DEP_3) | instskip(NEXT) | instid1(VALU_DEP_1)
	v_clz_i32_u32_e32 v32, v32
	v_min_u32_e32 v34, 32, v32
	s_delay_alu instid0(VALU_DEP_1) | instskip(NEXT) | instid1(VALU_DEP_1)
	v_subrev_nc_u32_e32 v32, 28, v34
	v_lshlrev_b64_e32 v[32:33], v32, v[2:3]
	v_sub_nc_u32_e32 v33, 29, v34
	s_delay_alu instid0(VALU_DEP_2)
	v_and_b32_e32 v32, 7, v32
; %bb.2314:                             ;   in Loop: Header=BB311_2079 Depth=1
	s_wait_alu 0xfffe
	s_or_b32 exec_lo, exec_lo, s23
	v_lshlrev_b32_e32 v34, 8, v13
	v_lshl_add_u32 v33, v33, 10, 0x2000
	v_lshlrev_b32_e32 v32, 7, v32
	s_delay_alu instid0(VALU_DEP_3) | instskip(NEXT) | instid1(VALU_DEP_3)
	v_and_b32_e32 v34, 0x8000, v34
	v_and_b32_e32 v33, 0xfc00, v33
	s_delay_alu instid0(VALU_DEP_1)
	v_or3_b32 v32, v34, v33, v32
.LBB311_2315:                           ;   in Loop: Header=BB311_2079 Depth=1
	s_wait_alu 0xfffe
	s_or_b32 exec_lo, exec_lo, s22
.LBB311_2316:                           ;   in Loop: Header=BB311_2079 Depth=1
	s_wait_alu 0xfffe
	s_or_b32 exec_lo, exec_lo, s21
.LBB311_2317:                           ;   in Loop: Header=BB311_2079 Depth=1
	s_wait_alu 0xfffe
	s_or_b32 exec_lo, exec_lo, s20
	v_lshrrev_b16 v2, 8, v2
	v_mov_b32_e32 v33, 0
	s_mov_b32 s20, exec_lo
	s_delay_alu instid0(VALU_DEP_2)
	v_cmpx_ne_u16_e32 0, v2
	s_cbranch_execz .LBB311_2325
; %bb.2318:                             ;   in Loop: Header=BB311_2079 Depth=1
	v_bfrev_b32_e32 v33, 1
	s_mov_b32 s21, exec_lo
	v_cmpx_ne_u16_e32 0x80, v2
	s_cbranch_execz .LBB311_2324
; %bb.2319:                             ;   in Loop: Header=BB311_2079 Depth=1
	v_and_b32_e32 v34, 0xffff, v2
	v_mov_b32_e32 v33, 0x7c010000
	s_mov_b32 s22, exec_lo
	s_delay_alu instid0(VALU_DEP_2) | instskip(NEXT) | instid1(VALU_DEP_1)
	v_and_b32_e32 v113, 0x7f, v34
	v_cmpx_ne_u32_e32 0x7f, v113
	s_cbranch_execz .LBB311_2323
; %bb.2320:                             ;   in Loop: Header=BB311_2079 Depth=1
	v_and_b32_e32 v33, 7, v34
	v_lshrrev_b32_e32 v112, 3, v113
	s_mov_b32 s23, exec_lo
	v_cmpx_gt_u32_e32 8, v113
; %bb.2321:                             ;   in Loop: Header=BB311_2079 Depth=1
	s_delay_alu instid0(VALU_DEP_3) | instskip(NEXT) | instid1(VALU_DEP_1)
	v_clz_i32_u32_e32 v33, v33
	v_min_u32_e32 v33, 32, v33
	s_delay_alu instid0(VALU_DEP_1) | instskip(NEXT) | instid1(VALU_DEP_1)
	v_subrev_nc_u32_e32 v112, 28, v33
	v_lshlrev_b64_e32 v[113:114], v112, v[2:3]
	v_sub_nc_u32_e32 v112, 29, v33
	s_delay_alu instid0(VALU_DEP_2)
	v_and_b32_e32 v33, 7, v113
; %bb.2322:                             ;   in Loop: Header=BB311_2079 Depth=1
	s_wait_alu 0xfffe
	s_or_b32 exec_lo, exec_lo, s23
	v_lshlrev_b32_e32 v2, 8, v34
	v_lshl_add_u32 v34, v112, 10, 0x2000
	v_lshlrev_b32_e32 v33, 23, v33
	s_delay_alu instid0(VALU_DEP_2) | instskip(NEXT) | instid1(VALU_DEP_1)
	v_and_or_b32 v2, 0x8000, v2, v34
	v_lshl_or_b32 v33, v2, 16, v33
.LBB311_2323:                           ;   in Loop: Header=BB311_2079 Depth=1
	s_wait_alu 0xfffe
	s_or_b32 exec_lo, exec_lo, s22
.LBB311_2324:                           ;   in Loop: Header=BB311_2079 Depth=1
	s_wait_alu 0xfffe
	s_or_b32 exec_lo, exec_lo, s21
.LBB311_2325:                           ;   in Loop: Header=BB311_2079 Depth=1
	s_wait_alu 0xfffe
	s_or_b32 exec_lo, exec_lo, s20
	v_lshrrev_b32_e32 v2, 16, v13
	s_mov_b32 s20, exec_lo
	s_delay_alu instid0(VALU_DEP_1) | instskip(NEXT) | instid1(VALU_DEP_1)
	v_and_b32_e32 v34, 0xff, v2
	v_cmpx_ne_u16_e32 0, v34
	s_cbranch_execz .LBB311_2333
; %bb.2326:                             ;   in Loop: Header=BB311_2079 Depth=1
	v_mov_b32_e32 v31, 0x8000
	s_mov_b32 s21, exec_lo
	v_cmpx_ne_u16_e32 0x80, v34
	s_cbranch_execz .LBB311_2332
; %bb.2327:                             ;   in Loop: Header=BB311_2079 Depth=1
	v_bfe_u32 v112, v13, 16, 7
	v_mov_b32_e32 v31, 0x7c01
	s_mov_b32 s22, exec_lo
	s_delay_alu instid0(VALU_DEP_2)
	v_cmpx_ne_u32_e32 0x7f, v112
	s_cbranch_execz .LBB311_2331
; %bb.2328:                             ;   in Loop: Header=BB311_2079 Depth=1
	v_and_b32_e32 v31, 7, v2
	v_lshrrev_b32_e32 v34, 3, v112
	s_mov_b32 s23, exec_lo
	v_cmpx_gt_u32_e32 8, v112
; %bb.2329:                             ;   in Loop: Header=BB311_2079 Depth=1
	s_delay_alu instid0(VALU_DEP_3) | instskip(NEXT) | instid1(VALU_DEP_1)
	v_clz_i32_u32_e32 v31, v31
	v_min_u32_e32 v31, 32, v31
	s_delay_alu instid0(VALU_DEP_1) | instskip(NEXT) | instid1(VALU_DEP_1)
	v_subrev_nc_u32_e32 v34, 28, v31
	v_lshlrev_b64_e32 v[112:113], v34, v[2:3]
	v_sub_nc_u32_e32 v34, 29, v31
	s_delay_alu instid0(VALU_DEP_2)
	v_and_b32_e32 v31, 7, v112
; %bb.2330:                             ;   in Loop: Header=BB311_2079 Depth=1
	s_wait_alu 0xfffe
	s_or_b32 exec_lo, exec_lo, s23
	v_lshlrev_b32_e32 v2, 8, v2
	v_lshl_add_u32 v34, v34, 10, 0x2000
	v_lshlrev_b32_e32 v31, 7, v31
	s_delay_alu instid0(VALU_DEP_3) | instskip(NEXT) | instid1(VALU_DEP_3)
	v_and_b32_e32 v2, 0x8000, v2
	v_and_b32_e32 v34, 0xfc00, v34
	s_delay_alu instid0(VALU_DEP_1)
	v_or3_b32 v31, v2, v34, v31
.LBB311_2331:                           ;   in Loop: Header=BB311_2079 Depth=1
	s_wait_alu 0xfffe
	s_or_b32 exec_lo, exec_lo, s22
.LBB311_2332:                           ;   in Loop: Header=BB311_2079 Depth=1
	s_wait_alu 0xfffe
	s_or_b32 exec_lo, exec_lo, s21
.LBB311_2333:                           ;   in Loop: Header=BB311_2079 Depth=1
	s_wait_alu 0xfffe
	s_or_b32 exec_lo, exec_lo, s20
	v_cmp_lt_u64_e64 s8, s[16:17], v[12:13]
	v_mov_b32_e32 v12, 0
	s_and_saveexec_b32 s20, s8
	s_cbranch_execz .LBB311_2341
; %bb.2334:                             ;   in Loop: Header=BB311_2079 Depth=1
	v_lshrrev_b32_e32 v2, 24, v13
	v_bfrev_b32_e32 v12, 1
	s_mov_b32 s21, exec_lo
	s_delay_alu instid0(VALU_DEP_2)
	v_cmpx_ne_u32_e32 0x80, v2
	s_cbranch_execz .LBB311_2340
; %bb.2335:                             ;   in Loop: Header=BB311_2079 Depth=1
	v_and_b32_e32 v34, 0x7f, v2
	v_mov_b32_e32 v12, 0x7c010000
	s_mov_b32 s22, exec_lo
	s_delay_alu instid0(VALU_DEP_2)
	v_cmpx_ne_u32_e32 0x7f, v34
	s_cbranch_execz .LBB311_2339
; %bb.2336:                             ;   in Loop: Header=BB311_2079 Depth=1
	v_and_b32_e32 v12, 7, v2
	v_lshrrev_b32_e32 v13, 3, v34
	s_mov_b32 s23, exec_lo
	v_cmpx_gt_u32_e32 8, v34
; %bb.2337:                             ;   in Loop: Header=BB311_2079 Depth=1
	s_delay_alu instid0(VALU_DEP_3) | instskip(NEXT) | instid1(VALU_DEP_1)
	v_clz_i32_u32_e32 v12, v12
	v_min_u32_e32 v34, 32, v12
	s_delay_alu instid0(VALU_DEP_1) | instskip(NEXT) | instid1(VALU_DEP_1)
	v_subrev_nc_u32_e32 v12, 28, v34
	v_lshlrev_b64_e32 v[12:13], v12, v[2:3]
	v_sub_nc_u32_e32 v13, 29, v34
	s_delay_alu instid0(VALU_DEP_2)
	v_and_b32_e32 v12, 7, v12
; %bb.2338:                             ;   in Loop: Header=BB311_2079 Depth=1
	s_wait_alu 0xfffe
	s_or_b32 exec_lo, exec_lo, s23
	v_lshlrev_b32_e32 v2, 8, v2
	v_lshl_add_u32 v13, v13, 10, 0x2000
	v_lshlrev_b32_e32 v12, 23, v12
	s_delay_alu instid0(VALU_DEP_2) | instskip(NEXT) | instid1(VALU_DEP_1)
	v_and_or_b32 v2, 0x8000, v2, v13
	v_lshl_or_b32 v12, v2, 16, v12
.LBB311_2339:                           ;   in Loop: Header=BB311_2079 Depth=1
	s_wait_alu 0xfffe
	s_or_b32 exec_lo, exec_lo, s22
.LBB311_2340:                           ;   in Loop: Header=BB311_2079 Depth=1
	s_wait_alu 0xfffe
	s_or_b32 exec_lo, exec_lo, s21
.LBB311_2341:                           ;   in Loop: Header=BB311_2079 Depth=1
	s_wait_alu 0xfffe
	s_or_b32 exec_lo, exec_lo, s20
	v_or_b32_e32 v2, v23, v30
	s_wait_loadcnt_dscnt 0x0
	v_fma_mixlo_f16 v13, v4, v23, 0 op_sel:[0,1,0] op_sel_hi:[0,1,0]
	v_or_b32_e32 v22, v5, v22
	v_fma_mixlo_f16 v5, v4, v5, 0 op_sel:[0,1,0] op_sel_hi:[0,1,0]
	v_or_b32_e32 v23, v33, v32
	v_fma_mixlo_f16 v30, v4, v2, 0 op_sel_hi:[0,1,0]
	v_or_b32_e32 v31, v12, v31
	v_lshlrev_b32_e32 v2, 16, v13
	v_lshlrev_b32_e32 v13, 16, v5
	v_fma_mixlo_f16 v22, v4, v22, 0 op_sel_hi:[0,1,0]
	v_and_b32_e32 v5, 0xffff, v30
	v_fma_mixlo_f16 v30, v4, v33, 0 op_sel:[0,1,0] op_sel_hi:[0,1,0]
	v_fma_mixlo_f16 v23, v4, v23, 0 op_sel_hi:[0,1,0]
	v_fma_mixlo_f16 v12, v4, v12, 0 op_sel:[0,1,0] op_sel_hi:[0,1,0]
	v_fma_mixlo_f16 v4, v4, v31, 0 op_sel_hi:[0,1,0]
	v_and_b32_e32 v34, 0xffff, v22
	v_lshlrev_b32_e32 v31, 16, v30
	v_and_b32_e32 v33, 0xffff, v23
	v_lshlrev_b32_e32 v30, 16, v12
	v_and_b32_e32 v32, 0xffff, v4
	v_or_b32_e32 v4, v2, v5
	v_or_b32_e32 v23, v13, v34
	v_or_b32_e32 v22, v31, v33
	s_delay_alu instid0(VALU_DEP_4)
	v_or_b32_e32 v12, v30, v32
	s_and_saveexec_b32 s8, s2
	s_cbranch_execz .LBB311_2343
; %bb.2342:                             ;   in Loop: Header=BB311_2079 Depth=1
	s_wait_alu 0xfffd
	v_cndmask_b32_e32 v4, 0, v34, vcc_lo
	v_cndmask_b32_e64 v12, 0, v13, s1
	v_cndmask_b32_e64 v5, 0, v5, s0
	;; [unrolled: 1-line block ×7, first 2 shown]
	v_or_b32_e32 v23, v4, v12
	v_or_b32_e32 v4, v5, v2
	v_or_b32_e32 v22, v13, v22
	s_delay_alu instid0(VALU_DEP_4)
	v_or_b32_e32 v12, v31, v30
.LBB311_2343:                           ;   in Loop: Header=BB311_2079 Depth=1
	s_wait_alu 0xfffe
	s_or_b32 exec_lo, exec_lo, s8
	;;#ASMSTART
	v_pk_mul_f16 v2, v98, v23;

	;;#ASMEND
	;;#ASMSTART
	v_pk_mul_f16 v4, v96, v4;

	;;#ASMEND
	;; [unrolled: 4-line block ×4, first 2 shown]
	;;#ASMSTART
	v_pk_add_f16 v2, v2, v4;

	;;#ASMEND
	;;#ASMSTART
	v_pk_add_f16 v2, v2, v5;

	;;#ASMEND
	;; [unrolled: 4-line block ×3, first 2 shown]
	v_dual_mov_b32 v5, 0 :: v_dual_and_b32 v4, 0xffff, v2
	v_lshrrev_b32_e32 v2, 16, v2
	;;#ASMSTART
	v_cvt_f32_f16 v112, v4;
	;;#ASMEND
	;;#ASMSTART
	v_cvt_f32_f16 v113, v2;
	;;#ASMEND
	flat_load_b64 v[12:13], v[10:11] offset:1024
	flat_load_b32 v4, v[26:27]
	v_mov_b32_e32 v22, 0
	s_mov_b32 s20, exec_lo
	s_wait_loadcnt_dscnt 0x101
	v_and_b32_e32 v2, 0xff, v12
	s_delay_alu instid0(VALU_DEP_1)
	v_cmpx_ne_u16_e32 0, v2
	s_cbranch_execz .LBB311_2351
; %bb.2344:                             ;   in Loop: Header=BB311_2079 Depth=1
	v_mov_b32_e32 v22, 0x8000
	s_mov_b32 s21, exec_lo
	v_cmpx_ne_u16_e32 0x80, v2
	s_cbranch_execz .LBB311_2350
; %bb.2345:                             ;   in Loop: Header=BB311_2079 Depth=1
	v_and_b32_e32 v23, 0x7f, v12
	v_mov_b32_e32 v22, 0x7c01
	s_mov_b32 s22, exec_lo
	s_delay_alu instid0(VALU_DEP_2)
	v_cmpx_ne_u32_e32 0x7f, v23
	s_cbranch_execz .LBB311_2349
; %bb.2346:                             ;   in Loop: Header=BB311_2079 Depth=1
	v_and_b32_e32 v2, 7, v12
	v_lshrrev_b32_e32 v22, 3, v23
	s_mov_b32 s23, exec_lo
	v_cmpx_gt_u32_e32 8, v23
; %bb.2347:                             ;   in Loop: Header=BB311_2079 Depth=1
	s_delay_alu instid0(VALU_DEP_3) | instskip(NEXT) | instid1(VALU_DEP_1)
	v_clz_i32_u32_e32 v2, v2
	v_min_u32_e32 v2, 32, v2
	s_delay_alu instid0(VALU_DEP_1) | instskip(NEXT) | instid1(VALU_DEP_1)
	v_subrev_nc_u32_e32 v22, 28, v2
	v_lshlrev_b64_e32 v[30:31], v22, v[12:13]
	v_sub_nc_u32_e32 v22, 29, v2
	s_delay_alu instid0(VALU_DEP_2)
	v_and_b32_e32 v2, 7, v30
; %bb.2348:                             ;   in Loop: Header=BB311_2079 Depth=1
	s_wait_alu 0xfffe
	s_or_b32 exec_lo, exec_lo, s23
	v_lshlrev_b32_e32 v23, 8, v12
	v_lshl_add_u32 v22, v22, 10, 0x2000
	v_lshlrev_b32_e32 v2, 7, v2
	s_delay_alu instid0(VALU_DEP_3) | instskip(NEXT) | instid1(VALU_DEP_3)
	v_and_b32_e32 v23, 0x8000, v23
	v_and_b32_e32 v22, 0xfc00, v22
	s_delay_alu instid0(VALU_DEP_1)
	v_or3_b32 v22, v23, v22, v2
.LBB311_2349:                           ;   in Loop: Header=BB311_2079 Depth=1
	s_wait_alu 0xfffe
	s_or_b32 exec_lo, exec_lo, s22
.LBB311_2350:                           ;   in Loop: Header=BB311_2079 Depth=1
	s_wait_alu 0xfffe
	s_or_b32 exec_lo, exec_lo, s21
.LBB311_2351:                           ;   in Loop: Header=BB311_2079 Depth=1
	s_wait_alu 0xfffe
	s_or_b32 exec_lo, exec_lo, s20
	v_lshrrev_b16 v2, 8, v12
	s_mov_b32 s20, exec_lo
	s_delay_alu instid0(VALU_DEP_1)
	v_cmpx_ne_u16_e32 0, v2
	s_cbranch_execz .LBB311_2359
; %bb.2352:                             ;   in Loop: Header=BB311_2079 Depth=1
	v_bfrev_b32_e32 v5, 1
	s_mov_b32 s21, exec_lo
	v_cmpx_ne_u16_e32 0x80, v2
	s_cbranch_execz .LBB311_2358
; %bb.2353:                             ;   in Loop: Header=BB311_2079 Depth=1
	v_and_b32_e32 v23, 0xffff, v2
	v_mov_b32_e32 v5, 0x7c010000
	s_mov_b32 s22, exec_lo
	s_delay_alu instid0(VALU_DEP_2) | instskip(NEXT) | instid1(VALU_DEP_1)
	v_and_b32_e32 v31, 0x7f, v23
	v_cmpx_ne_u32_e32 0x7f, v31
	s_cbranch_execz .LBB311_2357
; %bb.2354:                             ;   in Loop: Header=BB311_2079 Depth=1
	v_and_b32_e32 v5, 7, v23
	v_lshrrev_b32_e32 v30, 3, v31
	s_mov_b32 s23, exec_lo
	v_cmpx_gt_u32_e32 8, v31
; %bb.2355:                             ;   in Loop: Header=BB311_2079 Depth=1
	s_delay_alu instid0(VALU_DEP_3) | instskip(NEXT) | instid1(VALU_DEP_1)
	v_clz_i32_u32_e32 v5, v5
	v_min_u32_e32 v5, 32, v5
	s_delay_alu instid0(VALU_DEP_1) | instskip(NEXT) | instid1(VALU_DEP_1)
	v_subrev_nc_u32_e32 v30, 28, v5
	v_lshlrev_b64_e32 v[31:32], v30, v[2:3]
	v_sub_nc_u32_e32 v30, 29, v5
	s_delay_alu instid0(VALU_DEP_2)
	v_and_b32_e32 v5, 7, v31
; %bb.2356:                             ;   in Loop: Header=BB311_2079 Depth=1
	s_wait_alu 0xfffe
	s_or_b32 exec_lo, exec_lo, s23
	v_lshlrev_b32_e32 v2, 8, v23
	v_lshl_add_u32 v23, v30, 10, 0x2000
	v_lshlrev_b32_e32 v5, 23, v5
	s_delay_alu instid0(VALU_DEP_2) | instskip(NEXT) | instid1(VALU_DEP_1)
	v_and_or_b32 v2, 0x8000, v2, v23
	v_lshl_or_b32 v5, v2, 16, v5
.LBB311_2357:                           ;   in Loop: Header=BB311_2079 Depth=1
	s_wait_alu 0xfffe
	s_or_b32 exec_lo, exec_lo, s22
.LBB311_2358:                           ;   in Loop: Header=BB311_2079 Depth=1
	s_wait_alu 0xfffe
	s_or_b32 exec_lo, exec_lo, s21
.LBB311_2359:                           ;   in Loop: Header=BB311_2079 Depth=1
	s_wait_alu 0xfffe
	s_or_b32 exec_lo, exec_lo, s20
	v_lshrrev_b32_e32 v2, 16, v12
	v_mov_b32_e32 v23, 0
	s_mov_b32 s20, exec_lo
	s_delay_alu instid0(VALU_DEP_2) | instskip(NEXT) | instid1(VALU_DEP_1)
	v_dual_mov_b32 v30, 0 :: v_dual_and_b32 v31, 0xff, v2
	v_cmpx_ne_u16_e32 0, v31
	s_cbranch_execz .LBB311_2367
; %bb.2360:                             ;   in Loop: Header=BB311_2079 Depth=1
	v_mov_b32_e32 v30, 0x8000
	s_mov_b32 s21, exec_lo
	v_cmpx_ne_u16_e32 0x80, v31
	s_cbranch_execz .LBB311_2366
; %bb.2361:                             ;   in Loop: Header=BB311_2079 Depth=1
	v_bfe_u32 v32, v12, 16, 7
	v_mov_b32_e32 v30, 0x7c01
	s_mov_b32 s22, exec_lo
	s_delay_alu instid0(VALU_DEP_2)
	v_cmpx_ne_u32_e32 0x7f, v32
	s_cbranch_execz .LBB311_2365
; %bb.2362:                             ;   in Loop: Header=BB311_2079 Depth=1
	v_and_b32_e32 v30, 7, v2
	v_lshrrev_b32_e32 v31, 3, v32
	s_mov_b32 s23, exec_lo
	v_cmpx_gt_u32_e32 8, v32
; %bb.2363:                             ;   in Loop: Header=BB311_2079 Depth=1
	s_delay_alu instid0(VALU_DEP_3) | instskip(NEXT) | instid1(VALU_DEP_1)
	v_clz_i32_u32_e32 v30, v30
	v_min_u32_e32 v32, 32, v30
	s_delay_alu instid0(VALU_DEP_1) | instskip(NEXT) | instid1(VALU_DEP_1)
	v_subrev_nc_u32_e32 v30, 28, v32
	v_lshlrev_b64_e32 v[30:31], v30, v[2:3]
	v_sub_nc_u32_e32 v31, 29, v32
	s_delay_alu instid0(VALU_DEP_2)
	v_and_b32_e32 v30, 7, v30
; %bb.2364:                             ;   in Loop: Header=BB311_2079 Depth=1
	s_wait_alu 0xfffe
	s_or_b32 exec_lo, exec_lo, s23
	v_lshlrev_b32_e32 v2, 8, v2
	v_lshl_add_u32 v31, v31, 10, 0x2000
	v_lshlrev_b32_e32 v30, 7, v30
	s_delay_alu instid0(VALU_DEP_3) | instskip(NEXT) | instid1(VALU_DEP_3)
	v_and_b32_e32 v2, 0x8000, v2
	v_and_b32_e32 v31, 0xfc00, v31
	s_delay_alu instid0(VALU_DEP_1)
	v_or3_b32 v30, v2, v31, v30
.LBB311_2365:                           ;   in Loop: Header=BB311_2079 Depth=1
	s_wait_alu 0xfffe
	s_or_b32 exec_lo, exec_lo, s22
.LBB311_2366:                           ;   in Loop: Header=BB311_2079 Depth=1
	s_wait_alu 0xfffe
	s_or_b32 exec_lo, exec_lo, s21
.LBB311_2367:                           ;   in Loop: Header=BB311_2079 Depth=1
	s_wait_alu 0xfffe
	s_or_b32 exec_lo, exec_lo, s20
	s_delay_alu instid0(SALU_CYCLE_1)
	s_mov_b32 s20, exec_lo
	v_cmpx_lt_u32_e32 0xffffff, v12
	s_cbranch_execz .LBB311_2375
; %bb.2368:                             ;   in Loop: Header=BB311_2079 Depth=1
	v_lshrrev_b32_e32 v2, 24, v12
	v_bfrev_b32_e32 v23, 1
	s_mov_b32 s21, exec_lo
	s_delay_alu instid0(VALU_DEP_2)
	v_cmpx_ne_u32_e32 0x80, v2
	s_cbranch_execz .LBB311_2374
; %bb.2369:                             ;   in Loop: Header=BB311_2079 Depth=1
	v_and_b32_e32 v32, 0x7f, v2
	v_mov_b32_e32 v23, 0x7c010000
	s_mov_b32 s22, exec_lo
	s_delay_alu instid0(VALU_DEP_2)
	v_cmpx_ne_u32_e32 0x7f, v32
	s_cbranch_execz .LBB311_2373
; %bb.2370:                             ;   in Loop: Header=BB311_2079 Depth=1
	v_and_b32_e32 v23, 7, v2
	v_lshrrev_b32_e32 v31, 3, v32
	s_mov_b32 s23, exec_lo
	v_cmpx_gt_u32_e32 8, v32
; %bb.2371:                             ;   in Loop: Header=BB311_2079 Depth=1
	s_delay_alu instid0(VALU_DEP_3) | instskip(NEXT) | instid1(VALU_DEP_1)
	v_clz_i32_u32_e32 v23, v23
	v_min_u32_e32 v23, 32, v23
	s_delay_alu instid0(VALU_DEP_1) | instskip(NEXT) | instid1(VALU_DEP_1)
	v_subrev_nc_u32_e32 v31, 28, v23
	v_lshlrev_b64_e32 v[32:33], v31, v[2:3]
	v_sub_nc_u32_e32 v31, 29, v23
	s_delay_alu instid0(VALU_DEP_2)
	v_and_b32_e32 v23, 7, v32
; %bb.2372:                             ;   in Loop: Header=BB311_2079 Depth=1
	s_wait_alu 0xfffe
	s_or_b32 exec_lo, exec_lo, s23
	v_lshlrev_b32_e32 v2, 8, v2
	v_lshl_add_u32 v31, v31, 10, 0x2000
	v_lshlrev_b32_e32 v23, 23, v23
	s_delay_alu instid0(VALU_DEP_2) | instskip(NEXT) | instid1(VALU_DEP_1)
	v_and_or_b32 v2, 0x8000, v2, v31
	v_lshl_or_b32 v23, v2, 16, v23
.LBB311_2373:                           ;   in Loop: Header=BB311_2079 Depth=1
	s_wait_alu 0xfffe
	s_or_b32 exec_lo, exec_lo, s22
.LBB311_2374:                           ;   in Loop: Header=BB311_2079 Depth=1
	s_wait_alu 0xfffe
	s_or_b32 exec_lo, exec_lo, s21
.LBB311_2375:                           ;   in Loop: Header=BB311_2079 Depth=1
	s_wait_alu 0xfffe
	s_or_b32 exec_lo, exec_lo, s20
	v_dual_mov_b32 v2, v13 :: v_dual_and_b32 v33, 0xff, v13
	v_dual_mov_b32 v31, 0 :: v_dual_mov_b32 v32, 0
	s_mov_b32 s20, exec_lo
	s_delay_alu instid0(VALU_DEP_2)
	v_cmpx_ne_u16_e32 0, v33
	s_cbranch_execz .LBB311_2383
; %bb.2376:                             ;   in Loop: Header=BB311_2079 Depth=1
	v_mov_b32_e32 v32, 0x8000
	s_mov_b32 s21, exec_lo
	v_cmpx_ne_u16_e32 0x80, v33
	s_cbranch_execz .LBB311_2382
; %bb.2377:                             ;   in Loop: Header=BB311_2079 Depth=1
	v_and_b32_e32 v34, 0x7f, v13
	v_mov_b32_e32 v32, 0x7c01
	s_mov_b32 s22, exec_lo
	s_delay_alu instid0(VALU_DEP_2)
	v_cmpx_ne_u32_e32 0x7f, v34
	s_cbranch_execz .LBB311_2381
; %bb.2378:                             ;   in Loop: Header=BB311_2079 Depth=1
	v_and_b32_e32 v32, 7, v13
	v_lshrrev_b32_e32 v33, 3, v34
	s_mov_b32 s23, exec_lo
	v_cmpx_gt_u32_e32 8, v34
; %bb.2379:                             ;   in Loop: Header=BB311_2079 Depth=1
	s_delay_alu instid0(VALU_DEP_3) | instskip(NEXT) | instid1(VALU_DEP_1)
	v_clz_i32_u32_e32 v32, v32
	v_min_u32_e32 v34, 32, v32
	s_delay_alu instid0(VALU_DEP_1) | instskip(NEXT) | instid1(VALU_DEP_1)
	v_subrev_nc_u32_e32 v32, 28, v34
	v_lshlrev_b64_e32 v[32:33], v32, v[2:3]
	v_sub_nc_u32_e32 v33, 29, v34
	s_delay_alu instid0(VALU_DEP_2)
	v_and_b32_e32 v32, 7, v32
; %bb.2380:                             ;   in Loop: Header=BB311_2079 Depth=1
	s_wait_alu 0xfffe
	s_or_b32 exec_lo, exec_lo, s23
	v_lshlrev_b32_e32 v34, 8, v13
	v_lshl_add_u32 v33, v33, 10, 0x2000
	v_lshlrev_b32_e32 v32, 7, v32
	s_delay_alu instid0(VALU_DEP_3) | instskip(NEXT) | instid1(VALU_DEP_3)
	v_and_b32_e32 v34, 0x8000, v34
	v_and_b32_e32 v33, 0xfc00, v33
	s_delay_alu instid0(VALU_DEP_1)
	v_or3_b32 v32, v34, v33, v32
.LBB311_2381:                           ;   in Loop: Header=BB311_2079 Depth=1
	s_wait_alu 0xfffe
	s_or_b32 exec_lo, exec_lo, s22
.LBB311_2382:                           ;   in Loop: Header=BB311_2079 Depth=1
	s_wait_alu 0xfffe
	s_or_b32 exec_lo, exec_lo, s21
.LBB311_2383:                           ;   in Loop: Header=BB311_2079 Depth=1
	s_wait_alu 0xfffe
	s_or_b32 exec_lo, exec_lo, s20
	v_lshrrev_b16 v2, 8, v2
	v_mov_b32_e32 v33, 0
	s_mov_b32 s20, exec_lo
	s_delay_alu instid0(VALU_DEP_2)
	v_cmpx_ne_u16_e32 0, v2
	s_cbranch_execz .LBB311_2391
; %bb.2384:                             ;   in Loop: Header=BB311_2079 Depth=1
	v_bfrev_b32_e32 v33, 1
	s_mov_b32 s21, exec_lo
	v_cmpx_ne_u16_e32 0x80, v2
	s_cbranch_execz .LBB311_2390
; %bb.2385:                             ;   in Loop: Header=BB311_2079 Depth=1
	v_and_b32_e32 v34, 0xffff, v2
	v_mov_b32_e32 v33, 0x7c010000
	s_mov_b32 s22, exec_lo
	s_delay_alu instid0(VALU_DEP_2) | instskip(NEXT) | instid1(VALU_DEP_1)
	v_and_b32_e32 v115, 0x7f, v34
	v_cmpx_ne_u32_e32 0x7f, v115
	s_cbranch_execz .LBB311_2389
; %bb.2386:                             ;   in Loop: Header=BB311_2079 Depth=1
	v_and_b32_e32 v33, 7, v34
	v_lshrrev_b32_e32 v114, 3, v115
	s_mov_b32 s23, exec_lo
	v_cmpx_gt_u32_e32 8, v115
; %bb.2387:                             ;   in Loop: Header=BB311_2079 Depth=1
	s_delay_alu instid0(VALU_DEP_3) | instskip(NEXT) | instid1(VALU_DEP_1)
	v_clz_i32_u32_e32 v33, v33
	v_min_u32_e32 v33, 32, v33
	s_delay_alu instid0(VALU_DEP_1) | instskip(NEXT) | instid1(VALU_DEP_1)
	v_subrev_nc_u32_e32 v114, 28, v33
	v_lshlrev_b64_e32 v[115:116], v114, v[2:3]
	v_sub_nc_u32_e32 v114, 29, v33
	s_delay_alu instid0(VALU_DEP_2)
	v_and_b32_e32 v33, 7, v115
; %bb.2388:                             ;   in Loop: Header=BB311_2079 Depth=1
	s_wait_alu 0xfffe
	s_or_b32 exec_lo, exec_lo, s23
	v_lshlrev_b32_e32 v2, 8, v34
	v_lshl_add_u32 v34, v114, 10, 0x2000
	v_lshlrev_b32_e32 v33, 23, v33
	s_delay_alu instid0(VALU_DEP_2) | instskip(NEXT) | instid1(VALU_DEP_1)
	v_and_or_b32 v2, 0x8000, v2, v34
	v_lshl_or_b32 v33, v2, 16, v33
.LBB311_2389:                           ;   in Loop: Header=BB311_2079 Depth=1
	s_wait_alu 0xfffe
	s_or_b32 exec_lo, exec_lo, s22
.LBB311_2390:                           ;   in Loop: Header=BB311_2079 Depth=1
	s_wait_alu 0xfffe
	s_or_b32 exec_lo, exec_lo, s21
.LBB311_2391:                           ;   in Loop: Header=BB311_2079 Depth=1
	s_wait_alu 0xfffe
	s_or_b32 exec_lo, exec_lo, s20
	v_lshrrev_b32_e32 v2, 16, v13
	s_mov_b32 s20, exec_lo
	s_delay_alu instid0(VALU_DEP_1) | instskip(NEXT) | instid1(VALU_DEP_1)
	v_and_b32_e32 v34, 0xff, v2
	v_cmpx_ne_u16_e32 0, v34
	s_cbranch_execz .LBB311_2399
; %bb.2392:                             ;   in Loop: Header=BB311_2079 Depth=1
	v_mov_b32_e32 v31, 0x8000
	s_mov_b32 s21, exec_lo
	v_cmpx_ne_u16_e32 0x80, v34
	s_cbranch_execz .LBB311_2398
; %bb.2393:                             ;   in Loop: Header=BB311_2079 Depth=1
	v_bfe_u32 v114, v13, 16, 7
	v_mov_b32_e32 v31, 0x7c01
	s_mov_b32 s22, exec_lo
	s_delay_alu instid0(VALU_DEP_2)
	v_cmpx_ne_u32_e32 0x7f, v114
	s_cbranch_execz .LBB311_2397
; %bb.2394:                             ;   in Loop: Header=BB311_2079 Depth=1
	v_and_b32_e32 v31, 7, v2
	v_lshrrev_b32_e32 v34, 3, v114
	s_mov_b32 s23, exec_lo
	v_cmpx_gt_u32_e32 8, v114
; %bb.2395:                             ;   in Loop: Header=BB311_2079 Depth=1
	s_delay_alu instid0(VALU_DEP_3) | instskip(NEXT) | instid1(VALU_DEP_1)
	v_clz_i32_u32_e32 v31, v31
	v_min_u32_e32 v31, 32, v31
	s_delay_alu instid0(VALU_DEP_1) | instskip(NEXT) | instid1(VALU_DEP_1)
	v_subrev_nc_u32_e32 v34, 28, v31
	v_lshlrev_b64_e32 v[114:115], v34, v[2:3]
	v_sub_nc_u32_e32 v34, 29, v31
	s_delay_alu instid0(VALU_DEP_2)
	v_and_b32_e32 v31, 7, v114
; %bb.2396:                             ;   in Loop: Header=BB311_2079 Depth=1
	s_wait_alu 0xfffe
	s_or_b32 exec_lo, exec_lo, s23
	v_lshlrev_b32_e32 v2, 8, v2
	v_lshl_add_u32 v34, v34, 10, 0x2000
	v_lshlrev_b32_e32 v31, 7, v31
	s_delay_alu instid0(VALU_DEP_3) | instskip(NEXT) | instid1(VALU_DEP_3)
	v_and_b32_e32 v2, 0x8000, v2
	v_and_b32_e32 v34, 0xfc00, v34
	s_delay_alu instid0(VALU_DEP_1)
	v_or3_b32 v31, v2, v34, v31
.LBB311_2397:                           ;   in Loop: Header=BB311_2079 Depth=1
	s_wait_alu 0xfffe
	s_or_b32 exec_lo, exec_lo, s22
.LBB311_2398:                           ;   in Loop: Header=BB311_2079 Depth=1
	s_wait_alu 0xfffe
	s_or_b32 exec_lo, exec_lo, s21
.LBB311_2399:                           ;   in Loop: Header=BB311_2079 Depth=1
	s_wait_alu 0xfffe
	s_or_b32 exec_lo, exec_lo, s20
	v_cmp_lt_u64_e64 s8, s[16:17], v[12:13]
	v_mov_b32_e32 v12, 0
	s_and_saveexec_b32 s20, s8
	s_cbranch_execz .LBB311_2407
; %bb.2400:                             ;   in Loop: Header=BB311_2079 Depth=1
	v_lshrrev_b32_e32 v2, 24, v13
	v_bfrev_b32_e32 v12, 1
	s_mov_b32 s21, exec_lo
	s_delay_alu instid0(VALU_DEP_2)
	v_cmpx_ne_u32_e32 0x80, v2
	s_cbranch_execz .LBB311_2406
; %bb.2401:                             ;   in Loop: Header=BB311_2079 Depth=1
	v_and_b32_e32 v34, 0x7f, v2
	v_mov_b32_e32 v12, 0x7c010000
	s_mov_b32 s22, exec_lo
	s_delay_alu instid0(VALU_DEP_2)
	v_cmpx_ne_u32_e32 0x7f, v34
	s_cbranch_execz .LBB311_2405
; %bb.2402:                             ;   in Loop: Header=BB311_2079 Depth=1
	v_and_b32_e32 v12, 7, v2
	v_lshrrev_b32_e32 v13, 3, v34
	s_mov_b32 s23, exec_lo
	v_cmpx_gt_u32_e32 8, v34
; %bb.2403:                             ;   in Loop: Header=BB311_2079 Depth=1
	s_delay_alu instid0(VALU_DEP_3) | instskip(NEXT) | instid1(VALU_DEP_1)
	v_clz_i32_u32_e32 v12, v12
	v_min_u32_e32 v34, 32, v12
	s_delay_alu instid0(VALU_DEP_1) | instskip(NEXT) | instid1(VALU_DEP_1)
	v_subrev_nc_u32_e32 v12, 28, v34
	v_lshlrev_b64_e32 v[12:13], v12, v[2:3]
	v_sub_nc_u32_e32 v13, 29, v34
	s_delay_alu instid0(VALU_DEP_2)
	v_and_b32_e32 v12, 7, v12
; %bb.2404:                             ;   in Loop: Header=BB311_2079 Depth=1
	s_wait_alu 0xfffe
	s_or_b32 exec_lo, exec_lo, s23
	v_lshlrev_b32_e32 v2, 8, v2
	v_lshl_add_u32 v13, v13, 10, 0x2000
	v_lshlrev_b32_e32 v12, 23, v12
	s_delay_alu instid0(VALU_DEP_2) | instskip(NEXT) | instid1(VALU_DEP_1)
	v_and_or_b32 v2, 0x8000, v2, v13
	v_lshl_or_b32 v12, v2, 16, v12
.LBB311_2405:                           ;   in Loop: Header=BB311_2079 Depth=1
	s_wait_alu 0xfffe
	s_or_b32 exec_lo, exec_lo, s22
.LBB311_2406:                           ;   in Loop: Header=BB311_2079 Depth=1
	s_wait_alu 0xfffe
	s_or_b32 exec_lo, exec_lo, s21
.LBB311_2407:                           ;   in Loop: Header=BB311_2079 Depth=1
	s_wait_alu 0xfffe
	s_or_b32 exec_lo, exec_lo, s20
	v_or_b32_e32 v2, v23, v30
	s_wait_loadcnt_dscnt 0x0
	v_fma_mixlo_f16 v13, v4, v23, 0 op_sel:[0,1,0] op_sel_hi:[0,1,0]
	v_or_b32_e32 v22, v5, v22
	v_fma_mixlo_f16 v5, v4, v5, 0 op_sel:[0,1,0] op_sel_hi:[0,1,0]
	v_or_b32_e32 v23, v33, v32
	v_fma_mixlo_f16 v30, v4, v2, 0 op_sel_hi:[0,1,0]
	v_or_b32_e32 v31, v12, v31
	v_lshlrev_b32_e32 v2, 16, v13
	v_lshlrev_b32_e32 v13, 16, v5
	v_fma_mixlo_f16 v22, v4, v22, 0 op_sel_hi:[0,1,0]
	v_and_b32_e32 v5, 0xffff, v30
	v_fma_mixlo_f16 v30, v4, v33, 0 op_sel:[0,1,0] op_sel_hi:[0,1,0]
	v_fma_mixlo_f16 v23, v4, v23, 0 op_sel_hi:[0,1,0]
	v_fma_mixlo_f16 v12, v4, v12, 0 op_sel:[0,1,0] op_sel_hi:[0,1,0]
	v_fma_mixlo_f16 v4, v4, v31, 0 op_sel_hi:[0,1,0]
	v_and_b32_e32 v34, 0xffff, v22
	v_lshlrev_b32_e32 v31, 16, v30
	v_and_b32_e32 v33, 0xffff, v23
	v_lshlrev_b32_e32 v30, 16, v12
	v_and_b32_e32 v32, 0xffff, v4
	v_or_b32_e32 v4, v2, v5
	v_or_b32_e32 v23, v13, v34
	;; [unrolled: 1-line block ×3, first 2 shown]
	s_delay_alu instid0(VALU_DEP_4)
	v_or_b32_e32 v12, v30, v32
	s_and_saveexec_b32 s8, s2
	s_cbranch_execz .LBB311_2409
; %bb.2408:                             ;   in Loop: Header=BB311_2079 Depth=1
	s_wait_alu 0xfffd
	v_cndmask_b32_e32 v4, 0, v34, vcc_lo
	v_cndmask_b32_e64 v12, 0, v13, s1
	v_cndmask_b32_e64 v5, 0, v5, s0
	;; [unrolled: 1-line block ×7, first 2 shown]
	v_or_b32_e32 v23, v4, v12
	v_or_b32_e32 v4, v5, v2
	;; [unrolled: 1-line block ×3, first 2 shown]
	s_delay_alu instid0(VALU_DEP_4)
	v_or_b32_e32 v12, v31, v30
.LBB311_2409:                           ;   in Loop: Header=BB311_2079 Depth=1
	s_wait_alu 0xfffe
	s_or_b32 exec_lo, exec_lo, s8
	;;#ASMSTART
	v_pk_mul_f16 v2, v98, v23;

	;;#ASMEND
	;;#ASMSTART
	v_pk_mul_f16 v4, v96, v4;

	;;#ASMEND
	;; [unrolled: 4-line block ×4, first 2 shown]
	;;#ASMSTART
	v_pk_add_f16 v2, v2, v4;

	;;#ASMEND
	;;#ASMSTART
	v_pk_add_f16 v2, v2, v5;

	;;#ASMEND
	;; [unrolled: 4-line block ×3, first 2 shown]
	v_dual_mov_b32 v5, 0 :: v_dual_and_b32 v4, 0xffff, v2
	v_lshrrev_b32_e32 v2, 16, v2
	;;#ASMSTART
	v_cvt_f32_f16 v114, v4;
	;;#ASMEND
	;;#ASMSTART
	v_cvt_f32_f16 v115, v2;
	;;#ASMEND
	flat_load_b64 v[12:13], v[10:11] offset:1280
	flat_load_b32 v4, v[26:27]
	v_mov_b32_e32 v22, 0
	s_mov_b32 s20, exec_lo
	s_wait_loadcnt_dscnt 0x101
	v_and_b32_e32 v2, 0xff, v12
	s_delay_alu instid0(VALU_DEP_1)
	v_cmpx_ne_u16_e32 0, v2
	s_cbranch_execz .LBB311_2417
; %bb.2410:                             ;   in Loop: Header=BB311_2079 Depth=1
	v_mov_b32_e32 v22, 0x8000
	s_mov_b32 s21, exec_lo
	v_cmpx_ne_u16_e32 0x80, v2
	s_cbranch_execz .LBB311_2416
; %bb.2411:                             ;   in Loop: Header=BB311_2079 Depth=1
	v_and_b32_e32 v23, 0x7f, v12
	v_mov_b32_e32 v22, 0x7c01
	s_mov_b32 s22, exec_lo
	s_delay_alu instid0(VALU_DEP_2)
	v_cmpx_ne_u32_e32 0x7f, v23
	s_cbranch_execz .LBB311_2415
; %bb.2412:                             ;   in Loop: Header=BB311_2079 Depth=1
	v_and_b32_e32 v2, 7, v12
	v_lshrrev_b32_e32 v22, 3, v23
	s_mov_b32 s23, exec_lo
	v_cmpx_gt_u32_e32 8, v23
; %bb.2413:                             ;   in Loop: Header=BB311_2079 Depth=1
	s_delay_alu instid0(VALU_DEP_3) | instskip(NEXT) | instid1(VALU_DEP_1)
	v_clz_i32_u32_e32 v2, v2
	v_min_u32_e32 v2, 32, v2
	s_delay_alu instid0(VALU_DEP_1) | instskip(NEXT) | instid1(VALU_DEP_1)
	v_subrev_nc_u32_e32 v22, 28, v2
	v_lshlrev_b64_e32 v[30:31], v22, v[12:13]
	v_sub_nc_u32_e32 v22, 29, v2
	s_delay_alu instid0(VALU_DEP_2)
	v_and_b32_e32 v2, 7, v30
; %bb.2414:                             ;   in Loop: Header=BB311_2079 Depth=1
	s_wait_alu 0xfffe
	s_or_b32 exec_lo, exec_lo, s23
	v_lshlrev_b32_e32 v23, 8, v12
	v_lshl_add_u32 v22, v22, 10, 0x2000
	v_lshlrev_b32_e32 v2, 7, v2
	s_delay_alu instid0(VALU_DEP_3) | instskip(NEXT) | instid1(VALU_DEP_3)
	v_and_b32_e32 v23, 0x8000, v23
	v_and_b32_e32 v22, 0xfc00, v22
	s_delay_alu instid0(VALU_DEP_1)
	v_or3_b32 v22, v23, v22, v2
.LBB311_2415:                           ;   in Loop: Header=BB311_2079 Depth=1
	s_wait_alu 0xfffe
	s_or_b32 exec_lo, exec_lo, s22
.LBB311_2416:                           ;   in Loop: Header=BB311_2079 Depth=1
	s_wait_alu 0xfffe
	s_or_b32 exec_lo, exec_lo, s21
.LBB311_2417:                           ;   in Loop: Header=BB311_2079 Depth=1
	s_wait_alu 0xfffe
	s_or_b32 exec_lo, exec_lo, s20
	v_lshrrev_b16 v2, 8, v12
	s_mov_b32 s20, exec_lo
	s_delay_alu instid0(VALU_DEP_1)
	v_cmpx_ne_u16_e32 0, v2
	s_cbranch_execz .LBB311_2425
; %bb.2418:                             ;   in Loop: Header=BB311_2079 Depth=1
	v_bfrev_b32_e32 v5, 1
	s_mov_b32 s21, exec_lo
	v_cmpx_ne_u16_e32 0x80, v2
	s_cbranch_execz .LBB311_2424
; %bb.2419:                             ;   in Loop: Header=BB311_2079 Depth=1
	v_and_b32_e32 v23, 0xffff, v2
	v_mov_b32_e32 v5, 0x7c010000
	s_mov_b32 s22, exec_lo
	s_delay_alu instid0(VALU_DEP_2) | instskip(NEXT) | instid1(VALU_DEP_1)
	v_and_b32_e32 v31, 0x7f, v23
	v_cmpx_ne_u32_e32 0x7f, v31
	s_cbranch_execz .LBB311_2423
; %bb.2420:                             ;   in Loop: Header=BB311_2079 Depth=1
	v_and_b32_e32 v5, 7, v23
	v_lshrrev_b32_e32 v30, 3, v31
	s_mov_b32 s23, exec_lo
	v_cmpx_gt_u32_e32 8, v31
; %bb.2421:                             ;   in Loop: Header=BB311_2079 Depth=1
	s_delay_alu instid0(VALU_DEP_3) | instskip(NEXT) | instid1(VALU_DEP_1)
	v_clz_i32_u32_e32 v5, v5
	v_min_u32_e32 v5, 32, v5
	s_delay_alu instid0(VALU_DEP_1) | instskip(NEXT) | instid1(VALU_DEP_1)
	v_subrev_nc_u32_e32 v30, 28, v5
	v_lshlrev_b64_e32 v[31:32], v30, v[2:3]
	v_sub_nc_u32_e32 v30, 29, v5
	s_delay_alu instid0(VALU_DEP_2)
	v_and_b32_e32 v5, 7, v31
; %bb.2422:                             ;   in Loop: Header=BB311_2079 Depth=1
	s_wait_alu 0xfffe
	s_or_b32 exec_lo, exec_lo, s23
	v_lshlrev_b32_e32 v2, 8, v23
	v_lshl_add_u32 v23, v30, 10, 0x2000
	v_lshlrev_b32_e32 v5, 23, v5
	s_delay_alu instid0(VALU_DEP_2) | instskip(NEXT) | instid1(VALU_DEP_1)
	v_and_or_b32 v2, 0x8000, v2, v23
	v_lshl_or_b32 v5, v2, 16, v5
.LBB311_2423:                           ;   in Loop: Header=BB311_2079 Depth=1
	s_wait_alu 0xfffe
	s_or_b32 exec_lo, exec_lo, s22
.LBB311_2424:                           ;   in Loop: Header=BB311_2079 Depth=1
	s_wait_alu 0xfffe
	s_or_b32 exec_lo, exec_lo, s21
.LBB311_2425:                           ;   in Loop: Header=BB311_2079 Depth=1
	s_wait_alu 0xfffe
	s_or_b32 exec_lo, exec_lo, s20
	v_lshrrev_b32_e32 v2, 16, v12
	v_mov_b32_e32 v23, 0
	s_mov_b32 s20, exec_lo
	s_delay_alu instid0(VALU_DEP_2) | instskip(NEXT) | instid1(VALU_DEP_1)
	v_dual_mov_b32 v30, 0 :: v_dual_and_b32 v31, 0xff, v2
	v_cmpx_ne_u16_e32 0, v31
	s_cbranch_execz .LBB311_2433
; %bb.2426:                             ;   in Loop: Header=BB311_2079 Depth=1
	v_mov_b32_e32 v30, 0x8000
	s_mov_b32 s21, exec_lo
	v_cmpx_ne_u16_e32 0x80, v31
	s_cbranch_execz .LBB311_2432
; %bb.2427:                             ;   in Loop: Header=BB311_2079 Depth=1
	v_bfe_u32 v32, v12, 16, 7
	v_mov_b32_e32 v30, 0x7c01
	s_mov_b32 s22, exec_lo
	s_delay_alu instid0(VALU_DEP_2)
	v_cmpx_ne_u32_e32 0x7f, v32
	s_cbranch_execz .LBB311_2431
; %bb.2428:                             ;   in Loop: Header=BB311_2079 Depth=1
	v_and_b32_e32 v30, 7, v2
	v_lshrrev_b32_e32 v31, 3, v32
	s_mov_b32 s23, exec_lo
	v_cmpx_gt_u32_e32 8, v32
; %bb.2429:                             ;   in Loop: Header=BB311_2079 Depth=1
	s_delay_alu instid0(VALU_DEP_3) | instskip(NEXT) | instid1(VALU_DEP_1)
	v_clz_i32_u32_e32 v30, v30
	v_min_u32_e32 v32, 32, v30
	s_delay_alu instid0(VALU_DEP_1) | instskip(NEXT) | instid1(VALU_DEP_1)
	v_subrev_nc_u32_e32 v30, 28, v32
	v_lshlrev_b64_e32 v[30:31], v30, v[2:3]
	v_sub_nc_u32_e32 v31, 29, v32
	s_delay_alu instid0(VALU_DEP_2)
	v_and_b32_e32 v30, 7, v30
; %bb.2430:                             ;   in Loop: Header=BB311_2079 Depth=1
	s_wait_alu 0xfffe
	s_or_b32 exec_lo, exec_lo, s23
	v_lshlrev_b32_e32 v2, 8, v2
	v_lshl_add_u32 v31, v31, 10, 0x2000
	v_lshlrev_b32_e32 v30, 7, v30
	s_delay_alu instid0(VALU_DEP_3) | instskip(NEXT) | instid1(VALU_DEP_3)
	v_and_b32_e32 v2, 0x8000, v2
	v_and_b32_e32 v31, 0xfc00, v31
	s_delay_alu instid0(VALU_DEP_1)
	v_or3_b32 v30, v2, v31, v30
.LBB311_2431:                           ;   in Loop: Header=BB311_2079 Depth=1
	s_wait_alu 0xfffe
	s_or_b32 exec_lo, exec_lo, s22
.LBB311_2432:                           ;   in Loop: Header=BB311_2079 Depth=1
	s_wait_alu 0xfffe
	s_or_b32 exec_lo, exec_lo, s21
.LBB311_2433:                           ;   in Loop: Header=BB311_2079 Depth=1
	s_wait_alu 0xfffe
	s_or_b32 exec_lo, exec_lo, s20
	s_delay_alu instid0(SALU_CYCLE_1)
	s_mov_b32 s20, exec_lo
	v_cmpx_lt_u32_e32 0xffffff, v12
	s_cbranch_execz .LBB311_2441
; %bb.2434:                             ;   in Loop: Header=BB311_2079 Depth=1
	v_lshrrev_b32_e32 v2, 24, v12
	v_bfrev_b32_e32 v23, 1
	s_mov_b32 s21, exec_lo
	s_delay_alu instid0(VALU_DEP_2)
	v_cmpx_ne_u32_e32 0x80, v2
	s_cbranch_execz .LBB311_2440
; %bb.2435:                             ;   in Loop: Header=BB311_2079 Depth=1
	v_and_b32_e32 v32, 0x7f, v2
	v_mov_b32_e32 v23, 0x7c010000
	s_mov_b32 s22, exec_lo
	s_delay_alu instid0(VALU_DEP_2)
	v_cmpx_ne_u32_e32 0x7f, v32
	s_cbranch_execz .LBB311_2439
; %bb.2436:                             ;   in Loop: Header=BB311_2079 Depth=1
	v_and_b32_e32 v23, 7, v2
	v_lshrrev_b32_e32 v31, 3, v32
	s_mov_b32 s23, exec_lo
	v_cmpx_gt_u32_e32 8, v32
; %bb.2437:                             ;   in Loop: Header=BB311_2079 Depth=1
	s_delay_alu instid0(VALU_DEP_3) | instskip(NEXT) | instid1(VALU_DEP_1)
	v_clz_i32_u32_e32 v23, v23
	v_min_u32_e32 v23, 32, v23
	s_delay_alu instid0(VALU_DEP_1) | instskip(NEXT) | instid1(VALU_DEP_1)
	v_subrev_nc_u32_e32 v31, 28, v23
	v_lshlrev_b64_e32 v[32:33], v31, v[2:3]
	v_sub_nc_u32_e32 v31, 29, v23
	s_delay_alu instid0(VALU_DEP_2)
	v_and_b32_e32 v23, 7, v32
; %bb.2438:                             ;   in Loop: Header=BB311_2079 Depth=1
	s_wait_alu 0xfffe
	s_or_b32 exec_lo, exec_lo, s23
	v_lshlrev_b32_e32 v2, 8, v2
	v_lshl_add_u32 v31, v31, 10, 0x2000
	v_lshlrev_b32_e32 v23, 23, v23
	s_delay_alu instid0(VALU_DEP_2) | instskip(NEXT) | instid1(VALU_DEP_1)
	v_and_or_b32 v2, 0x8000, v2, v31
	v_lshl_or_b32 v23, v2, 16, v23
.LBB311_2439:                           ;   in Loop: Header=BB311_2079 Depth=1
	s_wait_alu 0xfffe
	s_or_b32 exec_lo, exec_lo, s22
.LBB311_2440:                           ;   in Loop: Header=BB311_2079 Depth=1
	s_wait_alu 0xfffe
	s_or_b32 exec_lo, exec_lo, s21
.LBB311_2441:                           ;   in Loop: Header=BB311_2079 Depth=1
	s_wait_alu 0xfffe
	s_or_b32 exec_lo, exec_lo, s20
	v_dual_mov_b32 v2, v13 :: v_dual_and_b32 v33, 0xff, v13
	v_dual_mov_b32 v31, 0 :: v_dual_mov_b32 v32, 0
	s_mov_b32 s20, exec_lo
	s_delay_alu instid0(VALU_DEP_2)
	v_cmpx_ne_u16_e32 0, v33
	s_cbranch_execz .LBB311_2449
; %bb.2442:                             ;   in Loop: Header=BB311_2079 Depth=1
	v_mov_b32_e32 v32, 0x8000
	s_mov_b32 s21, exec_lo
	v_cmpx_ne_u16_e32 0x80, v33
	s_cbranch_execz .LBB311_2448
; %bb.2443:                             ;   in Loop: Header=BB311_2079 Depth=1
	v_and_b32_e32 v34, 0x7f, v13
	v_mov_b32_e32 v32, 0x7c01
	s_mov_b32 s22, exec_lo
	s_delay_alu instid0(VALU_DEP_2)
	v_cmpx_ne_u32_e32 0x7f, v34
	s_cbranch_execz .LBB311_2447
; %bb.2444:                             ;   in Loop: Header=BB311_2079 Depth=1
	v_and_b32_e32 v32, 7, v13
	v_lshrrev_b32_e32 v33, 3, v34
	s_mov_b32 s23, exec_lo
	v_cmpx_gt_u32_e32 8, v34
; %bb.2445:                             ;   in Loop: Header=BB311_2079 Depth=1
	s_delay_alu instid0(VALU_DEP_3) | instskip(NEXT) | instid1(VALU_DEP_1)
	v_clz_i32_u32_e32 v32, v32
	v_min_u32_e32 v34, 32, v32
	s_delay_alu instid0(VALU_DEP_1) | instskip(NEXT) | instid1(VALU_DEP_1)
	v_subrev_nc_u32_e32 v32, 28, v34
	v_lshlrev_b64_e32 v[32:33], v32, v[2:3]
	v_sub_nc_u32_e32 v33, 29, v34
	s_delay_alu instid0(VALU_DEP_2)
	v_and_b32_e32 v32, 7, v32
; %bb.2446:                             ;   in Loop: Header=BB311_2079 Depth=1
	s_wait_alu 0xfffe
	s_or_b32 exec_lo, exec_lo, s23
	v_lshlrev_b32_e32 v34, 8, v13
	v_lshl_add_u32 v33, v33, 10, 0x2000
	v_lshlrev_b32_e32 v32, 7, v32
	s_delay_alu instid0(VALU_DEP_3) | instskip(NEXT) | instid1(VALU_DEP_3)
	v_and_b32_e32 v34, 0x8000, v34
	v_and_b32_e32 v33, 0xfc00, v33
	s_delay_alu instid0(VALU_DEP_1)
	v_or3_b32 v32, v34, v33, v32
.LBB311_2447:                           ;   in Loop: Header=BB311_2079 Depth=1
	s_wait_alu 0xfffe
	s_or_b32 exec_lo, exec_lo, s22
.LBB311_2448:                           ;   in Loop: Header=BB311_2079 Depth=1
	s_wait_alu 0xfffe
	s_or_b32 exec_lo, exec_lo, s21
.LBB311_2449:                           ;   in Loop: Header=BB311_2079 Depth=1
	s_wait_alu 0xfffe
	s_or_b32 exec_lo, exec_lo, s20
	v_lshrrev_b16 v2, 8, v2
	v_mov_b32_e32 v33, 0
	s_mov_b32 s20, exec_lo
	s_delay_alu instid0(VALU_DEP_2)
	v_cmpx_ne_u16_e32 0, v2
	s_cbranch_execz .LBB311_2457
; %bb.2450:                             ;   in Loop: Header=BB311_2079 Depth=1
	v_bfrev_b32_e32 v33, 1
	s_mov_b32 s21, exec_lo
	v_cmpx_ne_u16_e32 0x80, v2
	s_cbranch_execz .LBB311_2456
; %bb.2451:                             ;   in Loop: Header=BB311_2079 Depth=1
	v_and_b32_e32 v34, 0xffff, v2
	v_mov_b32_e32 v33, 0x7c010000
	s_mov_b32 s22, exec_lo
	s_delay_alu instid0(VALU_DEP_2) | instskip(NEXT) | instid1(VALU_DEP_1)
	v_and_b32_e32 v117, 0x7f, v34
	v_cmpx_ne_u32_e32 0x7f, v117
	s_cbranch_execz .LBB311_2455
; %bb.2452:                             ;   in Loop: Header=BB311_2079 Depth=1
	v_and_b32_e32 v33, 7, v34
	v_lshrrev_b32_e32 v116, 3, v117
	s_mov_b32 s23, exec_lo
	v_cmpx_gt_u32_e32 8, v117
; %bb.2453:                             ;   in Loop: Header=BB311_2079 Depth=1
	s_delay_alu instid0(VALU_DEP_3) | instskip(NEXT) | instid1(VALU_DEP_1)
	v_clz_i32_u32_e32 v33, v33
	v_min_u32_e32 v33, 32, v33
	s_delay_alu instid0(VALU_DEP_1) | instskip(NEXT) | instid1(VALU_DEP_1)
	v_subrev_nc_u32_e32 v116, 28, v33
	v_lshlrev_b64_e32 v[117:118], v116, v[2:3]
	v_sub_nc_u32_e32 v116, 29, v33
	s_delay_alu instid0(VALU_DEP_2)
	v_and_b32_e32 v33, 7, v117
; %bb.2454:                             ;   in Loop: Header=BB311_2079 Depth=1
	s_wait_alu 0xfffe
	s_or_b32 exec_lo, exec_lo, s23
	v_lshlrev_b32_e32 v2, 8, v34
	v_lshl_add_u32 v34, v116, 10, 0x2000
	v_lshlrev_b32_e32 v33, 23, v33
	s_delay_alu instid0(VALU_DEP_2) | instskip(NEXT) | instid1(VALU_DEP_1)
	v_and_or_b32 v2, 0x8000, v2, v34
	v_lshl_or_b32 v33, v2, 16, v33
.LBB311_2455:                           ;   in Loop: Header=BB311_2079 Depth=1
	s_wait_alu 0xfffe
	s_or_b32 exec_lo, exec_lo, s22
.LBB311_2456:                           ;   in Loop: Header=BB311_2079 Depth=1
	s_wait_alu 0xfffe
	s_or_b32 exec_lo, exec_lo, s21
.LBB311_2457:                           ;   in Loop: Header=BB311_2079 Depth=1
	s_wait_alu 0xfffe
	s_or_b32 exec_lo, exec_lo, s20
	v_lshrrev_b32_e32 v2, 16, v13
	s_mov_b32 s20, exec_lo
	s_delay_alu instid0(VALU_DEP_1) | instskip(NEXT) | instid1(VALU_DEP_1)
	v_and_b32_e32 v34, 0xff, v2
	v_cmpx_ne_u16_e32 0, v34
	s_cbranch_execz .LBB311_2465
; %bb.2458:                             ;   in Loop: Header=BB311_2079 Depth=1
	v_mov_b32_e32 v31, 0x8000
	s_mov_b32 s21, exec_lo
	v_cmpx_ne_u16_e32 0x80, v34
	s_cbranch_execz .LBB311_2464
; %bb.2459:                             ;   in Loop: Header=BB311_2079 Depth=1
	v_bfe_u32 v116, v13, 16, 7
	v_mov_b32_e32 v31, 0x7c01
	s_mov_b32 s22, exec_lo
	s_delay_alu instid0(VALU_DEP_2)
	v_cmpx_ne_u32_e32 0x7f, v116
	s_cbranch_execz .LBB311_2463
; %bb.2460:                             ;   in Loop: Header=BB311_2079 Depth=1
	v_and_b32_e32 v31, 7, v2
	v_lshrrev_b32_e32 v34, 3, v116
	s_mov_b32 s23, exec_lo
	v_cmpx_gt_u32_e32 8, v116
; %bb.2461:                             ;   in Loop: Header=BB311_2079 Depth=1
	s_delay_alu instid0(VALU_DEP_3) | instskip(NEXT) | instid1(VALU_DEP_1)
	v_clz_i32_u32_e32 v31, v31
	v_min_u32_e32 v31, 32, v31
	s_delay_alu instid0(VALU_DEP_1) | instskip(NEXT) | instid1(VALU_DEP_1)
	v_subrev_nc_u32_e32 v34, 28, v31
	v_lshlrev_b64_e32 v[116:117], v34, v[2:3]
	v_sub_nc_u32_e32 v34, 29, v31
	s_delay_alu instid0(VALU_DEP_2)
	v_and_b32_e32 v31, 7, v116
; %bb.2462:                             ;   in Loop: Header=BB311_2079 Depth=1
	s_wait_alu 0xfffe
	s_or_b32 exec_lo, exec_lo, s23
	v_lshlrev_b32_e32 v2, 8, v2
	v_lshl_add_u32 v34, v34, 10, 0x2000
	v_lshlrev_b32_e32 v31, 7, v31
	s_delay_alu instid0(VALU_DEP_3) | instskip(NEXT) | instid1(VALU_DEP_3)
	v_and_b32_e32 v2, 0x8000, v2
	v_and_b32_e32 v34, 0xfc00, v34
	s_delay_alu instid0(VALU_DEP_1)
	v_or3_b32 v31, v2, v34, v31
.LBB311_2463:                           ;   in Loop: Header=BB311_2079 Depth=1
	s_wait_alu 0xfffe
	s_or_b32 exec_lo, exec_lo, s22
.LBB311_2464:                           ;   in Loop: Header=BB311_2079 Depth=1
	s_wait_alu 0xfffe
	s_or_b32 exec_lo, exec_lo, s21
.LBB311_2465:                           ;   in Loop: Header=BB311_2079 Depth=1
	s_wait_alu 0xfffe
	s_or_b32 exec_lo, exec_lo, s20
	v_cmp_lt_u64_e64 s8, s[16:17], v[12:13]
	v_mov_b32_e32 v12, 0
	s_and_saveexec_b32 s20, s8
	s_cbranch_execz .LBB311_2473
; %bb.2466:                             ;   in Loop: Header=BB311_2079 Depth=1
	v_lshrrev_b32_e32 v2, 24, v13
	v_bfrev_b32_e32 v12, 1
	s_mov_b32 s21, exec_lo
	s_delay_alu instid0(VALU_DEP_2)
	v_cmpx_ne_u32_e32 0x80, v2
	s_cbranch_execz .LBB311_2472
; %bb.2467:                             ;   in Loop: Header=BB311_2079 Depth=1
	v_and_b32_e32 v34, 0x7f, v2
	v_mov_b32_e32 v12, 0x7c010000
	s_mov_b32 s22, exec_lo
	s_delay_alu instid0(VALU_DEP_2)
	v_cmpx_ne_u32_e32 0x7f, v34
	s_cbranch_execz .LBB311_2471
; %bb.2468:                             ;   in Loop: Header=BB311_2079 Depth=1
	v_and_b32_e32 v12, 7, v2
	v_lshrrev_b32_e32 v13, 3, v34
	s_mov_b32 s23, exec_lo
	v_cmpx_gt_u32_e32 8, v34
; %bb.2469:                             ;   in Loop: Header=BB311_2079 Depth=1
	s_delay_alu instid0(VALU_DEP_3) | instskip(NEXT) | instid1(VALU_DEP_1)
	v_clz_i32_u32_e32 v12, v12
	v_min_u32_e32 v34, 32, v12
	s_delay_alu instid0(VALU_DEP_1) | instskip(NEXT) | instid1(VALU_DEP_1)
	v_subrev_nc_u32_e32 v12, 28, v34
	v_lshlrev_b64_e32 v[12:13], v12, v[2:3]
	v_sub_nc_u32_e32 v13, 29, v34
	s_delay_alu instid0(VALU_DEP_2)
	v_and_b32_e32 v12, 7, v12
; %bb.2470:                             ;   in Loop: Header=BB311_2079 Depth=1
	s_wait_alu 0xfffe
	s_or_b32 exec_lo, exec_lo, s23
	v_lshlrev_b32_e32 v2, 8, v2
	v_lshl_add_u32 v13, v13, 10, 0x2000
	v_lshlrev_b32_e32 v12, 23, v12
	s_delay_alu instid0(VALU_DEP_2) | instskip(NEXT) | instid1(VALU_DEP_1)
	v_and_or_b32 v2, 0x8000, v2, v13
	v_lshl_or_b32 v12, v2, 16, v12
.LBB311_2471:                           ;   in Loop: Header=BB311_2079 Depth=1
	s_wait_alu 0xfffe
	s_or_b32 exec_lo, exec_lo, s22
.LBB311_2472:                           ;   in Loop: Header=BB311_2079 Depth=1
	s_wait_alu 0xfffe
	s_or_b32 exec_lo, exec_lo, s21
.LBB311_2473:                           ;   in Loop: Header=BB311_2079 Depth=1
	s_wait_alu 0xfffe
	s_or_b32 exec_lo, exec_lo, s20
	v_or_b32_e32 v2, v23, v30
	s_wait_loadcnt_dscnt 0x0
	v_fma_mixlo_f16 v13, v4, v23, 0 op_sel:[0,1,0] op_sel_hi:[0,1,0]
	v_or_b32_e32 v22, v5, v22
	v_fma_mixlo_f16 v5, v4, v5, 0 op_sel:[0,1,0] op_sel_hi:[0,1,0]
	v_or_b32_e32 v23, v33, v32
	v_fma_mixlo_f16 v30, v4, v2, 0 op_sel_hi:[0,1,0]
	v_or_b32_e32 v31, v12, v31
	v_lshlrev_b32_e32 v2, 16, v13
	v_lshlrev_b32_e32 v13, 16, v5
	v_fma_mixlo_f16 v22, v4, v22, 0 op_sel_hi:[0,1,0]
	v_and_b32_e32 v5, 0xffff, v30
	v_fma_mixlo_f16 v30, v4, v33, 0 op_sel:[0,1,0] op_sel_hi:[0,1,0]
	v_fma_mixlo_f16 v23, v4, v23, 0 op_sel_hi:[0,1,0]
	v_fma_mixlo_f16 v12, v4, v12, 0 op_sel:[0,1,0] op_sel_hi:[0,1,0]
	v_fma_mixlo_f16 v4, v4, v31, 0 op_sel_hi:[0,1,0]
	v_and_b32_e32 v34, 0xffff, v22
	v_lshlrev_b32_e32 v31, 16, v30
	v_and_b32_e32 v33, 0xffff, v23
	v_lshlrev_b32_e32 v30, 16, v12
	v_and_b32_e32 v32, 0xffff, v4
	v_or_b32_e32 v4, v2, v5
	v_or_b32_e32 v23, v13, v34
	;; [unrolled: 1-line block ×3, first 2 shown]
	s_delay_alu instid0(VALU_DEP_4)
	v_or_b32_e32 v12, v30, v32
	s_and_saveexec_b32 s8, s2
	s_cbranch_execz .LBB311_2475
; %bb.2474:                             ;   in Loop: Header=BB311_2079 Depth=1
	s_wait_alu 0xfffd
	v_cndmask_b32_e32 v4, 0, v34, vcc_lo
	v_cndmask_b32_e64 v12, 0, v13, s1
	v_cndmask_b32_e64 v5, 0, v5, s0
	;; [unrolled: 1-line block ×7, first 2 shown]
	v_or_b32_e32 v23, v4, v12
	v_or_b32_e32 v4, v5, v2
	;; [unrolled: 1-line block ×3, first 2 shown]
	s_delay_alu instid0(VALU_DEP_4)
	v_or_b32_e32 v12, v31, v30
.LBB311_2475:                           ;   in Loop: Header=BB311_2079 Depth=1
	s_wait_alu 0xfffe
	s_or_b32 exec_lo, exec_lo, s8
	;;#ASMSTART
	v_pk_mul_f16 v2, v98, v23;

	;;#ASMEND
	;;#ASMSTART
	v_pk_mul_f16 v4, v96, v4;

	;;#ASMEND
	;; [unrolled: 4-line block ×4, first 2 shown]
	;;#ASMSTART
	v_pk_add_f16 v2, v2, v4;

	;;#ASMEND
	;;#ASMSTART
	v_pk_add_f16 v2, v2, v5;

	;;#ASMEND
	;; [unrolled: 4-line block ×3, first 2 shown]
	v_dual_mov_b32 v5, 0 :: v_dual_and_b32 v4, 0xffff, v2
	v_lshrrev_b32_e32 v2, 16, v2
	;;#ASMSTART
	v_cvt_f32_f16 v116, v4;
	;;#ASMEND
	;;#ASMSTART
	v_cvt_f32_f16 v117, v2;
	;;#ASMEND
	flat_load_b64 v[12:13], v[10:11] offset:1536
	flat_load_b32 v4, v[26:27]
	v_mov_b32_e32 v22, 0
	s_mov_b32 s20, exec_lo
	s_wait_loadcnt_dscnt 0x101
	v_and_b32_e32 v2, 0xff, v12
	s_delay_alu instid0(VALU_DEP_1)
	v_cmpx_ne_u16_e32 0, v2
	s_cbranch_execz .LBB311_2483
; %bb.2476:                             ;   in Loop: Header=BB311_2079 Depth=1
	v_mov_b32_e32 v22, 0x8000
	s_mov_b32 s21, exec_lo
	v_cmpx_ne_u16_e32 0x80, v2
	s_cbranch_execz .LBB311_2482
; %bb.2477:                             ;   in Loop: Header=BB311_2079 Depth=1
	v_and_b32_e32 v23, 0x7f, v12
	v_mov_b32_e32 v22, 0x7c01
	s_mov_b32 s22, exec_lo
	s_delay_alu instid0(VALU_DEP_2)
	v_cmpx_ne_u32_e32 0x7f, v23
	s_cbranch_execz .LBB311_2481
; %bb.2478:                             ;   in Loop: Header=BB311_2079 Depth=1
	v_and_b32_e32 v2, 7, v12
	v_lshrrev_b32_e32 v22, 3, v23
	s_mov_b32 s23, exec_lo
	v_cmpx_gt_u32_e32 8, v23
; %bb.2479:                             ;   in Loop: Header=BB311_2079 Depth=1
	s_delay_alu instid0(VALU_DEP_3) | instskip(NEXT) | instid1(VALU_DEP_1)
	v_clz_i32_u32_e32 v2, v2
	v_min_u32_e32 v2, 32, v2
	s_delay_alu instid0(VALU_DEP_1) | instskip(NEXT) | instid1(VALU_DEP_1)
	v_subrev_nc_u32_e32 v22, 28, v2
	v_lshlrev_b64_e32 v[30:31], v22, v[12:13]
	v_sub_nc_u32_e32 v22, 29, v2
	s_delay_alu instid0(VALU_DEP_2)
	v_and_b32_e32 v2, 7, v30
; %bb.2480:                             ;   in Loop: Header=BB311_2079 Depth=1
	s_wait_alu 0xfffe
	s_or_b32 exec_lo, exec_lo, s23
	v_lshlrev_b32_e32 v23, 8, v12
	v_lshl_add_u32 v22, v22, 10, 0x2000
	v_lshlrev_b32_e32 v2, 7, v2
	s_delay_alu instid0(VALU_DEP_3) | instskip(NEXT) | instid1(VALU_DEP_3)
	v_and_b32_e32 v23, 0x8000, v23
	v_and_b32_e32 v22, 0xfc00, v22
	s_delay_alu instid0(VALU_DEP_1)
	v_or3_b32 v22, v23, v22, v2
.LBB311_2481:                           ;   in Loop: Header=BB311_2079 Depth=1
	s_wait_alu 0xfffe
	s_or_b32 exec_lo, exec_lo, s22
.LBB311_2482:                           ;   in Loop: Header=BB311_2079 Depth=1
	s_wait_alu 0xfffe
	s_or_b32 exec_lo, exec_lo, s21
.LBB311_2483:                           ;   in Loop: Header=BB311_2079 Depth=1
	s_wait_alu 0xfffe
	s_or_b32 exec_lo, exec_lo, s20
	v_lshrrev_b16 v2, 8, v12
	s_mov_b32 s20, exec_lo
	s_delay_alu instid0(VALU_DEP_1)
	v_cmpx_ne_u16_e32 0, v2
	s_cbranch_execz .LBB311_2491
; %bb.2484:                             ;   in Loop: Header=BB311_2079 Depth=1
	v_bfrev_b32_e32 v5, 1
	s_mov_b32 s21, exec_lo
	v_cmpx_ne_u16_e32 0x80, v2
	s_cbranch_execz .LBB311_2490
; %bb.2485:                             ;   in Loop: Header=BB311_2079 Depth=1
	v_and_b32_e32 v23, 0xffff, v2
	v_mov_b32_e32 v5, 0x7c010000
	s_mov_b32 s22, exec_lo
	s_delay_alu instid0(VALU_DEP_2) | instskip(NEXT) | instid1(VALU_DEP_1)
	v_and_b32_e32 v31, 0x7f, v23
	v_cmpx_ne_u32_e32 0x7f, v31
	s_cbranch_execz .LBB311_2489
; %bb.2486:                             ;   in Loop: Header=BB311_2079 Depth=1
	v_and_b32_e32 v5, 7, v23
	v_lshrrev_b32_e32 v30, 3, v31
	s_mov_b32 s23, exec_lo
	v_cmpx_gt_u32_e32 8, v31
; %bb.2487:                             ;   in Loop: Header=BB311_2079 Depth=1
	s_delay_alu instid0(VALU_DEP_3) | instskip(NEXT) | instid1(VALU_DEP_1)
	v_clz_i32_u32_e32 v5, v5
	v_min_u32_e32 v5, 32, v5
	s_delay_alu instid0(VALU_DEP_1) | instskip(NEXT) | instid1(VALU_DEP_1)
	v_subrev_nc_u32_e32 v30, 28, v5
	v_lshlrev_b64_e32 v[31:32], v30, v[2:3]
	v_sub_nc_u32_e32 v30, 29, v5
	s_delay_alu instid0(VALU_DEP_2)
	v_and_b32_e32 v5, 7, v31
; %bb.2488:                             ;   in Loop: Header=BB311_2079 Depth=1
	s_wait_alu 0xfffe
	s_or_b32 exec_lo, exec_lo, s23
	v_lshlrev_b32_e32 v2, 8, v23
	v_lshl_add_u32 v23, v30, 10, 0x2000
	v_lshlrev_b32_e32 v5, 23, v5
	s_delay_alu instid0(VALU_DEP_2) | instskip(NEXT) | instid1(VALU_DEP_1)
	v_and_or_b32 v2, 0x8000, v2, v23
	v_lshl_or_b32 v5, v2, 16, v5
.LBB311_2489:                           ;   in Loop: Header=BB311_2079 Depth=1
	s_wait_alu 0xfffe
	s_or_b32 exec_lo, exec_lo, s22
.LBB311_2490:                           ;   in Loop: Header=BB311_2079 Depth=1
	s_wait_alu 0xfffe
	s_or_b32 exec_lo, exec_lo, s21
.LBB311_2491:                           ;   in Loop: Header=BB311_2079 Depth=1
	s_wait_alu 0xfffe
	s_or_b32 exec_lo, exec_lo, s20
	v_lshrrev_b32_e32 v2, 16, v12
	v_mov_b32_e32 v23, 0
	s_mov_b32 s20, exec_lo
	s_delay_alu instid0(VALU_DEP_2) | instskip(NEXT) | instid1(VALU_DEP_1)
	v_dual_mov_b32 v30, 0 :: v_dual_and_b32 v31, 0xff, v2
	v_cmpx_ne_u16_e32 0, v31
	s_cbranch_execz .LBB311_2499
; %bb.2492:                             ;   in Loop: Header=BB311_2079 Depth=1
	v_mov_b32_e32 v30, 0x8000
	s_mov_b32 s21, exec_lo
	v_cmpx_ne_u16_e32 0x80, v31
	s_cbranch_execz .LBB311_2498
; %bb.2493:                             ;   in Loop: Header=BB311_2079 Depth=1
	v_bfe_u32 v32, v12, 16, 7
	v_mov_b32_e32 v30, 0x7c01
	s_mov_b32 s22, exec_lo
	s_delay_alu instid0(VALU_DEP_2)
	v_cmpx_ne_u32_e32 0x7f, v32
	s_cbranch_execz .LBB311_2497
; %bb.2494:                             ;   in Loop: Header=BB311_2079 Depth=1
	v_and_b32_e32 v30, 7, v2
	v_lshrrev_b32_e32 v31, 3, v32
	s_mov_b32 s23, exec_lo
	v_cmpx_gt_u32_e32 8, v32
; %bb.2495:                             ;   in Loop: Header=BB311_2079 Depth=1
	s_delay_alu instid0(VALU_DEP_3) | instskip(NEXT) | instid1(VALU_DEP_1)
	v_clz_i32_u32_e32 v30, v30
	v_min_u32_e32 v32, 32, v30
	s_delay_alu instid0(VALU_DEP_1) | instskip(NEXT) | instid1(VALU_DEP_1)
	v_subrev_nc_u32_e32 v30, 28, v32
	v_lshlrev_b64_e32 v[30:31], v30, v[2:3]
	v_sub_nc_u32_e32 v31, 29, v32
	s_delay_alu instid0(VALU_DEP_2)
	v_and_b32_e32 v30, 7, v30
; %bb.2496:                             ;   in Loop: Header=BB311_2079 Depth=1
	s_wait_alu 0xfffe
	s_or_b32 exec_lo, exec_lo, s23
	v_lshlrev_b32_e32 v2, 8, v2
	v_lshl_add_u32 v31, v31, 10, 0x2000
	v_lshlrev_b32_e32 v30, 7, v30
	s_delay_alu instid0(VALU_DEP_3) | instskip(NEXT) | instid1(VALU_DEP_3)
	v_and_b32_e32 v2, 0x8000, v2
	v_and_b32_e32 v31, 0xfc00, v31
	s_delay_alu instid0(VALU_DEP_1)
	v_or3_b32 v30, v2, v31, v30
.LBB311_2497:                           ;   in Loop: Header=BB311_2079 Depth=1
	s_wait_alu 0xfffe
	s_or_b32 exec_lo, exec_lo, s22
.LBB311_2498:                           ;   in Loop: Header=BB311_2079 Depth=1
	s_wait_alu 0xfffe
	s_or_b32 exec_lo, exec_lo, s21
.LBB311_2499:                           ;   in Loop: Header=BB311_2079 Depth=1
	s_wait_alu 0xfffe
	s_or_b32 exec_lo, exec_lo, s20
	s_delay_alu instid0(SALU_CYCLE_1)
	s_mov_b32 s20, exec_lo
	v_cmpx_lt_u32_e32 0xffffff, v12
	s_cbranch_execz .LBB311_2507
; %bb.2500:                             ;   in Loop: Header=BB311_2079 Depth=1
	v_lshrrev_b32_e32 v2, 24, v12
	v_bfrev_b32_e32 v23, 1
	s_mov_b32 s21, exec_lo
	s_delay_alu instid0(VALU_DEP_2)
	v_cmpx_ne_u32_e32 0x80, v2
	s_cbranch_execz .LBB311_2506
; %bb.2501:                             ;   in Loop: Header=BB311_2079 Depth=1
	v_and_b32_e32 v32, 0x7f, v2
	v_mov_b32_e32 v23, 0x7c010000
	s_mov_b32 s22, exec_lo
	s_delay_alu instid0(VALU_DEP_2)
	v_cmpx_ne_u32_e32 0x7f, v32
	s_cbranch_execz .LBB311_2505
; %bb.2502:                             ;   in Loop: Header=BB311_2079 Depth=1
	v_and_b32_e32 v23, 7, v2
	v_lshrrev_b32_e32 v31, 3, v32
	s_mov_b32 s23, exec_lo
	v_cmpx_gt_u32_e32 8, v32
; %bb.2503:                             ;   in Loop: Header=BB311_2079 Depth=1
	s_delay_alu instid0(VALU_DEP_3) | instskip(NEXT) | instid1(VALU_DEP_1)
	v_clz_i32_u32_e32 v23, v23
	v_min_u32_e32 v23, 32, v23
	s_delay_alu instid0(VALU_DEP_1) | instskip(NEXT) | instid1(VALU_DEP_1)
	v_subrev_nc_u32_e32 v31, 28, v23
	v_lshlrev_b64_e32 v[32:33], v31, v[2:3]
	v_sub_nc_u32_e32 v31, 29, v23
	s_delay_alu instid0(VALU_DEP_2)
	v_and_b32_e32 v23, 7, v32
; %bb.2504:                             ;   in Loop: Header=BB311_2079 Depth=1
	s_wait_alu 0xfffe
	s_or_b32 exec_lo, exec_lo, s23
	v_lshlrev_b32_e32 v2, 8, v2
	v_lshl_add_u32 v31, v31, 10, 0x2000
	v_lshlrev_b32_e32 v23, 23, v23
	s_delay_alu instid0(VALU_DEP_2) | instskip(NEXT) | instid1(VALU_DEP_1)
	v_and_or_b32 v2, 0x8000, v2, v31
	v_lshl_or_b32 v23, v2, 16, v23
.LBB311_2505:                           ;   in Loop: Header=BB311_2079 Depth=1
	s_wait_alu 0xfffe
	s_or_b32 exec_lo, exec_lo, s22
.LBB311_2506:                           ;   in Loop: Header=BB311_2079 Depth=1
	s_wait_alu 0xfffe
	s_or_b32 exec_lo, exec_lo, s21
.LBB311_2507:                           ;   in Loop: Header=BB311_2079 Depth=1
	s_wait_alu 0xfffe
	s_or_b32 exec_lo, exec_lo, s20
	v_dual_mov_b32 v2, v13 :: v_dual_and_b32 v33, 0xff, v13
	v_dual_mov_b32 v31, 0 :: v_dual_mov_b32 v32, 0
	s_mov_b32 s20, exec_lo
	s_delay_alu instid0(VALU_DEP_2)
	v_cmpx_ne_u16_e32 0, v33
	s_cbranch_execz .LBB311_2515
; %bb.2508:                             ;   in Loop: Header=BB311_2079 Depth=1
	v_mov_b32_e32 v32, 0x8000
	s_mov_b32 s21, exec_lo
	v_cmpx_ne_u16_e32 0x80, v33
	s_cbranch_execz .LBB311_2514
; %bb.2509:                             ;   in Loop: Header=BB311_2079 Depth=1
	v_and_b32_e32 v34, 0x7f, v13
	v_mov_b32_e32 v32, 0x7c01
	s_mov_b32 s22, exec_lo
	s_delay_alu instid0(VALU_DEP_2)
	v_cmpx_ne_u32_e32 0x7f, v34
	s_cbranch_execz .LBB311_2513
; %bb.2510:                             ;   in Loop: Header=BB311_2079 Depth=1
	v_and_b32_e32 v32, 7, v13
	v_lshrrev_b32_e32 v33, 3, v34
	s_mov_b32 s23, exec_lo
	v_cmpx_gt_u32_e32 8, v34
; %bb.2511:                             ;   in Loop: Header=BB311_2079 Depth=1
	s_delay_alu instid0(VALU_DEP_3) | instskip(NEXT) | instid1(VALU_DEP_1)
	v_clz_i32_u32_e32 v32, v32
	v_min_u32_e32 v34, 32, v32
	s_delay_alu instid0(VALU_DEP_1) | instskip(NEXT) | instid1(VALU_DEP_1)
	v_subrev_nc_u32_e32 v32, 28, v34
	v_lshlrev_b64_e32 v[32:33], v32, v[2:3]
	v_sub_nc_u32_e32 v33, 29, v34
	s_delay_alu instid0(VALU_DEP_2)
	v_and_b32_e32 v32, 7, v32
; %bb.2512:                             ;   in Loop: Header=BB311_2079 Depth=1
	s_wait_alu 0xfffe
	s_or_b32 exec_lo, exec_lo, s23
	v_lshlrev_b32_e32 v34, 8, v13
	v_lshl_add_u32 v33, v33, 10, 0x2000
	v_lshlrev_b32_e32 v32, 7, v32
	s_delay_alu instid0(VALU_DEP_3) | instskip(NEXT) | instid1(VALU_DEP_3)
	v_and_b32_e32 v34, 0x8000, v34
	v_and_b32_e32 v33, 0xfc00, v33
	s_delay_alu instid0(VALU_DEP_1)
	v_or3_b32 v32, v34, v33, v32
.LBB311_2513:                           ;   in Loop: Header=BB311_2079 Depth=1
	s_wait_alu 0xfffe
	s_or_b32 exec_lo, exec_lo, s22
.LBB311_2514:                           ;   in Loop: Header=BB311_2079 Depth=1
	s_wait_alu 0xfffe
	s_or_b32 exec_lo, exec_lo, s21
.LBB311_2515:                           ;   in Loop: Header=BB311_2079 Depth=1
	s_wait_alu 0xfffe
	s_or_b32 exec_lo, exec_lo, s20
	v_lshrrev_b16 v2, 8, v2
	v_mov_b32_e32 v33, 0
	s_mov_b32 s20, exec_lo
	s_delay_alu instid0(VALU_DEP_2)
	v_cmpx_ne_u16_e32 0, v2
	s_cbranch_execz .LBB311_2523
; %bb.2516:                             ;   in Loop: Header=BB311_2079 Depth=1
	v_bfrev_b32_e32 v33, 1
	s_mov_b32 s21, exec_lo
	v_cmpx_ne_u16_e32 0x80, v2
	s_cbranch_execz .LBB311_2522
; %bb.2517:                             ;   in Loop: Header=BB311_2079 Depth=1
	v_and_b32_e32 v34, 0xffff, v2
	v_mov_b32_e32 v33, 0x7c010000
	s_mov_b32 s22, exec_lo
	s_delay_alu instid0(VALU_DEP_2) | instskip(NEXT) | instid1(VALU_DEP_1)
	v_and_b32_e32 v119, 0x7f, v34
	v_cmpx_ne_u32_e32 0x7f, v119
	s_cbranch_execz .LBB311_2521
; %bb.2518:                             ;   in Loop: Header=BB311_2079 Depth=1
	v_and_b32_e32 v33, 7, v34
	v_lshrrev_b32_e32 v118, 3, v119
	s_mov_b32 s23, exec_lo
	v_cmpx_gt_u32_e32 8, v119
; %bb.2519:                             ;   in Loop: Header=BB311_2079 Depth=1
	s_delay_alu instid0(VALU_DEP_3) | instskip(NEXT) | instid1(VALU_DEP_1)
	v_clz_i32_u32_e32 v33, v33
	v_min_u32_e32 v33, 32, v33
	s_delay_alu instid0(VALU_DEP_1) | instskip(NEXT) | instid1(VALU_DEP_1)
	v_subrev_nc_u32_e32 v118, 28, v33
	v_lshlrev_b64_e32 v[128:129], v118, v[2:3]
	v_sub_nc_u32_e32 v118, 29, v33
	s_delay_alu instid0(VALU_DEP_2)
	v_and_b32_e32 v33, 7, v128
; %bb.2520:                             ;   in Loop: Header=BB311_2079 Depth=1
	s_wait_alu 0xfffe
	s_or_b32 exec_lo, exec_lo, s23
	v_lshlrev_b32_e32 v2, 8, v34
	v_lshl_add_u32 v34, v118, 10, 0x2000
	v_lshlrev_b32_e32 v33, 23, v33
	s_delay_alu instid0(VALU_DEP_2) | instskip(NEXT) | instid1(VALU_DEP_1)
	v_and_or_b32 v2, 0x8000, v2, v34
	v_lshl_or_b32 v33, v2, 16, v33
.LBB311_2521:                           ;   in Loop: Header=BB311_2079 Depth=1
	s_wait_alu 0xfffe
	s_or_b32 exec_lo, exec_lo, s22
.LBB311_2522:                           ;   in Loop: Header=BB311_2079 Depth=1
	s_wait_alu 0xfffe
	s_or_b32 exec_lo, exec_lo, s21
.LBB311_2523:                           ;   in Loop: Header=BB311_2079 Depth=1
	s_wait_alu 0xfffe
	s_or_b32 exec_lo, exec_lo, s20
	v_lshrrev_b32_e32 v2, 16, v13
	s_mov_b32 s20, exec_lo
	s_delay_alu instid0(VALU_DEP_1) | instskip(NEXT) | instid1(VALU_DEP_1)
	v_and_b32_e32 v34, 0xff, v2
	v_cmpx_ne_u16_e32 0, v34
	s_cbranch_execz .LBB311_2531
; %bb.2524:                             ;   in Loop: Header=BB311_2079 Depth=1
	v_mov_b32_e32 v31, 0x8000
	s_mov_b32 s21, exec_lo
	v_cmpx_ne_u16_e32 0x80, v34
	s_cbranch_execz .LBB311_2530
; %bb.2525:                             ;   in Loop: Header=BB311_2079 Depth=1
	v_bfe_u32 v118, v13, 16, 7
	v_mov_b32_e32 v31, 0x7c01
	s_mov_b32 s22, exec_lo
	s_delay_alu instid0(VALU_DEP_2)
	v_cmpx_ne_u32_e32 0x7f, v118
	s_cbranch_execz .LBB311_2529
; %bb.2526:                             ;   in Loop: Header=BB311_2079 Depth=1
	v_and_b32_e32 v31, 7, v2
	v_lshrrev_b32_e32 v34, 3, v118
	s_mov_b32 s23, exec_lo
	v_cmpx_gt_u32_e32 8, v118
; %bb.2527:                             ;   in Loop: Header=BB311_2079 Depth=1
	s_delay_alu instid0(VALU_DEP_3) | instskip(NEXT) | instid1(VALU_DEP_1)
	v_clz_i32_u32_e32 v31, v31
	v_min_u32_e32 v31, 32, v31
	s_delay_alu instid0(VALU_DEP_1) | instskip(NEXT) | instid1(VALU_DEP_1)
	v_subrev_nc_u32_e32 v34, 28, v31
	v_lshlrev_b64_e32 v[118:119], v34, v[2:3]
	v_sub_nc_u32_e32 v34, 29, v31
	s_delay_alu instid0(VALU_DEP_2)
	v_and_b32_e32 v31, 7, v118
; %bb.2528:                             ;   in Loop: Header=BB311_2079 Depth=1
	s_wait_alu 0xfffe
	s_or_b32 exec_lo, exec_lo, s23
	v_lshlrev_b32_e32 v2, 8, v2
	v_lshl_add_u32 v34, v34, 10, 0x2000
	v_lshlrev_b32_e32 v31, 7, v31
	s_delay_alu instid0(VALU_DEP_3) | instskip(NEXT) | instid1(VALU_DEP_3)
	v_and_b32_e32 v2, 0x8000, v2
	v_and_b32_e32 v34, 0xfc00, v34
	s_delay_alu instid0(VALU_DEP_1)
	v_or3_b32 v31, v2, v34, v31
.LBB311_2529:                           ;   in Loop: Header=BB311_2079 Depth=1
	s_wait_alu 0xfffe
	s_or_b32 exec_lo, exec_lo, s22
.LBB311_2530:                           ;   in Loop: Header=BB311_2079 Depth=1
	s_wait_alu 0xfffe
	s_or_b32 exec_lo, exec_lo, s21
.LBB311_2531:                           ;   in Loop: Header=BB311_2079 Depth=1
	s_wait_alu 0xfffe
	s_or_b32 exec_lo, exec_lo, s20
	v_cmp_lt_u64_e64 s8, s[16:17], v[12:13]
	v_mov_b32_e32 v12, 0
	s_and_saveexec_b32 s20, s8
	s_cbranch_execz .LBB311_2539
; %bb.2532:                             ;   in Loop: Header=BB311_2079 Depth=1
	v_lshrrev_b32_e32 v2, 24, v13
	v_bfrev_b32_e32 v12, 1
	s_mov_b32 s21, exec_lo
	s_delay_alu instid0(VALU_DEP_2)
	v_cmpx_ne_u32_e32 0x80, v2
	s_cbranch_execz .LBB311_2538
; %bb.2533:                             ;   in Loop: Header=BB311_2079 Depth=1
	v_and_b32_e32 v34, 0x7f, v2
	v_mov_b32_e32 v12, 0x7c010000
	s_mov_b32 s22, exec_lo
	s_delay_alu instid0(VALU_DEP_2)
	v_cmpx_ne_u32_e32 0x7f, v34
	s_cbranch_execz .LBB311_2537
; %bb.2534:                             ;   in Loop: Header=BB311_2079 Depth=1
	v_and_b32_e32 v12, 7, v2
	v_lshrrev_b32_e32 v13, 3, v34
	s_mov_b32 s23, exec_lo
	v_cmpx_gt_u32_e32 8, v34
; %bb.2535:                             ;   in Loop: Header=BB311_2079 Depth=1
	s_delay_alu instid0(VALU_DEP_3) | instskip(NEXT) | instid1(VALU_DEP_1)
	v_clz_i32_u32_e32 v12, v12
	v_min_u32_e32 v34, 32, v12
	s_delay_alu instid0(VALU_DEP_1) | instskip(NEXT) | instid1(VALU_DEP_1)
	v_subrev_nc_u32_e32 v12, 28, v34
	v_lshlrev_b64_e32 v[12:13], v12, v[2:3]
	v_sub_nc_u32_e32 v13, 29, v34
	s_delay_alu instid0(VALU_DEP_2)
	v_and_b32_e32 v12, 7, v12
; %bb.2536:                             ;   in Loop: Header=BB311_2079 Depth=1
	s_wait_alu 0xfffe
	s_or_b32 exec_lo, exec_lo, s23
	v_lshlrev_b32_e32 v2, 8, v2
	v_lshl_add_u32 v13, v13, 10, 0x2000
	v_lshlrev_b32_e32 v12, 23, v12
	s_delay_alu instid0(VALU_DEP_2) | instskip(NEXT) | instid1(VALU_DEP_1)
	v_and_or_b32 v2, 0x8000, v2, v13
	v_lshl_or_b32 v12, v2, 16, v12
.LBB311_2537:                           ;   in Loop: Header=BB311_2079 Depth=1
	s_wait_alu 0xfffe
	s_or_b32 exec_lo, exec_lo, s22
.LBB311_2538:                           ;   in Loop: Header=BB311_2079 Depth=1
	s_wait_alu 0xfffe
	s_or_b32 exec_lo, exec_lo, s21
.LBB311_2539:                           ;   in Loop: Header=BB311_2079 Depth=1
	s_wait_alu 0xfffe
	s_or_b32 exec_lo, exec_lo, s20
	v_or_b32_e32 v2, v23, v30
	s_wait_loadcnt_dscnt 0x0
	v_fma_mixlo_f16 v13, v4, v23, 0 op_sel:[0,1,0] op_sel_hi:[0,1,0]
	v_or_b32_e32 v22, v5, v22
	v_fma_mixlo_f16 v5, v4, v5, 0 op_sel:[0,1,0] op_sel_hi:[0,1,0]
	v_or_b32_e32 v23, v33, v32
	v_fma_mixlo_f16 v30, v4, v2, 0 op_sel_hi:[0,1,0]
	v_or_b32_e32 v31, v12, v31
	v_lshlrev_b32_e32 v2, 16, v13
	v_lshlrev_b32_e32 v13, 16, v5
	v_fma_mixlo_f16 v22, v4, v22, 0 op_sel_hi:[0,1,0]
	v_and_b32_e32 v5, 0xffff, v30
	v_fma_mixlo_f16 v30, v4, v33, 0 op_sel:[0,1,0] op_sel_hi:[0,1,0]
	v_fma_mixlo_f16 v23, v4, v23, 0 op_sel_hi:[0,1,0]
	v_fma_mixlo_f16 v12, v4, v12, 0 op_sel:[0,1,0] op_sel_hi:[0,1,0]
	v_fma_mixlo_f16 v4, v4, v31, 0 op_sel_hi:[0,1,0]
	v_and_b32_e32 v34, 0xffff, v22
	v_lshlrev_b32_e32 v31, 16, v30
	v_and_b32_e32 v33, 0xffff, v23
	v_lshlrev_b32_e32 v30, 16, v12
	v_and_b32_e32 v32, 0xffff, v4
	v_or_b32_e32 v4, v2, v5
	v_or_b32_e32 v23, v13, v34
	;; [unrolled: 1-line block ×3, first 2 shown]
	s_delay_alu instid0(VALU_DEP_4)
	v_or_b32_e32 v12, v30, v32
	s_and_saveexec_b32 s8, s2
	s_cbranch_execz .LBB311_2541
; %bb.2540:                             ;   in Loop: Header=BB311_2079 Depth=1
	s_wait_alu 0xfffd
	v_cndmask_b32_e32 v4, 0, v34, vcc_lo
	v_cndmask_b32_e64 v12, 0, v13, s1
	v_cndmask_b32_e64 v5, 0, v5, s0
	;; [unrolled: 1-line block ×7, first 2 shown]
	v_or_b32_e32 v23, v4, v12
	v_or_b32_e32 v4, v5, v2
	;; [unrolled: 1-line block ×3, first 2 shown]
	s_delay_alu instid0(VALU_DEP_4)
	v_or_b32_e32 v12, v31, v30
.LBB311_2541:                           ;   in Loop: Header=BB311_2079 Depth=1
	s_wait_alu 0xfffe
	s_or_b32 exec_lo, exec_lo, s8
	;;#ASMSTART
	v_pk_mul_f16 v2, v98, v23;

	;;#ASMEND
	;;#ASMSTART
	v_pk_mul_f16 v4, v96, v4;

	;;#ASMEND
	;; [unrolled: 4-line block ×4, first 2 shown]
	;;#ASMSTART
	v_pk_add_f16 v2, v2, v4;

	;;#ASMEND
	;;#ASMSTART
	v_pk_add_f16 v2, v2, v5;

	;;#ASMEND
	;; [unrolled: 4-line block ×3, first 2 shown]
	v_dual_mov_b32 v5, 0 :: v_dual_and_b32 v4, 0xffff, v2
	v_lshrrev_b32_e32 v2, 16, v2
	;;#ASMSTART
	v_cvt_f32_f16 v118, v4;
	;;#ASMEND
	;;#ASMSTART
	v_cvt_f32_f16 v119, v2;
	;;#ASMEND
	flat_load_b64 v[12:13], v[10:11] offset:1792
	flat_load_b32 v4, v[26:27]
	v_mov_b32_e32 v22, 0
	s_mov_b32 s20, exec_lo
	s_wait_loadcnt_dscnt 0x101
	v_and_b32_e32 v2, 0xff, v12
	s_delay_alu instid0(VALU_DEP_1)
	v_cmpx_ne_u16_e32 0, v2
	s_cbranch_execz .LBB311_2549
; %bb.2542:                             ;   in Loop: Header=BB311_2079 Depth=1
	v_mov_b32_e32 v22, 0x8000
	s_mov_b32 s21, exec_lo
	v_cmpx_ne_u16_e32 0x80, v2
	s_cbranch_execz .LBB311_2548
; %bb.2543:                             ;   in Loop: Header=BB311_2079 Depth=1
	v_and_b32_e32 v23, 0x7f, v12
	v_mov_b32_e32 v22, 0x7c01
	s_mov_b32 s22, exec_lo
	s_delay_alu instid0(VALU_DEP_2)
	v_cmpx_ne_u32_e32 0x7f, v23
	s_cbranch_execz .LBB311_2547
; %bb.2544:                             ;   in Loop: Header=BB311_2079 Depth=1
	v_and_b32_e32 v2, 7, v12
	v_lshrrev_b32_e32 v22, 3, v23
	s_mov_b32 s23, exec_lo
	v_cmpx_gt_u32_e32 8, v23
; %bb.2545:                             ;   in Loop: Header=BB311_2079 Depth=1
	s_delay_alu instid0(VALU_DEP_3) | instskip(NEXT) | instid1(VALU_DEP_1)
	v_clz_i32_u32_e32 v2, v2
	v_min_u32_e32 v2, 32, v2
	s_delay_alu instid0(VALU_DEP_1) | instskip(NEXT) | instid1(VALU_DEP_1)
	v_subrev_nc_u32_e32 v22, 28, v2
	v_lshlrev_b64_e32 v[30:31], v22, v[12:13]
	v_sub_nc_u32_e32 v22, 29, v2
	s_delay_alu instid0(VALU_DEP_2)
	v_and_b32_e32 v2, 7, v30
; %bb.2546:                             ;   in Loop: Header=BB311_2079 Depth=1
	s_wait_alu 0xfffe
	s_or_b32 exec_lo, exec_lo, s23
	v_lshlrev_b32_e32 v23, 8, v12
	v_lshl_add_u32 v22, v22, 10, 0x2000
	v_lshlrev_b32_e32 v2, 7, v2
	s_delay_alu instid0(VALU_DEP_3) | instskip(NEXT) | instid1(VALU_DEP_3)
	v_and_b32_e32 v23, 0x8000, v23
	v_and_b32_e32 v22, 0xfc00, v22
	s_delay_alu instid0(VALU_DEP_1)
	v_or3_b32 v22, v23, v22, v2
.LBB311_2547:                           ;   in Loop: Header=BB311_2079 Depth=1
	s_wait_alu 0xfffe
	s_or_b32 exec_lo, exec_lo, s22
.LBB311_2548:                           ;   in Loop: Header=BB311_2079 Depth=1
	s_wait_alu 0xfffe
	s_or_b32 exec_lo, exec_lo, s21
.LBB311_2549:                           ;   in Loop: Header=BB311_2079 Depth=1
	s_wait_alu 0xfffe
	s_or_b32 exec_lo, exec_lo, s20
	v_lshrrev_b16 v2, 8, v12
	s_mov_b32 s20, exec_lo
	s_delay_alu instid0(VALU_DEP_1)
	v_cmpx_ne_u16_e32 0, v2
	s_cbranch_execz .LBB311_2557
; %bb.2550:                             ;   in Loop: Header=BB311_2079 Depth=1
	v_bfrev_b32_e32 v5, 1
	s_mov_b32 s21, exec_lo
	v_cmpx_ne_u16_e32 0x80, v2
	s_cbranch_execz .LBB311_2556
; %bb.2551:                             ;   in Loop: Header=BB311_2079 Depth=1
	v_and_b32_e32 v23, 0xffff, v2
	v_mov_b32_e32 v5, 0x7c010000
	s_mov_b32 s22, exec_lo
	s_delay_alu instid0(VALU_DEP_2) | instskip(NEXT) | instid1(VALU_DEP_1)
	v_and_b32_e32 v31, 0x7f, v23
	v_cmpx_ne_u32_e32 0x7f, v31
	s_cbranch_execz .LBB311_2555
; %bb.2552:                             ;   in Loop: Header=BB311_2079 Depth=1
	v_and_b32_e32 v5, 7, v23
	v_lshrrev_b32_e32 v30, 3, v31
	s_mov_b32 s23, exec_lo
	v_cmpx_gt_u32_e32 8, v31
; %bb.2553:                             ;   in Loop: Header=BB311_2079 Depth=1
	s_delay_alu instid0(VALU_DEP_3) | instskip(NEXT) | instid1(VALU_DEP_1)
	v_clz_i32_u32_e32 v5, v5
	v_min_u32_e32 v5, 32, v5
	s_delay_alu instid0(VALU_DEP_1) | instskip(NEXT) | instid1(VALU_DEP_1)
	v_subrev_nc_u32_e32 v30, 28, v5
	v_lshlrev_b64_e32 v[31:32], v30, v[2:3]
	v_sub_nc_u32_e32 v30, 29, v5
	s_delay_alu instid0(VALU_DEP_2)
	v_and_b32_e32 v5, 7, v31
; %bb.2554:                             ;   in Loop: Header=BB311_2079 Depth=1
	s_wait_alu 0xfffe
	s_or_b32 exec_lo, exec_lo, s23
	v_lshlrev_b32_e32 v2, 8, v23
	v_lshl_add_u32 v23, v30, 10, 0x2000
	v_lshlrev_b32_e32 v5, 23, v5
	s_delay_alu instid0(VALU_DEP_2) | instskip(NEXT) | instid1(VALU_DEP_1)
	v_and_or_b32 v2, 0x8000, v2, v23
	v_lshl_or_b32 v5, v2, 16, v5
.LBB311_2555:                           ;   in Loop: Header=BB311_2079 Depth=1
	s_wait_alu 0xfffe
	s_or_b32 exec_lo, exec_lo, s22
.LBB311_2556:                           ;   in Loop: Header=BB311_2079 Depth=1
	s_wait_alu 0xfffe
	s_or_b32 exec_lo, exec_lo, s21
.LBB311_2557:                           ;   in Loop: Header=BB311_2079 Depth=1
	s_wait_alu 0xfffe
	s_or_b32 exec_lo, exec_lo, s20
	v_lshrrev_b32_e32 v2, 16, v12
	v_mov_b32_e32 v23, 0
	s_mov_b32 s20, exec_lo
	s_delay_alu instid0(VALU_DEP_2) | instskip(NEXT) | instid1(VALU_DEP_1)
	v_dual_mov_b32 v30, 0 :: v_dual_and_b32 v31, 0xff, v2
	v_cmpx_ne_u16_e32 0, v31
	s_cbranch_execz .LBB311_2565
; %bb.2558:                             ;   in Loop: Header=BB311_2079 Depth=1
	v_mov_b32_e32 v30, 0x8000
	s_mov_b32 s21, exec_lo
	v_cmpx_ne_u16_e32 0x80, v31
	s_cbranch_execz .LBB311_2564
; %bb.2559:                             ;   in Loop: Header=BB311_2079 Depth=1
	v_bfe_u32 v32, v12, 16, 7
	v_mov_b32_e32 v30, 0x7c01
	s_mov_b32 s22, exec_lo
	s_delay_alu instid0(VALU_DEP_2)
	v_cmpx_ne_u32_e32 0x7f, v32
	s_cbranch_execz .LBB311_2563
; %bb.2560:                             ;   in Loop: Header=BB311_2079 Depth=1
	v_and_b32_e32 v30, 7, v2
	v_lshrrev_b32_e32 v31, 3, v32
	s_mov_b32 s23, exec_lo
	v_cmpx_gt_u32_e32 8, v32
; %bb.2561:                             ;   in Loop: Header=BB311_2079 Depth=1
	s_delay_alu instid0(VALU_DEP_3) | instskip(NEXT) | instid1(VALU_DEP_1)
	v_clz_i32_u32_e32 v30, v30
	v_min_u32_e32 v32, 32, v30
	s_delay_alu instid0(VALU_DEP_1) | instskip(NEXT) | instid1(VALU_DEP_1)
	v_subrev_nc_u32_e32 v30, 28, v32
	v_lshlrev_b64_e32 v[30:31], v30, v[2:3]
	v_sub_nc_u32_e32 v31, 29, v32
	s_delay_alu instid0(VALU_DEP_2)
	v_and_b32_e32 v30, 7, v30
; %bb.2562:                             ;   in Loop: Header=BB311_2079 Depth=1
	s_wait_alu 0xfffe
	s_or_b32 exec_lo, exec_lo, s23
	v_lshlrev_b32_e32 v2, 8, v2
	v_lshl_add_u32 v31, v31, 10, 0x2000
	v_lshlrev_b32_e32 v30, 7, v30
	s_delay_alu instid0(VALU_DEP_3) | instskip(NEXT) | instid1(VALU_DEP_3)
	v_and_b32_e32 v2, 0x8000, v2
	v_and_b32_e32 v31, 0xfc00, v31
	s_delay_alu instid0(VALU_DEP_1)
	v_or3_b32 v30, v2, v31, v30
.LBB311_2563:                           ;   in Loop: Header=BB311_2079 Depth=1
	s_wait_alu 0xfffe
	s_or_b32 exec_lo, exec_lo, s22
.LBB311_2564:                           ;   in Loop: Header=BB311_2079 Depth=1
	s_wait_alu 0xfffe
	s_or_b32 exec_lo, exec_lo, s21
.LBB311_2565:                           ;   in Loop: Header=BB311_2079 Depth=1
	s_wait_alu 0xfffe
	s_or_b32 exec_lo, exec_lo, s20
	s_delay_alu instid0(SALU_CYCLE_1)
	s_mov_b32 s20, exec_lo
	v_cmpx_lt_u32_e32 0xffffff, v12
	s_cbranch_execz .LBB311_2573
; %bb.2566:                             ;   in Loop: Header=BB311_2079 Depth=1
	v_lshrrev_b32_e32 v2, 24, v12
	v_bfrev_b32_e32 v23, 1
	s_mov_b32 s21, exec_lo
	s_delay_alu instid0(VALU_DEP_2)
	v_cmpx_ne_u32_e32 0x80, v2
	s_cbranch_execz .LBB311_2572
; %bb.2567:                             ;   in Loop: Header=BB311_2079 Depth=1
	v_and_b32_e32 v32, 0x7f, v2
	v_mov_b32_e32 v23, 0x7c010000
	s_mov_b32 s22, exec_lo
	s_delay_alu instid0(VALU_DEP_2)
	v_cmpx_ne_u32_e32 0x7f, v32
	s_cbranch_execz .LBB311_2571
; %bb.2568:                             ;   in Loop: Header=BB311_2079 Depth=1
	v_and_b32_e32 v23, 7, v2
	v_lshrrev_b32_e32 v31, 3, v32
	s_mov_b32 s23, exec_lo
	v_cmpx_gt_u32_e32 8, v32
; %bb.2569:                             ;   in Loop: Header=BB311_2079 Depth=1
	s_delay_alu instid0(VALU_DEP_3) | instskip(NEXT) | instid1(VALU_DEP_1)
	v_clz_i32_u32_e32 v23, v23
	v_min_u32_e32 v23, 32, v23
	s_delay_alu instid0(VALU_DEP_1) | instskip(NEXT) | instid1(VALU_DEP_1)
	v_subrev_nc_u32_e32 v31, 28, v23
	v_lshlrev_b64_e32 v[32:33], v31, v[2:3]
	v_sub_nc_u32_e32 v31, 29, v23
	s_delay_alu instid0(VALU_DEP_2)
	v_and_b32_e32 v23, 7, v32
; %bb.2570:                             ;   in Loop: Header=BB311_2079 Depth=1
	s_wait_alu 0xfffe
	s_or_b32 exec_lo, exec_lo, s23
	v_lshlrev_b32_e32 v2, 8, v2
	v_lshl_add_u32 v31, v31, 10, 0x2000
	v_lshlrev_b32_e32 v23, 23, v23
	s_delay_alu instid0(VALU_DEP_2) | instskip(NEXT) | instid1(VALU_DEP_1)
	v_and_or_b32 v2, 0x8000, v2, v31
	v_lshl_or_b32 v23, v2, 16, v23
.LBB311_2571:                           ;   in Loop: Header=BB311_2079 Depth=1
	s_wait_alu 0xfffe
	s_or_b32 exec_lo, exec_lo, s22
.LBB311_2572:                           ;   in Loop: Header=BB311_2079 Depth=1
	s_wait_alu 0xfffe
	s_or_b32 exec_lo, exec_lo, s21
.LBB311_2573:                           ;   in Loop: Header=BB311_2079 Depth=1
	s_wait_alu 0xfffe
	s_or_b32 exec_lo, exec_lo, s20
	v_dual_mov_b32 v2, v13 :: v_dual_and_b32 v33, 0xff, v13
	v_dual_mov_b32 v31, 0 :: v_dual_mov_b32 v32, 0
	s_mov_b32 s20, exec_lo
	s_delay_alu instid0(VALU_DEP_2)
	v_cmpx_ne_u16_e32 0, v33
	s_cbranch_execz .LBB311_2581
; %bb.2574:                             ;   in Loop: Header=BB311_2079 Depth=1
	v_mov_b32_e32 v32, 0x8000
	s_mov_b32 s21, exec_lo
	v_cmpx_ne_u16_e32 0x80, v33
	s_cbranch_execz .LBB311_2580
; %bb.2575:                             ;   in Loop: Header=BB311_2079 Depth=1
	v_and_b32_e32 v34, 0x7f, v13
	v_mov_b32_e32 v32, 0x7c01
	s_mov_b32 s22, exec_lo
	s_delay_alu instid0(VALU_DEP_2)
	v_cmpx_ne_u32_e32 0x7f, v34
	s_cbranch_execz .LBB311_2579
; %bb.2576:                             ;   in Loop: Header=BB311_2079 Depth=1
	v_and_b32_e32 v32, 7, v13
	v_lshrrev_b32_e32 v33, 3, v34
	s_mov_b32 s23, exec_lo
	v_cmpx_gt_u32_e32 8, v34
; %bb.2577:                             ;   in Loop: Header=BB311_2079 Depth=1
	s_delay_alu instid0(VALU_DEP_3) | instskip(NEXT) | instid1(VALU_DEP_1)
	v_clz_i32_u32_e32 v32, v32
	v_min_u32_e32 v34, 32, v32
	s_delay_alu instid0(VALU_DEP_1) | instskip(NEXT) | instid1(VALU_DEP_1)
	v_subrev_nc_u32_e32 v32, 28, v34
	v_lshlrev_b64_e32 v[32:33], v32, v[2:3]
	v_sub_nc_u32_e32 v33, 29, v34
	s_delay_alu instid0(VALU_DEP_2)
	v_and_b32_e32 v32, 7, v32
; %bb.2578:                             ;   in Loop: Header=BB311_2079 Depth=1
	s_wait_alu 0xfffe
	s_or_b32 exec_lo, exec_lo, s23
	v_lshlrev_b32_e32 v34, 8, v13
	v_lshl_add_u32 v33, v33, 10, 0x2000
	v_lshlrev_b32_e32 v32, 7, v32
	s_delay_alu instid0(VALU_DEP_3) | instskip(NEXT) | instid1(VALU_DEP_3)
	v_and_b32_e32 v34, 0x8000, v34
	v_and_b32_e32 v33, 0xfc00, v33
	s_delay_alu instid0(VALU_DEP_1)
	v_or3_b32 v32, v34, v33, v32
.LBB311_2579:                           ;   in Loop: Header=BB311_2079 Depth=1
	s_wait_alu 0xfffe
	s_or_b32 exec_lo, exec_lo, s22
.LBB311_2580:                           ;   in Loop: Header=BB311_2079 Depth=1
	s_wait_alu 0xfffe
	s_or_b32 exec_lo, exec_lo, s21
.LBB311_2581:                           ;   in Loop: Header=BB311_2079 Depth=1
	s_wait_alu 0xfffe
	s_or_b32 exec_lo, exec_lo, s20
	v_lshrrev_b16 v2, 8, v2
	v_mov_b32_e32 v33, 0
	s_mov_b32 s20, exec_lo
	s_delay_alu instid0(VALU_DEP_2)
	v_cmpx_ne_u16_e32 0, v2
	s_cbranch_execz .LBB311_2589
; %bb.2582:                             ;   in Loop: Header=BB311_2079 Depth=1
	v_bfrev_b32_e32 v33, 1
	s_mov_b32 s21, exec_lo
	v_cmpx_ne_u16_e32 0x80, v2
	s_cbranch_execz .LBB311_2588
; %bb.2583:                             ;   in Loop: Header=BB311_2079 Depth=1
	v_and_b32_e32 v34, 0xffff, v2
	v_mov_b32_e32 v33, 0x7c010000
	s_mov_b32 s22, exec_lo
	s_delay_alu instid0(VALU_DEP_2) | instskip(NEXT) | instid1(VALU_DEP_1)
	v_and_b32_e32 v129, 0x7f, v34
	v_cmpx_ne_u32_e32 0x7f, v129
	s_cbranch_execz .LBB311_2587
; %bb.2584:                             ;   in Loop: Header=BB311_2079 Depth=1
	v_and_b32_e32 v33, 7, v34
	v_lshrrev_b32_e32 v128, 3, v129
	s_mov_b32 s23, exec_lo
	v_cmpx_gt_u32_e32 8, v129
; %bb.2585:                             ;   in Loop: Header=BB311_2079 Depth=1
	s_delay_alu instid0(VALU_DEP_3) | instskip(NEXT) | instid1(VALU_DEP_1)
	v_clz_i32_u32_e32 v33, v33
	v_min_u32_e32 v33, 32, v33
	s_delay_alu instid0(VALU_DEP_1) | instskip(NEXT) | instid1(VALU_DEP_1)
	v_subrev_nc_u32_e32 v128, 28, v33
	v_lshlrev_b64_e32 v[129:130], v128, v[2:3]
	v_sub_nc_u32_e32 v128, 29, v33
	s_delay_alu instid0(VALU_DEP_2)
	v_and_b32_e32 v33, 7, v129
; %bb.2586:                             ;   in Loop: Header=BB311_2079 Depth=1
	s_wait_alu 0xfffe
	s_or_b32 exec_lo, exec_lo, s23
	v_lshlrev_b32_e32 v2, 8, v34
	v_lshl_add_u32 v34, v128, 10, 0x2000
	v_lshlrev_b32_e32 v33, 23, v33
	s_delay_alu instid0(VALU_DEP_2) | instskip(NEXT) | instid1(VALU_DEP_1)
	v_and_or_b32 v2, 0x8000, v2, v34
	v_lshl_or_b32 v33, v2, 16, v33
.LBB311_2587:                           ;   in Loop: Header=BB311_2079 Depth=1
	s_wait_alu 0xfffe
	s_or_b32 exec_lo, exec_lo, s22
.LBB311_2588:                           ;   in Loop: Header=BB311_2079 Depth=1
	s_wait_alu 0xfffe
	s_or_b32 exec_lo, exec_lo, s21
.LBB311_2589:                           ;   in Loop: Header=BB311_2079 Depth=1
	s_wait_alu 0xfffe
	s_or_b32 exec_lo, exec_lo, s20
	v_lshrrev_b32_e32 v2, 16, v13
	s_mov_b32 s20, exec_lo
	s_delay_alu instid0(VALU_DEP_1) | instskip(NEXT) | instid1(VALU_DEP_1)
	v_and_b32_e32 v34, 0xff, v2
	v_cmpx_ne_u16_e32 0, v34
	s_cbranch_execz .LBB311_2597
; %bb.2590:                             ;   in Loop: Header=BB311_2079 Depth=1
	v_mov_b32_e32 v31, 0x8000
	s_mov_b32 s21, exec_lo
	v_cmpx_ne_u16_e32 0x80, v34
	s_cbranch_execz .LBB311_2596
; %bb.2591:                             ;   in Loop: Header=BB311_2079 Depth=1
	v_bfe_u32 v128, v13, 16, 7
	v_mov_b32_e32 v31, 0x7c01
	s_mov_b32 s22, exec_lo
	s_delay_alu instid0(VALU_DEP_2)
	v_cmpx_ne_u32_e32 0x7f, v128
	s_cbranch_execz .LBB311_2595
; %bb.2592:                             ;   in Loop: Header=BB311_2079 Depth=1
	v_and_b32_e32 v31, 7, v2
	v_lshrrev_b32_e32 v34, 3, v128
	s_mov_b32 s23, exec_lo
	v_cmpx_gt_u32_e32 8, v128
; %bb.2593:                             ;   in Loop: Header=BB311_2079 Depth=1
	s_delay_alu instid0(VALU_DEP_3) | instskip(NEXT) | instid1(VALU_DEP_1)
	v_clz_i32_u32_e32 v31, v31
	v_min_u32_e32 v31, 32, v31
	s_delay_alu instid0(VALU_DEP_1) | instskip(NEXT) | instid1(VALU_DEP_1)
	v_subrev_nc_u32_e32 v34, 28, v31
	v_lshlrev_b64_e32 v[128:129], v34, v[2:3]
	v_sub_nc_u32_e32 v34, 29, v31
	s_delay_alu instid0(VALU_DEP_2)
	v_and_b32_e32 v31, 7, v128
; %bb.2594:                             ;   in Loop: Header=BB311_2079 Depth=1
	s_wait_alu 0xfffe
	s_or_b32 exec_lo, exec_lo, s23
	v_lshlrev_b32_e32 v2, 8, v2
	v_lshl_add_u32 v34, v34, 10, 0x2000
	v_lshlrev_b32_e32 v31, 7, v31
	s_delay_alu instid0(VALU_DEP_3) | instskip(NEXT) | instid1(VALU_DEP_3)
	v_and_b32_e32 v2, 0x8000, v2
	v_and_b32_e32 v34, 0xfc00, v34
	s_delay_alu instid0(VALU_DEP_1)
	v_or3_b32 v31, v2, v34, v31
.LBB311_2595:                           ;   in Loop: Header=BB311_2079 Depth=1
	s_wait_alu 0xfffe
	s_or_b32 exec_lo, exec_lo, s22
.LBB311_2596:                           ;   in Loop: Header=BB311_2079 Depth=1
	s_wait_alu 0xfffe
	s_or_b32 exec_lo, exec_lo, s21
.LBB311_2597:                           ;   in Loop: Header=BB311_2079 Depth=1
	s_wait_alu 0xfffe
	s_or_b32 exec_lo, exec_lo, s20
	v_cmp_lt_u64_e64 s8, s[16:17], v[12:13]
	v_mov_b32_e32 v12, 0
	s_and_saveexec_b32 s20, s8
	s_cbranch_execz .LBB311_2605
; %bb.2598:                             ;   in Loop: Header=BB311_2079 Depth=1
	v_lshrrev_b32_e32 v2, 24, v13
	v_bfrev_b32_e32 v12, 1
	s_mov_b32 s21, exec_lo
	s_delay_alu instid0(VALU_DEP_2)
	v_cmpx_ne_u32_e32 0x80, v2
	s_cbranch_execz .LBB311_2604
; %bb.2599:                             ;   in Loop: Header=BB311_2079 Depth=1
	v_and_b32_e32 v34, 0x7f, v2
	v_mov_b32_e32 v12, 0x7c010000
	s_mov_b32 s22, exec_lo
	s_delay_alu instid0(VALU_DEP_2)
	v_cmpx_ne_u32_e32 0x7f, v34
	s_cbranch_execz .LBB311_2603
; %bb.2600:                             ;   in Loop: Header=BB311_2079 Depth=1
	v_and_b32_e32 v12, 7, v2
	v_lshrrev_b32_e32 v13, 3, v34
	s_mov_b32 s23, exec_lo
	v_cmpx_gt_u32_e32 8, v34
; %bb.2601:                             ;   in Loop: Header=BB311_2079 Depth=1
	s_delay_alu instid0(VALU_DEP_3) | instskip(NEXT) | instid1(VALU_DEP_1)
	v_clz_i32_u32_e32 v12, v12
	v_min_u32_e32 v34, 32, v12
	s_delay_alu instid0(VALU_DEP_1) | instskip(NEXT) | instid1(VALU_DEP_1)
	v_subrev_nc_u32_e32 v12, 28, v34
	v_lshlrev_b64_e32 v[12:13], v12, v[2:3]
	v_sub_nc_u32_e32 v13, 29, v34
	s_delay_alu instid0(VALU_DEP_2)
	v_and_b32_e32 v12, 7, v12
; %bb.2602:                             ;   in Loop: Header=BB311_2079 Depth=1
	s_wait_alu 0xfffe
	s_or_b32 exec_lo, exec_lo, s23
	v_lshlrev_b32_e32 v2, 8, v2
	v_lshl_add_u32 v13, v13, 10, 0x2000
	v_lshlrev_b32_e32 v12, 23, v12
	s_delay_alu instid0(VALU_DEP_2) | instskip(NEXT) | instid1(VALU_DEP_1)
	v_and_or_b32 v2, 0x8000, v2, v13
	v_lshl_or_b32 v12, v2, 16, v12
.LBB311_2603:                           ;   in Loop: Header=BB311_2079 Depth=1
	s_wait_alu 0xfffe
	s_or_b32 exec_lo, exec_lo, s22
.LBB311_2604:                           ;   in Loop: Header=BB311_2079 Depth=1
	s_wait_alu 0xfffe
	s_or_b32 exec_lo, exec_lo, s21
.LBB311_2605:                           ;   in Loop: Header=BB311_2079 Depth=1
	s_wait_alu 0xfffe
	s_or_b32 exec_lo, exec_lo, s20
	v_or_b32_e32 v2, v23, v30
	s_wait_loadcnt_dscnt 0x0
	v_fma_mixlo_f16 v13, v4, v23, 0 op_sel:[0,1,0] op_sel_hi:[0,1,0]
	v_or_b32_e32 v22, v5, v22
	v_fma_mixlo_f16 v5, v4, v5, 0 op_sel:[0,1,0] op_sel_hi:[0,1,0]
	v_or_b32_e32 v23, v33, v32
	v_fma_mixlo_f16 v30, v4, v2, 0 op_sel_hi:[0,1,0]
	v_or_b32_e32 v31, v12, v31
	v_lshlrev_b32_e32 v2, 16, v13
	v_lshlrev_b32_e32 v13, 16, v5
	v_fma_mixlo_f16 v22, v4, v22, 0 op_sel_hi:[0,1,0]
	v_and_b32_e32 v5, 0xffff, v30
	v_fma_mixlo_f16 v30, v4, v33, 0 op_sel:[0,1,0] op_sel_hi:[0,1,0]
	v_fma_mixlo_f16 v23, v4, v23, 0 op_sel_hi:[0,1,0]
	v_fma_mixlo_f16 v12, v4, v12, 0 op_sel:[0,1,0] op_sel_hi:[0,1,0]
	v_fma_mixlo_f16 v4, v4, v31, 0 op_sel_hi:[0,1,0]
	v_and_b32_e32 v34, 0xffff, v22
	v_lshlrev_b32_e32 v31, 16, v30
	v_and_b32_e32 v33, 0xffff, v23
	v_lshlrev_b32_e32 v30, 16, v12
	v_and_b32_e32 v32, 0xffff, v4
	v_or_b32_e32 v4, v2, v5
	v_or_b32_e32 v23, v13, v34
	;; [unrolled: 1-line block ×3, first 2 shown]
	s_delay_alu instid0(VALU_DEP_4)
	v_or_b32_e32 v12, v30, v32
	s_and_saveexec_b32 s8, s2
	s_cbranch_execz .LBB311_2607
; %bb.2606:                             ;   in Loop: Header=BB311_2079 Depth=1
	s_wait_alu 0xfffd
	v_cndmask_b32_e32 v4, 0, v34, vcc_lo
	v_cndmask_b32_e64 v12, 0, v13, s1
	v_cndmask_b32_e64 v5, 0, v5, s0
	;; [unrolled: 1-line block ×7, first 2 shown]
	v_or_b32_e32 v23, v4, v12
	v_or_b32_e32 v4, v5, v2
	;; [unrolled: 1-line block ×3, first 2 shown]
	s_delay_alu instid0(VALU_DEP_4)
	v_or_b32_e32 v12, v31, v30
.LBB311_2607:                           ;   in Loop: Header=BB311_2079 Depth=1
	s_wait_alu 0xfffe
	s_or_b32 exec_lo, exec_lo, s8
	;;#ASMSTART
	v_pk_mul_f16 v2, v98, v23;

	;;#ASMEND
	;;#ASMSTART
	v_pk_mul_f16 v4, v96, v4;

	;;#ASMEND
	;; [unrolled: 4-line block ×4, first 2 shown]
	;;#ASMSTART
	v_pk_add_f16 v2, v2, v4;

	;;#ASMEND
	;;#ASMSTART
	v_pk_add_f16 v2, v2, v5;

	;;#ASMEND
	;; [unrolled: 4-line block ×3, first 2 shown]
	v_dual_mov_b32 v5, 0 :: v_dual_and_b32 v4, 0xffff, v2
	v_lshrrev_b32_e32 v2, 16, v2
	;;#ASMSTART
	v_cvt_f32_f16 v128, v4;
	;;#ASMEND
	;;#ASMSTART
	v_cvt_f32_f16 v129, v2;
	;;#ASMEND
	flat_load_b64 v[12:13], v[10:11] offset:2048
	flat_load_b32 v4, v[26:27]
	v_mov_b32_e32 v22, 0
	s_mov_b32 s20, exec_lo
	s_wait_loadcnt_dscnt 0x101
	v_and_b32_e32 v2, 0xff, v12
	s_delay_alu instid0(VALU_DEP_1)
	v_cmpx_ne_u16_e32 0, v2
	s_cbranch_execz .LBB311_2615
; %bb.2608:                             ;   in Loop: Header=BB311_2079 Depth=1
	v_mov_b32_e32 v22, 0x8000
	s_mov_b32 s21, exec_lo
	v_cmpx_ne_u16_e32 0x80, v2
	s_cbranch_execz .LBB311_2614
; %bb.2609:                             ;   in Loop: Header=BB311_2079 Depth=1
	v_and_b32_e32 v23, 0x7f, v12
	v_mov_b32_e32 v22, 0x7c01
	s_mov_b32 s22, exec_lo
	s_delay_alu instid0(VALU_DEP_2)
	v_cmpx_ne_u32_e32 0x7f, v23
	s_cbranch_execz .LBB311_2613
; %bb.2610:                             ;   in Loop: Header=BB311_2079 Depth=1
	v_and_b32_e32 v2, 7, v12
	v_lshrrev_b32_e32 v22, 3, v23
	s_mov_b32 s23, exec_lo
	v_cmpx_gt_u32_e32 8, v23
; %bb.2611:                             ;   in Loop: Header=BB311_2079 Depth=1
	s_delay_alu instid0(VALU_DEP_3) | instskip(NEXT) | instid1(VALU_DEP_1)
	v_clz_i32_u32_e32 v2, v2
	v_min_u32_e32 v2, 32, v2
	s_delay_alu instid0(VALU_DEP_1) | instskip(NEXT) | instid1(VALU_DEP_1)
	v_subrev_nc_u32_e32 v22, 28, v2
	v_lshlrev_b64_e32 v[30:31], v22, v[12:13]
	v_sub_nc_u32_e32 v22, 29, v2
	s_delay_alu instid0(VALU_DEP_2)
	v_and_b32_e32 v2, 7, v30
; %bb.2612:                             ;   in Loop: Header=BB311_2079 Depth=1
	s_wait_alu 0xfffe
	s_or_b32 exec_lo, exec_lo, s23
	v_lshlrev_b32_e32 v23, 8, v12
	v_lshl_add_u32 v22, v22, 10, 0x2000
	v_lshlrev_b32_e32 v2, 7, v2
	s_delay_alu instid0(VALU_DEP_3) | instskip(NEXT) | instid1(VALU_DEP_3)
	v_and_b32_e32 v23, 0x8000, v23
	v_and_b32_e32 v22, 0xfc00, v22
	s_delay_alu instid0(VALU_DEP_1)
	v_or3_b32 v22, v23, v22, v2
.LBB311_2613:                           ;   in Loop: Header=BB311_2079 Depth=1
	s_wait_alu 0xfffe
	s_or_b32 exec_lo, exec_lo, s22
.LBB311_2614:                           ;   in Loop: Header=BB311_2079 Depth=1
	s_wait_alu 0xfffe
	s_or_b32 exec_lo, exec_lo, s21
.LBB311_2615:                           ;   in Loop: Header=BB311_2079 Depth=1
	s_wait_alu 0xfffe
	s_or_b32 exec_lo, exec_lo, s20
	v_lshrrev_b16 v2, 8, v12
	s_mov_b32 s20, exec_lo
	s_delay_alu instid0(VALU_DEP_1)
	v_cmpx_ne_u16_e32 0, v2
	s_cbranch_execz .LBB311_2623
; %bb.2616:                             ;   in Loop: Header=BB311_2079 Depth=1
	v_bfrev_b32_e32 v5, 1
	s_mov_b32 s21, exec_lo
	v_cmpx_ne_u16_e32 0x80, v2
	s_cbranch_execz .LBB311_2622
; %bb.2617:                             ;   in Loop: Header=BB311_2079 Depth=1
	v_and_b32_e32 v23, 0xffff, v2
	v_mov_b32_e32 v5, 0x7c010000
	s_mov_b32 s22, exec_lo
	s_delay_alu instid0(VALU_DEP_2) | instskip(NEXT) | instid1(VALU_DEP_1)
	v_and_b32_e32 v31, 0x7f, v23
	v_cmpx_ne_u32_e32 0x7f, v31
	s_cbranch_execz .LBB311_2621
; %bb.2618:                             ;   in Loop: Header=BB311_2079 Depth=1
	v_and_b32_e32 v5, 7, v23
	v_lshrrev_b32_e32 v30, 3, v31
	s_mov_b32 s23, exec_lo
	v_cmpx_gt_u32_e32 8, v31
; %bb.2619:                             ;   in Loop: Header=BB311_2079 Depth=1
	s_delay_alu instid0(VALU_DEP_3) | instskip(NEXT) | instid1(VALU_DEP_1)
	v_clz_i32_u32_e32 v5, v5
	v_min_u32_e32 v5, 32, v5
	s_delay_alu instid0(VALU_DEP_1) | instskip(NEXT) | instid1(VALU_DEP_1)
	v_subrev_nc_u32_e32 v30, 28, v5
	v_lshlrev_b64_e32 v[31:32], v30, v[2:3]
	v_sub_nc_u32_e32 v30, 29, v5
	s_delay_alu instid0(VALU_DEP_2)
	v_and_b32_e32 v5, 7, v31
; %bb.2620:                             ;   in Loop: Header=BB311_2079 Depth=1
	s_wait_alu 0xfffe
	s_or_b32 exec_lo, exec_lo, s23
	v_lshlrev_b32_e32 v2, 8, v23
	v_lshl_add_u32 v23, v30, 10, 0x2000
	v_lshlrev_b32_e32 v5, 23, v5
	s_delay_alu instid0(VALU_DEP_2) | instskip(NEXT) | instid1(VALU_DEP_1)
	v_and_or_b32 v2, 0x8000, v2, v23
	v_lshl_or_b32 v5, v2, 16, v5
.LBB311_2621:                           ;   in Loop: Header=BB311_2079 Depth=1
	s_wait_alu 0xfffe
	s_or_b32 exec_lo, exec_lo, s22
.LBB311_2622:                           ;   in Loop: Header=BB311_2079 Depth=1
	s_wait_alu 0xfffe
	s_or_b32 exec_lo, exec_lo, s21
.LBB311_2623:                           ;   in Loop: Header=BB311_2079 Depth=1
	s_wait_alu 0xfffe
	s_or_b32 exec_lo, exec_lo, s20
	v_lshrrev_b32_e32 v2, 16, v12
	v_mov_b32_e32 v23, 0
	s_mov_b32 s20, exec_lo
	s_delay_alu instid0(VALU_DEP_2) | instskip(NEXT) | instid1(VALU_DEP_1)
	v_dual_mov_b32 v30, 0 :: v_dual_and_b32 v31, 0xff, v2
	v_cmpx_ne_u16_e32 0, v31
	s_cbranch_execz .LBB311_2631
; %bb.2624:                             ;   in Loop: Header=BB311_2079 Depth=1
	v_mov_b32_e32 v30, 0x8000
	s_mov_b32 s21, exec_lo
	v_cmpx_ne_u16_e32 0x80, v31
	s_cbranch_execz .LBB311_2630
; %bb.2625:                             ;   in Loop: Header=BB311_2079 Depth=1
	v_bfe_u32 v32, v12, 16, 7
	v_mov_b32_e32 v30, 0x7c01
	s_mov_b32 s22, exec_lo
	s_delay_alu instid0(VALU_DEP_2)
	v_cmpx_ne_u32_e32 0x7f, v32
	s_cbranch_execz .LBB311_2629
; %bb.2626:                             ;   in Loop: Header=BB311_2079 Depth=1
	v_and_b32_e32 v30, 7, v2
	v_lshrrev_b32_e32 v31, 3, v32
	s_mov_b32 s23, exec_lo
	v_cmpx_gt_u32_e32 8, v32
; %bb.2627:                             ;   in Loop: Header=BB311_2079 Depth=1
	s_delay_alu instid0(VALU_DEP_3) | instskip(NEXT) | instid1(VALU_DEP_1)
	v_clz_i32_u32_e32 v30, v30
	v_min_u32_e32 v32, 32, v30
	s_delay_alu instid0(VALU_DEP_1) | instskip(NEXT) | instid1(VALU_DEP_1)
	v_subrev_nc_u32_e32 v30, 28, v32
	v_lshlrev_b64_e32 v[30:31], v30, v[2:3]
	v_sub_nc_u32_e32 v31, 29, v32
	s_delay_alu instid0(VALU_DEP_2)
	v_and_b32_e32 v30, 7, v30
; %bb.2628:                             ;   in Loop: Header=BB311_2079 Depth=1
	s_wait_alu 0xfffe
	s_or_b32 exec_lo, exec_lo, s23
	v_lshlrev_b32_e32 v2, 8, v2
	v_lshl_add_u32 v31, v31, 10, 0x2000
	v_lshlrev_b32_e32 v30, 7, v30
	s_delay_alu instid0(VALU_DEP_3) | instskip(NEXT) | instid1(VALU_DEP_3)
	v_and_b32_e32 v2, 0x8000, v2
	v_and_b32_e32 v31, 0xfc00, v31
	s_delay_alu instid0(VALU_DEP_1)
	v_or3_b32 v30, v2, v31, v30
.LBB311_2629:                           ;   in Loop: Header=BB311_2079 Depth=1
	s_wait_alu 0xfffe
	s_or_b32 exec_lo, exec_lo, s22
.LBB311_2630:                           ;   in Loop: Header=BB311_2079 Depth=1
	s_wait_alu 0xfffe
	s_or_b32 exec_lo, exec_lo, s21
.LBB311_2631:                           ;   in Loop: Header=BB311_2079 Depth=1
	s_wait_alu 0xfffe
	s_or_b32 exec_lo, exec_lo, s20
	s_delay_alu instid0(SALU_CYCLE_1)
	s_mov_b32 s20, exec_lo
	v_cmpx_lt_u32_e32 0xffffff, v12
	s_cbranch_execz .LBB311_2639
; %bb.2632:                             ;   in Loop: Header=BB311_2079 Depth=1
	v_lshrrev_b32_e32 v2, 24, v12
	v_bfrev_b32_e32 v23, 1
	s_mov_b32 s21, exec_lo
	s_delay_alu instid0(VALU_DEP_2)
	v_cmpx_ne_u32_e32 0x80, v2
	s_cbranch_execz .LBB311_2638
; %bb.2633:                             ;   in Loop: Header=BB311_2079 Depth=1
	v_and_b32_e32 v32, 0x7f, v2
	v_mov_b32_e32 v23, 0x7c010000
	s_mov_b32 s22, exec_lo
	s_delay_alu instid0(VALU_DEP_2)
	v_cmpx_ne_u32_e32 0x7f, v32
	s_cbranch_execz .LBB311_2637
; %bb.2634:                             ;   in Loop: Header=BB311_2079 Depth=1
	v_and_b32_e32 v23, 7, v2
	v_lshrrev_b32_e32 v31, 3, v32
	s_mov_b32 s23, exec_lo
	v_cmpx_gt_u32_e32 8, v32
; %bb.2635:                             ;   in Loop: Header=BB311_2079 Depth=1
	s_delay_alu instid0(VALU_DEP_3) | instskip(NEXT) | instid1(VALU_DEP_1)
	v_clz_i32_u32_e32 v23, v23
	v_min_u32_e32 v23, 32, v23
	s_delay_alu instid0(VALU_DEP_1) | instskip(NEXT) | instid1(VALU_DEP_1)
	v_subrev_nc_u32_e32 v31, 28, v23
	v_lshlrev_b64_e32 v[32:33], v31, v[2:3]
	v_sub_nc_u32_e32 v31, 29, v23
	s_delay_alu instid0(VALU_DEP_2)
	v_and_b32_e32 v23, 7, v32
; %bb.2636:                             ;   in Loop: Header=BB311_2079 Depth=1
	s_wait_alu 0xfffe
	s_or_b32 exec_lo, exec_lo, s23
	v_lshlrev_b32_e32 v2, 8, v2
	v_lshl_add_u32 v31, v31, 10, 0x2000
	v_lshlrev_b32_e32 v23, 23, v23
	s_delay_alu instid0(VALU_DEP_2) | instskip(NEXT) | instid1(VALU_DEP_1)
	v_and_or_b32 v2, 0x8000, v2, v31
	v_lshl_or_b32 v23, v2, 16, v23
.LBB311_2637:                           ;   in Loop: Header=BB311_2079 Depth=1
	s_wait_alu 0xfffe
	s_or_b32 exec_lo, exec_lo, s22
.LBB311_2638:                           ;   in Loop: Header=BB311_2079 Depth=1
	s_wait_alu 0xfffe
	s_or_b32 exec_lo, exec_lo, s21
.LBB311_2639:                           ;   in Loop: Header=BB311_2079 Depth=1
	s_wait_alu 0xfffe
	s_or_b32 exec_lo, exec_lo, s20
	v_dual_mov_b32 v2, v13 :: v_dual_and_b32 v33, 0xff, v13
	v_dual_mov_b32 v31, 0 :: v_dual_mov_b32 v32, 0
	s_mov_b32 s20, exec_lo
	s_delay_alu instid0(VALU_DEP_2)
	v_cmpx_ne_u16_e32 0, v33
	s_cbranch_execz .LBB311_2647
; %bb.2640:                             ;   in Loop: Header=BB311_2079 Depth=1
	v_mov_b32_e32 v32, 0x8000
	s_mov_b32 s21, exec_lo
	v_cmpx_ne_u16_e32 0x80, v33
	s_cbranch_execz .LBB311_2646
; %bb.2641:                             ;   in Loop: Header=BB311_2079 Depth=1
	v_and_b32_e32 v34, 0x7f, v13
	v_mov_b32_e32 v32, 0x7c01
	s_mov_b32 s22, exec_lo
	s_delay_alu instid0(VALU_DEP_2)
	v_cmpx_ne_u32_e32 0x7f, v34
	s_cbranch_execz .LBB311_2645
; %bb.2642:                             ;   in Loop: Header=BB311_2079 Depth=1
	v_and_b32_e32 v32, 7, v13
	v_lshrrev_b32_e32 v33, 3, v34
	s_mov_b32 s23, exec_lo
	v_cmpx_gt_u32_e32 8, v34
; %bb.2643:                             ;   in Loop: Header=BB311_2079 Depth=1
	s_delay_alu instid0(VALU_DEP_3) | instskip(NEXT) | instid1(VALU_DEP_1)
	v_clz_i32_u32_e32 v32, v32
	v_min_u32_e32 v34, 32, v32
	s_delay_alu instid0(VALU_DEP_1) | instskip(NEXT) | instid1(VALU_DEP_1)
	v_subrev_nc_u32_e32 v32, 28, v34
	v_lshlrev_b64_e32 v[32:33], v32, v[2:3]
	v_sub_nc_u32_e32 v33, 29, v34
	s_delay_alu instid0(VALU_DEP_2)
	v_and_b32_e32 v32, 7, v32
; %bb.2644:                             ;   in Loop: Header=BB311_2079 Depth=1
	s_wait_alu 0xfffe
	s_or_b32 exec_lo, exec_lo, s23
	v_lshlrev_b32_e32 v34, 8, v13
	v_lshl_add_u32 v33, v33, 10, 0x2000
	v_lshlrev_b32_e32 v32, 7, v32
	s_delay_alu instid0(VALU_DEP_3) | instskip(NEXT) | instid1(VALU_DEP_3)
	v_and_b32_e32 v34, 0x8000, v34
	v_and_b32_e32 v33, 0xfc00, v33
	s_delay_alu instid0(VALU_DEP_1)
	v_or3_b32 v32, v34, v33, v32
.LBB311_2645:                           ;   in Loop: Header=BB311_2079 Depth=1
	s_wait_alu 0xfffe
	s_or_b32 exec_lo, exec_lo, s22
.LBB311_2646:                           ;   in Loop: Header=BB311_2079 Depth=1
	s_wait_alu 0xfffe
	s_or_b32 exec_lo, exec_lo, s21
.LBB311_2647:                           ;   in Loop: Header=BB311_2079 Depth=1
	s_wait_alu 0xfffe
	s_or_b32 exec_lo, exec_lo, s20
	v_lshrrev_b16 v2, 8, v2
	v_mov_b32_e32 v33, 0
	s_mov_b32 s20, exec_lo
	s_delay_alu instid0(VALU_DEP_2)
	v_cmpx_ne_u16_e32 0, v2
	s_cbranch_execz .LBB311_2655
; %bb.2648:                             ;   in Loop: Header=BB311_2079 Depth=1
	v_bfrev_b32_e32 v33, 1
	s_mov_b32 s21, exec_lo
	v_cmpx_ne_u16_e32 0x80, v2
	s_cbranch_execz .LBB311_2654
; %bb.2649:                             ;   in Loop: Header=BB311_2079 Depth=1
	v_and_b32_e32 v34, 0xffff, v2
	v_mov_b32_e32 v33, 0x7c010000
	s_mov_b32 s22, exec_lo
	s_delay_alu instid0(VALU_DEP_2) | instskip(NEXT) | instid1(VALU_DEP_1)
	v_and_b32_e32 v131, 0x7f, v34
	v_cmpx_ne_u32_e32 0x7f, v131
	s_cbranch_execz .LBB311_2653
; %bb.2650:                             ;   in Loop: Header=BB311_2079 Depth=1
	v_and_b32_e32 v33, 7, v34
	v_lshrrev_b32_e32 v130, 3, v131
	s_mov_b32 s23, exec_lo
	v_cmpx_gt_u32_e32 8, v131
; %bb.2651:                             ;   in Loop: Header=BB311_2079 Depth=1
	s_delay_alu instid0(VALU_DEP_3) | instskip(NEXT) | instid1(VALU_DEP_1)
	v_clz_i32_u32_e32 v33, v33
	v_min_u32_e32 v33, 32, v33
	s_delay_alu instid0(VALU_DEP_1) | instskip(NEXT) | instid1(VALU_DEP_1)
	v_subrev_nc_u32_e32 v130, 28, v33
	v_lshlrev_b64_e32 v[131:132], v130, v[2:3]
	v_sub_nc_u32_e32 v130, 29, v33
	s_delay_alu instid0(VALU_DEP_2)
	v_and_b32_e32 v33, 7, v131
; %bb.2652:                             ;   in Loop: Header=BB311_2079 Depth=1
	s_wait_alu 0xfffe
	s_or_b32 exec_lo, exec_lo, s23
	v_lshlrev_b32_e32 v2, 8, v34
	v_lshl_add_u32 v34, v130, 10, 0x2000
	v_lshlrev_b32_e32 v33, 23, v33
	s_delay_alu instid0(VALU_DEP_2) | instskip(NEXT) | instid1(VALU_DEP_1)
	v_and_or_b32 v2, 0x8000, v2, v34
	v_lshl_or_b32 v33, v2, 16, v33
.LBB311_2653:                           ;   in Loop: Header=BB311_2079 Depth=1
	s_wait_alu 0xfffe
	s_or_b32 exec_lo, exec_lo, s22
.LBB311_2654:                           ;   in Loop: Header=BB311_2079 Depth=1
	s_wait_alu 0xfffe
	s_or_b32 exec_lo, exec_lo, s21
.LBB311_2655:                           ;   in Loop: Header=BB311_2079 Depth=1
	s_wait_alu 0xfffe
	s_or_b32 exec_lo, exec_lo, s20
	v_lshrrev_b32_e32 v2, 16, v13
	s_mov_b32 s20, exec_lo
	s_delay_alu instid0(VALU_DEP_1) | instskip(NEXT) | instid1(VALU_DEP_1)
	v_and_b32_e32 v34, 0xff, v2
	v_cmpx_ne_u16_e32 0, v34
	s_cbranch_execz .LBB311_2663
; %bb.2656:                             ;   in Loop: Header=BB311_2079 Depth=1
	v_mov_b32_e32 v31, 0x8000
	s_mov_b32 s21, exec_lo
	v_cmpx_ne_u16_e32 0x80, v34
	s_cbranch_execz .LBB311_2662
; %bb.2657:                             ;   in Loop: Header=BB311_2079 Depth=1
	v_bfe_u32 v130, v13, 16, 7
	v_mov_b32_e32 v31, 0x7c01
	s_mov_b32 s22, exec_lo
	s_delay_alu instid0(VALU_DEP_2)
	v_cmpx_ne_u32_e32 0x7f, v130
	s_cbranch_execz .LBB311_2661
; %bb.2658:                             ;   in Loop: Header=BB311_2079 Depth=1
	v_and_b32_e32 v31, 7, v2
	v_lshrrev_b32_e32 v34, 3, v130
	s_mov_b32 s23, exec_lo
	v_cmpx_gt_u32_e32 8, v130
; %bb.2659:                             ;   in Loop: Header=BB311_2079 Depth=1
	s_delay_alu instid0(VALU_DEP_3) | instskip(NEXT) | instid1(VALU_DEP_1)
	v_clz_i32_u32_e32 v31, v31
	v_min_u32_e32 v31, 32, v31
	s_delay_alu instid0(VALU_DEP_1) | instskip(NEXT) | instid1(VALU_DEP_1)
	v_subrev_nc_u32_e32 v34, 28, v31
	v_lshlrev_b64_e32 v[130:131], v34, v[2:3]
	v_sub_nc_u32_e32 v34, 29, v31
	s_delay_alu instid0(VALU_DEP_2)
	v_and_b32_e32 v31, 7, v130
; %bb.2660:                             ;   in Loop: Header=BB311_2079 Depth=1
	s_wait_alu 0xfffe
	s_or_b32 exec_lo, exec_lo, s23
	v_lshlrev_b32_e32 v2, 8, v2
	v_lshl_add_u32 v34, v34, 10, 0x2000
	v_lshlrev_b32_e32 v31, 7, v31
	s_delay_alu instid0(VALU_DEP_3) | instskip(NEXT) | instid1(VALU_DEP_3)
	v_and_b32_e32 v2, 0x8000, v2
	v_and_b32_e32 v34, 0xfc00, v34
	s_delay_alu instid0(VALU_DEP_1)
	v_or3_b32 v31, v2, v34, v31
.LBB311_2661:                           ;   in Loop: Header=BB311_2079 Depth=1
	s_wait_alu 0xfffe
	s_or_b32 exec_lo, exec_lo, s22
.LBB311_2662:                           ;   in Loop: Header=BB311_2079 Depth=1
	s_wait_alu 0xfffe
	s_or_b32 exec_lo, exec_lo, s21
.LBB311_2663:                           ;   in Loop: Header=BB311_2079 Depth=1
	s_wait_alu 0xfffe
	s_or_b32 exec_lo, exec_lo, s20
	v_cmp_lt_u64_e64 s8, s[16:17], v[12:13]
	v_mov_b32_e32 v12, 0
	s_and_saveexec_b32 s20, s8
	s_cbranch_execz .LBB311_2671
; %bb.2664:                             ;   in Loop: Header=BB311_2079 Depth=1
	v_lshrrev_b32_e32 v2, 24, v13
	v_bfrev_b32_e32 v12, 1
	s_mov_b32 s21, exec_lo
	s_delay_alu instid0(VALU_DEP_2)
	v_cmpx_ne_u32_e32 0x80, v2
	s_cbranch_execz .LBB311_2670
; %bb.2665:                             ;   in Loop: Header=BB311_2079 Depth=1
	v_and_b32_e32 v34, 0x7f, v2
	v_mov_b32_e32 v12, 0x7c010000
	s_mov_b32 s22, exec_lo
	s_delay_alu instid0(VALU_DEP_2)
	v_cmpx_ne_u32_e32 0x7f, v34
	s_cbranch_execz .LBB311_2669
; %bb.2666:                             ;   in Loop: Header=BB311_2079 Depth=1
	v_and_b32_e32 v12, 7, v2
	v_lshrrev_b32_e32 v13, 3, v34
	s_mov_b32 s23, exec_lo
	v_cmpx_gt_u32_e32 8, v34
; %bb.2667:                             ;   in Loop: Header=BB311_2079 Depth=1
	s_delay_alu instid0(VALU_DEP_3) | instskip(NEXT) | instid1(VALU_DEP_1)
	v_clz_i32_u32_e32 v12, v12
	v_min_u32_e32 v34, 32, v12
	s_delay_alu instid0(VALU_DEP_1) | instskip(NEXT) | instid1(VALU_DEP_1)
	v_subrev_nc_u32_e32 v12, 28, v34
	v_lshlrev_b64_e32 v[12:13], v12, v[2:3]
	v_sub_nc_u32_e32 v13, 29, v34
	s_delay_alu instid0(VALU_DEP_2)
	v_and_b32_e32 v12, 7, v12
; %bb.2668:                             ;   in Loop: Header=BB311_2079 Depth=1
	s_wait_alu 0xfffe
	s_or_b32 exec_lo, exec_lo, s23
	v_lshlrev_b32_e32 v2, 8, v2
	v_lshl_add_u32 v13, v13, 10, 0x2000
	v_lshlrev_b32_e32 v12, 23, v12
	s_delay_alu instid0(VALU_DEP_2) | instskip(NEXT) | instid1(VALU_DEP_1)
	v_and_or_b32 v2, 0x8000, v2, v13
	v_lshl_or_b32 v12, v2, 16, v12
.LBB311_2669:                           ;   in Loop: Header=BB311_2079 Depth=1
	s_wait_alu 0xfffe
	s_or_b32 exec_lo, exec_lo, s22
.LBB311_2670:                           ;   in Loop: Header=BB311_2079 Depth=1
	s_wait_alu 0xfffe
	s_or_b32 exec_lo, exec_lo, s21
.LBB311_2671:                           ;   in Loop: Header=BB311_2079 Depth=1
	s_wait_alu 0xfffe
	s_or_b32 exec_lo, exec_lo, s20
	v_or_b32_e32 v2, v23, v30
	s_wait_loadcnt_dscnt 0x0
	v_fma_mixlo_f16 v13, v4, v23, 0 op_sel:[0,1,0] op_sel_hi:[0,1,0]
	v_or_b32_e32 v22, v5, v22
	v_fma_mixlo_f16 v5, v4, v5, 0 op_sel:[0,1,0] op_sel_hi:[0,1,0]
	v_or_b32_e32 v23, v33, v32
	v_fma_mixlo_f16 v30, v4, v2, 0 op_sel_hi:[0,1,0]
	v_or_b32_e32 v31, v12, v31
	v_lshlrev_b32_e32 v2, 16, v13
	v_lshlrev_b32_e32 v13, 16, v5
	v_fma_mixlo_f16 v22, v4, v22, 0 op_sel_hi:[0,1,0]
	v_and_b32_e32 v5, 0xffff, v30
	v_fma_mixlo_f16 v30, v4, v33, 0 op_sel:[0,1,0] op_sel_hi:[0,1,0]
	v_fma_mixlo_f16 v23, v4, v23, 0 op_sel_hi:[0,1,0]
	v_fma_mixlo_f16 v12, v4, v12, 0 op_sel:[0,1,0] op_sel_hi:[0,1,0]
	v_fma_mixlo_f16 v4, v4, v31, 0 op_sel_hi:[0,1,0]
	v_and_b32_e32 v34, 0xffff, v22
	v_lshlrev_b32_e32 v31, 16, v30
	v_and_b32_e32 v33, 0xffff, v23
	v_lshlrev_b32_e32 v30, 16, v12
	v_and_b32_e32 v32, 0xffff, v4
	v_or_b32_e32 v4, v2, v5
	v_or_b32_e32 v23, v13, v34
	v_or_b32_e32 v22, v31, v33
	s_delay_alu instid0(VALU_DEP_4)
	v_or_b32_e32 v12, v30, v32
	s_and_saveexec_b32 s8, s2
	s_cbranch_execz .LBB311_2673
; %bb.2672:                             ;   in Loop: Header=BB311_2079 Depth=1
	s_wait_alu 0xfffd
	v_cndmask_b32_e32 v4, 0, v34, vcc_lo
	v_cndmask_b32_e64 v12, 0, v13, s1
	v_cndmask_b32_e64 v5, 0, v5, s0
	;; [unrolled: 1-line block ×7, first 2 shown]
	v_or_b32_e32 v23, v4, v12
	v_or_b32_e32 v4, v5, v2
	;; [unrolled: 1-line block ×3, first 2 shown]
	s_delay_alu instid0(VALU_DEP_4)
	v_or_b32_e32 v12, v31, v30
.LBB311_2673:                           ;   in Loop: Header=BB311_2079 Depth=1
	s_wait_alu 0xfffe
	s_or_b32 exec_lo, exec_lo, s8
	;;#ASMSTART
	v_pk_mul_f16 v2, v98, v23;

	;;#ASMEND
	;;#ASMSTART
	v_pk_mul_f16 v4, v96, v4;

	;;#ASMEND
	;; [unrolled: 4-line block ×4, first 2 shown]
	;;#ASMSTART
	v_pk_add_f16 v2, v2, v4;

	;;#ASMEND
	;;#ASMSTART
	v_pk_add_f16 v2, v2, v5;

	;;#ASMEND
	;; [unrolled: 4-line block ×3, first 2 shown]
	v_dual_mov_b32 v5, 0 :: v_dual_and_b32 v4, 0xffff, v2
	v_lshrrev_b32_e32 v2, 16, v2
	;;#ASMSTART
	v_cvt_f32_f16 v130, v4;
	;;#ASMEND
	;;#ASMSTART
	v_cvt_f32_f16 v131, v2;
	;;#ASMEND
	flat_load_b64 v[12:13], v[10:11] offset:2304
	flat_load_b32 v4, v[26:27]
	v_mov_b32_e32 v22, 0
	s_mov_b32 s20, exec_lo
	s_wait_loadcnt_dscnt 0x101
	v_and_b32_e32 v2, 0xff, v12
	s_delay_alu instid0(VALU_DEP_1)
	v_cmpx_ne_u16_e32 0, v2
	s_cbranch_execz .LBB311_2681
; %bb.2674:                             ;   in Loop: Header=BB311_2079 Depth=1
	v_mov_b32_e32 v22, 0x8000
	s_mov_b32 s21, exec_lo
	v_cmpx_ne_u16_e32 0x80, v2
	s_cbranch_execz .LBB311_2680
; %bb.2675:                             ;   in Loop: Header=BB311_2079 Depth=1
	v_and_b32_e32 v23, 0x7f, v12
	v_mov_b32_e32 v22, 0x7c01
	s_mov_b32 s22, exec_lo
	s_delay_alu instid0(VALU_DEP_2)
	v_cmpx_ne_u32_e32 0x7f, v23
	s_cbranch_execz .LBB311_2679
; %bb.2676:                             ;   in Loop: Header=BB311_2079 Depth=1
	v_and_b32_e32 v2, 7, v12
	v_lshrrev_b32_e32 v22, 3, v23
	s_mov_b32 s23, exec_lo
	v_cmpx_gt_u32_e32 8, v23
; %bb.2677:                             ;   in Loop: Header=BB311_2079 Depth=1
	s_delay_alu instid0(VALU_DEP_3) | instskip(NEXT) | instid1(VALU_DEP_1)
	v_clz_i32_u32_e32 v2, v2
	v_min_u32_e32 v2, 32, v2
	s_delay_alu instid0(VALU_DEP_1) | instskip(NEXT) | instid1(VALU_DEP_1)
	v_subrev_nc_u32_e32 v22, 28, v2
	v_lshlrev_b64_e32 v[30:31], v22, v[12:13]
	v_sub_nc_u32_e32 v22, 29, v2
	s_delay_alu instid0(VALU_DEP_2)
	v_and_b32_e32 v2, 7, v30
; %bb.2678:                             ;   in Loop: Header=BB311_2079 Depth=1
	s_wait_alu 0xfffe
	s_or_b32 exec_lo, exec_lo, s23
	v_lshlrev_b32_e32 v23, 8, v12
	v_lshl_add_u32 v22, v22, 10, 0x2000
	v_lshlrev_b32_e32 v2, 7, v2
	s_delay_alu instid0(VALU_DEP_3) | instskip(NEXT) | instid1(VALU_DEP_3)
	v_and_b32_e32 v23, 0x8000, v23
	v_and_b32_e32 v22, 0xfc00, v22
	s_delay_alu instid0(VALU_DEP_1)
	v_or3_b32 v22, v23, v22, v2
.LBB311_2679:                           ;   in Loop: Header=BB311_2079 Depth=1
	s_wait_alu 0xfffe
	s_or_b32 exec_lo, exec_lo, s22
.LBB311_2680:                           ;   in Loop: Header=BB311_2079 Depth=1
	s_wait_alu 0xfffe
	s_or_b32 exec_lo, exec_lo, s21
.LBB311_2681:                           ;   in Loop: Header=BB311_2079 Depth=1
	s_wait_alu 0xfffe
	s_or_b32 exec_lo, exec_lo, s20
	v_lshrrev_b16 v2, 8, v12
	s_mov_b32 s20, exec_lo
	s_delay_alu instid0(VALU_DEP_1)
	v_cmpx_ne_u16_e32 0, v2
	s_cbranch_execz .LBB311_2689
; %bb.2682:                             ;   in Loop: Header=BB311_2079 Depth=1
	v_bfrev_b32_e32 v5, 1
	s_mov_b32 s21, exec_lo
	v_cmpx_ne_u16_e32 0x80, v2
	s_cbranch_execz .LBB311_2688
; %bb.2683:                             ;   in Loop: Header=BB311_2079 Depth=1
	v_and_b32_e32 v23, 0xffff, v2
	v_mov_b32_e32 v5, 0x7c010000
	s_mov_b32 s22, exec_lo
	s_delay_alu instid0(VALU_DEP_2) | instskip(NEXT) | instid1(VALU_DEP_1)
	v_and_b32_e32 v31, 0x7f, v23
	v_cmpx_ne_u32_e32 0x7f, v31
	s_cbranch_execz .LBB311_2687
; %bb.2684:                             ;   in Loop: Header=BB311_2079 Depth=1
	v_and_b32_e32 v5, 7, v23
	v_lshrrev_b32_e32 v30, 3, v31
	s_mov_b32 s23, exec_lo
	v_cmpx_gt_u32_e32 8, v31
; %bb.2685:                             ;   in Loop: Header=BB311_2079 Depth=1
	s_delay_alu instid0(VALU_DEP_3) | instskip(NEXT) | instid1(VALU_DEP_1)
	v_clz_i32_u32_e32 v5, v5
	v_min_u32_e32 v5, 32, v5
	s_delay_alu instid0(VALU_DEP_1) | instskip(NEXT) | instid1(VALU_DEP_1)
	v_subrev_nc_u32_e32 v30, 28, v5
	v_lshlrev_b64_e32 v[31:32], v30, v[2:3]
	v_sub_nc_u32_e32 v30, 29, v5
	s_delay_alu instid0(VALU_DEP_2)
	v_and_b32_e32 v5, 7, v31
; %bb.2686:                             ;   in Loop: Header=BB311_2079 Depth=1
	s_wait_alu 0xfffe
	s_or_b32 exec_lo, exec_lo, s23
	v_lshlrev_b32_e32 v2, 8, v23
	v_lshl_add_u32 v23, v30, 10, 0x2000
	v_lshlrev_b32_e32 v5, 23, v5
	s_delay_alu instid0(VALU_DEP_2) | instskip(NEXT) | instid1(VALU_DEP_1)
	v_and_or_b32 v2, 0x8000, v2, v23
	v_lshl_or_b32 v5, v2, 16, v5
.LBB311_2687:                           ;   in Loop: Header=BB311_2079 Depth=1
	s_wait_alu 0xfffe
	s_or_b32 exec_lo, exec_lo, s22
.LBB311_2688:                           ;   in Loop: Header=BB311_2079 Depth=1
	s_wait_alu 0xfffe
	s_or_b32 exec_lo, exec_lo, s21
.LBB311_2689:                           ;   in Loop: Header=BB311_2079 Depth=1
	s_wait_alu 0xfffe
	s_or_b32 exec_lo, exec_lo, s20
	v_lshrrev_b32_e32 v2, 16, v12
	v_mov_b32_e32 v23, 0
	s_mov_b32 s20, exec_lo
	s_delay_alu instid0(VALU_DEP_2) | instskip(NEXT) | instid1(VALU_DEP_1)
	v_dual_mov_b32 v30, 0 :: v_dual_and_b32 v31, 0xff, v2
	v_cmpx_ne_u16_e32 0, v31
	s_cbranch_execz .LBB311_2697
; %bb.2690:                             ;   in Loop: Header=BB311_2079 Depth=1
	v_mov_b32_e32 v30, 0x8000
	s_mov_b32 s21, exec_lo
	v_cmpx_ne_u16_e32 0x80, v31
	s_cbranch_execz .LBB311_2696
; %bb.2691:                             ;   in Loop: Header=BB311_2079 Depth=1
	v_bfe_u32 v32, v12, 16, 7
	v_mov_b32_e32 v30, 0x7c01
	s_mov_b32 s22, exec_lo
	s_delay_alu instid0(VALU_DEP_2)
	v_cmpx_ne_u32_e32 0x7f, v32
	s_cbranch_execz .LBB311_2695
; %bb.2692:                             ;   in Loop: Header=BB311_2079 Depth=1
	v_and_b32_e32 v30, 7, v2
	v_lshrrev_b32_e32 v31, 3, v32
	s_mov_b32 s23, exec_lo
	v_cmpx_gt_u32_e32 8, v32
; %bb.2693:                             ;   in Loop: Header=BB311_2079 Depth=1
	s_delay_alu instid0(VALU_DEP_3) | instskip(NEXT) | instid1(VALU_DEP_1)
	v_clz_i32_u32_e32 v30, v30
	v_min_u32_e32 v32, 32, v30
	s_delay_alu instid0(VALU_DEP_1) | instskip(NEXT) | instid1(VALU_DEP_1)
	v_subrev_nc_u32_e32 v30, 28, v32
	v_lshlrev_b64_e32 v[30:31], v30, v[2:3]
	v_sub_nc_u32_e32 v31, 29, v32
	s_delay_alu instid0(VALU_DEP_2)
	v_and_b32_e32 v30, 7, v30
; %bb.2694:                             ;   in Loop: Header=BB311_2079 Depth=1
	s_wait_alu 0xfffe
	s_or_b32 exec_lo, exec_lo, s23
	v_lshlrev_b32_e32 v2, 8, v2
	v_lshl_add_u32 v31, v31, 10, 0x2000
	v_lshlrev_b32_e32 v30, 7, v30
	s_delay_alu instid0(VALU_DEP_3) | instskip(NEXT) | instid1(VALU_DEP_3)
	v_and_b32_e32 v2, 0x8000, v2
	v_and_b32_e32 v31, 0xfc00, v31
	s_delay_alu instid0(VALU_DEP_1)
	v_or3_b32 v30, v2, v31, v30
.LBB311_2695:                           ;   in Loop: Header=BB311_2079 Depth=1
	s_wait_alu 0xfffe
	s_or_b32 exec_lo, exec_lo, s22
.LBB311_2696:                           ;   in Loop: Header=BB311_2079 Depth=1
	s_wait_alu 0xfffe
	s_or_b32 exec_lo, exec_lo, s21
.LBB311_2697:                           ;   in Loop: Header=BB311_2079 Depth=1
	s_wait_alu 0xfffe
	s_or_b32 exec_lo, exec_lo, s20
	s_delay_alu instid0(SALU_CYCLE_1)
	s_mov_b32 s20, exec_lo
	v_cmpx_lt_u32_e32 0xffffff, v12
	s_cbranch_execz .LBB311_2705
; %bb.2698:                             ;   in Loop: Header=BB311_2079 Depth=1
	v_lshrrev_b32_e32 v2, 24, v12
	v_bfrev_b32_e32 v23, 1
	s_mov_b32 s21, exec_lo
	s_delay_alu instid0(VALU_DEP_2)
	v_cmpx_ne_u32_e32 0x80, v2
	s_cbranch_execz .LBB311_2704
; %bb.2699:                             ;   in Loop: Header=BB311_2079 Depth=1
	v_and_b32_e32 v32, 0x7f, v2
	v_mov_b32_e32 v23, 0x7c010000
	s_mov_b32 s22, exec_lo
	s_delay_alu instid0(VALU_DEP_2)
	v_cmpx_ne_u32_e32 0x7f, v32
	s_cbranch_execz .LBB311_2703
; %bb.2700:                             ;   in Loop: Header=BB311_2079 Depth=1
	v_and_b32_e32 v23, 7, v2
	v_lshrrev_b32_e32 v31, 3, v32
	s_mov_b32 s23, exec_lo
	v_cmpx_gt_u32_e32 8, v32
; %bb.2701:                             ;   in Loop: Header=BB311_2079 Depth=1
	s_delay_alu instid0(VALU_DEP_3) | instskip(NEXT) | instid1(VALU_DEP_1)
	v_clz_i32_u32_e32 v23, v23
	v_min_u32_e32 v23, 32, v23
	s_delay_alu instid0(VALU_DEP_1) | instskip(NEXT) | instid1(VALU_DEP_1)
	v_subrev_nc_u32_e32 v31, 28, v23
	v_lshlrev_b64_e32 v[32:33], v31, v[2:3]
	v_sub_nc_u32_e32 v31, 29, v23
	s_delay_alu instid0(VALU_DEP_2)
	v_and_b32_e32 v23, 7, v32
; %bb.2702:                             ;   in Loop: Header=BB311_2079 Depth=1
	s_wait_alu 0xfffe
	s_or_b32 exec_lo, exec_lo, s23
	v_lshlrev_b32_e32 v2, 8, v2
	v_lshl_add_u32 v31, v31, 10, 0x2000
	v_lshlrev_b32_e32 v23, 23, v23
	s_delay_alu instid0(VALU_DEP_2) | instskip(NEXT) | instid1(VALU_DEP_1)
	v_and_or_b32 v2, 0x8000, v2, v31
	v_lshl_or_b32 v23, v2, 16, v23
.LBB311_2703:                           ;   in Loop: Header=BB311_2079 Depth=1
	s_wait_alu 0xfffe
	s_or_b32 exec_lo, exec_lo, s22
.LBB311_2704:                           ;   in Loop: Header=BB311_2079 Depth=1
	s_wait_alu 0xfffe
	s_or_b32 exec_lo, exec_lo, s21
.LBB311_2705:                           ;   in Loop: Header=BB311_2079 Depth=1
	s_wait_alu 0xfffe
	s_or_b32 exec_lo, exec_lo, s20
	v_dual_mov_b32 v2, v13 :: v_dual_and_b32 v33, 0xff, v13
	v_dual_mov_b32 v31, 0 :: v_dual_mov_b32 v32, 0
	s_mov_b32 s20, exec_lo
	s_delay_alu instid0(VALU_DEP_2)
	v_cmpx_ne_u16_e32 0, v33
	s_cbranch_execz .LBB311_2713
; %bb.2706:                             ;   in Loop: Header=BB311_2079 Depth=1
	v_mov_b32_e32 v32, 0x8000
	s_mov_b32 s21, exec_lo
	v_cmpx_ne_u16_e32 0x80, v33
	s_cbranch_execz .LBB311_2712
; %bb.2707:                             ;   in Loop: Header=BB311_2079 Depth=1
	v_and_b32_e32 v34, 0x7f, v13
	v_mov_b32_e32 v32, 0x7c01
	s_mov_b32 s22, exec_lo
	s_delay_alu instid0(VALU_DEP_2)
	v_cmpx_ne_u32_e32 0x7f, v34
	s_cbranch_execz .LBB311_2711
; %bb.2708:                             ;   in Loop: Header=BB311_2079 Depth=1
	v_and_b32_e32 v32, 7, v13
	v_lshrrev_b32_e32 v33, 3, v34
	s_mov_b32 s23, exec_lo
	v_cmpx_gt_u32_e32 8, v34
; %bb.2709:                             ;   in Loop: Header=BB311_2079 Depth=1
	s_delay_alu instid0(VALU_DEP_3) | instskip(NEXT) | instid1(VALU_DEP_1)
	v_clz_i32_u32_e32 v32, v32
	v_min_u32_e32 v34, 32, v32
	s_delay_alu instid0(VALU_DEP_1) | instskip(NEXT) | instid1(VALU_DEP_1)
	v_subrev_nc_u32_e32 v32, 28, v34
	v_lshlrev_b64_e32 v[32:33], v32, v[2:3]
	v_sub_nc_u32_e32 v33, 29, v34
	s_delay_alu instid0(VALU_DEP_2)
	v_and_b32_e32 v32, 7, v32
; %bb.2710:                             ;   in Loop: Header=BB311_2079 Depth=1
	s_wait_alu 0xfffe
	s_or_b32 exec_lo, exec_lo, s23
	v_lshlrev_b32_e32 v34, 8, v13
	v_lshl_add_u32 v33, v33, 10, 0x2000
	v_lshlrev_b32_e32 v32, 7, v32
	s_delay_alu instid0(VALU_DEP_3) | instskip(NEXT) | instid1(VALU_DEP_3)
	v_and_b32_e32 v34, 0x8000, v34
	v_and_b32_e32 v33, 0xfc00, v33
	s_delay_alu instid0(VALU_DEP_1)
	v_or3_b32 v32, v34, v33, v32
.LBB311_2711:                           ;   in Loop: Header=BB311_2079 Depth=1
	s_wait_alu 0xfffe
	s_or_b32 exec_lo, exec_lo, s22
.LBB311_2712:                           ;   in Loop: Header=BB311_2079 Depth=1
	s_wait_alu 0xfffe
	s_or_b32 exec_lo, exec_lo, s21
.LBB311_2713:                           ;   in Loop: Header=BB311_2079 Depth=1
	s_wait_alu 0xfffe
	s_or_b32 exec_lo, exec_lo, s20
	v_lshrrev_b16 v2, 8, v2
	v_mov_b32_e32 v33, 0
	s_mov_b32 s20, exec_lo
	s_delay_alu instid0(VALU_DEP_2)
	v_cmpx_ne_u16_e32 0, v2
	s_cbranch_execz .LBB311_2721
; %bb.2714:                             ;   in Loop: Header=BB311_2079 Depth=1
	v_bfrev_b32_e32 v33, 1
	s_mov_b32 s21, exec_lo
	v_cmpx_ne_u16_e32 0x80, v2
	s_cbranch_execz .LBB311_2720
; %bb.2715:                             ;   in Loop: Header=BB311_2079 Depth=1
	v_and_b32_e32 v34, 0xffff, v2
	v_mov_b32_e32 v33, 0x7c010000
	s_mov_b32 s22, exec_lo
	s_delay_alu instid0(VALU_DEP_2) | instskip(NEXT) | instid1(VALU_DEP_1)
	v_and_b32_e32 v133, 0x7f, v34
	v_cmpx_ne_u32_e32 0x7f, v133
	s_cbranch_execz .LBB311_2719
; %bb.2716:                             ;   in Loop: Header=BB311_2079 Depth=1
	v_and_b32_e32 v33, 7, v34
	v_lshrrev_b32_e32 v132, 3, v133
	s_mov_b32 s23, exec_lo
	v_cmpx_gt_u32_e32 8, v133
; %bb.2717:                             ;   in Loop: Header=BB311_2079 Depth=1
	s_delay_alu instid0(VALU_DEP_3) | instskip(NEXT) | instid1(VALU_DEP_1)
	v_clz_i32_u32_e32 v33, v33
	v_min_u32_e32 v33, 32, v33
	s_delay_alu instid0(VALU_DEP_1) | instskip(NEXT) | instid1(VALU_DEP_1)
	v_subrev_nc_u32_e32 v132, 28, v33
	v_lshlrev_b64_e32 v[133:134], v132, v[2:3]
	v_sub_nc_u32_e32 v132, 29, v33
	s_delay_alu instid0(VALU_DEP_2)
	v_and_b32_e32 v33, 7, v133
; %bb.2718:                             ;   in Loop: Header=BB311_2079 Depth=1
	s_wait_alu 0xfffe
	s_or_b32 exec_lo, exec_lo, s23
	v_lshlrev_b32_e32 v2, 8, v34
	v_lshl_add_u32 v34, v132, 10, 0x2000
	v_lshlrev_b32_e32 v33, 23, v33
	s_delay_alu instid0(VALU_DEP_2) | instskip(NEXT) | instid1(VALU_DEP_1)
	v_and_or_b32 v2, 0x8000, v2, v34
	v_lshl_or_b32 v33, v2, 16, v33
.LBB311_2719:                           ;   in Loop: Header=BB311_2079 Depth=1
	s_wait_alu 0xfffe
	s_or_b32 exec_lo, exec_lo, s22
.LBB311_2720:                           ;   in Loop: Header=BB311_2079 Depth=1
	s_wait_alu 0xfffe
	s_or_b32 exec_lo, exec_lo, s21
.LBB311_2721:                           ;   in Loop: Header=BB311_2079 Depth=1
	s_wait_alu 0xfffe
	s_or_b32 exec_lo, exec_lo, s20
	v_lshrrev_b32_e32 v2, 16, v13
	s_mov_b32 s20, exec_lo
	s_delay_alu instid0(VALU_DEP_1) | instskip(NEXT) | instid1(VALU_DEP_1)
	v_and_b32_e32 v34, 0xff, v2
	v_cmpx_ne_u16_e32 0, v34
	s_cbranch_execz .LBB311_2729
; %bb.2722:                             ;   in Loop: Header=BB311_2079 Depth=1
	v_mov_b32_e32 v31, 0x8000
	s_mov_b32 s21, exec_lo
	v_cmpx_ne_u16_e32 0x80, v34
	s_cbranch_execz .LBB311_2728
; %bb.2723:                             ;   in Loop: Header=BB311_2079 Depth=1
	v_bfe_u32 v132, v13, 16, 7
	v_mov_b32_e32 v31, 0x7c01
	s_mov_b32 s22, exec_lo
	s_delay_alu instid0(VALU_DEP_2)
	v_cmpx_ne_u32_e32 0x7f, v132
	s_cbranch_execz .LBB311_2727
; %bb.2724:                             ;   in Loop: Header=BB311_2079 Depth=1
	v_and_b32_e32 v31, 7, v2
	v_lshrrev_b32_e32 v34, 3, v132
	s_mov_b32 s23, exec_lo
	v_cmpx_gt_u32_e32 8, v132
; %bb.2725:                             ;   in Loop: Header=BB311_2079 Depth=1
	s_delay_alu instid0(VALU_DEP_3) | instskip(NEXT) | instid1(VALU_DEP_1)
	v_clz_i32_u32_e32 v31, v31
	v_min_u32_e32 v31, 32, v31
	s_delay_alu instid0(VALU_DEP_1) | instskip(NEXT) | instid1(VALU_DEP_1)
	v_subrev_nc_u32_e32 v34, 28, v31
	v_lshlrev_b64_e32 v[132:133], v34, v[2:3]
	v_sub_nc_u32_e32 v34, 29, v31
	s_delay_alu instid0(VALU_DEP_2)
	v_and_b32_e32 v31, 7, v132
; %bb.2726:                             ;   in Loop: Header=BB311_2079 Depth=1
	s_wait_alu 0xfffe
	s_or_b32 exec_lo, exec_lo, s23
	v_lshlrev_b32_e32 v2, 8, v2
	v_lshl_add_u32 v34, v34, 10, 0x2000
	v_lshlrev_b32_e32 v31, 7, v31
	s_delay_alu instid0(VALU_DEP_3) | instskip(NEXT) | instid1(VALU_DEP_3)
	v_and_b32_e32 v2, 0x8000, v2
	v_and_b32_e32 v34, 0xfc00, v34
	s_delay_alu instid0(VALU_DEP_1)
	v_or3_b32 v31, v2, v34, v31
.LBB311_2727:                           ;   in Loop: Header=BB311_2079 Depth=1
	s_wait_alu 0xfffe
	s_or_b32 exec_lo, exec_lo, s22
.LBB311_2728:                           ;   in Loop: Header=BB311_2079 Depth=1
	s_wait_alu 0xfffe
	s_or_b32 exec_lo, exec_lo, s21
.LBB311_2729:                           ;   in Loop: Header=BB311_2079 Depth=1
	s_wait_alu 0xfffe
	s_or_b32 exec_lo, exec_lo, s20
	v_cmp_lt_u64_e64 s8, s[16:17], v[12:13]
	v_mov_b32_e32 v12, 0
	s_and_saveexec_b32 s20, s8
	s_cbranch_execz .LBB311_2737
; %bb.2730:                             ;   in Loop: Header=BB311_2079 Depth=1
	v_lshrrev_b32_e32 v2, 24, v13
	v_bfrev_b32_e32 v12, 1
	s_mov_b32 s21, exec_lo
	s_delay_alu instid0(VALU_DEP_2)
	v_cmpx_ne_u32_e32 0x80, v2
	s_cbranch_execz .LBB311_2736
; %bb.2731:                             ;   in Loop: Header=BB311_2079 Depth=1
	v_and_b32_e32 v34, 0x7f, v2
	v_mov_b32_e32 v12, 0x7c010000
	s_mov_b32 s22, exec_lo
	s_delay_alu instid0(VALU_DEP_2)
	v_cmpx_ne_u32_e32 0x7f, v34
	s_cbranch_execz .LBB311_2735
; %bb.2732:                             ;   in Loop: Header=BB311_2079 Depth=1
	v_and_b32_e32 v12, 7, v2
	v_lshrrev_b32_e32 v13, 3, v34
	s_mov_b32 s23, exec_lo
	v_cmpx_gt_u32_e32 8, v34
; %bb.2733:                             ;   in Loop: Header=BB311_2079 Depth=1
	s_delay_alu instid0(VALU_DEP_3) | instskip(NEXT) | instid1(VALU_DEP_1)
	v_clz_i32_u32_e32 v12, v12
	v_min_u32_e32 v34, 32, v12
	s_delay_alu instid0(VALU_DEP_1) | instskip(NEXT) | instid1(VALU_DEP_1)
	v_subrev_nc_u32_e32 v12, 28, v34
	v_lshlrev_b64_e32 v[12:13], v12, v[2:3]
	v_sub_nc_u32_e32 v13, 29, v34
	s_delay_alu instid0(VALU_DEP_2)
	v_and_b32_e32 v12, 7, v12
; %bb.2734:                             ;   in Loop: Header=BB311_2079 Depth=1
	s_wait_alu 0xfffe
	s_or_b32 exec_lo, exec_lo, s23
	v_lshlrev_b32_e32 v2, 8, v2
	v_lshl_add_u32 v13, v13, 10, 0x2000
	v_lshlrev_b32_e32 v12, 23, v12
	s_delay_alu instid0(VALU_DEP_2) | instskip(NEXT) | instid1(VALU_DEP_1)
	v_and_or_b32 v2, 0x8000, v2, v13
	v_lshl_or_b32 v12, v2, 16, v12
.LBB311_2735:                           ;   in Loop: Header=BB311_2079 Depth=1
	s_wait_alu 0xfffe
	s_or_b32 exec_lo, exec_lo, s22
.LBB311_2736:                           ;   in Loop: Header=BB311_2079 Depth=1
	s_wait_alu 0xfffe
	s_or_b32 exec_lo, exec_lo, s21
.LBB311_2737:                           ;   in Loop: Header=BB311_2079 Depth=1
	s_wait_alu 0xfffe
	s_or_b32 exec_lo, exec_lo, s20
	v_or_b32_e32 v2, v23, v30
	s_wait_loadcnt_dscnt 0x0
	v_fma_mixlo_f16 v13, v4, v23, 0 op_sel:[0,1,0] op_sel_hi:[0,1,0]
	v_or_b32_e32 v22, v5, v22
	v_fma_mixlo_f16 v5, v4, v5, 0 op_sel:[0,1,0] op_sel_hi:[0,1,0]
	v_or_b32_e32 v23, v33, v32
	v_fma_mixlo_f16 v30, v4, v2, 0 op_sel_hi:[0,1,0]
	v_or_b32_e32 v31, v12, v31
	v_lshlrev_b32_e32 v2, 16, v13
	v_lshlrev_b32_e32 v13, 16, v5
	v_fma_mixlo_f16 v22, v4, v22, 0 op_sel_hi:[0,1,0]
	v_and_b32_e32 v5, 0xffff, v30
	v_fma_mixlo_f16 v30, v4, v33, 0 op_sel:[0,1,0] op_sel_hi:[0,1,0]
	v_fma_mixlo_f16 v23, v4, v23, 0 op_sel_hi:[0,1,0]
	v_fma_mixlo_f16 v12, v4, v12, 0 op_sel:[0,1,0] op_sel_hi:[0,1,0]
	v_fma_mixlo_f16 v4, v4, v31, 0 op_sel_hi:[0,1,0]
	v_and_b32_e32 v34, 0xffff, v22
	v_lshlrev_b32_e32 v31, 16, v30
	v_and_b32_e32 v33, 0xffff, v23
	v_lshlrev_b32_e32 v30, 16, v12
	v_and_b32_e32 v32, 0xffff, v4
	v_or_b32_e32 v4, v2, v5
	v_or_b32_e32 v23, v13, v34
	;; [unrolled: 1-line block ×3, first 2 shown]
	s_delay_alu instid0(VALU_DEP_4)
	v_or_b32_e32 v12, v30, v32
	s_and_saveexec_b32 s8, s2
	s_cbranch_execz .LBB311_2739
; %bb.2738:                             ;   in Loop: Header=BB311_2079 Depth=1
	s_wait_alu 0xfffd
	v_cndmask_b32_e32 v4, 0, v34, vcc_lo
	v_cndmask_b32_e64 v12, 0, v13, s1
	v_cndmask_b32_e64 v5, 0, v5, s0
	;; [unrolled: 1-line block ×7, first 2 shown]
	v_or_b32_e32 v23, v4, v12
	v_or_b32_e32 v4, v5, v2
	;; [unrolled: 1-line block ×3, first 2 shown]
	s_delay_alu instid0(VALU_DEP_4)
	v_or_b32_e32 v12, v31, v30
.LBB311_2739:                           ;   in Loop: Header=BB311_2079 Depth=1
	s_wait_alu 0xfffe
	s_or_b32 exec_lo, exec_lo, s8
	;;#ASMSTART
	v_pk_mul_f16 v2, v98, v23;

	;;#ASMEND
	;;#ASMSTART
	v_pk_mul_f16 v4, v96, v4;

	;;#ASMEND
	;; [unrolled: 4-line block ×4, first 2 shown]
	;;#ASMSTART
	v_pk_add_f16 v2, v2, v4;

	;;#ASMEND
	;;#ASMSTART
	v_pk_add_f16 v2, v2, v5;

	;;#ASMEND
	;; [unrolled: 4-line block ×3, first 2 shown]
	v_dual_mov_b32 v5, 0 :: v_dual_and_b32 v4, 0xffff, v2
	v_lshrrev_b32_e32 v2, 16, v2
	;;#ASMSTART
	v_cvt_f32_f16 v132, v4;
	;;#ASMEND
	;;#ASMSTART
	v_cvt_f32_f16 v133, v2;
	;;#ASMEND
	flat_load_b64 v[12:13], v[10:11] offset:2560
	flat_load_b32 v4, v[26:27]
	v_mov_b32_e32 v22, 0
	s_mov_b32 s20, exec_lo
	s_wait_loadcnt_dscnt 0x101
	v_and_b32_e32 v2, 0xff, v12
	s_delay_alu instid0(VALU_DEP_1)
	v_cmpx_ne_u16_e32 0, v2
	s_cbranch_execz .LBB311_2747
; %bb.2740:                             ;   in Loop: Header=BB311_2079 Depth=1
	v_mov_b32_e32 v22, 0x8000
	s_mov_b32 s21, exec_lo
	v_cmpx_ne_u16_e32 0x80, v2
	s_cbranch_execz .LBB311_2746
; %bb.2741:                             ;   in Loop: Header=BB311_2079 Depth=1
	v_and_b32_e32 v23, 0x7f, v12
	v_mov_b32_e32 v22, 0x7c01
	s_mov_b32 s22, exec_lo
	s_delay_alu instid0(VALU_DEP_2)
	v_cmpx_ne_u32_e32 0x7f, v23
	s_cbranch_execz .LBB311_2745
; %bb.2742:                             ;   in Loop: Header=BB311_2079 Depth=1
	v_and_b32_e32 v2, 7, v12
	v_lshrrev_b32_e32 v22, 3, v23
	s_mov_b32 s23, exec_lo
	v_cmpx_gt_u32_e32 8, v23
; %bb.2743:                             ;   in Loop: Header=BB311_2079 Depth=1
	s_delay_alu instid0(VALU_DEP_3) | instskip(NEXT) | instid1(VALU_DEP_1)
	v_clz_i32_u32_e32 v2, v2
	v_min_u32_e32 v2, 32, v2
	s_delay_alu instid0(VALU_DEP_1) | instskip(NEXT) | instid1(VALU_DEP_1)
	v_subrev_nc_u32_e32 v22, 28, v2
	v_lshlrev_b64_e32 v[30:31], v22, v[12:13]
	v_sub_nc_u32_e32 v22, 29, v2
	s_delay_alu instid0(VALU_DEP_2)
	v_and_b32_e32 v2, 7, v30
; %bb.2744:                             ;   in Loop: Header=BB311_2079 Depth=1
	s_wait_alu 0xfffe
	s_or_b32 exec_lo, exec_lo, s23
	v_lshlrev_b32_e32 v23, 8, v12
	v_lshl_add_u32 v22, v22, 10, 0x2000
	v_lshlrev_b32_e32 v2, 7, v2
	s_delay_alu instid0(VALU_DEP_3) | instskip(NEXT) | instid1(VALU_DEP_3)
	v_and_b32_e32 v23, 0x8000, v23
	v_and_b32_e32 v22, 0xfc00, v22
	s_delay_alu instid0(VALU_DEP_1)
	v_or3_b32 v22, v23, v22, v2
.LBB311_2745:                           ;   in Loop: Header=BB311_2079 Depth=1
	s_wait_alu 0xfffe
	s_or_b32 exec_lo, exec_lo, s22
.LBB311_2746:                           ;   in Loop: Header=BB311_2079 Depth=1
	s_wait_alu 0xfffe
	s_or_b32 exec_lo, exec_lo, s21
.LBB311_2747:                           ;   in Loop: Header=BB311_2079 Depth=1
	s_wait_alu 0xfffe
	s_or_b32 exec_lo, exec_lo, s20
	v_lshrrev_b16 v2, 8, v12
	s_mov_b32 s20, exec_lo
	s_delay_alu instid0(VALU_DEP_1)
	v_cmpx_ne_u16_e32 0, v2
	s_cbranch_execz .LBB311_2755
; %bb.2748:                             ;   in Loop: Header=BB311_2079 Depth=1
	v_bfrev_b32_e32 v5, 1
	s_mov_b32 s21, exec_lo
	v_cmpx_ne_u16_e32 0x80, v2
	s_cbranch_execz .LBB311_2754
; %bb.2749:                             ;   in Loop: Header=BB311_2079 Depth=1
	v_and_b32_e32 v23, 0xffff, v2
	v_mov_b32_e32 v5, 0x7c010000
	s_mov_b32 s22, exec_lo
	s_delay_alu instid0(VALU_DEP_2) | instskip(NEXT) | instid1(VALU_DEP_1)
	v_and_b32_e32 v31, 0x7f, v23
	v_cmpx_ne_u32_e32 0x7f, v31
	s_cbranch_execz .LBB311_2753
; %bb.2750:                             ;   in Loop: Header=BB311_2079 Depth=1
	v_and_b32_e32 v5, 7, v23
	v_lshrrev_b32_e32 v30, 3, v31
	s_mov_b32 s23, exec_lo
	v_cmpx_gt_u32_e32 8, v31
; %bb.2751:                             ;   in Loop: Header=BB311_2079 Depth=1
	s_delay_alu instid0(VALU_DEP_3) | instskip(NEXT) | instid1(VALU_DEP_1)
	v_clz_i32_u32_e32 v5, v5
	v_min_u32_e32 v5, 32, v5
	s_delay_alu instid0(VALU_DEP_1) | instskip(NEXT) | instid1(VALU_DEP_1)
	v_subrev_nc_u32_e32 v30, 28, v5
	v_lshlrev_b64_e32 v[31:32], v30, v[2:3]
	v_sub_nc_u32_e32 v30, 29, v5
	s_delay_alu instid0(VALU_DEP_2)
	v_and_b32_e32 v5, 7, v31
; %bb.2752:                             ;   in Loop: Header=BB311_2079 Depth=1
	s_wait_alu 0xfffe
	s_or_b32 exec_lo, exec_lo, s23
	v_lshlrev_b32_e32 v2, 8, v23
	v_lshl_add_u32 v23, v30, 10, 0x2000
	v_lshlrev_b32_e32 v5, 23, v5
	s_delay_alu instid0(VALU_DEP_2) | instskip(NEXT) | instid1(VALU_DEP_1)
	v_and_or_b32 v2, 0x8000, v2, v23
	v_lshl_or_b32 v5, v2, 16, v5
.LBB311_2753:                           ;   in Loop: Header=BB311_2079 Depth=1
	s_wait_alu 0xfffe
	s_or_b32 exec_lo, exec_lo, s22
.LBB311_2754:                           ;   in Loop: Header=BB311_2079 Depth=1
	s_wait_alu 0xfffe
	s_or_b32 exec_lo, exec_lo, s21
.LBB311_2755:                           ;   in Loop: Header=BB311_2079 Depth=1
	s_wait_alu 0xfffe
	s_or_b32 exec_lo, exec_lo, s20
	v_lshrrev_b32_e32 v2, 16, v12
	v_mov_b32_e32 v23, 0
	s_mov_b32 s20, exec_lo
	s_delay_alu instid0(VALU_DEP_2) | instskip(NEXT) | instid1(VALU_DEP_1)
	v_dual_mov_b32 v30, 0 :: v_dual_and_b32 v31, 0xff, v2
	v_cmpx_ne_u16_e32 0, v31
	s_cbranch_execz .LBB311_2763
; %bb.2756:                             ;   in Loop: Header=BB311_2079 Depth=1
	v_mov_b32_e32 v30, 0x8000
	s_mov_b32 s21, exec_lo
	v_cmpx_ne_u16_e32 0x80, v31
	s_cbranch_execz .LBB311_2762
; %bb.2757:                             ;   in Loop: Header=BB311_2079 Depth=1
	v_bfe_u32 v32, v12, 16, 7
	v_mov_b32_e32 v30, 0x7c01
	s_mov_b32 s22, exec_lo
	s_delay_alu instid0(VALU_DEP_2)
	v_cmpx_ne_u32_e32 0x7f, v32
	s_cbranch_execz .LBB311_2761
; %bb.2758:                             ;   in Loop: Header=BB311_2079 Depth=1
	v_and_b32_e32 v30, 7, v2
	v_lshrrev_b32_e32 v31, 3, v32
	s_mov_b32 s23, exec_lo
	v_cmpx_gt_u32_e32 8, v32
; %bb.2759:                             ;   in Loop: Header=BB311_2079 Depth=1
	s_delay_alu instid0(VALU_DEP_3) | instskip(NEXT) | instid1(VALU_DEP_1)
	v_clz_i32_u32_e32 v30, v30
	v_min_u32_e32 v32, 32, v30
	s_delay_alu instid0(VALU_DEP_1) | instskip(NEXT) | instid1(VALU_DEP_1)
	v_subrev_nc_u32_e32 v30, 28, v32
	v_lshlrev_b64_e32 v[30:31], v30, v[2:3]
	v_sub_nc_u32_e32 v31, 29, v32
	s_delay_alu instid0(VALU_DEP_2)
	v_and_b32_e32 v30, 7, v30
; %bb.2760:                             ;   in Loop: Header=BB311_2079 Depth=1
	s_wait_alu 0xfffe
	s_or_b32 exec_lo, exec_lo, s23
	v_lshlrev_b32_e32 v2, 8, v2
	v_lshl_add_u32 v31, v31, 10, 0x2000
	v_lshlrev_b32_e32 v30, 7, v30
	s_delay_alu instid0(VALU_DEP_3) | instskip(NEXT) | instid1(VALU_DEP_3)
	v_and_b32_e32 v2, 0x8000, v2
	v_and_b32_e32 v31, 0xfc00, v31
	s_delay_alu instid0(VALU_DEP_1)
	v_or3_b32 v30, v2, v31, v30
.LBB311_2761:                           ;   in Loop: Header=BB311_2079 Depth=1
	s_wait_alu 0xfffe
	s_or_b32 exec_lo, exec_lo, s22
.LBB311_2762:                           ;   in Loop: Header=BB311_2079 Depth=1
	s_wait_alu 0xfffe
	s_or_b32 exec_lo, exec_lo, s21
.LBB311_2763:                           ;   in Loop: Header=BB311_2079 Depth=1
	s_wait_alu 0xfffe
	s_or_b32 exec_lo, exec_lo, s20
	s_delay_alu instid0(SALU_CYCLE_1)
	s_mov_b32 s20, exec_lo
	v_cmpx_lt_u32_e32 0xffffff, v12
	s_cbranch_execz .LBB311_2771
; %bb.2764:                             ;   in Loop: Header=BB311_2079 Depth=1
	v_lshrrev_b32_e32 v2, 24, v12
	v_bfrev_b32_e32 v23, 1
	s_mov_b32 s21, exec_lo
	s_delay_alu instid0(VALU_DEP_2)
	v_cmpx_ne_u32_e32 0x80, v2
	s_cbranch_execz .LBB311_2770
; %bb.2765:                             ;   in Loop: Header=BB311_2079 Depth=1
	v_and_b32_e32 v32, 0x7f, v2
	v_mov_b32_e32 v23, 0x7c010000
	s_mov_b32 s22, exec_lo
	s_delay_alu instid0(VALU_DEP_2)
	v_cmpx_ne_u32_e32 0x7f, v32
	s_cbranch_execz .LBB311_2769
; %bb.2766:                             ;   in Loop: Header=BB311_2079 Depth=1
	v_and_b32_e32 v23, 7, v2
	v_lshrrev_b32_e32 v31, 3, v32
	s_mov_b32 s23, exec_lo
	v_cmpx_gt_u32_e32 8, v32
; %bb.2767:                             ;   in Loop: Header=BB311_2079 Depth=1
	s_delay_alu instid0(VALU_DEP_3) | instskip(NEXT) | instid1(VALU_DEP_1)
	v_clz_i32_u32_e32 v23, v23
	v_min_u32_e32 v23, 32, v23
	s_delay_alu instid0(VALU_DEP_1) | instskip(NEXT) | instid1(VALU_DEP_1)
	v_subrev_nc_u32_e32 v31, 28, v23
	v_lshlrev_b64_e32 v[32:33], v31, v[2:3]
	v_sub_nc_u32_e32 v31, 29, v23
	s_delay_alu instid0(VALU_DEP_2)
	v_and_b32_e32 v23, 7, v32
; %bb.2768:                             ;   in Loop: Header=BB311_2079 Depth=1
	s_wait_alu 0xfffe
	s_or_b32 exec_lo, exec_lo, s23
	v_lshlrev_b32_e32 v2, 8, v2
	v_lshl_add_u32 v31, v31, 10, 0x2000
	v_lshlrev_b32_e32 v23, 23, v23
	s_delay_alu instid0(VALU_DEP_2) | instskip(NEXT) | instid1(VALU_DEP_1)
	v_and_or_b32 v2, 0x8000, v2, v31
	v_lshl_or_b32 v23, v2, 16, v23
.LBB311_2769:                           ;   in Loop: Header=BB311_2079 Depth=1
	s_wait_alu 0xfffe
	s_or_b32 exec_lo, exec_lo, s22
.LBB311_2770:                           ;   in Loop: Header=BB311_2079 Depth=1
	s_wait_alu 0xfffe
	s_or_b32 exec_lo, exec_lo, s21
.LBB311_2771:                           ;   in Loop: Header=BB311_2079 Depth=1
	s_wait_alu 0xfffe
	s_or_b32 exec_lo, exec_lo, s20
	v_dual_mov_b32 v2, v13 :: v_dual_and_b32 v33, 0xff, v13
	v_dual_mov_b32 v31, 0 :: v_dual_mov_b32 v32, 0
	s_mov_b32 s20, exec_lo
	s_delay_alu instid0(VALU_DEP_2)
	v_cmpx_ne_u16_e32 0, v33
	s_cbranch_execz .LBB311_2779
; %bb.2772:                             ;   in Loop: Header=BB311_2079 Depth=1
	v_mov_b32_e32 v32, 0x8000
	s_mov_b32 s21, exec_lo
	v_cmpx_ne_u16_e32 0x80, v33
	s_cbranch_execz .LBB311_2778
; %bb.2773:                             ;   in Loop: Header=BB311_2079 Depth=1
	v_and_b32_e32 v34, 0x7f, v13
	v_mov_b32_e32 v32, 0x7c01
	s_mov_b32 s22, exec_lo
	s_delay_alu instid0(VALU_DEP_2)
	v_cmpx_ne_u32_e32 0x7f, v34
	s_cbranch_execz .LBB311_2777
; %bb.2774:                             ;   in Loop: Header=BB311_2079 Depth=1
	v_and_b32_e32 v32, 7, v13
	v_lshrrev_b32_e32 v33, 3, v34
	s_mov_b32 s23, exec_lo
	v_cmpx_gt_u32_e32 8, v34
; %bb.2775:                             ;   in Loop: Header=BB311_2079 Depth=1
	s_delay_alu instid0(VALU_DEP_3) | instskip(NEXT) | instid1(VALU_DEP_1)
	v_clz_i32_u32_e32 v32, v32
	v_min_u32_e32 v34, 32, v32
	s_delay_alu instid0(VALU_DEP_1) | instskip(NEXT) | instid1(VALU_DEP_1)
	v_subrev_nc_u32_e32 v32, 28, v34
	v_lshlrev_b64_e32 v[32:33], v32, v[2:3]
	v_sub_nc_u32_e32 v33, 29, v34
	s_delay_alu instid0(VALU_DEP_2)
	v_and_b32_e32 v32, 7, v32
; %bb.2776:                             ;   in Loop: Header=BB311_2079 Depth=1
	s_wait_alu 0xfffe
	s_or_b32 exec_lo, exec_lo, s23
	v_lshlrev_b32_e32 v34, 8, v13
	v_lshl_add_u32 v33, v33, 10, 0x2000
	v_lshlrev_b32_e32 v32, 7, v32
	s_delay_alu instid0(VALU_DEP_3) | instskip(NEXT) | instid1(VALU_DEP_3)
	v_and_b32_e32 v34, 0x8000, v34
	v_and_b32_e32 v33, 0xfc00, v33
	s_delay_alu instid0(VALU_DEP_1)
	v_or3_b32 v32, v34, v33, v32
.LBB311_2777:                           ;   in Loop: Header=BB311_2079 Depth=1
	s_wait_alu 0xfffe
	s_or_b32 exec_lo, exec_lo, s22
.LBB311_2778:                           ;   in Loop: Header=BB311_2079 Depth=1
	s_wait_alu 0xfffe
	s_or_b32 exec_lo, exec_lo, s21
.LBB311_2779:                           ;   in Loop: Header=BB311_2079 Depth=1
	s_wait_alu 0xfffe
	s_or_b32 exec_lo, exec_lo, s20
	v_lshrrev_b16 v2, 8, v2
	v_mov_b32_e32 v33, 0
	s_mov_b32 s20, exec_lo
	s_delay_alu instid0(VALU_DEP_2)
	v_cmpx_ne_u16_e32 0, v2
	s_cbranch_execz .LBB311_2787
; %bb.2780:                             ;   in Loop: Header=BB311_2079 Depth=1
	v_bfrev_b32_e32 v33, 1
	s_mov_b32 s21, exec_lo
	v_cmpx_ne_u16_e32 0x80, v2
	s_cbranch_execz .LBB311_2786
; %bb.2781:                             ;   in Loop: Header=BB311_2079 Depth=1
	v_and_b32_e32 v34, 0xffff, v2
	v_mov_b32_e32 v33, 0x7c010000
	s_mov_b32 s22, exec_lo
	s_delay_alu instid0(VALU_DEP_2) | instskip(NEXT) | instid1(VALU_DEP_1)
	v_and_b32_e32 v135, 0x7f, v34
	v_cmpx_ne_u32_e32 0x7f, v135
	s_cbranch_execz .LBB311_2785
; %bb.2782:                             ;   in Loop: Header=BB311_2079 Depth=1
	v_and_b32_e32 v33, 7, v34
	v_lshrrev_b32_e32 v134, 3, v135
	s_mov_b32 s23, exec_lo
	v_cmpx_gt_u32_e32 8, v135
; %bb.2783:                             ;   in Loop: Header=BB311_2079 Depth=1
	s_delay_alu instid0(VALU_DEP_3) | instskip(NEXT) | instid1(VALU_DEP_1)
	v_clz_i32_u32_e32 v33, v33
	v_min_u32_e32 v33, 32, v33
	s_delay_alu instid0(VALU_DEP_1) | instskip(NEXT) | instid1(VALU_DEP_1)
	v_subrev_nc_u32_e32 v134, 28, v33
	v_lshlrev_b64_e32 v[144:145], v134, v[2:3]
	v_sub_nc_u32_e32 v134, 29, v33
	s_delay_alu instid0(VALU_DEP_2)
	v_and_b32_e32 v33, 7, v144
; %bb.2784:                             ;   in Loop: Header=BB311_2079 Depth=1
	s_wait_alu 0xfffe
	s_or_b32 exec_lo, exec_lo, s23
	v_lshlrev_b32_e32 v2, 8, v34
	v_lshl_add_u32 v34, v134, 10, 0x2000
	v_lshlrev_b32_e32 v33, 23, v33
	s_delay_alu instid0(VALU_DEP_2) | instskip(NEXT) | instid1(VALU_DEP_1)
	v_and_or_b32 v2, 0x8000, v2, v34
	v_lshl_or_b32 v33, v2, 16, v33
.LBB311_2785:                           ;   in Loop: Header=BB311_2079 Depth=1
	s_wait_alu 0xfffe
	s_or_b32 exec_lo, exec_lo, s22
.LBB311_2786:                           ;   in Loop: Header=BB311_2079 Depth=1
	s_wait_alu 0xfffe
	s_or_b32 exec_lo, exec_lo, s21
.LBB311_2787:                           ;   in Loop: Header=BB311_2079 Depth=1
	s_wait_alu 0xfffe
	s_or_b32 exec_lo, exec_lo, s20
	v_lshrrev_b32_e32 v2, 16, v13
	s_mov_b32 s20, exec_lo
	s_delay_alu instid0(VALU_DEP_1) | instskip(NEXT) | instid1(VALU_DEP_1)
	v_and_b32_e32 v34, 0xff, v2
	v_cmpx_ne_u16_e32 0, v34
	s_cbranch_execz .LBB311_2795
; %bb.2788:                             ;   in Loop: Header=BB311_2079 Depth=1
	v_mov_b32_e32 v31, 0x8000
	s_mov_b32 s21, exec_lo
	v_cmpx_ne_u16_e32 0x80, v34
	s_cbranch_execz .LBB311_2794
; %bb.2789:                             ;   in Loop: Header=BB311_2079 Depth=1
	v_bfe_u32 v134, v13, 16, 7
	v_mov_b32_e32 v31, 0x7c01
	s_mov_b32 s22, exec_lo
	s_delay_alu instid0(VALU_DEP_2)
	v_cmpx_ne_u32_e32 0x7f, v134
	s_cbranch_execz .LBB311_2793
; %bb.2790:                             ;   in Loop: Header=BB311_2079 Depth=1
	v_and_b32_e32 v31, 7, v2
	v_lshrrev_b32_e32 v34, 3, v134
	s_mov_b32 s23, exec_lo
	v_cmpx_gt_u32_e32 8, v134
; %bb.2791:                             ;   in Loop: Header=BB311_2079 Depth=1
	s_delay_alu instid0(VALU_DEP_3) | instskip(NEXT) | instid1(VALU_DEP_1)
	v_clz_i32_u32_e32 v31, v31
	v_min_u32_e32 v31, 32, v31
	s_delay_alu instid0(VALU_DEP_1) | instskip(NEXT) | instid1(VALU_DEP_1)
	v_subrev_nc_u32_e32 v34, 28, v31
	v_lshlrev_b64_e32 v[134:135], v34, v[2:3]
	v_sub_nc_u32_e32 v34, 29, v31
	s_delay_alu instid0(VALU_DEP_2)
	v_and_b32_e32 v31, 7, v134
; %bb.2792:                             ;   in Loop: Header=BB311_2079 Depth=1
	s_wait_alu 0xfffe
	s_or_b32 exec_lo, exec_lo, s23
	v_lshlrev_b32_e32 v2, 8, v2
	v_lshl_add_u32 v34, v34, 10, 0x2000
	v_lshlrev_b32_e32 v31, 7, v31
	s_delay_alu instid0(VALU_DEP_3) | instskip(NEXT) | instid1(VALU_DEP_3)
	v_and_b32_e32 v2, 0x8000, v2
	v_and_b32_e32 v34, 0xfc00, v34
	s_delay_alu instid0(VALU_DEP_1)
	v_or3_b32 v31, v2, v34, v31
.LBB311_2793:                           ;   in Loop: Header=BB311_2079 Depth=1
	s_wait_alu 0xfffe
	s_or_b32 exec_lo, exec_lo, s22
.LBB311_2794:                           ;   in Loop: Header=BB311_2079 Depth=1
	s_wait_alu 0xfffe
	s_or_b32 exec_lo, exec_lo, s21
.LBB311_2795:                           ;   in Loop: Header=BB311_2079 Depth=1
	s_wait_alu 0xfffe
	s_or_b32 exec_lo, exec_lo, s20
	v_cmp_lt_u64_e64 s8, s[16:17], v[12:13]
	v_mov_b32_e32 v12, 0
	s_and_saveexec_b32 s20, s8
	s_cbranch_execz .LBB311_2803
; %bb.2796:                             ;   in Loop: Header=BB311_2079 Depth=1
	v_lshrrev_b32_e32 v2, 24, v13
	v_bfrev_b32_e32 v12, 1
	s_mov_b32 s21, exec_lo
	s_delay_alu instid0(VALU_DEP_2)
	v_cmpx_ne_u32_e32 0x80, v2
	s_cbranch_execz .LBB311_2802
; %bb.2797:                             ;   in Loop: Header=BB311_2079 Depth=1
	v_and_b32_e32 v34, 0x7f, v2
	v_mov_b32_e32 v12, 0x7c010000
	s_mov_b32 s22, exec_lo
	s_delay_alu instid0(VALU_DEP_2)
	v_cmpx_ne_u32_e32 0x7f, v34
	s_cbranch_execz .LBB311_2801
; %bb.2798:                             ;   in Loop: Header=BB311_2079 Depth=1
	v_and_b32_e32 v12, 7, v2
	v_lshrrev_b32_e32 v13, 3, v34
	s_mov_b32 s23, exec_lo
	v_cmpx_gt_u32_e32 8, v34
; %bb.2799:                             ;   in Loop: Header=BB311_2079 Depth=1
	s_delay_alu instid0(VALU_DEP_3) | instskip(NEXT) | instid1(VALU_DEP_1)
	v_clz_i32_u32_e32 v12, v12
	v_min_u32_e32 v34, 32, v12
	s_delay_alu instid0(VALU_DEP_1) | instskip(NEXT) | instid1(VALU_DEP_1)
	v_subrev_nc_u32_e32 v12, 28, v34
	v_lshlrev_b64_e32 v[12:13], v12, v[2:3]
	v_sub_nc_u32_e32 v13, 29, v34
	s_delay_alu instid0(VALU_DEP_2)
	v_and_b32_e32 v12, 7, v12
; %bb.2800:                             ;   in Loop: Header=BB311_2079 Depth=1
	s_wait_alu 0xfffe
	s_or_b32 exec_lo, exec_lo, s23
	v_lshlrev_b32_e32 v2, 8, v2
	v_lshl_add_u32 v13, v13, 10, 0x2000
	v_lshlrev_b32_e32 v12, 23, v12
	s_delay_alu instid0(VALU_DEP_2) | instskip(NEXT) | instid1(VALU_DEP_1)
	v_and_or_b32 v2, 0x8000, v2, v13
	v_lshl_or_b32 v12, v2, 16, v12
.LBB311_2801:                           ;   in Loop: Header=BB311_2079 Depth=1
	s_wait_alu 0xfffe
	s_or_b32 exec_lo, exec_lo, s22
.LBB311_2802:                           ;   in Loop: Header=BB311_2079 Depth=1
	s_wait_alu 0xfffe
	s_or_b32 exec_lo, exec_lo, s21
.LBB311_2803:                           ;   in Loop: Header=BB311_2079 Depth=1
	s_wait_alu 0xfffe
	s_or_b32 exec_lo, exec_lo, s20
	v_or_b32_e32 v2, v23, v30
	s_wait_loadcnt_dscnt 0x0
	v_fma_mixlo_f16 v13, v4, v23, 0 op_sel:[0,1,0] op_sel_hi:[0,1,0]
	v_or_b32_e32 v22, v5, v22
	v_fma_mixlo_f16 v5, v4, v5, 0 op_sel:[0,1,0] op_sel_hi:[0,1,0]
	v_or_b32_e32 v23, v33, v32
	v_fma_mixlo_f16 v30, v4, v2, 0 op_sel_hi:[0,1,0]
	v_or_b32_e32 v31, v12, v31
	v_lshlrev_b32_e32 v2, 16, v13
	v_lshlrev_b32_e32 v13, 16, v5
	v_fma_mixlo_f16 v22, v4, v22, 0 op_sel_hi:[0,1,0]
	v_and_b32_e32 v5, 0xffff, v30
	v_fma_mixlo_f16 v30, v4, v33, 0 op_sel:[0,1,0] op_sel_hi:[0,1,0]
	v_fma_mixlo_f16 v23, v4, v23, 0 op_sel_hi:[0,1,0]
	v_fma_mixlo_f16 v12, v4, v12, 0 op_sel:[0,1,0] op_sel_hi:[0,1,0]
	v_fma_mixlo_f16 v4, v4, v31, 0 op_sel_hi:[0,1,0]
	v_and_b32_e32 v34, 0xffff, v22
	v_lshlrev_b32_e32 v31, 16, v30
	v_and_b32_e32 v33, 0xffff, v23
	v_lshlrev_b32_e32 v30, 16, v12
	v_and_b32_e32 v32, 0xffff, v4
	v_or_b32_e32 v4, v2, v5
	v_or_b32_e32 v23, v13, v34
	;; [unrolled: 1-line block ×3, first 2 shown]
	s_delay_alu instid0(VALU_DEP_4)
	v_or_b32_e32 v12, v30, v32
	s_and_saveexec_b32 s8, s2
	s_cbranch_execz .LBB311_2805
; %bb.2804:                             ;   in Loop: Header=BB311_2079 Depth=1
	s_wait_alu 0xfffd
	v_cndmask_b32_e32 v4, 0, v34, vcc_lo
	v_cndmask_b32_e64 v12, 0, v13, s1
	v_cndmask_b32_e64 v5, 0, v5, s0
	;; [unrolled: 1-line block ×7, first 2 shown]
	v_or_b32_e32 v23, v4, v12
	v_or_b32_e32 v4, v5, v2
	;; [unrolled: 1-line block ×3, first 2 shown]
	s_delay_alu instid0(VALU_DEP_4)
	v_or_b32_e32 v12, v31, v30
.LBB311_2805:                           ;   in Loop: Header=BB311_2079 Depth=1
	s_wait_alu 0xfffe
	s_or_b32 exec_lo, exec_lo, s8
	;;#ASMSTART
	v_pk_mul_f16 v2, v98, v23;

	;;#ASMEND
	;;#ASMSTART
	v_pk_mul_f16 v4, v96, v4;

	;;#ASMEND
	;; [unrolled: 4-line block ×4, first 2 shown]
	;;#ASMSTART
	v_pk_add_f16 v2, v2, v4;

	;;#ASMEND
	;;#ASMSTART
	v_pk_add_f16 v2, v2, v5;

	;;#ASMEND
	;;#ASMSTART
	v_pk_add_f16 v2, v2, v12;

	;;#ASMEND
	v_dual_mov_b32 v5, 0 :: v_dual_and_b32 v4, 0xffff, v2
	v_lshrrev_b32_e32 v2, 16, v2
	;;#ASMSTART
	v_cvt_f32_f16 v134, v4;
	;;#ASMEND
	;;#ASMSTART
	v_cvt_f32_f16 v135, v2;
	;;#ASMEND
	flat_load_b64 v[12:13], v[10:11] offset:2816
	flat_load_b32 v4, v[26:27]
	v_mov_b32_e32 v22, 0
	s_mov_b32 s20, exec_lo
	s_wait_loadcnt_dscnt 0x101
	v_and_b32_e32 v2, 0xff, v12
	s_delay_alu instid0(VALU_DEP_1)
	v_cmpx_ne_u16_e32 0, v2
	s_cbranch_execz .LBB311_2813
; %bb.2806:                             ;   in Loop: Header=BB311_2079 Depth=1
	v_mov_b32_e32 v22, 0x8000
	s_mov_b32 s21, exec_lo
	v_cmpx_ne_u16_e32 0x80, v2
	s_cbranch_execz .LBB311_2812
; %bb.2807:                             ;   in Loop: Header=BB311_2079 Depth=1
	v_and_b32_e32 v23, 0x7f, v12
	v_mov_b32_e32 v22, 0x7c01
	s_mov_b32 s22, exec_lo
	s_delay_alu instid0(VALU_DEP_2)
	v_cmpx_ne_u32_e32 0x7f, v23
	s_cbranch_execz .LBB311_2811
; %bb.2808:                             ;   in Loop: Header=BB311_2079 Depth=1
	v_and_b32_e32 v2, 7, v12
	v_lshrrev_b32_e32 v22, 3, v23
	s_mov_b32 s23, exec_lo
	v_cmpx_gt_u32_e32 8, v23
; %bb.2809:                             ;   in Loop: Header=BB311_2079 Depth=1
	s_delay_alu instid0(VALU_DEP_3) | instskip(NEXT) | instid1(VALU_DEP_1)
	v_clz_i32_u32_e32 v2, v2
	v_min_u32_e32 v2, 32, v2
	s_delay_alu instid0(VALU_DEP_1) | instskip(NEXT) | instid1(VALU_DEP_1)
	v_subrev_nc_u32_e32 v22, 28, v2
	v_lshlrev_b64_e32 v[30:31], v22, v[12:13]
	v_sub_nc_u32_e32 v22, 29, v2
	s_delay_alu instid0(VALU_DEP_2)
	v_and_b32_e32 v2, 7, v30
; %bb.2810:                             ;   in Loop: Header=BB311_2079 Depth=1
	s_wait_alu 0xfffe
	s_or_b32 exec_lo, exec_lo, s23
	v_lshlrev_b32_e32 v23, 8, v12
	v_lshl_add_u32 v22, v22, 10, 0x2000
	v_lshlrev_b32_e32 v2, 7, v2
	s_delay_alu instid0(VALU_DEP_3) | instskip(NEXT) | instid1(VALU_DEP_3)
	v_and_b32_e32 v23, 0x8000, v23
	v_and_b32_e32 v22, 0xfc00, v22
	s_delay_alu instid0(VALU_DEP_1)
	v_or3_b32 v22, v23, v22, v2
.LBB311_2811:                           ;   in Loop: Header=BB311_2079 Depth=1
	s_wait_alu 0xfffe
	s_or_b32 exec_lo, exec_lo, s22
.LBB311_2812:                           ;   in Loop: Header=BB311_2079 Depth=1
	s_wait_alu 0xfffe
	s_or_b32 exec_lo, exec_lo, s21
.LBB311_2813:                           ;   in Loop: Header=BB311_2079 Depth=1
	s_wait_alu 0xfffe
	s_or_b32 exec_lo, exec_lo, s20
	v_lshrrev_b16 v2, 8, v12
	s_mov_b32 s20, exec_lo
	s_delay_alu instid0(VALU_DEP_1)
	v_cmpx_ne_u16_e32 0, v2
	s_cbranch_execz .LBB311_2821
; %bb.2814:                             ;   in Loop: Header=BB311_2079 Depth=1
	v_bfrev_b32_e32 v5, 1
	s_mov_b32 s21, exec_lo
	v_cmpx_ne_u16_e32 0x80, v2
	s_cbranch_execz .LBB311_2820
; %bb.2815:                             ;   in Loop: Header=BB311_2079 Depth=1
	v_and_b32_e32 v23, 0xffff, v2
	v_mov_b32_e32 v5, 0x7c010000
	s_mov_b32 s22, exec_lo
	s_delay_alu instid0(VALU_DEP_2) | instskip(NEXT) | instid1(VALU_DEP_1)
	v_and_b32_e32 v31, 0x7f, v23
	v_cmpx_ne_u32_e32 0x7f, v31
	s_cbranch_execz .LBB311_2819
; %bb.2816:                             ;   in Loop: Header=BB311_2079 Depth=1
	v_and_b32_e32 v5, 7, v23
	v_lshrrev_b32_e32 v30, 3, v31
	s_mov_b32 s23, exec_lo
	v_cmpx_gt_u32_e32 8, v31
; %bb.2817:                             ;   in Loop: Header=BB311_2079 Depth=1
	s_delay_alu instid0(VALU_DEP_3) | instskip(NEXT) | instid1(VALU_DEP_1)
	v_clz_i32_u32_e32 v5, v5
	v_min_u32_e32 v5, 32, v5
	s_delay_alu instid0(VALU_DEP_1) | instskip(NEXT) | instid1(VALU_DEP_1)
	v_subrev_nc_u32_e32 v30, 28, v5
	v_lshlrev_b64_e32 v[31:32], v30, v[2:3]
	v_sub_nc_u32_e32 v30, 29, v5
	s_delay_alu instid0(VALU_DEP_2)
	v_and_b32_e32 v5, 7, v31
; %bb.2818:                             ;   in Loop: Header=BB311_2079 Depth=1
	s_wait_alu 0xfffe
	s_or_b32 exec_lo, exec_lo, s23
	v_lshlrev_b32_e32 v2, 8, v23
	v_lshl_add_u32 v23, v30, 10, 0x2000
	v_lshlrev_b32_e32 v5, 23, v5
	s_delay_alu instid0(VALU_DEP_2) | instskip(NEXT) | instid1(VALU_DEP_1)
	v_and_or_b32 v2, 0x8000, v2, v23
	v_lshl_or_b32 v5, v2, 16, v5
.LBB311_2819:                           ;   in Loop: Header=BB311_2079 Depth=1
	s_wait_alu 0xfffe
	s_or_b32 exec_lo, exec_lo, s22
.LBB311_2820:                           ;   in Loop: Header=BB311_2079 Depth=1
	s_wait_alu 0xfffe
	s_or_b32 exec_lo, exec_lo, s21
.LBB311_2821:                           ;   in Loop: Header=BB311_2079 Depth=1
	s_wait_alu 0xfffe
	s_or_b32 exec_lo, exec_lo, s20
	v_lshrrev_b32_e32 v2, 16, v12
	v_mov_b32_e32 v23, 0
	s_mov_b32 s20, exec_lo
	s_delay_alu instid0(VALU_DEP_2) | instskip(NEXT) | instid1(VALU_DEP_1)
	v_dual_mov_b32 v30, 0 :: v_dual_and_b32 v31, 0xff, v2
	v_cmpx_ne_u16_e32 0, v31
	s_cbranch_execz .LBB311_2829
; %bb.2822:                             ;   in Loop: Header=BB311_2079 Depth=1
	v_mov_b32_e32 v30, 0x8000
	s_mov_b32 s21, exec_lo
	v_cmpx_ne_u16_e32 0x80, v31
	s_cbranch_execz .LBB311_2828
; %bb.2823:                             ;   in Loop: Header=BB311_2079 Depth=1
	v_bfe_u32 v32, v12, 16, 7
	v_mov_b32_e32 v30, 0x7c01
	s_mov_b32 s22, exec_lo
	s_delay_alu instid0(VALU_DEP_2)
	v_cmpx_ne_u32_e32 0x7f, v32
	s_cbranch_execz .LBB311_2827
; %bb.2824:                             ;   in Loop: Header=BB311_2079 Depth=1
	v_and_b32_e32 v30, 7, v2
	v_lshrrev_b32_e32 v31, 3, v32
	s_mov_b32 s23, exec_lo
	v_cmpx_gt_u32_e32 8, v32
; %bb.2825:                             ;   in Loop: Header=BB311_2079 Depth=1
	s_delay_alu instid0(VALU_DEP_3) | instskip(NEXT) | instid1(VALU_DEP_1)
	v_clz_i32_u32_e32 v30, v30
	v_min_u32_e32 v32, 32, v30
	s_delay_alu instid0(VALU_DEP_1) | instskip(NEXT) | instid1(VALU_DEP_1)
	v_subrev_nc_u32_e32 v30, 28, v32
	v_lshlrev_b64_e32 v[30:31], v30, v[2:3]
	v_sub_nc_u32_e32 v31, 29, v32
	s_delay_alu instid0(VALU_DEP_2)
	v_and_b32_e32 v30, 7, v30
; %bb.2826:                             ;   in Loop: Header=BB311_2079 Depth=1
	s_wait_alu 0xfffe
	s_or_b32 exec_lo, exec_lo, s23
	v_lshlrev_b32_e32 v2, 8, v2
	v_lshl_add_u32 v31, v31, 10, 0x2000
	v_lshlrev_b32_e32 v30, 7, v30
	s_delay_alu instid0(VALU_DEP_3) | instskip(NEXT) | instid1(VALU_DEP_3)
	v_and_b32_e32 v2, 0x8000, v2
	v_and_b32_e32 v31, 0xfc00, v31
	s_delay_alu instid0(VALU_DEP_1)
	v_or3_b32 v30, v2, v31, v30
.LBB311_2827:                           ;   in Loop: Header=BB311_2079 Depth=1
	s_wait_alu 0xfffe
	s_or_b32 exec_lo, exec_lo, s22
.LBB311_2828:                           ;   in Loop: Header=BB311_2079 Depth=1
	s_wait_alu 0xfffe
	s_or_b32 exec_lo, exec_lo, s21
.LBB311_2829:                           ;   in Loop: Header=BB311_2079 Depth=1
	s_wait_alu 0xfffe
	s_or_b32 exec_lo, exec_lo, s20
	s_delay_alu instid0(SALU_CYCLE_1)
	s_mov_b32 s20, exec_lo
	v_cmpx_lt_u32_e32 0xffffff, v12
	s_cbranch_execz .LBB311_2837
; %bb.2830:                             ;   in Loop: Header=BB311_2079 Depth=1
	v_lshrrev_b32_e32 v2, 24, v12
	v_bfrev_b32_e32 v23, 1
	s_mov_b32 s21, exec_lo
	s_delay_alu instid0(VALU_DEP_2)
	v_cmpx_ne_u32_e32 0x80, v2
	s_cbranch_execz .LBB311_2836
; %bb.2831:                             ;   in Loop: Header=BB311_2079 Depth=1
	v_and_b32_e32 v32, 0x7f, v2
	v_mov_b32_e32 v23, 0x7c010000
	s_mov_b32 s22, exec_lo
	s_delay_alu instid0(VALU_DEP_2)
	v_cmpx_ne_u32_e32 0x7f, v32
	s_cbranch_execz .LBB311_2835
; %bb.2832:                             ;   in Loop: Header=BB311_2079 Depth=1
	v_and_b32_e32 v23, 7, v2
	v_lshrrev_b32_e32 v31, 3, v32
	s_mov_b32 s23, exec_lo
	v_cmpx_gt_u32_e32 8, v32
; %bb.2833:                             ;   in Loop: Header=BB311_2079 Depth=1
	s_delay_alu instid0(VALU_DEP_3) | instskip(NEXT) | instid1(VALU_DEP_1)
	v_clz_i32_u32_e32 v23, v23
	v_min_u32_e32 v23, 32, v23
	s_delay_alu instid0(VALU_DEP_1) | instskip(NEXT) | instid1(VALU_DEP_1)
	v_subrev_nc_u32_e32 v31, 28, v23
	v_lshlrev_b64_e32 v[32:33], v31, v[2:3]
	v_sub_nc_u32_e32 v31, 29, v23
	s_delay_alu instid0(VALU_DEP_2)
	v_and_b32_e32 v23, 7, v32
; %bb.2834:                             ;   in Loop: Header=BB311_2079 Depth=1
	s_wait_alu 0xfffe
	s_or_b32 exec_lo, exec_lo, s23
	v_lshlrev_b32_e32 v2, 8, v2
	v_lshl_add_u32 v31, v31, 10, 0x2000
	v_lshlrev_b32_e32 v23, 23, v23
	s_delay_alu instid0(VALU_DEP_2) | instskip(NEXT) | instid1(VALU_DEP_1)
	v_and_or_b32 v2, 0x8000, v2, v31
	v_lshl_or_b32 v23, v2, 16, v23
.LBB311_2835:                           ;   in Loop: Header=BB311_2079 Depth=1
	s_wait_alu 0xfffe
	s_or_b32 exec_lo, exec_lo, s22
.LBB311_2836:                           ;   in Loop: Header=BB311_2079 Depth=1
	s_wait_alu 0xfffe
	s_or_b32 exec_lo, exec_lo, s21
.LBB311_2837:                           ;   in Loop: Header=BB311_2079 Depth=1
	s_wait_alu 0xfffe
	s_or_b32 exec_lo, exec_lo, s20
	v_dual_mov_b32 v2, v13 :: v_dual_and_b32 v33, 0xff, v13
	v_dual_mov_b32 v31, 0 :: v_dual_mov_b32 v32, 0
	s_mov_b32 s20, exec_lo
	s_delay_alu instid0(VALU_DEP_2)
	v_cmpx_ne_u16_e32 0, v33
	s_cbranch_execz .LBB311_2845
; %bb.2838:                             ;   in Loop: Header=BB311_2079 Depth=1
	v_mov_b32_e32 v32, 0x8000
	s_mov_b32 s21, exec_lo
	v_cmpx_ne_u16_e32 0x80, v33
	s_cbranch_execz .LBB311_2844
; %bb.2839:                             ;   in Loop: Header=BB311_2079 Depth=1
	v_and_b32_e32 v34, 0x7f, v13
	v_mov_b32_e32 v32, 0x7c01
	s_mov_b32 s22, exec_lo
	s_delay_alu instid0(VALU_DEP_2)
	v_cmpx_ne_u32_e32 0x7f, v34
	s_cbranch_execz .LBB311_2843
; %bb.2840:                             ;   in Loop: Header=BB311_2079 Depth=1
	v_and_b32_e32 v32, 7, v13
	v_lshrrev_b32_e32 v33, 3, v34
	s_mov_b32 s23, exec_lo
	v_cmpx_gt_u32_e32 8, v34
; %bb.2841:                             ;   in Loop: Header=BB311_2079 Depth=1
	s_delay_alu instid0(VALU_DEP_3) | instskip(NEXT) | instid1(VALU_DEP_1)
	v_clz_i32_u32_e32 v32, v32
	v_min_u32_e32 v34, 32, v32
	s_delay_alu instid0(VALU_DEP_1) | instskip(NEXT) | instid1(VALU_DEP_1)
	v_subrev_nc_u32_e32 v32, 28, v34
	v_lshlrev_b64_e32 v[32:33], v32, v[2:3]
	v_sub_nc_u32_e32 v33, 29, v34
	s_delay_alu instid0(VALU_DEP_2)
	v_and_b32_e32 v32, 7, v32
; %bb.2842:                             ;   in Loop: Header=BB311_2079 Depth=1
	s_wait_alu 0xfffe
	s_or_b32 exec_lo, exec_lo, s23
	v_lshlrev_b32_e32 v34, 8, v13
	v_lshl_add_u32 v33, v33, 10, 0x2000
	v_lshlrev_b32_e32 v32, 7, v32
	s_delay_alu instid0(VALU_DEP_3) | instskip(NEXT) | instid1(VALU_DEP_3)
	v_and_b32_e32 v34, 0x8000, v34
	v_and_b32_e32 v33, 0xfc00, v33
	s_delay_alu instid0(VALU_DEP_1)
	v_or3_b32 v32, v34, v33, v32
.LBB311_2843:                           ;   in Loop: Header=BB311_2079 Depth=1
	s_wait_alu 0xfffe
	s_or_b32 exec_lo, exec_lo, s22
.LBB311_2844:                           ;   in Loop: Header=BB311_2079 Depth=1
	s_wait_alu 0xfffe
	s_or_b32 exec_lo, exec_lo, s21
.LBB311_2845:                           ;   in Loop: Header=BB311_2079 Depth=1
	s_wait_alu 0xfffe
	s_or_b32 exec_lo, exec_lo, s20
	v_lshrrev_b16 v2, 8, v2
	v_mov_b32_e32 v33, 0
	s_mov_b32 s20, exec_lo
	s_delay_alu instid0(VALU_DEP_2)
	v_cmpx_ne_u16_e32 0, v2
	s_cbranch_execz .LBB311_2853
; %bb.2846:                             ;   in Loop: Header=BB311_2079 Depth=1
	v_bfrev_b32_e32 v33, 1
	s_mov_b32 s21, exec_lo
	v_cmpx_ne_u16_e32 0x80, v2
	s_cbranch_execz .LBB311_2852
; %bb.2847:                             ;   in Loop: Header=BB311_2079 Depth=1
	v_and_b32_e32 v34, 0xffff, v2
	v_mov_b32_e32 v33, 0x7c010000
	s_mov_b32 s22, exec_lo
	s_delay_alu instid0(VALU_DEP_2) | instskip(NEXT) | instid1(VALU_DEP_1)
	v_and_b32_e32 v145, 0x7f, v34
	v_cmpx_ne_u32_e32 0x7f, v145
	s_cbranch_execz .LBB311_2851
; %bb.2848:                             ;   in Loop: Header=BB311_2079 Depth=1
	v_and_b32_e32 v33, 7, v34
	v_lshrrev_b32_e32 v144, 3, v145
	s_mov_b32 s23, exec_lo
	v_cmpx_gt_u32_e32 8, v145
; %bb.2849:                             ;   in Loop: Header=BB311_2079 Depth=1
	s_delay_alu instid0(VALU_DEP_3) | instskip(NEXT) | instid1(VALU_DEP_1)
	v_clz_i32_u32_e32 v33, v33
	v_min_u32_e32 v33, 32, v33
	s_delay_alu instid0(VALU_DEP_1) | instskip(NEXT) | instid1(VALU_DEP_1)
	v_subrev_nc_u32_e32 v144, 28, v33
	v_lshlrev_b64_e32 v[145:146], v144, v[2:3]
	v_sub_nc_u32_e32 v144, 29, v33
	s_delay_alu instid0(VALU_DEP_2)
	v_and_b32_e32 v33, 7, v145
; %bb.2850:                             ;   in Loop: Header=BB311_2079 Depth=1
	s_wait_alu 0xfffe
	s_or_b32 exec_lo, exec_lo, s23
	v_lshlrev_b32_e32 v2, 8, v34
	v_lshl_add_u32 v34, v144, 10, 0x2000
	v_lshlrev_b32_e32 v33, 23, v33
	s_delay_alu instid0(VALU_DEP_2) | instskip(NEXT) | instid1(VALU_DEP_1)
	v_and_or_b32 v2, 0x8000, v2, v34
	v_lshl_or_b32 v33, v2, 16, v33
.LBB311_2851:                           ;   in Loop: Header=BB311_2079 Depth=1
	s_wait_alu 0xfffe
	s_or_b32 exec_lo, exec_lo, s22
.LBB311_2852:                           ;   in Loop: Header=BB311_2079 Depth=1
	s_wait_alu 0xfffe
	s_or_b32 exec_lo, exec_lo, s21
.LBB311_2853:                           ;   in Loop: Header=BB311_2079 Depth=1
	s_wait_alu 0xfffe
	s_or_b32 exec_lo, exec_lo, s20
	v_lshrrev_b32_e32 v2, 16, v13
	s_mov_b32 s20, exec_lo
	s_delay_alu instid0(VALU_DEP_1) | instskip(NEXT) | instid1(VALU_DEP_1)
	v_and_b32_e32 v34, 0xff, v2
	v_cmpx_ne_u16_e32 0, v34
	s_cbranch_execz .LBB311_2861
; %bb.2854:                             ;   in Loop: Header=BB311_2079 Depth=1
	v_mov_b32_e32 v31, 0x8000
	s_mov_b32 s21, exec_lo
	v_cmpx_ne_u16_e32 0x80, v34
	s_cbranch_execz .LBB311_2860
; %bb.2855:                             ;   in Loop: Header=BB311_2079 Depth=1
	v_bfe_u32 v144, v13, 16, 7
	v_mov_b32_e32 v31, 0x7c01
	s_mov_b32 s22, exec_lo
	s_delay_alu instid0(VALU_DEP_2)
	v_cmpx_ne_u32_e32 0x7f, v144
	s_cbranch_execz .LBB311_2859
; %bb.2856:                             ;   in Loop: Header=BB311_2079 Depth=1
	v_and_b32_e32 v31, 7, v2
	v_lshrrev_b32_e32 v34, 3, v144
	s_mov_b32 s23, exec_lo
	v_cmpx_gt_u32_e32 8, v144
; %bb.2857:                             ;   in Loop: Header=BB311_2079 Depth=1
	s_delay_alu instid0(VALU_DEP_3) | instskip(NEXT) | instid1(VALU_DEP_1)
	v_clz_i32_u32_e32 v31, v31
	v_min_u32_e32 v31, 32, v31
	s_delay_alu instid0(VALU_DEP_1) | instskip(NEXT) | instid1(VALU_DEP_1)
	v_subrev_nc_u32_e32 v34, 28, v31
	v_lshlrev_b64_e32 v[144:145], v34, v[2:3]
	v_sub_nc_u32_e32 v34, 29, v31
	s_delay_alu instid0(VALU_DEP_2)
	v_and_b32_e32 v31, 7, v144
; %bb.2858:                             ;   in Loop: Header=BB311_2079 Depth=1
	s_wait_alu 0xfffe
	s_or_b32 exec_lo, exec_lo, s23
	v_lshlrev_b32_e32 v2, 8, v2
	v_lshl_add_u32 v34, v34, 10, 0x2000
	v_lshlrev_b32_e32 v31, 7, v31
	s_delay_alu instid0(VALU_DEP_3) | instskip(NEXT) | instid1(VALU_DEP_3)
	v_and_b32_e32 v2, 0x8000, v2
	v_and_b32_e32 v34, 0xfc00, v34
	s_delay_alu instid0(VALU_DEP_1)
	v_or3_b32 v31, v2, v34, v31
.LBB311_2859:                           ;   in Loop: Header=BB311_2079 Depth=1
	s_wait_alu 0xfffe
	s_or_b32 exec_lo, exec_lo, s22
.LBB311_2860:                           ;   in Loop: Header=BB311_2079 Depth=1
	s_wait_alu 0xfffe
	s_or_b32 exec_lo, exec_lo, s21
.LBB311_2861:                           ;   in Loop: Header=BB311_2079 Depth=1
	s_wait_alu 0xfffe
	s_or_b32 exec_lo, exec_lo, s20
	v_cmp_lt_u64_e64 s8, s[16:17], v[12:13]
	v_mov_b32_e32 v12, 0
	s_and_saveexec_b32 s20, s8
	s_cbranch_execz .LBB311_2869
; %bb.2862:                             ;   in Loop: Header=BB311_2079 Depth=1
	v_lshrrev_b32_e32 v2, 24, v13
	v_bfrev_b32_e32 v12, 1
	s_mov_b32 s21, exec_lo
	s_delay_alu instid0(VALU_DEP_2)
	v_cmpx_ne_u32_e32 0x80, v2
	s_cbranch_execz .LBB311_2868
; %bb.2863:                             ;   in Loop: Header=BB311_2079 Depth=1
	v_and_b32_e32 v34, 0x7f, v2
	v_mov_b32_e32 v12, 0x7c010000
	s_mov_b32 s22, exec_lo
	s_delay_alu instid0(VALU_DEP_2)
	v_cmpx_ne_u32_e32 0x7f, v34
	s_cbranch_execz .LBB311_2867
; %bb.2864:                             ;   in Loop: Header=BB311_2079 Depth=1
	v_and_b32_e32 v12, 7, v2
	v_lshrrev_b32_e32 v13, 3, v34
	s_mov_b32 s23, exec_lo
	v_cmpx_gt_u32_e32 8, v34
; %bb.2865:                             ;   in Loop: Header=BB311_2079 Depth=1
	s_delay_alu instid0(VALU_DEP_3) | instskip(NEXT) | instid1(VALU_DEP_1)
	v_clz_i32_u32_e32 v12, v12
	v_min_u32_e32 v34, 32, v12
	s_delay_alu instid0(VALU_DEP_1) | instskip(NEXT) | instid1(VALU_DEP_1)
	v_subrev_nc_u32_e32 v12, 28, v34
	v_lshlrev_b64_e32 v[12:13], v12, v[2:3]
	v_sub_nc_u32_e32 v13, 29, v34
	s_delay_alu instid0(VALU_DEP_2)
	v_and_b32_e32 v12, 7, v12
; %bb.2866:                             ;   in Loop: Header=BB311_2079 Depth=1
	s_wait_alu 0xfffe
	s_or_b32 exec_lo, exec_lo, s23
	v_lshlrev_b32_e32 v2, 8, v2
	v_lshl_add_u32 v13, v13, 10, 0x2000
	v_lshlrev_b32_e32 v12, 23, v12
	s_delay_alu instid0(VALU_DEP_2) | instskip(NEXT) | instid1(VALU_DEP_1)
	v_and_or_b32 v2, 0x8000, v2, v13
	v_lshl_or_b32 v12, v2, 16, v12
.LBB311_2867:                           ;   in Loop: Header=BB311_2079 Depth=1
	s_wait_alu 0xfffe
	s_or_b32 exec_lo, exec_lo, s22
.LBB311_2868:                           ;   in Loop: Header=BB311_2079 Depth=1
	s_wait_alu 0xfffe
	s_or_b32 exec_lo, exec_lo, s21
.LBB311_2869:                           ;   in Loop: Header=BB311_2079 Depth=1
	s_wait_alu 0xfffe
	s_or_b32 exec_lo, exec_lo, s20
	v_or_b32_e32 v2, v23, v30
	s_wait_loadcnt_dscnt 0x0
	v_fma_mixlo_f16 v13, v4, v23, 0 op_sel:[0,1,0] op_sel_hi:[0,1,0]
	v_or_b32_e32 v22, v5, v22
	v_fma_mixlo_f16 v5, v4, v5, 0 op_sel:[0,1,0] op_sel_hi:[0,1,0]
	v_or_b32_e32 v23, v33, v32
	v_fma_mixlo_f16 v30, v4, v2, 0 op_sel_hi:[0,1,0]
	v_or_b32_e32 v31, v12, v31
	v_lshlrev_b32_e32 v2, 16, v13
	v_lshlrev_b32_e32 v13, 16, v5
	v_fma_mixlo_f16 v22, v4, v22, 0 op_sel_hi:[0,1,0]
	v_and_b32_e32 v5, 0xffff, v30
	v_fma_mixlo_f16 v30, v4, v33, 0 op_sel:[0,1,0] op_sel_hi:[0,1,0]
	v_fma_mixlo_f16 v23, v4, v23, 0 op_sel_hi:[0,1,0]
	v_fma_mixlo_f16 v12, v4, v12, 0 op_sel:[0,1,0] op_sel_hi:[0,1,0]
	v_fma_mixlo_f16 v4, v4, v31, 0 op_sel_hi:[0,1,0]
	v_and_b32_e32 v34, 0xffff, v22
	v_lshlrev_b32_e32 v31, 16, v30
	v_and_b32_e32 v33, 0xffff, v23
	v_lshlrev_b32_e32 v30, 16, v12
	v_and_b32_e32 v32, 0xffff, v4
	v_or_b32_e32 v4, v2, v5
	v_or_b32_e32 v23, v13, v34
	;; [unrolled: 1-line block ×3, first 2 shown]
	s_delay_alu instid0(VALU_DEP_4)
	v_or_b32_e32 v12, v30, v32
	s_and_saveexec_b32 s8, s2
	s_cbranch_execz .LBB311_2871
; %bb.2870:                             ;   in Loop: Header=BB311_2079 Depth=1
	s_wait_alu 0xfffd
	v_cndmask_b32_e32 v4, 0, v34, vcc_lo
	v_cndmask_b32_e64 v12, 0, v13, s1
	v_cndmask_b32_e64 v5, 0, v5, s0
	v_cndmask_b32_e64 v2, 0, v2, s3
	v_cndmask_b32_e64 v13, 0, v33, s4
	v_cndmask_b32_e64 v22, 0, v31, s5
	v_cndmask_b32_e64 v31, 0, v32, s6
	v_cndmask_b32_e64 v30, 0, v30, s7
	v_or_b32_e32 v23, v4, v12
	v_or_b32_e32 v4, v5, v2
	;; [unrolled: 1-line block ×3, first 2 shown]
	s_delay_alu instid0(VALU_DEP_4)
	v_or_b32_e32 v12, v31, v30
.LBB311_2871:                           ;   in Loop: Header=BB311_2079 Depth=1
	s_wait_alu 0xfffe
	s_or_b32 exec_lo, exec_lo, s8
	;;#ASMSTART
	v_pk_mul_f16 v2, v98, v23;

	;;#ASMEND
	;;#ASMSTART
	v_pk_mul_f16 v4, v96, v4;

	;;#ASMEND
	;; [unrolled: 4-line block ×4, first 2 shown]
	;;#ASMSTART
	v_pk_add_f16 v2, v2, v4;

	;;#ASMEND
	;;#ASMSTART
	v_pk_add_f16 v2, v2, v5;

	;;#ASMEND
	;; [unrolled: 4-line block ×3, first 2 shown]
	v_dual_mov_b32 v5, 0 :: v_dual_and_b32 v4, 0xffff, v2
	v_lshrrev_b32_e32 v2, 16, v2
	;;#ASMSTART
	v_cvt_f32_f16 v144, v4;
	;;#ASMEND
	;;#ASMSTART
	v_cvt_f32_f16 v145, v2;
	;;#ASMEND
	flat_load_b64 v[12:13], v[10:11] offset:3072
	flat_load_b32 v4, v[26:27]
	v_mov_b32_e32 v22, 0
	s_mov_b32 s20, exec_lo
	s_wait_loadcnt_dscnt 0x101
	v_and_b32_e32 v2, 0xff, v12
	s_delay_alu instid0(VALU_DEP_1)
	v_cmpx_ne_u16_e32 0, v2
	s_cbranch_execz .LBB311_2879
; %bb.2872:                             ;   in Loop: Header=BB311_2079 Depth=1
	v_mov_b32_e32 v22, 0x8000
	s_mov_b32 s21, exec_lo
	v_cmpx_ne_u16_e32 0x80, v2
	s_cbranch_execz .LBB311_2878
; %bb.2873:                             ;   in Loop: Header=BB311_2079 Depth=1
	v_and_b32_e32 v23, 0x7f, v12
	v_mov_b32_e32 v22, 0x7c01
	s_mov_b32 s22, exec_lo
	s_delay_alu instid0(VALU_DEP_2)
	v_cmpx_ne_u32_e32 0x7f, v23
	s_cbranch_execz .LBB311_2877
; %bb.2874:                             ;   in Loop: Header=BB311_2079 Depth=1
	v_and_b32_e32 v2, 7, v12
	v_lshrrev_b32_e32 v22, 3, v23
	s_mov_b32 s23, exec_lo
	v_cmpx_gt_u32_e32 8, v23
; %bb.2875:                             ;   in Loop: Header=BB311_2079 Depth=1
	s_delay_alu instid0(VALU_DEP_3) | instskip(NEXT) | instid1(VALU_DEP_1)
	v_clz_i32_u32_e32 v2, v2
	v_min_u32_e32 v2, 32, v2
	s_delay_alu instid0(VALU_DEP_1) | instskip(NEXT) | instid1(VALU_DEP_1)
	v_subrev_nc_u32_e32 v22, 28, v2
	v_lshlrev_b64_e32 v[30:31], v22, v[12:13]
	v_sub_nc_u32_e32 v22, 29, v2
	s_delay_alu instid0(VALU_DEP_2)
	v_and_b32_e32 v2, 7, v30
; %bb.2876:                             ;   in Loop: Header=BB311_2079 Depth=1
	s_wait_alu 0xfffe
	s_or_b32 exec_lo, exec_lo, s23
	v_lshlrev_b32_e32 v23, 8, v12
	v_lshl_add_u32 v22, v22, 10, 0x2000
	v_lshlrev_b32_e32 v2, 7, v2
	s_delay_alu instid0(VALU_DEP_3) | instskip(NEXT) | instid1(VALU_DEP_3)
	v_and_b32_e32 v23, 0x8000, v23
	v_and_b32_e32 v22, 0xfc00, v22
	s_delay_alu instid0(VALU_DEP_1)
	v_or3_b32 v22, v23, v22, v2
.LBB311_2877:                           ;   in Loop: Header=BB311_2079 Depth=1
	s_wait_alu 0xfffe
	s_or_b32 exec_lo, exec_lo, s22
.LBB311_2878:                           ;   in Loop: Header=BB311_2079 Depth=1
	s_wait_alu 0xfffe
	s_or_b32 exec_lo, exec_lo, s21
.LBB311_2879:                           ;   in Loop: Header=BB311_2079 Depth=1
	s_wait_alu 0xfffe
	s_or_b32 exec_lo, exec_lo, s20
	v_lshrrev_b16 v2, 8, v12
	s_mov_b32 s20, exec_lo
	s_delay_alu instid0(VALU_DEP_1)
	v_cmpx_ne_u16_e32 0, v2
	s_cbranch_execz .LBB311_2887
; %bb.2880:                             ;   in Loop: Header=BB311_2079 Depth=1
	v_bfrev_b32_e32 v5, 1
	s_mov_b32 s21, exec_lo
	v_cmpx_ne_u16_e32 0x80, v2
	s_cbranch_execz .LBB311_2886
; %bb.2881:                             ;   in Loop: Header=BB311_2079 Depth=1
	v_and_b32_e32 v23, 0xffff, v2
	v_mov_b32_e32 v5, 0x7c010000
	s_mov_b32 s22, exec_lo
	s_delay_alu instid0(VALU_DEP_2) | instskip(NEXT) | instid1(VALU_DEP_1)
	v_and_b32_e32 v31, 0x7f, v23
	v_cmpx_ne_u32_e32 0x7f, v31
	s_cbranch_execz .LBB311_2885
; %bb.2882:                             ;   in Loop: Header=BB311_2079 Depth=1
	v_and_b32_e32 v5, 7, v23
	v_lshrrev_b32_e32 v30, 3, v31
	s_mov_b32 s23, exec_lo
	v_cmpx_gt_u32_e32 8, v31
; %bb.2883:                             ;   in Loop: Header=BB311_2079 Depth=1
	s_delay_alu instid0(VALU_DEP_3) | instskip(NEXT) | instid1(VALU_DEP_1)
	v_clz_i32_u32_e32 v5, v5
	v_min_u32_e32 v5, 32, v5
	s_delay_alu instid0(VALU_DEP_1) | instskip(NEXT) | instid1(VALU_DEP_1)
	v_subrev_nc_u32_e32 v30, 28, v5
	v_lshlrev_b64_e32 v[31:32], v30, v[2:3]
	v_sub_nc_u32_e32 v30, 29, v5
	s_delay_alu instid0(VALU_DEP_2)
	v_and_b32_e32 v5, 7, v31
; %bb.2884:                             ;   in Loop: Header=BB311_2079 Depth=1
	s_wait_alu 0xfffe
	s_or_b32 exec_lo, exec_lo, s23
	v_lshlrev_b32_e32 v2, 8, v23
	v_lshl_add_u32 v23, v30, 10, 0x2000
	v_lshlrev_b32_e32 v5, 23, v5
	s_delay_alu instid0(VALU_DEP_2) | instskip(NEXT) | instid1(VALU_DEP_1)
	v_and_or_b32 v2, 0x8000, v2, v23
	v_lshl_or_b32 v5, v2, 16, v5
.LBB311_2885:                           ;   in Loop: Header=BB311_2079 Depth=1
	s_wait_alu 0xfffe
	s_or_b32 exec_lo, exec_lo, s22
.LBB311_2886:                           ;   in Loop: Header=BB311_2079 Depth=1
	s_wait_alu 0xfffe
	s_or_b32 exec_lo, exec_lo, s21
.LBB311_2887:                           ;   in Loop: Header=BB311_2079 Depth=1
	s_wait_alu 0xfffe
	s_or_b32 exec_lo, exec_lo, s20
	v_lshrrev_b32_e32 v2, 16, v12
	v_mov_b32_e32 v23, 0
	s_mov_b32 s20, exec_lo
	s_delay_alu instid0(VALU_DEP_2) | instskip(NEXT) | instid1(VALU_DEP_1)
	v_dual_mov_b32 v30, 0 :: v_dual_and_b32 v31, 0xff, v2
	v_cmpx_ne_u16_e32 0, v31
	s_cbranch_execz .LBB311_2895
; %bb.2888:                             ;   in Loop: Header=BB311_2079 Depth=1
	v_mov_b32_e32 v30, 0x8000
	s_mov_b32 s21, exec_lo
	v_cmpx_ne_u16_e32 0x80, v31
	s_cbranch_execz .LBB311_2894
; %bb.2889:                             ;   in Loop: Header=BB311_2079 Depth=1
	v_bfe_u32 v32, v12, 16, 7
	v_mov_b32_e32 v30, 0x7c01
	s_mov_b32 s22, exec_lo
	s_delay_alu instid0(VALU_DEP_2)
	v_cmpx_ne_u32_e32 0x7f, v32
	s_cbranch_execz .LBB311_2893
; %bb.2890:                             ;   in Loop: Header=BB311_2079 Depth=1
	v_and_b32_e32 v30, 7, v2
	v_lshrrev_b32_e32 v31, 3, v32
	s_mov_b32 s23, exec_lo
	v_cmpx_gt_u32_e32 8, v32
; %bb.2891:                             ;   in Loop: Header=BB311_2079 Depth=1
	s_delay_alu instid0(VALU_DEP_3) | instskip(NEXT) | instid1(VALU_DEP_1)
	v_clz_i32_u32_e32 v30, v30
	v_min_u32_e32 v32, 32, v30
	s_delay_alu instid0(VALU_DEP_1) | instskip(NEXT) | instid1(VALU_DEP_1)
	v_subrev_nc_u32_e32 v30, 28, v32
	v_lshlrev_b64_e32 v[30:31], v30, v[2:3]
	v_sub_nc_u32_e32 v31, 29, v32
	s_delay_alu instid0(VALU_DEP_2)
	v_and_b32_e32 v30, 7, v30
; %bb.2892:                             ;   in Loop: Header=BB311_2079 Depth=1
	s_wait_alu 0xfffe
	s_or_b32 exec_lo, exec_lo, s23
	v_lshlrev_b32_e32 v2, 8, v2
	v_lshl_add_u32 v31, v31, 10, 0x2000
	v_lshlrev_b32_e32 v30, 7, v30
	s_delay_alu instid0(VALU_DEP_3) | instskip(NEXT) | instid1(VALU_DEP_3)
	v_and_b32_e32 v2, 0x8000, v2
	v_and_b32_e32 v31, 0xfc00, v31
	s_delay_alu instid0(VALU_DEP_1)
	v_or3_b32 v30, v2, v31, v30
.LBB311_2893:                           ;   in Loop: Header=BB311_2079 Depth=1
	s_wait_alu 0xfffe
	s_or_b32 exec_lo, exec_lo, s22
.LBB311_2894:                           ;   in Loop: Header=BB311_2079 Depth=1
	s_wait_alu 0xfffe
	s_or_b32 exec_lo, exec_lo, s21
.LBB311_2895:                           ;   in Loop: Header=BB311_2079 Depth=1
	s_wait_alu 0xfffe
	s_or_b32 exec_lo, exec_lo, s20
	s_delay_alu instid0(SALU_CYCLE_1)
	s_mov_b32 s20, exec_lo
	v_cmpx_lt_u32_e32 0xffffff, v12
	s_cbranch_execz .LBB311_2903
; %bb.2896:                             ;   in Loop: Header=BB311_2079 Depth=1
	v_lshrrev_b32_e32 v2, 24, v12
	v_bfrev_b32_e32 v23, 1
	s_mov_b32 s21, exec_lo
	s_delay_alu instid0(VALU_DEP_2)
	v_cmpx_ne_u32_e32 0x80, v2
	s_cbranch_execz .LBB311_2902
; %bb.2897:                             ;   in Loop: Header=BB311_2079 Depth=1
	v_and_b32_e32 v32, 0x7f, v2
	v_mov_b32_e32 v23, 0x7c010000
	s_mov_b32 s22, exec_lo
	s_delay_alu instid0(VALU_DEP_2)
	v_cmpx_ne_u32_e32 0x7f, v32
	s_cbranch_execz .LBB311_2901
; %bb.2898:                             ;   in Loop: Header=BB311_2079 Depth=1
	v_and_b32_e32 v23, 7, v2
	v_lshrrev_b32_e32 v31, 3, v32
	s_mov_b32 s23, exec_lo
	v_cmpx_gt_u32_e32 8, v32
; %bb.2899:                             ;   in Loop: Header=BB311_2079 Depth=1
	s_delay_alu instid0(VALU_DEP_3) | instskip(NEXT) | instid1(VALU_DEP_1)
	v_clz_i32_u32_e32 v23, v23
	v_min_u32_e32 v23, 32, v23
	s_delay_alu instid0(VALU_DEP_1) | instskip(NEXT) | instid1(VALU_DEP_1)
	v_subrev_nc_u32_e32 v31, 28, v23
	v_lshlrev_b64_e32 v[32:33], v31, v[2:3]
	v_sub_nc_u32_e32 v31, 29, v23
	s_delay_alu instid0(VALU_DEP_2)
	v_and_b32_e32 v23, 7, v32
; %bb.2900:                             ;   in Loop: Header=BB311_2079 Depth=1
	s_wait_alu 0xfffe
	s_or_b32 exec_lo, exec_lo, s23
	v_lshlrev_b32_e32 v2, 8, v2
	v_lshl_add_u32 v31, v31, 10, 0x2000
	v_lshlrev_b32_e32 v23, 23, v23
	s_delay_alu instid0(VALU_DEP_2) | instskip(NEXT) | instid1(VALU_DEP_1)
	v_and_or_b32 v2, 0x8000, v2, v31
	v_lshl_or_b32 v23, v2, 16, v23
.LBB311_2901:                           ;   in Loop: Header=BB311_2079 Depth=1
	s_wait_alu 0xfffe
	s_or_b32 exec_lo, exec_lo, s22
.LBB311_2902:                           ;   in Loop: Header=BB311_2079 Depth=1
	s_wait_alu 0xfffe
	s_or_b32 exec_lo, exec_lo, s21
.LBB311_2903:                           ;   in Loop: Header=BB311_2079 Depth=1
	s_wait_alu 0xfffe
	s_or_b32 exec_lo, exec_lo, s20
	v_dual_mov_b32 v2, v13 :: v_dual_and_b32 v33, 0xff, v13
	v_dual_mov_b32 v31, 0 :: v_dual_mov_b32 v32, 0
	s_mov_b32 s20, exec_lo
	s_delay_alu instid0(VALU_DEP_2)
	v_cmpx_ne_u16_e32 0, v33
	s_cbranch_execz .LBB311_2911
; %bb.2904:                             ;   in Loop: Header=BB311_2079 Depth=1
	v_mov_b32_e32 v32, 0x8000
	s_mov_b32 s21, exec_lo
	v_cmpx_ne_u16_e32 0x80, v33
	s_cbranch_execz .LBB311_2910
; %bb.2905:                             ;   in Loop: Header=BB311_2079 Depth=1
	v_and_b32_e32 v34, 0x7f, v13
	v_mov_b32_e32 v32, 0x7c01
	s_mov_b32 s22, exec_lo
	s_delay_alu instid0(VALU_DEP_2)
	v_cmpx_ne_u32_e32 0x7f, v34
	s_cbranch_execz .LBB311_2909
; %bb.2906:                             ;   in Loop: Header=BB311_2079 Depth=1
	v_and_b32_e32 v32, 7, v13
	v_lshrrev_b32_e32 v33, 3, v34
	s_mov_b32 s23, exec_lo
	v_cmpx_gt_u32_e32 8, v34
; %bb.2907:                             ;   in Loop: Header=BB311_2079 Depth=1
	s_delay_alu instid0(VALU_DEP_3) | instskip(NEXT) | instid1(VALU_DEP_1)
	v_clz_i32_u32_e32 v32, v32
	v_min_u32_e32 v34, 32, v32
	s_delay_alu instid0(VALU_DEP_1) | instskip(NEXT) | instid1(VALU_DEP_1)
	v_subrev_nc_u32_e32 v32, 28, v34
	v_lshlrev_b64_e32 v[32:33], v32, v[2:3]
	v_sub_nc_u32_e32 v33, 29, v34
	s_delay_alu instid0(VALU_DEP_2)
	v_and_b32_e32 v32, 7, v32
; %bb.2908:                             ;   in Loop: Header=BB311_2079 Depth=1
	s_wait_alu 0xfffe
	s_or_b32 exec_lo, exec_lo, s23
	v_lshlrev_b32_e32 v34, 8, v13
	v_lshl_add_u32 v33, v33, 10, 0x2000
	v_lshlrev_b32_e32 v32, 7, v32
	s_delay_alu instid0(VALU_DEP_3) | instskip(NEXT) | instid1(VALU_DEP_3)
	v_and_b32_e32 v34, 0x8000, v34
	v_and_b32_e32 v33, 0xfc00, v33
	s_delay_alu instid0(VALU_DEP_1)
	v_or3_b32 v32, v34, v33, v32
.LBB311_2909:                           ;   in Loop: Header=BB311_2079 Depth=1
	s_wait_alu 0xfffe
	s_or_b32 exec_lo, exec_lo, s22
.LBB311_2910:                           ;   in Loop: Header=BB311_2079 Depth=1
	s_wait_alu 0xfffe
	s_or_b32 exec_lo, exec_lo, s21
.LBB311_2911:                           ;   in Loop: Header=BB311_2079 Depth=1
	s_wait_alu 0xfffe
	s_or_b32 exec_lo, exec_lo, s20
	v_lshrrev_b16 v2, 8, v2
	v_mov_b32_e32 v33, 0
	s_mov_b32 s20, exec_lo
	s_delay_alu instid0(VALU_DEP_2)
	v_cmpx_ne_u16_e32 0, v2
	s_cbranch_execz .LBB311_2919
; %bb.2912:                             ;   in Loop: Header=BB311_2079 Depth=1
	v_bfrev_b32_e32 v33, 1
	s_mov_b32 s21, exec_lo
	v_cmpx_ne_u16_e32 0x80, v2
	s_cbranch_execz .LBB311_2918
; %bb.2913:                             ;   in Loop: Header=BB311_2079 Depth=1
	v_and_b32_e32 v34, 0xffff, v2
	v_mov_b32_e32 v33, 0x7c010000
	s_mov_b32 s22, exec_lo
	s_delay_alu instid0(VALU_DEP_2) | instskip(NEXT) | instid1(VALU_DEP_1)
	v_and_b32_e32 v147, 0x7f, v34
	v_cmpx_ne_u32_e32 0x7f, v147
	s_cbranch_execz .LBB311_2917
; %bb.2914:                             ;   in Loop: Header=BB311_2079 Depth=1
	v_and_b32_e32 v33, 7, v34
	v_lshrrev_b32_e32 v146, 3, v147
	s_mov_b32 s23, exec_lo
	v_cmpx_gt_u32_e32 8, v147
; %bb.2915:                             ;   in Loop: Header=BB311_2079 Depth=1
	s_delay_alu instid0(VALU_DEP_3) | instskip(NEXT) | instid1(VALU_DEP_1)
	v_clz_i32_u32_e32 v33, v33
	v_min_u32_e32 v33, 32, v33
	s_delay_alu instid0(VALU_DEP_1) | instskip(NEXT) | instid1(VALU_DEP_1)
	v_subrev_nc_u32_e32 v146, 28, v33
	v_lshlrev_b64_e32 v[147:148], v146, v[2:3]
	v_sub_nc_u32_e32 v146, 29, v33
	s_delay_alu instid0(VALU_DEP_2)
	v_and_b32_e32 v33, 7, v147
; %bb.2916:                             ;   in Loop: Header=BB311_2079 Depth=1
	s_wait_alu 0xfffe
	s_or_b32 exec_lo, exec_lo, s23
	v_lshlrev_b32_e32 v2, 8, v34
	v_lshl_add_u32 v34, v146, 10, 0x2000
	v_lshlrev_b32_e32 v33, 23, v33
	s_delay_alu instid0(VALU_DEP_2) | instskip(NEXT) | instid1(VALU_DEP_1)
	v_and_or_b32 v2, 0x8000, v2, v34
	v_lshl_or_b32 v33, v2, 16, v33
.LBB311_2917:                           ;   in Loop: Header=BB311_2079 Depth=1
	s_wait_alu 0xfffe
	s_or_b32 exec_lo, exec_lo, s22
.LBB311_2918:                           ;   in Loop: Header=BB311_2079 Depth=1
	s_wait_alu 0xfffe
	s_or_b32 exec_lo, exec_lo, s21
.LBB311_2919:                           ;   in Loop: Header=BB311_2079 Depth=1
	s_wait_alu 0xfffe
	s_or_b32 exec_lo, exec_lo, s20
	v_lshrrev_b32_e32 v2, 16, v13
	s_mov_b32 s20, exec_lo
	s_delay_alu instid0(VALU_DEP_1) | instskip(NEXT) | instid1(VALU_DEP_1)
	v_and_b32_e32 v34, 0xff, v2
	v_cmpx_ne_u16_e32 0, v34
	s_cbranch_execz .LBB311_2927
; %bb.2920:                             ;   in Loop: Header=BB311_2079 Depth=1
	v_mov_b32_e32 v31, 0x8000
	s_mov_b32 s21, exec_lo
	v_cmpx_ne_u16_e32 0x80, v34
	s_cbranch_execz .LBB311_2926
; %bb.2921:                             ;   in Loop: Header=BB311_2079 Depth=1
	v_bfe_u32 v146, v13, 16, 7
	v_mov_b32_e32 v31, 0x7c01
	s_mov_b32 s22, exec_lo
	s_delay_alu instid0(VALU_DEP_2)
	v_cmpx_ne_u32_e32 0x7f, v146
	s_cbranch_execz .LBB311_2925
; %bb.2922:                             ;   in Loop: Header=BB311_2079 Depth=1
	v_and_b32_e32 v31, 7, v2
	v_lshrrev_b32_e32 v34, 3, v146
	s_mov_b32 s23, exec_lo
	v_cmpx_gt_u32_e32 8, v146
; %bb.2923:                             ;   in Loop: Header=BB311_2079 Depth=1
	s_delay_alu instid0(VALU_DEP_3) | instskip(NEXT) | instid1(VALU_DEP_1)
	v_clz_i32_u32_e32 v31, v31
	v_min_u32_e32 v31, 32, v31
	s_delay_alu instid0(VALU_DEP_1) | instskip(NEXT) | instid1(VALU_DEP_1)
	v_subrev_nc_u32_e32 v34, 28, v31
	v_lshlrev_b64_e32 v[146:147], v34, v[2:3]
	v_sub_nc_u32_e32 v34, 29, v31
	s_delay_alu instid0(VALU_DEP_2)
	v_and_b32_e32 v31, 7, v146
; %bb.2924:                             ;   in Loop: Header=BB311_2079 Depth=1
	s_wait_alu 0xfffe
	s_or_b32 exec_lo, exec_lo, s23
	v_lshlrev_b32_e32 v2, 8, v2
	v_lshl_add_u32 v34, v34, 10, 0x2000
	v_lshlrev_b32_e32 v31, 7, v31
	s_delay_alu instid0(VALU_DEP_3) | instskip(NEXT) | instid1(VALU_DEP_3)
	v_and_b32_e32 v2, 0x8000, v2
	v_and_b32_e32 v34, 0xfc00, v34
	s_delay_alu instid0(VALU_DEP_1)
	v_or3_b32 v31, v2, v34, v31
.LBB311_2925:                           ;   in Loop: Header=BB311_2079 Depth=1
	s_wait_alu 0xfffe
	s_or_b32 exec_lo, exec_lo, s22
.LBB311_2926:                           ;   in Loop: Header=BB311_2079 Depth=1
	s_wait_alu 0xfffe
	s_or_b32 exec_lo, exec_lo, s21
.LBB311_2927:                           ;   in Loop: Header=BB311_2079 Depth=1
	s_wait_alu 0xfffe
	s_or_b32 exec_lo, exec_lo, s20
	v_cmp_lt_u64_e64 s8, s[16:17], v[12:13]
	v_mov_b32_e32 v12, 0
	s_and_saveexec_b32 s20, s8
	s_cbranch_execz .LBB311_2935
; %bb.2928:                             ;   in Loop: Header=BB311_2079 Depth=1
	v_lshrrev_b32_e32 v2, 24, v13
	v_bfrev_b32_e32 v12, 1
	s_mov_b32 s21, exec_lo
	s_delay_alu instid0(VALU_DEP_2)
	v_cmpx_ne_u32_e32 0x80, v2
	s_cbranch_execz .LBB311_2934
; %bb.2929:                             ;   in Loop: Header=BB311_2079 Depth=1
	v_and_b32_e32 v34, 0x7f, v2
	v_mov_b32_e32 v12, 0x7c010000
	s_mov_b32 s22, exec_lo
	s_delay_alu instid0(VALU_DEP_2)
	v_cmpx_ne_u32_e32 0x7f, v34
	s_cbranch_execz .LBB311_2933
; %bb.2930:                             ;   in Loop: Header=BB311_2079 Depth=1
	v_and_b32_e32 v12, 7, v2
	v_lshrrev_b32_e32 v13, 3, v34
	s_mov_b32 s23, exec_lo
	v_cmpx_gt_u32_e32 8, v34
; %bb.2931:                             ;   in Loop: Header=BB311_2079 Depth=1
	s_delay_alu instid0(VALU_DEP_3) | instskip(NEXT) | instid1(VALU_DEP_1)
	v_clz_i32_u32_e32 v12, v12
	v_min_u32_e32 v34, 32, v12
	s_delay_alu instid0(VALU_DEP_1) | instskip(NEXT) | instid1(VALU_DEP_1)
	v_subrev_nc_u32_e32 v12, 28, v34
	v_lshlrev_b64_e32 v[12:13], v12, v[2:3]
	v_sub_nc_u32_e32 v13, 29, v34
	s_delay_alu instid0(VALU_DEP_2)
	v_and_b32_e32 v12, 7, v12
; %bb.2932:                             ;   in Loop: Header=BB311_2079 Depth=1
	s_wait_alu 0xfffe
	s_or_b32 exec_lo, exec_lo, s23
	v_lshlrev_b32_e32 v2, 8, v2
	v_lshl_add_u32 v13, v13, 10, 0x2000
	v_lshlrev_b32_e32 v12, 23, v12
	s_delay_alu instid0(VALU_DEP_2) | instskip(NEXT) | instid1(VALU_DEP_1)
	v_and_or_b32 v2, 0x8000, v2, v13
	v_lshl_or_b32 v12, v2, 16, v12
.LBB311_2933:                           ;   in Loop: Header=BB311_2079 Depth=1
	s_wait_alu 0xfffe
	s_or_b32 exec_lo, exec_lo, s22
.LBB311_2934:                           ;   in Loop: Header=BB311_2079 Depth=1
	s_wait_alu 0xfffe
	s_or_b32 exec_lo, exec_lo, s21
.LBB311_2935:                           ;   in Loop: Header=BB311_2079 Depth=1
	s_wait_alu 0xfffe
	s_or_b32 exec_lo, exec_lo, s20
	v_or_b32_e32 v2, v23, v30
	s_wait_loadcnt_dscnt 0x0
	v_fma_mixlo_f16 v13, v4, v23, 0 op_sel:[0,1,0] op_sel_hi:[0,1,0]
	v_or_b32_e32 v22, v5, v22
	v_fma_mixlo_f16 v5, v4, v5, 0 op_sel:[0,1,0] op_sel_hi:[0,1,0]
	v_or_b32_e32 v23, v33, v32
	v_fma_mixlo_f16 v30, v4, v2, 0 op_sel_hi:[0,1,0]
	v_or_b32_e32 v31, v12, v31
	v_lshlrev_b32_e32 v2, 16, v13
	v_lshlrev_b32_e32 v13, 16, v5
	v_fma_mixlo_f16 v22, v4, v22, 0 op_sel_hi:[0,1,0]
	v_and_b32_e32 v5, 0xffff, v30
	v_fma_mixlo_f16 v30, v4, v33, 0 op_sel:[0,1,0] op_sel_hi:[0,1,0]
	v_fma_mixlo_f16 v23, v4, v23, 0 op_sel_hi:[0,1,0]
	v_fma_mixlo_f16 v12, v4, v12, 0 op_sel:[0,1,0] op_sel_hi:[0,1,0]
	v_fma_mixlo_f16 v4, v4, v31, 0 op_sel_hi:[0,1,0]
	v_and_b32_e32 v34, 0xffff, v22
	v_lshlrev_b32_e32 v31, 16, v30
	v_and_b32_e32 v33, 0xffff, v23
	v_lshlrev_b32_e32 v30, 16, v12
	v_and_b32_e32 v32, 0xffff, v4
	v_or_b32_e32 v4, v2, v5
	v_or_b32_e32 v23, v13, v34
	;; [unrolled: 1-line block ×3, first 2 shown]
	s_delay_alu instid0(VALU_DEP_4)
	v_or_b32_e32 v12, v30, v32
	s_and_saveexec_b32 s8, s2
	s_cbranch_execz .LBB311_2937
; %bb.2936:                             ;   in Loop: Header=BB311_2079 Depth=1
	s_wait_alu 0xfffd
	v_cndmask_b32_e32 v4, 0, v34, vcc_lo
	v_cndmask_b32_e64 v12, 0, v13, s1
	v_cndmask_b32_e64 v5, 0, v5, s0
	v_cndmask_b32_e64 v2, 0, v2, s3
	v_cndmask_b32_e64 v13, 0, v33, s4
	v_cndmask_b32_e64 v22, 0, v31, s5
	v_cndmask_b32_e64 v31, 0, v32, s6
	v_cndmask_b32_e64 v30, 0, v30, s7
	v_or_b32_e32 v23, v4, v12
	v_or_b32_e32 v4, v5, v2
	;; [unrolled: 1-line block ×3, first 2 shown]
	s_delay_alu instid0(VALU_DEP_4)
	v_or_b32_e32 v12, v31, v30
.LBB311_2937:                           ;   in Loop: Header=BB311_2079 Depth=1
	s_wait_alu 0xfffe
	s_or_b32 exec_lo, exec_lo, s8
	;;#ASMSTART
	v_pk_mul_f16 v2, v98, v23;

	;;#ASMEND
	;;#ASMSTART
	v_pk_mul_f16 v4, v96, v4;

	;;#ASMEND
	;; [unrolled: 4-line block ×4, first 2 shown]
	;;#ASMSTART
	v_pk_add_f16 v2, v2, v4;

	;;#ASMEND
	;;#ASMSTART
	v_pk_add_f16 v2, v2, v5;

	;;#ASMEND
	;; [unrolled: 4-line block ×3, first 2 shown]
	v_dual_mov_b32 v5, 0 :: v_dual_and_b32 v4, 0xffff, v2
	v_lshrrev_b32_e32 v2, 16, v2
	;;#ASMSTART
	v_cvt_f32_f16 v146, v4;
	;;#ASMEND
	;;#ASMSTART
	v_cvt_f32_f16 v147, v2;
	;;#ASMEND
	flat_load_b64 v[12:13], v[10:11] offset:3328
	flat_load_b32 v4, v[26:27]
	v_mov_b32_e32 v22, 0
	s_mov_b32 s20, exec_lo
	s_wait_loadcnt_dscnt 0x101
	v_and_b32_e32 v2, 0xff, v12
	s_delay_alu instid0(VALU_DEP_1)
	v_cmpx_ne_u16_e32 0, v2
	s_cbranch_execz .LBB311_2945
; %bb.2938:                             ;   in Loop: Header=BB311_2079 Depth=1
	v_mov_b32_e32 v22, 0x8000
	s_mov_b32 s21, exec_lo
	v_cmpx_ne_u16_e32 0x80, v2
	s_cbranch_execz .LBB311_2944
; %bb.2939:                             ;   in Loop: Header=BB311_2079 Depth=1
	v_and_b32_e32 v23, 0x7f, v12
	v_mov_b32_e32 v22, 0x7c01
	s_mov_b32 s22, exec_lo
	s_delay_alu instid0(VALU_DEP_2)
	v_cmpx_ne_u32_e32 0x7f, v23
	s_cbranch_execz .LBB311_2943
; %bb.2940:                             ;   in Loop: Header=BB311_2079 Depth=1
	v_and_b32_e32 v2, 7, v12
	v_lshrrev_b32_e32 v22, 3, v23
	s_mov_b32 s23, exec_lo
	v_cmpx_gt_u32_e32 8, v23
; %bb.2941:                             ;   in Loop: Header=BB311_2079 Depth=1
	s_delay_alu instid0(VALU_DEP_3) | instskip(NEXT) | instid1(VALU_DEP_1)
	v_clz_i32_u32_e32 v2, v2
	v_min_u32_e32 v2, 32, v2
	s_delay_alu instid0(VALU_DEP_1) | instskip(NEXT) | instid1(VALU_DEP_1)
	v_subrev_nc_u32_e32 v22, 28, v2
	v_lshlrev_b64_e32 v[30:31], v22, v[12:13]
	v_sub_nc_u32_e32 v22, 29, v2
	s_delay_alu instid0(VALU_DEP_2)
	v_and_b32_e32 v2, 7, v30
; %bb.2942:                             ;   in Loop: Header=BB311_2079 Depth=1
	s_wait_alu 0xfffe
	s_or_b32 exec_lo, exec_lo, s23
	v_lshlrev_b32_e32 v23, 8, v12
	v_lshl_add_u32 v22, v22, 10, 0x2000
	v_lshlrev_b32_e32 v2, 7, v2
	s_delay_alu instid0(VALU_DEP_3) | instskip(NEXT) | instid1(VALU_DEP_3)
	v_and_b32_e32 v23, 0x8000, v23
	v_and_b32_e32 v22, 0xfc00, v22
	s_delay_alu instid0(VALU_DEP_1)
	v_or3_b32 v22, v23, v22, v2
.LBB311_2943:                           ;   in Loop: Header=BB311_2079 Depth=1
	s_wait_alu 0xfffe
	s_or_b32 exec_lo, exec_lo, s22
.LBB311_2944:                           ;   in Loop: Header=BB311_2079 Depth=1
	s_wait_alu 0xfffe
	s_or_b32 exec_lo, exec_lo, s21
.LBB311_2945:                           ;   in Loop: Header=BB311_2079 Depth=1
	s_wait_alu 0xfffe
	s_or_b32 exec_lo, exec_lo, s20
	v_lshrrev_b16 v2, 8, v12
	s_mov_b32 s20, exec_lo
	s_delay_alu instid0(VALU_DEP_1)
	v_cmpx_ne_u16_e32 0, v2
	s_cbranch_execz .LBB311_2953
; %bb.2946:                             ;   in Loop: Header=BB311_2079 Depth=1
	v_bfrev_b32_e32 v5, 1
	s_mov_b32 s21, exec_lo
	v_cmpx_ne_u16_e32 0x80, v2
	s_cbranch_execz .LBB311_2952
; %bb.2947:                             ;   in Loop: Header=BB311_2079 Depth=1
	v_and_b32_e32 v23, 0xffff, v2
	v_mov_b32_e32 v5, 0x7c010000
	s_mov_b32 s22, exec_lo
	s_delay_alu instid0(VALU_DEP_2) | instskip(NEXT) | instid1(VALU_DEP_1)
	v_and_b32_e32 v31, 0x7f, v23
	v_cmpx_ne_u32_e32 0x7f, v31
	s_cbranch_execz .LBB311_2951
; %bb.2948:                             ;   in Loop: Header=BB311_2079 Depth=1
	v_and_b32_e32 v5, 7, v23
	v_lshrrev_b32_e32 v30, 3, v31
	s_mov_b32 s23, exec_lo
	v_cmpx_gt_u32_e32 8, v31
; %bb.2949:                             ;   in Loop: Header=BB311_2079 Depth=1
	s_delay_alu instid0(VALU_DEP_3) | instskip(NEXT) | instid1(VALU_DEP_1)
	v_clz_i32_u32_e32 v5, v5
	v_min_u32_e32 v5, 32, v5
	s_delay_alu instid0(VALU_DEP_1) | instskip(NEXT) | instid1(VALU_DEP_1)
	v_subrev_nc_u32_e32 v30, 28, v5
	v_lshlrev_b64_e32 v[31:32], v30, v[2:3]
	v_sub_nc_u32_e32 v30, 29, v5
	s_delay_alu instid0(VALU_DEP_2)
	v_and_b32_e32 v5, 7, v31
; %bb.2950:                             ;   in Loop: Header=BB311_2079 Depth=1
	s_wait_alu 0xfffe
	s_or_b32 exec_lo, exec_lo, s23
	v_lshlrev_b32_e32 v2, 8, v23
	v_lshl_add_u32 v23, v30, 10, 0x2000
	v_lshlrev_b32_e32 v5, 23, v5
	s_delay_alu instid0(VALU_DEP_2) | instskip(NEXT) | instid1(VALU_DEP_1)
	v_and_or_b32 v2, 0x8000, v2, v23
	v_lshl_or_b32 v5, v2, 16, v5
.LBB311_2951:                           ;   in Loop: Header=BB311_2079 Depth=1
	s_wait_alu 0xfffe
	s_or_b32 exec_lo, exec_lo, s22
.LBB311_2952:                           ;   in Loop: Header=BB311_2079 Depth=1
	s_wait_alu 0xfffe
	s_or_b32 exec_lo, exec_lo, s21
.LBB311_2953:                           ;   in Loop: Header=BB311_2079 Depth=1
	s_wait_alu 0xfffe
	s_or_b32 exec_lo, exec_lo, s20
	v_lshrrev_b32_e32 v2, 16, v12
	v_mov_b32_e32 v23, 0
	s_mov_b32 s20, exec_lo
	s_delay_alu instid0(VALU_DEP_2) | instskip(NEXT) | instid1(VALU_DEP_1)
	v_dual_mov_b32 v30, 0 :: v_dual_and_b32 v31, 0xff, v2
	v_cmpx_ne_u16_e32 0, v31
	s_cbranch_execz .LBB311_2961
; %bb.2954:                             ;   in Loop: Header=BB311_2079 Depth=1
	v_mov_b32_e32 v30, 0x8000
	s_mov_b32 s21, exec_lo
	v_cmpx_ne_u16_e32 0x80, v31
	s_cbranch_execz .LBB311_2960
; %bb.2955:                             ;   in Loop: Header=BB311_2079 Depth=1
	v_bfe_u32 v32, v12, 16, 7
	v_mov_b32_e32 v30, 0x7c01
	s_mov_b32 s22, exec_lo
	s_delay_alu instid0(VALU_DEP_2)
	v_cmpx_ne_u32_e32 0x7f, v32
	s_cbranch_execz .LBB311_2959
; %bb.2956:                             ;   in Loop: Header=BB311_2079 Depth=1
	v_and_b32_e32 v30, 7, v2
	v_lshrrev_b32_e32 v31, 3, v32
	s_mov_b32 s23, exec_lo
	v_cmpx_gt_u32_e32 8, v32
; %bb.2957:                             ;   in Loop: Header=BB311_2079 Depth=1
	s_delay_alu instid0(VALU_DEP_3) | instskip(NEXT) | instid1(VALU_DEP_1)
	v_clz_i32_u32_e32 v30, v30
	v_min_u32_e32 v32, 32, v30
	s_delay_alu instid0(VALU_DEP_1) | instskip(NEXT) | instid1(VALU_DEP_1)
	v_subrev_nc_u32_e32 v30, 28, v32
	v_lshlrev_b64_e32 v[30:31], v30, v[2:3]
	v_sub_nc_u32_e32 v31, 29, v32
	s_delay_alu instid0(VALU_DEP_2)
	v_and_b32_e32 v30, 7, v30
; %bb.2958:                             ;   in Loop: Header=BB311_2079 Depth=1
	s_wait_alu 0xfffe
	s_or_b32 exec_lo, exec_lo, s23
	v_lshlrev_b32_e32 v2, 8, v2
	v_lshl_add_u32 v31, v31, 10, 0x2000
	v_lshlrev_b32_e32 v30, 7, v30
	s_delay_alu instid0(VALU_DEP_3) | instskip(NEXT) | instid1(VALU_DEP_3)
	v_and_b32_e32 v2, 0x8000, v2
	v_and_b32_e32 v31, 0xfc00, v31
	s_delay_alu instid0(VALU_DEP_1)
	v_or3_b32 v30, v2, v31, v30
.LBB311_2959:                           ;   in Loop: Header=BB311_2079 Depth=1
	s_wait_alu 0xfffe
	s_or_b32 exec_lo, exec_lo, s22
.LBB311_2960:                           ;   in Loop: Header=BB311_2079 Depth=1
	s_wait_alu 0xfffe
	s_or_b32 exec_lo, exec_lo, s21
.LBB311_2961:                           ;   in Loop: Header=BB311_2079 Depth=1
	s_wait_alu 0xfffe
	s_or_b32 exec_lo, exec_lo, s20
	s_delay_alu instid0(SALU_CYCLE_1)
	s_mov_b32 s20, exec_lo
	v_cmpx_lt_u32_e32 0xffffff, v12
	s_cbranch_execz .LBB311_2969
; %bb.2962:                             ;   in Loop: Header=BB311_2079 Depth=1
	v_lshrrev_b32_e32 v2, 24, v12
	v_bfrev_b32_e32 v23, 1
	s_mov_b32 s21, exec_lo
	s_delay_alu instid0(VALU_DEP_2)
	v_cmpx_ne_u32_e32 0x80, v2
	s_cbranch_execz .LBB311_2968
; %bb.2963:                             ;   in Loop: Header=BB311_2079 Depth=1
	v_and_b32_e32 v32, 0x7f, v2
	v_mov_b32_e32 v23, 0x7c010000
	s_mov_b32 s22, exec_lo
	s_delay_alu instid0(VALU_DEP_2)
	v_cmpx_ne_u32_e32 0x7f, v32
	s_cbranch_execz .LBB311_2967
; %bb.2964:                             ;   in Loop: Header=BB311_2079 Depth=1
	v_and_b32_e32 v23, 7, v2
	v_lshrrev_b32_e32 v31, 3, v32
	s_mov_b32 s23, exec_lo
	v_cmpx_gt_u32_e32 8, v32
; %bb.2965:                             ;   in Loop: Header=BB311_2079 Depth=1
	s_delay_alu instid0(VALU_DEP_3) | instskip(NEXT) | instid1(VALU_DEP_1)
	v_clz_i32_u32_e32 v23, v23
	v_min_u32_e32 v23, 32, v23
	s_delay_alu instid0(VALU_DEP_1) | instskip(NEXT) | instid1(VALU_DEP_1)
	v_subrev_nc_u32_e32 v31, 28, v23
	v_lshlrev_b64_e32 v[32:33], v31, v[2:3]
	v_sub_nc_u32_e32 v31, 29, v23
	s_delay_alu instid0(VALU_DEP_2)
	v_and_b32_e32 v23, 7, v32
; %bb.2966:                             ;   in Loop: Header=BB311_2079 Depth=1
	s_wait_alu 0xfffe
	s_or_b32 exec_lo, exec_lo, s23
	v_lshlrev_b32_e32 v2, 8, v2
	v_lshl_add_u32 v31, v31, 10, 0x2000
	v_lshlrev_b32_e32 v23, 23, v23
	s_delay_alu instid0(VALU_DEP_2) | instskip(NEXT) | instid1(VALU_DEP_1)
	v_and_or_b32 v2, 0x8000, v2, v31
	v_lshl_or_b32 v23, v2, 16, v23
.LBB311_2967:                           ;   in Loop: Header=BB311_2079 Depth=1
	s_wait_alu 0xfffe
	s_or_b32 exec_lo, exec_lo, s22
.LBB311_2968:                           ;   in Loop: Header=BB311_2079 Depth=1
	s_wait_alu 0xfffe
	s_or_b32 exec_lo, exec_lo, s21
.LBB311_2969:                           ;   in Loop: Header=BB311_2079 Depth=1
	s_wait_alu 0xfffe
	s_or_b32 exec_lo, exec_lo, s20
	v_dual_mov_b32 v2, v13 :: v_dual_and_b32 v33, 0xff, v13
	v_dual_mov_b32 v31, 0 :: v_dual_mov_b32 v32, 0
	s_mov_b32 s20, exec_lo
	s_delay_alu instid0(VALU_DEP_2)
	v_cmpx_ne_u16_e32 0, v33
	s_cbranch_execz .LBB311_2977
; %bb.2970:                             ;   in Loop: Header=BB311_2079 Depth=1
	v_mov_b32_e32 v32, 0x8000
	s_mov_b32 s21, exec_lo
	v_cmpx_ne_u16_e32 0x80, v33
	s_cbranch_execz .LBB311_2976
; %bb.2971:                             ;   in Loop: Header=BB311_2079 Depth=1
	v_and_b32_e32 v34, 0x7f, v13
	v_mov_b32_e32 v32, 0x7c01
	s_mov_b32 s22, exec_lo
	s_delay_alu instid0(VALU_DEP_2)
	v_cmpx_ne_u32_e32 0x7f, v34
	s_cbranch_execz .LBB311_2975
; %bb.2972:                             ;   in Loop: Header=BB311_2079 Depth=1
	v_and_b32_e32 v32, 7, v13
	v_lshrrev_b32_e32 v33, 3, v34
	s_mov_b32 s23, exec_lo
	v_cmpx_gt_u32_e32 8, v34
; %bb.2973:                             ;   in Loop: Header=BB311_2079 Depth=1
	s_delay_alu instid0(VALU_DEP_3) | instskip(NEXT) | instid1(VALU_DEP_1)
	v_clz_i32_u32_e32 v32, v32
	v_min_u32_e32 v34, 32, v32
	s_delay_alu instid0(VALU_DEP_1) | instskip(NEXT) | instid1(VALU_DEP_1)
	v_subrev_nc_u32_e32 v32, 28, v34
	v_lshlrev_b64_e32 v[32:33], v32, v[2:3]
	v_sub_nc_u32_e32 v33, 29, v34
	s_delay_alu instid0(VALU_DEP_2)
	v_and_b32_e32 v32, 7, v32
; %bb.2974:                             ;   in Loop: Header=BB311_2079 Depth=1
	s_wait_alu 0xfffe
	s_or_b32 exec_lo, exec_lo, s23
	v_lshlrev_b32_e32 v34, 8, v13
	v_lshl_add_u32 v33, v33, 10, 0x2000
	v_lshlrev_b32_e32 v32, 7, v32
	s_delay_alu instid0(VALU_DEP_3) | instskip(NEXT) | instid1(VALU_DEP_3)
	v_and_b32_e32 v34, 0x8000, v34
	v_and_b32_e32 v33, 0xfc00, v33
	s_delay_alu instid0(VALU_DEP_1)
	v_or3_b32 v32, v34, v33, v32
.LBB311_2975:                           ;   in Loop: Header=BB311_2079 Depth=1
	s_wait_alu 0xfffe
	s_or_b32 exec_lo, exec_lo, s22
.LBB311_2976:                           ;   in Loop: Header=BB311_2079 Depth=1
	s_wait_alu 0xfffe
	s_or_b32 exec_lo, exec_lo, s21
.LBB311_2977:                           ;   in Loop: Header=BB311_2079 Depth=1
	s_wait_alu 0xfffe
	s_or_b32 exec_lo, exec_lo, s20
	v_lshrrev_b16 v2, 8, v2
	v_mov_b32_e32 v33, 0
	s_mov_b32 s20, exec_lo
	s_delay_alu instid0(VALU_DEP_2)
	v_cmpx_ne_u16_e32 0, v2
	s_cbranch_execz .LBB311_2985
; %bb.2978:                             ;   in Loop: Header=BB311_2079 Depth=1
	v_bfrev_b32_e32 v33, 1
	s_mov_b32 s21, exec_lo
	v_cmpx_ne_u16_e32 0x80, v2
	s_cbranch_execz .LBB311_2984
; %bb.2979:                             ;   in Loop: Header=BB311_2079 Depth=1
	v_and_b32_e32 v34, 0xffff, v2
	v_mov_b32_e32 v33, 0x7c010000
	s_mov_b32 s22, exec_lo
	s_delay_alu instid0(VALU_DEP_2) | instskip(NEXT) | instid1(VALU_DEP_1)
	v_and_b32_e32 v149, 0x7f, v34
	v_cmpx_ne_u32_e32 0x7f, v149
	s_cbranch_execz .LBB311_2983
; %bb.2980:                             ;   in Loop: Header=BB311_2079 Depth=1
	v_and_b32_e32 v33, 7, v34
	v_lshrrev_b32_e32 v148, 3, v149
	s_mov_b32 s23, exec_lo
	v_cmpx_gt_u32_e32 8, v149
; %bb.2981:                             ;   in Loop: Header=BB311_2079 Depth=1
	s_delay_alu instid0(VALU_DEP_3) | instskip(NEXT) | instid1(VALU_DEP_1)
	v_clz_i32_u32_e32 v33, v33
	v_min_u32_e32 v33, 32, v33
	s_delay_alu instid0(VALU_DEP_1) | instskip(NEXT) | instid1(VALU_DEP_1)
	v_subrev_nc_u32_e32 v148, 28, v33
	v_lshlrev_b64_e32 v[149:150], v148, v[2:3]
	v_sub_nc_u32_e32 v148, 29, v33
	s_delay_alu instid0(VALU_DEP_2)
	v_and_b32_e32 v33, 7, v149
; %bb.2982:                             ;   in Loop: Header=BB311_2079 Depth=1
	s_wait_alu 0xfffe
	s_or_b32 exec_lo, exec_lo, s23
	v_lshlrev_b32_e32 v2, 8, v34
	v_lshl_add_u32 v34, v148, 10, 0x2000
	v_lshlrev_b32_e32 v33, 23, v33
	s_delay_alu instid0(VALU_DEP_2) | instskip(NEXT) | instid1(VALU_DEP_1)
	v_and_or_b32 v2, 0x8000, v2, v34
	v_lshl_or_b32 v33, v2, 16, v33
.LBB311_2983:                           ;   in Loop: Header=BB311_2079 Depth=1
	s_wait_alu 0xfffe
	s_or_b32 exec_lo, exec_lo, s22
.LBB311_2984:                           ;   in Loop: Header=BB311_2079 Depth=1
	s_wait_alu 0xfffe
	s_or_b32 exec_lo, exec_lo, s21
.LBB311_2985:                           ;   in Loop: Header=BB311_2079 Depth=1
	s_wait_alu 0xfffe
	s_or_b32 exec_lo, exec_lo, s20
	v_lshrrev_b32_e32 v2, 16, v13
	s_mov_b32 s20, exec_lo
	s_delay_alu instid0(VALU_DEP_1) | instskip(NEXT) | instid1(VALU_DEP_1)
	v_and_b32_e32 v34, 0xff, v2
	v_cmpx_ne_u16_e32 0, v34
	s_cbranch_execz .LBB311_2993
; %bb.2986:                             ;   in Loop: Header=BB311_2079 Depth=1
	v_mov_b32_e32 v31, 0x8000
	s_mov_b32 s21, exec_lo
	v_cmpx_ne_u16_e32 0x80, v34
	s_cbranch_execz .LBB311_2992
; %bb.2987:                             ;   in Loop: Header=BB311_2079 Depth=1
	v_bfe_u32 v148, v13, 16, 7
	v_mov_b32_e32 v31, 0x7c01
	s_mov_b32 s22, exec_lo
	s_delay_alu instid0(VALU_DEP_2)
	v_cmpx_ne_u32_e32 0x7f, v148
	s_cbranch_execz .LBB311_2991
; %bb.2988:                             ;   in Loop: Header=BB311_2079 Depth=1
	v_and_b32_e32 v31, 7, v2
	v_lshrrev_b32_e32 v34, 3, v148
	s_mov_b32 s23, exec_lo
	v_cmpx_gt_u32_e32 8, v148
; %bb.2989:                             ;   in Loop: Header=BB311_2079 Depth=1
	s_delay_alu instid0(VALU_DEP_3) | instskip(NEXT) | instid1(VALU_DEP_1)
	v_clz_i32_u32_e32 v31, v31
	v_min_u32_e32 v31, 32, v31
	s_delay_alu instid0(VALU_DEP_1) | instskip(NEXT) | instid1(VALU_DEP_1)
	v_subrev_nc_u32_e32 v34, 28, v31
	v_lshlrev_b64_e32 v[148:149], v34, v[2:3]
	v_sub_nc_u32_e32 v34, 29, v31
	s_delay_alu instid0(VALU_DEP_2)
	v_and_b32_e32 v31, 7, v148
; %bb.2990:                             ;   in Loop: Header=BB311_2079 Depth=1
	s_wait_alu 0xfffe
	s_or_b32 exec_lo, exec_lo, s23
	v_lshlrev_b32_e32 v2, 8, v2
	v_lshl_add_u32 v34, v34, 10, 0x2000
	v_lshlrev_b32_e32 v31, 7, v31
	s_delay_alu instid0(VALU_DEP_3) | instskip(NEXT) | instid1(VALU_DEP_3)
	v_and_b32_e32 v2, 0x8000, v2
	v_and_b32_e32 v34, 0xfc00, v34
	s_delay_alu instid0(VALU_DEP_1)
	v_or3_b32 v31, v2, v34, v31
.LBB311_2991:                           ;   in Loop: Header=BB311_2079 Depth=1
	s_wait_alu 0xfffe
	s_or_b32 exec_lo, exec_lo, s22
.LBB311_2992:                           ;   in Loop: Header=BB311_2079 Depth=1
	s_wait_alu 0xfffe
	s_or_b32 exec_lo, exec_lo, s21
.LBB311_2993:                           ;   in Loop: Header=BB311_2079 Depth=1
	s_wait_alu 0xfffe
	s_or_b32 exec_lo, exec_lo, s20
	v_cmp_lt_u64_e64 s8, s[16:17], v[12:13]
	v_mov_b32_e32 v12, 0
	s_and_saveexec_b32 s20, s8
	s_cbranch_execz .LBB311_3001
; %bb.2994:                             ;   in Loop: Header=BB311_2079 Depth=1
	v_lshrrev_b32_e32 v2, 24, v13
	v_bfrev_b32_e32 v12, 1
	s_mov_b32 s21, exec_lo
	s_delay_alu instid0(VALU_DEP_2)
	v_cmpx_ne_u32_e32 0x80, v2
	s_cbranch_execz .LBB311_3000
; %bb.2995:                             ;   in Loop: Header=BB311_2079 Depth=1
	v_and_b32_e32 v34, 0x7f, v2
	v_mov_b32_e32 v12, 0x7c010000
	s_mov_b32 s22, exec_lo
	s_delay_alu instid0(VALU_DEP_2)
	v_cmpx_ne_u32_e32 0x7f, v34
	s_cbranch_execz .LBB311_2999
; %bb.2996:                             ;   in Loop: Header=BB311_2079 Depth=1
	v_and_b32_e32 v12, 7, v2
	v_lshrrev_b32_e32 v13, 3, v34
	s_mov_b32 s23, exec_lo
	v_cmpx_gt_u32_e32 8, v34
; %bb.2997:                             ;   in Loop: Header=BB311_2079 Depth=1
	s_delay_alu instid0(VALU_DEP_3) | instskip(NEXT) | instid1(VALU_DEP_1)
	v_clz_i32_u32_e32 v12, v12
	v_min_u32_e32 v34, 32, v12
	s_delay_alu instid0(VALU_DEP_1) | instskip(NEXT) | instid1(VALU_DEP_1)
	v_subrev_nc_u32_e32 v12, 28, v34
	v_lshlrev_b64_e32 v[12:13], v12, v[2:3]
	v_sub_nc_u32_e32 v13, 29, v34
	s_delay_alu instid0(VALU_DEP_2)
	v_and_b32_e32 v12, 7, v12
; %bb.2998:                             ;   in Loop: Header=BB311_2079 Depth=1
	s_wait_alu 0xfffe
	s_or_b32 exec_lo, exec_lo, s23
	v_lshlrev_b32_e32 v2, 8, v2
	v_lshl_add_u32 v13, v13, 10, 0x2000
	v_lshlrev_b32_e32 v12, 23, v12
	s_delay_alu instid0(VALU_DEP_2) | instskip(NEXT) | instid1(VALU_DEP_1)
	v_and_or_b32 v2, 0x8000, v2, v13
	v_lshl_or_b32 v12, v2, 16, v12
.LBB311_2999:                           ;   in Loop: Header=BB311_2079 Depth=1
	s_wait_alu 0xfffe
	s_or_b32 exec_lo, exec_lo, s22
.LBB311_3000:                           ;   in Loop: Header=BB311_2079 Depth=1
	s_wait_alu 0xfffe
	s_or_b32 exec_lo, exec_lo, s21
.LBB311_3001:                           ;   in Loop: Header=BB311_2079 Depth=1
	s_wait_alu 0xfffe
	s_or_b32 exec_lo, exec_lo, s20
	v_or_b32_e32 v2, v23, v30
	s_wait_loadcnt_dscnt 0x0
	v_fma_mixlo_f16 v13, v4, v23, 0 op_sel:[0,1,0] op_sel_hi:[0,1,0]
	v_or_b32_e32 v22, v5, v22
	v_fma_mixlo_f16 v5, v4, v5, 0 op_sel:[0,1,0] op_sel_hi:[0,1,0]
	v_or_b32_e32 v23, v33, v32
	v_fma_mixlo_f16 v30, v4, v2, 0 op_sel_hi:[0,1,0]
	v_or_b32_e32 v31, v12, v31
	v_lshlrev_b32_e32 v2, 16, v13
	v_lshlrev_b32_e32 v13, 16, v5
	v_fma_mixlo_f16 v22, v4, v22, 0 op_sel_hi:[0,1,0]
	v_and_b32_e32 v5, 0xffff, v30
	v_fma_mixlo_f16 v30, v4, v33, 0 op_sel:[0,1,0] op_sel_hi:[0,1,0]
	v_fma_mixlo_f16 v23, v4, v23, 0 op_sel_hi:[0,1,0]
	v_fma_mixlo_f16 v12, v4, v12, 0 op_sel:[0,1,0] op_sel_hi:[0,1,0]
	v_fma_mixlo_f16 v4, v4, v31, 0 op_sel_hi:[0,1,0]
	v_and_b32_e32 v34, 0xffff, v22
	v_lshlrev_b32_e32 v31, 16, v30
	v_and_b32_e32 v33, 0xffff, v23
	v_lshlrev_b32_e32 v30, 16, v12
	v_and_b32_e32 v32, 0xffff, v4
	v_or_b32_e32 v4, v2, v5
	v_or_b32_e32 v23, v13, v34
	;; [unrolled: 1-line block ×3, first 2 shown]
	s_delay_alu instid0(VALU_DEP_4)
	v_or_b32_e32 v12, v30, v32
	s_and_saveexec_b32 s8, s2
	s_cbranch_execz .LBB311_3003
; %bb.3002:                             ;   in Loop: Header=BB311_2079 Depth=1
	s_wait_alu 0xfffd
	v_cndmask_b32_e32 v4, 0, v34, vcc_lo
	v_cndmask_b32_e64 v12, 0, v13, s1
	v_cndmask_b32_e64 v5, 0, v5, s0
	;; [unrolled: 1-line block ×7, first 2 shown]
	v_or_b32_e32 v23, v4, v12
	v_or_b32_e32 v4, v5, v2
	;; [unrolled: 1-line block ×3, first 2 shown]
	s_delay_alu instid0(VALU_DEP_4)
	v_or_b32_e32 v12, v31, v30
.LBB311_3003:                           ;   in Loop: Header=BB311_2079 Depth=1
	s_wait_alu 0xfffe
	s_or_b32 exec_lo, exec_lo, s8
	;;#ASMSTART
	v_pk_mul_f16 v2, v98, v23;

	;;#ASMEND
	;;#ASMSTART
	v_pk_mul_f16 v4, v96, v4;

	;;#ASMEND
	;; [unrolled: 4-line block ×4, first 2 shown]
	;;#ASMSTART
	v_pk_add_f16 v2, v2, v4;

	;;#ASMEND
	;;#ASMSTART
	v_pk_add_f16 v2, v2, v5;

	;;#ASMEND
	;;#ASMSTART
	v_pk_add_f16 v2, v2, v12;

	;;#ASMEND
	v_dual_mov_b32 v5, 0 :: v_dual_and_b32 v4, 0xffff, v2
	v_lshrrev_b32_e32 v2, 16, v2
	;;#ASMSTART
	v_cvt_f32_f16 v148, v4;
	;;#ASMEND
	;;#ASMSTART
	v_cvt_f32_f16 v149, v2;
	;;#ASMEND
	flat_load_b64 v[12:13], v[10:11] offset:3584
	flat_load_b32 v4, v[26:27]
	v_mov_b32_e32 v22, 0
	s_mov_b32 s20, exec_lo
	s_wait_loadcnt_dscnt 0x101
	v_and_b32_e32 v2, 0xff, v12
	s_delay_alu instid0(VALU_DEP_1)
	v_cmpx_ne_u16_e32 0, v2
	s_cbranch_execz .LBB311_3011
; %bb.3004:                             ;   in Loop: Header=BB311_2079 Depth=1
	v_mov_b32_e32 v22, 0x8000
	s_mov_b32 s21, exec_lo
	v_cmpx_ne_u16_e32 0x80, v2
	s_cbranch_execz .LBB311_3010
; %bb.3005:                             ;   in Loop: Header=BB311_2079 Depth=1
	v_and_b32_e32 v23, 0x7f, v12
	v_mov_b32_e32 v22, 0x7c01
	s_mov_b32 s22, exec_lo
	s_delay_alu instid0(VALU_DEP_2)
	v_cmpx_ne_u32_e32 0x7f, v23
	s_cbranch_execz .LBB311_3009
; %bb.3006:                             ;   in Loop: Header=BB311_2079 Depth=1
	v_and_b32_e32 v2, 7, v12
	v_lshrrev_b32_e32 v22, 3, v23
	s_mov_b32 s23, exec_lo
	v_cmpx_gt_u32_e32 8, v23
; %bb.3007:                             ;   in Loop: Header=BB311_2079 Depth=1
	s_delay_alu instid0(VALU_DEP_3) | instskip(NEXT) | instid1(VALU_DEP_1)
	v_clz_i32_u32_e32 v2, v2
	v_min_u32_e32 v2, 32, v2
	s_delay_alu instid0(VALU_DEP_1) | instskip(NEXT) | instid1(VALU_DEP_1)
	v_subrev_nc_u32_e32 v22, 28, v2
	v_lshlrev_b64_e32 v[30:31], v22, v[12:13]
	v_sub_nc_u32_e32 v22, 29, v2
	s_delay_alu instid0(VALU_DEP_2)
	v_and_b32_e32 v2, 7, v30
; %bb.3008:                             ;   in Loop: Header=BB311_2079 Depth=1
	s_wait_alu 0xfffe
	s_or_b32 exec_lo, exec_lo, s23
	v_lshlrev_b32_e32 v23, 8, v12
	v_lshl_add_u32 v22, v22, 10, 0x2000
	v_lshlrev_b32_e32 v2, 7, v2
	s_delay_alu instid0(VALU_DEP_3) | instskip(NEXT) | instid1(VALU_DEP_3)
	v_and_b32_e32 v23, 0x8000, v23
	v_and_b32_e32 v22, 0xfc00, v22
	s_delay_alu instid0(VALU_DEP_1)
	v_or3_b32 v22, v23, v22, v2
.LBB311_3009:                           ;   in Loop: Header=BB311_2079 Depth=1
	s_wait_alu 0xfffe
	s_or_b32 exec_lo, exec_lo, s22
.LBB311_3010:                           ;   in Loop: Header=BB311_2079 Depth=1
	s_wait_alu 0xfffe
	s_or_b32 exec_lo, exec_lo, s21
.LBB311_3011:                           ;   in Loop: Header=BB311_2079 Depth=1
	s_wait_alu 0xfffe
	s_or_b32 exec_lo, exec_lo, s20
	v_lshrrev_b16 v2, 8, v12
	s_mov_b32 s20, exec_lo
	s_delay_alu instid0(VALU_DEP_1)
	v_cmpx_ne_u16_e32 0, v2
	s_cbranch_execz .LBB311_3019
; %bb.3012:                             ;   in Loop: Header=BB311_2079 Depth=1
	v_bfrev_b32_e32 v5, 1
	s_mov_b32 s21, exec_lo
	v_cmpx_ne_u16_e32 0x80, v2
	s_cbranch_execz .LBB311_3018
; %bb.3013:                             ;   in Loop: Header=BB311_2079 Depth=1
	v_and_b32_e32 v23, 0xffff, v2
	v_mov_b32_e32 v5, 0x7c010000
	s_mov_b32 s22, exec_lo
	s_delay_alu instid0(VALU_DEP_2) | instskip(NEXT) | instid1(VALU_DEP_1)
	v_and_b32_e32 v31, 0x7f, v23
	v_cmpx_ne_u32_e32 0x7f, v31
	s_cbranch_execz .LBB311_3017
; %bb.3014:                             ;   in Loop: Header=BB311_2079 Depth=1
	v_and_b32_e32 v5, 7, v23
	v_lshrrev_b32_e32 v30, 3, v31
	s_mov_b32 s23, exec_lo
	v_cmpx_gt_u32_e32 8, v31
; %bb.3015:                             ;   in Loop: Header=BB311_2079 Depth=1
	s_delay_alu instid0(VALU_DEP_3) | instskip(NEXT) | instid1(VALU_DEP_1)
	v_clz_i32_u32_e32 v5, v5
	v_min_u32_e32 v5, 32, v5
	s_delay_alu instid0(VALU_DEP_1) | instskip(NEXT) | instid1(VALU_DEP_1)
	v_subrev_nc_u32_e32 v30, 28, v5
	v_lshlrev_b64_e32 v[31:32], v30, v[2:3]
	v_sub_nc_u32_e32 v30, 29, v5
	s_delay_alu instid0(VALU_DEP_2)
	v_and_b32_e32 v5, 7, v31
; %bb.3016:                             ;   in Loop: Header=BB311_2079 Depth=1
	s_wait_alu 0xfffe
	s_or_b32 exec_lo, exec_lo, s23
	v_lshlrev_b32_e32 v2, 8, v23
	v_lshl_add_u32 v23, v30, 10, 0x2000
	v_lshlrev_b32_e32 v5, 23, v5
	s_delay_alu instid0(VALU_DEP_2) | instskip(NEXT) | instid1(VALU_DEP_1)
	v_and_or_b32 v2, 0x8000, v2, v23
	v_lshl_or_b32 v5, v2, 16, v5
.LBB311_3017:                           ;   in Loop: Header=BB311_2079 Depth=1
	s_wait_alu 0xfffe
	s_or_b32 exec_lo, exec_lo, s22
.LBB311_3018:                           ;   in Loop: Header=BB311_2079 Depth=1
	s_wait_alu 0xfffe
	s_or_b32 exec_lo, exec_lo, s21
.LBB311_3019:                           ;   in Loop: Header=BB311_2079 Depth=1
	s_wait_alu 0xfffe
	s_or_b32 exec_lo, exec_lo, s20
	v_lshrrev_b32_e32 v2, 16, v12
	v_mov_b32_e32 v23, 0
	s_mov_b32 s20, exec_lo
	s_delay_alu instid0(VALU_DEP_2) | instskip(NEXT) | instid1(VALU_DEP_1)
	v_dual_mov_b32 v30, 0 :: v_dual_and_b32 v31, 0xff, v2
	v_cmpx_ne_u16_e32 0, v31
	s_cbranch_execz .LBB311_3027
; %bb.3020:                             ;   in Loop: Header=BB311_2079 Depth=1
	v_mov_b32_e32 v30, 0x8000
	s_mov_b32 s21, exec_lo
	v_cmpx_ne_u16_e32 0x80, v31
	s_cbranch_execz .LBB311_3026
; %bb.3021:                             ;   in Loop: Header=BB311_2079 Depth=1
	v_bfe_u32 v32, v12, 16, 7
	v_mov_b32_e32 v30, 0x7c01
	s_mov_b32 s22, exec_lo
	s_delay_alu instid0(VALU_DEP_2)
	v_cmpx_ne_u32_e32 0x7f, v32
	s_cbranch_execz .LBB311_3025
; %bb.3022:                             ;   in Loop: Header=BB311_2079 Depth=1
	v_and_b32_e32 v30, 7, v2
	v_lshrrev_b32_e32 v31, 3, v32
	s_mov_b32 s23, exec_lo
	v_cmpx_gt_u32_e32 8, v32
; %bb.3023:                             ;   in Loop: Header=BB311_2079 Depth=1
	s_delay_alu instid0(VALU_DEP_3) | instskip(NEXT) | instid1(VALU_DEP_1)
	v_clz_i32_u32_e32 v30, v30
	v_min_u32_e32 v32, 32, v30
	s_delay_alu instid0(VALU_DEP_1) | instskip(NEXT) | instid1(VALU_DEP_1)
	v_subrev_nc_u32_e32 v30, 28, v32
	v_lshlrev_b64_e32 v[30:31], v30, v[2:3]
	v_sub_nc_u32_e32 v31, 29, v32
	s_delay_alu instid0(VALU_DEP_2)
	v_and_b32_e32 v30, 7, v30
; %bb.3024:                             ;   in Loop: Header=BB311_2079 Depth=1
	s_wait_alu 0xfffe
	s_or_b32 exec_lo, exec_lo, s23
	v_lshlrev_b32_e32 v2, 8, v2
	v_lshl_add_u32 v31, v31, 10, 0x2000
	v_lshlrev_b32_e32 v30, 7, v30
	s_delay_alu instid0(VALU_DEP_3) | instskip(NEXT) | instid1(VALU_DEP_3)
	v_and_b32_e32 v2, 0x8000, v2
	v_and_b32_e32 v31, 0xfc00, v31
	s_delay_alu instid0(VALU_DEP_1)
	v_or3_b32 v30, v2, v31, v30
.LBB311_3025:                           ;   in Loop: Header=BB311_2079 Depth=1
	s_wait_alu 0xfffe
	s_or_b32 exec_lo, exec_lo, s22
.LBB311_3026:                           ;   in Loop: Header=BB311_2079 Depth=1
	s_wait_alu 0xfffe
	s_or_b32 exec_lo, exec_lo, s21
.LBB311_3027:                           ;   in Loop: Header=BB311_2079 Depth=1
	s_wait_alu 0xfffe
	s_or_b32 exec_lo, exec_lo, s20
	s_delay_alu instid0(SALU_CYCLE_1)
	s_mov_b32 s20, exec_lo
	v_cmpx_lt_u32_e32 0xffffff, v12
	s_cbranch_execz .LBB311_3035
; %bb.3028:                             ;   in Loop: Header=BB311_2079 Depth=1
	v_lshrrev_b32_e32 v2, 24, v12
	v_bfrev_b32_e32 v23, 1
	s_mov_b32 s21, exec_lo
	s_delay_alu instid0(VALU_DEP_2)
	v_cmpx_ne_u32_e32 0x80, v2
	s_cbranch_execz .LBB311_3034
; %bb.3029:                             ;   in Loop: Header=BB311_2079 Depth=1
	v_and_b32_e32 v32, 0x7f, v2
	v_mov_b32_e32 v23, 0x7c010000
	s_mov_b32 s22, exec_lo
	s_delay_alu instid0(VALU_DEP_2)
	v_cmpx_ne_u32_e32 0x7f, v32
	s_cbranch_execz .LBB311_3033
; %bb.3030:                             ;   in Loop: Header=BB311_2079 Depth=1
	v_and_b32_e32 v23, 7, v2
	v_lshrrev_b32_e32 v31, 3, v32
	s_mov_b32 s23, exec_lo
	v_cmpx_gt_u32_e32 8, v32
; %bb.3031:                             ;   in Loop: Header=BB311_2079 Depth=1
	s_delay_alu instid0(VALU_DEP_3) | instskip(NEXT) | instid1(VALU_DEP_1)
	v_clz_i32_u32_e32 v23, v23
	v_min_u32_e32 v23, 32, v23
	s_delay_alu instid0(VALU_DEP_1) | instskip(NEXT) | instid1(VALU_DEP_1)
	v_subrev_nc_u32_e32 v31, 28, v23
	v_lshlrev_b64_e32 v[32:33], v31, v[2:3]
	v_sub_nc_u32_e32 v31, 29, v23
	s_delay_alu instid0(VALU_DEP_2)
	v_and_b32_e32 v23, 7, v32
; %bb.3032:                             ;   in Loop: Header=BB311_2079 Depth=1
	s_wait_alu 0xfffe
	s_or_b32 exec_lo, exec_lo, s23
	v_lshlrev_b32_e32 v2, 8, v2
	v_lshl_add_u32 v31, v31, 10, 0x2000
	v_lshlrev_b32_e32 v23, 23, v23
	s_delay_alu instid0(VALU_DEP_2) | instskip(NEXT) | instid1(VALU_DEP_1)
	v_and_or_b32 v2, 0x8000, v2, v31
	v_lshl_or_b32 v23, v2, 16, v23
.LBB311_3033:                           ;   in Loop: Header=BB311_2079 Depth=1
	s_wait_alu 0xfffe
	s_or_b32 exec_lo, exec_lo, s22
.LBB311_3034:                           ;   in Loop: Header=BB311_2079 Depth=1
	s_wait_alu 0xfffe
	s_or_b32 exec_lo, exec_lo, s21
.LBB311_3035:                           ;   in Loop: Header=BB311_2079 Depth=1
	s_wait_alu 0xfffe
	s_or_b32 exec_lo, exec_lo, s20
	v_dual_mov_b32 v2, v13 :: v_dual_and_b32 v33, 0xff, v13
	v_dual_mov_b32 v31, 0 :: v_dual_mov_b32 v32, 0
	s_mov_b32 s20, exec_lo
	s_delay_alu instid0(VALU_DEP_2)
	v_cmpx_ne_u16_e32 0, v33
	s_cbranch_execz .LBB311_3043
; %bb.3036:                             ;   in Loop: Header=BB311_2079 Depth=1
	v_mov_b32_e32 v32, 0x8000
	s_mov_b32 s21, exec_lo
	v_cmpx_ne_u16_e32 0x80, v33
	s_cbranch_execz .LBB311_3042
; %bb.3037:                             ;   in Loop: Header=BB311_2079 Depth=1
	v_and_b32_e32 v34, 0x7f, v13
	v_mov_b32_e32 v32, 0x7c01
	s_mov_b32 s22, exec_lo
	s_delay_alu instid0(VALU_DEP_2)
	v_cmpx_ne_u32_e32 0x7f, v34
	s_cbranch_execz .LBB311_3041
; %bb.3038:                             ;   in Loop: Header=BB311_2079 Depth=1
	v_and_b32_e32 v32, 7, v13
	v_lshrrev_b32_e32 v33, 3, v34
	s_mov_b32 s23, exec_lo
	v_cmpx_gt_u32_e32 8, v34
; %bb.3039:                             ;   in Loop: Header=BB311_2079 Depth=1
	s_delay_alu instid0(VALU_DEP_3) | instskip(NEXT) | instid1(VALU_DEP_1)
	v_clz_i32_u32_e32 v32, v32
	v_min_u32_e32 v34, 32, v32
	s_delay_alu instid0(VALU_DEP_1) | instskip(NEXT) | instid1(VALU_DEP_1)
	v_subrev_nc_u32_e32 v32, 28, v34
	v_lshlrev_b64_e32 v[32:33], v32, v[2:3]
	v_sub_nc_u32_e32 v33, 29, v34
	s_delay_alu instid0(VALU_DEP_2)
	v_and_b32_e32 v32, 7, v32
; %bb.3040:                             ;   in Loop: Header=BB311_2079 Depth=1
	s_wait_alu 0xfffe
	s_or_b32 exec_lo, exec_lo, s23
	v_lshlrev_b32_e32 v34, 8, v13
	v_lshl_add_u32 v33, v33, 10, 0x2000
	v_lshlrev_b32_e32 v32, 7, v32
	s_delay_alu instid0(VALU_DEP_3) | instskip(NEXT) | instid1(VALU_DEP_3)
	v_and_b32_e32 v34, 0x8000, v34
	v_and_b32_e32 v33, 0xfc00, v33
	s_delay_alu instid0(VALU_DEP_1)
	v_or3_b32 v32, v34, v33, v32
.LBB311_3041:                           ;   in Loop: Header=BB311_2079 Depth=1
	s_wait_alu 0xfffe
	s_or_b32 exec_lo, exec_lo, s22
.LBB311_3042:                           ;   in Loop: Header=BB311_2079 Depth=1
	s_wait_alu 0xfffe
	s_or_b32 exec_lo, exec_lo, s21
.LBB311_3043:                           ;   in Loop: Header=BB311_2079 Depth=1
	s_wait_alu 0xfffe
	s_or_b32 exec_lo, exec_lo, s20
	v_lshrrev_b16 v2, 8, v2
	v_mov_b32_e32 v33, 0
	s_mov_b32 s20, exec_lo
	s_delay_alu instid0(VALU_DEP_2)
	v_cmpx_ne_u16_e32 0, v2
	s_cbranch_execz .LBB311_3051
; %bb.3044:                             ;   in Loop: Header=BB311_2079 Depth=1
	v_bfrev_b32_e32 v33, 1
	s_mov_b32 s21, exec_lo
	v_cmpx_ne_u16_e32 0x80, v2
	s_cbranch_execz .LBB311_3050
; %bb.3045:                             ;   in Loop: Header=BB311_2079 Depth=1
	v_and_b32_e32 v34, 0xffff, v2
	v_mov_b32_e32 v33, 0x7c010000
	s_mov_b32 s22, exec_lo
	s_delay_alu instid0(VALU_DEP_2) | instskip(NEXT) | instid1(VALU_DEP_1)
	v_and_b32_e32 v151, 0x7f, v34
	v_cmpx_ne_u32_e32 0x7f, v151
	s_cbranch_execz .LBB311_3049
; %bb.3046:                             ;   in Loop: Header=BB311_2079 Depth=1
	v_and_b32_e32 v33, 7, v34
	v_lshrrev_b32_e32 v150, 3, v151
	s_mov_b32 s23, exec_lo
	v_cmpx_gt_u32_e32 8, v151
; %bb.3047:                             ;   in Loop: Header=BB311_2079 Depth=1
	s_delay_alu instid0(VALU_DEP_3) | instskip(NEXT) | instid1(VALU_DEP_1)
	v_clz_i32_u32_e32 v33, v33
	v_min_u32_e32 v33, 32, v33
	s_delay_alu instid0(VALU_DEP_1) | instskip(NEXT) | instid1(VALU_DEP_1)
	v_subrev_nc_u32_e32 v150, 28, v33
	v_lshlrev_b64_e32 v[160:161], v150, v[2:3]
	v_sub_nc_u32_e32 v150, 29, v33
	s_delay_alu instid0(VALU_DEP_2)
	v_and_b32_e32 v33, 7, v160
; %bb.3048:                             ;   in Loop: Header=BB311_2079 Depth=1
	s_wait_alu 0xfffe
	s_or_b32 exec_lo, exec_lo, s23
	v_lshlrev_b32_e32 v2, 8, v34
	v_lshl_add_u32 v34, v150, 10, 0x2000
	v_lshlrev_b32_e32 v33, 23, v33
	s_delay_alu instid0(VALU_DEP_2) | instskip(NEXT) | instid1(VALU_DEP_1)
	v_and_or_b32 v2, 0x8000, v2, v34
	v_lshl_or_b32 v33, v2, 16, v33
.LBB311_3049:                           ;   in Loop: Header=BB311_2079 Depth=1
	s_wait_alu 0xfffe
	s_or_b32 exec_lo, exec_lo, s22
.LBB311_3050:                           ;   in Loop: Header=BB311_2079 Depth=1
	s_wait_alu 0xfffe
	s_or_b32 exec_lo, exec_lo, s21
.LBB311_3051:                           ;   in Loop: Header=BB311_2079 Depth=1
	s_wait_alu 0xfffe
	s_or_b32 exec_lo, exec_lo, s20
	v_lshrrev_b32_e32 v2, 16, v13
	s_mov_b32 s20, exec_lo
	s_delay_alu instid0(VALU_DEP_1) | instskip(NEXT) | instid1(VALU_DEP_1)
	v_and_b32_e32 v34, 0xff, v2
	v_cmpx_ne_u16_e32 0, v34
	s_cbranch_execz .LBB311_3059
; %bb.3052:                             ;   in Loop: Header=BB311_2079 Depth=1
	v_mov_b32_e32 v31, 0x8000
	s_mov_b32 s21, exec_lo
	v_cmpx_ne_u16_e32 0x80, v34
	s_cbranch_execz .LBB311_3058
; %bb.3053:                             ;   in Loop: Header=BB311_2079 Depth=1
	v_bfe_u32 v150, v13, 16, 7
	v_mov_b32_e32 v31, 0x7c01
	s_mov_b32 s22, exec_lo
	s_delay_alu instid0(VALU_DEP_2)
	v_cmpx_ne_u32_e32 0x7f, v150
	s_cbranch_execz .LBB311_3057
; %bb.3054:                             ;   in Loop: Header=BB311_2079 Depth=1
	v_and_b32_e32 v31, 7, v2
	v_lshrrev_b32_e32 v34, 3, v150
	s_mov_b32 s23, exec_lo
	v_cmpx_gt_u32_e32 8, v150
; %bb.3055:                             ;   in Loop: Header=BB311_2079 Depth=1
	s_delay_alu instid0(VALU_DEP_3) | instskip(NEXT) | instid1(VALU_DEP_1)
	v_clz_i32_u32_e32 v31, v31
	v_min_u32_e32 v31, 32, v31
	s_delay_alu instid0(VALU_DEP_1) | instskip(NEXT) | instid1(VALU_DEP_1)
	v_subrev_nc_u32_e32 v34, 28, v31
	v_lshlrev_b64_e32 v[150:151], v34, v[2:3]
	v_sub_nc_u32_e32 v34, 29, v31
	s_delay_alu instid0(VALU_DEP_2)
	v_and_b32_e32 v31, 7, v150
; %bb.3056:                             ;   in Loop: Header=BB311_2079 Depth=1
	s_wait_alu 0xfffe
	s_or_b32 exec_lo, exec_lo, s23
	v_lshlrev_b32_e32 v2, 8, v2
	v_lshl_add_u32 v34, v34, 10, 0x2000
	v_lshlrev_b32_e32 v31, 7, v31
	s_delay_alu instid0(VALU_DEP_3) | instskip(NEXT) | instid1(VALU_DEP_3)
	v_and_b32_e32 v2, 0x8000, v2
	v_and_b32_e32 v34, 0xfc00, v34
	s_delay_alu instid0(VALU_DEP_1)
	v_or3_b32 v31, v2, v34, v31
.LBB311_3057:                           ;   in Loop: Header=BB311_2079 Depth=1
	s_wait_alu 0xfffe
	s_or_b32 exec_lo, exec_lo, s22
.LBB311_3058:                           ;   in Loop: Header=BB311_2079 Depth=1
	s_wait_alu 0xfffe
	s_or_b32 exec_lo, exec_lo, s21
.LBB311_3059:                           ;   in Loop: Header=BB311_2079 Depth=1
	s_wait_alu 0xfffe
	s_or_b32 exec_lo, exec_lo, s20
	v_cmp_lt_u64_e64 s8, s[16:17], v[12:13]
	v_mov_b32_e32 v12, 0
	s_and_saveexec_b32 s20, s8
	s_cbranch_execz .LBB311_3067
; %bb.3060:                             ;   in Loop: Header=BB311_2079 Depth=1
	v_lshrrev_b32_e32 v2, 24, v13
	v_bfrev_b32_e32 v12, 1
	s_mov_b32 s21, exec_lo
	s_delay_alu instid0(VALU_DEP_2)
	v_cmpx_ne_u32_e32 0x80, v2
	s_cbranch_execz .LBB311_3066
; %bb.3061:                             ;   in Loop: Header=BB311_2079 Depth=1
	v_and_b32_e32 v34, 0x7f, v2
	v_mov_b32_e32 v12, 0x7c010000
	s_mov_b32 s22, exec_lo
	s_delay_alu instid0(VALU_DEP_2)
	v_cmpx_ne_u32_e32 0x7f, v34
	s_cbranch_execz .LBB311_3065
; %bb.3062:                             ;   in Loop: Header=BB311_2079 Depth=1
	v_and_b32_e32 v12, 7, v2
	v_lshrrev_b32_e32 v13, 3, v34
	s_mov_b32 s23, exec_lo
	v_cmpx_gt_u32_e32 8, v34
; %bb.3063:                             ;   in Loop: Header=BB311_2079 Depth=1
	s_delay_alu instid0(VALU_DEP_3) | instskip(NEXT) | instid1(VALU_DEP_1)
	v_clz_i32_u32_e32 v12, v12
	v_min_u32_e32 v34, 32, v12
	s_delay_alu instid0(VALU_DEP_1) | instskip(NEXT) | instid1(VALU_DEP_1)
	v_subrev_nc_u32_e32 v12, 28, v34
	v_lshlrev_b64_e32 v[12:13], v12, v[2:3]
	v_sub_nc_u32_e32 v13, 29, v34
	s_delay_alu instid0(VALU_DEP_2)
	v_and_b32_e32 v12, 7, v12
; %bb.3064:                             ;   in Loop: Header=BB311_2079 Depth=1
	s_wait_alu 0xfffe
	s_or_b32 exec_lo, exec_lo, s23
	v_lshlrev_b32_e32 v2, 8, v2
	v_lshl_add_u32 v13, v13, 10, 0x2000
	v_lshlrev_b32_e32 v12, 23, v12
	s_delay_alu instid0(VALU_DEP_2) | instskip(NEXT) | instid1(VALU_DEP_1)
	v_and_or_b32 v2, 0x8000, v2, v13
	v_lshl_or_b32 v12, v2, 16, v12
.LBB311_3065:                           ;   in Loop: Header=BB311_2079 Depth=1
	s_wait_alu 0xfffe
	s_or_b32 exec_lo, exec_lo, s22
.LBB311_3066:                           ;   in Loop: Header=BB311_2079 Depth=1
	s_wait_alu 0xfffe
	s_or_b32 exec_lo, exec_lo, s21
.LBB311_3067:                           ;   in Loop: Header=BB311_2079 Depth=1
	s_wait_alu 0xfffe
	s_or_b32 exec_lo, exec_lo, s20
	v_or_b32_e32 v2, v23, v30
	s_wait_loadcnt_dscnt 0x0
	v_fma_mixlo_f16 v13, v4, v23, 0 op_sel:[0,1,0] op_sel_hi:[0,1,0]
	v_or_b32_e32 v22, v5, v22
	v_fma_mixlo_f16 v5, v4, v5, 0 op_sel:[0,1,0] op_sel_hi:[0,1,0]
	v_or_b32_e32 v23, v33, v32
	v_fma_mixlo_f16 v30, v4, v2, 0 op_sel_hi:[0,1,0]
	v_or_b32_e32 v31, v12, v31
	v_lshlrev_b32_e32 v2, 16, v13
	v_lshlrev_b32_e32 v13, 16, v5
	v_fma_mixlo_f16 v22, v4, v22, 0 op_sel_hi:[0,1,0]
	v_and_b32_e32 v5, 0xffff, v30
	v_fma_mixlo_f16 v30, v4, v33, 0 op_sel:[0,1,0] op_sel_hi:[0,1,0]
	v_fma_mixlo_f16 v23, v4, v23, 0 op_sel_hi:[0,1,0]
	v_fma_mixlo_f16 v12, v4, v12, 0 op_sel:[0,1,0] op_sel_hi:[0,1,0]
	v_fma_mixlo_f16 v4, v4, v31, 0 op_sel_hi:[0,1,0]
	v_and_b32_e32 v34, 0xffff, v22
	v_lshlrev_b32_e32 v31, 16, v30
	v_and_b32_e32 v33, 0xffff, v23
	v_lshlrev_b32_e32 v30, 16, v12
	v_and_b32_e32 v32, 0xffff, v4
	v_or_b32_e32 v4, v2, v5
	v_or_b32_e32 v23, v13, v34
	v_or_b32_e32 v22, v31, v33
	s_delay_alu instid0(VALU_DEP_4)
	v_or_b32_e32 v12, v30, v32
	s_and_saveexec_b32 s8, s2
	s_cbranch_execz .LBB311_3069
; %bb.3068:                             ;   in Loop: Header=BB311_2079 Depth=1
	s_wait_alu 0xfffd
	v_cndmask_b32_e32 v4, 0, v34, vcc_lo
	v_cndmask_b32_e64 v12, 0, v13, s1
	v_cndmask_b32_e64 v5, 0, v5, s0
	;; [unrolled: 1-line block ×7, first 2 shown]
	v_or_b32_e32 v23, v4, v12
	v_or_b32_e32 v4, v5, v2
	;; [unrolled: 1-line block ×3, first 2 shown]
	s_delay_alu instid0(VALU_DEP_4)
	v_or_b32_e32 v12, v31, v30
.LBB311_3069:                           ;   in Loop: Header=BB311_2079 Depth=1
	s_wait_alu 0xfffe
	s_or_b32 exec_lo, exec_lo, s8
	;;#ASMSTART
	v_pk_mul_f16 v2, v98, v23;

	;;#ASMEND
	;;#ASMSTART
	v_pk_mul_f16 v4, v96, v4;

	;;#ASMEND
	;; [unrolled: 4-line block ×4, first 2 shown]
	;;#ASMSTART
	v_pk_add_f16 v2, v2, v4;

	;;#ASMEND
	;;#ASMSTART
	v_pk_add_f16 v2, v2, v5;

	;;#ASMEND
	;; [unrolled: 4-line block ×3, first 2 shown]
	v_dual_mov_b32 v5, 0 :: v_dual_and_b32 v4, 0xffff, v2
	v_lshrrev_b32_e32 v2, 16, v2
	;;#ASMSTART
	v_cvt_f32_f16 v150, v4;
	;;#ASMEND
	;;#ASMSTART
	v_cvt_f32_f16 v151, v2;
	;;#ASMEND
	flat_load_b64 v[12:13], v[10:11] offset:3840
	flat_load_b32 v4, v[26:27]
	v_mov_b32_e32 v22, 0
	s_mov_b32 s20, exec_lo
	s_wait_loadcnt_dscnt 0x101
	v_and_b32_e32 v2, 0xff, v12
	s_delay_alu instid0(VALU_DEP_1)
	v_cmpx_ne_u16_e32 0, v2
	s_cbranch_execz .LBB311_3077
; %bb.3070:                             ;   in Loop: Header=BB311_2079 Depth=1
	v_mov_b32_e32 v22, 0x8000
	s_mov_b32 s21, exec_lo
	v_cmpx_ne_u16_e32 0x80, v2
	s_cbranch_execz .LBB311_3076
; %bb.3071:                             ;   in Loop: Header=BB311_2079 Depth=1
	v_and_b32_e32 v23, 0x7f, v12
	v_mov_b32_e32 v22, 0x7c01
	s_mov_b32 s22, exec_lo
	s_delay_alu instid0(VALU_DEP_2)
	v_cmpx_ne_u32_e32 0x7f, v23
	s_cbranch_execz .LBB311_3075
; %bb.3072:                             ;   in Loop: Header=BB311_2079 Depth=1
	v_and_b32_e32 v2, 7, v12
	v_lshrrev_b32_e32 v22, 3, v23
	s_mov_b32 s23, exec_lo
	v_cmpx_gt_u32_e32 8, v23
; %bb.3073:                             ;   in Loop: Header=BB311_2079 Depth=1
	s_delay_alu instid0(VALU_DEP_3) | instskip(NEXT) | instid1(VALU_DEP_1)
	v_clz_i32_u32_e32 v2, v2
	v_min_u32_e32 v2, 32, v2
	s_delay_alu instid0(VALU_DEP_1) | instskip(NEXT) | instid1(VALU_DEP_1)
	v_subrev_nc_u32_e32 v22, 28, v2
	v_lshlrev_b64_e32 v[30:31], v22, v[12:13]
	v_sub_nc_u32_e32 v22, 29, v2
	s_delay_alu instid0(VALU_DEP_2)
	v_and_b32_e32 v2, 7, v30
; %bb.3074:                             ;   in Loop: Header=BB311_2079 Depth=1
	s_wait_alu 0xfffe
	s_or_b32 exec_lo, exec_lo, s23
	v_lshlrev_b32_e32 v23, 8, v12
	v_lshl_add_u32 v22, v22, 10, 0x2000
	v_lshlrev_b32_e32 v2, 7, v2
	s_delay_alu instid0(VALU_DEP_3) | instskip(NEXT) | instid1(VALU_DEP_3)
	v_and_b32_e32 v23, 0x8000, v23
	v_and_b32_e32 v22, 0xfc00, v22
	s_delay_alu instid0(VALU_DEP_1)
	v_or3_b32 v22, v23, v22, v2
.LBB311_3075:                           ;   in Loop: Header=BB311_2079 Depth=1
	s_wait_alu 0xfffe
	s_or_b32 exec_lo, exec_lo, s22
.LBB311_3076:                           ;   in Loop: Header=BB311_2079 Depth=1
	s_wait_alu 0xfffe
	s_or_b32 exec_lo, exec_lo, s21
.LBB311_3077:                           ;   in Loop: Header=BB311_2079 Depth=1
	s_wait_alu 0xfffe
	s_or_b32 exec_lo, exec_lo, s20
	v_lshrrev_b16 v2, 8, v12
	s_mov_b32 s20, exec_lo
	s_delay_alu instid0(VALU_DEP_1)
	v_cmpx_ne_u16_e32 0, v2
	s_cbranch_execz .LBB311_3085
; %bb.3078:                             ;   in Loop: Header=BB311_2079 Depth=1
	v_bfrev_b32_e32 v5, 1
	s_mov_b32 s21, exec_lo
	v_cmpx_ne_u16_e32 0x80, v2
	s_cbranch_execz .LBB311_3084
; %bb.3079:                             ;   in Loop: Header=BB311_2079 Depth=1
	v_and_b32_e32 v23, 0xffff, v2
	v_mov_b32_e32 v5, 0x7c010000
	s_mov_b32 s22, exec_lo
	s_delay_alu instid0(VALU_DEP_2) | instskip(NEXT) | instid1(VALU_DEP_1)
	v_and_b32_e32 v31, 0x7f, v23
	v_cmpx_ne_u32_e32 0x7f, v31
	s_cbranch_execz .LBB311_3083
; %bb.3080:                             ;   in Loop: Header=BB311_2079 Depth=1
	v_and_b32_e32 v5, 7, v23
	v_lshrrev_b32_e32 v30, 3, v31
	s_mov_b32 s23, exec_lo
	v_cmpx_gt_u32_e32 8, v31
; %bb.3081:                             ;   in Loop: Header=BB311_2079 Depth=1
	s_delay_alu instid0(VALU_DEP_3) | instskip(NEXT) | instid1(VALU_DEP_1)
	v_clz_i32_u32_e32 v5, v5
	v_min_u32_e32 v5, 32, v5
	s_delay_alu instid0(VALU_DEP_1) | instskip(NEXT) | instid1(VALU_DEP_1)
	v_subrev_nc_u32_e32 v30, 28, v5
	v_lshlrev_b64_e32 v[31:32], v30, v[2:3]
	v_sub_nc_u32_e32 v30, 29, v5
	s_delay_alu instid0(VALU_DEP_2)
	v_and_b32_e32 v5, 7, v31
; %bb.3082:                             ;   in Loop: Header=BB311_2079 Depth=1
	s_wait_alu 0xfffe
	s_or_b32 exec_lo, exec_lo, s23
	v_lshlrev_b32_e32 v2, 8, v23
	v_lshl_add_u32 v23, v30, 10, 0x2000
	v_lshlrev_b32_e32 v5, 23, v5
	s_delay_alu instid0(VALU_DEP_2) | instskip(NEXT) | instid1(VALU_DEP_1)
	v_and_or_b32 v2, 0x8000, v2, v23
	v_lshl_or_b32 v5, v2, 16, v5
.LBB311_3083:                           ;   in Loop: Header=BB311_2079 Depth=1
	s_wait_alu 0xfffe
	s_or_b32 exec_lo, exec_lo, s22
.LBB311_3084:                           ;   in Loop: Header=BB311_2079 Depth=1
	s_wait_alu 0xfffe
	s_or_b32 exec_lo, exec_lo, s21
.LBB311_3085:                           ;   in Loop: Header=BB311_2079 Depth=1
	s_wait_alu 0xfffe
	s_or_b32 exec_lo, exec_lo, s20
	v_lshrrev_b32_e32 v2, 16, v12
	v_mov_b32_e32 v23, 0
	s_mov_b32 s20, exec_lo
	s_delay_alu instid0(VALU_DEP_2) | instskip(NEXT) | instid1(VALU_DEP_1)
	v_dual_mov_b32 v30, 0 :: v_dual_and_b32 v31, 0xff, v2
	v_cmpx_ne_u16_e32 0, v31
	s_cbranch_execz .LBB311_3093
; %bb.3086:                             ;   in Loop: Header=BB311_2079 Depth=1
	v_mov_b32_e32 v30, 0x8000
	s_mov_b32 s21, exec_lo
	v_cmpx_ne_u16_e32 0x80, v31
	s_cbranch_execz .LBB311_3092
; %bb.3087:                             ;   in Loop: Header=BB311_2079 Depth=1
	v_bfe_u32 v32, v12, 16, 7
	v_mov_b32_e32 v30, 0x7c01
	s_mov_b32 s22, exec_lo
	s_delay_alu instid0(VALU_DEP_2)
	v_cmpx_ne_u32_e32 0x7f, v32
	s_cbranch_execz .LBB311_3091
; %bb.3088:                             ;   in Loop: Header=BB311_2079 Depth=1
	v_and_b32_e32 v30, 7, v2
	v_lshrrev_b32_e32 v31, 3, v32
	s_mov_b32 s23, exec_lo
	v_cmpx_gt_u32_e32 8, v32
; %bb.3089:                             ;   in Loop: Header=BB311_2079 Depth=1
	s_delay_alu instid0(VALU_DEP_3) | instskip(NEXT) | instid1(VALU_DEP_1)
	v_clz_i32_u32_e32 v30, v30
	v_min_u32_e32 v32, 32, v30
	s_delay_alu instid0(VALU_DEP_1) | instskip(NEXT) | instid1(VALU_DEP_1)
	v_subrev_nc_u32_e32 v30, 28, v32
	v_lshlrev_b64_e32 v[30:31], v30, v[2:3]
	v_sub_nc_u32_e32 v31, 29, v32
	s_delay_alu instid0(VALU_DEP_2)
	v_and_b32_e32 v30, 7, v30
; %bb.3090:                             ;   in Loop: Header=BB311_2079 Depth=1
	s_wait_alu 0xfffe
	s_or_b32 exec_lo, exec_lo, s23
	v_lshlrev_b32_e32 v2, 8, v2
	v_lshl_add_u32 v31, v31, 10, 0x2000
	v_lshlrev_b32_e32 v30, 7, v30
	s_delay_alu instid0(VALU_DEP_3) | instskip(NEXT) | instid1(VALU_DEP_3)
	v_and_b32_e32 v2, 0x8000, v2
	v_and_b32_e32 v31, 0xfc00, v31
	s_delay_alu instid0(VALU_DEP_1)
	v_or3_b32 v30, v2, v31, v30
.LBB311_3091:                           ;   in Loop: Header=BB311_2079 Depth=1
	s_wait_alu 0xfffe
	s_or_b32 exec_lo, exec_lo, s22
.LBB311_3092:                           ;   in Loop: Header=BB311_2079 Depth=1
	s_wait_alu 0xfffe
	s_or_b32 exec_lo, exec_lo, s21
.LBB311_3093:                           ;   in Loop: Header=BB311_2079 Depth=1
	s_wait_alu 0xfffe
	s_or_b32 exec_lo, exec_lo, s20
	s_delay_alu instid0(SALU_CYCLE_1)
	s_mov_b32 s20, exec_lo
	v_cmpx_lt_u32_e32 0xffffff, v12
	s_cbranch_execz .LBB311_3101
; %bb.3094:                             ;   in Loop: Header=BB311_2079 Depth=1
	v_lshrrev_b32_e32 v2, 24, v12
	v_bfrev_b32_e32 v23, 1
	s_mov_b32 s21, exec_lo
	s_delay_alu instid0(VALU_DEP_2)
	v_cmpx_ne_u32_e32 0x80, v2
	s_cbranch_execz .LBB311_3100
; %bb.3095:                             ;   in Loop: Header=BB311_2079 Depth=1
	v_and_b32_e32 v32, 0x7f, v2
	v_mov_b32_e32 v23, 0x7c010000
	s_mov_b32 s22, exec_lo
	s_delay_alu instid0(VALU_DEP_2)
	v_cmpx_ne_u32_e32 0x7f, v32
	s_cbranch_execz .LBB311_3099
; %bb.3096:                             ;   in Loop: Header=BB311_2079 Depth=1
	v_and_b32_e32 v23, 7, v2
	v_lshrrev_b32_e32 v31, 3, v32
	s_mov_b32 s23, exec_lo
	v_cmpx_gt_u32_e32 8, v32
; %bb.3097:                             ;   in Loop: Header=BB311_2079 Depth=1
	s_delay_alu instid0(VALU_DEP_3) | instskip(NEXT) | instid1(VALU_DEP_1)
	v_clz_i32_u32_e32 v23, v23
	v_min_u32_e32 v23, 32, v23
	s_delay_alu instid0(VALU_DEP_1) | instskip(NEXT) | instid1(VALU_DEP_1)
	v_subrev_nc_u32_e32 v31, 28, v23
	v_lshlrev_b64_e32 v[32:33], v31, v[2:3]
	v_sub_nc_u32_e32 v31, 29, v23
	s_delay_alu instid0(VALU_DEP_2)
	v_and_b32_e32 v23, 7, v32
; %bb.3098:                             ;   in Loop: Header=BB311_2079 Depth=1
	s_wait_alu 0xfffe
	s_or_b32 exec_lo, exec_lo, s23
	v_lshlrev_b32_e32 v2, 8, v2
	v_lshl_add_u32 v31, v31, 10, 0x2000
	v_lshlrev_b32_e32 v23, 23, v23
	s_delay_alu instid0(VALU_DEP_2) | instskip(NEXT) | instid1(VALU_DEP_1)
	v_and_or_b32 v2, 0x8000, v2, v31
	v_lshl_or_b32 v23, v2, 16, v23
.LBB311_3099:                           ;   in Loop: Header=BB311_2079 Depth=1
	s_wait_alu 0xfffe
	s_or_b32 exec_lo, exec_lo, s22
.LBB311_3100:                           ;   in Loop: Header=BB311_2079 Depth=1
	s_wait_alu 0xfffe
	s_or_b32 exec_lo, exec_lo, s21
.LBB311_3101:                           ;   in Loop: Header=BB311_2079 Depth=1
	s_wait_alu 0xfffe
	s_or_b32 exec_lo, exec_lo, s20
	v_dual_mov_b32 v2, v13 :: v_dual_and_b32 v33, 0xff, v13
	v_dual_mov_b32 v31, 0 :: v_dual_mov_b32 v32, 0
	s_mov_b32 s20, exec_lo
	s_delay_alu instid0(VALU_DEP_2)
	v_cmpx_ne_u16_e32 0, v33
	s_cbranch_execz .LBB311_3109
; %bb.3102:                             ;   in Loop: Header=BB311_2079 Depth=1
	v_mov_b32_e32 v32, 0x8000
	s_mov_b32 s21, exec_lo
	v_cmpx_ne_u16_e32 0x80, v33
	s_cbranch_execz .LBB311_3108
; %bb.3103:                             ;   in Loop: Header=BB311_2079 Depth=1
	v_and_b32_e32 v34, 0x7f, v13
	v_mov_b32_e32 v32, 0x7c01
	s_mov_b32 s22, exec_lo
	s_delay_alu instid0(VALU_DEP_2)
	v_cmpx_ne_u32_e32 0x7f, v34
	s_cbranch_execz .LBB311_3107
; %bb.3104:                             ;   in Loop: Header=BB311_2079 Depth=1
	v_and_b32_e32 v32, 7, v13
	v_lshrrev_b32_e32 v33, 3, v34
	s_mov_b32 s23, exec_lo
	v_cmpx_gt_u32_e32 8, v34
; %bb.3105:                             ;   in Loop: Header=BB311_2079 Depth=1
	s_delay_alu instid0(VALU_DEP_3) | instskip(NEXT) | instid1(VALU_DEP_1)
	v_clz_i32_u32_e32 v32, v32
	v_min_u32_e32 v34, 32, v32
	s_delay_alu instid0(VALU_DEP_1) | instskip(NEXT) | instid1(VALU_DEP_1)
	v_subrev_nc_u32_e32 v32, 28, v34
	v_lshlrev_b64_e32 v[32:33], v32, v[2:3]
	v_sub_nc_u32_e32 v33, 29, v34
	s_delay_alu instid0(VALU_DEP_2)
	v_and_b32_e32 v32, 7, v32
; %bb.3106:                             ;   in Loop: Header=BB311_2079 Depth=1
	s_wait_alu 0xfffe
	s_or_b32 exec_lo, exec_lo, s23
	v_lshlrev_b32_e32 v34, 8, v13
	v_lshl_add_u32 v33, v33, 10, 0x2000
	v_lshlrev_b32_e32 v32, 7, v32
	s_delay_alu instid0(VALU_DEP_3) | instskip(NEXT) | instid1(VALU_DEP_3)
	v_and_b32_e32 v34, 0x8000, v34
	v_and_b32_e32 v33, 0xfc00, v33
	s_delay_alu instid0(VALU_DEP_1)
	v_or3_b32 v32, v34, v33, v32
.LBB311_3107:                           ;   in Loop: Header=BB311_2079 Depth=1
	s_wait_alu 0xfffe
	s_or_b32 exec_lo, exec_lo, s22
.LBB311_3108:                           ;   in Loop: Header=BB311_2079 Depth=1
	s_wait_alu 0xfffe
	s_or_b32 exec_lo, exec_lo, s21
.LBB311_3109:                           ;   in Loop: Header=BB311_2079 Depth=1
	s_wait_alu 0xfffe
	s_or_b32 exec_lo, exec_lo, s20
	v_lshrrev_b16 v2, 8, v2
	v_mov_b32_e32 v33, 0
	s_mov_b32 s20, exec_lo
	s_delay_alu instid0(VALU_DEP_2)
	v_cmpx_ne_u16_e32 0, v2
	s_cbranch_execz .LBB311_3117
; %bb.3110:                             ;   in Loop: Header=BB311_2079 Depth=1
	v_bfrev_b32_e32 v33, 1
	s_mov_b32 s21, exec_lo
	v_cmpx_ne_u16_e32 0x80, v2
	s_cbranch_execz .LBB311_3116
; %bb.3111:                             ;   in Loop: Header=BB311_2079 Depth=1
	v_and_b32_e32 v34, 0xffff, v2
	v_mov_b32_e32 v33, 0x7c010000
	s_mov_b32 s22, exec_lo
	s_delay_alu instid0(VALU_DEP_2) | instskip(NEXT) | instid1(VALU_DEP_1)
	v_and_b32_e32 v161, 0x7f, v34
	v_cmpx_ne_u32_e32 0x7f, v161
	s_cbranch_execz .LBB311_3115
; %bb.3112:                             ;   in Loop: Header=BB311_2079 Depth=1
	v_and_b32_e32 v33, 7, v34
	v_lshrrev_b32_e32 v160, 3, v161
	s_mov_b32 s23, exec_lo
	v_cmpx_gt_u32_e32 8, v161
; %bb.3113:                             ;   in Loop: Header=BB311_2079 Depth=1
	s_delay_alu instid0(VALU_DEP_3) | instskip(NEXT) | instid1(VALU_DEP_1)
	v_clz_i32_u32_e32 v33, v33
	v_min_u32_e32 v33, 32, v33
	s_delay_alu instid0(VALU_DEP_1) | instskip(NEXT) | instid1(VALU_DEP_1)
	v_subrev_nc_u32_e32 v160, 28, v33
	v_lshlrev_b64_e32 v[161:162], v160, v[2:3]
	v_sub_nc_u32_e32 v160, 29, v33
	s_delay_alu instid0(VALU_DEP_2)
	v_and_b32_e32 v33, 7, v161
; %bb.3114:                             ;   in Loop: Header=BB311_2079 Depth=1
	s_wait_alu 0xfffe
	s_or_b32 exec_lo, exec_lo, s23
	v_lshlrev_b32_e32 v2, 8, v34
	v_lshl_add_u32 v34, v160, 10, 0x2000
	v_lshlrev_b32_e32 v33, 23, v33
	s_delay_alu instid0(VALU_DEP_2) | instskip(NEXT) | instid1(VALU_DEP_1)
	v_and_or_b32 v2, 0x8000, v2, v34
	v_lshl_or_b32 v33, v2, 16, v33
.LBB311_3115:                           ;   in Loop: Header=BB311_2079 Depth=1
	s_wait_alu 0xfffe
	s_or_b32 exec_lo, exec_lo, s22
.LBB311_3116:                           ;   in Loop: Header=BB311_2079 Depth=1
	s_wait_alu 0xfffe
	s_or_b32 exec_lo, exec_lo, s21
.LBB311_3117:                           ;   in Loop: Header=BB311_2079 Depth=1
	s_wait_alu 0xfffe
	s_or_b32 exec_lo, exec_lo, s20
	v_lshrrev_b32_e32 v2, 16, v13
	s_mov_b32 s20, exec_lo
	s_delay_alu instid0(VALU_DEP_1) | instskip(NEXT) | instid1(VALU_DEP_1)
	v_and_b32_e32 v34, 0xff, v2
	v_cmpx_ne_u16_e32 0, v34
	s_cbranch_execz .LBB311_3125
; %bb.3118:                             ;   in Loop: Header=BB311_2079 Depth=1
	v_mov_b32_e32 v31, 0x8000
	s_mov_b32 s21, exec_lo
	v_cmpx_ne_u16_e32 0x80, v34
	s_cbranch_execz .LBB311_3124
; %bb.3119:                             ;   in Loop: Header=BB311_2079 Depth=1
	v_bfe_u32 v160, v13, 16, 7
	v_mov_b32_e32 v31, 0x7c01
	s_mov_b32 s22, exec_lo
	s_delay_alu instid0(VALU_DEP_2)
	v_cmpx_ne_u32_e32 0x7f, v160
	s_cbranch_execz .LBB311_3123
; %bb.3120:                             ;   in Loop: Header=BB311_2079 Depth=1
	v_and_b32_e32 v31, 7, v2
	v_lshrrev_b32_e32 v34, 3, v160
	s_mov_b32 s23, exec_lo
	v_cmpx_gt_u32_e32 8, v160
; %bb.3121:                             ;   in Loop: Header=BB311_2079 Depth=1
	s_delay_alu instid0(VALU_DEP_3) | instskip(NEXT) | instid1(VALU_DEP_1)
	v_clz_i32_u32_e32 v31, v31
	v_min_u32_e32 v31, 32, v31
	s_delay_alu instid0(VALU_DEP_1) | instskip(NEXT) | instid1(VALU_DEP_1)
	v_subrev_nc_u32_e32 v34, 28, v31
	v_lshlrev_b64_e32 v[160:161], v34, v[2:3]
	v_sub_nc_u32_e32 v34, 29, v31
	s_delay_alu instid0(VALU_DEP_2)
	v_and_b32_e32 v31, 7, v160
; %bb.3122:                             ;   in Loop: Header=BB311_2079 Depth=1
	s_wait_alu 0xfffe
	s_or_b32 exec_lo, exec_lo, s23
	v_lshlrev_b32_e32 v2, 8, v2
	v_lshl_add_u32 v34, v34, 10, 0x2000
	v_lshlrev_b32_e32 v31, 7, v31
	s_delay_alu instid0(VALU_DEP_3) | instskip(NEXT) | instid1(VALU_DEP_3)
	v_and_b32_e32 v2, 0x8000, v2
	v_and_b32_e32 v34, 0xfc00, v34
	s_delay_alu instid0(VALU_DEP_1)
	v_or3_b32 v31, v2, v34, v31
.LBB311_3123:                           ;   in Loop: Header=BB311_2079 Depth=1
	s_wait_alu 0xfffe
	s_or_b32 exec_lo, exec_lo, s22
.LBB311_3124:                           ;   in Loop: Header=BB311_2079 Depth=1
	s_wait_alu 0xfffe
	s_or_b32 exec_lo, exec_lo, s21
.LBB311_3125:                           ;   in Loop: Header=BB311_2079 Depth=1
	s_wait_alu 0xfffe
	s_or_b32 exec_lo, exec_lo, s20
	v_cmp_lt_u64_e64 s8, s[16:17], v[12:13]
	v_mov_b32_e32 v12, 0
	s_and_saveexec_b32 s20, s8
	s_cbranch_execz .LBB311_3133
; %bb.3126:                             ;   in Loop: Header=BB311_2079 Depth=1
	v_lshrrev_b32_e32 v2, 24, v13
	v_bfrev_b32_e32 v12, 1
	s_mov_b32 s21, exec_lo
	s_delay_alu instid0(VALU_DEP_2)
	v_cmpx_ne_u32_e32 0x80, v2
	s_cbranch_execz .LBB311_3132
; %bb.3127:                             ;   in Loop: Header=BB311_2079 Depth=1
	v_and_b32_e32 v34, 0x7f, v2
	v_mov_b32_e32 v12, 0x7c010000
	s_mov_b32 s22, exec_lo
	s_delay_alu instid0(VALU_DEP_2)
	v_cmpx_ne_u32_e32 0x7f, v34
	s_cbranch_execz .LBB311_3131
; %bb.3128:                             ;   in Loop: Header=BB311_2079 Depth=1
	v_and_b32_e32 v12, 7, v2
	v_lshrrev_b32_e32 v13, 3, v34
	s_mov_b32 s23, exec_lo
	v_cmpx_gt_u32_e32 8, v34
; %bb.3129:                             ;   in Loop: Header=BB311_2079 Depth=1
	s_delay_alu instid0(VALU_DEP_3) | instskip(NEXT) | instid1(VALU_DEP_1)
	v_clz_i32_u32_e32 v12, v12
	v_min_u32_e32 v34, 32, v12
	s_delay_alu instid0(VALU_DEP_1) | instskip(NEXT) | instid1(VALU_DEP_1)
	v_subrev_nc_u32_e32 v12, 28, v34
	v_lshlrev_b64_e32 v[12:13], v12, v[2:3]
	v_sub_nc_u32_e32 v13, 29, v34
	s_delay_alu instid0(VALU_DEP_2)
	v_and_b32_e32 v12, 7, v12
; %bb.3130:                             ;   in Loop: Header=BB311_2079 Depth=1
	s_wait_alu 0xfffe
	s_or_b32 exec_lo, exec_lo, s23
	v_lshlrev_b32_e32 v2, 8, v2
	v_lshl_add_u32 v13, v13, 10, 0x2000
	v_lshlrev_b32_e32 v12, 23, v12
	s_delay_alu instid0(VALU_DEP_2) | instskip(NEXT) | instid1(VALU_DEP_1)
	v_and_or_b32 v2, 0x8000, v2, v13
	v_lshl_or_b32 v12, v2, 16, v12
.LBB311_3131:                           ;   in Loop: Header=BB311_2079 Depth=1
	s_wait_alu 0xfffe
	s_or_b32 exec_lo, exec_lo, s22
.LBB311_3132:                           ;   in Loop: Header=BB311_2079 Depth=1
	s_wait_alu 0xfffe
	s_or_b32 exec_lo, exec_lo, s21
.LBB311_3133:                           ;   in Loop: Header=BB311_2079 Depth=1
	s_wait_alu 0xfffe
	s_or_b32 exec_lo, exec_lo, s20
	v_or_b32_e32 v2, v23, v30
	s_wait_loadcnt_dscnt 0x0
	v_fma_mixlo_f16 v13, v4, v23, 0 op_sel:[0,1,0] op_sel_hi:[0,1,0]
	v_or_b32_e32 v22, v5, v22
	v_fma_mixlo_f16 v5, v4, v5, 0 op_sel:[0,1,0] op_sel_hi:[0,1,0]
	v_or_b32_e32 v23, v33, v32
	v_fma_mixlo_f16 v30, v4, v2, 0 op_sel_hi:[0,1,0]
	v_or_b32_e32 v31, v12, v31
	v_lshlrev_b32_e32 v2, 16, v13
	v_lshlrev_b32_e32 v13, 16, v5
	v_fma_mixlo_f16 v22, v4, v22, 0 op_sel_hi:[0,1,0]
	v_and_b32_e32 v5, 0xffff, v30
	v_fma_mixlo_f16 v30, v4, v33, 0 op_sel:[0,1,0] op_sel_hi:[0,1,0]
	v_fma_mixlo_f16 v23, v4, v23, 0 op_sel_hi:[0,1,0]
	v_fma_mixlo_f16 v12, v4, v12, 0 op_sel:[0,1,0] op_sel_hi:[0,1,0]
	v_fma_mixlo_f16 v4, v4, v31, 0 op_sel_hi:[0,1,0]
	v_and_b32_e32 v34, 0xffff, v22
	v_lshlrev_b32_e32 v31, 16, v30
	v_and_b32_e32 v33, 0xffff, v23
	v_lshlrev_b32_e32 v30, 16, v12
	v_and_b32_e32 v32, 0xffff, v4
	v_or_b32_e32 v4, v2, v5
	v_or_b32_e32 v23, v13, v34
	;; [unrolled: 1-line block ×3, first 2 shown]
	s_delay_alu instid0(VALU_DEP_4)
	v_or_b32_e32 v12, v30, v32
	s_and_saveexec_b32 s8, s2
	s_cbranch_execz .LBB311_3135
; %bb.3134:                             ;   in Loop: Header=BB311_2079 Depth=1
	s_wait_alu 0xfffd
	v_cndmask_b32_e32 v4, 0, v34, vcc_lo
	v_cndmask_b32_e64 v12, 0, v13, s1
	v_cndmask_b32_e64 v5, 0, v5, s0
	v_cndmask_b32_e64 v2, 0, v2, s3
	v_cndmask_b32_e64 v13, 0, v33, s4
	v_cndmask_b32_e64 v22, 0, v31, s5
	v_cndmask_b32_e64 v31, 0, v32, s6
	v_cndmask_b32_e64 v30, 0, v30, s7
	v_or_b32_e32 v23, v4, v12
	v_or_b32_e32 v4, v5, v2
	;; [unrolled: 1-line block ×3, first 2 shown]
	s_delay_alu instid0(VALU_DEP_4)
	v_or_b32_e32 v12, v31, v30
.LBB311_3135:                           ;   in Loop: Header=BB311_2079 Depth=1
	s_wait_alu 0xfffe
	s_or_b32 exec_lo, exec_lo, s8
	;;#ASMSTART
	v_pk_mul_f16 v2, v98, v23;

	;;#ASMEND
	;;#ASMSTART
	v_pk_mul_f16 v4, v96, v4;

	;;#ASMEND
	;; [unrolled: 4-line block ×4, first 2 shown]
	;;#ASMSTART
	v_pk_add_f16 v2, v2, v4;

	;;#ASMEND
	;;#ASMSTART
	v_pk_add_f16 v2, v2, v5;

	;;#ASMEND
	;; [unrolled: 4-line block ×3, first 2 shown]
	v_dual_mov_b32 v5, 0 :: v_dual_and_b32 v4, 0xffff, v2
	v_lshrrev_b32_e32 v2, 16, v2
	;;#ASMSTART
	v_cvt_f32_f16 v160, v4;
	;;#ASMEND
	;;#ASMSTART
	v_cvt_f32_f16 v161, v2;
	;;#ASMEND
	flat_load_b64 v[12:13], v[10:11] offset:4096
	flat_load_b32 v4, v[26:27]
	v_mov_b32_e32 v22, 0
	s_mov_b32 s20, exec_lo
	s_wait_loadcnt_dscnt 0x101
	v_and_b32_e32 v2, 0xff, v12
	s_delay_alu instid0(VALU_DEP_1)
	v_cmpx_ne_u16_e32 0, v2
	s_cbranch_execz .LBB311_3143
; %bb.3136:                             ;   in Loop: Header=BB311_2079 Depth=1
	v_mov_b32_e32 v22, 0x8000
	s_mov_b32 s21, exec_lo
	v_cmpx_ne_u16_e32 0x80, v2
	s_cbranch_execz .LBB311_3142
; %bb.3137:                             ;   in Loop: Header=BB311_2079 Depth=1
	v_and_b32_e32 v23, 0x7f, v12
	v_mov_b32_e32 v22, 0x7c01
	s_mov_b32 s22, exec_lo
	s_delay_alu instid0(VALU_DEP_2)
	v_cmpx_ne_u32_e32 0x7f, v23
	s_cbranch_execz .LBB311_3141
; %bb.3138:                             ;   in Loop: Header=BB311_2079 Depth=1
	v_and_b32_e32 v2, 7, v12
	v_lshrrev_b32_e32 v22, 3, v23
	s_mov_b32 s23, exec_lo
	v_cmpx_gt_u32_e32 8, v23
; %bb.3139:                             ;   in Loop: Header=BB311_2079 Depth=1
	s_delay_alu instid0(VALU_DEP_3) | instskip(NEXT) | instid1(VALU_DEP_1)
	v_clz_i32_u32_e32 v2, v2
	v_min_u32_e32 v2, 32, v2
	s_delay_alu instid0(VALU_DEP_1) | instskip(NEXT) | instid1(VALU_DEP_1)
	v_subrev_nc_u32_e32 v22, 28, v2
	v_lshlrev_b64_e32 v[30:31], v22, v[12:13]
	v_sub_nc_u32_e32 v22, 29, v2
	s_delay_alu instid0(VALU_DEP_2)
	v_and_b32_e32 v2, 7, v30
; %bb.3140:                             ;   in Loop: Header=BB311_2079 Depth=1
	s_wait_alu 0xfffe
	s_or_b32 exec_lo, exec_lo, s23
	v_lshlrev_b32_e32 v23, 8, v12
	v_lshl_add_u32 v22, v22, 10, 0x2000
	v_lshlrev_b32_e32 v2, 7, v2
	s_delay_alu instid0(VALU_DEP_3) | instskip(NEXT) | instid1(VALU_DEP_3)
	v_and_b32_e32 v23, 0x8000, v23
	v_and_b32_e32 v22, 0xfc00, v22
	s_delay_alu instid0(VALU_DEP_1)
	v_or3_b32 v22, v23, v22, v2
.LBB311_3141:                           ;   in Loop: Header=BB311_2079 Depth=1
	s_wait_alu 0xfffe
	s_or_b32 exec_lo, exec_lo, s22
.LBB311_3142:                           ;   in Loop: Header=BB311_2079 Depth=1
	s_wait_alu 0xfffe
	s_or_b32 exec_lo, exec_lo, s21
.LBB311_3143:                           ;   in Loop: Header=BB311_2079 Depth=1
	s_wait_alu 0xfffe
	s_or_b32 exec_lo, exec_lo, s20
	v_lshrrev_b16 v2, 8, v12
	s_mov_b32 s20, exec_lo
	s_delay_alu instid0(VALU_DEP_1)
	v_cmpx_ne_u16_e32 0, v2
	s_cbranch_execz .LBB311_3151
; %bb.3144:                             ;   in Loop: Header=BB311_2079 Depth=1
	v_bfrev_b32_e32 v5, 1
	s_mov_b32 s21, exec_lo
	v_cmpx_ne_u16_e32 0x80, v2
	s_cbranch_execz .LBB311_3150
; %bb.3145:                             ;   in Loop: Header=BB311_2079 Depth=1
	v_and_b32_e32 v23, 0xffff, v2
	v_mov_b32_e32 v5, 0x7c010000
	s_mov_b32 s22, exec_lo
	s_delay_alu instid0(VALU_DEP_2) | instskip(NEXT) | instid1(VALU_DEP_1)
	v_and_b32_e32 v31, 0x7f, v23
	v_cmpx_ne_u32_e32 0x7f, v31
	s_cbranch_execz .LBB311_3149
; %bb.3146:                             ;   in Loop: Header=BB311_2079 Depth=1
	v_and_b32_e32 v5, 7, v23
	v_lshrrev_b32_e32 v30, 3, v31
	s_mov_b32 s23, exec_lo
	v_cmpx_gt_u32_e32 8, v31
; %bb.3147:                             ;   in Loop: Header=BB311_2079 Depth=1
	s_delay_alu instid0(VALU_DEP_3) | instskip(NEXT) | instid1(VALU_DEP_1)
	v_clz_i32_u32_e32 v5, v5
	v_min_u32_e32 v5, 32, v5
	s_delay_alu instid0(VALU_DEP_1) | instskip(NEXT) | instid1(VALU_DEP_1)
	v_subrev_nc_u32_e32 v30, 28, v5
	v_lshlrev_b64_e32 v[31:32], v30, v[2:3]
	v_sub_nc_u32_e32 v30, 29, v5
	s_delay_alu instid0(VALU_DEP_2)
	v_and_b32_e32 v5, 7, v31
; %bb.3148:                             ;   in Loop: Header=BB311_2079 Depth=1
	s_wait_alu 0xfffe
	s_or_b32 exec_lo, exec_lo, s23
	v_lshlrev_b32_e32 v2, 8, v23
	v_lshl_add_u32 v23, v30, 10, 0x2000
	v_lshlrev_b32_e32 v5, 23, v5
	s_delay_alu instid0(VALU_DEP_2) | instskip(NEXT) | instid1(VALU_DEP_1)
	v_and_or_b32 v2, 0x8000, v2, v23
	v_lshl_or_b32 v5, v2, 16, v5
.LBB311_3149:                           ;   in Loop: Header=BB311_2079 Depth=1
	s_wait_alu 0xfffe
	s_or_b32 exec_lo, exec_lo, s22
.LBB311_3150:                           ;   in Loop: Header=BB311_2079 Depth=1
	s_wait_alu 0xfffe
	s_or_b32 exec_lo, exec_lo, s21
.LBB311_3151:                           ;   in Loop: Header=BB311_2079 Depth=1
	s_wait_alu 0xfffe
	s_or_b32 exec_lo, exec_lo, s20
	v_lshrrev_b32_e32 v2, 16, v12
	v_mov_b32_e32 v23, 0
	s_mov_b32 s20, exec_lo
	s_delay_alu instid0(VALU_DEP_2) | instskip(NEXT) | instid1(VALU_DEP_1)
	v_dual_mov_b32 v30, 0 :: v_dual_and_b32 v31, 0xff, v2
	v_cmpx_ne_u16_e32 0, v31
	s_cbranch_execz .LBB311_3159
; %bb.3152:                             ;   in Loop: Header=BB311_2079 Depth=1
	v_mov_b32_e32 v30, 0x8000
	s_mov_b32 s21, exec_lo
	v_cmpx_ne_u16_e32 0x80, v31
	s_cbranch_execz .LBB311_3158
; %bb.3153:                             ;   in Loop: Header=BB311_2079 Depth=1
	v_bfe_u32 v32, v12, 16, 7
	v_mov_b32_e32 v30, 0x7c01
	s_mov_b32 s22, exec_lo
	s_delay_alu instid0(VALU_DEP_2)
	v_cmpx_ne_u32_e32 0x7f, v32
	s_cbranch_execz .LBB311_3157
; %bb.3154:                             ;   in Loop: Header=BB311_2079 Depth=1
	v_and_b32_e32 v30, 7, v2
	v_lshrrev_b32_e32 v31, 3, v32
	s_mov_b32 s23, exec_lo
	v_cmpx_gt_u32_e32 8, v32
; %bb.3155:                             ;   in Loop: Header=BB311_2079 Depth=1
	s_delay_alu instid0(VALU_DEP_3) | instskip(NEXT) | instid1(VALU_DEP_1)
	v_clz_i32_u32_e32 v30, v30
	v_min_u32_e32 v32, 32, v30
	s_delay_alu instid0(VALU_DEP_1) | instskip(NEXT) | instid1(VALU_DEP_1)
	v_subrev_nc_u32_e32 v30, 28, v32
	v_lshlrev_b64_e32 v[30:31], v30, v[2:3]
	v_sub_nc_u32_e32 v31, 29, v32
	s_delay_alu instid0(VALU_DEP_2)
	v_and_b32_e32 v30, 7, v30
; %bb.3156:                             ;   in Loop: Header=BB311_2079 Depth=1
	s_wait_alu 0xfffe
	s_or_b32 exec_lo, exec_lo, s23
	v_lshlrev_b32_e32 v2, 8, v2
	v_lshl_add_u32 v31, v31, 10, 0x2000
	v_lshlrev_b32_e32 v30, 7, v30
	s_delay_alu instid0(VALU_DEP_3) | instskip(NEXT) | instid1(VALU_DEP_3)
	v_and_b32_e32 v2, 0x8000, v2
	v_and_b32_e32 v31, 0xfc00, v31
	s_delay_alu instid0(VALU_DEP_1)
	v_or3_b32 v30, v2, v31, v30
.LBB311_3157:                           ;   in Loop: Header=BB311_2079 Depth=1
	s_wait_alu 0xfffe
	s_or_b32 exec_lo, exec_lo, s22
.LBB311_3158:                           ;   in Loop: Header=BB311_2079 Depth=1
	s_wait_alu 0xfffe
	s_or_b32 exec_lo, exec_lo, s21
.LBB311_3159:                           ;   in Loop: Header=BB311_2079 Depth=1
	s_wait_alu 0xfffe
	s_or_b32 exec_lo, exec_lo, s20
	s_delay_alu instid0(SALU_CYCLE_1)
	s_mov_b32 s20, exec_lo
	v_cmpx_lt_u32_e32 0xffffff, v12
	s_cbranch_execz .LBB311_3167
; %bb.3160:                             ;   in Loop: Header=BB311_2079 Depth=1
	v_lshrrev_b32_e32 v2, 24, v12
	v_bfrev_b32_e32 v23, 1
	s_mov_b32 s21, exec_lo
	s_delay_alu instid0(VALU_DEP_2)
	v_cmpx_ne_u32_e32 0x80, v2
	s_cbranch_execz .LBB311_3166
; %bb.3161:                             ;   in Loop: Header=BB311_2079 Depth=1
	v_and_b32_e32 v32, 0x7f, v2
	v_mov_b32_e32 v23, 0x7c010000
	s_mov_b32 s22, exec_lo
	s_delay_alu instid0(VALU_DEP_2)
	v_cmpx_ne_u32_e32 0x7f, v32
	s_cbranch_execz .LBB311_3165
; %bb.3162:                             ;   in Loop: Header=BB311_2079 Depth=1
	v_and_b32_e32 v23, 7, v2
	v_lshrrev_b32_e32 v31, 3, v32
	s_mov_b32 s23, exec_lo
	v_cmpx_gt_u32_e32 8, v32
; %bb.3163:                             ;   in Loop: Header=BB311_2079 Depth=1
	s_delay_alu instid0(VALU_DEP_3) | instskip(NEXT) | instid1(VALU_DEP_1)
	v_clz_i32_u32_e32 v23, v23
	v_min_u32_e32 v23, 32, v23
	s_delay_alu instid0(VALU_DEP_1) | instskip(NEXT) | instid1(VALU_DEP_1)
	v_subrev_nc_u32_e32 v31, 28, v23
	v_lshlrev_b64_e32 v[32:33], v31, v[2:3]
	v_sub_nc_u32_e32 v31, 29, v23
	s_delay_alu instid0(VALU_DEP_2)
	v_and_b32_e32 v23, 7, v32
; %bb.3164:                             ;   in Loop: Header=BB311_2079 Depth=1
	s_wait_alu 0xfffe
	s_or_b32 exec_lo, exec_lo, s23
	v_lshlrev_b32_e32 v2, 8, v2
	v_lshl_add_u32 v31, v31, 10, 0x2000
	v_lshlrev_b32_e32 v23, 23, v23
	s_delay_alu instid0(VALU_DEP_2) | instskip(NEXT) | instid1(VALU_DEP_1)
	v_and_or_b32 v2, 0x8000, v2, v31
	v_lshl_or_b32 v23, v2, 16, v23
.LBB311_3165:                           ;   in Loop: Header=BB311_2079 Depth=1
	s_wait_alu 0xfffe
	s_or_b32 exec_lo, exec_lo, s22
.LBB311_3166:                           ;   in Loop: Header=BB311_2079 Depth=1
	s_wait_alu 0xfffe
	s_or_b32 exec_lo, exec_lo, s21
.LBB311_3167:                           ;   in Loop: Header=BB311_2079 Depth=1
	s_wait_alu 0xfffe
	s_or_b32 exec_lo, exec_lo, s20
	v_dual_mov_b32 v2, v13 :: v_dual_and_b32 v33, 0xff, v13
	v_dual_mov_b32 v31, 0 :: v_dual_mov_b32 v32, 0
	s_mov_b32 s20, exec_lo
	s_delay_alu instid0(VALU_DEP_2)
	v_cmpx_ne_u16_e32 0, v33
	s_cbranch_execz .LBB311_3175
; %bb.3168:                             ;   in Loop: Header=BB311_2079 Depth=1
	v_mov_b32_e32 v32, 0x8000
	s_mov_b32 s21, exec_lo
	v_cmpx_ne_u16_e32 0x80, v33
	s_cbranch_execz .LBB311_3174
; %bb.3169:                             ;   in Loop: Header=BB311_2079 Depth=1
	v_and_b32_e32 v34, 0x7f, v13
	v_mov_b32_e32 v32, 0x7c01
	s_mov_b32 s22, exec_lo
	s_delay_alu instid0(VALU_DEP_2)
	v_cmpx_ne_u32_e32 0x7f, v34
	s_cbranch_execz .LBB311_3173
; %bb.3170:                             ;   in Loop: Header=BB311_2079 Depth=1
	v_and_b32_e32 v32, 7, v13
	v_lshrrev_b32_e32 v33, 3, v34
	s_mov_b32 s23, exec_lo
	v_cmpx_gt_u32_e32 8, v34
; %bb.3171:                             ;   in Loop: Header=BB311_2079 Depth=1
	s_delay_alu instid0(VALU_DEP_3) | instskip(NEXT) | instid1(VALU_DEP_1)
	v_clz_i32_u32_e32 v32, v32
	v_min_u32_e32 v34, 32, v32
	s_delay_alu instid0(VALU_DEP_1) | instskip(NEXT) | instid1(VALU_DEP_1)
	v_subrev_nc_u32_e32 v32, 28, v34
	v_lshlrev_b64_e32 v[32:33], v32, v[2:3]
	v_sub_nc_u32_e32 v33, 29, v34
	s_delay_alu instid0(VALU_DEP_2)
	v_and_b32_e32 v32, 7, v32
; %bb.3172:                             ;   in Loop: Header=BB311_2079 Depth=1
	s_wait_alu 0xfffe
	s_or_b32 exec_lo, exec_lo, s23
	v_lshlrev_b32_e32 v34, 8, v13
	v_lshl_add_u32 v33, v33, 10, 0x2000
	v_lshlrev_b32_e32 v32, 7, v32
	s_delay_alu instid0(VALU_DEP_3) | instskip(NEXT) | instid1(VALU_DEP_3)
	v_and_b32_e32 v34, 0x8000, v34
	v_and_b32_e32 v33, 0xfc00, v33
	s_delay_alu instid0(VALU_DEP_1)
	v_or3_b32 v32, v34, v33, v32
.LBB311_3173:                           ;   in Loop: Header=BB311_2079 Depth=1
	s_wait_alu 0xfffe
	s_or_b32 exec_lo, exec_lo, s22
.LBB311_3174:                           ;   in Loop: Header=BB311_2079 Depth=1
	s_wait_alu 0xfffe
	s_or_b32 exec_lo, exec_lo, s21
.LBB311_3175:                           ;   in Loop: Header=BB311_2079 Depth=1
	s_wait_alu 0xfffe
	s_or_b32 exec_lo, exec_lo, s20
	v_lshrrev_b16 v2, 8, v2
	v_mov_b32_e32 v33, 0
	s_mov_b32 s20, exec_lo
	s_delay_alu instid0(VALU_DEP_2)
	v_cmpx_ne_u16_e32 0, v2
	s_cbranch_execz .LBB311_3183
; %bb.3176:                             ;   in Loop: Header=BB311_2079 Depth=1
	v_bfrev_b32_e32 v33, 1
	s_mov_b32 s21, exec_lo
	v_cmpx_ne_u16_e32 0x80, v2
	s_cbranch_execz .LBB311_3182
; %bb.3177:                             ;   in Loop: Header=BB311_2079 Depth=1
	v_and_b32_e32 v34, 0xffff, v2
	v_mov_b32_e32 v33, 0x7c010000
	s_mov_b32 s22, exec_lo
	s_delay_alu instid0(VALU_DEP_2) | instskip(NEXT) | instid1(VALU_DEP_1)
	v_and_b32_e32 v163, 0x7f, v34
	v_cmpx_ne_u32_e32 0x7f, v163
	s_cbranch_execz .LBB311_3181
; %bb.3178:                             ;   in Loop: Header=BB311_2079 Depth=1
	v_and_b32_e32 v33, 7, v34
	v_lshrrev_b32_e32 v162, 3, v163
	s_mov_b32 s23, exec_lo
	v_cmpx_gt_u32_e32 8, v163
; %bb.3179:                             ;   in Loop: Header=BB311_2079 Depth=1
	s_delay_alu instid0(VALU_DEP_3) | instskip(NEXT) | instid1(VALU_DEP_1)
	v_clz_i32_u32_e32 v33, v33
	v_min_u32_e32 v33, 32, v33
	s_delay_alu instid0(VALU_DEP_1) | instskip(NEXT) | instid1(VALU_DEP_1)
	v_subrev_nc_u32_e32 v162, 28, v33
	v_lshlrev_b64_e32 v[163:164], v162, v[2:3]
	v_sub_nc_u32_e32 v162, 29, v33
	s_delay_alu instid0(VALU_DEP_2)
	v_and_b32_e32 v33, 7, v163
; %bb.3180:                             ;   in Loop: Header=BB311_2079 Depth=1
	s_wait_alu 0xfffe
	s_or_b32 exec_lo, exec_lo, s23
	v_lshlrev_b32_e32 v2, 8, v34
	v_lshl_add_u32 v34, v162, 10, 0x2000
	v_lshlrev_b32_e32 v33, 23, v33
	s_delay_alu instid0(VALU_DEP_2) | instskip(NEXT) | instid1(VALU_DEP_1)
	v_and_or_b32 v2, 0x8000, v2, v34
	v_lshl_or_b32 v33, v2, 16, v33
.LBB311_3181:                           ;   in Loop: Header=BB311_2079 Depth=1
	s_wait_alu 0xfffe
	s_or_b32 exec_lo, exec_lo, s22
.LBB311_3182:                           ;   in Loop: Header=BB311_2079 Depth=1
	s_wait_alu 0xfffe
	s_or_b32 exec_lo, exec_lo, s21
.LBB311_3183:                           ;   in Loop: Header=BB311_2079 Depth=1
	s_wait_alu 0xfffe
	s_or_b32 exec_lo, exec_lo, s20
	v_lshrrev_b32_e32 v2, 16, v13
	s_mov_b32 s20, exec_lo
	s_delay_alu instid0(VALU_DEP_1) | instskip(NEXT) | instid1(VALU_DEP_1)
	v_and_b32_e32 v34, 0xff, v2
	v_cmpx_ne_u16_e32 0, v34
	s_cbranch_execz .LBB311_3191
; %bb.3184:                             ;   in Loop: Header=BB311_2079 Depth=1
	v_mov_b32_e32 v31, 0x8000
	s_mov_b32 s21, exec_lo
	v_cmpx_ne_u16_e32 0x80, v34
	s_cbranch_execz .LBB311_3190
; %bb.3185:                             ;   in Loop: Header=BB311_2079 Depth=1
	v_bfe_u32 v162, v13, 16, 7
	v_mov_b32_e32 v31, 0x7c01
	s_mov_b32 s22, exec_lo
	s_delay_alu instid0(VALU_DEP_2)
	v_cmpx_ne_u32_e32 0x7f, v162
	s_cbranch_execz .LBB311_3189
; %bb.3186:                             ;   in Loop: Header=BB311_2079 Depth=1
	v_and_b32_e32 v31, 7, v2
	v_lshrrev_b32_e32 v34, 3, v162
	s_mov_b32 s23, exec_lo
	v_cmpx_gt_u32_e32 8, v162
; %bb.3187:                             ;   in Loop: Header=BB311_2079 Depth=1
	s_delay_alu instid0(VALU_DEP_3) | instskip(NEXT) | instid1(VALU_DEP_1)
	v_clz_i32_u32_e32 v31, v31
	v_min_u32_e32 v31, 32, v31
	s_delay_alu instid0(VALU_DEP_1) | instskip(NEXT) | instid1(VALU_DEP_1)
	v_subrev_nc_u32_e32 v34, 28, v31
	v_lshlrev_b64_e32 v[162:163], v34, v[2:3]
	v_sub_nc_u32_e32 v34, 29, v31
	s_delay_alu instid0(VALU_DEP_2)
	v_and_b32_e32 v31, 7, v162
; %bb.3188:                             ;   in Loop: Header=BB311_2079 Depth=1
	s_wait_alu 0xfffe
	s_or_b32 exec_lo, exec_lo, s23
	v_lshlrev_b32_e32 v2, 8, v2
	v_lshl_add_u32 v34, v34, 10, 0x2000
	v_lshlrev_b32_e32 v31, 7, v31
	s_delay_alu instid0(VALU_DEP_3) | instskip(NEXT) | instid1(VALU_DEP_3)
	v_and_b32_e32 v2, 0x8000, v2
	v_and_b32_e32 v34, 0xfc00, v34
	s_delay_alu instid0(VALU_DEP_1)
	v_or3_b32 v31, v2, v34, v31
.LBB311_3189:                           ;   in Loop: Header=BB311_2079 Depth=1
	s_wait_alu 0xfffe
	s_or_b32 exec_lo, exec_lo, s22
.LBB311_3190:                           ;   in Loop: Header=BB311_2079 Depth=1
	s_wait_alu 0xfffe
	s_or_b32 exec_lo, exec_lo, s21
.LBB311_3191:                           ;   in Loop: Header=BB311_2079 Depth=1
	s_wait_alu 0xfffe
	s_or_b32 exec_lo, exec_lo, s20
	v_cmp_lt_u64_e64 s8, s[16:17], v[12:13]
	v_mov_b32_e32 v12, 0
	s_and_saveexec_b32 s20, s8
	s_cbranch_execz .LBB311_3199
; %bb.3192:                             ;   in Loop: Header=BB311_2079 Depth=1
	v_lshrrev_b32_e32 v2, 24, v13
	v_bfrev_b32_e32 v12, 1
	s_mov_b32 s21, exec_lo
	s_delay_alu instid0(VALU_DEP_2)
	v_cmpx_ne_u32_e32 0x80, v2
	s_cbranch_execz .LBB311_3198
; %bb.3193:                             ;   in Loop: Header=BB311_2079 Depth=1
	v_and_b32_e32 v34, 0x7f, v2
	v_mov_b32_e32 v12, 0x7c010000
	s_mov_b32 s22, exec_lo
	s_delay_alu instid0(VALU_DEP_2)
	v_cmpx_ne_u32_e32 0x7f, v34
	s_cbranch_execz .LBB311_3197
; %bb.3194:                             ;   in Loop: Header=BB311_2079 Depth=1
	v_and_b32_e32 v12, 7, v2
	v_lshrrev_b32_e32 v13, 3, v34
	s_mov_b32 s23, exec_lo
	v_cmpx_gt_u32_e32 8, v34
; %bb.3195:                             ;   in Loop: Header=BB311_2079 Depth=1
	s_delay_alu instid0(VALU_DEP_3) | instskip(NEXT) | instid1(VALU_DEP_1)
	v_clz_i32_u32_e32 v12, v12
	v_min_u32_e32 v34, 32, v12
	s_delay_alu instid0(VALU_DEP_1) | instskip(NEXT) | instid1(VALU_DEP_1)
	v_subrev_nc_u32_e32 v12, 28, v34
	v_lshlrev_b64_e32 v[12:13], v12, v[2:3]
	v_sub_nc_u32_e32 v13, 29, v34
	s_delay_alu instid0(VALU_DEP_2)
	v_and_b32_e32 v12, 7, v12
; %bb.3196:                             ;   in Loop: Header=BB311_2079 Depth=1
	s_wait_alu 0xfffe
	s_or_b32 exec_lo, exec_lo, s23
	v_lshlrev_b32_e32 v2, 8, v2
	v_lshl_add_u32 v13, v13, 10, 0x2000
	v_lshlrev_b32_e32 v12, 23, v12
	s_delay_alu instid0(VALU_DEP_2) | instskip(NEXT) | instid1(VALU_DEP_1)
	v_and_or_b32 v2, 0x8000, v2, v13
	v_lshl_or_b32 v12, v2, 16, v12
.LBB311_3197:                           ;   in Loop: Header=BB311_2079 Depth=1
	s_wait_alu 0xfffe
	s_or_b32 exec_lo, exec_lo, s22
.LBB311_3198:                           ;   in Loop: Header=BB311_2079 Depth=1
	s_wait_alu 0xfffe
	s_or_b32 exec_lo, exec_lo, s21
.LBB311_3199:                           ;   in Loop: Header=BB311_2079 Depth=1
	s_wait_alu 0xfffe
	s_or_b32 exec_lo, exec_lo, s20
	v_or_b32_e32 v2, v23, v30
	s_wait_loadcnt_dscnt 0x0
	v_fma_mixlo_f16 v13, v4, v23, 0 op_sel:[0,1,0] op_sel_hi:[0,1,0]
	v_or_b32_e32 v22, v5, v22
	v_fma_mixlo_f16 v5, v4, v5, 0 op_sel:[0,1,0] op_sel_hi:[0,1,0]
	v_or_b32_e32 v23, v33, v32
	v_fma_mixlo_f16 v30, v4, v2, 0 op_sel_hi:[0,1,0]
	v_or_b32_e32 v31, v12, v31
	v_lshlrev_b32_e32 v2, 16, v13
	v_lshlrev_b32_e32 v13, 16, v5
	v_fma_mixlo_f16 v22, v4, v22, 0 op_sel_hi:[0,1,0]
	v_and_b32_e32 v5, 0xffff, v30
	v_fma_mixlo_f16 v30, v4, v33, 0 op_sel:[0,1,0] op_sel_hi:[0,1,0]
	v_fma_mixlo_f16 v23, v4, v23, 0 op_sel_hi:[0,1,0]
	v_fma_mixlo_f16 v12, v4, v12, 0 op_sel:[0,1,0] op_sel_hi:[0,1,0]
	v_fma_mixlo_f16 v4, v4, v31, 0 op_sel_hi:[0,1,0]
	v_and_b32_e32 v34, 0xffff, v22
	v_lshlrev_b32_e32 v31, 16, v30
	v_and_b32_e32 v33, 0xffff, v23
	v_lshlrev_b32_e32 v30, 16, v12
	v_and_b32_e32 v32, 0xffff, v4
	v_or_b32_e32 v4, v2, v5
	v_or_b32_e32 v23, v13, v34
	;; [unrolled: 1-line block ×3, first 2 shown]
	s_delay_alu instid0(VALU_DEP_4)
	v_or_b32_e32 v12, v30, v32
	s_and_saveexec_b32 s8, s2
	s_cbranch_execz .LBB311_3201
; %bb.3200:                             ;   in Loop: Header=BB311_2079 Depth=1
	s_wait_alu 0xfffd
	v_cndmask_b32_e32 v4, 0, v34, vcc_lo
	v_cndmask_b32_e64 v12, 0, v13, s1
	v_cndmask_b32_e64 v5, 0, v5, s0
	v_cndmask_b32_e64 v2, 0, v2, s3
	v_cndmask_b32_e64 v13, 0, v33, s4
	v_cndmask_b32_e64 v22, 0, v31, s5
	v_cndmask_b32_e64 v31, 0, v32, s6
	v_cndmask_b32_e64 v30, 0, v30, s7
	v_or_b32_e32 v23, v4, v12
	v_or_b32_e32 v4, v5, v2
	;; [unrolled: 1-line block ×3, first 2 shown]
	s_delay_alu instid0(VALU_DEP_4)
	v_or_b32_e32 v12, v31, v30
.LBB311_3201:                           ;   in Loop: Header=BB311_2079 Depth=1
	s_wait_alu 0xfffe
	s_or_b32 exec_lo, exec_lo, s8
	;;#ASMSTART
	v_pk_mul_f16 v2, v98, v23;

	;;#ASMEND
	;;#ASMSTART
	v_pk_mul_f16 v4, v96, v4;

	;;#ASMEND
	;; [unrolled: 4-line block ×4, first 2 shown]
	;;#ASMSTART
	v_pk_add_f16 v2, v2, v4;

	;;#ASMEND
	;;#ASMSTART
	v_pk_add_f16 v2, v2, v5;

	;;#ASMEND
	;; [unrolled: 4-line block ×3, first 2 shown]
	v_dual_mov_b32 v5, 0 :: v_dual_and_b32 v4, 0xffff, v2
	v_lshrrev_b32_e32 v2, 16, v2
	;;#ASMSTART
	v_cvt_f32_f16 v162, v4;
	;;#ASMEND
	;;#ASMSTART
	v_cvt_f32_f16 v163, v2;
	;;#ASMEND
	flat_load_b64 v[12:13], v[10:11] offset:4352
	flat_load_b32 v4, v[26:27]
	v_mov_b32_e32 v22, 0
	s_mov_b32 s20, exec_lo
	s_wait_loadcnt_dscnt 0x101
	v_and_b32_e32 v2, 0xff, v12
	s_delay_alu instid0(VALU_DEP_1)
	v_cmpx_ne_u16_e32 0, v2
	s_cbranch_execz .LBB311_3209
; %bb.3202:                             ;   in Loop: Header=BB311_2079 Depth=1
	v_mov_b32_e32 v22, 0x8000
	s_mov_b32 s21, exec_lo
	v_cmpx_ne_u16_e32 0x80, v2
	s_cbranch_execz .LBB311_3208
; %bb.3203:                             ;   in Loop: Header=BB311_2079 Depth=1
	v_and_b32_e32 v23, 0x7f, v12
	v_mov_b32_e32 v22, 0x7c01
	s_mov_b32 s22, exec_lo
	s_delay_alu instid0(VALU_DEP_2)
	v_cmpx_ne_u32_e32 0x7f, v23
	s_cbranch_execz .LBB311_3207
; %bb.3204:                             ;   in Loop: Header=BB311_2079 Depth=1
	v_and_b32_e32 v2, 7, v12
	v_lshrrev_b32_e32 v22, 3, v23
	s_mov_b32 s23, exec_lo
	v_cmpx_gt_u32_e32 8, v23
; %bb.3205:                             ;   in Loop: Header=BB311_2079 Depth=1
	s_delay_alu instid0(VALU_DEP_3) | instskip(NEXT) | instid1(VALU_DEP_1)
	v_clz_i32_u32_e32 v2, v2
	v_min_u32_e32 v2, 32, v2
	s_delay_alu instid0(VALU_DEP_1) | instskip(NEXT) | instid1(VALU_DEP_1)
	v_subrev_nc_u32_e32 v22, 28, v2
	v_lshlrev_b64_e32 v[30:31], v22, v[12:13]
	v_sub_nc_u32_e32 v22, 29, v2
	s_delay_alu instid0(VALU_DEP_2)
	v_and_b32_e32 v2, 7, v30
; %bb.3206:                             ;   in Loop: Header=BB311_2079 Depth=1
	s_wait_alu 0xfffe
	s_or_b32 exec_lo, exec_lo, s23
	v_lshlrev_b32_e32 v23, 8, v12
	v_lshl_add_u32 v22, v22, 10, 0x2000
	v_lshlrev_b32_e32 v2, 7, v2
	s_delay_alu instid0(VALU_DEP_3) | instskip(NEXT) | instid1(VALU_DEP_3)
	v_and_b32_e32 v23, 0x8000, v23
	v_and_b32_e32 v22, 0xfc00, v22
	s_delay_alu instid0(VALU_DEP_1)
	v_or3_b32 v22, v23, v22, v2
.LBB311_3207:                           ;   in Loop: Header=BB311_2079 Depth=1
	s_wait_alu 0xfffe
	s_or_b32 exec_lo, exec_lo, s22
.LBB311_3208:                           ;   in Loop: Header=BB311_2079 Depth=1
	s_wait_alu 0xfffe
	s_or_b32 exec_lo, exec_lo, s21
.LBB311_3209:                           ;   in Loop: Header=BB311_2079 Depth=1
	s_wait_alu 0xfffe
	s_or_b32 exec_lo, exec_lo, s20
	v_lshrrev_b16 v2, 8, v12
	s_mov_b32 s20, exec_lo
	s_delay_alu instid0(VALU_DEP_1)
	v_cmpx_ne_u16_e32 0, v2
	s_cbranch_execz .LBB311_3217
; %bb.3210:                             ;   in Loop: Header=BB311_2079 Depth=1
	v_bfrev_b32_e32 v5, 1
	s_mov_b32 s21, exec_lo
	v_cmpx_ne_u16_e32 0x80, v2
	s_cbranch_execz .LBB311_3216
; %bb.3211:                             ;   in Loop: Header=BB311_2079 Depth=1
	v_and_b32_e32 v23, 0xffff, v2
	v_mov_b32_e32 v5, 0x7c010000
	s_mov_b32 s22, exec_lo
	s_delay_alu instid0(VALU_DEP_2) | instskip(NEXT) | instid1(VALU_DEP_1)
	v_and_b32_e32 v31, 0x7f, v23
	v_cmpx_ne_u32_e32 0x7f, v31
	s_cbranch_execz .LBB311_3215
; %bb.3212:                             ;   in Loop: Header=BB311_2079 Depth=1
	v_and_b32_e32 v5, 7, v23
	v_lshrrev_b32_e32 v30, 3, v31
	s_mov_b32 s23, exec_lo
	v_cmpx_gt_u32_e32 8, v31
; %bb.3213:                             ;   in Loop: Header=BB311_2079 Depth=1
	s_delay_alu instid0(VALU_DEP_3) | instskip(NEXT) | instid1(VALU_DEP_1)
	v_clz_i32_u32_e32 v5, v5
	v_min_u32_e32 v5, 32, v5
	s_delay_alu instid0(VALU_DEP_1) | instskip(NEXT) | instid1(VALU_DEP_1)
	v_subrev_nc_u32_e32 v30, 28, v5
	v_lshlrev_b64_e32 v[31:32], v30, v[2:3]
	v_sub_nc_u32_e32 v30, 29, v5
	s_delay_alu instid0(VALU_DEP_2)
	v_and_b32_e32 v5, 7, v31
; %bb.3214:                             ;   in Loop: Header=BB311_2079 Depth=1
	s_wait_alu 0xfffe
	s_or_b32 exec_lo, exec_lo, s23
	v_lshlrev_b32_e32 v2, 8, v23
	v_lshl_add_u32 v23, v30, 10, 0x2000
	v_lshlrev_b32_e32 v5, 23, v5
	s_delay_alu instid0(VALU_DEP_2) | instskip(NEXT) | instid1(VALU_DEP_1)
	v_and_or_b32 v2, 0x8000, v2, v23
	v_lshl_or_b32 v5, v2, 16, v5
.LBB311_3215:                           ;   in Loop: Header=BB311_2079 Depth=1
	s_wait_alu 0xfffe
	s_or_b32 exec_lo, exec_lo, s22
.LBB311_3216:                           ;   in Loop: Header=BB311_2079 Depth=1
	s_wait_alu 0xfffe
	s_or_b32 exec_lo, exec_lo, s21
.LBB311_3217:                           ;   in Loop: Header=BB311_2079 Depth=1
	s_wait_alu 0xfffe
	s_or_b32 exec_lo, exec_lo, s20
	v_lshrrev_b32_e32 v2, 16, v12
	v_mov_b32_e32 v23, 0
	s_mov_b32 s20, exec_lo
	s_delay_alu instid0(VALU_DEP_2) | instskip(NEXT) | instid1(VALU_DEP_1)
	v_dual_mov_b32 v30, 0 :: v_dual_and_b32 v31, 0xff, v2
	v_cmpx_ne_u16_e32 0, v31
	s_cbranch_execz .LBB311_3225
; %bb.3218:                             ;   in Loop: Header=BB311_2079 Depth=1
	v_mov_b32_e32 v30, 0x8000
	s_mov_b32 s21, exec_lo
	v_cmpx_ne_u16_e32 0x80, v31
	s_cbranch_execz .LBB311_3224
; %bb.3219:                             ;   in Loop: Header=BB311_2079 Depth=1
	v_bfe_u32 v32, v12, 16, 7
	v_mov_b32_e32 v30, 0x7c01
	s_mov_b32 s22, exec_lo
	s_delay_alu instid0(VALU_DEP_2)
	v_cmpx_ne_u32_e32 0x7f, v32
	s_cbranch_execz .LBB311_3223
; %bb.3220:                             ;   in Loop: Header=BB311_2079 Depth=1
	v_and_b32_e32 v30, 7, v2
	v_lshrrev_b32_e32 v31, 3, v32
	s_mov_b32 s23, exec_lo
	v_cmpx_gt_u32_e32 8, v32
; %bb.3221:                             ;   in Loop: Header=BB311_2079 Depth=1
	s_delay_alu instid0(VALU_DEP_3) | instskip(NEXT) | instid1(VALU_DEP_1)
	v_clz_i32_u32_e32 v30, v30
	v_min_u32_e32 v32, 32, v30
	s_delay_alu instid0(VALU_DEP_1) | instskip(NEXT) | instid1(VALU_DEP_1)
	v_subrev_nc_u32_e32 v30, 28, v32
	v_lshlrev_b64_e32 v[30:31], v30, v[2:3]
	v_sub_nc_u32_e32 v31, 29, v32
	s_delay_alu instid0(VALU_DEP_2)
	v_and_b32_e32 v30, 7, v30
; %bb.3222:                             ;   in Loop: Header=BB311_2079 Depth=1
	s_wait_alu 0xfffe
	s_or_b32 exec_lo, exec_lo, s23
	v_lshlrev_b32_e32 v2, 8, v2
	v_lshl_add_u32 v31, v31, 10, 0x2000
	v_lshlrev_b32_e32 v30, 7, v30
	s_delay_alu instid0(VALU_DEP_3) | instskip(NEXT) | instid1(VALU_DEP_3)
	v_and_b32_e32 v2, 0x8000, v2
	v_and_b32_e32 v31, 0xfc00, v31
	s_delay_alu instid0(VALU_DEP_1)
	v_or3_b32 v30, v2, v31, v30
.LBB311_3223:                           ;   in Loop: Header=BB311_2079 Depth=1
	s_wait_alu 0xfffe
	s_or_b32 exec_lo, exec_lo, s22
.LBB311_3224:                           ;   in Loop: Header=BB311_2079 Depth=1
	s_wait_alu 0xfffe
	s_or_b32 exec_lo, exec_lo, s21
.LBB311_3225:                           ;   in Loop: Header=BB311_2079 Depth=1
	s_wait_alu 0xfffe
	s_or_b32 exec_lo, exec_lo, s20
	s_delay_alu instid0(SALU_CYCLE_1)
	s_mov_b32 s20, exec_lo
	v_cmpx_lt_u32_e32 0xffffff, v12
	s_cbranch_execz .LBB311_3233
; %bb.3226:                             ;   in Loop: Header=BB311_2079 Depth=1
	v_lshrrev_b32_e32 v2, 24, v12
	v_bfrev_b32_e32 v23, 1
	s_mov_b32 s21, exec_lo
	s_delay_alu instid0(VALU_DEP_2)
	v_cmpx_ne_u32_e32 0x80, v2
	s_cbranch_execz .LBB311_3232
; %bb.3227:                             ;   in Loop: Header=BB311_2079 Depth=1
	v_and_b32_e32 v32, 0x7f, v2
	v_mov_b32_e32 v23, 0x7c010000
	s_mov_b32 s22, exec_lo
	s_delay_alu instid0(VALU_DEP_2)
	v_cmpx_ne_u32_e32 0x7f, v32
	s_cbranch_execz .LBB311_3231
; %bb.3228:                             ;   in Loop: Header=BB311_2079 Depth=1
	v_and_b32_e32 v23, 7, v2
	v_lshrrev_b32_e32 v31, 3, v32
	s_mov_b32 s23, exec_lo
	v_cmpx_gt_u32_e32 8, v32
; %bb.3229:                             ;   in Loop: Header=BB311_2079 Depth=1
	s_delay_alu instid0(VALU_DEP_3) | instskip(NEXT) | instid1(VALU_DEP_1)
	v_clz_i32_u32_e32 v23, v23
	v_min_u32_e32 v23, 32, v23
	s_delay_alu instid0(VALU_DEP_1) | instskip(NEXT) | instid1(VALU_DEP_1)
	v_subrev_nc_u32_e32 v31, 28, v23
	v_lshlrev_b64_e32 v[32:33], v31, v[2:3]
	v_sub_nc_u32_e32 v31, 29, v23
	s_delay_alu instid0(VALU_DEP_2)
	v_and_b32_e32 v23, 7, v32
; %bb.3230:                             ;   in Loop: Header=BB311_2079 Depth=1
	s_wait_alu 0xfffe
	s_or_b32 exec_lo, exec_lo, s23
	v_lshlrev_b32_e32 v2, 8, v2
	v_lshl_add_u32 v31, v31, 10, 0x2000
	v_lshlrev_b32_e32 v23, 23, v23
	s_delay_alu instid0(VALU_DEP_2) | instskip(NEXT) | instid1(VALU_DEP_1)
	v_and_or_b32 v2, 0x8000, v2, v31
	v_lshl_or_b32 v23, v2, 16, v23
.LBB311_3231:                           ;   in Loop: Header=BB311_2079 Depth=1
	s_wait_alu 0xfffe
	s_or_b32 exec_lo, exec_lo, s22
.LBB311_3232:                           ;   in Loop: Header=BB311_2079 Depth=1
	s_wait_alu 0xfffe
	s_or_b32 exec_lo, exec_lo, s21
.LBB311_3233:                           ;   in Loop: Header=BB311_2079 Depth=1
	s_wait_alu 0xfffe
	s_or_b32 exec_lo, exec_lo, s20
	v_dual_mov_b32 v2, v13 :: v_dual_and_b32 v33, 0xff, v13
	v_dual_mov_b32 v31, 0 :: v_dual_mov_b32 v32, 0
	s_mov_b32 s20, exec_lo
	s_delay_alu instid0(VALU_DEP_2)
	v_cmpx_ne_u16_e32 0, v33
	s_cbranch_execz .LBB311_3241
; %bb.3234:                             ;   in Loop: Header=BB311_2079 Depth=1
	v_mov_b32_e32 v32, 0x8000
	s_mov_b32 s21, exec_lo
	v_cmpx_ne_u16_e32 0x80, v33
	s_cbranch_execz .LBB311_3240
; %bb.3235:                             ;   in Loop: Header=BB311_2079 Depth=1
	v_and_b32_e32 v34, 0x7f, v13
	v_mov_b32_e32 v32, 0x7c01
	s_mov_b32 s22, exec_lo
	s_delay_alu instid0(VALU_DEP_2)
	v_cmpx_ne_u32_e32 0x7f, v34
	s_cbranch_execz .LBB311_3239
; %bb.3236:                             ;   in Loop: Header=BB311_2079 Depth=1
	v_and_b32_e32 v32, 7, v13
	v_lshrrev_b32_e32 v33, 3, v34
	s_mov_b32 s23, exec_lo
	v_cmpx_gt_u32_e32 8, v34
; %bb.3237:                             ;   in Loop: Header=BB311_2079 Depth=1
	s_delay_alu instid0(VALU_DEP_3) | instskip(NEXT) | instid1(VALU_DEP_1)
	v_clz_i32_u32_e32 v32, v32
	v_min_u32_e32 v34, 32, v32
	s_delay_alu instid0(VALU_DEP_1) | instskip(NEXT) | instid1(VALU_DEP_1)
	v_subrev_nc_u32_e32 v32, 28, v34
	v_lshlrev_b64_e32 v[32:33], v32, v[2:3]
	v_sub_nc_u32_e32 v33, 29, v34
	s_delay_alu instid0(VALU_DEP_2)
	v_and_b32_e32 v32, 7, v32
; %bb.3238:                             ;   in Loop: Header=BB311_2079 Depth=1
	s_wait_alu 0xfffe
	s_or_b32 exec_lo, exec_lo, s23
	v_lshlrev_b32_e32 v34, 8, v13
	v_lshl_add_u32 v33, v33, 10, 0x2000
	v_lshlrev_b32_e32 v32, 7, v32
	s_delay_alu instid0(VALU_DEP_3) | instskip(NEXT) | instid1(VALU_DEP_3)
	v_and_b32_e32 v34, 0x8000, v34
	v_and_b32_e32 v33, 0xfc00, v33
	s_delay_alu instid0(VALU_DEP_1)
	v_or3_b32 v32, v34, v33, v32
.LBB311_3239:                           ;   in Loop: Header=BB311_2079 Depth=1
	s_wait_alu 0xfffe
	s_or_b32 exec_lo, exec_lo, s22
.LBB311_3240:                           ;   in Loop: Header=BB311_2079 Depth=1
	s_wait_alu 0xfffe
	s_or_b32 exec_lo, exec_lo, s21
.LBB311_3241:                           ;   in Loop: Header=BB311_2079 Depth=1
	s_wait_alu 0xfffe
	s_or_b32 exec_lo, exec_lo, s20
	v_lshrrev_b16 v2, 8, v2
	v_mov_b32_e32 v33, 0
	s_mov_b32 s20, exec_lo
	s_delay_alu instid0(VALU_DEP_2)
	v_cmpx_ne_u16_e32 0, v2
	s_cbranch_execz .LBB311_3249
; %bb.3242:                             ;   in Loop: Header=BB311_2079 Depth=1
	v_bfrev_b32_e32 v33, 1
	s_mov_b32 s21, exec_lo
	v_cmpx_ne_u16_e32 0x80, v2
	s_cbranch_execz .LBB311_3248
; %bb.3243:                             ;   in Loop: Header=BB311_2079 Depth=1
	v_and_b32_e32 v34, 0xffff, v2
	v_mov_b32_e32 v33, 0x7c010000
	s_mov_b32 s22, exec_lo
	s_delay_alu instid0(VALU_DEP_2) | instskip(NEXT) | instid1(VALU_DEP_1)
	v_and_b32_e32 v165, 0x7f, v34
	v_cmpx_ne_u32_e32 0x7f, v165
	s_cbranch_execz .LBB311_3247
; %bb.3244:                             ;   in Loop: Header=BB311_2079 Depth=1
	v_and_b32_e32 v33, 7, v34
	v_lshrrev_b32_e32 v164, 3, v165
	s_mov_b32 s23, exec_lo
	v_cmpx_gt_u32_e32 8, v165
; %bb.3245:                             ;   in Loop: Header=BB311_2079 Depth=1
	s_delay_alu instid0(VALU_DEP_3) | instskip(NEXT) | instid1(VALU_DEP_1)
	v_clz_i32_u32_e32 v33, v33
	v_min_u32_e32 v33, 32, v33
	s_delay_alu instid0(VALU_DEP_1) | instskip(NEXT) | instid1(VALU_DEP_1)
	v_subrev_nc_u32_e32 v164, 28, v33
	v_lshlrev_b64_e32 v[165:166], v164, v[2:3]
	v_sub_nc_u32_e32 v164, 29, v33
	s_delay_alu instid0(VALU_DEP_2)
	v_and_b32_e32 v33, 7, v165
; %bb.3246:                             ;   in Loop: Header=BB311_2079 Depth=1
	s_wait_alu 0xfffe
	s_or_b32 exec_lo, exec_lo, s23
	v_lshlrev_b32_e32 v2, 8, v34
	v_lshl_add_u32 v34, v164, 10, 0x2000
	v_lshlrev_b32_e32 v33, 23, v33
	s_delay_alu instid0(VALU_DEP_2) | instskip(NEXT) | instid1(VALU_DEP_1)
	v_and_or_b32 v2, 0x8000, v2, v34
	v_lshl_or_b32 v33, v2, 16, v33
.LBB311_3247:                           ;   in Loop: Header=BB311_2079 Depth=1
	s_wait_alu 0xfffe
	s_or_b32 exec_lo, exec_lo, s22
.LBB311_3248:                           ;   in Loop: Header=BB311_2079 Depth=1
	s_wait_alu 0xfffe
	s_or_b32 exec_lo, exec_lo, s21
.LBB311_3249:                           ;   in Loop: Header=BB311_2079 Depth=1
	s_wait_alu 0xfffe
	s_or_b32 exec_lo, exec_lo, s20
	v_lshrrev_b32_e32 v2, 16, v13
	s_mov_b32 s20, exec_lo
	s_delay_alu instid0(VALU_DEP_1) | instskip(NEXT) | instid1(VALU_DEP_1)
	v_and_b32_e32 v34, 0xff, v2
	v_cmpx_ne_u16_e32 0, v34
	s_cbranch_execz .LBB311_3257
; %bb.3250:                             ;   in Loop: Header=BB311_2079 Depth=1
	v_mov_b32_e32 v31, 0x8000
	s_mov_b32 s21, exec_lo
	v_cmpx_ne_u16_e32 0x80, v34
	s_cbranch_execz .LBB311_3256
; %bb.3251:                             ;   in Loop: Header=BB311_2079 Depth=1
	v_bfe_u32 v164, v13, 16, 7
	v_mov_b32_e32 v31, 0x7c01
	s_mov_b32 s22, exec_lo
	s_delay_alu instid0(VALU_DEP_2)
	v_cmpx_ne_u32_e32 0x7f, v164
	s_cbranch_execz .LBB311_3255
; %bb.3252:                             ;   in Loop: Header=BB311_2079 Depth=1
	v_and_b32_e32 v31, 7, v2
	v_lshrrev_b32_e32 v34, 3, v164
	s_mov_b32 s23, exec_lo
	v_cmpx_gt_u32_e32 8, v164
; %bb.3253:                             ;   in Loop: Header=BB311_2079 Depth=1
	s_delay_alu instid0(VALU_DEP_3) | instskip(NEXT) | instid1(VALU_DEP_1)
	v_clz_i32_u32_e32 v31, v31
	v_min_u32_e32 v31, 32, v31
	s_delay_alu instid0(VALU_DEP_1) | instskip(NEXT) | instid1(VALU_DEP_1)
	v_subrev_nc_u32_e32 v34, 28, v31
	v_lshlrev_b64_e32 v[164:165], v34, v[2:3]
	v_sub_nc_u32_e32 v34, 29, v31
	s_delay_alu instid0(VALU_DEP_2)
	v_and_b32_e32 v31, 7, v164
; %bb.3254:                             ;   in Loop: Header=BB311_2079 Depth=1
	s_wait_alu 0xfffe
	s_or_b32 exec_lo, exec_lo, s23
	v_lshlrev_b32_e32 v2, 8, v2
	v_lshl_add_u32 v34, v34, 10, 0x2000
	v_lshlrev_b32_e32 v31, 7, v31
	s_delay_alu instid0(VALU_DEP_3) | instskip(NEXT) | instid1(VALU_DEP_3)
	v_and_b32_e32 v2, 0x8000, v2
	v_and_b32_e32 v34, 0xfc00, v34
	s_delay_alu instid0(VALU_DEP_1)
	v_or3_b32 v31, v2, v34, v31
.LBB311_3255:                           ;   in Loop: Header=BB311_2079 Depth=1
	s_wait_alu 0xfffe
	s_or_b32 exec_lo, exec_lo, s22
.LBB311_3256:                           ;   in Loop: Header=BB311_2079 Depth=1
	s_wait_alu 0xfffe
	s_or_b32 exec_lo, exec_lo, s21
.LBB311_3257:                           ;   in Loop: Header=BB311_2079 Depth=1
	s_wait_alu 0xfffe
	s_or_b32 exec_lo, exec_lo, s20
	v_cmp_lt_u64_e64 s8, s[16:17], v[12:13]
	v_mov_b32_e32 v12, 0
	s_and_saveexec_b32 s20, s8
	s_cbranch_execz .LBB311_3265
; %bb.3258:                             ;   in Loop: Header=BB311_2079 Depth=1
	v_lshrrev_b32_e32 v2, 24, v13
	v_bfrev_b32_e32 v12, 1
	s_mov_b32 s21, exec_lo
	s_delay_alu instid0(VALU_DEP_2)
	v_cmpx_ne_u32_e32 0x80, v2
	s_cbranch_execz .LBB311_3264
; %bb.3259:                             ;   in Loop: Header=BB311_2079 Depth=1
	v_and_b32_e32 v34, 0x7f, v2
	v_mov_b32_e32 v12, 0x7c010000
	s_mov_b32 s22, exec_lo
	s_delay_alu instid0(VALU_DEP_2)
	v_cmpx_ne_u32_e32 0x7f, v34
	s_cbranch_execz .LBB311_3263
; %bb.3260:                             ;   in Loop: Header=BB311_2079 Depth=1
	v_and_b32_e32 v12, 7, v2
	v_lshrrev_b32_e32 v13, 3, v34
	s_mov_b32 s23, exec_lo
	v_cmpx_gt_u32_e32 8, v34
; %bb.3261:                             ;   in Loop: Header=BB311_2079 Depth=1
	s_delay_alu instid0(VALU_DEP_3) | instskip(NEXT) | instid1(VALU_DEP_1)
	v_clz_i32_u32_e32 v12, v12
	v_min_u32_e32 v34, 32, v12
	s_delay_alu instid0(VALU_DEP_1) | instskip(NEXT) | instid1(VALU_DEP_1)
	v_subrev_nc_u32_e32 v12, 28, v34
	v_lshlrev_b64_e32 v[12:13], v12, v[2:3]
	v_sub_nc_u32_e32 v13, 29, v34
	s_delay_alu instid0(VALU_DEP_2)
	v_and_b32_e32 v12, 7, v12
; %bb.3262:                             ;   in Loop: Header=BB311_2079 Depth=1
	s_wait_alu 0xfffe
	s_or_b32 exec_lo, exec_lo, s23
	v_lshlrev_b32_e32 v2, 8, v2
	v_lshl_add_u32 v13, v13, 10, 0x2000
	v_lshlrev_b32_e32 v12, 23, v12
	s_delay_alu instid0(VALU_DEP_2) | instskip(NEXT) | instid1(VALU_DEP_1)
	v_and_or_b32 v2, 0x8000, v2, v13
	v_lshl_or_b32 v12, v2, 16, v12
.LBB311_3263:                           ;   in Loop: Header=BB311_2079 Depth=1
	s_wait_alu 0xfffe
	s_or_b32 exec_lo, exec_lo, s22
.LBB311_3264:                           ;   in Loop: Header=BB311_2079 Depth=1
	s_wait_alu 0xfffe
	s_or_b32 exec_lo, exec_lo, s21
.LBB311_3265:                           ;   in Loop: Header=BB311_2079 Depth=1
	s_wait_alu 0xfffe
	s_or_b32 exec_lo, exec_lo, s20
	v_or_b32_e32 v2, v23, v30
	s_wait_loadcnt_dscnt 0x0
	v_fma_mixlo_f16 v13, v4, v23, 0 op_sel:[0,1,0] op_sel_hi:[0,1,0]
	v_or_b32_e32 v22, v5, v22
	v_fma_mixlo_f16 v5, v4, v5, 0 op_sel:[0,1,0] op_sel_hi:[0,1,0]
	v_or_b32_e32 v23, v33, v32
	v_fma_mixlo_f16 v30, v4, v2, 0 op_sel_hi:[0,1,0]
	v_or_b32_e32 v31, v12, v31
	v_lshlrev_b32_e32 v2, 16, v13
	v_lshlrev_b32_e32 v13, 16, v5
	v_fma_mixlo_f16 v22, v4, v22, 0 op_sel_hi:[0,1,0]
	v_and_b32_e32 v5, 0xffff, v30
	v_fma_mixlo_f16 v30, v4, v33, 0 op_sel:[0,1,0] op_sel_hi:[0,1,0]
	v_fma_mixlo_f16 v23, v4, v23, 0 op_sel_hi:[0,1,0]
	v_fma_mixlo_f16 v12, v4, v12, 0 op_sel:[0,1,0] op_sel_hi:[0,1,0]
	v_fma_mixlo_f16 v4, v4, v31, 0 op_sel_hi:[0,1,0]
	v_and_b32_e32 v34, 0xffff, v22
	v_lshlrev_b32_e32 v31, 16, v30
	v_and_b32_e32 v33, 0xffff, v23
	v_lshlrev_b32_e32 v30, 16, v12
	v_and_b32_e32 v32, 0xffff, v4
	v_or_b32_e32 v4, v2, v5
	v_or_b32_e32 v23, v13, v34
	;; [unrolled: 1-line block ×3, first 2 shown]
	s_delay_alu instid0(VALU_DEP_4)
	v_or_b32_e32 v12, v30, v32
	s_and_saveexec_b32 s8, s2
	s_cbranch_execz .LBB311_3267
; %bb.3266:                             ;   in Loop: Header=BB311_2079 Depth=1
	s_wait_alu 0xfffd
	v_cndmask_b32_e32 v4, 0, v34, vcc_lo
	v_cndmask_b32_e64 v12, 0, v13, s1
	v_cndmask_b32_e64 v5, 0, v5, s0
	;; [unrolled: 1-line block ×7, first 2 shown]
	v_or_b32_e32 v23, v4, v12
	v_or_b32_e32 v4, v5, v2
	;; [unrolled: 1-line block ×3, first 2 shown]
	s_delay_alu instid0(VALU_DEP_4)
	v_or_b32_e32 v12, v31, v30
.LBB311_3267:                           ;   in Loop: Header=BB311_2079 Depth=1
	s_wait_alu 0xfffe
	s_or_b32 exec_lo, exec_lo, s8
	;;#ASMSTART
	v_pk_mul_f16 v2, v98, v23;

	;;#ASMEND
	;;#ASMSTART
	v_pk_mul_f16 v4, v96, v4;

	;;#ASMEND
	;; [unrolled: 4-line block ×4, first 2 shown]
	;;#ASMSTART
	v_pk_add_f16 v2, v2, v4;

	;;#ASMEND
	;;#ASMSTART
	v_pk_add_f16 v2, v2, v5;

	;;#ASMEND
	;; [unrolled: 4-line block ×3, first 2 shown]
	v_dual_mov_b32 v23, 0 :: v_dual_and_b32 v4, 0xffff, v2
	v_lshrrev_b32_e32 v2, 16, v2
	;;#ASMSTART
	v_cvt_f32_f16 v4, v4;
	;;#ASMEND
	;;#ASMSTART
	v_cvt_f32_f16 v5, v2;
	;;#ASMEND
	flat_load_b64 v[12:13], v[10:11] offset:4608
	flat_load_b32 v22, v[26:27]
	v_mov_b32_e32 v30, 0
	s_mov_b32 s20, exec_lo
	s_wait_loadcnt_dscnt 0x101
	v_and_b32_e32 v2, 0xff, v12
	s_delay_alu instid0(VALU_DEP_1)
	v_cmpx_ne_u16_e32 0, v2
	s_cbranch_execz .LBB311_3275
; %bb.3268:                             ;   in Loop: Header=BB311_2079 Depth=1
	v_mov_b32_e32 v30, 0x8000
	s_mov_b32 s21, exec_lo
	v_cmpx_ne_u16_e32 0x80, v2
	s_cbranch_execz .LBB311_3274
; %bb.3269:                             ;   in Loop: Header=BB311_2079 Depth=1
	v_and_b32_e32 v31, 0x7f, v12
	v_mov_b32_e32 v30, 0x7c01
	s_mov_b32 s22, exec_lo
	s_delay_alu instid0(VALU_DEP_2)
	v_cmpx_ne_u32_e32 0x7f, v31
	s_cbranch_execz .LBB311_3273
; %bb.3270:                             ;   in Loop: Header=BB311_2079 Depth=1
	v_and_b32_e32 v2, 7, v12
	v_lshrrev_b32_e32 v30, 3, v31
	s_mov_b32 s23, exec_lo
	v_cmpx_gt_u32_e32 8, v31
; %bb.3271:                             ;   in Loop: Header=BB311_2079 Depth=1
	s_delay_alu instid0(VALU_DEP_3) | instskip(NEXT) | instid1(VALU_DEP_1)
	v_clz_i32_u32_e32 v2, v2
	v_min_u32_e32 v2, 32, v2
	s_delay_alu instid0(VALU_DEP_1) | instskip(NEXT) | instid1(VALU_DEP_1)
	v_subrev_nc_u32_e32 v30, 28, v2
	v_lshlrev_b64_e32 v[31:32], v30, v[12:13]
	v_sub_nc_u32_e32 v30, 29, v2
	s_delay_alu instid0(VALU_DEP_2)
	v_and_b32_e32 v2, 7, v31
; %bb.3272:                             ;   in Loop: Header=BB311_2079 Depth=1
	s_wait_alu 0xfffe
	s_or_b32 exec_lo, exec_lo, s23
	v_lshlrev_b32_e32 v31, 8, v12
	v_lshl_add_u32 v30, v30, 10, 0x2000
	v_lshlrev_b32_e32 v2, 7, v2
	s_delay_alu instid0(VALU_DEP_3) | instskip(NEXT) | instid1(VALU_DEP_3)
	v_and_b32_e32 v31, 0x8000, v31
	v_and_b32_e32 v30, 0xfc00, v30
	s_delay_alu instid0(VALU_DEP_1)
	v_or3_b32 v30, v31, v30, v2
.LBB311_3273:                           ;   in Loop: Header=BB311_2079 Depth=1
	s_wait_alu 0xfffe
	s_or_b32 exec_lo, exec_lo, s22
.LBB311_3274:                           ;   in Loop: Header=BB311_2079 Depth=1
	s_wait_alu 0xfffe
	s_or_b32 exec_lo, exec_lo, s21
.LBB311_3275:                           ;   in Loop: Header=BB311_2079 Depth=1
	s_wait_alu 0xfffe
	s_or_b32 exec_lo, exec_lo, s20
	v_lshrrev_b16 v2, 8, v12
	s_mov_b32 s20, exec_lo
	s_delay_alu instid0(VALU_DEP_1)
	v_cmpx_ne_u16_e32 0, v2
	s_cbranch_execz .LBB311_3283
; %bb.3276:                             ;   in Loop: Header=BB311_2079 Depth=1
	v_bfrev_b32_e32 v23, 1
	s_mov_b32 s21, exec_lo
	v_cmpx_ne_u16_e32 0x80, v2
	s_cbranch_execz .LBB311_3282
; %bb.3277:                             ;   in Loop: Header=BB311_2079 Depth=1
	v_and_b32_e32 v31, 0xffff, v2
	v_mov_b32_e32 v23, 0x7c010000
	s_mov_b32 s22, exec_lo
	s_delay_alu instid0(VALU_DEP_2) | instskip(NEXT) | instid1(VALU_DEP_1)
	v_and_b32_e32 v33, 0x7f, v31
	v_cmpx_ne_u32_e32 0x7f, v33
	s_cbranch_execz .LBB311_3281
; %bb.3278:                             ;   in Loop: Header=BB311_2079 Depth=1
	v_and_b32_e32 v23, 7, v31
	v_lshrrev_b32_e32 v32, 3, v33
	s_mov_b32 s23, exec_lo
	v_cmpx_gt_u32_e32 8, v33
; %bb.3279:                             ;   in Loop: Header=BB311_2079 Depth=1
	s_delay_alu instid0(VALU_DEP_3) | instskip(NEXT) | instid1(VALU_DEP_1)
	v_clz_i32_u32_e32 v23, v23
	v_min_u32_e32 v23, 32, v23
	s_delay_alu instid0(VALU_DEP_1) | instskip(NEXT) | instid1(VALU_DEP_1)
	v_subrev_nc_u32_e32 v32, 28, v23
	v_lshlrev_b64_e32 v[33:34], v32, v[2:3]
	v_sub_nc_u32_e32 v32, 29, v23
	s_delay_alu instid0(VALU_DEP_2)
	v_and_b32_e32 v23, 7, v33
; %bb.3280:                             ;   in Loop: Header=BB311_2079 Depth=1
	s_wait_alu 0xfffe
	s_or_b32 exec_lo, exec_lo, s23
	v_lshlrev_b32_e32 v2, 8, v31
	v_lshl_add_u32 v31, v32, 10, 0x2000
	v_lshlrev_b32_e32 v23, 23, v23
	s_delay_alu instid0(VALU_DEP_2) | instskip(NEXT) | instid1(VALU_DEP_1)
	v_and_or_b32 v2, 0x8000, v2, v31
	v_lshl_or_b32 v23, v2, 16, v23
.LBB311_3281:                           ;   in Loop: Header=BB311_2079 Depth=1
	s_wait_alu 0xfffe
	s_or_b32 exec_lo, exec_lo, s22
.LBB311_3282:                           ;   in Loop: Header=BB311_2079 Depth=1
	s_wait_alu 0xfffe
	s_or_b32 exec_lo, exec_lo, s21
.LBB311_3283:                           ;   in Loop: Header=BB311_2079 Depth=1
	s_wait_alu 0xfffe
	s_or_b32 exec_lo, exec_lo, s20
	v_lshrrev_b32_e32 v2, 16, v12
	v_mov_b32_e32 v31, 0
	s_mov_b32 s20, exec_lo
	s_delay_alu instid0(VALU_DEP_2) | instskip(NEXT) | instid1(VALU_DEP_1)
	v_dual_mov_b32 v32, 0 :: v_dual_and_b32 v33, 0xff, v2
	v_cmpx_ne_u16_e32 0, v33
	s_cbranch_execz .LBB311_3291
; %bb.3284:                             ;   in Loop: Header=BB311_2079 Depth=1
	v_mov_b32_e32 v32, 0x8000
	s_mov_b32 s21, exec_lo
	v_cmpx_ne_u16_e32 0x80, v33
	s_cbranch_execz .LBB311_3290
; %bb.3285:                             ;   in Loop: Header=BB311_2079 Depth=1
	v_bfe_u32 v34, v12, 16, 7
	v_mov_b32_e32 v32, 0x7c01
	s_mov_b32 s22, exec_lo
	s_delay_alu instid0(VALU_DEP_2)
	v_cmpx_ne_u32_e32 0x7f, v34
	s_cbranch_execz .LBB311_3289
; %bb.3286:                             ;   in Loop: Header=BB311_2079 Depth=1
	v_and_b32_e32 v32, 7, v2
	v_lshrrev_b32_e32 v33, 3, v34
	s_mov_b32 s23, exec_lo
	v_cmpx_gt_u32_e32 8, v34
; %bb.3287:                             ;   in Loop: Header=BB311_2079 Depth=1
	s_delay_alu instid0(VALU_DEP_3) | instskip(NEXT) | instid1(VALU_DEP_1)
	v_clz_i32_u32_e32 v32, v32
	v_min_u32_e32 v34, 32, v32
	s_delay_alu instid0(VALU_DEP_1) | instskip(NEXT) | instid1(VALU_DEP_1)
	v_subrev_nc_u32_e32 v32, 28, v34
	v_lshlrev_b64_e32 v[32:33], v32, v[2:3]
	v_sub_nc_u32_e32 v33, 29, v34
	s_delay_alu instid0(VALU_DEP_2)
	v_and_b32_e32 v32, 7, v32
; %bb.3288:                             ;   in Loop: Header=BB311_2079 Depth=1
	s_wait_alu 0xfffe
	s_or_b32 exec_lo, exec_lo, s23
	v_lshlrev_b32_e32 v2, 8, v2
	v_lshl_add_u32 v33, v33, 10, 0x2000
	v_lshlrev_b32_e32 v32, 7, v32
	s_delay_alu instid0(VALU_DEP_3) | instskip(NEXT) | instid1(VALU_DEP_3)
	v_and_b32_e32 v2, 0x8000, v2
	v_and_b32_e32 v33, 0xfc00, v33
	s_delay_alu instid0(VALU_DEP_1)
	v_or3_b32 v32, v2, v33, v32
.LBB311_3289:                           ;   in Loop: Header=BB311_2079 Depth=1
	s_wait_alu 0xfffe
	s_or_b32 exec_lo, exec_lo, s22
.LBB311_3290:                           ;   in Loop: Header=BB311_2079 Depth=1
	s_wait_alu 0xfffe
	s_or_b32 exec_lo, exec_lo, s21
.LBB311_3291:                           ;   in Loop: Header=BB311_2079 Depth=1
	s_wait_alu 0xfffe
	s_or_b32 exec_lo, exec_lo, s20
	s_delay_alu instid0(SALU_CYCLE_1)
	s_mov_b32 s20, exec_lo
	v_cmpx_lt_u32_e32 0xffffff, v12
	s_cbranch_execz .LBB311_3299
; %bb.3292:                             ;   in Loop: Header=BB311_2079 Depth=1
	v_lshrrev_b32_e32 v2, 24, v12
	v_bfrev_b32_e32 v31, 1
	s_mov_b32 s21, exec_lo
	s_delay_alu instid0(VALU_DEP_2)
	v_cmpx_ne_u32_e32 0x80, v2
	s_cbranch_execz .LBB311_3298
; %bb.3293:                             ;   in Loop: Header=BB311_2079 Depth=1
	v_and_b32_e32 v34, 0x7f, v2
	v_mov_b32_e32 v31, 0x7c010000
	s_mov_b32 s22, exec_lo
	s_delay_alu instid0(VALU_DEP_2)
	v_cmpx_ne_u32_e32 0x7f, v34
	s_cbranch_execz .LBB311_3297
; %bb.3294:                             ;   in Loop: Header=BB311_2079 Depth=1
	v_and_b32_e32 v31, 7, v2
	v_lshrrev_b32_e32 v33, 3, v34
	s_mov_b32 s23, exec_lo
	v_cmpx_gt_u32_e32 8, v34
; %bb.3295:                             ;   in Loop: Header=BB311_2079 Depth=1
	s_delay_alu instid0(VALU_DEP_3) | instskip(NEXT) | instid1(VALU_DEP_1)
	v_clz_i32_u32_e32 v31, v31
	v_min_u32_e32 v31, 32, v31
	s_delay_alu instid0(VALU_DEP_1) | instskip(NEXT) | instid1(VALU_DEP_1)
	v_subrev_nc_u32_e32 v33, 28, v31
	v_lshlrev_b64_e32 v[164:165], v33, v[2:3]
	v_sub_nc_u32_e32 v33, 29, v31
	s_delay_alu instid0(VALU_DEP_2)
	v_and_b32_e32 v31, 7, v164
; %bb.3296:                             ;   in Loop: Header=BB311_2079 Depth=1
	s_wait_alu 0xfffe
	s_or_b32 exec_lo, exec_lo, s23
	v_lshlrev_b32_e32 v2, 8, v2
	v_lshl_add_u32 v33, v33, 10, 0x2000
	v_lshlrev_b32_e32 v31, 23, v31
	s_delay_alu instid0(VALU_DEP_2) | instskip(NEXT) | instid1(VALU_DEP_1)
	v_and_or_b32 v2, 0x8000, v2, v33
	v_lshl_or_b32 v31, v2, 16, v31
.LBB311_3297:                           ;   in Loop: Header=BB311_2079 Depth=1
	s_wait_alu 0xfffe
	s_or_b32 exec_lo, exec_lo, s22
.LBB311_3298:                           ;   in Loop: Header=BB311_2079 Depth=1
	s_wait_alu 0xfffe
	s_or_b32 exec_lo, exec_lo, s21
.LBB311_3299:                           ;   in Loop: Header=BB311_2079 Depth=1
	s_wait_alu 0xfffe
	s_or_b32 exec_lo, exec_lo, s20
	v_dual_mov_b32 v33, 0 :: v_dual_and_b32 v164, 0xff, v13
	v_mov_b32_e32 v2, v13
	v_mov_b32_e32 v34, 0
	s_mov_b32 s20, exec_lo
	s_delay_alu instid0(VALU_DEP_3)
	v_cmpx_ne_u16_e64 0, v164
	s_cbranch_execz .LBB311_3307
; %bb.3300:                             ;   in Loop: Header=BB311_2079 Depth=1
	v_mov_b32_e32 v34, 0x8000
	s_mov_b32 s21, exec_lo
	v_cmpx_ne_u16_e64 0x80, v164
	s_cbranch_execz .LBB311_3306
; %bb.3301:                             ;   in Loop: Header=BB311_2079 Depth=1
	v_and_b32_e32 v165, 0x7f, v13
	v_mov_b32_e32 v34, 0x7c01
	s_mov_b32 s22, exec_lo
	s_delay_alu instid0(VALU_DEP_2)
	v_cmpx_ne_u32_e32 0x7f, v165
	s_cbranch_execz .LBB311_3305
; %bb.3302:                             ;   in Loop: Header=BB311_2079 Depth=1
	v_and_b32_e32 v34, 7, v13
	v_lshrrev_b32_e32 v164, 3, v165
	s_mov_b32 s23, exec_lo
	v_cmpx_gt_u32_e32 8, v165
; %bb.3303:                             ;   in Loop: Header=BB311_2079 Depth=1
	s_delay_alu instid0(VALU_DEP_3) | instskip(NEXT) | instid1(VALU_DEP_1)
	v_clz_i32_u32_e32 v34, v34
	v_min_u32_e32 v34, 32, v34
	s_delay_alu instid0(VALU_DEP_1) | instskip(NEXT) | instid1(VALU_DEP_1)
	v_subrev_nc_u32_e32 v164, 28, v34
	v_lshlrev_b64_e32 v[165:166], v164, v[2:3]
	v_sub_nc_u32_e32 v164, 29, v34
	s_delay_alu instid0(VALU_DEP_2)
	v_and_b32_e32 v34, 7, v165
; %bb.3304:                             ;   in Loop: Header=BB311_2079 Depth=1
	s_wait_alu 0xfffe
	s_or_b32 exec_lo, exec_lo, s23
	v_lshlrev_b32_e32 v165, 8, v13
	v_lshl_add_u32 v164, v164, 10, 0x2000
	v_lshlrev_b32_e32 v34, 7, v34
	s_delay_alu instid0(VALU_DEP_3) | instskip(NEXT) | instid1(VALU_DEP_3)
	v_and_b32_e32 v165, 0x8000, v165
	v_and_b32_e32 v164, 0xfc00, v164
	s_delay_alu instid0(VALU_DEP_1)
	v_or3_b32 v34, v165, v164, v34
.LBB311_3305:                           ;   in Loop: Header=BB311_2079 Depth=1
	s_wait_alu 0xfffe
	s_or_b32 exec_lo, exec_lo, s22
.LBB311_3306:                           ;   in Loop: Header=BB311_2079 Depth=1
	s_wait_alu 0xfffe
	s_or_b32 exec_lo, exec_lo, s21
.LBB311_3307:                           ;   in Loop: Header=BB311_2079 Depth=1
	s_wait_alu 0xfffe
	s_or_b32 exec_lo, exec_lo, s20
	v_lshrrev_b16 v2, 8, v2
	v_mov_b32_e32 v164, 0
	s_mov_b32 s20, exec_lo
	s_delay_alu instid0(VALU_DEP_2)
	v_cmpx_ne_u16_e32 0, v2
	s_cbranch_execz .LBB311_3315
; %bb.3308:                             ;   in Loop: Header=BB311_2079 Depth=1
	v_bfrev_b32_e32 v164, 1
	s_mov_b32 s21, exec_lo
	v_cmpx_ne_u16_e32 0x80, v2
	s_cbranch_execz .LBB311_3314
; %bb.3309:                             ;   in Loop: Header=BB311_2079 Depth=1
	v_and_b32_e32 v165, 0xffff, v2
	v_mov_b32_e32 v164, 0x7c010000
	s_mov_b32 s22, exec_lo
	s_delay_alu instid0(VALU_DEP_2) | instskip(NEXT) | instid1(VALU_DEP_1)
	v_and_b32_e32 v167, 0x7f, v165
	v_cmpx_ne_u32_e32 0x7f, v167
	s_cbranch_execz .LBB311_3313
; %bb.3310:                             ;   in Loop: Header=BB311_2079 Depth=1
	v_and_b32_e32 v164, 7, v165
	v_lshrrev_b32_e32 v166, 3, v167
	s_mov_b32 s23, exec_lo
	v_cmpx_gt_u32_e32 8, v167
; %bb.3311:                             ;   in Loop: Header=BB311_2079 Depth=1
	s_delay_alu instid0(VALU_DEP_3) | instskip(NEXT) | instid1(VALU_DEP_1)
	v_clz_i32_u32_e32 v164, v164
	v_min_u32_e32 v164, 32, v164
	s_delay_alu instid0(VALU_DEP_1) | instskip(NEXT) | instid1(VALU_DEP_1)
	v_subrev_nc_u32_e32 v166, 28, v164
	v_lshlrev_b64_e32 v[176:177], v166, v[2:3]
	v_sub_nc_u32_e32 v166, 29, v164
	s_delay_alu instid0(VALU_DEP_2)
	v_and_b32_e32 v164, 7, v176
; %bb.3312:                             ;   in Loop: Header=BB311_2079 Depth=1
	s_wait_alu 0xfffe
	s_or_b32 exec_lo, exec_lo, s23
	v_lshlrev_b32_e32 v2, 8, v165
	v_lshl_add_u32 v165, v166, 10, 0x2000
	v_lshlrev_b32_e32 v164, 23, v164
	s_delay_alu instid0(VALU_DEP_2) | instskip(NEXT) | instid1(VALU_DEP_1)
	v_and_or_b32 v2, 0x8000, v2, v165
	v_lshl_or_b32 v164, v2, 16, v164
.LBB311_3313:                           ;   in Loop: Header=BB311_2079 Depth=1
	s_wait_alu 0xfffe
	s_or_b32 exec_lo, exec_lo, s22
.LBB311_3314:                           ;   in Loop: Header=BB311_2079 Depth=1
	s_wait_alu 0xfffe
	s_or_b32 exec_lo, exec_lo, s21
.LBB311_3315:                           ;   in Loop: Header=BB311_2079 Depth=1
	s_wait_alu 0xfffe
	s_or_b32 exec_lo, exec_lo, s20
	v_lshrrev_b32_e32 v2, 16, v13
	s_mov_b32 s20, exec_lo
	s_delay_alu instid0(VALU_DEP_1) | instskip(NEXT) | instid1(VALU_DEP_1)
	v_and_b32_e32 v165, 0xff, v2
	v_cmpx_ne_u16_e64 0, v165
	s_cbranch_execz .LBB311_3323
; %bb.3316:                             ;   in Loop: Header=BB311_2079 Depth=1
	v_mov_b32_e32 v33, 0x8000
	s_mov_b32 s21, exec_lo
	v_cmpx_ne_u16_e64 0x80, v165
	s_cbranch_execz .LBB311_3322
; %bb.3317:                             ;   in Loop: Header=BB311_2079 Depth=1
	v_bfe_u32 v166, v13, 16, 7
	v_mov_b32_e32 v33, 0x7c01
	s_mov_b32 s22, exec_lo
	s_delay_alu instid0(VALU_DEP_2)
	v_cmpx_ne_u32_e32 0x7f, v166
	s_cbranch_execz .LBB311_3321
; %bb.3318:                             ;   in Loop: Header=BB311_2079 Depth=1
	v_and_b32_e32 v33, 7, v2
	v_lshrrev_b32_e32 v165, 3, v166
	s_mov_b32 s23, exec_lo
	v_cmpx_gt_u32_e32 8, v166
; %bb.3319:                             ;   in Loop: Header=BB311_2079 Depth=1
	s_delay_alu instid0(VALU_DEP_3) | instskip(NEXT) | instid1(VALU_DEP_1)
	v_clz_i32_u32_e32 v33, v33
	v_min_u32_e32 v33, 32, v33
	s_delay_alu instid0(VALU_DEP_1) | instskip(NEXT) | instid1(VALU_DEP_1)
	v_subrev_nc_u32_e32 v165, 28, v33
	v_lshlrev_b64_e32 v[166:167], v165, v[2:3]
	v_sub_nc_u32_e32 v165, 29, v33
	s_delay_alu instid0(VALU_DEP_2)
	v_and_b32_e32 v33, 7, v166
; %bb.3320:                             ;   in Loop: Header=BB311_2079 Depth=1
	s_wait_alu 0xfffe
	s_or_b32 exec_lo, exec_lo, s23
	v_lshlrev_b32_e32 v2, 8, v2
	v_lshl_add_u32 v165, v165, 10, 0x2000
	v_lshlrev_b32_e32 v33, 7, v33
	s_delay_alu instid0(VALU_DEP_3) | instskip(NEXT) | instid1(VALU_DEP_3)
	v_and_b32_e32 v2, 0x8000, v2
	v_and_b32_e32 v165, 0xfc00, v165
	s_delay_alu instid0(VALU_DEP_1)
	v_or3_b32 v33, v2, v165, v33
.LBB311_3321:                           ;   in Loop: Header=BB311_2079 Depth=1
	s_wait_alu 0xfffe
	s_or_b32 exec_lo, exec_lo, s22
.LBB311_3322:                           ;   in Loop: Header=BB311_2079 Depth=1
	s_wait_alu 0xfffe
	s_or_b32 exec_lo, exec_lo, s21
.LBB311_3323:                           ;   in Loop: Header=BB311_2079 Depth=1
	s_wait_alu 0xfffe
	s_or_b32 exec_lo, exec_lo, s20
	v_cmp_lt_u64_e64 s8, s[16:17], v[12:13]
	v_mov_b32_e32 v12, 0
	s_and_saveexec_b32 s20, s8
	s_cbranch_execz .LBB311_3331
; %bb.3324:                             ;   in Loop: Header=BB311_2079 Depth=1
	v_lshrrev_b32_e32 v2, 24, v13
	v_bfrev_b32_e32 v12, 1
	s_mov_b32 s21, exec_lo
	s_delay_alu instid0(VALU_DEP_2)
	v_cmpx_ne_u32_e32 0x80, v2
	s_cbranch_execz .LBB311_3330
; %bb.3325:                             ;   in Loop: Header=BB311_2079 Depth=1
	v_and_b32_e32 v165, 0x7f, v2
	v_mov_b32_e32 v12, 0x7c010000
	s_mov_b32 s22, exec_lo
	s_delay_alu instid0(VALU_DEP_2)
	v_cmpx_ne_u32_e32 0x7f, v165
	s_cbranch_execz .LBB311_3329
; %bb.3326:                             ;   in Loop: Header=BB311_2079 Depth=1
	v_and_b32_e32 v12, 7, v2
	v_lshrrev_b32_e32 v13, 3, v165
	s_mov_b32 s23, exec_lo
	v_cmpx_gt_u32_e32 8, v165
; %bb.3327:                             ;   in Loop: Header=BB311_2079 Depth=1
	s_delay_alu instid0(VALU_DEP_3) | instskip(NEXT) | instid1(VALU_DEP_1)
	v_clz_i32_u32_e32 v12, v12
	v_min_u32_e32 v165, 32, v12
	s_delay_alu instid0(VALU_DEP_1) | instskip(NEXT) | instid1(VALU_DEP_1)
	v_subrev_nc_u32_e32 v12, 28, v165
	v_lshlrev_b64_e32 v[12:13], v12, v[2:3]
	v_sub_nc_u32_e32 v13, 29, v165
	s_delay_alu instid0(VALU_DEP_2)
	v_and_b32_e32 v12, 7, v12
; %bb.3328:                             ;   in Loop: Header=BB311_2079 Depth=1
	s_wait_alu 0xfffe
	s_or_b32 exec_lo, exec_lo, s23
	v_lshlrev_b32_e32 v2, 8, v2
	v_lshl_add_u32 v13, v13, 10, 0x2000
	v_lshlrev_b32_e32 v12, 23, v12
	s_delay_alu instid0(VALU_DEP_2) | instskip(NEXT) | instid1(VALU_DEP_1)
	v_and_or_b32 v2, 0x8000, v2, v13
	v_lshl_or_b32 v12, v2, 16, v12
.LBB311_3329:                           ;   in Loop: Header=BB311_2079 Depth=1
	s_wait_alu 0xfffe
	s_or_b32 exec_lo, exec_lo, s22
.LBB311_3330:                           ;   in Loop: Header=BB311_2079 Depth=1
	s_wait_alu 0xfffe
	s_or_b32 exec_lo, exec_lo, s21
.LBB311_3331:                           ;   in Loop: Header=BB311_2079 Depth=1
	s_wait_alu 0xfffe
	s_or_b32 exec_lo, exec_lo, s20
	v_or_b32_e32 v2, v31, v32
	s_wait_loadcnt_dscnt 0x0
	v_fma_mixlo_f16 v13, v22, v31, 0 op_sel:[0,1,0] op_sel_hi:[0,1,0]
	v_or_b32_e32 v30, v23, v30
	v_or_b32_e32 v31, v164, v34
	;; [unrolled: 1-line block ×3, first 2 shown]
	v_fma_mixlo_f16 v32, v22, v2, 0 op_sel_hi:[0,1,0]
	v_fma_mixlo_f16 v23, v22, v23, 0 op_sel:[0,1,0] op_sel_hi:[0,1,0]
	v_lshlrev_b32_e32 v2, 16, v13
	v_fma_mixlo_f16 v30, v22, v30, 0 op_sel_hi:[0,1,0]
	v_fma_mixlo_f16 v31, v22, v31, 0 op_sel_hi:[0,1,0]
	v_and_b32_e32 v13, 0xffff, v32
	v_fma_mixlo_f16 v32, v22, v164, 0 op_sel:[0,1,0] op_sel_hi:[0,1,0]
	v_fma_mixlo_f16 v12, v22, v12, 0 op_sel:[0,1,0] op_sel_hi:[0,1,0]
	v_fma_mixlo_f16 v22, v22, v33, 0 op_sel_hi:[0,1,0]
	v_lshlrev_b32_e32 v23, 16, v23
	v_and_b32_e32 v165, 0xffff, v30
	v_lshlrev_b32_e32 v33, 16, v32
	v_and_b32_e32 v164, 0xffff, v31
	;; [unrolled: 2-line block ×3, first 2 shown]
	v_or_b32_e32 v12, v2, v13
	v_or_b32_e32 v31, v23, v165
	;; [unrolled: 1-line block ×3, first 2 shown]
	s_delay_alu instid0(VALU_DEP_4)
	v_or_b32_e32 v22, v32, v34
	s_and_saveexec_b32 s8, s2
	s_cbranch_execz .LBB311_3333
; %bb.3332:                             ;   in Loop: Header=BB311_2079 Depth=1
	s_wait_alu 0xfffd
	v_cndmask_b32_e32 v12, 0, v165, vcc_lo
	v_cndmask_b32_e64 v22, 0, v23, s1
	v_cndmask_b32_e64 v13, 0, v13, s0
	;; [unrolled: 1-line block ×7, first 2 shown]
	v_or_b32_e32 v31, v12, v22
	v_or_b32_e32 v12, v13, v2
	;; [unrolled: 1-line block ×3, first 2 shown]
	s_delay_alu instid0(VALU_DEP_4)
	v_or_b32_e32 v22, v33, v32
.LBB311_3333:                           ;   in Loop: Header=BB311_2079 Depth=1
	s_wait_alu 0xfffe
	s_or_b32 exec_lo, exec_lo, s8
	;;#ASMSTART
	v_pk_mul_f16 v2, v98, v31;

	;;#ASMEND
	;;#ASMSTART
	v_pk_mul_f16 v12, v96, v12;

	;;#ASMEND
	;; [unrolled: 4-line block ×4, first 2 shown]
	;;#ASMSTART
	v_pk_add_f16 v2, v2, v12;

	;;#ASMEND
	;;#ASMSTART
	v_pk_add_f16 v2, v2, v13;

	;;#ASMEND
	;; [unrolled: 4-line block ×3, first 2 shown]
	v_dual_mov_b32 v31, 0 :: v_dual_and_b32 v12, 0xffff, v2
	v_lshrrev_b32_e32 v2, 16, v2
	;;#ASMSTART
	v_cvt_f32_f16 v22, v12;
	;;#ASMEND
	;;#ASMSTART
	v_cvt_f32_f16 v23, v2;
	;;#ASMEND
	flat_load_b64 v[12:13], v[10:11] offset:4864
	flat_load_b32 v30, v[26:27]
	v_mov_b32_e32 v32, 0
	s_mov_b32 s20, exec_lo
	s_wait_loadcnt_dscnt 0x101
	v_and_b32_e32 v2, 0xff, v12
	s_delay_alu instid0(VALU_DEP_1)
	v_cmpx_ne_u16_e32 0, v2
	s_cbranch_execz .LBB311_3341
; %bb.3334:                             ;   in Loop: Header=BB311_2079 Depth=1
	v_mov_b32_e32 v32, 0x8000
	s_mov_b32 s21, exec_lo
	v_cmpx_ne_u16_e32 0x80, v2
	s_cbranch_execz .LBB311_3340
; %bb.3335:                             ;   in Loop: Header=BB311_2079 Depth=1
	v_and_b32_e32 v33, 0x7f, v12
	v_mov_b32_e32 v32, 0x7c01
	s_mov_b32 s22, exec_lo
	s_delay_alu instid0(VALU_DEP_2)
	v_cmpx_ne_u32_e32 0x7f, v33
	s_cbranch_execz .LBB311_3339
; %bb.3336:                             ;   in Loop: Header=BB311_2079 Depth=1
	v_and_b32_e32 v2, 7, v12
	v_lshrrev_b32_e32 v32, 3, v33
	s_mov_b32 s23, exec_lo
	v_cmpx_gt_u32_e32 8, v33
; %bb.3337:                             ;   in Loop: Header=BB311_2079 Depth=1
	s_delay_alu instid0(VALU_DEP_3) | instskip(NEXT) | instid1(VALU_DEP_1)
	v_clz_i32_u32_e32 v2, v2
	v_min_u32_e32 v2, 32, v2
	s_delay_alu instid0(VALU_DEP_1) | instskip(NEXT) | instid1(VALU_DEP_1)
	v_subrev_nc_u32_e32 v32, 28, v2
	v_lshlrev_b64_e32 v[33:34], v32, v[12:13]
	v_sub_nc_u32_e32 v32, 29, v2
	s_delay_alu instid0(VALU_DEP_2)
	v_and_b32_e32 v2, 7, v33
; %bb.3338:                             ;   in Loop: Header=BB311_2079 Depth=1
	s_wait_alu 0xfffe
	s_or_b32 exec_lo, exec_lo, s23
	v_lshlrev_b32_e32 v33, 8, v12
	v_lshl_add_u32 v32, v32, 10, 0x2000
	v_lshlrev_b32_e32 v2, 7, v2
	s_delay_alu instid0(VALU_DEP_3) | instskip(NEXT) | instid1(VALU_DEP_3)
	v_and_b32_e32 v33, 0x8000, v33
	v_and_b32_e32 v32, 0xfc00, v32
	s_delay_alu instid0(VALU_DEP_1)
	v_or3_b32 v32, v33, v32, v2
.LBB311_3339:                           ;   in Loop: Header=BB311_2079 Depth=1
	s_wait_alu 0xfffe
	s_or_b32 exec_lo, exec_lo, s22
.LBB311_3340:                           ;   in Loop: Header=BB311_2079 Depth=1
	s_wait_alu 0xfffe
	s_or_b32 exec_lo, exec_lo, s21
.LBB311_3341:                           ;   in Loop: Header=BB311_2079 Depth=1
	s_wait_alu 0xfffe
	s_or_b32 exec_lo, exec_lo, s20
	v_lshrrev_b16 v2, 8, v12
	s_mov_b32 s20, exec_lo
	s_delay_alu instid0(VALU_DEP_1)
	v_cmpx_ne_u16_e32 0, v2
	s_cbranch_execz .LBB311_3349
; %bb.3342:                             ;   in Loop: Header=BB311_2079 Depth=1
	v_bfrev_b32_e32 v31, 1
	s_mov_b32 s21, exec_lo
	v_cmpx_ne_u16_e32 0x80, v2
	s_cbranch_execz .LBB311_3348
; %bb.3343:                             ;   in Loop: Header=BB311_2079 Depth=1
	v_and_b32_e32 v33, 0xffff, v2
	v_mov_b32_e32 v31, 0x7c010000
	s_mov_b32 s22, exec_lo
	s_delay_alu instid0(VALU_DEP_2) | instskip(NEXT) | instid1(VALU_DEP_1)
	v_and_b32_e32 v164, 0x7f, v33
	v_cmpx_ne_u32_e32 0x7f, v164
	s_cbranch_execz .LBB311_3347
; %bb.3344:                             ;   in Loop: Header=BB311_2079 Depth=1
	v_and_b32_e32 v31, 7, v33
	v_lshrrev_b32_e32 v34, 3, v164
	s_mov_b32 s23, exec_lo
	v_cmpx_gt_u32_e32 8, v164
; %bb.3345:                             ;   in Loop: Header=BB311_2079 Depth=1
	s_delay_alu instid0(VALU_DEP_3) | instskip(NEXT) | instid1(VALU_DEP_1)
	v_clz_i32_u32_e32 v31, v31
	v_min_u32_e32 v31, 32, v31
	s_delay_alu instid0(VALU_DEP_1) | instskip(NEXT) | instid1(VALU_DEP_1)
	v_subrev_nc_u32_e32 v34, 28, v31
	v_lshlrev_b64_e32 v[164:165], v34, v[2:3]
	v_sub_nc_u32_e32 v34, 29, v31
	s_delay_alu instid0(VALU_DEP_2)
	v_and_b32_e32 v31, 7, v164
; %bb.3346:                             ;   in Loop: Header=BB311_2079 Depth=1
	s_wait_alu 0xfffe
	s_or_b32 exec_lo, exec_lo, s23
	v_lshlrev_b32_e32 v2, 8, v33
	v_lshl_add_u32 v33, v34, 10, 0x2000
	v_lshlrev_b32_e32 v31, 23, v31
	s_delay_alu instid0(VALU_DEP_2) | instskip(NEXT) | instid1(VALU_DEP_1)
	v_and_or_b32 v2, 0x8000, v2, v33
	v_lshl_or_b32 v31, v2, 16, v31
.LBB311_3347:                           ;   in Loop: Header=BB311_2079 Depth=1
	s_wait_alu 0xfffe
	s_or_b32 exec_lo, exec_lo, s22
.LBB311_3348:                           ;   in Loop: Header=BB311_2079 Depth=1
	s_wait_alu 0xfffe
	s_or_b32 exec_lo, exec_lo, s21
.LBB311_3349:                           ;   in Loop: Header=BB311_2079 Depth=1
	s_wait_alu 0xfffe
	s_or_b32 exec_lo, exec_lo, s20
	v_lshrrev_b32_e32 v2, 16, v12
	v_mov_b32_e32 v34, 0
	s_mov_b32 s20, exec_lo
	s_delay_alu instid0(VALU_DEP_2) | instskip(NEXT) | instid1(VALU_DEP_1)
	v_dual_mov_b32 v33, 0 :: v_dual_and_b32 v164, 0xff, v2
	v_cmpx_ne_u16_e64 0, v164
	s_cbranch_execz .LBB311_3357
; %bb.3350:                             ;   in Loop: Header=BB311_2079 Depth=1
	v_mov_b32_e32 v34, 0x8000
	s_mov_b32 s21, exec_lo
	v_cmpx_ne_u16_e64 0x80, v164
	s_cbranch_execz .LBB311_3356
; %bb.3351:                             ;   in Loop: Header=BB311_2079 Depth=1
	v_bfe_u32 v165, v12, 16, 7
	v_mov_b32_e32 v34, 0x7c01
	s_mov_b32 s22, exec_lo
	s_delay_alu instid0(VALU_DEP_2)
	v_cmpx_ne_u32_e32 0x7f, v165
	s_cbranch_execz .LBB311_3355
; %bb.3352:                             ;   in Loop: Header=BB311_2079 Depth=1
	v_and_b32_e32 v34, 7, v2
	v_lshrrev_b32_e32 v164, 3, v165
	s_mov_b32 s23, exec_lo
	v_cmpx_gt_u32_e32 8, v165
; %bb.3353:                             ;   in Loop: Header=BB311_2079 Depth=1
	s_delay_alu instid0(VALU_DEP_3) | instskip(NEXT) | instid1(VALU_DEP_1)
	v_clz_i32_u32_e32 v34, v34
	v_min_u32_e32 v34, 32, v34
	s_delay_alu instid0(VALU_DEP_1) | instskip(NEXT) | instid1(VALU_DEP_1)
	v_subrev_nc_u32_e32 v164, 28, v34
	v_lshlrev_b64_e32 v[165:166], v164, v[2:3]
	v_sub_nc_u32_e32 v164, 29, v34
	s_delay_alu instid0(VALU_DEP_2)
	v_and_b32_e32 v34, 7, v165
; %bb.3354:                             ;   in Loop: Header=BB311_2079 Depth=1
	s_wait_alu 0xfffe
	s_or_b32 exec_lo, exec_lo, s23
	v_lshlrev_b32_e32 v2, 8, v2
	v_lshl_add_u32 v164, v164, 10, 0x2000
	v_lshlrev_b32_e32 v34, 7, v34
	s_delay_alu instid0(VALU_DEP_3) | instskip(NEXT) | instid1(VALU_DEP_3)
	v_and_b32_e32 v2, 0x8000, v2
	v_and_b32_e32 v164, 0xfc00, v164
	s_delay_alu instid0(VALU_DEP_1)
	v_or3_b32 v34, v2, v164, v34
.LBB311_3355:                           ;   in Loop: Header=BB311_2079 Depth=1
	s_wait_alu 0xfffe
	s_or_b32 exec_lo, exec_lo, s22
.LBB311_3356:                           ;   in Loop: Header=BB311_2079 Depth=1
	s_wait_alu 0xfffe
	s_or_b32 exec_lo, exec_lo, s21
.LBB311_3357:                           ;   in Loop: Header=BB311_2079 Depth=1
	s_wait_alu 0xfffe
	s_or_b32 exec_lo, exec_lo, s20
	s_delay_alu instid0(SALU_CYCLE_1)
	s_mov_b32 s20, exec_lo
	v_cmpx_lt_u32_e32 0xffffff, v12
	s_cbranch_execz .LBB311_3365
; %bb.3358:                             ;   in Loop: Header=BB311_2079 Depth=1
	v_lshrrev_b32_e32 v2, 24, v12
	v_bfrev_b32_e32 v33, 1
	s_mov_b32 s21, exec_lo
	s_delay_alu instid0(VALU_DEP_2)
	v_cmpx_ne_u32_e32 0x80, v2
	s_cbranch_execz .LBB311_3364
; %bb.3359:                             ;   in Loop: Header=BB311_2079 Depth=1
	v_and_b32_e32 v165, 0x7f, v2
	v_mov_b32_e32 v33, 0x7c010000
	s_mov_b32 s22, exec_lo
	s_delay_alu instid0(VALU_DEP_2)
	v_cmpx_ne_u32_e32 0x7f, v165
	s_cbranch_execz .LBB311_3363
; %bb.3360:                             ;   in Loop: Header=BB311_2079 Depth=1
	v_and_b32_e32 v33, 7, v2
	v_lshrrev_b32_e32 v164, 3, v165
	s_mov_b32 s23, exec_lo
	v_cmpx_gt_u32_e32 8, v165
; %bb.3361:                             ;   in Loop: Header=BB311_2079 Depth=1
	s_delay_alu instid0(VALU_DEP_3) | instskip(NEXT) | instid1(VALU_DEP_1)
	v_clz_i32_u32_e32 v33, v33
	v_min_u32_e32 v33, 32, v33
	s_delay_alu instid0(VALU_DEP_1) | instskip(NEXT) | instid1(VALU_DEP_1)
	v_subrev_nc_u32_e32 v164, 28, v33
	v_lshlrev_b64_e32 v[165:166], v164, v[2:3]
	v_sub_nc_u32_e32 v164, 29, v33
	s_delay_alu instid0(VALU_DEP_2)
	v_and_b32_e32 v33, 7, v165
; %bb.3362:                             ;   in Loop: Header=BB311_2079 Depth=1
	s_wait_alu 0xfffe
	s_or_b32 exec_lo, exec_lo, s23
	v_lshlrev_b32_e32 v2, 8, v2
	v_lshl_add_u32 v164, v164, 10, 0x2000
	v_lshlrev_b32_e32 v33, 23, v33
	s_delay_alu instid0(VALU_DEP_2) | instskip(NEXT) | instid1(VALU_DEP_1)
	v_and_or_b32 v2, 0x8000, v2, v164
	v_lshl_or_b32 v33, v2, 16, v33
.LBB311_3363:                           ;   in Loop: Header=BB311_2079 Depth=1
	s_wait_alu 0xfffe
	s_or_b32 exec_lo, exec_lo, s22
.LBB311_3364:                           ;   in Loop: Header=BB311_2079 Depth=1
	s_wait_alu 0xfffe
	s_or_b32 exec_lo, exec_lo, s21
.LBB311_3365:                           ;   in Loop: Header=BB311_2079 Depth=1
	s_wait_alu 0xfffe
	s_or_b32 exec_lo, exec_lo, s20
	v_dual_mov_b32 v165, 0 :: v_dual_and_b32 v166, 0xff, v13
	v_mov_b32_e32 v2, v13
	v_mov_b32_e32 v164, 0
	s_mov_b32 s20, exec_lo
	s_delay_alu instid0(VALU_DEP_3)
	v_cmpx_ne_u16_e64 0, v166
	s_cbranch_execz .LBB311_3373
; %bb.3366:                             ;   in Loop: Header=BB311_2079 Depth=1
	v_mov_b32_e32 v165, 0x8000
	s_mov_b32 s21, exec_lo
	v_cmpx_ne_u16_e64 0x80, v166
	s_cbranch_execz .LBB311_3372
; %bb.3367:                             ;   in Loop: Header=BB311_2079 Depth=1
	v_and_b32_e32 v167, 0x7f, v13
	v_mov_b32_e32 v165, 0x7c01
	s_mov_b32 s22, exec_lo
	s_delay_alu instid0(VALU_DEP_2)
	v_cmpx_ne_u32_e32 0x7f, v167
	s_cbranch_execz .LBB311_3371
; %bb.3368:                             ;   in Loop: Header=BB311_2079 Depth=1
	v_and_b32_e32 v165, 7, v13
	v_lshrrev_b32_e32 v166, 3, v167
	s_mov_b32 s23, exec_lo
	v_cmpx_gt_u32_e32 8, v167
; %bb.3369:                             ;   in Loop: Header=BB311_2079 Depth=1
	s_delay_alu instid0(VALU_DEP_3) | instskip(NEXT) | instid1(VALU_DEP_1)
	v_clz_i32_u32_e32 v165, v165
	v_min_u32_e32 v167, 32, v165
	s_delay_alu instid0(VALU_DEP_1) | instskip(NEXT) | instid1(VALU_DEP_1)
	v_subrev_nc_u32_e32 v165, 28, v167
	v_lshlrev_b64_e32 v[165:166], v165, v[2:3]
	v_sub_nc_u32_e32 v166, 29, v167
	s_delay_alu instid0(VALU_DEP_2)
	v_and_b32_e32 v165, 7, v165
; %bb.3370:                             ;   in Loop: Header=BB311_2079 Depth=1
	s_wait_alu 0xfffe
	s_or_b32 exec_lo, exec_lo, s23
	v_lshlrev_b32_e32 v167, 8, v13
	v_lshl_add_u32 v166, v166, 10, 0x2000
	v_lshlrev_b32_e32 v165, 7, v165
	s_delay_alu instid0(VALU_DEP_3) | instskip(NEXT) | instid1(VALU_DEP_3)
	v_and_b32_e32 v167, 0x8000, v167
	v_and_b32_e32 v166, 0xfc00, v166
	s_delay_alu instid0(VALU_DEP_1)
	v_or3_b32 v165, v167, v166, v165
.LBB311_3371:                           ;   in Loop: Header=BB311_2079 Depth=1
	s_wait_alu 0xfffe
	s_or_b32 exec_lo, exec_lo, s22
.LBB311_3372:                           ;   in Loop: Header=BB311_2079 Depth=1
	s_wait_alu 0xfffe
	s_or_b32 exec_lo, exec_lo, s21
.LBB311_3373:                           ;   in Loop: Header=BB311_2079 Depth=1
	s_wait_alu 0xfffe
	s_or_b32 exec_lo, exec_lo, s20
	v_lshrrev_b16 v2, 8, v2
	v_mov_b32_e32 v166, 0
	s_mov_b32 s20, exec_lo
	s_delay_alu instid0(VALU_DEP_2)
	v_cmpx_ne_u16_e32 0, v2
	s_cbranch_execz .LBB311_3381
; %bb.3374:                             ;   in Loop: Header=BB311_2079 Depth=1
	v_bfrev_b32_e32 v166, 1
	s_mov_b32 s21, exec_lo
	v_cmpx_ne_u16_e32 0x80, v2
	s_cbranch_execz .LBB311_3380
; %bb.3375:                             ;   in Loop: Header=BB311_2079 Depth=1
	v_and_b32_e32 v167, 0xffff, v2
	v_mov_b32_e32 v166, 0x7c010000
	s_mov_b32 s22, exec_lo
	s_delay_alu instid0(VALU_DEP_2) | instskip(NEXT) | instid1(VALU_DEP_1)
	v_and_b32_e32 v177, 0x7f, v167
	v_cmpx_ne_u32_e32 0x7f, v177
	s_cbranch_execz .LBB311_3379
; %bb.3376:                             ;   in Loop: Header=BB311_2079 Depth=1
	v_and_b32_e32 v166, 7, v167
	v_lshrrev_b32_e32 v176, 3, v177
	s_mov_b32 s23, exec_lo
	v_cmpx_gt_u32_e32 8, v177
; %bb.3377:                             ;   in Loop: Header=BB311_2079 Depth=1
	s_delay_alu instid0(VALU_DEP_3) | instskip(NEXT) | instid1(VALU_DEP_1)
	v_clz_i32_u32_e32 v166, v166
	v_min_u32_e32 v166, 32, v166
	s_delay_alu instid0(VALU_DEP_1) | instskip(NEXT) | instid1(VALU_DEP_1)
	v_subrev_nc_u32_e32 v176, 28, v166
	v_lshlrev_b64_e32 v[177:178], v176, v[2:3]
	v_sub_nc_u32_e32 v176, 29, v166
	s_delay_alu instid0(VALU_DEP_2)
	v_and_b32_e32 v166, 7, v177
; %bb.3378:                             ;   in Loop: Header=BB311_2079 Depth=1
	s_wait_alu 0xfffe
	s_or_b32 exec_lo, exec_lo, s23
	v_lshlrev_b32_e32 v2, 8, v167
	v_lshl_add_u32 v167, v176, 10, 0x2000
	v_lshlrev_b32_e32 v166, 23, v166
	s_delay_alu instid0(VALU_DEP_2) | instskip(NEXT) | instid1(VALU_DEP_1)
	v_and_or_b32 v2, 0x8000, v2, v167
	v_lshl_or_b32 v166, v2, 16, v166
.LBB311_3379:                           ;   in Loop: Header=BB311_2079 Depth=1
	s_wait_alu 0xfffe
	s_or_b32 exec_lo, exec_lo, s22
.LBB311_3380:                           ;   in Loop: Header=BB311_2079 Depth=1
	s_wait_alu 0xfffe
	s_or_b32 exec_lo, exec_lo, s21
.LBB311_3381:                           ;   in Loop: Header=BB311_2079 Depth=1
	s_wait_alu 0xfffe
	s_or_b32 exec_lo, exec_lo, s20
	v_lshrrev_b32_e32 v2, 16, v13
	s_mov_b32 s20, exec_lo
	s_delay_alu instid0(VALU_DEP_1) | instskip(NEXT) | instid1(VALU_DEP_1)
	v_and_b32_e32 v167, 0xff, v2
	v_cmpx_ne_u16_e64 0, v167
	s_cbranch_execz .LBB311_3389
; %bb.3382:                             ;   in Loop: Header=BB311_2079 Depth=1
	v_mov_b32_e32 v164, 0x8000
	s_mov_b32 s21, exec_lo
	v_cmpx_ne_u16_e64 0x80, v167
	s_cbranch_execz .LBB311_3388
; %bb.3383:                             ;   in Loop: Header=BB311_2079 Depth=1
	v_bfe_u32 v176, v13, 16, 7
	v_mov_b32_e32 v164, 0x7c01
	s_mov_b32 s22, exec_lo
	s_delay_alu instid0(VALU_DEP_2)
	v_cmpx_ne_u32_e32 0x7f, v176
	s_cbranch_execz .LBB311_3387
; %bb.3384:                             ;   in Loop: Header=BB311_2079 Depth=1
	v_and_b32_e32 v164, 7, v2
	v_lshrrev_b32_e32 v167, 3, v176
	s_mov_b32 s23, exec_lo
	v_cmpx_gt_u32_e32 8, v176
; %bb.3385:                             ;   in Loop: Header=BB311_2079 Depth=1
	s_delay_alu instid0(VALU_DEP_3) | instskip(NEXT) | instid1(VALU_DEP_1)
	v_clz_i32_u32_e32 v164, v164
	v_min_u32_e32 v164, 32, v164
	s_delay_alu instid0(VALU_DEP_1) | instskip(NEXT) | instid1(VALU_DEP_1)
	v_subrev_nc_u32_e32 v167, 28, v164
	v_lshlrev_b64_e32 v[176:177], v167, v[2:3]
	v_sub_nc_u32_e32 v167, 29, v164
	s_delay_alu instid0(VALU_DEP_2)
	v_and_b32_e32 v164, 7, v176
; %bb.3386:                             ;   in Loop: Header=BB311_2079 Depth=1
	s_wait_alu 0xfffe
	s_or_b32 exec_lo, exec_lo, s23
	v_lshlrev_b32_e32 v2, 8, v2
	v_lshl_add_u32 v167, v167, 10, 0x2000
	v_lshlrev_b32_e32 v164, 7, v164
	s_delay_alu instid0(VALU_DEP_3) | instskip(NEXT) | instid1(VALU_DEP_3)
	v_and_b32_e32 v2, 0x8000, v2
	v_and_b32_e32 v167, 0xfc00, v167
	s_delay_alu instid0(VALU_DEP_1)
	v_or3_b32 v164, v2, v167, v164
.LBB311_3387:                           ;   in Loop: Header=BB311_2079 Depth=1
	s_wait_alu 0xfffe
	s_or_b32 exec_lo, exec_lo, s22
.LBB311_3388:                           ;   in Loop: Header=BB311_2079 Depth=1
	s_wait_alu 0xfffe
	s_or_b32 exec_lo, exec_lo, s21
.LBB311_3389:                           ;   in Loop: Header=BB311_2079 Depth=1
	s_wait_alu 0xfffe
	s_or_b32 exec_lo, exec_lo, s20
	v_cmp_lt_u64_e64 s8, s[16:17], v[12:13]
	v_mov_b32_e32 v12, 0
	s_and_saveexec_b32 s20, s8
	s_cbranch_execz .LBB311_3397
; %bb.3390:                             ;   in Loop: Header=BB311_2079 Depth=1
	v_lshrrev_b32_e32 v2, 24, v13
	v_bfrev_b32_e32 v12, 1
	s_mov_b32 s21, exec_lo
	s_delay_alu instid0(VALU_DEP_2)
	v_cmpx_ne_u32_e32 0x80, v2
	s_cbranch_execz .LBB311_3396
; %bb.3391:                             ;   in Loop: Header=BB311_2079 Depth=1
	v_and_b32_e32 v167, 0x7f, v2
	v_mov_b32_e32 v12, 0x7c010000
	s_mov_b32 s22, exec_lo
	s_delay_alu instid0(VALU_DEP_2)
	v_cmpx_ne_u32_e32 0x7f, v167
	s_cbranch_execz .LBB311_3395
; %bb.3392:                             ;   in Loop: Header=BB311_2079 Depth=1
	v_and_b32_e32 v12, 7, v2
	v_lshrrev_b32_e32 v13, 3, v167
	s_mov_b32 s23, exec_lo
	v_cmpx_gt_u32_e32 8, v167
; %bb.3393:                             ;   in Loop: Header=BB311_2079 Depth=1
	s_delay_alu instid0(VALU_DEP_3) | instskip(NEXT) | instid1(VALU_DEP_1)
	v_clz_i32_u32_e32 v12, v12
	v_min_u32_e32 v167, 32, v12
	s_delay_alu instid0(VALU_DEP_1) | instskip(NEXT) | instid1(VALU_DEP_1)
	v_subrev_nc_u32_e32 v12, 28, v167
	v_lshlrev_b64_e32 v[12:13], v12, v[2:3]
	v_sub_nc_u32_e32 v13, 29, v167
	s_delay_alu instid0(VALU_DEP_2)
	v_and_b32_e32 v12, 7, v12
; %bb.3394:                             ;   in Loop: Header=BB311_2079 Depth=1
	s_wait_alu 0xfffe
	s_or_b32 exec_lo, exec_lo, s23
	v_lshlrev_b32_e32 v2, 8, v2
	v_lshl_add_u32 v13, v13, 10, 0x2000
	v_lshlrev_b32_e32 v12, 23, v12
	s_delay_alu instid0(VALU_DEP_2) | instskip(NEXT) | instid1(VALU_DEP_1)
	v_and_or_b32 v2, 0x8000, v2, v13
	v_lshl_or_b32 v12, v2, 16, v12
.LBB311_3395:                           ;   in Loop: Header=BB311_2079 Depth=1
	s_wait_alu 0xfffe
	s_or_b32 exec_lo, exec_lo, s22
.LBB311_3396:                           ;   in Loop: Header=BB311_2079 Depth=1
	s_wait_alu 0xfffe
	s_or_b32 exec_lo, exec_lo, s21
.LBB311_3397:                           ;   in Loop: Header=BB311_2079 Depth=1
	s_wait_alu 0xfffe
	s_or_b32 exec_lo, exec_lo, s20
	v_or_b32_e32 v2, v33, v34
	s_wait_loadcnt_dscnt 0x0
	v_fma_mixlo_f16 v13, v30, v33, 0 op_sel:[0,1,0] op_sel_hi:[0,1,0]
	v_or_b32_e32 v32, v31, v32
	v_or_b32_e32 v33, v166, v165
	;; [unrolled: 1-line block ×3, first 2 shown]
	v_fma_mixlo_f16 v34, v30, v2, 0 op_sel_hi:[0,1,0]
	v_fma_mixlo_f16 v31, v30, v31, 0 op_sel:[0,1,0] op_sel_hi:[0,1,0]
	v_lshlrev_b32_e32 v2, 16, v13
	v_fma_mixlo_f16 v32, v30, v32, 0 op_sel_hi:[0,1,0]
	v_fma_mixlo_f16 v33, v30, v33, 0 op_sel_hi:[0,1,0]
	v_and_b32_e32 v13, 0xffff, v34
	v_fma_mixlo_f16 v34, v30, v166, 0 op_sel:[0,1,0] op_sel_hi:[0,1,0]
	v_fma_mixlo_f16 v12, v30, v12, 0 op_sel:[0,1,0] op_sel_hi:[0,1,0]
	v_fma_mixlo_f16 v30, v30, v164, 0 op_sel_hi:[0,1,0]
	v_lshlrev_b32_e32 v31, 16, v31
	v_and_b32_e32 v167, 0xffff, v32
	v_lshlrev_b32_e32 v164, 16, v34
	v_and_b32_e32 v166, 0xffff, v33
	;; [unrolled: 2-line block ×3, first 2 shown]
	v_or_b32_e32 v12, v2, v13
	v_or_b32_e32 v33, v31, v167
	;; [unrolled: 1-line block ×3, first 2 shown]
	s_delay_alu instid0(VALU_DEP_4)
	v_or_b32_e32 v30, v34, v165
	s_and_saveexec_b32 s8, s2
	s_cbranch_execz .LBB311_3399
; %bb.3398:                             ;   in Loop: Header=BB311_2079 Depth=1
	s_wait_alu 0xfffd
	v_cndmask_b32_e32 v12, 0, v167, vcc_lo
	v_cndmask_b32_e64 v30, 0, v31, s1
	v_cndmask_b32_e64 v13, 0, v13, s0
	;; [unrolled: 1-line block ×7, first 2 shown]
	v_or_b32_e32 v33, v12, v30
	v_or_b32_e32 v12, v13, v2
	;; [unrolled: 1-line block ×3, first 2 shown]
	s_delay_alu instid0(VALU_DEP_4)
	v_or_b32_e32 v30, v164, v34
.LBB311_3399:                           ;   in Loop: Header=BB311_2079 Depth=1
	s_wait_alu 0xfffe
	s_or_b32 exec_lo, exec_lo, s8
	;;#ASMSTART
	v_pk_mul_f16 v2, v98, v33;

	;;#ASMEND
	;;#ASMSTART
	v_pk_mul_f16 v12, v96, v12;

	;;#ASMEND
	;;#ASMSTART
	v_pk_mul_f16 v13, v87, v32;

	;;#ASMEND
	;;#ASMSTART
	v_pk_mul_f16 v30, v35, v30;

	;;#ASMEND
	;;#ASMSTART
	v_pk_add_f16 v2, v2, v12;

	;;#ASMEND
	;;#ASMSTART
	v_pk_add_f16 v2, v2, v13;

	;;#ASMEND
	;; [unrolled: 4-line block ×3, first 2 shown]
	v_dual_mov_b32 v33, 0 :: v_dual_and_b32 v12, 0xffff, v2
	v_lshrrev_b32_e32 v2, 16, v2
	;;#ASMSTART
	v_cvt_f32_f16 v30, v12;
	;;#ASMEND
	;;#ASMSTART
	v_cvt_f32_f16 v31, v2;
	;;#ASMEND
	flat_load_b64 v[12:13], v[10:11] offset:5120
	flat_load_b32 v32, v[26:27]
	v_mov_b32_e32 v34, 0
	s_mov_b32 s20, exec_lo
	s_wait_loadcnt_dscnt 0x101
	v_and_b32_e32 v2, 0xff, v12
	s_delay_alu instid0(VALU_DEP_1)
	v_cmpx_ne_u16_e32 0, v2
	s_cbranch_execz .LBB311_3407
; %bb.3400:                             ;   in Loop: Header=BB311_2079 Depth=1
	v_mov_b32_e32 v34, 0x8000
	s_mov_b32 s21, exec_lo
	v_cmpx_ne_u16_e32 0x80, v2
	s_cbranch_execz .LBB311_3406
; %bb.3401:                             ;   in Loop: Header=BB311_2079 Depth=1
	v_and_b32_e32 v164, 0x7f, v12
	v_mov_b32_e32 v34, 0x7c01
	s_mov_b32 s22, exec_lo
	s_delay_alu instid0(VALU_DEP_2)
	v_cmpx_ne_u32_e32 0x7f, v164
	s_cbranch_execz .LBB311_3405
; %bb.3402:                             ;   in Loop: Header=BB311_2079 Depth=1
	v_and_b32_e32 v2, 7, v12
	v_lshrrev_b32_e32 v34, 3, v164
	s_mov_b32 s23, exec_lo
	v_cmpx_gt_u32_e32 8, v164
; %bb.3403:                             ;   in Loop: Header=BB311_2079 Depth=1
	s_delay_alu instid0(VALU_DEP_3) | instskip(NEXT) | instid1(VALU_DEP_1)
	v_clz_i32_u32_e32 v2, v2
	v_min_u32_e32 v2, 32, v2
	s_delay_alu instid0(VALU_DEP_1) | instskip(NEXT) | instid1(VALU_DEP_1)
	v_subrev_nc_u32_e32 v34, 28, v2
	v_lshlrev_b64_e32 v[164:165], v34, v[12:13]
	v_sub_nc_u32_e32 v34, 29, v2
	s_delay_alu instid0(VALU_DEP_2)
	v_and_b32_e32 v2, 7, v164
; %bb.3404:                             ;   in Loop: Header=BB311_2079 Depth=1
	s_wait_alu 0xfffe
	s_or_b32 exec_lo, exec_lo, s23
	v_lshlrev_b32_e32 v164, 8, v12
	v_lshl_add_u32 v34, v34, 10, 0x2000
	v_lshlrev_b32_e32 v2, 7, v2
	s_delay_alu instid0(VALU_DEP_3) | instskip(NEXT) | instid1(VALU_DEP_3)
	v_and_b32_e32 v164, 0x8000, v164
	v_and_b32_e32 v34, 0xfc00, v34
	s_delay_alu instid0(VALU_DEP_1)
	v_or3_b32 v34, v164, v34, v2
.LBB311_3405:                           ;   in Loop: Header=BB311_2079 Depth=1
	s_wait_alu 0xfffe
	s_or_b32 exec_lo, exec_lo, s22
.LBB311_3406:                           ;   in Loop: Header=BB311_2079 Depth=1
	s_wait_alu 0xfffe
	s_or_b32 exec_lo, exec_lo, s21
.LBB311_3407:                           ;   in Loop: Header=BB311_2079 Depth=1
	s_wait_alu 0xfffe
	s_or_b32 exec_lo, exec_lo, s20
	v_lshrrev_b16 v2, 8, v12
	s_mov_b32 s20, exec_lo
	s_delay_alu instid0(VALU_DEP_1)
	v_cmpx_ne_u16_e32 0, v2
	s_cbranch_execz .LBB311_3415
; %bb.3408:                             ;   in Loop: Header=BB311_2079 Depth=1
	v_bfrev_b32_e32 v33, 1
	s_mov_b32 s21, exec_lo
	v_cmpx_ne_u16_e32 0x80, v2
	s_cbranch_execz .LBB311_3414
; %bb.3409:                             ;   in Loop: Header=BB311_2079 Depth=1
	v_and_b32_e32 v164, 0xffff, v2
	v_mov_b32_e32 v33, 0x7c010000
	s_mov_b32 s22, exec_lo
	s_delay_alu instid0(VALU_DEP_2) | instskip(NEXT) | instid1(VALU_DEP_1)
	v_and_b32_e32 v166, 0x7f, v164
	v_cmpx_ne_u32_e32 0x7f, v166
	s_cbranch_execz .LBB311_3413
; %bb.3410:                             ;   in Loop: Header=BB311_2079 Depth=1
	v_and_b32_e32 v33, 7, v164
	v_lshrrev_b32_e32 v165, 3, v166
	s_mov_b32 s23, exec_lo
	v_cmpx_gt_u32_e32 8, v166
; %bb.3411:                             ;   in Loop: Header=BB311_2079 Depth=1
	s_delay_alu instid0(VALU_DEP_3) | instskip(NEXT) | instid1(VALU_DEP_1)
	v_clz_i32_u32_e32 v33, v33
	v_min_u32_e32 v33, 32, v33
	s_delay_alu instid0(VALU_DEP_1) | instskip(NEXT) | instid1(VALU_DEP_1)
	v_subrev_nc_u32_e32 v165, 28, v33
	v_lshlrev_b64_e32 v[166:167], v165, v[2:3]
	v_sub_nc_u32_e32 v165, 29, v33
	s_delay_alu instid0(VALU_DEP_2)
	v_and_b32_e32 v33, 7, v166
; %bb.3412:                             ;   in Loop: Header=BB311_2079 Depth=1
	s_wait_alu 0xfffe
	s_or_b32 exec_lo, exec_lo, s23
	v_lshlrev_b32_e32 v2, 8, v164
	v_lshl_add_u32 v164, v165, 10, 0x2000
	v_lshlrev_b32_e32 v33, 23, v33
	s_delay_alu instid0(VALU_DEP_2) | instskip(NEXT) | instid1(VALU_DEP_1)
	v_and_or_b32 v2, 0x8000, v2, v164
	v_lshl_or_b32 v33, v2, 16, v33
.LBB311_3413:                           ;   in Loop: Header=BB311_2079 Depth=1
	s_wait_alu 0xfffe
	s_or_b32 exec_lo, exec_lo, s22
.LBB311_3414:                           ;   in Loop: Header=BB311_2079 Depth=1
	s_wait_alu 0xfffe
	s_or_b32 exec_lo, exec_lo, s21
.LBB311_3415:                           ;   in Loop: Header=BB311_2079 Depth=1
	s_wait_alu 0xfffe
	s_or_b32 exec_lo, exec_lo, s20
	v_lshrrev_b32_e32 v2, 16, v12
	v_mov_b32_e32 v164, 0
	s_mov_b32 s20, exec_lo
	s_delay_alu instid0(VALU_DEP_2) | instskip(NEXT) | instid1(VALU_DEP_1)
	v_dual_mov_b32 v165, 0 :: v_dual_and_b32 v166, 0xff, v2
	v_cmpx_ne_u16_e64 0, v166
	s_cbranch_execz .LBB311_3423
; %bb.3416:                             ;   in Loop: Header=BB311_2079 Depth=1
	v_mov_b32_e32 v165, 0x8000
	s_mov_b32 s21, exec_lo
	v_cmpx_ne_u16_e64 0x80, v166
	s_cbranch_execz .LBB311_3422
; %bb.3417:                             ;   in Loop: Header=BB311_2079 Depth=1
	v_bfe_u32 v167, v12, 16, 7
	v_mov_b32_e32 v165, 0x7c01
	s_mov_b32 s22, exec_lo
	s_delay_alu instid0(VALU_DEP_2)
	v_cmpx_ne_u32_e32 0x7f, v167
	s_cbranch_execz .LBB311_3421
; %bb.3418:                             ;   in Loop: Header=BB311_2079 Depth=1
	v_and_b32_e32 v165, 7, v2
	v_lshrrev_b32_e32 v166, 3, v167
	s_mov_b32 s23, exec_lo
	v_cmpx_gt_u32_e32 8, v167
; %bb.3419:                             ;   in Loop: Header=BB311_2079 Depth=1
	s_delay_alu instid0(VALU_DEP_3) | instskip(NEXT) | instid1(VALU_DEP_1)
	v_clz_i32_u32_e32 v165, v165
	v_min_u32_e32 v167, 32, v165
	s_delay_alu instid0(VALU_DEP_1) | instskip(NEXT) | instid1(VALU_DEP_1)
	v_subrev_nc_u32_e32 v165, 28, v167
	v_lshlrev_b64_e32 v[165:166], v165, v[2:3]
	v_sub_nc_u32_e32 v166, 29, v167
	s_delay_alu instid0(VALU_DEP_2)
	v_and_b32_e32 v165, 7, v165
; %bb.3420:                             ;   in Loop: Header=BB311_2079 Depth=1
	s_wait_alu 0xfffe
	s_or_b32 exec_lo, exec_lo, s23
	v_lshlrev_b32_e32 v2, 8, v2
	v_lshl_add_u32 v166, v166, 10, 0x2000
	v_lshlrev_b32_e32 v165, 7, v165
	s_delay_alu instid0(VALU_DEP_3) | instskip(NEXT) | instid1(VALU_DEP_3)
	v_and_b32_e32 v2, 0x8000, v2
	v_and_b32_e32 v166, 0xfc00, v166
	s_delay_alu instid0(VALU_DEP_1)
	v_or3_b32 v165, v2, v166, v165
.LBB311_3421:                           ;   in Loop: Header=BB311_2079 Depth=1
	s_wait_alu 0xfffe
	s_or_b32 exec_lo, exec_lo, s22
.LBB311_3422:                           ;   in Loop: Header=BB311_2079 Depth=1
	s_wait_alu 0xfffe
	s_or_b32 exec_lo, exec_lo, s21
.LBB311_3423:                           ;   in Loop: Header=BB311_2079 Depth=1
	s_wait_alu 0xfffe
	s_or_b32 exec_lo, exec_lo, s20
	s_delay_alu instid0(SALU_CYCLE_1)
	s_mov_b32 s20, exec_lo
	v_cmpx_lt_u32_e32 0xffffff, v12
	s_cbranch_execz .LBB311_3431
; %bb.3424:                             ;   in Loop: Header=BB311_2079 Depth=1
	v_lshrrev_b32_e32 v2, 24, v12
	v_bfrev_b32_e32 v164, 1
	s_mov_b32 s21, exec_lo
	s_delay_alu instid0(VALU_DEP_2)
	v_cmpx_ne_u32_e32 0x80, v2
	s_cbranch_execz .LBB311_3430
; %bb.3425:                             ;   in Loop: Header=BB311_2079 Depth=1
	v_and_b32_e32 v167, 0x7f, v2
	v_mov_b32_e32 v164, 0x7c010000
	s_mov_b32 s22, exec_lo
	s_delay_alu instid0(VALU_DEP_2)
	v_cmpx_ne_u32_e32 0x7f, v167
	s_cbranch_execz .LBB311_3429
; %bb.3426:                             ;   in Loop: Header=BB311_2079 Depth=1
	v_and_b32_e32 v164, 7, v2
	v_lshrrev_b32_e32 v166, 3, v167
	s_mov_b32 s23, exec_lo
	v_cmpx_gt_u32_e32 8, v167
; %bb.3427:                             ;   in Loop: Header=BB311_2079 Depth=1
	s_delay_alu instid0(VALU_DEP_3) | instskip(NEXT) | instid1(VALU_DEP_1)
	v_clz_i32_u32_e32 v164, v164
	v_min_u32_e32 v164, 32, v164
	s_delay_alu instid0(VALU_DEP_1) | instskip(NEXT) | instid1(VALU_DEP_1)
	v_subrev_nc_u32_e32 v166, 28, v164
	v_lshlrev_b64_e32 v[176:177], v166, v[2:3]
	v_sub_nc_u32_e32 v166, 29, v164
	s_delay_alu instid0(VALU_DEP_2)
	v_and_b32_e32 v164, 7, v176
; %bb.3428:                             ;   in Loop: Header=BB311_2079 Depth=1
	s_wait_alu 0xfffe
	s_or_b32 exec_lo, exec_lo, s23
	v_lshlrev_b32_e32 v2, 8, v2
	v_lshl_add_u32 v166, v166, 10, 0x2000
	v_lshlrev_b32_e32 v164, 23, v164
	s_delay_alu instid0(VALU_DEP_2) | instskip(NEXT) | instid1(VALU_DEP_1)
	v_and_or_b32 v2, 0x8000, v2, v166
	v_lshl_or_b32 v164, v2, 16, v164
.LBB311_3429:                           ;   in Loop: Header=BB311_2079 Depth=1
	s_wait_alu 0xfffe
	s_or_b32 exec_lo, exec_lo, s22
.LBB311_3430:                           ;   in Loop: Header=BB311_2079 Depth=1
	s_wait_alu 0xfffe
	s_or_b32 exec_lo, exec_lo, s21
.LBB311_3431:                           ;   in Loop: Header=BB311_2079 Depth=1
	s_wait_alu 0xfffe
	s_or_b32 exec_lo, exec_lo, s20
	v_dual_mov_b32 v167, 0 :: v_dual_and_b32 v176, 0xff, v13
	v_mov_b32_e32 v2, v13
	v_mov_b32_e32 v166, 0
	s_mov_b32 s20, exec_lo
	s_delay_alu instid0(VALU_DEP_3)
	v_cmpx_ne_u16_e64 0, v176
	s_cbranch_execz .LBB311_3439
; %bb.3432:                             ;   in Loop: Header=BB311_2079 Depth=1
	v_mov_b32_e32 v167, 0x8000
	s_mov_b32 s21, exec_lo
	v_cmpx_ne_u16_e64 0x80, v176
	s_cbranch_execz .LBB311_3438
; %bb.3433:                             ;   in Loop: Header=BB311_2079 Depth=1
	v_and_b32_e32 v177, 0x7f, v13
	v_mov_b32_e32 v167, 0x7c01
	s_mov_b32 s22, exec_lo
	s_delay_alu instid0(VALU_DEP_2)
	v_cmpx_ne_u32_e32 0x7f, v177
	s_cbranch_execz .LBB311_3437
; %bb.3434:                             ;   in Loop: Header=BB311_2079 Depth=1
	v_and_b32_e32 v167, 7, v13
	v_lshrrev_b32_e32 v176, 3, v177
	s_mov_b32 s23, exec_lo
	v_cmpx_gt_u32_e32 8, v177
; %bb.3435:                             ;   in Loop: Header=BB311_2079 Depth=1
	s_delay_alu instid0(VALU_DEP_3) | instskip(NEXT) | instid1(VALU_DEP_1)
	v_clz_i32_u32_e32 v167, v167
	v_min_u32_e32 v167, 32, v167
	s_delay_alu instid0(VALU_DEP_1) | instskip(NEXT) | instid1(VALU_DEP_1)
	v_subrev_nc_u32_e32 v176, 28, v167
	v_lshlrev_b64_e32 v[177:178], v176, v[2:3]
	v_sub_nc_u32_e32 v176, 29, v167
	s_delay_alu instid0(VALU_DEP_2)
	v_and_b32_e32 v167, 7, v177
; %bb.3436:                             ;   in Loop: Header=BB311_2079 Depth=1
	s_wait_alu 0xfffe
	s_or_b32 exec_lo, exec_lo, s23
	v_lshlrev_b32_e32 v177, 8, v13
	v_lshl_add_u32 v176, v176, 10, 0x2000
	v_lshlrev_b32_e32 v167, 7, v167
	s_delay_alu instid0(VALU_DEP_3) | instskip(NEXT) | instid1(VALU_DEP_3)
	v_and_b32_e32 v177, 0x8000, v177
	v_and_b32_e32 v176, 0xfc00, v176
	s_delay_alu instid0(VALU_DEP_1)
	v_or3_b32 v167, v177, v176, v167
.LBB311_3437:                           ;   in Loop: Header=BB311_2079 Depth=1
	s_wait_alu 0xfffe
	s_or_b32 exec_lo, exec_lo, s22
.LBB311_3438:                           ;   in Loop: Header=BB311_2079 Depth=1
	s_wait_alu 0xfffe
	s_or_b32 exec_lo, exec_lo, s21
.LBB311_3439:                           ;   in Loop: Header=BB311_2079 Depth=1
	s_wait_alu 0xfffe
	s_or_b32 exec_lo, exec_lo, s20
	v_lshrrev_b16 v2, 8, v2
	v_mov_b32_e32 v176, 0
	s_mov_b32 s20, exec_lo
	s_delay_alu instid0(VALU_DEP_2)
	v_cmpx_ne_u16_e32 0, v2
	s_cbranch_execz .LBB311_3447
; %bb.3440:                             ;   in Loop: Header=BB311_2079 Depth=1
	v_bfrev_b32_e32 v176, 1
	s_mov_b32 s21, exec_lo
	v_cmpx_ne_u16_e32 0x80, v2
	s_cbranch_execz .LBB311_3446
; %bb.3441:                             ;   in Loop: Header=BB311_2079 Depth=1
	v_and_b32_e32 v177, 0xffff, v2
	v_mov_b32_e32 v176, 0x7c010000
	s_mov_b32 s22, exec_lo
	s_delay_alu instid0(VALU_DEP_2) | instskip(NEXT) | instid1(VALU_DEP_1)
	v_and_b32_e32 v179, 0x7f, v177
	v_cmpx_ne_u32_e32 0x7f, v179
	s_cbranch_execz .LBB311_3445
; %bb.3442:                             ;   in Loop: Header=BB311_2079 Depth=1
	v_and_b32_e32 v176, 7, v177
	v_lshrrev_b32_e32 v178, 3, v179
	s_mov_b32 s23, exec_lo
	v_cmpx_gt_u32_e32 8, v179
; %bb.3443:                             ;   in Loop: Header=BB311_2079 Depth=1
	s_delay_alu instid0(VALU_DEP_3) | instskip(NEXT) | instid1(VALU_DEP_1)
	v_clz_i32_u32_e32 v176, v176
	v_min_u32_e32 v176, 32, v176
	s_delay_alu instid0(VALU_DEP_1) | instskip(NEXT) | instid1(VALU_DEP_1)
	v_subrev_nc_u32_e32 v178, 28, v176
	v_lshlrev_b64_e32 v[179:180], v178, v[2:3]
	v_sub_nc_u32_e32 v178, 29, v176
	s_delay_alu instid0(VALU_DEP_2)
	v_and_b32_e32 v176, 7, v179
; %bb.3444:                             ;   in Loop: Header=BB311_2079 Depth=1
	s_wait_alu 0xfffe
	s_or_b32 exec_lo, exec_lo, s23
	v_lshlrev_b32_e32 v2, 8, v177
	v_lshl_add_u32 v177, v178, 10, 0x2000
	v_lshlrev_b32_e32 v176, 23, v176
	s_delay_alu instid0(VALU_DEP_2) | instskip(NEXT) | instid1(VALU_DEP_1)
	v_and_or_b32 v2, 0x8000, v2, v177
	v_lshl_or_b32 v176, v2, 16, v176
.LBB311_3445:                           ;   in Loop: Header=BB311_2079 Depth=1
	s_wait_alu 0xfffe
	s_or_b32 exec_lo, exec_lo, s22
.LBB311_3446:                           ;   in Loop: Header=BB311_2079 Depth=1
	s_wait_alu 0xfffe
	s_or_b32 exec_lo, exec_lo, s21
.LBB311_3447:                           ;   in Loop: Header=BB311_2079 Depth=1
	s_wait_alu 0xfffe
	s_or_b32 exec_lo, exec_lo, s20
	v_lshrrev_b32_e32 v2, 16, v13
	s_mov_b32 s20, exec_lo
	s_delay_alu instid0(VALU_DEP_1) | instskip(NEXT) | instid1(VALU_DEP_1)
	v_and_b32_e32 v177, 0xff, v2
	v_cmpx_ne_u16_e64 0, v177
	s_cbranch_execz .LBB311_3455
; %bb.3448:                             ;   in Loop: Header=BB311_2079 Depth=1
	v_mov_b32_e32 v166, 0x8000
	s_mov_b32 s21, exec_lo
	v_cmpx_ne_u16_e64 0x80, v177
	s_cbranch_execz .LBB311_3454
; %bb.3449:                             ;   in Loop: Header=BB311_2079 Depth=1
	v_bfe_u32 v178, v13, 16, 7
	v_mov_b32_e32 v166, 0x7c01
	s_mov_b32 s22, exec_lo
	s_delay_alu instid0(VALU_DEP_2)
	v_cmpx_ne_u32_e32 0x7f, v178
	s_cbranch_execz .LBB311_3453
; %bb.3450:                             ;   in Loop: Header=BB311_2079 Depth=1
	v_and_b32_e32 v166, 7, v2
	v_lshrrev_b32_e32 v177, 3, v178
	s_mov_b32 s23, exec_lo
	v_cmpx_gt_u32_e32 8, v178
; %bb.3451:                             ;   in Loop: Header=BB311_2079 Depth=1
	s_delay_alu instid0(VALU_DEP_3) | instskip(NEXT) | instid1(VALU_DEP_1)
	v_clz_i32_u32_e32 v166, v166
	v_min_u32_e32 v166, 32, v166
	s_delay_alu instid0(VALU_DEP_1) | instskip(NEXT) | instid1(VALU_DEP_1)
	v_subrev_nc_u32_e32 v177, 28, v166
	v_lshlrev_b64_e32 v[178:179], v177, v[2:3]
	v_sub_nc_u32_e32 v177, 29, v166
	s_delay_alu instid0(VALU_DEP_2)
	v_and_b32_e32 v166, 7, v178
; %bb.3452:                             ;   in Loop: Header=BB311_2079 Depth=1
	s_wait_alu 0xfffe
	s_or_b32 exec_lo, exec_lo, s23
	v_lshlrev_b32_e32 v2, 8, v2
	v_lshl_add_u32 v177, v177, 10, 0x2000
	v_lshlrev_b32_e32 v166, 7, v166
	s_delay_alu instid0(VALU_DEP_3) | instskip(NEXT) | instid1(VALU_DEP_3)
	v_and_b32_e32 v2, 0x8000, v2
	v_and_b32_e32 v177, 0xfc00, v177
	s_delay_alu instid0(VALU_DEP_1)
	v_or3_b32 v166, v2, v177, v166
.LBB311_3453:                           ;   in Loop: Header=BB311_2079 Depth=1
	s_wait_alu 0xfffe
	s_or_b32 exec_lo, exec_lo, s22
.LBB311_3454:                           ;   in Loop: Header=BB311_2079 Depth=1
	s_wait_alu 0xfffe
	s_or_b32 exec_lo, exec_lo, s21
.LBB311_3455:                           ;   in Loop: Header=BB311_2079 Depth=1
	s_wait_alu 0xfffe
	s_or_b32 exec_lo, exec_lo, s20
	v_cmp_lt_u64_e64 s8, s[16:17], v[12:13]
	v_mov_b32_e32 v12, 0
	s_and_saveexec_b32 s20, s8
	s_cbranch_execz .LBB311_3463
; %bb.3456:                             ;   in Loop: Header=BB311_2079 Depth=1
	v_lshrrev_b32_e32 v2, 24, v13
	v_bfrev_b32_e32 v12, 1
	s_mov_b32 s21, exec_lo
	s_delay_alu instid0(VALU_DEP_2)
	v_cmpx_ne_u32_e32 0x80, v2
	s_cbranch_execz .LBB311_3462
; %bb.3457:                             ;   in Loop: Header=BB311_2079 Depth=1
	v_and_b32_e32 v177, 0x7f, v2
	v_mov_b32_e32 v12, 0x7c010000
	s_mov_b32 s22, exec_lo
	s_delay_alu instid0(VALU_DEP_2)
	v_cmpx_ne_u32_e32 0x7f, v177
	s_cbranch_execz .LBB311_3461
; %bb.3458:                             ;   in Loop: Header=BB311_2079 Depth=1
	v_and_b32_e32 v12, 7, v2
	v_lshrrev_b32_e32 v13, 3, v177
	s_mov_b32 s23, exec_lo
	v_cmpx_gt_u32_e32 8, v177
; %bb.3459:                             ;   in Loop: Header=BB311_2079 Depth=1
	s_delay_alu instid0(VALU_DEP_3) | instskip(NEXT) | instid1(VALU_DEP_1)
	v_clz_i32_u32_e32 v12, v12
	v_min_u32_e32 v177, 32, v12
	s_delay_alu instid0(VALU_DEP_1) | instskip(NEXT) | instid1(VALU_DEP_1)
	v_subrev_nc_u32_e32 v12, 28, v177
	v_lshlrev_b64_e32 v[12:13], v12, v[2:3]
	v_sub_nc_u32_e32 v13, 29, v177
	s_delay_alu instid0(VALU_DEP_2)
	v_and_b32_e32 v12, 7, v12
; %bb.3460:                             ;   in Loop: Header=BB311_2079 Depth=1
	s_wait_alu 0xfffe
	s_or_b32 exec_lo, exec_lo, s23
	v_lshlrev_b32_e32 v2, 8, v2
	v_lshl_add_u32 v13, v13, 10, 0x2000
	v_lshlrev_b32_e32 v12, 23, v12
	s_delay_alu instid0(VALU_DEP_2) | instskip(NEXT) | instid1(VALU_DEP_1)
	v_and_or_b32 v2, 0x8000, v2, v13
	v_lshl_or_b32 v12, v2, 16, v12
.LBB311_3461:                           ;   in Loop: Header=BB311_2079 Depth=1
	s_wait_alu 0xfffe
	s_or_b32 exec_lo, exec_lo, s22
.LBB311_3462:                           ;   in Loop: Header=BB311_2079 Depth=1
	s_wait_alu 0xfffe
	s_or_b32 exec_lo, exec_lo, s21
.LBB311_3463:                           ;   in Loop: Header=BB311_2079 Depth=1
	s_wait_alu 0xfffe
	s_or_b32 exec_lo, exec_lo, s20
	v_or_b32_e32 v2, v164, v165
	s_wait_loadcnt_dscnt 0x0
	v_fma_mixlo_f16 v13, v32, v164, 0 op_sel:[0,1,0] op_sel_hi:[0,1,0]
	v_or_b32_e32 v34, v33, v34
	v_or_b32_e32 v164, v176, v167
	;; [unrolled: 1-line block ×3, first 2 shown]
	v_fma_mixlo_f16 v165, v32, v2, 0 op_sel_hi:[0,1,0]
	v_fma_mixlo_f16 v33, v32, v33, 0 op_sel:[0,1,0] op_sel_hi:[0,1,0]
	v_lshlrev_b32_e32 v2, 16, v13
	v_fma_mixlo_f16 v34, v32, v34, 0 op_sel_hi:[0,1,0]
	v_fma_mixlo_f16 v164, v32, v164, 0 op_sel_hi:[0,1,0]
	v_and_b32_e32 v13, 0xffff, v165
	v_fma_mixlo_f16 v165, v32, v176, 0 op_sel:[0,1,0] op_sel_hi:[0,1,0]
	v_fma_mixlo_f16 v12, v32, v12, 0 op_sel:[0,1,0] op_sel_hi:[0,1,0]
	v_fma_mixlo_f16 v32, v32, v166, 0 op_sel_hi:[0,1,0]
	v_lshlrev_b32_e32 v33, 16, v33
	v_and_b32_e32 v177, 0xffff, v34
	v_lshlrev_b32_e32 v166, 16, v165
	v_and_b32_e32 v176, 0xffff, v164
	;; [unrolled: 2-line block ×3, first 2 shown]
	v_or_b32_e32 v12, v2, v13
	v_or_b32_e32 v164, v33, v177
	;; [unrolled: 1-line block ×3, first 2 shown]
	s_delay_alu instid0(VALU_DEP_4)
	v_or_b32_e32 v32, v165, v167
	s_and_saveexec_b32 s8, s2
	s_cbranch_execz .LBB311_3465
; %bb.3464:                             ;   in Loop: Header=BB311_2079 Depth=1
	s_wait_alu 0xfffd
	v_cndmask_b32_e32 v12, 0, v177, vcc_lo
	v_cndmask_b32_e64 v32, 0, v33, s1
	v_cndmask_b32_e64 v13, 0, v13, s0
	;; [unrolled: 1-line block ×7, first 2 shown]
	v_or_b32_e32 v164, v12, v32
	v_or_b32_e32 v12, v13, v2
	;; [unrolled: 1-line block ×3, first 2 shown]
	s_delay_alu instid0(VALU_DEP_4)
	v_or_b32_e32 v32, v166, v165
.LBB311_3465:                           ;   in Loop: Header=BB311_2079 Depth=1
	s_wait_alu 0xfffe
	s_or_b32 exec_lo, exec_lo, s8
	;;#ASMSTART
	v_pk_mul_f16 v2, v98, v164;

	;;#ASMEND
	;;#ASMSTART
	v_pk_mul_f16 v12, v96, v12;

	;;#ASMEND
	;; [unrolled: 4-line block ×4, first 2 shown]
	;;#ASMSTART
	v_pk_add_f16 v2, v2, v12;

	;;#ASMEND
	;;#ASMSTART
	v_pk_add_f16 v2, v2, v13;

	;;#ASMEND
	;; [unrolled: 4-line block ×3, first 2 shown]
	v_dual_mov_b32 v165, 0 :: v_dual_and_b32 v12, 0xffff, v2
	v_lshrrev_b32_e32 v2, 16, v2
	;;#ASMSTART
	v_cvt_f32_f16 v32, v12;
	;;#ASMEND
	;;#ASMSTART
	v_cvt_f32_f16 v33, v2;
	;;#ASMEND
	flat_load_b64 v[12:13], v[10:11] offset:5376
	flat_load_b32 v34, v[26:27]
	v_mov_b32_e32 v164, 0
	s_mov_b32 s20, exec_lo
	s_wait_loadcnt_dscnt 0x101
	v_and_b32_e32 v2, 0xff, v12
	s_delay_alu instid0(VALU_DEP_1)
	v_cmpx_ne_u16_e32 0, v2
	s_cbranch_execz .LBB311_3473
; %bb.3466:                             ;   in Loop: Header=BB311_2079 Depth=1
	v_mov_b32_e32 v165, 0x8000
	s_mov_b32 s21, exec_lo
	v_cmpx_ne_u16_e32 0x80, v2
	s_cbranch_execz .LBB311_3472
; %bb.3467:                             ;   in Loop: Header=BB311_2079 Depth=1
	v_and_b32_e32 v166, 0x7f, v12
	v_mov_b32_e32 v165, 0x7c01
	s_mov_b32 s22, exec_lo
	s_delay_alu instid0(VALU_DEP_2)
	v_cmpx_ne_u32_e32 0x7f, v166
	s_cbranch_execz .LBB311_3471
; %bb.3468:                             ;   in Loop: Header=BB311_2079 Depth=1
	v_and_b32_e32 v2, 7, v12
	v_lshrrev_b32_e32 v165, 3, v166
	s_mov_b32 s23, exec_lo
	v_cmpx_gt_u32_e32 8, v166
; %bb.3469:                             ;   in Loop: Header=BB311_2079 Depth=1
	s_delay_alu instid0(VALU_DEP_3) | instskip(NEXT) | instid1(VALU_DEP_1)
	v_clz_i32_u32_e32 v2, v2
	v_min_u32_e32 v2, 32, v2
	s_delay_alu instid0(VALU_DEP_1) | instskip(NEXT) | instid1(VALU_DEP_1)
	v_subrev_nc_u32_e32 v165, 28, v2
	v_lshlrev_b64_e32 v[166:167], v165, v[12:13]
	v_sub_nc_u32_e32 v165, 29, v2
	s_delay_alu instid0(VALU_DEP_2)
	v_and_b32_e32 v2, 7, v166
; %bb.3470:                             ;   in Loop: Header=BB311_2079 Depth=1
	s_wait_alu 0xfffe
	s_or_b32 exec_lo, exec_lo, s23
	v_lshlrev_b32_e32 v166, 8, v12
	v_lshl_add_u32 v165, v165, 10, 0x2000
	v_lshlrev_b32_e32 v2, 7, v2
	s_delay_alu instid0(VALU_DEP_3) | instskip(NEXT) | instid1(VALU_DEP_3)
	v_and_b32_e32 v166, 0x8000, v166
	v_and_b32_e32 v165, 0xfc00, v165
	s_delay_alu instid0(VALU_DEP_1)
	v_or3_b32 v165, v166, v165, v2
.LBB311_3471:                           ;   in Loop: Header=BB311_2079 Depth=1
	s_wait_alu 0xfffe
	s_or_b32 exec_lo, exec_lo, s22
.LBB311_3472:                           ;   in Loop: Header=BB311_2079 Depth=1
	s_wait_alu 0xfffe
	s_or_b32 exec_lo, exec_lo, s21
.LBB311_3473:                           ;   in Loop: Header=BB311_2079 Depth=1
	s_wait_alu 0xfffe
	s_or_b32 exec_lo, exec_lo, s20
	v_lshrrev_b16 v2, 8, v12
	s_mov_b32 s20, exec_lo
	s_delay_alu instid0(VALU_DEP_1)
	v_cmpx_ne_u16_e32 0, v2
	s_cbranch_execz .LBB311_3481
; %bb.3474:                             ;   in Loop: Header=BB311_2079 Depth=1
	v_bfrev_b32_e32 v164, 1
	s_mov_b32 s21, exec_lo
	v_cmpx_ne_u16_e32 0x80, v2
	s_cbranch_execz .LBB311_3480
; %bb.3475:                             ;   in Loop: Header=BB311_2079 Depth=1
	v_and_b32_e32 v166, 0xffff, v2
	v_mov_b32_e32 v164, 0x7c010000
	s_mov_b32 s22, exec_lo
	s_delay_alu instid0(VALU_DEP_2) | instskip(NEXT) | instid1(VALU_DEP_1)
	v_and_b32_e32 v176, 0x7f, v166
	v_cmpx_ne_u32_e32 0x7f, v176
	s_cbranch_execz .LBB311_3479
; %bb.3476:                             ;   in Loop: Header=BB311_2079 Depth=1
	v_and_b32_e32 v164, 7, v166
	v_lshrrev_b32_e32 v167, 3, v176
	s_mov_b32 s23, exec_lo
	v_cmpx_gt_u32_e32 8, v176
; %bb.3477:                             ;   in Loop: Header=BB311_2079 Depth=1
	s_delay_alu instid0(VALU_DEP_3) | instskip(NEXT) | instid1(VALU_DEP_1)
	v_clz_i32_u32_e32 v164, v164
	v_min_u32_e32 v164, 32, v164
	s_delay_alu instid0(VALU_DEP_1) | instskip(NEXT) | instid1(VALU_DEP_1)
	v_subrev_nc_u32_e32 v167, 28, v164
	v_lshlrev_b64_e32 v[176:177], v167, v[2:3]
	v_sub_nc_u32_e32 v167, 29, v164
	s_delay_alu instid0(VALU_DEP_2)
	v_and_b32_e32 v164, 7, v176
; %bb.3478:                             ;   in Loop: Header=BB311_2079 Depth=1
	s_wait_alu 0xfffe
	s_or_b32 exec_lo, exec_lo, s23
	v_lshlrev_b32_e32 v2, 8, v166
	v_lshl_add_u32 v166, v167, 10, 0x2000
	v_lshlrev_b32_e32 v164, 23, v164
	s_delay_alu instid0(VALU_DEP_2) | instskip(NEXT) | instid1(VALU_DEP_1)
	v_and_or_b32 v2, 0x8000, v2, v166
	v_lshl_or_b32 v164, v2, 16, v164
.LBB311_3479:                           ;   in Loop: Header=BB311_2079 Depth=1
	s_wait_alu 0xfffe
	s_or_b32 exec_lo, exec_lo, s22
.LBB311_3480:                           ;   in Loop: Header=BB311_2079 Depth=1
	s_wait_alu 0xfffe
	s_or_b32 exec_lo, exec_lo, s21
.LBB311_3481:                           ;   in Loop: Header=BB311_2079 Depth=1
	s_wait_alu 0xfffe
	s_or_b32 exec_lo, exec_lo, s20
	v_lshrrev_b32_e32 v2, 16, v12
	v_mov_b32_e32 v166, 0
	s_mov_b32 s20, exec_lo
	s_delay_alu instid0(VALU_DEP_2) | instskip(NEXT) | instid1(VALU_DEP_1)
	v_dual_mov_b32 v167, 0 :: v_dual_and_b32 v176, 0xff, v2
	v_cmpx_ne_u16_e64 0, v176
	s_cbranch_execz .LBB311_3489
; %bb.3482:                             ;   in Loop: Header=BB311_2079 Depth=1
	v_mov_b32_e32 v167, 0x8000
	s_mov_b32 s21, exec_lo
	v_cmpx_ne_u16_e64 0x80, v176
	s_cbranch_execz .LBB311_3488
; %bb.3483:                             ;   in Loop: Header=BB311_2079 Depth=1
	v_bfe_u32 v177, v12, 16, 7
	v_mov_b32_e32 v167, 0x7c01
	s_mov_b32 s22, exec_lo
	s_delay_alu instid0(VALU_DEP_2)
	v_cmpx_ne_u32_e32 0x7f, v177
	s_cbranch_execz .LBB311_3487
; %bb.3484:                             ;   in Loop: Header=BB311_2079 Depth=1
	v_and_b32_e32 v167, 7, v2
	v_lshrrev_b32_e32 v176, 3, v177
	s_mov_b32 s23, exec_lo
	v_cmpx_gt_u32_e32 8, v177
; %bb.3485:                             ;   in Loop: Header=BB311_2079 Depth=1
	s_delay_alu instid0(VALU_DEP_3) | instskip(NEXT) | instid1(VALU_DEP_1)
	v_clz_i32_u32_e32 v167, v167
	v_min_u32_e32 v167, 32, v167
	s_delay_alu instid0(VALU_DEP_1) | instskip(NEXT) | instid1(VALU_DEP_1)
	v_subrev_nc_u32_e32 v176, 28, v167
	v_lshlrev_b64_e32 v[177:178], v176, v[2:3]
	v_sub_nc_u32_e32 v176, 29, v167
	s_delay_alu instid0(VALU_DEP_2)
	v_and_b32_e32 v167, 7, v177
; %bb.3486:                             ;   in Loop: Header=BB311_2079 Depth=1
	s_wait_alu 0xfffe
	s_or_b32 exec_lo, exec_lo, s23
	v_lshlrev_b32_e32 v2, 8, v2
	v_lshl_add_u32 v176, v176, 10, 0x2000
	v_lshlrev_b32_e32 v167, 7, v167
	s_delay_alu instid0(VALU_DEP_3) | instskip(NEXT) | instid1(VALU_DEP_3)
	v_and_b32_e32 v2, 0x8000, v2
	v_and_b32_e32 v176, 0xfc00, v176
	s_delay_alu instid0(VALU_DEP_1)
	v_or3_b32 v167, v2, v176, v167
.LBB311_3487:                           ;   in Loop: Header=BB311_2079 Depth=1
	s_wait_alu 0xfffe
	s_or_b32 exec_lo, exec_lo, s22
.LBB311_3488:                           ;   in Loop: Header=BB311_2079 Depth=1
	s_wait_alu 0xfffe
	s_or_b32 exec_lo, exec_lo, s21
.LBB311_3489:                           ;   in Loop: Header=BB311_2079 Depth=1
	s_wait_alu 0xfffe
	s_or_b32 exec_lo, exec_lo, s20
	s_delay_alu instid0(SALU_CYCLE_1)
	s_mov_b32 s20, exec_lo
	v_cmpx_lt_u32_e32 0xffffff, v12
	s_cbranch_execz .LBB311_3497
; %bb.3490:                             ;   in Loop: Header=BB311_2079 Depth=1
	v_lshrrev_b32_e32 v2, 24, v12
	v_bfrev_b32_e32 v166, 1
	s_mov_b32 s21, exec_lo
	s_delay_alu instid0(VALU_DEP_2)
	v_cmpx_ne_u32_e32 0x80, v2
	s_cbranch_execz .LBB311_3496
; %bb.3491:                             ;   in Loop: Header=BB311_2079 Depth=1
	v_and_b32_e32 v177, 0x7f, v2
	v_mov_b32_e32 v166, 0x7c010000
	s_mov_b32 s22, exec_lo
	s_delay_alu instid0(VALU_DEP_2)
	v_cmpx_ne_u32_e32 0x7f, v177
	s_cbranch_execz .LBB311_3495
; %bb.3492:                             ;   in Loop: Header=BB311_2079 Depth=1
	v_and_b32_e32 v166, 7, v2
	v_lshrrev_b32_e32 v176, 3, v177
	s_mov_b32 s23, exec_lo
	v_cmpx_gt_u32_e32 8, v177
; %bb.3493:                             ;   in Loop: Header=BB311_2079 Depth=1
	s_delay_alu instid0(VALU_DEP_3) | instskip(NEXT) | instid1(VALU_DEP_1)
	v_clz_i32_u32_e32 v166, v166
	v_min_u32_e32 v166, 32, v166
	s_delay_alu instid0(VALU_DEP_1) | instskip(NEXT) | instid1(VALU_DEP_1)
	v_subrev_nc_u32_e32 v176, 28, v166
	v_lshlrev_b64_e32 v[177:178], v176, v[2:3]
	v_sub_nc_u32_e32 v176, 29, v166
	s_delay_alu instid0(VALU_DEP_2)
	v_and_b32_e32 v166, 7, v177
; %bb.3494:                             ;   in Loop: Header=BB311_2079 Depth=1
	s_wait_alu 0xfffe
	s_or_b32 exec_lo, exec_lo, s23
	v_lshlrev_b32_e32 v2, 8, v2
	v_lshl_add_u32 v176, v176, 10, 0x2000
	v_lshlrev_b32_e32 v166, 23, v166
	s_delay_alu instid0(VALU_DEP_2) | instskip(NEXT) | instid1(VALU_DEP_1)
	v_and_or_b32 v2, 0x8000, v2, v176
	v_lshl_or_b32 v166, v2, 16, v166
.LBB311_3495:                           ;   in Loop: Header=BB311_2079 Depth=1
	s_wait_alu 0xfffe
	s_or_b32 exec_lo, exec_lo, s22
.LBB311_3496:                           ;   in Loop: Header=BB311_2079 Depth=1
	s_wait_alu 0xfffe
	s_or_b32 exec_lo, exec_lo, s21
.LBB311_3497:                           ;   in Loop: Header=BB311_2079 Depth=1
	s_wait_alu 0xfffe
	s_or_b32 exec_lo, exec_lo, s20
	v_dual_mov_b32 v177, 0 :: v_dual_and_b32 v178, 0xff, v13
	v_mov_b32_e32 v2, v13
	v_mov_b32_e32 v176, 0
	s_mov_b32 s20, exec_lo
	s_delay_alu instid0(VALU_DEP_3)
	v_cmpx_ne_u16_e64 0, v178
	s_cbranch_execz .LBB311_3505
; %bb.3498:                             ;   in Loop: Header=BB311_2079 Depth=1
	v_mov_b32_e32 v177, 0x8000
	s_mov_b32 s21, exec_lo
	v_cmpx_ne_u16_e64 0x80, v178
	s_cbranch_execz .LBB311_3504
; %bb.3499:                             ;   in Loop: Header=BB311_2079 Depth=1
	v_and_b32_e32 v179, 0x7f, v13
	v_mov_b32_e32 v177, 0x7c01
	s_mov_b32 s22, exec_lo
	s_delay_alu instid0(VALU_DEP_2)
	v_cmpx_ne_u32_e32 0x7f, v179
	s_cbranch_execz .LBB311_3503
; %bb.3500:                             ;   in Loop: Header=BB311_2079 Depth=1
	v_and_b32_e32 v177, 7, v13
	v_lshrrev_b32_e32 v178, 3, v179
	s_mov_b32 s23, exec_lo
	v_cmpx_gt_u32_e32 8, v179
; %bb.3501:                             ;   in Loop: Header=BB311_2079 Depth=1
	s_delay_alu instid0(VALU_DEP_3) | instskip(NEXT) | instid1(VALU_DEP_1)
	v_clz_i32_u32_e32 v177, v177
	v_min_u32_e32 v179, 32, v177
	s_delay_alu instid0(VALU_DEP_1) | instskip(NEXT) | instid1(VALU_DEP_1)
	v_subrev_nc_u32_e32 v177, 28, v179
	v_lshlrev_b64_e32 v[177:178], v177, v[2:3]
	v_sub_nc_u32_e32 v178, 29, v179
	s_delay_alu instid0(VALU_DEP_2)
	v_and_b32_e32 v177, 7, v177
; %bb.3502:                             ;   in Loop: Header=BB311_2079 Depth=1
	s_wait_alu 0xfffe
	s_or_b32 exec_lo, exec_lo, s23
	v_lshlrev_b32_e32 v179, 8, v13
	v_lshl_add_u32 v178, v178, 10, 0x2000
	v_lshlrev_b32_e32 v177, 7, v177
	s_delay_alu instid0(VALU_DEP_3) | instskip(NEXT) | instid1(VALU_DEP_3)
	v_and_b32_e32 v179, 0x8000, v179
	v_and_b32_e32 v178, 0xfc00, v178
	s_delay_alu instid0(VALU_DEP_1)
	v_or3_b32 v177, v179, v178, v177
.LBB311_3503:                           ;   in Loop: Header=BB311_2079 Depth=1
	s_wait_alu 0xfffe
	s_or_b32 exec_lo, exec_lo, s22
.LBB311_3504:                           ;   in Loop: Header=BB311_2079 Depth=1
	s_wait_alu 0xfffe
	s_or_b32 exec_lo, exec_lo, s21
.LBB311_3505:                           ;   in Loop: Header=BB311_2079 Depth=1
	s_wait_alu 0xfffe
	s_or_b32 exec_lo, exec_lo, s20
	v_lshrrev_b16 v2, 8, v2
	v_mov_b32_e32 v178, 0
	s_mov_b32 s20, exec_lo
	s_delay_alu instid0(VALU_DEP_2)
	v_cmpx_ne_u16_e32 0, v2
	s_cbranch_execz .LBB311_3513
; %bb.3506:                             ;   in Loop: Header=BB311_2079 Depth=1
	v_bfrev_b32_e32 v178, 1
	s_mov_b32 s21, exec_lo
	v_cmpx_ne_u16_e32 0x80, v2
	s_cbranch_execz .LBB311_3512
; %bb.3507:                             ;   in Loop: Header=BB311_2079 Depth=1
	v_and_b32_e32 v179, 0xffff, v2
	v_mov_b32_e32 v178, 0x7c010000
	s_mov_b32 s22, exec_lo
	s_delay_alu instid0(VALU_DEP_2) | instskip(NEXT) | instid1(VALU_DEP_1)
	v_and_b32_e32 v181, 0x7f, v179
	v_cmpx_ne_u32_e32 0x7f, v181
	s_cbranch_execz .LBB311_3511
; %bb.3508:                             ;   in Loop: Header=BB311_2079 Depth=1
	v_and_b32_e32 v178, 7, v179
	v_lshrrev_b32_e32 v180, 3, v181
	s_mov_b32 s23, exec_lo
	v_cmpx_gt_u32_e32 8, v181
; %bb.3509:                             ;   in Loop: Header=BB311_2079 Depth=1
	s_delay_alu instid0(VALU_DEP_3) | instskip(NEXT) | instid1(VALU_DEP_1)
	v_clz_i32_u32_e32 v178, v178
	v_min_u32_e32 v178, 32, v178
	s_delay_alu instid0(VALU_DEP_1) | instskip(NEXT) | instid1(VALU_DEP_1)
	v_subrev_nc_u32_e32 v180, 28, v178
	v_lshlrev_b64_e32 v[181:182], v180, v[2:3]
	v_sub_nc_u32_e32 v180, 29, v178
	s_delay_alu instid0(VALU_DEP_2)
	v_and_b32_e32 v178, 7, v181
; %bb.3510:                             ;   in Loop: Header=BB311_2079 Depth=1
	s_wait_alu 0xfffe
	s_or_b32 exec_lo, exec_lo, s23
	v_lshlrev_b32_e32 v2, 8, v179
	v_lshl_add_u32 v179, v180, 10, 0x2000
	v_lshlrev_b32_e32 v178, 23, v178
	s_delay_alu instid0(VALU_DEP_2) | instskip(NEXT) | instid1(VALU_DEP_1)
	v_and_or_b32 v2, 0x8000, v2, v179
	v_lshl_or_b32 v178, v2, 16, v178
.LBB311_3511:                           ;   in Loop: Header=BB311_2079 Depth=1
	s_wait_alu 0xfffe
	s_or_b32 exec_lo, exec_lo, s22
.LBB311_3512:                           ;   in Loop: Header=BB311_2079 Depth=1
	s_wait_alu 0xfffe
	s_or_b32 exec_lo, exec_lo, s21
.LBB311_3513:                           ;   in Loop: Header=BB311_2079 Depth=1
	s_wait_alu 0xfffe
	s_or_b32 exec_lo, exec_lo, s20
	v_lshrrev_b32_e32 v2, 16, v13
	s_mov_b32 s20, exec_lo
	s_delay_alu instid0(VALU_DEP_1) | instskip(NEXT) | instid1(VALU_DEP_1)
	v_and_b32_e32 v179, 0xff, v2
	v_cmpx_ne_u16_e64 0, v179
	s_cbranch_execz .LBB311_3521
; %bb.3514:                             ;   in Loop: Header=BB311_2079 Depth=1
	v_mov_b32_e32 v176, 0x8000
	s_mov_b32 s21, exec_lo
	v_cmpx_ne_u16_e64 0x80, v179
	s_cbranch_execz .LBB311_3520
; %bb.3515:                             ;   in Loop: Header=BB311_2079 Depth=1
	v_bfe_u32 v180, v13, 16, 7
	v_mov_b32_e32 v176, 0x7c01
	s_mov_b32 s22, exec_lo
	s_delay_alu instid0(VALU_DEP_2)
	v_cmpx_ne_u32_e32 0x7f, v180
	s_cbranch_execz .LBB311_3519
; %bb.3516:                             ;   in Loop: Header=BB311_2079 Depth=1
	v_and_b32_e32 v176, 7, v2
	v_lshrrev_b32_e32 v179, 3, v180
	s_mov_b32 s23, exec_lo
	v_cmpx_gt_u32_e32 8, v180
; %bb.3517:                             ;   in Loop: Header=BB311_2079 Depth=1
	s_delay_alu instid0(VALU_DEP_3) | instskip(NEXT) | instid1(VALU_DEP_1)
	v_clz_i32_u32_e32 v176, v176
	v_min_u32_e32 v176, 32, v176
	s_delay_alu instid0(VALU_DEP_1) | instskip(NEXT) | instid1(VALU_DEP_1)
	v_subrev_nc_u32_e32 v179, 28, v176
	v_lshlrev_b64_e32 v[180:181], v179, v[2:3]
	v_sub_nc_u32_e32 v179, 29, v176
	s_delay_alu instid0(VALU_DEP_2)
	v_and_b32_e32 v176, 7, v180
; %bb.3518:                             ;   in Loop: Header=BB311_2079 Depth=1
	s_wait_alu 0xfffe
	s_or_b32 exec_lo, exec_lo, s23
	v_lshlrev_b32_e32 v2, 8, v2
	v_lshl_add_u32 v179, v179, 10, 0x2000
	v_lshlrev_b32_e32 v176, 7, v176
	s_delay_alu instid0(VALU_DEP_3) | instskip(NEXT) | instid1(VALU_DEP_3)
	v_and_b32_e32 v2, 0x8000, v2
	v_and_b32_e32 v179, 0xfc00, v179
	s_delay_alu instid0(VALU_DEP_1)
	v_or3_b32 v176, v2, v179, v176
.LBB311_3519:                           ;   in Loop: Header=BB311_2079 Depth=1
	s_wait_alu 0xfffe
	s_or_b32 exec_lo, exec_lo, s22
.LBB311_3520:                           ;   in Loop: Header=BB311_2079 Depth=1
	s_wait_alu 0xfffe
	s_or_b32 exec_lo, exec_lo, s21
.LBB311_3521:                           ;   in Loop: Header=BB311_2079 Depth=1
	s_wait_alu 0xfffe
	s_or_b32 exec_lo, exec_lo, s20
	v_cmp_lt_u64_e64 s8, s[16:17], v[12:13]
	v_mov_b32_e32 v12, 0
	s_and_saveexec_b32 s20, s8
	s_cbranch_execz .LBB311_3529
; %bb.3522:                             ;   in Loop: Header=BB311_2079 Depth=1
	v_lshrrev_b32_e32 v2, 24, v13
	v_bfrev_b32_e32 v12, 1
	s_mov_b32 s21, exec_lo
	s_delay_alu instid0(VALU_DEP_2)
	v_cmpx_ne_u32_e32 0x80, v2
	s_cbranch_execz .LBB311_3528
; %bb.3523:                             ;   in Loop: Header=BB311_2079 Depth=1
	v_and_b32_e32 v179, 0x7f, v2
	v_mov_b32_e32 v12, 0x7c010000
	s_mov_b32 s22, exec_lo
	s_delay_alu instid0(VALU_DEP_2)
	v_cmpx_ne_u32_e32 0x7f, v179
	s_cbranch_execz .LBB311_3527
; %bb.3524:                             ;   in Loop: Header=BB311_2079 Depth=1
	v_and_b32_e32 v12, 7, v2
	v_lshrrev_b32_e32 v13, 3, v179
	s_mov_b32 s23, exec_lo
	v_cmpx_gt_u32_e32 8, v179
; %bb.3525:                             ;   in Loop: Header=BB311_2079 Depth=1
	s_delay_alu instid0(VALU_DEP_3) | instskip(NEXT) | instid1(VALU_DEP_1)
	v_clz_i32_u32_e32 v12, v12
	v_min_u32_e32 v179, 32, v12
	s_delay_alu instid0(VALU_DEP_1) | instskip(NEXT) | instid1(VALU_DEP_1)
	v_subrev_nc_u32_e32 v12, 28, v179
	v_lshlrev_b64_e32 v[12:13], v12, v[2:3]
	v_sub_nc_u32_e32 v13, 29, v179
	s_delay_alu instid0(VALU_DEP_2)
	v_and_b32_e32 v12, 7, v12
; %bb.3526:                             ;   in Loop: Header=BB311_2079 Depth=1
	s_wait_alu 0xfffe
	s_or_b32 exec_lo, exec_lo, s23
	v_lshlrev_b32_e32 v2, 8, v2
	v_lshl_add_u32 v13, v13, 10, 0x2000
	v_lshlrev_b32_e32 v12, 23, v12
	s_delay_alu instid0(VALU_DEP_2) | instskip(NEXT) | instid1(VALU_DEP_1)
	v_and_or_b32 v2, 0x8000, v2, v13
	v_lshl_or_b32 v12, v2, 16, v12
.LBB311_3527:                           ;   in Loop: Header=BB311_2079 Depth=1
	s_wait_alu 0xfffe
	s_or_b32 exec_lo, exec_lo, s22
.LBB311_3528:                           ;   in Loop: Header=BB311_2079 Depth=1
	s_wait_alu 0xfffe
	s_or_b32 exec_lo, exec_lo, s21
.LBB311_3529:                           ;   in Loop: Header=BB311_2079 Depth=1
	s_wait_alu 0xfffe
	s_or_b32 exec_lo, exec_lo, s20
	v_or_b32_e32 v2, v166, v167
	s_wait_loadcnt_dscnt 0x0
	v_fma_mixlo_f16 v13, v34, v166, 0 op_sel:[0,1,0] op_sel_hi:[0,1,0]
	v_or_b32_e32 v165, v164, v165
	v_or_b32_e32 v166, v178, v177
	;; [unrolled: 1-line block ×3, first 2 shown]
	v_fma_mixlo_f16 v167, v34, v2, 0 op_sel_hi:[0,1,0]
	v_fma_mixlo_f16 v164, v34, v164, 0 op_sel:[0,1,0] op_sel_hi:[0,1,0]
	v_lshlrev_b32_e32 v2, 16, v13
	v_fma_mixlo_f16 v165, v34, v165, 0 op_sel_hi:[0,1,0]
	v_fma_mixlo_f16 v166, v34, v166, 0 op_sel_hi:[0,1,0]
	v_and_b32_e32 v13, 0xffff, v167
	v_fma_mixlo_f16 v167, v34, v178, 0 op_sel:[0,1,0] op_sel_hi:[0,1,0]
	v_fma_mixlo_f16 v12, v34, v12, 0 op_sel:[0,1,0] op_sel_hi:[0,1,0]
	v_fma_mixlo_f16 v34, v34, v176, 0 op_sel_hi:[0,1,0]
	v_lshlrev_b32_e32 v164, 16, v164
	v_and_b32_e32 v179, 0xffff, v165
	v_lshlrev_b32_e32 v176, 16, v167
	v_and_b32_e32 v178, 0xffff, v166
	;; [unrolled: 2-line block ×3, first 2 shown]
	v_or_b32_e32 v12, v2, v13
	v_or_b32_e32 v166, v164, v179
	;; [unrolled: 1-line block ×3, first 2 shown]
	s_delay_alu instid0(VALU_DEP_4)
	v_or_b32_e32 v34, v167, v177
	s_and_saveexec_b32 s8, s2
	s_cbranch_execz .LBB311_3531
; %bb.3530:                             ;   in Loop: Header=BB311_2079 Depth=1
	s_wait_alu 0xfffd
	v_cndmask_b32_e32 v12, 0, v179, vcc_lo
	v_cndmask_b32_e64 v34, 0, v164, s1
	v_cndmask_b32_e64 v13, 0, v13, s0
	;; [unrolled: 1-line block ×7, first 2 shown]
	v_or_b32_e32 v166, v12, v34
	v_or_b32_e32 v12, v13, v2
	;; [unrolled: 1-line block ×3, first 2 shown]
	s_delay_alu instid0(VALU_DEP_4)
	v_or_b32_e32 v34, v176, v167
.LBB311_3531:                           ;   in Loop: Header=BB311_2079 Depth=1
	s_wait_alu 0xfffe
	s_or_b32 exec_lo, exec_lo, s8
	;;#ASMSTART
	v_pk_mul_f16 v2, v98, v166;

	;;#ASMEND
	;;#ASMSTART
	v_pk_mul_f16 v12, v96, v12;

	;;#ASMEND
	;; [unrolled: 4-line block ×4, first 2 shown]
	;;#ASMSTART
	v_pk_add_f16 v2, v2, v12;

	;;#ASMEND
	;;#ASMSTART
	v_pk_add_f16 v2, v2, v13;

	;;#ASMEND
	;; [unrolled: 4-line block ×3, first 2 shown]
	v_dual_mov_b32 v167, 0 :: v_dual_and_b32 v12, 0xffff, v2
	v_lshrrev_b32_e32 v2, 16, v2
	;;#ASMSTART
	v_cvt_f32_f16 v34, v12;
	;;#ASMEND
	;;#ASMSTART
	v_cvt_f32_f16 v164, v2;
	;;#ASMEND
	flat_load_b64 v[12:13], v[10:11] offset:5632
	flat_load_b32 v165, v[26:27]
	v_mov_b32_e32 v166, 0
	s_mov_b32 s20, exec_lo
	s_wait_loadcnt_dscnt 0x101
	v_and_b32_e32 v2, 0xff, v12
	s_delay_alu instid0(VALU_DEP_1)
	v_cmpx_ne_u16_e32 0, v2
	s_cbranch_execz .LBB311_3539
; %bb.3532:                             ;   in Loop: Header=BB311_2079 Depth=1
	v_mov_b32_e32 v167, 0x8000
	s_mov_b32 s21, exec_lo
	v_cmpx_ne_u16_e32 0x80, v2
	s_cbranch_execz .LBB311_3538
; %bb.3533:                             ;   in Loop: Header=BB311_2079 Depth=1
	v_and_b32_e32 v176, 0x7f, v12
	v_mov_b32_e32 v167, 0x7c01
	s_mov_b32 s22, exec_lo
	s_delay_alu instid0(VALU_DEP_2)
	v_cmpx_ne_u32_e32 0x7f, v176
	s_cbranch_execz .LBB311_3537
; %bb.3534:                             ;   in Loop: Header=BB311_2079 Depth=1
	v_and_b32_e32 v2, 7, v12
	v_lshrrev_b32_e32 v167, 3, v176
	s_mov_b32 s23, exec_lo
	v_cmpx_gt_u32_e32 8, v176
; %bb.3535:                             ;   in Loop: Header=BB311_2079 Depth=1
	s_delay_alu instid0(VALU_DEP_3) | instskip(NEXT) | instid1(VALU_DEP_1)
	v_clz_i32_u32_e32 v2, v2
	v_min_u32_e32 v2, 32, v2
	s_delay_alu instid0(VALU_DEP_1) | instskip(NEXT) | instid1(VALU_DEP_1)
	v_subrev_nc_u32_e32 v167, 28, v2
	v_lshlrev_b64_e32 v[176:177], v167, v[12:13]
	v_sub_nc_u32_e32 v167, 29, v2
	s_delay_alu instid0(VALU_DEP_2)
	v_and_b32_e32 v2, 7, v176
; %bb.3536:                             ;   in Loop: Header=BB311_2079 Depth=1
	s_wait_alu 0xfffe
	s_or_b32 exec_lo, exec_lo, s23
	v_lshlrev_b32_e32 v176, 8, v12
	v_lshl_add_u32 v167, v167, 10, 0x2000
	v_lshlrev_b32_e32 v2, 7, v2
	s_delay_alu instid0(VALU_DEP_3) | instskip(NEXT) | instid1(VALU_DEP_3)
	v_and_b32_e32 v176, 0x8000, v176
	v_and_b32_e32 v167, 0xfc00, v167
	s_delay_alu instid0(VALU_DEP_1)
	v_or3_b32 v167, v176, v167, v2
.LBB311_3537:                           ;   in Loop: Header=BB311_2079 Depth=1
	s_wait_alu 0xfffe
	s_or_b32 exec_lo, exec_lo, s22
.LBB311_3538:                           ;   in Loop: Header=BB311_2079 Depth=1
	s_wait_alu 0xfffe
	s_or_b32 exec_lo, exec_lo, s21
.LBB311_3539:                           ;   in Loop: Header=BB311_2079 Depth=1
	s_wait_alu 0xfffe
	s_or_b32 exec_lo, exec_lo, s20
	v_lshrrev_b16 v2, 8, v12
	s_mov_b32 s20, exec_lo
	s_delay_alu instid0(VALU_DEP_1)
	v_cmpx_ne_u16_e32 0, v2
	s_cbranch_execz .LBB311_3547
; %bb.3540:                             ;   in Loop: Header=BB311_2079 Depth=1
	v_bfrev_b32_e32 v166, 1
	s_mov_b32 s21, exec_lo
	v_cmpx_ne_u16_e32 0x80, v2
	s_cbranch_execz .LBB311_3546
; %bb.3541:                             ;   in Loop: Header=BB311_2079 Depth=1
	v_and_b32_e32 v176, 0xffff, v2
	v_mov_b32_e32 v166, 0x7c010000
	s_mov_b32 s22, exec_lo
	s_delay_alu instid0(VALU_DEP_2) | instskip(NEXT) | instid1(VALU_DEP_1)
	v_and_b32_e32 v178, 0x7f, v176
	v_cmpx_ne_u32_e32 0x7f, v178
	s_cbranch_execz .LBB311_3545
; %bb.3542:                             ;   in Loop: Header=BB311_2079 Depth=1
	v_and_b32_e32 v166, 7, v176
	v_lshrrev_b32_e32 v177, 3, v178
	s_mov_b32 s23, exec_lo
	v_cmpx_gt_u32_e32 8, v178
; %bb.3543:                             ;   in Loop: Header=BB311_2079 Depth=1
	s_delay_alu instid0(VALU_DEP_3) | instskip(NEXT) | instid1(VALU_DEP_1)
	v_clz_i32_u32_e32 v166, v166
	v_min_u32_e32 v166, 32, v166
	s_delay_alu instid0(VALU_DEP_1) | instskip(NEXT) | instid1(VALU_DEP_1)
	v_subrev_nc_u32_e32 v177, 28, v166
	v_lshlrev_b64_e32 v[178:179], v177, v[2:3]
	v_sub_nc_u32_e32 v177, 29, v166
	s_delay_alu instid0(VALU_DEP_2)
	v_and_b32_e32 v166, 7, v178
; %bb.3544:                             ;   in Loop: Header=BB311_2079 Depth=1
	s_wait_alu 0xfffe
	s_or_b32 exec_lo, exec_lo, s23
	v_lshlrev_b32_e32 v2, 8, v176
	v_lshl_add_u32 v176, v177, 10, 0x2000
	v_lshlrev_b32_e32 v166, 23, v166
	s_delay_alu instid0(VALU_DEP_2) | instskip(NEXT) | instid1(VALU_DEP_1)
	v_and_or_b32 v2, 0x8000, v2, v176
	v_lshl_or_b32 v166, v2, 16, v166
.LBB311_3545:                           ;   in Loop: Header=BB311_2079 Depth=1
	s_wait_alu 0xfffe
	s_or_b32 exec_lo, exec_lo, s22
.LBB311_3546:                           ;   in Loop: Header=BB311_2079 Depth=1
	s_wait_alu 0xfffe
	s_or_b32 exec_lo, exec_lo, s21
.LBB311_3547:                           ;   in Loop: Header=BB311_2079 Depth=1
	s_wait_alu 0xfffe
	s_or_b32 exec_lo, exec_lo, s20
	v_lshrrev_b32_e32 v2, 16, v12
	v_mov_b32_e32 v176, 0
	s_mov_b32 s20, exec_lo
	s_delay_alu instid0(VALU_DEP_2) | instskip(NEXT) | instid1(VALU_DEP_1)
	v_dual_mov_b32 v177, 0 :: v_dual_and_b32 v178, 0xff, v2
	v_cmpx_ne_u16_e64 0, v178
	s_cbranch_execz .LBB311_3555
; %bb.3548:                             ;   in Loop: Header=BB311_2079 Depth=1
	v_mov_b32_e32 v177, 0x8000
	s_mov_b32 s21, exec_lo
	v_cmpx_ne_u16_e64 0x80, v178
	s_cbranch_execz .LBB311_3554
; %bb.3549:                             ;   in Loop: Header=BB311_2079 Depth=1
	v_bfe_u32 v179, v12, 16, 7
	v_mov_b32_e32 v177, 0x7c01
	s_mov_b32 s22, exec_lo
	s_delay_alu instid0(VALU_DEP_2)
	v_cmpx_ne_u32_e32 0x7f, v179
	s_cbranch_execz .LBB311_3553
; %bb.3550:                             ;   in Loop: Header=BB311_2079 Depth=1
	v_and_b32_e32 v177, 7, v2
	v_lshrrev_b32_e32 v178, 3, v179
	s_mov_b32 s23, exec_lo
	v_cmpx_gt_u32_e32 8, v179
; %bb.3551:                             ;   in Loop: Header=BB311_2079 Depth=1
	s_delay_alu instid0(VALU_DEP_3) | instskip(NEXT) | instid1(VALU_DEP_1)
	v_clz_i32_u32_e32 v177, v177
	v_min_u32_e32 v179, 32, v177
	s_delay_alu instid0(VALU_DEP_1) | instskip(NEXT) | instid1(VALU_DEP_1)
	v_subrev_nc_u32_e32 v177, 28, v179
	v_lshlrev_b64_e32 v[177:178], v177, v[2:3]
	v_sub_nc_u32_e32 v178, 29, v179
	s_delay_alu instid0(VALU_DEP_2)
	v_and_b32_e32 v177, 7, v177
; %bb.3552:                             ;   in Loop: Header=BB311_2079 Depth=1
	s_wait_alu 0xfffe
	s_or_b32 exec_lo, exec_lo, s23
	v_lshlrev_b32_e32 v2, 8, v2
	v_lshl_add_u32 v178, v178, 10, 0x2000
	v_lshlrev_b32_e32 v177, 7, v177
	s_delay_alu instid0(VALU_DEP_3) | instskip(NEXT) | instid1(VALU_DEP_3)
	v_and_b32_e32 v2, 0x8000, v2
	v_and_b32_e32 v178, 0xfc00, v178
	s_delay_alu instid0(VALU_DEP_1)
	v_or3_b32 v177, v2, v178, v177
.LBB311_3553:                           ;   in Loop: Header=BB311_2079 Depth=1
	s_wait_alu 0xfffe
	s_or_b32 exec_lo, exec_lo, s22
.LBB311_3554:                           ;   in Loop: Header=BB311_2079 Depth=1
	s_wait_alu 0xfffe
	s_or_b32 exec_lo, exec_lo, s21
.LBB311_3555:                           ;   in Loop: Header=BB311_2079 Depth=1
	s_wait_alu 0xfffe
	s_or_b32 exec_lo, exec_lo, s20
	s_delay_alu instid0(SALU_CYCLE_1)
	s_mov_b32 s20, exec_lo
	v_cmpx_lt_u32_e32 0xffffff, v12
	s_cbranch_execz .LBB311_3563
; %bb.3556:                             ;   in Loop: Header=BB311_2079 Depth=1
	v_lshrrev_b32_e32 v2, 24, v12
	v_bfrev_b32_e32 v176, 1
	s_mov_b32 s21, exec_lo
	s_delay_alu instid0(VALU_DEP_2)
	v_cmpx_ne_u32_e32 0x80, v2
	s_cbranch_execz .LBB311_3562
; %bb.3557:                             ;   in Loop: Header=BB311_2079 Depth=1
	v_and_b32_e32 v179, 0x7f, v2
	v_mov_b32_e32 v176, 0x7c010000
	s_mov_b32 s22, exec_lo
	s_delay_alu instid0(VALU_DEP_2)
	v_cmpx_ne_u32_e32 0x7f, v179
	s_cbranch_execz .LBB311_3561
; %bb.3558:                             ;   in Loop: Header=BB311_2079 Depth=1
	v_and_b32_e32 v176, 7, v2
	v_lshrrev_b32_e32 v178, 3, v179
	s_mov_b32 s23, exec_lo
	v_cmpx_gt_u32_e32 8, v179
; %bb.3559:                             ;   in Loop: Header=BB311_2079 Depth=1
	s_delay_alu instid0(VALU_DEP_3) | instskip(NEXT) | instid1(VALU_DEP_1)
	v_clz_i32_u32_e32 v176, v176
	v_min_u32_e32 v176, 32, v176
	s_delay_alu instid0(VALU_DEP_1) | instskip(NEXT) | instid1(VALU_DEP_1)
	v_subrev_nc_u32_e32 v178, 28, v176
	v_lshlrev_b64_e32 v[179:180], v178, v[2:3]
	v_sub_nc_u32_e32 v178, 29, v176
	s_delay_alu instid0(VALU_DEP_2)
	v_and_b32_e32 v176, 7, v179
; %bb.3560:                             ;   in Loop: Header=BB311_2079 Depth=1
	s_wait_alu 0xfffe
	s_or_b32 exec_lo, exec_lo, s23
	v_lshlrev_b32_e32 v2, 8, v2
	v_lshl_add_u32 v178, v178, 10, 0x2000
	v_lshlrev_b32_e32 v176, 23, v176
	s_delay_alu instid0(VALU_DEP_2) | instskip(NEXT) | instid1(VALU_DEP_1)
	v_and_or_b32 v2, 0x8000, v2, v178
	v_lshl_or_b32 v176, v2, 16, v176
.LBB311_3561:                           ;   in Loop: Header=BB311_2079 Depth=1
	s_wait_alu 0xfffe
	s_or_b32 exec_lo, exec_lo, s22
.LBB311_3562:                           ;   in Loop: Header=BB311_2079 Depth=1
	s_wait_alu 0xfffe
	s_or_b32 exec_lo, exec_lo, s21
.LBB311_3563:                           ;   in Loop: Header=BB311_2079 Depth=1
	s_wait_alu 0xfffe
	s_or_b32 exec_lo, exec_lo, s20
	v_dual_mov_b32 v179, 0 :: v_dual_and_b32 v180, 0xff, v13
	v_mov_b32_e32 v2, v13
	v_mov_b32_e32 v178, 0
	s_mov_b32 s20, exec_lo
	s_delay_alu instid0(VALU_DEP_3)
	v_cmpx_ne_u16_e64 0, v180
	s_cbranch_execz .LBB311_3571
; %bb.3564:                             ;   in Loop: Header=BB311_2079 Depth=1
	v_mov_b32_e32 v179, 0x8000
	s_mov_b32 s21, exec_lo
	v_cmpx_ne_u16_e64 0x80, v180
	s_cbranch_execz .LBB311_3570
; %bb.3565:                             ;   in Loop: Header=BB311_2079 Depth=1
	v_and_b32_e32 v181, 0x7f, v13
	v_mov_b32_e32 v179, 0x7c01
	s_mov_b32 s22, exec_lo
	s_delay_alu instid0(VALU_DEP_2)
	v_cmpx_ne_u32_e32 0x7f, v181
	s_cbranch_execz .LBB311_3569
; %bb.3566:                             ;   in Loop: Header=BB311_2079 Depth=1
	v_and_b32_e32 v179, 7, v13
	v_lshrrev_b32_e32 v180, 3, v181
	s_mov_b32 s23, exec_lo
	v_cmpx_gt_u32_e32 8, v181
; %bb.3567:                             ;   in Loop: Header=BB311_2079 Depth=1
	s_delay_alu instid0(VALU_DEP_3) | instskip(NEXT) | instid1(VALU_DEP_1)
	v_clz_i32_u32_e32 v179, v179
	v_min_u32_e32 v181, 32, v179
	s_delay_alu instid0(VALU_DEP_1) | instskip(NEXT) | instid1(VALU_DEP_1)
	v_subrev_nc_u32_e32 v179, 28, v181
	v_lshlrev_b64_e32 v[179:180], v179, v[2:3]
	v_sub_nc_u32_e32 v180, 29, v181
	s_delay_alu instid0(VALU_DEP_2)
	v_and_b32_e32 v179, 7, v179
; %bb.3568:                             ;   in Loop: Header=BB311_2079 Depth=1
	s_wait_alu 0xfffe
	s_or_b32 exec_lo, exec_lo, s23
	v_lshlrev_b32_e32 v181, 8, v13
	v_lshl_add_u32 v180, v180, 10, 0x2000
	v_lshlrev_b32_e32 v179, 7, v179
	s_delay_alu instid0(VALU_DEP_3) | instskip(NEXT) | instid1(VALU_DEP_3)
	v_and_b32_e32 v181, 0x8000, v181
	v_and_b32_e32 v180, 0xfc00, v180
	s_delay_alu instid0(VALU_DEP_1)
	v_or3_b32 v179, v181, v180, v179
.LBB311_3569:                           ;   in Loop: Header=BB311_2079 Depth=1
	s_wait_alu 0xfffe
	s_or_b32 exec_lo, exec_lo, s22
.LBB311_3570:                           ;   in Loop: Header=BB311_2079 Depth=1
	s_wait_alu 0xfffe
	s_or_b32 exec_lo, exec_lo, s21
.LBB311_3571:                           ;   in Loop: Header=BB311_2079 Depth=1
	s_wait_alu 0xfffe
	s_or_b32 exec_lo, exec_lo, s20
	v_lshrrev_b16 v2, 8, v2
	v_mov_b32_e32 v180, 0
	s_mov_b32 s20, exec_lo
	s_delay_alu instid0(VALU_DEP_2)
	v_cmpx_ne_u16_e32 0, v2
	s_cbranch_execz .LBB311_3579
; %bb.3572:                             ;   in Loop: Header=BB311_2079 Depth=1
	v_bfrev_b32_e32 v180, 1
	s_mov_b32 s21, exec_lo
	v_cmpx_ne_u16_e32 0x80, v2
	s_cbranch_execz .LBB311_3578
; %bb.3573:                             ;   in Loop: Header=BB311_2079 Depth=1
	v_and_b32_e32 v181, 0xffff, v2
	v_mov_b32_e32 v180, 0x7c010000
	s_mov_b32 s22, exec_lo
	s_delay_alu instid0(VALU_DEP_2) | instskip(NEXT) | instid1(VALU_DEP_1)
	v_and_b32_e32 v183, 0x7f, v181
	v_cmpx_ne_u32_e32 0x7f, v183
	s_cbranch_execz .LBB311_3577
; %bb.3574:                             ;   in Loop: Header=BB311_2079 Depth=1
	v_and_b32_e32 v180, 7, v181
	v_lshrrev_b32_e32 v182, 3, v183
	s_mov_b32 s23, exec_lo
	v_cmpx_gt_u32_e32 8, v183
; %bb.3575:                             ;   in Loop: Header=BB311_2079 Depth=1
	s_delay_alu instid0(VALU_DEP_3) | instskip(NEXT) | instid1(VALU_DEP_1)
	v_clz_i32_u32_e32 v180, v180
	v_min_u32_e32 v180, 32, v180
	s_delay_alu instid0(VALU_DEP_1) | instskip(NEXT) | instid1(VALU_DEP_1)
	v_subrev_nc_u32_e32 v182, 28, v180
	v_lshlrev_b64_e32 v[40:41], v182, v[2:3]
	v_sub_nc_u32_e32 v182, 29, v180
	s_delay_alu instid0(VALU_DEP_2)
	v_and_b32_e32 v180, 7, v40
; %bb.3576:                             ;   in Loop: Header=BB311_2079 Depth=1
	s_wait_alu 0xfffe
	s_or_b32 exec_lo, exec_lo, s23
	v_lshlrev_b32_e32 v2, 8, v181
	v_lshl_add_u32 v181, v182, 10, 0x2000
	v_lshlrev_b32_e32 v180, 23, v180
	s_delay_alu instid0(VALU_DEP_2) | instskip(NEXT) | instid1(VALU_DEP_1)
	v_and_or_b32 v2, 0x8000, v2, v181
	v_lshl_or_b32 v180, v2, 16, v180
.LBB311_3577:                           ;   in Loop: Header=BB311_2079 Depth=1
	s_wait_alu 0xfffe
	s_or_b32 exec_lo, exec_lo, s22
.LBB311_3578:                           ;   in Loop: Header=BB311_2079 Depth=1
	s_wait_alu 0xfffe
	s_or_b32 exec_lo, exec_lo, s21
.LBB311_3579:                           ;   in Loop: Header=BB311_2079 Depth=1
	s_wait_alu 0xfffe
	s_or_b32 exec_lo, exec_lo, s20
	v_lshrrev_b32_e32 v2, 16, v13
	s_mov_b32 s20, exec_lo
	s_delay_alu instid0(VALU_DEP_1) | instskip(NEXT) | instid1(VALU_DEP_1)
	v_and_b32_e32 v181, 0xff, v2
	v_cmpx_ne_u16_e64 0, v181
	s_cbranch_execz .LBB311_3587
; %bb.3580:                             ;   in Loop: Header=BB311_2079 Depth=1
	v_mov_b32_e32 v178, 0x8000
	s_mov_b32 s21, exec_lo
	v_cmpx_ne_u16_e64 0x80, v181
	s_cbranch_execz .LBB311_3586
; %bb.3581:                             ;   in Loop: Header=BB311_2079 Depth=1
	v_bfe_u32 v182, v13, 16, 7
	v_mov_b32_e32 v178, 0x7c01
	s_mov_b32 s22, exec_lo
	s_delay_alu instid0(VALU_DEP_2)
	v_cmpx_ne_u32_e32 0x7f, v182
	s_cbranch_execz .LBB311_3585
; %bb.3582:                             ;   in Loop: Header=BB311_2079 Depth=1
	v_and_b32_e32 v178, 7, v2
	v_lshrrev_b32_e32 v181, 3, v182
	s_mov_b32 s23, exec_lo
	v_cmpx_gt_u32_e32 8, v182
; %bb.3583:                             ;   in Loop: Header=BB311_2079 Depth=1
	s_delay_alu instid0(VALU_DEP_3) | instskip(NEXT) | instid1(VALU_DEP_1)
	v_clz_i32_u32_e32 v178, v178
	v_min_u32_e32 v178, 32, v178
	s_delay_alu instid0(VALU_DEP_1) | instskip(NEXT) | instid1(VALU_DEP_1)
	v_subrev_nc_u32_e32 v181, 28, v178
	v_lshlrev_b64_e32 v[182:183], v181, v[2:3]
	v_sub_nc_u32_e32 v181, 29, v178
	s_delay_alu instid0(VALU_DEP_2)
	v_and_b32_e32 v178, 7, v182
; %bb.3584:                             ;   in Loop: Header=BB311_2079 Depth=1
	s_wait_alu 0xfffe
	s_or_b32 exec_lo, exec_lo, s23
	v_lshlrev_b32_e32 v2, 8, v2
	v_lshl_add_u32 v181, v181, 10, 0x2000
	v_lshlrev_b32_e32 v178, 7, v178
	s_delay_alu instid0(VALU_DEP_3) | instskip(NEXT) | instid1(VALU_DEP_3)
	v_and_b32_e32 v2, 0x8000, v2
	v_and_b32_e32 v181, 0xfc00, v181
	s_delay_alu instid0(VALU_DEP_1)
	v_or3_b32 v178, v2, v181, v178
.LBB311_3585:                           ;   in Loop: Header=BB311_2079 Depth=1
	s_wait_alu 0xfffe
	s_or_b32 exec_lo, exec_lo, s22
.LBB311_3586:                           ;   in Loop: Header=BB311_2079 Depth=1
	s_wait_alu 0xfffe
	s_or_b32 exec_lo, exec_lo, s21
.LBB311_3587:                           ;   in Loop: Header=BB311_2079 Depth=1
	s_wait_alu 0xfffe
	s_or_b32 exec_lo, exec_lo, s20
	v_cmp_lt_u64_e64 s8, s[16:17], v[12:13]
	v_mov_b32_e32 v12, 0
	s_and_saveexec_b32 s20, s8
	s_cbranch_execz .LBB311_3595
; %bb.3588:                             ;   in Loop: Header=BB311_2079 Depth=1
	v_lshrrev_b32_e32 v2, 24, v13
	v_bfrev_b32_e32 v12, 1
	s_mov_b32 s21, exec_lo
	s_delay_alu instid0(VALU_DEP_2)
	v_cmpx_ne_u32_e32 0x80, v2
	s_cbranch_execz .LBB311_3594
; %bb.3589:                             ;   in Loop: Header=BB311_2079 Depth=1
	v_and_b32_e32 v181, 0x7f, v2
	v_mov_b32_e32 v12, 0x7c010000
	s_mov_b32 s22, exec_lo
	s_delay_alu instid0(VALU_DEP_2)
	v_cmpx_ne_u32_e32 0x7f, v181
	s_cbranch_execz .LBB311_3593
; %bb.3590:                             ;   in Loop: Header=BB311_2079 Depth=1
	v_and_b32_e32 v12, 7, v2
	v_lshrrev_b32_e32 v13, 3, v181
	s_mov_b32 s23, exec_lo
	v_cmpx_gt_u32_e32 8, v181
; %bb.3591:                             ;   in Loop: Header=BB311_2079 Depth=1
	s_delay_alu instid0(VALU_DEP_3) | instskip(NEXT) | instid1(VALU_DEP_1)
	v_clz_i32_u32_e32 v12, v12
	v_min_u32_e32 v181, 32, v12
	s_delay_alu instid0(VALU_DEP_1) | instskip(NEXT) | instid1(VALU_DEP_1)
	v_subrev_nc_u32_e32 v12, 28, v181
	v_lshlrev_b64_e32 v[12:13], v12, v[2:3]
	v_sub_nc_u32_e32 v13, 29, v181
	s_delay_alu instid0(VALU_DEP_2)
	v_and_b32_e32 v12, 7, v12
; %bb.3592:                             ;   in Loop: Header=BB311_2079 Depth=1
	s_wait_alu 0xfffe
	s_or_b32 exec_lo, exec_lo, s23
	v_lshlrev_b32_e32 v2, 8, v2
	v_lshl_add_u32 v13, v13, 10, 0x2000
	v_lshlrev_b32_e32 v12, 23, v12
	s_delay_alu instid0(VALU_DEP_2) | instskip(NEXT) | instid1(VALU_DEP_1)
	v_and_or_b32 v2, 0x8000, v2, v13
	v_lshl_or_b32 v12, v2, 16, v12
.LBB311_3593:                           ;   in Loop: Header=BB311_2079 Depth=1
	s_wait_alu 0xfffe
	s_or_b32 exec_lo, exec_lo, s22
.LBB311_3594:                           ;   in Loop: Header=BB311_2079 Depth=1
	s_wait_alu 0xfffe
	s_or_b32 exec_lo, exec_lo, s21
.LBB311_3595:                           ;   in Loop: Header=BB311_2079 Depth=1
	s_wait_alu 0xfffe
	s_or_b32 exec_lo, exec_lo, s20
	v_or_b32_e32 v2, v176, v177
	s_wait_loadcnt_dscnt 0x0
	v_fma_mixlo_f16 v13, v165, v176, 0 op_sel:[0,1,0] op_sel_hi:[0,1,0]
	v_or_b32_e32 v167, v166, v167
	v_or_b32_e32 v176, v180, v179
	v_or_b32_e32 v178, v12, v178
	v_fma_mixlo_f16 v177, v165, v2, 0 op_sel_hi:[0,1,0]
	v_fma_mixlo_f16 v166, v165, v166, 0 op_sel:[0,1,0] op_sel_hi:[0,1,0]
	v_lshlrev_b32_e32 v2, 16, v13
	v_fma_mixlo_f16 v167, v165, v167, 0 op_sel_hi:[0,1,0]
	v_fma_mixlo_f16 v176, v165, v176, 0 op_sel_hi:[0,1,0]
	v_and_b32_e32 v13, 0xffff, v177
	v_fma_mixlo_f16 v177, v165, v180, 0 op_sel:[0,1,0] op_sel_hi:[0,1,0]
	v_fma_mixlo_f16 v12, v165, v12, 0 op_sel:[0,1,0] op_sel_hi:[0,1,0]
	v_fma_mixlo_f16 v165, v165, v178, 0 op_sel_hi:[0,1,0]
	v_lshlrev_b32_e32 v166, 16, v166
	v_and_b32_e32 v181, 0xffff, v167
	v_lshlrev_b32_e32 v178, 16, v177
	v_and_b32_e32 v180, 0xffff, v176
	;; [unrolled: 2-line block ×3, first 2 shown]
	v_or_b32_e32 v12, v2, v13
	v_or_b32_e32 v176, v166, v181
	;; [unrolled: 1-line block ×3, first 2 shown]
	s_delay_alu instid0(VALU_DEP_4)
	v_or_b32_e32 v165, v177, v179
	s_and_saveexec_b32 s8, s2
	s_cbranch_execz .LBB311_3597
; %bb.3596:                             ;   in Loop: Header=BB311_2079 Depth=1
	s_wait_alu 0xfffd
	v_cndmask_b32_e32 v12, 0, v181, vcc_lo
	v_cndmask_b32_e64 v165, 0, v166, s1
	v_cndmask_b32_e64 v13, 0, v13, s0
	;; [unrolled: 1-line block ×7, first 2 shown]
	v_or_b32_e32 v176, v12, v165
	v_or_b32_e32 v12, v13, v2
	;; [unrolled: 1-line block ×3, first 2 shown]
	s_delay_alu instid0(VALU_DEP_4)
	v_or_b32_e32 v165, v178, v177
.LBB311_3597:                           ;   in Loop: Header=BB311_2079 Depth=1
	s_wait_alu 0xfffe
	s_or_b32 exec_lo, exec_lo, s8
	;;#ASMSTART
	v_pk_mul_f16 v2, v98, v176;

	;;#ASMEND
	;;#ASMSTART
	v_pk_mul_f16 v12, v96, v12;

	;;#ASMEND
	;; [unrolled: 4-line block ×4, first 2 shown]
	;;#ASMSTART
	v_pk_add_f16 v2, v2, v12;

	;;#ASMEND
	;;#ASMSTART
	v_pk_add_f16 v2, v2, v13;

	;;#ASMEND
	;; [unrolled: 4-line block ×3, first 2 shown]
	v_dual_mov_b32 v177, 0 :: v_dual_and_b32 v12, 0xffff, v2
	v_lshrrev_b32_e32 v2, 16, v2
	;;#ASMSTART
	v_cvt_f32_f16 v165, v12;
	;;#ASMEND
	;;#ASMSTART
	v_cvt_f32_f16 v166, v2;
	;;#ASMEND
	flat_load_b64 v[12:13], v[10:11] offset:5888
	flat_load_b32 v167, v[26:27]
	v_mov_b32_e32 v176, 0
	s_mov_b32 s20, exec_lo
	s_wait_loadcnt_dscnt 0x101
	v_and_b32_e32 v2, 0xff, v12
	s_delay_alu instid0(VALU_DEP_1)
	v_cmpx_ne_u16_e32 0, v2
	s_cbranch_execz .LBB311_3605
; %bb.3598:                             ;   in Loop: Header=BB311_2079 Depth=1
	v_mov_b32_e32 v177, 0x8000
	s_mov_b32 s21, exec_lo
	v_cmpx_ne_u16_e32 0x80, v2
	s_cbranch_execz .LBB311_3604
; %bb.3599:                             ;   in Loop: Header=BB311_2079 Depth=1
	v_and_b32_e32 v178, 0x7f, v12
	v_mov_b32_e32 v177, 0x7c01
	s_mov_b32 s22, exec_lo
	s_delay_alu instid0(VALU_DEP_2)
	v_cmpx_ne_u32_e32 0x7f, v178
	s_cbranch_execz .LBB311_3603
; %bb.3600:                             ;   in Loop: Header=BB311_2079 Depth=1
	v_and_b32_e32 v2, 7, v12
	v_lshrrev_b32_e32 v177, 3, v178
	s_mov_b32 s23, exec_lo
	v_cmpx_gt_u32_e32 8, v178
; %bb.3601:                             ;   in Loop: Header=BB311_2079 Depth=1
	s_delay_alu instid0(VALU_DEP_3) | instskip(NEXT) | instid1(VALU_DEP_1)
	v_clz_i32_u32_e32 v2, v2
	v_min_u32_e32 v2, 32, v2
	s_delay_alu instid0(VALU_DEP_1) | instskip(NEXT) | instid1(VALU_DEP_1)
	v_subrev_nc_u32_e32 v177, 28, v2
	v_lshlrev_b64_e32 v[178:179], v177, v[12:13]
	v_sub_nc_u32_e32 v177, 29, v2
	s_delay_alu instid0(VALU_DEP_2)
	v_and_b32_e32 v2, 7, v178
; %bb.3602:                             ;   in Loop: Header=BB311_2079 Depth=1
	s_wait_alu 0xfffe
	s_or_b32 exec_lo, exec_lo, s23
	v_lshlrev_b32_e32 v178, 8, v12
	v_lshl_add_u32 v177, v177, 10, 0x2000
	v_lshlrev_b32_e32 v2, 7, v2
	s_delay_alu instid0(VALU_DEP_3) | instskip(NEXT) | instid1(VALU_DEP_3)
	v_and_b32_e32 v178, 0x8000, v178
	v_and_b32_e32 v177, 0xfc00, v177
	s_delay_alu instid0(VALU_DEP_1)
	v_or3_b32 v177, v178, v177, v2
.LBB311_3603:                           ;   in Loop: Header=BB311_2079 Depth=1
	s_wait_alu 0xfffe
	s_or_b32 exec_lo, exec_lo, s22
.LBB311_3604:                           ;   in Loop: Header=BB311_2079 Depth=1
	s_wait_alu 0xfffe
	s_or_b32 exec_lo, exec_lo, s21
.LBB311_3605:                           ;   in Loop: Header=BB311_2079 Depth=1
	s_wait_alu 0xfffe
	s_or_b32 exec_lo, exec_lo, s20
	v_lshrrev_b16 v2, 8, v12
	s_mov_b32 s20, exec_lo
	s_delay_alu instid0(VALU_DEP_1)
	v_cmpx_ne_u16_e32 0, v2
	s_cbranch_execz .LBB311_3613
; %bb.3606:                             ;   in Loop: Header=BB311_2079 Depth=1
	v_bfrev_b32_e32 v176, 1
	s_mov_b32 s21, exec_lo
	v_cmpx_ne_u16_e32 0x80, v2
	s_cbranch_execz .LBB311_3612
; %bb.3607:                             ;   in Loop: Header=BB311_2079 Depth=1
	v_and_b32_e32 v178, 0xffff, v2
	v_mov_b32_e32 v176, 0x7c010000
	s_mov_b32 s22, exec_lo
	s_delay_alu instid0(VALU_DEP_2) | instskip(NEXT) | instid1(VALU_DEP_1)
	v_and_b32_e32 v180, 0x7f, v178
	v_cmpx_ne_u32_e32 0x7f, v180
	s_cbranch_execz .LBB311_3611
; %bb.3608:                             ;   in Loop: Header=BB311_2079 Depth=1
	v_and_b32_e32 v176, 7, v178
	v_lshrrev_b32_e32 v179, 3, v180
	s_mov_b32 s23, exec_lo
	v_cmpx_gt_u32_e32 8, v180
; %bb.3609:                             ;   in Loop: Header=BB311_2079 Depth=1
	s_delay_alu instid0(VALU_DEP_3) | instskip(NEXT) | instid1(VALU_DEP_1)
	v_clz_i32_u32_e32 v176, v176
	v_min_u32_e32 v176, 32, v176
	s_delay_alu instid0(VALU_DEP_1) | instskip(NEXT) | instid1(VALU_DEP_1)
	v_subrev_nc_u32_e32 v179, 28, v176
	v_lshlrev_b64_e32 v[180:181], v179, v[2:3]
	v_sub_nc_u32_e32 v179, 29, v176
	s_delay_alu instid0(VALU_DEP_2)
	v_and_b32_e32 v176, 7, v180
; %bb.3610:                             ;   in Loop: Header=BB311_2079 Depth=1
	s_wait_alu 0xfffe
	s_or_b32 exec_lo, exec_lo, s23
	v_lshlrev_b32_e32 v2, 8, v178
	v_lshl_add_u32 v178, v179, 10, 0x2000
	v_lshlrev_b32_e32 v176, 23, v176
	s_delay_alu instid0(VALU_DEP_2) | instskip(NEXT) | instid1(VALU_DEP_1)
	v_and_or_b32 v2, 0x8000, v2, v178
	v_lshl_or_b32 v176, v2, 16, v176
.LBB311_3611:                           ;   in Loop: Header=BB311_2079 Depth=1
	s_wait_alu 0xfffe
	s_or_b32 exec_lo, exec_lo, s22
.LBB311_3612:                           ;   in Loop: Header=BB311_2079 Depth=1
	s_wait_alu 0xfffe
	s_or_b32 exec_lo, exec_lo, s21
.LBB311_3613:                           ;   in Loop: Header=BB311_2079 Depth=1
	s_wait_alu 0xfffe
	s_or_b32 exec_lo, exec_lo, s20
	v_lshrrev_b32_e32 v2, 16, v12
	v_mov_b32_e32 v178, 0
	s_mov_b32 s20, exec_lo
	s_delay_alu instid0(VALU_DEP_2) | instskip(NEXT) | instid1(VALU_DEP_1)
	v_dual_mov_b32 v179, 0 :: v_dual_and_b32 v180, 0xff, v2
	v_cmpx_ne_u16_e64 0, v180
	s_cbranch_execz .LBB311_3621
; %bb.3614:                             ;   in Loop: Header=BB311_2079 Depth=1
	v_mov_b32_e32 v179, 0x8000
	s_mov_b32 s21, exec_lo
	v_cmpx_ne_u16_e64 0x80, v180
	s_cbranch_execz .LBB311_3620
; %bb.3615:                             ;   in Loop: Header=BB311_2079 Depth=1
	v_bfe_u32 v181, v12, 16, 7
	v_mov_b32_e32 v179, 0x7c01
	s_mov_b32 s22, exec_lo
	s_delay_alu instid0(VALU_DEP_2)
	v_cmpx_ne_u32_e32 0x7f, v181
	s_cbranch_execz .LBB311_3619
; %bb.3616:                             ;   in Loop: Header=BB311_2079 Depth=1
	v_and_b32_e32 v179, 7, v2
	v_lshrrev_b32_e32 v180, 3, v181
	s_mov_b32 s23, exec_lo
	v_cmpx_gt_u32_e32 8, v181
; %bb.3617:                             ;   in Loop: Header=BB311_2079 Depth=1
	s_delay_alu instid0(VALU_DEP_3) | instskip(NEXT) | instid1(VALU_DEP_1)
	v_clz_i32_u32_e32 v179, v179
	v_min_u32_e32 v181, 32, v179
	s_delay_alu instid0(VALU_DEP_1) | instskip(NEXT) | instid1(VALU_DEP_1)
	v_subrev_nc_u32_e32 v179, 28, v181
	v_lshlrev_b64_e32 v[179:180], v179, v[2:3]
	v_sub_nc_u32_e32 v180, 29, v181
	s_delay_alu instid0(VALU_DEP_2)
	v_and_b32_e32 v179, 7, v179
; %bb.3618:                             ;   in Loop: Header=BB311_2079 Depth=1
	s_wait_alu 0xfffe
	s_or_b32 exec_lo, exec_lo, s23
	v_lshlrev_b32_e32 v2, 8, v2
	v_lshl_add_u32 v180, v180, 10, 0x2000
	v_lshlrev_b32_e32 v179, 7, v179
	s_delay_alu instid0(VALU_DEP_3) | instskip(NEXT) | instid1(VALU_DEP_3)
	v_and_b32_e32 v2, 0x8000, v2
	v_and_b32_e32 v180, 0xfc00, v180
	s_delay_alu instid0(VALU_DEP_1)
	v_or3_b32 v179, v2, v180, v179
.LBB311_3619:                           ;   in Loop: Header=BB311_2079 Depth=1
	s_wait_alu 0xfffe
	s_or_b32 exec_lo, exec_lo, s22
.LBB311_3620:                           ;   in Loop: Header=BB311_2079 Depth=1
	s_wait_alu 0xfffe
	s_or_b32 exec_lo, exec_lo, s21
.LBB311_3621:                           ;   in Loop: Header=BB311_2079 Depth=1
	s_wait_alu 0xfffe
	s_or_b32 exec_lo, exec_lo, s20
	s_delay_alu instid0(SALU_CYCLE_1)
	s_mov_b32 s20, exec_lo
	v_cmpx_lt_u32_e32 0xffffff, v12
	s_cbranch_execz .LBB311_3629
; %bb.3622:                             ;   in Loop: Header=BB311_2079 Depth=1
	v_lshrrev_b32_e32 v2, 24, v12
	v_bfrev_b32_e32 v178, 1
	s_mov_b32 s21, exec_lo
	s_delay_alu instid0(VALU_DEP_2)
	v_cmpx_ne_u32_e32 0x80, v2
	s_cbranch_execz .LBB311_3628
; %bb.3623:                             ;   in Loop: Header=BB311_2079 Depth=1
	v_and_b32_e32 v181, 0x7f, v2
	v_mov_b32_e32 v178, 0x7c010000
	s_mov_b32 s22, exec_lo
	s_delay_alu instid0(VALU_DEP_2)
	v_cmpx_ne_u32_e32 0x7f, v181
	s_cbranch_execz .LBB311_3627
; %bb.3624:                             ;   in Loop: Header=BB311_2079 Depth=1
	v_and_b32_e32 v178, 7, v2
	v_lshrrev_b32_e32 v180, 3, v181
	s_mov_b32 s23, exec_lo
	v_cmpx_gt_u32_e32 8, v181
; %bb.3625:                             ;   in Loop: Header=BB311_2079 Depth=1
	s_delay_alu instid0(VALU_DEP_3) | instskip(NEXT) | instid1(VALU_DEP_1)
	v_clz_i32_u32_e32 v178, v178
	v_min_u32_e32 v178, 32, v178
	s_delay_alu instid0(VALU_DEP_1) | instskip(NEXT) | instid1(VALU_DEP_1)
	v_subrev_nc_u32_e32 v180, 28, v178
	v_lshlrev_b64_e32 v[181:182], v180, v[2:3]
	v_sub_nc_u32_e32 v180, 29, v178
	s_delay_alu instid0(VALU_DEP_2)
	v_and_b32_e32 v178, 7, v181
; %bb.3626:                             ;   in Loop: Header=BB311_2079 Depth=1
	s_wait_alu 0xfffe
	s_or_b32 exec_lo, exec_lo, s23
	v_lshlrev_b32_e32 v2, 8, v2
	v_lshl_add_u32 v180, v180, 10, 0x2000
	v_lshlrev_b32_e32 v178, 23, v178
	s_delay_alu instid0(VALU_DEP_2) | instskip(NEXT) | instid1(VALU_DEP_1)
	v_and_or_b32 v2, 0x8000, v2, v180
	v_lshl_or_b32 v178, v2, 16, v178
.LBB311_3627:                           ;   in Loop: Header=BB311_2079 Depth=1
	s_wait_alu 0xfffe
	s_or_b32 exec_lo, exec_lo, s22
.LBB311_3628:                           ;   in Loop: Header=BB311_2079 Depth=1
	s_wait_alu 0xfffe
	s_or_b32 exec_lo, exec_lo, s21
.LBB311_3629:                           ;   in Loop: Header=BB311_2079 Depth=1
	s_wait_alu 0xfffe
	s_or_b32 exec_lo, exec_lo, s20
	v_dual_mov_b32 v181, 0 :: v_dual_and_b32 v182, 0xff, v13
	v_mov_b32_e32 v2, v13
	v_mov_b32_e32 v180, 0
	s_mov_b32 s20, exec_lo
	s_delay_alu instid0(VALU_DEP_3)
	v_cmpx_ne_u16_e64 0, v182
	s_cbranch_execz .LBB311_3637
; %bb.3630:                             ;   in Loop: Header=BB311_2079 Depth=1
	v_mov_b32_e32 v181, 0x8000
	s_mov_b32 s21, exec_lo
	v_cmpx_ne_u16_e64 0x80, v182
	s_cbranch_execz .LBB311_3636
; %bb.3631:                             ;   in Loop: Header=BB311_2079 Depth=1
	v_and_b32_e32 v183, 0x7f, v13
	v_mov_b32_e32 v181, 0x7c01
	s_mov_b32 s22, exec_lo
	s_delay_alu instid0(VALU_DEP_2)
	v_cmpx_ne_u32_e32 0x7f, v183
	s_cbranch_execz .LBB311_3635
; %bb.3632:                             ;   in Loop: Header=BB311_2079 Depth=1
	v_and_b32_e32 v181, 7, v13
	v_lshrrev_b32_e32 v182, 3, v183
	s_mov_b32 s23, exec_lo
	v_cmpx_gt_u32_e32 8, v183
; %bb.3633:                             ;   in Loop: Header=BB311_2079 Depth=1
	s_delay_alu instid0(VALU_DEP_3) | instskip(NEXT) | instid1(VALU_DEP_1)
	v_clz_i32_u32_e32 v181, v181
	v_min_u32_e32 v183, 32, v181
	s_delay_alu instid0(VALU_DEP_1) | instskip(NEXT) | instid1(VALU_DEP_1)
	v_subrev_nc_u32_e32 v181, 28, v183
	v_lshlrev_b64_e32 v[181:182], v181, v[2:3]
	v_sub_nc_u32_e32 v182, 29, v183
	s_delay_alu instid0(VALU_DEP_2)
	v_and_b32_e32 v181, 7, v181
; %bb.3634:                             ;   in Loop: Header=BB311_2079 Depth=1
	s_wait_alu 0xfffe
	s_or_b32 exec_lo, exec_lo, s23
	v_lshlrev_b32_e32 v183, 8, v13
	v_lshl_add_u32 v182, v182, 10, 0x2000
	v_lshlrev_b32_e32 v181, 7, v181
	s_delay_alu instid0(VALU_DEP_3) | instskip(NEXT) | instid1(VALU_DEP_3)
	v_and_b32_e32 v183, 0x8000, v183
	v_and_b32_e32 v182, 0xfc00, v182
	s_delay_alu instid0(VALU_DEP_1)
	v_or3_b32 v181, v183, v182, v181
.LBB311_3635:                           ;   in Loop: Header=BB311_2079 Depth=1
	s_wait_alu 0xfffe
	s_or_b32 exec_lo, exec_lo, s22
.LBB311_3636:                           ;   in Loop: Header=BB311_2079 Depth=1
	s_wait_alu 0xfffe
	s_or_b32 exec_lo, exec_lo, s21
.LBB311_3637:                           ;   in Loop: Header=BB311_2079 Depth=1
	s_wait_alu 0xfffe
	s_or_b32 exec_lo, exec_lo, s20
	v_lshrrev_b16 v2, 8, v2
	v_mov_b32_e32 v182, 0
	s_mov_b32 s20, exec_lo
	s_delay_alu instid0(VALU_DEP_2)
	v_cmpx_ne_u16_e32 0, v2
	s_cbranch_execz .LBB311_3645
; %bb.3638:                             ;   in Loop: Header=BB311_2079 Depth=1
	v_bfrev_b32_e32 v182, 1
	s_mov_b32 s21, exec_lo
	v_cmpx_ne_u16_e32 0x80, v2
	s_cbranch_execz .LBB311_3644
; %bb.3639:                             ;   in Loop: Header=BB311_2079 Depth=1
	v_and_b32_e32 v183, 0xffff, v2
	v_mov_b32_e32 v182, 0x7c010000
	s_mov_b32 s22, exec_lo
	s_delay_alu instid0(VALU_DEP_2) | instskip(NEXT) | instid1(VALU_DEP_1)
	v_and_b32_e32 v41, 0x7f, v183
	v_cmpx_ne_u32_e32 0x7f, v41
	s_cbranch_execz .LBB311_3643
; %bb.3640:                             ;   in Loop: Header=BB311_2079 Depth=1
	v_and_b32_e32 v182, 7, v183
	v_lshrrev_b32_e32 v40, 3, v41
	s_mov_b32 s23, exec_lo
	v_cmpx_gt_u32_e32 8, v41
; %bb.3641:                             ;   in Loop: Header=BB311_2079 Depth=1
	s_delay_alu instid0(VALU_DEP_3) | instskip(NEXT) | instid1(VALU_DEP_1)
	v_clz_i32_u32_e32 v182, v182
	v_min_u32_e32 v182, 32, v182
	s_delay_alu instid0(VALU_DEP_1) | instskip(NEXT) | instid1(VALU_DEP_1)
	v_subrev_nc_u32_e32 v40, 28, v182
	v_lshlrev_b64_e32 v[41:42], v40, v[2:3]
	v_sub_nc_u32_e32 v40, 29, v182
	s_delay_alu instid0(VALU_DEP_2)
	v_and_b32_e32 v182, 7, v41
; %bb.3642:                             ;   in Loop: Header=BB311_2079 Depth=1
	s_wait_alu 0xfffe
	s_or_b32 exec_lo, exec_lo, s23
	v_lshlrev_b32_e32 v2, 8, v183
	v_lshl_add_u32 v183, v40, 10, 0x2000
	v_lshlrev_b32_e32 v182, 23, v182
	s_delay_alu instid0(VALU_DEP_2) | instskip(NEXT) | instid1(VALU_DEP_1)
	v_and_or_b32 v2, 0x8000, v2, v183
	v_lshl_or_b32 v182, v2, 16, v182
.LBB311_3643:                           ;   in Loop: Header=BB311_2079 Depth=1
	s_wait_alu 0xfffe
	s_or_b32 exec_lo, exec_lo, s22
.LBB311_3644:                           ;   in Loop: Header=BB311_2079 Depth=1
	s_wait_alu 0xfffe
	s_or_b32 exec_lo, exec_lo, s21
.LBB311_3645:                           ;   in Loop: Header=BB311_2079 Depth=1
	s_wait_alu 0xfffe
	s_or_b32 exec_lo, exec_lo, s20
	v_lshrrev_b32_e32 v2, 16, v13
	s_mov_b32 s20, exec_lo
	s_delay_alu instid0(VALU_DEP_1) | instskip(NEXT) | instid1(VALU_DEP_1)
	v_and_b32_e32 v183, 0xff, v2
	v_cmpx_ne_u16_e64 0, v183
	s_cbranch_execz .LBB311_3653
; %bb.3646:                             ;   in Loop: Header=BB311_2079 Depth=1
	v_mov_b32_e32 v180, 0x8000
	s_mov_b32 s21, exec_lo
	v_cmpx_ne_u16_e64 0x80, v183
	s_cbranch_execz .LBB311_3652
; %bb.3647:                             ;   in Loop: Header=BB311_2079 Depth=1
	v_bfe_u32 v40, v13, 16, 7
	v_mov_b32_e32 v180, 0x7c01
	s_mov_b32 s22, exec_lo
	s_delay_alu instid0(VALU_DEP_2)
	v_cmpx_ne_u32_e32 0x7f, v40
	s_cbranch_execz .LBB311_3651
; %bb.3648:                             ;   in Loop: Header=BB311_2079 Depth=1
	v_and_b32_e32 v180, 7, v2
	v_lshrrev_b32_e32 v183, 3, v40
	s_mov_b32 s23, exec_lo
	v_cmpx_gt_u32_e32 8, v40
; %bb.3649:                             ;   in Loop: Header=BB311_2079 Depth=1
	s_delay_alu instid0(VALU_DEP_3) | instskip(NEXT) | instid1(VALU_DEP_1)
	v_clz_i32_u32_e32 v180, v180
	v_min_u32_e32 v180, 32, v180
	s_delay_alu instid0(VALU_DEP_1) | instskip(NEXT) | instid1(VALU_DEP_1)
	v_subrev_nc_u32_e32 v183, 28, v180
	v_lshlrev_b64_e32 v[40:41], v183, v[2:3]
	v_sub_nc_u32_e32 v183, 29, v180
	s_delay_alu instid0(VALU_DEP_2)
	v_and_b32_e32 v180, 7, v40
; %bb.3650:                             ;   in Loop: Header=BB311_2079 Depth=1
	s_wait_alu 0xfffe
	s_or_b32 exec_lo, exec_lo, s23
	v_lshlrev_b32_e32 v2, 8, v2
	v_lshl_add_u32 v183, v183, 10, 0x2000
	v_lshlrev_b32_e32 v180, 7, v180
	s_delay_alu instid0(VALU_DEP_3) | instskip(NEXT) | instid1(VALU_DEP_3)
	v_and_b32_e32 v2, 0x8000, v2
	v_and_b32_e32 v183, 0xfc00, v183
	s_delay_alu instid0(VALU_DEP_1)
	v_or3_b32 v180, v2, v183, v180
.LBB311_3651:                           ;   in Loop: Header=BB311_2079 Depth=1
	s_wait_alu 0xfffe
	s_or_b32 exec_lo, exec_lo, s22
.LBB311_3652:                           ;   in Loop: Header=BB311_2079 Depth=1
	s_wait_alu 0xfffe
	s_or_b32 exec_lo, exec_lo, s21
.LBB311_3653:                           ;   in Loop: Header=BB311_2079 Depth=1
	s_wait_alu 0xfffe
	s_or_b32 exec_lo, exec_lo, s20
	v_cmp_lt_u64_e64 s8, s[16:17], v[12:13]
	v_mov_b32_e32 v12, 0
	s_and_saveexec_b32 s20, s8
	s_cbranch_execz .LBB311_3661
; %bb.3654:                             ;   in Loop: Header=BB311_2079 Depth=1
	v_lshrrev_b32_e32 v2, 24, v13
	v_bfrev_b32_e32 v12, 1
	s_mov_b32 s21, exec_lo
	s_delay_alu instid0(VALU_DEP_2)
	v_cmpx_ne_u32_e32 0x80, v2
	s_cbranch_execz .LBB311_3660
; %bb.3655:                             ;   in Loop: Header=BB311_2079 Depth=1
	v_and_b32_e32 v183, 0x7f, v2
	v_mov_b32_e32 v12, 0x7c010000
	s_mov_b32 s22, exec_lo
	s_delay_alu instid0(VALU_DEP_2)
	v_cmpx_ne_u32_e32 0x7f, v183
	s_cbranch_execz .LBB311_3659
; %bb.3656:                             ;   in Loop: Header=BB311_2079 Depth=1
	v_and_b32_e32 v12, 7, v2
	v_lshrrev_b32_e32 v13, 3, v183
	s_mov_b32 s23, exec_lo
	v_cmpx_gt_u32_e32 8, v183
; %bb.3657:                             ;   in Loop: Header=BB311_2079 Depth=1
	s_delay_alu instid0(VALU_DEP_3) | instskip(NEXT) | instid1(VALU_DEP_1)
	v_clz_i32_u32_e32 v12, v12
	v_min_u32_e32 v183, 32, v12
	s_delay_alu instid0(VALU_DEP_1) | instskip(NEXT) | instid1(VALU_DEP_1)
	v_subrev_nc_u32_e32 v12, 28, v183
	v_lshlrev_b64_e32 v[12:13], v12, v[2:3]
	v_sub_nc_u32_e32 v13, 29, v183
	s_delay_alu instid0(VALU_DEP_2)
	v_and_b32_e32 v12, 7, v12
; %bb.3658:                             ;   in Loop: Header=BB311_2079 Depth=1
	s_wait_alu 0xfffe
	s_or_b32 exec_lo, exec_lo, s23
	v_lshlrev_b32_e32 v2, 8, v2
	v_lshl_add_u32 v13, v13, 10, 0x2000
	v_lshlrev_b32_e32 v12, 23, v12
	s_delay_alu instid0(VALU_DEP_2) | instskip(NEXT) | instid1(VALU_DEP_1)
	v_and_or_b32 v2, 0x8000, v2, v13
	v_lshl_or_b32 v12, v2, 16, v12
.LBB311_3659:                           ;   in Loop: Header=BB311_2079 Depth=1
	s_wait_alu 0xfffe
	s_or_b32 exec_lo, exec_lo, s22
.LBB311_3660:                           ;   in Loop: Header=BB311_2079 Depth=1
	s_wait_alu 0xfffe
	s_or_b32 exec_lo, exec_lo, s21
.LBB311_3661:                           ;   in Loop: Header=BB311_2079 Depth=1
	s_wait_alu 0xfffe
	s_or_b32 exec_lo, exec_lo, s20
	v_or_b32_e32 v2, v178, v179
	s_wait_loadcnt_dscnt 0x0
	v_fma_mixlo_f16 v13, v167, v178, 0 op_sel:[0,1,0] op_sel_hi:[0,1,0]
	v_or_b32_e32 v177, v176, v177
	v_or_b32_e32 v178, v182, v181
	;; [unrolled: 1-line block ×3, first 2 shown]
	v_fma_mixlo_f16 v179, v167, v2, 0 op_sel_hi:[0,1,0]
	v_fma_mixlo_f16 v176, v167, v176, 0 op_sel:[0,1,0] op_sel_hi:[0,1,0]
	v_lshlrev_b32_e32 v2, 16, v13
	v_fma_mixlo_f16 v177, v167, v177, 0 op_sel_hi:[0,1,0]
	v_fma_mixlo_f16 v178, v167, v178, 0 op_sel_hi:[0,1,0]
	v_and_b32_e32 v13, 0xffff, v179
	v_fma_mixlo_f16 v179, v167, v182, 0 op_sel:[0,1,0] op_sel_hi:[0,1,0]
	v_fma_mixlo_f16 v12, v167, v12, 0 op_sel:[0,1,0] op_sel_hi:[0,1,0]
	v_fma_mixlo_f16 v167, v167, v180, 0 op_sel_hi:[0,1,0]
	v_lshlrev_b32_e32 v176, 16, v176
	v_and_b32_e32 v183, 0xffff, v177
	v_lshlrev_b32_e32 v180, 16, v179
	v_and_b32_e32 v182, 0xffff, v178
	;; [unrolled: 2-line block ×3, first 2 shown]
	v_or_b32_e32 v12, v2, v13
	v_or_b32_e32 v178, v176, v183
	;; [unrolled: 1-line block ×3, first 2 shown]
	s_delay_alu instid0(VALU_DEP_4)
	v_or_b32_e32 v167, v179, v181
	s_and_saveexec_b32 s8, s2
	s_cbranch_execz .LBB311_3663
; %bb.3662:                             ;   in Loop: Header=BB311_2079 Depth=1
	s_wait_alu 0xfffd
	v_cndmask_b32_e32 v12, 0, v183, vcc_lo
	v_cndmask_b32_e64 v167, 0, v176, s1
	v_cndmask_b32_e64 v13, 0, v13, s0
	;; [unrolled: 1-line block ×7, first 2 shown]
	v_or_b32_e32 v178, v12, v167
	v_or_b32_e32 v12, v13, v2
	v_or_b32_e32 v177, v176, v177
	s_delay_alu instid0(VALU_DEP_4)
	v_or_b32_e32 v167, v180, v179
.LBB311_3663:                           ;   in Loop: Header=BB311_2079 Depth=1
	s_wait_alu 0xfffe
	s_or_b32 exec_lo, exec_lo, s8
	;;#ASMSTART
	v_pk_mul_f16 v2, v98, v178;

	;;#ASMEND
	;;#ASMSTART
	v_pk_mul_f16 v12, v96, v12;

	;;#ASMEND
	;; [unrolled: 4-line block ×4, first 2 shown]
	;;#ASMSTART
	v_pk_add_f16 v2, v2, v12;

	;;#ASMEND
	;;#ASMSTART
	v_pk_add_f16 v2, v2, v13;

	;;#ASMEND
	;; [unrolled: 4-line block ×3, first 2 shown]
	v_dual_mov_b32 v179, 0 :: v_dual_and_b32 v12, 0xffff, v2
	v_lshrrev_b32_e32 v2, 16, v2
	;;#ASMSTART
	v_cvt_f32_f16 v167, v12;
	;;#ASMEND
	;;#ASMSTART
	v_cvt_f32_f16 v176, v2;
	;;#ASMEND
	flat_load_b64 v[12:13], v[10:11] offset:6144
	flat_load_b32 v177, v[26:27]
	v_mov_b32_e32 v178, 0
	s_mov_b32 s20, exec_lo
	s_wait_loadcnt_dscnt 0x101
	v_and_b32_e32 v2, 0xff, v12
	s_delay_alu instid0(VALU_DEP_1)
	v_cmpx_ne_u16_e32 0, v2
	s_cbranch_execz .LBB311_3671
; %bb.3664:                             ;   in Loop: Header=BB311_2079 Depth=1
	v_mov_b32_e32 v179, 0x8000
	s_mov_b32 s21, exec_lo
	v_cmpx_ne_u16_e32 0x80, v2
	s_cbranch_execz .LBB311_3670
; %bb.3665:                             ;   in Loop: Header=BB311_2079 Depth=1
	v_and_b32_e32 v180, 0x7f, v12
	v_mov_b32_e32 v179, 0x7c01
	s_mov_b32 s22, exec_lo
	s_delay_alu instid0(VALU_DEP_2)
	v_cmpx_ne_u32_e32 0x7f, v180
	s_cbranch_execz .LBB311_3669
; %bb.3666:                             ;   in Loop: Header=BB311_2079 Depth=1
	v_and_b32_e32 v2, 7, v12
	v_lshrrev_b32_e32 v179, 3, v180
	s_mov_b32 s23, exec_lo
	v_cmpx_gt_u32_e32 8, v180
; %bb.3667:                             ;   in Loop: Header=BB311_2079 Depth=1
	s_delay_alu instid0(VALU_DEP_3) | instskip(NEXT) | instid1(VALU_DEP_1)
	v_clz_i32_u32_e32 v2, v2
	v_min_u32_e32 v2, 32, v2
	s_delay_alu instid0(VALU_DEP_1) | instskip(NEXT) | instid1(VALU_DEP_1)
	v_subrev_nc_u32_e32 v179, 28, v2
	v_lshlrev_b64_e32 v[180:181], v179, v[12:13]
	v_sub_nc_u32_e32 v179, 29, v2
	s_delay_alu instid0(VALU_DEP_2)
	v_and_b32_e32 v2, 7, v180
; %bb.3668:                             ;   in Loop: Header=BB311_2079 Depth=1
	s_wait_alu 0xfffe
	s_or_b32 exec_lo, exec_lo, s23
	v_lshlrev_b32_e32 v180, 8, v12
	v_lshl_add_u32 v179, v179, 10, 0x2000
	v_lshlrev_b32_e32 v2, 7, v2
	s_delay_alu instid0(VALU_DEP_3) | instskip(NEXT) | instid1(VALU_DEP_3)
	v_and_b32_e32 v180, 0x8000, v180
	v_and_b32_e32 v179, 0xfc00, v179
	s_delay_alu instid0(VALU_DEP_1)
	v_or3_b32 v179, v180, v179, v2
.LBB311_3669:                           ;   in Loop: Header=BB311_2079 Depth=1
	s_wait_alu 0xfffe
	s_or_b32 exec_lo, exec_lo, s22
.LBB311_3670:                           ;   in Loop: Header=BB311_2079 Depth=1
	s_wait_alu 0xfffe
	s_or_b32 exec_lo, exec_lo, s21
.LBB311_3671:                           ;   in Loop: Header=BB311_2079 Depth=1
	s_wait_alu 0xfffe
	s_or_b32 exec_lo, exec_lo, s20
	v_lshrrev_b16 v2, 8, v12
	s_mov_b32 s20, exec_lo
	s_delay_alu instid0(VALU_DEP_1)
	v_cmpx_ne_u16_e32 0, v2
	s_cbranch_execz .LBB311_3679
; %bb.3672:                             ;   in Loop: Header=BB311_2079 Depth=1
	v_bfrev_b32_e32 v178, 1
	s_mov_b32 s21, exec_lo
	v_cmpx_ne_u16_e32 0x80, v2
	s_cbranch_execz .LBB311_3678
; %bb.3673:                             ;   in Loop: Header=BB311_2079 Depth=1
	v_and_b32_e32 v180, 0xffff, v2
	v_mov_b32_e32 v178, 0x7c010000
	s_mov_b32 s22, exec_lo
	s_delay_alu instid0(VALU_DEP_2) | instskip(NEXT) | instid1(VALU_DEP_1)
	v_and_b32_e32 v182, 0x7f, v180
	v_cmpx_ne_u32_e32 0x7f, v182
	s_cbranch_execz .LBB311_3677
; %bb.3674:                             ;   in Loop: Header=BB311_2079 Depth=1
	v_and_b32_e32 v178, 7, v180
	v_lshrrev_b32_e32 v181, 3, v182
	s_mov_b32 s23, exec_lo
	v_cmpx_gt_u32_e32 8, v182
; %bb.3675:                             ;   in Loop: Header=BB311_2079 Depth=1
	s_delay_alu instid0(VALU_DEP_3) | instskip(NEXT) | instid1(VALU_DEP_1)
	v_clz_i32_u32_e32 v178, v178
	v_min_u32_e32 v178, 32, v178
	s_delay_alu instid0(VALU_DEP_1) | instskip(NEXT) | instid1(VALU_DEP_1)
	v_subrev_nc_u32_e32 v181, 28, v178
	v_lshlrev_b64_e32 v[182:183], v181, v[2:3]
	v_sub_nc_u32_e32 v181, 29, v178
	s_delay_alu instid0(VALU_DEP_2)
	v_and_b32_e32 v178, 7, v182
; %bb.3676:                             ;   in Loop: Header=BB311_2079 Depth=1
	s_wait_alu 0xfffe
	s_or_b32 exec_lo, exec_lo, s23
	v_lshlrev_b32_e32 v2, 8, v180
	v_lshl_add_u32 v180, v181, 10, 0x2000
	v_lshlrev_b32_e32 v178, 23, v178
	s_delay_alu instid0(VALU_DEP_2) | instskip(NEXT) | instid1(VALU_DEP_1)
	v_and_or_b32 v2, 0x8000, v2, v180
	v_lshl_or_b32 v178, v2, 16, v178
.LBB311_3677:                           ;   in Loop: Header=BB311_2079 Depth=1
	s_wait_alu 0xfffe
	s_or_b32 exec_lo, exec_lo, s22
.LBB311_3678:                           ;   in Loop: Header=BB311_2079 Depth=1
	s_wait_alu 0xfffe
	s_or_b32 exec_lo, exec_lo, s21
.LBB311_3679:                           ;   in Loop: Header=BB311_2079 Depth=1
	s_wait_alu 0xfffe
	s_or_b32 exec_lo, exec_lo, s20
	v_lshrrev_b32_e32 v2, 16, v12
	v_mov_b32_e32 v180, 0
	s_mov_b32 s20, exec_lo
	s_delay_alu instid0(VALU_DEP_2) | instskip(NEXT) | instid1(VALU_DEP_1)
	v_dual_mov_b32 v181, 0 :: v_dual_and_b32 v182, 0xff, v2
	v_cmpx_ne_u16_e64 0, v182
	s_cbranch_execz .LBB311_3687
; %bb.3680:                             ;   in Loop: Header=BB311_2079 Depth=1
	v_mov_b32_e32 v181, 0x8000
	s_mov_b32 s21, exec_lo
	v_cmpx_ne_u16_e64 0x80, v182
	s_cbranch_execz .LBB311_3686
; %bb.3681:                             ;   in Loop: Header=BB311_2079 Depth=1
	v_bfe_u32 v183, v12, 16, 7
	v_mov_b32_e32 v181, 0x7c01
	s_mov_b32 s22, exec_lo
	s_delay_alu instid0(VALU_DEP_2)
	v_cmpx_ne_u32_e32 0x7f, v183
	s_cbranch_execz .LBB311_3685
; %bb.3682:                             ;   in Loop: Header=BB311_2079 Depth=1
	v_and_b32_e32 v181, 7, v2
	v_lshrrev_b32_e32 v182, 3, v183
	s_mov_b32 s23, exec_lo
	v_cmpx_gt_u32_e32 8, v183
; %bb.3683:                             ;   in Loop: Header=BB311_2079 Depth=1
	s_delay_alu instid0(VALU_DEP_3) | instskip(NEXT) | instid1(VALU_DEP_1)
	v_clz_i32_u32_e32 v181, v181
	v_min_u32_e32 v183, 32, v181
	s_delay_alu instid0(VALU_DEP_1) | instskip(NEXT) | instid1(VALU_DEP_1)
	v_subrev_nc_u32_e32 v181, 28, v183
	v_lshlrev_b64_e32 v[181:182], v181, v[2:3]
	v_sub_nc_u32_e32 v182, 29, v183
	s_delay_alu instid0(VALU_DEP_2)
	v_and_b32_e32 v181, 7, v181
; %bb.3684:                             ;   in Loop: Header=BB311_2079 Depth=1
	s_wait_alu 0xfffe
	s_or_b32 exec_lo, exec_lo, s23
	v_lshlrev_b32_e32 v2, 8, v2
	v_lshl_add_u32 v182, v182, 10, 0x2000
	v_lshlrev_b32_e32 v181, 7, v181
	s_delay_alu instid0(VALU_DEP_3) | instskip(NEXT) | instid1(VALU_DEP_3)
	v_and_b32_e32 v2, 0x8000, v2
	v_and_b32_e32 v182, 0xfc00, v182
	s_delay_alu instid0(VALU_DEP_1)
	v_or3_b32 v181, v2, v182, v181
.LBB311_3685:                           ;   in Loop: Header=BB311_2079 Depth=1
	s_wait_alu 0xfffe
	s_or_b32 exec_lo, exec_lo, s22
.LBB311_3686:                           ;   in Loop: Header=BB311_2079 Depth=1
	s_wait_alu 0xfffe
	s_or_b32 exec_lo, exec_lo, s21
.LBB311_3687:                           ;   in Loop: Header=BB311_2079 Depth=1
	s_wait_alu 0xfffe
	s_or_b32 exec_lo, exec_lo, s20
	s_delay_alu instid0(SALU_CYCLE_1)
	s_mov_b32 s20, exec_lo
	v_cmpx_lt_u32_e32 0xffffff, v12
	s_cbranch_execz .LBB311_3695
; %bb.3688:                             ;   in Loop: Header=BB311_2079 Depth=1
	v_lshrrev_b32_e32 v2, 24, v12
	v_bfrev_b32_e32 v180, 1
	s_mov_b32 s21, exec_lo
	s_delay_alu instid0(VALU_DEP_2)
	v_cmpx_ne_u32_e32 0x80, v2
	s_cbranch_execz .LBB311_3694
; %bb.3689:                             ;   in Loop: Header=BB311_2079 Depth=1
	v_and_b32_e32 v183, 0x7f, v2
	v_mov_b32_e32 v180, 0x7c010000
	s_mov_b32 s22, exec_lo
	s_delay_alu instid0(VALU_DEP_2)
	v_cmpx_ne_u32_e32 0x7f, v183
	s_cbranch_execz .LBB311_3693
; %bb.3690:                             ;   in Loop: Header=BB311_2079 Depth=1
	v_and_b32_e32 v180, 7, v2
	v_lshrrev_b32_e32 v182, 3, v183
	s_mov_b32 s23, exec_lo
	v_cmpx_gt_u32_e32 8, v183
; %bb.3691:                             ;   in Loop: Header=BB311_2079 Depth=1
	s_delay_alu instid0(VALU_DEP_3) | instskip(NEXT) | instid1(VALU_DEP_1)
	v_clz_i32_u32_e32 v180, v180
	v_min_u32_e32 v180, 32, v180
	s_delay_alu instid0(VALU_DEP_1) | instskip(NEXT) | instid1(VALU_DEP_1)
	v_subrev_nc_u32_e32 v182, 28, v180
	v_lshlrev_b64_e32 v[40:41], v182, v[2:3]
	v_sub_nc_u32_e32 v182, 29, v180
	s_delay_alu instid0(VALU_DEP_2)
	v_and_b32_e32 v180, 7, v40
; %bb.3692:                             ;   in Loop: Header=BB311_2079 Depth=1
	s_wait_alu 0xfffe
	s_or_b32 exec_lo, exec_lo, s23
	v_lshlrev_b32_e32 v2, 8, v2
	v_lshl_add_u32 v182, v182, 10, 0x2000
	v_lshlrev_b32_e32 v180, 23, v180
	s_delay_alu instid0(VALU_DEP_2) | instskip(NEXT) | instid1(VALU_DEP_1)
	v_and_or_b32 v2, 0x8000, v2, v182
	v_lshl_or_b32 v180, v2, 16, v180
.LBB311_3693:                           ;   in Loop: Header=BB311_2079 Depth=1
	s_wait_alu 0xfffe
	s_or_b32 exec_lo, exec_lo, s22
.LBB311_3694:                           ;   in Loop: Header=BB311_2079 Depth=1
	s_wait_alu 0xfffe
	s_or_b32 exec_lo, exec_lo, s21
.LBB311_3695:                           ;   in Loop: Header=BB311_2079 Depth=1
	s_wait_alu 0xfffe
	s_or_b32 exec_lo, exec_lo, s20
	v_dual_mov_b32 v183, 0 :: v_dual_and_b32 v40, 0xff, v13
	v_mov_b32_e32 v2, v13
	v_mov_b32_e32 v182, 0
	s_mov_b32 s20, exec_lo
	s_delay_alu instid0(VALU_DEP_3)
	v_cmpx_ne_u16_e32 0, v40
	s_cbranch_execz .LBB311_3703
; %bb.3696:                             ;   in Loop: Header=BB311_2079 Depth=1
	v_mov_b32_e32 v183, 0x8000
	s_mov_b32 s21, exec_lo
	v_cmpx_ne_u16_e32 0x80, v40
	s_cbranch_execz .LBB311_3702
; %bb.3697:                             ;   in Loop: Header=BB311_2079 Depth=1
	v_and_b32_e32 v41, 0x7f, v13
	v_mov_b32_e32 v183, 0x7c01
	s_mov_b32 s22, exec_lo
	s_delay_alu instid0(VALU_DEP_2)
	v_cmpx_ne_u32_e32 0x7f, v41
	s_cbranch_execz .LBB311_3701
; %bb.3698:                             ;   in Loop: Header=BB311_2079 Depth=1
	v_and_b32_e32 v183, 7, v13
	v_lshrrev_b32_e32 v40, 3, v41
	s_mov_b32 s23, exec_lo
	v_cmpx_gt_u32_e32 8, v41
; %bb.3699:                             ;   in Loop: Header=BB311_2079 Depth=1
	s_delay_alu instid0(VALU_DEP_3) | instskip(NEXT) | instid1(VALU_DEP_1)
	v_clz_i32_u32_e32 v183, v183
	v_min_u32_e32 v183, 32, v183
	s_delay_alu instid0(VALU_DEP_1) | instskip(NEXT) | instid1(VALU_DEP_1)
	v_subrev_nc_u32_e32 v40, 28, v183
	v_lshlrev_b64_e32 v[41:42], v40, v[2:3]
	v_sub_nc_u32_e32 v40, 29, v183
	s_delay_alu instid0(VALU_DEP_2)
	v_and_b32_e32 v183, 7, v41
; %bb.3700:                             ;   in Loop: Header=BB311_2079 Depth=1
	s_wait_alu 0xfffe
	s_or_b32 exec_lo, exec_lo, s23
	v_lshlrev_b32_e32 v41, 8, v13
	v_lshl_add_u32 v40, v40, 10, 0x2000
	v_lshlrev_b32_e32 v183, 7, v183
	s_delay_alu instid0(VALU_DEP_3) | instskip(NEXT) | instid1(VALU_DEP_3)
	v_and_b32_e32 v41, 0x8000, v41
	v_and_b32_e32 v40, 0xfc00, v40
	s_delay_alu instid0(VALU_DEP_1)
	v_or3_b32 v183, v41, v40, v183
.LBB311_3701:                           ;   in Loop: Header=BB311_2079 Depth=1
	s_wait_alu 0xfffe
	s_or_b32 exec_lo, exec_lo, s22
.LBB311_3702:                           ;   in Loop: Header=BB311_2079 Depth=1
	s_wait_alu 0xfffe
	s_or_b32 exec_lo, exec_lo, s21
.LBB311_3703:                           ;   in Loop: Header=BB311_2079 Depth=1
	s_wait_alu 0xfffe
	s_or_b32 exec_lo, exec_lo, s20
	v_lshrrev_b16 v2, 8, v2
	v_mov_b32_e32 v40, 0
	s_mov_b32 s20, exec_lo
	s_delay_alu instid0(VALU_DEP_2)
	v_cmpx_ne_u16_e32 0, v2
	s_cbranch_execz .LBB311_3711
; %bb.3704:                             ;   in Loop: Header=BB311_2079 Depth=1
	v_bfrev_b32_e32 v40, 1
	s_mov_b32 s21, exec_lo
	v_cmpx_ne_u16_e32 0x80, v2
	s_cbranch_execz .LBB311_3710
; %bb.3705:                             ;   in Loop: Header=BB311_2079 Depth=1
	v_and_b32_e32 v41, 0xffff, v2
	v_mov_b32_e32 v40, 0x7c010000
	s_mov_b32 s22, exec_lo
	s_delay_alu instid0(VALU_DEP_2) | instskip(NEXT) | instid1(VALU_DEP_1)
	v_and_b32_e32 v43, 0x7f, v41
	v_cmpx_ne_u32_e32 0x7f, v43
	s_cbranch_execz .LBB311_3709
; %bb.3706:                             ;   in Loop: Header=BB311_2079 Depth=1
	v_and_b32_e32 v40, 7, v41
	v_lshrrev_b32_e32 v42, 3, v43
	s_mov_b32 s23, exec_lo
	v_cmpx_gt_u32_e32 8, v43
; %bb.3707:                             ;   in Loop: Header=BB311_2079 Depth=1
	s_delay_alu instid0(VALU_DEP_3) | instskip(NEXT) | instid1(VALU_DEP_1)
	v_clz_i32_u32_e32 v40, v40
	v_min_u32_e32 v40, 32, v40
	s_delay_alu instid0(VALU_DEP_1) | instskip(NEXT) | instid1(VALU_DEP_1)
	v_subrev_nc_u32_e32 v42, 28, v40
	v_lshlrev_b64_e32 v[43:44], v42, v[2:3]
	v_sub_nc_u32_e32 v42, 29, v40
	s_delay_alu instid0(VALU_DEP_2)
	v_and_b32_e32 v40, 7, v43
; %bb.3708:                             ;   in Loop: Header=BB311_2079 Depth=1
	s_wait_alu 0xfffe
	s_or_b32 exec_lo, exec_lo, s23
	v_lshlrev_b32_e32 v2, 8, v41
	v_lshl_add_u32 v41, v42, 10, 0x2000
	v_lshlrev_b32_e32 v40, 23, v40
	s_delay_alu instid0(VALU_DEP_2) | instskip(NEXT) | instid1(VALU_DEP_1)
	v_and_or_b32 v2, 0x8000, v2, v41
	v_lshl_or_b32 v40, v2, 16, v40
.LBB311_3709:                           ;   in Loop: Header=BB311_2079 Depth=1
	s_wait_alu 0xfffe
	s_or_b32 exec_lo, exec_lo, s22
.LBB311_3710:                           ;   in Loop: Header=BB311_2079 Depth=1
	s_wait_alu 0xfffe
	s_or_b32 exec_lo, exec_lo, s21
.LBB311_3711:                           ;   in Loop: Header=BB311_2079 Depth=1
	s_wait_alu 0xfffe
	s_or_b32 exec_lo, exec_lo, s20
	v_lshrrev_b32_e32 v2, 16, v13
	s_mov_b32 s20, exec_lo
	s_delay_alu instid0(VALU_DEP_1) | instskip(NEXT) | instid1(VALU_DEP_1)
	v_and_b32_e32 v41, 0xff, v2
	v_cmpx_ne_u16_e32 0, v41
	s_cbranch_execz .LBB311_3719
; %bb.3712:                             ;   in Loop: Header=BB311_2079 Depth=1
	v_mov_b32_e32 v182, 0x8000
	s_mov_b32 s21, exec_lo
	v_cmpx_ne_u16_e32 0x80, v41
	s_cbranch_execz .LBB311_3718
; %bb.3713:                             ;   in Loop: Header=BB311_2079 Depth=1
	v_bfe_u32 v42, v13, 16, 7
	v_mov_b32_e32 v182, 0x7c01
	s_mov_b32 s22, exec_lo
	s_delay_alu instid0(VALU_DEP_2)
	v_cmpx_ne_u32_e32 0x7f, v42
	s_cbranch_execz .LBB311_3717
; %bb.3714:                             ;   in Loop: Header=BB311_2079 Depth=1
	v_and_b32_e32 v182, 7, v2
	v_lshrrev_b32_e32 v41, 3, v42
	s_mov_b32 s23, exec_lo
	v_cmpx_gt_u32_e32 8, v42
; %bb.3715:                             ;   in Loop: Header=BB311_2079 Depth=1
	s_delay_alu instid0(VALU_DEP_3) | instskip(NEXT) | instid1(VALU_DEP_1)
	v_clz_i32_u32_e32 v182, v182
	v_min_u32_e32 v182, 32, v182
	s_delay_alu instid0(VALU_DEP_1) | instskip(NEXT) | instid1(VALU_DEP_1)
	v_subrev_nc_u32_e32 v41, 28, v182
	v_lshlrev_b64_e32 v[42:43], v41, v[2:3]
	v_sub_nc_u32_e32 v41, 29, v182
	s_delay_alu instid0(VALU_DEP_2)
	v_and_b32_e32 v182, 7, v42
; %bb.3716:                             ;   in Loop: Header=BB311_2079 Depth=1
	s_wait_alu 0xfffe
	s_or_b32 exec_lo, exec_lo, s23
	v_lshlrev_b32_e32 v2, 8, v2
	v_lshl_add_u32 v41, v41, 10, 0x2000
	v_lshlrev_b32_e32 v182, 7, v182
	s_delay_alu instid0(VALU_DEP_3) | instskip(NEXT) | instid1(VALU_DEP_3)
	v_and_b32_e32 v2, 0x8000, v2
	v_and_b32_e32 v41, 0xfc00, v41
	s_delay_alu instid0(VALU_DEP_1)
	v_or3_b32 v182, v2, v41, v182
.LBB311_3717:                           ;   in Loop: Header=BB311_2079 Depth=1
	s_wait_alu 0xfffe
	s_or_b32 exec_lo, exec_lo, s22
.LBB311_3718:                           ;   in Loop: Header=BB311_2079 Depth=1
	s_wait_alu 0xfffe
	s_or_b32 exec_lo, exec_lo, s21
.LBB311_3719:                           ;   in Loop: Header=BB311_2079 Depth=1
	s_wait_alu 0xfffe
	s_or_b32 exec_lo, exec_lo, s20
	v_cmp_lt_u64_e64 s8, s[16:17], v[12:13]
	v_mov_b32_e32 v12, 0
	s_and_saveexec_b32 s20, s8
	s_cbranch_execz .LBB311_3727
; %bb.3720:                             ;   in Loop: Header=BB311_2079 Depth=1
	v_lshrrev_b32_e32 v2, 24, v13
	v_bfrev_b32_e32 v12, 1
	s_mov_b32 s21, exec_lo
	s_delay_alu instid0(VALU_DEP_2)
	v_cmpx_ne_u32_e32 0x80, v2
	s_cbranch_execz .LBB311_3726
; %bb.3721:                             ;   in Loop: Header=BB311_2079 Depth=1
	v_and_b32_e32 v41, 0x7f, v2
	v_mov_b32_e32 v12, 0x7c010000
	s_mov_b32 s22, exec_lo
	s_delay_alu instid0(VALU_DEP_2)
	v_cmpx_ne_u32_e32 0x7f, v41
	s_cbranch_execz .LBB311_3725
; %bb.3722:                             ;   in Loop: Header=BB311_2079 Depth=1
	v_and_b32_e32 v12, 7, v2
	v_lshrrev_b32_e32 v13, 3, v41
	s_mov_b32 s23, exec_lo
	v_cmpx_gt_u32_e32 8, v41
; %bb.3723:                             ;   in Loop: Header=BB311_2079 Depth=1
	s_delay_alu instid0(VALU_DEP_3) | instskip(NEXT) | instid1(VALU_DEP_1)
	v_clz_i32_u32_e32 v12, v12
	v_min_u32_e32 v41, 32, v12
	s_delay_alu instid0(VALU_DEP_1) | instskip(NEXT) | instid1(VALU_DEP_1)
	v_subrev_nc_u32_e32 v12, 28, v41
	v_lshlrev_b64_e32 v[12:13], v12, v[2:3]
	v_sub_nc_u32_e32 v13, 29, v41
	s_delay_alu instid0(VALU_DEP_2)
	v_and_b32_e32 v12, 7, v12
; %bb.3724:                             ;   in Loop: Header=BB311_2079 Depth=1
	s_wait_alu 0xfffe
	s_or_b32 exec_lo, exec_lo, s23
	v_lshlrev_b32_e32 v2, 8, v2
	v_lshl_add_u32 v13, v13, 10, 0x2000
	v_lshlrev_b32_e32 v12, 23, v12
	s_delay_alu instid0(VALU_DEP_2) | instskip(NEXT) | instid1(VALU_DEP_1)
	v_and_or_b32 v2, 0x8000, v2, v13
	v_lshl_or_b32 v12, v2, 16, v12
.LBB311_3725:                           ;   in Loop: Header=BB311_2079 Depth=1
	s_wait_alu 0xfffe
	s_or_b32 exec_lo, exec_lo, s22
.LBB311_3726:                           ;   in Loop: Header=BB311_2079 Depth=1
	s_wait_alu 0xfffe
	s_or_b32 exec_lo, exec_lo, s21
.LBB311_3727:                           ;   in Loop: Header=BB311_2079 Depth=1
	s_wait_alu 0xfffe
	s_or_b32 exec_lo, exec_lo, s20
	v_or_b32_e32 v2, v180, v181
	s_wait_loadcnt_dscnt 0x0
	v_fma_mixlo_f16 v13, v177, v180, 0 op_sel:[0,1,0] op_sel_hi:[0,1,0]
	v_or_b32_e32 v179, v178, v179
	v_or_b32_e32 v180, v40, v183
	;; [unrolled: 1-line block ×3, first 2 shown]
	v_fma_mixlo_f16 v181, v177, v2, 0 op_sel_hi:[0,1,0]
	v_fma_mixlo_f16 v178, v177, v178, 0 op_sel:[0,1,0] op_sel_hi:[0,1,0]
	v_lshlrev_b32_e32 v2, 16, v13
	v_fma_mixlo_f16 v179, v177, v179, 0 op_sel_hi:[0,1,0]
	v_fma_mixlo_f16 v180, v177, v180, 0 op_sel_hi:[0,1,0]
	v_and_b32_e32 v13, 0xffff, v181
	v_fma_mixlo_f16 v181, v177, v40, 0 op_sel:[0,1,0] op_sel_hi:[0,1,0]
	v_fma_mixlo_f16 v12, v177, v12, 0 op_sel:[0,1,0] op_sel_hi:[0,1,0]
	v_fma_mixlo_f16 v177, v177, v182, 0 op_sel_hi:[0,1,0]
	v_lshlrev_b32_e32 v178, 16, v178
	v_and_b32_e32 v41, 0xffff, v179
	v_lshlrev_b32_e32 v182, 16, v181
	v_and_b32_e32 v40, 0xffff, v180
	;; [unrolled: 2-line block ×3, first 2 shown]
	v_or_b32_e32 v12, v2, v13
	v_or_b32_e32 v180, v178, v41
	;; [unrolled: 1-line block ×3, first 2 shown]
	s_delay_alu instid0(VALU_DEP_4)
	v_or_b32_e32 v177, v181, v183
	s_and_saveexec_b32 s8, s2
	s_cbranch_execz .LBB311_3729
; %bb.3728:                             ;   in Loop: Header=BB311_2079 Depth=1
	s_wait_alu 0xfffd
	v_cndmask_b32_e32 v12, 0, v41, vcc_lo
	v_cndmask_b32_e64 v177, 0, v178, s1
	v_cndmask_b32_e64 v13, 0, v13, s0
	;; [unrolled: 1-line block ×7, first 2 shown]
	v_or_b32_e32 v180, v12, v177
	v_or_b32_e32 v12, v13, v2
	;; [unrolled: 1-line block ×3, first 2 shown]
	s_delay_alu instid0(VALU_DEP_4)
	v_or_b32_e32 v177, v182, v181
.LBB311_3729:                           ;   in Loop: Header=BB311_2079 Depth=1
	s_wait_alu 0xfffe
	s_or_b32 exec_lo, exec_lo, s8
	;;#ASMSTART
	v_pk_mul_f16 v2, v98, v180;

	;;#ASMEND
	;;#ASMSTART
	v_pk_mul_f16 v12, v96, v12;

	;;#ASMEND
	;; [unrolled: 4-line block ×4, first 2 shown]
	;;#ASMSTART
	v_pk_add_f16 v2, v2, v12;

	;;#ASMEND
	;;#ASMSTART
	v_pk_add_f16 v2, v2, v13;

	;;#ASMEND
	;; [unrolled: 4-line block ×3, first 2 shown]
	v_dual_mov_b32 v181, 0 :: v_dual_and_b32 v12, 0xffff, v2
	v_lshrrev_b32_e32 v2, 16, v2
	;;#ASMSTART
	v_cvt_f32_f16 v177, v12;
	;;#ASMEND
	;;#ASMSTART
	v_cvt_f32_f16 v178, v2;
	;;#ASMEND
	flat_load_b64 v[12:13], v[10:11] offset:6400
	flat_load_b32 v179, v[26:27]
	v_mov_b32_e32 v180, 0
	s_mov_b32 s20, exec_lo
	s_wait_loadcnt_dscnt 0x101
	v_and_b32_e32 v2, 0xff, v12
	s_delay_alu instid0(VALU_DEP_1)
	v_cmpx_ne_u16_e32 0, v2
	s_cbranch_execz .LBB311_3737
; %bb.3730:                             ;   in Loop: Header=BB311_2079 Depth=1
	v_mov_b32_e32 v181, 0x8000
	s_mov_b32 s21, exec_lo
	v_cmpx_ne_u16_e32 0x80, v2
	s_cbranch_execz .LBB311_3736
; %bb.3731:                             ;   in Loop: Header=BB311_2079 Depth=1
	v_and_b32_e32 v182, 0x7f, v12
	v_mov_b32_e32 v181, 0x7c01
	s_mov_b32 s22, exec_lo
	s_delay_alu instid0(VALU_DEP_2)
	v_cmpx_ne_u32_e32 0x7f, v182
	s_cbranch_execz .LBB311_3735
; %bb.3732:                             ;   in Loop: Header=BB311_2079 Depth=1
	v_and_b32_e32 v2, 7, v12
	v_lshrrev_b32_e32 v181, 3, v182
	s_mov_b32 s23, exec_lo
	v_cmpx_gt_u32_e32 8, v182
; %bb.3733:                             ;   in Loop: Header=BB311_2079 Depth=1
	s_delay_alu instid0(VALU_DEP_3) | instskip(NEXT) | instid1(VALU_DEP_1)
	v_clz_i32_u32_e32 v2, v2
	v_min_u32_e32 v2, 32, v2
	s_delay_alu instid0(VALU_DEP_1) | instskip(NEXT) | instid1(VALU_DEP_1)
	v_subrev_nc_u32_e32 v181, 28, v2
	v_lshlrev_b64_e32 v[182:183], v181, v[12:13]
	v_sub_nc_u32_e32 v181, 29, v2
	s_delay_alu instid0(VALU_DEP_2)
	v_and_b32_e32 v2, 7, v182
; %bb.3734:                             ;   in Loop: Header=BB311_2079 Depth=1
	s_wait_alu 0xfffe
	s_or_b32 exec_lo, exec_lo, s23
	v_lshlrev_b32_e32 v182, 8, v12
	v_lshl_add_u32 v181, v181, 10, 0x2000
	v_lshlrev_b32_e32 v2, 7, v2
	s_delay_alu instid0(VALU_DEP_3) | instskip(NEXT) | instid1(VALU_DEP_3)
	v_and_b32_e32 v182, 0x8000, v182
	v_and_b32_e32 v181, 0xfc00, v181
	s_delay_alu instid0(VALU_DEP_1)
	v_or3_b32 v181, v182, v181, v2
.LBB311_3735:                           ;   in Loop: Header=BB311_2079 Depth=1
	s_wait_alu 0xfffe
	s_or_b32 exec_lo, exec_lo, s22
.LBB311_3736:                           ;   in Loop: Header=BB311_2079 Depth=1
	s_wait_alu 0xfffe
	s_or_b32 exec_lo, exec_lo, s21
.LBB311_3737:                           ;   in Loop: Header=BB311_2079 Depth=1
	s_wait_alu 0xfffe
	s_or_b32 exec_lo, exec_lo, s20
	v_lshrrev_b16 v2, 8, v12
	s_mov_b32 s20, exec_lo
	s_delay_alu instid0(VALU_DEP_1)
	v_cmpx_ne_u16_e32 0, v2
	s_cbranch_execz .LBB311_3745
; %bb.3738:                             ;   in Loop: Header=BB311_2079 Depth=1
	v_bfrev_b32_e32 v180, 1
	s_mov_b32 s21, exec_lo
	v_cmpx_ne_u16_e32 0x80, v2
	s_cbranch_execz .LBB311_3744
; %bb.3739:                             ;   in Loop: Header=BB311_2079 Depth=1
	v_and_b32_e32 v182, 0xffff, v2
	v_mov_b32_e32 v180, 0x7c010000
	s_mov_b32 s22, exec_lo
	s_delay_alu instid0(VALU_DEP_2) | instskip(NEXT) | instid1(VALU_DEP_1)
	v_and_b32_e32 v40, 0x7f, v182
	v_cmpx_ne_u32_e32 0x7f, v40
	s_cbranch_execz .LBB311_3743
; %bb.3740:                             ;   in Loop: Header=BB311_2079 Depth=1
	v_and_b32_e32 v180, 7, v182
	v_lshrrev_b32_e32 v183, 3, v40
	s_mov_b32 s23, exec_lo
	v_cmpx_gt_u32_e32 8, v40
; %bb.3741:                             ;   in Loop: Header=BB311_2079 Depth=1
	s_delay_alu instid0(VALU_DEP_3) | instskip(NEXT) | instid1(VALU_DEP_1)
	v_clz_i32_u32_e32 v180, v180
	v_min_u32_e32 v180, 32, v180
	s_delay_alu instid0(VALU_DEP_1) | instskip(NEXT) | instid1(VALU_DEP_1)
	v_subrev_nc_u32_e32 v183, 28, v180
	v_lshlrev_b64_e32 v[40:41], v183, v[2:3]
	v_sub_nc_u32_e32 v183, 29, v180
	s_delay_alu instid0(VALU_DEP_2)
	v_and_b32_e32 v180, 7, v40
; %bb.3742:                             ;   in Loop: Header=BB311_2079 Depth=1
	s_wait_alu 0xfffe
	s_or_b32 exec_lo, exec_lo, s23
	v_lshlrev_b32_e32 v2, 8, v182
	v_lshl_add_u32 v182, v183, 10, 0x2000
	v_lshlrev_b32_e32 v180, 23, v180
	s_delay_alu instid0(VALU_DEP_2) | instskip(NEXT) | instid1(VALU_DEP_1)
	v_and_or_b32 v2, 0x8000, v2, v182
	v_lshl_or_b32 v180, v2, 16, v180
.LBB311_3743:                           ;   in Loop: Header=BB311_2079 Depth=1
	s_wait_alu 0xfffe
	s_or_b32 exec_lo, exec_lo, s22
.LBB311_3744:                           ;   in Loop: Header=BB311_2079 Depth=1
	s_wait_alu 0xfffe
	s_or_b32 exec_lo, exec_lo, s21
.LBB311_3745:                           ;   in Loop: Header=BB311_2079 Depth=1
	s_wait_alu 0xfffe
	s_or_b32 exec_lo, exec_lo, s20
	v_lshrrev_b32_e32 v2, 16, v12
	v_mov_b32_e32 v182, 0
	s_mov_b32 s20, exec_lo
	s_delay_alu instid0(VALU_DEP_2) | instskip(NEXT) | instid1(VALU_DEP_1)
	v_dual_mov_b32 v183, 0 :: v_dual_and_b32 v40, 0xff, v2
	v_cmpx_ne_u16_e32 0, v40
	s_cbranch_execz .LBB311_3753
; %bb.3746:                             ;   in Loop: Header=BB311_2079 Depth=1
	v_mov_b32_e32 v183, 0x8000
	s_mov_b32 s21, exec_lo
	v_cmpx_ne_u16_e32 0x80, v40
	s_cbranch_execz .LBB311_3752
; %bb.3747:                             ;   in Loop: Header=BB311_2079 Depth=1
	v_bfe_u32 v41, v12, 16, 7
	v_mov_b32_e32 v183, 0x7c01
	s_mov_b32 s22, exec_lo
	s_delay_alu instid0(VALU_DEP_2)
	v_cmpx_ne_u32_e32 0x7f, v41
	s_cbranch_execz .LBB311_3751
; %bb.3748:                             ;   in Loop: Header=BB311_2079 Depth=1
	v_and_b32_e32 v183, 7, v2
	v_lshrrev_b32_e32 v40, 3, v41
	s_mov_b32 s23, exec_lo
	v_cmpx_gt_u32_e32 8, v41
; %bb.3749:                             ;   in Loop: Header=BB311_2079 Depth=1
	s_delay_alu instid0(VALU_DEP_3) | instskip(NEXT) | instid1(VALU_DEP_1)
	v_clz_i32_u32_e32 v183, v183
	v_min_u32_e32 v183, 32, v183
	s_delay_alu instid0(VALU_DEP_1) | instskip(NEXT) | instid1(VALU_DEP_1)
	v_subrev_nc_u32_e32 v40, 28, v183
	v_lshlrev_b64_e32 v[41:42], v40, v[2:3]
	v_sub_nc_u32_e32 v40, 29, v183
	s_delay_alu instid0(VALU_DEP_2)
	v_and_b32_e32 v183, 7, v41
; %bb.3750:                             ;   in Loop: Header=BB311_2079 Depth=1
	s_wait_alu 0xfffe
	s_or_b32 exec_lo, exec_lo, s23
	v_lshlrev_b32_e32 v2, 8, v2
	v_lshl_add_u32 v40, v40, 10, 0x2000
	v_lshlrev_b32_e32 v183, 7, v183
	s_delay_alu instid0(VALU_DEP_3) | instskip(NEXT) | instid1(VALU_DEP_3)
	v_and_b32_e32 v2, 0x8000, v2
	v_and_b32_e32 v40, 0xfc00, v40
	s_delay_alu instid0(VALU_DEP_1)
	v_or3_b32 v183, v2, v40, v183
.LBB311_3751:                           ;   in Loop: Header=BB311_2079 Depth=1
	s_wait_alu 0xfffe
	s_or_b32 exec_lo, exec_lo, s22
.LBB311_3752:                           ;   in Loop: Header=BB311_2079 Depth=1
	s_wait_alu 0xfffe
	s_or_b32 exec_lo, exec_lo, s21
.LBB311_3753:                           ;   in Loop: Header=BB311_2079 Depth=1
	s_wait_alu 0xfffe
	s_or_b32 exec_lo, exec_lo, s20
	s_delay_alu instid0(SALU_CYCLE_1)
	s_mov_b32 s20, exec_lo
	v_cmpx_lt_u32_e32 0xffffff, v12
	s_cbranch_execz .LBB311_3761
; %bb.3754:                             ;   in Loop: Header=BB311_2079 Depth=1
	v_lshrrev_b32_e32 v2, 24, v12
	v_bfrev_b32_e32 v182, 1
	s_mov_b32 s21, exec_lo
	s_delay_alu instid0(VALU_DEP_2)
	v_cmpx_ne_u32_e32 0x80, v2
	s_cbranch_execz .LBB311_3760
; %bb.3755:                             ;   in Loop: Header=BB311_2079 Depth=1
	v_and_b32_e32 v41, 0x7f, v2
	v_mov_b32_e32 v182, 0x7c010000
	s_mov_b32 s22, exec_lo
	s_delay_alu instid0(VALU_DEP_2)
	v_cmpx_ne_u32_e32 0x7f, v41
	s_cbranch_execz .LBB311_3759
; %bb.3756:                             ;   in Loop: Header=BB311_2079 Depth=1
	v_and_b32_e32 v182, 7, v2
	v_lshrrev_b32_e32 v40, 3, v41
	s_mov_b32 s23, exec_lo
	v_cmpx_gt_u32_e32 8, v41
; %bb.3757:                             ;   in Loop: Header=BB311_2079 Depth=1
	s_delay_alu instid0(VALU_DEP_3) | instskip(NEXT) | instid1(VALU_DEP_1)
	v_clz_i32_u32_e32 v182, v182
	v_min_u32_e32 v182, 32, v182
	s_delay_alu instid0(VALU_DEP_1) | instskip(NEXT) | instid1(VALU_DEP_1)
	v_subrev_nc_u32_e32 v40, 28, v182
	v_lshlrev_b64_e32 v[41:42], v40, v[2:3]
	v_sub_nc_u32_e32 v40, 29, v182
	s_delay_alu instid0(VALU_DEP_2)
	v_and_b32_e32 v182, 7, v41
; %bb.3758:                             ;   in Loop: Header=BB311_2079 Depth=1
	s_wait_alu 0xfffe
	s_or_b32 exec_lo, exec_lo, s23
	v_lshlrev_b32_e32 v2, 8, v2
	v_lshl_add_u32 v40, v40, 10, 0x2000
	v_lshlrev_b32_e32 v182, 23, v182
	s_delay_alu instid0(VALU_DEP_2) | instskip(NEXT) | instid1(VALU_DEP_1)
	v_and_or_b32 v2, 0x8000, v2, v40
	v_lshl_or_b32 v182, v2, 16, v182
.LBB311_3759:                           ;   in Loop: Header=BB311_2079 Depth=1
	s_wait_alu 0xfffe
	s_or_b32 exec_lo, exec_lo, s22
.LBB311_3760:                           ;   in Loop: Header=BB311_2079 Depth=1
	s_wait_alu 0xfffe
	s_or_b32 exec_lo, exec_lo, s21
.LBB311_3761:                           ;   in Loop: Header=BB311_2079 Depth=1
	s_wait_alu 0xfffe
	s_or_b32 exec_lo, exec_lo, s20
	v_dual_mov_b32 v41, 0 :: v_dual_and_b32 v42, 0xff, v13
	v_mov_b32_e32 v2, v13
	v_mov_b32_e32 v40, 0
	s_mov_b32 s20, exec_lo
	s_delay_alu instid0(VALU_DEP_3)
	v_cmpx_ne_u16_e32 0, v42
	s_cbranch_execz .LBB311_3769
; %bb.3762:                             ;   in Loop: Header=BB311_2079 Depth=1
	v_mov_b32_e32 v41, 0x8000
	s_mov_b32 s21, exec_lo
	v_cmpx_ne_u16_e32 0x80, v42
	s_cbranch_execz .LBB311_3768
; %bb.3763:                             ;   in Loop: Header=BB311_2079 Depth=1
	v_and_b32_e32 v43, 0x7f, v13
	v_mov_b32_e32 v41, 0x7c01
	s_mov_b32 s22, exec_lo
	s_delay_alu instid0(VALU_DEP_2)
	v_cmpx_ne_u32_e32 0x7f, v43
	s_cbranch_execz .LBB311_3767
; %bb.3764:                             ;   in Loop: Header=BB311_2079 Depth=1
	v_and_b32_e32 v41, 7, v13
	v_lshrrev_b32_e32 v42, 3, v43
	s_mov_b32 s23, exec_lo
	v_cmpx_gt_u32_e32 8, v43
; %bb.3765:                             ;   in Loop: Header=BB311_2079 Depth=1
	s_delay_alu instid0(VALU_DEP_3) | instskip(NEXT) | instid1(VALU_DEP_1)
	v_clz_i32_u32_e32 v41, v41
	v_min_u32_e32 v43, 32, v41
	s_delay_alu instid0(VALU_DEP_1) | instskip(NEXT) | instid1(VALU_DEP_1)
	v_subrev_nc_u32_e32 v41, 28, v43
	v_lshlrev_b64_e32 v[41:42], v41, v[2:3]
	v_sub_nc_u32_e32 v42, 29, v43
	s_delay_alu instid0(VALU_DEP_2)
	v_and_b32_e32 v41, 7, v41
; %bb.3766:                             ;   in Loop: Header=BB311_2079 Depth=1
	s_wait_alu 0xfffe
	s_or_b32 exec_lo, exec_lo, s23
	v_lshlrev_b32_e32 v43, 8, v13
	v_lshl_add_u32 v42, v42, 10, 0x2000
	v_lshlrev_b32_e32 v41, 7, v41
	s_delay_alu instid0(VALU_DEP_3) | instskip(NEXT) | instid1(VALU_DEP_3)
	v_and_b32_e32 v43, 0x8000, v43
	v_and_b32_e32 v42, 0xfc00, v42
	s_delay_alu instid0(VALU_DEP_1)
	v_or3_b32 v41, v43, v42, v41
.LBB311_3767:                           ;   in Loop: Header=BB311_2079 Depth=1
	s_wait_alu 0xfffe
	s_or_b32 exec_lo, exec_lo, s22
.LBB311_3768:                           ;   in Loop: Header=BB311_2079 Depth=1
	s_wait_alu 0xfffe
	s_or_b32 exec_lo, exec_lo, s21
.LBB311_3769:                           ;   in Loop: Header=BB311_2079 Depth=1
	s_wait_alu 0xfffe
	s_or_b32 exec_lo, exec_lo, s20
	v_lshrrev_b16 v2, 8, v2
	v_mov_b32_e32 v42, 0
	s_mov_b32 s20, exec_lo
	s_delay_alu instid0(VALU_DEP_2)
	v_cmpx_ne_u16_e32 0, v2
	s_cbranch_execz .LBB311_3777
; %bb.3770:                             ;   in Loop: Header=BB311_2079 Depth=1
	v_bfrev_b32_e32 v42, 1
	s_mov_b32 s21, exec_lo
	v_cmpx_ne_u16_e32 0x80, v2
	s_cbranch_execz .LBB311_3776
; %bb.3771:                             ;   in Loop: Header=BB311_2079 Depth=1
	v_and_b32_e32 v43, 0xffff, v2
	v_mov_b32_e32 v42, 0x7c010000
	s_mov_b32 s22, exec_lo
	s_delay_alu instid0(VALU_DEP_2) | instskip(NEXT) | instid1(VALU_DEP_1)
	v_and_b32_e32 v45, 0x7f, v43
	v_cmpx_ne_u32_e32 0x7f, v45
	s_cbranch_execz .LBB311_3775
; %bb.3772:                             ;   in Loop: Header=BB311_2079 Depth=1
	v_and_b32_e32 v42, 7, v43
	v_lshrrev_b32_e32 v44, 3, v45
	s_mov_b32 s23, exec_lo
	v_cmpx_gt_u32_e32 8, v45
; %bb.3773:                             ;   in Loop: Header=BB311_2079 Depth=1
	s_delay_alu instid0(VALU_DEP_3) | instskip(NEXT) | instid1(VALU_DEP_1)
	v_clz_i32_u32_e32 v42, v42
	v_min_u32_e32 v42, 32, v42
	s_delay_alu instid0(VALU_DEP_1) | instskip(NEXT) | instid1(VALU_DEP_1)
	v_subrev_nc_u32_e32 v44, 28, v42
	v_lshlrev_b64_e32 v[45:46], v44, v[2:3]
	v_sub_nc_u32_e32 v44, 29, v42
	s_delay_alu instid0(VALU_DEP_2)
	v_and_b32_e32 v42, 7, v45
; %bb.3774:                             ;   in Loop: Header=BB311_2079 Depth=1
	s_wait_alu 0xfffe
	s_or_b32 exec_lo, exec_lo, s23
	v_lshlrev_b32_e32 v2, 8, v43
	v_lshl_add_u32 v43, v44, 10, 0x2000
	v_lshlrev_b32_e32 v42, 23, v42
	s_delay_alu instid0(VALU_DEP_2) | instskip(NEXT) | instid1(VALU_DEP_1)
	v_and_or_b32 v2, 0x8000, v2, v43
	v_lshl_or_b32 v42, v2, 16, v42
.LBB311_3775:                           ;   in Loop: Header=BB311_2079 Depth=1
	s_wait_alu 0xfffe
	s_or_b32 exec_lo, exec_lo, s22
.LBB311_3776:                           ;   in Loop: Header=BB311_2079 Depth=1
	s_wait_alu 0xfffe
	s_or_b32 exec_lo, exec_lo, s21
.LBB311_3777:                           ;   in Loop: Header=BB311_2079 Depth=1
	s_wait_alu 0xfffe
	s_or_b32 exec_lo, exec_lo, s20
	v_lshrrev_b32_e32 v2, 16, v13
	s_mov_b32 s20, exec_lo
	s_delay_alu instid0(VALU_DEP_1) | instskip(NEXT) | instid1(VALU_DEP_1)
	v_and_b32_e32 v43, 0xff, v2
	v_cmpx_ne_u16_e32 0, v43
	s_cbranch_execz .LBB311_3785
; %bb.3778:                             ;   in Loop: Header=BB311_2079 Depth=1
	v_mov_b32_e32 v40, 0x8000
	s_mov_b32 s21, exec_lo
	v_cmpx_ne_u16_e32 0x80, v43
	s_cbranch_execz .LBB311_3784
; %bb.3779:                             ;   in Loop: Header=BB311_2079 Depth=1
	v_bfe_u32 v44, v13, 16, 7
	v_mov_b32_e32 v40, 0x7c01
	s_mov_b32 s22, exec_lo
	s_delay_alu instid0(VALU_DEP_2)
	v_cmpx_ne_u32_e32 0x7f, v44
	s_cbranch_execz .LBB311_3783
; %bb.3780:                             ;   in Loop: Header=BB311_2079 Depth=1
	v_and_b32_e32 v40, 7, v2
	v_lshrrev_b32_e32 v43, 3, v44
	s_mov_b32 s23, exec_lo
	v_cmpx_gt_u32_e32 8, v44
; %bb.3781:                             ;   in Loop: Header=BB311_2079 Depth=1
	s_delay_alu instid0(VALU_DEP_3) | instskip(NEXT) | instid1(VALU_DEP_1)
	v_clz_i32_u32_e32 v40, v40
	v_min_u32_e32 v40, 32, v40
	s_delay_alu instid0(VALU_DEP_1) | instskip(NEXT) | instid1(VALU_DEP_1)
	v_subrev_nc_u32_e32 v43, 28, v40
	v_lshlrev_b64_e32 v[44:45], v43, v[2:3]
	v_sub_nc_u32_e32 v43, 29, v40
	s_delay_alu instid0(VALU_DEP_2)
	v_and_b32_e32 v40, 7, v44
; %bb.3782:                             ;   in Loop: Header=BB311_2079 Depth=1
	s_wait_alu 0xfffe
	s_or_b32 exec_lo, exec_lo, s23
	v_lshlrev_b32_e32 v2, 8, v2
	v_lshl_add_u32 v43, v43, 10, 0x2000
	v_lshlrev_b32_e32 v40, 7, v40
	s_delay_alu instid0(VALU_DEP_3) | instskip(NEXT) | instid1(VALU_DEP_3)
	v_and_b32_e32 v2, 0x8000, v2
	v_and_b32_e32 v43, 0xfc00, v43
	s_delay_alu instid0(VALU_DEP_1)
	v_or3_b32 v40, v2, v43, v40
.LBB311_3783:                           ;   in Loop: Header=BB311_2079 Depth=1
	s_wait_alu 0xfffe
	s_or_b32 exec_lo, exec_lo, s22
.LBB311_3784:                           ;   in Loop: Header=BB311_2079 Depth=1
	s_wait_alu 0xfffe
	s_or_b32 exec_lo, exec_lo, s21
.LBB311_3785:                           ;   in Loop: Header=BB311_2079 Depth=1
	s_wait_alu 0xfffe
	s_or_b32 exec_lo, exec_lo, s20
	v_cmp_lt_u64_e64 s8, s[16:17], v[12:13]
	v_mov_b32_e32 v12, 0
	s_and_saveexec_b32 s20, s8
	s_cbranch_execz .LBB311_3793
; %bb.3786:                             ;   in Loop: Header=BB311_2079 Depth=1
	v_lshrrev_b32_e32 v2, 24, v13
	v_bfrev_b32_e32 v12, 1
	s_mov_b32 s21, exec_lo
	s_delay_alu instid0(VALU_DEP_2)
	v_cmpx_ne_u32_e32 0x80, v2
	s_cbranch_execz .LBB311_3792
; %bb.3787:                             ;   in Loop: Header=BB311_2079 Depth=1
	v_and_b32_e32 v43, 0x7f, v2
	v_mov_b32_e32 v12, 0x7c010000
	s_mov_b32 s22, exec_lo
	s_delay_alu instid0(VALU_DEP_2)
	v_cmpx_ne_u32_e32 0x7f, v43
	s_cbranch_execz .LBB311_3791
; %bb.3788:                             ;   in Loop: Header=BB311_2079 Depth=1
	v_and_b32_e32 v12, 7, v2
	v_lshrrev_b32_e32 v13, 3, v43
	s_mov_b32 s23, exec_lo
	v_cmpx_gt_u32_e32 8, v43
; %bb.3789:                             ;   in Loop: Header=BB311_2079 Depth=1
	s_delay_alu instid0(VALU_DEP_3) | instskip(NEXT) | instid1(VALU_DEP_1)
	v_clz_i32_u32_e32 v12, v12
	v_min_u32_e32 v43, 32, v12
	s_delay_alu instid0(VALU_DEP_1) | instskip(NEXT) | instid1(VALU_DEP_1)
	v_subrev_nc_u32_e32 v12, 28, v43
	v_lshlrev_b64_e32 v[12:13], v12, v[2:3]
	v_sub_nc_u32_e32 v13, 29, v43
	s_delay_alu instid0(VALU_DEP_2)
	v_and_b32_e32 v12, 7, v12
; %bb.3790:                             ;   in Loop: Header=BB311_2079 Depth=1
	s_wait_alu 0xfffe
	s_or_b32 exec_lo, exec_lo, s23
	v_lshlrev_b32_e32 v2, 8, v2
	v_lshl_add_u32 v13, v13, 10, 0x2000
	v_lshlrev_b32_e32 v12, 23, v12
	s_delay_alu instid0(VALU_DEP_2) | instskip(NEXT) | instid1(VALU_DEP_1)
	v_and_or_b32 v2, 0x8000, v2, v13
	v_lshl_or_b32 v12, v2, 16, v12
.LBB311_3791:                           ;   in Loop: Header=BB311_2079 Depth=1
	s_wait_alu 0xfffe
	s_or_b32 exec_lo, exec_lo, s22
.LBB311_3792:                           ;   in Loop: Header=BB311_2079 Depth=1
	s_wait_alu 0xfffe
	s_or_b32 exec_lo, exec_lo, s21
.LBB311_3793:                           ;   in Loop: Header=BB311_2079 Depth=1
	s_wait_alu 0xfffe
	s_or_b32 exec_lo, exec_lo, s20
	v_or_b32_e32 v2, v182, v183
	s_wait_loadcnt_dscnt 0x0
	v_fma_mixlo_f16 v13, v179, v182, 0 op_sel:[0,1,0] op_sel_hi:[0,1,0]
	v_or_b32_e32 v181, v180, v181
	v_or_b32_e32 v182, v42, v41
	;; [unrolled: 1-line block ×3, first 2 shown]
	v_fma_mixlo_f16 v183, v179, v2, 0 op_sel_hi:[0,1,0]
	v_fma_mixlo_f16 v180, v179, v180, 0 op_sel:[0,1,0] op_sel_hi:[0,1,0]
	v_lshlrev_b32_e32 v2, 16, v13
	v_fma_mixlo_f16 v181, v179, v181, 0 op_sel_hi:[0,1,0]
	v_fma_mixlo_f16 v182, v179, v182, 0 op_sel_hi:[0,1,0]
	v_and_b32_e32 v13, 0xffff, v183
	v_fma_mixlo_f16 v183, v179, v42, 0 op_sel:[0,1,0] op_sel_hi:[0,1,0]
	v_fma_mixlo_f16 v12, v179, v12, 0 op_sel:[0,1,0] op_sel_hi:[0,1,0]
	v_fma_mixlo_f16 v179, v179, v40, 0 op_sel_hi:[0,1,0]
	v_lshlrev_b32_e32 v180, 16, v180
	v_and_b32_e32 v43, 0xffff, v181
	v_lshlrev_b32_e32 v40, 16, v183
	v_and_b32_e32 v42, 0xffff, v182
	;; [unrolled: 2-line block ×3, first 2 shown]
	v_or_b32_e32 v12, v2, v13
	v_or_b32_e32 v182, v180, v43
	;; [unrolled: 1-line block ×3, first 2 shown]
	s_delay_alu instid0(VALU_DEP_4)
	v_or_b32_e32 v179, v183, v41
	s_and_saveexec_b32 s8, s2
	s_cbranch_execz .LBB311_3795
; %bb.3794:                             ;   in Loop: Header=BB311_2079 Depth=1
	s_wait_alu 0xfffd
	v_cndmask_b32_e32 v12, 0, v43, vcc_lo
	v_cndmask_b32_e64 v179, 0, v180, s1
	v_cndmask_b32_e64 v13, 0, v13, s0
	;; [unrolled: 1-line block ×7, first 2 shown]
	v_or_b32_e32 v182, v12, v179
	v_or_b32_e32 v12, v13, v2
	;; [unrolled: 1-line block ×3, first 2 shown]
	s_delay_alu instid0(VALU_DEP_4)
	v_or_b32_e32 v179, v40, v183
.LBB311_3795:                           ;   in Loop: Header=BB311_2079 Depth=1
	s_wait_alu 0xfffe
	s_or_b32 exec_lo, exec_lo, s8
	;;#ASMSTART
	v_pk_mul_f16 v2, v98, v182;

	;;#ASMEND
	;;#ASMSTART
	v_pk_mul_f16 v12, v96, v12;

	;;#ASMEND
	;; [unrolled: 4-line block ×4, first 2 shown]
	;;#ASMSTART
	v_pk_add_f16 v2, v2, v12;

	;;#ASMEND
	;;#ASMSTART
	v_pk_add_f16 v2, v2, v13;

	;;#ASMEND
	;; [unrolled: 4-line block ×3, first 2 shown]
	v_dual_mov_b32 v183, 0 :: v_dual_and_b32 v12, 0xffff, v2
	v_lshrrev_b32_e32 v2, 16, v2
	;;#ASMSTART
	v_cvt_f32_f16 v179, v12;
	;;#ASMEND
	;;#ASMSTART
	v_cvt_f32_f16 v180, v2;
	;;#ASMEND
	flat_load_b64 v[12:13], v[10:11] offset:6656
	flat_load_b32 v181, v[26:27]
	v_mov_b32_e32 v182, 0
	s_mov_b32 s20, exec_lo
	s_wait_loadcnt_dscnt 0x101
	v_and_b32_e32 v2, 0xff, v12
	s_delay_alu instid0(VALU_DEP_1)
	v_cmpx_ne_u16_e32 0, v2
	s_cbranch_execz .LBB311_3803
; %bb.3796:                             ;   in Loop: Header=BB311_2079 Depth=1
	v_mov_b32_e32 v183, 0x8000
	s_mov_b32 s21, exec_lo
	v_cmpx_ne_u16_e32 0x80, v2
	s_cbranch_execz .LBB311_3802
; %bb.3797:                             ;   in Loop: Header=BB311_2079 Depth=1
	v_and_b32_e32 v40, 0x7f, v12
	v_mov_b32_e32 v183, 0x7c01
	s_mov_b32 s22, exec_lo
	s_delay_alu instid0(VALU_DEP_2)
	v_cmpx_ne_u32_e32 0x7f, v40
	s_cbranch_execz .LBB311_3801
; %bb.3798:                             ;   in Loop: Header=BB311_2079 Depth=1
	v_and_b32_e32 v2, 7, v12
	v_lshrrev_b32_e32 v183, 3, v40
	s_mov_b32 s23, exec_lo
	v_cmpx_gt_u32_e32 8, v40
; %bb.3799:                             ;   in Loop: Header=BB311_2079 Depth=1
	s_delay_alu instid0(VALU_DEP_3) | instskip(NEXT) | instid1(VALU_DEP_1)
	v_clz_i32_u32_e32 v2, v2
	v_min_u32_e32 v2, 32, v2
	s_delay_alu instid0(VALU_DEP_1) | instskip(NEXT) | instid1(VALU_DEP_1)
	v_subrev_nc_u32_e32 v183, 28, v2
	v_lshlrev_b64_e32 v[40:41], v183, v[12:13]
	v_sub_nc_u32_e32 v183, 29, v2
	s_delay_alu instid0(VALU_DEP_2)
	v_and_b32_e32 v2, 7, v40
; %bb.3800:                             ;   in Loop: Header=BB311_2079 Depth=1
	s_wait_alu 0xfffe
	s_or_b32 exec_lo, exec_lo, s23
	v_lshlrev_b32_e32 v40, 8, v12
	v_lshl_add_u32 v183, v183, 10, 0x2000
	v_lshlrev_b32_e32 v2, 7, v2
	s_delay_alu instid0(VALU_DEP_3) | instskip(NEXT) | instid1(VALU_DEP_3)
	v_and_b32_e32 v40, 0x8000, v40
	v_and_b32_e32 v183, 0xfc00, v183
	s_delay_alu instid0(VALU_DEP_1)
	v_or3_b32 v183, v40, v183, v2
.LBB311_3801:                           ;   in Loop: Header=BB311_2079 Depth=1
	s_wait_alu 0xfffe
	s_or_b32 exec_lo, exec_lo, s22
.LBB311_3802:                           ;   in Loop: Header=BB311_2079 Depth=1
	s_wait_alu 0xfffe
	s_or_b32 exec_lo, exec_lo, s21
.LBB311_3803:                           ;   in Loop: Header=BB311_2079 Depth=1
	s_wait_alu 0xfffe
	s_or_b32 exec_lo, exec_lo, s20
	v_lshrrev_b16 v2, 8, v12
	s_mov_b32 s20, exec_lo
	s_delay_alu instid0(VALU_DEP_1)
	v_cmpx_ne_u16_e32 0, v2
	s_cbranch_execz .LBB311_3811
; %bb.3804:                             ;   in Loop: Header=BB311_2079 Depth=1
	v_bfrev_b32_e32 v182, 1
	s_mov_b32 s21, exec_lo
	v_cmpx_ne_u16_e32 0x80, v2
	s_cbranch_execz .LBB311_3810
; %bb.3805:                             ;   in Loop: Header=BB311_2079 Depth=1
	v_and_b32_e32 v40, 0xffff, v2
	v_mov_b32_e32 v182, 0x7c010000
	s_mov_b32 s22, exec_lo
	s_delay_alu instid0(VALU_DEP_2) | instskip(NEXT) | instid1(VALU_DEP_1)
	v_and_b32_e32 v42, 0x7f, v40
	v_cmpx_ne_u32_e32 0x7f, v42
	s_cbranch_execz .LBB311_3809
; %bb.3806:                             ;   in Loop: Header=BB311_2079 Depth=1
	v_and_b32_e32 v182, 7, v40
	v_lshrrev_b32_e32 v41, 3, v42
	s_mov_b32 s23, exec_lo
	v_cmpx_gt_u32_e32 8, v42
; %bb.3807:                             ;   in Loop: Header=BB311_2079 Depth=1
	s_delay_alu instid0(VALU_DEP_3) | instskip(NEXT) | instid1(VALU_DEP_1)
	v_clz_i32_u32_e32 v182, v182
	v_min_u32_e32 v182, 32, v182
	s_delay_alu instid0(VALU_DEP_1) | instskip(NEXT) | instid1(VALU_DEP_1)
	v_subrev_nc_u32_e32 v41, 28, v182
	v_lshlrev_b64_e32 v[42:43], v41, v[2:3]
	v_sub_nc_u32_e32 v41, 29, v182
	s_delay_alu instid0(VALU_DEP_2)
	v_and_b32_e32 v182, 7, v42
; %bb.3808:                             ;   in Loop: Header=BB311_2079 Depth=1
	s_wait_alu 0xfffe
	s_or_b32 exec_lo, exec_lo, s23
	v_lshlrev_b32_e32 v2, 8, v40
	v_lshl_add_u32 v40, v41, 10, 0x2000
	v_lshlrev_b32_e32 v182, 23, v182
	s_delay_alu instid0(VALU_DEP_2) | instskip(NEXT) | instid1(VALU_DEP_1)
	v_and_or_b32 v2, 0x8000, v2, v40
	v_lshl_or_b32 v182, v2, 16, v182
.LBB311_3809:                           ;   in Loop: Header=BB311_2079 Depth=1
	s_wait_alu 0xfffe
	s_or_b32 exec_lo, exec_lo, s22
.LBB311_3810:                           ;   in Loop: Header=BB311_2079 Depth=1
	s_wait_alu 0xfffe
	s_or_b32 exec_lo, exec_lo, s21
.LBB311_3811:                           ;   in Loop: Header=BB311_2079 Depth=1
	s_wait_alu 0xfffe
	s_or_b32 exec_lo, exec_lo, s20
	v_lshrrev_b32_e32 v2, 16, v12
	v_mov_b32_e32 v40, 0
	s_mov_b32 s20, exec_lo
	s_delay_alu instid0(VALU_DEP_2) | instskip(NEXT) | instid1(VALU_DEP_1)
	v_dual_mov_b32 v41, 0 :: v_dual_and_b32 v42, 0xff, v2
	v_cmpx_ne_u16_e32 0, v42
	s_cbranch_execz .LBB311_3819
; %bb.3812:                             ;   in Loop: Header=BB311_2079 Depth=1
	v_mov_b32_e32 v41, 0x8000
	s_mov_b32 s21, exec_lo
	v_cmpx_ne_u16_e32 0x80, v42
	s_cbranch_execz .LBB311_3818
; %bb.3813:                             ;   in Loop: Header=BB311_2079 Depth=1
	v_bfe_u32 v43, v12, 16, 7
	v_mov_b32_e32 v41, 0x7c01
	s_mov_b32 s22, exec_lo
	s_delay_alu instid0(VALU_DEP_2)
	v_cmpx_ne_u32_e32 0x7f, v43
	s_cbranch_execz .LBB311_3817
; %bb.3814:                             ;   in Loop: Header=BB311_2079 Depth=1
	v_and_b32_e32 v41, 7, v2
	v_lshrrev_b32_e32 v42, 3, v43
	s_mov_b32 s23, exec_lo
	v_cmpx_gt_u32_e32 8, v43
; %bb.3815:                             ;   in Loop: Header=BB311_2079 Depth=1
	s_delay_alu instid0(VALU_DEP_3) | instskip(NEXT) | instid1(VALU_DEP_1)
	v_clz_i32_u32_e32 v41, v41
	v_min_u32_e32 v43, 32, v41
	s_delay_alu instid0(VALU_DEP_1) | instskip(NEXT) | instid1(VALU_DEP_1)
	v_subrev_nc_u32_e32 v41, 28, v43
	v_lshlrev_b64_e32 v[41:42], v41, v[2:3]
	v_sub_nc_u32_e32 v42, 29, v43
	s_delay_alu instid0(VALU_DEP_2)
	v_and_b32_e32 v41, 7, v41
; %bb.3816:                             ;   in Loop: Header=BB311_2079 Depth=1
	s_wait_alu 0xfffe
	s_or_b32 exec_lo, exec_lo, s23
	v_lshlrev_b32_e32 v2, 8, v2
	v_lshl_add_u32 v42, v42, 10, 0x2000
	v_lshlrev_b32_e32 v41, 7, v41
	s_delay_alu instid0(VALU_DEP_3) | instskip(NEXT) | instid1(VALU_DEP_3)
	v_and_b32_e32 v2, 0x8000, v2
	v_and_b32_e32 v42, 0xfc00, v42
	s_delay_alu instid0(VALU_DEP_1)
	v_or3_b32 v41, v2, v42, v41
.LBB311_3817:                           ;   in Loop: Header=BB311_2079 Depth=1
	s_wait_alu 0xfffe
	s_or_b32 exec_lo, exec_lo, s22
.LBB311_3818:                           ;   in Loop: Header=BB311_2079 Depth=1
	s_wait_alu 0xfffe
	s_or_b32 exec_lo, exec_lo, s21
.LBB311_3819:                           ;   in Loop: Header=BB311_2079 Depth=1
	s_wait_alu 0xfffe
	s_or_b32 exec_lo, exec_lo, s20
	s_delay_alu instid0(SALU_CYCLE_1)
	s_mov_b32 s20, exec_lo
	v_cmpx_lt_u32_e32 0xffffff, v12
	s_cbranch_execz .LBB311_3827
; %bb.3820:                             ;   in Loop: Header=BB311_2079 Depth=1
	v_lshrrev_b32_e32 v2, 24, v12
	v_bfrev_b32_e32 v40, 1
	s_mov_b32 s21, exec_lo
	s_delay_alu instid0(VALU_DEP_2)
	v_cmpx_ne_u32_e32 0x80, v2
	s_cbranch_execz .LBB311_3826
; %bb.3821:                             ;   in Loop: Header=BB311_2079 Depth=1
	v_and_b32_e32 v43, 0x7f, v2
	v_mov_b32_e32 v40, 0x7c010000
	s_mov_b32 s22, exec_lo
	s_delay_alu instid0(VALU_DEP_2)
	v_cmpx_ne_u32_e32 0x7f, v43
	s_cbranch_execz .LBB311_3825
; %bb.3822:                             ;   in Loop: Header=BB311_2079 Depth=1
	v_and_b32_e32 v40, 7, v2
	v_lshrrev_b32_e32 v42, 3, v43
	s_mov_b32 s23, exec_lo
	v_cmpx_gt_u32_e32 8, v43
; %bb.3823:                             ;   in Loop: Header=BB311_2079 Depth=1
	s_delay_alu instid0(VALU_DEP_3) | instskip(NEXT) | instid1(VALU_DEP_1)
	v_clz_i32_u32_e32 v40, v40
	v_min_u32_e32 v40, 32, v40
	s_delay_alu instid0(VALU_DEP_1) | instskip(NEXT) | instid1(VALU_DEP_1)
	v_subrev_nc_u32_e32 v42, 28, v40
	v_lshlrev_b64_e32 v[43:44], v42, v[2:3]
	v_sub_nc_u32_e32 v42, 29, v40
	s_delay_alu instid0(VALU_DEP_2)
	v_and_b32_e32 v40, 7, v43
; %bb.3824:                             ;   in Loop: Header=BB311_2079 Depth=1
	s_wait_alu 0xfffe
	s_or_b32 exec_lo, exec_lo, s23
	v_lshlrev_b32_e32 v2, 8, v2
	v_lshl_add_u32 v42, v42, 10, 0x2000
	v_lshlrev_b32_e32 v40, 23, v40
	s_delay_alu instid0(VALU_DEP_2) | instskip(NEXT) | instid1(VALU_DEP_1)
	v_and_or_b32 v2, 0x8000, v2, v42
	v_lshl_or_b32 v40, v2, 16, v40
.LBB311_3825:                           ;   in Loop: Header=BB311_2079 Depth=1
	s_wait_alu 0xfffe
	s_or_b32 exec_lo, exec_lo, s22
.LBB311_3826:                           ;   in Loop: Header=BB311_2079 Depth=1
	s_wait_alu 0xfffe
	s_or_b32 exec_lo, exec_lo, s21
.LBB311_3827:                           ;   in Loop: Header=BB311_2079 Depth=1
	s_wait_alu 0xfffe
	s_or_b32 exec_lo, exec_lo, s20
	v_dual_mov_b32 v43, 0 :: v_dual_and_b32 v44, 0xff, v13
	v_mov_b32_e32 v2, v13
	v_mov_b32_e32 v42, 0
	s_mov_b32 s20, exec_lo
	s_delay_alu instid0(VALU_DEP_3)
	v_cmpx_ne_u16_e32 0, v44
	s_cbranch_execz .LBB311_3835
; %bb.3828:                             ;   in Loop: Header=BB311_2079 Depth=1
	v_mov_b32_e32 v43, 0x8000
	s_mov_b32 s21, exec_lo
	v_cmpx_ne_u16_e32 0x80, v44
	s_cbranch_execz .LBB311_3834
; %bb.3829:                             ;   in Loop: Header=BB311_2079 Depth=1
	v_and_b32_e32 v45, 0x7f, v13
	v_mov_b32_e32 v43, 0x7c01
	s_mov_b32 s22, exec_lo
	s_delay_alu instid0(VALU_DEP_2)
	v_cmpx_ne_u32_e32 0x7f, v45
	s_cbranch_execz .LBB311_3833
; %bb.3830:                             ;   in Loop: Header=BB311_2079 Depth=1
	v_and_b32_e32 v43, 7, v13
	v_lshrrev_b32_e32 v44, 3, v45
	s_mov_b32 s23, exec_lo
	v_cmpx_gt_u32_e32 8, v45
; %bb.3831:                             ;   in Loop: Header=BB311_2079 Depth=1
	s_delay_alu instid0(VALU_DEP_3) | instskip(NEXT) | instid1(VALU_DEP_1)
	v_clz_i32_u32_e32 v43, v43
	v_min_u32_e32 v45, 32, v43
	s_delay_alu instid0(VALU_DEP_1) | instskip(NEXT) | instid1(VALU_DEP_1)
	v_subrev_nc_u32_e32 v43, 28, v45
	v_lshlrev_b64_e32 v[43:44], v43, v[2:3]
	v_sub_nc_u32_e32 v44, 29, v45
	s_delay_alu instid0(VALU_DEP_2)
	v_and_b32_e32 v43, 7, v43
; %bb.3832:                             ;   in Loop: Header=BB311_2079 Depth=1
	s_wait_alu 0xfffe
	s_or_b32 exec_lo, exec_lo, s23
	v_lshlrev_b32_e32 v45, 8, v13
	v_lshl_add_u32 v44, v44, 10, 0x2000
	v_lshlrev_b32_e32 v43, 7, v43
	s_delay_alu instid0(VALU_DEP_3) | instskip(NEXT) | instid1(VALU_DEP_3)
	v_and_b32_e32 v45, 0x8000, v45
	v_and_b32_e32 v44, 0xfc00, v44
	s_delay_alu instid0(VALU_DEP_1)
	v_or3_b32 v43, v45, v44, v43
.LBB311_3833:                           ;   in Loop: Header=BB311_2079 Depth=1
	s_wait_alu 0xfffe
	s_or_b32 exec_lo, exec_lo, s22
.LBB311_3834:                           ;   in Loop: Header=BB311_2079 Depth=1
	s_wait_alu 0xfffe
	s_or_b32 exec_lo, exec_lo, s21
.LBB311_3835:                           ;   in Loop: Header=BB311_2079 Depth=1
	s_wait_alu 0xfffe
	s_or_b32 exec_lo, exec_lo, s20
	v_lshrrev_b16 v2, 8, v2
	v_mov_b32_e32 v44, 0
	s_mov_b32 s20, exec_lo
	s_delay_alu instid0(VALU_DEP_2)
	v_cmpx_ne_u16_e32 0, v2
	s_cbranch_execz .LBB311_3843
; %bb.3836:                             ;   in Loop: Header=BB311_2079 Depth=1
	v_bfrev_b32_e32 v44, 1
	s_mov_b32 s21, exec_lo
	v_cmpx_ne_u16_e32 0x80, v2
	s_cbranch_execz .LBB311_3842
; %bb.3837:                             ;   in Loop: Header=BB311_2079 Depth=1
	v_and_b32_e32 v45, 0xffff, v2
	v_mov_b32_e32 v44, 0x7c010000
	s_mov_b32 s22, exec_lo
	s_delay_alu instid0(VALU_DEP_2) | instskip(NEXT) | instid1(VALU_DEP_1)
	v_and_b32_e32 v47, 0x7f, v45
	v_cmpx_ne_u32_e32 0x7f, v47
	s_cbranch_execz .LBB311_3841
; %bb.3838:                             ;   in Loop: Header=BB311_2079 Depth=1
	v_and_b32_e32 v44, 7, v45
	v_lshrrev_b32_e32 v46, 3, v47
	s_mov_b32 s23, exec_lo
	v_cmpx_gt_u32_e32 8, v47
; %bb.3839:                             ;   in Loop: Header=BB311_2079 Depth=1
	s_delay_alu instid0(VALU_DEP_3) | instskip(NEXT) | instid1(VALU_DEP_1)
	v_clz_i32_u32_e32 v44, v44
	v_min_u32_e32 v44, 32, v44
	s_delay_alu instid0(VALU_DEP_1) | instskip(NEXT) | instid1(VALU_DEP_1)
	v_subrev_nc_u32_e32 v46, 28, v44
	v_lshlrev_b64_e32 v[56:57], v46, v[2:3]
	v_sub_nc_u32_e32 v46, 29, v44
	s_delay_alu instid0(VALU_DEP_2)
	v_and_b32_e32 v44, 7, v56
; %bb.3840:                             ;   in Loop: Header=BB311_2079 Depth=1
	s_wait_alu 0xfffe
	s_or_b32 exec_lo, exec_lo, s23
	v_lshlrev_b32_e32 v2, 8, v45
	v_lshl_add_u32 v45, v46, 10, 0x2000
	v_lshlrev_b32_e32 v44, 23, v44
	s_delay_alu instid0(VALU_DEP_2) | instskip(NEXT) | instid1(VALU_DEP_1)
	v_and_or_b32 v2, 0x8000, v2, v45
	v_lshl_or_b32 v44, v2, 16, v44
.LBB311_3841:                           ;   in Loop: Header=BB311_2079 Depth=1
	s_wait_alu 0xfffe
	s_or_b32 exec_lo, exec_lo, s22
.LBB311_3842:                           ;   in Loop: Header=BB311_2079 Depth=1
	s_wait_alu 0xfffe
	s_or_b32 exec_lo, exec_lo, s21
.LBB311_3843:                           ;   in Loop: Header=BB311_2079 Depth=1
	s_wait_alu 0xfffe
	s_or_b32 exec_lo, exec_lo, s20
	v_lshrrev_b32_e32 v2, 16, v13
	s_mov_b32 s20, exec_lo
	s_delay_alu instid0(VALU_DEP_1) | instskip(NEXT) | instid1(VALU_DEP_1)
	v_and_b32_e32 v45, 0xff, v2
	v_cmpx_ne_u16_e32 0, v45
	s_cbranch_execz .LBB311_3851
; %bb.3844:                             ;   in Loop: Header=BB311_2079 Depth=1
	v_mov_b32_e32 v42, 0x8000
	s_mov_b32 s21, exec_lo
	v_cmpx_ne_u16_e32 0x80, v45
	s_cbranch_execz .LBB311_3850
; %bb.3845:                             ;   in Loop: Header=BB311_2079 Depth=1
	v_bfe_u32 v46, v13, 16, 7
	v_mov_b32_e32 v42, 0x7c01
	s_mov_b32 s22, exec_lo
	s_delay_alu instid0(VALU_DEP_2)
	v_cmpx_ne_u32_e32 0x7f, v46
	s_cbranch_execz .LBB311_3849
; %bb.3846:                             ;   in Loop: Header=BB311_2079 Depth=1
	v_and_b32_e32 v42, 7, v2
	v_lshrrev_b32_e32 v45, 3, v46
	s_mov_b32 s23, exec_lo
	v_cmpx_gt_u32_e32 8, v46
; %bb.3847:                             ;   in Loop: Header=BB311_2079 Depth=1
	s_delay_alu instid0(VALU_DEP_3) | instskip(NEXT) | instid1(VALU_DEP_1)
	v_clz_i32_u32_e32 v42, v42
	v_min_u32_e32 v42, 32, v42
	s_delay_alu instid0(VALU_DEP_1) | instskip(NEXT) | instid1(VALU_DEP_1)
	v_subrev_nc_u32_e32 v45, 28, v42
	v_lshlrev_b64_e32 v[46:47], v45, v[2:3]
	v_sub_nc_u32_e32 v45, 29, v42
	s_delay_alu instid0(VALU_DEP_2)
	v_and_b32_e32 v42, 7, v46
; %bb.3848:                             ;   in Loop: Header=BB311_2079 Depth=1
	s_wait_alu 0xfffe
	s_or_b32 exec_lo, exec_lo, s23
	v_lshlrev_b32_e32 v2, 8, v2
	v_lshl_add_u32 v45, v45, 10, 0x2000
	v_lshlrev_b32_e32 v42, 7, v42
	s_delay_alu instid0(VALU_DEP_3) | instskip(NEXT) | instid1(VALU_DEP_3)
	v_and_b32_e32 v2, 0x8000, v2
	v_and_b32_e32 v45, 0xfc00, v45
	s_delay_alu instid0(VALU_DEP_1)
	v_or3_b32 v42, v2, v45, v42
.LBB311_3849:                           ;   in Loop: Header=BB311_2079 Depth=1
	s_wait_alu 0xfffe
	s_or_b32 exec_lo, exec_lo, s22
.LBB311_3850:                           ;   in Loop: Header=BB311_2079 Depth=1
	s_wait_alu 0xfffe
	s_or_b32 exec_lo, exec_lo, s21
.LBB311_3851:                           ;   in Loop: Header=BB311_2079 Depth=1
	s_wait_alu 0xfffe
	s_or_b32 exec_lo, exec_lo, s20
	v_cmp_lt_u64_e64 s8, s[16:17], v[12:13]
	v_mov_b32_e32 v12, 0
	s_and_saveexec_b32 s20, s8
	s_cbranch_execz .LBB311_3859
; %bb.3852:                             ;   in Loop: Header=BB311_2079 Depth=1
	v_lshrrev_b32_e32 v2, 24, v13
	v_bfrev_b32_e32 v12, 1
	s_mov_b32 s21, exec_lo
	s_delay_alu instid0(VALU_DEP_2)
	v_cmpx_ne_u32_e32 0x80, v2
	s_cbranch_execz .LBB311_3858
; %bb.3853:                             ;   in Loop: Header=BB311_2079 Depth=1
	v_and_b32_e32 v45, 0x7f, v2
	v_mov_b32_e32 v12, 0x7c010000
	s_mov_b32 s22, exec_lo
	s_delay_alu instid0(VALU_DEP_2)
	v_cmpx_ne_u32_e32 0x7f, v45
	s_cbranch_execz .LBB311_3857
; %bb.3854:                             ;   in Loop: Header=BB311_2079 Depth=1
	v_and_b32_e32 v12, 7, v2
	v_lshrrev_b32_e32 v13, 3, v45
	s_mov_b32 s23, exec_lo
	v_cmpx_gt_u32_e32 8, v45
; %bb.3855:                             ;   in Loop: Header=BB311_2079 Depth=1
	s_delay_alu instid0(VALU_DEP_3) | instskip(NEXT) | instid1(VALU_DEP_1)
	v_clz_i32_u32_e32 v12, v12
	v_min_u32_e32 v45, 32, v12
	s_delay_alu instid0(VALU_DEP_1) | instskip(NEXT) | instid1(VALU_DEP_1)
	v_subrev_nc_u32_e32 v12, 28, v45
	v_lshlrev_b64_e32 v[12:13], v12, v[2:3]
	v_sub_nc_u32_e32 v13, 29, v45
	s_delay_alu instid0(VALU_DEP_2)
	v_and_b32_e32 v12, 7, v12
; %bb.3856:                             ;   in Loop: Header=BB311_2079 Depth=1
	s_wait_alu 0xfffe
	s_or_b32 exec_lo, exec_lo, s23
	v_lshlrev_b32_e32 v2, 8, v2
	v_lshl_add_u32 v13, v13, 10, 0x2000
	v_lshlrev_b32_e32 v12, 23, v12
	s_delay_alu instid0(VALU_DEP_2) | instskip(NEXT) | instid1(VALU_DEP_1)
	v_and_or_b32 v2, 0x8000, v2, v13
	v_lshl_or_b32 v12, v2, 16, v12
.LBB311_3857:                           ;   in Loop: Header=BB311_2079 Depth=1
	s_wait_alu 0xfffe
	s_or_b32 exec_lo, exec_lo, s22
.LBB311_3858:                           ;   in Loop: Header=BB311_2079 Depth=1
	s_wait_alu 0xfffe
	s_or_b32 exec_lo, exec_lo, s21
.LBB311_3859:                           ;   in Loop: Header=BB311_2079 Depth=1
	s_wait_alu 0xfffe
	s_or_b32 exec_lo, exec_lo, s20
	v_or_b32_e32 v2, v40, v41
	s_wait_loadcnt_dscnt 0x0
	v_fma_mixlo_f16 v13, v181, v40, 0 op_sel:[0,1,0] op_sel_hi:[0,1,0]
	v_or_b32_e32 v183, v182, v183
	v_or_b32_e32 v40, v44, v43
	;; [unrolled: 1-line block ×3, first 2 shown]
	v_fma_mixlo_f16 v41, v181, v2, 0 op_sel_hi:[0,1,0]
	v_fma_mixlo_f16 v182, v181, v182, 0 op_sel:[0,1,0] op_sel_hi:[0,1,0]
	v_lshlrev_b32_e32 v2, 16, v13
	v_fma_mixlo_f16 v183, v181, v183, 0 op_sel_hi:[0,1,0]
	v_fma_mixlo_f16 v40, v181, v40, 0 op_sel_hi:[0,1,0]
	v_and_b32_e32 v13, 0xffff, v41
	v_fma_mixlo_f16 v41, v181, v44, 0 op_sel:[0,1,0] op_sel_hi:[0,1,0]
	v_fma_mixlo_f16 v12, v181, v12, 0 op_sel:[0,1,0] op_sel_hi:[0,1,0]
	v_fma_mixlo_f16 v181, v181, v42, 0 op_sel_hi:[0,1,0]
	v_lshlrev_b32_e32 v182, 16, v182
	v_and_b32_e32 v45, 0xffff, v183
	v_lshlrev_b32_e32 v42, 16, v41
	v_and_b32_e32 v44, 0xffff, v40
	;; [unrolled: 2-line block ×3, first 2 shown]
	v_or_b32_e32 v12, v2, v13
	v_or_b32_e32 v40, v182, v45
	;; [unrolled: 1-line block ×3, first 2 shown]
	s_delay_alu instid0(VALU_DEP_4)
	v_or_b32_e32 v181, v41, v43
	s_and_saveexec_b32 s8, s2
	s_cbranch_execz .LBB311_3861
; %bb.3860:                             ;   in Loop: Header=BB311_2079 Depth=1
	s_wait_alu 0xfffd
	v_cndmask_b32_e32 v12, 0, v45, vcc_lo
	v_cndmask_b32_e64 v181, 0, v182, s1
	v_cndmask_b32_e64 v13, 0, v13, s0
	;; [unrolled: 1-line block ×7, first 2 shown]
	v_or_b32_e32 v40, v12, v181
	v_or_b32_e32 v12, v13, v2
	;; [unrolled: 1-line block ×3, first 2 shown]
	s_delay_alu instid0(VALU_DEP_4)
	v_or_b32_e32 v181, v42, v41
.LBB311_3861:                           ;   in Loop: Header=BB311_2079 Depth=1
	s_wait_alu 0xfffe
	s_or_b32 exec_lo, exec_lo, s8
	;;#ASMSTART
	v_pk_mul_f16 v2, v98, v40;

	;;#ASMEND
	;;#ASMSTART
	v_pk_mul_f16 v12, v96, v12;

	;;#ASMEND
	;; [unrolled: 4-line block ×4, first 2 shown]
	;;#ASMSTART
	v_pk_add_f16 v2, v2, v12;

	;;#ASMEND
	;;#ASMSTART
	v_pk_add_f16 v2, v2, v13;

	;;#ASMEND
	;; [unrolled: 4-line block ×3, first 2 shown]
	v_dual_mov_b32 v41, 0 :: v_dual_and_b32 v12, 0xffff, v2
	v_lshrrev_b32_e32 v2, 16, v2
	;;#ASMSTART
	v_cvt_f32_f16 v181, v12;
	;;#ASMEND
	;;#ASMSTART
	v_cvt_f32_f16 v182, v2;
	;;#ASMEND
	flat_load_b64 v[12:13], v[10:11] offset:6912
	flat_load_b32 v183, v[26:27]
	v_mov_b32_e32 v40, 0
	s_mov_b32 s20, exec_lo
	s_wait_loadcnt_dscnt 0x101
	v_and_b32_e32 v2, 0xff, v12
	s_delay_alu instid0(VALU_DEP_1)
	v_cmpx_ne_u16_e32 0, v2
	s_cbranch_execz .LBB311_3869
; %bb.3862:                             ;   in Loop: Header=BB311_2079 Depth=1
	v_mov_b32_e32 v41, 0x8000
	s_mov_b32 s21, exec_lo
	v_cmpx_ne_u16_e32 0x80, v2
	s_cbranch_execz .LBB311_3868
; %bb.3863:                             ;   in Loop: Header=BB311_2079 Depth=1
	v_and_b32_e32 v42, 0x7f, v12
	v_mov_b32_e32 v41, 0x7c01
	s_mov_b32 s22, exec_lo
	s_delay_alu instid0(VALU_DEP_2)
	v_cmpx_ne_u32_e32 0x7f, v42
	s_cbranch_execz .LBB311_3867
; %bb.3864:                             ;   in Loop: Header=BB311_2079 Depth=1
	v_and_b32_e32 v2, 7, v12
	v_lshrrev_b32_e32 v41, 3, v42
	s_mov_b32 s23, exec_lo
	v_cmpx_gt_u32_e32 8, v42
; %bb.3865:                             ;   in Loop: Header=BB311_2079 Depth=1
	s_delay_alu instid0(VALU_DEP_3) | instskip(NEXT) | instid1(VALU_DEP_1)
	v_clz_i32_u32_e32 v2, v2
	v_min_u32_e32 v2, 32, v2
	s_delay_alu instid0(VALU_DEP_1) | instskip(NEXT) | instid1(VALU_DEP_1)
	v_subrev_nc_u32_e32 v41, 28, v2
	v_lshlrev_b64_e32 v[42:43], v41, v[12:13]
	v_sub_nc_u32_e32 v41, 29, v2
	s_delay_alu instid0(VALU_DEP_2)
	v_and_b32_e32 v2, 7, v42
; %bb.3866:                             ;   in Loop: Header=BB311_2079 Depth=1
	s_wait_alu 0xfffe
	s_or_b32 exec_lo, exec_lo, s23
	v_lshlrev_b32_e32 v42, 8, v12
	v_lshl_add_u32 v41, v41, 10, 0x2000
	v_lshlrev_b32_e32 v2, 7, v2
	s_delay_alu instid0(VALU_DEP_3) | instskip(NEXT) | instid1(VALU_DEP_3)
	v_and_b32_e32 v42, 0x8000, v42
	v_and_b32_e32 v41, 0xfc00, v41
	s_delay_alu instid0(VALU_DEP_1)
	v_or3_b32 v41, v42, v41, v2
.LBB311_3867:                           ;   in Loop: Header=BB311_2079 Depth=1
	s_wait_alu 0xfffe
	s_or_b32 exec_lo, exec_lo, s22
.LBB311_3868:                           ;   in Loop: Header=BB311_2079 Depth=1
	s_wait_alu 0xfffe
	s_or_b32 exec_lo, exec_lo, s21
.LBB311_3869:                           ;   in Loop: Header=BB311_2079 Depth=1
	s_wait_alu 0xfffe
	s_or_b32 exec_lo, exec_lo, s20
	v_lshrrev_b16 v2, 8, v12
	s_mov_b32 s20, exec_lo
	s_delay_alu instid0(VALU_DEP_1)
	v_cmpx_ne_u16_e32 0, v2
	s_cbranch_execz .LBB311_3877
; %bb.3870:                             ;   in Loop: Header=BB311_2079 Depth=1
	v_bfrev_b32_e32 v40, 1
	s_mov_b32 s21, exec_lo
	v_cmpx_ne_u16_e32 0x80, v2
	s_cbranch_execz .LBB311_3876
; %bb.3871:                             ;   in Loop: Header=BB311_2079 Depth=1
	v_and_b32_e32 v42, 0xffff, v2
	v_mov_b32_e32 v40, 0x7c010000
	s_mov_b32 s22, exec_lo
	s_delay_alu instid0(VALU_DEP_2) | instskip(NEXT) | instid1(VALU_DEP_1)
	v_and_b32_e32 v44, 0x7f, v42
	v_cmpx_ne_u32_e32 0x7f, v44
	s_cbranch_execz .LBB311_3875
; %bb.3872:                             ;   in Loop: Header=BB311_2079 Depth=1
	v_and_b32_e32 v40, 7, v42
	v_lshrrev_b32_e32 v43, 3, v44
	s_mov_b32 s23, exec_lo
	v_cmpx_gt_u32_e32 8, v44
; %bb.3873:                             ;   in Loop: Header=BB311_2079 Depth=1
	s_delay_alu instid0(VALU_DEP_3) | instskip(NEXT) | instid1(VALU_DEP_1)
	v_clz_i32_u32_e32 v40, v40
	v_min_u32_e32 v40, 32, v40
	s_delay_alu instid0(VALU_DEP_1) | instskip(NEXT) | instid1(VALU_DEP_1)
	v_subrev_nc_u32_e32 v43, 28, v40
	v_lshlrev_b64_e32 v[44:45], v43, v[2:3]
	v_sub_nc_u32_e32 v43, 29, v40
	s_delay_alu instid0(VALU_DEP_2)
	v_and_b32_e32 v40, 7, v44
; %bb.3874:                             ;   in Loop: Header=BB311_2079 Depth=1
	s_wait_alu 0xfffe
	s_or_b32 exec_lo, exec_lo, s23
	v_lshlrev_b32_e32 v2, 8, v42
	v_lshl_add_u32 v42, v43, 10, 0x2000
	v_lshlrev_b32_e32 v40, 23, v40
	s_delay_alu instid0(VALU_DEP_2) | instskip(NEXT) | instid1(VALU_DEP_1)
	v_and_or_b32 v2, 0x8000, v2, v42
	v_lshl_or_b32 v40, v2, 16, v40
.LBB311_3875:                           ;   in Loop: Header=BB311_2079 Depth=1
	s_wait_alu 0xfffe
	s_or_b32 exec_lo, exec_lo, s22
.LBB311_3876:                           ;   in Loop: Header=BB311_2079 Depth=1
	s_wait_alu 0xfffe
	s_or_b32 exec_lo, exec_lo, s21
.LBB311_3877:                           ;   in Loop: Header=BB311_2079 Depth=1
	s_wait_alu 0xfffe
	s_or_b32 exec_lo, exec_lo, s20
	v_lshrrev_b32_e32 v2, 16, v12
	v_mov_b32_e32 v42, 0
	s_mov_b32 s20, exec_lo
	s_delay_alu instid0(VALU_DEP_2) | instskip(NEXT) | instid1(VALU_DEP_1)
	v_dual_mov_b32 v43, 0 :: v_dual_and_b32 v44, 0xff, v2
	v_cmpx_ne_u16_e32 0, v44
	s_cbranch_execz .LBB311_3885
; %bb.3878:                             ;   in Loop: Header=BB311_2079 Depth=1
	v_mov_b32_e32 v43, 0x8000
	s_mov_b32 s21, exec_lo
	v_cmpx_ne_u16_e32 0x80, v44
	s_cbranch_execz .LBB311_3884
; %bb.3879:                             ;   in Loop: Header=BB311_2079 Depth=1
	v_bfe_u32 v45, v12, 16, 7
	v_mov_b32_e32 v43, 0x7c01
	s_mov_b32 s22, exec_lo
	s_delay_alu instid0(VALU_DEP_2)
	v_cmpx_ne_u32_e32 0x7f, v45
	s_cbranch_execz .LBB311_3883
; %bb.3880:                             ;   in Loop: Header=BB311_2079 Depth=1
	v_and_b32_e32 v43, 7, v2
	v_lshrrev_b32_e32 v44, 3, v45
	s_mov_b32 s23, exec_lo
	v_cmpx_gt_u32_e32 8, v45
; %bb.3881:                             ;   in Loop: Header=BB311_2079 Depth=1
	s_delay_alu instid0(VALU_DEP_3) | instskip(NEXT) | instid1(VALU_DEP_1)
	v_clz_i32_u32_e32 v43, v43
	v_min_u32_e32 v45, 32, v43
	s_delay_alu instid0(VALU_DEP_1) | instskip(NEXT) | instid1(VALU_DEP_1)
	v_subrev_nc_u32_e32 v43, 28, v45
	v_lshlrev_b64_e32 v[43:44], v43, v[2:3]
	v_sub_nc_u32_e32 v44, 29, v45
	s_delay_alu instid0(VALU_DEP_2)
	v_and_b32_e32 v43, 7, v43
; %bb.3882:                             ;   in Loop: Header=BB311_2079 Depth=1
	s_wait_alu 0xfffe
	s_or_b32 exec_lo, exec_lo, s23
	v_lshlrev_b32_e32 v2, 8, v2
	v_lshl_add_u32 v44, v44, 10, 0x2000
	v_lshlrev_b32_e32 v43, 7, v43
	s_delay_alu instid0(VALU_DEP_3) | instskip(NEXT) | instid1(VALU_DEP_3)
	v_and_b32_e32 v2, 0x8000, v2
	v_and_b32_e32 v44, 0xfc00, v44
	s_delay_alu instid0(VALU_DEP_1)
	v_or3_b32 v43, v2, v44, v43
.LBB311_3883:                           ;   in Loop: Header=BB311_2079 Depth=1
	s_wait_alu 0xfffe
	s_or_b32 exec_lo, exec_lo, s22
.LBB311_3884:                           ;   in Loop: Header=BB311_2079 Depth=1
	s_wait_alu 0xfffe
	s_or_b32 exec_lo, exec_lo, s21
.LBB311_3885:                           ;   in Loop: Header=BB311_2079 Depth=1
	s_wait_alu 0xfffe
	s_or_b32 exec_lo, exec_lo, s20
	s_delay_alu instid0(SALU_CYCLE_1)
	s_mov_b32 s20, exec_lo
	v_cmpx_lt_u32_e32 0xffffff, v12
	s_cbranch_execz .LBB311_3893
; %bb.3886:                             ;   in Loop: Header=BB311_2079 Depth=1
	v_lshrrev_b32_e32 v2, 24, v12
	v_bfrev_b32_e32 v42, 1
	s_mov_b32 s21, exec_lo
	s_delay_alu instid0(VALU_DEP_2)
	v_cmpx_ne_u32_e32 0x80, v2
	s_cbranch_execz .LBB311_3892
; %bb.3887:                             ;   in Loop: Header=BB311_2079 Depth=1
	v_and_b32_e32 v45, 0x7f, v2
	v_mov_b32_e32 v42, 0x7c010000
	s_mov_b32 s22, exec_lo
	s_delay_alu instid0(VALU_DEP_2)
	v_cmpx_ne_u32_e32 0x7f, v45
	s_cbranch_execz .LBB311_3891
; %bb.3888:                             ;   in Loop: Header=BB311_2079 Depth=1
	v_and_b32_e32 v42, 7, v2
	v_lshrrev_b32_e32 v44, 3, v45
	s_mov_b32 s23, exec_lo
	v_cmpx_gt_u32_e32 8, v45
; %bb.3889:                             ;   in Loop: Header=BB311_2079 Depth=1
	s_delay_alu instid0(VALU_DEP_3) | instskip(NEXT) | instid1(VALU_DEP_1)
	v_clz_i32_u32_e32 v42, v42
	v_min_u32_e32 v42, 32, v42
	s_delay_alu instid0(VALU_DEP_1) | instskip(NEXT) | instid1(VALU_DEP_1)
	v_subrev_nc_u32_e32 v44, 28, v42
	v_lshlrev_b64_e32 v[45:46], v44, v[2:3]
	v_sub_nc_u32_e32 v44, 29, v42
	s_delay_alu instid0(VALU_DEP_2)
	v_and_b32_e32 v42, 7, v45
; %bb.3890:                             ;   in Loop: Header=BB311_2079 Depth=1
	s_wait_alu 0xfffe
	s_or_b32 exec_lo, exec_lo, s23
	v_lshlrev_b32_e32 v2, 8, v2
	v_lshl_add_u32 v44, v44, 10, 0x2000
	v_lshlrev_b32_e32 v42, 23, v42
	s_delay_alu instid0(VALU_DEP_2) | instskip(NEXT) | instid1(VALU_DEP_1)
	v_and_or_b32 v2, 0x8000, v2, v44
	v_lshl_or_b32 v42, v2, 16, v42
.LBB311_3891:                           ;   in Loop: Header=BB311_2079 Depth=1
	s_wait_alu 0xfffe
	s_or_b32 exec_lo, exec_lo, s22
.LBB311_3892:                           ;   in Loop: Header=BB311_2079 Depth=1
	s_wait_alu 0xfffe
	s_or_b32 exec_lo, exec_lo, s21
.LBB311_3893:                           ;   in Loop: Header=BB311_2079 Depth=1
	s_wait_alu 0xfffe
	s_or_b32 exec_lo, exec_lo, s20
	v_dual_mov_b32 v45, 0 :: v_dual_and_b32 v46, 0xff, v13
	v_mov_b32_e32 v2, v13
	v_mov_b32_e32 v44, 0
	s_mov_b32 s20, exec_lo
	s_delay_alu instid0(VALU_DEP_3)
	v_cmpx_ne_u16_e32 0, v46
	s_cbranch_execz .LBB311_3901
; %bb.3894:                             ;   in Loop: Header=BB311_2079 Depth=1
	v_mov_b32_e32 v45, 0x8000
	s_mov_b32 s21, exec_lo
	v_cmpx_ne_u16_e32 0x80, v46
	s_cbranch_execz .LBB311_3900
; %bb.3895:                             ;   in Loop: Header=BB311_2079 Depth=1
	v_and_b32_e32 v47, 0x7f, v13
	v_mov_b32_e32 v45, 0x7c01
	s_mov_b32 s22, exec_lo
	s_delay_alu instid0(VALU_DEP_2)
	v_cmpx_ne_u32_e32 0x7f, v47
	s_cbranch_execz .LBB311_3899
; %bb.3896:                             ;   in Loop: Header=BB311_2079 Depth=1
	v_and_b32_e32 v45, 7, v13
	v_lshrrev_b32_e32 v46, 3, v47
	s_mov_b32 s23, exec_lo
	v_cmpx_gt_u32_e32 8, v47
; %bb.3897:                             ;   in Loop: Header=BB311_2079 Depth=1
	s_delay_alu instid0(VALU_DEP_3) | instskip(NEXT) | instid1(VALU_DEP_1)
	v_clz_i32_u32_e32 v45, v45
	v_min_u32_e32 v47, 32, v45
	s_delay_alu instid0(VALU_DEP_1) | instskip(NEXT) | instid1(VALU_DEP_1)
	v_subrev_nc_u32_e32 v45, 28, v47
	v_lshlrev_b64_e32 v[45:46], v45, v[2:3]
	v_sub_nc_u32_e32 v46, 29, v47
	s_delay_alu instid0(VALU_DEP_2)
	v_and_b32_e32 v45, 7, v45
; %bb.3898:                             ;   in Loop: Header=BB311_2079 Depth=1
	s_wait_alu 0xfffe
	s_or_b32 exec_lo, exec_lo, s23
	v_lshlrev_b32_e32 v47, 8, v13
	v_lshl_add_u32 v46, v46, 10, 0x2000
	v_lshlrev_b32_e32 v45, 7, v45
	s_delay_alu instid0(VALU_DEP_3) | instskip(NEXT) | instid1(VALU_DEP_3)
	v_and_b32_e32 v47, 0x8000, v47
	v_and_b32_e32 v46, 0xfc00, v46
	s_delay_alu instid0(VALU_DEP_1)
	v_or3_b32 v45, v47, v46, v45
.LBB311_3899:                           ;   in Loop: Header=BB311_2079 Depth=1
	s_wait_alu 0xfffe
	s_or_b32 exec_lo, exec_lo, s22
.LBB311_3900:                           ;   in Loop: Header=BB311_2079 Depth=1
	s_wait_alu 0xfffe
	s_or_b32 exec_lo, exec_lo, s21
.LBB311_3901:                           ;   in Loop: Header=BB311_2079 Depth=1
	s_wait_alu 0xfffe
	s_or_b32 exec_lo, exec_lo, s20
	v_lshrrev_b16 v2, 8, v2
	v_mov_b32_e32 v46, 0
	s_mov_b32 s20, exec_lo
	s_delay_alu instid0(VALU_DEP_2)
	v_cmpx_ne_u16_e32 0, v2
	s_cbranch_execz .LBB311_3909
; %bb.3902:                             ;   in Loop: Header=BB311_2079 Depth=1
	v_bfrev_b32_e32 v46, 1
	s_mov_b32 s21, exec_lo
	v_cmpx_ne_u16_e32 0x80, v2
	s_cbranch_execz .LBB311_3908
; %bb.3903:                             ;   in Loop: Header=BB311_2079 Depth=1
	v_and_b32_e32 v47, 0xffff, v2
	v_mov_b32_e32 v46, 0x7c010000
	s_mov_b32 s22, exec_lo
	s_delay_alu instid0(VALU_DEP_2) | instskip(NEXT) | instid1(VALU_DEP_1)
	v_and_b32_e32 v57, 0x7f, v47
	v_cmpx_ne_u32_e32 0x7f, v57
	s_cbranch_execz .LBB311_3907
; %bb.3904:                             ;   in Loop: Header=BB311_2079 Depth=1
	v_and_b32_e32 v46, 7, v47
	v_lshrrev_b32_e32 v56, 3, v57
	s_mov_b32 s23, exec_lo
	v_cmpx_gt_u32_e32 8, v57
; %bb.3905:                             ;   in Loop: Header=BB311_2079 Depth=1
	s_delay_alu instid0(VALU_DEP_3) | instskip(NEXT) | instid1(VALU_DEP_1)
	v_clz_i32_u32_e32 v46, v46
	v_min_u32_e32 v46, 32, v46
	s_delay_alu instid0(VALU_DEP_1) | instskip(NEXT) | instid1(VALU_DEP_1)
	v_subrev_nc_u32_e32 v56, 28, v46
	v_lshlrev_b64_e32 v[57:58], v56, v[2:3]
	v_sub_nc_u32_e32 v56, 29, v46
	s_delay_alu instid0(VALU_DEP_2)
	v_and_b32_e32 v46, 7, v57
; %bb.3906:                             ;   in Loop: Header=BB311_2079 Depth=1
	s_wait_alu 0xfffe
	s_or_b32 exec_lo, exec_lo, s23
	v_lshlrev_b32_e32 v2, 8, v47
	v_lshl_add_u32 v47, v56, 10, 0x2000
	v_lshlrev_b32_e32 v46, 23, v46
	s_delay_alu instid0(VALU_DEP_2) | instskip(NEXT) | instid1(VALU_DEP_1)
	v_and_or_b32 v2, 0x8000, v2, v47
	v_lshl_or_b32 v46, v2, 16, v46
.LBB311_3907:                           ;   in Loop: Header=BB311_2079 Depth=1
	s_wait_alu 0xfffe
	s_or_b32 exec_lo, exec_lo, s22
.LBB311_3908:                           ;   in Loop: Header=BB311_2079 Depth=1
	s_wait_alu 0xfffe
	s_or_b32 exec_lo, exec_lo, s21
.LBB311_3909:                           ;   in Loop: Header=BB311_2079 Depth=1
	s_wait_alu 0xfffe
	s_or_b32 exec_lo, exec_lo, s20
	v_lshrrev_b32_e32 v2, 16, v13
	s_mov_b32 s20, exec_lo
	s_delay_alu instid0(VALU_DEP_1) | instskip(NEXT) | instid1(VALU_DEP_1)
	v_and_b32_e32 v47, 0xff, v2
	v_cmpx_ne_u16_e32 0, v47
	s_cbranch_execz .LBB311_3917
; %bb.3910:                             ;   in Loop: Header=BB311_2079 Depth=1
	v_mov_b32_e32 v44, 0x8000
	s_mov_b32 s21, exec_lo
	v_cmpx_ne_u16_e32 0x80, v47
	s_cbranch_execz .LBB311_3916
; %bb.3911:                             ;   in Loop: Header=BB311_2079 Depth=1
	v_bfe_u32 v56, v13, 16, 7
	v_mov_b32_e32 v44, 0x7c01
	s_mov_b32 s22, exec_lo
	s_delay_alu instid0(VALU_DEP_2)
	v_cmpx_ne_u32_e32 0x7f, v56
	s_cbranch_execz .LBB311_3915
; %bb.3912:                             ;   in Loop: Header=BB311_2079 Depth=1
	v_and_b32_e32 v44, 7, v2
	v_lshrrev_b32_e32 v47, 3, v56
	s_mov_b32 s23, exec_lo
	v_cmpx_gt_u32_e32 8, v56
; %bb.3913:                             ;   in Loop: Header=BB311_2079 Depth=1
	s_delay_alu instid0(VALU_DEP_3) | instskip(NEXT) | instid1(VALU_DEP_1)
	v_clz_i32_u32_e32 v44, v44
	v_min_u32_e32 v44, 32, v44
	s_delay_alu instid0(VALU_DEP_1) | instskip(NEXT) | instid1(VALU_DEP_1)
	v_subrev_nc_u32_e32 v47, 28, v44
	v_lshlrev_b64_e32 v[56:57], v47, v[2:3]
	v_sub_nc_u32_e32 v47, 29, v44
	s_delay_alu instid0(VALU_DEP_2)
	v_and_b32_e32 v44, 7, v56
; %bb.3914:                             ;   in Loop: Header=BB311_2079 Depth=1
	s_wait_alu 0xfffe
	s_or_b32 exec_lo, exec_lo, s23
	v_lshlrev_b32_e32 v2, 8, v2
	v_lshl_add_u32 v47, v47, 10, 0x2000
	v_lshlrev_b32_e32 v44, 7, v44
	s_delay_alu instid0(VALU_DEP_3) | instskip(NEXT) | instid1(VALU_DEP_3)
	v_and_b32_e32 v2, 0x8000, v2
	v_and_b32_e32 v47, 0xfc00, v47
	s_delay_alu instid0(VALU_DEP_1)
	v_or3_b32 v44, v2, v47, v44
.LBB311_3915:                           ;   in Loop: Header=BB311_2079 Depth=1
	s_wait_alu 0xfffe
	s_or_b32 exec_lo, exec_lo, s22
.LBB311_3916:                           ;   in Loop: Header=BB311_2079 Depth=1
	s_wait_alu 0xfffe
	s_or_b32 exec_lo, exec_lo, s21
.LBB311_3917:                           ;   in Loop: Header=BB311_2079 Depth=1
	s_wait_alu 0xfffe
	s_or_b32 exec_lo, exec_lo, s20
	v_cmp_lt_u64_e64 s8, s[16:17], v[12:13]
	v_mov_b32_e32 v12, 0
	s_and_saveexec_b32 s20, s8
	s_cbranch_execz .LBB311_3925
; %bb.3918:                             ;   in Loop: Header=BB311_2079 Depth=1
	v_lshrrev_b32_e32 v2, 24, v13
	v_bfrev_b32_e32 v12, 1
	s_mov_b32 s21, exec_lo
	s_delay_alu instid0(VALU_DEP_2)
	v_cmpx_ne_u32_e32 0x80, v2
	s_cbranch_execz .LBB311_3924
; %bb.3919:                             ;   in Loop: Header=BB311_2079 Depth=1
	v_and_b32_e32 v47, 0x7f, v2
	v_mov_b32_e32 v12, 0x7c010000
	s_mov_b32 s22, exec_lo
	s_delay_alu instid0(VALU_DEP_2)
	v_cmpx_ne_u32_e32 0x7f, v47
	s_cbranch_execz .LBB311_3923
; %bb.3920:                             ;   in Loop: Header=BB311_2079 Depth=1
	v_and_b32_e32 v12, 7, v2
	v_lshrrev_b32_e32 v13, 3, v47
	s_mov_b32 s23, exec_lo
	v_cmpx_gt_u32_e32 8, v47
; %bb.3921:                             ;   in Loop: Header=BB311_2079 Depth=1
	s_delay_alu instid0(VALU_DEP_3) | instskip(NEXT) | instid1(VALU_DEP_1)
	v_clz_i32_u32_e32 v12, v12
	v_min_u32_e32 v47, 32, v12
	s_delay_alu instid0(VALU_DEP_1) | instskip(NEXT) | instid1(VALU_DEP_1)
	v_subrev_nc_u32_e32 v12, 28, v47
	v_lshlrev_b64_e32 v[12:13], v12, v[2:3]
	v_sub_nc_u32_e32 v13, 29, v47
	s_delay_alu instid0(VALU_DEP_2)
	v_and_b32_e32 v12, 7, v12
; %bb.3922:                             ;   in Loop: Header=BB311_2079 Depth=1
	s_wait_alu 0xfffe
	s_or_b32 exec_lo, exec_lo, s23
	v_lshlrev_b32_e32 v2, 8, v2
	v_lshl_add_u32 v13, v13, 10, 0x2000
	v_lshlrev_b32_e32 v12, 23, v12
	s_delay_alu instid0(VALU_DEP_2) | instskip(NEXT) | instid1(VALU_DEP_1)
	v_and_or_b32 v2, 0x8000, v2, v13
	v_lshl_or_b32 v12, v2, 16, v12
.LBB311_3923:                           ;   in Loop: Header=BB311_2079 Depth=1
	s_wait_alu 0xfffe
	s_or_b32 exec_lo, exec_lo, s22
.LBB311_3924:                           ;   in Loop: Header=BB311_2079 Depth=1
	s_wait_alu 0xfffe
	s_or_b32 exec_lo, exec_lo, s21
.LBB311_3925:                           ;   in Loop: Header=BB311_2079 Depth=1
	s_wait_alu 0xfffe
	s_or_b32 exec_lo, exec_lo, s20
	v_or_b32_e32 v2, v42, v43
	s_wait_loadcnt_dscnt 0x0
	v_fma_mixlo_f16 v13, v183, v42, 0 op_sel:[0,1,0] op_sel_hi:[0,1,0]
	v_or_b32_e32 v41, v40, v41
	v_or_b32_e32 v42, v46, v45
	;; [unrolled: 1-line block ×3, first 2 shown]
	v_fma_mixlo_f16 v43, v183, v2, 0 op_sel_hi:[0,1,0]
	v_fma_mixlo_f16 v40, v183, v40, 0 op_sel:[0,1,0] op_sel_hi:[0,1,0]
	v_lshlrev_b32_e32 v2, 16, v13
	v_fma_mixlo_f16 v41, v183, v41, 0 op_sel_hi:[0,1,0]
	v_fma_mixlo_f16 v42, v183, v42, 0 op_sel_hi:[0,1,0]
	v_and_b32_e32 v13, 0xffff, v43
	v_fma_mixlo_f16 v43, v183, v46, 0 op_sel:[0,1,0] op_sel_hi:[0,1,0]
	v_fma_mixlo_f16 v12, v183, v12, 0 op_sel:[0,1,0] op_sel_hi:[0,1,0]
	v_fma_mixlo_f16 v183, v183, v44, 0 op_sel_hi:[0,1,0]
	v_lshlrev_b32_e32 v40, 16, v40
	v_and_b32_e32 v47, 0xffff, v41
	v_lshlrev_b32_e32 v44, 16, v43
	v_and_b32_e32 v46, 0xffff, v42
	;; [unrolled: 2-line block ×3, first 2 shown]
	v_or_b32_e32 v12, v2, v13
	v_or_b32_e32 v42, v40, v47
	;; [unrolled: 1-line block ×3, first 2 shown]
	s_delay_alu instid0(VALU_DEP_4)
	v_or_b32_e32 v183, v43, v45
	s_and_saveexec_b32 s8, s2
	s_cbranch_execz .LBB311_3927
; %bb.3926:                             ;   in Loop: Header=BB311_2079 Depth=1
	s_wait_alu 0xfffd
	v_cndmask_b32_e32 v12, 0, v47, vcc_lo
	v_cndmask_b32_e64 v183, 0, v40, s1
	v_cndmask_b32_e64 v13, 0, v13, s0
	;; [unrolled: 1-line block ×7, first 2 shown]
	v_or_b32_e32 v42, v12, v183
	v_or_b32_e32 v12, v13, v2
	;; [unrolled: 1-line block ×3, first 2 shown]
	s_delay_alu instid0(VALU_DEP_4)
	v_or_b32_e32 v183, v44, v43
.LBB311_3927:                           ;   in Loop: Header=BB311_2079 Depth=1
	s_wait_alu 0xfffe
	s_or_b32 exec_lo, exec_lo, s8
	;;#ASMSTART
	v_pk_mul_f16 v2, v98, v42;

	;;#ASMEND
	;;#ASMSTART
	v_pk_mul_f16 v12, v96, v12;

	;;#ASMEND
	;; [unrolled: 4-line block ×4, first 2 shown]
	;;#ASMSTART
	v_pk_add_f16 v2, v2, v12;

	;;#ASMEND
	;;#ASMSTART
	v_pk_add_f16 v2, v2, v13;

	;;#ASMEND
	;; [unrolled: 4-line block ×3, first 2 shown]
	v_dual_mov_b32 v43, 0 :: v_dual_and_b32 v12, 0xffff, v2
	v_lshrrev_b32_e32 v2, 16, v2
	;;#ASMSTART
	v_cvt_f32_f16 v183, v12;
	;;#ASMEND
	;;#ASMSTART
	v_cvt_f32_f16 v40, v2;
	;;#ASMEND
	flat_load_b64 v[12:13], v[10:11] offset:7168
	flat_load_b32 v41, v[26:27]
	v_mov_b32_e32 v42, 0
	s_mov_b32 s20, exec_lo
	s_wait_loadcnt_dscnt 0x101
	v_and_b32_e32 v2, 0xff, v12
	s_delay_alu instid0(VALU_DEP_1)
	v_cmpx_ne_u16_e32 0, v2
	s_cbranch_execz .LBB311_3935
; %bb.3928:                             ;   in Loop: Header=BB311_2079 Depth=1
	v_mov_b32_e32 v43, 0x8000
	s_mov_b32 s21, exec_lo
	v_cmpx_ne_u16_e32 0x80, v2
	s_cbranch_execz .LBB311_3934
; %bb.3929:                             ;   in Loop: Header=BB311_2079 Depth=1
	v_and_b32_e32 v44, 0x7f, v12
	v_mov_b32_e32 v43, 0x7c01
	s_mov_b32 s22, exec_lo
	s_delay_alu instid0(VALU_DEP_2)
	v_cmpx_ne_u32_e32 0x7f, v44
	s_cbranch_execz .LBB311_3933
; %bb.3930:                             ;   in Loop: Header=BB311_2079 Depth=1
	v_and_b32_e32 v2, 7, v12
	v_lshrrev_b32_e32 v43, 3, v44
	s_mov_b32 s23, exec_lo
	v_cmpx_gt_u32_e32 8, v44
; %bb.3931:                             ;   in Loop: Header=BB311_2079 Depth=1
	s_delay_alu instid0(VALU_DEP_3) | instskip(NEXT) | instid1(VALU_DEP_1)
	v_clz_i32_u32_e32 v2, v2
	v_min_u32_e32 v2, 32, v2
	s_delay_alu instid0(VALU_DEP_1) | instskip(NEXT) | instid1(VALU_DEP_1)
	v_subrev_nc_u32_e32 v43, 28, v2
	v_lshlrev_b64_e32 v[44:45], v43, v[12:13]
	v_sub_nc_u32_e32 v43, 29, v2
	s_delay_alu instid0(VALU_DEP_2)
	v_and_b32_e32 v2, 7, v44
; %bb.3932:                             ;   in Loop: Header=BB311_2079 Depth=1
	s_wait_alu 0xfffe
	s_or_b32 exec_lo, exec_lo, s23
	v_lshlrev_b32_e32 v44, 8, v12
	v_lshl_add_u32 v43, v43, 10, 0x2000
	v_lshlrev_b32_e32 v2, 7, v2
	s_delay_alu instid0(VALU_DEP_3) | instskip(NEXT) | instid1(VALU_DEP_3)
	v_and_b32_e32 v44, 0x8000, v44
	v_and_b32_e32 v43, 0xfc00, v43
	s_delay_alu instid0(VALU_DEP_1)
	v_or3_b32 v43, v44, v43, v2
.LBB311_3933:                           ;   in Loop: Header=BB311_2079 Depth=1
	s_wait_alu 0xfffe
	s_or_b32 exec_lo, exec_lo, s22
.LBB311_3934:                           ;   in Loop: Header=BB311_2079 Depth=1
	s_wait_alu 0xfffe
	s_or_b32 exec_lo, exec_lo, s21
.LBB311_3935:                           ;   in Loop: Header=BB311_2079 Depth=1
	s_wait_alu 0xfffe
	s_or_b32 exec_lo, exec_lo, s20
	v_lshrrev_b16 v2, 8, v12
	s_mov_b32 s20, exec_lo
	s_delay_alu instid0(VALU_DEP_1)
	v_cmpx_ne_u16_e32 0, v2
	s_cbranch_execz .LBB311_3943
; %bb.3936:                             ;   in Loop: Header=BB311_2079 Depth=1
	v_bfrev_b32_e32 v42, 1
	s_mov_b32 s21, exec_lo
	v_cmpx_ne_u16_e32 0x80, v2
	s_cbranch_execz .LBB311_3942
; %bb.3937:                             ;   in Loop: Header=BB311_2079 Depth=1
	v_and_b32_e32 v44, 0xffff, v2
	v_mov_b32_e32 v42, 0x7c010000
	s_mov_b32 s22, exec_lo
	s_delay_alu instid0(VALU_DEP_2) | instskip(NEXT) | instid1(VALU_DEP_1)
	v_and_b32_e32 v46, 0x7f, v44
	v_cmpx_ne_u32_e32 0x7f, v46
	s_cbranch_execz .LBB311_3941
; %bb.3938:                             ;   in Loop: Header=BB311_2079 Depth=1
	v_and_b32_e32 v42, 7, v44
	v_lshrrev_b32_e32 v45, 3, v46
	s_mov_b32 s23, exec_lo
	v_cmpx_gt_u32_e32 8, v46
; %bb.3939:                             ;   in Loop: Header=BB311_2079 Depth=1
	s_delay_alu instid0(VALU_DEP_3) | instskip(NEXT) | instid1(VALU_DEP_1)
	v_clz_i32_u32_e32 v42, v42
	v_min_u32_e32 v42, 32, v42
	s_delay_alu instid0(VALU_DEP_1) | instskip(NEXT) | instid1(VALU_DEP_1)
	v_subrev_nc_u32_e32 v45, 28, v42
	v_lshlrev_b64_e32 v[46:47], v45, v[2:3]
	v_sub_nc_u32_e32 v45, 29, v42
	s_delay_alu instid0(VALU_DEP_2)
	v_and_b32_e32 v42, 7, v46
; %bb.3940:                             ;   in Loop: Header=BB311_2079 Depth=1
	s_wait_alu 0xfffe
	s_or_b32 exec_lo, exec_lo, s23
	v_lshlrev_b32_e32 v2, 8, v44
	v_lshl_add_u32 v44, v45, 10, 0x2000
	v_lshlrev_b32_e32 v42, 23, v42
	s_delay_alu instid0(VALU_DEP_2) | instskip(NEXT) | instid1(VALU_DEP_1)
	v_and_or_b32 v2, 0x8000, v2, v44
	v_lshl_or_b32 v42, v2, 16, v42
.LBB311_3941:                           ;   in Loop: Header=BB311_2079 Depth=1
	s_wait_alu 0xfffe
	s_or_b32 exec_lo, exec_lo, s22
.LBB311_3942:                           ;   in Loop: Header=BB311_2079 Depth=1
	s_wait_alu 0xfffe
	s_or_b32 exec_lo, exec_lo, s21
.LBB311_3943:                           ;   in Loop: Header=BB311_2079 Depth=1
	s_wait_alu 0xfffe
	s_or_b32 exec_lo, exec_lo, s20
	v_lshrrev_b32_e32 v2, 16, v12
	v_mov_b32_e32 v44, 0
	s_mov_b32 s20, exec_lo
	s_delay_alu instid0(VALU_DEP_2) | instskip(NEXT) | instid1(VALU_DEP_1)
	v_dual_mov_b32 v45, 0 :: v_dual_and_b32 v46, 0xff, v2
	v_cmpx_ne_u16_e32 0, v46
	s_cbranch_execz .LBB311_3951
; %bb.3944:                             ;   in Loop: Header=BB311_2079 Depth=1
	v_mov_b32_e32 v45, 0x8000
	s_mov_b32 s21, exec_lo
	v_cmpx_ne_u16_e32 0x80, v46
	s_cbranch_execz .LBB311_3950
; %bb.3945:                             ;   in Loop: Header=BB311_2079 Depth=1
	v_bfe_u32 v47, v12, 16, 7
	v_mov_b32_e32 v45, 0x7c01
	s_mov_b32 s22, exec_lo
	s_delay_alu instid0(VALU_DEP_2)
	v_cmpx_ne_u32_e32 0x7f, v47
	s_cbranch_execz .LBB311_3949
; %bb.3946:                             ;   in Loop: Header=BB311_2079 Depth=1
	v_and_b32_e32 v45, 7, v2
	v_lshrrev_b32_e32 v46, 3, v47
	s_mov_b32 s23, exec_lo
	v_cmpx_gt_u32_e32 8, v47
; %bb.3947:                             ;   in Loop: Header=BB311_2079 Depth=1
	s_delay_alu instid0(VALU_DEP_3) | instskip(NEXT) | instid1(VALU_DEP_1)
	v_clz_i32_u32_e32 v45, v45
	v_min_u32_e32 v47, 32, v45
	s_delay_alu instid0(VALU_DEP_1) | instskip(NEXT) | instid1(VALU_DEP_1)
	v_subrev_nc_u32_e32 v45, 28, v47
	v_lshlrev_b64_e32 v[45:46], v45, v[2:3]
	v_sub_nc_u32_e32 v46, 29, v47
	s_delay_alu instid0(VALU_DEP_2)
	v_and_b32_e32 v45, 7, v45
; %bb.3948:                             ;   in Loop: Header=BB311_2079 Depth=1
	s_wait_alu 0xfffe
	s_or_b32 exec_lo, exec_lo, s23
	v_lshlrev_b32_e32 v2, 8, v2
	v_lshl_add_u32 v46, v46, 10, 0x2000
	v_lshlrev_b32_e32 v45, 7, v45
	s_delay_alu instid0(VALU_DEP_3) | instskip(NEXT) | instid1(VALU_DEP_3)
	v_and_b32_e32 v2, 0x8000, v2
	v_and_b32_e32 v46, 0xfc00, v46
	s_delay_alu instid0(VALU_DEP_1)
	v_or3_b32 v45, v2, v46, v45
.LBB311_3949:                           ;   in Loop: Header=BB311_2079 Depth=1
	s_wait_alu 0xfffe
	s_or_b32 exec_lo, exec_lo, s22
.LBB311_3950:                           ;   in Loop: Header=BB311_2079 Depth=1
	s_wait_alu 0xfffe
	s_or_b32 exec_lo, exec_lo, s21
.LBB311_3951:                           ;   in Loop: Header=BB311_2079 Depth=1
	s_wait_alu 0xfffe
	s_or_b32 exec_lo, exec_lo, s20
	s_delay_alu instid0(SALU_CYCLE_1)
	s_mov_b32 s20, exec_lo
	v_cmpx_lt_u32_e32 0xffffff, v12
	s_cbranch_execz .LBB311_3959
; %bb.3952:                             ;   in Loop: Header=BB311_2079 Depth=1
	v_lshrrev_b32_e32 v2, 24, v12
	v_bfrev_b32_e32 v44, 1
	s_mov_b32 s21, exec_lo
	s_delay_alu instid0(VALU_DEP_2)
	v_cmpx_ne_u32_e32 0x80, v2
	s_cbranch_execz .LBB311_3958
; %bb.3953:                             ;   in Loop: Header=BB311_2079 Depth=1
	v_and_b32_e32 v47, 0x7f, v2
	v_mov_b32_e32 v44, 0x7c010000
	s_mov_b32 s22, exec_lo
	s_delay_alu instid0(VALU_DEP_2)
	v_cmpx_ne_u32_e32 0x7f, v47
	s_cbranch_execz .LBB311_3957
; %bb.3954:                             ;   in Loop: Header=BB311_2079 Depth=1
	v_and_b32_e32 v44, 7, v2
	v_lshrrev_b32_e32 v46, 3, v47
	s_mov_b32 s23, exec_lo
	v_cmpx_gt_u32_e32 8, v47
; %bb.3955:                             ;   in Loop: Header=BB311_2079 Depth=1
	s_delay_alu instid0(VALU_DEP_3) | instskip(NEXT) | instid1(VALU_DEP_1)
	v_clz_i32_u32_e32 v44, v44
	v_min_u32_e32 v44, 32, v44
	s_delay_alu instid0(VALU_DEP_1) | instskip(NEXT) | instid1(VALU_DEP_1)
	v_subrev_nc_u32_e32 v46, 28, v44
	v_lshlrev_b64_e32 v[56:57], v46, v[2:3]
	v_sub_nc_u32_e32 v46, 29, v44
	s_delay_alu instid0(VALU_DEP_2)
	v_and_b32_e32 v44, 7, v56
; %bb.3956:                             ;   in Loop: Header=BB311_2079 Depth=1
	s_wait_alu 0xfffe
	s_or_b32 exec_lo, exec_lo, s23
	v_lshlrev_b32_e32 v2, 8, v2
	v_lshl_add_u32 v46, v46, 10, 0x2000
	v_lshlrev_b32_e32 v44, 23, v44
	s_delay_alu instid0(VALU_DEP_2) | instskip(NEXT) | instid1(VALU_DEP_1)
	v_and_or_b32 v2, 0x8000, v2, v46
	v_lshl_or_b32 v44, v2, 16, v44
.LBB311_3957:                           ;   in Loop: Header=BB311_2079 Depth=1
	s_wait_alu 0xfffe
	s_or_b32 exec_lo, exec_lo, s22
.LBB311_3958:                           ;   in Loop: Header=BB311_2079 Depth=1
	s_wait_alu 0xfffe
	s_or_b32 exec_lo, exec_lo, s21
.LBB311_3959:                           ;   in Loop: Header=BB311_2079 Depth=1
	s_wait_alu 0xfffe
	s_or_b32 exec_lo, exec_lo, s20
	v_dual_mov_b32 v47, 0 :: v_dual_and_b32 v56, 0xff, v13
	v_mov_b32_e32 v2, v13
	v_mov_b32_e32 v46, 0
	s_mov_b32 s20, exec_lo
	s_delay_alu instid0(VALU_DEP_3)
	v_cmpx_ne_u16_e32 0, v56
	s_cbranch_execz .LBB311_3967
; %bb.3960:                             ;   in Loop: Header=BB311_2079 Depth=1
	v_mov_b32_e32 v47, 0x8000
	s_mov_b32 s21, exec_lo
	v_cmpx_ne_u16_e32 0x80, v56
	s_cbranch_execz .LBB311_3966
; %bb.3961:                             ;   in Loop: Header=BB311_2079 Depth=1
	v_and_b32_e32 v57, 0x7f, v13
	v_mov_b32_e32 v47, 0x7c01
	s_mov_b32 s22, exec_lo
	s_delay_alu instid0(VALU_DEP_2)
	v_cmpx_ne_u32_e32 0x7f, v57
	s_cbranch_execz .LBB311_3965
; %bb.3962:                             ;   in Loop: Header=BB311_2079 Depth=1
	v_and_b32_e32 v47, 7, v13
	v_lshrrev_b32_e32 v56, 3, v57
	s_mov_b32 s23, exec_lo
	v_cmpx_gt_u32_e32 8, v57
; %bb.3963:                             ;   in Loop: Header=BB311_2079 Depth=1
	s_delay_alu instid0(VALU_DEP_3) | instskip(NEXT) | instid1(VALU_DEP_1)
	v_clz_i32_u32_e32 v47, v47
	v_min_u32_e32 v47, 32, v47
	s_delay_alu instid0(VALU_DEP_1) | instskip(NEXT) | instid1(VALU_DEP_1)
	v_subrev_nc_u32_e32 v56, 28, v47
	v_lshlrev_b64_e32 v[57:58], v56, v[2:3]
	v_sub_nc_u32_e32 v56, 29, v47
	s_delay_alu instid0(VALU_DEP_2)
	v_and_b32_e32 v47, 7, v57
; %bb.3964:                             ;   in Loop: Header=BB311_2079 Depth=1
	s_wait_alu 0xfffe
	s_or_b32 exec_lo, exec_lo, s23
	v_lshlrev_b32_e32 v57, 8, v13
	v_lshl_add_u32 v56, v56, 10, 0x2000
	v_lshlrev_b32_e32 v47, 7, v47
	s_delay_alu instid0(VALU_DEP_3) | instskip(NEXT) | instid1(VALU_DEP_3)
	v_and_b32_e32 v57, 0x8000, v57
	v_and_b32_e32 v56, 0xfc00, v56
	s_delay_alu instid0(VALU_DEP_1)
	v_or3_b32 v47, v57, v56, v47
.LBB311_3965:                           ;   in Loop: Header=BB311_2079 Depth=1
	s_wait_alu 0xfffe
	s_or_b32 exec_lo, exec_lo, s22
.LBB311_3966:                           ;   in Loop: Header=BB311_2079 Depth=1
	s_wait_alu 0xfffe
	s_or_b32 exec_lo, exec_lo, s21
.LBB311_3967:                           ;   in Loop: Header=BB311_2079 Depth=1
	s_wait_alu 0xfffe
	s_or_b32 exec_lo, exec_lo, s20
	v_lshrrev_b16 v2, 8, v2
	v_mov_b32_e32 v56, 0
	s_mov_b32 s20, exec_lo
	s_delay_alu instid0(VALU_DEP_2)
	v_cmpx_ne_u16_e32 0, v2
	s_cbranch_execz .LBB311_3975
; %bb.3968:                             ;   in Loop: Header=BB311_2079 Depth=1
	v_bfrev_b32_e32 v56, 1
	s_mov_b32 s21, exec_lo
	v_cmpx_ne_u16_e32 0x80, v2
	s_cbranch_execz .LBB311_3974
; %bb.3969:                             ;   in Loop: Header=BB311_2079 Depth=1
	v_and_b32_e32 v57, 0xffff, v2
	v_mov_b32_e32 v56, 0x7c010000
	s_mov_b32 s22, exec_lo
	s_delay_alu instid0(VALU_DEP_2) | instskip(NEXT) | instid1(VALU_DEP_1)
	v_and_b32_e32 v59, 0x7f, v57
	v_cmpx_ne_u32_e32 0x7f, v59
	s_cbranch_execz .LBB311_3973
; %bb.3970:                             ;   in Loop: Header=BB311_2079 Depth=1
	v_and_b32_e32 v56, 7, v57
	v_lshrrev_b32_e32 v58, 3, v59
	s_mov_b32 s23, exec_lo
	v_cmpx_gt_u32_e32 8, v59
; %bb.3971:                             ;   in Loop: Header=BB311_2079 Depth=1
	s_delay_alu instid0(VALU_DEP_3) | instskip(NEXT) | instid1(VALU_DEP_1)
	v_clz_i32_u32_e32 v56, v56
	v_min_u32_e32 v56, 32, v56
	s_delay_alu instid0(VALU_DEP_1) | instskip(NEXT) | instid1(VALU_DEP_1)
	v_subrev_nc_u32_e32 v58, 28, v56
	v_lshlrev_b64_e32 v[59:60], v58, v[2:3]
	v_sub_nc_u32_e32 v58, 29, v56
	s_delay_alu instid0(VALU_DEP_2)
	v_and_b32_e32 v56, 7, v59
; %bb.3972:                             ;   in Loop: Header=BB311_2079 Depth=1
	s_wait_alu 0xfffe
	s_or_b32 exec_lo, exec_lo, s23
	v_lshlrev_b32_e32 v2, 8, v57
	v_lshl_add_u32 v57, v58, 10, 0x2000
	v_lshlrev_b32_e32 v56, 23, v56
	s_delay_alu instid0(VALU_DEP_2) | instskip(NEXT) | instid1(VALU_DEP_1)
	v_and_or_b32 v2, 0x8000, v2, v57
	v_lshl_or_b32 v56, v2, 16, v56
.LBB311_3973:                           ;   in Loop: Header=BB311_2079 Depth=1
	s_wait_alu 0xfffe
	s_or_b32 exec_lo, exec_lo, s22
.LBB311_3974:                           ;   in Loop: Header=BB311_2079 Depth=1
	s_wait_alu 0xfffe
	s_or_b32 exec_lo, exec_lo, s21
.LBB311_3975:                           ;   in Loop: Header=BB311_2079 Depth=1
	s_wait_alu 0xfffe
	s_or_b32 exec_lo, exec_lo, s20
	v_lshrrev_b32_e32 v2, 16, v13
	s_mov_b32 s20, exec_lo
	s_delay_alu instid0(VALU_DEP_1) | instskip(NEXT) | instid1(VALU_DEP_1)
	v_and_b32_e32 v57, 0xff, v2
	v_cmpx_ne_u16_e32 0, v57
	s_cbranch_execz .LBB311_3983
; %bb.3976:                             ;   in Loop: Header=BB311_2079 Depth=1
	v_mov_b32_e32 v46, 0x8000
	s_mov_b32 s21, exec_lo
	v_cmpx_ne_u16_e32 0x80, v57
	s_cbranch_execz .LBB311_3982
; %bb.3977:                             ;   in Loop: Header=BB311_2079 Depth=1
	v_bfe_u32 v58, v13, 16, 7
	v_mov_b32_e32 v46, 0x7c01
	s_mov_b32 s22, exec_lo
	s_delay_alu instid0(VALU_DEP_2)
	v_cmpx_ne_u32_e32 0x7f, v58
	s_cbranch_execz .LBB311_3981
; %bb.3978:                             ;   in Loop: Header=BB311_2079 Depth=1
	v_and_b32_e32 v46, 7, v2
	v_lshrrev_b32_e32 v57, 3, v58
	s_mov_b32 s23, exec_lo
	v_cmpx_gt_u32_e32 8, v58
; %bb.3979:                             ;   in Loop: Header=BB311_2079 Depth=1
	s_delay_alu instid0(VALU_DEP_3) | instskip(NEXT) | instid1(VALU_DEP_1)
	v_clz_i32_u32_e32 v46, v46
	v_min_u32_e32 v46, 32, v46
	s_delay_alu instid0(VALU_DEP_1) | instskip(NEXT) | instid1(VALU_DEP_1)
	v_subrev_nc_u32_e32 v57, 28, v46
	v_lshlrev_b64_e32 v[58:59], v57, v[2:3]
	v_sub_nc_u32_e32 v57, 29, v46
	s_delay_alu instid0(VALU_DEP_2)
	v_and_b32_e32 v46, 7, v58
; %bb.3980:                             ;   in Loop: Header=BB311_2079 Depth=1
	s_wait_alu 0xfffe
	s_or_b32 exec_lo, exec_lo, s23
	v_lshlrev_b32_e32 v2, 8, v2
	v_lshl_add_u32 v57, v57, 10, 0x2000
	v_lshlrev_b32_e32 v46, 7, v46
	s_delay_alu instid0(VALU_DEP_3) | instskip(NEXT) | instid1(VALU_DEP_3)
	v_and_b32_e32 v2, 0x8000, v2
	v_and_b32_e32 v57, 0xfc00, v57
	s_delay_alu instid0(VALU_DEP_1)
	v_or3_b32 v46, v2, v57, v46
.LBB311_3981:                           ;   in Loop: Header=BB311_2079 Depth=1
	s_wait_alu 0xfffe
	s_or_b32 exec_lo, exec_lo, s22
.LBB311_3982:                           ;   in Loop: Header=BB311_2079 Depth=1
	s_wait_alu 0xfffe
	s_or_b32 exec_lo, exec_lo, s21
.LBB311_3983:                           ;   in Loop: Header=BB311_2079 Depth=1
	s_wait_alu 0xfffe
	s_or_b32 exec_lo, exec_lo, s20
	v_cmp_lt_u64_e64 s8, s[16:17], v[12:13]
	v_mov_b32_e32 v12, 0
	s_and_saveexec_b32 s20, s8
	s_cbranch_execz .LBB311_3991
; %bb.3984:                             ;   in Loop: Header=BB311_2079 Depth=1
	v_lshrrev_b32_e32 v2, 24, v13
	v_bfrev_b32_e32 v12, 1
	s_mov_b32 s21, exec_lo
	s_delay_alu instid0(VALU_DEP_2)
	v_cmpx_ne_u32_e32 0x80, v2
	s_cbranch_execz .LBB311_3990
; %bb.3985:                             ;   in Loop: Header=BB311_2079 Depth=1
	v_and_b32_e32 v57, 0x7f, v2
	v_mov_b32_e32 v12, 0x7c010000
	s_mov_b32 s22, exec_lo
	s_delay_alu instid0(VALU_DEP_2)
	v_cmpx_ne_u32_e32 0x7f, v57
	s_cbranch_execz .LBB311_3989
; %bb.3986:                             ;   in Loop: Header=BB311_2079 Depth=1
	v_and_b32_e32 v12, 7, v2
	v_lshrrev_b32_e32 v13, 3, v57
	s_mov_b32 s23, exec_lo
	v_cmpx_gt_u32_e32 8, v57
; %bb.3987:                             ;   in Loop: Header=BB311_2079 Depth=1
	s_delay_alu instid0(VALU_DEP_3) | instskip(NEXT) | instid1(VALU_DEP_1)
	v_clz_i32_u32_e32 v12, v12
	v_min_u32_e32 v57, 32, v12
	s_delay_alu instid0(VALU_DEP_1) | instskip(NEXT) | instid1(VALU_DEP_1)
	v_subrev_nc_u32_e32 v12, 28, v57
	v_lshlrev_b64_e32 v[12:13], v12, v[2:3]
	v_sub_nc_u32_e32 v13, 29, v57
	s_delay_alu instid0(VALU_DEP_2)
	v_and_b32_e32 v12, 7, v12
; %bb.3988:                             ;   in Loop: Header=BB311_2079 Depth=1
	s_wait_alu 0xfffe
	s_or_b32 exec_lo, exec_lo, s23
	v_lshlrev_b32_e32 v2, 8, v2
	v_lshl_add_u32 v13, v13, 10, 0x2000
	v_lshlrev_b32_e32 v12, 23, v12
	s_delay_alu instid0(VALU_DEP_2) | instskip(NEXT) | instid1(VALU_DEP_1)
	v_and_or_b32 v2, 0x8000, v2, v13
	v_lshl_or_b32 v12, v2, 16, v12
.LBB311_3989:                           ;   in Loop: Header=BB311_2079 Depth=1
	s_wait_alu 0xfffe
	s_or_b32 exec_lo, exec_lo, s22
.LBB311_3990:                           ;   in Loop: Header=BB311_2079 Depth=1
	s_wait_alu 0xfffe
	s_or_b32 exec_lo, exec_lo, s21
.LBB311_3991:                           ;   in Loop: Header=BB311_2079 Depth=1
	s_wait_alu 0xfffe
	s_or_b32 exec_lo, exec_lo, s20
	v_or_b32_e32 v2, v44, v45
	s_wait_loadcnt_dscnt 0x0
	v_fma_mixlo_f16 v13, v41, v44, 0 op_sel:[0,1,0] op_sel_hi:[0,1,0]
	v_or_b32_e32 v43, v42, v43
	v_or_b32_e32 v44, v56, v47
	;; [unrolled: 1-line block ×3, first 2 shown]
	v_fma_mixlo_f16 v45, v41, v2, 0 op_sel_hi:[0,1,0]
	v_fma_mixlo_f16 v42, v41, v42, 0 op_sel:[0,1,0] op_sel_hi:[0,1,0]
	v_lshlrev_b32_e32 v2, 16, v13
	v_fma_mixlo_f16 v43, v41, v43, 0 op_sel_hi:[0,1,0]
	v_fma_mixlo_f16 v44, v41, v44, 0 op_sel_hi:[0,1,0]
	v_and_b32_e32 v13, 0xffff, v45
	v_fma_mixlo_f16 v45, v41, v56, 0 op_sel:[0,1,0] op_sel_hi:[0,1,0]
	v_fma_mixlo_f16 v12, v41, v12, 0 op_sel:[0,1,0] op_sel_hi:[0,1,0]
	v_fma_mixlo_f16 v41, v41, v46, 0 op_sel_hi:[0,1,0]
	v_lshlrev_b32_e32 v42, 16, v42
	v_and_b32_e32 v57, 0xffff, v43
	v_lshlrev_b32_e32 v46, 16, v45
	v_and_b32_e32 v56, 0xffff, v44
	;; [unrolled: 2-line block ×3, first 2 shown]
	v_or_b32_e32 v12, v2, v13
	v_or_b32_e32 v44, v42, v57
	;; [unrolled: 1-line block ×3, first 2 shown]
	s_delay_alu instid0(VALU_DEP_4)
	v_or_b32_e32 v41, v45, v47
	s_and_saveexec_b32 s8, s2
	s_cbranch_execz .LBB311_3993
; %bb.3992:                             ;   in Loop: Header=BB311_2079 Depth=1
	s_wait_alu 0xfffd
	v_cndmask_b32_e32 v12, 0, v57, vcc_lo
	v_cndmask_b32_e64 v41, 0, v42, s1
	v_cndmask_b32_e64 v13, 0, v13, s0
	;; [unrolled: 1-line block ×7, first 2 shown]
	v_or_b32_e32 v44, v12, v41
	v_or_b32_e32 v12, v13, v2
	;; [unrolled: 1-line block ×3, first 2 shown]
	s_delay_alu instid0(VALU_DEP_4)
	v_or_b32_e32 v41, v46, v45
.LBB311_3993:                           ;   in Loop: Header=BB311_2079 Depth=1
	s_wait_alu 0xfffe
	s_or_b32 exec_lo, exec_lo, s8
	;;#ASMSTART
	v_pk_mul_f16 v2, v98, v44;

	;;#ASMEND
	;;#ASMSTART
	v_pk_mul_f16 v12, v96, v12;

	;;#ASMEND
	;; [unrolled: 4-line block ×4, first 2 shown]
	;;#ASMSTART
	v_pk_add_f16 v2, v2, v12;

	;;#ASMEND
	;;#ASMSTART
	v_pk_add_f16 v2, v2, v13;

	;;#ASMEND
	;; [unrolled: 4-line block ×3, first 2 shown]
	v_dual_mov_b32 v45, 0 :: v_dual_and_b32 v12, 0xffff, v2
	v_lshrrev_b32_e32 v2, 16, v2
	;;#ASMSTART
	v_cvt_f32_f16 v41, v12;
	;;#ASMEND
	;;#ASMSTART
	v_cvt_f32_f16 v42, v2;
	;;#ASMEND
	flat_load_b64 v[12:13], v[10:11] offset:7424
	flat_load_b32 v43, v[26:27]
	v_mov_b32_e32 v44, 0
	s_mov_b32 s20, exec_lo
	s_wait_loadcnt_dscnt 0x101
	v_and_b32_e32 v2, 0xff, v12
	s_delay_alu instid0(VALU_DEP_1)
	v_cmpx_ne_u16_e32 0, v2
	s_cbranch_execz .LBB311_4001
; %bb.3994:                             ;   in Loop: Header=BB311_2079 Depth=1
	v_mov_b32_e32 v45, 0x8000
	s_mov_b32 s21, exec_lo
	v_cmpx_ne_u16_e32 0x80, v2
	s_cbranch_execz .LBB311_4000
; %bb.3995:                             ;   in Loop: Header=BB311_2079 Depth=1
	v_and_b32_e32 v46, 0x7f, v12
	v_mov_b32_e32 v45, 0x7c01
	s_mov_b32 s22, exec_lo
	s_delay_alu instid0(VALU_DEP_2)
	v_cmpx_ne_u32_e32 0x7f, v46
	s_cbranch_execz .LBB311_3999
; %bb.3996:                             ;   in Loop: Header=BB311_2079 Depth=1
	v_and_b32_e32 v2, 7, v12
	v_lshrrev_b32_e32 v45, 3, v46
	s_mov_b32 s23, exec_lo
	v_cmpx_gt_u32_e32 8, v46
; %bb.3997:                             ;   in Loop: Header=BB311_2079 Depth=1
	s_delay_alu instid0(VALU_DEP_3) | instskip(NEXT) | instid1(VALU_DEP_1)
	v_clz_i32_u32_e32 v2, v2
	v_min_u32_e32 v2, 32, v2
	s_delay_alu instid0(VALU_DEP_1) | instskip(NEXT) | instid1(VALU_DEP_1)
	v_subrev_nc_u32_e32 v45, 28, v2
	v_lshlrev_b64_e32 v[46:47], v45, v[12:13]
	v_sub_nc_u32_e32 v45, 29, v2
	s_delay_alu instid0(VALU_DEP_2)
	v_and_b32_e32 v2, 7, v46
; %bb.3998:                             ;   in Loop: Header=BB311_2079 Depth=1
	s_wait_alu 0xfffe
	s_or_b32 exec_lo, exec_lo, s23
	v_lshlrev_b32_e32 v46, 8, v12
	v_lshl_add_u32 v45, v45, 10, 0x2000
	v_lshlrev_b32_e32 v2, 7, v2
	s_delay_alu instid0(VALU_DEP_3) | instskip(NEXT) | instid1(VALU_DEP_3)
	v_and_b32_e32 v46, 0x8000, v46
	v_and_b32_e32 v45, 0xfc00, v45
	s_delay_alu instid0(VALU_DEP_1)
	v_or3_b32 v45, v46, v45, v2
.LBB311_3999:                           ;   in Loop: Header=BB311_2079 Depth=1
	s_wait_alu 0xfffe
	s_or_b32 exec_lo, exec_lo, s22
.LBB311_4000:                           ;   in Loop: Header=BB311_2079 Depth=1
	s_wait_alu 0xfffe
	s_or_b32 exec_lo, exec_lo, s21
.LBB311_4001:                           ;   in Loop: Header=BB311_2079 Depth=1
	s_wait_alu 0xfffe
	s_or_b32 exec_lo, exec_lo, s20
	v_lshrrev_b16 v2, 8, v12
	s_mov_b32 s20, exec_lo
	s_delay_alu instid0(VALU_DEP_1)
	v_cmpx_ne_u16_e32 0, v2
	s_cbranch_execz .LBB311_4009
; %bb.4002:                             ;   in Loop: Header=BB311_2079 Depth=1
	v_bfrev_b32_e32 v44, 1
	s_mov_b32 s21, exec_lo
	v_cmpx_ne_u16_e32 0x80, v2
	s_cbranch_execz .LBB311_4008
; %bb.4003:                             ;   in Loop: Header=BB311_2079 Depth=1
	v_and_b32_e32 v46, 0xffff, v2
	v_mov_b32_e32 v44, 0x7c010000
	s_mov_b32 s22, exec_lo
	s_delay_alu instid0(VALU_DEP_2) | instskip(NEXT) | instid1(VALU_DEP_1)
	v_and_b32_e32 v56, 0x7f, v46
	v_cmpx_ne_u32_e32 0x7f, v56
	s_cbranch_execz .LBB311_4007
; %bb.4004:                             ;   in Loop: Header=BB311_2079 Depth=1
	v_and_b32_e32 v44, 7, v46
	v_lshrrev_b32_e32 v47, 3, v56
	s_mov_b32 s23, exec_lo
	v_cmpx_gt_u32_e32 8, v56
; %bb.4005:                             ;   in Loop: Header=BB311_2079 Depth=1
	s_delay_alu instid0(VALU_DEP_3) | instskip(NEXT) | instid1(VALU_DEP_1)
	v_clz_i32_u32_e32 v44, v44
	v_min_u32_e32 v44, 32, v44
	s_delay_alu instid0(VALU_DEP_1) | instskip(NEXT) | instid1(VALU_DEP_1)
	v_subrev_nc_u32_e32 v47, 28, v44
	v_lshlrev_b64_e32 v[56:57], v47, v[2:3]
	v_sub_nc_u32_e32 v47, 29, v44
	s_delay_alu instid0(VALU_DEP_2)
	v_and_b32_e32 v44, 7, v56
; %bb.4006:                             ;   in Loop: Header=BB311_2079 Depth=1
	s_wait_alu 0xfffe
	s_or_b32 exec_lo, exec_lo, s23
	v_lshlrev_b32_e32 v2, 8, v46
	v_lshl_add_u32 v46, v47, 10, 0x2000
	v_lshlrev_b32_e32 v44, 23, v44
	s_delay_alu instid0(VALU_DEP_2) | instskip(NEXT) | instid1(VALU_DEP_1)
	v_and_or_b32 v2, 0x8000, v2, v46
	v_lshl_or_b32 v44, v2, 16, v44
.LBB311_4007:                           ;   in Loop: Header=BB311_2079 Depth=1
	s_wait_alu 0xfffe
	s_or_b32 exec_lo, exec_lo, s22
.LBB311_4008:                           ;   in Loop: Header=BB311_2079 Depth=1
	s_wait_alu 0xfffe
	s_or_b32 exec_lo, exec_lo, s21
.LBB311_4009:                           ;   in Loop: Header=BB311_2079 Depth=1
	s_wait_alu 0xfffe
	s_or_b32 exec_lo, exec_lo, s20
	v_lshrrev_b32_e32 v2, 16, v12
	v_mov_b32_e32 v46, 0
	s_mov_b32 s20, exec_lo
	s_delay_alu instid0(VALU_DEP_2) | instskip(NEXT) | instid1(VALU_DEP_1)
	v_dual_mov_b32 v47, 0 :: v_dual_and_b32 v56, 0xff, v2
	v_cmpx_ne_u16_e32 0, v56
	s_cbranch_execz .LBB311_4017
; %bb.4010:                             ;   in Loop: Header=BB311_2079 Depth=1
	v_mov_b32_e32 v47, 0x8000
	s_mov_b32 s21, exec_lo
	v_cmpx_ne_u16_e32 0x80, v56
	s_cbranch_execz .LBB311_4016
; %bb.4011:                             ;   in Loop: Header=BB311_2079 Depth=1
	v_bfe_u32 v57, v12, 16, 7
	v_mov_b32_e32 v47, 0x7c01
	s_mov_b32 s22, exec_lo
	s_delay_alu instid0(VALU_DEP_2)
	v_cmpx_ne_u32_e32 0x7f, v57
	s_cbranch_execz .LBB311_4015
; %bb.4012:                             ;   in Loop: Header=BB311_2079 Depth=1
	v_and_b32_e32 v47, 7, v2
	v_lshrrev_b32_e32 v56, 3, v57
	s_mov_b32 s23, exec_lo
	v_cmpx_gt_u32_e32 8, v57
; %bb.4013:                             ;   in Loop: Header=BB311_2079 Depth=1
	s_delay_alu instid0(VALU_DEP_3) | instskip(NEXT) | instid1(VALU_DEP_1)
	v_clz_i32_u32_e32 v47, v47
	v_min_u32_e32 v47, 32, v47
	s_delay_alu instid0(VALU_DEP_1) | instskip(NEXT) | instid1(VALU_DEP_1)
	v_subrev_nc_u32_e32 v56, 28, v47
	v_lshlrev_b64_e32 v[57:58], v56, v[2:3]
	v_sub_nc_u32_e32 v56, 29, v47
	s_delay_alu instid0(VALU_DEP_2)
	v_and_b32_e32 v47, 7, v57
; %bb.4014:                             ;   in Loop: Header=BB311_2079 Depth=1
	s_wait_alu 0xfffe
	s_or_b32 exec_lo, exec_lo, s23
	v_lshlrev_b32_e32 v2, 8, v2
	v_lshl_add_u32 v56, v56, 10, 0x2000
	v_lshlrev_b32_e32 v47, 7, v47
	s_delay_alu instid0(VALU_DEP_3) | instskip(NEXT) | instid1(VALU_DEP_3)
	v_and_b32_e32 v2, 0x8000, v2
	v_and_b32_e32 v56, 0xfc00, v56
	s_delay_alu instid0(VALU_DEP_1)
	v_or3_b32 v47, v2, v56, v47
.LBB311_4015:                           ;   in Loop: Header=BB311_2079 Depth=1
	s_wait_alu 0xfffe
	s_or_b32 exec_lo, exec_lo, s22
.LBB311_4016:                           ;   in Loop: Header=BB311_2079 Depth=1
	s_wait_alu 0xfffe
	s_or_b32 exec_lo, exec_lo, s21
.LBB311_4017:                           ;   in Loop: Header=BB311_2079 Depth=1
	s_wait_alu 0xfffe
	s_or_b32 exec_lo, exec_lo, s20
	s_delay_alu instid0(SALU_CYCLE_1)
	s_mov_b32 s20, exec_lo
	v_cmpx_lt_u32_e32 0xffffff, v12
	s_cbranch_execz .LBB311_4025
; %bb.4018:                             ;   in Loop: Header=BB311_2079 Depth=1
	v_lshrrev_b32_e32 v2, 24, v12
	v_bfrev_b32_e32 v46, 1
	s_mov_b32 s21, exec_lo
	s_delay_alu instid0(VALU_DEP_2)
	v_cmpx_ne_u32_e32 0x80, v2
	s_cbranch_execz .LBB311_4024
; %bb.4019:                             ;   in Loop: Header=BB311_2079 Depth=1
	v_and_b32_e32 v57, 0x7f, v2
	v_mov_b32_e32 v46, 0x7c010000
	s_mov_b32 s22, exec_lo
	s_delay_alu instid0(VALU_DEP_2)
	v_cmpx_ne_u32_e32 0x7f, v57
	s_cbranch_execz .LBB311_4023
; %bb.4020:                             ;   in Loop: Header=BB311_2079 Depth=1
	v_and_b32_e32 v46, 7, v2
	v_lshrrev_b32_e32 v56, 3, v57
	s_mov_b32 s23, exec_lo
	v_cmpx_gt_u32_e32 8, v57
; %bb.4021:                             ;   in Loop: Header=BB311_2079 Depth=1
	s_delay_alu instid0(VALU_DEP_3) | instskip(NEXT) | instid1(VALU_DEP_1)
	v_clz_i32_u32_e32 v46, v46
	v_min_u32_e32 v46, 32, v46
	s_delay_alu instid0(VALU_DEP_1) | instskip(NEXT) | instid1(VALU_DEP_1)
	v_subrev_nc_u32_e32 v56, 28, v46
	v_lshlrev_b64_e32 v[57:58], v56, v[2:3]
	v_sub_nc_u32_e32 v56, 29, v46
	s_delay_alu instid0(VALU_DEP_2)
	v_and_b32_e32 v46, 7, v57
; %bb.4022:                             ;   in Loop: Header=BB311_2079 Depth=1
	s_wait_alu 0xfffe
	s_or_b32 exec_lo, exec_lo, s23
	v_lshlrev_b32_e32 v2, 8, v2
	v_lshl_add_u32 v56, v56, 10, 0x2000
	v_lshlrev_b32_e32 v46, 23, v46
	s_delay_alu instid0(VALU_DEP_2) | instskip(NEXT) | instid1(VALU_DEP_1)
	v_and_or_b32 v2, 0x8000, v2, v56
	v_lshl_or_b32 v46, v2, 16, v46
.LBB311_4023:                           ;   in Loop: Header=BB311_2079 Depth=1
	s_wait_alu 0xfffe
	s_or_b32 exec_lo, exec_lo, s22
.LBB311_4024:                           ;   in Loop: Header=BB311_2079 Depth=1
	s_wait_alu 0xfffe
	s_or_b32 exec_lo, exec_lo, s21
.LBB311_4025:                           ;   in Loop: Header=BB311_2079 Depth=1
	s_wait_alu 0xfffe
	s_or_b32 exec_lo, exec_lo, s20
	v_dual_mov_b32 v57, 0 :: v_dual_and_b32 v58, 0xff, v13
	v_mov_b32_e32 v2, v13
	v_mov_b32_e32 v56, 0
	s_mov_b32 s20, exec_lo
	s_delay_alu instid0(VALU_DEP_3)
	v_cmpx_ne_u16_e32 0, v58
	s_cbranch_execz .LBB311_4033
; %bb.4026:                             ;   in Loop: Header=BB311_2079 Depth=1
	v_mov_b32_e32 v57, 0x8000
	s_mov_b32 s21, exec_lo
	v_cmpx_ne_u16_e32 0x80, v58
	s_cbranch_execz .LBB311_4032
; %bb.4027:                             ;   in Loop: Header=BB311_2079 Depth=1
	v_and_b32_e32 v59, 0x7f, v13
	v_mov_b32_e32 v57, 0x7c01
	s_mov_b32 s22, exec_lo
	s_delay_alu instid0(VALU_DEP_2)
	v_cmpx_ne_u32_e32 0x7f, v59
	s_cbranch_execz .LBB311_4031
; %bb.4028:                             ;   in Loop: Header=BB311_2079 Depth=1
	v_and_b32_e32 v57, 7, v13
	v_lshrrev_b32_e32 v58, 3, v59
	s_mov_b32 s23, exec_lo
	v_cmpx_gt_u32_e32 8, v59
; %bb.4029:                             ;   in Loop: Header=BB311_2079 Depth=1
	s_delay_alu instid0(VALU_DEP_3) | instskip(NEXT) | instid1(VALU_DEP_1)
	v_clz_i32_u32_e32 v57, v57
	v_min_u32_e32 v59, 32, v57
	s_delay_alu instid0(VALU_DEP_1) | instskip(NEXT) | instid1(VALU_DEP_1)
	v_subrev_nc_u32_e32 v57, 28, v59
	v_lshlrev_b64_e32 v[57:58], v57, v[2:3]
	v_sub_nc_u32_e32 v58, 29, v59
	s_delay_alu instid0(VALU_DEP_2)
	v_and_b32_e32 v57, 7, v57
; %bb.4030:                             ;   in Loop: Header=BB311_2079 Depth=1
	s_wait_alu 0xfffe
	s_or_b32 exec_lo, exec_lo, s23
	v_lshlrev_b32_e32 v59, 8, v13
	v_lshl_add_u32 v58, v58, 10, 0x2000
	v_lshlrev_b32_e32 v57, 7, v57
	s_delay_alu instid0(VALU_DEP_3) | instskip(NEXT) | instid1(VALU_DEP_3)
	v_and_b32_e32 v59, 0x8000, v59
	v_and_b32_e32 v58, 0xfc00, v58
	s_delay_alu instid0(VALU_DEP_1)
	v_or3_b32 v57, v59, v58, v57
.LBB311_4031:                           ;   in Loop: Header=BB311_2079 Depth=1
	s_wait_alu 0xfffe
	s_or_b32 exec_lo, exec_lo, s22
.LBB311_4032:                           ;   in Loop: Header=BB311_2079 Depth=1
	s_wait_alu 0xfffe
	s_or_b32 exec_lo, exec_lo, s21
.LBB311_4033:                           ;   in Loop: Header=BB311_2079 Depth=1
	s_wait_alu 0xfffe
	s_or_b32 exec_lo, exec_lo, s20
	v_lshrrev_b16 v2, 8, v2
	v_mov_b32_e32 v58, 0
	s_mov_b32 s20, exec_lo
	s_delay_alu instid0(VALU_DEP_2)
	v_cmpx_ne_u16_e32 0, v2
	s_cbranch_execz .LBB311_4041
; %bb.4034:                             ;   in Loop: Header=BB311_2079 Depth=1
	v_bfrev_b32_e32 v58, 1
	s_mov_b32 s21, exec_lo
	v_cmpx_ne_u16_e32 0x80, v2
	s_cbranch_execz .LBB311_4040
; %bb.4035:                             ;   in Loop: Header=BB311_2079 Depth=1
	v_and_b32_e32 v59, 0xffff, v2
	v_mov_b32_e32 v58, 0x7c010000
	s_mov_b32 s22, exec_lo
	s_delay_alu instid0(VALU_DEP_2) | instskip(NEXT) | instid1(VALU_DEP_1)
	v_and_b32_e32 v61, 0x7f, v59
	v_cmpx_ne_u32_e32 0x7f, v61
	s_cbranch_execz .LBB311_4039
; %bb.4036:                             ;   in Loop: Header=BB311_2079 Depth=1
	v_and_b32_e32 v58, 7, v59
	v_lshrrev_b32_e32 v60, 3, v61
	s_mov_b32 s23, exec_lo
	v_cmpx_gt_u32_e32 8, v61
; %bb.4037:                             ;   in Loop: Header=BB311_2079 Depth=1
	s_delay_alu instid0(VALU_DEP_3) | instskip(NEXT) | instid1(VALU_DEP_1)
	v_clz_i32_u32_e32 v58, v58
	v_min_u32_e32 v58, 32, v58
	s_delay_alu instid0(VALU_DEP_1) | instskip(NEXT) | instid1(VALU_DEP_1)
	v_subrev_nc_u32_e32 v60, 28, v58
	v_lshlrev_b64_e32 v[61:62], v60, v[2:3]
	v_sub_nc_u32_e32 v60, 29, v58
	s_delay_alu instid0(VALU_DEP_2)
	v_and_b32_e32 v58, 7, v61
; %bb.4038:                             ;   in Loop: Header=BB311_2079 Depth=1
	s_wait_alu 0xfffe
	s_or_b32 exec_lo, exec_lo, s23
	v_lshlrev_b32_e32 v2, 8, v59
	v_lshl_add_u32 v59, v60, 10, 0x2000
	v_lshlrev_b32_e32 v58, 23, v58
	s_delay_alu instid0(VALU_DEP_2) | instskip(NEXT) | instid1(VALU_DEP_1)
	v_and_or_b32 v2, 0x8000, v2, v59
	v_lshl_or_b32 v58, v2, 16, v58
.LBB311_4039:                           ;   in Loop: Header=BB311_2079 Depth=1
	s_wait_alu 0xfffe
	s_or_b32 exec_lo, exec_lo, s22
.LBB311_4040:                           ;   in Loop: Header=BB311_2079 Depth=1
	s_wait_alu 0xfffe
	s_or_b32 exec_lo, exec_lo, s21
.LBB311_4041:                           ;   in Loop: Header=BB311_2079 Depth=1
	s_wait_alu 0xfffe
	s_or_b32 exec_lo, exec_lo, s20
	v_lshrrev_b32_e32 v2, 16, v13
	s_mov_b32 s20, exec_lo
	s_delay_alu instid0(VALU_DEP_1) | instskip(NEXT) | instid1(VALU_DEP_1)
	v_and_b32_e32 v59, 0xff, v2
	v_cmpx_ne_u16_e32 0, v59
	s_cbranch_execz .LBB311_4049
; %bb.4042:                             ;   in Loop: Header=BB311_2079 Depth=1
	v_mov_b32_e32 v56, 0x8000
	s_mov_b32 s21, exec_lo
	v_cmpx_ne_u16_e32 0x80, v59
	s_cbranch_execz .LBB311_4048
; %bb.4043:                             ;   in Loop: Header=BB311_2079 Depth=1
	v_bfe_u32 v60, v13, 16, 7
	v_mov_b32_e32 v56, 0x7c01
	s_mov_b32 s22, exec_lo
	s_delay_alu instid0(VALU_DEP_2)
	v_cmpx_ne_u32_e32 0x7f, v60
	s_cbranch_execz .LBB311_4047
; %bb.4044:                             ;   in Loop: Header=BB311_2079 Depth=1
	v_and_b32_e32 v56, 7, v2
	v_lshrrev_b32_e32 v59, 3, v60
	s_mov_b32 s23, exec_lo
	v_cmpx_gt_u32_e32 8, v60
; %bb.4045:                             ;   in Loop: Header=BB311_2079 Depth=1
	s_delay_alu instid0(VALU_DEP_3) | instskip(NEXT) | instid1(VALU_DEP_1)
	v_clz_i32_u32_e32 v56, v56
	v_min_u32_e32 v56, 32, v56
	s_delay_alu instid0(VALU_DEP_1) | instskip(NEXT) | instid1(VALU_DEP_1)
	v_subrev_nc_u32_e32 v59, 28, v56
	v_lshlrev_b64_e32 v[60:61], v59, v[2:3]
	v_sub_nc_u32_e32 v59, 29, v56
	s_delay_alu instid0(VALU_DEP_2)
	v_and_b32_e32 v56, 7, v60
; %bb.4046:                             ;   in Loop: Header=BB311_2079 Depth=1
	s_wait_alu 0xfffe
	s_or_b32 exec_lo, exec_lo, s23
	v_lshlrev_b32_e32 v2, 8, v2
	v_lshl_add_u32 v59, v59, 10, 0x2000
	v_lshlrev_b32_e32 v56, 7, v56
	s_delay_alu instid0(VALU_DEP_3) | instskip(NEXT) | instid1(VALU_DEP_3)
	v_and_b32_e32 v2, 0x8000, v2
	v_and_b32_e32 v59, 0xfc00, v59
	s_delay_alu instid0(VALU_DEP_1)
	v_or3_b32 v56, v2, v59, v56
.LBB311_4047:                           ;   in Loop: Header=BB311_2079 Depth=1
	s_wait_alu 0xfffe
	s_or_b32 exec_lo, exec_lo, s22
.LBB311_4048:                           ;   in Loop: Header=BB311_2079 Depth=1
	s_wait_alu 0xfffe
	s_or_b32 exec_lo, exec_lo, s21
.LBB311_4049:                           ;   in Loop: Header=BB311_2079 Depth=1
	s_wait_alu 0xfffe
	s_or_b32 exec_lo, exec_lo, s20
	v_cmp_lt_u64_e64 s8, s[16:17], v[12:13]
	v_mov_b32_e32 v12, 0
	s_and_saveexec_b32 s20, s8
	s_cbranch_execz .LBB311_4057
; %bb.4050:                             ;   in Loop: Header=BB311_2079 Depth=1
	v_lshrrev_b32_e32 v2, 24, v13
	v_bfrev_b32_e32 v12, 1
	s_mov_b32 s21, exec_lo
	s_delay_alu instid0(VALU_DEP_2)
	v_cmpx_ne_u32_e32 0x80, v2
	s_cbranch_execz .LBB311_4056
; %bb.4051:                             ;   in Loop: Header=BB311_2079 Depth=1
	v_and_b32_e32 v59, 0x7f, v2
	v_mov_b32_e32 v12, 0x7c010000
	s_mov_b32 s22, exec_lo
	s_delay_alu instid0(VALU_DEP_2)
	v_cmpx_ne_u32_e32 0x7f, v59
	s_cbranch_execz .LBB311_4055
; %bb.4052:                             ;   in Loop: Header=BB311_2079 Depth=1
	v_and_b32_e32 v12, 7, v2
	v_lshrrev_b32_e32 v13, 3, v59
	s_mov_b32 s23, exec_lo
	v_cmpx_gt_u32_e32 8, v59
; %bb.4053:                             ;   in Loop: Header=BB311_2079 Depth=1
	s_delay_alu instid0(VALU_DEP_3) | instskip(NEXT) | instid1(VALU_DEP_1)
	v_clz_i32_u32_e32 v12, v12
	v_min_u32_e32 v59, 32, v12
	s_delay_alu instid0(VALU_DEP_1) | instskip(NEXT) | instid1(VALU_DEP_1)
	v_subrev_nc_u32_e32 v12, 28, v59
	v_lshlrev_b64_e32 v[12:13], v12, v[2:3]
	v_sub_nc_u32_e32 v13, 29, v59
	s_delay_alu instid0(VALU_DEP_2)
	v_and_b32_e32 v12, 7, v12
; %bb.4054:                             ;   in Loop: Header=BB311_2079 Depth=1
	s_wait_alu 0xfffe
	s_or_b32 exec_lo, exec_lo, s23
	v_lshlrev_b32_e32 v2, 8, v2
	v_lshl_add_u32 v13, v13, 10, 0x2000
	v_lshlrev_b32_e32 v12, 23, v12
	s_delay_alu instid0(VALU_DEP_2) | instskip(NEXT) | instid1(VALU_DEP_1)
	v_and_or_b32 v2, 0x8000, v2, v13
	v_lshl_or_b32 v12, v2, 16, v12
.LBB311_4055:                           ;   in Loop: Header=BB311_2079 Depth=1
	s_wait_alu 0xfffe
	s_or_b32 exec_lo, exec_lo, s22
.LBB311_4056:                           ;   in Loop: Header=BB311_2079 Depth=1
	s_wait_alu 0xfffe
	s_or_b32 exec_lo, exec_lo, s21
.LBB311_4057:                           ;   in Loop: Header=BB311_2079 Depth=1
	s_wait_alu 0xfffe
	s_or_b32 exec_lo, exec_lo, s20
	v_or_b32_e32 v2, v46, v47
	s_wait_loadcnt_dscnt 0x0
	v_fma_mixlo_f16 v13, v43, v46, 0 op_sel:[0,1,0] op_sel_hi:[0,1,0]
	v_or_b32_e32 v45, v44, v45
	v_or_b32_e32 v46, v58, v57
	;; [unrolled: 1-line block ×3, first 2 shown]
	v_fma_mixlo_f16 v47, v43, v2, 0 op_sel_hi:[0,1,0]
	v_fma_mixlo_f16 v44, v43, v44, 0 op_sel:[0,1,0] op_sel_hi:[0,1,0]
	v_lshlrev_b32_e32 v2, 16, v13
	v_fma_mixlo_f16 v45, v43, v45, 0 op_sel_hi:[0,1,0]
	v_fma_mixlo_f16 v46, v43, v46, 0 op_sel_hi:[0,1,0]
	v_and_b32_e32 v13, 0xffff, v47
	v_fma_mixlo_f16 v47, v43, v58, 0 op_sel:[0,1,0] op_sel_hi:[0,1,0]
	v_fma_mixlo_f16 v12, v43, v12, 0 op_sel:[0,1,0] op_sel_hi:[0,1,0]
	v_fma_mixlo_f16 v43, v43, v56, 0 op_sel_hi:[0,1,0]
	v_lshlrev_b32_e32 v44, 16, v44
	v_and_b32_e32 v59, 0xffff, v45
	v_lshlrev_b32_e32 v56, 16, v47
	v_and_b32_e32 v58, 0xffff, v46
	;; [unrolled: 2-line block ×3, first 2 shown]
	v_or_b32_e32 v12, v2, v13
	v_or_b32_e32 v46, v44, v59
	;; [unrolled: 1-line block ×3, first 2 shown]
	s_delay_alu instid0(VALU_DEP_4)
	v_or_b32_e32 v43, v47, v57
	s_and_saveexec_b32 s8, s2
	s_cbranch_execz .LBB311_4059
; %bb.4058:                             ;   in Loop: Header=BB311_2079 Depth=1
	s_wait_alu 0xfffd
	v_cndmask_b32_e32 v12, 0, v59, vcc_lo
	v_cndmask_b32_e64 v43, 0, v44, s1
	v_cndmask_b32_e64 v13, 0, v13, s0
	;; [unrolled: 1-line block ×7, first 2 shown]
	v_or_b32_e32 v46, v12, v43
	v_or_b32_e32 v12, v13, v2
	;; [unrolled: 1-line block ×3, first 2 shown]
	s_delay_alu instid0(VALU_DEP_4)
	v_or_b32_e32 v43, v56, v47
.LBB311_4059:                           ;   in Loop: Header=BB311_2079 Depth=1
	s_wait_alu 0xfffe
	s_or_b32 exec_lo, exec_lo, s8
	;;#ASMSTART
	v_pk_mul_f16 v2, v98, v46;

	;;#ASMEND
	;;#ASMSTART
	v_pk_mul_f16 v12, v96, v12;

	;;#ASMEND
	;; [unrolled: 4-line block ×4, first 2 shown]
	;;#ASMSTART
	v_pk_add_f16 v2, v2, v12;

	;;#ASMEND
	;;#ASMSTART
	v_pk_add_f16 v2, v2, v13;

	;;#ASMEND
	;; [unrolled: 4-line block ×3, first 2 shown]
	v_dual_mov_b32 v45, 0 :: v_dual_and_b32 v12, 0xffff, v2
	v_lshrrev_b32_e32 v2, 16, v2
	;;#ASMSTART
	v_cvt_f32_f16 v12, v12;
	;;#ASMEND
	;;#ASMSTART
	v_cvt_f32_f16 v13, v2;
	;;#ASMEND
	flat_load_b64 v[10:11], v[10:11] offset:7680
	flat_load_b32 v43, v[26:27]
	v_mov_b32_e32 v44, 0
	s_mov_b32 s20, exec_lo
	s_wait_loadcnt_dscnt 0x101
	v_and_b32_e32 v2, 0xff, v10
	s_delay_alu instid0(VALU_DEP_1)
	v_cmpx_ne_u16_e32 0, v2
	s_cbranch_execz .LBB311_4067
; %bb.4060:                             ;   in Loop: Header=BB311_2079 Depth=1
	v_mov_b32_e32 v45, 0x8000
	s_mov_b32 s21, exec_lo
	v_cmpx_ne_u16_e32 0x80, v2
	s_cbranch_execz .LBB311_4066
; %bb.4061:                             ;   in Loop: Header=BB311_2079 Depth=1
	v_and_b32_e32 v46, 0x7f, v10
	v_mov_b32_e32 v45, 0x7c01
	s_mov_b32 s22, exec_lo
	s_delay_alu instid0(VALU_DEP_2)
	v_cmpx_ne_u32_e32 0x7f, v46
	s_cbranch_execz .LBB311_4065
; %bb.4062:                             ;   in Loop: Header=BB311_2079 Depth=1
	v_and_b32_e32 v2, 7, v10
	v_lshrrev_b32_e32 v45, 3, v46
	s_mov_b32 s23, exec_lo
	v_cmpx_gt_u32_e32 8, v46
; %bb.4063:                             ;   in Loop: Header=BB311_2079 Depth=1
	s_delay_alu instid0(VALU_DEP_3) | instskip(NEXT) | instid1(VALU_DEP_1)
	v_clz_i32_u32_e32 v2, v2
	v_min_u32_e32 v2, 32, v2
	s_delay_alu instid0(VALU_DEP_1) | instskip(NEXT) | instid1(VALU_DEP_1)
	v_subrev_nc_u32_e32 v45, 28, v2
	v_lshlrev_b64_e32 v[46:47], v45, v[10:11]
	v_sub_nc_u32_e32 v45, 29, v2
	s_delay_alu instid0(VALU_DEP_2)
	v_and_b32_e32 v2, 7, v46
; %bb.4064:                             ;   in Loop: Header=BB311_2079 Depth=1
	s_wait_alu 0xfffe
	s_or_b32 exec_lo, exec_lo, s23
	v_lshlrev_b32_e32 v46, 8, v10
	v_lshl_add_u32 v45, v45, 10, 0x2000
	v_lshlrev_b32_e32 v2, 7, v2
	s_delay_alu instid0(VALU_DEP_3) | instskip(NEXT) | instid1(VALU_DEP_3)
	v_and_b32_e32 v46, 0x8000, v46
	v_and_b32_e32 v45, 0xfc00, v45
	s_delay_alu instid0(VALU_DEP_1)
	v_or3_b32 v45, v46, v45, v2
.LBB311_4065:                           ;   in Loop: Header=BB311_2079 Depth=1
	s_wait_alu 0xfffe
	s_or_b32 exec_lo, exec_lo, s22
.LBB311_4066:                           ;   in Loop: Header=BB311_2079 Depth=1
	s_wait_alu 0xfffe
	s_or_b32 exec_lo, exec_lo, s21
.LBB311_4067:                           ;   in Loop: Header=BB311_2079 Depth=1
	s_wait_alu 0xfffe
	s_or_b32 exec_lo, exec_lo, s20
	v_lshrrev_b16 v2, 8, v10
	s_mov_b32 s20, exec_lo
	s_delay_alu instid0(VALU_DEP_1)
	v_cmpx_ne_u16_e32 0, v2
	s_cbranch_execz .LBB311_4075
; %bb.4068:                             ;   in Loop: Header=BB311_2079 Depth=1
	v_bfrev_b32_e32 v44, 1
	s_mov_b32 s21, exec_lo
	v_cmpx_ne_u16_e32 0x80, v2
	s_cbranch_execz .LBB311_4074
; %bb.4069:                             ;   in Loop: Header=BB311_2079 Depth=1
	v_and_b32_e32 v46, 0xffff, v2
	v_mov_b32_e32 v44, 0x7c010000
	s_mov_b32 s22, exec_lo
	s_delay_alu instid0(VALU_DEP_2) | instskip(NEXT) | instid1(VALU_DEP_1)
	v_and_b32_e32 v56, 0x7f, v46
	v_cmpx_ne_u32_e32 0x7f, v56
	s_cbranch_execz .LBB311_4073
; %bb.4070:                             ;   in Loop: Header=BB311_2079 Depth=1
	v_and_b32_e32 v44, 7, v46
	v_lshrrev_b32_e32 v47, 3, v56
	s_mov_b32 s23, exec_lo
	v_cmpx_gt_u32_e32 8, v56
; %bb.4071:                             ;   in Loop: Header=BB311_2079 Depth=1
	s_delay_alu instid0(VALU_DEP_3) | instskip(NEXT) | instid1(VALU_DEP_1)
	v_clz_i32_u32_e32 v44, v44
	v_min_u32_e32 v44, 32, v44
	s_delay_alu instid0(VALU_DEP_1) | instskip(NEXT) | instid1(VALU_DEP_1)
	v_subrev_nc_u32_e32 v47, 28, v44
	v_lshlrev_b64_e32 v[56:57], v47, v[2:3]
	v_sub_nc_u32_e32 v47, 29, v44
	s_delay_alu instid0(VALU_DEP_2)
	v_and_b32_e32 v44, 7, v56
; %bb.4072:                             ;   in Loop: Header=BB311_2079 Depth=1
	s_wait_alu 0xfffe
	s_or_b32 exec_lo, exec_lo, s23
	v_lshlrev_b32_e32 v2, 8, v46
	v_lshl_add_u32 v46, v47, 10, 0x2000
	v_lshlrev_b32_e32 v44, 23, v44
	s_delay_alu instid0(VALU_DEP_2) | instskip(NEXT) | instid1(VALU_DEP_1)
	v_and_or_b32 v2, 0x8000, v2, v46
	v_lshl_or_b32 v44, v2, 16, v44
.LBB311_4073:                           ;   in Loop: Header=BB311_2079 Depth=1
	s_wait_alu 0xfffe
	s_or_b32 exec_lo, exec_lo, s22
.LBB311_4074:                           ;   in Loop: Header=BB311_2079 Depth=1
	s_wait_alu 0xfffe
	s_or_b32 exec_lo, exec_lo, s21
.LBB311_4075:                           ;   in Loop: Header=BB311_2079 Depth=1
	s_wait_alu 0xfffe
	s_or_b32 exec_lo, exec_lo, s20
	v_lshrrev_b32_e32 v2, 16, v10
	v_mov_b32_e32 v46, 0
	s_mov_b32 s20, exec_lo
	s_delay_alu instid0(VALU_DEP_2) | instskip(NEXT) | instid1(VALU_DEP_1)
	v_dual_mov_b32 v47, 0 :: v_dual_and_b32 v56, 0xff, v2
	v_cmpx_ne_u16_e32 0, v56
	s_cbranch_execz .LBB311_4083
; %bb.4076:                             ;   in Loop: Header=BB311_2079 Depth=1
	v_mov_b32_e32 v47, 0x8000
	s_mov_b32 s21, exec_lo
	v_cmpx_ne_u16_e32 0x80, v56
	s_cbranch_execz .LBB311_4082
; %bb.4077:                             ;   in Loop: Header=BB311_2079 Depth=1
	v_bfe_u32 v57, v10, 16, 7
	v_mov_b32_e32 v47, 0x7c01
	s_mov_b32 s22, exec_lo
	s_delay_alu instid0(VALU_DEP_2)
	v_cmpx_ne_u32_e32 0x7f, v57
	s_cbranch_execz .LBB311_4081
; %bb.4078:                             ;   in Loop: Header=BB311_2079 Depth=1
	v_and_b32_e32 v47, 7, v2
	v_lshrrev_b32_e32 v56, 3, v57
	s_mov_b32 s23, exec_lo
	v_cmpx_gt_u32_e32 8, v57
; %bb.4079:                             ;   in Loop: Header=BB311_2079 Depth=1
	s_delay_alu instid0(VALU_DEP_3) | instskip(NEXT) | instid1(VALU_DEP_1)
	v_clz_i32_u32_e32 v47, v47
	v_min_u32_e32 v47, 32, v47
	s_delay_alu instid0(VALU_DEP_1) | instskip(NEXT) | instid1(VALU_DEP_1)
	v_subrev_nc_u32_e32 v56, 28, v47
	v_lshlrev_b64_e32 v[57:58], v56, v[2:3]
	v_sub_nc_u32_e32 v56, 29, v47
	s_delay_alu instid0(VALU_DEP_2)
	v_and_b32_e32 v47, 7, v57
; %bb.4080:                             ;   in Loop: Header=BB311_2079 Depth=1
	s_wait_alu 0xfffe
	s_or_b32 exec_lo, exec_lo, s23
	v_lshlrev_b32_e32 v2, 8, v2
	v_lshl_add_u32 v56, v56, 10, 0x2000
	v_lshlrev_b32_e32 v47, 7, v47
	s_delay_alu instid0(VALU_DEP_3) | instskip(NEXT) | instid1(VALU_DEP_3)
	v_and_b32_e32 v2, 0x8000, v2
	v_and_b32_e32 v56, 0xfc00, v56
	s_delay_alu instid0(VALU_DEP_1)
	v_or3_b32 v47, v2, v56, v47
.LBB311_4081:                           ;   in Loop: Header=BB311_2079 Depth=1
	s_wait_alu 0xfffe
	s_or_b32 exec_lo, exec_lo, s22
.LBB311_4082:                           ;   in Loop: Header=BB311_2079 Depth=1
	s_wait_alu 0xfffe
	s_or_b32 exec_lo, exec_lo, s21
.LBB311_4083:                           ;   in Loop: Header=BB311_2079 Depth=1
	s_wait_alu 0xfffe
	s_or_b32 exec_lo, exec_lo, s20
	s_delay_alu instid0(SALU_CYCLE_1)
	s_mov_b32 s20, exec_lo
	v_cmpx_lt_u32_e32 0xffffff, v10
	s_cbranch_execz .LBB311_4091
; %bb.4084:                             ;   in Loop: Header=BB311_2079 Depth=1
	v_lshrrev_b32_e32 v2, 24, v10
	v_bfrev_b32_e32 v46, 1
	s_mov_b32 s21, exec_lo
	s_delay_alu instid0(VALU_DEP_2)
	v_cmpx_ne_u32_e32 0x80, v2
	s_cbranch_execz .LBB311_4090
; %bb.4085:                             ;   in Loop: Header=BB311_2079 Depth=1
	v_and_b32_e32 v57, 0x7f, v2
	v_mov_b32_e32 v46, 0x7c010000
	s_mov_b32 s22, exec_lo
	s_delay_alu instid0(VALU_DEP_2)
	v_cmpx_ne_u32_e32 0x7f, v57
	s_cbranch_execz .LBB311_4089
; %bb.4086:                             ;   in Loop: Header=BB311_2079 Depth=1
	v_and_b32_e32 v46, 7, v2
	v_lshrrev_b32_e32 v56, 3, v57
	s_mov_b32 s23, exec_lo
	v_cmpx_gt_u32_e32 8, v57
; %bb.4087:                             ;   in Loop: Header=BB311_2079 Depth=1
	s_delay_alu instid0(VALU_DEP_3) | instskip(NEXT) | instid1(VALU_DEP_1)
	v_clz_i32_u32_e32 v46, v46
	v_min_u32_e32 v46, 32, v46
	s_delay_alu instid0(VALU_DEP_1) | instskip(NEXT) | instid1(VALU_DEP_1)
	v_subrev_nc_u32_e32 v56, 28, v46
	v_lshlrev_b64_e32 v[57:58], v56, v[2:3]
	v_sub_nc_u32_e32 v56, 29, v46
	s_delay_alu instid0(VALU_DEP_2)
	v_and_b32_e32 v46, 7, v57
; %bb.4088:                             ;   in Loop: Header=BB311_2079 Depth=1
	s_wait_alu 0xfffe
	s_or_b32 exec_lo, exec_lo, s23
	v_lshlrev_b32_e32 v2, 8, v2
	v_lshl_add_u32 v56, v56, 10, 0x2000
	v_lshlrev_b32_e32 v46, 23, v46
	s_delay_alu instid0(VALU_DEP_2) | instskip(NEXT) | instid1(VALU_DEP_1)
	v_and_or_b32 v2, 0x8000, v2, v56
	v_lshl_or_b32 v46, v2, 16, v46
.LBB311_4089:                           ;   in Loop: Header=BB311_2079 Depth=1
	s_wait_alu 0xfffe
	s_or_b32 exec_lo, exec_lo, s22
.LBB311_4090:                           ;   in Loop: Header=BB311_2079 Depth=1
	s_wait_alu 0xfffe
	s_or_b32 exec_lo, exec_lo, s21
.LBB311_4091:                           ;   in Loop: Header=BB311_2079 Depth=1
	s_wait_alu 0xfffe
	s_or_b32 exec_lo, exec_lo, s20
	v_dual_mov_b32 v57, 0 :: v_dual_and_b32 v58, 0xff, v11
	v_mov_b32_e32 v2, v11
	v_mov_b32_e32 v56, 0
	s_mov_b32 s20, exec_lo
	s_delay_alu instid0(VALU_DEP_3)
	v_cmpx_ne_u16_e32 0, v58
	s_cbranch_execz .LBB311_4099
; %bb.4092:                             ;   in Loop: Header=BB311_2079 Depth=1
	v_mov_b32_e32 v57, 0x8000
	s_mov_b32 s21, exec_lo
	v_cmpx_ne_u16_e32 0x80, v58
	s_cbranch_execz .LBB311_4098
; %bb.4093:                             ;   in Loop: Header=BB311_2079 Depth=1
	v_and_b32_e32 v59, 0x7f, v11
	v_mov_b32_e32 v57, 0x7c01
	s_mov_b32 s22, exec_lo
	s_delay_alu instid0(VALU_DEP_2)
	v_cmpx_ne_u32_e32 0x7f, v59
	s_cbranch_execz .LBB311_4097
; %bb.4094:                             ;   in Loop: Header=BB311_2079 Depth=1
	v_and_b32_e32 v57, 7, v11
	v_lshrrev_b32_e32 v58, 3, v59
	s_mov_b32 s23, exec_lo
	v_cmpx_gt_u32_e32 8, v59
; %bb.4095:                             ;   in Loop: Header=BB311_2079 Depth=1
	s_delay_alu instid0(VALU_DEP_3) | instskip(NEXT) | instid1(VALU_DEP_1)
	v_clz_i32_u32_e32 v57, v57
	v_min_u32_e32 v59, 32, v57
	s_delay_alu instid0(VALU_DEP_1) | instskip(NEXT) | instid1(VALU_DEP_1)
	v_subrev_nc_u32_e32 v57, 28, v59
	v_lshlrev_b64_e32 v[57:58], v57, v[2:3]
	v_sub_nc_u32_e32 v58, 29, v59
	s_delay_alu instid0(VALU_DEP_2)
	v_and_b32_e32 v57, 7, v57
; %bb.4096:                             ;   in Loop: Header=BB311_2079 Depth=1
	s_wait_alu 0xfffe
	s_or_b32 exec_lo, exec_lo, s23
	v_lshlrev_b32_e32 v59, 8, v11
	v_lshl_add_u32 v58, v58, 10, 0x2000
	v_lshlrev_b32_e32 v57, 7, v57
	s_delay_alu instid0(VALU_DEP_3) | instskip(NEXT) | instid1(VALU_DEP_3)
	v_and_b32_e32 v59, 0x8000, v59
	v_and_b32_e32 v58, 0xfc00, v58
	s_delay_alu instid0(VALU_DEP_1)
	v_or3_b32 v57, v59, v58, v57
.LBB311_4097:                           ;   in Loop: Header=BB311_2079 Depth=1
	s_wait_alu 0xfffe
	s_or_b32 exec_lo, exec_lo, s22
.LBB311_4098:                           ;   in Loop: Header=BB311_2079 Depth=1
	s_wait_alu 0xfffe
	s_or_b32 exec_lo, exec_lo, s21
.LBB311_4099:                           ;   in Loop: Header=BB311_2079 Depth=1
	s_wait_alu 0xfffe
	s_or_b32 exec_lo, exec_lo, s20
	v_lshrrev_b16 v2, 8, v2
	v_mov_b32_e32 v58, 0
	s_mov_b32 s20, exec_lo
	s_delay_alu instid0(VALU_DEP_2)
	v_cmpx_ne_u16_e32 0, v2
	s_cbranch_execz .LBB311_4107
; %bb.4100:                             ;   in Loop: Header=BB311_2079 Depth=1
	v_bfrev_b32_e32 v58, 1
	s_mov_b32 s21, exec_lo
	v_cmpx_ne_u16_e32 0x80, v2
	s_cbranch_execz .LBB311_4106
; %bb.4101:                             ;   in Loop: Header=BB311_2079 Depth=1
	v_and_b32_e32 v59, 0xffff, v2
	v_mov_b32_e32 v58, 0x7c010000
	s_mov_b32 s22, exec_lo
	s_delay_alu instid0(VALU_DEP_2) | instskip(NEXT) | instid1(VALU_DEP_1)
	v_and_b32_e32 v61, 0x7f, v59
	v_cmpx_ne_u32_e32 0x7f, v61
	s_cbranch_execz .LBB311_4105
; %bb.4102:                             ;   in Loop: Header=BB311_2079 Depth=1
	v_and_b32_e32 v58, 7, v59
	v_lshrrev_b32_e32 v60, 3, v61
	s_mov_b32 s23, exec_lo
	v_cmpx_gt_u32_e32 8, v61
; %bb.4103:                             ;   in Loop: Header=BB311_2079 Depth=1
	s_delay_alu instid0(VALU_DEP_3) | instskip(NEXT) | instid1(VALU_DEP_1)
	v_clz_i32_u32_e32 v58, v58
	v_min_u32_e32 v58, 32, v58
	s_delay_alu instid0(VALU_DEP_1) | instskip(NEXT) | instid1(VALU_DEP_1)
	v_subrev_nc_u32_e32 v60, 28, v58
	v_lshlrev_b64_e32 v[61:62], v60, v[2:3]
	v_sub_nc_u32_e32 v60, 29, v58
	s_delay_alu instid0(VALU_DEP_2)
	v_and_b32_e32 v58, 7, v61
; %bb.4104:                             ;   in Loop: Header=BB311_2079 Depth=1
	s_wait_alu 0xfffe
	s_or_b32 exec_lo, exec_lo, s23
	v_lshlrev_b32_e32 v2, 8, v59
	v_lshl_add_u32 v59, v60, 10, 0x2000
	v_lshlrev_b32_e32 v58, 23, v58
	s_delay_alu instid0(VALU_DEP_2) | instskip(NEXT) | instid1(VALU_DEP_1)
	v_and_or_b32 v2, 0x8000, v2, v59
	v_lshl_or_b32 v58, v2, 16, v58
.LBB311_4105:                           ;   in Loop: Header=BB311_2079 Depth=1
	s_wait_alu 0xfffe
	s_or_b32 exec_lo, exec_lo, s22
.LBB311_4106:                           ;   in Loop: Header=BB311_2079 Depth=1
	s_wait_alu 0xfffe
	s_or_b32 exec_lo, exec_lo, s21
.LBB311_4107:                           ;   in Loop: Header=BB311_2079 Depth=1
	s_wait_alu 0xfffe
	s_or_b32 exec_lo, exec_lo, s20
	v_lshrrev_b32_e32 v2, 16, v11
	s_mov_b32 s20, exec_lo
	s_delay_alu instid0(VALU_DEP_1) | instskip(NEXT) | instid1(VALU_DEP_1)
	v_and_b32_e32 v59, 0xff, v2
	v_cmpx_ne_u16_e32 0, v59
	s_cbranch_execz .LBB311_4115
; %bb.4108:                             ;   in Loop: Header=BB311_2079 Depth=1
	v_mov_b32_e32 v56, 0x8000
	s_mov_b32 s21, exec_lo
	v_cmpx_ne_u16_e32 0x80, v59
	s_cbranch_execz .LBB311_4114
; %bb.4109:                             ;   in Loop: Header=BB311_2079 Depth=1
	v_bfe_u32 v60, v11, 16, 7
	v_mov_b32_e32 v56, 0x7c01
	s_mov_b32 s22, exec_lo
	s_delay_alu instid0(VALU_DEP_2)
	v_cmpx_ne_u32_e32 0x7f, v60
	s_cbranch_execz .LBB311_4113
; %bb.4110:                             ;   in Loop: Header=BB311_2079 Depth=1
	v_and_b32_e32 v56, 7, v2
	v_lshrrev_b32_e32 v59, 3, v60
	s_mov_b32 s23, exec_lo
	v_cmpx_gt_u32_e32 8, v60
; %bb.4111:                             ;   in Loop: Header=BB311_2079 Depth=1
	s_delay_alu instid0(VALU_DEP_3) | instskip(NEXT) | instid1(VALU_DEP_1)
	v_clz_i32_u32_e32 v56, v56
	v_min_u32_e32 v56, 32, v56
	s_delay_alu instid0(VALU_DEP_1) | instskip(NEXT) | instid1(VALU_DEP_1)
	v_subrev_nc_u32_e32 v59, 28, v56
	v_lshlrev_b64_e32 v[60:61], v59, v[2:3]
	v_sub_nc_u32_e32 v59, 29, v56
	s_delay_alu instid0(VALU_DEP_2)
	v_and_b32_e32 v56, 7, v60
; %bb.4112:                             ;   in Loop: Header=BB311_2079 Depth=1
	s_wait_alu 0xfffe
	s_or_b32 exec_lo, exec_lo, s23
	v_lshlrev_b32_e32 v2, 8, v2
	v_lshl_add_u32 v59, v59, 10, 0x2000
	v_lshlrev_b32_e32 v56, 7, v56
	s_delay_alu instid0(VALU_DEP_3) | instskip(NEXT) | instid1(VALU_DEP_3)
	v_and_b32_e32 v2, 0x8000, v2
	v_and_b32_e32 v59, 0xfc00, v59
	s_delay_alu instid0(VALU_DEP_1)
	v_or3_b32 v56, v2, v59, v56
.LBB311_4113:                           ;   in Loop: Header=BB311_2079 Depth=1
	s_wait_alu 0xfffe
	s_or_b32 exec_lo, exec_lo, s22
.LBB311_4114:                           ;   in Loop: Header=BB311_2079 Depth=1
	s_wait_alu 0xfffe
	s_or_b32 exec_lo, exec_lo, s21
.LBB311_4115:                           ;   in Loop: Header=BB311_2079 Depth=1
	s_wait_alu 0xfffe
	s_or_b32 exec_lo, exec_lo, s20
	v_cmp_lt_u64_e64 s8, s[16:17], v[10:11]
	v_mov_b32_e32 v10, 0
	s_and_saveexec_b32 s20, s8
	s_cbranch_execz .LBB311_4123
; %bb.4116:                             ;   in Loop: Header=BB311_2079 Depth=1
	v_lshrrev_b32_e32 v2, 24, v11
	v_bfrev_b32_e32 v10, 1
	s_mov_b32 s21, exec_lo
	s_delay_alu instid0(VALU_DEP_2)
	v_cmpx_ne_u32_e32 0x80, v2
	s_cbranch_execz .LBB311_4122
; %bb.4117:                             ;   in Loop: Header=BB311_2079 Depth=1
	v_and_b32_e32 v59, 0x7f, v2
	v_mov_b32_e32 v10, 0x7c010000
	s_mov_b32 s22, exec_lo
	s_delay_alu instid0(VALU_DEP_2)
	v_cmpx_ne_u32_e32 0x7f, v59
	s_cbranch_execz .LBB311_4121
; %bb.4118:                             ;   in Loop: Header=BB311_2079 Depth=1
	v_and_b32_e32 v10, 7, v2
	v_lshrrev_b32_e32 v11, 3, v59
	s_mov_b32 s23, exec_lo
	v_cmpx_gt_u32_e32 8, v59
; %bb.4119:                             ;   in Loop: Header=BB311_2079 Depth=1
	s_delay_alu instid0(VALU_DEP_3) | instskip(NEXT) | instid1(VALU_DEP_1)
	v_clz_i32_u32_e32 v10, v10
	v_min_u32_e32 v59, 32, v10
	s_delay_alu instid0(VALU_DEP_1) | instskip(NEXT) | instid1(VALU_DEP_1)
	v_subrev_nc_u32_e32 v10, 28, v59
	v_lshlrev_b64_e32 v[10:11], v10, v[2:3]
	v_sub_nc_u32_e32 v11, 29, v59
	s_delay_alu instid0(VALU_DEP_2)
	v_and_b32_e32 v10, 7, v10
; %bb.4120:                             ;   in Loop: Header=BB311_2079 Depth=1
	s_wait_alu 0xfffe
	s_or_b32 exec_lo, exec_lo, s23
	v_lshlrev_b32_e32 v2, 8, v2
	v_lshl_add_u32 v11, v11, 10, 0x2000
	v_lshlrev_b32_e32 v10, 23, v10
	s_delay_alu instid0(VALU_DEP_2) | instskip(NEXT) | instid1(VALU_DEP_1)
	v_and_or_b32 v2, 0x8000, v2, v11
	v_lshl_or_b32 v10, v2, 16, v10
.LBB311_4121:                           ;   in Loop: Header=BB311_2079 Depth=1
	s_wait_alu 0xfffe
	s_or_b32 exec_lo, exec_lo, s22
.LBB311_4122:                           ;   in Loop: Header=BB311_2079 Depth=1
	s_wait_alu 0xfffe
	s_or_b32 exec_lo, exec_lo, s21
.LBB311_4123:                           ;   in Loop: Header=BB311_2079 Depth=1
	s_wait_alu 0xfffe
	s_or_b32 exec_lo, exec_lo, s20
	v_or_b32_e32 v2, v46, v47
	s_wait_loadcnt_dscnt 0x0
	v_fma_mixlo_f16 v11, v43, v46, 0 op_sel:[0,1,0] op_sel_hi:[0,1,0]
	v_or_b32_e32 v45, v44, v45
	v_or_b32_e32 v46, v58, v57
	;; [unrolled: 1-line block ×3, first 2 shown]
	v_fma_mixlo_f16 v47, v43, v2, 0 op_sel_hi:[0,1,0]
	v_fma_mixlo_f16 v44, v43, v44, 0 op_sel:[0,1,0] op_sel_hi:[0,1,0]
	v_lshlrev_b32_e32 v2, 16, v11
	v_fma_mixlo_f16 v45, v43, v45, 0 op_sel_hi:[0,1,0]
	v_fma_mixlo_f16 v46, v43, v46, 0 op_sel_hi:[0,1,0]
	v_and_b32_e32 v11, 0xffff, v47
	v_fma_mixlo_f16 v47, v43, v58, 0 op_sel:[0,1,0] op_sel_hi:[0,1,0]
	v_fma_mixlo_f16 v10, v43, v10, 0 op_sel:[0,1,0] op_sel_hi:[0,1,0]
	v_fma_mixlo_f16 v43, v43, v56, 0 op_sel_hi:[0,1,0]
	v_lshlrev_b32_e32 v44, 16, v44
	v_and_b32_e32 v59, 0xffff, v45
	v_lshlrev_b32_e32 v56, 16, v47
	v_and_b32_e32 v58, 0xffff, v46
	;; [unrolled: 2-line block ×3, first 2 shown]
	v_or_b32_e32 v10, v2, v11
	v_or_b32_e32 v46, v44, v59
	;; [unrolled: 1-line block ×3, first 2 shown]
	s_delay_alu instid0(VALU_DEP_4)
	v_or_b32_e32 v43, v47, v57
	s_and_saveexec_b32 s8, s2
	s_cbranch_execz .LBB311_4125
; %bb.4124:                             ;   in Loop: Header=BB311_2079 Depth=1
	s_wait_alu 0xfffd
	v_cndmask_b32_e32 v10, 0, v59, vcc_lo
	v_cndmask_b32_e64 v43, 0, v44, s1
	v_cndmask_b32_e64 v11, 0, v11, s0
	;; [unrolled: 1-line block ×7, first 2 shown]
	v_or_b32_e32 v46, v10, v43
	v_or_b32_e32 v10, v11, v2
	;; [unrolled: 1-line block ×3, first 2 shown]
	s_delay_alu instid0(VALU_DEP_4)
	v_or_b32_e32 v43, v56, v47
.LBB311_4125:                           ;   in Loop: Header=BB311_2079 Depth=1
	s_wait_alu 0xfffe
	s_or_b32 exec_lo, exec_lo, s8
	v_add_co_u32 v8, s8, v8, v38
	s_wait_alu 0xf1ff
	v_add_co_ci_u32_e64 v9, null, 0, v9, s8
	;;#ASMSTART
	v_pk_mul_f16 v2, v98, v46;

	;;#ASMEND
	;;#ASMSTART
	v_pk_mul_f16 v10, v96, v10;

	;;#ASMEND
	;; [unrolled: 4-line block ×4, first 2 shown]
	;;#ASMSTART
	v_pk_add_f16 v2, v2, v10;

	;;#ASMEND
	;;#ASMSTART
	v_pk_add_f16 v2, v2, v11;

	;;#ASMEND
	;; [unrolled: 4-line block ×3, first 2 shown]
	v_lshrrev_b32_e32 v11, 16, v2
	v_dual_mov_b32 v45, 0 :: v_dual_and_b32 v2, 0xffff, v2
	;;#ASMSTART
	v_cvt_f32_f16 v10, v2;
	;;#ASMEND
	;;#ASMSTART
	v_cvt_f32_f16 v11, v11;
	;;#ASMEND
	flat_load_b64 v[8:9], v[8:9]
	flat_load_b32 v43, v[26:27]
	v_mov_b32_e32 v44, 0
	s_mov_b32 s20, exec_lo
	s_wait_loadcnt_dscnt 0x101
	v_and_b32_e32 v2, 0xff, v8
	s_delay_alu instid0(VALU_DEP_1)
	v_cmpx_ne_u16_e32 0, v2
	s_cbranch_execz .LBB311_4133
; %bb.4126:                             ;   in Loop: Header=BB311_2079 Depth=1
	v_mov_b32_e32 v45, 0x8000
	s_mov_b32 s21, exec_lo
	v_cmpx_ne_u16_e32 0x80, v2
	s_cbranch_execz .LBB311_4132
; %bb.4127:                             ;   in Loop: Header=BB311_2079 Depth=1
	v_and_b32_e32 v46, 0x7f, v8
	v_mov_b32_e32 v45, 0x7c01
	s_mov_b32 s22, exec_lo
	s_delay_alu instid0(VALU_DEP_2)
	v_cmpx_ne_u32_e32 0x7f, v46
	s_cbranch_execz .LBB311_4131
; %bb.4128:                             ;   in Loop: Header=BB311_2079 Depth=1
	v_and_b32_e32 v2, 7, v8
	v_lshrrev_b32_e32 v45, 3, v46
	s_mov_b32 s23, exec_lo
	v_cmpx_gt_u32_e32 8, v46
; %bb.4129:                             ;   in Loop: Header=BB311_2079 Depth=1
	s_delay_alu instid0(VALU_DEP_3) | instskip(NEXT) | instid1(VALU_DEP_1)
	v_clz_i32_u32_e32 v2, v2
	v_min_u32_e32 v2, 32, v2
	s_delay_alu instid0(VALU_DEP_1) | instskip(NEXT) | instid1(VALU_DEP_1)
	v_subrev_nc_u32_e32 v45, 28, v2
	v_lshlrev_b64_e32 v[46:47], v45, v[8:9]
	v_sub_nc_u32_e32 v45, 29, v2
	s_delay_alu instid0(VALU_DEP_2)
	v_and_b32_e32 v2, 7, v46
; %bb.4130:                             ;   in Loop: Header=BB311_2079 Depth=1
	s_wait_alu 0xfffe
	s_or_b32 exec_lo, exec_lo, s23
	v_lshlrev_b32_e32 v46, 8, v8
	v_lshl_add_u32 v45, v45, 10, 0x2000
	v_lshlrev_b32_e32 v2, 7, v2
	s_delay_alu instid0(VALU_DEP_3) | instskip(NEXT) | instid1(VALU_DEP_3)
	v_and_b32_e32 v46, 0x8000, v46
	v_and_b32_e32 v45, 0xfc00, v45
	s_delay_alu instid0(VALU_DEP_1)
	v_or3_b32 v45, v46, v45, v2
.LBB311_4131:                           ;   in Loop: Header=BB311_2079 Depth=1
	s_wait_alu 0xfffe
	s_or_b32 exec_lo, exec_lo, s22
.LBB311_4132:                           ;   in Loop: Header=BB311_2079 Depth=1
	s_wait_alu 0xfffe
	s_or_b32 exec_lo, exec_lo, s21
.LBB311_4133:                           ;   in Loop: Header=BB311_2079 Depth=1
	s_wait_alu 0xfffe
	s_or_b32 exec_lo, exec_lo, s20
	v_lshrrev_b16 v2, 8, v8
	s_mov_b32 s20, exec_lo
	s_delay_alu instid0(VALU_DEP_1)
	v_cmpx_ne_u16_e32 0, v2
	s_cbranch_execz .LBB311_4141
; %bb.4134:                             ;   in Loop: Header=BB311_2079 Depth=1
	v_bfrev_b32_e32 v44, 1
	s_mov_b32 s21, exec_lo
	v_cmpx_ne_u16_e32 0x80, v2
	s_cbranch_execz .LBB311_4140
; %bb.4135:                             ;   in Loop: Header=BB311_2079 Depth=1
	v_and_b32_e32 v46, 0xffff, v2
	v_mov_b32_e32 v44, 0x7c010000
	s_mov_b32 s22, exec_lo
	s_delay_alu instid0(VALU_DEP_2) | instskip(NEXT) | instid1(VALU_DEP_1)
	v_and_b32_e32 v56, 0x7f, v46
	v_cmpx_ne_u32_e32 0x7f, v56
	s_cbranch_execz .LBB311_4139
; %bb.4136:                             ;   in Loop: Header=BB311_2079 Depth=1
	v_and_b32_e32 v44, 7, v46
	v_lshrrev_b32_e32 v47, 3, v56
	s_mov_b32 s23, exec_lo
	v_cmpx_gt_u32_e32 8, v56
; %bb.4137:                             ;   in Loop: Header=BB311_2079 Depth=1
	s_delay_alu instid0(VALU_DEP_3) | instskip(NEXT) | instid1(VALU_DEP_1)
	v_clz_i32_u32_e32 v44, v44
	v_min_u32_e32 v44, 32, v44
	s_delay_alu instid0(VALU_DEP_1) | instskip(NEXT) | instid1(VALU_DEP_1)
	v_subrev_nc_u32_e32 v47, 28, v44
	v_lshlrev_b64_e32 v[56:57], v47, v[2:3]
	v_sub_nc_u32_e32 v47, 29, v44
	s_delay_alu instid0(VALU_DEP_2)
	v_and_b32_e32 v44, 7, v56
; %bb.4138:                             ;   in Loop: Header=BB311_2079 Depth=1
	s_wait_alu 0xfffe
	s_or_b32 exec_lo, exec_lo, s23
	v_lshlrev_b32_e32 v2, 8, v46
	v_lshl_add_u32 v46, v47, 10, 0x2000
	v_lshlrev_b32_e32 v44, 23, v44
	s_delay_alu instid0(VALU_DEP_2) | instskip(NEXT) | instid1(VALU_DEP_1)
	v_and_or_b32 v2, 0x8000, v2, v46
	v_lshl_or_b32 v44, v2, 16, v44
.LBB311_4139:                           ;   in Loop: Header=BB311_2079 Depth=1
	s_wait_alu 0xfffe
	s_or_b32 exec_lo, exec_lo, s22
.LBB311_4140:                           ;   in Loop: Header=BB311_2079 Depth=1
	s_wait_alu 0xfffe
	s_or_b32 exec_lo, exec_lo, s21
.LBB311_4141:                           ;   in Loop: Header=BB311_2079 Depth=1
	s_wait_alu 0xfffe
	s_or_b32 exec_lo, exec_lo, s20
	v_lshrrev_b32_e32 v2, 16, v8
	v_mov_b32_e32 v46, 0
	s_mov_b32 s20, exec_lo
	s_delay_alu instid0(VALU_DEP_2) | instskip(NEXT) | instid1(VALU_DEP_1)
	v_dual_mov_b32 v47, 0 :: v_dual_and_b32 v56, 0xff, v2
	v_cmpx_ne_u16_e32 0, v56
	s_cbranch_execz .LBB311_4149
; %bb.4142:                             ;   in Loop: Header=BB311_2079 Depth=1
	v_mov_b32_e32 v47, 0x8000
	s_mov_b32 s21, exec_lo
	v_cmpx_ne_u16_e32 0x80, v56
	s_cbranch_execz .LBB311_4148
; %bb.4143:                             ;   in Loop: Header=BB311_2079 Depth=1
	v_bfe_u32 v57, v8, 16, 7
	v_mov_b32_e32 v47, 0x7c01
	s_mov_b32 s22, exec_lo
	s_delay_alu instid0(VALU_DEP_2)
	v_cmpx_ne_u32_e32 0x7f, v57
	s_cbranch_execz .LBB311_4147
; %bb.4144:                             ;   in Loop: Header=BB311_2079 Depth=1
	v_and_b32_e32 v47, 7, v2
	v_lshrrev_b32_e32 v56, 3, v57
	s_mov_b32 s23, exec_lo
	v_cmpx_gt_u32_e32 8, v57
; %bb.4145:                             ;   in Loop: Header=BB311_2079 Depth=1
	s_delay_alu instid0(VALU_DEP_3) | instskip(NEXT) | instid1(VALU_DEP_1)
	v_clz_i32_u32_e32 v47, v47
	v_min_u32_e32 v47, 32, v47
	s_delay_alu instid0(VALU_DEP_1) | instskip(NEXT) | instid1(VALU_DEP_1)
	v_subrev_nc_u32_e32 v56, 28, v47
	v_lshlrev_b64_e32 v[57:58], v56, v[2:3]
	v_sub_nc_u32_e32 v56, 29, v47
	s_delay_alu instid0(VALU_DEP_2)
	v_and_b32_e32 v47, 7, v57
; %bb.4146:                             ;   in Loop: Header=BB311_2079 Depth=1
	s_wait_alu 0xfffe
	s_or_b32 exec_lo, exec_lo, s23
	v_lshlrev_b32_e32 v2, 8, v2
	v_lshl_add_u32 v56, v56, 10, 0x2000
	v_lshlrev_b32_e32 v47, 7, v47
	s_delay_alu instid0(VALU_DEP_3) | instskip(NEXT) | instid1(VALU_DEP_3)
	v_and_b32_e32 v2, 0x8000, v2
	v_and_b32_e32 v56, 0xfc00, v56
	s_delay_alu instid0(VALU_DEP_1)
	v_or3_b32 v47, v2, v56, v47
.LBB311_4147:                           ;   in Loop: Header=BB311_2079 Depth=1
	s_wait_alu 0xfffe
	s_or_b32 exec_lo, exec_lo, s22
.LBB311_4148:                           ;   in Loop: Header=BB311_2079 Depth=1
	s_wait_alu 0xfffe
	s_or_b32 exec_lo, exec_lo, s21
.LBB311_4149:                           ;   in Loop: Header=BB311_2079 Depth=1
	s_wait_alu 0xfffe
	s_or_b32 exec_lo, exec_lo, s20
	s_delay_alu instid0(SALU_CYCLE_1)
	s_mov_b32 s20, exec_lo
	v_cmpx_lt_u32_e32 0xffffff, v8
	s_cbranch_execz .LBB311_4157
; %bb.4150:                             ;   in Loop: Header=BB311_2079 Depth=1
	v_lshrrev_b32_e32 v2, 24, v8
	v_bfrev_b32_e32 v46, 1
	s_mov_b32 s21, exec_lo
	s_delay_alu instid0(VALU_DEP_2)
	v_cmpx_ne_u32_e32 0x80, v2
	s_cbranch_execz .LBB311_4156
; %bb.4151:                             ;   in Loop: Header=BB311_2079 Depth=1
	v_and_b32_e32 v57, 0x7f, v2
	v_mov_b32_e32 v46, 0x7c010000
	s_mov_b32 s22, exec_lo
	s_delay_alu instid0(VALU_DEP_2)
	v_cmpx_ne_u32_e32 0x7f, v57
	s_cbranch_execz .LBB311_4155
; %bb.4152:                             ;   in Loop: Header=BB311_2079 Depth=1
	v_and_b32_e32 v46, 7, v2
	v_lshrrev_b32_e32 v56, 3, v57
	s_mov_b32 s23, exec_lo
	v_cmpx_gt_u32_e32 8, v57
; %bb.4153:                             ;   in Loop: Header=BB311_2079 Depth=1
	s_delay_alu instid0(VALU_DEP_3) | instskip(NEXT) | instid1(VALU_DEP_1)
	v_clz_i32_u32_e32 v46, v46
	v_min_u32_e32 v46, 32, v46
	s_delay_alu instid0(VALU_DEP_1) | instskip(NEXT) | instid1(VALU_DEP_1)
	v_subrev_nc_u32_e32 v56, 28, v46
	v_lshlrev_b64_e32 v[57:58], v56, v[2:3]
	v_sub_nc_u32_e32 v56, 29, v46
	s_delay_alu instid0(VALU_DEP_2)
	v_and_b32_e32 v46, 7, v57
; %bb.4154:                             ;   in Loop: Header=BB311_2079 Depth=1
	s_wait_alu 0xfffe
	s_or_b32 exec_lo, exec_lo, s23
	v_lshlrev_b32_e32 v2, 8, v2
	v_lshl_add_u32 v56, v56, 10, 0x2000
	v_lshlrev_b32_e32 v46, 23, v46
	s_delay_alu instid0(VALU_DEP_2) | instskip(NEXT) | instid1(VALU_DEP_1)
	v_and_or_b32 v2, 0x8000, v2, v56
	v_lshl_or_b32 v46, v2, 16, v46
.LBB311_4155:                           ;   in Loop: Header=BB311_2079 Depth=1
	s_wait_alu 0xfffe
	s_or_b32 exec_lo, exec_lo, s22
.LBB311_4156:                           ;   in Loop: Header=BB311_2079 Depth=1
	s_wait_alu 0xfffe
	s_or_b32 exec_lo, exec_lo, s21
.LBB311_4157:                           ;   in Loop: Header=BB311_2079 Depth=1
	s_wait_alu 0xfffe
	s_or_b32 exec_lo, exec_lo, s20
	v_dual_mov_b32 v57, 0 :: v_dual_and_b32 v58, 0xff, v9
	v_mov_b32_e32 v2, v9
	v_mov_b32_e32 v56, 0
	s_mov_b32 s20, exec_lo
	s_delay_alu instid0(VALU_DEP_3)
	v_cmpx_ne_u16_e32 0, v58
	s_cbranch_execz .LBB311_4165
; %bb.4158:                             ;   in Loop: Header=BB311_2079 Depth=1
	v_mov_b32_e32 v57, 0x8000
	s_mov_b32 s21, exec_lo
	v_cmpx_ne_u16_e32 0x80, v58
	s_cbranch_execz .LBB311_4164
; %bb.4159:                             ;   in Loop: Header=BB311_2079 Depth=1
	v_and_b32_e32 v59, 0x7f, v9
	v_mov_b32_e32 v57, 0x7c01
	s_mov_b32 s22, exec_lo
	s_delay_alu instid0(VALU_DEP_2)
	v_cmpx_ne_u32_e32 0x7f, v59
	s_cbranch_execz .LBB311_4163
; %bb.4160:                             ;   in Loop: Header=BB311_2079 Depth=1
	v_and_b32_e32 v57, 7, v9
	v_lshrrev_b32_e32 v58, 3, v59
	s_mov_b32 s23, exec_lo
	v_cmpx_gt_u32_e32 8, v59
; %bb.4161:                             ;   in Loop: Header=BB311_2079 Depth=1
	s_delay_alu instid0(VALU_DEP_3) | instskip(NEXT) | instid1(VALU_DEP_1)
	v_clz_i32_u32_e32 v57, v57
	v_min_u32_e32 v59, 32, v57
	s_delay_alu instid0(VALU_DEP_1) | instskip(NEXT) | instid1(VALU_DEP_1)
	v_subrev_nc_u32_e32 v57, 28, v59
	v_lshlrev_b64_e32 v[57:58], v57, v[2:3]
	v_sub_nc_u32_e32 v58, 29, v59
	s_delay_alu instid0(VALU_DEP_2)
	v_and_b32_e32 v57, 7, v57
; %bb.4162:                             ;   in Loop: Header=BB311_2079 Depth=1
	s_wait_alu 0xfffe
	s_or_b32 exec_lo, exec_lo, s23
	v_lshlrev_b32_e32 v59, 8, v9
	v_lshl_add_u32 v58, v58, 10, 0x2000
	v_lshlrev_b32_e32 v57, 7, v57
	s_delay_alu instid0(VALU_DEP_3) | instskip(NEXT) | instid1(VALU_DEP_3)
	v_and_b32_e32 v59, 0x8000, v59
	v_and_b32_e32 v58, 0xfc00, v58
	s_delay_alu instid0(VALU_DEP_1)
	v_or3_b32 v57, v59, v58, v57
.LBB311_4163:                           ;   in Loop: Header=BB311_2079 Depth=1
	s_wait_alu 0xfffe
	s_or_b32 exec_lo, exec_lo, s22
.LBB311_4164:                           ;   in Loop: Header=BB311_2079 Depth=1
	s_wait_alu 0xfffe
	s_or_b32 exec_lo, exec_lo, s21
.LBB311_4165:                           ;   in Loop: Header=BB311_2079 Depth=1
	s_wait_alu 0xfffe
	s_or_b32 exec_lo, exec_lo, s20
	v_lshrrev_b16 v2, 8, v2
	v_mov_b32_e32 v58, 0
	s_mov_b32 s20, exec_lo
	s_delay_alu instid0(VALU_DEP_2)
	v_cmpx_ne_u16_e32 0, v2
	s_cbranch_execz .LBB311_4173
; %bb.4166:                             ;   in Loop: Header=BB311_2079 Depth=1
	v_bfrev_b32_e32 v58, 1
	s_mov_b32 s21, exec_lo
	v_cmpx_ne_u16_e32 0x80, v2
	s_cbranch_execz .LBB311_4172
; %bb.4167:                             ;   in Loop: Header=BB311_2079 Depth=1
	v_and_b32_e32 v59, 0xffff, v2
	v_mov_b32_e32 v58, 0x7c010000
	s_mov_b32 s22, exec_lo
	s_delay_alu instid0(VALU_DEP_2) | instskip(NEXT) | instid1(VALU_DEP_1)
	v_and_b32_e32 v61, 0x7f, v59
	v_cmpx_ne_u32_e32 0x7f, v61
	s_cbranch_execz .LBB311_4171
; %bb.4168:                             ;   in Loop: Header=BB311_2079 Depth=1
	v_and_b32_e32 v58, 7, v59
	v_lshrrev_b32_e32 v60, 3, v61
	s_mov_b32 s23, exec_lo
	v_cmpx_gt_u32_e32 8, v61
; %bb.4169:                             ;   in Loop: Header=BB311_2079 Depth=1
	s_delay_alu instid0(VALU_DEP_3) | instskip(NEXT) | instid1(VALU_DEP_1)
	v_clz_i32_u32_e32 v58, v58
	v_min_u32_e32 v58, 32, v58
	s_delay_alu instid0(VALU_DEP_1) | instskip(NEXT) | instid1(VALU_DEP_1)
	v_subrev_nc_u32_e32 v60, 28, v58
	v_lshlrev_b64_e32 v[61:62], v60, v[2:3]
	v_sub_nc_u32_e32 v60, 29, v58
	s_delay_alu instid0(VALU_DEP_2)
	v_and_b32_e32 v58, 7, v61
; %bb.4170:                             ;   in Loop: Header=BB311_2079 Depth=1
	s_wait_alu 0xfffe
	s_or_b32 exec_lo, exec_lo, s23
	v_lshlrev_b32_e32 v2, 8, v59
	v_lshl_add_u32 v59, v60, 10, 0x2000
	v_lshlrev_b32_e32 v58, 23, v58
	s_delay_alu instid0(VALU_DEP_2) | instskip(NEXT) | instid1(VALU_DEP_1)
	v_and_or_b32 v2, 0x8000, v2, v59
	v_lshl_or_b32 v58, v2, 16, v58
.LBB311_4171:                           ;   in Loop: Header=BB311_2079 Depth=1
	s_wait_alu 0xfffe
	s_or_b32 exec_lo, exec_lo, s22
.LBB311_4172:                           ;   in Loop: Header=BB311_2079 Depth=1
	s_wait_alu 0xfffe
	s_or_b32 exec_lo, exec_lo, s21
.LBB311_4173:                           ;   in Loop: Header=BB311_2079 Depth=1
	s_wait_alu 0xfffe
	s_or_b32 exec_lo, exec_lo, s20
	v_lshrrev_b32_e32 v2, 16, v9
	s_mov_b32 s20, exec_lo
	s_delay_alu instid0(VALU_DEP_1) | instskip(NEXT) | instid1(VALU_DEP_1)
	v_and_b32_e32 v59, 0xff, v2
	v_cmpx_ne_u16_e32 0, v59
	s_cbranch_execz .LBB311_4181
; %bb.4174:                             ;   in Loop: Header=BB311_2079 Depth=1
	v_mov_b32_e32 v56, 0x8000
	s_mov_b32 s21, exec_lo
	v_cmpx_ne_u16_e32 0x80, v59
	s_cbranch_execz .LBB311_4180
; %bb.4175:                             ;   in Loop: Header=BB311_2079 Depth=1
	v_bfe_u32 v60, v9, 16, 7
	v_mov_b32_e32 v56, 0x7c01
	s_mov_b32 s22, exec_lo
	s_delay_alu instid0(VALU_DEP_2)
	v_cmpx_ne_u32_e32 0x7f, v60
	s_cbranch_execz .LBB311_4179
; %bb.4176:                             ;   in Loop: Header=BB311_2079 Depth=1
	v_and_b32_e32 v56, 7, v2
	v_lshrrev_b32_e32 v59, 3, v60
	s_mov_b32 s23, exec_lo
	v_cmpx_gt_u32_e32 8, v60
; %bb.4177:                             ;   in Loop: Header=BB311_2079 Depth=1
	s_delay_alu instid0(VALU_DEP_3) | instskip(NEXT) | instid1(VALU_DEP_1)
	v_clz_i32_u32_e32 v56, v56
	v_min_u32_e32 v56, 32, v56
	s_delay_alu instid0(VALU_DEP_1) | instskip(NEXT) | instid1(VALU_DEP_1)
	v_subrev_nc_u32_e32 v59, 28, v56
	v_lshlrev_b64_e32 v[60:61], v59, v[2:3]
	v_sub_nc_u32_e32 v59, 29, v56
	s_delay_alu instid0(VALU_DEP_2)
	v_and_b32_e32 v56, 7, v60
; %bb.4178:                             ;   in Loop: Header=BB311_2079 Depth=1
	s_wait_alu 0xfffe
	s_or_b32 exec_lo, exec_lo, s23
	v_lshlrev_b32_e32 v2, 8, v2
	v_lshl_add_u32 v59, v59, 10, 0x2000
	v_lshlrev_b32_e32 v56, 7, v56
	s_delay_alu instid0(VALU_DEP_3) | instskip(NEXT) | instid1(VALU_DEP_3)
	v_and_b32_e32 v2, 0x8000, v2
	v_and_b32_e32 v59, 0xfc00, v59
	s_delay_alu instid0(VALU_DEP_1)
	v_or3_b32 v56, v2, v59, v56
.LBB311_4179:                           ;   in Loop: Header=BB311_2079 Depth=1
	s_wait_alu 0xfffe
	s_or_b32 exec_lo, exec_lo, s22
.LBB311_4180:                           ;   in Loop: Header=BB311_2079 Depth=1
	s_wait_alu 0xfffe
	s_or_b32 exec_lo, exec_lo, s21
.LBB311_4181:                           ;   in Loop: Header=BB311_2079 Depth=1
	s_wait_alu 0xfffe
	s_or_b32 exec_lo, exec_lo, s20
	v_cmp_lt_u64_e64 s8, s[16:17], v[8:9]
	v_mov_b32_e32 v8, 0
	s_and_saveexec_b32 s20, s8
	s_cbranch_execz .LBB311_4189
; %bb.4182:                             ;   in Loop: Header=BB311_2079 Depth=1
	v_lshrrev_b32_e32 v2, 24, v9
	v_bfrev_b32_e32 v8, 1
	s_mov_b32 s21, exec_lo
	s_delay_alu instid0(VALU_DEP_2)
	v_cmpx_ne_u32_e32 0x80, v2
	s_cbranch_execz .LBB311_4188
; %bb.4183:                             ;   in Loop: Header=BB311_2079 Depth=1
	v_and_b32_e32 v59, 0x7f, v2
	v_mov_b32_e32 v8, 0x7c010000
	s_mov_b32 s22, exec_lo
	s_delay_alu instid0(VALU_DEP_2)
	v_cmpx_ne_u32_e32 0x7f, v59
	s_cbranch_execz .LBB311_4187
; %bb.4184:                             ;   in Loop: Header=BB311_2079 Depth=1
	v_and_b32_e32 v8, 7, v2
	v_lshrrev_b32_e32 v9, 3, v59
	s_mov_b32 s23, exec_lo
	v_cmpx_gt_u32_e32 8, v59
; %bb.4185:                             ;   in Loop: Header=BB311_2079 Depth=1
	s_delay_alu instid0(VALU_DEP_3) | instskip(NEXT) | instid1(VALU_DEP_1)
	v_clz_i32_u32_e32 v8, v8
	v_min_u32_e32 v59, 32, v8
	s_delay_alu instid0(VALU_DEP_1) | instskip(NEXT) | instid1(VALU_DEP_1)
	v_subrev_nc_u32_e32 v8, 28, v59
	v_lshlrev_b64_e32 v[8:9], v8, v[2:3]
	v_sub_nc_u32_e32 v9, 29, v59
	s_delay_alu instid0(VALU_DEP_2)
	v_and_b32_e32 v8, 7, v8
; %bb.4186:                             ;   in Loop: Header=BB311_2079 Depth=1
	s_wait_alu 0xfffe
	s_or_b32 exec_lo, exec_lo, s23
	v_lshlrev_b32_e32 v2, 8, v2
	v_lshl_add_u32 v9, v9, 10, 0x2000
	v_lshlrev_b32_e32 v8, 23, v8
	s_delay_alu instid0(VALU_DEP_2) | instskip(NEXT) | instid1(VALU_DEP_1)
	v_and_or_b32 v2, 0x8000, v2, v9
	v_lshl_or_b32 v8, v2, 16, v8
.LBB311_4187:                           ;   in Loop: Header=BB311_2079 Depth=1
	s_wait_alu 0xfffe
	s_or_b32 exec_lo, exec_lo, s22
.LBB311_4188:                           ;   in Loop: Header=BB311_2079 Depth=1
	s_wait_alu 0xfffe
	s_or_b32 exec_lo, exec_lo, s21
.LBB311_4189:                           ;   in Loop: Header=BB311_2079 Depth=1
	s_wait_alu 0xfffe
	s_or_b32 exec_lo, exec_lo, s20
	v_or_b32_e32 v2, v46, v47
	s_wait_loadcnt_dscnt 0x0
	v_fma_mixlo_f16 v9, v43, v46, 0 op_sel:[0,1,0] op_sel_hi:[0,1,0]
	v_or_b32_e32 v45, v44, v45
	v_or_b32_e32 v47, v58, v57
	;; [unrolled: 1-line block ×3, first 2 shown]
	v_fma_mixlo_f16 v2, v43, v2, 0 op_sel_hi:[0,1,0]
	v_fma_mixlo_f16 v46, v43, v44, 0 op_sel:[0,1,0] op_sel_hi:[0,1,0]
	v_lshlrev_b32_e32 v44, 16, v9
	v_fma_mixlo_f16 v9, v43, v45, 0 op_sel_hi:[0,1,0]
	v_fma_mixlo_f16 v47, v43, v47, 0 op_sel_hi:[0,1,0]
	v_and_b32_e32 v45, 0xffff, v2
	v_fma_mixlo_f16 v2, v43, v58, 0 op_sel:[0,1,0] op_sel_hi:[0,1,0]
	v_fma_mixlo_f16 v8, v43, v8, 0 op_sel:[0,1,0] op_sel_hi:[0,1,0]
	v_fma_mixlo_f16 v43, v43, v56, 0 op_sel_hi:[0,1,0]
	v_lshlrev_b32_e32 v46, 16, v46
	v_and_b32_e32 v59, 0xffff, v9
	v_lshlrev_b32_e32 v56, 16, v2
	v_and_b32_e32 v58, 0xffff, v47
	;; [unrolled: 2-line block ×3, first 2 shown]
	v_or_b32_e32 v2, v44, v45
	v_or_b32_e32 v43, v46, v59
	;; [unrolled: 1-line block ×3, first 2 shown]
	s_delay_alu instid0(VALU_DEP_4)
	v_or_b32_e32 v8, v47, v57
	s_and_saveexec_b32 s8, s2
	s_cbranch_execz .LBB311_2078
; %bb.4190:                             ;   in Loop: Header=BB311_2079 Depth=1
	s_wait_alu 0xfffd
	v_cndmask_b32_e32 v2, 0, v59, vcc_lo
	v_cndmask_b32_e64 v8, 0, v46, s1
	v_cndmask_b32_e64 v9, 0, v45, s0
	;; [unrolled: 1-line block ×7, first 2 shown]
	v_or_b32_e32 v43, v2, v8
	v_or_b32_e32 v2, v9, v44
	v_or_b32_e32 v9, v45, v46
	s_delay_alu instid0(VALU_DEP_4)
	v_or_b32_e32 v8, v56, v47
	s_branch .LBB311_2078
.LBB311_4191:
	s_or_b32 exec_lo, exec_lo, s15
	v_dual_mov_b32 v0, s12 :: v_dual_mov_b32 v1, s13
.LBB311_4192:
	s_or_b32 exec_lo, exec_lo, s11
	s_wait_storecnt 0x0
	s_wait_loadcnt_dscnt 0x0
	s_barrier_signal -1
	s_barrier_wait -1
	global_inv scope:SCOPE_SE
	scratch_load_b32 v34, off, s32 offset:1012 th:TH_LOAD_LU ; 4-byte Folded Reload
	v_lshlrev_b64_e32 v[0:1], 2, v[0:1]
	s_getpc_b64 s[0:1]
	s_wait_alu 0xfffe
	s_sext_i32_i16 s1, s1
	s_add_co_u32 s0, s0, llvm.amdgcn.dynlds.offset.table@rel32@lo+12
	s_wait_alu 0xfffe
	s_add_co_ci_u32 s1, s1, llvm.amdgcn.dynlds.offset.table@rel32@hi+24
	ds_bpermute_b32 v2, v17, v85
	ds_bpermute_b32 v3, v17, v83
	;; [unrolled: 1-line block ×4, first 2 shown]
	v_add_co_u32 v0, vcc_lo, s0, v0
	s_wait_alu 0xfffc
	v_add_co_ci_u32_e64 v1, null, s1, v1, vcc_lo
	ds_bpermute_b32 v6, v17, v80
	ds_bpermute_b32 v7, v17, v71
	;; [unrolled: 1-line block ×3, first 2 shown]
	global_load_b32 v32, v[0:1], off
	ds_bpermute_b32 v0, v17, v84
	ds_bpermute_b32 v1, v17, v86
	;; [unrolled: 1-line block ×25, first 2 shown]
	s_wait_dscnt 0x14
	v_dual_add_f32 v8, v70, v8 :: v_dual_add_f32 v11, v67, v11
	v_dual_add_f32 v2, v85, v2 :: v_dual_add_f32 v7, v71, v7
	;; [unrolled: 1-line block ×4, first 2 shown]
	s_wait_dscnt 0x12
	v_dual_add_f32 v10, v68, v10 :: v_dual_add_f32 v13, v65, v13
	s_wait_dscnt 0x10
	v_dual_add_f32 v12, v66, v12 :: v_dual_add_f32 v15, v55, v15
	;; [unrolled: 2-line block ×10, first 2 shown]
	ds_bpermute_b32 v19, v16, v2
	ds_bpermute_b32 v21, v16, v4
	;; [unrolled: 1-line block ×25, first 2 shown]
	s_wait_dscnt 0x16
	v_dual_add_f32 v29, v2, v19 :: v_dual_add_f32 v26, v5, v22
	s_wait_dscnt 0x14
	v_dual_add_f32 v27, v4, v21 :: v_dual_add_f32 v24, v7, v24
	;; [unrolled: 2-line block ×3, first 2 shown]
	v_add_f32_e32 v23, v8, v68
	s_wait_dscnt 0x11
	v_add_f32_e32 v21, v10, v70
	s_mov_b32 s0, exec_lo
	v_add_f32_e32 v0, v84, v0
	ds_bpermute_b32 v84, v16, v54
	s_wait_dscnt 0x9
	v_add_f32_e32 v9, v33, v98
	v_add_f32_e32 v1, v86, v1
	;; [unrolled: 1-line block ×3, first 2 shown]
	ds_bpermute_b32 v17, v16, v0
	ds_bpermute_b32 v86, v16, v52
	s_wait_dscnt 0x8
	v_dual_add_f32 v7, v38, v100 :: v_dual_add_f32 v6, v39, v102
	s_wait_dscnt 0x4
	v_dual_add_f32 v5, v48, v103 :: v_dual_add_f32 v2, v65, v114
	v_add_f32_e32 v4, v55, v112
	ds_bpermute_b32 v18, v16, v1
	v_dual_add_f32 v10, v49, v97 :: v_dual_add_f32 v3, v83, v3
	ds_bpermute_b32 v83, v16, v15
	v_dual_add_f32 v19, v12, v80 :: v_dual_add_f32 v12, v51, v87
	v_add_f32_e32 v8, v37, v99
	ds_bpermute_b32 v20, v16, v3
	s_wait_dscnt 0x4
	v_add_f32_e32 v31, v0, v17
	v_dual_add_f32 v17, v14, v82 :: v_dual_add_f32 v14, v53, v85
	s_wait_dscnt 0x2
	v_add_f32_e32 v30, v1, v18
	ds_bpermute_b32 v116, v16, v67
	v_add_f32_e32 v18, v13, v81
	s_wait_dscnt 0x2
	v_dual_add_f32 v16, v15, v83 :: v_dual_add_f32 v15, v54, v84
	v_add_f32_e32 v13, v52, v86
	s_wait_dscnt 0x1
	v_dual_add_f32 v1, v66, v115 :: v_dual_add_f32 v28, v3, v20
	v_dual_add_f32 v20, v11, v71 :: v_dual_add_f32 v11, v50, v96
	s_wait_dscnt 0x0
	v_dual_add_f32 v3, v64, v113 :: v_dual_add_f32 v0, v67, v116
	s_wait_loadcnt 0x1
	v_lshrrev_b32_e32 v35, 2, v34
	v_and_b32_e32 v101, 28, v34
	scratch_load_b32 v34, off, s32 offset:1016 th:TH_LOAD_LU ; 4-byte Folded Reload
	s_wait_loadcnt 0x1
	v_add_nc_u32_e32 v33, v32, v101
	s_wait_loadcnt 0x0
	v_lshlrev_b32_e32 v36, 10, v34
	scratch_load_b32 v34, off, s32 offset:1008 ; 4-byte Folded Reload
	s_wait_loadcnt 0x0
	v_and_b32_e32 v34, 0x3c3, v34
	s_delay_alu instid0(VALU_DEP_1)
	v_cmpx_eq_u32_e32 64, v34
	s_cbranch_execz .LBB311_4194
; %bb.4193:
	v_add_nc_u32_e32 v37, v33, v36
	s_delay_alu instid0(VALU_DEP_1)
	v_add_nc_u32_e32 v38, 0xfffff800, v37
	v_add_nc_u32_e32 v39, 0xfffff820, v37
	v_add_nc_u32_e32 v48, 0xfffff840, v37
	v_add_nc_u32_e32 v49, 0xfffff860, v37
	v_add_nc_u32_e32 v50, 0xfffff880, v37
	v_add_nc_u32_e32 v51, 0xfffff8a0, v37
	v_add_nc_u32_e32 v52, 0xfffff8c0, v37
	v_add_nc_u32_e32 v53, 0xfffff8e0, v37
	ds_store_b32 v38, v31
	ds_store_b32 v39, v30
	ds_store_b32 v48, v29
	ds_store_b32 v49, v28
	ds_store_b32 v50, v27
	ds_store_b32 v51, v26
	ds_store_b32 v52, v25
	ds_store_b32 v53, v24
	v_add_nc_u32_e32 v38, 0xfffff900, v37
	v_add_nc_u32_e32 v39, 0xfffff920, v37
	v_add_nc_u32_e32 v48, 0xfffff940, v37
	v_add_nc_u32_e32 v49, 0xfffff960, v37
	v_add_nc_u32_e32 v50, 0xfffff980, v37
	v_add_nc_u32_e32 v51, 0xfffff9a0, v37
	v_add_nc_u32_e32 v52, 0xfffff9c0, v37
	v_add_nc_u32_e32 v53, 0xfffff9e0, v37
	ds_store_b32 v38, v23
	ds_store_b32 v39, v22
	ds_store_b32 v48, v21
	ds_store_b32 v49, v20
	ds_store_b32 v50, v19
	ds_store_b32 v51, v18
	ds_store_b32 v52, v17
	ds_store_b32 v53, v16
	;; [unrolled: 16-line block ×4, first 2 shown]
.LBB311_4194:
	s_wait_alu 0xfffe
	s_or_b32 exec_lo, exec_lo, s0
	v_lshlrev_b32_e32 v35, 2, v35
	s_mov_b32 s0, exec_lo
	s_wait_dscnt 0x0
	s_barrier_signal -1
	s_barrier_wait -1
	v_add3_u32 v32, v32, v36, v35
	global_inv scope:SCOPE_SE
	v_cmpx_eq_u32_e32 0, v34
	s_cbranch_execz .LBB311_4196
; %bb.4195:
	ds_load_2addr_b32 v[34:35], v32 offset1:8
	ds_load_2addr_b32 v[36:37], v32 offset0:16 offset1:24
	ds_load_2addr_b32 v[38:39], v32 offset0:32 offset1:40
	;; [unrolled: 1-line block ×12, first 2 shown]
	s_wait_dscnt 0xc
	v_dual_add_f32 v31, v34, v31 :: v_dual_add_f32 v30, v35, v30
	s_wait_dscnt 0xb
	v_dual_add_f32 v29, v36, v29 :: v_dual_add_f32 v28, v37, v28
	;; [unrolled: 2-line block ×3, first 2 shown]
	ds_load_2addr_b32 v[34:35], v32 offset0:208 offset1:216
	ds_load_2addr_b32 v[36:37], v32 offset0:224 offset1:232
	;; [unrolled: 1-line block ×3, first 2 shown]
	s_wait_dscnt 0xc
	v_dual_add_f32 v25, v48, v25 :: v_dual_add_f32 v24, v49, v24
	s_wait_dscnt 0xb
	v_dual_add_f32 v23, v50, v23 :: v_dual_add_f32 v22, v51, v22
	;; [unrolled: 2-line block ×13, first 2 shown]
.LBB311_4196:
	s_wait_alu 0xfffe
	s_or_b32 exec_lo, exec_lo, s0
	scratch_load_b32 v34, off, s32 offset:1008 ; 4-byte Folded Reload
	s_mov_b32 s0, exec_lo
	s_wait_loadcnt 0x0
	s_barrier_signal -1
	s_barrier_wait -1
	global_inv scope:SCOPE_SE
	v_and_b32_e32 v34, 0x3e3, v34
	s_delay_alu instid0(VALU_DEP_1)
	v_cmpx_eq_u32_e32 32, v34
	s_cbranch_execz .LBB311_4198
; %bb.4197:
	ds_store_2addr_b32 v33, v31, v30 offset1:8
	ds_store_2addr_b32 v33, v29, v28 offset0:16 offset1:24
	ds_store_2addr_b32 v33, v27, v26 offset0:32 offset1:40
	;; [unrolled: 1-line block ×15, first 2 shown]
.LBB311_4198:
	s_wait_alu 0xfffe
	s_or_b32 exec_lo, exec_lo, s0
	v_cmp_eq_u32_e32 vcc_lo, 0, v34
	s_wait_loadcnt_dscnt 0x0
	s_barrier_signal -1
	s_barrier_wait -1
	global_inv scope:SCOPE_SE
	s_and_saveexec_b32 s0, vcc_lo
	s_cbranch_execz .LBB311_4200
; %bb.4199:
	ds_load_2addr_b32 v[33:34], v32 offset1:8
	ds_load_2addr_b32 v[35:36], v32 offset0:16 offset1:24
	ds_load_2addr_b32 v[37:38], v32 offset0:32 offset1:40
	;; [unrolled: 1-line block ×12, first 2 shown]
	s_wait_dscnt 0xc
	v_dual_add_f32 v31, v33, v31 :: v_dual_add_f32 v30, v34, v30
	s_wait_dscnt 0xb
	v_dual_add_f32 v29, v35, v29 :: v_dual_add_f32 v28, v36, v28
	;; [unrolled: 2-line block ×3, first 2 shown]
	ds_load_2addr_b32 v[33:34], v32 offset0:208 offset1:216
	ds_load_2addr_b32 v[35:36], v32 offset0:224 offset1:232
	;; [unrolled: 1-line block ×3, first 2 shown]
	s_wait_dscnt 0xc
	v_dual_add_f32 v25, v48, v25 :: v_dual_add_f32 v24, v49, v24
	s_wait_dscnt 0xb
	v_dual_add_f32 v23, v50, v23 :: v_dual_add_f32 v22, v51, v22
	;; [unrolled: 2-line block ×13, first 2 shown]
.LBB311_4200:
	s_wait_alu 0xfffe
	s_or_b32 exec_lo, exec_lo, s0
	s_wait_loadcnt 0x0
	s_barrier_signal -1
	s_barrier_wait -1
	global_inv scope:SCOPE_SE
	s_and_b32 exec_lo, exec_lo, vcc_lo
	s_cbranch_execz .LBB311_4202
; %bb.4201:
	s_clause 0x2
	scratch_load_b32 v32, off, s32 offset:1024 th:TH_LOAD_LU
	scratch_load_b32 v33, off, s32 offset:1020 th:TH_LOAD_LU
	;; [unrolled: 1-line block ×3, first 2 shown]
	s_lshl_b32 s0, s14, 8
	s_mul_i32 s2, s10, s9
	s_wait_alu 0xfffe
	s_ashr_i32 s1, s0, 31
	s_ashr_i32 s3, s2, 31
	s_wait_alu 0xfffe
	s_lshl_b64 s[0:1], s[0:1], 1
	;;#ASMSTART
	v_cvt_f16_f32 v31, v31;

	;;#ASMEND
	s_wait_loadcnt 0x2
	s_wait_alu 0xfffe
	v_add_co_u32 v32, vcc_lo, v32, s0
	s_wait_loadcnt 0x1
	s_wait_alu 0xfffd
	v_add_co_ci_u32_e64 v33, null, s1, v33, vcc_lo
	s_lshl_b64 s[0:1], s[2:3], 1
	s_wait_loadcnt 0x0
	v_lshrrev_b32_e32 v34, 1, v34
	s_wait_alu 0xfffe
	v_add_co_u32 v32, vcc_lo, v32, s0
	s_wait_alu 0xfffd
	v_add_co_ci_u32_e64 v33, null, s1, v33, vcc_lo
	s_delay_alu instid0(VALU_DEP_2) | instskip(SKIP_1) | instid1(VALU_DEP_2)
	v_add_co_u32 v32, vcc_lo, v32, s19
	s_wait_alu 0xfffd
	v_add_co_ci_u32_e64 v33, null, 0, v33, vcc_lo
	s_delay_alu instid0(VALU_DEP_2) | instskip(SKIP_1) | instid1(VALU_DEP_2)
	v_add_co_u32 v32, vcc_lo, v32, v34
	s_wait_alu 0xfffd
	v_add_co_ci_u32_e64 v33, null, 0, v33, vcc_lo
	flat_store_b16 v[32:33], v31
	;;#ASMSTART
	v_cvt_f16_f32 v30, v30;

	;;#ASMEND
	flat_store_b16 v[32:33], v30 offset:16
	;;#ASMSTART
	v_cvt_f16_f32 v29, v29;

	;;#ASMEND
	flat_store_b16 v[32:33], v29 offset:32
	;; [unrolled: 5-line block ×31, first 2 shown]
.LBB311_4202:
	s_or_b32 exec_lo, exec_lo, s18
	s_clause 0x1f
	scratch_load_b32 v191, off, s32
	scratch_load_b32 v190, off, s32 offset:4
	scratch_load_b32 v189, off, s32 offset:8
	;; [unrolled: 1-line block ×31, first 2 shown]
	s_clause 0x1f
	scratch_load_b32 v127, off, s32 offset:128
	scratch_load_b32 v126, off, s32 offset:132
	scratch_load_b32 v125, off, s32 offset:136
	scratch_load_b32 v124, off, s32 offset:140
	scratch_load_b32 v123, off, s32 offset:144
	scratch_load_b32 v122, off, s32 offset:148
	scratch_load_b32 v121, off, s32 offset:152
	scratch_load_b32 v120, off, s32 offset:156
	scratch_load_b32 v111, off, s32 offset:160
	scratch_load_b32 v110, off, s32 offset:164
	scratch_load_b32 v109, off, s32 offset:168
	scratch_load_b32 v108, off, s32 offset:172
	scratch_load_b32 v107, off, s32 offset:176
	scratch_load_b32 v106, off, s32 offset:180
	scratch_load_b32 v105, off, s32 offset:184
	scratch_load_b32 v104, off, s32 offset:188
	scratch_load_b32 v95, off, s32 offset:192
	scratch_load_b32 v94, off, s32 offset:196
	scratch_load_b32 v93, off, s32 offset:200
	scratch_load_b32 v92, off, s32 offset:204
	scratch_load_b32 v91, off, s32 offset:208
	scratch_load_b32 v90, off, s32 offset:212
	scratch_load_b32 v89, off, s32 offset:216
	scratch_load_b32 v88, off, s32 offset:220
	scratch_load_b32 v79, off, s32 offset:224
	scratch_load_b32 v78, off, s32 offset:228
	scratch_load_b32 v77, off, s32 offset:232
	scratch_load_b32 v76, off, s32 offset:236
	scratch_load_b32 v75, off, s32 offset:240
	scratch_load_b32 v74, off, s32 offset:244
	scratch_load_b32 v73, off, s32 offset:248
	scratch_load_b32 v72, off, s32 offset:252
	s_clause 0xf
	scratch_load_b32 v63, off, s32 offset:256
	scratch_load_b32 v62, off, s32 offset:260
	;; [unrolled: 1-line block ×16, first 2 shown]
	s_wait_loadcnt_dscnt 0x0
	s_setpc_b64 s[30:31]
.Lfunc_end311:
	.size	_ZN4vllm22paged_attention_kernelIthLi256ELi32ELi128ELNS_18Fp8KVCacheDataTypeE1ELb0ELi512EEEvPfS2_PT_PKS3_PKT0_S9_ifPKiSB_iPKfiiiSD_SD_iiiii, .Lfunc_end311-_ZN4vllm22paged_attention_kernelIthLi256ELi32ELi128ELNS_18Fp8KVCacheDataTypeE1ELb0ELi512EEEvPfS2_PT_PKS3_PKT0_S9_ifPKiSB_iPKfiiiSD_SD_iiiii
                                        ; -- End function
	.set .L_ZN4vllm22paged_attention_kernelIthLi256ELi32ELi128ELNS_18Fp8KVCacheDataTypeE1ELb0ELi512EEEvPfS2_PT_PKS3_PKT0_S9_ifPKiSB_iPKfiiiSD_SD_iiiii.num_vgpr, 192
	.set .L_ZN4vllm22paged_attention_kernelIthLi256ELi32ELi128ELNS_18Fp8KVCacheDataTypeE1ELb0ELi512EEEvPfS2_PT_PKS3_PKT0_S9_ifPKiSB_iPKfiiiSD_SD_iiiii.num_agpr, 0
	.set .L_ZN4vllm22paged_attention_kernelIthLi256ELi32ELi128ELNS_18Fp8KVCacheDataTypeE1ELb0ELi512EEEvPfS2_PT_PKS3_PKT0_S9_ifPKiSB_iPKfiiiSD_SD_iiiii.numbered_sgpr, 33
	.set .L_ZN4vllm22paged_attention_kernelIthLi256ELi32ELi128ELNS_18Fp8KVCacheDataTypeE1ELb0ELi512EEEvPfS2_PT_PKS3_PKT0_S9_ifPKiSB_iPKfiiiSD_SD_iiiii.num_named_barrier, 0
	.set .L_ZN4vllm22paged_attention_kernelIthLi256ELi32ELi128ELNS_18Fp8KVCacheDataTypeE1ELb0ELi512EEEvPfS2_PT_PKS3_PKT0_S9_ifPKiSB_iPKfiiiSD_SD_iiiii.private_seg_size, 1096
	.set .L_ZN4vllm22paged_attention_kernelIthLi256ELi32ELi128ELNS_18Fp8KVCacheDataTypeE1ELb0ELi512EEEvPfS2_PT_PKS3_PKT0_S9_ifPKiSB_iPKfiiiSD_SD_iiiii.uses_vcc, 1
	.set .L_ZN4vllm22paged_attention_kernelIthLi256ELi32ELi128ELNS_18Fp8KVCacheDataTypeE1ELb0ELi512EEEvPfS2_PT_PKS3_PKT0_S9_ifPKiSB_iPKfiiiSD_SD_iiiii.uses_flat_scratch, 1
	.set .L_ZN4vllm22paged_attention_kernelIthLi256ELi32ELi128ELNS_18Fp8KVCacheDataTypeE1ELb0ELi512EEEvPfS2_PT_PKS3_PKT0_S9_ifPKiSB_iPKfiiiSD_SD_iiiii.has_dyn_sized_stack, 0
	.set .L_ZN4vllm22paged_attention_kernelIthLi256ELi32ELi128ELNS_18Fp8KVCacheDataTypeE1ELb0ELi512EEEvPfS2_PT_PKS3_PKT0_S9_ifPKiSB_iPKfiiiSD_SD_iiiii.has_recursion, 0
	.set .L_ZN4vllm22paged_attention_kernelIthLi256ELi32ELi128ELNS_18Fp8KVCacheDataTypeE1ELb0ELi512EEEvPfS2_PT_PKS3_PKT0_S9_ifPKiSB_iPKfiiiSD_SD_iiiii.has_indirect_call, 0
	.section	.AMDGPU.csdata,"",@progbits
; Function info:
; codeLenInByte = 165948
; TotalNumSgprs: 35
; NumVgprs: 192
; ScratchSize: 1096
; MemoryBound: 0
	.section	.text._ZN4vllm25paged_attention_v2_kernelIthLi256ELi32ELi128ELNS_18Fp8KVCacheDataTypeE1ELb0ELi512EEEvPfS2_PT_PKS3_PKT0_S9_ifPKiSB_iPKfiiiSD_SD_iiiii,"axG",@progbits,_ZN4vllm25paged_attention_v2_kernelIthLi256ELi32ELi128ELNS_18Fp8KVCacheDataTypeE1ELb0ELi512EEEvPfS2_PT_PKS3_PKT0_S9_ifPKiSB_iPKfiiiSD_SD_iiiii,comdat
	.protected	_ZN4vllm25paged_attention_v2_kernelIthLi256ELi32ELi128ELNS_18Fp8KVCacheDataTypeE1ELb0ELi512EEEvPfS2_PT_PKS3_PKT0_S9_ifPKiSB_iPKfiiiSD_SD_iiiii ; -- Begin function _ZN4vllm25paged_attention_v2_kernelIthLi256ELi32ELi128ELNS_18Fp8KVCacheDataTypeE1ELb0ELi512EEEvPfS2_PT_PKS3_PKT0_S9_ifPKiSB_iPKfiiiSD_SD_iiiii
	.globl	_ZN4vllm25paged_attention_v2_kernelIthLi256ELi32ELi128ELNS_18Fp8KVCacheDataTypeE1ELb0ELi512EEEvPfS2_PT_PKS3_PKT0_S9_ifPKiSB_iPKfiiiSD_SD_iiiii
	.p2align	8
	.type	_ZN4vllm25paged_attention_v2_kernelIthLi256ELi32ELi128ELNS_18Fp8KVCacheDataTypeE1ELb0ELi512EEEvPfS2_PT_PKS3_PKT0_S9_ifPKiSB_iPKfiiiSD_SD_iiiii,@function
_ZN4vllm25paged_attention_v2_kernelIthLi256ELi32ELi128ELNS_18Fp8KVCacheDataTypeE1ELb0ELi512EEEvPfS2_PT_PKS3_PKT0_S9_ifPKiSB_iPKfiiiSD_SD_iiiii: ; @_ZN4vllm25paged_attention_v2_kernelIthLi256ELi32ELi128ELNS_18Fp8KVCacheDataTypeE1ELb0ELi512EEEvPfS2_PT_PKS3_PKT0_S9_ifPKiSB_iPKfiiiSD_SD_iiiii
; %bb.0:
	s_clause 0x5
	s_load_b256 s[20:27], s[0:1], 0x0
	s_load_b256 s[12:19], s[0:1], 0x20
	s_load_b96 s[28:30], s[0:1], 0x40
	s_load_b64 s[10:11], s[0:1], 0x50
	s_load_b96 s[36:38], s[0:1], 0x58
	s_load_b128 s[4:7], s[0:1], 0x68
	v_mov_b32_e32 v31, v0
	s_getpc_b64 s[2:3]
	s_sext_i32_i16 s3, s3
	s_add_co_u32 s2, s2, _ZN4vllm22paged_attention_kernelIthLi256ELi32ELi128ELNS_18Fp8KVCacheDataTypeE1ELb0ELi512EEEvPfS2_PT_PKS3_PKT0_S9_ifPKiSB_iPKfiiiSD_SD_iiiii@rel32@lo+8
	s_add_co_ci_u32 s3, s3, _ZN4vllm22paged_attention_kernelIthLi256ELi32ELi128ELNS_18Fp8KVCacheDataTypeE1ELb0ELi512EEEvPfS2_PT_PKS3_PKT0_S9_ifPKiSB_iPKfiiiSD_SD_iiiii@rel32@hi+16
	s_add_nc_u64 s[8:9], s[0:1], 0x90
	s_mov_b32 s32, 0
	s_wait_kmcnt 0x0
	v_dual_mov_b32 v17, s29 :: v_dual_mov_b32 v18, s30
	v_dual_mov_b32 v0, s20 :: v_dual_mov_b32 v1, s21
	;; [unrolled: 1-line block ×14, first 2 shown]
	s_mov_b32 s15, 12
	s_wait_alu 0xfffe
	s_swappc_b64 s[30:31], s[2:3]
	s_endpgm
	.section	.rodata,"a",@progbits
	.p2align	6, 0x0
	.amdhsa_kernel _ZN4vllm25paged_attention_v2_kernelIthLi256ELi32ELi128ELNS_18Fp8KVCacheDataTypeE1ELb0ELi512EEEvPfS2_PT_PKS3_PKT0_S9_ifPKiSB_iPKfiiiSD_SD_iiiii
		.amdhsa_group_segment_fixed_size 544
		.amdhsa_private_segment_fixed_size 1096
		.amdhsa_kernarg_size 400
		.amdhsa_user_sgpr_count 2
		.amdhsa_user_sgpr_dispatch_ptr 0
		.amdhsa_user_sgpr_queue_ptr 0
		.amdhsa_user_sgpr_kernarg_segment_ptr 1
		.amdhsa_user_sgpr_dispatch_id 0
		.amdhsa_user_sgpr_private_segment_size 0
		.amdhsa_wavefront_size32 1
		.amdhsa_uses_dynamic_stack 0
		.amdhsa_enable_private_segment 1
		.amdhsa_system_sgpr_workgroup_id_x 1
		.amdhsa_system_sgpr_workgroup_id_y 1
		.amdhsa_system_sgpr_workgroup_id_z 1
		.amdhsa_system_sgpr_workgroup_info 0
		.amdhsa_system_vgpr_workitem_id 0
		.amdhsa_next_free_vgpr 192
		.amdhsa_next_free_sgpr 39
		.amdhsa_reserve_vcc 1
		.amdhsa_float_round_mode_32 0
		.amdhsa_float_round_mode_16_64 0
		.amdhsa_float_denorm_mode_32 3
		.amdhsa_float_denorm_mode_16_64 3
		.amdhsa_fp16_overflow 0
		.amdhsa_workgroup_processor_mode 1
		.amdhsa_memory_ordered 1
		.amdhsa_forward_progress 1
		.amdhsa_inst_pref_size 2
		.amdhsa_round_robin_scheduling 0
		.amdhsa_exception_fp_ieee_invalid_op 0
		.amdhsa_exception_fp_denorm_src 0
		.amdhsa_exception_fp_ieee_div_zero 0
		.amdhsa_exception_fp_ieee_overflow 0
		.amdhsa_exception_fp_ieee_underflow 0
		.amdhsa_exception_fp_ieee_inexact 0
		.amdhsa_exception_int_div_zero 0
	.end_amdhsa_kernel
	.section	.text._ZN4vllm25paged_attention_v2_kernelIthLi256ELi32ELi128ELNS_18Fp8KVCacheDataTypeE1ELb0ELi512EEEvPfS2_PT_PKS3_PKT0_S9_ifPKiSB_iPKfiiiSD_SD_iiiii,"axG",@progbits,_ZN4vllm25paged_attention_v2_kernelIthLi256ELi32ELi128ELNS_18Fp8KVCacheDataTypeE1ELb0ELi512EEEvPfS2_PT_PKS3_PKT0_S9_ifPKiSB_iPKfiiiSD_SD_iiiii,comdat
.Lfunc_end312:
	.size	_ZN4vllm25paged_attention_v2_kernelIthLi256ELi32ELi128ELNS_18Fp8KVCacheDataTypeE1ELb0ELi512EEEvPfS2_PT_PKS3_PKT0_S9_ifPKiSB_iPKfiiiSD_SD_iiiii, .Lfunc_end312-_ZN4vllm25paged_attention_v2_kernelIthLi256ELi32ELi128ELNS_18Fp8KVCacheDataTypeE1ELb0ELi512EEEvPfS2_PT_PKS3_PKT0_S9_ifPKiSB_iPKfiiiSD_SD_iiiii
                                        ; -- End function
	.set _ZN4vllm25paged_attention_v2_kernelIthLi256ELi32ELi128ELNS_18Fp8KVCacheDataTypeE1ELb0ELi512EEEvPfS2_PT_PKS3_PKT0_S9_ifPKiSB_iPKfiiiSD_SD_iiiii.num_vgpr, max(32, .L_ZN4vllm22paged_attention_kernelIthLi256ELi32ELi128ELNS_18Fp8KVCacheDataTypeE1ELb0ELi512EEEvPfS2_PT_PKS3_PKT0_S9_ifPKiSB_iPKfiiiSD_SD_iiiii.num_vgpr)
	.set _ZN4vllm25paged_attention_v2_kernelIthLi256ELi32ELi128ELNS_18Fp8KVCacheDataTypeE1ELb0ELi512EEEvPfS2_PT_PKS3_PKT0_S9_ifPKiSB_iPKfiiiSD_SD_iiiii.num_agpr, max(0, .L_ZN4vllm22paged_attention_kernelIthLi256ELi32ELi128ELNS_18Fp8KVCacheDataTypeE1ELb0ELi512EEEvPfS2_PT_PKS3_PKT0_S9_ifPKiSB_iPKfiiiSD_SD_iiiii.num_agpr)
	.set _ZN4vllm25paged_attention_v2_kernelIthLi256ELi32ELi128ELNS_18Fp8KVCacheDataTypeE1ELb0ELi512EEEvPfS2_PT_PKS3_PKT0_S9_ifPKiSB_iPKfiiiSD_SD_iiiii.numbered_sgpr, max(39, .L_ZN4vllm22paged_attention_kernelIthLi256ELi32ELi128ELNS_18Fp8KVCacheDataTypeE1ELb0ELi512EEEvPfS2_PT_PKS3_PKT0_S9_ifPKiSB_iPKfiiiSD_SD_iiiii.numbered_sgpr)
	.set _ZN4vllm25paged_attention_v2_kernelIthLi256ELi32ELi128ELNS_18Fp8KVCacheDataTypeE1ELb0ELi512EEEvPfS2_PT_PKS3_PKT0_S9_ifPKiSB_iPKfiiiSD_SD_iiiii.num_named_barrier, max(0, .L_ZN4vllm22paged_attention_kernelIthLi256ELi32ELi128ELNS_18Fp8KVCacheDataTypeE1ELb0ELi512EEEvPfS2_PT_PKS3_PKT0_S9_ifPKiSB_iPKfiiiSD_SD_iiiii.num_named_barrier)
	.set _ZN4vllm25paged_attention_v2_kernelIthLi256ELi32ELi128ELNS_18Fp8KVCacheDataTypeE1ELb0ELi512EEEvPfS2_PT_PKS3_PKT0_S9_ifPKiSB_iPKfiiiSD_SD_iiiii.private_seg_size, 0+max(.L_ZN4vllm22paged_attention_kernelIthLi256ELi32ELi128ELNS_18Fp8KVCacheDataTypeE1ELb0ELi512EEEvPfS2_PT_PKS3_PKT0_S9_ifPKiSB_iPKfiiiSD_SD_iiiii.private_seg_size)
	.set _ZN4vllm25paged_attention_v2_kernelIthLi256ELi32ELi128ELNS_18Fp8KVCacheDataTypeE1ELb0ELi512EEEvPfS2_PT_PKS3_PKT0_S9_ifPKiSB_iPKfiiiSD_SD_iiiii.uses_vcc, or(1, .L_ZN4vllm22paged_attention_kernelIthLi256ELi32ELi128ELNS_18Fp8KVCacheDataTypeE1ELb0ELi512EEEvPfS2_PT_PKS3_PKT0_S9_ifPKiSB_iPKfiiiSD_SD_iiiii.uses_vcc)
	.set _ZN4vllm25paged_attention_v2_kernelIthLi256ELi32ELi128ELNS_18Fp8KVCacheDataTypeE1ELb0ELi512EEEvPfS2_PT_PKS3_PKT0_S9_ifPKiSB_iPKfiiiSD_SD_iiiii.uses_flat_scratch, or(0, .L_ZN4vllm22paged_attention_kernelIthLi256ELi32ELi128ELNS_18Fp8KVCacheDataTypeE1ELb0ELi512EEEvPfS2_PT_PKS3_PKT0_S9_ifPKiSB_iPKfiiiSD_SD_iiiii.uses_flat_scratch)
	.set _ZN4vllm25paged_attention_v2_kernelIthLi256ELi32ELi128ELNS_18Fp8KVCacheDataTypeE1ELb0ELi512EEEvPfS2_PT_PKS3_PKT0_S9_ifPKiSB_iPKfiiiSD_SD_iiiii.has_dyn_sized_stack, or(0, .L_ZN4vllm22paged_attention_kernelIthLi256ELi32ELi128ELNS_18Fp8KVCacheDataTypeE1ELb0ELi512EEEvPfS2_PT_PKS3_PKT0_S9_ifPKiSB_iPKfiiiSD_SD_iiiii.has_dyn_sized_stack)
	.set _ZN4vllm25paged_attention_v2_kernelIthLi256ELi32ELi128ELNS_18Fp8KVCacheDataTypeE1ELb0ELi512EEEvPfS2_PT_PKS3_PKT0_S9_ifPKiSB_iPKfiiiSD_SD_iiiii.has_recursion, or(0, .L_ZN4vllm22paged_attention_kernelIthLi256ELi32ELi128ELNS_18Fp8KVCacheDataTypeE1ELb0ELi512EEEvPfS2_PT_PKS3_PKT0_S9_ifPKiSB_iPKfiiiSD_SD_iiiii.has_recursion)
	.set _ZN4vllm25paged_attention_v2_kernelIthLi256ELi32ELi128ELNS_18Fp8KVCacheDataTypeE1ELb0ELi512EEEvPfS2_PT_PKS3_PKT0_S9_ifPKiSB_iPKfiiiSD_SD_iiiii.has_indirect_call, or(0, .L_ZN4vllm22paged_attention_kernelIthLi256ELi32ELi128ELNS_18Fp8KVCacheDataTypeE1ELb0ELi512EEEvPfS2_PT_PKS3_PKT0_S9_ifPKiSB_iPKfiiiSD_SD_iiiii.has_indirect_call)
	.section	.AMDGPU.csdata,"",@progbits
; Kernel info:
; codeLenInByte = 224
; TotalNumSgprs: 41
; NumVgprs: 192
; ScratchSize: 1096
; MemoryBound: 0
; FloatMode: 240
; IeeeMode: 1
; LDSByteSize: 544 bytes/workgroup (compile time only)
; SGPRBlocks: 0
; VGPRBlocks: 23
; NumSGPRsForWavesPerEU: 41
; NumVGPRsForWavesPerEU: 192
; Occupancy: 8
; WaveLimiterHint : 1
; COMPUTE_PGM_RSRC2:SCRATCH_EN: 1
; COMPUTE_PGM_RSRC2:USER_SGPR: 2
; COMPUTE_PGM_RSRC2:TRAP_HANDLER: 0
; COMPUTE_PGM_RSRC2:TGID_X_EN: 1
; COMPUTE_PGM_RSRC2:TGID_Y_EN: 1
; COMPUTE_PGM_RSRC2:TGID_Z_EN: 1
; COMPUTE_PGM_RSRC2:TIDIG_COMP_CNT: 0
	.section	.text._ZN4vllm25paged_attention_v2_kernelI14__hip_bfloat16hLi32ELi8ELi128ELNS_18Fp8KVCacheDataTypeE1ELb1ELi512EEEvPfS3_PT_PKS4_PKT0_SA_ifPKiSC_iPKfiiiSE_SE_iiiii,"axG",@progbits,_ZN4vllm25paged_attention_v2_kernelI14__hip_bfloat16hLi32ELi8ELi128ELNS_18Fp8KVCacheDataTypeE1ELb1ELi512EEEvPfS3_PT_PKS4_PKT0_SA_ifPKiSC_iPKfiiiSE_SE_iiiii,comdat
	.protected	_ZN4vllm25paged_attention_v2_kernelI14__hip_bfloat16hLi32ELi8ELi128ELNS_18Fp8KVCacheDataTypeE1ELb1ELi512EEEvPfS3_PT_PKS4_PKT0_SA_ifPKiSC_iPKfiiiSE_SE_iiiii ; -- Begin function _ZN4vllm25paged_attention_v2_kernelI14__hip_bfloat16hLi32ELi8ELi128ELNS_18Fp8KVCacheDataTypeE1ELb1ELi512EEEvPfS3_PT_PKS4_PKT0_SA_ifPKiSC_iPKfiiiSE_SE_iiiii
	.globl	_ZN4vllm25paged_attention_v2_kernelI14__hip_bfloat16hLi32ELi8ELi128ELNS_18Fp8KVCacheDataTypeE1ELb1ELi512EEEvPfS3_PT_PKS4_PKT0_SA_ifPKiSC_iPKfiiiSE_SE_iiiii
	.p2align	8
	.type	_ZN4vllm25paged_attention_v2_kernelI14__hip_bfloat16hLi32ELi8ELi128ELNS_18Fp8KVCacheDataTypeE1ELb1ELi512EEEvPfS3_PT_PKS4_PKT0_SA_ifPKiSC_iPKfiiiSE_SE_iiiii,@function
_ZN4vllm25paged_attention_v2_kernelI14__hip_bfloat16hLi32ELi8ELi128ELNS_18Fp8KVCacheDataTypeE1ELb1ELi512EEEvPfS3_PT_PKS4_PKT0_SA_ifPKiSC_iPKfiiiSE_SE_iiiii: ; @_ZN4vllm25paged_attention_v2_kernelI14__hip_bfloat16hLi32ELi8ELi128ELNS_18Fp8KVCacheDataTypeE1ELb1ELi512EEEvPfS3_PT_PKS4_PKT0_SA_ifPKiSC_iPKfiiiSE_SE_iiiii
; %bb.0:
	s_load_b64 s[2:3], s[0:1], 0x40
	s_and_b32 s28, ttmp7, 0xffff
	s_lshr_b32 s35, ttmp7, 16
	s_lshl_b32 s4, s28, 2
	s_lshl_b32 s36, s35, 9
	s_wait_kmcnt 0x0
	s_load_b32 s33, s[2:3], s4 offset:0x0
	s_wait_kmcnt 0x0
	s_cmp_ge_i32 s36, s33
	s_cbranch_scc1 .LBB313_56
; %bb.1:
	s_clause 0x1
	s_load_b32 s29, s[0:1], 0x90
	s_load_b64 s[6:7], s[0:1], 0x30
	s_wait_kmcnt 0x0
	s_abs_i32 s5, s29
	s_abs_i32 s2, s6
	s_delay_alu instid0(SALU_CYCLE_1) | instskip(SKIP_1) | instid1(SALU_CYCLE_2)
	s_cvt_f32_u32 s3, s2
	s_sub_co_i32 s4, 0, s2
	v_rcp_iflag_f32_e32 v1, s3
	s_delay_alu instid0(TRANS32_DEP_1) | instskip(SKIP_2) | instid1(SALU_CYCLE_2)
	v_readfirstlane_b32 s3, v1
	s_mul_f32 s3, s3, 0x4f7ffffe
	s_wait_alu 0xfffe
	s_cvt_u32_f32 s3, s3
	s_wait_alu 0xfffe
	s_delay_alu instid0(SALU_CYCLE_2) | instskip(NEXT) | instid1(SALU_CYCLE_1)
	s_mul_i32 s4, s4, s3
	s_mul_hi_u32 s4, s3, s4
	s_delay_alu instid0(SALU_CYCLE_1)
	s_add_co_i32 s3, s3, s4
	s_xor_b32 s4, s29, s6
	s_wait_alu 0xfffe
	s_mul_hi_u32 s3, s5, s3
	s_ashr_i32 s4, s4, 31
	s_wait_alu 0xfffe
	s_mul_i32 s8, s3, s2
	s_delay_alu instid0(SALU_CYCLE_1)
	s_sub_co_i32 s5, s5, s8
	s_add_co_i32 s8, s3, 1
	s_sub_co_i32 s9, s5, s2
	s_cmp_ge_u32 s5, s2
	s_cselect_b32 s3, s8, s3
	s_cselect_b32 s5, s9, s5
	s_wait_alu 0xfffe
	s_add_co_i32 s8, s3, 1
	s_cmp_ge_u32 s5, s2
	s_cselect_b32 s2, s8, s3
	s_load_b64 s[8:9], s[0:1], 0x50
	s_xor_b32 s2, s2, s4
	s_mov_b32 s3, 0
	s_wait_alu 0xfffe
	s_sub_co_i32 s11, s2, s4
	s_mov_b32 s30, s3
	s_abs_i32 s10, s11
	s_delay_alu instid0(SALU_CYCLE_1) | instskip(SKIP_1) | instid1(SALU_CYCLE_2)
	s_cvt_f32_u32 s2, s10
	s_wait_alu 0xfffe
	v_rcp_iflag_f32_e32 v1, s2
	s_delay_alu instid0(TRANS32_DEP_1) | instskip(SKIP_2) | instid1(SALU_CYCLE_2)
	v_readfirstlane_b32 s2, v1
	s_mul_f32 s2, s2, 0x4f7ffffe
	s_wait_alu 0xfffe
	s_cvt_u32_f32 s4, s2
	s_sub_co_i32 s2, 0, s10
	s_wait_alu 0xfffe
	s_delay_alu instid0(SALU_CYCLE_1)
	s_mul_i32 s2, s2, s4
	s_wait_alu 0xfffe
	s_mul_hi_u32 s5, s4, s2
	s_abs_i32 s2, ttmp9
	s_add_co_i32 s4, s4, s5
	s_mov_b32 s5, s3
	s_wait_kmcnt 0x0
	s_cmp_eq_u64 s[8:9], 0
	s_cbranch_scc1 .LBB313_3
; %bb.2:
	s_mov_b32 s12, ttmp9
	s_ashr_i32 s13, ttmp9, 31
	s_delay_alu instid0(SALU_CYCLE_1) | instskip(NEXT) | instid1(SALU_CYCLE_1)
	s_lshl_b64 s[12:13], s[12:13], 2
	s_add_nc_u64 s[8:9], s[8:9], s[12:13]
	s_load_b32 s30, s[8:9], 0x0
.LBB313_3:
	s_load_b96 s[16:18], s[0:1], 0x58
	v_and_b32_e32 v1, 3, v0
	s_mul_u64 s[4:5], s[2:3], s[4:5]
	s_ashr_i32 s3, ttmp9, 31
	s_ashr_i32 s4, s11, 31
	s_lshl_b32 s20, ttmp9, 5
	s_mov_b32 s8, exec_lo
	v_cmpx_gt_u32_e32 16, v0
	s_cbranch_execz .LBB313_5
; %bb.4:
	s_load_b64 s[12:13], s[0:1], 0x18
	s_wait_kmcnt 0x0
	s_mul_i32 s14, s16, s28
	s_ashr_i32 s21, s20, 31
	s_ashr_i32 s15, s14, 31
	v_lshlrev_b32_e32 v2, 2, v0
	s_lshl_b64 s[14:15], s[14:15], 1
	v_and_b32_e32 v3, 0x3fc, v0
	s_delay_alu instid0(VALU_DEP_1) | instskip(SKIP_2) | instid1(SALU_CYCLE_1)
	v_lshl_add_u32 v3, v1, 4, v3
	s_add_nc_u64 s[12:13], s[12:13], s[14:15]
	s_lshl_b64 s[14:15], s[20:21], 1
	s_add_nc_u64 s[12:13], s[12:13], s[14:15]
	global_load_b32 v2, v2, s[12:13]
	s_wait_loadcnt 0x0
	ds_store_b32 v3, v2
.LBB313_5:
	s_or_b32 exec_lo, exec_lo, s8
	s_load_b128 s[12:15], s[0:1], 0x78
	s_mul_i32 s8, s5, s10
	s_xor_b32 s3, s3, s4
	s_sub_co_i32 s2, s2, s8
	s_add_co_i32 s4, s5, 1
	s_wait_alu 0xfffe
	s_sub_co_i32 s8, s2, s10
	s_cmp_ge_u32 s2, s10
                                        ; implicit-def: $sgpr21
	s_cselect_b32 s4, s4, s5
	s_cselect_b32 s2, s8, s2
	s_add_co_i32 s5, s4, 1
	s_wait_alu 0xfffe
	s_cmp_ge_u32 s2, s10
	s_load_b32 s8, s[0:1], 0x88
	s_cselect_b32 s2, s5, s4
	s_add_co_i32 s9, s33, -1
	s_wait_alu 0xfffe
	s_xor_b32 s2, s2, s3
	s_mov_b32 s10, -1
	s_wait_alu 0xfffe
	s_sub_co_i32 s19, s2, s3
	s_wait_dscnt 0x0
	s_barrier_signal -1
	s_wait_kmcnt 0x0
	s_abs_i32 s16, s15
	s_barrier_wait -1
	s_cvt_f32_u32 s4, s16
	global_inv scope:SCOPE_SE
	v_rcp_iflag_f32_e32 v2, s4
	s_delay_alu instid0(TRANS32_DEP_1) | instskip(SKIP_2) | instid1(SALU_CYCLE_2)
	v_readfirstlane_b32 s4, v2
	s_mul_f32 s2, s4, 0x4f7ffffe
	s_wait_alu 0xfffe
	s_cvt_u32_f32 s4, s2
	s_sub_co_i32 s2, 0, s16
	s_wait_alu 0xfffe
	s_delay_alu instid0(SALU_CYCLE_1)
	s_mul_i32 s3, s2, s4
	s_abs_i32 s2, s9
	s_wait_alu 0xfffe
	s_mul_hi_u32 s5, s4, s3
	s_mov_b32 s3, 0
	s_wait_alu 0xfffe
	s_add_co_i32 s22, s4, s5
	s_cmp_lt_i32 s8, 0
	s_mov_b32 s23, s3
	s_cbranch_scc0 .LBB313_7
; %bb.6:
	s_mul_i32 s4, s12, s6
	s_mov_b32 s10, s3
	s_wait_alu 0xfffe
	s_add_co_i32 s4, s19, s4
	s_wait_alu 0xfffe
	s_mul_i32 s4, s4, s8
	s_wait_alu 0xfffe
	s_sub_co_i32 s21, 1, s4
.LBB313_7:
	s_mul_u64 s[4:5], s[2:3], s[22:23]
	s_ashr_i32 s3, s9, 31
	s_and_not1_b32 vcc_lo, exec_lo, s10
	s_ashr_i32 s23, s15, 31
	s_cbranch_vccnz .LBB313_9
; %bb.8:
	s_mul_i32 s4, s29, s12
	s_wait_alu 0xfffe
	s_add_co_i32 s4, s4, ttmp9
	s_wait_alu 0xfffe
	s_mul_i32 s4, s4, s8
	s_wait_alu 0xfffe
	s_add_co_i32 s21, s4, 1
.LBB313_9:
	s_clause 0x3
	s_load_b32 s4, s[0:1], 0x48
	s_load_b64 s[24:25], s[0:1], 0x38
	s_load_b32 s15, s[0:1], 0x98
	s_load_b128 s[8:11], s[0:1], 0x68
	s_mul_i32 s6, s5, s16
	s_xor_b32 s3, s3, s23
	s_sub_co_i32 s2, s2, s6
	s_add_co_i32 s12, s5, 1
	v_lshrrev_b32_e32 v13, 5, v0
	v_mov_b32_e32 v9, 0xff7fffff
	v_mbcnt_lo_u32_b32 v6, -1, 0
	s_mul_i32 s18, s19, s18
	s_delay_alu instid0(VALU_DEP_3)
	v_lshl_add_u32 v14, v13, 3, s36
	s_wait_kmcnt 0x0
	s_mul_i32 s26, s4, s28
	s_wait_alu 0xfffe
	s_sub_co_i32 s4, s2, s16
	s_ashr_i32 s27, s26, 31
	s_cmp_ge_u32 s2, s16
	s_cselect_b32 s5, s12, s5
	s_wait_alu 0xfffe
	s_cselect_b32 s2, s4, s2
	s_add_co_i32 s4, s5, 1
	s_wait_alu 0xfffe
	s_cmp_ge_u32 s2, s16
	s_cselect_b32 s2, s4, s5
	s_add_co_i32 s4, s33, 7
	s_lshl_b32 s12, s35, 6
	s_wait_alu 0xfffe
	s_ashr_i32 s5, s4, 31
	v_or_b32_e32 v15, s12, v13
	s_wait_alu 0xfffe
	s_lshr_b32 s5, s5, 29
	s_wait_alu 0xfffe
	s_add_co_i32 s4, s4, s5
	s_add_co_i32 s5, s12, 64
	s_wait_alu 0xfffe
	s_ashr_i32 s37, s4, 3
	s_xor_b32 s4, s2, s3
	s_wait_alu 0xfffe
	s_min_i32 s34, s5, s37
	v_lshlrev_b32_e32 v5, 2, v15
	v_cmp_gt_i32_e64 s2, s34, v15
	s_sub_co_i32 s38, s4, s3
	s_and_saveexec_b32 s6, s2
	s_cbranch_execz .LBB313_21
; %bb.10:
	s_sub_co_i32 s31, s38, s13
	s_ashr_i32 s19, s18, 31
	s_cmp_neq_f32 s30, 0
	s_load_b64 s[4:5], s[0:1], 0x20
	v_bfe_u32 v7, v0, 2, 3
	v_dual_mov_b32 v16, 0xff7fffff :: v_dual_lshlrev_b32 v3, 1, v1
	s_cselect_b32 vcc_lo, -1, 0
	s_abs_i32 s39, s14
	v_lshlrev_b32_e32 v8, 4, v1
	s_cvt_f32_u32 s3, s39
	v_dual_mov_b32 v19, v15 :: v_dual_lshlrev_b32 v4, 2, v7
	s_lshl_b64 s[42:43], s[26:27], 2
	s_wait_alu 0xfffe
	v_rcp_iflag_f32_e32 v2, s3
	v_cmp_eq_u32_e64 s3, 0, v1
	v_lshlrev_b32_e32 v1, 4, v7
	v_subrev_nc_u32_e32 v9, s33, v7
	v_lshl_or_b32 v12, v13, 5, v4
	s_add_nc_u64 s[42:43], s[24:25], s[42:43]
	s_sub_co_i32 s44, 0, s39
	v_lshl_add_u32 v10, v13, 3, s36
	v_add_nc_u32_e32 v11, 1, v9
	s_wait_kmcnt 0x0
	s_add_nc_u64 s[4:5], s[4:5], s[18:19]
	v_readfirstlane_b32 s41, v2
	s_wait_alu 0xfffe
	v_add_co_u32 v1, s4, s4, v1
	s_wait_alu 0xf1ff
	v_add_co_ci_u32_e64 v2, null, s5, 0, s4
	s_mul_f32 s19, s41, 0x4f7ffffe
	v_add_co_u32 v1, s4, v1, v3
	s_wait_alu 0xf1ff
	v_add_co_ci_u32_e64 v2, null, 0, v2, s4
	s_cvt_u32_f32 s5, s19
	v_add_co_u32 v3, s4, s42, v5
	s_wait_alu 0xf1ff
	v_add_co_ci_u32_e64 v4, null, s43, 0, s4
	s_wait_alu 0xfffe
	s_mul_i32 s44, s44, s5
	v_add_nc_u32_e32 v12, 0x60, v12
	v_xor_b32_e32 v17, 2, v6
	v_xor_b32_e32 v18, 1, v6
	v_mov_b32_e32 v9, 0xff7fffff
	s_mul_hi_u32 s4, s5, s44
	s_mov_b32 s40, 0
	s_mov_b32 s19, s17
	s_wait_alu 0xfffe
	s_add_co_i32 s41, s5, s4
	s_branch .LBB313_13
.LBB313_11:                             ;   in Loop: Header=BB313_13 Depth=1
	s_wait_alu 0xfffe
	s_or_b32 exec_lo, exec_lo, s42
.LBB313_12:                             ;   in Loop: Header=BB313_13 Depth=1
	s_wait_alu 0xfffe
	s_or_b32 exec_lo, exec_lo, s5
	v_add_nc_u32_e32 v19, 4, v19
	v_add_co_u32 v3, s5, v3, 16
	s_wait_alu 0xf1ff
	v_add_co_ci_u32_e64 v4, null, 0, v4, s5
	s_delay_alu instid0(VALU_DEP_3)
	v_cmp_le_i32_e64 s4, s34, v19
	v_add_nc_u32_e32 v10, 32, v10
	v_add_nc_u32_e32 v12, 0x80, v12
	s_or_b32 s40, s4, s40
	s_wait_alu 0xfffe
	s_and_not1_b32 exec_lo, exec_lo, s40
	s_cbranch_execz .LBB313_20
.LBB313_13:                             ; =>This Inner Loop Header: Depth=1
	v_sub_nc_u32_e32 v20, 0, v10
	s_delay_alu instid0(VALU_DEP_1) | instskip(SKIP_1) | instid1(VALU_DEP_1)
	v_max_i32_e32 v20, v10, v20
	s_wait_dscnt 0x0
	v_mul_hi_u32 v21, v20, s22
	s_delay_alu instid0(VALU_DEP_1) | instskip(NEXT) | instid1(VALU_DEP_1)
	v_mul_lo_u32 v22, v21, s16
	v_sub_nc_u32_e32 v20, v20, v22
	v_add_nc_u32_e32 v22, 1, v21
	s_delay_alu instid0(VALU_DEP_2) | instskip(SKIP_2) | instid1(VALU_DEP_1)
	v_subrev_nc_u32_e32 v23, s16, v20
	v_cmp_le_u32_e64 s4, s16, v20
	s_wait_alu 0xf1ff
	v_cndmask_b32_e64 v21, v21, v22, s4
	s_delay_alu instid0(VALU_DEP_3) | instskip(SKIP_1) | instid1(VALU_DEP_3)
	v_cndmask_b32_e64 v20, v20, v23, s4
	v_ashrrev_i32_e32 v22, 31, v10
	v_add_nc_u32_e32 v23, 1, v21
	s_delay_alu instid0(VALU_DEP_3) | instskip(NEXT) | instid1(VALU_DEP_3)
	v_cmp_le_u32_e64 s4, s16, v20
	v_xor_b32_e32 v22, s23, v22
	s_wait_alu 0xf1ff
	s_delay_alu instid0(VALU_DEP_2) | instskip(NEXT) | instid1(VALU_DEP_1)
	v_cndmask_b32_e64 v20, v21, v23, s4
	v_xor_b32_e32 v20, v20, v22
	s_delay_alu instid0(VALU_DEP_1) | instskip(NEXT) | instid1(VALU_DEP_1)
	v_sub_nc_u32_e32 v20, v20, v22
	v_add_nc_u32_e32 v21, s21, v20
	v_cmp_ge_i32_e64 s5, s31, v20
	s_delay_alu instid0(VALU_DEP_2) | instskip(NEXT) | instid1(VALU_DEP_1)
	v_sub_nc_u32_e32 v22, 0, v21
	v_max_i32_e32 v22, v21, v22
	v_ashrrev_i32_e32 v21, 31, v21
	s_delay_alu instid0(VALU_DEP_2) | instskip(NEXT) | instid1(VALU_DEP_1)
	v_mul_hi_u32 v23, v22, s41
	v_mul_lo_u32 v23, v23, s39
	s_delay_alu instid0(VALU_DEP_1) | instskip(NEXT) | instid1(VALU_DEP_1)
	v_sub_nc_u32_e32 v22, v22, v23
	v_subrev_nc_u32_e32 v23, s39, v22
	v_cmp_le_u32_e64 s4, s39, v22
	s_wait_alu 0xf1ff
	s_delay_alu instid0(VALU_DEP_1) | instskip(NEXT) | instid1(VALU_DEP_1)
	v_cndmask_b32_e64 v22, v22, v23, s4
	v_subrev_nc_u32_e32 v23, s39, v22
	v_cmp_le_u32_e64 s4, s39, v22
	s_wait_alu 0xf1ff
	s_delay_alu instid0(VALU_DEP_1) | instskip(NEXT) | instid1(VALU_DEP_1)
	v_cndmask_b32_e64 v22, v22, v23, s4
	v_xor_b32_e32 v22, v22, v21
	s_delay_alu instid0(VALU_DEP_1) | instskip(NEXT) | instid1(VALU_DEP_1)
	v_sub_nc_u32_e32 v21, v22, v21
	v_cmp_ne_u32_e64 s4, 0, v21
	s_and_b32 s4, s4, s5
	s_wait_alu 0xfffe
	s_and_saveexec_b32 s5, s4
	s_wait_alu 0xfffe
	s_xor_b32 s4, exec_lo, s5
	s_cbranch_execz .LBB313_17
; %bb.14:                               ;   in Loop: Header=BB313_13 Depth=1
	s_and_saveexec_b32 s5, s3
; %bb.15:                               ;   in Loop: Header=BB313_13 Depth=1
	ds_store_b32 v12, v16
; %bb.16:                               ;   in Loop: Header=BB313_13 Depth=1
	s_wait_alu 0xfffe
	s_or_b32 exec_lo, exec_lo, s5
.LBB313_17:                             ;   in Loop: Header=BB313_13 Depth=1
	s_wait_alu 0xfffe
	s_and_not1_saveexec_b32 s5, s4
	s_cbranch_execz .LBB313_12
; %bb.18:                               ;   in Loop: Header=BB313_13 Depth=1
	global_load_b32 v20, v[3:4], off
	s_wait_loadcnt 0x0
	v_mad_co_i64_i32 v[20:21], null, v20, s19, v[1:2]
	s_clause 0x3
	global_load_u16 v24, v[20:21], off
	global_load_u16 v25, v[20:21], off offset:8
	global_load_u16 v26, v[20:21], off offset:128
	;; [unrolled: 1-line block ×3, first 2 shown]
	ds_load_b128 v[20:23], v8
	s_load_b32 s4, s[8:9], 0x0
	s_wait_loadcnt 0x3
	v_and_b32_e32 v32, 0xff, v24
	v_lshrrev_b16 v24, 8, v24
	s_wait_loadcnt 0x1
	v_and_b32_e32 v34, 0xff, v26
	v_lshrrev_b16 v26, 8, v26
	;; [unrolled: 3-line block ×3, first 2 shown]
	s_delay_alu instid0(VALU_DEP_3) | instskip(NEXT) | instid1(VALU_DEP_3)
	v_and_b32_e32 v26, 0xffff, v26
	v_and_b32_e32 v35, 0xffff, v35
	s_delay_alu instid0(VALU_DEP_3) | instskip(NEXT) | instid1(VALU_DEP_3)
	v_and_b32_e32 v27, 0xffff, v27
	v_cvt_f32_fp8_e32 v26, v26
	v_and_b32_e32 v33, 0xff, v25
	v_lshrrev_b16 v25, 8, v25
	s_delay_alu instid0(VALU_DEP_4)
	v_cvt_f32_fp8_e32 v27, v27
	v_cvt_f32_fp8_e32 v35, v35
	s_wait_kmcnt 0x0
	v_dual_mul_f32 v26, s4, v26 :: v_dual_and_b32 v33, 0xffff, v33
	v_and_b32_e32 v25, 0xffff, v25
	v_mul_f32_e32 v27, s4, v27
	v_mul_f32_e32 v35, s4, v35
	s_delay_alu instid0(VALU_DEP_4)
	v_bfe_u32 v46, v26, 16, 1
	v_cvt_f32_fp8_e32 v33, v33
	v_cvt_f32_fp8_e32 v25, v25
	s_wait_dscnt 0x0
	v_lshlrev_b32_e32 v30, 16, v22
	v_and_b32_e32 v22, 0xffff0000, v22
	v_and_b32_e32 v24, 0xffff, v24
	v_dual_mul_f32 v33, s4, v33 :: v_dual_lshlrev_b32 v28, 16, v20
	v_dual_mul_f32 v25, s4, v25 :: v_dual_and_b32 v32, 0xffff, v32
	v_and_b32_e32 v34, 0xffff, v34
	s_delay_alu instid0(VALU_DEP_4)
	v_cvt_f32_fp8_e32 v24, v24
	v_lshlrev_b32_e32 v31, 16, v23
	v_and_b32_e32 v20, 0xffff0000, v20
	v_cvt_f32_fp8_e32 v32, v32
	v_lshlrev_b32_e32 v29, 16, v21
	v_cvt_f32_fp8_e32 v34, v34
	v_dual_mul_f32 v24, s4, v24 :: v_dual_and_b32 v21, 0xffff0000, v21
	s_delay_alu instid0(VALU_DEP_4) | instskip(SKIP_1) | instid1(VALU_DEP_4)
	v_mul_f32_e32 v32, s4, v32
	v_bfe_u32 v40, v33, 16, 1
	v_mul_f32_e32 v34, s4, v34
	s_delay_alu instid0(VALU_DEP_4)
	v_bfe_u32 v38, v24, 16, 1
	v_or_b32_e32 v39, 0x400000, v24
	v_bfe_u32 v36, v32, 16, 1
	v_or_b32_e32 v37, 0x400000, v32
	v_cmp_u_f32_e64 s4, v32, v32
	v_add3_u32 v38, v38, v24, 0x7fff
	v_or_b32_e32 v41, 0x400000, v33
	v_add3_u32 v36, v36, v32, 0x7fff
	v_bfe_u32 v42, v25, 16, 1
	v_add3_u32 v40, v40, v33, 0x7fff
	v_or_b32_e32 v43, 0x400000, v25
	v_bfe_u32 v44, v34, 16, 1
	s_wait_alu 0xf1ff
	v_cndmask_b32_e64 v32, v36, v37, s4
	v_cmp_u_f32_e64 s4, v24, v24
	v_add3_u32 v42, v42, v25, 0x7fff
	v_or_b32_e32 v45, 0x400000, v34
	v_add3_u32 v44, v44, v34, 0x7fff
	v_or_b32_e32 v47, 0x400000, v26
	s_wait_alu 0xf1ff
	v_cndmask_b32_e64 v24, v38, v39, s4
	v_cmp_u_f32_e64 s4, v33, v33
	v_bfe_u32 v48, v35, 16, 1
	v_add3_u32 v46, v46, v26, 0x7fff
	v_or_b32_e32 v49, 0x400000, v35
	v_bfe_u32 v50, v27, 16, 1
	s_wait_alu 0xf1ff
	v_cndmask_b32_e64 v33, v40, v41, s4
	v_cmp_u_f32_e64 s4, v25, v25
	v_add3_u32 v48, v48, v35, 0x7fff
	v_or_b32_e32 v51, 0x400000, v27
	v_add3_u32 v50, v50, v27, 0x7fff
	v_and_b32_e32 v33, 0xffff0000, v33
	s_wait_alu 0xf1ff
	v_cndmask_b32_e64 v25, v42, v43, s4
	v_cmp_u_f32_e64 s4, v34, v34
	s_delay_alu instid0(VALU_DEP_3) | instskip(NEXT) | instid1(VALU_DEP_3)
	v_dual_mul_f32 v29, v29, v33 :: v_dual_and_b32 v24, 0xffff0000, v24
	v_and_b32_e32 v25, 0xffff0000, v25
	s_wait_alu 0xf1ff
	s_delay_alu instid0(VALU_DEP_3) | instskip(SKIP_1) | instid1(VALU_DEP_3)
	v_cndmask_b32_e64 v34, v44, v45, s4
	v_cmp_u_f32_e64 s4, v26, v26
	v_mul_f32_e32 v21, v21, v25
	s_wait_alu 0xf1ff
	s_delay_alu instid0(VALU_DEP_2) | instskip(SKIP_1) | instid1(VALU_DEP_3)
	v_cndmask_b32_e64 v26, v46, v47, s4
	v_cmp_u_f32_e64 s4, v35, v35
	v_dual_fmac_f32 v21, v20, v24 :: v_dual_and_b32 v20, 0xffff0000, v23
	s_wait_alu 0xf1ff
	s_delay_alu instid0(VALU_DEP_2) | instskip(SKIP_2) | instid1(VALU_DEP_3)
	v_cndmask_b32_e64 v35, v48, v49, s4
	v_cmp_u_f32_e64 s4, v27, v27
	v_and_b32_e32 v27, 0xffff0000, v34
	v_and_b32_e32 v23, 0xffff0000, v35
	;; [unrolled: 1-line block ×3, first 2 shown]
	s_wait_alu 0xf1ff
	v_cndmask_b32_e64 v25, v50, v51, s4
	v_cmp_gt_i32_e64 s4, 32, v17
	s_delay_alu instid0(VALU_DEP_2) | instskip(NEXT) | instid1(VALU_DEP_1)
	v_dual_fmac_f32 v29, v28, v32 :: v_dual_and_b32 v24, 0xffff0000, v25
	v_dual_fmac_f32 v29, v30, v27 :: v_dual_and_b32 v26, 0xffff0000, v26
	s_delay_alu instid0(VALU_DEP_1) | instskip(SKIP_4) | instid1(VALU_DEP_3)
	v_fmac_f32_e32 v21, v22, v26
	s_wait_alu 0xf1ff
	v_cndmask_b32_e64 v22, v6, v17, s4
	v_cmp_gt_i32_e64 s4, 32, v18
	v_fmac_f32_e32 v29, v31, v23
	v_dual_fmac_f32 v21, v20, v24 :: v_dual_lshlrev_b32 v20, 2, v22
	s_wait_alu 0xf1ff
	s_delay_alu instid0(VALU_DEP_3) | instskip(NEXT) | instid1(VALU_DEP_1)
	v_cndmask_b32_e64 v22, v6, v18, s4
	v_dual_add_f32 v21, v29, v21 :: v_dual_lshlrev_b32 v22, 2, v22
	ds_bpermute_b32 v20, v20, v21
	s_wait_dscnt 0x0
	v_add_f32_e32 v20, v21, v20
	ds_bpermute_b32 v21, v22, v20
	s_and_saveexec_b32 s42, s3
	s_cbranch_execz .LBB313_11
; %bb.19:                               ;   in Loop: Header=BB313_13 Depth=1
	s_wait_dscnt 0x0
	v_add_f32_e32 v20, v20, v21
	v_add_nc_u32_e32 v22, v11, v10
	s_delay_alu instid0(VALU_DEP_1) | instskip(NEXT) | instid1(VALU_DEP_1)
	v_cvt_f32_i32_e32 v22, v22
	v_mul_f32_e32 v22, s30, v22
	s_delay_alu instid0(VALU_DEP_1) | instskip(NEXT) | instid1(VALU_DEP_1)
	v_dual_cndmask_b32 v21, 0, v22 :: v_dual_max_num_f32 v22, v9, v9
	v_dual_fmac_f32 v21, s7, v20 :: v_dual_add_nc_u32 v20, v7, v10
	s_delay_alu instid0(VALU_DEP_1) | instskip(NEXT) | instid1(VALU_DEP_2)
	v_max_num_f32_e32 v22, v22, v21
	v_cmp_gt_i32_e64 s4, s33, v20
	s_wait_alu 0xf1ff
	s_delay_alu instid0(VALU_DEP_1) | instskip(NEXT) | instid1(VALU_DEP_3)
	v_cndmask_b32_e64 v20, 0, v21, s4
	v_cndmask_b32_e64 v9, v9, v22, s4
	ds_store_b32 v12, v20
	s_branch .LBB313_11
.LBB313_20:
	s_or_b32 exec_lo, exec_lo, s40
.LBB313_21:
	s_delay_alu instid0(SALU_CYCLE_1)
	s_or_b32 exec_lo, exec_lo, s6
	v_xor_b32_e32 v1, 16, v6
	v_xor_b32_e32 v3, 8, v6
	v_dual_max_num_f32 v7, v9, v9 :: v_dual_and_b32 v16, 31, v0
	s_clause 0x2
	s_load_b128 s[4:7], s[0:1], 0x0
	s_load_b64 s[8:9], s[0:1], 0x10
	s_load_b64 s[30:31], s[0:1], 0x28
	v_cmp_gt_i32_e32 vcc_lo, 32, v1
	s_wait_alu 0xfffd
	v_cndmask_b32_e32 v1, v6, v1, vcc_lo
	v_cmp_gt_i32_e32 vcc_lo, 32, v3
	s_wait_alu 0xfffd
	v_cndmask_b32_e32 v3, v6, v3, vcc_lo
	s_delay_alu instid0(VALU_DEP_1) | instskip(SKIP_4) | instid1(VALU_DEP_1)
	v_lshlrev_b32_e32 v4, 2, v3
	v_lshlrev_b32_e32 v2, 2, v1
	ds_bpermute_b32 v1, v2, v9
	s_wait_dscnt 0x0
	v_max_num_f32_e32 v1, v1, v1
	v_max_num_f32_e32 v1, v7, v1
	v_xor_b32_e32 v7, 4, v6
	ds_bpermute_b32 v3, v4, v1
	v_cmp_gt_i32_e32 vcc_lo, 32, v7
	s_wait_alu 0xfffd
	v_cndmask_b32_e32 v7, v6, v7, vcc_lo
	v_cmp_eq_u32_e32 vcc_lo, 0, v16
	s_delay_alu instid0(VALU_DEP_2) | instskip(SKIP_3) | instid1(VALU_DEP_1)
	v_lshlrev_b32_e32 v9, 2, v7
	v_lshlrev_b32_e32 v7, 2, v13
	s_wait_dscnt 0x0
	v_max_num_f32_e32 v3, v3, v3
	v_max_num_f32_e32 v1, v1, v3
	ds_bpermute_b32 v3, v9, v1
	s_and_saveexec_b32 s0, vcc_lo
	s_cbranch_execz .LBB313_23
; %bb.22:
	s_wait_dscnt 0x0
	v_max_num_f32_e32 v3, v3, v3
	v_max_num_f32_e32 v1, v1, v1
	s_delay_alu instid0(VALU_DEP_1)
	v_max_num_f32_e32 v1, v1, v3
	ds_store_b32 v7, v1 offset:64
.LBB313_23:
	s_or_b32 exec_lo, exec_lo, s0
	v_cmp_gt_u32_e64 s0, 4, v16
	v_dual_mov_b32 v1, 0xff7fffff :: v_dual_lshlrev_b32 v8, 2, v16
	s_wait_loadcnt_dscnt 0x0
	s_barrier_signal -1
	s_barrier_wait -1
	global_inv scope:SCOPE_SE
	s_and_saveexec_b32 s1, s0
; %bb.24:
	ds_load_b32 v1, v8 offset:64
; %bb.25:
	s_or_b32 exec_lo, exec_lo, s1
	v_xor_b32_e32 v3, 2, v6
	v_xor_b32_e32 v11, 1, v6
	s_delay_alu instid0(VALU_DEP_2) | instskip(NEXT) | instid1(VALU_DEP_1)
	v_cmp_gt_i32_e64 s1, 32, v3
	v_cndmask_b32_e64 v3, v6, v3, s1
	s_delay_alu instid0(VALU_DEP_3) | instskip(NEXT) | instid1(VALU_DEP_2)
	v_cmp_gt_i32_e64 s1, 32, v11
	v_lshlrev_b32_e32 v10, 2, v3
	s_wait_alu 0xf1ff
	s_delay_alu instid0(VALU_DEP_2)
	v_cndmask_b32_e64 v6, v6, v11, s1
	v_mov_b32_e32 v11, 0
	s_sub_co_i32 s1, s34, s12
	s_wait_alu 0xfffe
	s_lshl_b32 s1, s1, 3
	s_wait_dscnt 0x0
	ds_bpermute_b32 v3, v10, v1
	v_max_num_f32_e32 v1, v1, v1
	s_wait_alu 0xfffe
	s_add_co_i32 s1, s1, s36
	v_lshlrev_b32_e32 v6, 2, v6
	s_wait_alu 0xfffe
	s_min_i32 s1, s1, s33
	s_wait_alu 0xfffe
	s_sub_co_i32 s19, s1, s36
	s_wait_alu 0xfffe
	v_cmp_gt_i32_e64 s1, s19, v0
	s_wait_dscnt 0x0
	v_max_num_f32_e32 v3, v3, v3
	s_delay_alu instid0(VALU_DEP_1) | instskip(SKIP_3) | instid1(VALU_DEP_1)
	v_max_num_f32_e32 v1, v1, v3
	ds_bpermute_b32 v3, v6, v1
	s_wait_dscnt 0x0
	v_max_num_f32_e32 v3, v3, v3
	v_max_num_f32_e32 v1, v1, v3
	v_lshl_add_u32 v3, v0, 2, 0x60
	ds_bpermute_b32 v1, v11, v1
	s_and_saveexec_b32 s36, s1
	s_cbranch_execz .LBB313_29
; %bb.26:
	v_lshl_add_u32 v12, v0, 2, 0x60
	v_mov_b32_e32 v11, 0
	v_mov_b32_e32 v17, v0
	s_mov_b32 s39, 0
.LBB313_27:                             ; =>This Inner Loop Header: Depth=1
	ds_load_b32 v18, v12
	v_add_nc_u32_e32 v17, 0x80, v17
	s_delay_alu instid0(VALU_DEP_1) | instskip(SKIP_4) | instid1(VALU_DEP_1)
	v_cmp_le_i32_e64 s3, s19, v17
	s_wait_alu 0xfffe
	s_or_b32 s39, s3, s39
	s_wait_dscnt 0x0
	v_sub_f32_e32 v18, v18, v1
	v_mul_f32_e32 v18, 0x3fb8aa3b, v18
	s_delay_alu instid0(VALU_DEP_1)
	v_exp_f32_e32 v18, v18
	ds_store_b32 v12, v18
	v_dual_add_f32 v11, v11, v18 :: v_dual_add_nc_u32 v12, 0x200, v12
	s_wait_alu 0xfffe
	s_and_not1_b32 exec_lo, exec_lo, s39
	s_cbranch_execnz .LBB313_27
; %bb.28:
	s_or_b32 exec_lo, exec_lo, s39
.LBB313_29:
	s_wait_alu 0xfffe
	s_or_b32 exec_lo, exec_lo, s36
	ds_bpermute_b32 v2, v2, v11
	s_wait_dscnt 0x0
	v_add_f32_e32 v2, v11, v2
	ds_bpermute_b32 v4, v4, v2
	s_wait_dscnt 0x0
	v_add_f32_e32 v2, v2, v4
	;; [unrolled: 3-line block ×5, first 2 shown]
	s_and_saveexec_b32 s3, vcc_lo
; %bb.30:
	ds_store_b32 v7, v2 offset:80
; %bb.31:
	s_wait_alu 0xfffe
	s_or_b32 exec_lo, exec_lo, s3
	s_wait_loadcnt_dscnt 0x0
	s_barrier_signal -1
	s_barrier_wait -1
	global_inv scope:SCOPE_SE
	s_and_saveexec_b32 s3, s0
; %bb.32:
	ds_load_b32 v2, v8 offset:80
; %bb.33:
	s_wait_alu 0xfffe
	s_or_b32 exec_lo, exec_lo, s3
	s_wait_dscnt 0x0
	ds_bpermute_b32 v4, v10, v2
	s_wait_dscnt 0x0
	v_add_f32_e32 v2, v2, v4
	ds_bpermute_b32 v4, v6, v2
	s_wait_dscnt 0x0
	v_add_f32_e32 v2, v2, v4
	v_mov_b32_e32 v4, 0
	ds_bpermute_b32 v2, v4, v2
	s_and_saveexec_b32 s0, s1
	s_cbranch_execz .LBB313_36
; %bb.34:
	s_wait_dscnt 0x0
	v_add_f32_e32 v4, 0x358637bd, v2
	s_mov_b32 s1, 0
	s_delay_alu instid0(VALU_DEP_1) | instskip(NEXT) | instid1(VALU_DEP_1)
	v_div_scale_f32 v6, null, v4, v4, 1.0
	v_rcp_f32_e32 v7, v6
	s_delay_alu instid0(TRANS32_DEP_1) | instskip(NEXT) | instid1(VALU_DEP_1)
	v_fma_f32 v8, -v6, v7, 1.0
	v_fmac_f32_e32 v7, v8, v7
	v_div_scale_f32 v9, vcc_lo, 1.0, v4, 1.0
	s_delay_alu instid0(VALU_DEP_1) | instskip(NEXT) | instid1(VALU_DEP_1)
	v_mul_f32_e32 v8, v9, v7
	v_fma_f32 v10, -v6, v8, v9
	s_delay_alu instid0(VALU_DEP_1) | instskip(NEXT) | instid1(VALU_DEP_1)
	v_fmac_f32_e32 v8, v10, v7
	v_fma_f32 v6, -v6, v8, v9
	s_wait_alu 0xfffd
	s_delay_alu instid0(VALU_DEP_1) | instskip(NEXT) | instid1(VALU_DEP_1)
	v_div_fmas_f32 v6, v6, v7, v8
	v_div_fixup_f32 v4, v6, v4, 1.0
	v_mov_b32_e32 v6, v0
.LBB313_35:                             ; =>This Inner Loop Header: Depth=1
	ds_load_b32 v7, v3
	s_wait_dscnt 0x0
	v_dual_mul_f32 v7, v4, v7 :: v_dual_add_nc_u32 v6, 0x80, v6
	s_delay_alu instid0(VALU_DEP_1)
	v_cmp_le_i32_e32 vcc_lo, s19, v6
	ds_store_b32 v3, v7
	v_add_nc_u32_e32 v3, 0x200, v3
	s_wait_alu 0xfffe
	s_or_b32 s1, vcc_lo, s1
	s_wait_alu 0xfffe
	s_and_not1_b32 exec_lo, exec_lo, s1
	s_cbranch_execnz .LBB313_35
.LBB313_36:
	s_wait_alu 0xfffe
	s_or_b32 exec_lo, exec_lo, s0
	s_mul_i32 s0, s15, s28
	s_wait_loadcnt_dscnt 0x0
	s_wait_alu 0xfffe
	s_mul_i32 s28, s0, s29
	s_mov_b32 s0, exec_lo
	s_barrier_signal -1
	s_barrier_wait -1
	global_inv scope:SCOPE_SE
	v_cmpx_eq_u32_e32 0, v0
	s_cbranch_execz .LBB313_38
; %bb.37:
	s_ashr_i32 s29, s28, 31
	s_wait_alu 0xfffe
	s_mul_i32 s40, s15, ttmp9
	s_lshl_b32 s1, s35, 2
	s_lshl_b64 s[42:43], s[28:29], 2
	s_wait_alu 0xfffe
	s_ashr_i32 s41, s40, 31
	v_mov_b32_e32 v3, s1
	s_wait_kmcnt 0x0
	s_add_nc_u64 s[6:7], s[6:7], s[42:43]
	s_wait_alu 0xfffe
	s_lshl_b64 s[40:41], s[40:41], 2
	s_add_nc_u64 s[4:5], s[4:5], s[42:43]
	s_wait_alu 0xfffe
	s_add_nc_u64 s[6:7], s[6:7], s[40:41]
	s_add_nc_u64 s[4:5], s[4:5], s[40:41]
	s_clause 0x1
	global_store_b32 v3, v1, s[6:7]
	global_store_b32 v3, v2, s[4:5]
.LBB313_38:
	s_wait_alu 0xfffe
	s_or_b32 exec_lo, exec_lo, s0
	v_mov_b32_e32 v17, 0
	s_and_saveexec_b32 s1, s2
	s_cbranch_execz .LBB313_46
; %bb.39:
	s_abs_i32 s2, s14
	s_ashr_i32 s19, s18, 31
	s_wait_alu 0xfffe
	s_cvt_f32_u32 s0, s2
	s_wait_kmcnt 0x0
	s_lshl_b64 s[6:7], s[26:27], 2
	s_add_nc_u64 s[18:19], s[30:31], s[18:19]
	s_wait_alu 0xfffe
	s_add_nc_u64 s[6:7], s[24:25], s[6:7]
	v_rcp_iflag_f32_e32 v1, s0
	s_sub_co_i32 s3, s38, s13
	s_sub_co_i32 s13, 0, s2
	s_wait_alu 0xfffe
	v_add_co_u32 v11, s6, s6, v5
	v_mov_b32_e32 v17, 0
	s_wait_alu 0xf1ff
	v_add_co_ci_u32_e64 v12, null, s7, 0, s6
	v_lshl_add_u32 v18, v13, 5, 0x60
	s_mov_b32 s4, s17
	v_readfirstlane_b32 s0, v1
	v_lshlrev_b32_e32 v1, 3, v16
	s_mov_b32 s5, 0
	s_add_co_i32 s37, s37, -1
	s_mul_f32 s0, s0, 0x4f7ffffe
	s_delay_alu instid0(VALU_DEP_1) | instskip(NEXT) | instid1(VALU_DEP_1)
	v_add_co_u32 v9, s14, s18, v1
	v_add_co_ci_u32_e64 v10, null, s19, 0, s14
	s_wait_alu 0xfffe
	s_cvt_u32_f32 s0, s0
	s_wait_alu 0xfffe
	s_delay_alu instid0(SALU_CYCLE_2)
	s_mul_i32 s13, s13, s0
	s_wait_alu 0xfffe
	s_mul_hi_u32 s6, s0, s13
	s_wait_alu 0xfffe
	s_add_co_i32 s6, s0, s6
	s_branch .LBB313_42
.LBB313_40:                             ;   in Loop: Header=BB313_42 Depth=1
	s_wait_alu 0xfffe
	s_or_b32 exec_lo, exec_lo, s7
	s_wait_dscnt 0x1
	v_bfe_u32 v27, v5, 16, 1
	v_or_b32_e32 v28, 0x400000, v5
	v_bfe_u32 v29, v6, 16, 1
	v_cmp_u_f32_e32 vcc_lo, v5, v5
	v_bfe_u32 v30, v7, 16, 1
	v_add3_u32 v27, v27, v5, 0x7fff
	v_or_b32_e32 v31, 0x400000, v6
	v_add3_u32 v29, v29, v6, 0x7fff
	v_or_b32_e32 v32, 0x400000, v7
	v_add3_u32 v30, v30, v7, 0x7fff
	s_wait_alu 0xfffd
	v_cndmask_b32_e32 v5, v27, v28, vcc_lo
	v_cmp_u_f32_e32 vcc_lo, v6, v6
	v_bfe_u32 v27, v8, 16, 1
	s_wait_dscnt 0x0
	v_bfe_u32 v28, v1, 16, 1
	v_lshlrev_b32_e32 v20, 16, v20
	v_lshlrev_b32_e32 v24, 16, v24
	s_wait_alu 0xfffd
	v_cndmask_b32_e32 v6, v29, v31, vcc_lo
	v_cmp_u_f32_e32 vcc_lo, v7, v7
	v_add3_u32 v27, v27, v8, 0x7fff
	v_or_b32_e32 v29, 0x400000, v8
	v_add3_u32 v28, v28, v1, 0x7fff
	v_bfe_u32 v31, v2, 16, 1
	s_wait_alu 0xfffd
	v_cndmask_b32_e32 v7, v30, v32, vcc_lo
	v_cmp_u_f32_e32 vcc_lo, v8, v8
	v_or_b32_e32 v30, 0x400000, v1
	v_lshlrev_b32_e32 v22, 16, v22
	v_lshlrev_b32_e32 v19, 16, v19
	v_lshlrev_b32_e32 v21, 16, v21
	s_wait_alu 0xfffd
	v_cndmask_b32_e32 v8, v27, v29, vcc_lo
	v_cmp_u_f32_e32 vcc_lo, v1, v1
	v_add3_u32 v27, v31, v2, 0x7fff
	v_bfe_u32 v29, v3, 16, 1
	v_and_b32_e32 v7, 0xffff0000, v7
	v_and_b32_e32 v6, 0xffff0000, v6
	s_wait_alu 0xfffd
	v_cndmask_b32_e32 v1, v28, v30, vcc_lo
	v_or_b32_e32 v28, 0x400000, v2
	v_cmp_u_f32_e32 vcc_lo, v2, v2
	v_mul_f32_e32 v7, v7, v24
	s_wait_alu 0xfffd
	s_delay_alu instid0(VALU_DEP_3)
	v_cndmask_b32_e32 v2, v27, v28, vcc_lo
	v_add3_u32 v27, v29, v3, 0x7fff
	v_or_b32_e32 v28, 0x400000, v3
	v_cmp_u_f32_e32 vcc_lo, v3, v3
	v_lshlrev_b32_e32 v26, 16, v26
	v_and_b32_e32 v1, 0xffff0000, v1
	v_and_b32_e32 v8, 0xffff0000, v8
	v_bfe_u32 v29, v4, 16, 1
	s_wait_alu 0xfffd
	v_cndmask_b32_e32 v3, v27, v28, vcc_lo
	v_or_b32_e32 v27, 0x400000, v4
	v_cmp_u_f32_e32 vcc_lo, v4, v4
	v_and_b32_e32 v5, 0xffff0000, v5
	v_mul_f32_e32 v1, v1, v22
	v_and_b32_e32 v3, 0xffff0000, v3
	s_delay_alu instid0(VALU_DEP_1) | instskip(NEXT) | instid1(VALU_DEP_1)
	v_dual_mul_f32 v3, v3, v20 :: v_dual_and_b32 v2, 0xffff0000, v2
	v_dual_mul_f32 v2, v2, v21 :: v_dual_lshlrev_b32 v23, 16, v23
	s_delay_alu instid0(VALU_DEP_1) | instskip(NEXT) | instid1(VALU_DEP_1)
	v_dual_mul_f32 v8, v8, v23 :: v_dual_lshlrev_b32 v25, 16, v25
	v_dual_mul_f32 v5, v5, v26 :: v_dual_mul_f32 v6, v6, v25
	v_add3_u32 v26, v29, v4, 0x7fff
	s_delay_alu instid0(VALU_DEP_4) | instskip(NEXT) | instid1(VALU_DEP_3)
	v_bfe_u32 v21, v2, 16, 1
	v_bfe_u32 v28, v5, 16, 1
	s_wait_alu 0xfffd
	s_delay_alu instid0(VALU_DEP_3)
	v_cndmask_b32_e32 v4, v26, v27, vcc_lo
	v_or_b32_e32 v26, 0x400000, v5
	v_bfe_u32 v27, v6, 16, 1
	v_add3_u32 v25, v28, v5, 0x7fff
	v_cmp_u_f32_e32 vcc_lo, v5, v5
	v_add3_u32 v20, v21, v2, 0x7fff
	v_or_b32_e32 v21, 0x400000, v2
	v_add3_u32 v24, v27, v6, 0x7fff
	s_wait_alu 0xfffd
	v_cndmask_b32_e32 v5, v25, v26, vcc_lo
	v_or_b32_e32 v25, 0x400000, v6
	v_bfe_u32 v26, v7, 16, 1
	v_cmp_u_f32_e32 vcc_lo, v6, v6
	s_delay_alu instid0(VALU_DEP_2)
	v_add3_u32 v23, v26, v7, 0x7fff
	s_wait_alu 0xfffd
	v_cndmask_b32_e32 v6, v24, v25, vcc_lo
	v_or_b32_e32 v24, 0x400000, v7
	v_bfe_u32 v25, v8, 16, 1
	v_cmp_u_f32_e32 vcc_lo, v7, v7
	s_delay_alu instid0(VALU_DEP_4) | instskip(NEXT) | instid1(VALU_DEP_3)
	v_and_b32_e32 v6, 0xffff0000, v6
	v_add3_u32 v22, v25, v8, 0x7fff
	s_wait_alu 0xfffd
	v_cndmask_b32_e32 v7, v23, v24, vcc_lo
	v_or_b32_e32 v23, 0x400000, v8
	v_cmp_u_f32_e32 vcc_lo, v8, v8
	v_bfe_u32 v24, v1, 16, 1
	s_delay_alu instid0(VALU_DEP_4) | instskip(SKIP_2) | instid1(VALU_DEP_3)
	v_and_b32_e32 v7, 0xffff0000, v7
	s_wait_alu 0xfffd
	v_cndmask_b32_e32 v8, v22, v23, vcc_lo
	v_add3_u32 v22, v24, v1, 0x7fff
	v_cmp_u_f32_e32 vcc_lo, v1, v1
	v_bfe_u32 v23, v3, 16, 1
	s_delay_alu instid0(VALU_DEP_4) | instskip(SKIP_1) | instid1(VALU_DEP_1)
	v_and_b32_e32 v8, 0xffff0000, v8
	v_and_b32_e32 v5, 0xffff0000, v5
	v_dual_add_f32 v5, v5, v6 :: v_dual_and_b32 v4, 0xffff0000, v4
	s_delay_alu instid0(VALU_DEP_1) | instskip(SKIP_1) | instid1(VALU_DEP_2)
	v_mul_f32_e32 v4, v4, v19
	v_or_b32_e32 v19, 0x400000, v1
	v_bfe_u32 v24, v4, 16, 1
	s_wait_alu 0xfffd
	s_delay_alu instid0(VALU_DEP_2) | instskip(SKIP_3) | instid1(VALU_DEP_4)
	v_cndmask_b32_e32 v1, v22, v19, vcc_lo
	v_cmp_u_f32_e32 vcc_lo, v2, v2
	v_add3_u32 v19, v23, v3, 0x7fff
	v_or_b32_e32 v22, 0x400000, v3
	v_and_b32_e32 v1, 0xffff0000, v1
	s_wait_alu 0xfffd
	v_cndmask_b32_e32 v2, v20, v21, vcc_lo
	v_add3_u32 v20, v24, v4, 0x7fff
	v_or_b32_e32 v21, 0x400000, v4
	v_cmp_u_f32_e32 vcc_lo, v4, v4
	s_delay_alu instid0(VALU_DEP_4) | instskip(SKIP_1) | instid1(VALU_DEP_3)
	v_and_b32_e32 v2, 0xffff0000, v2
	s_wait_alu 0xfffd
	v_cndmask_b32_e32 v4, v20, v21, vcc_lo
	v_cmp_u_f32_e32 vcc_lo, v3, v3
	s_delay_alu instid0(VALU_DEP_2) | instskip(SKIP_2) | instid1(VALU_DEP_1)
	v_dual_add_f32 v1, v1, v2 :: v_dual_and_b32 v2, 0xffff0000, v4
	s_wait_alu 0xfffd
	v_cndmask_b32_e32 v3, v19, v22, vcc_lo
	v_and_b32_e32 v3, 0xffff0000, v3
	s_delay_alu instid0(VALU_DEP_1) | instskip(SKIP_1) | instid1(VALU_DEP_1)
	v_add_f32_e32 v2, v3, v2
	v_add_f32_e32 v6, v7, v8
	;; [unrolled: 1-line block ×3, first 2 shown]
	s_delay_alu instid0(VALU_DEP_1) | instskip(NEXT) | instid1(VALU_DEP_1)
	v_add_f32_e32 v1, v1, v5
	v_add_f32_e32 v1, v2, v1
	s_delay_alu instid0(VALU_DEP_1)
	v_add_f32_e32 v17, v17, v1
.LBB313_41:                             ;   in Loop: Header=BB313_42 Depth=1
	s_wait_alu 0xfffe
	s_or_b32 exec_lo, exec_lo, s0
	v_add_nc_u32_e32 v15, 4, v15
	v_add_co_u32 v11, s0, v11, 16
	s_wait_alu 0xf1ff
	v_add_co_ci_u32_e64 v12, null, 0, v12, s0
	s_delay_alu instid0(VALU_DEP_3)
	v_cmp_le_i32_e32 vcc_lo, s34, v15
	v_add_nc_u32_e32 v14, 32, v14
	v_add_nc_u32_e32 v18, 0x80, v18
	s_or_b32 s5, vcc_lo, s5
	s_wait_alu 0xfffe
	s_and_not1_b32 exec_lo, exec_lo, s5
	s_cbranch_execz .LBB313_45
.LBB313_42:                             ; =>This Inner Loop Header: Depth=1
	v_sub_nc_u32_e32 v1, 0, v14
	s_delay_alu instid0(VALU_DEP_1) | instskip(NEXT) | instid1(VALU_DEP_1)
	v_max_i32_e32 v1, v14, v1
	v_mul_hi_u32 v2, v1, s22
	s_delay_alu instid0(VALU_DEP_1) | instskip(NEXT) | instid1(VALU_DEP_1)
	v_mul_lo_u32 v3, v2, s16
	v_sub_nc_u32_e32 v1, v1, v3
	v_add_nc_u32_e32 v3, 1, v2
	s_delay_alu instid0(VALU_DEP_2) | instskip(SKIP_2) | instid1(VALU_DEP_2)
	v_subrev_nc_u32_e32 v4, s16, v1
	v_cmp_le_u32_e32 vcc_lo, s16, v1
	s_wait_alu 0xfffd
	v_dual_cndmask_b32 v2, v2, v3 :: v_dual_cndmask_b32 v1, v1, v4
	v_ashrrev_i32_e32 v3, 31, v14
	s_delay_alu instid0(VALU_DEP_2) | instskip(NEXT) | instid1(VALU_DEP_3)
	v_add_nc_u32_e32 v4, 1, v2
	v_cmp_le_u32_e32 vcc_lo, s16, v1
	s_delay_alu instid0(VALU_DEP_3) | instskip(SKIP_1) | instid1(VALU_DEP_3)
	v_xor_b32_e32 v3, s23, v3
	s_wait_alu 0xfffd
	v_cndmask_b32_e32 v1, v2, v4, vcc_lo
	s_delay_alu instid0(VALU_DEP_1) | instskip(NEXT) | instid1(VALU_DEP_1)
	v_xor_b32_e32 v1, v1, v3
	v_sub_nc_u32_e32 v1, v1, v3
	s_delay_alu instid0(VALU_DEP_1) | instskip(SKIP_1) | instid1(VALU_DEP_2)
	v_add_nc_u32_e32 v2, s21, v1
	v_cmp_lt_i32_e64 s0, s3, v1
	v_sub_nc_u32_e32 v3, 0, v2
	s_delay_alu instid0(VALU_DEP_1) | instskip(SKIP_1) | instid1(VALU_DEP_1)
	v_max_i32_e32 v3, v2, v3
	s_wait_alu 0xfffe
	v_mul_hi_u32 v4, v3, s6
	s_delay_alu instid0(VALU_DEP_1) | instskip(NEXT) | instid1(VALU_DEP_1)
	v_mul_lo_u32 v4, v4, s2
	v_sub_nc_u32_e32 v3, v3, v4
	s_delay_alu instid0(VALU_DEP_1) | instskip(SKIP_2) | instid1(VALU_DEP_2)
	v_subrev_nc_u32_e32 v4, s2, v3
	v_cmp_le_u32_e32 vcc_lo, s2, v3
	s_wait_alu 0xfffd
	v_cndmask_b32_e32 v3, v3, v4, vcc_lo
	v_ashrrev_i32_e32 v2, 31, v2
	s_delay_alu instid0(VALU_DEP_2) | instskip(SKIP_2) | instid1(VALU_DEP_2)
	v_subrev_nc_u32_e32 v4, s2, v3
	v_cmp_le_u32_e32 vcc_lo, s2, v3
	s_wait_alu 0xfffd
	v_cndmask_b32_e32 v3, v3, v4, vcc_lo
	s_delay_alu instid0(VALU_DEP_1) | instskip(NEXT) | instid1(VALU_DEP_1)
	v_xor_b32_e32 v3, v3, v2
	v_sub_nc_u32_e32 v2, v3, v2
	s_delay_alu instid0(VALU_DEP_1)
	v_cmp_eq_u32_e32 vcc_lo, 0, v2
	s_or_b32 s7, vcc_lo, s0
	s_wait_alu 0xfffe
	s_and_saveexec_b32 s0, s7
	s_cbranch_execz .LBB313_41
; %bb.43:                               ;   in Loop: Header=BB313_42 Depth=1
	global_load_b32 v1, v[11:12], off
	s_load_b32 s7, s[10:11], 0x0
	s_wait_loadcnt 0x0
	v_mad_co_i64_i32 v[1:2], null, v1, s4, v[9:10]
	global_load_b64 v[19:20], v[1:2], off
	ds_load_2addr_b64 v[5:8], v18 offset1:1
	ds_load_2addr_b64 v[1:4], v18 offset0:2 offset1:3
	s_wait_loadcnt 0x0
	v_bfe_u32 v22, v19, 8, 8
	v_bfe_u32 v23, v19, 16, 8
	;; [unrolled: 1-line block ×4, first 2 shown]
	s_delay_alu instid0(VALU_DEP_4)
	v_cvt_f32_fp8_e32 v22, v22
	v_and_b32_e32 v21, 0xff, v19
	v_lshrrev_b32_e32 v19, 24, v19
	v_cvt_f32_fp8_e32 v23, v23
	v_cvt_f32_fp8_e32 v25, v25
	s_wait_kmcnt 0x0
	v_mul_f32_e32 v22, s7, v22
	v_cvt_f32_fp8_e32 v21, v21
	v_and_b32_e32 v24, 0xff, v20
	v_lshrrev_b32_e32 v20, 24, v20
	v_cvt_f32_fp8_e32 v19, v19
	v_bfe_u32 v29, v22, 16, 1
	v_mul_f32_e32 v21, s7, v21
	v_cvt_f32_fp8_e32 v24, v24
	v_mul_f32_e32 v23, s7, v23
	v_cvt_f32_fp8_e32 v26, v26
	v_cvt_f32_fp8_e32 v20, v20
	v_bfe_u32 v27, v21, 16, 1
	v_or_b32_e32 v28, 0x400000, v21
	v_cmp_u_f32_e32 vcc_lo, v21, v21
	v_dual_mul_f32 v19, s7, v19 :: v_dual_mul_f32 v26, s7, v26
	s_delay_alu instid0(VALU_DEP_4)
	v_add3_u32 v27, v27, v21, 0x7fff
	v_dual_mul_f32 v24, s7, v24 :: v_dual_mul_f32 v25, s7, v25
	v_mul_f32_e32 v20, s7, v20
	v_or_b32_e32 v30, 0x400000, v22
	v_bfe_u32 v31, v23, 16, 1
	v_add3_u32 v29, v29, v22, 0x7fff
	s_wait_alu 0xfffd
	v_cndmask_b32_e32 v21, v27, v28, vcc_lo
	v_cmp_u_f32_e32 vcc_lo, v22, v22
	v_or_b32_e32 v32, 0x400000, v23
	v_bfe_u32 v33, v19, 16, 1
	v_bfe_u32 v37, v25, 16, 1
	v_add3_u32 v31, v31, v23, 0x7fff
	s_wait_alu 0xfffd
	v_cndmask_b32_e32 v22, v29, v30, vcc_lo
	v_cmp_u_f32_e32 vcc_lo, v23, v23
	v_or_b32_e32 v34, 0x400000, v19
	v_bfe_u32 v35, v24, 16, 1
	v_or_b32_e32 v38, 0x400000, v25
	v_add3_u32 v33, v33, v19, 0x7fff
	v_add3_u32 v37, v37, v25, 0x7fff
	s_wait_alu 0xfffd
	v_cndmask_b32_e32 v23, v31, v32, vcc_lo
	v_cmp_u_f32_e32 vcc_lo, v19, v19
	v_or_b32_e32 v36, 0x400000, v24
	v_bfe_u32 v41, v20, 16, 1
	v_add3_u32 v35, v35, v24, 0x7fff
	v_bfe_u32 v39, v26, 16, 1
	s_wait_alu 0xfffd
	v_cndmask_b32_e32 v19, v33, v34, vcc_lo
	v_cmp_u_f32_e32 vcc_lo, v24, v24
	v_or_b32_e32 v42, 0x400000, v20
	v_add3_u32 v41, v41, v20, 0x7fff
	v_or_b32_e32 v40, 0x400000, v26
	v_add3_u32 v39, v39, v26, 0x7fff
	s_wait_alu 0xfffd
	v_cndmask_b32_e32 v27, v35, v36, vcc_lo
	v_cmp_u_f32_e32 vcc_lo, v25, v25
	v_lshrrev_b32_e32 v25, 16, v22
	s_mov_b32 s7, exec_lo
	s_wait_alu 0xfffd
	v_cndmask_b32_e32 v28, v37, v38, vcc_lo
	v_cmp_u_f32_e32 vcc_lo, v26, v26
	v_lshrrev_b32_e32 v26, 16, v21
	v_lshrrev_b32_e32 v24, 16, v23
	;; [unrolled: 1-line block ×4, first 2 shown]
	s_wait_alu 0xfffd
	v_cndmask_b32_e32 v29, v39, v40, vcc_lo
	v_cmp_u_f32_e32 vcc_lo, v20, v20
	s_delay_alu instid0(VALU_DEP_2) | instskip(SKIP_3) | instid1(VALU_DEP_2)
	v_lshrrev_b32_e32 v20, 16, v29
	s_wait_alu 0xfffd
	v_cndmask_b32_e32 v30, v41, v42, vcc_lo
	v_lshrrev_b32_e32 v22, 16, v27
	v_lshrrev_b32_e32 v19, 16, v30
	v_cmpx_eq_u32_e64 s37, v15
	s_cbranch_execz .LBB313_40
; %bb.44:                               ;   in Loop: Header=BB313_42 Depth=1
	v_add_nc_u32_e32 v27, 1, v14
	v_cmp_gt_i32_e32 vcc_lo, s33, v14
	v_add_nc_u32_e32 v29, 3, v14
	s_wait_alu 0xfffd
	v_cndmask_b32_e32 v26, 0, v26, vcc_lo
	v_cmp_gt_i32_e32 vcc_lo, s33, v27
	v_add_nc_u32_e32 v28, 2, v14
	v_add_nc_u32_e32 v27, 4, v14
	s_wait_alu 0xfffd
	v_cndmask_b32_e32 v25, 0, v25, vcc_lo
	s_delay_alu instid0(VALU_DEP_3)
	v_cmp_gt_i32_e32 vcc_lo, s33, v28
	v_add_nc_u32_e32 v28, 5, v14
	s_wait_alu 0xfffd
	v_cndmask_b32_e32 v24, 0, v24, vcc_lo
	v_cmp_gt_i32_e32 vcc_lo, s33, v29
	v_add_nc_u32_e32 v29, 6, v14
	s_wait_alu 0xfffd
	v_cndmask_b32_e32 v23, 0, v23, vcc_lo
	v_cmp_gt_i32_e32 vcc_lo, s33, v27
	v_add_nc_u32_e32 v27, 7, v14
	s_wait_alu 0xfffd
	v_cndmask_b32_e32 v22, 0, v22, vcc_lo
	v_cmp_gt_i32_e32 vcc_lo, s33, v28
	s_wait_alu 0xfffd
	v_cndmask_b32_e32 v21, 0, v21, vcc_lo
	v_cmp_gt_i32_e32 vcc_lo, s33, v29
	s_wait_alu 0xfffd
	v_cndmask_b32_e32 v20, 0, v20, vcc_lo
	v_cmp_gt_i32_e32 vcc_lo, s33, v27
	s_wait_alu 0xfffd
	v_cndmask_b32_e32 v19, 0, v19, vcc_lo
	s_branch .LBB313_40
.LBB313_45:
	s_or_b32 exec_lo, exec_lo, s5
.LBB313_46:
	s_wait_alu 0xfffe
	s_or_b32 exec_lo, exec_lo, s1
	v_and_b32_e32 v1, 0x3c0, v0
	v_lshl_add_u32 v2, v16, 2, 0x60
	s_mov_b32 s0, exec_lo
	s_wait_loadcnt 0x0
	s_wait_storecnt 0x0
	s_barrier_signal -1
	s_barrier_wait -1
	global_inv scope:SCOPE_SE
	v_cmpx_eq_u32_e32 64, v1
; %bb.47:
	v_lshlrev_b32_e32 v1, 7, v13
	s_delay_alu instid0(VALU_DEP_1)
	v_add3_u32 v1, v2, v1, 0xffffff00
	ds_store_b32 v1, v17
; %bb.48:
	s_wait_alu 0xfffe
	s_or_b32 exec_lo, exec_lo, s0
	v_and_b32_e32 v3, 0x3e0, v0
	s_mov_b32 s0, exec_lo
	s_wait_loadcnt_dscnt 0x0
	s_barrier_signal -1
	s_barrier_wait -1
	v_lshl_add_u32 v1, v3, 2, v2
	global_inv scope:SCOPE_SE
	v_cmpx_gt_u32_e32 64, v0
	s_cbranch_execz .LBB313_50
; %bb.49:
	ds_load_b32 v4, v1
	s_wait_dscnt 0x0
	v_add_f32_e32 v17, v17, v4
.LBB313_50:
	s_wait_alu 0xfffe
	s_or_b32 exec_lo, exec_lo, s0
	s_delay_alu instid0(SALU_CYCLE_1)
	s_mov_b32 s0, exec_lo
	s_wait_loadcnt 0x0
	s_barrier_signal -1
	s_barrier_wait -1
	global_inv scope:SCOPE_SE
	v_cmpx_eq_u32_e32 32, v3
; %bb.51:
	ds_store_b32 v2, v17
; %bb.52:
	s_wait_alu 0xfffe
	s_or_b32 exec_lo, exec_lo, s0
	v_cmp_gt_u32_e32 vcc_lo, 32, v0
	s_wait_loadcnt_dscnt 0x0
	s_barrier_signal -1
	s_barrier_wait -1
	global_inv scope:SCOPE_SE
	s_and_saveexec_b32 s0, vcc_lo
	s_cbranch_execz .LBB313_54
; %bb.53:
	ds_load_b32 v0, v1
	s_wait_dscnt 0x0
	v_add_f32_e32 v17, v17, v0
.LBB313_54:
	s_wait_alu 0xfffe
	s_or_b32 exec_lo, exec_lo, s0
	s_wait_loadcnt 0x0
	s_barrier_signal -1
	s_barrier_wait -1
	global_inv scope:SCOPE_SE
	s_and_saveexec_b32 s0, vcc_lo
	s_cbranch_execz .LBB313_56
; %bb.55:
	v_bfe_u32 v0, v17, 16, 1
	s_lshl_b32 s0, s28, 5
	s_mul_i32 s2, s15, s20
	s_wait_alu 0xfffe
	s_ashr_i32 s1, s0, 31
	v_or_b32_e32 v1, 0x400000, v17
	v_add3_u32 v0, v0, v17, 0x7fff
	v_cmp_u_f32_e32 vcc_lo, v17, v17
	s_wait_alu 0xfffe
	s_lshl_b64 s[0:1], s[0:1], 1
	s_ashr_i32 s3, s2, 31
	s_wait_kmcnt 0x0
	s_wait_alu 0xfffe
	s_add_nc_u64 s[0:1], s[8:9], s[0:1]
	s_lshl_b64 s[2:3], s[2:3], 1
	v_lshlrev_b32_e32 v2, 1, v16
	s_wait_alu 0xfffd
	v_cndmask_b32_e32 v0, v0, v1, vcc_lo
	s_wait_alu 0xfffe
	s_add_nc_u64 s[0:1], s[0:1], s[2:3]
	s_mov_b32 s13, 0
	s_wait_alu 0xfffe
	s_add_nc_u64 s[0:1], s[0:1], s[12:13]
	global_store_d16_hi_b16 v2, v0, s[0:1]
.LBB313_56:
	s_endpgm
	.section	.rodata,"a",@progbits
	.p2align	6, 0x0
	.amdhsa_kernel _ZN4vllm25paged_attention_v2_kernelI14__hip_bfloat16hLi32ELi8ELi128ELNS_18Fp8KVCacheDataTypeE1ELb1ELi512EEEvPfS3_PT_PKS4_PKT0_SA_ifPKiSC_iPKfiiiSE_SE_iiiii
		.amdhsa_group_segment_fixed_size 96
		.amdhsa_private_segment_fixed_size 0
		.amdhsa_kernarg_size 400
		.amdhsa_user_sgpr_count 2
		.amdhsa_user_sgpr_dispatch_ptr 0
		.amdhsa_user_sgpr_queue_ptr 0
		.amdhsa_user_sgpr_kernarg_segment_ptr 1
		.amdhsa_user_sgpr_dispatch_id 0
		.amdhsa_user_sgpr_private_segment_size 0
		.amdhsa_wavefront_size32 1
		.amdhsa_uses_dynamic_stack 0
		.amdhsa_enable_private_segment 0
		.amdhsa_system_sgpr_workgroup_id_x 1
		.amdhsa_system_sgpr_workgroup_id_y 1
		.amdhsa_system_sgpr_workgroup_id_z 1
		.amdhsa_system_sgpr_workgroup_info 0
		.amdhsa_system_vgpr_workitem_id 0
		.amdhsa_next_free_vgpr 52
		.amdhsa_next_free_sgpr 45
		.amdhsa_reserve_vcc 1
		.amdhsa_float_round_mode_32 0
		.amdhsa_float_round_mode_16_64 0
		.amdhsa_float_denorm_mode_32 3
		.amdhsa_float_denorm_mode_16_64 3
		.amdhsa_fp16_overflow 0
		.amdhsa_workgroup_processor_mode 1
		.amdhsa_memory_ordered 1
		.amdhsa_forward_progress 1
		.amdhsa_inst_pref_size 51
		.amdhsa_round_robin_scheduling 0
		.amdhsa_exception_fp_ieee_invalid_op 0
		.amdhsa_exception_fp_denorm_src 0
		.amdhsa_exception_fp_ieee_div_zero 0
		.amdhsa_exception_fp_ieee_overflow 0
		.amdhsa_exception_fp_ieee_underflow 0
		.amdhsa_exception_fp_ieee_inexact 0
		.amdhsa_exception_int_div_zero 0
	.end_amdhsa_kernel
	.section	.text._ZN4vllm25paged_attention_v2_kernelI14__hip_bfloat16hLi32ELi8ELi128ELNS_18Fp8KVCacheDataTypeE1ELb1ELi512EEEvPfS3_PT_PKS4_PKT0_SA_ifPKiSC_iPKfiiiSE_SE_iiiii,"axG",@progbits,_ZN4vllm25paged_attention_v2_kernelI14__hip_bfloat16hLi32ELi8ELi128ELNS_18Fp8KVCacheDataTypeE1ELb1ELi512EEEvPfS3_PT_PKS4_PKT0_SA_ifPKiSC_iPKfiiiSE_SE_iiiii,comdat
.Lfunc_end313:
	.size	_ZN4vllm25paged_attention_v2_kernelI14__hip_bfloat16hLi32ELi8ELi128ELNS_18Fp8KVCacheDataTypeE1ELb1ELi512EEEvPfS3_PT_PKS4_PKT0_SA_ifPKiSC_iPKfiiiSE_SE_iiiii, .Lfunc_end313-_ZN4vllm25paged_attention_v2_kernelI14__hip_bfloat16hLi32ELi8ELi128ELNS_18Fp8KVCacheDataTypeE1ELb1ELi512EEEvPfS3_PT_PKS4_PKT0_SA_ifPKiSC_iPKfiiiSE_SE_iiiii
                                        ; -- End function
	.set _ZN4vllm25paged_attention_v2_kernelI14__hip_bfloat16hLi32ELi8ELi128ELNS_18Fp8KVCacheDataTypeE1ELb1ELi512EEEvPfS3_PT_PKS4_PKT0_SA_ifPKiSC_iPKfiiiSE_SE_iiiii.num_vgpr, 52
	.set _ZN4vllm25paged_attention_v2_kernelI14__hip_bfloat16hLi32ELi8ELi128ELNS_18Fp8KVCacheDataTypeE1ELb1ELi512EEEvPfS3_PT_PKS4_PKT0_SA_ifPKiSC_iPKfiiiSE_SE_iiiii.num_agpr, 0
	.set _ZN4vllm25paged_attention_v2_kernelI14__hip_bfloat16hLi32ELi8ELi128ELNS_18Fp8KVCacheDataTypeE1ELb1ELi512EEEvPfS3_PT_PKS4_PKT0_SA_ifPKiSC_iPKfiiiSE_SE_iiiii.numbered_sgpr, 45
	.set _ZN4vllm25paged_attention_v2_kernelI14__hip_bfloat16hLi32ELi8ELi128ELNS_18Fp8KVCacheDataTypeE1ELb1ELi512EEEvPfS3_PT_PKS4_PKT0_SA_ifPKiSC_iPKfiiiSE_SE_iiiii.num_named_barrier, 0
	.set _ZN4vllm25paged_attention_v2_kernelI14__hip_bfloat16hLi32ELi8ELi128ELNS_18Fp8KVCacheDataTypeE1ELb1ELi512EEEvPfS3_PT_PKS4_PKT0_SA_ifPKiSC_iPKfiiiSE_SE_iiiii.private_seg_size, 0
	.set _ZN4vllm25paged_attention_v2_kernelI14__hip_bfloat16hLi32ELi8ELi128ELNS_18Fp8KVCacheDataTypeE1ELb1ELi512EEEvPfS3_PT_PKS4_PKT0_SA_ifPKiSC_iPKfiiiSE_SE_iiiii.uses_vcc, 1
	.set _ZN4vllm25paged_attention_v2_kernelI14__hip_bfloat16hLi32ELi8ELi128ELNS_18Fp8KVCacheDataTypeE1ELb1ELi512EEEvPfS3_PT_PKS4_PKT0_SA_ifPKiSC_iPKfiiiSE_SE_iiiii.uses_flat_scratch, 0
	.set _ZN4vllm25paged_attention_v2_kernelI14__hip_bfloat16hLi32ELi8ELi128ELNS_18Fp8KVCacheDataTypeE1ELb1ELi512EEEvPfS3_PT_PKS4_PKT0_SA_ifPKiSC_iPKfiiiSE_SE_iiiii.has_dyn_sized_stack, 0
	.set _ZN4vllm25paged_attention_v2_kernelI14__hip_bfloat16hLi32ELi8ELi128ELNS_18Fp8KVCacheDataTypeE1ELb1ELi512EEEvPfS3_PT_PKS4_PKT0_SA_ifPKiSC_iPKfiiiSE_SE_iiiii.has_recursion, 0
	.set _ZN4vllm25paged_attention_v2_kernelI14__hip_bfloat16hLi32ELi8ELi128ELNS_18Fp8KVCacheDataTypeE1ELb1ELi512EEEvPfS3_PT_PKS4_PKT0_SA_ifPKiSC_iPKfiiiSE_SE_iiiii.has_indirect_call, 0
	.section	.AMDGPU.csdata,"",@progbits
; Kernel info:
; codeLenInByte = 6472
; TotalNumSgprs: 47
; NumVgprs: 52
; ScratchSize: 0
; MemoryBound: 0
; FloatMode: 240
; IeeeMode: 1
; LDSByteSize: 96 bytes/workgroup (compile time only)
; SGPRBlocks: 0
; VGPRBlocks: 6
; NumSGPRsForWavesPerEU: 47
; NumVGPRsForWavesPerEU: 52
; Occupancy: 16
; WaveLimiterHint : 1
; COMPUTE_PGM_RSRC2:SCRATCH_EN: 0
; COMPUTE_PGM_RSRC2:USER_SGPR: 2
; COMPUTE_PGM_RSRC2:TRAP_HANDLER: 0
; COMPUTE_PGM_RSRC2:TGID_X_EN: 1
; COMPUTE_PGM_RSRC2:TGID_Y_EN: 1
; COMPUTE_PGM_RSRC2:TGID_Z_EN: 1
; COMPUTE_PGM_RSRC2:TIDIG_COMP_CNT: 0
	.section	.text._ZN4vllm25paged_attention_v2_kernelI14__hip_bfloat16hLi64ELi8ELi128ELNS_18Fp8KVCacheDataTypeE1ELb1ELi512EEEvPfS3_PT_PKS4_PKT0_SA_ifPKiSC_iPKfiiiSE_SE_iiiii,"axG",@progbits,_ZN4vllm25paged_attention_v2_kernelI14__hip_bfloat16hLi64ELi8ELi128ELNS_18Fp8KVCacheDataTypeE1ELb1ELi512EEEvPfS3_PT_PKS4_PKT0_SA_ifPKiSC_iPKfiiiSE_SE_iiiii,comdat
	.protected	_ZN4vllm25paged_attention_v2_kernelI14__hip_bfloat16hLi64ELi8ELi128ELNS_18Fp8KVCacheDataTypeE1ELb1ELi512EEEvPfS3_PT_PKS4_PKT0_SA_ifPKiSC_iPKfiiiSE_SE_iiiii ; -- Begin function _ZN4vllm25paged_attention_v2_kernelI14__hip_bfloat16hLi64ELi8ELi128ELNS_18Fp8KVCacheDataTypeE1ELb1ELi512EEEvPfS3_PT_PKS4_PKT0_SA_ifPKiSC_iPKfiiiSE_SE_iiiii
	.globl	_ZN4vllm25paged_attention_v2_kernelI14__hip_bfloat16hLi64ELi8ELi128ELNS_18Fp8KVCacheDataTypeE1ELb1ELi512EEEvPfS3_PT_PKS4_PKT0_SA_ifPKiSC_iPKfiiiSE_SE_iiiii
	.p2align	8
	.type	_ZN4vllm25paged_attention_v2_kernelI14__hip_bfloat16hLi64ELi8ELi128ELNS_18Fp8KVCacheDataTypeE1ELb1ELi512EEEvPfS3_PT_PKS4_PKT0_SA_ifPKiSC_iPKfiiiSE_SE_iiiii,@function
_ZN4vllm25paged_attention_v2_kernelI14__hip_bfloat16hLi64ELi8ELi128ELNS_18Fp8KVCacheDataTypeE1ELb1ELi512EEEvPfS3_PT_PKS4_PKT0_SA_ifPKiSC_iPKfiiiSE_SE_iiiii: ; @_ZN4vllm25paged_attention_v2_kernelI14__hip_bfloat16hLi64ELi8ELi128ELNS_18Fp8KVCacheDataTypeE1ELb1ELi512EEEvPfS3_PT_PKS4_PKT0_SA_ifPKiSC_iPKfiiiSE_SE_iiiii
; %bb.0:
	s_load_b64 s[2:3], s[0:1], 0x40
	s_and_b32 s36, ttmp7, 0xffff
	s_lshr_b32 s35, ttmp7, 16
	s_lshl_b32 s4, s36, 2
	s_lshl_b32 s38, s35, 9
	s_wait_kmcnt 0x0
	s_load_b32 s33, s[2:3], s4 offset:0x0
	s_wait_kmcnt 0x0
	s_cmp_ge_i32 s38, s33
	s_cbranch_scc1 .LBB314_58
; %bb.1:
	s_clause 0x1
	s_load_b32 s37, s[0:1], 0x90
	s_load_b64 s[6:7], s[0:1], 0x30
	s_wait_kmcnt 0x0
	s_abs_i32 s5, s37
	s_abs_i32 s2, s6
	s_delay_alu instid0(SALU_CYCLE_1) | instskip(SKIP_1) | instid1(SALU_CYCLE_2)
	s_cvt_f32_u32 s3, s2
	s_sub_co_i32 s4, 0, s2
	v_rcp_iflag_f32_e32 v1, s3
	s_delay_alu instid0(TRANS32_DEP_1) | instskip(SKIP_2) | instid1(SALU_CYCLE_2)
	v_readfirstlane_b32 s3, v1
	s_mul_f32 s3, s3, 0x4f7ffffe
	s_wait_alu 0xfffe
	s_cvt_u32_f32 s3, s3
	s_wait_alu 0xfffe
	s_delay_alu instid0(SALU_CYCLE_2) | instskip(NEXT) | instid1(SALU_CYCLE_1)
	s_mul_i32 s4, s4, s3
	s_mul_hi_u32 s4, s3, s4
	s_delay_alu instid0(SALU_CYCLE_1)
	s_add_co_i32 s3, s3, s4
	s_xor_b32 s4, s37, s6
	s_wait_alu 0xfffe
	s_mul_hi_u32 s3, s5, s3
	s_ashr_i32 s4, s4, 31
	s_wait_alu 0xfffe
	s_mul_i32 s8, s3, s2
	s_delay_alu instid0(SALU_CYCLE_1)
	s_sub_co_i32 s5, s5, s8
	s_add_co_i32 s8, s3, 1
	s_sub_co_i32 s9, s5, s2
	s_cmp_ge_u32 s5, s2
	s_cselect_b32 s3, s8, s3
	s_cselect_b32 s5, s9, s5
	s_wait_alu 0xfffe
	s_add_co_i32 s8, s3, 1
	s_cmp_ge_u32 s5, s2
	s_mov_b32 s5, 0
	s_cselect_b32 s2, s8, s3
	s_load_b64 s[8:9], s[0:1], 0x50
	s_xor_b32 s2, s2, s4
	s_mov_b32 s18, s5
	s_wait_alu 0xfffe
	s_sub_co_i32 s11, s2, s4
	s_abs_i32 s4, ttmp9
	s_abs_i32 s10, s11
	s_delay_alu instid0(SALU_CYCLE_1) | instskip(SKIP_2) | instid1(SALU_CYCLE_1)
	s_cvt_f32_u32 s2, s10
	s_sub_co_i32 s3, 0, s10
	s_wait_alu 0xfffe
	v_rcp_iflag_f32_e32 v1, s2
	s_delay_alu instid0(TRANS32_DEP_1) | instskip(SKIP_2) | instid1(SALU_CYCLE_2)
	v_readfirstlane_b32 s2, v1
	s_mul_f32 s2, s2, 0x4f7ffffe
	s_wait_alu 0xfffe
	s_cvt_u32_f32 s2, s2
	s_wait_alu 0xfffe
	s_delay_alu instid0(SALU_CYCLE_2)
	s_mul_i32 s3, s3, s2
	s_wait_alu 0xfffe
	s_mul_hi_u32 s3, s2, s3
	s_wait_alu 0xfffe
	s_add_co_i32 s2, s2, s3
	s_mov_b32 s3, s5
	s_wait_kmcnt 0x0
	s_cmp_eq_u64 s[8:9], 0
	s_cbranch_scc1 .LBB314_3
; %bb.2:
	s_mov_b32 s12, ttmp9
	s_ashr_i32 s13, ttmp9, 31
	s_delay_alu instid0(SALU_CYCLE_1) | instskip(NEXT) | instid1(SALU_CYCLE_1)
	s_lshl_b64 s[12:13], s[12:13], 2
	s_add_nc_u64 s[8:9], s[8:9], s[12:13]
	s_load_b32 s18, s[8:9], 0x0
.LBB314_3:
	s_load_b96 s[20:22], s[0:1], 0x58
	s_mul_u64 s[2:3], s[4:5], s[2:3]
	v_and_b32_e32 v1, 3, v0
	v_cmp_gt_u32_e64 s2, 32, v0
	s_ashr_i32 s5, ttmp9, 31
	s_ashr_i32 s8, s11, 31
	s_lshl_b32 s24, ttmp9, 6
	s_wait_alu 0xfffe
	s_and_saveexec_b32 s9, s2
	s_cbranch_execz .LBB314_5
; %bb.4:
	s_load_b64 s[12:13], s[0:1], 0x18
	s_wait_kmcnt 0x0
	s_mul_i32 s14, s20, s36
	s_ashr_i32 s25, s24, 31
	s_ashr_i32 s15, s14, 31
	v_lshlrev_b32_e32 v2, 2, v0
	s_lshl_b64 s[14:15], s[14:15], 1
	v_and_b32_e32 v3, 0x3fc, v0
	s_delay_alu instid0(VALU_DEP_1) | instskip(SKIP_2) | instid1(SALU_CYCLE_1)
	v_lshl_add_u32 v3, v1, 5, v3
	s_add_nc_u64 s[12:13], s[12:13], s[14:15]
	s_lshl_b64 s[14:15], s[24:25], 1
	s_add_nc_u64 s[12:13], s[12:13], s[14:15]
	global_load_b32 v2, v2, s[12:13]
	s_wait_loadcnt 0x0
	ds_store_b32 v3, v2
.LBB314_5:
	s_or_b32 exec_lo, exec_lo, s9
	s_load_b128 s[12:15], s[0:1], 0x78
	s_mul_i32 s9, s3, s10
	s_xor_b32 s5, s5, s8
	s_sub_co_i32 s4, s4, s9
	s_add_co_i32 s8, s3, 1
	s_sub_co_i32 s9, s4, s10
	s_cmp_ge_u32 s4, s10
                                        ; implicit-def: $sgpr25
	s_cselect_b32 s3, s8, s3
	s_cselect_b32 s4, s9, s4
	s_wait_alu 0xfffe
	s_add_co_i32 s8, s3, 1
	s_cmp_ge_u32 s4, s10
	s_mov_b32 s9, -1
	s_cselect_b32 s4, s8, s3
	s_load_b32 s3, s[0:1], 0x88
	s_xor_b32 s4, s4, s5
	s_wait_dscnt 0x0
	s_sub_co_i32 s19, s4, s5
	s_barrier_signal -1
	s_barrier_wait -1
	s_wait_kmcnt 0x0
	s_abs_i32 s20, s15
	global_inv scope:SCOPE_SE
	s_cvt_f32_u32 s8, s20
	s_delay_alu instid0(SALU_CYCLE_3) | instskip(NEXT) | instid1(TRANS32_DEP_1)
	v_rcp_iflag_f32_e32 v2, s8
	v_readfirstlane_b32 s8, v2
	s_mul_f32 s4, s8, 0x4f7ffffe
	s_add_co_i32 s8, s33, -1
	s_delay_alu instid0(SALU_CYCLE_2) | instskip(SKIP_1) | instid1(SALU_CYCLE_2)
	s_cvt_u32_f32 s10, s4
	s_sub_co_i32 s4, 0, s20
	s_mul_i32 s5, s4, s10
	s_wait_alu 0xfffe
	s_abs_i32 s4, s8
	s_mul_hi_u32 s11, s10, s5
	s_mov_b32 s5, 0
	s_add_co_i32 s26, s10, s11
	s_cmp_lt_i32 s3, 0
	s_mov_b32 s27, s5
	s_cbranch_scc0 .LBB314_7
; %bb.6:
	s_mul_i32 s6, s12, s6
	s_mov_b32 s9, s5
	s_add_co_i32 s6, s19, s6
	s_delay_alu instid0(SALU_CYCLE_1) | instskip(NEXT) | instid1(SALU_CYCLE_1)
	s_mul_i32 s6, s6, s3
	s_sub_co_i32 s25, 1, s6
.LBB314_7:
	s_mul_u64 s[16:17], s[4:5], s[26:27]
	s_ashr_i32 s5, s8, 31
	s_wait_alu 0xfffe
	s_and_not1_b32 vcc_lo, exec_lo, s9
	s_ashr_i32 s27, s15, 31
	s_cbranch_vccnz .LBB314_9
; %bb.8:
	s_mul_i32 s6, s37, s12
	s_delay_alu instid0(SALU_CYCLE_1) | instskip(NEXT) | instid1(SALU_CYCLE_1)
	s_add_co_i32 s6, s6, ttmp9
	s_mul_i32 s3, s6, s3
	s_wait_alu 0xfffe
	s_add_co_i32 s25, s3, 1
.LBB314_9:
	s_clause 0x3
	s_load_b32 s3, s[0:1], 0x48
	s_load_b64 s[28:29], s[0:1], 0x38
	s_load_b32 s12, s[0:1], 0x98
	s_load_b128 s[8:11], s[0:1], 0x68
	s_mul_i32 s6, s17, s20
	s_xor_b32 s5, s5, s27
	s_sub_co_i32 s4, s4, s6
	s_add_co_i32 s15, s17, 1
	v_lshrrev_b32_e32 v15, 5, v0
	v_mov_b32_e32 v9, 0xff7fffff
	v_mbcnt_lo_u32_b32 v6, -1, 0
	s_mul_i32 s22, s19, s22
	s_delay_alu instid0(VALU_DEP_3)
	v_lshl_add_u32 v16, v15, 3, s38
	s_wait_kmcnt 0x0
	s_mul_i32 s30, s3, s36
	s_sub_co_i32 s3, s4, s20
	s_ashr_i32 s31, s30, 31
	s_cmp_ge_u32 s4, s20
	s_cselect_b32 s6, s15, s17
	s_wait_alu 0xfffe
	s_cselect_b32 s3, s3, s4
	s_add_co_i32 s4, s6, 1
	s_wait_alu 0xfffe
	s_cmp_ge_u32 s3, s20
	s_cselect_b32 s3, s4, s6
	s_add_co_i32 s4, s33, 7
	s_lshl_b32 s15, s35, 6
	s_ashr_i32 s6, s4, 31
	v_or_b32_e32 v17, s15, v15
	s_lshr_b32 s6, s6, 29
	s_delay_alu instid0(SALU_CYCLE_1)
	s_add_co_i32 s4, s4, s6
	s_add_co_i32 s6, s15, 64
	s_ashr_i32 s39, s4, 3
	s_wait_alu 0xfffe
	s_xor_b32 s4, s3, s5
	s_min_i32 s34, s6, s39
	v_lshlrev_b32_e32 v5, 2, v17
	v_cmp_gt_i32_e64 s3, s34, v17
	s_sub_co_i32 s40, s4, s5
	s_and_saveexec_b32 s16, s3
	s_cbranch_execz .LBB314_21
; %bb.10:
	s_sub_co_i32 s17, s40, s13
	s_ashr_i32 s23, s22, 31
	s_cmp_neq_f32 s18, 0
	s_load_b64 s[42:43], s[0:1], 0x20
	v_bfe_u32 v7, v0, 2, 3
	v_lshlrev_b32_e32 v3, 1, v1
	s_cselect_b32 vcc_lo, -1, 0
	s_abs_i32 s19, s14
	v_dual_mov_b32 v13, 0xff7fffff :: v_dual_lshlrev_b32 v8, 5, v1
	s_cvt_f32_u32 s4, s19
	v_lshlrev_b32_e32 v4, 2, v7
	v_subrev_nc_u32_e32 v9, s33, v7
	s_lshl_b64 s[44:45], s[30:31], 2
	v_rcp_iflag_f32_e32 v2, s4
	v_cmp_eq_u32_e64 s4, 0, v1
	v_lshlrev_b32_e32 v1, 4, v7
	v_add_nc_u32_e32 v11, 1, v9
	v_mov_b32_e32 v9, 0xff7fffff
	v_lshl_or_b32 v12, v15, 5, v4
	s_add_nc_u64 s[44:45], s[28:29], s[44:45]
	s_sub_co_i32 s6, 0, s19
	v_lshl_add_u32 v10, v15, 3, s38
	s_wait_kmcnt 0x0
	s_add_nc_u64 s[42:43], s[42:43], s[22:23]
	v_readfirstlane_b32 s5, v2
	v_add_co_u32 v1, s23, s42, v1
	s_delay_alu instid0(VALU_DEP_1)
	v_add_co_ci_u32_e64 v2, null, s43, 0, s23
	s_mul_f32 s5, s5, 0x4f7ffffe
	v_dual_mov_b32 v19, v17 :: v_dual_add_nc_u32 v12, 0xa0, v12
	v_xor_b32_e32 v14, 2, v6
	s_wait_alu 0xfffe
	s_cvt_u32_f32 s42, s5
	v_add_co_u32 v1, s5, v1, v3
	s_wait_alu 0xf1ff
	v_add_co_ci_u32_e64 v2, null, 0, v2, s5
	v_add_co_u32 v3, s5, s44, v5
	s_wait_alu 0xfffe
	s_mul_i32 s6, s6, s42
	v_add_co_ci_u32_e64 v4, null, s45, 0, s5
	v_xor_b32_e32 v18, 1, v6
	s_mul_hi_u32 s5, s42, s6
	s_mov_b32 s41, 0
	s_mov_b32 s23, s21
	s_wait_alu 0xfffe
	s_add_co_i32 s42, s42, s5
	s_branch .LBB314_13
.LBB314_11:                             ;   in Loop: Header=BB314_13 Depth=1
	s_wait_alu 0xfffe
	s_or_b32 exec_lo, exec_lo, s43
.LBB314_12:                             ;   in Loop: Header=BB314_13 Depth=1
	s_wait_alu 0xfffe
	s_or_b32 exec_lo, exec_lo, s6
	v_add_nc_u32_e32 v19, 4, v19
	v_add_co_u32 v3, s6, v3, 16
	s_wait_alu 0xf1ff
	v_add_co_ci_u32_e64 v4, null, 0, v4, s6
	s_delay_alu instid0(VALU_DEP_3) | instskip(SKIP_3) | instid1(SALU_CYCLE_1)
	v_cmp_le_i32_e64 s5, s34, v19
	v_add_nc_u32_e32 v10, 32, v10
	v_add_nc_u32_e32 v12, 0x80, v12
	s_or_b32 s41, s5, s41
	s_and_not1_b32 exec_lo, exec_lo, s41
	s_cbranch_execz .LBB314_20
.LBB314_13:                             ; =>This Inner Loop Header: Depth=1
	v_sub_nc_u32_e32 v20, 0, v10
	s_delay_alu instid0(VALU_DEP_1) | instskip(SKIP_1) | instid1(VALU_DEP_1)
	v_max_i32_e32 v20, v10, v20
	s_wait_dscnt 0x0
	v_mul_hi_u32 v21, v20, s26
	s_delay_alu instid0(VALU_DEP_1) | instskip(NEXT) | instid1(VALU_DEP_1)
	v_mul_lo_u32 v22, v21, s20
	v_sub_nc_u32_e32 v20, v20, v22
	v_add_nc_u32_e32 v22, 1, v21
	s_delay_alu instid0(VALU_DEP_2) | instskip(SKIP_2) | instid1(VALU_DEP_1)
	v_subrev_nc_u32_e32 v23, s20, v20
	v_cmp_le_u32_e64 s5, s20, v20
	s_wait_alu 0xf1ff
	v_cndmask_b32_e64 v21, v21, v22, s5
	s_delay_alu instid0(VALU_DEP_3) | instskip(SKIP_1) | instid1(VALU_DEP_3)
	v_cndmask_b32_e64 v20, v20, v23, s5
	v_ashrrev_i32_e32 v22, 31, v10
	v_add_nc_u32_e32 v23, 1, v21
	s_delay_alu instid0(VALU_DEP_3) | instskip(NEXT) | instid1(VALU_DEP_3)
	v_cmp_le_u32_e64 s5, s20, v20
	v_xor_b32_e32 v22, s27, v22
	s_wait_alu 0xf1ff
	s_delay_alu instid0(VALU_DEP_2) | instskip(NEXT) | instid1(VALU_DEP_1)
	v_cndmask_b32_e64 v20, v21, v23, s5
	v_xor_b32_e32 v20, v20, v22
	s_delay_alu instid0(VALU_DEP_1) | instskip(NEXT) | instid1(VALU_DEP_1)
	v_sub_nc_u32_e32 v20, v20, v22
	v_add_nc_u32_e32 v21, s25, v20
	v_cmp_ge_i32_e64 s6, s17, v20
	s_delay_alu instid0(VALU_DEP_2) | instskip(NEXT) | instid1(VALU_DEP_1)
	v_sub_nc_u32_e32 v22, 0, v21
	v_max_i32_e32 v22, v21, v22
	v_ashrrev_i32_e32 v21, 31, v21
	s_wait_alu 0xfffe
	s_delay_alu instid0(VALU_DEP_2) | instskip(NEXT) | instid1(VALU_DEP_1)
	v_mul_hi_u32 v23, v22, s42
	v_mul_lo_u32 v23, v23, s19
	s_delay_alu instid0(VALU_DEP_1) | instskip(NEXT) | instid1(VALU_DEP_1)
	v_sub_nc_u32_e32 v22, v22, v23
	v_subrev_nc_u32_e32 v23, s19, v22
	v_cmp_le_u32_e64 s5, s19, v22
	s_wait_alu 0xf1ff
	s_delay_alu instid0(VALU_DEP_1) | instskip(NEXT) | instid1(VALU_DEP_1)
	v_cndmask_b32_e64 v22, v22, v23, s5
	v_subrev_nc_u32_e32 v23, s19, v22
	v_cmp_le_u32_e64 s5, s19, v22
	s_wait_alu 0xf1ff
	s_delay_alu instid0(VALU_DEP_1) | instskip(NEXT) | instid1(VALU_DEP_1)
	v_cndmask_b32_e64 v22, v22, v23, s5
	v_xor_b32_e32 v22, v22, v21
	s_delay_alu instid0(VALU_DEP_1) | instskip(NEXT) | instid1(VALU_DEP_1)
	v_sub_nc_u32_e32 v21, v22, v21
	v_cmp_ne_u32_e64 s5, 0, v21
	s_and_b32 s5, s5, s6
	s_wait_alu 0xfffe
	s_and_saveexec_b32 s6, s5
	s_wait_alu 0xfffe
	s_xor_b32 s5, exec_lo, s6
	s_cbranch_execz .LBB314_17
; %bb.14:                               ;   in Loop: Header=BB314_13 Depth=1
	s_and_saveexec_b32 s6, s4
; %bb.15:                               ;   in Loop: Header=BB314_13 Depth=1
	ds_store_b32 v12, v13
; %bb.16:                               ;   in Loop: Header=BB314_13 Depth=1
	s_wait_alu 0xfffe
	s_or_b32 exec_lo, exec_lo, s6
.LBB314_17:                             ;   in Loop: Header=BB314_13 Depth=1
	s_wait_alu 0xfffe
	s_and_not1_saveexec_b32 s6, s5
	s_cbranch_execz .LBB314_12
; %bb.18:                               ;   in Loop: Header=BB314_13 Depth=1
	global_load_b32 v20, v[3:4], off
	s_wait_loadcnt 0x0
	v_mad_co_i64_i32 v[20:21], null, v20, s23, v[1:2]
	s_clause 0x7
	global_load_u16 v28, v[20:21], off
	global_load_u16 v29, v[20:21], off offset:8
	global_load_u16 v30, v[20:21], off offset:128
	;; [unrolled: 1-line block ×7, first 2 shown]
	ds_load_b128 v[20:23], v8
	ds_load_b128 v[24:27], v8 offset:16
	s_load_b32 s5, s[8:9], 0x0
	s_wait_loadcnt 0x7
	v_and_b32_e32 v44, 0xff, v28
	v_lshrrev_b16 v28, 8, v28
	s_wait_loadcnt 0x4
	v_and_b32_e32 v47, 0xff, v31
	v_lshrrev_b16 v31, 8, v31
	s_wait_loadcnt 0x2
	v_and_b32_e32 v49, 0xff, v33
	s_wait_loadcnt 0x1
	v_and_b32_e32 v50, 0xff, v34
	v_lshrrev_b16 v34, 8, v34
	v_lshrrev_b16 v33, 8, v33
	v_and_b32_e32 v47, 0xffff, v47
	s_wait_loadcnt 0x0
	v_and_b32_e32 v51, 0xff, v35
	v_and_b32_e32 v49, 0xffff, v49
	;; [unrolled: 1-line block ×4, first 2 shown]
	v_cvt_f32_fp8_e32 v47, v47
	s_wait_dscnt 0x0
	v_lshlrev_b32_e32 v40, 16, v24
	v_and_b32_e32 v51, 0xffff, v51
	v_cvt_f32_fp8_e32 v34, v34
	v_and_b32_e32 v45, 0xff, v29
	v_lshrrev_b16 v29, 8, v29
	v_cvt_f32_fp8_e32 v33, v33
	s_wait_kmcnt 0x0
	v_mul_f32_e32 v47, s5, v47
	v_cvt_f32_fp8_e32 v51, v51
	v_and_b32_e32 v24, 0xffff0000, v24
	v_and_b32_e32 v29, 0xffff, v29
	v_dual_mul_f32 v33, s5, v33 :: v_dual_and_b32 v28, 0xffff, v28
	v_cvt_f32_fp8_e32 v49, v49
	v_mul_f32_e32 v34, s5, v34
	s_delay_alu instid0(VALU_DEP_4)
	v_cvt_f32_fp8_e32 v29, v29
	v_lshlrev_b32_e32 v38, 16, v22
	v_and_b32_e32 v22, 0xffff0000, v22
	v_and_b32_e32 v44, 0xffff, v44
	;; [unrolled: 1-line block ×3, first 2 shown]
	v_dual_mul_f32 v29, s5, v29 :: v_dual_and_b32 v48, 0xff, v32
	v_dual_mul_f32 v51, s5, v51 :: v_dual_and_b32 v50, 0xffff, v50
	s_delay_alu instid0(VALU_DEP_4) | instskip(SKIP_1) | instid1(VALU_DEP_4)
	v_cvt_f32_fp8_e32 v44, v44
	v_lshlrev_b32_e32 v37, 16, v21
	v_and_b32_e32 v48, 0xffff, v48
	v_lshrrev_b16 v32, 8, v32
	v_lshrrev_b16 v35, 8, v35
	v_cvt_f32_fp8_e32 v28, v28
	v_cvt_f32_fp8_e32 v45, v45
	;; [unrolled: 1-line block ×3, first 2 shown]
	v_and_b32_e32 v21, 0xffff0000, v21
	v_lshlrev_b32_e32 v36, 16, v20
	v_dual_mul_f32 v49, s5, v49 :: v_dual_and_b32 v20, 0xffff0000, v20
	s_delay_alu instid0(VALU_DEP_4) | instskip(SKIP_4) | instid1(VALU_DEP_4)
	v_mul_f32_e32 v48, s5, v48
	v_and_b32_e32 v46, 0xff, v30
	v_lshrrev_b16 v30, 8, v30
	v_cvt_f32_fp8_e32 v50, v50
	v_dual_mul_f32 v28, s5, v28 :: v_dual_lshlrev_b32 v39, 16, v23
	v_and_b32_e32 v46, 0xffff, v46
	s_delay_alu instid0(VALU_DEP_4) | instskip(SKIP_2) | instid1(VALU_DEP_4)
	v_and_b32_e32 v30, 0xffff, v30
	v_and_b32_e32 v31, 0xffff, v31
	v_dual_mul_f32 v44, s5, v44 :: v_dual_and_b32 v35, 0xffff, v35
	v_cvt_f32_fp8_e32 v46, v46
	v_lshlrev_b32_e32 v41, 16, v25
	v_dual_mul_f32 v50, s5, v50 :: v_dual_and_b32 v25, 0xffff0000, v25
	v_and_b32_e32 v32, 0xffff, v32
	v_cvt_f32_fp8_e32 v30, v30
	v_cvt_f32_fp8_e32 v31, v31
	;; [unrolled: 1-line block ×3, first 2 shown]
	v_bfe_u32 v52, v44, 16, 1
	v_cvt_f32_fp8_e32 v32, v32
	s_delay_alu instid0(VALU_DEP_4) | instskip(SKIP_1) | instid1(VALU_DEP_3)
	v_dual_mul_f32 v31, s5, v31 :: v_dual_lshlrev_b32 v42, 16, v26
	v_dual_mul_f32 v30, s5, v30 :: v_dual_lshlrev_b32 v43, 16, v27
	v_dual_mul_f32 v32, s5, v32 :: v_dual_and_b32 v23, 0xffff0000, v23
	v_dual_mul_f32 v35, s5, v35 :: v_dual_and_b32 v26, 0xffff0000, v26
	v_dual_mul_f32 v45, s5, v45 :: v_dual_mul_f32 v46, s5, v46
	v_or_b32_e32 v53, 0x400000, v44
	v_bfe_u32 v54, v28, 16, 1
	v_add3_u32 v52, v52, v44, 0x7fff
	v_cmp_u_f32_e64 s5, v44, v44
	v_or_b32_e32 v55, 0x400000, v28
	v_bfe_u32 v56, v45, 16, 1
	v_add3_u32 v54, v54, v28, 0x7fff
	v_or_b32_e32 v57, 0x400000, v45
	s_wait_alu 0xf1ff
	v_cndmask_b32_e64 v44, v52, v53, s5
	v_cmp_u_f32_e64 s5, v28, v28
	v_bfe_u32 v58, v29, 16, 1
	v_add3_u32 v56, v56, v45, 0x7fff
	v_or_b32_e32 v59, 0x400000, v29
	v_bfe_u32 v60, v46, 16, 1
	s_wait_alu 0xf1ff
	v_cndmask_b32_e64 v28, v54, v55, s5
	v_cmp_u_f32_e64 s5, v45, v45
	v_add3_u32 v58, v58, v29, 0x7fff
	v_or_b32_e32 v61, 0x400000, v46
	v_bfe_u32 v62, v30, 16, 1
	v_add3_u32 v60, v60, v46, 0x7fff
	s_wait_alu 0xf1ff
	v_cndmask_b32_e64 v45, v56, v57, s5
	v_cmp_u_f32_e64 s5, v29, v29
	v_or_b32_e32 v63, 0x400000, v30
	v_bfe_u32 v64, v47, 16, 1
	v_add3_u32 v62, v62, v30, 0x7fff
	v_or_b32_e32 v65, 0x400000, v47
	s_wait_alu 0xf1ff
	v_cndmask_b32_e64 v29, v58, v59, s5
	v_cmp_u_f32_e64 s5, v46, v46
	v_bfe_u32 v66, v31, 16, 1
	v_add3_u32 v64, v64, v47, 0x7fff
	v_or_b32_e32 v67, 0x400000, v31
	v_bfe_u32 v68, v48, 16, 1
	s_wait_alu 0xf1ff
	v_cndmask_b32_e64 v46, v60, v61, s5
	v_cmp_u_f32_e64 s5, v30, v30
	v_add3_u32 v66, v66, v31, 0x7fff
	v_or_b32_e32 v69, 0x400000, v48
	v_bfe_u32 v70, v32, 16, 1
	v_add3_u32 v68, v68, v48, 0x7fff
	s_wait_alu 0xf1ff
	v_cndmask_b32_e64 v30, v62, v63, s5
	v_cmp_u_f32_e64 s5, v47, v47
	v_or_b32_e32 v71, 0x400000, v32
	v_bfe_u32 v72, v49, 16, 1
	v_add3_u32 v70, v70, v32, 0x7fff
	v_or_b32_e32 v73, 0x400000, v49
	s_wait_alu 0xf1ff
	v_cndmask_b32_e64 v47, v64, v65, s5
	v_cmp_u_f32_e64 s5, v31, v31
	v_bfe_u32 v74, v33, 16, 1
	v_add3_u32 v72, v72, v49, 0x7fff
	v_or_b32_e32 v75, 0x400000, v33
	v_bfe_u32 v76, v50, 16, 1
	s_wait_alu 0xf1ff
	v_cndmask_b32_e64 v31, v66, v67, s5
	v_cmp_u_f32_e64 s5, v48, v48
	v_add3_u32 v74, v74, v33, 0x7fff
	v_and_b32_e32 v29, 0xffff0000, v29
	v_or_b32_e32 v77, 0x400000, v50
	v_add3_u32 v76, v76, v50, 0x7fff
	s_wait_alu 0xf1ff
	v_cndmask_b32_e64 v48, v68, v69, s5
	v_cmp_u_f32_e64 s5, v32, v32
	v_dual_mul_f32 v21, v21, v29 :: v_dual_and_b32 v28, 0xffff0000, v28
	v_bfe_u32 v78, v34, 16, 1
	v_and_b32_e32 v31, 0xffff0000, v31
	s_wait_alu 0xf1ff
	v_cndmask_b32_e64 v32, v70, v71, s5
	v_cmp_u_f32_e64 s5, v49, v49
	v_fmac_f32_e32 v21, v20, v28
	v_or_b32_e32 v79, 0x400000, v34
	v_bfe_u32 v80, v51, 16, 1
	v_add3_u32 v78, v78, v34, 0x7fff
	s_wait_alu 0xf1ff
	v_cndmask_b32_e64 v49, v72, v73, s5
	v_cmp_u_f32_e64 s5, v33, v33
	v_and_b32_e32 v32, 0xffff0000, v32
	v_or_b32_e32 v81, 0x400000, v51
	v_bfe_u32 v82, v35, 16, 1
	v_add3_u32 v80, v80, v51, 0x7fff
	s_wait_alu 0xf1ff
	v_cndmask_b32_e64 v29, v74, v75, s5
	v_cmp_u_f32_e64 s5, v50, v50
	v_and_b32_e32 v45, 0xffff0000, v45
	v_or_b32_e32 v83, 0x400000, v35
	v_add3_u32 v82, v82, v35, 0x7fff
	v_and_b32_e32 v29, 0xffff0000, v29
	s_wait_alu 0xf1ff
	v_cndmask_b32_e64 v20, v76, v77, s5
	v_cmp_u_f32_e64 s5, v34, v34
	v_mul_f32_e32 v37, v37, v45
	v_and_b32_e32 v33, 0xffff0000, v46
	s_delay_alu instid0(VALU_DEP_4) | instskip(SKIP_1) | instid1(VALU_DEP_1)
	v_and_b32_e32 v20, 0xffff0000, v20
	v_and_b32_e32 v30, 0xffff0000, v30
	v_fmac_f32_e32 v21, v22, v30
	s_wait_alu 0xf1ff
	v_cndmask_b32_e64 v22, v78, v79, s5
	v_cmp_u_f32_e64 s5, v51, v51
	s_delay_alu instid0(VALU_DEP_2) | instskip(SKIP_1) | instid1(VALU_DEP_2)
	v_dual_fmac_f32 v21, v23, v31 :: v_dual_and_b32 v22, 0xffff0000, v22
	s_wait_alu 0xf1ff
	v_cndmask_b32_e64 v23, v80, v81, s5
	v_cmp_u_f32_e64 s5, v35, v35
	s_delay_alu instid0(VALU_DEP_3) | instskip(NEXT) | instid1(VALU_DEP_3)
	v_fmac_f32_e32 v21, v24, v32
	v_and_b32_e32 v23, 0xffff0000, v23
	s_wait_alu 0xf1ff
	s_delay_alu instid0(VALU_DEP_3) | instskip(SKIP_3) | instid1(VALU_DEP_2)
	v_cndmask_b32_e64 v24, v82, v83, s5
	v_cmp_gt_i32_e64 s5, 32, v14
	v_dual_fmac_f32 v21, v25, v29 :: v_dual_and_b32 v44, 0xffff0000, v44
	v_and_b32_e32 v25, 0xffff0000, v27
	v_dual_fmac_f32 v21, v26, v22 :: v_dual_and_b32 v24, 0xffff0000, v24
	s_delay_alu instid0(VALU_DEP_3) | instskip(NEXT) | instid1(VALU_DEP_2)
	v_dual_fmac_f32 v37, v36, v44 :: v_dual_and_b32 v28, 0xffff0000, v47
	v_fmac_f32_e32 v21, v25, v24
	s_delay_alu instid0(VALU_DEP_2) | instskip(NEXT) | instid1(VALU_DEP_1)
	v_dual_fmac_f32 v37, v38, v33 :: v_dual_and_b32 v30, 0xffff0000, v48
	v_dual_fmac_f32 v37, v39, v28 :: v_dual_and_b32 v28, 0xffff0000, v49
	s_delay_alu instid0(VALU_DEP_1) | instskip(NEXT) | instid1(VALU_DEP_1)
	v_fmac_f32_e32 v37, v40, v30
	v_fmac_f32_e32 v37, v41, v28
	s_delay_alu instid0(VALU_DEP_1) | instskip(SKIP_3) | instid1(VALU_DEP_2)
	v_fmac_f32_e32 v37, v42, v20
	s_wait_alu 0xf1ff
	v_cndmask_b32_e64 v20, v6, v14, s5
	v_cmp_gt_i32_e64 s5, 32, v18
	v_dual_fmac_f32 v37, v43, v23 :: v_dual_lshlrev_b32 v20, 2, v20
	s_wait_alu 0xf1ff
	s_delay_alu instid0(VALU_DEP_2) | instskip(NEXT) | instid1(VALU_DEP_1)
	v_cndmask_b32_e64 v22, v6, v18, s5
	v_dual_add_f32 v21, v37, v21 :: v_dual_lshlrev_b32 v22, 2, v22
	ds_bpermute_b32 v20, v20, v21
	s_wait_dscnt 0x0
	v_add_f32_e32 v20, v21, v20
	ds_bpermute_b32 v21, v22, v20
	s_and_saveexec_b32 s43, s4
	s_cbranch_execz .LBB314_11
; %bb.19:                               ;   in Loop: Header=BB314_13 Depth=1
	s_wait_dscnt 0x0
	v_add_f32_e32 v20, v20, v21
	v_add_nc_u32_e32 v22, v11, v10
	s_delay_alu instid0(VALU_DEP_1) | instskip(NEXT) | instid1(VALU_DEP_1)
	v_cvt_f32_i32_e32 v22, v22
	v_mul_f32_e32 v22, s18, v22
	s_delay_alu instid0(VALU_DEP_1) | instskip(NEXT) | instid1(VALU_DEP_1)
	v_dual_cndmask_b32 v21, 0, v22 :: v_dual_max_num_f32 v22, v9, v9
	v_dual_fmac_f32 v21, s7, v20 :: v_dual_add_nc_u32 v20, v7, v10
	s_delay_alu instid0(VALU_DEP_1) | instskip(NEXT) | instid1(VALU_DEP_2)
	v_max_num_f32_e32 v22, v22, v21
	v_cmp_gt_i32_e64 s5, s33, v20
	s_wait_alu 0xf1ff
	s_delay_alu instid0(VALU_DEP_1) | instskip(NEXT) | instid1(VALU_DEP_3)
	v_cndmask_b32_e64 v20, 0, v21, s5
	v_cndmask_b32_e64 v9, v9, v22, s5
	ds_store_b32 v12, v20
	s_branch .LBB314_11
.LBB314_20:
	s_or_b32 exec_lo, exec_lo, s41
.LBB314_21:
	s_delay_alu instid0(SALU_CYCLE_1)
	s_or_b32 exec_lo, exec_lo, s16
	v_xor_b32_e32 v1, 16, v6
	v_xor_b32_e32 v3, 8, v6
	v_dual_max_num_f32 v7, v9, v9 :: v_dual_and_b32 v18, 31, v0
	s_clause 0x2
	s_load_b128 s[16:19], s[0:1], 0x0
	s_load_b64 s[6:7], s[0:1], 0x10
	s_load_b64 s[8:9], s[0:1], 0x28
	v_cmp_gt_i32_e32 vcc_lo, 32, v1
	s_wait_alu 0xfffd
	v_cndmask_b32_e32 v1, v6, v1, vcc_lo
	v_cmp_gt_i32_e32 vcc_lo, 32, v3
	s_wait_alu 0xfffd
	v_cndmask_b32_e32 v3, v6, v3, vcc_lo
	s_delay_alu instid0(VALU_DEP_1) | instskip(SKIP_4) | instid1(VALU_DEP_1)
	v_lshlrev_b32_e32 v4, 2, v3
	v_lshlrev_b32_e32 v2, 2, v1
	ds_bpermute_b32 v1, v2, v9
	s_wait_dscnt 0x0
	v_max_num_f32_e32 v1, v1, v1
	v_max_num_f32_e32 v1, v7, v1
	v_xor_b32_e32 v7, 4, v6
	ds_bpermute_b32 v3, v4, v1
	v_cmp_gt_i32_e32 vcc_lo, 32, v7
	s_wait_alu 0xfffd
	v_cndmask_b32_e32 v7, v6, v7, vcc_lo
	v_cmp_eq_u32_e32 vcc_lo, 0, v18
	s_delay_alu instid0(VALU_DEP_2) | instskip(SKIP_3) | instid1(VALU_DEP_1)
	v_lshlrev_b32_e32 v9, 2, v7
	v_lshlrev_b32_e32 v7, 2, v15
	s_wait_dscnt 0x0
	v_max_num_f32_e32 v3, v3, v3
	v_max_num_f32_e32 v1, v1, v3
	ds_bpermute_b32 v3, v9, v1
	s_and_saveexec_b32 s0, vcc_lo
	s_cbranch_execz .LBB314_23
; %bb.22:
	s_wait_dscnt 0x0
	v_max_num_f32_e32 v3, v3, v3
	v_max_num_f32_e32 v1, v1, v1
	s_delay_alu instid0(VALU_DEP_1)
	v_max_num_f32_e32 v1, v1, v3
	ds_store_b32 v7, v1 offset:128
.LBB314_23:
	s_or_b32 exec_lo, exec_lo, s0
	v_cmp_gt_u32_e64 s0, 4, v18
	v_dual_mov_b32 v1, 0xff7fffff :: v_dual_lshlrev_b32 v8, 2, v18
	s_wait_loadcnt_dscnt 0x0
	s_barrier_signal -1
	s_barrier_wait -1
	global_inv scope:SCOPE_SE
	s_and_saveexec_b32 s1, s0
; %bb.24:
	ds_load_b32 v1, v8 offset:128
; %bb.25:
	s_or_b32 exec_lo, exec_lo, s1
	v_xor_b32_e32 v3, 2, v6
	v_xor_b32_e32 v11, 1, v6
	s_delay_alu instid0(VALU_DEP_2) | instskip(NEXT) | instid1(VALU_DEP_1)
	v_cmp_gt_i32_e64 s1, 32, v3
	v_cndmask_b32_e64 v3, v6, v3, s1
	s_delay_alu instid0(VALU_DEP_3) | instskip(NEXT) | instid1(VALU_DEP_2)
	v_cmp_gt_i32_e64 s1, 32, v11
	v_lshlrev_b32_e32 v10, 2, v3
	s_wait_alu 0xf1ff
	s_delay_alu instid0(VALU_DEP_2)
	v_cndmask_b32_e64 v6, v6, v11, s1
	v_mov_b32_e32 v11, 0
	s_sub_co_i32 s1, s34, s15
	s_wait_alu 0xfffe
	s_lshl_b32 s1, s1, 3
	s_wait_dscnt 0x0
	ds_bpermute_b32 v3, v10, v1
	v_max_num_f32_e32 v1, v1, v1
	s_wait_alu 0xfffe
	s_add_co_i32 s1, s1, s38
	v_lshlrev_b32_e32 v6, 2, v6
	s_wait_alu 0xfffe
	s_min_i32 s1, s1, s33
	s_wait_alu 0xfffe
	s_sub_co_i32 s5, s1, s38
	s_wait_alu 0xfffe
	v_cmp_gt_i32_e64 s1, s5, v0
	s_wait_dscnt 0x0
	v_max_num_f32_e32 v3, v3, v3
	s_delay_alu instid0(VALU_DEP_1) | instskip(SKIP_3) | instid1(VALU_DEP_1)
	v_max_num_f32_e32 v1, v1, v3
	ds_bpermute_b32 v3, v6, v1
	s_wait_dscnt 0x0
	v_max_num_f32_e32 v3, v3, v3
	v_max_num_f32_e32 v1, v1, v3
	v_lshl_add_u32 v3, v0, 2, 0xa0
	ds_bpermute_b32 v1, v11, v1
	s_and_saveexec_b32 s23, s1
	s_cbranch_execz .LBB314_29
; %bb.26:
	v_lshl_add_u32 v12, v0, 2, 0xa0
	v_mov_b32_e32 v11, 0
	v_mov_b32_e32 v13, v0
	s_mov_b32 s38, 0
.LBB314_27:                             ; =>This Inner Loop Header: Depth=1
	ds_load_b32 v14, v12
	v_add_nc_u32_e32 v13, 0x80, v13
	s_delay_alu instid0(VALU_DEP_1) | instskip(SKIP_4) | instid1(VALU_DEP_1)
	v_cmp_le_i32_e64 s4, s5, v13
	s_wait_alu 0xfffe
	s_or_b32 s38, s4, s38
	s_wait_dscnt 0x0
	v_sub_f32_e32 v14, v14, v1
	v_mul_f32_e32 v14, 0x3fb8aa3b, v14
	s_delay_alu instid0(VALU_DEP_1)
	v_exp_f32_e32 v14, v14
	ds_store_b32 v12, v14
	v_dual_add_f32 v11, v11, v14 :: v_dual_add_nc_u32 v12, 0x200, v12
	s_wait_alu 0xfffe
	s_and_not1_b32 exec_lo, exec_lo, s38
	s_cbranch_execnz .LBB314_27
; %bb.28:
	s_or_b32 exec_lo, exec_lo, s38
.LBB314_29:
	s_wait_alu 0xfffe
	s_or_b32 exec_lo, exec_lo, s23
	ds_bpermute_b32 v2, v2, v11
	s_wait_dscnt 0x0
	v_add_f32_e32 v2, v11, v2
	ds_bpermute_b32 v4, v4, v2
	s_wait_dscnt 0x0
	v_add_f32_e32 v2, v2, v4
	;; [unrolled: 3-line block ×5, first 2 shown]
	s_and_saveexec_b32 s4, vcc_lo
; %bb.30:
	ds_store_b32 v7, v2 offset:144
; %bb.31:
	s_wait_alu 0xfffe
	s_or_b32 exec_lo, exec_lo, s4
	s_wait_loadcnt_dscnt 0x0
	s_barrier_signal -1
	s_barrier_wait -1
	global_inv scope:SCOPE_SE
	s_and_saveexec_b32 s4, s0
; %bb.32:
	ds_load_b32 v2, v8 offset:144
; %bb.33:
	s_wait_alu 0xfffe
	s_or_b32 exec_lo, exec_lo, s4
	s_wait_dscnt 0x0
	ds_bpermute_b32 v4, v10, v2
	s_wait_dscnt 0x0
	v_add_f32_e32 v2, v2, v4
	ds_bpermute_b32 v4, v6, v2
	s_wait_dscnt 0x0
	v_add_f32_e32 v2, v2, v4
	v_mov_b32_e32 v4, 0
	ds_bpermute_b32 v2, v4, v2
	s_and_saveexec_b32 s0, s1
	s_cbranch_execz .LBB314_36
; %bb.34:
	s_wait_dscnt 0x0
	v_add_f32_e32 v4, 0x358637bd, v2
	s_mov_b32 s1, 0
	s_delay_alu instid0(VALU_DEP_1) | instskip(NEXT) | instid1(VALU_DEP_1)
	v_div_scale_f32 v6, null, v4, v4, 1.0
	v_rcp_f32_e32 v7, v6
	s_delay_alu instid0(TRANS32_DEP_1) | instskip(NEXT) | instid1(VALU_DEP_1)
	v_fma_f32 v8, -v6, v7, 1.0
	v_fmac_f32_e32 v7, v8, v7
	v_div_scale_f32 v9, vcc_lo, 1.0, v4, 1.0
	s_delay_alu instid0(VALU_DEP_1) | instskip(NEXT) | instid1(VALU_DEP_1)
	v_mul_f32_e32 v8, v9, v7
	v_fma_f32 v10, -v6, v8, v9
	s_delay_alu instid0(VALU_DEP_1) | instskip(NEXT) | instid1(VALU_DEP_1)
	v_fmac_f32_e32 v8, v10, v7
	v_fma_f32 v6, -v6, v8, v9
	s_wait_alu 0xfffd
	s_delay_alu instid0(VALU_DEP_1) | instskip(NEXT) | instid1(VALU_DEP_1)
	v_div_fmas_f32 v6, v6, v7, v8
	v_div_fixup_f32 v4, v6, v4, 1.0
	v_mov_b32_e32 v6, v0
.LBB314_35:                             ; =>This Inner Loop Header: Depth=1
	ds_load_b32 v7, v3
	s_wait_dscnt 0x0
	v_dual_mul_f32 v7, v4, v7 :: v_dual_add_nc_u32 v6, 0x80, v6
	s_delay_alu instid0(VALU_DEP_1)
	v_cmp_le_i32_e32 vcc_lo, s5, v6
	ds_store_b32 v3, v7
	v_add_nc_u32_e32 v3, 0x200, v3
	s_wait_alu 0xfffe
	s_or_b32 s1, vcc_lo, s1
	s_wait_alu 0xfffe
	s_and_not1_b32 exec_lo, exec_lo, s1
	s_cbranch_execnz .LBB314_35
.LBB314_36:
	s_wait_alu 0xfffe
	s_or_b32 exec_lo, exec_lo, s0
	s_mul_i32 s0, s12, s36
	s_wait_loadcnt_dscnt 0x0
	s_wait_alu 0xfffe
	s_mul_i32 s4, s0, s37
	s_mov_b32 s0, exec_lo
	s_barrier_signal -1
	s_barrier_wait -1
	global_inv scope:SCOPE_SE
	v_cmpx_eq_u32_e32 0, v0
	s_cbranch_execz .LBB314_38
; %bb.37:
	s_wait_alu 0xfffe
	s_ashr_i32 s5, s4, 31
	s_mul_i32 s36, s12, ttmp9
	s_lshl_b32 s1, s35, 2
	s_wait_alu 0xfffe
	s_lshl_b64 s[42:43], s[4:5], 2
	s_ashr_i32 s37, s36, 31
	v_mov_b32_e32 v3, s1
	s_wait_kmcnt 0x0
	s_wait_alu 0xfffe
	s_add_nc_u64 s[18:19], s[18:19], s[42:43]
	s_lshl_b64 s[36:37], s[36:37], 2
	s_add_nc_u64 s[16:17], s[16:17], s[42:43]
	s_wait_alu 0xfffe
	s_add_nc_u64 s[18:19], s[18:19], s[36:37]
	s_add_nc_u64 s[16:17], s[16:17], s[36:37]
	s_clause 0x1
	global_store_b32 v3, v1, s[18:19]
	global_store_b32 v3, v2, s[16:17]
.LBB314_38:
	s_wait_alu 0xfffe
	s_or_b32 exec_lo, exec_lo, s0
	v_dual_mov_b32 v20, 0 :: v_dual_mov_b32 v19, 0
	s_and_saveexec_b32 s1, s3
	s_cbranch_execz .LBB314_48
; %bb.39:
	s_abs_i32 s3, s14
	v_dual_mov_b32 v19, 0 :: v_dual_lshlrev_b32 v2, 3, v18
	s_wait_alu 0xfffe
	s_cvt_f32_u32 s0, s3
	s_ashr_i32 s23, s22, 31
	s_wait_kmcnt 0x0
	s_lshl_b64 s[16:17], s[30:31], 2
	s_wait_alu 0xfffe
	s_add_nc_u64 s[8:9], s[8:9], s[22:23]
	v_rcp_iflag_f32_e32 v1, s0
	s_add_nc_u64 s[16:17], s[28:29], s[16:17]
	s_sub_co_i32 s14, 0, s3
	s_wait_alu 0xfffe
	v_add_co_u32 v9, s16, s16, v5
	v_add_co_u32 v11, s8, s8, v2
	s_wait_alu 0xf1ff
	v_add_co_ci_u32_e64 v10, null, s17, 0, s16
	v_add_co_ci_u32_e64 v12, null, s9, 0, s8
	s_delay_alu instid0(TRANS32_DEP_1)
	v_readfirstlane_b32 s0, v1
	v_lshl_add_u32 v21, v15, 5, 0xa0
	v_mov_b32_e32 v20, 0
	s_sub_co_i32 s5, s40, s13
	s_mov_b32 s13, s21
	s_mul_f32 s0, s0, 0x4f7ffffe
	s_add_co_i32 s39, s39, -1
	s_mov_b32 s8, 0
	s_wait_alu 0xfffe
	s_cvt_u32_f32 s0, s0
	s_wait_alu 0xfffe
	s_delay_alu instid0(SALU_CYCLE_2)
	s_mul_i32 s14, s14, s0
	s_wait_alu 0xfffe
	s_mul_hi_u32 s9, s0, s14
	s_wait_alu 0xfffe
	s_add_co_i32 s9, s0, s9
	s_branch .LBB314_42
.LBB314_40:                             ;   in Loop: Header=BB314_42 Depth=1
	s_wait_alu 0xfffe
	s_or_b32 exec_lo, exec_lo, s0
	s_wait_dscnt 0x1
	v_bfe_u32 v31, v5, 16, 1
	v_or_b32_e32 v32, 0x400000, v5
	v_bfe_u32 v33, v6, 16, 1
	v_cmp_u_f32_e32 vcc_lo, v5, v5
	v_bfe_u32 v34, v7, 16, 1
	v_add3_u32 v31, v31, v5, 0x7fff
	v_or_b32_e32 v35, 0x400000, v6
	v_add3_u32 v33, v33, v6, 0x7fff
	v_or_b32_e32 v36, 0x400000, v7
	v_add3_u32 v34, v34, v7, 0x7fff
	s_wait_alu 0xfffd
	v_cndmask_b32_e32 v5, v31, v32, vcc_lo
	v_cmp_u_f32_e32 vcc_lo, v6, v6
	v_bfe_u32 v31, v8, 16, 1
	s_wait_dscnt 0x0
	v_bfe_u32 v32, v1, 16, 1
	v_lshlrev_b32_e32 v27, 16, v27
	v_lshlrev_b32_e32 v26, 16, v26
	s_wait_alu 0xfffd
	v_cndmask_b32_e32 v6, v33, v35, vcc_lo
	v_cmp_u_f32_e32 vcc_lo, v7, v7
	v_add3_u32 v31, v31, v8, 0x7fff
	v_or_b32_e32 v33, 0x400000, v8
	v_add3_u32 v32, v32, v1, 0x7fff
	v_bfe_u32 v35, v2, 16, 1
	s_wait_alu 0xfffd
	v_cndmask_b32_e32 v7, v34, v36, vcc_lo
	v_cmp_u_f32_e32 vcc_lo, v8, v8
	v_or_b32_e32 v34, 0x400000, v1
	v_lshlrev_b32_e32 v23, 16, v23
	v_lshlrev_b32_e32 v24, 16, v24
	s_wait_alu 0xfffd
	v_cndmask_b32_e32 v8, v31, v33, vcc_lo
	v_cmp_u_f32_e32 vcc_lo, v1, v1
	v_add3_u32 v31, v35, v2, 0x7fff
	v_bfe_u32 v33, v3, 16, 1
	v_and_b32_e32 v7, 0xffff0000, v7
	s_wait_alu 0xfffd
	v_dual_cndmask_b32 v1, v32, v34 :: v_dual_lshlrev_b32 v28, 16, v28
	v_or_b32_e32 v32, 0x400000, v2
	v_cmp_u_f32_e32 vcc_lo, v2, v2
	v_dual_mul_f32 v27, v7, v27 :: v_dual_and_b32 v8, 0xffff0000, v8
	s_wait_alu 0xfffd
	s_delay_alu instid0(VALU_DEP_3)
	v_cndmask_b32_e32 v2, v31, v32, vcc_lo
	v_add3_u32 v31, v33, v3, 0x7fff
	v_or_b32_e32 v32, 0x400000, v3
	v_bfe_u32 v33, v4, 16, 1
	v_cmp_u_f32_e32 vcc_lo, v3, v3
	v_and_b32_e32 v6, 0xffff0000, v6
	v_or_b32_e32 v34, 0x400000, v27
	s_wait_alu 0xfffd
	v_cndmask_b32_e32 v3, v31, v32, vcc_lo
	s_delay_alu instid0(VALU_DEP_3)
	v_dual_mul_f32 v28, v6, v28 :: v_dual_and_b32 v5, 0xffff0000, v5
	v_add3_u32 v31, v33, v4, 0x7fff
	v_or_b32_e32 v32, 0x400000, v4
	v_cmp_u_f32_e32 vcc_lo, v4, v4
	v_lshlrev_b32_e32 v29, 16, v29
	v_lshlrev_b32_e32 v22, 16, v22
	s_wait_alu 0xfffd
	s_delay_alu instid0(VALU_DEP_2) | instskip(NEXT) | instid1(VALU_DEP_1)
	v_dual_cndmask_b32 v4, v31, v32 :: v_dual_mul_f32 v29, v5, v29
	v_and_b32_e32 v4, 0xffff0000, v4
	s_delay_alu instid0(VALU_DEP_2) | instskip(SKIP_2) | instid1(VALU_DEP_4)
	v_bfe_u32 v33, v29, 16, 1
	v_or_b32_e32 v32, 0x400000, v29
	v_cmp_u_f32_e32 vcc_lo, v29, v29
	v_dual_mul_f32 v22, v4, v22 :: v_dual_lshlrev_b32 v25, 16, v25
	s_delay_alu instid0(VALU_DEP_4) | instskip(SKIP_2) | instid1(VALU_DEP_2)
	v_add3_u32 v31, v33, v29, 0x7fff
	v_bfe_u32 v33, v28, 16, 1
	s_wait_alu 0xfffd
	v_cndmask_b32_e32 v29, v31, v32, vcc_lo
	s_delay_alu instid0(VALU_DEP_2) | instskip(SKIP_4) | instid1(VALU_DEP_4)
	v_add3_u32 v31, v33, v28, 0x7fff
	v_bfe_u32 v32, v27, 16, 1
	v_mul_f32_e32 v26, v8, v26
	v_or_b32_e32 v33, 0x400000, v28
	v_cmp_u_f32_e32 vcc_lo, v28, v28
	v_add3_u32 v32, v32, v27, 0x7fff
	s_delay_alu instid0(VALU_DEP_4)
	v_bfe_u32 v35, v26, 16, 1
	s_wait_alu 0xfffd
	v_cndmask_b32_e32 v28, v31, v33, vcc_lo
	v_cmp_u_f32_e32 vcc_lo, v27, v27
	v_or_b32_e32 v33, 0x400000, v26
	v_add3_u32 v31, v35, v26, 0x7fff
	s_wait_alu 0xfffd
	v_dual_cndmask_b32 v27, v32, v34 :: v_dual_and_b32 v28, 0xffff0000, v28
	v_cmp_u_f32_e32 vcc_lo, v26, v26
	v_and_b32_e32 v3, 0xffff0000, v3
	s_wait_alu 0xfffd
	s_delay_alu instid0(VALU_DEP_3) | instskip(NEXT) | instid1(VALU_DEP_2)
	v_dual_cndmask_b32 v26, v31, v33 :: v_dual_and_b32 v27, 0xffff0000, v27
	v_dual_mul_f32 v23, v3, v23 :: v_dual_and_b32 v2, 0xffff0000, v2
	v_and_b32_e32 v1, 0xffff0000, v1
	s_delay_alu instid0(VALU_DEP_3) | instskip(NEXT) | instid1(VALU_DEP_3)
	v_and_b32_e32 v26, 0xffff0000, v26
	v_dual_mul_f32 v24, v2, v24 :: v_dual_and_b32 v29, 0xffff0000, v29
	s_delay_alu instid0(VALU_DEP_2) | instskip(NEXT) | instid1(VALU_DEP_2)
	v_dual_mul_f32 v25, v1, v25 :: v_dual_add_f32 v26, v27, v26
	v_bfe_u32 v31, v24, 16, 1
	v_or_b32_e32 v33, 0x400000, v24
	s_delay_alu instid0(VALU_DEP_3)
	v_bfe_u32 v32, v25, 16, 1
	v_or_b32_e32 v34, 0x400000, v25
	v_cmp_u_f32_e32 vcc_lo, v25, v25
	v_add3_u32 v31, v31, v24, 0x7fff
	v_add_f32_e32 v28, v29, v28
	v_add3_u32 v32, v32, v25, 0x7fff
	v_lshlrev_b32_e32 v27, 16, v40
	s_wait_alu 0xfffd
	s_delay_alu instid0(VALU_DEP_2) | instskip(SKIP_3) | instid1(VALU_DEP_4)
	v_dual_add_f32 v26, v26, v28 :: v_dual_cndmask_b32 v25, v32, v34
	v_cmp_u_f32_e32 vcc_lo, v24, v24
	v_bfe_u32 v32, v23, 16, 1
	v_or_b32_e32 v34, 0x400000, v23
	v_dual_mul_f32 v6, v6, v27 :: v_dual_and_b32 v25, 0xffff0000, v25
	s_wait_alu 0xfffd
	v_cndmask_b32_e32 v24, v31, v33, vcc_lo
	v_lshlrev_b32_e32 v33, 16, v41
	v_add3_u32 v32, v32, v23, 0x7fff
	v_cmp_u_f32_e32 vcc_lo, v23, v23
	v_bfe_u32 v31, v22, 16, 1
	s_delay_alu instid0(VALU_DEP_4)
	v_dual_mul_f32 v5, v5, v33 :: v_dual_and_b32 v24, 0xffff0000, v24
	v_bfe_u32 v29, v6, 16, 1
	s_wait_alu 0xfffd
	v_cndmask_b32_e32 v23, v32, v34, vcc_lo
	v_add3_u32 v31, v31, v22, 0x7fff
	v_or_b32_e32 v32, 0x400000, v22
	v_cmp_u_f32_e32 vcc_lo, v22, v22
	v_bfe_u32 v28, v5, 16, 1
	v_dual_add_f32 v24, v25, v24 :: v_dual_lshlrev_b32 v25, 16, v39
	s_wait_alu 0xfffd
	v_cndmask_b32_e32 v22, v31, v32, vcc_lo
	s_delay_alu instid0(VALU_DEP_3) | instskip(SKIP_2) | instid1(VALU_DEP_4)
	v_add3_u32 v27, v28, v5, 0x7fff
	v_or_b32_e32 v28, 0x400000, v5
	v_cmp_u_f32_e32 vcc_lo, v5, v5
	v_dual_mul_f32 v7, v7, v25 :: v_dual_and_b32 v22, 0xffff0000, v22
	s_wait_alu 0xfffd
	s_delay_alu instid0(VALU_DEP_3)
	v_cndmask_b32_e32 v5, v27, v28, vcc_lo
	v_add3_u32 v27, v29, v6, 0x7fff
	v_or_b32_e32 v28, 0x400000, v6
	v_cmp_u_f32_e32 vcc_lo, v6, v6
	v_lshlrev_b32_e32 v25, 16, v38
	v_bfe_u32 v29, v7, 16, 1
	s_wait_alu 0xfffd
	v_dual_cndmask_b32 v6, v27, v28 :: v_dual_and_b32 v5, 0xffff0000, v5
	s_delay_alu instid0(VALU_DEP_3) | instskip(NEXT) | instid1(VALU_DEP_3)
	v_mul_f32_e32 v8, v8, v25
	v_add3_u32 v27, v29, v7, 0x7fff
	v_or_b32_e32 v28, 0x400000, v7
	v_cmp_u_f32_e32 vcc_lo, v7, v7
	s_delay_alu instid0(VALU_DEP_4) | instskip(SKIP_1) | instid1(VALU_DEP_3)
	v_bfe_u32 v29, v8, 16, 1
	s_wait_alu 0xfffd
	v_cndmask_b32_e32 v7, v27, v28, vcc_lo
	v_or_b32_e32 v28, 0x400000, v8
	s_delay_alu instid0(VALU_DEP_3) | instskip(SKIP_2) | instid1(VALU_DEP_2)
	v_add3_u32 v27, v29, v8, 0x7fff
	v_cmp_u_f32_e32 vcc_lo, v8, v8
	s_wait_alu 0xfffd
	v_dual_cndmask_b32 v8, v27, v28 :: v_dual_lshlrev_b32 v25, 16, v37
	s_delay_alu instid0(VALU_DEP_1) | instskip(SKIP_2) | instid1(VALU_DEP_3)
	v_dual_mul_f32 v1, v1, v25 :: v_dual_and_b32 v8, 0xffff0000, v8
	v_lshlrev_b32_e32 v13, 16, v13
	v_lshlrev_b32_e32 v25, 16, v30
	v_bfe_u32 v29, v1, 16, 1
	v_cmp_u_f32_e32 vcc_lo, v1, v1
	s_delay_alu instid0(VALU_DEP_4) | instskip(NEXT) | instid1(VALU_DEP_4)
	v_mul_f32_e32 v4, v4, v13
	v_mul_f32_e32 v2, v2, v25
	s_delay_alu instid0(VALU_DEP_4)
	v_add3_u32 v27, v29, v1, 0x7fff
	v_or_b32_e32 v13, 0x400000, v1
	v_lshlrev_b32_e32 v14, 16, v14
	v_bfe_u32 v29, v4, 16, 1
	v_bfe_u32 v25, v2, 16, 1
	s_wait_alu 0xfffd
	v_cndmask_b32_e32 v1, v27, v13, vcc_lo
	v_cmp_u_f32_e32 vcc_lo, v2, v2
	v_mul_f32_e32 v3, v3, v14
	v_add3_u32 v14, v25, v2, 0x7fff
	v_or_b32_e32 v25, 0x400000, v2
	v_and_b32_e32 v1, 0xffff0000, v1
	s_wait_alu 0xfffd
	s_delay_alu instid0(VALU_DEP_2)
	v_cndmask_b32_e32 v2, v14, v25, vcc_lo
	v_bfe_u32 v28, v3, 16, 1
	v_add3_u32 v14, v29, v4, 0x7fff
	v_or_b32_e32 v25, 0x400000, v4
	v_cmp_u_f32_e32 vcc_lo, v4, v4
	v_and_b32_e32 v7, 0xffff0000, v7
	v_add3_u32 v13, v28, v3, 0x7fff
	v_or_b32_e32 v27, 0x400000, v3
	v_and_b32_e32 v2, 0xffff0000, v2
	s_wait_alu 0xfffd
	v_cndmask_b32_e32 v4, v14, v25, vcc_lo
	v_cmp_u_f32_e32 vcc_lo, v3, v3
	v_and_b32_e32 v6, 0xffff0000, v6
	s_delay_alu instid0(VALU_DEP_3) | instskip(SKIP_2) | instid1(VALU_DEP_3)
	v_dual_add_f32 v1, v1, v2 :: v_dual_and_b32 v2, 0xffff0000, v4
	s_wait_alu 0xfffd
	v_dual_cndmask_b32 v3, v13, v27 :: v_dual_add_f32 v4, v24, v26
	v_dual_add_f32 v5, v5, v6 :: v_dual_add_f32 v6, v7, v8
	s_delay_alu instid0(VALU_DEP_2) | instskip(SKIP_1) | instid1(VALU_DEP_2)
	v_and_b32_e32 v3, 0xffff0000, v3
	v_and_b32_e32 v7, 0xffff0000, v23
	v_dual_add_f32 v5, v6, v5 :: v_dual_add_f32 v2, v3, v2
	s_delay_alu instid0(VALU_DEP_1) | instskip(NEXT) | instid1(VALU_DEP_1)
	v_dual_add_f32 v6, v7, v22 :: v_dual_add_f32 v1, v1, v5
	v_add_f32_e32 v3, v6, v4
	s_delay_alu instid0(VALU_DEP_2) | instskip(NEXT) | instid1(VALU_DEP_1)
	v_add_f32_e32 v1, v2, v1
	v_dual_add_f32 v19, v19, v3 :: v_dual_add_f32 v20, v20, v1
.LBB314_41:                             ;   in Loop: Header=BB314_42 Depth=1
	s_wait_alu 0xfffe
	s_or_b32 exec_lo, exec_lo, s14
	v_add_nc_u32_e32 v17, 4, v17
	v_add_co_u32 v9, s0, v9, 16
	s_wait_alu 0xf1ff
	v_add_co_ci_u32_e64 v10, null, 0, v10, s0
	s_delay_alu instid0(VALU_DEP_3)
	v_cmp_le_i32_e32 vcc_lo, s34, v17
	v_add_nc_u32_e32 v16, 32, v16
	v_add_nc_u32_e32 v21, 0x80, v21
	s_or_b32 s8, vcc_lo, s8
	s_wait_alu 0xfffe
	s_and_not1_b32 exec_lo, exec_lo, s8
	s_cbranch_execz .LBB314_47
.LBB314_42:                             ; =>This Inner Loop Header: Depth=1
	v_sub_nc_u32_e32 v1, 0, v16
	s_delay_alu instid0(VALU_DEP_1) | instskip(NEXT) | instid1(VALU_DEP_1)
	v_max_i32_e32 v1, v16, v1
	v_mul_hi_u32 v2, v1, s26
	s_delay_alu instid0(VALU_DEP_1) | instskip(NEXT) | instid1(VALU_DEP_1)
	v_mul_lo_u32 v3, v2, s20
	v_sub_nc_u32_e32 v1, v1, v3
	v_add_nc_u32_e32 v3, 1, v2
	s_delay_alu instid0(VALU_DEP_2) | instskip(SKIP_2) | instid1(VALU_DEP_2)
	v_subrev_nc_u32_e32 v4, s20, v1
	v_cmp_le_u32_e32 vcc_lo, s20, v1
	s_wait_alu 0xfffd
	v_dual_cndmask_b32 v2, v2, v3 :: v_dual_cndmask_b32 v1, v1, v4
	v_ashrrev_i32_e32 v3, 31, v16
	s_delay_alu instid0(VALU_DEP_2) | instskip(NEXT) | instid1(VALU_DEP_3)
	v_add_nc_u32_e32 v4, 1, v2
	v_cmp_le_u32_e32 vcc_lo, s20, v1
	s_delay_alu instid0(VALU_DEP_3) | instskip(SKIP_1) | instid1(VALU_DEP_3)
	v_xor_b32_e32 v3, s27, v3
	s_wait_alu 0xfffd
	v_cndmask_b32_e32 v1, v2, v4, vcc_lo
	s_delay_alu instid0(VALU_DEP_1) | instskip(NEXT) | instid1(VALU_DEP_1)
	v_xor_b32_e32 v1, v1, v3
	v_sub_nc_u32_e32 v1, v1, v3
	s_delay_alu instid0(VALU_DEP_1) | instskip(SKIP_1) | instid1(VALU_DEP_2)
	v_add_nc_u32_e32 v2, s25, v1
	v_cmp_lt_i32_e64 s0, s5, v1
	v_sub_nc_u32_e32 v3, 0, v2
	s_delay_alu instid0(VALU_DEP_1) | instskip(SKIP_1) | instid1(VALU_DEP_1)
	v_max_i32_e32 v3, v2, v3
	s_wait_alu 0xfffe
	v_mul_hi_u32 v4, v3, s9
	s_delay_alu instid0(VALU_DEP_1) | instskip(NEXT) | instid1(VALU_DEP_1)
	v_mul_lo_u32 v4, v4, s3
	v_sub_nc_u32_e32 v3, v3, v4
	s_delay_alu instid0(VALU_DEP_1) | instskip(SKIP_2) | instid1(VALU_DEP_2)
	v_subrev_nc_u32_e32 v4, s3, v3
	v_cmp_le_u32_e32 vcc_lo, s3, v3
	s_wait_alu 0xfffd
	v_cndmask_b32_e32 v3, v3, v4, vcc_lo
	v_ashrrev_i32_e32 v2, 31, v2
	s_delay_alu instid0(VALU_DEP_2) | instskip(SKIP_2) | instid1(VALU_DEP_2)
	v_subrev_nc_u32_e32 v4, s3, v3
	v_cmp_le_u32_e32 vcc_lo, s3, v3
	s_wait_alu 0xfffd
	v_cndmask_b32_e32 v3, v3, v4, vcc_lo
	s_delay_alu instid0(VALU_DEP_1) | instskip(NEXT) | instid1(VALU_DEP_1)
	v_xor_b32_e32 v3, v3, v2
	v_sub_nc_u32_e32 v2, v3, v2
	s_delay_alu instid0(VALU_DEP_1)
	v_cmp_eq_u32_e32 vcc_lo, 0, v2
	s_or_b32 s0, vcc_lo, s0
	s_wait_alu 0xfffe
	s_and_saveexec_b32 s14, s0
	s_cbranch_execz .LBB314_41
; %bb.43:                               ;   in Loop: Header=BB314_42 Depth=1
	global_load_b32 v1, v[9:10], off
	v_cmp_eq_u32_e32 vcc_lo, s39, v17
	v_add_nc_u32_e32 v31, 6, v16
	s_wait_loadcnt 0x0
	v_mad_co_i64_i32 v[13:14], null, v1, s13, v[11:12]
	global_load_b64 v[22:23], v[13:14], off
	ds_load_2addr_b64 v[5:8], v21 offset1:1
	ds_load_2addr_b64 v[1:4], v21 offset0:2 offset1:3
	s_load_b32 s16, s[10:11], 0x0
	s_wait_loadcnt 0x0
	v_and_b32_e32 v27, 0xff, v23
	v_bfe_u32 v28, v23, 8, 8
	v_bfe_u32 v29, v23, 16, 8
	v_lshrrev_b32_e32 v23, 24, v23
	v_bfe_u32 v25, v22, 8, 8
	v_bfe_u32 v26, v22, 16, 8
	v_cvt_f32_fp8_e32 v28, v28
	v_cvt_f32_fp8_e32 v29, v29
	;; [unrolled: 1-line block ×3, first 2 shown]
	v_and_b32_e32 v24, 0xff, v22
	v_cvt_f32_fp8_e32 v25, v25
	v_add_nc_u32_e32 v36, 1, v16
	v_lshrrev_b32_e32 v22, 24, v22
	s_wait_kmcnt 0x0
	v_mul_f32_e32 v23, s16, v23
	v_cvt_f32_fp8_e32 v24, v24
	v_cvt_f32_fp8_e32 v26, v26
	v_mul_f32_e32 v25, s16, v25
	v_add_nc_u32_e32 v35, 2, v16
	v_cvt_f32_fp8_e32 v22, v22
	v_mul_f32_e32 v24, s16, v24
	v_mul_f32_e32 v26, s16, v26
	v_bfe_u32 v38, v25, 16, 1
	s_delay_alu instid0(VALU_DEP_4) | instskip(NEXT) | instid1(VALU_DEP_4)
	v_dual_mul_f32 v22, s16, v22 :: v_dual_add_nc_u32 v33, 4, v16
	v_bfe_u32 v30, v24, 16, 1
	v_or_b32_e32 v37, 0x400000, v24
	v_cmp_u_f32_e64 s0, v24, v24
	v_cvt_f32_fp8_e32 v27, v27
	v_or_b32_e32 v39, 0x400000, v25
	v_add3_u32 v30, v30, v24, 0x7fff
	v_bfe_u32 v40, v26, 16, 1
	v_add3_u32 v38, v38, v25, 0x7fff
	v_dual_mul_f32 v27, s16, v27 :: v_dual_add_nc_u32 v34, 3, v16
	s_wait_alu 0xf1ff
	v_cndmask_b32_e64 v24, v30, v37, s0
	v_cmp_u_f32_e64 s0, v25, v25
	v_or_b32_e32 v41, 0x400000, v26
	v_bfe_u32 v42, v22, 16, 1
	v_add3_u32 v40, v40, v26, 0x7fff
	v_mul_f32_e32 v28, s16, v28
	s_wait_alu 0xf1ff
	v_cndmask_b32_e64 v25, v38, v39, s0
	v_cmp_u_f32_e64 s0, v26, v26
	v_or_b32_e32 v43, 0x400000, v22
	v_bfe_u32 v44, v27, 16, 1
	v_add3_u32 v42, v42, v22, 0x7fff
	v_dual_mul_f32 v29, s16, v29 :: v_dual_add_nc_u32 v32, 5, v16
	s_wait_alu 0xf1ff
	v_cndmask_b32_e64 v26, v40, v41, s0
	v_cmp_u_f32_e64 s0, v22, v22
	v_or_b32_e32 v45, 0x400000, v27
	v_bfe_u32 v46, v28, 16, 1
	v_add3_u32 v44, v44, v27, 0x7fff
	v_or_b32_e32 v47, 0x400000, v28
	s_wait_alu 0xf1ff
	v_cndmask_b32_e64 v22, v42, v43, s0
	v_cmp_u_f32_e64 s0, v27, v27
	v_bfe_u32 v48, v29, 16, 1
	v_add3_u32 v46, v46, v28, 0x7fff
	v_or_b32_e32 v49, 0x400000, v29
	v_bfe_u32 v50, v23, 16, 1
	s_wait_alu 0xf1ff
	v_cndmask_b32_e64 v30, v44, v45, s0
	v_cmp_u_f32_e64 s0, v28, v28
	v_add3_u32 v48, v48, v29, 0x7fff
	v_or_b32_e32 v51, 0x400000, v23
	v_add3_u32 v50, v50, v23, 0x7fff
	v_lshrrev_b32_e32 v28, 16, v25
	s_wait_alu 0xf1ff
	v_cndmask_b32_e64 v37, v46, v47, s0
	v_cmp_u_f32_e64 s0, v29, v29
	v_lshrrev_b32_e32 v29, 16, v24
	v_lshrrev_b32_e32 v27, 16, v26
	;; [unrolled: 1-line block ×4, first 2 shown]
	s_wait_alu 0xf1ff
	v_cndmask_b32_e64 v38, v48, v49, s0
	v_cmp_u_f32_e64 s0, v23, v23
	v_lshrrev_b32_e32 v24, 16, v37
	v_add_nc_u32_e32 v42, 7, v16
	s_delay_alu instid0(VALU_DEP_4) | instskip(SKIP_2) | instid1(VALU_DEP_1)
	v_lshrrev_b32_e32 v23, 16, v38
	s_wait_alu 0xf1ff
	v_cndmask_b32_e64 v39, v50, v51, s0
	v_lshrrev_b32_e32 v22, 16, v39
	s_and_saveexec_b32 s17, vcc_lo
	s_cbranch_execz .LBB314_45
; %bb.44:                               ;   in Loop: Header=BB314_42 Depth=1
	v_cmp_gt_i32_e64 s0, s33, v16
	s_wait_alu 0xf1ff
	s_delay_alu instid0(VALU_DEP_1) | instskip(SKIP_2) | instid1(VALU_DEP_1)
	v_cndmask_b32_e64 v29, 0, v29, s0
	v_cmp_gt_i32_e64 s0, s33, v36
	s_wait_alu 0xf1ff
	v_cndmask_b32_e64 v28, 0, v28, s0
	v_cmp_gt_i32_e64 s0, s33, v35
	s_wait_alu 0xf1ff
	s_delay_alu instid0(VALU_DEP_1) | instskip(SKIP_2) | instid1(VALU_DEP_1)
	v_cndmask_b32_e64 v27, 0, v27, s0
	v_cmp_gt_i32_e64 s0, s33, v34
	s_wait_alu 0xf1ff
	v_cndmask_b32_e64 v26, 0, v26, s0
	;; [unrolled: 7-line block ×4, first 2 shown]
.LBB314_45:                             ;   in Loop: Header=BB314_42 Depth=1
	s_wait_alu 0xfffe
	s_or_b32 exec_lo, exec_lo, s17
	global_load_b64 v[13:14], v[13:14], off offset:256
	s_wait_loadcnt 0x0
	v_bfe_u32 v40, v14, 8, 8
	v_bfe_u32 v37, v13, 8, 8
	;; [unrolled: 1-line block ×4, first 2 shown]
	s_delay_alu instid0(VALU_DEP_4)
	v_cvt_f32_fp8_e32 v40, v40
	v_and_b32_e32 v39, 0xff, v14
	v_cvt_f32_fp8_e32 v37, v37
	v_cvt_f32_fp8_e32 v38, v38
	v_lshrrev_b32_e32 v14, 24, v14
	v_mul_f32_e32 v40, s16, v40
	v_cvt_f32_fp8_e32 v39, v39
	v_and_b32_e32 v30, 0xff, v13
	v_lshrrev_b32_e32 v13, 24, v13
	v_cvt_f32_fp8_e32 v41, v41
	v_cvt_f32_fp8_e32 v14, v14
	v_mul_f32_e32 v39, s16, v39
	v_cvt_f32_fp8_e32 v30, v30
	v_cvt_f32_fp8_e32 v13, v13
	v_dual_mul_f32 v38, s16, v38 :: v_dual_mul_f32 v37, s16, v37
	s_delay_alu instid0(VALU_DEP_4) | instskip(NEXT) | instid1(VALU_DEP_3)
	v_bfe_u32 v51, v39, 16, 1
	v_dual_mul_f32 v30, s16, v30 :: v_dual_mul_f32 v13, s16, v13
	s_delay_alu instid0(VALU_DEP_3) | instskip(NEXT) | instid1(VALU_DEP_4)
	v_bfe_u32 v47, v38, 16, 1
	v_bfe_u32 v45, v37, 16, 1
	v_or_b32_e32 v46, 0x400000, v37
	s_delay_alu instid0(VALU_DEP_4)
	v_bfe_u32 v43, v30, 16, 1
	v_or_b32_e32 v44, 0x400000, v30
	v_cmp_u_f32_e64 s0, v30, v30
	v_add3_u32 v45, v45, v37, 0x7fff
	v_or_b32_e32 v48, 0x400000, v38
	v_add3_u32 v43, v43, v30, 0x7fff
	v_bfe_u32 v49, v13, 16, 1
	v_add3_u32 v47, v47, v38, 0x7fff
	v_or_b32_e32 v50, 0x400000, v13
	v_dual_mul_f32 v41, s16, v41 :: v_dual_mul_f32 v14, s16, v14
	s_wait_alu 0xf1ff
	v_cndmask_b32_e64 v30, v43, v44, s0
	v_cmp_u_f32_e64 s0, v37, v37
	v_add3_u32 v49, v49, v13, 0x7fff
	v_or_b32_e32 v52, 0x400000, v39
	v_bfe_u32 v53, v40, 16, 1
	v_add3_u32 v51, v51, v39, 0x7fff
	s_wait_alu 0xf1ff
	v_cndmask_b32_e64 v37, v45, v46, s0
	v_cmp_u_f32_e64 s0, v38, v38
	v_or_b32_e32 v54, 0x400000, v40
	v_bfe_u32 v55, v41, 16, 1
	v_add3_u32 v53, v53, v40, 0x7fff
	v_or_b32_e32 v56, 0x400000, v41
	s_wait_alu 0xf1ff
	v_cndmask_b32_e64 v38, v47, v48, s0
	v_cmp_u_f32_e64 s0, v13, v13
	v_bfe_u32 v57, v14, 16, 1
	v_add3_u32 v55, v55, v41, 0x7fff
	v_or_b32_e32 v58, 0x400000, v14
	s_wait_alu 0xf1ff
	v_cndmask_b32_e64 v13, v49, v50, s0
	v_cmp_u_f32_e64 s0, v39, v39
	v_add3_u32 v57, v57, v14, 0x7fff
	v_lshrrev_b32_e32 v39, 16, v38
	s_delay_alu instid0(VALU_DEP_4) | instskip(SKIP_4) | instid1(VALU_DEP_3)
	v_lshrrev_b32_e32 v38, 16, v13
	s_wait_alu 0xf1ff
	v_cndmask_b32_e64 v43, v51, v52, s0
	v_cmp_u_f32_e64 s0, v40, v40
	v_lshrrev_b32_e32 v40, 16, v37
	v_lshrrev_b32_e32 v37, 16, v43
	s_wait_alu 0xf1ff
	s_delay_alu instid0(VALU_DEP_3) | instskip(SKIP_2) | instid1(VALU_DEP_3)
	v_cndmask_b32_e64 v44, v53, v54, s0
	v_cmp_u_f32_e64 s0, v41, v41
	v_lshrrev_b32_e32 v41, 16, v30
	v_lshrrev_b32_e32 v30, 16, v44
	s_wait_alu 0xf1ff
	s_delay_alu instid0(VALU_DEP_3) | instskip(SKIP_1) | instid1(VALU_DEP_2)
	v_cndmask_b32_e64 v45, v55, v56, s0
	v_cmp_u_f32_e64 s0, v14, v14
	v_lshrrev_b32_e32 v14, 16, v45
	s_wait_alu 0xf1ff
	s_delay_alu instid0(VALU_DEP_2) | instskip(NEXT) | instid1(VALU_DEP_1)
	v_cndmask_b32_e64 v46, v57, v58, s0
	v_lshrrev_b32_e32 v13, 16, v46
	s_and_saveexec_b32 s0, vcc_lo
	s_cbranch_execz .LBB314_40
; %bb.46:                               ;   in Loop: Header=BB314_42 Depth=1
	v_cmp_gt_i32_e32 vcc_lo, s33, v16
	s_wait_alu 0xfffd
	v_cndmask_b32_e32 v41, 0, v41, vcc_lo
	v_cmp_gt_i32_e32 vcc_lo, s33, v36
	s_wait_alu 0xfffd
	v_cndmask_b32_e32 v40, 0, v40, vcc_lo
	v_cmp_gt_i32_e32 vcc_lo, s33, v35
	s_wait_alu 0xfffd
	v_cndmask_b32_e32 v39, 0, v39, vcc_lo
	v_cmp_gt_i32_e32 vcc_lo, s33, v34
	s_wait_alu 0xfffd
	v_cndmask_b32_e32 v38, 0, v38, vcc_lo
	v_cmp_gt_i32_e32 vcc_lo, s33, v33
	s_wait_alu 0xfffd
	v_cndmask_b32_e32 v37, 0, v37, vcc_lo
	v_cmp_gt_i32_e32 vcc_lo, s33, v32
	s_wait_alu 0xfffd
	v_cndmask_b32_e32 v30, 0, v30, vcc_lo
	v_cmp_gt_i32_e32 vcc_lo, s33, v31
	s_wait_alu 0xfffd
	v_cndmask_b32_e32 v14, 0, v14, vcc_lo
	v_cmp_gt_i32_e32 vcc_lo, s33, v42
	s_wait_alu 0xfffd
	v_cndmask_b32_e32 v13, 0, v13, vcc_lo
	s_branch .LBB314_40
.LBB314_47:
	s_or_b32 exec_lo, exec_lo, s8
.LBB314_48:
	s_wait_alu 0xfffe
	s_or_b32 exec_lo, exec_lo, s1
	v_lshl_add_u32 v2, v18, 2, 0xa0
	v_and_b32_e32 v3, 0x3c0, v0
	s_mov_b32 s0, exec_lo
	s_wait_loadcnt 0x0
	s_wait_storecnt 0x0
	s_barrier_signal -1
	v_lshl_add_u32 v1, v15, 8, v2
	s_barrier_wait -1
	global_inv scope:SCOPE_SE
	v_cmpx_eq_u32_e32 64, v3
	s_cbranch_execz .LBB314_50
; %bb.49:
	v_add_nc_u32_e32 v3, 0xfffffe00, v1
	v_add_nc_u32_e32 v4, 0xfffffe80, v1
	ds_store_b32 v3, v19
	ds_store_b32 v4, v20
.LBB314_50:
	s_wait_alu 0xfffe
	s_or_b32 exec_lo, exec_lo, s0
	s_delay_alu instid0(SALU_CYCLE_1)
	s_mov_b32 s0, exec_lo
	s_wait_loadcnt_dscnt 0x0
	s_barrier_signal -1
	s_barrier_wait -1
	global_inv scope:SCOPE_SE
	v_cmpx_gt_u32_e32 64, v0
	s_cbranch_execz .LBB314_52
; %bb.51:
	ds_load_2addr_b32 v[3:4], v1 offset1:32
	s_wait_dscnt 0x0
	v_dual_add_f32 v19, v19, v3 :: v_dual_add_f32 v20, v20, v4
.LBB314_52:
	s_wait_alu 0xfffe
	s_or_b32 exec_lo, exec_lo, s0
	v_and_b32_e32 v3, 0x3e0, v0
	s_mov_b32 s0, exec_lo
	s_wait_loadcnt 0x0
	s_barrier_signal -1
	s_barrier_wait -1
	global_inv scope:SCOPE_SE
	v_cmpx_eq_u32_e32 32, v3
; %bb.53:
	ds_store_2addr_b32 v2, v19, v20 offset1:32
; %bb.54:
	s_wait_alu 0xfffe
	s_or_b32 exec_lo, exec_lo, s0
	s_wait_loadcnt_dscnt 0x0
	s_barrier_signal -1
	s_barrier_wait -1
	global_inv scope:SCOPE_SE
	s_and_saveexec_b32 s0, s2
	s_cbranch_execz .LBB314_56
; %bb.55:
	ds_load_2addr_b32 v[1:2], v1 offset1:32
	s_wait_dscnt 0x0
	v_dual_add_f32 v19, v19, v1 :: v_dual_add_f32 v20, v20, v2
.LBB314_56:
	s_wait_alu 0xfffe
	s_or_b32 exec_lo, exec_lo, s0
	s_wait_loadcnt 0x0
	s_barrier_signal -1
	s_barrier_wait -1
	global_inv scope:SCOPE_SE
	s_and_saveexec_b32 s0, s2
	s_cbranch_execz .LBB314_58
; %bb.57:
	v_bfe_u32 v1, v19, 16, 1
	v_bfe_u32 v2, v20, 16, 1
	v_or_b32_e32 v3, 0x400000, v19
	v_cmp_u_f32_e32 vcc_lo, v19, v19
	s_lshl_b32 s0, s4, 6
	v_add3_u32 v1, v1, v19, 0x7fff
	s_mul_i32 s2, s12, s24
	s_wait_alu 0xfffe
	s_ashr_i32 s1, s0, 31
	v_add3_u32 v2, v2, v20, 0x7fff
	v_or_b32_e32 v4, 0x400000, v20
	s_wait_alu 0xfffd
	v_dual_cndmask_b32 v1, v1, v3 :: v_dual_lshlrev_b32 v0, 1, v0
	v_cmp_u_f32_e32 vcc_lo, v20, v20
	s_ashr_i32 s3, s2, 31
	s_wait_alu 0xfffe
	s_lshl_b64 s[0:1], s[0:1], 1
	s_lshl_b64 s[2:3], s[2:3], 1
	s_wait_kmcnt 0x0
	s_wait_alu 0xfffe
	s_add_nc_u64 s[0:1], s[6:7], s[0:1]
	s_wait_alu 0xfffd
	v_cndmask_b32_e32 v2, v2, v4, vcc_lo
	s_wait_alu 0xfffe
	s_add_nc_u64 s[0:1], s[0:1], s[2:3]
	s_lshl_b32 s2, s15, 1
	s_mov_b32 s3, 0
	s_wait_alu 0xfffe
	s_add_nc_u64 s[0:1], s[0:1], s[2:3]
	s_clause 0x1
	global_store_d16_hi_b16 v0, v1, s[0:1]
	global_store_d16_hi_b16 v0, v2, s[0:1] offset:64
.LBB314_58:
	s_endpgm
	.section	.rodata,"a",@progbits
	.p2align	6, 0x0
	.amdhsa_kernel _ZN4vllm25paged_attention_v2_kernelI14__hip_bfloat16hLi64ELi8ELi128ELNS_18Fp8KVCacheDataTypeE1ELb1ELi512EEEvPfS3_PT_PKS4_PKT0_SA_ifPKiSC_iPKfiiiSE_SE_iiiii
		.amdhsa_group_segment_fixed_size 160
		.amdhsa_private_segment_fixed_size 0
		.amdhsa_kernarg_size 400
		.amdhsa_user_sgpr_count 2
		.amdhsa_user_sgpr_dispatch_ptr 0
		.amdhsa_user_sgpr_queue_ptr 0
		.amdhsa_user_sgpr_kernarg_segment_ptr 1
		.amdhsa_user_sgpr_dispatch_id 0
		.amdhsa_user_sgpr_private_segment_size 0
		.amdhsa_wavefront_size32 1
		.amdhsa_uses_dynamic_stack 0
		.amdhsa_enable_private_segment 0
		.amdhsa_system_sgpr_workgroup_id_x 1
		.amdhsa_system_sgpr_workgroup_id_y 1
		.amdhsa_system_sgpr_workgroup_id_z 1
		.amdhsa_system_sgpr_workgroup_info 0
		.amdhsa_system_vgpr_workitem_id 0
		.amdhsa_next_free_vgpr 84
		.amdhsa_next_free_sgpr 46
		.amdhsa_reserve_vcc 1
		.amdhsa_float_round_mode_32 0
		.amdhsa_float_round_mode_16_64 0
		.amdhsa_float_denorm_mode_32 3
		.amdhsa_float_denorm_mode_16_64 3
		.amdhsa_fp16_overflow 0
		.amdhsa_workgroup_processor_mode 1
		.amdhsa_memory_ordered 1
		.amdhsa_forward_progress 1
		.amdhsa_inst_pref_size 68
		.amdhsa_round_robin_scheduling 0
		.amdhsa_exception_fp_ieee_invalid_op 0
		.amdhsa_exception_fp_denorm_src 0
		.amdhsa_exception_fp_ieee_div_zero 0
		.amdhsa_exception_fp_ieee_overflow 0
		.amdhsa_exception_fp_ieee_underflow 0
		.amdhsa_exception_fp_ieee_inexact 0
		.amdhsa_exception_int_div_zero 0
	.end_amdhsa_kernel
	.section	.text._ZN4vllm25paged_attention_v2_kernelI14__hip_bfloat16hLi64ELi8ELi128ELNS_18Fp8KVCacheDataTypeE1ELb1ELi512EEEvPfS3_PT_PKS4_PKT0_SA_ifPKiSC_iPKfiiiSE_SE_iiiii,"axG",@progbits,_ZN4vllm25paged_attention_v2_kernelI14__hip_bfloat16hLi64ELi8ELi128ELNS_18Fp8KVCacheDataTypeE1ELb1ELi512EEEvPfS3_PT_PKS4_PKT0_SA_ifPKiSC_iPKfiiiSE_SE_iiiii,comdat
.Lfunc_end314:
	.size	_ZN4vllm25paged_attention_v2_kernelI14__hip_bfloat16hLi64ELi8ELi128ELNS_18Fp8KVCacheDataTypeE1ELb1ELi512EEEvPfS3_PT_PKS4_PKT0_SA_ifPKiSC_iPKfiiiSE_SE_iiiii, .Lfunc_end314-_ZN4vllm25paged_attention_v2_kernelI14__hip_bfloat16hLi64ELi8ELi128ELNS_18Fp8KVCacheDataTypeE1ELb1ELi512EEEvPfS3_PT_PKS4_PKT0_SA_ifPKiSC_iPKfiiiSE_SE_iiiii
                                        ; -- End function
	.set _ZN4vllm25paged_attention_v2_kernelI14__hip_bfloat16hLi64ELi8ELi128ELNS_18Fp8KVCacheDataTypeE1ELb1ELi512EEEvPfS3_PT_PKS4_PKT0_SA_ifPKiSC_iPKfiiiSE_SE_iiiii.num_vgpr, 84
	.set _ZN4vllm25paged_attention_v2_kernelI14__hip_bfloat16hLi64ELi8ELi128ELNS_18Fp8KVCacheDataTypeE1ELb1ELi512EEEvPfS3_PT_PKS4_PKT0_SA_ifPKiSC_iPKfiiiSE_SE_iiiii.num_agpr, 0
	.set _ZN4vllm25paged_attention_v2_kernelI14__hip_bfloat16hLi64ELi8ELi128ELNS_18Fp8KVCacheDataTypeE1ELb1ELi512EEEvPfS3_PT_PKS4_PKT0_SA_ifPKiSC_iPKfiiiSE_SE_iiiii.numbered_sgpr, 46
	.set _ZN4vllm25paged_attention_v2_kernelI14__hip_bfloat16hLi64ELi8ELi128ELNS_18Fp8KVCacheDataTypeE1ELb1ELi512EEEvPfS3_PT_PKS4_PKT0_SA_ifPKiSC_iPKfiiiSE_SE_iiiii.num_named_barrier, 0
	.set _ZN4vllm25paged_attention_v2_kernelI14__hip_bfloat16hLi64ELi8ELi128ELNS_18Fp8KVCacheDataTypeE1ELb1ELi512EEEvPfS3_PT_PKS4_PKT0_SA_ifPKiSC_iPKfiiiSE_SE_iiiii.private_seg_size, 0
	.set _ZN4vllm25paged_attention_v2_kernelI14__hip_bfloat16hLi64ELi8ELi128ELNS_18Fp8KVCacheDataTypeE1ELb1ELi512EEEvPfS3_PT_PKS4_PKT0_SA_ifPKiSC_iPKfiiiSE_SE_iiiii.uses_vcc, 1
	.set _ZN4vllm25paged_attention_v2_kernelI14__hip_bfloat16hLi64ELi8ELi128ELNS_18Fp8KVCacheDataTypeE1ELb1ELi512EEEvPfS3_PT_PKS4_PKT0_SA_ifPKiSC_iPKfiiiSE_SE_iiiii.uses_flat_scratch, 0
	.set _ZN4vllm25paged_attention_v2_kernelI14__hip_bfloat16hLi64ELi8ELi128ELNS_18Fp8KVCacheDataTypeE1ELb1ELi512EEEvPfS3_PT_PKS4_PKT0_SA_ifPKiSC_iPKfiiiSE_SE_iiiii.has_dyn_sized_stack, 0
	.set _ZN4vllm25paged_attention_v2_kernelI14__hip_bfloat16hLi64ELi8ELi128ELNS_18Fp8KVCacheDataTypeE1ELb1ELi512EEEvPfS3_PT_PKS4_PKT0_SA_ifPKiSC_iPKfiiiSE_SE_iiiii.has_recursion, 0
	.set _ZN4vllm25paged_attention_v2_kernelI14__hip_bfloat16hLi64ELi8ELi128ELNS_18Fp8KVCacheDataTypeE1ELb1ELi512EEEvPfS3_PT_PKS4_PKT0_SA_ifPKiSC_iPKfiiiSE_SE_iiiii.has_indirect_call, 0
	.section	.AMDGPU.csdata,"",@progbits
; Kernel info:
; codeLenInByte = 8640
; TotalNumSgprs: 48
; NumVgprs: 84
; ScratchSize: 0
; MemoryBound: 0
; FloatMode: 240
; IeeeMode: 1
; LDSByteSize: 160 bytes/workgroup (compile time only)
; SGPRBlocks: 0
; VGPRBlocks: 10
; NumSGPRsForWavesPerEU: 48
; NumVGPRsForWavesPerEU: 84
; Occupancy: 16
; WaveLimiterHint : 1
; COMPUTE_PGM_RSRC2:SCRATCH_EN: 0
; COMPUTE_PGM_RSRC2:USER_SGPR: 2
; COMPUTE_PGM_RSRC2:TRAP_HANDLER: 0
; COMPUTE_PGM_RSRC2:TGID_X_EN: 1
; COMPUTE_PGM_RSRC2:TGID_Y_EN: 1
; COMPUTE_PGM_RSRC2:TGID_Z_EN: 1
; COMPUTE_PGM_RSRC2:TIDIG_COMP_CNT: 0
	.section	.text._ZN4vllm25paged_attention_v2_kernelI14__hip_bfloat16hLi80ELi8ELi128ELNS_18Fp8KVCacheDataTypeE1ELb1ELi512EEEvPfS3_PT_PKS4_PKT0_SA_ifPKiSC_iPKfiiiSE_SE_iiiii,"axG",@progbits,_ZN4vllm25paged_attention_v2_kernelI14__hip_bfloat16hLi80ELi8ELi128ELNS_18Fp8KVCacheDataTypeE1ELb1ELi512EEEvPfS3_PT_PKS4_PKT0_SA_ifPKiSC_iPKfiiiSE_SE_iiiii,comdat
	.protected	_ZN4vllm25paged_attention_v2_kernelI14__hip_bfloat16hLi80ELi8ELi128ELNS_18Fp8KVCacheDataTypeE1ELb1ELi512EEEvPfS3_PT_PKS4_PKT0_SA_ifPKiSC_iPKfiiiSE_SE_iiiii ; -- Begin function _ZN4vllm25paged_attention_v2_kernelI14__hip_bfloat16hLi80ELi8ELi128ELNS_18Fp8KVCacheDataTypeE1ELb1ELi512EEEvPfS3_PT_PKS4_PKT0_SA_ifPKiSC_iPKfiiiSE_SE_iiiii
	.globl	_ZN4vllm25paged_attention_v2_kernelI14__hip_bfloat16hLi80ELi8ELi128ELNS_18Fp8KVCacheDataTypeE1ELb1ELi512EEEvPfS3_PT_PKS4_PKT0_SA_ifPKiSC_iPKfiiiSE_SE_iiiii
	.p2align	8
	.type	_ZN4vllm25paged_attention_v2_kernelI14__hip_bfloat16hLi80ELi8ELi128ELNS_18Fp8KVCacheDataTypeE1ELb1ELi512EEEvPfS3_PT_PKS4_PKT0_SA_ifPKiSC_iPKfiiiSE_SE_iiiii,@function
_ZN4vllm25paged_attention_v2_kernelI14__hip_bfloat16hLi80ELi8ELi128ELNS_18Fp8KVCacheDataTypeE1ELb1ELi512EEEvPfS3_PT_PKS4_PKT0_SA_ifPKiSC_iPKfiiiSE_SE_iiiii: ; @_ZN4vllm25paged_attention_v2_kernelI14__hip_bfloat16hLi80ELi8ELi128ELNS_18Fp8KVCacheDataTypeE1ELb1ELi512EEEvPfS3_PT_PKS4_PKT0_SA_ifPKiSC_iPKfiiiSE_SE_iiiii
; %bb.0:
	s_load_b64 s[2:3], s[0:1], 0x40
	s_and_b32 s26, ttmp7, 0xffff
	s_lshr_b32 s33, ttmp7, 16
	s_lshl_b32 s4, s26, 2
	s_lshl_b32 s38, s33, 9
	s_wait_kmcnt 0x0
	s_load_b32 s34, s[2:3], s4 offset:0x0
	s_wait_kmcnt 0x0
	s_cmp_ge_i32 s38, s34
	s_cbranch_scc1 .LBB315_69
; %bb.1:
	s_clause 0x1
	s_load_b32 s27, s[0:1], 0x90
	s_load_b64 s[6:7], s[0:1], 0x30
	s_wait_kmcnt 0x0
	s_abs_i32 s5, s27
	s_abs_i32 s2, s6
	s_delay_alu instid0(SALU_CYCLE_1) | instskip(SKIP_1) | instid1(SALU_CYCLE_2)
	s_cvt_f32_u32 s3, s2
	s_sub_co_i32 s4, 0, s2
	v_rcp_iflag_f32_e32 v1, s3
	s_delay_alu instid0(TRANS32_DEP_1) | instskip(SKIP_2) | instid1(SALU_CYCLE_2)
	v_readfirstlane_b32 s3, v1
	s_mul_f32 s3, s3, 0x4f7ffffe
	s_wait_alu 0xfffe
	s_cvt_u32_f32 s3, s3
	s_wait_alu 0xfffe
	s_delay_alu instid0(SALU_CYCLE_2) | instskip(NEXT) | instid1(SALU_CYCLE_1)
	s_mul_i32 s4, s4, s3
	s_mul_hi_u32 s4, s3, s4
	s_delay_alu instid0(SALU_CYCLE_1)
	s_add_co_i32 s3, s3, s4
	s_xor_b32 s4, s27, s6
	s_wait_alu 0xfffe
	s_mul_hi_u32 s3, s5, s3
	s_ashr_i32 s4, s4, 31
	s_wait_alu 0xfffe
	s_mul_i32 s8, s3, s2
	s_delay_alu instid0(SALU_CYCLE_1)
	s_sub_co_i32 s5, s5, s8
	s_add_co_i32 s8, s3, 1
	s_sub_co_i32 s9, s5, s2
	s_cmp_ge_u32 s5, s2
	s_cselect_b32 s3, s8, s3
	s_cselect_b32 s5, s9, s5
	s_wait_alu 0xfffe
	s_add_co_i32 s8, s3, 1
	s_cmp_ge_u32 s5, s2
	s_cselect_b32 s2, s8, s3
	s_load_b64 s[8:9], s[0:1], 0x50
	s_xor_b32 s2, s2, s4
	s_mov_b32 s3, 0
	s_wait_alu 0xfffe
	s_sub_co_i32 s10, s2, s4
	s_mov_b32 s24, s3
	s_abs_i32 s15, s10
	s_delay_alu instid0(SALU_CYCLE_1) | instskip(SKIP_1) | instid1(SALU_CYCLE_2)
	s_cvt_f32_u32 s2, s15
	s_wait_alu 0xfffe
	v_rcp_iflag_f32_e32 v1, s2
	s_delay_alu instid0(TRANS32_DEP_1) | instskip(SKIP_2) | instid1(SALU_CYCLE_2)
	v_readfirstlane_b32 s2, v1
	s_mul_f32 s2, s2, 0x4f7ffffe
	s_wait_alu 0xfffe
	s_cvt_u32_f32 s4, s2
	s_sub_co_i32 s2, 0, s15
	s_wait_alu 0xfffe
	s_delay_alu instid0(SALU_CYCLE_1)
	s_mul_i32 s2, s2, s4
	s_wait_alu 0xfffe
	s_mul_hi_u32 s5, s4, s2
	s_abs_i32 s2, ttmp9
	s_add_co_i32 s4, s4, s5
	s_mov_b32 s5, s3
	s_wait_kmcnt 0x0
	s_cmp_eq_u64 s[8:9], 0
	s_cbranch_scc1 .LBB315_3
; %bb.2:
	s_mov_b32 s12, ttmp9
	s_ashr_i32 s13, ttmp9, 31
	s_delay_alu instid0(SALU_CYCLE_1) | instskip(NEXT) | instid1(SALU_CYCLE_1)
	s_lshl_b64 s[12:13], s[12:13], 2
	s_add_nc_u64 s[8:9], s[8:9], s[12:13]
	s_load_b32 s24, s[8:9], 0x0
.LBB315_3:
	s_load_b96 s[12:14], s[0:1], 0x58
	v_and_b32_e32 v1, 3, v0
	s_mul_u64 s[4:5], s[2:3], s[4:5]
	s_ashr_i32 s3, ttmp9, 31
	s_ashr_i32 s4, s10, 31
	s_mul_i32 s20, ttmp9, 0x50
	s_mov_b32 s8, exec_lo
	v_cmpx_gt_u32_e32 40, v0
	s_cbranch_execz .LBB315_5
; %bb.4:
	s_load_b64 s[10:11], s[0:1], 0x18
	s_wait_kmcnt 0x0
	s_mul_i32 s16, s12, s26
	s_ashr_i32 s21, s20, 31
	s_ashr_i32 s17, s16, 31
	v_lshlrev_b32_e32 v2, 2, v0
	s_lshl_b64 s[16:17], s[16:17], 1
	v_and_b32_e32 v3, 0x3fc, v0
	s_delay_alu instid0(VALU_DEP_1) | instskip(SKIP_2) | instid1(SALU_CYCLE_1)
	v_mad_u32_u24 v3, v1, 40, v3
	s_add_nc_u64 s[10:11], s[10:11], s[16:17]
	s_lshl_b64 s[16:17], s[20:21], 1
	s_add_nc_u64 s[10:11], s[10:11], s[16:17]
	global_load_b32 v2, v2, s[10:11]
	s_wait_loadcnt 0x0
	ds_store_b32 v3, v2
.LBB315_5:
	s_or_b32 exec_lo, exec_lo, s8
	s_load_b128 s[8:11], s[0:1], 0x78
	s_wait_kmcnt 0x0
	s_mul_i32 s12, s5, s15
	s_xor_b32 s3, s3, s4
	s_sub_co_i32 s2, s2, s12
	s_add_co_i32 s4, s5, 1
	s_wait_alu 0xfffe
	s_sub_co_i32 s12, s2, s15
	s_cmp_ge_u32 s2, s15
	s_mov_b32 s17, -1
	s_cselect_b32 s4, s4, s5
	s_cselect_b32 s2, s12, s2
	s_add_co_i32 s5, s4, 1
	s_wait_alu 0xfffe
	s_cmp_ge_u32 s2, s15
	s_load_b32 s15, s[0:1], 0x88
	s_cselect_b32 s2, s5, s4
	s_add_co_i32 s16, s34, -1
	s_wait_alu 0xfffe
	s_xor_b32 s2, s2, s3
	s_wait_dscnt 0x0
	s_wait_alu 0xfffe
	s_sub_co_i32 s12, s2, s3
	s_barrier_signal -1
	s_barrier_wait -1
	s_abs_i32 s35, s11
	global_inv scope:SCOPE_SE
	s_cvt_f32_u32 s4, s35
                                        ; implicit-def: $sgpr36
	s_delay_alu instid0(SALU_CYCLE_3) | instskip(NEXT) | instid1(TRANS32_DEP_1)
	v_rcp_iflag_f32_e32 v2, s4
	v_readfirstlane_b32 s4, v2
	s_mul_f32 s2, s4, 0x4f7ffffe
	s_wait_alu 0xfffe
	s_delay_alu instid0(SALU_CYCLE_2) | instskip(SKIP_2) | instid1(SALU_CYCLE_1)
	s_cvt_u32_f32 s4, s2
	s_sub_co_i32 s2, 0, s35
	s_wait_alu 0xfffe
	s_mul_i32 s3, s2, s4
	s_abs_i32 s2, s16
	s_wait_alu 0xfffe
	s_mul_hi_u32 s5, s4, s3
	s_mov_b32 s3, 0
	s_wait_alu 0xfffe
	s_add_co_i32 s22, s4, s5
	s_wait_kmcnt 0x0
	s_cmp_lt_i32 s15, 0
	s_mov_b32 s23, s3
	s_cbranch_scc0 .LBB315_7
; %bb.6:
	s_mul_i32 s4, s8, s6
	s_mov_b32 s17, s3
	s_wait_alu 0xfffe
	s_add_co_i32 s4, s12, s4
	s_wait_alu 0xfffe
	s_mul_i32 s4, s4, s15
	s_wait_alu 0xfffe
	s_sub_co_i32 s36, 1, s4
.LBB315_7:
	s_mul_u64 s[4:5], s[2:3], s[22:23]
	s_ashr_i32 s3, s16, 31
	s_and_not1_b32 vcc_lo, exec_lo, s17
	s_ashr_i32 s23, s11, 31
	s_cbranch_vccnz .LBB315_9
; %bb.8:
	s_mul_i32 s4, s27, s8
	s_wait_alu 0xfffe
	s_add_co_i32 s4, s4, ttmp9
	s_wait_alu 0xfffe
	s_mul_i32 s4, s4, s15
	s_wait_alu 0xfffe
	s_add_co_i32 s36, s4, 1
.LBB315_9:
	s_clause 0x3
	s_load_b32 s4, s[0:1], 0x48
	s_load_b64 s[30:31], s[0:1], 0x38
	s_load_b32 s21, s[0:1], 0x98
	s_load_b128 s[16:19], s[0:1], 0x68
	s_mul_i32 s6, s5, s35
	s_xor_b32 s3, s3, s23
	s_sub_co_i32 s2, s2, s6
	s_add_co_i32 s8, s5, 1
	v_lshrrev_b32_e32 v15, 5, v0
	v_mov_b32_e32 v9, 0xff7fffff
	v_mbcnt_lo_u32_b32 v6, -1, 0
	s_mul_i32 s14, s12, s14
	s_delay_alu instid0(VALU_DEP_3)
	v_lshl_add_u32 v16, v15, 3, s38
	s_wait_kmcnt 0x0
	s_mul_i32 s28, s4, s26
	s_wait_alu 0xfffe
	s_sub_co_i32 s4, s2, s35
	s_ashr_i32 s29, s28, 31
	s_cmp_ge_u32 s2, s35
	s_cselect_b32 s5, s8, s5
	s_wait_alu 0xfffe
	s_cselect_b32 s2, s4, s2
	s_add_co_i32 s4, s5, 1
	s_wait_alu 0xfffe
	s_cmp_ge_u32 s2, s35
	s_cselect_b32 s2, s4, s5
	s_add_co_i32 s4, s34, 7
	s_lshl_b32 s11, s33, 6
	s_wait_alu 0xfffe
	s_ashr_i32 s5, s4, 31
	v_or_b32_e32 v17, s11, v15
	s_wait_alu 0xfffe
	s_lshr_b32 s5, s5, 29
	s_wait_alu 0xfffe
	s_add_co_i32 s4, s4, s5
	s_add_co_i32 s5, s11, 64
	s_wait_alu 0xfffe
	s_ashr_i32 s41, s4, 3
	s_xor_b32 s4, s2, s3
	s_min_i32 s37, s5, s41
	v_lshlrev_b32_e32 v5, 2, v17
	v_cmp_gt_i32_e64 s2, s37, v17
	s_wait_alu 0xfffe
	s_sub_co_i32 s8, s4, s3
	s_and_saveexec_b32 s6, s2
	s_cbranch_execz .LBB315_21
; %bb.10:
	s_sub_co_i32 s12, s8, s9
	s_ashr_i32 s15, s14, 31
	s_cmp_neq_f32 s24, 0
	s_load_b64 s[4:5], s[0:1], 0x20
	v_bfe_u32 v7, v0, 2, 3
	v_lshlrev_b32_e32 v3, 1, v1
	s_cselect_b32 vcc_lo, -1, 0
	s_abs_i32 s25, s10
	v_mul_u32_u24_e32 v8, 40, v1
	s_cvt_f32_u32 s3, s25
	v_dual_mov_b32 v13, 0xff7fffff :: v_dual_lshlrev_b32 v4, 2, v7
	s_lshl_b64 s[42:43], s[28:29], 2
	s_wait_alu 0xfffe
	v_rcp_iflag_f32_e32 v2, s3
	v_cmp_eq_u32_e64 s3, 0, v1
	v_lshlrev_b32_e32 v1, 4, v7
	v_subrev_nc_u32_e32 v9, s34, v7
	v_lshl_or_b32 v12, v15, 5, v4
	s_add_nc_u64 s[42:43], s[30:31], s[42:43]
	s_sub_co_i32 s44, 0, s25
	v_lshl_add_u32 v10, v15, 3, s38
	v_add_nc_u32_e32 v11, 1, v9
	v_dual_mov_b32 v19, v17 :: v_dual_add_nc_u32 v12, 0xc0, v12
	v_readfirstlane_b32 s40, v2
	s_wait_kmcnt 0x0
	s_add_nc_u64 s[4:5], s[4:5], s[14:15]
	v_xor_b32_e32 v14, 2, v6
	s_wait_alu 0xfffe
	v_add_co_u32 v1, s4, s4, v1
	s_mul_f32 s15, s40, 0x4f7ffffe
	s_wait_alu 0xf1ff
	v_add_co_ci_u32_e64 v2, null, s5, 0, s4
	v_add_co_u32 v1, s4, v1, v3
	s_cvt_u32_f32 s5, s15
	s_wait_alu 0xf1ff
	v_add_co_ci_u32_e64 v2, null, 0, v2, s4
	v_add_co_u32 v3, s4, s42, v5
	s_wait_alu 0xfffe
	s_mul_i32 s44, s44, s5
	v_add_co_ci_u32_e64 v4, null, s43, 0, s4
	v_xor_b32_e32 v18, 1, v6
	v_mov_b32_e32 v9, 0xff7fffff
	s_mul_hi_u32 s4, s5, s44
	s_mov_b32 s39, 0
	s_mov_b32 s15, s13
	s_wait_alu 0xfffe
	s_add_co_i32 s40, s5, s4
	s_branch .LBB315_13
.LBB315_11:                             ;   in Loop: Header=BB315_13 Depth=1
	s_wait_alu 0xfffe
	s_or_b32 exec_lo, exec_lo, s42
.LBB315_12:                             ;   in Loop: Header=BB315_13 Depth=1
	s_wait_alu 0xfffe
	s_or_b32 exec_lo, exec_lo, s5
	v_add_nc_u32_e32 v19, 4, v19
	v_add_co_u32 v3, s5, v3, 16
	s_wait_alu 0xf1ff
	v_add_co_ci_u32_e64 v4, null, 0, v4, s5
	s_delay_alu instid0(VALU_DEP_3)
	v_cmp_le_i32_e64 s4, s37, v19
	v_add_nc_u32_e32 v10, 32, v10
	v_add_nc_u32_e32 v12, 0x80, v12
	s_or_b32 s39, s4, s39
	s_wait_alu 0xfffe
	s_and_not1_b32 exec_lo, exec_lo, s39
	s_cbranch_execz .LBB315_20
.LBB315_13:                             ; =>This Inner Loop Header: Depth=1
	v_sub_nc_u32_e32 v20, 0, v10
	s_delay_alu instid0(VALU_DEP_1) | instskip(SKIP_1) | instid1(VALU_DEP_1)
	v_max_i32_e32 v20, v10, v20
	s_wait_dscnt 0x0
	v_mul_hi_u32 v21, v20, s22
	s_delay_alu instid0(VALU_DEP_1) | instskip(NEXT) | instid1(VALU_DEP_1)
	v_mul_lo_u32 v22, v21, s35
	v_sub_nc_u32_e32 v20, v20, v22
	v_add_nc_u32_e32 v22, 1, v21
	s_delay_alu instid0(VALU_DEP_2) | instskip(SKIP_2) | instid1(VALU_DEP_1)
	v_subrev_nc_u32_e32 v23, s35, v20
	v_cmp_le_u32_e64 s4, s35, v20
	s_wait_alu 0xf1ff
	v_cndmask_b32_e64 v21, v21, v22, s4
	s_delay_alu instid0(VALU_DEP_3) | instskip(SKIP_1) | instid1(VALU_DEP_3)
	v_cndmask_b32_e64 v20, v20, v23, s4
	v_ashrrev_i32_e32 v22, 31, v10
	v_add_nc_u32_e32 v23, 1, v21
	s_delay_alu instid0(VALU_DEP_3) | instskip(NEXT) | instid1(VALU_DEP_3)
	v_cmp_le_u32_e64 s4, s35, v20
	v_xor_b32_e32 v22, s23, v22
	s_wait_alu 0xf1ff
	s_delay_alu instid0(VALU_DEP_2) | instskip(NEXT) | instid1(VALU_DEP_1)
	v_cndmask_b32_e64 v20, v21, v23, s4
	v_xor_b32_e32 v20, v20, v22
	s_delay_alu instid0(VALU_DEP_1) | instskip(NEXT) | instid1(VALU_DEP_1)
	v_sub_nc_u32_e32 v20, v20, v22
	v_add_nc_u32_e32 v21, s36, v20
	v_cmp_ge_i32_e64 s5, s12, v20
	s_delay_alu instid0(VALU_DEP_2) | instskip(NEXT) | instid1(VALU_DEP_1)
	v_sub_nc_u32_e32 v22, 0, v21
	v_max_i32_e32 v22, v21, v22
	v_ashrrev_i32_e32 v21, 31, v21
	s_delay_alu instid0(VALU_DEP_2) | instskip(NEXT) | instid1(VALU_DEP_1)
	v_mul_hi_u32 v23, v22, s40
	v_mul_lo_u32 v23, v23, s25
	s_delay_alu instid0(VALU_DEP_1) | instskip(NEXT) | instid1(VALU_DEP_1)
	v_sub_nc_u32_e32 v22, v22, v23
	v_subrev_nc_u32_e32 v23, s25, v22
	v_cmp_le_u32_e64 s4, s25, v22
	s_wait_alu 0xf1ff
	s_delay_alu instid0(VALU_DEP_1) | instskip(NEXT) | instid1(VALU_DEP_1)
	v_cndmask_b32_e64 v22, v22, v23, s4
	v_subrev_nc_u32_e32 v23, s25, v22
	v_cmp_le_u32_e64 s4, s25, v22
	s_wait_alu 0xf1ff
	s_delay_alu instid0(VALU_DEP_1) | instskip(NEXT) | instid1(VALU_DEP_1)
	v_cndmask_b32_e64 v22, v22, v23, s4
	v_xor_b32_e32 v22, v22, v21
	s_delay_alu instid0(VALU_DEP_1) | instskip(NEXT) | instid1(VALU_DEP_1)
	v_sub_nc_u32_e32 v21, v22, v21
	v_cmp_ne_u32_e64 s4, 0, v21
	s_and_b32 s4, s4, s5
	s_wait_alu 0xfffe
	s_and_saveexec_b32 s5, s4
	s_wait_alu 0xfffe
	s_xor_b32 s4, exec_lo, s5
	s_cbranch_execz .LBB315_17
; %bb.14:                               ;   in Loop: Header=BB315_13 Depth=1
	s_and_saveexec_b32 s5, s3
; %bb.15:                               ;   in Loop: Header=BB315_13 Depth=1
	ds_store_b32 v12, v13
; %bb.16:                               ;   in Loop: Header=BB315_13 Depth=1
	s_wait_alu 0xfffe
	s_or_b32 exec_lo, exec_lo, s5
.LBB315_17:                             ;   in Loop: Header=BB315_13 Depth=1
	s_wait_alu 0xfffe
	s_and_not1_saveexec_b32 s5, s4
	s_cbranch_execz .LBB315_12
; %bb.18:                               ;   in Loop: Header=BB315_13 Depth=1
	global_load_b32 v20, v[3:4], off
	s_wait_loadcnt 0x0
	v_mad_co_i64_i32 v[20:21], null, v20, s15, v[1:2]
	s_clause 0x9
	global_load_u16 v30, v[20:21], off
	global_load_u16 v31, v[20:21], off offset:8
	global_load_u16 v32, v[20:21], off offset:128
	;; [unrolled: 1-line block ×9, first 2 shown]
	ds_load_2addr_b64 v[20:23], v8 offset1:1
	ds_load_2addr_b64 v[24:27], v8 offset0:2 offset1:3
	ds_load_b64 v[28:29], v8 offset:32
	s_load_b32 s4, s[16:17], 0x0
	s_wait_loadcnt 0x9
	v_and_b32_e32 v50, 0xff, v30
	v_lshrrev_b16 v30, 8, v30
	s_wait_loadcnt 0x6
	v_and_b32_e32 v53, 0xff, v33
	v_lshrrev_b16 v33, 8, v33
	;; [unrolled: 3-line block ×3, first 2 shown]
	s_wait_loadcnt 0x2
	v_and_b32_e32 v57, 0xff, v37
	s_wait_loadcnt 0x1
	v_and_b32_e32 v58, 0xff, v38
	v_lshrrev_b16 v38, 8, v38
	v_lshrrev_b16 v37, 8, v37
	v_and_b32_e32 v53, 0xffff, v53
	v_and_b32_e32 v33, 0xffff, v33
	;; [unrolled: 1-line block ×5, first 2 shown]
	v_cvt_f32_fp8_e32 v53, v53
	s_wait_dscnt 0x1
	v_lshlrev_b32_e32 v44, 16, v24
	v_cvt_f32_fp8_e32 v33, v33
	v_cvt_f32_fp8_e32 v38, v38
	v_and_b32_e32 v51, 0xff, v31
	v_lshrrev_b16 v31, 8, v31
	v_cvt_f32_fp8_e32 v37, v37
	v_and_b32_e32 v24, 0xffff0000, v24
	s_wait_kmcnt 0x0
	v_dual_mul_f32 v38, s4, v38 :: v_dual_and_b32 v51, 0xffff, v51
	v_and_b32_e32 v31, 0xffff, v31
	v_dual_mul_f32 v37, s4, v37 :: v_dual_lshlrev_b32 v46, 16, v26
	v_mul_f32_e32 v33, s4, v33
	s_delay_alu instid0(VALU_DEP_4) | instskip(SKIP_3) | instid1(VALU_DEP_4)
	v_cvt_f32_fp8_e32 v51, v51
	v_lshlrev_b32_e32 v40, 16, v20
	v_cvt_f32_fp8_e32 v31, v31
	v_dual_mul_f32 v53, s4, v53 :: v_dual_lshlrev_b32 v42, 16, v22
	v_dual_mul_f32 v51, s4, v51 :: v_dual_and_b32 v56, 0xff, v36
	s_delay_alu instid0(VALU_DEP_3) | instskip(SKIP_2) | instid1(VALU_DEP_4)
	v_dual_mul_f32 v31, s4, v31 :: v_dual_and_b32 v54, 0xff, v34
	v_lshrrev_b16 v34, 8, v34
	v_and_b32_e32 v30, 0xffff, v30
	v_and_b32_e32 v56, 0xffff, v56
	v_cvt_f32_fp8_e32 v35, v35
	v_and_b32_e32 v20, 0xffff0000, v20
	v_and_b32_e32 v34, 0xffff, v34
	v_cvt_f32_fp8_e32 v30, v30
	v_cvt_f32_fp8_e32 v56, v56
	v_lshlrev_b32_e32 v43, 16, v23
	v_and_b32_e32 v23, 0xffff0000, v23
	v_cvt_f32_fp8_e32 v34, v34
	s_delay_alu instid0(VALU_DEP_4)
	v_dual_mul_f32 v35, s4, v35 :: v_dual_mul_f32 v56, s4, v56
	v_and_b32_e32 v50, 0xffff, v50
	v_lshrrev_b16 v36, 8, v36
	s_wait_loadcnt 0x0
	v_dual_mul_f32 v34, s4, v34 :: v_dual_and_b32 v59, 0xff, v39
	v_lshrrev_b16 v39, 8, v39
	v_cvt_f32_fp8_e32 v50, v50
	v_lshlrev_b32_e32 v41, 16, v21
	v_and_b32_e32 v21, 0xffff0000, v21
	v_and_b32_e32 v52, 0xff, v32
	;; [unrolled: 1-line block ×3, first 2 shown]
	v_lshrrev_b16 v32, 8, v32
	v_and_b32_e32 v55, 0xffff, v55
	v_and_b32_e32 v57, 0xffff, v57
	;; [unrolled: 1-line block ×3, first 2 shown]
	v_cvt_f32_fp8_e32 v59, v59
	v_and_b32_e32 v26, 0xffff0000, v26
	v_dual_mul_f32 v50, s4, v50 :: v_dual_and_b32 v39, 0xffff, v39
	s_delay_alu instid0(VALU_DEP_4) | instskip(SKIP_2) | instid1(VALU_DEP_3)
	v_cvt_f32_fp8_e32 v52, v52
	v_dual_mul_f32 v30, s4, v30 :: v_dual_lshlrev_b32 v45, 16, v25
	v_dual_mul_f32 v59, s4, v59 :: v_dual_and_b32 v32, 0xffff, v32
	v_mul_f32_e32 v52, s4, v52
	v_and_b32_e32 v36, 0xffff, v36
	v_and_b32_e32 v58, 0xffff, v58
	s_delay_alu instid0(VALU_DEP_4)
	v_cvt_f32_fp8_e32 v32, v32
	v_cvt_f32_fp8_e32 v55, v55
	;; [unrolled: 1-line block ×4, first 2 shown]
	v_and_b32_e32 v25, 0xffff0000, v25
	v_cvt_f32_fp8_e32 v58, v58
	v_cvt_f32_fp8_e32 v39, v39
	v_bfe_u32 v60, v50, 16, 1
	v_mul_f32_e32 v36, s4, v36
	v_and_b32_e32 v54, 0xffff, v54
	v_dual_mul_f32 v32, s4, v32 :: v_dual_lshlrev_b32 v47, 16, v27
	s_wait_dscnt 0x0
	v_dual_mul_f32 v55, s4, v55 :: v_dual_lshlrev_b32 v48, 16, v28
	s_delay_alu instid0(VALU_DEP_3)
	v_cvt_f32_fp8_e32 v54, v54
	v_lshlrev_b32_e32 v49, 16, v29
	v_dual_mul_f32 v57, s4, v57 :: v_dual_and_b32 v22, 0xffff0000, v22
	v_dual_mul_f32 v58, s4, v58 :: v_dual_and_b32 v27, 0xffff0000, v27
	;; [unrolled: 1-line block ×3, first 2 shown]
	v_mul_f32_e32 v54, s4, v54
	v_or_b32_e32 v61, 0x400000, v50
	v_bfe_u32 v62, v30, 16, 1
	v_add3_u32 v60, v60, v50, 0x7fff
	v_cmp_u_f32_e64 s4, v50, v50
	v_or_b32_e32 v63, 0x400000, v30
	v_bfe_u32 v64, v51, 16, 1
	v_add3_u32 v62, v62, v30, 0x7fff
	v_or_b32_e32 v65, 0x400000, v51
	s_wait_alu 0xf1ff
	v_cndmask_b32_e64 v50, v60, v61, s4
	v_cmp_u_f32_e64 s4, v30, v30
	v_bfe_u32 v66, v31, 16, 1
	v_add3_u32 v64, v64, v51, 0x7fff
	v_or_b32_e32 v67, 0x400000, v31
	v_bfe_u32 v68, v52, 16, 1
	s_wait_alu 0xf1ff
	v_cndmask_b32_e64 v30, v62, v63, s4
	v_cmp_u_f32_e64 s4, v51, v51
	v_add3_u32 v66, v66, v31, 0x7fff
	v_or_b32_e32 v69, 0x400000, v52
	v_bfe_u32 v70, v32, 16, 1
	v_add3_u32 v68, v68, v52, 0x7fff
	s_wait_alu 0xf1ff
	v_cndmask_b32_e64 v51, v64, v65, s4
	v_cmp_u_f32_e64 s4, v31, v31
	v_or_b32_e32 v71, 0x400000, v32
	v_bfe_u32 v72, v53, 16, 1
	v_add3_u32 v70, v70, v32, 0x7fff
	v_or_b32_e32 v73, 0x400000, v53
	s_wait_alu 0xf1ff
	v_cndmask_b32_e64 v31, v66, v67, s4
	v_cmp_u_f32_e64 s4, v52, v52
	v_bfe_u32 v74, v33, 16, 1
	v_add3_u32 v72, v72, v53, 0x7fff
	v_or_b32_e32 v75, 0x400000, v33
	v_bfe_u32 v76, v54, 16, 1
	s_wait_alu 0xf1ff
	v_cndmask_b32_e64 v52, v68, v69, s4
	v_cmp_u_f32_e64 s4, v32, v32
	v_add3_u32 v74, v74, v33, 0x7fff
	v_or_b32_e32 v77, 0x400000, v54
	v_bfe_u32 v78, v34, 16, 1
	v_add3_u32 v76, v76, v54, 0x7fff
	s_wait_alu 0xf1ff
	v_cndmask_b32_e64 v32, v70, v71, s4
	;; [unrolled: 21-line block ×3, first 2 shown]
	v_cmp_u_f32_e64 s4, v34, v34
	v_and_b32_e32 v31, 0xffff0000, v31
	v_or_b32_e32 v87, 0x400000, v36
	v_bfe_u32 v88, v57, 16, 1
	v_add3_u32 v86, v86, v36, 0x7fff
	s_wait_alu 0xf1ff
	v_cndmask_b32_e64 v34, v78, v79, s4
	v_cmp_u_f32_e64 s4, v55, v55
	v_dual_mul_f32 v21, v21, v31 :: v_dual_and_b32 v30, 0xffff0000, v30
	v_or_b32_e32 v89, 0x400000, v57
	v_bfe_u32 v90, v37, 16, 1
	s_wait_alu 0xf1ff
	v_cndmask_b32_e64 v55, v80, v81, s4
	v_cmp_u_f32_e64 s4, v35, v35
	v_add3_u32 v88, v88, v57, 0x7fff
	v_dual_fmac_f32 v21, v20, v30 :: v_dual_and_b32 v32, 0xffff0000, v32
	v_or_b32_e32 v91, 0x400000, v37
	s_wait_alu 0xf1ff
	v_cndmask_b32_e64 v35, v82, v83, s4
	v_cmp_u_f32_e64 s4, v56, v56
	v_bfe_u32 v92, v58, 16, 1
	v_add3_u32 v90, v90, v37, 0x7fff
	v_and_b32_e32 v33, 0xffff0000, v33
	v_fmac_f32_e32 v21, v22, v32
	s_wait_alu 0xf1ff
	v_cndmask_b32_e64 v56, v84, v85, s4
	v_cmp_u_f32_e64 s4, v36, v36
	v_or_b32_e32 v93, 0x400000, v58
	v_bfe_u32 v94, v38, 16, 1
	v_add3_u32 v92, v92, v58, 0x7fff
	v_and_b32_e32 v34, 0xffff0000, v34
	s_wait_alu 0xf1ff
	v_cndmask_b32_e64 v31, v86, v87, s4
	v_cmp_u_f32_e64 s4, v57, v57
	v_fmac_f32_e32 v21, v23, v33
	v_or_b32_e32 v95, 0x400000, v38
	v_bfe_u32 v96, v59, 16, 1
	v_add3_u32 v94, v94, v38, 0x7fff
	s_wait_alu 0xf1ff
	v_cndmask_b32_e64 v20, v88, v89, s4
	v_cmp_u_f32_e64 s4, v37, v37
	v_and_b32_e32 v51, 0xffff0000, v51
	v_and_b32_e32 v33, 0xffff0000, v35
	v_fmac_f32_e32 v21, v24, v34
	v_or_b32_e32 v97, 0x400000, v59
	s_wait_alu 0xf1ff
	v_cndmask_b32_e64 v22, v90, v91, s4
	v_cmp_u_f32_e64 s4, v58, v58
	v_bfe_u32 v98, v39, 16, 1
	v_add3_u32 v96, v96, v59, 0x7fff
	v_mul_f32_e32 v41, v41, v51
	v_and_b32_e32 v31, 0xffff0000, v31
	s_wait_alu 0xf1ff
	v_cndmask_b32_e64 v23, v92, v93, s4
	v_cmp_u_f32_e64 s4, v38, v38
	v_fmac_f32_e32 v21, v25, v33
	v_or_b32_e32 v99, 0x400000, v39
	v_add3_u32 v98, v98, v39, 0x7fff
	v_and_b32_e32 v23, 0xffff0000, v23
	v_and_b32_e32 v50, 0xffff0000, v50
	s_wait_alu 0xf1ff
	v_cndmask_b32_e64 v24, v94, v95, s4
	v_cmp_u_f32_e64 s4, v59, v59
	v_dual_fmac_f32 v21, v26, v31 :: v_dual_and_b32 v22, 0xffff0000, v22
	v_dual_fmac_f32 v41, v40, v50 :: v_dual_and_b32 v36, 0xffff0000, v52
	s_wait_alu 0xf1ff
	s_delay_alu instid0(VALU_DEP_3)
	v_cndmask_b32_e64 v25, v96, v97, s4
	v_cmp_u_f32_e64 s4, v39, v39
	v_and_b32_e32 v30, 0xffff0000, v53
	v_dual_fmac_f32 v21, v27, v22 :: v_dual_and_b32 v24, 0xffff0000, v24
	v_fmac_f32_e32 v41, v42, v36
	s_wait_alu 0xf1ff
	v_cndmask_b32_e64 v26, v98, v99, s4
	v_and_b32_e32 v22, 0xffff0000, v25
	v_and_b32_e32 v20, 0xffff0000, v20
	v_fmac_f32_e32 v21, v28, v24
	v_fmac_f32_e32 v41, v43, v30
	v_and_b32_e32 v25, 0xffff0000, v26
	v_and_b32_e32 v32, 0xffff0000, v54
	;; [unrolled: 1-line block ×3, first 2 shown]
	v_cmp_gt_i32_e64 s4, 32, v14
	s_delay_alu instid0(VALU_DEP_3) | instskip(NEXT) | instid1(VALU_DEP_1)
	v_fmac_f32_e32 v41, v44, v32
	v_dual_fmac_f32 v41, v45, v30 :: v_dual_and_b32 v32, 0xffff0000, v56
	s_delay_alu instid0(VALU_DEP_1) | instskip(NEXT) | instid1(VALU_DEP_1)
	v_fmac_f32_e32 v41, v46, v32
	v_dual_fmac_f32 v41, v47, v20 :: v_dual_and_b32 v20, 0xffff0000, v29
	s_delay_alu instid0(VALU_DEP_1) | instskip(SKIP_2) | instid1(VALU_DEP_3)
	v_fmac_f32_e32 v41, v48, v23
	s_wait_alu 0xf1ff
	v_cndmask_b32_e64 v23, v6, v14, s4
	v_fmac_f32_e32 v21, v20, v25
	v_cmp_gt_i32_e64 s4, 32, v18
	s_delay_alu instid0(VALU_DEP_3) | instskip(SKIP_1) | instid1(VALU_DEP_2)
	v_dual_fmac_f32 v41, v49, v22 :: v_dual_lshlrev_b32 v20, 2, v23
	s_wait_alu 0xf1ff
	v_cndmask_b32_e64 v22, v6, v18, s4
	s_delay_alu instid0(VALU_DEP_1)
	v_dual_add_f32 v21, v41, v21 :: v_dual_lshlrev_b32 v22, 2, v22
	ds_bpermute_b32 v20, v20, v21
	s_wait_dscnt 0x0
	v_add_f32_e32 v20, v21, v20
	ds_bpermute_b32 v21, v22, v20
	s_and_saveexec_b32 s42, s3
	s_cbranch_execz .LBB315_11
; %bb.19:                               ;   in Loop: Header=BB315_13 Depth=1
	s_wait_dscnt 0x0
	v_add_f32_e32 v20, v20, v21
	v_add_nc_u32_e32 v22, v11, v10
	s_delay_alu instid0(VALU_DEP_1) | instskip(NEXT) | instid1(VALU_DEP_1)
	v_cvt_f32_i32_e32 v22, v22
	v_mul_f32_e32 v22, s24, v22
	s_delay_alu instid0(VALU_DEP_1) | instskip(NEXT) | instid1(VALU_DEP_1)
	v_dual_cndmask_b32 v21, 0, v22 :: v_dual_max_num_f32 v22, v9, v9
	v_dual_fmac_f32 v21, s7, v20 :: v_dual_add_nc_u32 v20, v7, v10
	s_delay_alu instid0(VALU_DEP_1) | instskip(NEXT) | instid1(VALU_DEP_2)
	v_max_num_f32_e32 v22, v22, v21
	v_cmp_gt_i32_e64 s4, s34, v20
	s_wait_alu 0xf1ff
	s_delay_alu instid0(VALU_DEP_1) | instskip(NEXT) | instid1(VALU_DEP_3)
	v_cndmask_b32_e64 v20, 0, v21, s4
	v_cndmask_b32_e64 v9, v9, v22, s4
	ds_store_b32 v12, v20
	s_branch .LBB315_11
.LBB315_20:
	s_or_b32 exec_lo, exec_lo, s39
.LBB315_21:
	s_delay_alu instid0(SALU_CYCLE_1)
	s_or_b32 exec_lo, exec_lo, s6
	v_xor_b32_e32 v1, 16, v6
	v_xor_b32_e32 v3, 8, v6
	;; [unrolled: 1-line block ×3, first 2 shown]
	s_clause 0x2
	s_load_b128 s[4:7], s[0:1], 0x0
	s_load_b64 s[24:25], s[0:1], 0x10
	s_load_b64 s[16:17], s[0:1], 0x28
	v_and_b32_e32 v18, 31, v0
	v_cmp_gt_i32_e32 vcc_lo, 32, v1
	s_wait_alu 0xfffd
	v_cndmask_b32_e32 v1, v6, v1, vcc_lo
	v_cmp_gt_i32_e32 vcc_lo, 32, v3
	s_wait_alu 0xfffd
	s_delay_alu instid0(VALU_DEP_2)
	v_dual_cndmask_b32 v3, v6, v3 :: v_dual_lshlrev_b32 v2, 2, v1
	v_cmp_gt_i32_e32 vcc_lo, 32, v7
	v_max_num_f32_e32 v4, v9, v9
	ds_bpermute_b32 v1, v2, v9
	v_lshlrev_b32_e32 v3, 2, v3
	s_wait_alu 0xfffd
	v_cndmask_b32_e32 v7, v6, v7, vcc_lo
	v_cmp_eq_u32_e32 vcc_lo, 0, v18
	s_wait_dscnt 0x0
	s_delay_alu instid0(VALU_DEP_2) | instskip(NEXT) | instid1(VALU_DEP_1)
	v_dual_max_num_f32 v1, v1, v1 :: v_dual_lshlrev_b32 v8, 2, v7
	v_max_num_f32_e32 v1, v4, v1
	ds_bpermute_b32 v4, v3, v1
	s_wait_dscnt 0x0
	v_max_num_f32_e32 v4, v4, v4
	s_delay_alu instid0(VALU_DEP_1)
	v_dual_max_num_f32 v1, v1, v4 :: v_dual_lshlrev_b32 v4, 2, v15
	ds_bpermute_b32 v7, v8, v1
	s_and_saveexec_b32 s0, vcc_lo
	s_cbranch_execz .LBB315_23
; %bb.22:
	s_wait_dscnt 0x0
	v_max_num_f32_e32 v7, v7, v7
	v_max_num_f32_e32 v1, v1, v1
	s_delay_alu instid0(VALU_DEP_1)
	v_max_num_f32_e32 v1, v1, v7
	ds_store_b32 v4, v1 offset:160
.LBB315_23:
	s_or_b32 exec_lo, exec_lo, s0
	v_cmp_gt_u32_e64 s0, 4, v18
	v_mov_b32_e32 v1, 0xff7fffff
	s_wait_dscnt 0x0
	v_lshlrev_b32_e32 v7, 2, v18
	s_wait_loadcnt 0x0
	s_barrier_signal -1
	s_barrier_wait -1
	global_inv scope:SCOPE_SE
	s_and_saveexec_b32 s1, s0
; %bb.24:
	ds_load_b32 v1, v7 offset:160
; %bb.25:
	s_or_b32 exec_lo, exec_lo, s1
	v_xor_b32_e32 v9, 2, v6
	v_xor_b32_e32 v11, 1, v6
	v_lshl_add_u32 v19, v0, 2, 0xc0
	s_delay_alu instid0(VALU_DEP_3) | instskip(NEXT) | instid1(VALU_DEP_1)
	v_cmp_gt_i32_e64 s1, 32, v9
	v_cndmask_b32_e64 v9, v6, v9, s1
	s_delay_alu instid0(VALU_DEP_4) | instskip(NEXT) | instid1(VALU_DEP_2)
	v_cmp_gt_i32_e64 s1, 32, v11
	v_lshlrev_b32_e32 v9, 2, v9
	s_wait_alu 0xf1ff
	s_delay_alu instid0(VALU_DEP_2)
	v_cndmask_b32_e64 v6, v6, v11, s1
	s_sub_co_i32 s1, s37, s11
	s_wait_alu 0xfffe
	s_lshl_b32 s1, s1, 3
	s_wait_dscnt 0x0
	ds_bpermute_b32 v10, v9, v1
	v_dual_max_num_f32 v1, v1, v1 :: v_dual_lshlrev_b32 v6, 2, v6
	s_wait_alu 0xfffe
	s_add_co_i32 s1, s1, s38
	s_wait_alu 0xfffe
	s_min_i32 s1, s1, s34
	s_wait_alu 0xfffe
	s_sub_co_i32 s11, s1, s38
	s_wait_alu 0xfffe
	v_cmp_gt_i32_e64 s1, s11, v0
	s_wait_dscnt 0x0
	v_max_num_f32_e32 v10, v10, v10
	s_delay_alu instid0(VALU_DEP_1) | instskip(SKIP_3) | instid1(VALU_DEP_1)
	v_max_num_f32_e32 v1, v1, v10
	ds_bpermute_b32 v10, v6, v1
	s_wait_dscnt 0x0
	v_max_num_f32_e32 v10, v10, v10
	v_dual_max_num_f32 v1, v1, v10 :: v_dual_mov_b32 v10, 0
	ds_bpermute_b32 v1, v10, v1
	s_and_saveexec_b32 s12, s1
	s_cbranch_execz .LBB315_29
; %bb.26:
	v_lshl_add_u32 v11, v0, 2, 0xc0
	v_mov_b32_e32 v10, 0
	v_mov_b32_e32 v12, v0
	s_mov_b32 s15, 0
.LBB315_27:                             ; =>This Inner Loop Header: Depth=1
	ds_load_b32 v13, v11
	v_add_nc_u32_e32 v12, 0x80, v12
	s_delay_alu instid0(VALU_DEP_1) | instskip(SKIP_4) | instid1(VALU_DEP_1)
	v_cmp_le_i32_e64 s3, s11, v12
	s_wait_alu 0xfffe
	s_or_b32 s15, s3, s15
	s_wait_dscnt 0x0
	v_sub_f32_e32 v13, v13, v1
	v_mul_f32_e32 v13, 0x3fb8aa3b, v13
	s_delay_alu instid0(VALU_DEP_1)
	v_exp_f32_e32 v13, v13
	ds_store_b32 v11, v13
	v_dual_add_f32 v10, v10, v13 :: v_dual_add_nc_u32 v11, 0x200, v11
	s_wait_alu 0xfffe
	s_and_not1_b32 exec_lo, exec_lo, s15
	s_cbranch_execnz .LBB315_27
; %bb.28:
	s_or_b32 exec_lo, exec_lo, s15
.LBB315_29:
	s_wait_alu 0xfffe
	s_or_b32 exec_lo, exec_lo, s12
	ds_bpermute_b32 v2, v2, v10
	s_wait_dscnt 0x0
	v_add_f32_e32 v2, v10, v2
	ds_bpermute_b32 v3, v3, v2
	s_wait_dscnt 0x0
	v_add_f32_e32 v2, v2, v3
	;; [unrolled: 3-line block ×5, first 2 shown]
	s_and_saveexec_b32 s3, vcc_lo
; %bb.30:
	ds_store_b32 v4, v2 offset:176
; %bb.31:
	s_wait_alu 0xfffe
	s_or_b32 exec_lo, exec_lo, s3
	s_wait_loadcnt_dscnt 0x0
	s_barrier_signal -1
	s_barrier_wait -1
	global_inv scope:SCOPE_SE
	s_and_saveexec_b32 s3, s0
; %bb.32:
	ds_load_b32 v2, v7 offset:176
; %bb.33:
	s_wait_alu 0xfffe
	s_or_b32 exec_lo, exec_lo, s3
	s_wait_dscnt 0x0
	ds_bpermute_b32 v3, v9, v2
	s_wait_dscnt 0x0
	v_add_f32_e32 v2, v2, v3
	ds_bpermute_b32 v3, v6, v2
	s_wait_dscnt 0x0
	v_dual_add_f32 v2, v2, v3 :: v_dual_mov_b32 v3, 0
	ds_bpermute_b32 v2, v3, v2
	s_and_saveexec_b32 s0, s1
	s_cbranch_execz .LBB315_36
; %bb.34:
	s_wait_dscnt 0x0
	v_add_f32_e32 v4, 0x358637bd, v2
	s_mov_b32 s1, 0
	s_delay_alu instid0(VALU_DEP_1) | instskip(SKIP_1) | instid1(VALU_DEP_2)
	v_div_scale_f32 v3, null, v4, v4, 1.0
	v_div_scale_f32 v8, vcc_lo, 1.0, v4, 1.0
	v_rcp_f32_e32 v6, v3
	s_delay_alu instid0(TRANS32_DEP_1) | instskip(NEXT) | instid1(VALU_DEP_1)
	v_fma_f32 v7, -v3, v6, 1.0
	v_fmac_f32_e32 v6, v7, v6
	s_delay_alu instid0(VALU_DEP_1) | instskip(NEXT) | instid1(VALU_DEP_1)
	v_mul_f32_e32 v7, v8, v6
	v_fma_f32 v9, -v3, v7, v8
	s_delay_alu instid0(VALU_DEP_1) | instskip(NEXT) | instid1(VALU_DEP_1)
	v_fmac_f32_e32 v7, v9, v6
	v_fma_f32 v3, -v3, v7, v8
	s_wait_alu 0xfffd
	s_delay_alu instid0(VALU_DEP_1) | instskip(SKIP_1) | instid1(VALU_DEP_2)
	v_div_fmas_f32 v6, v3, v6, v7
	v_mov_b32_e32 v3, v19
	v_div_fixup_f32 v4, v6, v4, 1.0
	v_mov_b32_e32 v6, v0
.LBB315_35:                             ; =>This Inner Loop Header: Depth=1
	ds_load_b32 v7, v3
	s_wait_dscnt 0x0
	v_dual_mul_f32 v7, v4, v7 :: v_dual_add_nc_u32 v6, 0x80, v6
	s_delay_alu instid0(VALU_DEP_1)
	v_cmp_le_i32_e32 vcc_lo, s11, v6
	ds_store_b32 v3, v7
	v_add_nc_u32_e32 v3, 0x200, v3
	s_wait_alu 0xfffe
	s_or_b32 s1, vcc_lo, s1
	s_wait_alu 0xfffe
	s_and_not1_b32 exec_lo, exec_lo, s1
	s_cbranch_execnz .LBB315_35
.LBB315_36:
	s_wait_alu 0xfffe
	s_or_b32 exec_lo, exec_lo, s0
	s_mul_i32 s0, s21, s26
	s_wait_loadcnt_dscnt 0x0
	s_wait_alu 0xfffe
	s_mul_i32 s26, s0, s27
	s_mov_b32 s0, exec_lo
	s_barrier_signal -1
	s_barrier_wait -1
	global_inv scope:SCOPE_SE
	v_cmpx_eq_u32_e32 0, v0
	s_cbranch_execz .LBB315_38
; %bb.37:
	s_ashr_i32 s27, s26, 31
	s_wait_alu 0xfffe
	s_mul_i32 s38, s21, ttmp9
	s_lshl_b32 s1, s33, 2
	s_lshl_b64 s[42:43], s[26:27], 2
	s_wait_alu 0xfffe
	s_ashr_i32 s39, s38, 31
	v_mov_b32_e32 v3, s1
	s_wait_kmcnt 0x0
	s_add_nc_u64 s[6:7], s[6:7], s[42:43]
	s_wait_alu 0xfffe
	s_lshl_b64 s[38:39], s[38:39], 2
	s_add_nc_u64 s[4:5], s[4:5], s[42:43]
	s_wait_alu 0xfffe
	s_add_nc_u64 s[6:7], s[6:7], s[38:39]
	s_add_nc_u64 s[4:5], s[4:5], s[38:39]
	s_clause 0x1
	global_store_b32 v3, v1, s[6:7]
	global_store_b32 v3, v2, s[4:5]
.LBB315_38:
	s_wait_alu 0xfffe
	s_or_b32 exec_lo, exec_lo, s0
	v_dual_mov_b32 v22, 0 :: v_dual_mov_b32 v21, 0
	v_or_b32_e32 v23, 64, v18
	v_mov_b32_e32 v20, 0
	s_and_saveexec_b32 s27, s2
	s_cbranch_execz .LBB315_52
; %bb.39:
	s_abs_i32 s38, s10
	v_dual_mov_b32 v21, 0 :: v_dual_lshlrev_b32 v24, 3, v18
	s_wait_alu 0xfffe
	s_cvt_f32_u32 s0, s38
	s_sub_co_i32 s3, 0, s38
	v_dual_mov_b32 v20, 0 :: v_dual_lshlrev_b32 v25, 3, v23
	s_wait_alu 0xfffe
	v_rcp_iflag_f32_e32 v1, s0
	s_lshl_b64 s[0:1], s[28:29], 2
	v_lshl_add_u32 v26, v15, 5, 0xc0
	s_wait_alu 0xfffe
	s_add_nc_u64 s[0:1], s[30:31], s[0:1]
	v_mov_b32_e32 v22, 0
	s_wait_alu 0xfffe
	v_add_co_u32 v9, s0, s0, v5
	s_wait_alu 0xf1ff
	v_add_co_ci_u32_e64 v10, null, s1, 0, s0
	s_ashr_i32 s15, s14, 31
	v_readfirstlane_b32 s2, v1
	s_sub_co_i32 s39, s8, s9
	s_mov_b32 s40, s13
	s_add_co_i32 s41, s41, -1
	s_wait_kmcnt 0x0
	s_wait_alu 0xfffe
	s_add_nc_u64 s[28:29], s[16:17], s[14:15]
	s_mul_f32 s2, s2, 0x4f7ffffe
	s_mov_b32 s30, 0
	v_cmp_gt_u32_e32 vcc_lo, 0x50, v23
	s_wait_alu 0xfffe
	s_cvt_u32_f32 s2, s2
	s_wait_alu 0xfffe
	s_delay_alu instid0(SALU_CYCLE_2)
	s_mul_i32 s3, s3, s2
	s_wait_alu 0xfffe
	s_mul_hi_u32 s0, s2, s3
	s_wait_alu 0xfffe
	s_add_co_i32 s31, s2, s0
	s_branch .LBB315_43
.LBB315_40:                             ;   in Loop: Header=BB315_43 Depth=1
	s_wait_alu 0xfffe
	s_or_b32 exec_lo, exec_lo, s17
	v_perm_b32 v34, v36, v34, 0x7060302
	v_perm_b32 v36, v38, v37, 0x7060302
	;; [unrolled: 1-line block ×3, first 2 shown]
	v_lshlrev_b32_e32 v12, 16, v12
	v_lshlrev_b32_e32 v33, 16, v33
	;; [unrolled: 1-line block ×4, first 2 shown]
	v_and_b32_e32 v39, 0xffff0000, v34
	v_lshlrev_b32_e32 v34, 16, v34
	v_perm_b32 v35, v41, v35, 0x7060302
	v_lshlrev_b32_e32 v42, 16, v42
	s_delay_alu instid0(VALU_DEP_3)
	v_mul_f32_e32 v34, v34, v40
	v_lshlrev_b32_e32 v41, 16, v44
	v_lshlrev_b32_e32 v38, 16, v46
	v_and_b32_e32 v40, 0xffff0000, v37
	v_lshlrev_b32_e32 v43, 16, v43
	v_or_b32_e32 v45, 0x400000, v34
	s_delay_alu instid0(VALU_DEP_4) | instskip(NEXT) | instid1(VALU_DEP_4)
	v_mul_f32_e32 v38, v39, v38
	v_dual_mul_f32 v40, v40, v42 :: v_dual_and_b32 v39, 0xffff0000, v36
	v_lshlrev_b32_e32 v36, 16, v36
	s_delay_alu instid0(VALU_DEP_3) | instskip(SKIP_1) | instid1(VALU_DEP_3)
	v_bfe_u32 v44, v38, 16, 1
	v_cmp_u_f32_e64 s0, v38, v38
	v_dual_mul_f32 v36, v36, v43 :: v_dual_mul_f32 v39, v39, v41
	v_bfe_u32 v41, v34, 16, 1
	v_or_b32_e32 v43, 0x400000, v38
	v_add3_u32 v44, v44, v38, 0x7fff
	s_delay_alu instid0(VALU_DEP_4)
	v_or_b32_e32 v42, 0x400000, v36
	v_bfe_u32 v46, v39, 16, 1
	v_add3_u32 v41, v41, v34, 0x7fff
	s_wait_alu 0xf1ff
	v_cndmask_b32_e64 v38, v44, v43, s0
	v_cmp_u_f32_e64 s0, v34, v34
	v_or_b32_e32 v43, 0x400000, v39
	v_bfe_u32 v44, v36, 16, 1
	s_delay_alu instid0(VALU_DEP_4) | instskip(SKIP_4) | instid1(VALU_DEP_3)
	v_and_b32_e32 v38, 0xffff0000, v38
	s_wait_alu 0xf1ff
	v_cndmask_b32_e64 v34, v41, v45, s0
	v_add3_u32 v41, v46, v39, 0x7fff
	v_cmp_u_f32_e64 s0, v39, v39
	v_and_b32_e32 v34, 0xffff0000, v34
	v_lshlrev_b32_e32 v37, 16, v37
	s_wait_alu 0xf1ff
	s_delay_alu instid0(VALU_DEP_3) | instskip(SKIP_3) | instid1(VALU_DEP_4)
	v_cndmask_b32_e64 v39, v41, v43, s0
	v_add3_u32 v41, v44, v36, 0x7fff
	v_cmp_u_f32_e64 s0, v36, v36
	v_bfe_u32 v43, v40, 16, 1
	v_dual_add_f32 v34, v34, v38 :: v_dual_and_b32 v39, 0xffff0000, v39
	v_mul_f32_e32 v33, v37, v33
	s_wait_alu 0xf1ff
	v_cndmask_b32_e64 v36, v41, v42, s0
	v_add3_u32 v42, v43, v40, 0x7fff
	v_cmp_u_f32_e64 s0, v40, v40
	v_bfe_u32 v41, v33, 16, 1
	s_delay_alu instid0(VALU_DEP_4) | instskip(NEXT) | instid1(VALU_DEP_1)
	v_and_b32_e32 v36, 0xffff0000, v36
	v_add_f32_e32 v36, v36, v39
	v_and_b32_e32 v37, 0xffff0000, v35
	s_delay_alu instid0(VALU_DEP_2) | instskip(NEXT) | instid1(VALU_DEP_1)
	v_dual_add_f32 v34, v36, v34 :: v_dual_lshlrev_b32 v35, 16, v35
	v_dual_mul_f32 v12, v37, v12 :: v_dual_mul_f32 v11, v35, v11
	v_or_b32_e32 v35, 0x400000, v40
	v_add3_u32 v37, v41, v33, 0x7fff
	v_or_b32_e32 v41, 0x400000, v33
	s_delay_alu instid0(VALU_DEP_4)
	v_bfe_u32 v43, v12, 16, 1
	v_bfe_u32 v44, v11, 16, 1
	s_wait_alu 0xf1ff
	v_cndmask_b32_e64 v35, v42, v35, s0
	v_cmp_u_f32_e64 s0, v33, v33
	v_or_b32_e32 v42, 0x400000, v12
	v_add3_u32 v40, v44, v11, 0x7fff
	s_delay_alu instid0(VALU_DEP_4)
	v_and_b32_e32 v35, 0xffff0000, v35
	s_wait_alu 0xf1ff
	v_cndmask_b32_e64 v33, v37, v41, s0
	v_or_b32_e32 v41, 0x400000, v11
	v_cmp_u_f32_e64 s0, v11, v11
	v_add3_u32 v37, v43, v12, 0x7fff
	s_delay_alu instid0(VALU_DEP_4) | instskip(SKIP_1) | instid1(VALU_DEP_3)
	v_and_b32_e32 v33, 0xffff0000, v33
	s_wait_alu 0xf1ff
	v_cndmask_b32_e64 v11, v40, v41, s0
	v_cmp_u_f32_e64 s0, v12, v12
	s_delay_alu instid0(VALU_DEP_3) | instskip(NEXT) | instid1(VALU_DEP_3)
	v_add_f32_e32 v33, v33, v35
	v_and_b32_e32 v11, 0xffff0000, v11
	s_wait_alu 0xf1ff
	s_delay_alu instid0(VALU_DEP_3) | instskip(NEXT) | instid1(VALU_DEP_1)
	v_cndmask_b32_e64 v12, v37, v42, s0
	v_dual_add_f32 v33, v33, v34 :: v_dual_and_b32 v12, 0xffff0000, v12
	s_delay_alu instid0(VALU_DEP_1) | instskip(NEXT) | instid1(VALU_DEP_1)
	v_add_f32_e32 v11, v11, v12
	v_add_f32_e32 v11, v11, v33
	s_delay_alu instid0(VALU_DEP_1)
	v_add_f32_e32 v20, v20, v11
.LBB315_41:                             ;   in Loop: Header=BB315_43 Depth=1
	s_or_b32 exec_lo, exec_lo, s44
	v_bfe_u32 v11, v14, 16, 1
	v_bfe_u32 v12, v32, 16, 1
	v_or_b32_e32 v33, 0x400000, v14
	v_bfe_u32 v35, v29, 16, 1
	v_or_b32_e32 v34, 0x400000, v32
	v_add3_u32 v11, v11, v14, 0x7fff
	v_add3_u32 v12, v12, v32, 0x7fff
	v_bfe_u32 v32, v30, 16, 1
	v_bfe_u32 v14, v31, 16, 1
	s_wait_alu 0xf1ff
	v_cndmask_b32_e64 v11, v11, v33, s10
	v_add3_u32 v33, v35, v29, 0x7fff
	v_or_b32_e32 v29, 0x400000, v29
	v_cndmask_b32_e64 v12, v12, v34, s16
	v_add3_u32 v32, v32, v30, 0x7fff
	v_or_b32_e32 v30, 0x400000, v30
	v_bfe_u32 v34, v13, 16, 1
	v_cndmask_b32_e64 v29, v33, v29, s12
	v_bfe_u32 v33, v27, 16, 1
	v_add3_u32 v14, v14, v31, 0x7fff
	v_cndmask_b32_e64 v30, v32, v30, s11
	v_add3_u32 v32, v34, v13, 0x7fff
	v_or_b32_e32 v13, 0x400000, v13
	v_add3_u32 v33, v33, v27, 0x7fff
	v_or_b32_e32 v27, 0x400000, v27
	v_or_b32_e32 v31, 0x400000, v31
	v_and_b32_e32 v29, 0xffff0000, v29
	v_cndmask_b32_e64 v13, v32, v13, s9
	s_delay_alu instid0(VALU_DEP_4) | instskip(NEXT) | instid1(VALU_DEP_4)
	v_cndmask_b32_e64 v27, v33, v27, s14
	v_cndmask_b32_e64 v14, v14, v31, s15
	v_bfe_u32 v31, v28, 16, 1
	s_delay_alu instid0(VALU_DEP_3)
	v_and_b32_e32 v27, 0xffff0000, v27
	v_and_b32_e32 v13, 0xffff0000, v13
	;; [unrolled: 1-line block ×4, first 2 shown]
	v_add3_u32 v31, v31, v28, 0x7fff
	v_or_b32_e32 v28, 0x400000, v28
	v_dual_add_f32 v13, v13, v29 :: v_dual_and_b32 v30, 0xffff0000, v30
	v_and_b32_e32 v11, 0xffff0000, v11
	v_bfe_u32 v29, v3, 16, 1
	s_delay_alu instid0(VALU_DEP_2)
	v_dual_add_f32 v11, v12, v11 :: v_dual_add_f32 v12, v30, v14
	v_cndmask_b32_e64 v14, v31, v28, s13
	v_bfe_u32 v28, v8, 16, 1
	v_bfe_u32 v30, v4, 16, 1
	;; [unrolled: 1-line block ×3, first 2 shown]
	v_add_f32_e32 v11, v12, v11
	v_bfe_u32 v12, v7, 16, 1
	v_add3_u32 v28, v28, v8, 0x7fff
	v_or_b32_e32 v8, 0x400000, v8
	v_add3_u32 v30, v30, v4, 0x7fff
	v_or_b32_e32 v4, 0x400000, v4
	v_add3_u32 v12, v12, v7, 0x7fff
	v_or_b32_e32 v7, 0x400000, v7
	v_cndmask_b32_e64 v8, v28, v8, s7
	v_add3_u32 v28, v29, v3, 0x7fff
	v_bfe_u32 v29, v5, 16, 1
	v_or_b32_e32 v3, 0x400000, v3
	v_cndmask_b32_e64 v7, v12, v7, s8
	v_bfe_u32 v12, v6, 16, 1
	v_cndmask_b32_e64 v4, v30, v4, s6
	v_add3_u32 v29, v29, v5, 0x7fff
	v_or_b32_e32 v5, 0x400000, v5
	v_cndmask_b32_e64 v3, v28, v3, s3
	v_add3_u32 v12, v12, v6, 0x7fff
	v_or_b32_e32 v6, 0x400000, v6
	v_bfe_u32 v28, v1, 16, 1
	v_cndmask_b32_e64 v5, v29, v5, s5
	v_and_b32_e32 v3, 0xffff0000, v3
	s_delay_alu instid0(VALU_DEP_4)
	v_cndmask_b32_e64 v6, v12, v6, s4
	v_add3_u32 v12, v31, v2, 0x7fff
	v_or_b32_e32 v2, 0x400000, v2
	v_add3_u32 v28, v28, v1, 0x7fff
	v_or_b32_e32 v1, 0x400000, v1
	v_and_b32_e32 v6, 0xffff0000, v6
	v_and_b32_e32 v8, 0xffff0000, v8
	;; [unrolled: 1-line block ×3, first 2 shown]
	v_cndmask_b32_e64 v2, v12, v2, s1
	v_cndmask_b32_e64 v1, v28, v1, s2
	v_dual_add_f32 v3, v6, v3 :: v_dual_and_b32 v4, 0xffff0000, v4
	v_and_b32_e32 v6, 0xffff0000, v14
	s_delay_alu instid0(VALU_DEP_3) | instskip(NEXT) | instid1(VALU_DEP_3)
	v_and_b32_e32 v1, 0xffff0000, v1
	v_add_f32_e32 v4, v4, v5
	v_dual_add_f32 v5, v13, v11 :: v_dual_and_b32 v2, 0xffff0000, v2
	s_delay_alu instid0(VALU_DEP_4) | instskip(NEXT) | instid1(VALU_DEP_1)
	v_dual_add_f32 v6, v27, v6 :: v_dual_and_b32 v7, 0xffff0000, v7
	v_dual_add_f32 v1, v1, v2 :: v_dual_add_f32 v2, v6, v5
	s_delay_alu instid0(VALU_DEP_1) | instskip(NEXT) | instid1(VALU_DEP_1)
	v_dual_add_f32 v7, v7, v8 :: v_dual_add_f32 v22, v22, v2
	v_add_f32_e32 v3, v3, v7
	s_delay_alu instid0(VALU_DEP_1) | instskip(NEXT) | instid1(VALU_DEP_1)
	v_add_f32_e32 v3, v4, v3
	v_add_f32_e32 v1, v1, v3
	s_delay_alu instid0(VALU_DEP_1)
	v_add_f32_e32 v21, v21, v1
.LBB315_42:                             ;   in Loop: Header=BB315_43 Depth=1
	s_wait_alu 0xfffe
	s_or_b32 exec_lo, exec_lo, s42
	v_add_nc_u32_e32 v17, 4, v17
	v_add_co_u32 v9, s1, v9, 16
	s_wait_alu 0xf1ff
	v_add_co_ci_u32_e64 v10, null, 0, v10, s1
	s_delay_alu instid0(VALU_DEP_3)
	v_cmp_le_i32_e64 s0, s37, v17
	v_add_nc_u32_e32 v16, 32, v16
	v_add_nc_u32_e32 v26, 0x80, v26
	s_or_b32 s30, s0, s30
	s_wait_alu 0xfffe
	s_and_not1_b32 exec_lo, exec_lo, s30
	s_cbranch_execz .LBB315_51
.LBB315_43:                             ; =>This Inner Loop Header: Depth=1
	v_sub_nc_u32_e32 v1, 0, v16
	s_delay_alu instid0(VALU_DEP_1) | instskip(NEXT) | instid1(VALU_DEP_1)
	v_max_i32_e32 v1, v16, v1
	v_mul_hi_u32 v2, v1, s22
	s_delay_alu instid0(VALU_DEP_1) | instskip(NEXT) | instid1(VALU_DEP_1)
	v_mul_lo_u32 v3, v2, s35
	v_sub_nc_u32_e32 v1, v1, v3
	v_add_nc_u32_e32 v3, 1, v2
	s_delay_alu instid0(VALU_DEP_2) | instskip(SKIP_2) | instid1(VALU_DEP_1)
	v_subrev_nc_u32_e32 v4, s35, v1
	v_cmp_le_u32_e64 s0, s35, v1
	s_wait_alu 0xf1ff
	v_cndmask_b32_e64 v2, v2, v3, s0
	s_delay_alu instid0(VALU_DEP_3) | instskip(SKIP_1) | instid1(VALU_DEP_3)
	v_cndmask_b32_e64 v1, v1, v4, s0
	v_ashrrev_i32_e32 v3, 31, v16
	v_add_nc_u32_e32 v4, 1, v2
	s_delay_alu instid0(VALU_DEP_3) | instskip(NEXT) | instid1(VALU_DEP_3)
	v_cmp_le_u32_e64 s0, s35, v1
	v_xor_b32_e32 v3, s23, v3
	s_wait_alu 0xf1ff
	s_delay_alu instid0(VALU_DEP_2) | instskip(NEXT) | instid1(VALU_DEP_1)
	v_cndmask_b32_e64 v1, v2, v4, s0
	v_xor_b32_e32 v1, v1, v3
	s_delay_alu instid0(VALU_DEP_1) | instskip(NEXT) | instid1(VALU_DEP_1)
	v_sub_nc_u32_e32 v1, v1, v3
	v_add_nc_u32_e32 v2, s36, v1
	v_cmp_lt_i32_e64 s1, s39, v1
	s_delay_alu instid0(VALU_DEP_2) | instskip(NEXT) | instid1(VALU_DEP_1)
	v_sub_nc_u32_e32 v3, 0, v2
	v_max_i32_e32 v3, v2, v3
	v_ashrrev_i32_e32 v2, 31, v2
	s_delay_alu instid0(VALU_DEP_2) | instskip(NEXT) | instid1(VALU_DEP_1)
	v_mul_hi_u32 v4, v3, s31
	v_mul_lo_u32 v4, v4, s38
	s_delay_alu instid0(VALU_DEP_1) | instskip(NEXT) | instid1(VALU_DEP_1)
	v_sub_nc_u32_e32 v3, v3, v4
	v_subrev_nc_u32_e32 v4, s38, v3
	v_cmp_le_u32_e64 s0, s38, v3
	s_wait_alu 0xf1ff
	s_delay_alu instid0(VALU_DEP_1) | instskip(NEXT) | instid1(VALU_DEP_1)
	v_cndmask_b32_e64 v3, v3, v4, s0
	v_subrev_nc_u32_e32 v4, s38, v3
	v_cmp_le_u32_e64 s0, s38, v3
	s_wait_alu 0xf1ff
	s_delay_alu instid0(VALU_DEP_1) | instskip(NEXT) | instid1(VALU_DEP_1)
	v_cndmask_b32_e64 v3, v3, v4, s0
	v_xor_b32_e32 v3, v3, v2
	s_delay_alu instid0(VALU_DEP_1) | instskip(NEXT) | instid1(VALU_DEP_1)
	v_sub_nc_u32_e32 v2, v3, v2
	v_cmp_eq_u32_e64 s0, 0, v2
	s_or_b32 s0, s0, s1
	s_wait_alu 0xfffe
	s_and_saveexec_b32 s42, s0
	s_cbranch_execz .LBB315_42
; %bb.44:                               ;   in Loop: Header=BB315_43 Depth=1
	global_load_b32 v1, v[9:10], off
	s_load_b32 s43, s[18:19], 0x0
	s_wait_loadcnt 0x0
	v_mad_co_i64_i32 v[11:12], null, v1, s40, s[28:29]
	s_delay_alu instid0(VALU_DEP_1) | instskip(SKIP_1) | instid1(VALU_DEP_2)
	v_add_co_u32 v13, s0, v11, v24
	s_wait_alu 0xf1ff
	v_add_co_ci_u32_e64 v14, null, 0, v12, s0
	v_cmp_eq_u32_e64 s0, s41, v17
	global_load_b64 v[27:28], v[13:14], off
	ds_load_2addr_b64 v[5:8], v26 offset1:1
	ds_load_2addr_b64 v[1:4], v26 offset0:2 offset1:3
	s_wait_loadcnt 0x0
	v_bfe_u32 v30, v27, 8, 8
	v_bfe_u32 v31, v27, 16, 8
	;; [unrolled: 1-line block ×4, first 2 shown]
	s_delay_alu instid0(VALU_DEP_4)
	v_cvt_f32_fp8_e32 v30, v30
	v_and_b32_e32 v29, 0xff, v27
	v_lshrrev_b32_e32 v27, 24, v27
	v_cvt_f32_fp8_e32 v31, v31
	v_cvt_f32_fp8_e32 v34, v34
	s_wait_kmcnt 0x0
	v_mul_f32_e32 v30, s43, v30
	v_cvt_f32_fp8_e32 v29, v29
	v_and_b32_e32 v32, 0xff, v28
	v_cvt_f32_fp8_e32 v27, v27
	v_lshrrev_b32_e32 v28, 24, v28
	v_bfe_u32 v37, v30, 16, 1
	v_mul_f32_e32 v29, s43, v29
	v_cvt_f32_fp8_e32 v32, v32
	v_mul_f32_e32 v31, s43, v31
	v_dual_mul_f32 v27, s43, v27 :: v_dual_mul_f32 v34, s43, v34
	s_delay_alu instid0(VALU_DEP_4)
	v_bfe_u32 v35, v29, 16, 1
	v_or_b32_e32 v36, 0x400000, v29
	v_cmp_u_f32_e64 s1, v29, v29
	v_mul_f32_e32 v32, s43, v32
	v_or_b32_e32 v38, 0x400000, v30
	v_add3_u32 v35, v35, v29, 0x7fff
	v_bfe_u32 v39, v31, 16, 1
	v_add3_u32 v37, v37, v30, 0x7fff
	v_cvt_f32_fp8_e32 v33, v33
	v_or_b32_e32 v40, 0x400000, v31
	s_wait_alu 0xf1ff
	v_cndmask_b32_e64 v29, v35, v36, s1
	v_cmp_u_f32_e64 s1, v30, v30
	v_bfe_u32 v41, v27, 16, 1
	v_add3_u32 v39, v39, v31, 0x7fff
	v_cvt_f32_fp8_e32 v28, v28
	v_mul_f32_e32 v33, s43, v33
	s_wait_alu 0xf1ff
	v_cndmask_b32_e64 v30, v37, v38, s1
	v_cmp_u_f32_e64 s1, v31, v31
	v_or_b32_e32 v42, 0x400000, v27
	v_bfe_u32 v43, v32, 16, 1
	v_add3_u32 v41, v41, v27, 0x7fff
	v_mul_f32_e32 v28, s43, v28
	s_wait_alu 0xf1ff
	v_cndmask_b32_e64 v31, v39, v40, s1
	v_cmp_u_f32_e64 s1, v27, v27
	v_or_b32_e32 v44, 0x400000, v32
	v_bfe_u32 v45, v33, 16, 1
	v_add3_u32 v43, v43, v32, 0x7fff
	v_or_b32_e32 v46, 0x400000, v33
	s_wait_alu 0xf1ff
	v_cndmask_b32_e64 v27, v41, v42, s1
	v_cmp_u_f32_e64 s1, v32, v32
	v_bfe_u32 v47, v34, 16, 1
	v_add3_u32 v45, v45, v33, 0x7fff
	v_or_b32_e32 v48, 0x400000, v34
	v_bfe_u32 v49, v28, 16, 1
	s_wait_alu 0xf1ff
	v_cndmask_b32_e64 v36, v43, v44, s1
	v_cmp_u_f32_e64 s1, v33, v33
	v_add3_u32 v47, v47, v34, 0x7fff
	v_or_b32_e32 v50, 0x400000, v28
	v_add3_u32 v49, v49, v28, 0x7fff
	v_lshrrev_b32_e32 v33, 16, v29
	s_wait_alu 0xf1ff
	v_cndmask_b32_e64 v37, v45, v46, s1
	v_cmp_u_f32_e64 s1, v34, v34
	v_lshrrev_b32_e32 v35, 16, v30
	v_lshrrev_b32_e32 v31, 16, v31
	;; [unrolled: 1-line block ×4, first 2 shown]
	s_wait_alu 0xf1ff
	v_cndmask_b32_e64 v34, v47, v48, s1
	v_cmp_u_f32_e64 s1, v28, v28
	v_lshrrev_b32_e32 v30, 16, v37
	s_delay_alu instid0(VALU_DEP_3) | instskip(SKIP_1) | instid1(VALU_DEP_3)
	v_lshrrev_b32_e32 v27, 16, v34
	s_wait_alu 0xf1ff
	v_cndmask_b32_e64 v28, v49, v50, s1
	s_delay_alu instid0(VALU_DEP_1)
	v_lshrrev_b32_e32 v28, 16, v28
	s_and_saveexec_b32 s2, s0
	s_cbranch_execz .LBB315_46
; %bb.45:                               ;   in Loop: Header=BB315_43 Depth=1
	v_add_nc_u32_e32 v34, 1, v16
	v_cmp_gt_i32_e64 s1, s34, v16
	v_add_nc_u32_e32 v36, 2, v16
	v_add_nc_u32_e32 v37, 3, v16
	s_wait_alu 0xf1ff
	s_delay_alu instid0(VALU_DEP_3) | instskip(SKIP_3) | instid1(VALU_DEP_2)
	v_cndmask_b32_e64 v33, 0, v33, s1
	v_cmp_gt_i32_e64 s1, s34, v34
	v_add_nc_u32_e32 v34, 4, v16
	s_wait_alu 0xf1ff
	v_cndmask_b32_e64 v35, 0, v35, s1
	v_cmp_gt_i32_e64 s1, s34, v36
	v_add_nc_u32_e32 v36, 5, v16
	s_wait_alu 0xf1ff
	s_delay_alu instid0(VALU_DEP_2) | instskip(SKIP_3) | instid1(VALU_DEP_2)
	v_cndmask_b32_e64 v31, 0, v31, s1
	v_cmp_gt_i32_e64 s1, s34, v37
	v_add_nc_u32_e32 v37, 6, v16
	s_wait_alu 0xf1ff
	v_cndmask_b32_e64 v32, 0, v32, s1
	v_cmp_gt_i32_e64 s1, s34, v34
	v_add_nc_u32_e32 v34, 7, v16
	s_wait_alu 0xf1ff
	s_delay_alu instid0(VALU_DEP_2) | instskip(SKIP_2) | instid1(VALU_DEP_1)
	v_cndmask_b32_e64 v29, 0, v29, s1
	v_cmp_gt_i32_e64 s1, s34, v36
	s_wait_alu 0xf1ff
	v_cndmask_b32_e64 v30, 0, v30, s1
	v_cmp_gt_i32_e64 s1, s34, v37
	s_wait_alu 0xf1ff
	s_delay_alu instid0(VALU_DEP_1) | instskip(SKIP_2) | instid1(VALU_DEP_1)
	v_cndmask_b32_e64 v27, 0, v27, s1
	v_cmp_gt_i32_e64 s1, s34, v34
	s_wait_alu 0xf1ff
	v_cndmask_b32_e64 v28, 0, v28, s1
.LBB315_46:                             ;   in Loop: Header=BB315_43 Depth=1
	s_wait_alu 0xfffe
	s_or_b32 exec_lo, exec_lo, s2
	global_load_b64 v[13:14], v[13:14], off offset:256
	s_wait_loadcnt 0x0
	v_bfe_u32 v39, v14, 8, 8
	v_bfe_u32 v36, v13, 8, 8
	;; [unrolled: 1-line block ×4, first 2 shown]
	s_delay_alu instid0(VALU_DEP_4)
	v_cvt_f32_fp8_e32 v39, v39
	v_and_b32_e32 v34, 0xff, v13
	v_lshrrev_b32_e32 v13, 24, v13
	v_cvt_f32_fp8_e32 v36, v36
	v_cvt_f32_fp8_e32 v37, v37
	v_mul_f32_e32 v39, s43, v39
	v_cvt_f32_fp8_e32 v34, v34
	v_cvt_f32_fp8_e32 v13, v13
	v_mul_f32_e32 v36, s43, v36
	v_dual_mul_f32 v37, s43, v37 :: v_dual_and_b32 v38, 0xff, v14
	s_delay_alu instid0(VALU_DEP_3) | instskip(NEXT) | instid1(VALU_DEP_3)
	v_dual_mul_f32 v34, s43, v34 :: v_dual_mul_f32 v13, s43, v13
	v_bfe_u32 v43, v36, 16, 1
	s_delay_alu instid0(VALU_DEP_3) | instskip(SKIP_1) | instid1(VALU_DEP_4)
	v_cvt_f32_fp8_e32 v38, v38
	v_or_b32_e32 v44, 0x400000, v36
	v_bfe_u32 v41, v34, 16, 1
	v_or_b32_e32 v42, 0x400000, v34
	v_cmp_u_f32_e64 s1, v34, v34
	v_bfe_u32 v45, v37, 16, 1
	v_add3_u32 v43, v43, v36, 0x7fff
	v_add3_u32 v41, v41, v34, 0x7fff
	v_mul_f32_e32 v38, s43, v38
	v_or_b32_e32 v46, 0x400000, v37
	v_bfe_u32 v47, v13, 16, 1
	v_add3_u32 v45, v45, v37, 0x7fff
	s_wait_alu 0xf1ff
	v_cndmask_b32_e64 v34, v41, v42, s1
	v_cmp_u_f32_e64 s1, v36, v36
	v_lshrrev_b32_e32 v14, 24, v14
	v_cvt_f32_fp8_e32 v40, v40
	v_or_b32_e32 v48, 0x400000, v13
	v_bfe_u32 v49, v38, 16, 1
	s_wait_alu 0xf1ff
	v_cndmask_b32_e64 v36, v43, v44, s1
	v_cmp_u_f32_e64 s1, v37, v37
	v_add3_u32 v47, v47, v13, 0x7fff
	v_cvt_f32_fp8_e32 v14, v14
	v_mul_f32_e32 v40, s43, v40
	v_or_b32_e32 v50, 0x400000, v38
	s_wait_alu 0xf1ff
	v_cndmask_b32_e64 v37, v45, v46, s1
	v_cmp_u_f32_e64 s1, v13, v13
	v_bfe_u32 v51, v39, 16, 1
	v_add3_u32 v49, v49, v38, 0x7fff
	v_mul_f32_e32 v14, s43, v14
	v_or_b32_e32 v52, 0x400000, v39
	s_wait_alu 0xf1ff
	v_cndmask_b32_e64 v13, v47, v48, s1
	v_cmp_u_f32_e64 s1, v38, v38
	v_bfe_u32 v53, v40, 16, 1
	v_add3_u32 v51, v51, v39, 0x7fff
	v_or_b32_e32 v54, 0x400000, v40
	v_bfe_u32 v55, v14, 16, 1
	s_wait_alu 0xf1ff
	v_cndmask_b32_e64 v38, v49, v50, s1
	v_cmp_u_f32_e64 s1, v39, v39
	v_add3_u32 v53, v53, v40, 0x7fff
	v_or_b32_e32 v56, 0x400000, v14
	v_add3_u32 v55, v55, v14, 0x7fff
	v_lshrrev_b32_e32 v48, 16, v34
	s_wait_alu 0xf1ff
	v_cndmask_b32_e64 v39, v51, v52, s1
	v_cmp_u_f32_e64 s1, v40, v40
	v_lshrrev_b32_e32 v49, 16, v36
	v_lshrrev_b32_e32 v46, 16, v37
	;; [unrolled: 1-line block ×4, first 2 shown]
	s_wait_alu 0xf1ff
	v_cndmask_b32_e64 v40, v53, v54, s1
	v_cmp_u_f32_e64 s1, v14, v14
	v_lshrrev_b32_e32 v45, 16, v39
	s_delay_alu instid0(VALU_DEP_3) | instskip(SKIP_1) | instid1(VALU_DEP_3)
	v_lshrrev_b32_e32 v42, 16, v40
	s_wait_alu 0xf1ff
	v_cndmask_b32_e64 v14, v55, v56, s1
	s_delay_alu instid0(VALU_DEP_1)
	v_lshrrev_b32_e32 v43, 16, v14
	s_and_saveexec_b32 s2, s0
	s_cbranch_execz .LBB315_48
; %bb.47:                               ;   in Loop: Header=BB315_43 Depth=1
	v_add_nc_u32_e32 v13, 1, v16
	v_cmp_gt_i32_e64 s1, s34, v16
	v_add_nc_u32_e32 v14, 2, v16
	v_add_nc_u32_e32 v34, 3, v16
	s_wait_alu 0xf1ff
	s_delay_alu instid0(VALU_DEP_3) | instskip(SKIP_3) | instid1(VALU_DEP_2)
	v_cndmask_b32_e64 v48, 0, v48, s1
	v_cmp_gt_i32_e64 s1, s34, v13
	v_add_nc_u32_e32 v13, 4, v16
	s_wait_alu 0xf1ff
	v_cndmask_b32_e64 v49, 0, v49, s1
	v_cmp_gt_i32_e64 s1, s34, v14
	v_add_nc_u32_e32 v14, 5, v16
	s_wait_alu 0xf1ff
	s_delay_alu instid0(VALU_DEP_2) | instskip(SKIP_3) | instid1(VALU_DEP_2)
	v_cndmask_b32_e64 v46, 0, v46, s1
	v_cmp_gt_i32_e64 s1, s34, v34
	v_add_nc_u32_e32 v34, 6, v16
	s_wait_alu 0xf1ff
	v_cndmask_b32_e64 v47, 0, v47, s1
	v_cmp_gt_i32_e64 s1, s34, v13
	v_add_nc_u32_e32 v13, 7, v16
	s_wait_alu 0xf1ff
	s_delay_alu instid0(VALU_DEP_2) | instskip(SKIP_2) | instid1(VALU_DEP_1)
	v_cndmask_b32_e64 v44, 0, v44, s1
	v_cmp_gt_i32_e64 s1, s34, v14
	s_wait_alu 0xf1ff
	v_cndmask_b32_e64 v45, 0, v45, s1
	v_cmp_gt_i32_e64 s1, s34, v34
	s_wait_alu 0xf1ff
	s_delay_alu instid0(VALU_DEP_1) | instskip(SKIP_2) | instid1(VALU_DEP_1)
	v_cndmask_b32_e64 v42, 0, v42, s1
	v_cmp_gt_i32_e64 s1, s34, v13
	s_wait_alu 0xf1ff
	v_cndmask_b32_e64 v43, 0, v43, s1
.LBB315_48:                             ;   in Loop: Header=BB315_43 Depth=1
	s_wait_alu 0xfffe
	s_or_b32 exec_lo, exec_lo, s2
	s_wait_dscnt 0x1
	v_bfe_u32 v13, v5, 16, 1
	v_or_b32_e32 v14, 0x400000, v5
	v_bfe_u32 v34, v6, 16, 1
	v_cmp_u_f32_e64 s1, v5, v5
	v_bfe_u32 v36, v7, 16, 1
	v_add3_u32 v13, v13, v5, 0x7fff
	v_or_b32_e32 v37, 0x400000, v6
	v_add3_u32 v39, v34, v6, 0x7fff
	v_or_b32_e32 v38, 0x400000, v7
	v_add3_u32 v40, v36, v7, 0x7fff
	s_wait_alu 0xf1ff
	v_cndmask_b32_e64 v34, v13, v14, s1
	v_cmp_u_f32_e64 s1, v6, v6
	v_bfe_u32 v5, v8, 16, 1
	s_wait_dscnt 0x0
	v_bfe_u32 v6, v1, 16, 1
	v_bfe_u32 v13, v2, 16, 1
	v_or_b32_e32 v14, 0x400000, v1
	s_wait_alu 0xf1ff
	v_cndmask_b32_e64 v36, v39, v37, s1
	v_cmp_u_f32_e64 s1, v7, v7
	v_add3_u32 v5, v5, v8, 0x7fff
	v_or_b32_e32 v7, 0x400000, v8
	v_add3_u32 v6, v6, v1, 0x7fff
	v_lshlrev_b32_e32 v48, 16, v48
	s_wait_alu 0xf1ff
	v_cndmask_b32_e64 v37, v40, v38, s1
	v_cmp_u_f32_e64 s1, v8, v8
	v_or_b32_e32 v8, 0x400000, v4
	v_lshlrev_b32_e32 v44, 16, v44
	v_lshlrev_b32_e32 v47, 16, v47
	;; [unrolled: 1-line block ×3, first 2 shown]
	s_wait_alu 0xf1ff
	v_cndmask_b32_e64 v38, v5, v7, s1
	v_cmp_u_f32_e64 s1, v1, v1
	v_add3_u32 v5, v13, v2, 0x7fff
	v_or_b32_e32 v7, 0x400000, v2
	v_bfe_u32 v1, v3, 16, 1
	v_lshlrev_b32_e32 v42, 16, v42
	s_wait_alu 0xf1ff
	v_cndmask_b32_e64 v39, v6, v14, s1
	v_cmp_u_f32_e64 s1, v2, v2
	v_bfe_u32 v2, v4, 16, 1
	v_add3_u32 v1, v1, v3, 0x7fff
	s_delay_alu instid0(VALU_DEP_4)
	v_and_b32_e32 v50, 0xffff0000, v39
	s_wait_alu 0xf1ff
	v_cndmask_b32_e64 v40, v5, v7, s1
	v_or_b32_e32 v7, 0x400000, v3
	v_cmp_u_f32_e64 s1, v3, v3
	v_add3_u32 v2, v2, v4, 0x7fff
	v_and_b32_e32 v3, 0xffff0000, v38
	v_lshlrev_b32_e32 v6, 16, v35
	v_lshlrev_b32_e32 v13, 16, v29
	s_wait_alu 0xf1ff
	v_cndmask_b32_e64 v35, v1, v7, s1
	v_cmp_u_f32_e64 s1, v4, v4
	v_lshlrev_b32_e32 v4, 16, v32
	v_lshlrev_b32_e32 v7, 16, v31
	v_and_b32_e32 v1, 0xffff0000, v34
	v_mul_f32_e32 v13, v50, v13
	s_wait_alu 0xf1ff
	v_cndmask_b32_e64 v41, v2, v8, s1
	v_lshlrev_b32_e32 v8, 16, v30
	v_lshlrev_b32_e32 v2, 16, v33
	v_and_b32_e32 v5, 0xffff0000, v36
	v_and_b32_e32 v33, 0xffff0000, v40
	v_mul_f32_e32 v31, v3, v4
	s_delay_alu instid0(VALU_DEP_4) | instskip(NEXT) | instid1(VALU_DEP_4)
	v_dual_mul_f32 v32, v1, v2 :: v_dual_and_b32 v51, 0xffff0000, v35
	v_mul_f32_e32 v14, v5, v6
	s_delay_alu instid0(VALU_DEP_4) | instskip(SKIP_2) | instid1(VALU_DEP_4)
	v_dual_mul_f32 v29, v33, v8 :: v_dual_and_b32 v6, 0xffff0000, v37
	v_lshlrev_b32_e32 v8, 16, v49
	v_and_b32_e32 v2, 0xffff0000, v41
	v_cmp_u_f32_e64 s10, v14, v14
	v_cmp_u_f32_e64 s16, v32, v32
	;; [unrolled: 1-line block ×3, first 2 shown]
	v_mul_f32_e32 v8, v5, v8
	v_mul_f32_e32 v30, v6, v7
	v_lshlrev_b32_e32 v7, 16, v27
	v_cmp_u_f32_e64 s12, v29, v29
	v_cmp_u_f32_e64 s9, v13, v13
	;; [unrolled: 1-line block ×4, first 2 shown]
	v_mul_f32_e32 v27, v51, v7
	v_mul_f32_e32 v7, v1, v48
	v_lshlrev_b32_e32 v1, 16, v46
	s_delay_alu instid0(VALU_DEP_3) | instskip(NEXT) | instid1(VALU_DEP_3)
	v_cmp_u_f32_e64 s14, v27, v27
	v_cmp_u_f32_e64 s8, v7, v7
	s_delay_alu instid0(VALU_DEP_3) | instskip(SKIP_1) | instid1(VALU_DEP_2)
	v_mul_f32_e32 v6, v6, v1
	v_dual_mul_f32 v1, v51, v42 :: v_dual_lshlrev_b32 v4, 16, v28
	v_cmp_u_f32_e64 s4, v6, v6
	s_delay_alu instid0(VALU_DEP_2) | instskip(SKIP_3) | instid1(VALU_DEP_4)
	v_mul_f32_e32 v28, v2, v4
	v_dual_mul_f32 v3, v3, v47 :: v_dual_lshlrev_b32 v4, 16, v45
	v_mul_f32_e32 v2, v2, v43
	v_cmp_u_f32_e64 s2, v1, v1
	v_cmp_u_f32_e64 s13, v28, v28
	s_delay_alu instid0(VALU_DEP_4) | instskip(SKIP_3) | instid1(VALU_DEP_4)
	v_mul_f32_e32 v5, v33, v4
	v_mul_f32_e32 v4, v50, v44
	v_cmp_u_f32_e64 s3, v3, v3
	v_cmp_u_f32_e64 s1, v2, v2
	;; [unrolled: 1-line block ×3, first 2 shown]
	s_delay_alu instid0(VALU_DEP_4)
	v_cmp_u_f32_e64 s6, v4, v4
	s_and_saveexec_b32 s44, vcc_lo
	s_cbranch_execz .LBB315_41
; %bb.49:                               ;   in Loop: Header=BB315_43 Depth=1
	v_add_co_u32 v11, s17, v11, v25
	s_wait_alu 0xf1ff
	v_add_co_ci_u32_e64 v12, null, 0, v12, s17
	global_load_b64 v[11:12], v[11:12], off
	s_wait_loadcnt 0x0
	v_bfe_u32 v42, v11, 8, 8
	v_bfe_u32 v43, v11, 16, 8
	;; [unrolled: 1-line block ×4, first 2 shown]
	s_delay_alu instid0(VALU_DEP_4)
	v_cvt_f32_fp8_e32 v42, v42
	v_and_b32_e32 v33, 0xff, v11
	v_lshrrev_b32_e32 v11, 24, v11
	v_cvt_f32_fp8_e32 v43, v43
	v_cvt_f32_fp8_e32 v46, v46
	v_mul_f32_e32 v42, s43, v42
	v_cvt_f32_fp8_e32 v33, v33
	v_and_b32_e32 v44, 0xff, v12
	v_cvt_f32_fp8_e32 v11, v11
	v_lshrrev_b32_e32 v12, 24, v12
	v_bfe_u32 v49, v42, 16, 1
	v_mul_f32_e32 v33, s43, v33
	v_cvt_f32_fp8_e32 v44, v44
	v_mul_f32_e32 v43, s43, v43
	v_dual_mul_f32 v11, s43, v11 :: v_dual_mul_f32 v46, s43, v46
	s_delay_alu instid0(VALU_DEP_4)
	v_bfe_u32 v47, v33, 16, 1
	v_or_b32_e32 v48, 0x400000, v33
	v_cmp_u_f32_e64 s17, v33, v33
	v_mul_f32_e32 v44, s43, v44
	v_or_b32_e32 v50, 0x400000, v42
	v_add3_u32 v47, v47, v33, 0x7fff
	v_bfe_u32 v51, v43, 16, 1
	v_add3_u32 v49, v49, v42, 0x7fff
	v_cvt_f32_fp8_e32 v45, v45
	v_or_b32_e32 v52, 0x400000, v43
	s_wait_alu 0xf1ff
	v_cndmask_b32_e64 v33, v47, v48, s17
	v_cmp_u_f32_e64 s17, v42, v42
	v_bfe_u32 v53, v11, 16, 1
	v_add3_u32 v51, v51, v43, 0x7fff
	v_cvt_f32_fp8_e32 v12, v12
	v_mul_f32_e32 v45, s43, v45
	s_wait_alu 0xf1ff
	v_cndmask_b32_e64 v42, v49, v50, s17
	v_cmp_u_f32_e64 s17, v43, v43
	v_or_b32_e32 v54, 0x400000, v11
	v_bfe_u32 v55, v44, 16, 1
	v_add3_u32 v53, v53, v11, 0x7fff
	v_mul_f32_e32 v12, s43, v12
	s_wait_alu 0xf1ff
	v_cndmask_b32_e64 v43, v51, v52, s17
	v_cmp_u_f32_e64 s17, v11, v11
	v_or_b32_e32 v56, 0x400000, v44
	v_bfe_u32 v57, v45, 16, 1
	v_add3_u32 v55, v55, v44, 0x7fff
	v_or_b32_e32 v58, 0x400000, v45
	s_wait_alu 0xf1ff
	v_cndmask_b32_e64 v11, v53, v54, s17
	v_cmp_u_f32_e64 s17, v44, v44
	v_bfe_u32 v59, v46, 16, 1
	v_add3_u32 v57, v57, v45, 0x7fff
	v_or_b32_e32 v60, 0x400000, v46
	v_bfe_u32 v61, v12, 16, 1
	s_wait_alu 0xf1ff
	v_cndmask_b32_e64 v47, v55, v56, s17
	v_cmp_u_f32_e64 s17, v45, v45
	v_add3_u32 v59, v59, v46, 0x7fff
	v_or_b32_e32 v62, 0x400000, v12
	v_add3_u32 v61, v61, v12, 0x7fff
	v_lshrrev_b32_e32 v45, 16, v33
	s_wait_alu 0xf1ff
	v_cndmask_b32_e64 v48, v57, v58, s17
	v_cmp_u_f32_e64 s17, v46, v46
	v_lshrrev_b32_e32 v46, 16, v42
	v_lshrrev_b32_e32 v43, 16, v43
	;; [unrolled: 1-line block ×4, first 2 shown]
	s_wait_alu 0xf1ff
	v_cndmask_b32_e64 v49, v59, v60, s17
	v_cmp_u_f32_e64 s17, v12, v12
	v_lshrrev_b32_e32 v42, 16, v48
	s_delay_alu instid0(VALU_DEP_3) | instskip(SKIP_1) | instid1(VALU_DEP_3)
	v_lshrrev_b32_e32 v11, 16, v49
	s_wait_alu 0xf1ff
	v_cndmask_b32_e64 v12, v61, v62, s17
	s_delay_alu instid0(VALU_DEP_1)
	v_lshrrev_b32_e32 v12, 16, v12
	s_and_saveexec_b32 s17, s0
	s_cbranch_execz .LBB315_40
; %bb.50:                               ;   in Loop: Header=BB315_43 Depth=1
	v_add_nc_u32_e32 v47, 1, v16
	v_cmp_gt_i32_e64 s0, s34, v16
	v_add_nc_u32_e32 v48, 2, v16
	v_add_nc_u32_e32 v49, 3, v16
	s_wait_alu 0xf1ff
	s_delay_alu instid0(VALU_DEP_3) | instskip(SKIP_3) | instid1(VALU_DEP_2)
	v_cndmask_b32_e64 v45, 0, v45, s0
	v_cmp_gt_i32_e64 s0, s34, v47
	v_add_nc_u32_e32 v47, 4, v16
	s_wait_alu 0xf1ff
	v_cndmask_b32_e64 v46, 0, v46, s0
	v_cmp_gt_i32_e64 s0, s34, v48
	v_add_nc_u32_e32 v48, 5, v16
	s_wait_alu 0xf1ff
	s_delay_alu instid0(VALU_DEP_2) | instskip(SKIP_3) | instid1(VALU_DEP_2)
	v_cndmask_b32_e64 v43, 0, v43, s0
	v_cmp_gt_i32_e64 s0, s34, v49
	v_add_nc_u32_e32 v49, 6, v16
	s_wait_alu 0xf1ff
	v_cndmask_b32_e64 v44, 0, v44, s0
	v_cmp_gt_i32_e64 s0, s34, v47
	v_add_nc_u32_e32 v47, 7, v16
	s_wait_alu 0xf1ff
	s_delay_alu instid0(VALU_DEP_2) | instskip(SKIP_2) | instid1(VALU_DEP_1)
	v_cndmask_b32_e64 v33, 0, v33, s0
	v_cmp_gt_i32_e64 s0, s34, v48
	s_wait_alu 0xf1ff
	v_cndmask_b32_e64 v42, 0, v42, s0
	v_cmp_gt_i32_e64 s0, s34, v49
	s_wait_alu 0xf1ff
	s_delay_alu instid0(VALU_DEP_1) | instskip(SKIP_2) | instid1(VALU_DEP_1)
	v_cndmask_b32_e64 v11, 0, v11, s0
	v_cmp_gt_i32_e64 s0, s34, v47
	s_wait_alu 0xf1ff
	v_cndmask_b32_e64 v12, 0, v12, s0
	s_branch .LBB315_40
.LBB315_51:
	s_or_b32 exec_lo, exec_lo, s30
.LBB315_52:
	s_delay_alu instid0(SALU_CYCLE_1)
	s_or_b32 exec_lo, exec_lo, s27
	s_movk_i32 s0, 0x140
	v_and_b32_e32 v2, 0x3c0, v0
	s_wait_alu 0xfffe
	v_mad_u32_u24 v1, v15, s0, 0xc0
	s_mov_b32 s0, exec_lo
	s_wait_loadcnt 0x0
	s_wait_storecnt 0x0
	s_barrier_signal -1
	s_barrier_wait -1
	global_inv scope:SCOPE_SE
	v_cmpx_eq_u32_e32 64, v2
	s_cbranch_execz .LBB315_55
; %bb.53:
	v_add_nc_u32_e32 v2, 0xfffffd80, v1
	v_cmp_gt_u32_e32 vcc_lo, 0x50, v23
	s_delay_alu instid0(VALU_DEP_2)
	v_lshl_add_u32 v3, v18, 2, v2
	ds_store_2addr_b32 v3, v22, v21 offset1:32
	s_and_b32 exec_lo, exec_lo, vcc_lo
; %bb.54:
	v_lshl_add_u32 v2, v23, 2, v2
	ds_store_b32 v2, v20
.LBB315_55:
	s_wait_alu 0xfffe
	s_or_b32 exec_lo, exec_lo, s0
	v_lshl_add_u32 v2, v18, 2, v1
	s_mov_b32 s0, exec_lo
	s_wait_loadcnt_dscnt 0x0
	s_barrier_signal -1
	s_barrier_wait -1
	global_inv scope:SCOPE_SE
	v_cmpx_gt_u32_e32 64, v0
	s_cbranch_execz .LBB315_59
; %bb.56:
	v_lshl_or_b32 v3, v0, 2, 0x80
	s_mov_b32 s1, exec_lo
	s_delay_alu instid0(VALU_DEP_1)
	v_add_nc_u32_e32 v4, v1, v3
	ds_load_b32 v3, v2
	ds_load_b32 v4, v4
	v_cmpx_gt_u32_e32 0x50, v23
	s_cbranch_execz .LBB315_58
; %bb.57:
	ds_load_b32 v5, v2 offset:256
	s_wait_dscnt 0x0
	v_add_f32_e32 v20, v20, v5
.LBB315_58:
	s_wait_alu 0xfffe
	s_or_b32 exec_lo, exec_lo, s1
	s_wait_dscnt 0x0
	v_dual_add_f32 v22, v22, v3 :: v_dual_add_f32 v21, v21, v4
.LBB315_59:
	s_wait_alu 0xfffe
	s_or_b32 exec_lo, exec_lo, s0
	v_and_b32_e32 v3, 0x3e0, v0
	s_mov_b32 s0, exec_lo
	s_wait_loadcnt 0x0
	s_barrier_signal -1
	s_barrier_wait -1
	global_inv scope:SCOPE_SE
	v_cmpx_eq_u32_e32 32, v3
	s_cbranch_execz .LBB315_62
; %bb.60:
	v_lshl_add_u32 v3, v18, 2, 0xc0
	v_cmp_gt_u32_e32 vcc_lo, 0x50, v23
	ds_store_b32 v3, v22
	ds_store_b32 v19, v21
	s_and_b32 exec_lo, exec_lo, vcc_lo
; %bb.61:
	ds_store_b32 v3, v20 offset:256
.LBB315_62:
	s_wait_alu 0xfffe
	s_or_b32 exec_lo, exec_lo, s0
	v_cmp_gt_u32_e32 vcc_lo, 32, v0
	v_or_b32_e32 v3, 64, v0
	s_wait_loadcnt_dscnt 0x0
	s_barrier_signal -1
	s_barrier_wait -1
	global_inv scope:SCOPE_SE
	s_and_saveexec_b32 s1, vcc_lo
	s_cbranch_execz .LBB315_66
; %bb.63:
	v_lshl_add_u32 v4, v0, 2, v1
	s_mov_b32 s2, exec_lo
	ds_load_b32 v1, v2
	ds_load_b32 v2, v4 offset:128
	v_cmpx_gt_u32_e32 0x50, v3
	s_cbranch_execz .LBB315_65
; %bb.64:
	ds_load_b32 v4, v4 offset:256
	s_wait_dscnt 0x0
	v_add_f32_e32 v20, v20, v4
.LBB315_65:
	s_wait_alu 0xfffe
	s_or_b32 exec_lo, exec_lo, s2
	s_wait_dscnt 0x0
	v_dual_add_f32 v22, v22, v1 :: v_dual_add_f32 v21, v21, v2
.LBB315_66:
	s_wait_alu 0xfffe
	s_or_b32 exec_lo, exec_lo, s1
	s_wait_loadcnt 0x0
	s_barrier_signal -1
	s_barrier_wait -1
	global_inv scope:SCOPE_SE
	s_and_saveexec_b32 s0, vcc_lo
	s_cbranch_execz .LBB315_69
; %bb.67:
	v_bfe_u32 v1, v22, 16, 1
	v_bfe_u32 v2, v21, 16, 1
	v_or_b32_e32 v4, 0x400000, v22
	v_cmp_u_f32_e32 vcc_lo, v22, v22
	s_mul_i32 s0, s26, 0x50
	v_add3_u32 v1, v1, v22, 0x7fff
	s_mul_i32 s2, s21, s20
	s_wait_alu 0xfffe
	s_ashr_i32 s1, s0, 31
	v_add3_u32 v2, v2, v21, 0x7fff
	v_or_b32_e32 v5, 0x400000, v21
	s_wait_alu 0xfffd
	v_cndmask_b32_e32 v1, v1, v4, vcc_lo
	v_cmp_u_f32_e32 vcc_lo, v21, v21
	s_ashr_i32 s3, s2, 31
	s_wait_alu 0xfffe
	s_lshl_b64 s[0:1], s[0:1], 1
	s_lshl_b64 s[2:3], s[2:3], 1
	s_wait_kmcnt 0x0
	s_wait_alu 0xfffe
	s_add_nc_u64 s[0:1], s[24:25], s[0:1]
	v_lshlrev_b32_e32 v0, 1, v0
	s_wait_alu 0xfffd
	v_cndmask_b32_e32 v2, v2, v5, vcc_lo
	v_cmp_gt_u32_e32 vcc_lo, 0x50, v3
	s_wait_alu 0xfffe
	s_add_nc_u64 s[0:1], s[0:1], s[2:3]
	s_mul_i32 s2, s33, 0xa0
	s_mov_b32 s3, 0
	s_wait_alu 0xfffe
	s_add_nc_u64 s[0:1], s[0:1], s[2:3]
	s_clause 0x1
	global_store_d16_hi_b16 v0, v1, s[0:1]
	global_store_d16_hi_b16 v0, v2, s[0:1] offset:64
	s_and_b32 exec_lo, exec_lo, vcc_lo
	s_cbranch_execz .LBB315_69
; %bb.68:
	v_bfe_u32 v1, v20, 16, 1
	v_or_b32_e32 v2, 0x400000, v20
	v_cmp_u_f32_e32 vcc_lo, v20, v20
	s_wait_alu 0xfffe
	v_add_co_u32 v0, s0, s0, v0
	v_add3_u32 v3, v1, v20, 0x7fff
	s_wait_alu 0xf1ff
	v_add_co_ci_u32_e64 v1, null, s1, 0, s0
	s_wait_alu 0xfffd
	s_delay_alu instid0(VALU_DEP_2)
	v_cndmask_b32_e32 v2, v3, v2, vcc_lo
	global_store_d16_hi_b16 v[0:1], v2, off offset:128
.LBB315_69:
	s_nop 0
	s_sendmsg sendmsg(MSG_DEALLOC_VGPRS)
	s_endpgm
	.section	.rodata,"a",@progbits
	.p2align	6, 0x0
	.amdhsa_kernel _ZN4vllm25paged_attention_v2_kernelI14__hip_bfloat16hLi80ELi8ELi128ELNS_18Fp8KVCacheDataTypeE1ELb1ELi512EEEvPfS3_PT_PKS4_PKT0_SA_ifPKiSC_iPKfiiiSE_SE_iiiii
		.amdhsa_group_segment_fixed_size 192
		.amdhsa_private_segment_fixed_size 0
		.amdhsa_kernarg_size 400
		.amdhsa_user_sgpr_count 2
		.amdhsa_user_sgpr_dispatch_ptr 0
		.amdhsa_user_sgpr_queue_ptr 0
		.amdhsa_user_sgpr_kernarg_segment_ptr 1
		.amdhsa_user_sgpr_dispatch_id 0
		.amdhsa_user_sgpr_private_segment_size 0
		.amdhsa_wavefront_size32 1
		.amdhsa_uses_dynamic_stack 0
		.amdhsa_enable_private_segment 0
		.amdhsa_system_sgpr_workgroup_id_x 1
		.amdhsa_system_sgpr_workgroup_id_y 1
		.amdhsa_system_sgpr_workgroup_id_z 1
		.amdhsa_system_sgpr_workgroup_info 0
		.amdhsa_system_vgpr_workitem_id 0
		.amdhsa_next_free_vgpr 100
		.amdhsa_next_free_sgpr 45
		.amdhsa_reserve_vcc 1
		.amdhsa_float_round_mode_32 0
		.amdhsa_float_round_mode_16_64 0
		.amdhsa_float_denorm_mode_32 3
		.amdhsa_float_denorm_mode_16_64 3
		.amdhsa_fp16_overflow 0
		.amdhsa_workgroup_processor_mode 1
		.amdhsa_memory_ordered 1
		.amdhsa_forward_progress 1
		.amdhsa_inst_pref_size 88
		.amdhsa_round_robin_scheduling 0
		.amdhsa_exception_fp_ieee_invalid_op 0
		.amdhsa_exception_fp_denorm_src 0
		.amdhsa_exception_fp_ieee_div_zero 0
		.amdhsa_exception_fp_ieee_overflow 0
		.amdhsa_exception_fp_ieee_underflow 0
		.amdhsa_exception_fp_ieee_inexact 0
		.amdhsa_exception_int_div_zero 0
	.end_amdhsa_kernel
	.section	.text._ZN4vllm25paged_attention_v2_kernelI14__hip_bfloat16hLi80ELi8ELi128ELNS_18Fp8KVCacheDataTypeE1ELb1ELi512EEEvPfS3_PT_PKS4_PKT0_SA_ifPKiSC_iPKfiiiSE_SE_iiiii,"axG",@progbits,_ZN4vllm25paged_attention_v2_kernelI14__hip_bfloat16hLi80ELi8ELi128ELNS_18Fp8KVCacheDataTypeE1ELb1ELi512EEEvPfS3_PT_PKS4_PKT0_SA_ifPKiSC_iPKfiiiSE_SE_iiiii,comdat
.Lfunc_end315:
	.size	_ZN4vllm25paged_attention_v2_kernelI14__hip_bfloat16hLi80ELi8ELi128ELNS_18Fp8KVCacheDataTypeE1ELb1ELi512EEEvPfS3_PT_PKS4_PKT0_SA_ifPKiSC_iPKfiiiSE_SE_iiiii, .Lfunc_end315-_ZN4vllm25paged_attention_v2_kernelI14__hip_bfloat16hLi80ELi8ELi128ELNS_18Fp8KVCacheDataTypeE1ELb1ELi512EEEvPfS3_PT_PKS4_PKT0_SA_ifPKiSC_iPKfiiiSE_SE_iiiii
                                        ; -- End function
	.set _ZN4vllm25paged_attention_v2_kernelI14__hip_bfloat16hLi80ELi8ELi128ELNS_18Fp8KVCacheDataTypeE1ELb1ELi512EEEvPfS3_PT_PKS4_PKT0_SA_ifPKiSC_iPKfiiiSE_SE_iiiii.num_vgpr, 100
	.set _ZN4vllm25paged_attention_v2_kernelI14__hip_bfloat16hLi80ELi8ELi128ELNS_18Fp8KVCacheDataTypeE1ELb1ELi512EEEvPfS3_PT_PKS4_PKT0_SA_ifPKiSC_iPKfiiiSE_SE_iiiii.num_agpr, 0
	.set _ZN4vllm25paged_attention_v2_kernelI14__hip_bfloat16hLi80ELi8ELi128ELNS_18Fp8KVCacheDataTypeE1ELb1ELi512EEEvPfS3_PT_PKS4_PKT0_SA_ifPKiSC_iPKfiiiSE_SE_iiiii.numbered_sgpr, 45
	.set _ZN4vllm25paged_attention_v2_kernelI14__hip_bfloat16hLi80ELi8ELi128ELNS_18Fp8KVCacheDataTypeE1ELb1ELi512EEEvPfS3_PT_PKS4_PKT0_SA_ifPKiSC_iPKfiiiSE_SE_iiiii.num_named_barrier, 0
	.set _ZN4vllm25paged_attention_v2_kernelI14__hip_bfloat16hLi80ELi8ELi128ELNS_18Fp8KVCacheDataTypeE1ELb1ELi512EEEvPfS3_PT_PKS4_PKT0_SA_ifPKiSC_iPKfiiiSE_SE_iiiii.private_seg_size, 0
	.set _ZN4vllm25paged_attention_v2_kernelI14__hip_bfloat16hLi80ELi8ELi128ELNS_18Fp8KVCacheDataTypeE1ELb1ELi512EEEvPfS3_PT_PKS4_PKT0_SA_ifPKiSC_iPKfiiiSE_SE_iiiii.uses_vcc, 1
	.set _ZN4vllm25paged_attention_v2_kernelI14__hip_bfloat16hLi80ELi8ELi128ELNS_18Fp8KVCacheDataTypeE1ELb1ELi512EEEvPfS3_PT_PKS4_PKT0_SA_ifPKiSC_iPKfiiiSE_SE_iiiii.uses_flat_scratch, 0
	.set _ZN4vllm25paged_attention_v2_kernelI14__hip_bfloat16hLi80ELi8ELi128ELNS_18Fp8KVCacheDataTypeE1ELb1ELi512EEEvPfS3_PT_PKS4_PKT0_SA_ifPKiSC_iPKfiiiSE_SE_iiiii.has_dyn_sized_stack, 0
	.set _ZN4vllm25paged_attention_v2_kernelI14__hip_bfloat16hLi80ELi8ELi128ELNS_18Fp8KVCacheDataTypeE1ELb1ELi512EEEvPfS3_PT_PKS4_PKT0_SA_ifPKiSC_iPKfiiiSE_SE_iiiii.has_recursion, 0
	.set _ZN4vllm25paged_attention_v2_kernelI14__hip_bfloat16hLi80ELi8ELi128ELNS_18Fp8KVCacheDataTypeE1ELb1ELi512EEEvPfS3_PT_PKS4_PKT0_SA_ifPKiSC_iPKfiiiSE_SE_iiiii.has_indirect_call, 0
	.section	.AMDGPU.csdata,"",@progbits
; Kernel info:
; codeLenInByte = 11208
; TotalNumSgprs: 47
; NumVgprs: 100
; ScratchSize: 0
; MemoryBound: 0
; FloatMode: 240
; IeeeMode: 1
; LDSByteSize: 192 bytes/workgroup (compile time only)
; SGPRBlocks: 0
; VGPRBlocks: 12
; NumSGPRsForWavesPerEU: 47
; NumVGPRsForWavesPerEU: 100
; Occupancy: 12
; WaveLimiterHint : 1
; COMPUTE_PGM_RSRC2:SCRATCH_EN: 0
; COMPUTE_PGM_RSRC2:USER_SGPR: 2
; COMPUTE_PGM_RSRC2:TRAP_HANDLER: 0
; COMPUTE_PGM_RSRC2:TGID_X_EN: 1
; COMPUTE_PGM_RSRC2:TGID_Y_EN: 1
; COMPUTE_PGM_RSRC2:TGID_Z_EN: 1
; COMPUTE_PGM_RSRC2:TIDIG_COMP_CNT: 0
	.section	.text._ZN4vllm25paged_attention_v2_kernelI14__hip_bfloat16hLi96ELi8ELi128ELNS_18Fp8KVCacheDataTypeE1ELb1ELi512EEEvPfS3_PT_PKS4_PKT0_SA_ifPKiSC_iPKfiiiSE_SE_iiiii,"axG",@progbits,_ZN4vllm25paged_attention_v2_kernelI14__hip_bfloat16hLi96ELi8ELi128ELNS_18Fp8KVCacheDataTypeE1ELb1ELi512EEEvPfS3_PT_PKS4_PKT0_SA_ifPKiSC_iPKfiiiSE_SE_iiiii,comdat
	.protected	_ZN4vllm25paged_attention_v2_kernelI14__hip_bfloat16hLi96ELi8ELi128ELNS_18Fp8KVCacheDataTypeE1ELb1ELi512EEEvPfS3_PT_PKS4_PKT0_SA_ifPKiSC_iPKfiiiSE_SE_iiiii ; -- Begin function _ZN4vllm25paged_attention_v2_kernelI14__hip_bfloat16hLi96ELi8ELi128ELNS_18Fp8KVCacheDataTypeE1ELb1ELi512EEEvPfS3_PT_PKS4_PKT0_SA_ifPKiSC_iPKfiiiSE_SE_iiiii
	.globl	_ZN4vllm25paged_attention_v2_kernelI14__hip_bfloat16hLi96ELi8ELi128ELNS_18Fp8KVCacheDataTypeE1ELb1ELi512EEEvPfS3_PT_PKS4_PKT0_SA_ifPKiSC_iPKfiiiSE_SE_iiiii
	.p2align	8
	.type	_ZN4vllm25paged_attention_v2_kernelI14__hip_bfloat16hLi96ELi8ELi128ELNS_18Fp8KVCacheDataTypeE1ELb1ELi512EEEvPfS3_PT_PKS4_PKT0_SA_ifPKiSC_iPKfiiiSE_SE_iiiii,@function
_ZN4vllm25paged_attention_v2_kernelI14__hip_bfloat16hLi96ELi8ELi128ELNS_18Fp8KVCacheDataTypeE1ELb1ELi512EEEvPfS3_PT_PKS4_PKT0_SA_ifPKiSC_iPKfiiiSE_SE_iiiii: ; @_ZN4vllm25paged_attention_v2_kernelI14__hip_bfloat16hLi96ELi8ELi128ELNS_18Fp8KVCacheDataTypeE1ELb1ELi512EEEvPfS3_PT_PKS4_PKT0_SA_ifPKiSC_iPKfiiiSE_SE_iiiii
; %bb.0:
	s_load_b64 s[2:3], s[0:1], 0x40
	s_and_b32 s37, ttmp7, 0xffff
	s_lshr_b32 s33, ttmp7, 16
	s_lshl_b32 s4, s37, 2
	s_lshl_b32 s39, s33, 9
	s_wait_kmcnt 0x0
	s_load_b32 s36, s[2:3], s4 offset:0x0
	s_wait_kmcnt 0x0
	s_cmp_ge_i32 s39, s36
	s_cbranch_scc1 .LBB316_60
; %bb.1:
	s_clause 0x1
	s_load_b32 s38, s[0:1], 0x90
	s_load_b64 s[34:35], s[0:1], 0x30
	s_wait_kmcnt 0x0
	s_abs_i32 s5, s38
	s_abs_i32 s2, s34
	s_delay_alu instid0(SALU_CYCLE_1) | instskip(SKIP_1) | instid1(SALU_CYCLE_2)
	s_cvt_f32_u32 s3, s2
	s_sub_co_i32 s4, 0, s2
	v_rcp_iflag_f32_e32 v1, s3
	s_delay_alu instid0(TRANS32_DEP_1) | instskip(SKIP_2) | instid1(SALU_CYCLE_2)
	v_readfirstlane_b32 s3, v1
	s_mul_f32 s3, s3, 0x4f7ffffe
	s_wait_alu 0xfffe
	s_cvt_u32_f32 s3, s3
	s_wait_alu 0xfffe
	s_delay_alu instid0(SALU_CYCLE_2) | instskip(NEXT) | instid1(SALU_CYCLE_1)
	s_mul_i32 s4, s4, s3
	s_mul_hi_u32 s4, s3, s4
	s_delay_alu instid0(SALU_CYCLE_1)
	s_add_co_i32 s3, s3, s4
	s_xor_b32 s4, s38, s34
	s_wait_alu 0xfffe
	s_mul_hi_u32 s3, s5, s3
	s_ashr_i32 s4, s4, 31
	s_wait_alu 0xfffe
	s_mul_i32 s6, s3, s2
	s_delay_alu instid0(SALU_CYCLE_1)
	s_sub_co_i32 s5, s5, s6
	s_add_co_i32 s6, s3, 1
	s_sub_co_i32 s7, s5, s2
	s_cmp_ge_u32 s5, s2
	s_cselect_b32 s3, s6, s3
	s_cselect_b32 s5, s7, s5
	s_wait_alu 0xfffe
	s_add_co_i32 s6, s3, 1
	s_cmp_ge_u32 s5, s2
	s_cselect_b32 s2, s6, s3
	s_load_b64 s[6:7], s[0:1], 0x50
	s_xor_b32 s2, s2, s4
	s_mov_b32 s3, 0
	s_wait_alu 0xfffe
	s_sub_co_i32 s9, s2, s4
	s_mov_b32 s41, s3
	s_abs_i32 s8, s9
	s_delay_alu instid0(SALU_CYCLE_1) | instskip(SKIP_1) | instid1(SALU_CYCLE_2)
	s_cvt_f32_u32 s2, s8
	s_wait_alu 0xfffe
	v_rcp_iflag_f32_e32 v1, s2
	s_delay_alu instid0(TRANS32_DEP_1) | instskip(SKIP_2) | instid1(SALU_CYCLE_2)
	v_readfirstlane_b32 s2, v1
	s_mul_f32 s2, s2, 0x4f7ffffe
	s_wait_alu 0xfffe
	s_cvt_u32_f32 s4, s2
	s_sub_co_i32 s2, 0, s8
	s_wait_alu 0xfffe
	s_delay_alu instid0(SALU_CYCLE_1)
	s_mul_i32 s2, s2, s4
	s_wait_alu 0xfffe
	s_mul_hi_u32 s5, s4, s2
	s_abs_i32 s2, ttmp9
	s_add_co_i32 s4, s4, s5
	s_mov_b32 s5, s3
	s_wait_kmcnt 0x0
	s_cmp_eq_u64 s[6:7], 0
	s_cbranch_scc1 .LBB316_3
; %bb.2:
	s_mov_b32 s10, ttmp9
	s_ashr_i32 s11, ttmp9, 31
	s_delay_alu instid0(SALU_CYCLE_1) | instskip(NEXT) | instid1(SALU_CYCLE_1)
	s_lshl_b64 s[10:11], s[10:11], 2
	s_add_nc_u64 s[6:7], s[6:7], s[10:11]
	s_load_b32 s41, s[6:7], 0x0
.LBB316_3:
	s_load_b96 s[20:22], s[0:1], 0x58
	v_and_b32_e32 v1, 3, v0
	s_mul_u64 s[4:5], s[2:3], s[4:5]
	s_ashr_i32 s3, ttmp9, 31
	s_ashr_i32 s4, s9, 31
	s_mul_i32 s24, ttmp9, 0x60
	s_mov_b32 s6, exec_lo
	v_cmpx_gt_u32_e32 48, v0
	s_cbranch_execz .LBB316_5
; %bb.4:
	s_load_b64 s[10:11], s[0:1], 0x18
	s_wait_kmcnt 0x0
	s_mul_i32 s12, s20, s37
	s_ashr_i32 s25, s24, 31
	s_ashr_i32 s13, s12, 31
	v_lshlrev_b32_e32 v2, 2, v0
	s_lshl_b64 s[12:13], s[12:13], 1
	v_and_b32_e32 v3, 0x3fc, v0
	s_delay_alu instid0(VALU_DEP_1) | instskip(SKIP_2) | instid1(SALU_CYCLE_1)
	v_mad_u32_u24 v3, v1, 48, v3
	s_add_nc_u64 s[10:11], s[10:11], s[12:13]
	s_lshl_b64 s[12:13], s[24:25], 1
	s_add_nc_u64 s[10:11], s[10:11], s[12:13]
	global_load_b32 v2, v2, s[10:11]
	s_wait_loadcnt 0x0
	ds_store_b32 v3, v2
.LBB316_5:
	s_or_b32 exec_lo, exec_lo, s6
	s_clause 0x1
	s_load_b128 s[16:19], s[0:1], 0x78
	s_load_b32 s7, s[0:1], 0x88
	s_mul_i32 s6, s5, s8
	s_xor_b32 s3, s3, s4
	s_sub_co_i32 s2, s2, s6
	s_add_co_i32 s4, s5, 1
	s_wait_alu 0xfffe
	s_sub_co_i32 s6, s2, s8
	s_cmp_ge_u32 s2, s8
	s_mov_b32 s9, -1
	s_cselect_b32 s4, s4, s5
	s_cselect_b32 s2, s6, s2
	s_add_co_i32 s5, s4, 1
	s_wait_alu 0xfffe
	s_cmp_ge_u32 s2, s8
	s_wait_dscnt 0x0
	s_cselect_b32 s2, s5, s4
	s_add_co_i32 s8, s36, -1
	s_wait_alu 0xfffe
	s_xor_b32 s2, s2, s3
	s_barrier_signal -1
	s_wait_alu 0xfffe
	s_sub_co_i32 s6, s2, s3
	s_barrier_wait -1
	s_wait_kmcnt 0x0
	s_abs_i32 s20, s19
	global_inv scope:SCOPE_SE
	s_cvt_f32_u32 s4, s20
                                        ; implicit-def: $sgpr25
	s_delay_alu instid0(SALU_CYCLE_3) | instskip(NEXT) | instid1(TRANS32_DEP_1)
	v_rcp_iflag_f32_e32 v2, s4
	v_readfirstlane_b32 s4, v2
	s_mul_f32 s2, s4, 0x4f7ffffe
	s_wait_alu 0xfffe
	s_delay_alu instid0(SALU_CYCLE_2) | instskip(SKIP_2) | instid1(SALU_CYCLE_1)
	s_cvt_u32_f32 s4, s2
	s_sub_co_i32 s2, 0, s20
	s_wait_alu 0xfffe
	s_mul_i32 s3, s2, s4
	s_abs_i32 s2, s8
	s_wait_alu 0xfffe
	s_mul_hi_u32 s5, s4, s3
	s_mov_b32 s3, 0
	s_wait_alu 0xfffe
	s_add_co_i32 s26, s4, s5
	s_cmp_lt_i32 s7, 0
	s_mov_b32 s27, s3
	s_cbranch_scc0 .LBB316_7
; %bb.6:
	s_mul_i32 s4, s16, s34
	s_mov_b32 s9, s3
	s_wait_alu 0xfffe
	s_add_co_i32 s4, s6, s4
	s_wait_alu 0xfffe
	s_mul_i32 s4, s4, s7
	s_wait_alu 0xfffe
	s_sub_co_i32 s25, 1, s4
.LBB316_7:
	s_mul_u64 s[4:5], s[2:3], s[26:27]
	s_ashr_i32 s3, s8, 31
	s_and_not1_b32 vcc_lo, exec_lo, s9
	s_ashr_i32 s19, s19, 31
	s_cbranch_vccnz .LBB316_9
; %bb.8:
	s_mul_i32 s4, s38, s16
	s_wait_alu 0xfffe
	s_add_co_i32 s4, s4, ttmp9
	s_wait_alu 0xfffe
	s_mul_i32 s4, s4, s7
	s_wait_alu 0xfffe
	s_add_co_i32 s25, s4, 1
.LBB316_9:
	s_clause 0x3
	s_load_b32 s4, s[0:1], 0x48
	s_load_b64 s[28:29], s[0:1], 0x38
	s_load_b32 s16, s[0:1], 0x98
	s_load_b128 s[12:15], s[0:1], 0x68
	s_mul_i32 s7, s5, s20
	s_xor_b32 s3, s3, s19
	s_sub_co_i32 s2, s2, s7
	s_add_co_i32 s8, s5, 1
	v_lshrrev_b32_e32 v15, 5, v0
	v_mov_b32_e32 v13, 0xff7fffff
	v_mbcnt_lo_u32_b32 v10, -1, 0
	s_mul_i32 s22, s6, s22
	s_delay_alu instid0(VALU_DEP_3)
	v_lshl_add_u32 v16, v15, 3, s39
	s_wait_kmcnt 0x0
	s_mul_i32 s30, s4, s37
	s_wait_alu 0xfffe
	s_sub_co_i32 s4, s2, s20
	s_ashr_i32 s31, s30, 31
	s_cmp_ge_u32 s2, s20
	s_cselect_b32 s5, s8, s5
	s_wait_alu 0xfffe
	s_cselect_b32 s2, s4, s2
	s_add_co_i32 s4, s5, 1
	s_wait_alu 0xfffe
	s_cmp_ge_u32 s2, s20
	s_cselect_b32 s2, s4, s5
	s_add_co_i32 s4, s36, 7
	s_lshl_b32 s42, s33, 6
	s_wait_alu 0xfffe
	s_ashr_i32 s5, s4, 31
	v_or_b32_e32 v17, s42, v15
	s_wait_alu 0xfffe
	s_lshr_b32 s5, s5, 29
	s_wait_alu 0xfffe
	s_add_co_i32 s4, s4, s5
	s_add_co_i32 s5, s42, 64
	s_wait_alu 0xfffe
	s_ashr_i32 s34, s4, 3
	s_xor_b32 s4, s2, s3
	s_min_i32 s27, s5, s34
	v_lshlrev_b32_e32 v9, 2, v17
	v_cmp_gt_i32_e64 s2, s27, v17
	s_wait_alu 0xfffe
	s_sub_co_i32 s40, s4, s3
	s_and_saveexec_b32 s43, s2
	s_cbranch_execz .LBB316_21
; %bb.10:
	s_sub_co_i32 s44, s40, s17
	s_ashr_i32 s23, s22, 31
	s_cmp_neq_f32 s41, 0
	s_load_b64 s[4:5], s[0:1], 0x20
	v_bfe_u32 v11, v0, 2, 3
	v_dual_mov_b32 v20, 0xff7fffff :: v_dual_lshlrev_b32 v3, 1, v1
	s_cselect_b32 vcc_lo, -1, 0
	s_abs_i32 s45, s18
	v_mul_u32_u24_e32 v12, 48, v1
	s_cvt_f32_u32 s3, s45
	v_lshlrev_b32_e32 v4, 2, v11
	v_subrev_nc_u32_e32 v13, s36, v11
	s_lshl_b64 s[6:7], s[30:31], 2
	s_wait_alu 0xfffe
	v_rcp_iflag_f32_e32 v2, s3
	v_cmp_eq_u32_e64 s3, 0, v1
	v_lshlrev_b32_e32 v1, 4, v11
	v_dual_mov_b32 v23, v17 :: v_dual_add_nc_u32 v18, 1, v13
	v_mov_b32_e32 v13, 0xff7fffff
	s_add_nc_u64 s[6:7], s[28:29], s[6:7]
	s_sub_co_i32 s9, 0, s45
	v_lshl_add_u32 v14, v15, 3, s39
	s_wait_kmcnt 0x0
	s_add_nc_u64 s[4:5], s[4:5], s[22:23]
	v_readfirstlane_b32 s8, v2
	s_wait_alu 0xfffe
	v_add_co_u32 v1, s4, s4, v1
	v_lshl_or_b32 v2, v15, 5, v4
	s_wait_alu 0xf1ff
	v_add_co_ci_u32_e64 v4, null, s5, 0, s4
	s_mul_f32 s8, s8, 0x4f7ffffe
	v_add_co_u32 v5, s4, v1, v3
	s_wait_alu 0xf1ff
	v_add_co_ci_u32_e64 v6, null, 0, v4, s4
	s_cvt_u32_f32 s5, s8
	v_add_co_u32 v7, s4, s6, v9
	s_wait_alu 0xf1ff
	v_add_co_ci_u32_e64 v8, null, s7, 0, s4
	s_wait_alu 0xfffe
	s_mul_i32 s9, s9, s5
	v_add_nc_u32_e32 v19, 0xe0, v2
	v_xor_b32_e32 v21, 2, v10
	v_xor_b32_e32 v22, 1, v10
	s_mul_hi_u32 s4, s5, s9
	s_mov_b32 s46, 0
	s_mov_b32 s23, s21
	s_wait_alu 0xfffe
	s_add_co_i32 s47, s5, s4
	s_branch .LBB316_13
.LBB316_11:                             ;   in Loop: Header=BB316_13 Depth=1
	s_wait_alu 0xfffe
	s_or_b32 exec_lo, exec_lo, s5
.LBB316_12:                             ;   in Loop: Header=BB316_13 Depth=1
	s_delay_alu instid0(SALU_CYCLE_1) | instskip(SKIP_4) | instid1(VALU_DEP_3)
	s_or_b32 exec_lo, exec_lo, s48
	v_add_nc_u32_e32 v23, 4, v23
	v_add_co_u32 v7, s5, v7, 16
	s_wait_alu 0xf1ff
	v_add_co_ci_u32_e64 v8, null, 0, v8, s5
	v_cmp_le_i32_e64 s4, s27, v23
	v_add_nc_u32_e32 v14, 32, v14
	v_add_nc_u32_e32 v19, 0x80, v19
	s_or_b32 s46, s4, s46
	s_wait_alu 0xfffe
	s_and_not1_b32 exec_lo, exec_lo, s46
	s_cbranch_execz .LBB316_20
.LBB316_13:                             ; =>This Inner Loop Header: Depth=1
	v_sub_nc_u32_e32 v1, 0, v14
	s_delay_alu instid0(VALU_DEP_1) | instskip(SKIP_1) | instid1(VALU_DEP_1)
	v_max_i32_e32 v1, v14, v1
	s_wait_dscnt 0x0
	v_mul_hi_u32 v2, v1, s26
	s_delay_alu instid0(VALU_DEP_1) | instskip(NEXT) | instid1(VALU_DEP_1)
	v_mul_lo_u32 v3, v2, s20
	v_sub_nc_u32_e32 v1, v1, v3
	v_add_nc_u32_e32 v3, 1, v2
	s_delay_alu instid0(VALU_DEP_2) | instskip(SKIP_2) | instid1(VALU_DEP_1)
	v_subrev_nc_u32_e32 v4, s20, v1
	v_cmp_le_u32_e64 s4, s20, v1
	s_wait_alu 0xf1ff
	v_cndmask_b32_e64 v2, v2, v3, s4
	s_delay_alu instid0(VALU_DEP_3) | instskip(SKIP_1) | instid1(VALU_DEP_3)
	v_cndmask_b32_e64 v1, v1, v4, s4
	v_ashrrev_i32_e32 v3, 31, v14
	v_add_nc_u32_e32 v4, 1, v2
	s_delay_alu instid0(VALU_DEP_3) | instskip(NEXT) | instid1(VALU_DEP_3)
	v_cmp_le_u32_e64 s4, s20, v1
	v_xor_b32_e32 v3, s19, v3
	s_wait_alu 0xf1ff
	s_delay_alu instid0(VALU_DEP_2) | instskip(NEXT) | instid1(VALU_DEP_1)
	v_cndmask_b32_e64 v1, v2, v4, s4
	v_xor_b32_e32 v1, v1, v3
	s_delay_alu instid0(VALU_DEP_1) | instskip(NEXT) | instid1(VALU_DEP_1)
	v_sub_nc_u32_e32 v1, v1, v3
	v_add_nc_u32_e32 v2, s25, v1
	v_cmp_ge_i32_e64 s5, s44, v1
	s_delay_alu instid0(VALU_DEP_2) | instskip(NEXT) | instid1(VALU_DEP_1)
	v_sub_nc_u32_e32 v3, 0, v2
	v_max_i32_e32 v3, v2, v3
	v_ashrrev_i32_e32 v2, 31, v2
	s_delay_alu instid0(VALU_DEP_2) | instskip(NEXT) | instid1(VALU_DEP_1)
	v_mul_hi_u32 v4, v3, s47
	v_mul_lo_u32 v4, v4, s45
	s_delay_alu instid0(VALU_DEP_1) | instskip(NEXT) | instid1(VALU_DEP_1)
	v_sub_nc_u32_e32 v3, v3, v4
	v_subrev_nc_u32_e32 v4, s45, v3
	v_cmp_le_u32_e64 s4, s45, v3
	s_wait_alu 0xf1ff
	s_delay_alu instid0(VALU_DEP_1) | instskip(NEXT) | instid1(VALU_DEP_1)
	v_cndmask_b32_e64 v3, v3, v4, s4
	v_subrev_nc_u32_e32 v4, s45, v3
	v_cmp_le_u32_e64 s4, s45, v3
	s_wait_alu 0xf1ff
	s_delay_alu instid0(VALU_DEP_1) | instskip(NEXT) | instid1(VALU_DEP_1)
	v_cndmask_b32_e64 v3, v3, v4, s4
	v_xor_b32_e32 v3, v3, v2
	s_delay_alu instid0(VALU_DEP_1) | instskip(NEXT) | instid1(VALU_DEP_1)
	v_sub_nc_u32_e32 v2, v3, v2
	v_cmp_ne_u32_e64 s4, 0, v2
	s_and_b32 s4, s4, s5
	s_wait_alu 0xfffe
	s_and_saveexec_b32 s5, s4
	s_wait_alu 0xfffe
	s_xor_b32 s4, exec_lo, s5
	s_cbranch_execz .LBB316_17
; %bb.14:                               ;   in Loop: Header=BB316_13 Depth=1
	s_and_saveexec_b32 s5, s3
; %bb.15:                               ;   in Loop: Header=BB316_13 Depth=1
	ds_store_b32 v19, v20
; %bb.16:                               ;   in Loop: Header=BB316_13 Depth=1
	s_wait_alu 0xfffe
	s_or_b32 exec_lo, exec_lo, s5
.LBB316_17:                             ;   in Loop: Header=BB316_13 Depth=1
	s_wait_alu 0xfffe
	s_and_not1_saveexec_b32 s48, s4
	s_cbranch_execz .LBB316_12
; %bb.18:                               ;   in Loop: Header=BB316_13 Depth=1
	global_load_b32 v1, v[7:8], off
	s_wait_loadcnt 0x0
	v_mad_co_i64_i32 v[1:2], null, v1, s23, v[5:6]
	s_clause 0xb
	global_load_u16 v24, v[1:2], off
	global_load_u16 v25, v[1:2], off offset:8
	global_load_u16 v26, v[1:2], off offset:128
	;; [unrolled: 1-line block ×11, first 2 shown]
	ds_load_b128 v[36:39], v12
	ds_load_b128 v[40:43], v12 offset:16
	ds_load_b128 v[1:4], v12 offset:32
	s_load_b32 s4, s[12:13], 0x0
	s_wait_loadcnt 0xa
	v_and_b32_e32 v57, 0xff, v25
	v_lshrrev_b16 v25, 8, v25
	s_wait_loadcnt 0x8
	v_and_b32_e32 v59, 0xff, v27
	v_lshrrev_b16 v27, 8, v27
	s_wait_loadcnt 0x6
	v_and_b32_e32 v61, 0xff, v29
	v_and_b32_e32 v57, 0xffff, v57
	s_wait_loadcnt 0x4
	v_and_b32_e32 v63, 0xff, v31
	v_lshrrev_b16 v31, 8, v31
	v_and_b32_e32 v25, 0xffff, v25
	s_wait_loadcnt 0x2
	v_and_b32_e32 v65, 0xff, v33
	s_wait_loadcnt 0x0
	v_and_b32_e32 v67, 0xff, v35
	v_lshrrev_b16 v35, 8, v35
	v_cvt_f32_fp8_e32 v57, v57
	s_wait_dscnt 0x2
	v_lshlrev_b32_e32 v44, 16, v36
	v_and_b32_e32 v31, 0xffff, v31
	v_and_b32_e32 v63, 0xffff, v63
	v_and_b32_e32 v35, 0xffff, v35
	s_wait_kmcnt 0x0
	v_mul_f32_e32 v57, s4, v57
	v_cvt_f32_fp8_e32 v25, v25
	v_cvt_f32_fp8_e32 v31, v31
	v_lshlrev_b32_e32 v46, 16, v38
	v_cvt_f32_fp8_e32 v35, v35
	v_and_b32_e32 v56, 0xff, v24
	v_bfe_u32 v72, v57, 16, 1
	v_dual_mul_f32 v31, s4, v31 :: v_dual_and_b32 v38, 0xffff0000, v38
	s_delay_alu instid0(VALU_DEP_3) | instskip(SKIP_1) | instid1(VALU_DEP_4)
	v_dual_mul_f32 v35, s4, v35 :: v_dual_and_b32 v56, 0xffff, v56
	v_or_b32_e32 v73, 0x400000, v57
	v_add3_u32 v72, v72, v57, 0x7fff
	v_cmp_u_f32_e64 s6, v57, v57
	v_cvt_f32_fp8_e32 v63, v63
	v_cvt_f32_fp8_e32 v56, v56
	v_lshlrev_b32_e32 v45, 16, v37
	s_wait_dscnt 0x0
	v_lshlrev_b32_e32 v52, 16, v1
	s_wait_alu 0xf1ff
	v_cndmask_b32_e64 v72, v72, v73, s6
	v_dual_mul_f32 v63, s4, v63 :: v_dual_mul_f32 v56, s4, v56
	v_lshrrev_b16 v24, 8, v24
	s_delay_alu instid0(VALU_DEP_3) | instskip(SKIP_3) | instid1(VALU_DEP_4)
	v_dual_mul_f32 v25, s4, v25 :: v_dual_and_b32 v72, 0xffff0000, v72
	v_and_b32_e32 v58, 0xff, v26
	v_lshrrev_b16 v33, 8, v33
	v_and_b32_e32 v65, 0xffff, v65
	v_bfe_u32 v74, v25, 16, 1
	s_delay_alu instid0(VALU_DEP_4) | instskip(SKIP_2) | instid1(VALU_DEP_4)
	v_dual_mul_f32 v45, v45, v72 :: v_dual_and_b32 v58, 0xffff, v58
	v_or_b32_e32 v75, 0x400000, v25
	v_cmp_u_f32_e64 s7, v25, v25
	v_add3_u32 v74, v74, v25, 0x7fff
	v_and_b32_e32 v62, 0xff, v30
	v_cvt_f32_fp8_e32 v58, v58
	v_lshlrev_b32_e32 v49, 16, v41
	v_lshrrev_b16 v30, 8, v30
	v_and_b32_e32 v59, 0xffff, v59
	s_delay_alu instid0(VALU_DEP_4)
	v_dual_mul_f32 v58, s4, v58 :: v_dual_and_b32 v33, 0xffff, v33
	v_and_b32_e32 v24, 0xffff, v24
	v_cvt_f32_fp8_e32 v65, v65
	s_wait_alu 0xf1ff
	v_cndmask_b32_e64 v74, v74, v75, s7
	v_lshrrev_b16 v29, 8, v29
	v_and_b32_e32 v27, 0xffff, v27
	v_cvt_f32_fp8_e32 v24, v24
	v_lshlrev_b32_e32 v47, 16, v39
	v_cvt_f32_fp8_e32 v59, v59
	v_lshlrev_b32_e32 v48, 16, v40
	v_dual_mul_f32 v65, s4, v65 :: v_dual_and_b32 v40, 0xffff0000, v40
	v_mul_f32_e32 v24, s4, v24
	v_and_b32_e32 v30, 0xffff, v30
	v_cvt_f32_fp8_e32 v33, v33
	v_and_b32_e32 v74, 0xffff0000, v74
	v_and_b32_e32 v60, 0xff, v28
	v_lshrrev_b16 v28, 8, v28
	v_bfe_u32 v70, v24, 16, 1
	v_lshrrev_b16 v26, 8, v26
	v_and_b32_e32 v61, 0xffff, v61
	v_and_b32_e32 v29, 0xffff, v29
	v_cvt_f32_fp8_e32 v27, v27
	v_lshlrev_b32_e32 v50, 16, v42
	v_dual_mul_f32 v33, s4, v33 :: v_dual_and_b32 v42, 0xffff0000, v42
	v_and_b32_e32 v28, 0xffff, v28
	v_cvt_f32_fp8_e32 v30, v30
	v_or_b32_e32 v71, 0x400000, v24
	v_bfe_u32 v76, v58, 16, 1
	v_add3_u32 v70, v70, v24, 0x7fff
	v_cmp_u_f32_e64 s5, v24, v24
	v_dual_mul_f32 v30, s4, v30 :: v_dual_and_b32 v39, 0xffff0000, v39
	v_and_b32_e32 v26, 0xffff, v26
	v_cvt_f32_fp8_e32 v28, v28
	v_and_b32_e32 v37, 0xffff0000, v37
	v_cvt_f32_fp8_e32 v61, v61
	v_cvt_f32_fp8_e32 v29, v29
	v_or_b32_e32 v77, 0x400000, v58
	v_add3_u32 v76, v76, v58, 0x7fff
	v_cmp_u_f32_e64 s8, v58, v58
	s_wait_alu 0xf1ff
	v_cndmask_b32_e64 v70, v70, v71, s5
	v_dual_mul_f32 v61, s4, v61 :: v_dual_lshlrev_b32 v54, 16, v3
	v_dual_mul_f32 v29, s4, v29 :: v_dual_and_b32 v36, 0xffff0000, v36
	v_cvt_f32_fp8_e32 v26, v26
	v_mul_f32_e32 v28, s4, v28
	v_cndmask_b32_e64 v76, v76, v77, s8
	v_and_b32_e32 v70, 0xffff0000, v70
	v_dual_mul_f32 v37, v37, v74 :: v_dual_and_b32 v64, 0xff, v32
	v_dual_mul_f32 v26, s4, v26 :: v_dual_lshlrev_b32 v51, 16, v43
	s_delay_alu instid0(VALU_DEP_4) | instskip(SKIP_1) | instid1(VALU_DEP_4)
	v_and_b32_e32 v72, 0xffff0000, v76
	v_and_b32_e32 v66, 0xff, v34
	v_dual_fmac_f32 v37, v36, v70 :: v_dual_and_b32 v64, 0xffff, v64
	v_mul_f32_e32 v27, s4, v27
	v_lshrrev_b16 v32, 8, v32
	s_delay_alu instid0(VALU_DEP_4)
	v_and_b32_e32 v66, 0xffff, v66
	v_lshrrev_b16 v34, 8, v34
	v_cvt_f32_fp8_e32 v64, v64
	v_and_b32_e32 v41, 0xffff0000, v41
	v_and_b32_e32 v32, 0xffff, v32
	v_cvt_f32_fp8_e32 v66, v66
	s_delay_alu instid0(VALU_DEP_4)
	v_dual_mul_f32 v64, s4, v64 :: v_dual_and_b32 v1, 0xffff0000, v1
	v_and_b32_e32 v60, 0xffff, v60
	v_and_b32_e32 v67, 0xffff, v67
	v_dual_mul_f32 v59, s4, v59 :: v_dual_and_b32 v62, 0xffff, v62
	v_mul_f32_e32 v66, s4, v66
	v_and_b32_e32 v34, 0xffff, v34
	v_cvt_f32_fp8_e32 v60, v60
	v_lshlrev_b32_e32 v53, 16, v2
	v_cvt_f32_fp8_e32 v62, v62
	v_cvt_f32_fp8_e32 v32, v32
	;; [unrolled: 1-line block ×4, first 2 shown]
	v_mul_f32_e32 v60, s4, v60
	v_bfe_u32 v68, v56, 16, 1
	v_dual_mul_f32 v62, s4, v62 :: v_dual_lshlrev_b32 v55, 16, v4
	v_dual_mul_f32 v32, s4, v32 :: v_dual_and_b32 v43, 0xffff0000, v43
	v_dual_mul_f32 v67, s4, v67 :: v_dual_and_b32 v2, 0xffff0000, v2
	;; [unrolled: 1-line block ×3, first 2 shown]
	v_or_b32_e32 v69, 0x400000, v56
	v_bfe_u32 v84, v60, 16, 1
	v_add3_u32 v68, v68, v56, 0x7fff
	v_cmp_u_f32_e64 s4, v56, v56
	v_or_b32_e32 v85, 0x400000, v60
	v_bfe_u32 v86, v28, 16, 1
	v_add3_u32 v84, v84, v60, 0x7fff
	v_or_b32_e32 v87, 0x400000, v28
	s_wait_alu 0xf1ff
	v_cndmask_b32_e64 v68, v68, v69, s4
	v_cmp_u_f32_e64 s4, v60, v60
	v_bfe_u32 v88, v61, 16, 1
	v_add3_u32 v86, v86, v28, 0x7fff
	v_or_b32_e32 v89, 0x400000, v61
	v_bfe_u32 v90, v29, 16, 1
	s_wait_alu 0xf1ff
	v_cndmask_b32_e64 v60, v84, v85, s4
	v_cmp_u_f32_e64 s4, v28, v28
	v_add3_u32 v88, v88, v61, 0x7fff
	v_or_b32_e32 v91, 0x400000, v29
	v_bfe_u32 v92, v62, 16, 1
	v_add3_u32 v90, v90, v29, 0x7fff
	s_wait_alu 0xf1ff
	v_cndmask_b32_e64 v28, v86, v87, s4
	v_cmp_u_f32_e64 s4, v61, v61
	v_or_b32_e32 v93, 0x400000, v62
	v_bfe_u32 v94, v30, 16, 1
	v_add3_u32 v92, v92, v62, 0x7fff
	v_bfe_u32 v78, v26, 16, 1
	s_wait_alu 0xf1ff
	v_cndmask_b32_e64 v61, v88, v89, s4
	v_cmp_u_f32_e64 s4, v29, v29
	v_or_b32_e32 v95, 0x400000, v30
	v_bfe_u32 v96, v63, 16, 1
	v_add3_u32 v94, v94, v30, 0x7fff
	v_or_b32_e32 v79, 0x400000, v26
	s_wait_alu 0xf1ff
	v_cndmask_b32_e64 v29, v90, v91, s4
	v_cmp_u_f32_e64 s4, v62, v62
	v_bfe_u32 v82, v27, 16, 1
	v_or_b32_e32 v97, 0x400000, v63
	v_bfe_u32 v98, v31, 16, 1
	v_add3_u32 v78, v78, v26, 0x7fff
	s_wait_alu 0xf1ff
	v_cndmask_b32_e64 v62, v92, v93, s4
	v_cmp_u_f32_e64 s4, v30, v30
	v_cmp_u_f32_e64 s9, v26, v26
	v_add3_u32 v96, v96, v63, 0x7fff
	v_or_b32_e32 v83, 0x400000, v27
	v_or_b32_e32 v99, 0x400000, v31
	s_wait_alu 0xf1ff
	v_cndmask_b32_e64 v30, v94, v95, s4
	v_cmp_u_f32_e64 s4, v63, v63
	v_bfe_u32 v100, v64, 16, 1
	v_add3_u32 v82, v82, v27, 0x7fff
	v_cmp_u_f32_e64 s11, v27, v27
	v_cndmask_b32_e64 v78, v78, v79, s9
	v_add3_u32 v98, v98, v31, 0x7fff
	s_wait_alu 0xf1ff
	v_cndmask_b32_e64 v63, v96, v97, s4
	v_cmp_u_f32_e64 s4, v31, v31
	v_or_b32_e32 v56, 0x400000, v64
	v_add3_u32 v100, v100, v64, 0x7fff
	v_cndmask_b32_e64 v82, v82, v83, s11
	v_and_b32_e32 v74, 0xffff0000, v78
	s_wait_alu 0xf1ff
	v_cndmask_b32_e64 v31, v98, v99, s4
	v_cmp_u_f32_e64 s4, v64, v64
	v_bfe_u32 v24, v32, 16, 1
	v_dual_fmac_f32 v37, v38, v74 :: v_dual_and_b32 v28, 0xffff0000, v28
	v_or_b32_e32 v57, 0x400000, v32
	s_wait_alu 0xf1ff
	v_cndmask_b32_e64 v36, v100, v56, s4
	v_and_b32_e32 v56, 0xffff0000, v82
	v_bfe_u32 v25, v65, 16, 1
	v_add3_u32 v24, v24, v32, 0x7fff
	v_cmp_u_f32_e64 s4, v32, v32
	v_and_b32_e32 v29, 0xffff0000, v29
	v_fmac_f32_e32 v37, v39, v56
	v_bfe_u32 v80, v59, 16, 1
	v_or_b32_e32 v58, 0x400000, v65
	v_bfe_u32 v26, v33, 16, 1
	v_add3_u32 v25, v25, v65, 0x7fff
	v_fmac_f32_e32 v37, v40, v28
	s_wait_alu 0xf1ff
	v_cndmask_b32_e64 v24, v24, v57, s4
	v_cmp_u_f32_e64 s4, v65, v65
	v_and_b32_e32 v30, 0xffff0000, v30
	v_or_b32_e32 v81, 0x400000, v59
	v_fmac_f32_e32 v37, v41, v29
	v_add3_u32 v80, v80, v59, 0x7fff
	v_cmp_u_f32_e64 s10, v59, v59
	v_or_b32_e32 v59, 0x400000, v33
	v_add3_u32 v26, v26, v33, 0x7fff
	s_wait_alu 0xf1ff
	v_cndmask_b32_e64 v25, v25, v58, s4
	v_cmp_u_f32_e64 s4, v33, v33
	v_and_b32_e32 v31, 0xffff0000, v31
	v_dual_fmac_f32 v37, v42, v30 :: v_dual_and_b32 v24, 0xffff0000, v24
	v_cndmask_b32_e64 v80, v80, v81, s10
	s_wait_alu 0xf1ff
	v_cndmask_b32_e64 v26, v26, v59, s4
	s_delay_alu instid0(VALU_DEP_3) | instskip(SKIP_2) | instid1(VALU_DEP_4)
	v_dual_fmac_f32 v37, v43, v31 :: v_dual_and_b32 v32, 0xffff0000, v60
	v_bfe_u32 v27, v66, 16, 1
	v_and_b32_e32 v38, 0xffff0000, v61
	v_and_b32_e32 v26, 0xffff0000, v26
	v_or_b32_e32 v69, 0x400000, v66
	v_fmac_f32_e32 v37, v1, v24
	v_and_b32_e32 v68, 0xffff0000, v68
	v_bfe_u32 v71, v34, 16, 1
	v_add3_u32 v27, v27, v66, 0x7fff
	v_and_b32_e32 v28, 0xffff0000, v62
	v_fmac_f32_e32 v37, v2, v26
	v_fmac_f32_e32 v45, v44, v68
	v_and_b32_e32 v2, 0xffff0000, v4
	v_and_b32_e32 v44, 0xffff0000, v80
	v_cmp_u_f32_e64 s4, v66, v66
	v_or_b32_e32 v73, 0x400000, v34
	v_fmac_f32_e32 v45, v46, v72
	v_bfe_u32 v75, v67, 16, 1
	v_add3_u32 v71, v71, v34, 0x7fff
	s_wait_alu 0xf1ff
	v_cndmask_b32_e64 v27, v27, v69, s4
	v_and_b32_e32 v29, 0xffff0000, v63
	v_fmac_f32_e32 v45, v47, v44
	v_cmp_u_f32_e64 s4, v34, v34
	v_or_b32_e32 v77, 0x400000, v67
	v_bfe_u32 v79, v35, 16, 1
	v_add3_u32 v75, v75, v67, 0x7fff
	v_fmac_f32_e32 v45, v48, v32
	v_and_b32_e32 v30, 0xffff0000, v36
	v_or_b32_e32 v81, 0x400000, v35
	v_add3_u32 v79, v79, v35, 0x7fff
	v_and_b32_e32 v25, 0xffff0000, v25
	v_dual_fmac_f32 v45, v49, v38 :: v_dual_and_b32 v24, 0xffff0000, v27
	s_delay_alu instid0(VALU_DEP_1) | instskip(SKIP_3) | instid1(VALU_DEP_3)
	v_fmac_f32_e32 v45, v50, v28
	s_wait_alu 0xf1ff
	v_cndmask_b32_e64 v28, v71, v73, s4
	v_cmp_u_f32_e64 s4, v67, v67
	v_fmac_f32_e32 v45, v51, v29
	s_delay_alu instid0(VALU_DEP_3) | instskip(SKIP_1) | instid1(VALU_DEP_3)
	v_and_b32_e32 v27, 0xffff0000, v28
	s_wait_alu 0xf1ff
	v_cndmask_b32_e64 v29, v75, v77, s4
	v_cmp_u_f32_e64 s4, v35, v35
	v_fmac_f32_e32 v45, v52, v30
	s_delay_alu instid0(VALU_DEP_3) | instskip(SKIP_1) | instid1(VALU_DEP_3)
	v_dual_fmac_f32 v37, v3, v27 :: v_dual_and_b32 v4, 0xffff0000, v29
	s_wait_alu 0xf1ff
	v_cndmask_b32_e64 v1, v79, v81, s4
	v_cmp_gt_i32_e64 s4, 32, v21
	v_fmac_f32_e32 v45, v53, v25
	s_delay_alu instid0(VALU_DEP_3) | instskip(SKIP_1) | instid1(VALU_DEP_3)
	v_and_b32_e32 v1, 0xffff0000, v1
	s_wait_alu 0xf1ff
	v_cndmask_b32_e64 v3, v10, v21, s4
	s_delay_alu instid0(VALU_DEP_3) | instskip(SKIP_2) | instid1(VALU_DEP_4)
	v_fmac_f32_e32 v45, v54, v24
	v_cmp_gt_i32_e64 s4, 32, v22
	v_fmac_f32_e32 v37, v2, v1
	v_lshlrev_b32_e32 v1, 2, v3
	s_delay_alu instid0(VALU_DEP_4) | instskip(SKIP_2) | instid1(VALU_DEP_1)
	v_fmac_f32_e32 v45, v55, v4
	s_wait_alu 0xf1ff
	v_cndmask_b32_e64 v3, v10, v22, s4
	v_dual_add_f32 v2, v45, v37 :: v_dual_lshlrev_b32 v3, 2, v3
	ds_bpermute_b32 v1, v1, v2
	s_wait_dscnt 0x0
	v_add_f32_e32 v1, v2, v1
	ds_bpermute_b32 v2, v3, v1
	s_and_saveexec_b32 s5, s3
	s_cbranch_execz .LBB316_11
; %bb.19:                               ;   in Loop: Header=BB316_13 Depth=1
	s_wait_dscnt 0x0
	v_add_f32_e32 v1, v1, v2
	v_add_nc_u32_e32 v3, v18, v14
	s_delay_alu instid0(VALU_DEP_1) | instskip(NEXT) | instid1(VALU_DEP_1)
	v_cvt_f32_i32_e32 v3, v3
	v_mul_f32_e32 v3, s41, v3
	s_delay_alu instid0(VALU_DEP_1) | instskip(NEXT) | instid1(VALU_DEP_1)
	v_dual_cndmask_b32 v2, 0, v3 :: v_dual_max_num_f32 v3, v13, v13
	v_dual_fmac_f32 v2, s35, v1 :: v_dual_add_nc_u32 v1, v11, v14
	s_delay_alu instid0(VALU_DEP_1) | instskip(NEXT) | instid1(VALU_DEP_2)
	v_max_num_f32_e32 v3, v3, v2
	v_cmp_gt_i32_e64 s4, s36, v1
	s_wait_alu 0xf1ff
	s_delay_alu instid0(VALU_DEP_1) | instskip(NEXT) | instid1(VALU_DEP_3)
	v_cndmask_b32_e64 v1, 0, v2, s4
	v_cndmask_b32_e64 v13, v13, v3, s4
	ds_store_b32 v19, v1
	s_branch .LBB316_11
.LBB316_20:
	s_or_b32 exec_lo, exec_lo, s46
.LBB316_21:
	s_wait_alu 0xfffe
	s_or_b32 exec_lo, exec_lo, s43
	v_xor_b32_e32 v1, 16, v10
	v_xor_b32_e32 v3, 8, v10
	v_dual_max_num_f32 v5, v13, v13 :: v_dual_and_b32 v18, 31, v0
	s_clause 0x2
	s_load_b128 s[4:7], s[0:1], 0x0
	s_load_b64 s[8:9], s[0:1], 0x10
	s_load_b64 s[12:13], s[0:1], 0x28
	v_cmp_gt_i32_e32 vcc_lo, 32, v1
	s_wait_alu 0xfffd
	v_cndmask_b32_e32 v1, v10, v1, vcc_lo
	v_cmp_gt_i32_e32 vcc_lo, 32, v3
	s_wait_alu 0xfffd
	v_cndmask_b32_e32 v3, v10, v3, vcc_lo
	s_delay_alu instid0(VALU_DEP_1)
	v_lshlrev_b32_e32 v4, 2, v3
	s_wait_dscnt 0x0
	v_lshlrev_b32_e32 v2, 2, v1
	ds_bpermute_b32 v1, v2, v13
	s_wait_dscnt 0x0
	v_max_num_f32_e32 v1, v1, v1
	s_delay_alu instid0(VALU_DEP_1)
	v_max_num_f32_e32 v1, v5, v1
	v_xor_b32_e32 v5, 4, v10
	ds_bpermute_b32 v3, v4, v1
	v_cmp_gt_i32_e32 vcc_lo, 32, v5
	s_wait_alu 0xfffd
	v_cndmask_b32_e32 v5, v10, v5, vcc_lo
	v_cmp_eq_u32_e32 vcc_lo, 0, v18
	s_delay_alu instid0(VALU_DEP_2) | instskip(SKIP_3) | instid1(VALU_DEP_1)
	v_lshlrev_b32_e32 v7, 2, v5
	v_lshlrev_b32_e32 v5, 2, v15
	s_wait_dscnt 0x0
	v_max_num_f32_e32 v3, v3, v3
	v_max_num_f32_e32 v1, v1, v3
	ds_bpermute_b32 v3, v7, v1
	s_and_saveexec_b32 s0, vcc_lo
	s_cbranch_execz .LBB316_23
; %bb.22:
	s_wait_dscnt 0x0
	v_max_num_f32_e32 v3, v3, v3
	v_max_num_f32_e32 v1, v1, v1
	s_delay_alu instid0(VALU_DEP_1)
	v_max_num_f32_e32 v1, v1, v3
	ds_store_b32 v5, v1 offset:192
.LBB316_23:
	s_or_b32 exec_lo, exec_lo, s0
	v_cmp_gt_u32_e64 s0, 4, v18
	v_dual_mov_b32 v1, 0xff7fffff :: v_dual_lshlrev_b32 v6, 2, v18
	s_wait_loadcnt_dscnt 0x0
	s_barrier_signal -1
	s_barrier_wait -1
	global_inv scope:SCOPE_SE
	s_and_saveexec_b32 s1, s0
; %bb.24:
	ds_load_b32 v1, v6 offset:192
; %bb.25:
	s_or_b32 exec_lo, exec_lo, s1
	v_xor_b32_e32 v3, 2, v10
	v_xor_b32_e32 v11, 1, v10
	s_delay_alu instid0(VALU_DEP_2) | instskip(NEXT) | instid1(VALU_DEP_1)
	v_cmp_gt_i32_e64 s1, 32, v3
	v_cndmask_b32_e64 v3, v10, v3, s1
	s_delay_alu instid0(VALU_DEP_3) | instskip(NEXT) | instid1(VALU_DEP_2)
	v_cmp_gt_i32_e64 s1, 32, v11
	v_lshlrev_b32_e32 v8, 2, v3
	s_wait_alu 0xf1ff
	s_delay_alu instid0(VALU_DEP_2)
	v_cndmask_b32_e64 v10, v10, v11, s1
	v_mov_b32_e32 v11, 0
	s_sub_co_i32 s1, s27, s42
	s_wait_alu 0xfffe
	s_lshl_b32 s1, s1, 3
	s_wait_dscnt 0x0
	ds_bpermute_b32 v3, v8, v1
	v_max_num_f32_e32 v1, v1, v1
	s_wait_alu 0xfffe
	s_add_co_i32 s1, s1, s39
	v_lshlrev_b32_e32 v10, 2, v10
	s_wait_alu 0xfffe
	s_min_i32 s1, s1, s36
	s_wait_alu 0xfffe
	s_sub_co_i32 s10, s1, s39
	s_wait_alu 0xfffe
	v_cmp_gt_i32_e64 s1, s10, v0
	s_wait_dscnt 0x0
	v_max_num_f32_e32 v3, v3, v3
	s_delay_alu instid0(VALU_DEP_1) | instskip(SKIP_3) | instid1(VALU_DEP_1)
	v_max_num_f32_e32 v1, v1, v3
	ds_bpermute_b32 v3, v10, v1
	s_wait_dscnt 0x0
	v_max_num_f32_e32 v3, v3, v3
	v_max_num_f32_e32 v1, v1, v3
	v_lshl_add_u32 v3, v0, 2, 0xe0
	ds_bpermute_b32 v1, v11, v1
	s_and_saveexec_b32 s11, s1
	s_cbranch_execz .LBB316_29
; %bb.26:
	v_lshl_add_u32 v12, v0, 2, 0xe0
	v_mov_b32_e32 v11, 0
	v_mov_b32_e32 v13, v0
	s_mov_b32 s23, 0
.LBB316_27:                             ; =>This Inner Loop Header: Depth=1
	ds_load_b32 v14, v12
	v_add_nc_u32_e32 v13, 0x80, v13
	s_delay_alu instid0(VALU_DEP_1) | instskip(SKIP_4) | instid1(VALU_DEP_1)
	v_cmp_le_i32_e64 s3, s10, v13
	s_wait_alu 0xfffe
	s_or_b32 s23, s3, s23
	s_wait_dscnt 0x0
	v_sub_f32_e32 v14, v14, v1
	v_mul_f32_e32 v14, 0x3fb8aa3b, v14
	s_delay_alu instid0(VALU_DEP_1)
	v_exp_f32_e32 v14, v14
	ds_store_b32 v12, v14
	v_dual_add_f32 v11, v11, v14 :: v_dual_add_nc_u32 v12, 0x200, v12
	s_wait_alu 0xfffe
	s_and_not1_b32 exec_lo, exec_lo, s23
	s_cbranch_execnz .LBB316_27
; %bb.28:
	s_or_b32 exec_lo, exec_lo, s23
.LBB316_29:
	s_wait_alu 0xfffe
	s_or_b32 exec_lo, exec_lo, s11
	ds_bpermute_b32 v2, v2, v11
	s_wait_dscnt 0x0
	v_add_f32_e32 v2, v11, v2
	ds_bpermute_b32 v4, v4, v2
	s_wait_dscnt 0x0
	v_add_f32_e32 v2, v2, v4
	;; [unrolled: 3-line block ×5, first 2 shown]
	s_and_saveexec_b32 s3, vcc_lo
; %bb.30:
	ds_store_b32 v5, v2 offset:208
; %bb.31:
	s_wait_alu 0xfffe
	s_or_b32 exec_lo, exec_lo, s3
	s_wait_loadcnt_dscnt 0x0
	s_barrier_signal -1
	s_barrier_wait -1
	global_inv scope:SCOPE_SE
	s_and_saveexec_b32 s3, s0
; %bb.32:
	ds_load_b32 v2, v6 offset:208
; %bb.33:
	s_wait_alu 0xfffe
	s_or_b32 exec_lo, exec_lo, s3
	s_wait_dscnt 0x0
	ds_bpermute_b32 v4, v8, v2
	s_wait_dscnt 0x0
	v_add_f32_e32 v2, v2, v4
	ds_bpermute_b32 v4, v10, v2
	s_wait_dscnt 0x0
	v_add_f32_e32 v2, v2, v4
	v_mov_b32_e32 v4, 0
	ds_bpermute_b32 v2, v4, v2
	s_and_saveexec_b32 s0, s1
	s_cbranch_execz .LBB316_36
; %bb.34:
	s_wait_dscnt 0x0
	v_add_f32_e32 v4, 0x358637bd, v2
	s_mov_b32 s1, 0
	s_delay_alu instid0(VALU_DEP_1) | instskip(SKIP_1) | instid1(VALU_DEP_2)
	v_div_scale_f32 v5, null, v4, v4, 1.0
	v_div_scale_f32 v8, vcc_lo, 1.0, v4, 1.0
	v_rcp_f32_e32 v6, v5
	s_delay_alu instid0(TRANS32_DEP_1) | instskip(NEXT) | instid1(VALU_DEP_1)
	v_fma_f32 v7, -v5, v6, 1.0
	v_fmac_f32_e32 v6, v7, v6
	s_delay_alu instid0(VALU_DEP_1) | instskip(NEXT) | instid1(VALU_DEP_1)
	v_mul_f32_e32 v7, v8, v6
	v_fma_f32 v10, -v5, v7, v8
	s_delay_alu instid0(VALU_DEP_1) | instskip(NEXT) | instid1(VALU_DEP_1)
	v_fmac_f32_e32 v7, v10, v6
	v_fma_f32 v5, -v5, v7, v8
	s_wait_alu 0xfffd
	s_delay_alu instid0(VALU_DEP_1) | instskip(NEXT) | instid1(VALU_DEP_1)
	v_div_fmas_f32 v5, v5, v6, v7
	v_div_fixup_f32 v4, v5, v4, 1.0
	v_mov_b32_e32 v5, v0
.LBB316_35:                             ; =>This Inner Loop Header: Depth=1
	ds_load_b32 v6, v3
	s_wait_dscnt 0x0
	v_dual_mul_f32 v6, v4, v6 :: v_dual_add_nc_u32 v5, 0x80, v5
	s_delay_alu instid0(VALU_DEP_1)
	v_cmp_le_i32_e32 vcc_lo, s10, v5
	ds_store_b32 v3, v6
	v_add_nc_u32_e32 v3, 0x200, v3
	s_wait_alu 0xfffe
	s_or_b32 s1, vcc_lo, s1
	s_wait_alu 0xfffe
	s_and_not1_b32 exec_lo, exec_lo, s1
	s_cbranch_execnz .LBB316_35
.LBB316_36:
	s_wait_alu 0xfffe
	s_or_b32 exec_lo, exec_lo, s0
	s_mul_i32 s0, s16, s37
	s_wait_loadcnt_dscnt 0x0
	s_wait_alu 0xfffe
	s_mul_i32 s10, s0, s38
	s_mov_b32 s0, exec_lo
	s_barrier_signal -1
	s_barrier_wait -1
	global_inv scope:SCOPE_SE
	v_cmpx_eq_u32_e32 0, v0
	s_cbranch_execz .LBB316_38
; %bb.37:
	s_wait_alu 0xfffe
	s_ashr_i32 s11, s10, 31
	s_mul_i32 s38, s16, ttmp9
	s_lshl_b32 s1, s33, 2
	s_wait_alu 0xfffe
	s_lshl_b64 s[42:43], s[10:11], 2
	s_ashr_i32 s39, s38, 31
	v_mov_b32_e32 v3, s1
	s_wait_kmcnt 0x0
	s_wait_alu 0xfffe
	s_add_nc_u64 s[6:7], s[6:7], s[42:43]
	s_lshl_b64 s[38:39], s[38:39], 2
	s_add_nc_u64 s[4:5], s[4:5], s[42:43]
	s_wait_alu 0xfffe
	s_add_nc_u64 s[6:7], s[6:7], s[38:39]
	s_add_nc_u64 s[4:5], s[4:5], s[38:39]
	s_clause 0x1
	global_store_b32 v3, v1, s[6:7]
	global_store_b32 v3, v2, s[4:5]
.LBB316_38:
	s_wait_alu 0xfffe
	s_or_b32 exec_lo, exec_lo, s0
	v_dual_mov_b32 v21, 0 :: v_dual_mov_b32 v20, 0
	v_mov_b32_e32 v19, 0
	s_and_saveexec_b32 s1, s2
	s_cbranch_execz .LBB316_50
; %bb.39:
	s_abs_i32 s2, s18
	s_wait_kmcnt 0x0
	s_lshl_b64 s[6:7], s[30:31], 2
	s_wait_alu 0xfffe
	s_cvt_f32_u32 s0, s2
	v_dual_mov_b32 v19, 0 :: v_dual_lshlrev_b32 v2, 3, v18
	s_ashr_i32 s23, s22, 31
	s_wait_alu 0xfffe
	v_rcp_iflag_f32_e32 v1, s0
	s_add_nc_u64 s[6:7], s[28:29], s[6:7]
	s_add_nc_u64 s[12:13], s[12:13], s[22:23]
	s_wait_alu 0xfffe
	v_add_co_u32 v9, s6, s6, v9
	s_sub_co_i32 s5, 0, s2
	v_add_co_ci_u32_e64 v10, null, s7, 0, s6
	v_add_co_u32 v11, s6, s12, v2
	s_delay_alu instid0(TRANS32_DEP_1)
	v_readfirstlane_b32 s0, v1
	v_lshl_add_u32 v22, v15, 5, 0xe0
	s_wait_alu 0xf1ff
	v_add_co_ci_u32_e64 v12, null, s13, 0, s6
	v_dual_mov_b32 v20, 0 :: v_dual_mov_b32 v21, 0
	s_mul_f32 s0, s0, 0x4f7ffffe
	s_sub_co_i32 s3, s40, s17
	s_mov_b32 s4, s21
	s_add_co_i32 s34, s34, -1
	s_wait_alu 0xfffe
	s_cvt_u32_f32 s0, s0
	s_wait_alu 0xfffe
	s_delay_alu instid0(SALU_CYCLE_2)
	s_mul_i32 s5, s5, s0
	s_wait_alu 0xfffe
	s_mul_hi_u32 s6, s0, s5
	s_mov_b32 s5, 0
	s_wait_alu 0xfffe
	s_add_co_i32 s6, s0, s6
	s_branch .LBB316_42
.LBB316_40:                             ;   in Loop: Header=BB316_42 Depth=1
	s_wait_alu 0xfffe
	s_or_b32 exec_lo, exec_lo, s0
	s_wait_dscnt 0x1
	v_bfe_u32 v31, v5, 16, 1
	v_bfe_u32 v32, v6, 16, 1
	v_or_b32_e32 v33, 0x400000, v5
	v_cmp_u_f32_e32 vcc_lo, v5, v5
	v_or_b32_e32 v34, 0x400000, v6
	v_add3_u32 v31, v31, v5, 0x7fff
	v_bfe_u32 v35, v7, 16, 1
	v_add3_u32 v32, v32, v6, 0x7fff
	v_bfe_u32 v36, v8, 16, 1
	v_lshlrev_b32_e32 v45, 16, v45
	s_wait_alu 0xfffd
	v_cndmask_b32_e32 v5, v31, v33, vcc_lo
	v_cmp_u_f32_e32 vcc_lo, v6, v6
	v_add3_u32 v31, v35, v7, 0x7fff
	s_wait_dscnt 0x0
	v_bfe_u32 v33, v1, 16, 1
	v_or_b32_e32 v35, 0x400000, v8
	s_wait_alu 0xfffd
	v_dual_cndmask_b32 v6, v32, v34 :: v_dual_lshlrev_b32 v41, 16, v41
	v_or_b32_e32 v32, 0x400000, v7
	v_cmp_u_f32_e32 vcc_lo, v7, v7
	v_add3_u32 v34, v36, v8, 0x7fff
	v_lshlrev_b32_e32 v43, 16, v43
	v_lshlrev_b32_e32 v30, 16, v30
	s_wait_alu 0xfffd
	v_dual_cndmask_b32 v7, v31, v32 :: v_dual_lshlrev_b32 v26, 16, v26
	v_cmp_u_f32_e32 vcc_lo, v8, v8
	v_add3_u32 v31, v33, v1, 0x7fff
	v_or_b32_e32 v32, 0x400000, v1
	v_bfe_u32 v33, v2, 16, 1
	v_and_b32_e32 v6, 0xffff0000, v6
	s_wait_alu 0xfffd
	v_cndmask_b32_e32 v8, v34, v35, vcc_lo
	v_cmp_u_f32_e32 vcc_lo, v1, v1
	v_or_b32_e32 v34, 0x400000, v2
	v_add3_u32 v33, v33, v2, 0x7fff
	v_or_b32_e32 v35, 0x400000, v3
	v_and_b32_e32 v8, 0xffff0000, v8
	s_wait_alu 0xfffd
	v_cndmask_b32_e32 v1, v31, v32, vcc_lo
	v_bfe_u32 v31, v3, 16, 1
	v_lshlrev_b32_e32 v32, 16, v51
	v_cmp_u_f32_e32 vcc_lo, v2, v2
	v_and_b32_e32 v5, 0xffff0000, v5
	v_lshlrev_b32_e32 v28, 16, v28
	v_add3_u32 v31, v31, v3, 0x7fff
	v_mul_f32_e32 v30, v6, v30
	s_wait_alu 0xfffd
	v_cndmask_b32_e32 v2, v33, v34, vcc_lo
	v_bfe_u32 v33, v4, 16, 1
	v_cmp_u_f32_e32 vcc_lo, v3, v3
	v_dual_mul_f32 v32, v6, v32 :: v_dual_and_b32 v1, 0xffff0000, v1
	s_delay_alu instid0(VALU_DEP_4) | instskip(NEXT) | instid1(VALU_DEP_4)
	v_and_b32_e32 v2, 0xffff0000, v2
	v_add3_u32 v33, v33, v4, 0x7fff
	s_wait_alu 0xfffd
	v_cndmask_b32_e32 v3, v31, v35, vcc_lo
	v_bfe_u32 v31, v32, 16, 1
	v_or_b32_e32 v35, 0x400000, v4
	v_cmp_u_f32_e32 vcc_lo, v4, v4
	v_or_b32_e32 v36, 0x400000, v32
	v_and_b32_e32 v3, 0xffff0000, v3
	v_add3_u32 v31, v31, v32, 0x7fff
	v_lshlrev_b32_e32 v24, 16, v24
	s_wait_alu 0xfffd
	v_cndmask_b32_e32 v4, v33, v35, vcc_lo
	v_cmp_u_f32_e32 vcc_lo, v32, v32
	v_lshlrev_b32_e32 v35, 16, v48
	v_mul_f32_e32 v41, v3, v41
	v_lshlrev_b32_e32 v29, 16, v29
	v_and_b32_e32 v4, 0xffff0000, v4
	s_wait_alu 0xfffd
	v_dual_cndmask_b32 v31, v31, v36 :: v_dual_lshlrev_b32 v36, 16, v47
	v_and_b32_e32 v7, 0xffff0000, v7
	v_lshlrev_b32_e32 v38, 16, v49
	v_mul_f32_e32 v29, v5, v29
	s_delay_alu instid0(VALU_DEP_4) | instskip(NEXT) | instid1(VALU_DEP_4)
	v_dual_mul_f32 v36, v2, v36 :: v_dual_and_b32 v31, 0xffff0000, v31
	v_dual_mul_f32 v35, v7, v35 :: v_dual_lshlrev_b32 v34, 16, v50
	s_delay_alu instid0(VALU_DEP_4) | instskip(SKIP_1) | instid1(VALU_DEP_4)
	v_mul_f32_e32 v33, v8, v38
	v_lshlrev_b32_e32 v25, 16, v25
	v_bfe_u32 v48, v36, 16, 1
	s_delay_alu instid0(VALU_DEP_4) | instskip(NEXT) | instid1(VALU_DEP_4)
	v_mul_f32_e32 v34, v5, v34
	v_bfe_u32 v47, v33, 16, 1
	s_delay_alu instid0(VALU_DEP_4) | instskip(NEXT) | instid1(VALU_DEP_3)
	v_mul_f32_e32 v25, v1, v25
	v_bfe_u32 v32, v34, 16, 1
	v_or_b32_e32 v38, 0x400000, v34
	v_cmp_u_f32_e32 vcc_lo, v34, v34
	s_delay_alu instid0(VALU_DEP_3) | instskip(SKIP_3) | instid1(VALU_DEP_3)
	v_add3_u32 v32, v32, v34, 0x7fff
	v_add3_u32 v34, v47, v33, 0x7fff
	v_bfe_u32 v47, v35, 16, 1
	s_wait_alu 0xfffd
	v_cndmask_b32_e32 v32, v32, v38, vcc_lo
	v_or_b32_e32 v38, 0x400000, v33
	v_cmp_u_f32_e32 vcc_lo, v33, v33
	s_wait_alu 0xfffd
	s_delay_alu instid0(VALU_DEP_2)
	v_cndmask_b32_e32 v33, v34, v38, vcc_lo
	v_add3_u32 v34, v47, v35, 0x7fff
	v_or_b32_e32 v38, 0x400000, v35
	v_cmp_u_f32_e32 vcc_lo, v35, v35
	v_add3_u32 v47, v48, v36, 0x7fff
	v_or_b32_e32 v48, 0x400000, v36
	v_dual_mul_f32 v28, v8, v28 :: v_dual_and_b32 v33, 0xffff0000, v33
	s_wait_alu 0xfffd
	v_dual_cndmask_b32 v34, v34, v38 :: v_dual_mul_f32 v45, v1, v45
	v_cmp_u_f32_e32 vcc_lo, v36, v36
	v_dual_mul_f32 v26, v2, v26 :: v_dual_lshlrev_b32 v27, 16, v27
	s_delay_alu instid0(VALU_DEP_3)
	v_bfe_u32 v49, v45, 16, 1
	s_wait_alu 0xfffd
	v_dual_cndmask_b32 v36, v47, v48 :: v_dual_mul_f32 v35, v4, v43
	v_or_b32_e32 v43, 0x400000, v45
	v_cmp_u_f32_e32 vcc_lo, v45, v45
	v_add3_u32 v38, v49, v45, 0x7fff
	v_mul_f32_e32 v27, v7, v27
	v_bfe_u32 v47, v35, 16, 1
	v_or_b32_e32 v45, 0x400000, v35
	s_wait_alu 0xfffd
	v_cndmask_b32_e32 v38, v38, v43, vcc_lo
	v_cmp_u_f32_e32 vcc_lo, v35, v35
	v_add3_u32 v43, v47, v35, 0x7fff
	s_wait_alu 0xfffd
	s_delay_alu instid0(VALU_DEP_1)
	v_cndmask_b32_e32 v35, v43, v45, vcc_lo
	v_cmp_u_f32_e32 vcc_lo, v41, v41
	v_and_b32_e32 v32, 0xffff0000, v32
	v_and_b32_e32 v34, 0xffff0000, v34
	v_bfe_u32 v43, v41, 16, 1
	v_mul_f32_e32 v24, v4, v24
	s_delay_alu instid0(VALU_DEP_3) | instskip(SKIP_2) | instid1(VALU_DEP_3)
	v_dual_add_f32 v31, v32, v31 :: v_dual_add_f32 v32, v34, v33
	v_and_b32_e32 v33, 0xffff0000, v38
	v_or_b32_e32 v38, 0x400000, v41
	v_dual_add_f32 v31, v32, v31 :: v_dual_and_b32 v34, 0xffff0000, v36
	v_add3_u32 v36, v43, v41, 0x7fff
	s_delay_alu instid0(VALU_DEP_2) | instskip(SKIP_1) | instid1(VALU_DEP_2)
	v_add_f32_e32 v32, v33, v34
	s_wait_alu 0xfffd
	v_cndmask_b32_e32 v33, v36, v38, vcc_lo
	v_bfe_u32 v34, v30, 16, 1
	v_bfe_u32 v36, v29, 16, 1
	v_cmp_u_f32_e32 vcc_lo, v30, v30
	s_delay_alu instid0(VALU_DEP_4) | instskip(NEXT) | instid1(VALU_DEP_4)
	v_dual_add_f32 v31, v32, v31 :: v_dual_and_b32 v32, 0xffff0000, v33
	v_add3_u32 v33, v34, v30, 0x7fff
	v_or_b32_e32 v34, 0x400000, v30
	v_and_b32_e32 v35, 0xffff0000, v35
	v_or_b32_e32 v38, 0x400000, v28
	s_wait_alu 0xfffd
	s_delay_alu instid0(VALU_DEP_3)
	v_cndmask_b32_e32 v30, v33, v34, vcc_lo
	v_bfe_u32 v33, v28, 16, 1
	v_add3_u32 v34, v36, v29, 0x7fff
	v_or_b32_e32 v36, 0x400000, v29
	v_cmp_u_f32_e32 vcc_lo, v29, v29
	v_and_b32_e32 v30, 0xffff0000, v30
	v_add3_u32 v33, v33, v28, 0x7fff
	s_wait_alu 0xfffd
	v_cndmask_b32_e32 v29, v34, v36, vcc_lo
	v_cmp_u_f32_e32 vcc_lo, v28, v28
	v_bfe_u32 v34, v27, 16, 1
	v_or_b32_e32 v36, 0x400000, v27
	s_wait_alu 0xfffd
	v_cndmask_b32_e32 v28, v33, v38, vcc_lo
	v_bfe_u32 v33, v26, 16, 1
	v_add3_u32 v34, v34, v27, 0x7fff
	v_cmp_u_f32_e32 vcc_lo, v27, v27
	v_or_b32_e32 v38, 0x400000, v26
	v_and_b32_e32 v28, 0xffff0000, v28
	v_add3_u32 v33, v33, v26, 0x7fff
	s_wait_alu 0xfffd
	v_cndmask_b32_e32 v27, v34, v36, vcc_lo
	v_bfe_u32 v34, v25, 16, 1
	v_cmp_u_f32_e32 vcc_lo, v26, v26
	v_bfe_u32 v36, v24, 16, 1
	s_wait_alu 0xfffd
	v_cndmask_b32_e32 v26, v33, v38, vcc_lo
	v_add3_u32 v33, v34, v25, 0x7fff
	v_or_b32_e32 v34, 0x400000, v25
	v_cmp_u_f32_e32 vcc_lo, v25, v25
	v_add3_u32 v36, v36, v24, 0x7fff
	v_or_b32_e32 v38, 0x400000, v24
	v_and_b32_e32 v26, 0xffff0000, v26
	s_wait_alu 0xfffd
	v_cndmask_b32_e32 v25, v33, v34, vcc_lo
	v_cmp_u_f32_e32 vcc_lo, v24, v24
	v_lshlrev_b32_e32 v23, 16, v23
	s_wait_alu 0xfffd
	s_delay_alu instid0(VALU_DEP_3) | instskip(NEXT) | instid1(VALU_DEP_2)
	v_dual_cndmask_b32 v24, v36, v38 :: v_dual_and_b32 v25, 0xffff0000, v25
	v_mul_f32_e32 v23, v3, v23
	s_delay_alu instid0(VALU_DEP_2) | instskip(SKIP_2) | instid1(VALU_DEP_4)
	v_add_f32_e32 v25, v25, v26
	v_lshlrev_b32_e32 v26, 16, v42
	v_and_b32_e32 v27, 0xffff0000, v27
	v_bfe_u32 v33, v23, 16, 1
	v_or_b32_e32 v34, 0x400000, v23
	v_cmp_u_f32_e32 vcc_lo, v23, v23
	v_mul_f32_e32 v8, v8, v26
	v_dual_add_f32 v27, v27, v28 :: v_dual_lshlrev_b32 v36, 16, v46
	v_and_b32_e32 v29, 0xffff0000, v29
	v_add3_u32 v33, v33, v23, 0x7fff
	v_lshlrev_b32_e32 v28, 16, v44
	s_delay_alu instid0(VALU_DEP_4) | instskip(NEXT) | instid1(VALU_DEP_4)
	v_mul_f32_e32 v6, v6, v36
	v_dual_add_f32 v29, v29, v30 :: v_dual_lshlrev_b32 v26, 16, v40
	s_wait_alu 0xfffd
	v_cndmask_b32_e32 v23, v33, v34, vcc_lo
	v_mul_f32_e32 v5, v5, v28
	v_cmp_u_f32_e32 vcc_lo, v6, v6
	v_mul_f32_e32 v7, v7, v26
	v_add_f32_e32 v27, v27, v29
	v_bfe_u32 v29, v6, 16, 1
	v_lshlrev_b32_e32 v26, 16, v39
	v_bfe_u32 v30, v5, 16, 1
	s_delay_alu instid0(VALU_DEP_3) | instskip(SKIP_1) | instid1(VALU_DEP_4)
	v_add3_u32 v28, v29, v6, 0x7fff
	v_or_b32_e32 v29, 0x400000, v6
	v_mul_f32_e32 v2, v2, v26
	v_lshlrev_b32_e32 v26, 16, v37
	s_wait_alu 0xfffd
	s_delay_alu instid0(VALU_DEP_3)
	v_cndmask_b32_e32 v6, v28, v29, vcc_lo
	v_add3_u32 v28, v30, v5, 0x7fff
	v_or_b32_e32 v29, 0x400000, v5
	v_bfe_u32 v30, v8, 16, 1
	v_cmp_u_f32_e32 vcc_lo, v5, v5
	s_wait_alu 0xfffd
	s_delay_alu instid0(VALU_DEP_3) | instskip(NEXT) | instid1(VALU_DEP_3)
	v_dual_cndmask_b32 v5, v28, v29 :: v_dual_and_b32 v6, 0xffff0000, v6
	v_add3_u32 v28, v30, v8, 0x7fff
	v_or_b32_e32 v29, 0x400000, v8
	v_bfe_u32 v30, v7, 16, 1
	v_cmp_u_f32_e32 vcc_lo, v8, v8
	s_wait_alu 0xfffd
	s_delay_alu instid0(VALU_DEP_3) | instskip(NEXT) | instid1(VALU_DEP_3)
	v_dual_cndmask_b32 v8, v28, v29 :: v_dual_and_b32 v23, 0xffff0000, v23
	v_add3_u32 v28, v30, v7, 0x7fff
	v_or_b32_e32 v29, 0x400000, v7
	v_cmp_u_f32_e32 vcc_lo, v7, v7
	v_bfe_u32 v30, v2, 16, 1
	v_lshlrev_b32_e32 v14, 16, v14
	s_wait_alu 0xfffd
	v_dual_cndmask_b32 v7, v28, v29 :: v_dual_and_b32 v8, 0xffff0000, v8
	s_delay_alu instid0(VALU_DEP_2) | instskip(SKIP_2) | instid1(VALU_DEP_3)
	v_dual_mul_f32 v4, v4, v14 :: v_dual_lshlrev_b32 v13, 16, v13
	v_add3_u32 v28, v30, v2, 0x7fff
	v_cmp_u_f32_e32 vcc_lo, v2, v2
	v_mul_f32_e32 v3, v3, v13
	v_or_b32_e32 v13, 0x400000, v2
	v_mul_f32_e32 v1, v1, v26
	v_bfe_u32 v29, v4, 16, 1
	s_delay_alu instid0(VALU_DEP_4)
	v_bfe_u32 v30, v3, 16, 1
	s_wait_alu 0xfffd
	v_cndmask_b32_e32 v2, v28, v13, vcc_lo
	v_bfe_u32 v26, v1, 16, 1
	v_cmp_u_f32_e32 vcc_lo, v1, v1
	v_add3_u32 v13, v29, v4, 0x7fff
	v_or_b32_e32 v28, 0x400000, v4
	s_delay_alu instid0(VALU_DEP_4) | instskip(SKIP_2) | instid1(VALU_DEP_1)
	v_add3_u32 v14, v26, v1, 0x7fff
	v_or_b32_e32 v26, 0x400000, v1
	s_wait_alu 0xfffd
	v_cndmask_b32_e32 v1, v14, v26, vcc_lo
	v_add3_u32 v14, v30, v3, 0x7fff
	v_or_b32_e32 v26, 0x400000, v3
	v_cmp_u_f32_e32 vcc_lo, v3, v3
	s_delay_alu instid0(VALU_DEP_4) | instskip(SKIP_1) | instid1(VALU_DEP_3)
	v_and_b32_e32 v1, 0xffff0000, v1
	s_wait_alu 0xfffd
	v_cndmask_b32_e32 v3, v14, v26, vcc_lo
	v_cmp_u_f32_e32 vcc_lo, v4, v4
	s_wait_alu 0xfffd
	v_dual_cndmask_b32 v4, v13, v28 :: v_dual_and_b32 v7, 0xffff0000, v7
	v_and_b32_e32 v5, 0xffff0000, v5
	s_delay_alu instid0(VALU_DEP_1) | instskip(SKIP_1) | instid1(VALU_DEP_1)
	v_dual_add_f32 v5, v5, v6 :: v_dual_add_f32 v6, v7, v8
	v_and_b32_e32 v2, 0xffff0000, v2
	v_dual_add_f32 v1, v1, v2 :: v_dual_and_b32 v2, 0xffff0000, v3
	s_delay_alu instid0(VALU_DEP_3) | instskip(SKIP_1) | instid1(VALU_DEP_1)
	v_dual_add_f32 v5, v6, v5 :: v_dual_add_f32 v6, v25, v27
	v_dual_add_f32 v4, v32, v35 :: v_dual_and_b32 v3, 0xffff0000, v4
	v_dual_add_f32 v2, v2, v3 :: v_dual_and_b32 v7, 0xffff0000, v24
	s_delay_alu instid0(VALU_DEP_2) | instskip(NEXT) | instid1(VALU_DEP_2)
	v_add_f32_e32 v3, v4, v31
	v_add_f32_e32 v7, v23, v7
	s_delay_alu instid0(VALU_DEP_2) | instskip(NEXT) | instid1(VALU_DEP_1)
	v_dual_add_f32 v20, v20, v3 :: v_dual_add_f32 v1, v1, v5
	v_dual_add_f32 v4, v7, v6 :: v_dual_add_f32 v1, v2, v1
	s_delay_alu instid0(VALU_DEP_1) | instskip(NEXT) | instid1(VALU_DEP_2)
	v_add_f32_e32 v21, v21, v4
	v_add_f32_e32 v19, v19, v1
.LBB316_41:                             ;   in Loop: Header=BB316_42 Depth=1
	s_wait_alu 0xfffe
	s_or_b32 exec_lo, exec_lo, s7
	v_add_nc_u32_e32 v17, 4, v17
	v_add_co_u32 v9, s0, v9, 16
	s_wait_alu 0xf1ff
	v_add_co_ci_u32_e64 v10, null, 0, v10, s0
	s_delay_alu instid0(VALU_DEP_3)
	v_cmp_le_i32_e32 vcc_lo, s27, v17
	v_add_nc_u32_e32 v16, 32, v16
	v_add_nc_u32_e32 v22, 0x80, v22
	s_or_b32 s5, vcc_lo, s5
	s_wait_alu 0xfffe
	s_and_not1_b32 exec_lo, exec_lo, s5
	s_cbranch_execz .LBB316_49
.LBB316_42:                             ; =>This Inner Loop Header: Depth=1
	v_sub_nc_u32_e32 v1, 0, v16
	s_delay_alu instid0(VALU_DEP_1) | instskip(NEXT) | instid1(VALU_DEP_1)
	v_max_i32_e32 v1, v16, v1
	v_mul_hi_u32 v2, v1, s26
	s_delay_alu instid0(VALU_DEP_1) | instskip(NEXT) | instid1(VALU_DEP_1)
	v_mul_lo_u32 v3, v2, s20
	v_sub_nc_u32_e32 v1, v1, v3
	v_add_nc_u32_e32 v3, 1, v2
	s_delay_alu instid0(VALU_DEP_2) | instskip(SKIP_2) | instid1(VALU_DEP_2)
	v_subrev_nc_u32_e32 v4, s20, v1
	v_cmp_le_u32_e32 vcc_lo, s20, v1
	s_wait_alu 0xfffd
	v_dual_cndmask_b32 v2, v2, v3 :: v_dual_cndmask_b32 v1, v1, v4
	v_ashrrev_i32_e32 v3, 31, v16
	s_delay_alu instid0(VALU_DEP_2) | instskip(NEXT) | instid1(VALU_DEP_3)
	v_add_nc_u32_e32 v4, 1, v2
	v_cmp_le_u32_e32 vcc_lo, s20, v1
	s_delay_alu instid0(VALU_DEP_3) | instskip(SKIP_1) | instid1(VALU_DEP_3)
	v_xor_b32_e32 v3, s19, v3
	s_wait_alu 0xfffd
	v_cndmask_b32_e32 v1, v2, v4, vcc_lo
	s_delay_alu instid0(VALU_DEP_1) | instskip(NEXT) | instid1(VALU_DEP_1)
	v_xor_b32_e32 v1, v1, v3
	v_sub_nc_u32_e32 v1, v1, v3
	s_delay_alu instid0(VALU_DEP_1) | instskip(SKIP_1) | instid1(VALU_DEP_2)
	v_add_nc_u32_e32 v2, s25, v1
	v_cmp_lt_i32_e64 s0, s3, v1
	v_sub_nc_u32_e32 v3, 0, v2
	s_delay_alu instid0(VALU_DEP_1) | instskip(SKIP_1) | instid1(VALU_DEP_1)
	v_max_i32_e32 v3, v2, v3
	s_wait_alu 0xfffe
	v_mul_hi_u32 v4, v3, s6
	s_delay_alu instid0(VALU_DEP_1) | instskip(NEXT) | instid1(VALU_DEP_1)
	v_mul_lo_u32 v4, v4, s2
	v_sub_nc_u32_e32 v3, v3, v4
	s_delay_alu instid0(VALU_DEP_1) | instskip(SKIP_2) | instid1(VALU_DEP_2)
	v_subrev_nc_u32_e32 v4, s2, v3
	v_cmp_le_u32_e32 vcc_lo, s2, v3
	s_wait_alu 0xfffd
	v_cndmask_b32_e32 v3, v3, v4, vcc_lo
	v_ashrrev_i32_e32 v2, 31, v2
	s_delay_alu instid0(VALU_DEP_2) | instskip(SKIP_2) | instid1(VALU_DEP_2)
	v_subrev_nc_u32_e32 v4, s2, v3
	v_cmp_le_u32_e32 vcc_lo, s2, v3
	s_wait_alu 0xfffd
	v_cndmask_b32_e32 v3, v3, v4, vcc_lo
	s_delay_alu instid0(VALU_DEP_1) | instskip(NEXT) | instid1(VALU_DEP_1)
	v_xor_b32_e32 v3, v3, v2
	v_sub_nc_u32_e32 v2, v3, v2
	s_delay_alu instid0(VALU_DEP_1)
	v_cmp_eq_u32_e32 vcc_lo, 0, v2
	s_or_b32 s0, vcc_lo, s0
	s_wait_alu 0xfffe
	s_and_saveexec_b32 s7, s0
	s_cbranch_execz .LBB316_41
; %bb.43:                               ;   in Loop: Header=BB316_42 Depth=1
	global_load_b32 v1, v[9:10], off
	v_cmp_eq_u32_e32 vcc_lo, s34, v17
	v_add_nc_u32_e32 v31, 6, v16
	s_wait_loadcnt 0x0
	v_mad_co_i64_i32 v[13:14], null, v1, s4, v[11:12]
	global_load_b64 v[23:24], v[13:14], off
	ds_load_2addr_b64 v[5:8], v22 offset1:1
	ds_load_2addr_b64 v[1:4], v22 offset0:2 offset1:3
	s_load_b32 s11, s[14:15], 0x0
	s_wait_loadcnt 0x0
	v_bfe_u32 v29, v24, 8, 8
	v_bfe_u32 v26, v23, 8, 8
	v_bfe_u32 v27, v23, 16, 8
	v_bfe_u32 v30, v24, 16, 8
	s_delay_alu instid0(VALU_DEP_4)
	v_cvt_f32_fp8_e32 v29, v29
	v_and_b32_e32 v28, 0xff, v24
	v_cvt_f32_fp8_e32 v26, v26
	v_add_nc_u32_e32 v35, 2, v16
	v_cvt_f32_fp8_e32 v27, v27
	s_wait_kmcnt 0x0
	v_mul_f32_e32 v29, s11, v29
	v_cvt_f32_fp8_e32 v28, v28
	v_and_b32_e32 v25, 0xff, v23
	v_lshrrev_b32_e32 v23, 24, v23
	v_mul_f32_e32 v26, s11, v26
	v_dual_mul_f32 v27, s11, v27 :: v_dual_add_nc_u32 v34, 3, v16
	v_mul_f32_e32 v28, s11, v28
	v_cvt_f32_fp8_e32 v25, v25
	v_add_nc_u32_e32 v36, 1, v16
	v_cvt_f32_fp8_e32 v23, v23
	v_bfe_u32 v39, v26, 16, 1
	s_delay_alu instid0(VALU_DEP_4) | instskip(SKIP_1) | instid1(VALU_DEP_4)
	v_dual_mul_f32 v25, s11, v25 :: v_dual_add_nc_u32 v32, 5, v16
	v_or_b32_e32 v40, 0x400000, v26
	v_mul_f32_e32 v23, s11, v23
	v_bfe_u32 v41, v27, 16, 1
	v_add3_u32 v39, v39, v26, 0x7fff
	v_bfe_u32 v37, v25, 16, 1
	v_or_b32_e32 v38, 0x400000, v25
	v_cmp_u_f32_e64 s0, v25, v25
	v_or_b32_e32 v42, 0x400000, v27
	v_bfe_u32 v43, v23, 16, 1
	v_add3_u32 v37, v37, v25, 0x7fff
	v_add3_u32 v41, v41, v27, 0x7fff
	v_lshrrev_b32_e32 v24, 24, v24
	v_cvt_f32_fp8_e32 v30, v30
	v_or_b32_e32 v44, 0x400000, v23
	s_wait_alu 0xf1ff
	v_cndmask_b32_e64 v25, v37, v38, s0
	v_cmp_u_f32_e64 s0, v26, v26
	v_bfe_u32 v45, v28, 16, 1
	v_add3_u32 v43, v43, v23, 0x7fff
	v_dual_mul_f32 v30, s11, v30 :: v_dual_add_nc_u32 v33, 4, v16
	s_wait_alu 0xf1ff
	v_cndmask_b32_e64 v26, v39, v40, s0
	v_cmp_u_f32_e64 s0, v27, v27
	v_cvt_f32_fp8_e32 v24, v24
	v_or_b32_e32 v46, 0x400000, v28
	v_bfe_u32 v47, v29, 16, 1
	v_add3_u32 v45, v45, v28, 0x7fff
	s_wait_alu 0xf1ff
	v_cndmask_b32_e64 v27, v41, v42, s0
	v_cmp_u_f32_e64 s0, v23, v23
	v_mul_f32_e32 v24, s11, v24
	v_or_b32_e32 v48, 0x400000, v29
	v_bfe_u32 v49, v30, 16, 1
	v_add3_u32 v47, v47, v29, 0x7fff
	s_wait_alu 0xf1ff
	v_cndmask_b32_e64 v23, v43, v44, s0
	v_cmp_u_f32_e64 s0, v28, v28
	v_or_b32_e32 v50, 0x400000, v30
	v_bfe_u32 v51, v24, 16, 1
	v_add3_u32 v49, v49, v30, 0x7fff
	v_or_b32_e32 v52, 0x400000, v24
	s_wait_alu 0xf1ff
	v_cndmask_b32_e64 v37, v45, v46, s0
	v_cmp_u_f32_e64 s0, v29, v29
	v_add3_u32 v51, v51, v24, 0x7fff
	v_lshrrev_b32_e32 v29, 16, v25
	v_lshrrev_b32_e32 v27, 16, v27
	;; [unrolled: 1-line block ×3, first 2 shown]
	s_wait_alu 0xf1ff
	v_cndmask_b32_e64 v38, v47, v48, s0
	v_cmp_u_f32_e64 s0, v30, v30
	v_lshrrev_b32_e32 v30, 16, v26
	v_lshrrev_b32_e32 v25, 16, v37
	s_delay_alu instid0(VALU_DEP_4) | instskip(SKIP_4) | instid1(VALU_DEP_3)
	v_lshrrev_b32_e32 v26, 16, v38
	s_wait_alu 0xf1ff
	v_cndmask_b32_e64 v39, v49, v50, s0
	v_cmp_u_f32_e64 s0, v24, v24
	v_add_nc_u32_e32 v38, 7, v16
	v_lshrrev_b32_e32 v23, 16, v39
	s_wait_alu 0xf1ff
	s_delay_alu instid0(VALU_DEP_3) | instskip(NEXT) | instid1(VALU_DEP_1)
	v_cndmask_b32_e64 v24, v51, v52, s0
	v_lshrrev_b32_e32 v24, 16, v24
	s_and_saveexec_b32 s12, vcc_lo
	s_cbranch_execz .LBB316_45
; %bb.44:                               ;   in Loop: Header=BB316_42 Depth=1
	v_cmp_gt_i32_e64 s0, s36, v16
	s_wait_alu 0xf1ff
	s_delay_alu instid0(VALU_DEP_1) | instskip(SKIP_2) | instid1(VALU_DEP_1)
	v_cndmask_b32_e64 v29, 0, v29, s0
	v_cmp_gt_i32_e64 s0, s36, v36
	s_wait_alu 0xf1ff
	v_cndmask_b32_e64 v30, 0, v30, s0
	v_cmp_gt_i32_e64 s0, s36, v35
	s_wait_alu 0xf1ff
	s_delay_alu instid0(VALU_DEP_1) | instskip(SKIP_2) | instid1(VALU_DEP_1)
	v_cndmask_b32_e64 v27, 0, v27, s0
	v_cmp_gt_i32_e64 s0, s36, v34
	s_wait_alu 0xf1ff
	v_cndmask_b32_e64 v28, 0, v28, s0
	;; [unrolled: 7-line block ×4, first 2 shown]
.LBB316_45:                             ;   in Loop: Header=BB316_42 Depth=1
	s_wait_alu 0xfffe
	s_or_b32 exec_lo, exec_lo, s12
	global_load_b64 v[39:40], v[13:14], off offset:256
	s_wait_loadcnt 0x0
	v_bfe_u32 v42, v39, 16, 8
	v_bfe_u32 v41, v39, 8, 8
	;; [unrolled: 1-line block ×3, first 2 shown]
	v_and_b32_e32 v43, 0xff, v40
	v_bfe_u32 v45, v40, 16, 8
	v_cvt_f32_fp8_e32 v42, v42
	v_and_b32_e32 v37, 0xff, v39
	v_lshrrev_b32_e32 v40, 24, v40
	v_cvt_f32_fp8_e32 v41, v41
	v_cvt_f32_fp8_e32 v44, v44
	v_mul_f32_e32 v42, s11, v42
	v_cvt_f32_fp8_e32 v37, v37
	v_lshrrev_b32_e32 v39, 24, v39
	v_cvt_f32_fp8_e32 v40, v40
	v_dual_mul_f32 v41, s11, v41 :: v_dual_mul_f32 v44, s11, v44
	s_delay_alu instid0(VALU_DEP_4) | instskip(NEXT) | instid1(VALU_DEP_4)
	v_mul_f32_e32 v37, s11, v37
	v_cvt_f32_fp8_e32 v39, v39
	s_delay_alu instid0(VALU_DEP_4) | instskip(NEXT) | instid1(VALU_DEP_4)
	v_mul_f32_e32 v40, s11, v40
	v_bfe_u32 v48, v41, 16, 1
	v_cvt_f32_fp8_e32 v43, v43
	v_bfe_u32 v46, v37, 16, 1
	v_or_b32_e32 v47, 0x400000, v37
	v_cmp_u_f32_e64 s0, v37, v37
	v_mul_f32_e32 v39, s11, v39
	v_or_b32_e32 v49, 0x400000, v41
	v_add3_u32 v46, v46, v37, 0x7fff
	v_bfe_u32 v50, v42, 16, 1
	v_add3_u32 v48, v48, v41, 0x7fff
	v_mul_f32_e32 v43, s11, v43
	v_or_b32_e32 v51, 0x400000, v42
	s_wait_alu 0xf1ff
	v_cndmask_b32_e64 v37, v46, v47, s0
	v_cmp_u_f32_e64 s0, v41, v41
	v_bfe_u32 v52, v39, 16, 1
	v_add3_u32 v50, v50, v42, 0x7fff
	v_cvt_f32_fp8_e32 v45, v45
	v_or_b32_e32 v53, 0x400000, v39
	s_wait_alu 0xf1ff
	v_cndmask_b32_e64 v41, v48, v49, s0
	v_cmp_u_f32_e64 s0, v42, v42
	v_bfe_u32 v54, v43, 16, 1
	v_add3_u32 v52, v52, v39, 0x7fff
	v_mul_f32_e32 v45, s11, v45
	v_or_b32_e32 v55, 0x400000, v43
	s_wait_alu 0xf1ff
	v_cndmask_b32_e64 v42, v50, v51, s0
	v_cmp_u_f32_e64 s0, v39, v39
	v_bfe_u32 v56, v44, 16, 1
	v_add3_u32 v54, v54, v43, 0x7fff
	v_or_b32_e32 v57, 0x400000, v44
	v_bfe_u32 v58, v45, 16, 1
	s_wait_alu 0xf1ff
	v_cndmask_b32_e64 v39, v52, v53, s0
	v_cmp_u_f32_e64 s0, v43, v43
	v_add3_u32 v56, v56, v44, 0x7fff
	v_or_b32_e32 v59, 0x400000, v45
	v_bfe_u32 v60, v40, 16, 1
	v_add3_u32 v58, v58, v45, 0x7fff
	s_wait_alu 0xf1ff
	v_cndmask_b32_e64 v43, v54, v55, s0
	v_cmp_u_f32_e64 s0, v44, v44
	v_or_b32_e32 v61, 0x400000, v40
	v_add3_u32 v60, v60, v40, 0x7fff
	v_lshrrev_b32_e32 v50, 16, v37
	v_lshrrev_b32_e32 v51, 16, v41
	s_wait_alu 0xf1ff
	v_cndmask_b32_e64 v44, v56, v57, s0
	v_cmp_u_f32_e64 s0, v45, v45
	v_lshrrev_b32_e32 v48, 16, v42
	v_lshrrev_b32_e32 v49, 16, v39
	;; [unrolled: 1-line block ×4, first 2 shown]
	s_wait_alu 0xf1ff
	v_cndmask_b32_e64 v46, v58, v59, s0
	v_cmp_u_f32_e64 s0, v40, v40
	s_delay_alu instid0(VALU_DEP_2) | instskip(SKIP_1) | instid1(VALU_DEP_2)
	v_lshrrev_b32_e32 v41, 16, v46
	s_wait_alu 0xf1ff
	v_cndmask_b32_e64 v40, v60, v61, s0
	s_delay_alu instid0(VALU_DEP_1)
	v_lshrrev_b32_e32 v43, 16, v40
	s_and_saveexec_b32 s12, vcc_lo
	s_cbranch_execz .LBB316_47
; %bb.46:                               ;   in Loop: Header=BB316_42 Depth=1
	v_cmp_gt_i32_e64 s0, s36, v16
	s_wait_alu 0xf1ff
	s_delay_alu instid0(VALU_DEP_1) | instskip(SKIP_2) | instid1(VALU_DEP_1)
	v_cndmask_b32_e64 v50, 0, v50, s0
	v_cmp_gt_i32_e64 s0, s36, v36
	s_wait_alu 0xf1ff
	v_cndmask_b32_e64 v51, 0, v51, s0
	v_cmp_gt_i32_e64 s0, s36, v35
	s_wait_alu 0xf1ff
	s_delay_alu instid0(VALU_DEP_1) | instskip(SKIP_2) | instid1(VALU_DEP_1)
	v_cndmask_b32_e64 v48, 0, v48, s0
	v_cmp_gt_i32_e64 s0, s36, v34
	s_wait_alu 0xf1ff
	v_cndmask_b32_e64 v49, 0, v49, s0
	;; [unrolled: 7-line block ×4, first 2 shown]
.LBB316_47:                             ;   in Loop: Header=BB316_42 Depth=1
	s_wait_alu 0xfffe
	s_or_b32 exec_lo, exec_lo, s12
	global_load_b64 v[13:14], v[13:14], off offset:512
	s_wait_loadcnt 0x0
	v_bfe_u32 v40, v13, 16, 8
	v_bfe_u32 v39, v13, 8, 8
	;; [unrolled: 1-line block ×4, first 2 shown]
	s_delay_alu instid0(VALU_DEP_4)
	v_cvt_f32_fp8_e32 v40, v40
	v_and_b32_e32 v37, 0xff, v13
	v_cvt_f32_fp8_e32 v39, v39
	v_lshrrev_b32_e32 v13, 24, v13
	v_cvt_f32_fp8_e32 v44, v44
	v_mul_f32_e32 v40, s11, v40
	v_cvt_f32_fp8_e32 v37, v37
	v_and_b32_e32 v42, 0xff, v14
	v_cvt_f32_fp8_e32 v13, v13
	v_lshrrev_b32_e32 v14, 24, v14
	v_bfe_u32 v56, v40, 16, 1
	v_mul_f32_e32 v37, s11, v37
	v_cvt_f32_fp8_e32 v42, v42
	v_mul_f32_e32 v39, s11, v39
	v_dual_mul_f32 v13, s11, v13 :: v_dual_mul_f32 v44, s11, v44
	s_delay_alu instid0(VALU_DEP_4) | instskip(NEXT) | instid1(VALU_DEP_4)
	v_bfe_u32 v52, v37, 16, 1
	v_mul_f32_e32 v42, s11, v42
	v_or_b32_e32 v53, 0x400000, v37
	v_bfe_u32 v54, v39, 16, 1
	v_cmp_u_f32_e64 s0, v37, v37
	v_add3_u32 v52, v52, v37, 0x7fff
	v_or_b32_e32 v55, 0x400000, v39
	v_or_b32_e32 v57, 0x400000, v40
	v_add3_u32 v54, v54, v39, 0x7fff
	v_bfe_u32 v58, v13, 16, 1
	s_wait_alu 0xf1ff
	v_cndmask_b32_e64 v37, v52, v53, s0
	v_cmp_u_f32_e64 s0, v39, v39
	v_add3_u32 v56, v56, v40, 0x7fff
	v_cvt_f32_fp8_e32 v46, v46
	v_or_b32_e32 v59, 0x400000, v13
	v_bfe_u32 v60, v42, 16, 1
	s_wait_alu 0xf1ff
	v_cndmask_b32_e64 v39, v54, v55, s0
	v_cmp_u_f32_e64 s0, v40, v40
	v_add3_u32 v58, v58, v13, 0x7fff
	v_cvt_f32_fp8_e32 v14, v14
	v_mul_f32_e32 v46, s11, v46
	v_or_b32_e32 v61, 0x400000, v42
	s_wait_alu 0xf1ff
	v_cndmask_b32_e64 v40, v56, v57, s0
	v_cmp_u_f32_e64 s0, v13, v13
	v_bfe_u32 v62, v44, 16, 1
	v_add3_u32 v60, v60, v42, 0x7fff
	v_mul_f32_e32 v14, s11, v14
	v_or_b32_e32 v63, 0x400000, v44
	s_wait_alu 0xf1ff
	v_cndmask_b32_e64 v13, v58, v59, s0
	v_cmp_u_f32_e64 s0, v42, v42
	v_bfe_u32 v64, v46, 16, 1
	v_add3_u32 v62, v62, v44, 0x7fff
	v_or_b32_e32 v65, 0x400000, v46
	v_bfe_u32 v66, v14, 16, 1
	s_wait_alu 0xf1ff
	v_cndmask_b32_e64 v52, v60, v61, s0
	v_cmp_u_f32_e64 s0, v44, v44
	v_add3_u32 v64, v64, v46, 0x7fff
	v_or_b32_e32 v67, 0x400000, v14
	v_add3_u32 v66, v66, v14, 0x7fff
	v_lshrrev_b32_e32 v44, 16, v37
	s_wait_alu 0xf1ff
	v_cndmask_b32_e64 v53, v62, v63, s0
	v_cmp_u_f32_e64 s0, v46, v46
	v_lshrrev_b32_e32 v46, 16, v39
	v_lshrrev_b32_e32 v40, 16, v40
	;; [unrolled: 1-line block ×4, first 2 shown]
	s_wait_alu 0xf1ff
	v_cndmask_b32_e64 v54, v64, v65, s0
	v_cmp_u_f32_e64 s0, v14, v14
	v_lshrrev_b32_e32 v39, 16, v53
	s_delay_alu instid0(VALU_DEP_3) | instskip(SKIP_1) | instid1(VALU_DEP_3)
	v_lshrrev_b32_e32 v13, 16, v54
	s_wait_alu 0xf1ff
	v_cndmask_b32_e64 v14, v66, v67, s0
	s_delay_alu instid0(VALU_DEP_1)
	v_lshrrev_b32_e32 v14, 16, v14
	s_and_saveexec_b32 s0, vcc_lo
	s_cbranch_execz .LBB316_40
; %bb.48:                               ;   in Loop: Header=BB316_42 Depth=1
	v_cmp_gt_i32_e32 vcc_lo, s36, v16
	s_wait_alu 0xfffd
	v_cndmask_b32_e32 v44, 0, v44, vcc_lo
	v_cmp_gt_i32_e32 vcc_lo, s36, v36
	s_wait_alu 0xfffd
	v_cndmask_b32_e32 v46, 0, v46, vcc_lo
	v_cmp_gt_i32_e32 vcc_lo, s36, v35
	s_wait_alu 0xfffd
	v_cndmask_b32_e32 v40, 0, v40, vcc_lo
	v_cmp_gt_i32_e32 vcc_lo, s36, v34
	s_wait_alu 0xfffd
	v_cndmask_b32_e32 v42, 0, v42, vcc_lo
	v_cmp_gt_i32_e32 vcc_lo, s36, v33
	s_wait_alu 0xfffd
	v_cndmask_b32_e32 v37, 0, v37, vcc_lo
	v_cmp_gt_i32_e32 vcc_lo, s36, v32
	s_wait_alu 0xfffd
	v_cndmask_b32_e32 v39, 0, v39, vcc_lo
	v_cmp_gt_i32_e32 vcc_lo, s36, v31
	s_wait_alu 0xfffd
	v_cndmask_b32_e32 v13, 0, v13, vcc_lo
	v_cmp_gt_i32_e32 vcc_lo, s36, v38
	s_wait_alu 0xfffd
	v_cndmask_b32_e32 v14, 0, v14, vcc_lo
	s_branch .LBB316_40
.LBB316_49:
	s_or_b32 exec_lo, exec_lo, s5
.LBB316_50:
	s_wait_alu 0xfffe
	s_or_b32 exec_lo, exec_lo, s1
	v_lshl_add_u32 v2, v18, 2, 0xe0
	v_and_b32_e32 v3, 0x3c0, v0
	s_mov_b32 s0, exec_lo
	s_wait_loadcnt 0x0
	s_wait_storecnt 0x0
	s_barrier_signal -1
	v_mad_u32_u24 v1, 0x180, v15, v2
	s_barrier_wait -1
	global_inv scope:SCOPE_SE
	v_cmpx_eq_u32_e32 64, v3
	s_cbranch_execz .LBB316_52
; %bb.51:
	v_add_nc_u32_e32 v3, 0xfffffd00, v1
	v_add_nc_u32_e32 v4, 0xfffffd80, v1
	;; [unrolled: 1-line block ×3, first 2 shown]
	ds_store_b32 v3, v21
	ds_store_b32 v4, v20
	;; [unrolled: 1-line block ×3, first 2 shown]
.LBB316_52:
	s_wait_alu 0xfffe
	s_or_b32 exec_lo, exec_lo, s0
	s_delay_alu instid0(SALU_CYCLE_1)
	s_mov_b32 s0, exec_lo
	s_wait_loadcnt_dscnt 0x0
	s_barrier_signal -1
	s_barrier_wait -1
	global_inv scope:SCOPE_SE
	v_cmpx_gt_u32_e32 64, v0
	s_cbranch_execz .LBB316_54
; %bb.53:
	ds_load_2addr_b32 v[3:4], v1 offset1:32
	ds_load_b32 v5, v1 offset:256
	s_wait_dscnt 0x1
	v_dual_add_f32 v21, v21, v3 :: v_dual_add_f32 v20, v20, v4
	s_wait_dscnt 0x0
	v_add_f32_e32 v19, v19, v5
.LBB316_54:
	s_wait_alu 0xfffe
	s_or_b32 exec_lo, exec_lo, s0
	v_and_b32_e32 v3, 0x3e0, v0
	s_mov_b32 s0, exec_lo
	s_wait_loadcnt 0x0
	s_barrier_signal -1
	s_barrier_wait -1
	global_inv scope:SCOPE_SE
	v_cmpx_eq_u32_e32 32, v3
	s_cbranch_execz .LBB316_56
; %bb.55:
	ds_store_2addr_b32 v2, v21, v20 offset1:32
	ds_store_b32 v2, v19 offset:256
.LBB316_56:
	s_wait_alu 0xfffe
	s_or_b32 exec_lo, exec_lo, s0
	v_cmp_gt_u32_e32 vcc_lo, 32, v0
	s_wait_loadcnt_dscnt 0x0
	s_barrier_signal -1
	s_barrier_wait -1
	global_inv scope:SCOPE_SE
	s_and_saveexec_b32 s0, vcc_lo
	s_cbranch_execz .LBB316_58
; %bb.57:
	ds_load_2addr_b32 v[2:3], v1 offset1:32
	ds_load_b32 v1, v1 offset:256
	s_wait_dscnt 0x1
	v_dual_add_f32 v21, v21, v2 :: v_dual_add_f32 v20, v20, v3
	s_wait_dscnt 0x0
	v_add_f32_e32 v19, v19, v1
.LBB316_58:
	s_wait_alu 0xfffe
	s_or_b32 exec_lo, exec_lo, s0
	s_wait_loadcnt 0x0
	s_barrier_signal -1
	s_barrier_wait -1
	global_inv scope:SCOPE_SE
	s_and_saveexec_b32 s0, vcc_lo
	s_cbranch_execz .LBB316_60
; %bb.59:
	v_bfe_u32 v1, v21, 16, 1
	v_bfe_u32 v2, v20, 16, 1
	v_or_b32_e32 v4, 0x400000, v21
	v_cmp_u_f32_e32 vcc_lo, v21, v21
	v_bfe_u32 v3, v19, 16, 1
	v_add3_u32 v1, v1, v21, 0x7fff
	v_add3_u32 v2, v2, v20, 0x7fff
	v_or_b32_e32 v5, 0x400000, v20
	s_mul_i32 s0, s10, 0x60
	s_mul_i32 s2, s16, s24
	s_wait_alu 0xfffd
	v_cndmask_b32_e32 v1, v1, v4, vcc_lo
	v_cmp_u_f32_e32 vcc_lo, v20, v20
	s_wait_alu 0xfffe
	s_ashr_i32 s1, s0, 31
	s_ashr_i32 s3, s2, 31
	s_wait_alu 0xfffe
	s_lshl_b64 s[0:1], s[0:1], 1
	v_add3_u32 v3, v3, v19, 0x7fff
	v_or_b32_e32 v6, 0x400000, v19
	s_wait_alu 0xfffd
	v_cndmask_b32_e32 v2, v2, v5, vcc_lo
	v_cmp_u_f32_e32 vcc_lo, v19, v19
	s_lshl_b64 s[2:3], s[2:3], 1
	s_wait_kmcnt 0x0
	s_wait_alu 0xfffe
	s_add_nc_u64 s[0:1], s[8:9], s[0:1]
	v_lshlrev_b32_e32 v0, 1, v0
	s_mul_i32 s4, s33, 0xc0
	s_wait_alu 0xfffe
	s_add_nc_u64 s[0:1], s[0:1], s[2:3]
	s_mov_b32 s5, 0
	s_wait_alu 0xfffd
	v_cndmask_b32_e32 v3, v3, v6, vcc_lo
	s_wait_alu 0xfffe
	s_add_nc_u64 s[0:1], s[0:1], s[4:5]
	s_clause 0x2
	global_store_d16_hi_b16 v0, v1, s[0:1]
	global_store_d16_hi_b16 v0, v2, s[0:1] offset:64
	global_store_d16_hi_b16 v0, v3, s[0:1] offset:128
.LBB316_60:
	s_nop 0
	s_sendmsg sendmsg(MSG_DEALLOC_VGPRS)
	s_endpgm
	.section	.rodata,"a",@progbits
	.p2align	6, 0x0
	.amdhsa_kernel _ZN4vllm25paged_attention_v2_kernelI14__hip_bfloat16hLi96ELi8ELi128ELNS_18Fp8KVCacheDataTypeE1ELb1ELi512EEEvPfS3_PT_PKS4_PKT0_SA_ifPKiSC_iPKfiiiSE_SE_iiiii
		.amdhsa_group_segment_fixed_size 224
		.amdhsa_private_segment_fixed_size 0
		.amdhsa_kernarg_size 400
		.amdhsa_user_sgpr_count 2
		.amdhsa_user_sgpr_dispatch_ptr 0
		.amdhsa_user_sgpr_queue_ptr 0
		.amdhsa_user_sgpr_kernarg_segment_ptr 1
		.amdhsa_user_sgpr_dispatch_id 0
		.amdhsa_user_sgpr_private_segment_size 0
		.amdhsa_wavefront_size32 1
		.amdhsa_uses_dynamic_stack 0
		.amdhsa_enable_private_segment 0
		.amdhsa_system_sgpr_workgroup_id_x 1
		.amdhsa_system_sgpr_workgroup_id_y 1
		.amdhsa_system_sgpr_workgroup_id_z 1
		.amdhsa_system_sgpr_workgroup_info 0
		.amdhsa_system_vgpr_workitem_id 0
		.amdhsa_next_free_vgpr 101
		.amdhsa_next_free_sgpr 49
		.amdhsa_reserve_vcc 1
		.amdhsa_float_round_mode_32 0
		.amdhsa_float_round_mode_16_64 0
		.amdhsa_float_denorm_mode_32 3
		.amdhsa_float_denorm_mode_16_64 3
		.amdhsa_fp16_overflow 0
		.amdhsa_workgroup_processor_mode 1
		.amdhsa_memory_ordered 1
		.amdhsa_forward_progress 1
		.amdhsa_inst_pref_size 85
		.amdhsa_round_robin_scheduling 0
		.amdhsa_exception_fp_ieee_invalid_op 0
		.amdhsa_exception_fp_denorm_src 0
		.amdhsa_exception_fp_ieee_div_zero 0
		.amdhsa_exception_fp_ieee_overflow 0
		.amdhsa_exception_fp_ieee_underflow 0
		.amdhsa_exception_fp_ieee_inexact 0
		.amdhsa_exception_int_div_zero 0
	.end_amdhsa_kernel
	.section	.text._ZN4vllm25paged_attention_v2_kernelI14__hip_bfloat16hLi96ELi8ELi128ELNS_18Fp8KVCacheDataTypeE1ELb1ELi512EEEvPfS3_PT_PKS4_PKT0_SA_ifPKiSC_iPKfiiiSE_SE_iiiii,"axG",@progbits,_ZN4vllm25paged_attention_v2_kernelI14__hip_bfloat16hLi96ELi8ELi128ELNS_18Fp8KVCacheDataTypeE1ELb1ELi512EEEvPfS3_PT_PKS4_PKT0_SA_ifPKiSC_iPKfiiiSE_SE_iiiii,comdat
.Lfunc_end316:
	.size	_ZN4vllm25paged_attention_v2_kernelI14__hip_bfloat16hLi96ELi8ELi128ELNS_18Fp8KVCacheDataTypeE1ELb1ELi512EEEvPfS3_PT_PKS4_PKT0_SA_ifPKiSC_iPKfiiiSE_SE_iiiii, .Lfunc_end316-_ZN4vllm25paged_attention_v2_kernelI14__hip_bfloat16hLi96ELi8ELi128ELNS_18Fp8KVCacheDataTypeE1ELb1ELi512EEEvPfS3_PT_PKS4_PKT0_SA_ifPKiSC_iPKfiiiSE_SE_iiiii
                                        ; -- End function
	.set _ZN4vllm25paged_attention_v2_kernelI14__hip_bfloat16hLi96ELi8ELi128ELNS_18Fp8KVCacheDataTypeE1ELb1ELi512EEEvPfS3_PT_PKS4_PKT0_SA_ifPKiSC_iPKfiiiSE_SE_iiiii.num_vgpr, 101
	.set _ZN4vllm25paged_attention_v2_kernelI14__hip_bfloat16hLi96ELi8ELi128ELNS_18Fp8KVCacheDataTypeE1ELb1ELi512EEEvPfS3_PT_PKS4_PKT0_SA_ifPKiSC_iPKfiiiSE_SE_iiiii.num_agpr, 0
	.set _ZN4vllm25paged_attention_v2_kernelI14__hip_bfloat16hLi96ELi8ELi128ELNS_18Fp8KVCacheDataTypeE1ELb1ELi512EEEvPfS3_PT_PKS4_PKT0_SA_ifPKiSC_iPKfiiiSE_SE_iiiii.numbered_sgpr, 49
	.set _ZN4vllm25paged_attention_v2_kernelI14__hip_bfloat16hLi96ELi8ELi128ELNS_18Fp8KVCacheDataTypeE1ELb1ELi512EEEvPfS3_PT_PKS4_PKT0_SA_ifPKiSC_iPKfiiiSE_SE_iiiii.num_named_barrier, 0
	.set _ZN4vllm25paged_attention_v2_kernelI14__hip_bfloat16hLi96ELi8ELi128ELNS_18Fp8KVCacheDataTypeE1ELb1ELi512EEEvPfS3_PT_PKS4_PKT0_SA_ifPKiSC_iPKfiiiSE_SE_iiiii.private_seg_size, 0
	.set _ZN4vllm25paged_attention_v2_kernelI14__hip_bfloat16hLi96ELi8ELi128ELNS_18Fp8KVCacheDataTypeE1ELb1ELi512EEEvPfS3_PT_PKS4_PKT0_SA_ifPKiSC_iPKfiiiSE_SE_iiiii.uses_vcc, 1
	.set _ZN4vllm25paged_attention_v2_kernelI14__hip_bfloat16hLi96ELi8ELi128ELNS_18Fp8KVCacheDataTypeE1ELb1ELi512EEEvPfS3_PT_PKS4_PKT0_SA_ifPKiSC_iPKfiiiSE_SE_iiiii.uses_flat_scratch, 0
	.set _ZN4vllm25paged_attention_v2_kernelI14__hip_bfloat16hLi96ELi8ELi128ELNS_18Fp8KVCacheDataTypeE1ELb1ELi512EEEvPfS3_PT_PKS4_PKT0_SA_ifPKiSC_iPKfiiiSE_SE_iiiii.has_dyn_sized_stack, 0
	.set _ZN4vllm25paged_attention_v2_kernelI14__hip_bfloat16hLi96ELi8ELi128ELNS_18Fp8KVCacheDataTypeE1ELb1ELi512EEEvPfS3_PT_PKS4_PKT0_SA_ifPKiSC_iPKfiiiSE_SE_iiiii.has_recursion, 0
	.set _ZN4vllm25paged_attention_v2_kernelI14__hip_bfloat16hLi96ELi8ELi128ELNS_18Fp8KVCacheDataTypeE1ELb1ELi512EEEvPfS3_PT_PKS4_PKT0_SA_ifPKiSC_iPKfiiiSE_SE_iiiii.has_indirect_call, 0
	.section	.AMDGPU.csdata,"",@progbits
; Kernel info:
; codeLenInByte = 10852
; TotalNumSgprs: 51
; NumVgprs: 101
; ScratchSize: 0
; MemoryBound: 0
; FloatMode: 240
; IeeeMode: 1
; LDSByteSize: 224 bytes/workgroup (compile time only)
; SGPRBlocks: 0
; VGPRBlocks: 12
; NumSGPRsForWavesPerEU: 51
; NumVGPRsForWavesPerEU: 101
; Occupancy: 12
; WaveLimiterHint : 1
; COMPUTE_PGM_RSRC2:SCRATCH_EN: 0
; COMPUTE_PGM_RSRC2:USER_SGPR: 2
; COMPUTE_PGM_RSRC2:TRAP_HANDLER: 0
; COMPUTE_PGM_RSRC2:TGID_X_EN: 1
; COMPUTE_PGM_RSRC2:TGID_Y_EN: 1
; COMPUTE_PGM_RSRC2:TGID_Z_EN: 1
; COMPUTE_PGM_RSRC2:TIDIG_COMP_CNT: 0
	.section	.text._ZN4vllm25paged_attention_v2_kernelI14__hip_bfloat16hLi112ELi8ELi128ELNS_18Fp8KVCacheDataTypeE1ELb1ELi512EEEvPfS3_PT_PKS4_PKT0_SA_ifPKiSC_iPKfiiiSE_SE_iiiii,"axG",@progbits,_ZN4vllm25paged_attention_v2_kernelI14__hip_bfloat16hLi112ELi8ELi128ELNS_18Fp8KVCacheDataTypeE1ELb1ELi512EEEvPfS3_PT_PKS4_PKT0_SA_ifPKiSC_iPKfiiiSE_SE_iiiii,comdat
	.protected	_ZN4vllm25paged_attention_v2_kernelI14__hip_bfloat16hLi112ELi8ELi128ELNS_18Fp8KVCacheDataTypeE1ELb1ELi512EEEvPfS3_PT_PKS4_PKT0_SA_ifPKiSC_iPKfiiiSE_SE_iiiii ; -- Begin function _ZN4vllm25paged_attention_v2_kernelI14__hip_bfloat16hLi112ELi8ELi128ELNS_18Fp8KVCacheDataTypeE1ELb1ELi512EEEvPfS3_PT_PKS4_PKT0_SA_ifPKiSC_iPKfiiiSE_SE_iiiii
	.globl	_ZN4vllm25paged_attention_v2_kernelI14__hip_bfloat16hLi112ELi8ELi128ELNS_18Fp8KVCacheDataTypeE1ELb1ELi512EEEvPfS3_PT_PKS4_PKT0_SA_ifPKiSC_iPKfiiiSE_SE_iiiii
	.p2align	8
	.type	_ZN4vllm25paged_attention_v2_kernelI14__hip_bfloat16hLi112ELi8ELi128ELNS_18Fp8KVCacheDataTypeE1ELb1ELi512EEEvPfS3_PT_PKS4_PKT0_SA_ifPKiSC_iPKfiiiSE_SE_iiiii,@function
_ZN4vllm25paged_attention_v2_kernelI14__hip_bfloat16hLi112ELi8ELi128ELNS_18Fp8KVCacheDataTypeE1ELb1ELi512EEEvPfS3_PT_PKS4_PKT0_SA_ifPKiSC_iPKfiiiSE_SE_iiiii: ; @_ZN4vllm25paged_attention_v2_kernelI14__hip_bfloat16hLi112ELi8ELi128ELNS_18Fp8KVCacheDataTypeE1ELb1ELi512EEEvPfS3_PT_PKS4_PKT0_SA_ifPKiSC_iPKfiiiSE_SE_iiiii
; %bb.0:
	s_load_b64 s[2:3], s[0:1], 0x40
	s_and_b32 s22, ttmp7, 0xffff
	s_lshr_b32 s33, ttmp7, 16
	s_lshl_b32 s4, s22, 2
	s_lshl_b32 s36, s33, 9
	s_wait_kmcnt 0x0
	s_load_b32 s40, s[2:3], s4 offset:0x0
	s_wait_kmcnt 0x0
	s_cmp_ge_i32 s36, s40
	s_cbranch_scc1 .LBB317_71
; %bb.1:
	s_clause 0x1
	s_load_b32 s23, s[0:1], 0x90
	s_load_b64 s[6:7], s[0:1], 0x30
	s_wait_kmcnt 0x0
	s_abs_i32 s5, s23
	s_abs_i32 s2, s6
	s_delay_alu instid0(SALU_CYCLE_1) | instskip(SKIP_1) | instid1(SALU_CYCLE_2)
	s_cvt_f32_u32 s3, s2
	s_sub_co_i32 s4, 0, s2
	v_rcp_iflag_f32_e32 v1, s3
	s_delay_alu instid0(TRANS32_DEP_1) | instskip(SKIP_2) | instid1(SALU_CYCLE_2)
	v_readfirstlane_b32 s3, v1
	s_mul_f32 s3, s3, 0x4f7ffffe
	s_wait_alu 0xfffe
	s_cvt_u32_f32 s3, s3
	s_wait_alu 0xfffe
	s_delay_alu instid0(SALU_CYCLE_2) | instskip(NEXT) | instid1(SALU_CYCLE_1)
	s_mul_i32 s4, s4, s3
	s_mul_hi_u32 s4, s3, s4
	s_delay_alu instid0(SALU_CYCLE_1)
	s_add_co_i32 s3, s3, s4
	s_xor_b32 s4, s23, s6
	s_wait_alu 0xfffe
	s_mul_hi_u32 s3, s5, s3
	s_ashr_i32 s4, s4, 31
	s_wait_alu 0xfffe
	s_mul_i32 s8, s3, s2
	s_delay_alu instid0(SALU_CYCLE_1)
	s_sub_co_i32 s5, s5, s8
	s_add_co_i32 s8, s3, 1
	s_sub_co_i32 s9, s5, s2
	s_cmp_ge_u32 s5, s2
	s_cselect_b32 s3, s8, s3
	s_cselect_b32 s5, s9, s5
	s_wait_alu 0xfffe
	s_add_co_i32 s8, s3, 1
	s_cmp_ge_u32 s5, s2
	s_cselect_b32 s2, s8, s3
	s_load_b64 s[8:9], s[0:1], 0x50
	s_xor_b32 s2, s2, s4
	s_mov_b32 s3, 0
	s_wait_alu 0xfffe
	s_sub_co_i32 s10, s2, s4
	s_mov_b32 s20, s3
	s_abs_i32 s15, s10
	s_delay_alu instid0(SALU_CYCLE_1) | instskip(SKIP_1) | instid1(SALU_CYCLE_2)
	s_cvt_f32_u32 s2, s15
	s_wait_alu 0xfffe
	v_rcp_iflag_f32_e32 v1, s2
	s_delay_alu instid0(TRANS32_DEP_1) | instskip(SKIP_2) | instid1(SALU_CYCLE_2)
	v_readfirstlane_b32 s2, v1
	s_mul_f32 s2, s2, 0x4f7ffffe
	s_wait_alu 0xfffe
	s_cvt_u32_f32 s4, s2
	s_sub_co_i32 s2, 0, s15
	s_wait_alu 0xfffe
	s_delay_alu instid0(SALU_CYCLE_1)
	s_mul_i32 s2, s2, s4
	s_wait_alu 0xfffe
	s_mul_hi_u32 s5, s4, s2
	s_abs_i32 s2, ttmp9
	s_add_co_i32 s4, s4, s5
	s_mov_b32 s5, s3
	s_wait_kmcnt 0x0
	s_cmp_eq_u64 s[8:9], 0
	s_cbranch_scc1 .LBB317_3
; %bb.2:
	s_mov_b32 s12, ttmp9
	s_ashr_i32 s13, ttmp9, 31
	s_delay_alu instid0(SALU_CYCLE_1) | instskip(NEXT) | instid1(SALU_CYCLE_1)
	s_lshl_b64 s[12:13], s[12:13], 2
	s_add_nc_u64 s[8:9], s[8:9], s[12:13]
	s_load_b32 s20, s[8:9], 0x0
.LBB317_3:
	s_load_b96 s[12:14], s[0:1], 0x58
	v_and_b32_e32 v1, 3, v0
	s_mul_u64 s[4:5], s[2:3], s[4:5]
	s_ashr_i32 s3, ttmp9, 31
	s_ashr_i32 s4, s10, 31
	s_mul_i32 s28, ttmp9, 0x70
	s_mov_b32 s8, exec_lo
	v_cmpx_gt_u32_e32 56, v0
	s_cbranch_execz .LBB317_5
; %bb.4:
	s_load_b64 s[10:11], s[0:1], 0x18
	s_wait_kmcnt 0x0
	s_mul_i32 s16, s12, s22
	s_ashr_i32 s29, s28, 31
	s_ashr_i32 s17, s16, 31
	v_lshlrev_b32_e32 v2, 2, v0
	s_lshl_b64 s[16:17], s[16:17], 1
	v_and_b32_e32 v3, 0x3fc, v0
	s_delay_alu instid0(VALU_DEP_1) | instskip(SKIP_2) | instid1(SALU_CYCLE_1)
	v_mad_u32_u24 v3, v1, 56, v3
	s_add_nc_u64 s[10:11], s[10:11], s[16:17]
	s_lshl_b64 s[16:17], s[28:29], 1
	s_add_nc_u64 s[10:11], s[10:11], s[16:17]
	global_load_b32 v2, v2, s[10:11]
	s_wait_loadcnt 0x0
	ds_store_b32 v3, v2
.LBB317_5:
	s_or_b32 exec_lo, exec_lo, s8
	s_load_b128 s[8:11], s[0:1], 0x78
	s_wait_kmcnt 0x0
	s_mul_i32 s12, s5, s15
	s_xor_b32 s3, s3, s4
	s_sub_co_i32 s2, s2, s12
	s_add_co_i32 s4, s5, 1
	s_wait_alu 0xfffe
	s_sub_co_i32 s12, s2, s15
	s_cmp_ge_u32 s2, s15
	s_mov_b32 s17, -1
	s_cselect_b32 s4, s4, s5
	s_cselect_b32 s2, s12, s2
	s_add_co_i32 s5, s4, 1
	s_wait_alu 0xfffe
	s_cmp_ge_u32 s2, s15
	s_load_b32 s12, s[0:1], 0x88
	s_cselect_b32 s2, s5, s4
	s_add_co_i32 s16, s40, -1
	s_wait_alu 0xfffe
	s_xor_b32 s2, s2, s3
	s_wait_dscnt 0x0
	s_wait_alu 0xfffe
	s_sub_co_i32 s15, s2, s3
	s_barrier_signal -1
	s_barrier_wait -1
	s_abs_i32 s41, s11
	global_inv scope:SCOPE_SE
	s_cvt_f32_u32 s4, s41
                                        ; implicit-def: $sgpr42
	s_delay_alu instid0(SALU_CYCLE_3) | instskip(NEXT) | instid1(TRANS32_DEP_1)
	v_rcp_iflag_f32_e32 v2, s4
	v_readfirstlane_b32 s4, v2
	s_mul_f32 s2, s4, 0x4f7ffffe
	s_wait_alu 0xfffe
	s_delay_alu instid0(SALU_CYCLE_2) | instskip(SKIP_2) | instid1(SALU_CYCLE_1)
	s_cvt_u32_f32 s4, s2
	s_sub_co_i32 s2, 0, s41
	s_wait_alu 0xfffe
	s_mul_i32 s3, s2, s4
	s_abs_i32 s2, s16
	s_wait_alu 0xfffe
	s_mul_hi_u32 s5, s4, s3
	s_mov_b32 s3, 0
	s_wait_alu 0xfffe
	s_add_co_i32 s30, s4, s5
	s_wait_kmcnt 0x0
	s_cmp_lt_i32 s12, 0
	s_mov_b32 s31, s3
	s_cbranch_scc0 .LBB317_7
; %bb.6:
	s_mul_i32 s4, s8, s6
	s_mov_b32 s17, s3
	s_wait_alu 0xfffe
	s_add_co_i32 s4, s15, s4
	s_wait_alu 0xfffe
	s_mul_i32 s4, s4, s12
	s_wait_alu 0xfffe
	s_sub_co_i32 s42, 1, s4
.LBB317_7:
	s_mul_u64 s[4:5], s[2:3], s[30:31]
	s_ashr_i32 s3, s16, 31
	s_and_not1_b32 vcc_lo, exec_lo, s17
	s_ashr_i32 s31, s11, 31
	s_cbranch_vccnz .LBB317_9
; %bb.8:
	s_mul_i32 s4, s23, s8
	s_wait_alu 0xfffe
	s_add_co_i32 s4, s4, ttmp9
	s_wait_alu 0xfffe
	s_mul_i32 s4, s4, s12
	s_wait_alu 0xfffe
	s_add_co_i32 s42, s4, 1
.LBB317_9:
	s_clause 0x3
	s_load_b32 s4, s[0:1], 0x48
	s_load_b64 s[16:17], s[0:1], 0x38
	s_load_b32 s29, s[0:1], 0x98
	s_load_b128 s[24:27], s[0:1], 0x68
	s_mul_i32 s6, s5, s41
	s_xor_b32 s3, s3, s31
	s_sub_co_i32 s2, s2, s6
	s_add_co_i32 s8, s5, 1
	v_lshrrev_b32_e32 v19, 5, v0
	v_mov_b32_e32 v26, 0xff7fffff
	v_mbcnt_lo_u32_b32 v22, -1, 0
	s_mul_i32 s14, s15, s14
	s_delay_alu instid0(VALU_DEP_3)
	v_lshl_add_u32 v20, v19, 3, s36
	s_wait_kmcnt 0x0
	s_mul_i32 s18, s4, s22
	s_wait_alu 0xfffe
	s_sub_co_i32 s4, s2, s41
	s_ashr_i32 s19, s18, 31
	s_cmp_ge_u32 s2, s41
	s_cselect_b32 s5, s8, s5
	s_wait_alu 0xfffe
	s_cselect_b32 s2, s4, s2
	s_add_co_i32 s4, s5, 1
	s_wait_alu 0xfffe
	s_cmp_ge_u32 s2, s41
	s_cselect_b32 s2, s4, s5
	s_add_co_i32 s4, s40, 7
	s_lshl_b32 s12, s33, 6
	s_wait_alu 0xfffe
	s_ashr_i32 s5, s4, 31
	v_or_b32_e32 v21, s12, v19
	s_wait_alu 0xfffe
	s_lshr_b32 s5, s5, 29
	s_wait_alu 0xfffe
	s_add_co_i32 s4, s4, s5
	s_add_co_i32 s5, s12, 64
	s_wait_alu 0xfffe
	s_ashr_i32 s8, s4, 3
	s_xor_b32 s4, s2, s3
	s_min_i32 s43, s5, s8
	v_lshlrev_b32_e32 v24, 2, v21
	v_cmp_gt_i32_e64 s2, s43, v21
	s_wait_alu 0xfffe
	s_sub_co_i32 s11, s4, s3
	s_and_saveexec_b32 s21, s2
	s_cbranch_execz .LBB317_21
; %bb.10:
	s_sub_co_i32 s34, s11, s9
	s_ashr_i32 s15, s14, 31
	s_cmp_neq_f32 s20, 0
	s_load_b64 s[4:5], s[0:1], 0x20
	v_bfe_u32 v23, v0, 2, 3
	v_dual_mov_b32 v30, 0xff7fffff :: v_dual_lshlrev_b32 v3, 1, v1
	s_cselect_b32 vcc_lo, -1, 0
	s_abs_i32 s35, s10
	v_mul_u32_u24_e32 v25, 56, v1
	s_cvt_f32_u32 s3, s35
	v_dual_mov_b32 v33, v21 :: v_dual_lshlrev_b32 v4, 2, v23
	v_mov_b32_e32 v26, 0xff7fffff
	s_wait_alu 0xfffe
	v_rcp_iflag_f32_e32 v2, s3
	v_cmp_eq_u32_e64 s3, 0, v1
	v_lshlrev_b32_e32 v1, 4, v23
	s_lshl_b64 s[38:39], s[18:19], 2
	v_subrev_nc_u32_e32 v5, s40, v23
	s_add_nc_u64 s[38:39], s[16:17], s[38:39]
	s_sub_co_i32 s44, 0, s35
	v_lshl_add_u32 v27, v19, 3, s36
	v_xor_b32_e32 v31, 2, v22
	s_wait_kmcnt 0x0
	s_add_nc_u64 s[4:5], s[4:5], s[14:15]
	v_readfirstlane_b32 s6, v2
	s_wait_alu 0xfffe
	v_add_co_u32 v1, s4, s4, v1
	v_lshl_or_b32 v2, v19, 5, v4
	s_wait_alu 0xf1ff
	v_add_co_ci_u32_e64 v4, null, s5, 0, s4
	s_mul_f32 s6, s6, 0x4f7ffffe
	v_add_co_u32 v13, s4, v1, v3
	s_wait_alu 0xf1ff
	v_add_co_ci_u32_e64 v14, null, 0, v4, s4
	s_cvt_u32_f32 s5, s6
	v_add_co_u32 v15, s4, s38, v24
	s_wait_alu 0xf1ff
	v_add_co_ci_u32_e64 v16, null, s39, 0, s4
	s_wait_alu 0xfffe
	s_mul_i32 s44, s44, s5
	v_add_nc_u32_e32 v28, 1, v5
	v_add_nc_u32_e32 v29, 0x100, v2
	v_xor_b32_e32 v32, 1, v22
	s_mul_hi_u32 s4, s5, s44
	s_mov_b32 s37, 0
	s_mov_b32 s15, s13
	s_wait_alu 0xfffe
	s_add_co_i32 s38, s5, s4
	s_branch .LBB317_13
.LBB317_11:                             ;   in Loop: Header=BB317_13 Depth=1
	s_wait_alu 0xfffe
	s_or_b32 exec_lo, exec_lo, s5
.LBB317_12:                             ;   in Loop: Header=BB317_13 Depth=1
	s_wait_alu 0xfffe
	s_or_b32 exec_lo, exec_lo, s39
	v_add_nc_u32_e32 v33, 4, v33
	v_add_co_u32 v15, s5, v15, 16
	s_wait_alu 0xf1ff
	v_add_co_ci_u32_e64 v16, null, 0, v16, s5
	s_delay_alu instid0(VALU_DEP_3)
	v_cmp_le_i32_e64 s4, s43, v33
	v_add_nc_u32_e32 v27, 32, v27
	v_add_nc_u32_e32 v29, 0x80, v29
	s_or_b32 s37, s4, s37
	s_wait_alu 0xfffe
	s_and_not1_b32 exec_lo, exec_lo, s37
	s_cbranch_execz .LBB317_20
.LBB317_13:                             ; =>This Inner Loop Header: Depth=1
	v_sub_nc_u32_e32 v1, 0, v27
	s_delay_alu instid0(VALU_DEP_1) | instskip(SKIP_1) | instid1(VALU_DEP_1)
	v_max_i32_e32 v1, v27, v1
	s_wait_dscnt 0x0
	v_mul_hi_u32 v2, v1, s30
	s_delay_alu instid0(VALU_DEP_1) | instskip(NEXT) | instid1(VALU_DEP_1)
	v_mul_lo_u32 v3, v2, s41
	v_sub_nc_u32_e32 v1, v1, v3
	v_add_nc_u32_e32 v3, 1, v2
	s_delay_alu instid0(VALU_DEP_2) | instskip(SKIP_2) | instid1(VALU_DEP_1)
	v_subrev_nc_u32_e32 v4, s41, v1
	v_cmp_le_u32_e64 s4, s41, v1
	s_wait_alu 0xf1ff
	v_cndmask_b32_e64 v2, v2, v3, s4
	s_delay_alu instid0(VALU_DEP_3) | instskip(SKIP_1) | instid1(VALU_DEP_3)
	v_cndmask_b32_e64 v1, v1, v4, s4
	v_ashrrev_i32_e32 v3, 31, v27
	v_add_nc_u32_e32 v4, 1, v2
	s_delay_alu instid0(VALU_DEP_3) | instskip(NEXT) | instid1(VALU_DEP_3)
	v_cmp_le_u32_e64 s4, s41, v1
	v_xor_b32_e32 v3, s31, v3
	s_wait_alu 0xf1ff
	s_delay_alu instid0(VALU_DEP_2) | instskip(NEXT) | instid1(VALU_DEP_1)
	v_cndmask_b32_e64 v1, v2, v4, s4
	v_xor_b32_e32 v1, v1, v3
	s_delay_alu instid0(VALU_DEP_1) | instskip(NEXT) | instid1(VALU_DEP_1)
	v_sub_nc_u32_e32 v1, v1, v3
	v_add_nc_u32_e32 v2, s42, v1
	v_cmp_ge_i32_e64 s5, s34, v1
	s_delay_alu instid0(VALU_DEP_2) | instskip(NEXT) | instid1(VALU_DEP_1)
	v_sub_nc_u32_e32 v3, 0, v2
	v_max_i32_e32 v3, v2, v3
	v_ashrrev_i32_e32 v2, 31, v2
	s_wait_alu 0xfffe
	s_delay_alu instid0(VALU_DEP_2) | instskip(NEXT) | instid1(VALU_DEP_1)
	v_mul_hi_u32 v4, v3, s38
	v_mul_lo_u32 v4, v4, s35
	s_delay_alu instid0(VALU_DEP_1) | instskip(NEXT) | instid1(VALU_DEP_1)
	v_sub_nc_u32_e32 v3, v3, v4
	v_subrev_nc_u32_e32 v4, s35, v3
	v_cmp_le_u32_e64 s4, s35, v3
	s_wait_alu 0xf1ff
	s_delay_alu instid0(VALU_DEP_1) | instskip(NEXT) | instid1(VALU_DEP_1)
	v_cndmask_b32_e64 v3, v3, v4, s4
	v_subrev_nc_u32_e32 v4, s35, v3
	v_cmp_le_u32_e64 s4, s35, v3
	s_wait_alu 0xf1ff
	s_delay_alu instid0(VALU_DEP_1) | instskip(NEXT) | instid1(VALU_DEP_1)
	v_cndmask_b32_e64 v3, v3, v4, s4
	v_xor_b32_e32 v3, v3, v2
	s_delay_alu instid0(VALU_DEP_1) | instskip(NEXT) | instid1(VALU_DEP_1)
	v_sub_nc_u32_e32 v2, v3, v2
	v_cmp_ne_u32_e64 s4, 0, v2
	s_and_b32 s4, s4, s5
	s_wait_alu 0xfffe
	s_and_saveexec_b32 s5, s4
	s_wait_alu 0xfffe
	s_xor_b32 s4, exec_lo, s5
	s_cbranch_execz .LBB317_17
; %bb.14:                               ;   in Loop: Header=BB317_13 Depth=1
	s_and_saveexec_b32 s5, s3
; %bb.15:                               ;   in Loop: Header=BB317_13 Depth=1
	ds_store_b32 v29, v30
; %bb.16:                               ;   in Loop: Header=BB317_13 Depth=1
	s_wait_alu 0xfffe
	s_or_b32 exec_lo, exec_lo, s5
.LBB317_17:                             ;   in Loop: Header=BB317_13 Depth=1
	s_wait_alu 0xfffe
	s_and_not1_saveexec_b32 s39, s4
	s_cbranch_execz .LBB317_12
; %bb.18:                               ;   in Loop: Header=BB317_13 Depth=1
	global_load_b32 v1, v[15:16], off
	s_wait_loadcnt 0x0
	v_mad_co_i64_i32 v[1:2], null, v1, s15, v[13:14]
	s_clause 0xd
	global_load_u16 v34, v[1:2], off
	global_load_u16 v35, v[1:2], off offset:8
	global_load_u16 v36, v[1:2], off offset:128
	;; [unrolled: 1-line block ×13, first 2 shown]
	ds_load_2addr_b64 v[9:12], v25 offset1:1
	ds_load_2addr_b64 v[5:8], v25 offset0:2 offset1:3
	ds_load_2addr_b64 v[1:4], v25 offset0:4 offset1:5
	ds_load_b64 v[17:18], v25 offset:48
	s_load_b32 s4, s[24:25], 0x0
	s_wait_loadcnt 0xc
	v_and_b32_e32 v63, 0xff, v35
	s_wait_loadcnt 0xb
	v_and_b32_e32 v64, 0xff, v36
	v_lshrrev_b16 v35, 8, v35
	s_wait_loadcnt 0x9
	v_and_b32_e32 v66, 0xff, v38
	v_lshrrev_b16 v38, 8, v38
	s_wait_loadcnt 0x7
	v_and_b32_e32 v68, 0xff, v40
	v_and_b32_e32 v64, 0xffff, v64
	v_lshrrev_b16 v40, 8, v40
	s_wait_loadcnt 0x5
	v_and_b32_e32 v70, 0xff, v42
	v_and_b32_e32 v38, 0xffff, v38
	v_lshrrev_b16 v42, 8, v42
	v_cvt_f32_fp8_e32 v64, v64
	s_wait_dscnt 0x2
	v_lshlrev_b32_e32 v53, 16, v5
	v_and_b32_e32 v40, 0xffff, v40
	v_cvt_f32_fp8_e32 v38, v38
	s_wait_dscnt 0x1
	s_wait_kmcnt 0x0
	v_dual_mul_f32 v64, s4, v64 :: v_dual_lshlrev_b32 v59, 16, v3
	v_and_b32_e32 v35, 0xffff, v35
	v_cvt_f32_fp8_e32 v40, v40
	v_mul_f32_e32 v38, s4, v38
	v_and_b32_e32 v42, 0xffff, v42
	v_and_b32_e32 v66, 0xffff, v66
	v_cvt_f32_fp8_e32 v35, v35
	v_lshlrev_b32_e32 v52, 16, v12
	v_lshrrev_b16 v36, 8, v36
	v_cvt_f32_fp8_e32 v42, v42
	v_and_b32_e32 v5, 0xffff0000, v5
	v_mul_f32_e32 v35, s4, v35
	s_wait_loadcnt 0x0
	v_and_b32_e32 v75, 0xff, v47
	v_lshrrev_b16 v47, 8, v47
	v_mul_f32_e32 v42, s4, v42
	v_and_b32_e32 v72, 0xff, v44
	v_lshrrev_b16 v44, 8, v44
	v_and_b32_e32 v70, 0xffff, v70
	v_and_b32_e32 v47, 0xffff, v47
	v_cvt_f32_fp8_e32 v66, v66
	v_lshlrev_b32_e32 v57, 16, v1
	v_and_b32_e32 v36, 0xffff, v36
	v_and_b32_e32 v72, 0xffff, v72
	v_cvt_f32_fp8_e32 v47, v47
	v_and_b32_e32 v62, 0xff, v34
	v_lshrrev_b16 v34, 8, v34
	v_and_b32_e32 v44, 0xffff, v44
	v_cvt_f32_fp8_e32 v70, v70
	s_delay_alu instid0(VALU_DEP_4) | instskip(NEXT) | instid1(VALU_DEP_4)
	v_dual_mul_f32 v47, s4, v47 :: v_dual_and_b32 v62, 0xffff, v62
	v_and_b32_e32 v34, 0xffff, v34
	v_mul_f32_e32 v40, s4, v40
	v_mul_f32_e32 v66, s4, v66
	v_and_b32_e32 v74, 0xff, v46
	v_cvt_f32_fp8_e32 v62, v62
	v_cvt_f32_fp8_e32 v34, v34
	v_lshlrev_b32_e32 v51, 16, v11
	v_lshlrev_b32_e32 v49, 16, v9
	s_delay_alu instid0(VALU_DEP_4) | instskip(NEXT) | instid1(VALU_DEP_4)
	v_dual_mul_f32 v62, s4, v62 :: v_dual_and_b32 v9, 0xffff0000, v9
	v_dual_mul_f32 v34, s4, v34 :: v_dual_and_b32 v71, 0xff, v43
	v_lshrrev_b16 v43, 8, v43
	v_dual_mul_f32 v70, s4, v70 :: v_dual_and_b32 v11, 0xffff0000, v11
	s_delay_alu instid0(VALU_DEP_3) | instskip(NEXT) | instid1(VALU_DEP_4)
	v_bfe_u32 v78, v34, 16, 1
	v_and_b32_e32 v71, 0xffff, v71
	v_or_b32_e32 v79, 0x400000, v34
	v_cmp_u_f32_e64 s5, v34, v34
	v_and_b32_e32 v43, 0xffff, v43
	v_add3_u32 v78, v78, v34, 0x7fff
	v_cvt_f32_fp8_e32 v71, v71
	v_and_b32_e32 v12, 0xffff0000, v12
	v_and_b32_e32 v73, 0xff, v45
	v_lshrrev_b16 v45, 8, v45
	s_wait_alu 0xf1ff
	v_cndmask_b32_e64 v78, v78, v79, s5
	v_mul_f32_e32 v71, s4, v71
	v_and_b32_e32 v63, 0xffff, v63
	v_lshrrev_b16 v46, 8, v46
	v_cvt_f32_fp8_e32 v36, v36
	v_and_b32_e32 v78, 0xffff0000, v78
	v_and_b32_e32 v69, 0xff, v41
	v_cvt_f32_fp8_e32 v63, v63
	v_lshlrev_b32_e32 v50, 16, v10
	v_lshrrev_b16 v41, 8, v41
	v_cvt_f32_fp8_e32 v43, v43
	v_cvt_f32_fp8_e32 v72, v72
	v_mul_f32_e32 v63, s4, v63
	v_cvt_f32_fp8_e32 v44, v44
	v_and_b32_e32 v41, 0xffff, v41
	v_dual_mul_f32 v36, s4, v36 :: v_dual_lshlrev_b32 v55, 16, v7
	s_delay_alu instid0(VALU_DEP_4) | instskip(SKIP_1) | instid1(VALU_DEP_4)
	v_bfe_u32 v80, v63, 16, 1
	v_or_b32_e32 v81, 0x400000, v63
	v_cvt_f32_fp8_e32 v41, v41
	v_cmp_u_f32_e64 s6, v63, v63
	v_and_b32_e32 v10, 0xffff0000, v10
	v_add3_u32 v80, v80, v63, 0x7fff
	v_dual_mul_f32 v72, s4, v72 :: v_dual_and_b32 v7, 0xffff0000, v7
	v_mul_f32_e32 v41, s4, v41
	v_and_b32_e32 v65, 0xff, v37
	s_wait_alu 0xf1ff
	v_cndmask_b32_e64 v80, v80, v81, s6
	v_lshrrev_b16 v37, 8, v37
	v_dual_mul_f32 v44, s4, v44 :: v_dual_and_b32 v1, 0xffff0000, v1
	v_and_b32_e32 v65, 0xffff, v65
	s_delay_alu instid0(VALU_DEP_4)
	v_and_b32_e32 v80, 0xffff0000, v80
	v_and_b32_e32 v68, 0xffff, v68
	;; [unrolled: 1-line block ×4, first 2 shown]
	v_cvt_f32_fp8_e32 v65, v65
	v_dual_mul_f32 v50, v50, v80 :: v_dual_and_b32 v67, 0xff, v39
	v_lshlrev_b32_e32 v54, 16, v6
	v_lshrrev_b16 v39, 8, v39
	s_delay_alu instid0(VALU_DEP_4)
	v_dual_mul_f32 v65, s4, v65 :: v_dual_and_b32 v6, 0xffff0000, v6
	v_mul_f32_e32 v43, s4, v43
	v_and_b32_e32 v67, 0xffff, v67
	v_and_b32_e32 v37, 0xffff, v37
	;; [unrolled: 1-line block ×5, first 2 shown]
	v_cvt_f32_fp8_e32 v67, v67
	v_lshlrev_b32_e32 v58, 16, v2
	v_and_b32_e32 v46, 0xffff, v46
	v_cvt_f32_fp8_e32 v37, v37
	v_cvt_f32_fp8_e32 v39, v39
	v_mul_f32_e32 v67, s4, v67
	v_and_b32_e32 v75, 0xffff, v75
	v_cvt_f32_fp8_e32 v68, v68
	v_cvt_f32_fp8_e32 v69, v69
	;; [unrolled: 1-line block ×7, first 2 shown]
	v_bfe_u32 v76, v62, 16, 1
	v_dual_mul_f32 v37, s4, v37 :: v_dual_lshlrev_b32 v56, 16, v8
	v_dual_mul_f32 v39, s4, v39 :: v_dual_lshlrev_b32 v60, 16, v4
	s_wait_dscnt 0x0
	v_dual_mul_f32 v68, s4, v68 :: v_dual_lshlrev_b32 v61, 16, v17
	v_dual_mul_f32 v69, s4, v69 :: v_dual_lshlrev_b32 v48, 16, v18
	v_dual_mul_f32 v73, s4, v73 :: v_dual_and_b32 v8, 0xffff0000, v8
	v_dual_mul_f32 v45, s4, v45 :: v_dual_and_b32 v2, 0xffff0000, v2
	;; [unrolled: 1-line block ×5, first 2 shown]
	v_or_b32_e32 v77, 0x400000, v62
	v_bfe_u32 v82, v35, 16, 1
	v_add3_u32 v76, v76, v62, 0x7fff
	v_cmp_u_f32_e64 s4, v62, v62
	v_or_b32_e32 v83, 0x400000, v35
	v_bfe_u32 v84, v64, 16, 1
	v_add3_u32 v82, v82, v35, 0x7fff
	v_or_b32_e32 v85, 0x400000, v64
	s_wait_alu 0xf1ff
	v_cndmask_b32_e64 v76, v76, v77, s4
	v_cmp_u_f32_e64 s4, v35, v35
	v_bfe_u32 v86, v36, 16, 1
	v_add3_u32 v84, v84, v64, 0x7fff
	v_or_b32_e32 v87, 0x400000, v36
	v_bfe_u32 v88, v65, 16, 1
	s_wait_alu 0xf1ff
	v_cndmask_b32_e64 v35, v82, v83, s4
	v_cmp_u_f32_e64 s4, v64, v64
	v_add3_u32 v86, v86, v36, 0x7fff
	v_or_b32_e32 v89, 0x400000, v65
	v_bfe_u32 v90, v37, 16, 1
	v_add3_u32 v88, v88, v65, 0x7fff
	s_wait_alu 0xf1ff
	v_cndmask_b32_e64 v64, v84, v85, s4
	v_cmp_u_f32_e64 s4, v36, v36
	v_or_b32_e32 v91, 0x400000, v37
	v_bfe_u32 v92, v66, 16, 1
	v_add3_u32 v90, v90, v37, 0x7fff
	v_or_b32_e32 v93, 0x400000, v66
	s_wait_alu 0xf1ff
	v_cndmask_b32_e64 v36, v86, v87, s4
	v_cmp_u_f32_e64 s4, v65, v65
	v_bfe_u32 v94, v38, 16, 1
	v_add3_u32 v92, v92, v66, 0x7fff
	v_or_b32_e32 v95, 0x400000, v38
	v_bfe_u32 v96, v67, 16, 1
	s_wait_alu 0xf1ff
	v_cndmask_b32_e64 v65, v88, v89, s4
	v_cmp_u_f32_e64 s4, v37, v37
	v_add3_u32 v94, v94, v38, 0x7fff
	v_or_b32_e32 v97, 0x400000, v67
	v_bfe_u32 v98, v39, 16, 1
	v_add3_u32 v96, v96, v67, 0x7fff
	s_wait_alu 0xf1ff
	v_cndmask_b32_e64 v37, v90, v91, s4
	;; [unrolled: 21-line block ×3, first 2 shown]
	v_cmp_u_f32_e64 s4, v39, v39
	v_or_b32_e32 v107, 0x400000, v41
	v_bfe_u32 v108, v70, 16, 1
	v_add3_u32 v106, v106, v41, 0x7fff
	v_and_b32_e32 v35, 0xffff0000, v35
	s_wait_alu 0xf1ff
	v_cndmask_b32_e64 v39, v98, v99, s4
	v_cmp_u_f32_e64 s4, v68, v68
	v_or_b32_e32 v109, 0x400000, v70
	v_bfe_u32 v110, v42, 16, 1
	v_add3_u32 v108, v108, v70, 0x7fff
	v_mul_f32_e32 v10, v10, v35
	s_wait_alu 0xf1ff
	v_cndmask_b32_e64 v68, v100, v101, s4
	v_cmp_u_f32_e64 s4, v40, v40
	v_or_b32_e32 v111, 0x400000, v42
	v_bfe_u32 v112, v71, 16, 1
	v_add3_u32 v110, v110, v42, 0x7fff
	v_and_b32_e32 v36, 0xffff0000, v36
	s_wait_alu 0xf1ff
	v_cndmask_b32_e64 v40, v102, v103, s4
	v_cmp_u_f32_e64 s4, v69, v69
	v_fmac_f32_e32 v10, v9, v78
	v_bfe_u32 v113, v43, 16, 1
	v_or_b32_e32 v114, 0x400000, v71
	v_add3_u32 v112, v112, v71, 0x7fff
	s_wait_alu 0xf1ff
	v_cndmask_b32_e64 v69, v104, v105, s4
	v_cmp_u_f32_e64 s4, v41, v41
	v_dual_fmac_f32 v10, v11, v36 :: v_dual_and_b32 v37, 0xffff0000, v37
	v_bfe_u32 v115, v72, 16, 1
	v_or_b32_e32 v116, 0x400000, v43
	s_wait_alu 0xf1ff
	v_cndmask_b32_e64 v41, v106, v107, s4
	v_cmp_u_f32_e64 s4, v70, v70
	v_add3_u32 v113, v113, v43, 0x7fff
	v_and_b32_e32 v38, 0xffff0000, v38
	v_fmac_f32_e32 v10, v12, v37
	v_bfe_u32 v117, v44, 16, 1
	s_wait_alu 0xf1ff
	v_cndmask_b32_e64 v70, v108, v109, s4
	v_cmp_u_f32_e64 s4, v42, v42
	v_or_b32_e32 v118, 0x400000, v72
	v_add3_u32 v115, v115, v72, 0x7fff
	v_dual_fmac_f32 v10, v5, v38 :: v_dual_and_b32 v39, 0xffff0000, v39
	s_wait_alu 0xf1ff
	v_cndmask_b32_e64 v35, v110, v111, s4
	v_cmp_u_f32_e64 s4, v71, v71
	v_bfe_u32 v119, v73, 16, 1
	v_or_b32_e32 v120, 0x400000, v44
	v_add3_u32 v117, v117, v44, 0x7fff
	v_and_b32_e32 v38, 0xffff0000, v40
	s_wait_alu 0xf1ff
	v_cndmask_b32_e64 v9, v112, v114, s4
	v_cmp_u_f32_e64 s4, v43, v43
	v_fmac_f32_e32 v10, v6, v39
	v_bfe_u32 v121, v45, 16, 1
	v_or_b32_e32 v122, 0x400000, v73
	v_add3_u32 v119, v119, v73, 0x7fff
	s_wait_alu 0xf1ff
	v_cndmask_b32_e64 v11, v113, v116, s4
	v_cmp_u_f32_e64 s4, v72, v72
	v_and_b32_e32 v76, 0xffff0000, v76
	v_dual_fmac_f32 v10, v7, v38 :: v_dual_and_b32 v39, 0xffff0000, v41
	v_bfe_u32 v123, v74, 16, 1
	s_wait_alu 0xf1ff
	v_cndmask_b32_e64 v12, v115, v118, s4
	v_cmp_u_f32_e64 s4, v44, v44
	v_or_b32_e32 v124, 0x400000, v45
	v_add3_u32 v121, v121, v45, 0x7fff
	v_and_b32_e32 v42, 0xffff0000, v64
	v_fmac_f32_e32 v50, v49, v76
	s_wait_alu 0xf1ff
	v_cndmask_b32_e64 v5, v117, v120, s4
	v_cmp_u_f32_e64 s4, v73, v73
	v_and_b32_e32 v35, 0xffff0000, v35
	v_fmac_f32_e32 v10, v8, v39
	v_bfe_u32 v125, v46, 16, 1
	v_or_b32_e32 v126, 0x400000, v74
	s_wait_alu 0xf1ff
	v_cndmask_b32_e64 v6, v119, v122, s4
	v_cmp_u_f32_e64 s4, v45, v45
	v_add3_u32 v123, v123, v74, 0x7fff
	v_dual_fmac_f32 v50, v51, v42 :: v_dual_and_b32 v11, 0xffff0000, v11
	v_fmac_f32_e32 v10, v1, v35
	s_wait_alu 0xf1ff
	v_cndmask_b32_e64 v7, v121, v124, s4
	v_cmp_u_f32_e64 s4, v74, v74
	v_and_b32_e32 v6, 0xffff0000, v6
	v_and_b32_e32 v49, 0xffff0000, v65
	v_bfe_u32 v62, v75, 16, 1
	v_or_b32_e32 v34, 0x400000, v46
	v_add3_u32 v125, v125, v46, 0x7fff
	v_and_b32_e32 v36, 0xffff0000, v66
	v_fmac_f32_e32 v50, v52, v49
	s_wait_alu 0xf1ff
	v_cndmask_b32_e64 v8, v123, v126, s4
	v_cmp_u_f32_e64 s4, v46, v46
	v_dual_fmac_f32 v10, v2, v11 :: v_dual_and_b32 v5, 0xffff0000, v5
	v_or_b32_e32 v77, 0x400000, v75
	v_add3_u32 v62, v62, v75, 0x7fff
	v_fmac_f32_e32 v50, v53, v36
	s_wait_alu 0xf1ff
	v_cndmask_b32_e64 v1, v125, v34, s4
	v_cmp_u_f32_e64 s4, v75, v75
	v_dual_fmac_f32 v10, v3, v5 :: v_dual_and_b32 v5, 0xffff0000, v8
	v_and_b32_e32 v37, 0xffff0000, v67
	v_and_b32_e32 v36, 0xffff0000, v68
	s_wait_alu 0xf1ff
	v_cndmask_b32_e64 v2, v62, v77, s4
	v_and_b32_e32 v9, 0xffff0000, v9
	v_bfe_u32 v63, v47, 16, 1
	v_fmac_f32_e32 v50, v54, v37
	v_and_b32_e32 v12, 0xffff0000, v12
	v_and_b32_e32 v2, 0xffff0000, v2
	;; [unrolled: 1-line block ×3, first 2 shown]
	v_or_b32_e32 v79, 0x400000, v47
	v_fmac_f32_e32 v50, v55, v36
	v_and_b32_e32 v36, 0xffff0000, v70
	v_add3_u32 v63, v63, v47, 0x7fff
	v_and_b32_e32 v7, 0xffff0000, v7
	v_cmp_u_f32_e64 s4, v47, v47
	v_fmac_f32_e32 v50, v56, v37
	s_delay_alu instid0(VALU_DEP_3) | instskip(SKIP_1) | instid1(VALU_DEP_3)
	v_dual_fmac_f32 v10, v4, v7 :: v_dual_and_b32 v1, 0xffff0000, v1
	s_wait_alu 0xf1ff
	v_cndmask_b32_e64 v3, v63, v79, s4
	s_delay_alu instid0(VALU_DEP_3) | instskip(SKIP_2) | instid1(VALU_DEP_4)
	v_fmac_f32_e32 v50, v57, v36
	v_and_b32_e32 v4, 0xffff0000, v18
	v_cmp_gt_i32_e64 s4, 32, v31
	v_dual_fmac_f32 v10, v17, v1 :: v_dual_and_b32 v3, 0xffff0000, v3
	s_delay_alu instid0(VALU_DEP_4) | instskip(SKIP_1) | instid1(VALU_DEP_3)
	v_fmac_f32_e32 v50, v58, v9
	s_wait_alu 0xf1ff
	v_cndmask_b32_e64 v1, v22, v31, s4
	v_cmp_gt_i32_e64 s4, 32, v32
	v_fmac_f32_e32 v10, v4, v3
	s_delay_alu instid0(VALU_DEP_3) | instskip(SKIP_1) | instid1(VALU_DEP_3)
	v_dual_fmac_f32 v50, v59, v12 :: v_dual_lshlrev_b32 v1, 2, v1
	s_wait_alu 0xf1ff
	v_cndmask_b32_e64 v3, v22, v32, s4
	s_delay_alu instid0(VALU_DEP_1) | instskip(NEXT) | instid1(VALU_DEP_1)
	v_dual_fmac_f32 v50, v60, v6 :: v_dual_lshlrev_b32 v3, 2, v3
	v_fmac_f32_e32 v50, v61, v5
	s_delay_alu instid0(VALU_DEP_1) | instskip(NEXT) | instid1(VALU_DEP_1)
	v_fmac_f32_e32 v50, v48, v2
	v_add_f32_e32 v2, v50, v10
	ds_bpermute_b32 v1, v1, v2
	s_wait_dscnt 0x0
	v_add_f32_e32 v1, v2, v1
	ds_bpermute_b32 v2, v3, v1
	s_and_saveexec_b32 s5, s3
	s_cbranch_execz .LBB317_11
; %bb.19:                               ;   in Loop: Header=BB317_13 Depth=1
	s_wait_dscnt 0x0
	v_add_f32_e32 v1, v1, v2
	v_add_nc_u32_e32 v3, v28, v27
	s_delay_alu instid0(VALU_DEP_1) | instskip(NEXT) | instid1(VALU_DEP_1)
	v_cvt_f32_i32_e32 v3, v3
	v_mul_f32_e32 v3, s20, v3
	s_delay_alu instid0(VALU_DEP_1) | instskip(NEXT) | instid1(VALU_DEP_1)
	v_dual_cndmask_b32 v2, 0, v3 :: v_dual_max_num_f32 v3, v26, v26
	v_dual_fmac_f32 v2, s7, v1 :: v_dual_add_nc_u32 v1, v23, v27
	s_delay_alu instid0(VALU_DEP_1) | instskip(NEXT) | instid1(VALU_DEP_2)
	v_max_num_f32_e32 v3, v3, v2
	v_cmp_gt_i32_e64 s4, s40, v1
	s_wait_alu 0xf1ff
	s_delay_alu instid0(VALU_DEP_1) | instskip(NEXT) | instid1(VALU_DEP_3)
	v_cndmask_b32_e64 v1, 0, v2, s4
	v_cndmask_b32_e64 v26, v26, v3, s4
	ds_store_b32 v29, v1
	s_branch .LBB317_11
.LBB317_20:
	s_or_b32 exec_lo, exec_lo, s37
.LBB317_21:
	s_delay_alu instid0(SALU_CYCLE_1)
	s_or_b32 exec_lo, exec_lo, s21
	v_xor_b32_e32 v1, 16, v22
	v_xor_b32_e32 v3, 8, v22
	;; [unrolled: 1-line block ×3, first 2 shown]
	s_clause 0x2
	s_load_b128 s[4:7], s[0:1], 0x0
	s_load_b64 s[34:35], s[0:1], 0x10
	s_load_b64 s[20:21], s[0:1], 0x28
	v_and_b32_e32 v15, 31, v0
	v_cmp_gt_i32_e32 vcc_lo, 32, v1
	s_wait_alu 0xfffd
	v_cndmask_b32_e32 v1, v22, v1, vcc_lo
	v_cmp_gt_i32_e32 vcc_lo, 32, v3
	s_wait_dscnt 0x0
	s_wait_alu 0xfffd
	s_delay_alu instid0(VALU_DEP_2)
	v_dual_cndmask_b32 v3, v22, v3 :: v_dual_lshlrev_b32 v2, 2, v1
	v_cmp_gt_i32_e32 vcc_lo, 32, v5
	ds_bpermute_b32 v1, v2, v26
	v_dual_max_num_f32 v4, v26, v26 :: v_dual_lshlrev_b32 v3, 2, v3
	s_wait_alu 0xfffd
	v_cndmask_b32_e32 v5, v22, v5, vcc_lo
	v_cmp_eq_u32_e32 vcc_lo, 0, v15
	s_delay_alu instid0(VALU_DEP_2) | instskip(SKIP_2) | instid1(VALU_DEP_1)
	v_lshlrev_b32_e32 v6, 2, v5
	s_wait_dscnt 0x0
	v_max_num_f32_e32 v1, v1, v1
	v_max_num_f32_e32 v1, v4, v1
	ds_bpermute_b32 v4, v3, v1
	s_wait_dscnt 0x0
	v_max_num_f32_e32 v4, v4, v4
	s_delay_alu instid0(VALU_DEP_1)
	v_dual_max_num_f32 v1, v1, v4 :: v_dual_lshlrev_b32 v4, 2, v19
	ds_bpermute_b32 v5, v6, v1
	s_and_saveexec_b32 s0, vcc_lo
	s_cbranch_execz .LBB317_23
; %bb.22:
	s_wait_dscnt 0x0
	v_max_num_f32_e32 v5, v5, v5
	v_max_num_f32_e32 v1, v1, v1
	s_delay_alu instid0(VALU_DEP_1)
	v_max_num_f32_e32 v1, v1, v5
	ds_store_b32 v4, v1 offset:224
.LBB317_23:
	s_or_b32 exec_lo, exec_lo, s0
	v_cmp_gt_u32_e64 s0, 4, v15
	v_mov_b32_e32 v1, 0xff7fffff
	s_wait_dscnt 0x0
	v_lshlrev_b32_e32 v5, 2, v15
	s_wait_loadcnt 0x0
	s_barrier_signal -1
	s_barrier_wait -1
	global_inv scope:SCOPE_SE
	s_and_saveexec_b32 s1, s0
; %bb.24:
	ds_load_b32 v1, v5 offset:224
; %bb.25:
	s_or_b32 exec_lo, exec_lo, s1
	v_xor_b32_e32 v7, 2, v22
	v_xor_b32_e32 v9, 1, v22
	v_lshl_add_u32 v16, v0, 2, 0x100
	s_delay_alu instid0(VALU_DEP_3) | instskip(NEXT) | instid1(VALU_DEP_1)
	v_cmp_gt_i32_e64 s1, 32, v7
	v_cndmask_b32_e64 v7, v22, v7, s1
	s_delay_alu instid0(VALU_DEP_4) | instskip(NEXT) | instid1(VALU_DEP_2)
	v_cmp_gt_i32_e64 s1, 32, v9
	v_lshlrev_b32_e32 v7, 2, v7
	s_wait_alu 0xf1ff
	s_delay_alu instid0(VALU_DEP_2)
	v_cndmask_b32_e64 v9, v22, v9, s1
	s_sub_co_i32 s1, s43, s12
	s_wait_alu 0xfffe
	s_lshl_b32 s1, s1, 3
	s_wait_dscnt 0x0
	ds_bpermute_b32 v8, v7, v1
	v_max_num_f32_e32 v1, v1, v1
	s_wait_alu 0xfffe
	s_add_co_i32 s1, s1, s36
	s_wait_alu 0xfffe
	s_min_i32 s1, s1, s40
	s_wait_alu 0xfffe
	s_sub_co_i32 s12, s1, s36
	s_wait_alu 0xfffe
	v_cmp_gt_i32_e64 s1, s12, v0
	s_wait_dscnt 0x0
	v_max_num_f32_e32 v10, v8, v8
	s_delay_alu instid0(VALU_DEP_1) | instskip(SKIP_3) | instid1(VALU_DEP_1)
	v_dual_max_num_f32 v1, v1, v10 :: v_dual_lshlrev_b32 v8, 2, v9
	ds_bpermute_b32 v9, v8, v1
	s_wait_dscnt 0x0
	v_max_num_f32_e32 v9, v9, v9
	v_max_num_f32_e32 v1, v1, v9
	v_mov_b32_e32 v9, 0
	ds_bpermute_b32 v1, v9, v1
	s_and_saveexec_b32 s15, s1
	s_cbranch_execz .LBB317_29
; %bb.26:
	v_lshl_add_u32 v10, v0, 2, 0x100
	v_mov_b32_e32 v9, 0
	v_mov_b32_e32 v11, v0
	s_mov_b32 s24, 0
.LBB317_27:                             ; =>This Inner Loop Header: Depth=1
	ds_load_b32 v12, v10
	v_add_nc_u32_e32 v11, 0x80, v11
	s_delay_alu instid0(VALU_DEP_1) | instskip(SKIP_3) | instid1(VALU_DEP_1)
	v_cmp_le_i32_e64 s3, s12, v11
	s_or_b32 s24, s3, s24
	s_wait_dscnt 0x0
	v_sub_f32_e32 v12, v12, v1
	v_mul_f32_e32 v12, 0x3fb8aa3b, v12
	s_delay_alu instid0(VALU_DEP_1)
	v_exp_f32_e32 v12, v12
	ds_store_b32 v10, v12
	v_dual_add_f32 v9, v9, v12 :: v_dual_add_nc_u32 v10, 0x200, v10
	s_and_not1_b32 exec_lo, exec_lo, s24
	s_cbranch_execnz .LBB317_27
; %bb.28:
	s_or_b32 exec_lo, exec_lo, s24
.LBB317_29:
	s_wait_alu 0xfffe
	s_or_b32 exec_lo, exec_lo, s15
	ds_bpermute_b32 v2, v2, v9
	s_wait_dscnt 0x0
	v_add_f32_e32 v2, v9, v2
	ds_bpermute_b32 v3, v3, v2
	s_wait_dscnt 0x0
	v_add_f32_e32 v2, v2, v3
	;; [unrolled: 3-line block ×5, first 2 shown]
	s_and_saveexec_b32 s3, vcc_lo
; %bb.30:
	ds_store_b32 v4, v2 offset:240
; %bb.31:
	s_wait_alu 0xfffe
	s_or_b32 exec_lo, exec_lo, s3
	s_wait_loadcnt_dscnt 0x0
	s_barrier_signal -1
	s_barrier_wait -1
	global_inv scope:SCOPE_SE
	s_and_saveexec_b32 s3, s0
; %bb.32:
	ds_load_b32 v2, v5 offset:240
; %bb.33:
	s_wait_alu 0xfffe
	s_or_b32 exec_lo, exec_lo, s3
	s_wait_dscnt 0x0
	ds_bpermute_b32 v3, v7, v2
	s_wait_dscnt 0x0
	v_add_f32_e32 v2, v2, v3
	ds_bpermute_b32 v3, v8, v2
	s_wait_dscnt 0x0
	v_dual_add_f32 v2, v2, v3 :: v_dual_mov_b32 v3, 0
	ds_bpermute_b32 v2, v3, v2
	s_and_saveexec_b32 s0, s1
	s_cbranch_execz .LBB317_36
; %bb.34:
	s_wait_dscnt 0x0
	v_add_f32_e32 v4, 0x358637bd, v2
	s_mov_b32 s1, 0
	s_delay_alu instid0(VALU_DEP_1) | instskip(NEXT) | instid1(VALU_DEP_1)
	v_div_scale_f32 v3, null, v4, v4, 1.0
	v_rcp_f32_e32 v5, v3
	s_delay_alu instid0(TRANS32_DEP_1) | instskip(NEXT) | instid1(VALU_DEP_1)
	v_fma_f32 v6, -v3, v5, 1.0
	v_fmac_f32_e32 v5, v6, v5
	v_div_scale_f32 v7, vcc_lo, 1.0, v4, 1.0
	s_delay_alu instid0(VALU_DEP_1) | instskip(NEXT) | instid1(VALU_DEP_1)
	v_mul_f32_e32 v6, v7, v5
	v_fma_f32 v8, -v3, v6, v7
	s_delay_alu instid0(VALU_DEP_1) | instskip(NEXT) | instid1(VALU_DEP_1)
	v_fmac_f32_e32 v6, v8, v5
	v_fma_f32 v3, -v3, v6, v7
	s_wait_alu 0xfffd
	s_delay_alu instid0(VALU_DEP_1) | instskip(SKIP_1) | instid1(VALU_DEP_2)
	v_div_fmas_f32 v5, v3, v5, v6
	v_mov_b32_e32 v3, v16
	v_div_fixup_f32 v4, v5, v4, 1.0
	v_mov_b32_e32 v5, v0
.LBB317_35:                             ; =>This Inner Loop Header: Depth=1
	ds_load_b32 v6, v3
	s_wait_dscnt 0x0
	v_dual_mul_f32 v6, v4, v6 :: v_dual_add_nc_u32 v5, 0x80, v5
	s_delay_alu instid0(VALU_DEP_1)
	v_cmp_le_i32_e32 vcc_lo, s12, v5
	ds_store_b32 v3, v6
	v_add_nc_u32_e32 v3, 0x200, v3
	s_wait_alu 0xfffe
	s_or_b32 s1, vcc_lo, s1
	s_wait_alu 0xfffe
	s_and_not1_b32 exec_lo, exec_lo, s1
	s_cbranch_execnz .LBB317_35
.LBB317_36:
	s_wait_alu 0xfffe
	s_or_b32 exec_lo, exec_lo, s0
	s_mul_i32 s0, s29, s22
	s_wait_loadcnt_dscnt 0x0
	s_wait_alu 0xfffe
	s_mul_i32 s36, s0, s23
	s_mov_b32 s0, exec_lo
	s_barrier_signal -1
	s_barrier_wait -1
	global_inv scope:SCOPE_SE
	v_cmpx_eq_u32_e32 0, v0
	s_cbranch_execz .LBB317_38
; %bb.37:
	s_wait_alu 0xfffe
	s_ashr_i32 s37, s36, 31
	s_mul_i32 s22, s29, ttmp9
	s_lshl_b32 s1, s33, 2
	s_wait_alu 0xfffe
	s_lshl_b64 s[24:25], s[36:37], 2
	s_ashr_i32 s23, s22, 31
	v_mov_b32_e32 v3, s1
	s_wait_kmcnt 0x0
	s_add_nc_u64 s[6:7], s[6:7], s[24:25]
	s_lshl_b64 s[22:23], s[22:23], 2
	s_add_nc_u64 s[4:5], s[4:5], s[24:25]
	s_wait_alu 0xfffe
	s_add_nc_u64 s[6:7], s[6:7], s[22:23]
	s_add_nc_u64 s[4:5], s[4:5], s[22:23]
	s_clause 0x1
	global_store_b32 v3, v1, s[6:7]
	global_store_b32 v3, v2, s[4:5]
.LBB317_38:
	s_wait_alu 0xfffe
	s_or_b32 exec_lo, exec_lo, s0
	v_dual_mov_b32 v23, 0 :: v_dual_mov_b32 v22, 0
	v_dual_mov_b32 v18, 0 :: v_dual_mov_b32 v17, 0
	s_and_saveexec_b32 s37, s2
	s_cbranch_execz .LBB317_54
; %bb.39:
	s_abs_i32 s44, s10
	v_dual_mov_b32 v18, 0 :: v_dual_lshlrev_b32 v25, 3, v15
	s_cvt_f32_u32 s0, s44
	s_sub_co_i32 s3, 0, s44
	v_lshl_add_u32 v26, v19, 5, 0x100
	v_dual_mov_b32 v22, 0 :: v_dual_mov_b32 v23, 0
	s_wait_alu 0xfffe
	v_rcp_iflag_f32_e32 v1, s0
	s_lshl_b64 s[0:1], s[18:19], 2
	s_ashr_i32 s15, s14, 31
	s_wait_alu 0xfffe
	s_add_nc_u64 s[0:1], s[16:17], s[0:1]
	s_sub_co_i32 s45, s11, s9
	s_wait_alu 0xfffe
	v_add_co_u32 v9, s0, s0, v24
	s_wait_alu 0xf1ff
	v_add_co_ci_u32_e64 v10, null, s1, 0, s0
	s_mov_b32 s46, s13
	v_readfirstlane_b32 s2, v1
	v_or_b32_e32 v1, 0x60, v15
	v_mov_b32_e32 v17, 0
	s_add_co_i32 s47, s8, -1
	s_wait_kmcnt 0x0
	s_add_nc_u64 s[38:39], s[20:21], s[14:15]
	s_mul_f32 s2, s2, 0x4f7ffffe
	v_lshlrev_b32_e32 v24, 3, v1
	s_mov_b32 s48, 0
	v_cmp_gt_u32_e32 vcc_lo, 0x70, v1
	s_wait_alu 0xfffe
	s_cvt_u32_f32 s2, s2
	s_wait_alu 0xfffe
	s_delay_alu instid0(SALU_CYCLE_2)
	s_mul_i32 s3, s3, s2
	s_wait_alu 0xfffe
	s_mul_hi_u32 s0, s2, s3
	s_wait_alu 0xfffe
	s_add_co_i32 s49, s2, s0
	s_branch .LBB317_43
.LBB317_40:                             ;   in Loop: Header=BB317_43 Depth=1
	s_wait_alu 0xfffe
	s_or_b32 exec_lo, exec_lo, s25
	v_perm_b32 v43, v44, v43, 0x7060302
	v_perm_b32 v44, v46, v45, 0x7060302
	;; [unrolled: 1-line block ×4, first 2 shown]
	v_lshlrev_b32_e32 v28, 16, v28
	v_lshlrev_b32_e32 v12, 16, v12
	;; [unrolled: 1-line block ×6, first 2 shown]
	v_and_b32_e32 v48, 0xffff0000, v43
	v_lshlrev_b32_e32 v43, 16, v43
	v_lshlrev_b32_e32 v33, 16, v33
	;; [unrolled: 1-line block ×3, first 2 shown]
	s_delay_alu instid0(VALU_DEP_3)
	v_mul_f32_e32 v43, v43, v49
	v_mul_f32_e32 v47, v48, v47
	v_and_b32_e32 v49, 0xffff0000, v45
	v_lshlrev_b32_e32 v45, 16, v45
	v_and_b32_e32 v48, 0xffff0000, v44
	v_or_b32_e32 v53, 0x400000, v43
	v_bfe_u32 v52, v47, 16, 1
	v_cmp_u_f32_e64 s0, v47, v47
	v_dual_mul_f32 v28, v45, v28 :: v_dual_and_b32 v45, 0xffff0000, v46
	v_lshlrev_b32_e32 v46, 16, v46
	v_lshlrev_b32_e32 v44, 16, v44
	v_add3_u32 v52, v52, v47, 0x7fff
	v_dual_mul_f32 v33, v49, v33 :: v_dual_mul_f32 v48, v48, v50
	v_bfe_u32 v50, v43, 16, 1
	v_dual_mul_f32 v12, v45, v12 :: v_dual_mul_f32 v11, v46, v11
	v_mul_f32_e32 v44, v44, v51
	v_or_b32_e32 v51, 0x400000, v47
	v_bfe_u32 v54, v48, 16, 1
	v_add3_u32 v50, v50, v43, 0x7fff
	v_or_b32_e32 v45, 0x400000, v33
	s_wait_alu 0xf1ff
	v_cndmask_b32_e64 v47, v52, v51, s0
	v_cmp_u_f32_e64 s0, v43, v43
	v_or_b32_e32 v51, 0x400000, v48
	v_bfe_u32 v52, v44, 16, 1
	s_delay_alu instid0(VALU_DEP_4)
	v_and_b32_e32 v47, 0xffff0000, v47
	s_wait_alu 0xf1ff
	v_cndmask_b32_e64 v43, v50, v53, s0
	v_add3_u32 v50, v54, v48, 0x7fff
	v_cmp_u_f32_e64 s0, v48, v48
	v_add3_u32 v49, v52, v44, 0x7fff
	v_bfe_u32 v52, v11, 16, 1
	v_and_b32_e32 v43, 0xffff0000, v43
	s_wait_alu 0xf1ff
	v_cndmask_b32_e64 v48, v50, v51, s0
	v_or_b32_e32 v50, 0x400000, v44
	v_bfe_u32 v51, v33, 16, 1
	v_cmp_u_f32_e64 s0, v44, v44
	s_delay_alu instid0(VALU_DEP_4) | instskip(SKIP_1) | instid1(VALU_DEP_2)
	v_dual_add_f32 v43, v43, v47 :: v_dual_and_b32 v48, 0xffff0000, v48
	s_wait_alu 0xf1ff
	v_cndmask_b32_e64 v44, v49, v50, s0
	v_bfe_u32 v49, v28, 16, 1
	v_add3_u32 v50, v51, v33, 0x7fff
	v_cmp_u_f32_e64 s0, v33, v33
	v_bfe_u32 v51, v12, 16, 1
	v_and_b32_e32 v44, 0xffff0000, v44
	v_add3_u32 v46, v49, v28, 0x7fff
	v_or_b32_e32 v49, 0x400000, v28
	s_wait_alu 0xf1ff
	v_cndmask_b32_e64 v33, v50, v45, s0
	v_cmp_u_f32_e64 s0, v28, v28
	v_add3_u32 v45, v51, v12, 0x7fff
	v_or_b32_e32 v50, 0x400000, v12
	s_delay_alu instid0(VALU_DEP_4)
	v_dual_add_f32 v44, v44, v48 :: v_dual_and_b32 v33, 0xffff0000, v33
	s_wait_alu 0xf1ff
	v_cndmask_b32_e64 v28, v46, v49, s0
	v_add3_u32 v46, v52, v11, 0x7fff
	v_or_b32_e32 v49, 0x400000, v11
	v_cmp_u_f32_e64 s0, v11, v11
	s_delay_alu instid0(VALU_DEP_4) | instskip(SKIP_1) | instid1(VALU_DEP_2)
	v_dual_add_f32 v43, v44, v43 :: v_dual_and_b32 v28, 0xffff0000, v28
	s_wait_alu 0xf1ff
	v_cndmask_b32_e64 v11, v46, v49, s0
	v_cmp_u_f32_e64 s0, v12, v12
	s_delay_alu instid0(VALU_DEP_2) | instskip(SKIP_1) | instid1(VALU_DEP_2)
	v_dual_add_f32 v28, v28, v33 :: v_dual_and_b32 v11, 0xffff0000, v11
	s_wait_alu 0xf1ff
	v_cndmask_b32_e64 v12, v45, v50, s0
	s_delay_alu instid0(VALU_DEP_2) | instskip(NEXT) | instid1(VALU_DEP_2)
	v_add_f32_e32 v28, v28, v43
	v_and_b32_e32 v12, 0xffff0000, v12
	s_delay_alu instid0(VALU_DEP_1) | instskip(NEXT) | instid1(VALU_DEP_1)
	v_add_f32_e32 v11, v11, v12
	v_add_f32_e32 v11, v11, v28
	s_delay_alu instid0(VALU_DEP_1)
	v_add_f32_e32 v17, v17, v11
.LBB317_41:                             ;   in Loop: Header=BB317_43 Depth=1
	s_or_b32 exec_lo, exec_lo, s52
	v_bfe_u32 v11, v40, 16, 1
	v_or_b32_e32 v12, 0x400000, v40
	v_bfe_u32 v28, v39, 16, 1
	v_bfe_u32 v43, v38, 16, 1
	v_or_b32_e32 v33, 0x400000, v39
	v_add3_u32 v11, v11, v40, 0x7fff
	v_bfe_u32 v40, v37, 16, 1
	v_add3_u32 v28, v28, v39, 0x7fff
	v_add3_u32 v39, v43, v38, 0x7fff
	v_bfe_u32 v44, v42, 16, 1
	s_wait_alu 0xf1ff
	v_cndmask_b32_e64 v11, v11, v12, s23
	v_or_b32_e32 v12, 0x400000, v38
	v_add3_u32 v38, v40, v37, 0x7fff
	v_or_b32_e32 v37, 0x400000, v37
	v_cndmask_b32_e64 v28, v28, v33, s19
	v_bfe_u32 v43, v41, 16, 1
	v_cndmask_b32_e64 v12, v39, v12, s20
	v_add3_u32 v40, v44, v42, 0x7fff
	v_cndmask_b32_e64 v33, v38, v37, s21
	v_or_b32_e32 v42, 0x400000, v42
	v_add3_u32 v38, v43, v41, 0x7fff
	v_and_b32_e32 v12, 0xffff0000, v12
	v_or_b32_e32 v39, 0x400000, v41
	v_and_b32_e32 v33, 0xffff0000, v33
	v_and_b32_e32 v11, 0xffff0000, v11
	v_cndmask_b32_e64 v37, v40, v42, s24
	v_bfe_u32 v40, v36, 16, 1
	v_cndmask_b32_e64 v38, v38, v39, s22
	v_add_f32_e32 v12, v33, v12
	v_and_b32_e32 v28, 0xffff0000, v28
	v_bfe_u32 v39, v35, 16, 1
	v_add3_u32 v40, v40, v36, 0x7fff
	v_and_b32_e32 v33, 0xffff0000, v37
	v_or_b32_e32 v36, 0x400000, v36
	v_add_f32_e32 v11, v28, v11
	v_add3_u32 v37, v39, v35, 0x7fff
	v_or_b32_e32 v35, 0x400000, v35
	s_delay_alu instid0(VALU_DEP_3) | instskip(NEXT) | instid1(VALU_DEP_2)
	v_dual_add_f32 v11, v12, v11 :: v_dual_and_b32 v28, 0xffff0000, v38
	v_cndmask_b32_e64 v35, v37, v35, s16
	v_bfe_u32 v37, v13, 16, 1
	s_delay_alu instid0(VALU_DEP_2) | instskip(SKIP_3) | instid1(VALU_DEP_3)
	v_dual_add_f32 v12, v28, v33 :: v_dual_and_b32 v35, 0xffff0000, v35
	v_cndmask_b32_e64 v28, v40, v36, s18
	v_bfe_u32 v33, v34, 16, 1
	v_bfe_u32 v36, v32, 16, 1
	v_dual_add_f32 v11, v12, v11 :: v_dual_and_b32 v12, 0xffff0000, v28
	s_delay_alu instid0(VALU_DEP_3) | instskip(SKIP_1) | instid1(VALU_DEP_4)
	v_add3_u32 v28, v33, v34, 0x7fff
	v_or_b32_e32 v33, 0x400000, v34
	v_add3_u32 v34, v36, v32, 0x7fff
	v_or_b32_e32 v32, 0x400000, v32
	v_bfe_u32 v36, v31, 16, 1
	s_delay_alu instid0(VALU_DEP_4) | instskip(SKIP_1) | instid1(VALU_DEP_4)
	v_cndmask_b32_e64 v28, v28, v33, s14
	v_bfe_u32 v33, v30, 16, 1
	v_cndmask_b32_e64 v32, v34, v32, s17
	v_bfe_u32 v34, v29, 16, 1
	v_add3_u32 v36, v36, v31, 0x7fff
	v_or_b32_e32 v31, 0x400000, v31
	v_add3_u32 v33, v33, v30, 0x7fff
	v_or_b32_e32 v30, 0x400000, v30
	;; [unrolled: 2-line block ×3, first 2 shown]
	v_cndmask_b32_e64 v31, v36, v31, s15
	v_bfe_u32 v36, v27, 16, 1
	v_cndmask_b32_e64 v30, v33, v30, s12
	v_add3_u32 v33, v37, v13, 0x7fff
	v_cndmask_b32_e64 v29, v34, v29, s13
	v_or_b32_e32 v13, 0x400000, v13
	v_add3_u32 v34, v36, v27, 0x7fff
	v_bfe_u32 v36, v14, 16, 1
	v_and_b32_e32 v28, 0xffff0000, v28
	v_and_b32_e32 v29, 0xffff0000, v29
	v_cndmask_b32_e64 v13, v33, v13, s9
	v_and_b32_e32 v30, 0xffff0000, v30
	v_add3_u32 v36, v36, v14, 0x7fff
	v_or_b32_e32 v14, 0x400000, v14
	v_bfe_u32 v33, v2, 16, 1
	v_or_b32_e32 v27, 0x400000, v27
	s_delay_alu instid0(VALU_DEP_3) | instskip(NEXT) | instid1(VALU_DEP_2)
	v_cndmask_b32_e64 v14, v36, v14, s11
	v_cndmask_b32_e64 v27, v34, v27, s10
	s_delay_alu instid0(VALU_DEP_2) | instskip(SKIP_1) | instid1(VALU_DEP_1)
	v_and_b32_e32 v14, 0xffff0000, v14
	v_and_b32_e32 v13, 0xffff0000, v13
	v_add_f32_e32 v13, v13, v29
	v_bfe_u32 v29, v3, 16, 1
	s_delay_alu instid0(VALU_DEP_1) | instskip(SKIP_1) | instid1(VALU_DEP_1)
	v_add3_u32 v29, v29, v3, 0x7fff
	v_or_b32_e32 v3, 0x400000, v3
	v_cndmask_b32_e64 v3, v29, v3, s3
	v_add3_u32 v29, v33, v2, 0x7fff
	v_or_b32_e32 v2, 0x400000, v2
	s_delay_alu instid0(VALU_DEP_3) | instskip(SKIP_1) | instid1(VALU_DEP_3)
	v_and_b32_e32 v3, 0xffff0000, v3
	v_and_b32_e32 v32, 0xffff0000, v32
	v_cndmask_b32_e64 v2, v29, v2, s1
	s_delay_alu instid0(VALU_DEP_2) | instskip(SKIP_1) | instid1(VALU_DEP_3)
	v_dual_add_f32 v28, v32, v28 :: v_dual_and_b32 v31, 0xffff0000, v31
	v_bfe_u32 v32, v4, 16, 1
	v_and_b32_e32 v2, 0xffff0000, v2
	s_delay_alu instid0(VALU_DEP_3) | instskip(SKIP_1) | instid1(VALU_DEP_4)
	v_add_f32_e32 v30, v30, v31
	v_bfe_u32 v31, v8, 16, 1
	v_add3_u32 v32, v32, v4, 0x7fff
	v_or_b32_e32 v4, 0x400000, v4
	s_delay_alu instid0(VALU_DEP_4) | instskip(SKIP_4) | instid1(VALU_DEP_4)
	v_add_f32_e32 v28, v30, v28
	v_bfe_u32 v30, v7, 16, 1
	v_add3_u32 v31, v31, v8, 0x7fff
	v_or_b32_e32 v8, 0x400000, v8
	v_cndmask_b32_e64 v4, v32, v4, s6
	v_add3_u32 v30, v30, v7, 0x7fff
	v_or_b32_e32 v7, 0x400000, v7
	s_delay_alu instid0(VALU_DEP_4) | instskip(SKIP_1) | instid1(VALU_DEP_3)
	v_cndmask_b32_e64 v8, v31, v8, s7
	v_bfe_u32 v31, v5, 16, 1
	v_cndmask_b32_e64 v7, v30, v7, s8
	v_bfe_u32 v30, v6, 16, 1
	s_delay_alu instid0(VALU_DEP_3) | instskip(SKIP_1) | instid1(VALU_DEP_3)
	v_add3_u32 v31, v31, v5, 0x7fff
	v_or_b32_e32 v5, 0x400000, v5
	v_add3_u32 v30, v30, v6, 0x7fff
	v_or_b32_e32 v6, 0x400000, v6
	s_delay_alu instid0(VALU_DEP_3) | instskip(NEXT) | instid1(VALU_DEP_2)
	v_cndmask_b32_e64 v5, v31, v5, s5
	v_cndmask_b32_e64 v6, v30, v6, s4
	v_bfe_u32 v30, v1, 16, 1
	s_delay_alu instid0(VALU_DEP_3) | instskip(NEXT) | instid1(VALU_DEP_3)
	v_and_b32_e32 v5, 0xffff0000, v5
	v_and_b32_e32 v6, 0xffff0000, v6
	s_delay_alu instid0(VALU_DEP_3) | instskip(SKIP_1) | instid1(VALU_DEP_1)
	v_add3_u32 v30, v30, v1, 0x7fff
	v_or_b32_e32 v1, 0x400000, v1
	v_cndmask_b32_e64 v1, v30, v1, s2
	s_delay_alu instid0(VALU_DEP_1) | instskip(NEXT) | instid1(VALU_DEP_1)
	v_and_b32_e32 v1, 0xffff0000, v1
	v_dual_add_f32 v1, v1, v2 :: v_dual_and_b32 v4, 0xffff0000, v4
	s_delay_alu instid0(VALU_DEP_1) | instskip(SKIP_1) | instid1(VALU_DEP_1)
	v_dual_add_f32 v4, v4, v5 :: v_dual_and_b32 v7, 0xffff0000, v7
	v_dual_add_f32 v5, v12, v35 :: v_dual_and_b32 v8, 0xffff0000, v8
	v_dual_add_f32 v2, v5, v11 :: v_dual_add_f32 v7, v7, v8
	s_delay_alu instid0(VALU_DEP_1) | instskip(SKIP_2) | instid1(VALU_DEP_2)
	v_add_f32_e32 v22, v22, v2
	v_add_f32_e32 v3, v6, v3
	v_and_b32_e32 v6, 0xffff0000, v27
	v_add_f32_e32 v3, v3, v7
	s_delay_alu instid0(VALU_DEP_2) | instskip(NEXT) | instid1(VALU_DEP_2)
	v_dual_add_f32 v7, v13, v28 :: v_dual_add_f32 v6, v14, v6
	v_add_f32_e32 v3, v4, v3
	s_delay_alu instid0(VALU_DEP_2) | instskip(NEXT) | instid1(VALU_DEP_2)
	v_add_f32_e32 v4, v6, v7
	v_add_f32_e32 v1, v1, v3
	s_delay_alu instid0(VALU_DEP_1)
	v_dual_add_f32 v23, v23, v4 :: v_dual_add_f32 v18, v18, v1
.LBB317_42:                             ;   in Loop: Header=BB317_43 Depth=1
	s_wait_alu 0xfffe
	s_or_b32 exec_lo, exec_lo, s50
	v_add_nc_u32_e32 v21, 4, v21
	v_add_co_u32 v9, s1, v9, 16
	s_wait_alu 0xf1ff
	v_add_co_ci_u32_e64 v10, null, 0, v10, s1
	s_delay_alu instid0(VALU_DEP_3)
	v_cmp_le_i32_e64 s0, s43, v21
	v_add_nc_u32_e32 v20, 32, v20
	v_add_nc_u32_e32 v26, 0x80, v26
	s_or_b32 s48, s0, s48
	s_wait_alu 0xfffe
	s_and_not1_b32 exec_lo, exec_lo, s48
	s_cbranch_execz .LBB317_53
.LBB317_43:                             ; =>This Inner Loop Header: Depth=1
	v_sub_nc_u32_e32 v1, 0, v20
	s_delay_alu instid0(VALU_DEP_1) | instskip(NEXT) | instid1(VALU_DEP_1)
	v_max_i32_e32 v1, v20, v1
	v_mul_hi_u32 v2, v1, s30
	s_delay_alu instid0(VALU_DEP_1) | instskip(NEXT) | instid1(VALU_DEP_1)
	v_mul_lo_u32 v3, v2, s41
	v_sub_nc_u32_e32 v1, v1, v3
	v_add_nc_u32_e32 v3, 1, v2
	s_delay_alu instid0(VALU_DEP_2) | instskip(SKIP_2) | instid1(VALU_DEP_1)
	v_subrev_nc_u32_e32 v4, s41, v1
	v_cmp_le_u32_e64 s0, s41, v1
	s_wait_alu 0xf1ff
	v_cndmask_b32_e64 v2, v2, v3, s0
	s_delay_alu instid0(VALU_DEP_3) | instskip(SKIP_1) | instid1(VALU_DEP_3)
	v_cndmask_b32_e64 v1, v1, v4, s0
	v_ashrrev_i32_e32 v3, 31, v20
	v_add_nc_u32_e32 v4, 1, v2
	s_delay_alu instid0(VALU_DEP_3) | instskip(NEXT) | instid1(VALU_DEP_3)
	v_cmp_le_u32_e64 s0, s41, v1
	v_xor_b32_e32 v3, s31, v3
	s_wait_alu 0xf1ff
	s_delay_alu instid0(VALU_DEP_2) | instskip(NEXT) | instid1(VALU_DEP_1)
	v_cndmask_b32_e64 v1, v2, v4, s0
	v_xor_b32_e32 v1, v1, v3
	s_delay_alu instid0(VALU_DEP_1) | instskip(NEXT) | instid1(VALU_DEP_1)
	v_sub_nc_u32_e32 v1, v1, v3
	v_add_nc_u32_e32 v2, s42, v1
	v_cmp_lt_i32_e64 s1, s45, v1
	s_delay_alu instid0(VALU_DEP_2) | instskip(NEXT) | instid1(VALU_DEP_1)
	v_sub_nc_u32_e32 v3, 0, v2
	v_max_i32_e32 v3, v2, v3
	v_ashrrev_i32_e32 v2, 31, v2
	s_delay_alu instid0(VALU_DEP_2) | instskip(NEXT) | instid1(VALU_DEP_1)
	v_mul_hi_u32 v4, v3, s49
	v_mul_lo_u32 v4, v4, s44
	s_delay_alu instid0(VALU_DEP_1) | instskip(NEXT) | instid1(VALU_DEP_1)
	v_sub_nc_u32_e32 v3, v3, v4
	v_subrev_nc_u32_e32 v4, s44, v3
	v_cmp_le_u32_e64 s0, s44, v3
	s_wait_alu 0xf1ff
	s_delay_alu instid0(VALU_DEP_1) | instskip(NEXT) | instid1(VALU_DEP_1)
	v_cndmask_b32_e64 v3, v3, v4, s0
	v_subrev_nc_u32_e32 v4, s44, v3
	v_cmp_le_u32_e64 s0, s44, v3
	s_wait_alu 0xf1ff
	s_delay_alu instid0(VALU_DEP_1) | instskip(NEXT) | instid1(VALU_DEP_1)
	v_cndmask_b32_e64 v3, v3, v4, s0
	v_xor_b32_e32 v3, v3, v2
	s_delay_alu instid0(VALU_DEP_1) | instskip(NEXT) | instid1(VALU_DEP_1)
	v_sub_nc_u32_e32 v2, v3, v2
	v_cmp_eq_u32_e64 s0, 0, v2
	s_or_b32 s0, s0, s1
	s_wait_alu 0xfffe
	s_and_saveexec_b32 s50, s0
	s_cbranch_execz .LBB317_42
; %bb.44:                               ;   in Loop: Header=BB317_43 Depth=1
	global_load_b32 v1, v[9:10], off
	s_load_b32 s51, s[26:27], 0x0
	s_wait_loadcnt 0x0
	v_mad_co_i64_i32 v[11:12], null, v1, s46, s[38:39]
	s_delay_alu instid0(VALU_DEP_1) | instskip(SKIP_1) | instid1(VALU_DEP_2)
	v_add_co_u32 v13, s0, v11, v25
	s_wait_alu 0xf1ff
	v_add_co_ci_u32_e64 v14, null, 0, v12, s0
	v_cmp_eq_u32_e64 s0, s47, v21
	global_load_b64 v[27:28], v[13:14], off
	ds_load_2addr_b64 v[5:8], v26 offset1:1
	ds_load_2addr_b64 v[1:4], v26 offset0:2 offset1:3
	s_wait_loadcnt 0x0
	v_bfe_u32 v30, v27, 8, 8
	v_bfe_u32 v31, v27, 16, 8
	;; [unrolled: 1-line block ×4, first 2 shown]
	s_delay_alu instid0(VALU_DEP_4)
	v_cvt_f32_fp8_e32 v30, v30
	v_and_b32_e32 v29, 0xff, v27
	v_lshrrev_b32_e32 v27, 24, v27
	v_cvt_f32_fp8_e32 v31, v31
	v_cvt_f32_fp8_e32 v34, v34
	s_wait_kmcnt 0x0
	v_mul_f32_e32 v30, s51, v30
	v_cvt_f32_fp8_e32 v29, v29
	v_and_b32_e32 v32, 0xff, v28
	v_cvt_f32_fp8_e32 v27, v27
	v_lshrrev_b32_e32 v28, 24, v28
	v_bfe_u32 v37, v30, 16, 1
	v_mul_f32_e32 v29, s51, v29
	v_cvt_f32_fp8_e32 v32, v32
	v_mul_f32_e32 v31, s51, v31
	v_dual_mul_f32 v27, s51, v27 :: v_dual_mul_f32 v34, s51, v34
	s_delay_alu instid0(VALU_DEP_4)
	v_bfe_u32 v35, v29, 16, 1
	v_or_b32_e32 v36, 0x400000, v29
	v_cmp_u_f32_e64 s1, v29, v29
	v_mul_f32_e32 v32, s51, v32
	v_or_b32_e32 v38, 0x400000, v30
	v_add3_u32 v35, v35, v29, 0x7fff
	v_bfe_u32 v39, v31, 16, 1
	v_add3_u32 v37, v37, v30, 0x7fff
	v_cvt_f32_fp8_e32 v33, v33
	v_or_b32_e32 v40, 0x400000, v31
	s_wait_alu 0xf1ff
	v_cndmask_b32_e64 v29, v35, v36, s1
	v_cmp_u_f32_e64 s1, v30, v30
	v_bfe_u32 v41, v27, 16, 1
	v_add3_u32 v39, v39, v31, 0x7fff
	v_cvt_f32_fp8_e32 v28, v28
	v_mul_f32_e32 v33, s51, v33
	s_wait_alu 0xf1ff
	v_cndmask_b32_e64 v30, v37, v38, s1
	v_cmp_u_f32_e64 s1, v31, v31
	v_or_b32_e32 v42, 0x400000, v27
	v_bfe_u32 v43, v32, 16, 1
	v_add3_u32 v41, v41, v27, 0x7fff
	v_mul_f32_e32 v28, s51, v28
	s_wait_alu 0xf1ff
	v_cndmask_b32_e64 v31, v39, v40, s1
	v_cmp_u_f32_e64 s1, v27, v27
	v_or_b32_e32 v44, 0x400000, v32
	v_bfe_u32 v45, v33, 16, 1
	v_add3_u32 v43, v43, v32, 0x7fff
	v_or_b32_e32 v46, 0x400000, v33
	s_wait_alu 0xf1ff
	v_cndmask_b32_e64 v27, v41, v42, s1
	v_cmp_u_f32_e64 s1, v32, v32
	v_bfe_u32 v47, v34, 16, 1
	v_add3_u32 v45, v45, v33, 0x7fff
	v_or_b32_e32 v48, 0x400000, v34
	v_bfe_u32 v49, v28, 16, 1
	s_wait_alu 0xf1ff
	v_cndmask_b32_e64 v35, v43, v44, s1
	v_cmp_u_f32_e64 s1, v33, v33
	v_add3_u32 v47, v47, v34, 0x7fff
	v_or_b32_e32 v50, 0x400000, v28
	v_add3_u32 v49, v49, v28, 0x7fff
	v_lshrrev_b32_e32 v33, 16, v29
	s_wait_alu 0xf1ff
	v_cndmask_b32_e64 v36, v45, v46, s1
	v_cmp_u_f32_e64 s1, v34, v34
	v_lshrrev_b32_e32 v34, 16, v30
	v_lshrrev_b32_e32 v31, 16, v31
	;; [unrolled: 1-line block ×4, first 2 shown]
	s_wait_alu 0xf1ff
	v_cndmask_b32_e64 v37, v47, v48, s1
	v_cmp_u_f32_e64 s1, v28, v28
	v_lshrrev_b32_e32 v30, 16, v36
	s_delay_alu instid0(VALU_DEP_3) | instskip(SKIP_1) | instid1(VALU_DEP_3)
	v_lshrrev_b32_e32 v27, 16, v37
	s_wait_alu 0xf1ff
	v_cndmask_b32_e64 v28, v49, v50, s1
	s_delay_alu instid0(VALU_DEP_1)
	v_lshrrev_b32_e32 v28, 16, v28
	s_and_saveexec_b32 s2, s0
	s_cbranch_execz .LBB317_46
; %bb.45:                               ;   in Loop: Header=BB317_43 Depth=1
	v_add_nc_u32_e32 v35, 1, v20
	v_cmp_gt_i32_e64 s1, s40, v20
	v_add_nc_u32_e32 v36, 2, v20
	v_add_nc_u32_e32 v37, 3, v20
	s_wait_alu 0xf1ff
	s_delay_alu instid0(VALU_DEP_3) | instskip(SKIP_3) | instid1(VALU_DEP_2)
	v_cndmask_b32_e64 v33, 0, v33, s1
	v_cmp_gt_i32_e64 s1, s40, v35
	v_add_nc_u32_e32 v35, 4, v20
	s_wait_alu 0xf1ff
	v_cndmask_b32_e64 v34, 0, v34, s1
	v_cmp_gt_i32_e64 s1, s40, v36
	v_add_nc_u32_e32 v36, 5, v20
	s_wait_alu 0xf1ff
	s_delay_alu instid0(VALU_DEP_2) | instskip(SKIP_3) | instid1(VALU_DEP_2)
	v_cndmask_b32_e64 v31, 0, v31, s1
	v_cmp_gt_i32_e64 s1, s40, v37
	v_add_nc_u32_e32 v37, 6, v20
	s_wait_alu 0xf1ff
	v_cndmask_b32_e64 v32, 0, v32, s1
	v_cmp_gt_i32_e64 s1, s40, v35
	v_add_nc_u32_e32 v35, 7, v20
	s_wait_alu 0xf1ff
	s_delay_alu instid0(VALU_DEP_2) | instskip(SKIP_2) | instid1(VALU_DEP_1)
	v_cndmask_b32_e64 v29, 0, v29, s1
	v_cmp_gt_i32_e64 s1, s40, v36
	s_wait_alu 0xf1ff
	v_cndmask_b32_e64 v30, 0, v30, s1
	v_cmp_gt_i32_e64 s1, s40, v37
	s_wait_alu 0xf1ff
	s_delay_alu instid0(VALU_DEP_1) | instskip(SKIP_2) | instid1(VALU_DEP_1)
	v_cndmask_b32_e64 v27, 0, v27, s1
	v_cmp_gt_i32_e64 s1, s40, v35
	s_wait_alu 0xf1ff
	v_cndmask_b32_e64 v28, 0, v28, s1
.LBB317_46:                             ;   in Loop: Header=BB317_43 Depth=1
	s_wait_alu 0xfffe
	s_or_b32 exec_lo, exec_lo, s2
	global_load_b64 v[35:36], v[13:14], off offset:256
	s_wait_loadcnt 0x0
	v_bfe_u32 v38, v35, 8, 8
	v_bfe_u32 v39, v35, 16, 8
	;; [unrolled: 1-line block ×4, first 2 shown]
	s_delay_alu instid0(VALU_DEP_4)
	v_cvt_f32_fp8_e32 v38, v38
	v_and_b32_e32 v37, 0xff, v35
	v_lshrrev_b32_e32 v35, 24, v35
	v_cvt_f32_fp8_e32 v39, v39
	v_cvt_f32_fp8_e32 v42, v42
	v_mul_f32_e32 v38, s51, v38
	v_cvt_f32_fp8_e32 v37, v37
	v_and_b32_e32 v40, 0xff, v36
	v_cvt_f32_fp8_e32 v35, v35
	v_lshrrev_b32_e32 v36, 24, v36
	v_bfe_u32 v45, v38, 16, 1
	v_mul_f32_e32 v37, s51, v37
	v_cvt_f32_fp8_e32 v40, v40
	v_mul_f32_e32 v39, s51, v39
	v_dual_mul_f32 v35, s51, v35 :: v_dual_mul_f32 v42, s51, v42
	s_delay_alu instid0(VALU_DEP_4)
	v_bfe_u32 v43, v37, 16, 1
	v_or_b32_e32 v44, 0x400000, v37
	v_cmp_u_f32_e64 s1, v37, v37
	v_mul_f32_e32 v40, s51, v40
	v_or_b32_e32 v46, 0x400000, v38
	v_add3_u32 v43, v43, v37, 0x7fff
	v_bfe_u32 v47, v39, 16, 1
	v_add3_u32 v45, v45, v38, 0x7fff
	v_cvt_f32_fp8_e32 v41, v41
	v_or_b32_e32 v48, 0x400000, v39
	s_wait_alu 0xf1ff
	v_cndmask_b32_e64 v37, v43, v44, s1
	v_cmp_u_f32_e64 s1, v38, v38
	v_bfe_u32 v49, v35, 16, 1
	v_add3_u32 v47, v47, v39, 0x7fff
	v_cvt_f32_fp8_e32 v36, v36
	v_mul_f32_e32 v41, s51, v41
	s_wait_alu 0xf1ff
	v_cndmask_b32_e64 v38, v45, v46, s1
	v_cmp_u_f32_e64 s1, v39, v39
	v_or_b32_e32 v50, 0x400000, v35
	v_bfe_u32 v51, v40, 16, 1
	v_add3_u32 v49, v49, v35, 0x7fff
	v_mul_f32_e32 v36, s51, v36
	s_wait_alu 0xf1ff
	v_cndmask_b32_e64 v43, v47, v48, s1
	v_cmp_u_f32_e64 s1, v35, v35
	v_or_b32_e32 v52, 0x400000, v40
	v_bfe_u32 v53, v41, 16, 1
	v_add3_u32 v51, v51, v40, 0x7fff
	v_or_b32_e32 v54, 0x400000, v41
	s_wait_alu 0xf1ff
	v_cndmask_b32_e64 v35, v49, v50, s1
	v_cmp_u_f32_e64 s1, v40, v40
	v_bfe_u32 v55, v42, 16, 1
	v_add3_u32 v53, v53, v41, 0x7fff
	v_or_b32_e32 v56, 0x400000, v42
	v_bfe_u32 v57, v36, 16, 1
	s_wait_alu 0xf1ff
	v_cndmask_b32_e64 v44, v51, v52, s1
	v_cmp_u_f32_e64 s1, v41, v41
	v_add3_u32 v55, v55, v42, 0x7fff
	v_or_b32_e32 v58, 0x400000, v36
	v_add3_u32 v57, v57, v36, 0x7fff
	v_lshrrev_b32_e32 v39, 16, v37
	s_wait_alu 0xf1ff
	v_cndmask_b32_e64 v45, v53, v54, s1
	v_cmp_u_f32_e64 s1, v42, v42
	v_lshrrev_b32_e32 v40, 16, v38
	v_lshrrev_b32_e32 v37, 16, v43
	;; [unrolled: 1-line block ×4, first 2 shown]
	s_wait_alu 0xf1ff
	v_cndmask_b32_e64 v46, v55, v56, s1
	v_cmp_u_f32_e64 s1, v36, v36
	v_lshrrev_b32_e32 v42, 16, v45
	s_delay_alu instid0(VALU_DEP_3) | instskip(SKIP_1) | instid1(VALU_DEP_3)
	v_lshrrev_b32_e32 v35, 16, v46
	s_wait_alu 0xf1ff
	v_cndmask_b32_e64 v36, v57, v58, s1
	s_delay_alu instid0(VALU_DEP_1)
	v_lshrrev_b32_e32 v36, 16, v36
	s_and_saveexec_b32 s2, s0
	s_cbranch_execz .LBB317_48
; %bb.47:                               ;   in Loop: Header=BB317_43 Depth=1
	v_add_nc_u32_e32 v43, 1, v20
	v_cmp_gt_i32_e64 s1, s40, v20
	v_add_nc_u32_e32 v44, 2, v20
	v_add_nc_u32_e32 v45, 3, v20
	s_wait_alu 0xf1ff
	s_delay_alu instid0(VALU_DEP_3) | instskip(SKIP_3) | instid1(VALU_DEP_2)
	v_cndmask_b32_e64 v39, 0, v39, s1
	v_cmp_gt_i32_e64 s1, s40, v43
	v_add_nc_u32_e32 v43, 4, v20
	s_wait_alu 0xf1ff
	v_cndmask_b32_e64 v40, 0, v40, s1
	v_cmp_gt_i32_e64 s1, s40, v44
	v_add_nc_u32_e32 v44, 5, v20
	s_wait_alu 0xf1ff
	s_delay_alu instid0(VALU_DEP_2) | instskip(SKIP_3) | instid1(VALU_DEP_2)
	v_cndmask_b32_e64 v37, 0, v37, s1
	v_cmp_gt_i32_e64 s1, s40, v45
	v_add_nc_u32_e32 v45, 6, v20
	s_wait_alu 0xf1ff
	v_cndmask_b32_e64 v38, 0, v38, s1
	v_cmp_gt_i32_e64 s1, s40, v43
	v_add_nc_u32_e32 v43, 7, v20
	s_wait_alu 0xf1ff
	s_delay_alu instid0(VALU_DEP_2) | instskip(SKIP_2) | instid1(VALU_DEP_1)
	v_cndmask_b32_e64 v41, 0, v41, s1
	v_cmp_gt_i32_e64 s1, s40, v44
	s_wait_alu 0xf1ff
	v_cndmask_b32_e64 v42, 0, v42, s1
	v_cmp_gt_i32_e64 s1, s40, v45
	s_wait_alu 0xf1ff
	s_delay_alu instid0(VALU_DEP_1) | instskip(SKIP_2) | instid1(VALU_DEP_1)
	v_cndmask_b32_e64 v35, 0, v35, s1
	v_cmp_gt_i32_e64 s1, s40, v43
	s_wait_alu 0xf1ff
	v_cndmask_b32_e64 v36, 0, v36, s1
.LBB317_48:                             ;   in Loop: Header=BB317_43 Depth=1
	s_wait_alu 0xfffe
	s_or_b32 exec_lo, exec_lo, s2
	global_load_b64 v[13:14], v[13:14], off offset:512
	s_wait_loadcnt 0x0
	v_bfe_u32 v44, v13, 8, 8
	v_bfe_u32 v45, v13, 16, 8
	;; [unrolled: 1-line block ×4, first 2 shown]
	s_delay_alu instid0(VALU_DEP_4)
	v_cvt_f32_fp8_e32 v44, v44
	v_and_b32_e32 v43, 0xff, v13
	v_lshrrev_b32_e32 v13, 24, v13
	v_cvt_f32_fp8_e32 v45, v45
	v_cvt_f32_fp8_e32 v48, v48
	v_mul_f32_e32 v44, s51, v44
	v_cvt_f32_fp8_e32 v43, v43
	v_and_b32_e32 v46, 0xff, v14
	v_cvt_f32_fp8_e32 v13, v13
	v_lshrrev_b32_e32 v14, 24, v14
	v_bfe_u32 v51, v44, 16, 1
	v_mul_f32_e32 v43, s51, v43
	v_cvt_f32_fp8_e32 v46, v46
	v_mul_f32_e32 v45, s51, v45
	v_dual_mul_f32 v13, s51, v13 :: v_dual_mul_f32 v48, s51, v48
	s_delay_alu instid0(VALU_DEP_4)
	v_bfe_u32 v49, v43, 16, 1
	v_or_b32_e32 v50, 0x400000, v43
	v_cmp_u_f32_e64 s1, v43, v43
	v_mul_f32_e32 v46, s51, v46
	v_or_b32_e32 v52, 0x400000, v44
	v_add3_u32 v49, v49, v43, 0x7fff
	v_bfe_u32 v53, v45, 16, 1
	v_add3_u32 v51, v51, v44, 0x7fff
	v_cvt_f32_fp8_e32 v47, v47
	v_or_b32_e32 v54, 0x400000, v45
	s_wait_alu 0xf1ff
	v_cndmask_b32_e64 v43, v49, v50, s1
	v_cmp_u_f32_e64 s1, v44, v44
	v_bfe_u32 v55, v13, 16, 1
	v_add3_u32 v53, v53, v45, 0x7fff
	v_cvt_f32_fp8_e32 v14, v14
	v_mul_f32_e32 v47, s51, v47
	s_wait_alu 0xf1ff
	v_cndmask_b32_e64 v44, v51, v52, s1
	v_cmp_u_f32_e64 s1, v45, v45
	v_or_b32_e32 v56, 0x400000, v13
	v_bfe_u32 v57, v46, 16, 1
	v_add3_u32 v55, v55, v13, 0x7fff
	v_mul_f32_e32 v14, s51, v14
	s_wait_alu 0xf1ff
	v_cndmask_b32_e64 v45, v53, v54, s1
	v_cmp_u_f32_e64 s1, v13, v13
	v_or_b32_e32 v58, 0x400000, v46
	v_bfe_u32 v59, v47, 16, 1
	v_add3_u32 v57, v57, v46, 0x7fff
	v_or_b32_e32 v60, 0x400000, v47
	s_wait_alu 0xf1ff
	v_cndmask_b32_e64 v13, v55, v56, s1
	v_cmp_u_f32_e64 s1, v46, v46
	v_bfe_u32 v61, v48, 16, 1
	v_add3_u32 v59, v59, v47, 0x7fff
	v_or_b32_e32 v62, 0x400000, v48
	v_bfe_u32 v63, v14, 16, 1
	s_wait_alu 0xf1ff
	v_cndmask_b32_e64 v46, v57, v58, s1
	v_cmp_u_f32_e64 s1, v47, v47
	v_add3_u32 v61, v61, v48, 0x7fff
	v_or_b32_e32 v64, 0x400000, v14
	v_add3_u32 v63, v63, v14, 0x7fff
	v_lshrrev_b32_e32 v56, 16, v43
	s_wait_alu 0xf1ff
	v_cndmask_b32_e64 v47, v59, v60, s1
	v_cmp_u_f32_e64 s1, v48, v48
	v_lshrrev_b32_e32 v57, 16, v44
	v_lshrrev_b32_e32 v55, 16, v45
	;; [unrolled: 1-line block ×4, first 2 shown]
	s_wait_alu 0xf1ff
	v_cndmask_b32_e64 v48, v61, v62, s1
	v_cmp_u_f32_e64 s1, v14, v14
	v_lshrrev_b32_e32 v14, 16, v13
	s_delay_alu instid0(VALU_DEP_3) | instskip(SKIP_1) | instid1(VALU_DEP_3)
	v_lshrrev_b32_e32 v51, 16, v48
	s_wait_alu 0xf1ff
	v_cndmask_b32_e64 v49, v63, v64, s1
	s_delay_alu instid0(VALU_DEP_1)
	v_lshrrev_b32_e32 v52, 16, v49
	s_and_saveexec_b32 s2, s0
	s_cbranch_execz .LBB317_50
; %bb.49:                               ;   in Loop: Header=BB317_43 Depth=1
	v_add_nc_u32_e32 v13, 1, v20
	v_cmp_gt_i32_e64 s1, s40, v20
	v_add_nc_u32_e32 v43, 2, v20
	v_add_nc_u32_e32 v44, 3, v20
	s_wait_alu 0xf1ff
	s_delay_alu instid0(VALU_DEP_3) | instskip(SKIP_3) | instid1(VALU_DEP_2)
	v_cndmask_b32_e64 v56, 0, v56, s1
	v_cmp_gt_i32_e64 s1, s40, v13
	v_add_nc_u32_e32 v13, 4, v20
	s_wait_alu 0xf1ff
	v_cndmask_b32_e64 v57, 0, v57, s1
	v_cmp_gt_i32_e64 s1, s40, v43
	v_add_nc_u32_e32 v43, 5, v20
	s_wait_alu 0xf1ff
	s_delay_alu instid0(VALU_DEP_2) | instskip(SKIP_3) | instid1(VALU_DEP_2)
	v_cndmask_b32_e64 v55, 0, v55, s1
	v_cmp_gt_i32_e64 s1, s40, v44
	v_add_nc_u32_e32 v44, 6, v20
	s_wait_alu 0xf1ff
	v_cndmask_b32_e64 v14, 0, v14, s1
	v_cmp_gt_i32_e64 s1, s40, v13
	v_add_nc_u32_e32 v13, 7, v20
	s_wait_alu 0xf1ff
	s_delay_alu instid0(VALU_DEP_2) | instskip(SKIP_2) | instid1(VALU_DEP_1)
	v_cndmask_b32_e64 v53, 0, v53, s1
	v_cmp_gt_i32_e64 s1, s40, v43
	s_wait_alu 0xf1ff
	v_cndmask_b32_e64 v54, 0, v54, s1
	v_cmp_gt_i32_e64 s1, s40, v44
	s_wait_alu 0xf1ff
	s_delay_alu instid0(VALU_DEP_1) | instskip(SKIP_2) | instid1(VALU_DEP_1)
	v_cndmask_b32_e64 v51, 0, v51, s1
	v_cmp_gt_i32_e64 s1, s40, v13
	s_wait_alu 0xf1ff
	v_cndmask_b32_e64 v52, 0, v52, s1
.LBB317_50:                             ;   in Loop: Header=BB317_43 Depth=1
	s_wait_alu 0xfffe
	s_or_b32 exec_lo, exec_lo, s2
	s_wait_dscnt 0x1
	v_bfe_u32 v13, v5, 16, 1
	v_or_b32_e32 v43, 0x400000, v5
	v_bfe_u32 v44, v6, 16, 1
	v_cmp_u_f32_e64 s1, v5, v5
	v_bfe_u32 v45, v7, 16, 1
	v_add3_u32 v13, v13, v5, 0x7fff
	v_or_b32_e32 v46, 0x400000, v6
	v_add3_u32 v44, v44, v6, 0x7fff
	v_or_b32_e32 v47, 0x400000, v7
	v_add3_u32 v45, v45, v7, 0x7fff
	s_wait_alu 0xf1ff
	v_cndmask_b32_e64 v43, v13, v43, s1
	v_cmp_u_f32_e64 s1, v6, v6
	v_bfe_u32 v5, v8, 16, 1
	s_wait_dscnt 0x0
	v_bfe_u32 v6, v1, 16, 1
	v_or_b32_e32 v13, 0x400000, v1
	v_bfe_u32 v48, v2, 16, 1
	s_wait_alu 0xf1ff
	v_cndmask_b32_e64 v44, v44, v46, s1
	v_cmp_u_f32_e64 s1, v7, v7
	v_add3_u32 v5, v5, v8, 0x7fff
	v_or_b32_e32 v7, 0x400000, v8
	v_add3_u32 v6, v6, v1, 0x7fff
	v_lshlrev_b32_e32 v51, 16, v51
	s_wait_alu 0xf1ff
	v_cndmask_b32_e64 v45, v45, v47, s1
	v_cmp_u_f32_e64 s1, v8, v8
	v_bfe_u32 v8, v4, 16, 1
	s_wait_alu 0xf1ff
	s_delay_alu instid0(VALU_DEP_2)
	v_cndmask_b32_e64 v46, v5, v7, s1
	v_cmp_u_f32_e64 s1, v1, v1
	v_bfe_u32 v5, v3, 16, 1
	v_add3_u32 v1, v48, v2, 0x7fff
	v_or_b32_e32 v7, 0x400000, v3
	s_wait_alu 0xf1ff
	v_cndmask_b32_e64 v47, v6, v13, s1
	v_or_b32_e32 v6, 0x400000, v2
	v_cmp_u_f32_e64 s1, v2, v2
	v_add3_u32 v5, v5, v3, 0x7fff
	v_or_b32_e32 v13, 0x400000, v4
	s_wait_alu 0xf1ff
	s_delay_alu instid0(VALU_DEP_3) | instskip(SKIP_3) | instid1(VALU_DEP_2)
	v_cndmask_b32_e64 v48, v1, v6, s1
	v_cmp_u_f32_e64 s1, v3, v3
	v_add3_u32 v1, v8, v4, 0x7fff
	s_wait_alu 0xf1ff
	v_cndmask_b32_e64 v49, v5, v7, s1
	v_cmp_u_f32_e64 s1, v4, v4
	v_lshlrev_b32_e32 v7, 16, v38
	s_delay_alu instid0(VALU_DEP_3) | instskip(SKIP_1) | instid1(VALU_DEP_3)
	v_and_b32_e32 v61, 0xffff0000, v49
	s_wait_alu 0xf1ff
	v_cndmask_b32_e64 v50, v1, v13, s1
	s_delay_alu instid0(VALU_DEP_1)
	v_and_b32_e32 v60, 0xffff0000, v50
	v_and_b32_e32 v58, 0xffff0000, v46
	v_and_b32_e32 v4, 0xffff0000, v47
	v_lshlrev_b32_e32 v8, 16, v37
	v_lshlrev_b32_e32 v13, 16, v34
	v_and_b32_e32 v1, 0xffff0000, v48
	v_and_b32_e32 v59, 0xffff0000, v45
	v_lshlrev_b32_e32 v6, 16, v39
	v_dual_mul_f32 v38, v58, v7 :: v_dual_lshlrev_b32 v3, 16, v40
	s_delay_alu instid0(VALU_DEP_3) | instskip(SKIP_2) | instid1(VALU_DEP_4)
	v_dual_mul_f32 v37, v59, v8 :: v_dual_lshlrev_b32 v8, 16, v35
	v_and_b32_e32 v5, 0xffff0000, v43
	v_lshlrev_b32_e32 v7, 16, v36
	v_cmp_u_f32_e64 s20, v38, v38
	s_delay_alu instid0(VALU_DEP_4)
	v_cmp_u_f32_e64 s21, v37, v37
	v_mul_f32_e32 v36, v61, v8
	v_dual_mul_f32 v39, v5, v6 :: v_dual_and_b32 v2, 0xffff0000, v44
	v_mul_f32_e32 v35, v60, v7
	v_lshlrev_b32_e32 v7, 16, v31
	v_lshlrev_b32_e32 v8, 16, v30
	s_delay_alu instid0(VALU_DEP_4)
	v_dual_mul_f32 v40, v2, v3 :: v_dual_lshlrev_b32 v3, 16, v42
	v_mul_f32_e32 v34, v2, v13
	v_lshlrev_b32_e32 v6, 16, v41
	v_lshlrev_b32_e32 v13, 16, v29
	v_mul_f32_e32 v29, v1, v8
	v_mul_f32_e32 v42, v1, v3
	s_delay_alu instid0(VALU_DEP_4)
	v_dual_mul_f32 v30, v59, v7 :: v_dual_mul_f32 v41, v4, v6
	v_lshlrev_b32_e32 v6, 16, v32
	v_lshlrev_b32_e32 v7, 16, v57
	v_cmp_u_f32_e64 s23, v40, v40
	v_cmp_u_f32_e64 s19, v39, v39
	;; [unrolled: 1-line block ×3, first 2 shown]
	v_dual_mul_f32 v31, v58, v6 :: v_dual_lshlrev_b32 v6, 16, v27
	v_dual_mul_f32 v8, v2, v7 :: v_dual_lshlrev_b32 v3, 16, v33
	v_mul_f32_e32 v13, v4, v13
	v_lshlrev_b32_e32 v33, 16, v14
	s_delay_alu instid0(VALU_DEP_4) | instskip(SKIP_4) | instid1(VALU_DEP_4)
	v_mul_f32_e32 v14, v61, v6
	v_lshlrev_b32_e32 v2, 16, v55
	v_dual_mul_f32 v32, v5, v3 :: v_dual_lshlrev_b32 v3, 16, v28
	v_lshlrev_b32_e32 v28, 16, v56
	v_cmp_u_f32_e64 s22, v41, v41
	v_mul_f32_e32 v6, v59, v2
	v_cmp_u_f32_e64 s16, v35, v35
	v_mul_f32_e32 v27, v60, v3
	v_mul_f32_e32 v7, v5, v28
	;; [unrolled: 1-line block ×3, first 2 shown]
	v_lshlrev_b32_e32 v5, 16, v54
	v_lshlrev_b32_e32 v28, 16, v53
	;; [unrolled: 1-line block ×3, first 2 shown]
	v_cmp_u_f32_e64 s18, v36, v36
	v_cmp_u_f32_e64 s14, v34, v34
	s_delay_alu instid0(VALU_DEP_4) | instskip(NEXT) | instid1(VALU_DEP_4)
	v_dual_mul_f32 v5, v1, v5 :: v_dual_mul_f32 v4, v4, v28
	v_dual_mul_f32 v2, v60, v33 :: v_dual_mul_f32 v1, v61, v51
	v_cmp_u_f32_e64 s17, v32, v32
	v_cmp_u_f32_e64 s15, v31, v31
	;; [unrolled: 1-line block ×15, first 2 shown]
	s_and_saveexec_b32 s52, vcc_lo
	s_cbranch_execz .LBB317_41
; %bb.51:                               ;   in Loop: Header=BB317_43 Depth=1
	v_add_co_u32 v11, s25, v11, v24
	s_wait_alu 0xf1ff
	v_add_co_ci_u32_e64 v12, null, 0, v12, s25
	global_load_b64 v[11:12], v[11:12], off
	s_wait_loadcnt 0x0
	v_bfe_u32 v33, v11, 8, 8
	v_bfe_u32 v51, v11, 16, 8
	;; [unrolled: 1-line block ×4, first 2 shown]
	s_delay_alu instid0(VALU_DEP_4) | instskip(SKIP_3) | instid1(VALU_DEP_4)
	v_cvt_f32_fp8_e32 v33, v33
	v_and_b32_e32 v28, 0xff, v11
	v_lshrrev_b32_e32 v11, 24, v11
	v_cvt_f32_fp8_e32 v51, v51
	v_dual_mul_f32 v33, s51, v33 :: v_dual_and_b32 v52, 0xff, v12
	s_delay_alu instid0(VALU_DEP_4) | instskip(NEXT) | instid1(VALU_DEP_4)
	v_cvt_f32_fp8_e32 v28, v28
	v_cvt_f32_fp8_e32 v11, v11
	s_delay_alu instid0(VALU_DEP_4) | instskip(NEXT) | instid1(VALU_DEP_4)
	v_mul_f32_e32 v51, s51, v51
	v_cvt_f32_fp8_e32 v52, v52
	v_bfe_u32 v57, v33, 16, 1
	s_delay_alu instid0(VALU_DEP_4) | instskip(SKIP_2) | instid1(VALU_DEP_4)
	v_dual_mul_f32 v28, s51, v28 :: v_dual_mul_f32 v11, s51, v11
	v_or_b32_e32 v58, 0x400000, v33
	v_bfe_u32 v59, v51, 16, 1
	v_add3_u32 v57, v57, v33, 0x7fff
	s_delay_alu instid0(VALU_DEP_4)
	v_bfe_u32 v55, v28, 16, 1
	v_or_b32_e32 v56, 0x400000, v28
	v_cmp_u_f32_e64 s25, v28, v28
	v_cvt_f32_fp8_e32 v53, v53
	v_mul_f32_e32 v52, s51, v52
	v_add3_u32 v55, v55, v28, 0x7fff
	v_or_b32_e32 v60, 0x400000, v51
	v_bfe_u32 v61, v11, 16, 1
	v_add3_u32 v59, v59, v51, 0x7fff
	v_lshrrev_b32_e32 v12, 24, v12
	s_wait_alu 0xf1ff
	v_cndmask_b32_e64 v28, v55, v56, s25
	v_cmp_u_f32_e64 s25, v33, v33
	v_cvt_f32_fp8_e32 v54, v54
	v_mul_f32_e32 v53, s51, v53
	v_or_b32_e32 v62, 0x400000, v11
	v_bfe_u32 v63, v52, 16, 1
	s_wait_alu 0xf1ff
	v_cndmask_b32_e64 v33, v57, v58, s25
	v_cmp_u_f32_e64 s25, v51, v51
	v_add3_u32 v61, v61, v11, 0x7fff
	v_cvt_f32_fp8_e32 v12, v12
	v_mul_f32_e32 v54, s51, v54
	v_or_b32_e32 v64, 0x400000, v52
	s_wait_alu 0xf1ff
	v_cndmask_b32_e64 v51, v59, v60, s25
	v_cmp_u_f32_e64 s25, v11, v11
	v_bfe_u32 v65, v53, 16, 1
	v_add3_u32 v63, v63, v52, 0x7fff
	v_mul_f32_e32 v12, s51, v12
	v_or_b32_e32 v66, 0x400000, v53
	s_wait_alu 0xf1ff
	v_cndmask_b32_e64 v11, v61, v62, s25
	v_cmp_u_f32_e64 s25, v52, v52
	v_bfe_u32 v67, v54, 16, 1
	v_add3_u32 v65, v65, v53, 0x7fff
	v_or_b32_e32 v68, 0x400000, v54
	v_bfe_u32 v69, v12, 16, 1
	s_wait_alu 0xf1ff
	v_cndmask_b32_e64 v55, v63, v64, s25
	v_cmp_u_f32_e64 s25, v53, v53
	v_add3_u32 v67, v67, v54, 0x7fff
	v_or_b32_e32 v70, 0x400000, v12
	v_add3_u32 v69, v69, v12, 0x7fff
	v_lshrrev_b32_e32 v53, 16, v28
	s_wait_alu 0xf1ff
	v_cndmask_b32_e64 v56, v65, v66, s25
	v_cmp_u_f32_e64 s25, v54, v54
	v_lshrrev_b32_e32 v54, 16, v33
	v_lshrrev_b32_e32 v51, 16, v51
	;; [unrolled: 1-line block ×4, first 2 shown]
	s_wait_alu 0xf1ff
	v_cndmask_b32_e64 v57, v67, v68, s25
	v_cmp_u_f32_e64 s25, v12, v12
	v_lshrrev_b32_e32 v33, 16, v56
	s_delay_alu instid0(VALU_DEP_3) | instskip(SKIP_1) | instid1(VALU_DEP_3)
	v_lshrrev_b32_e32 v11, 16, v57
	s_wait_alu 0xf1ff
	v_cndmask_b32_e64 v12, v69, v70, s25
	s_delay_alu instid0(VALU_DEP_1)
	v_lshrrev_b32_e32 v12, 16, v12
	s_and_saveexec_b32 s25, s0
	s_cbranch_execz .LBB317_40
; %bb.52:                               ;   in Loop: Header=BB317_43 Depth=1
	v_add_nc_u32_e32 v55, 1, v20
	v_cmp_gt_i32_e64 s0, s40, v20
	v_add_nc_u32_e32 v56, 2, v20
	v_add_nc_u32_e32 v57, 3, v20
	s_wait_alu 0xf1ff
	s_delay_alu instid0(VALU_DEP_3) | instskip(SKIP_3) | instid1(VALU_DEP_2)
	v_cndmask_b32_e64 v53, 0, v53, s0
	v_cmp_gt_i32_e64 s0, s40, v55
	v_add_nc_u32_e32 v55, 4, v20
	s_wait_alu 0xf1ff
	v_cndmask_b32_e64 v54, 0, v54, s0
	v_cmp_gt_i32_e64 s0, s40, v56
	v_add_nc_u32_e32 v56, 5, v20
	s_wait_alu 0xf1ff
	s_delay_alu instid0(VALU_DEP_2) | instskip(SKIP_3) | instid1(VALU_DEP_2)
	v_cndmask_b32_e64 v51, 0, v51, s0
	v_cmp_gt_i32_e64 s0, s40, v57
	v_add_nc_u32_e32 v57, 6, v20
	s_wait_alu 0xf1ff
	v_cndmask_b32_e64 v52, 0, v52, s0
	v_cmp_gt_i32_e64 s0, s40, v55
	v_add_nc_u32_e32 v55, 7, v20
	s_wait_alu 0xf1ff
	s_delay_alu instid0(VALU_DEP_2) | instskip(SKIP_2) | instid1(VALU_DEP_1)
	v_cndmask_b32_e64 v28, 0, v28, s0
	v_cmp_gt_i32_e64 s0, s40, v56
	s_wait_alu 0xf1ff
	v_cndmask_b32_e64 v33, 0, v33, s0
	v_cmp_gt_i32_e64 s0, s40, v57
	s_wait_alu 0xf1ff
	s_delay_alu instid0(VALU_DEP_1) | instskip(SKIP_2) | instid1(VALU_DEP_1)
	v_cndmask_b32_e64 v11, 0, v11, s0
	v_cmp_gt_i32_e64 s0, s40, v55
	s_wait_alu 0xf1ff
	v_cndmask_b32_e64 v12, 0, v12, s0
	s_branch .LBB317_40
.LBB317_53:
	s_or_b32 exec_lo, exec_lo, s48
.LBB317_54:
	s_wait_alu 0xfffe
	s_or_b32 exec_lo, exec_lo, s37
	s_movk_i32 s0, 0x1c0
	v_and_b32_e32 v1, 0x3c0, v0
	s_wait_alu 0xfffe
	v_mad_u32_u24 v4, v19, s0, 0x100
	v_or_b32_e32 v3, 0x60, v0
	s_mov_b32 s0, exec_lo
	s_wait_loadcnt 0x0
	s_wait_storecnt 0x0
	s_barrier_signal -1
	s_barrier_wait -1
	global_inv scope:SCOPE_SE
	v_cmpx_eq_u32_e32 64, v1
	s_cbranch_execz .LBB317_57
; %bb.55:
	v_add_nc_u32_e32 v1, 0xfffffc80, v4
	v_cmp_gt_u32_e32 vcc_lo, 0x70, v3
	s_delay_alu instid0(VALU_DEP_2)
	v_lshl_add_u32 v2, v15, 2, v1
	ds_store_2addr_b32 v2, v23, v22 offset1:32
	ds_store_b32 v2, v18 offset:256
	s_and_b32 exec_lo, exec_lo, vcc_lo
; %bb.56:
	v_lshl_add_u32 v1, v3, 2, v1
	ds_store_b32 v1, v17
.LBB317_57:
	s_wait_alu 0xfffe
	s_or_b32 exec_lo, exec_lo, s0
	v_lshl_add_u32 v5, v15, 2, v4
	s_mov_b32 s0, exec_lo
	s_wait_loadcnt_dscnt 0x0
	s_barrier_signal -1
	s_barrier_wait -1
	global_inv scope:SCOPE_SE
	v_cmpx_gt_u32_e32 64, v0
	s_cbranch_execz .LBB317_61
; %bb.58:
	v_lshl_or_b32 v1, v0, 2, 0x80
	s_mov_b32 s1, exec_lo
	s_delay_alu instid0(VALU_DEP_1)
	v_add_nc_u32_e32 v6, v4, v1
	ds_load_2addr_stride64_b32 v[1:2], v5 offset1:1
	ds_load_b32 v6, v6
	v_cmpx_gt_u32_e32 0x70, v3
	s_cbranch_execz .LBB317_60
; %bb.59:
	v_lshl_add_u32 v7, v3, 2, v4
	ds_load_b32 v7, v7
	s_wait_dscnt 0x0
	v_add_f32_e32 v17, v17, v7
.LBB317_60:
	s_wait_alu 0xfffe
	s_or_b32 exec_lo, exec_lo, s1
	s_wait_dscnt 0x0
	v_dual_add_f32 v23, v23, v1 :: v_dual_add_f32 v22, v22, v6
	v_add_f32_e32 v18, v18, v2
.LBB317_61:
	s_wait_alu 0xfffe
	s_or_b32 exec_lo, exec_lo, s0
	v_and_b32_e32 v1, 0x3e0, v0
	s_mov_b32 s0, exec_lo
	s_wait_loadcnt 0x0
	s_barrier_signal -1
	s_barrier_wait -1
	global_inv scope:SCOPE_SE
	v_cmpx_eq_u32_e32 32, v1
	s_cbranch_execz .LBB317_64
; %bb.62:
	v_lshl_add_u32 v1, v15, 2, 0x100
	v_cmp_gt_u32_e32 vcc_lo, 0x70, v3
	ds_store_b32 v1, v23
	ds_store_b32 v16, v22
	ds_store_b32 v1, v18 offset:256
	s_and_b32 exec_lo, exec_lo, vcc_lo
; %bb.63:
	v_lshl_add_u32 v1, v3, 2, 0x100
	ds_store_b32 v1, v17
.LBB317_64:
	s_wait_alu 0xfffe
	s_or_b32 exec_lo, exec_lo, s0
	v_cmp_gt_u32_e32 vcc_lo, 32, v0
	s_wait_loadcnt_dscnt 0x0
	s_barrier_signal -1
	s_barrier_wait -1
	global_inv scope:SCOPE_SE
	s_and_saveexec_b32 s1, vcc_lo
	s_cbranch_execz .LBB317_68
; %bb.65:
	v_lshl_add_u32 v6, v0, 2, v4
	s_mov_b32 s2, exec_lo
	ds_load_b32 v4, v5
	ds_load_2addr_b32 v[1:2], v6 offset0:32 offset1:64
	v_cmpx_gt_u32_e32 0x70, v3
	s_cbranch_execz .LBB317_67
; %bb.66:
	ds_load_b32 v5, v6 offset:384
	s_wait_dscnt 0x0
	v_add_f32_e32 v17, v17, v5
.LBB317_67:
	s_wait_alu 0xfffe
	s_or_b32 exec_lo, exec_lo, s2
	s_wait_dscnt 0x0
	v_dual_add_f32 v23, v23, v4 :: v_dual_add_f32 v22, v22, v1
	v_add_f32_e32 v18, v18, v2
.LBB317_68:
	s_wait_alu 0xfffe
	s_or_b32 exec_lo, exec_lo, s1
	s_wait_loadcnt 0x0
	s_barrier_signal -1
	s_barrier_wait -1
	global_inv scope:SCOPE_SE
	s_and_saveexec_b32 s0, vcc_lo
	s_cbranch_execz .LBB317_71
; %bb.69:
	v_bfe_u32 v1, v23, 16, 1
	v_bfe_u32 v2, v22, 16, 1
	v_or_b32_e32 v5, 0x400000, v23
	v_cmp_u_f32_e32 vcc_lo, v23, v23
	v_bfe_u32 v4, v18, 16, 1
	v_add3_u32 v1, v1, v23, 0x7fff
	v_lshlrev_b32_e32 v0, 1, v0
	v_add3_u32 v2, v2, v22, 0x7fff
	v_or_b32_e32 v6, 0x400000, v22
	s_mul_i32 s0, s36, 0x70
	s_wait_alu 0xfffd
	v_cndmask_b32_e32 v1, v1, v5, vcc_lo
	v_cmp_u_f32_e32 vcc_lo, v22, v22
	s_mul_i32 s2, s29, s28
	s_wait_alu 0xfffe
	s_ashr_i32 s1, s0, 31
	v_add3_u32 v4, v4, v18, 0x7fff
	v_or_b32_e32 v7, 0x400000, v18
	s_wait_alu 0xfffd
	v_cndmask_b32_e32 v2, v2, v6, vcc_lo
	v_cmp_u_f32_e32 vcc_lo, v18, v18
	s_ashr_i32 s3, s2, 31
	s_wait_alu 0xfffe
	s_lshl_b64 s[0:1], s[0:1], 1
	s_lshl_b64 s[2:3], s[2:3], 1
	s_wait_kmcnt 0x0
	s_wait_alu 0xfffe
	s_add_nc_u64 s[0:1], s[34:35], s[0:1]
	s_wait_alu 0xfffd
	v_cndmask_b32_e32 v4, v4, v7, vcc_lo
	v_cmp_gt_u32_e32 vcc_lo, 0x70, v3
	s_mul_i32 s4, s33, 0xe0
	s_wait_alu 0xfffe
	s_add_nc_u64 s[0:1], s[0:1], s[2:3]
	s_mov_b32 s5, 0
	s_wait_alu 0xfffe
	s_add_nc_u64 s[0:1], s[0:1], s[4:5]
	s_clause 0x2
	global_store_d16_hi_b16 v0, v1, s[0:1]
	global_store_d16_hi_b16 v0, v2, s[0:1] offset:64
	global_store_d16_hi_b16 v0, v4, s[0:1] offset:128
	s_and_b32 exec_lo, exec_lo, vcc_lo
	s_cbranch_execz .LBB317_71
; %bb.70:
	v_bfe_u32 v1, v17, 16, 1
	v_or_b32_e32 v2, 0x400000, v17
	v_cmp_u_f32_e32 vcc_lo, v17, v17
	s_wait_alu 0xfffe
	v_add_co_u32 v0, s0, s0, v0
	v_add3_u32 v3, v1, v17, 0x7fff
	s_wait_alu 0xf1ff
	v_add_co_ci_u32_e64 v1, null, s1, 0, s0
	s_wait_alu 0xfffd
	s_delay_alu instid0(VALU_DEP_2)
	v_cndmask_b32_e32 v2, v3, v2, vcc_lo
	global_store_d16_hi_b16 v[0:1], v2, off offset:192
.LBB317_71:
	s_nop 0
	s_sendmsg sendmsg(MSG_DEALLOC_VGPRS)
	s_endpgm
	.section	.rodata,"a",@progbits
	.p2align	6, 0x0
	.amdhsa_kernel _ZN4vllm25paged_attention_v2_kernelI14__hip_bfloat16hLi112ELi8ELi128ELNS_18Fp8KVCacheDataTypeE1ELb1ELi512EEEvPfS3_PT_PKS4_PKT0_SA_ifPKiSC_iPKfiiiSE_SE_iiiii
		.amdhsa_group_segment_fixed_size 256
		.amdhsa_private_segment_fixed_size 0
		.amdhsa_kernarg_size 400
		.amdhsa_user_sgpr_count 2
		.amdhsa_user_sgpr_dispatch_ptr 0
		.amdhsa_user_sgpr_queue_ptr 0
		.amdhsa_user_sgpr_kernarg_segment_ptr 1
		.amdhsa_user_sgpr_dispatch_id 0
		.amdhsa_user_sgpr_private_segment_size 0
		.amdhsa_wavefront_size32 1
		.amdhsa_uses_dynamic_stack 0
		.amdhsa_enable_private_segment 0
		.amdhsa_system_sgpr_workgroup_id_x 1
		.amdhsa_system_sgpr_workgroup_id_y 1
		.amdhsa_system_sgpr_workgroup_id_z 1
		.amdhsa_system_sgpr_workgroup_info 0
		.amdhsa_system_vgpr_workitem_id 0
		.amdhsa_next_free_vgpr 127
		.amdhsa_next_free_sgpr 53
		.amdhsa_reserve_vcc 1
		.amdhsa_float_round_mode_32 0
		.amdhsa_float_round_mode_16_64 0
		.amdhsa_float_denorm_mode_32 3
		.amdhsa_float_denorm_mode_16_64 3
		.amdhsa_fp16_overflow 0
		.amdhsa_workgroup_processor_mode 1
		.amdhsa_memory_ordered 1
		.amdhsa_forward_progress 1
		.amdhsa_inst_pref_size 105
		.amdhsa_round_robin_scheduling 0
		.amdhsa_exception_fp_ieee_invalid_op 0
		.amdhsa_exception_fp_denorm_src 0
		.amdhsa_exception_fp_ieee_div_zero 0
		.amdhsa_exception_fp_ieee_overflow 0
		.amdhsa_exception_fp_ieee_underflow 0
		.amdhsa_exception_fp_ieee_inexact 0
		.amdhsa_exception_int_div_zero 0
	.end_amdhsa_kernel
	.section	.text._ZN4vllm25paged_attention_v2_kernelI14__hip_bfloat16hLi112ELi8ELi128ELNS_18Fp8KVCacheDataTypeE1ELb1ELi512EEEvPfS3_PT_PKS4_PKT0_SA_ifPKiSC_iPKfiiiSE_SE_iiiii,"axG",@progbits,_ZN4vllm25paged_attention_v2_kernelI14__hip_bfloat16hLi112ELi8ELi128ELNS_18Fp8KVCacheDataTypeE1ELb1ELi512EEEvPfS3_PT_PKS4_PKT0_SA_ifPKiSC_iPKfiiiSE_SE_iiiii,comdat
.Lfunc_end317:
	.size	_ZN4vllm25paged_attention_v2_kernelI14__hip_bfloat16hLi112ELi8ELi128ELNS_18Fp8KVCacheDataTypeE1ELb1ELi512EEEvPfS3_PT_PKS4_PKT0_SA_ifPKiSC_iPKfiiiSE_SE_iiiii, .Lfunc_end317-_ZN4vllm25paged_attention_v2_kernelI14__hip_bfloat16hLi112ELi8ELi128ELNS_18Fp8KVCacheDataTypeE1ELb1ELi512EEEvPfS3_PT_PKS4_PKT0_SA_ifPKiSC_iPKfiiiSE_SE_iiiii
                                        ; -- End function
	.set _ZN4vllm25paged_attention_v2_kernelI14__hip_bfloat16hLi112ELi8ELi128ELNS_18Fp8KVCacheDataTypeE1ELb1ELi512EEEvPfS3_PT_PKS4_PKT0_SA_ifPKiSC_iPKfiiiSE_SE_iiiii.num_vgpr, 127
	.set _ZN4vllm25paged_attention_v2_kernelI14__hip_bfloat16hLi112ELi8ELi128ELNS_18Fp8KVCacheDataTypeE1ELb1ELi512EEEvPfS3_PT_PKS4_PKT0_SA_ifPKiSC_iPKfiiiSE_SE_iiiii.num_agpr, 0
	.set _ZN4vllm25paged_attention_v2_kernelI14__hip_bfloat16hLi112ELi8ELi128ELNS_18Fp8KVCacheDataTypeE1ELb1ELi512EEEvPfS3_PT_PKS4_PKT0_SA_ifPKiSC_iPKfiiiSE_SE_iiiii.numbered_sgpr, 53
	.set _ZN4vllm25paged_attention_v2_kernelI14__hip_bfloat16hLi112ELi8ELi128ELNS_18Fp8KVCacheDataTypeE1ELb1ELi512EEEvPfS3_PT_PKS4_PKT0_SA_ifPKiSC_iPKfiiiSE_SE_iiiii.num_named_barrier, 0
	.set _ZN4vllm25paged_attention_v2_kernelI14__hip_bfloat16hLi112ELi8ELi128ELNS_18Fp8KVCacheDataTypeE1ELb1ELi512EEEvPfS3_PT_PKS4_PKT0_SA_ifPKiSC_iPKfiiiSE_SE_iiiii.private_seg_size, 0
	.set _ZN4vllm25paged_attention_v2_kernelI14__hip_bfloat16hLi112ELi8ELi128ELNS_18Fp8KVCacheDataTypeE1ELb1ELi512EEEvPfS3_PT_PKS4_PKT0_SA_ifPKiSC_iPKfiiiSE_SE_iiiii.uses_vcc, 1
	.set _ZN4vllm25paged_attention_v2_kernelI14__hip_bfloat16hLi112ELi8ELi128ELNS_18Fp8KVCacheDataTypeE1ELb1ELi512EEEvPfS3_PT_PKS4_PKT0_SA_ifPKiSC_iPKfiiiSE_SE_iiiii.uses_flat_scratch, 0
	.set _ZN4vllm25paged_attention_v2_kernelI14__hip_bfloat16hLi112ELi8ELi128ELNS_18Fp8KVCacheDataTypeE1ELb1ELi512EEEvPfS3_PT_PKS4_PKT0_SA_ifPKiSC_iPKfiiiSE_SE_iiiii.has_dyn_sized_stack, 0
	.set _ZN4vllm25paged_attention_v2_kernelI14__hip_bfloat16hLi112ELi8ELi128ELNS_18Fp8KVCacheDataTypeE1ELb1ELi512EEEvPfS3_PT_PKS4_PKT0_SA_ifPKiSC_iPKfiiiSE_SE_iiiii.has_recursion, 0
	.set _ZN4vllm25paged_attention_v2_kernelI14__hip_bfloat16hLi112ELi8ELi128ELNS_18Fp8KVCacheDataTypeE1ELb1ELi512EEEvPfS3_PT_PKS4_PKT0_SA_ifPKiSC_iPKfiiiSE_SE_iiiii.has_indirect_call, 0
	.section	.AMDGPU.csdata,"",@progbits
; Kernel info:
; codeLenInByte = 13436
; TotalNumSgprs: 55
; NumVgprs: 127
; ScratchSize: 0
; MemoryBound: 0
; FloatMode: 240
; IeeeMode: 1
; LDSByteSize: 256 bytes/workgroup (compile time only)
; SGPRBlocks: 0
; VGPRBlocks: 15
; NumSGPRsForWavesPerEU: 55
; NumVGPRsForWavesPerEU: 127
; Occupancy: 10
; WaveLimiterHint : 1
; COMPUTE_PGM_RSRC2:SCRATCH_EN: 0
; COMPUTE_PGM_RSRC2:USER_SGPR: 2
; COMPUTE_PGM_RSRC2:TRAP_HANDLER: 0
; COMPUTE_PGM_RSRC2:TGID_X_EN: 1
; COMPUTE_PGM_RSRC2:TGID_Y_EN: 1
; COMPUTE_PGM_RSRC2:TGID_Z_EN: 1
; COMPUTE_PGM_RSRC2:TIDIG_COMP_CNT: 0
	.section	.text._ZN4vllm25paged_attention_v2_kernelI14__hip_bfloat16hLi120ELi8ELi128ELNS_18Fp8KVCacheDataTypeE1ELb1ELi512EEEvPfS3_PT_PKS4_PKT0_SA_ifPKiSC_iPKfiiiSE_SE_iiiii,"axG",@progbits,_ZN4vllm25paged_attention_v2_kernelI14__hip_bfloat16hLi120ELi8ELi128ELNS_18Fp8KVCacheDataTypeE1ELb1ELi512EEEvPfS3_PT_PKS4_PKT0_SA_ifPKiSC_iPKfiiiSE_SE_iiiii,comdat
	.protected	_ZN4vllm25paged_attention_v2_kernelI14__hip_bfloat16hLi120ELi8ELi128ELNS_18Fp8KVCacheDataTypeE1ELb1ELi512EEEvPfS3_PT_PKS4_PKT0_SA_ifPKiSC_iPKfiiiSE_SE_iiiii ; -- Begin function _ZN4vllm25paged_attention_v2_kernelI14__hip_bfloat16hLi120ELi8ELi128ELNS_18Fp8KVCacheDataTypeE1ELb1ELi512EEEvPfS3_PT_PKS4_PKT0_SA_ifPKiSC_iPKfiiiSE_SE_iiiii
	.globl	_ZN4vllm25paged_attention_v2_kernelI14__hip_bfloat16hLi120ELi8ELi128ELNS_18Fp8KVCacheDataTypeE1ELb1ELi512EEEvPfS3_PT_PKS4_PKT0_SA_ifPKiSC_iPKfiiiSE_SE_iiiii
	.p2align	8
	.type	_ZN4vllm25paged_attention_v2_kernelI14__hip_bfloat16hLi120ELi8ELi128ELNS_18Fp8KVCacheDataTypeE1ELb1ELi512EEEvPfS3_PT_PKS4_PKT0_SA_ifPKiSC_iPKfiiiSE_SE_iiiii,@function
_ZN4vllm25paged_attention_v2_kernelI14__hip_bfloat16hLi120ELi8ELi128ELNS_18Fp8KVCacheDataTypeE1ELb1ELi512EEEvPfS3_PT_PKS4_PKT0_SA_ifPKiSC_iPKfiiiSE_SE_iiiii: ; @_ZN4vllm25paged_attention_v2_kernelI14__hip_bfloat16hLi120ELi8ELi128ELNS_18Fp8KVCacheDataTypeE1ELb1ELi512EEEvPfS3_PT_PKS4_PKT0_SA_ifPKiSC_iPKfiiiSE_SE_iiiii
; %bb.0:
	s_load_b64 s[2:3], s[0:1], 0x40
	s_and_b32 s36, ttmp7, 0xffff
	s_lshr_b32 s33, ttmp7, 16
	s_lshl_b32 s4, s36, 2
	s_lshl_b32 s38, s33, 9
	s_wait_kmcnt 0x0
	s_load_b32 s40, s[2:3], s4 offset:0x0
	s_wait_kmcnt 0x0
	s_cmp_ge_i32 s38, s40
	s_cbranch_scc1 .LBB318_71
; %bb.1:
	s_clause 0x1
	s_load_b32 s37, s[0:1], 0x90
	s_load_b64 s[22:23], s[0:1], 0x30
	s_wait_kmcnt 0x0
	s_abs_i32 s5, s37
	s_abs_i32 s2, s22
	s_delay_alu instid0(SALU_CYCLE_1) | instskip(SKIP_1) | instid1(SALU_CYCLE_2)
	s_cvt_f32_u32 s3, s2
	s_sub_co_i32 s4, 0, s2
	v_rcp_iflag_f32_e32 v1, s3
	s_delay_alu instid0(TRANS32_DEP_1) | instskip(SKIP_2) | instid1(SALU_CYCLE_2)
	v_readfirstlane_b32 s3, v1
	s_mul_f32 s3, s3, 0x4f7ffffe
	s_wait_alu 0xfffe
	s_cvt_u32_f32 s3, s3
	s_wait_alu 0xfffe
	s_delay_alu instid0(SALU_CYCLE_2) | instskip(NEXT) | instid1(SALU_CYCLE_1)
	s_mul_i32 s4, s4, s3
	s_mul_hi_u32 s4, s3, s4
	s_delay_alu instid0(SALU_CYCLE_1)
	s_add_co_i32 s3, s3, s4
	s_xor_b32 s4, s37, s22
	s_wait_alu 0xfffe
	s_mul_hi_u32 s3, s5, s3
	s_ashr_i32 s4, s4, 31
	s_wait_alu 0xfffe
	s_mul_i32 s6, s3, s2
	s_delay_alu instid0(SALU_CYCLE_1)
	s_sub_co_i32 s5, s5, s6
	s_add_co_i32 s6, s3, 1
	s_sub_co_i32 s7, s5, s2
	s_cmp_ge_u32 s5, s2
	s_cselect_b32 s3, s6, s3
	s_cselect_b32 s5, s7, s5
	s_wait_alu 0xfffe
	s_add_co_i32 s6, s3, 1
	s_cmp_ge_u32 s5, s2
	s_cselect_b32 s2, s6, s3
	s_load_b64 s[6:7], s[0:1], 0x50
	s_xor_b32 s2, s2, s4
	s_mov_b32 s3, 0
	s_wait_alu 0xfffe
	s_sub_co_i32 s9, s2, s4
	s_mov_b32 s34, s3
	s_abs_i32 s8, s9
	s_delay_alu instid0(SALU_CYCLE_1) | instskip(SKIP_1) | instid1(SALU_CYCLE_2)
	s_cvt_f32_u32 s2, s8
	s_wait_alu 0xfffe
	v_rcp_iflag_f32_e32 v1, s2
	s_delay_alu instid0(TRANS32_DEP_1) | instskip(SKIP_2) | instid1(SALU_CYCLE_2)
	v_readfirstlane_b32 s2, v1
	s_mul_f32 s2, s2, 0x4f7ffffe
	s_wait_alu 0xfffe
	s_cvt_u32_f32 s4, s2
	s_sub_co_i32 s2, 0, s8
	s_wait_alu 0xfffe
	s_delay_alu instid0(SALU_CYCLE_1)
	s_mul_i32 s2, s2, s4
	s_wait_alu 0xfffe
	s_mul_hi_u32 s5, s4, s2
	s_abs_i32 s2, ttmp9
	s_add_co_i32 s4, s4, s5
	s_mov_b32 s5, s3
	s_wait_kmcnt 0x0
	s_cmp_eq_u64 s[6:7], 0
	s_cbranch_scc1 .LBB318_3
; %bb.2:
	s_mov_b32 s10, ttmp9
	s_ashr_i32 s11, ttmp9, 31
	s_delay_alu instid0(SALU_CYCLE_1) | instskip(NEXT) | instid1(SALU_CYCLE_1)
	s_lshl_b64 s[10:11], s[10:11], 2
	s_add_nc_u64 s[6:7], s[6:7], s[10:11]
	s_load_b32 s34, s[6:7], 0x0
.LBB318_3:
	s_load_b96 s[16:18], s[0:1], 0x58
	v_and_b32_e32 v1, 3, v0
	s_mul_u64 s[4:5], s[2:3], s[4:5]
	s_ashr_i32 s3, ttmp9, 31
	s_ashr_i32 s4, s9, 31
	s_mul_i32 s28, ttmp9, 0x78
	s_mov_b32 s6, exec_lo
	v_cmpx_gt_u32_e32 60, v0
	s_cbranch_execz .LBB318_5
; %bb.4:
	s_load_b64 s[10:11], s[0:1], 0x18
	s_wait_kmcnt 0x0
	s_mul_i32 s12, s16, s36
	s_ashr_i32 s29, s28, 31
	s_ashr_i32 s13, s12, 31
	v_lshlrev_b32_e32 v2, 2, v0
	s_lshl_b64 s[12:13], s[12:13], 1
	v_and_b32_e32 v3, 0x3fc, v0
	s_delay_alu instid0(VALU_DEP_1) | instskip(SKIP_2) | instid1(SALU_CYCLE_1)
	v_mad_u32_u24 v3, v1, 60, v3
	s_add_nc_u64 s[10:11], s[10:11], s[12:13]
	s_lshl_b64 s[12:13], s[28:29], 1
	s_add_nc_u64 s[10:11], s[10:11], s[12:13]
	global_load_b32 v2, v2, s[10:11]
	s_wait_loadcnt 0x0
	ds_store_b32 v3, v2
.LBB318_5:
	s_or_b32 exec_lo, exec_lo, s6
	s_clause 0x1
	s_load_b128 s[12:15], s[0:1], 0x78
	s_load_b32 s7, s[0:1], 0x88
	s_mul_i32 s6, s5, s8
	s_xor_b32 s3, s3, s4
	s_sub_co_i32 s2, s2, s6
	s_add_co_i32 s4, s5, 1
	s_wait_alu 0xfffe
	s_sub_co_i32 s6, s2, s8
	s_cmp_ge_u32 s2, s8
	s_mov_b32 s9, -1
	s_cselect_b32 s4, s4, s5
	s_cselect_b32 s2, s6, s2
	s_add_co_i32 s5, s4, 1
	s_wait_alu 0xfffe
	s_cmp_ge_u32 s2, s8
	s_wait_dscnt 0x0
	s_cselect_b32 s2, s5, s4
	s_add_co_i32 s8, s40, -1
	s_wait_alu 0xfffe
	s_xor_b32 s2, s2, s3
	s_barrier_signal -1
	s_wait_alu 0xfffe
	s_sub_co_i32 s6, s2, s3
	s_barrier_wait -1
	s_wait_kmcnt 0x0
	s_abs_i32 s41, s15
	global_inv scope:SCOPE_SE
	s_cvt_f32_u32 s4, s41
                                        ; implicit-def: $sgpr42
	s_delay_alu instid0(SALU_CYCLE_3) | instskip(NEXT) | instid1(TRANS32_DEP_1)
	v_rcp_iflag_f32_e32 v2, s4
	v_readfirstlane_b32 s4, v2
	s_mul_f32 s2, s4, 0x4f7ffffe
	s_wait_alu 0xfffe
	s_delay_alu instid0(SALU_CYCLE_2) | instskip(SKIP_2) | instid1(SALU_CYCLE_1)
	s_cvt_u32_f32 s4, s2
	s_sub_co_i32 s2, 0, s41
	s_wait_alu 0xfffe
	s_mul_i32 s3, s2, s4
	s_abs_i32 s2, s8
	s_wait_alu 0xfffe
	s_mul_hi_u32 s5, s4, s3
	s_mov_b32 s3, 0
	s_wait_alu 0xfffe
	s_add_co_i32 s30, s4, s5
	s_cmp_lt_i32 s7, 0
	s_mov_b32 s31, s3
	s_cbranch_scc0 .LBB318_7
; %bb.6:
	s_mul_i32 s4, s12, s22
	s_mov_b32 s9, s3
	s_wait_alu 0xfffe
	s_add_co_i32 s4, s6, s4
	s_wait_alu 0xfffe
	s_mul_i32 s4, s4, s7
	s_wait_alu 0xfffe
	s_sub_co_i32 s42, 1, s4
.LBB318_7:
	s_mul_u64 s[4:5], s[2:3], s[30:31]
	s_ashr_i32 s3, s8, 31
	s_and_not1_b32 vcc_lo, exec_lo, s9
	s_ashr_i32 s31, s15, 31
	s_cbranch_vccnz .LBB318_9
; %bb.8:
	s_mul_i32 s4, s37, s12
	s_wait_alu 0xfffe
	s_add_co_i32 s4, s4, ttmp9
	s_wait_alu 0xfffe
	s_mul_i32 s4, s4, s7
	s_wait_alu 0xfffe
	s_add_co_i32 s42, s4, 1
.LBB318_9:
	s_clause 0x3
	s_load_b32 s4, s[0:1], 0x48
	s_load_b64 s[10:11], s[0:1], 0x38
	s_load_b32 s29, s[0:1], 0x98
	s_load_b128 s[24:27], s[0:1], 0x68
	s_mul_i32 s7, s5, s41
	s_xor_b32 s3, s3, s31
	s_sub_co_i32 s2, s2, s7
	s_add_co_i32 s8, s5, 1
	v_lshrrev_b32_e32 v19, 5, v0
	v_mov_b32_e32 v26, 0xff7fffff
	v_mbcnt_lo_u32_b32 v23, -1, 0
	s_mul_i32 s18, s6, s18
	s_delay_alu instid0(VALU_DEP_3)
	v_lshl_add_u32 v20, v19, 3, s38
	s_wait_kmcnt 0x0
	s_mul_i32 s20, s4, s36
	s_wait_alu 0xfffe
	s_sub_co_i32 s4, s2, s41
	s_ashr_i32 s21, s20, 31
	s_cmp_ge_u32 s2, s41
	s_cselect_b32 s5, s8, s5
	s_wait_alu 0xfffe
	s_cselect_b32 s2, s4, s2
	s_add_co_i32 s4, s5, 1
	s_wait_alu 0xfffe
	s_cmp_ge_u32 s2, s41
	s_cselect_b32 s2, s4, s5
	s_add_co_i32 s4, s40, 7
	s_lshl_b32 s16, s33, 6
	s_wait_alu 0xfffe
	s_ashr_i32 s5, s4, 31
	v_or_b32_e32 v21, s16, v19
	s_wait_alu 0xfffe
	s_lshr_b32 s5, s5, 29
	s_wait_alu 0xfffe
	s_add_co_i32 s4, s4, s5
	s_add_co_i32 s5, s16, 64
	s_wait_alu 0xfffe
	s_ashr_i32 s12, s4, 3
	s_xor_b32 s4, s2, s3
	s_min_i32 s43, s5, s12
	v_lshlrev_b32_e32 v22, 2, v21
	v_cmp_gt_i32_e64 s2, s43, v21
	s_wait_alu 0xfffe
	s_sub_co_i32 s15, s4, s3
	s_and_saveexec_b32 s22, s2
	s_cbranch_execz .LBB318_21
; %bb.10:
	s_sub_co_i32 s35, s15, s13
	s_ashr_i32 s19, s18, 31
	s_cmp_neq_f32 s34, 0
	s_load_b64 s[4:5], s[0:1], 0x20
	v_bfe_u32 v24, v0, 2, 3
	v_dual_mov_b32 v30, 0xff7fffff :: v_dual_lshlrev_b32 v3, 1, v1
	s_cselect_b32 vcc_lo, -1, 0
	s_abs_i32 s39, s14
	v_mul_u32_u24_e32 v25, 60, v1
	s_wait_alu 0xfffe
	s_cvt_f32_u32 s3, s39
	v_dual_mov_b32 v33, v21 :: v_dual_lshlrev_b32 v4, 2, v24
	v_mov_b32_e32 v26, 0xff7fffff
	s_wait_alu 0xfffe
	v_rcp_iflag_f32_e32 v2, s3
	v_cmp_eq_u32_e64 s3, 0, v1
	v_lshlrev_b32_e32 v1, 4, v24
	s_lshl_b64 s[6:7], s[20:21], 2
	v_subrev_nc_u32_e32 v5, s40, v24
	v_lshl_or_b32 v6, v19, 5, v4
	s_add_nc_u64 s[6:7], s[10:11], s[6:7]
	s_sub_co_i32 s9, 0, s39
	v_lshl_add_u32 v27, v19, 3, s38
	s_wait_kmcnt 0x0
	s_add_nc_u64 s[4:5], s[4:5], s[18:19]
	v_readfirstlane_b32 s8, v2
	s_wait_alu 0xfffe
	v_add_co_u32 v1, s4, s4, v1
	s_wait_alu 0xf1ff
	v_add_co_ci_u32_e64 v2, null, s5, 0, s4
	s_mul_f32 s8, s8, 0x4f7ffffe
	v_add_co_u32 v1, s4, v1, v3
	s_wait_alu 0xf1ff
	v_add_co_ci_u32_e64 v2, null, 0, v2, s4
	s_cvt_u32_f32 s5, s8
	v_add_co_u32 v3, s4, s6, v22
	s_wait_alu 0xf1ff
	v_add_co_ci_u32_e64 v4, null, s7, 0, s4
	s_wait_alu 0xfffe
	s_mul_i32 s9, s9, s5
	v_add_nc_u32_e32 v28, 1, v5
	v_add_nc_u32_e32 v29, 0x110, v6
	v_xor_b32_e32 v31, 2, v23
	v_xor_b32_e32 v32, 1, v23
	s_mul_hi_u32 s4, s5, s9
	s_mov_b32 s44, 0
	s_mov_b32 s19, s17
	s_wait_alu 0xfffe
	s_add_co_i32 s45, s5, s4
	s_branch .LBB318_13
.LBB318_11:                             ;   in Loop: Header=BB318_13 Depth=1
	s_wait_alu 0xfffe
	s_or_b32 exec_lo, exec_lo, s5
.LBB318_12:                             ;   in Loop: Header=BB318_13 Depth=1
	s_delay_alu instid0(SALU_CYCLE_1) | instskip(SKIP_4) | instid1(VALU_DEP_3)
	s_or_b32 exec_lo, exec_lo, s46
	v_add_nc_u32_e32 v33, 4, v33
	v_add_co_u32 v3, s5, v3, 16
	s_wait_alu 0xf1ff
	v_add_co_ci_u32_e64 v4, null, 0, v4, s5
	v_cmp_le_i32_e64 s4, s43, v33
	v_add_nc_u32_e32 v27, 32, v27
	v_add_nc_u32_e32 v29, 0x80, v29
	s_or_b32 s44, s4, s44
	s_wait_alu 0xfffe
	s_and_not1_b32 exec_lo, exec_lo, s44
	s_cbranch_execz .LBB318_20
.LBB318_13:                             ; =>This Inner Loop Header: Depth=1
	v_sub_nc_u32_e32 v5, 0, v27
	s_delay_alu instid0(VALU_DEP_1) | instskip(SKIP_1) | instid1(VALU_DEP_1)
	v_max_i32_e32 v5, v27, v5
	s_wait_dscnt 0x0
	v_mul_hi_u32 v6, v5, s30
	s_delay_alu instid0(VALU_DEP_1) | instskip(NEXT) | instid1(VALU_DEP_1)
	v_mul_lo_u32 v7, v6, s41
	v_sub_nc_u32_e32 v5, v5, v7
	v_add_nc_u32_e32 v7, 1, v6
	s_delay_alu instid0(VALU_DEP_2) | instskip(SKIP_2) | instid1(VALU_DEP_1)
	v_subrev_nc_u32_e32 v8, s41, v5
	v_cmp_le_u32_e64 s4, s41, v5
	s_wait_alu 0xf1ff
	v_cndmask_b32_e64 v6, v6, v7, s4
	s_delay_alu instid0(VALU_DEP_3) | instskip(SKIP_1) | instid1(VALU_DEP_3)
	v_cndmask_b32_e64 v5, v5, v8, s4
	v_ashrrev_i32_e32 v7, 31, v27
	v_add_nc_u32_e32 v8, 1, v6
	s_delay_alu instid0(VALU_DEP_3) | instskip(NEXT) | instid1(VALU_DEP_3)
	v_cmp_le_u32_e64 s4, s41, v5
	v_xor_b32_e32 v7, s31, v7
	s_wait_alu 0xf1ff
	s_delay_alu instid0(VALU_DEP_2) | instskip(NEXT) | instid1(VALU_DEP_1)
	v_cndmask_b32_e64 v5, v6, v8, s4
	v_xor_b32_e32 v5, v5, v7
	s_delay_alu instid0(VALU_DEP_1) | instskip(NEXT) | instid1(VALU_DEP_1)
	v_sub_nc_u32_e32 v5, v5, v7
	v_add_nc_u32_e32 v6, s42, v5
	v_cmp_ge_i32_e64 s5, s35, v5
	s_delay_alu instid0(VALU_DEP_2) | instskip(NEXT) | instid1(VALU_DEP_1)
	v_sub_nc_u32_e32 v7, 0, v6
	v_max_i32_e32 v7, v6, v7
	v_ashrrev_i32_e32 v6, 31, v6
	s_delay_alu instid0(VALU_DEP_2) | instskip(NEXT) | instid1(VALU_DEP_1)
	v_mul_hi_u32 v8, v7, s45
	v_mul_lo_u32 v8, v8, s39
	s_delay_alu instid0(VALU_DEP_1) | instskip(NEXT) | instid1(VALU_DEP_1)
	v_sub_nc_u32_e32 v7, v7, v8
	v_subrev_nc_u32_e32 v8, s39, v7
	v_cmp_le_u32_e64 s4, s39, v7
	s_wait_alu 0xf1ff
	s_delay_alu instid0(VALU_DEP_1) | instskip(NEXT) | instid1(VALU_DEP_1)
	v_cndmask_b32_e64 v7, v7, v8, s4
	v_subrev_nc_u32_e32 v8, s39, v7
	v_cmp_le_u32_e64 s4, s39, v7
	s_wait_alu 0xf1ff
	s_delay_alu instid0(VALU_DEP_1) | instskip(NEXT) | instid1(VALU_DEP_1)
	v_cndmask_b32_e64 v7, v7, v8, s4
	v_xor_b32_e32 v7, v7, v6
	s_delay_alu instid0(VALU_DEP_1) | instskip(NEXT) | instid1(VALU_DEP_1)
	v_sub_nc_u32_e32 v6, v7, v6
	v_cmp_ne_u32_e64 s4, 0, v6
	s_and_b32 s4, s4, s5
	s_wait_alu 0xfffe
	s_and_saveexec_b32 s5, s4
	s_wait_alu 0xfffe
	s_xor_b32 s4, exec_lo, s5
	s_cbranch_execz .LBB318_17
; %bb.14:                               ;   in Loop: Header=BB318_13 Depth=1
	s_and_saveexec_b32 s5, s3
; %bb.15:                               ;   in Loop: Header=BB318_13 Depth=1
	ds_store_b32 v29, v30
; %bb.16:                               ;   in Loop: Header=BB318_13 Depth=1
	s_wait_alu 0xfffe
	s_or_b32 exec_lo, exec_lo, s5
.LBB318_17:                             ;   in Loop: Header=BB318_13 Depth=1
	s_wait_alu 0xfffe
	s_and_not1_saveexec_b32 s46, s4
	s_cbranch_execz .LBB318_12
; %bb.18:                               ;   in Loop: Header=BB318_13 Depth=1
	global_load_b32 v5, v[3:4], off
	s_wait_loadcnt 0x0
	v_mad_co_i64_i32 v[5:6], null, v5, s19, v[1:2]
	s_clause 0xe
	global_load_u16 v35, v[5:6], off
	global_load_u16 v36, v[5:6], off offset:8
	global_load_u16 v37, v[5:6], off offset:128
	;; [unrolled: 1-line block ×14, first 2 shown]
	ds_load_2addr_b32 v[17:18], v25 offset1:1
	ds_load_2addr_b32 v[15:16], v25 offset0:2 offset1:3
	ds_load_2addr_b32 v[13:14], v25 offset0:4 offset1:5
	;; [unrolled: 1-line block ×6, first 2 shown]
	ds_load_b32 v34, v25 offset:56
	s_load_b32 s4, s[24:25], 0x0
	s_wait_loadcnt 0xc
	v_and_b32_e32 v67, 0xff, v37
	v_lshrrev_b16 v37, 8, v37
	s_delay_alu instid0(VALU_DEP_2)
	v_and_b32_e32 v67, 0xffff, v67
	s_wait_loadcnt 0x6
	v_and_b32_e32 v73, 0xff, v43
	v_lshrrev_b16 v43, 8, v43
	v_and_b32_e32 v37, 0xffff, v37
	v_cvt_f32_fp8_e32 v67, v67
	s_wait_dscnt 0x5
	v_lshlrev_b32_e32 v62, 16, v13
	v_and_b32_e32 v43, 0xffff, v43
	v_cvt_f32_fp8_e32 v37, v37
	v_lshlrev_b32_e32 v60, 16, v15
	s_wait_kmcnt 0x0
	v_dual_mul_f32 v67, s4, v67 :: v_dual_and_b32 v66, 0xff, v36
	v_lshrrev_b16 v36, 8, v36
	v_cvt_f32_fp8_e32 v43, v43
	v_mul_f32_e32 v37, s4, v37
	s_delay_alu instid0(VALU_DEP_4)
	v_bfe_u32 v88, v67, 16, 1
	v_or_b32_e32 v89, 0x400000, v67
	v_and_b32_e32 v36, 0xffff, v36
	v_cmp_u_f32_e64 s8, v67, v67
	v_bfe_u32 v90, v37, 16, 1
	v_mul_f32_e32 v43, s4, v43
	v_or_b32_e32 v91, 0x400000, v37
	v_cvt_f32_fp8_e32 v36, v36
	v_lshlrev_b32_e32 v59, 16, v18
	v_and_b32_e32 v18, 0xffff0000, v18
	v_add3_u32 v88, v88, v67, 0x7fff
	v_add3_u32 v90, v90, v37, 0x7fff
	v_mul_f32_e32 v36, s4, v36
	v_cmp_u_f32_e64 s9, v37, v37
	s_wait_loadcnt 0x0
	v_and_b32_e32 v79, 0xff, v49
	s_wait_alu 0xf1ff
	v_cndmask_b32_e64 v88, v88, v89, s8
	v_lshrrev_b16 v49, 8, v49
	v_bfe_u32 v86, v36, 16, 1
	v_or_b32_e32 v87, 0x400000, v36
	v_cmp_u_f32_e64 s7, v36, v36
	v_cndmask_b32_e64 v90, v90, v91, s9
	v_and_b32_e32 v49, 0xffff, v49
	v_add3_u32 v86, v86, v36, 0x7fff
	v_and_b32_e32 v79, 0xffff, v79
	v_and_b32_e32 v73, 0xffff, v73
	v_bfe_u32 v113, v43, 16, 1
	v_cvt_f32_fp8_e32 v49, v49
	s_wait_alu 0xf1ff
	v_cndmask_b32_e64 v86, v86, v87, s7
	v_cvt_f32_fp8_e32 v79, v79
	v_cvt_f32_fp8_e32 v73, v73
	s_wait_dscnt 0x0
	v_lshlrev_b32_e32 v50, 16, v34
	v_or_b32_e32 v116, 0x400000, v43
	v_and_b32_e32 v86, 0xffff0000, v86
	v_add3_u32 v113, v113, v43, 0x7fff
	v_mul_f32_e32 v73, s4, v73
	v_mul_f32_e32 v79, s4, v79
	s_delay_alu instid0(VALU_DEP_4)
	v_dual_mul_f32 v49, s4, v49 :: v_dual_mul_f32 v18, v18, v86
	v_and_b32_e32 v69, 0xff, v39
	v_lshrrev_b16 v39, 8, v39
	v_and_b32_e32 v86, 0xffff0000, v90
	v_bfe_u32 v111, v73, 16, 1
	v_or_b32_e32 v114, 0x400000, v73
	v_or_b32_e32 v89, 0x400000, v79
	v_and_b32_e32 v39, 0xffff, v39
	v_bfe_u32 v87, v49, 16, 1
	v_add3_u32 v111, v111, v73, 0x7fff
	v_or_b32_e32 v91, 0x400000, v49
	s_delay_alu instid0(VALU_DEP_4) | instskip(SKIP_2) | instid1(VALU_DEP_3)
	v_cvt_f32_fp8_e32 v39, v39
	v_lshlrev_b32_e32 v56, 16, v9
	v_add3_u32 v87, v87, v49, 0x7fff
	v_dual_mul_f32 v39, s4, v39 :: v_dual_and_b32 v66, 0xffff, v66
	s_delay_alu instid0(VALU_DEP_1) | instskip(NEXT) | instid1(VALU_DEP_2)
	v_bfe_u32 v98, v39, 16, 1
	v_cvt_f32_fp8_e32 v66, v66
	v_lshlrev_b32_e32 v57, 16, v12
	v_or_b32_e32 v99, 0x400000, v39
	s_delay_alu instid0(VALU_DEP_4) | instskip(NEXT) | instid1(VALU_DEP_4)
	v_add3_u32 v98, v98, v39, 0x7fff
	v_mul_f32_e32 v66, s4, v66
	v_and_b32_e32 v78, 0xff, v48
	v_lshrrev_b16 v48, 8, v48
	s_delay_alu instid0(VALU_DEP_3)
	v_bfe_u32 v84, v66, 16, 1
	v_or_b32_e32 v85, 0x400000, v66
	v_cmp_u_f32_e64 s6, v66, v66
	v_and_b32_e32 v78, 0xffff, v78
	v_and_b32_e32 v48, 0xffff, v48
	v_add3_u32 v84, v84, v66, 0x7fff
	s_delay_alu instid0(VALU_DEP_3) | instskip(NEXT) | instid1(VALU_DEP_3)
	v_cvt_f32_fp8_e32 v78, v78
	v_cvt_f32_fp8_e32 v48, v48
	s_wait_alu 0xf1ff
	s_delay_alu instid0(VALU_DEP_3) | instskip(NEXT) | instid1(VALU_DEP_3)
	v_cndmask_b32_e64 v84, v84, v85, s6
	v_mul_f32_e32 v78, s4, v78
	s_delay_alu instid0(VALU_DEP_3) | instskip(NEXT) | instid1(VALU_DEP_3)
	v_mul_f32_e32 v48, s4, v48
	v_and_b32_e32 v84, 0xffff0000, v84
	v_and_b32_e32 v68, 0xff, v38
	v_lshrrev_b16 v38, 8, v38
	v_bfe_u32 v36, v78, 16, 1
	v_bfe_u32 v37, v48, 16, 1
	v_dual_mul_f32 v59, v59, v84 :: v_dual_and_b32 v72, 0xff, v42
	v_lshrrev_b16 v42, 8, v42
	v_and_b32_e32 v84, 0xffff0000, v88
	v_and_b32_e32 v76, 0xff, v46
	v_lshrrev_b16 v46, 8, v46
	v_and_b32_e32 v72, 0xffff, v72
	v_and_b32_e32 v38, 0xffff, v38
	v_add3_u32 v36, v36, v78, 0x7fff
	v_and_b32_e32 v76, 0xffff, v76
	v_and_b32_e32 v46, 0xffff, v46
	v_cvt_f32_fp8_e32 v72, v72
	v_lshlrev_b32_e32 v51, 16, v6
	v_cvt_f32_fp8_e32 v38, v38
	v_cvt_f32_fp8_e32 v76, v76
	s_delay_alu instid0(VALU_DEP_4) | instskip(SKIP_4) | instid1(VALU_DEP_4)
	v_dual_mul_f32 v72, s4, v72 :: v_dual_and_b32 v65, 0xffff0000, v9
	v_and_b32_e32 v42, 0xffff, v42
	v_cvt_f32_fp8_e32 v46, v46
	v_and_b32_e32 v9, 0xffff0000, v7
	v_dual_mul_f32 v38, s4, v38 :: v_dual_lshlrev_b32 v53, 16, v8
	v_cvt_f32_fp8_e32 v42, v42
	v_and_b32_e32 v15, 0xffff0000, v15
	v_and_b32_e32 v8, 0xffff0000, v8
	v_mul_f32_e32 v76, s4, v76
	v_mul_f32_e32 v46, s4, v46
	v_dual_mul_f32 v42, s4, v42 :: v_dual_and_b32 v71, 0xff, v41
	v_lshrrev_b16 v41, 8, v41
	v_bfe_u32 v94, v38, 16, 1
	v_or_b32_e32 v95, 0x400000, v38
	v_bfe_u32 v108, v72, 16, 1
	v_or_b32_e32 v109, 0x400000, v72
	v_and_b32_e32 v41, 0xffff, v41
	v_add3_u32 v94, v94, v38, 0x7fff
	v_bfe_u32 v110, v42, 16, 1
	v_add3_u32 v108, v108, v72, 0x7fff
	v_or_b32_e32 v112, 0x400000, v42
	v_cvt_f32_fp8_e32 v41, v41
	v_lshlrev_b32_e32 v54, 16, v7
	v_and_b32_e32 v7, 0xffff0000, v5
	v_and_b32_e32 v71, 0xffff, v71
	v_add3_u32 v110, v110, v42, 0x7fff
	v_dual_mul_f32 v41, s4, v41 :: v_dual_and_b32 v68, 0xffff, v68
	v_bfe_u32 v123, v76, 16, 1
	s_delay_alu instid0(VALU_DEP_4)
	v_cvt_f32_fp8_e32 v71, v71
	v_lshlrev_b32_e32 v52, 16, v5
	v_and_b32_e32 v5, 0xffff0000, v6
	v_and_b32_e32 v6, 0xff, v35
	v_lshrrev_b16 v35, 8, v35
	v_cvt_f32_fp8_e32 v68, v68
	v_lshlrev_b32_e32 v63, 16, v14
	s_delay_alu instid0(VALU_DEP_4) | instskip(NEXT) | instid1(VALU_DEP_3)
	v_dual_mul_f32 v71, s4, v71 :: v_dual_and_b32 v6, 0xffff, v6
	v_dual_mul_f32 v68, s4, v68 :: v_dual_and_b32 v35, 0xffff, v35
	v_and_b32_e32 v70, 0xff, v40
	v_lshrrev_b16 v40, 8, v40
	s_delay_alu instid0(VALU_DEP_4) | instskip(NEXT) | instid1(VALU_DEP_4)
	v_cvt_f32_fp8_e32 v6, v6
	v_cvt_f32_fp8_e32 v35, v35
	v_lshlrev_b32_e32 v58, 16, v17
	v_and_b32_e32 v70, 0xffff, v70
	s_delay_alu instid0(VALU_DEP_4) | instskip(NEXT) | instid1(VALU_DEP_4)
	v_dual_mul_f32 v6, s4, v6 :: v_dual_lshlrev_b32 v61, 16, v16
	v_dual_mul_f32 v35, s4, v35 :: v_dual_and_b32 v40, 0xffff, v40
	s_delay_alu instid0(VALU_DEP_3) | instskip(SKIP_1) | instid1(VALU_DEP_4)
	v_cvt_f32_fp8_e32 v70, v70
	v_and_b32_e32 v17, 0xffff0000, v17
	v_bfe_u32 v80, v6, 16, 1
	s_delay_alu instid0(VALU_DEP_4)
	v_bfe_u32 v82, v35, 16, 1
	v_or_b32_e32 v83, 0x400000, v35
	v_cmp_u_f32_e64 s5, v35, v35
	v_mul_f32_e32 v70, s4, v70
	v_cvt_f32_fp8_e32 v40, v40
	v_add3_u32 v82, v82, v35, 0x7fff
	v_lshlrev_b32_e32 v55, 16, v10
	v_or_b32_e32 v81, 0x400000, v6
	v_bfe_u32 v92, v68, 16, 1
	v_mul_f32_e32 v40, s4, v40
	s_wait_alu 0xf1ff
	v_cndmask_b32_e64 v82, v82, v83, s5
	v_add3_u32 v80, v80, v6, 0x7fff
	v_or_b32_e32 v93, 0x400000, v68
	v_add3_u32 v92, v92, v68, 0x7fff
	v_bfe_u32 v100, v70, 16, 1
	v_and_b32_e32 v82, 0xffff0000, v82
	v_or_b32_e32 v101, 0x400000, v70
	v_bfe_u32 v102, v40, 16, 1
	v_or_b32_e32 v103, 0x400000, v40
	v_add3_u32 v100, v100, v70, 0x7fff
	v_dual_fmac_f32 v18, v17, v82 :: v_dual_and_b32 v69, 0xffff, v69
	v_bfe_u32 v104, v71, 16, 1
	v_add3_u32 v102, v102, v40, 0x7fff
	v_or_b32_e32 v105, 0x400000, v71
	v_bfe_u32 v106, v41, 16, 1
	v_cvt_f32_fp8_e32 v69, v69
	v_lshlrev_b32_e32 v64, 16, v11
	v_add3_u32 v104, v104, v71, 0x7fff
	v_or_b32_e32 v107, 0x400000, v41
	v_add3_u32 v106, v106, v41, 0x7fff
	v_dual_mul_f32 v69, s4, v69 :: v_dual_and_b32 v74, 0xff, v44
	v_lshrrev_b16 v44, 8, v44
	v_fmac_f32_e32 v18, v15, v86
	v_bfe_u32 v125, v46, 16, 1
	s_delay_alu instid0(VALU_DEP_4)
	v_bfe_u32 v96, v69, 16, 1
	v_and_b32_e32 v74, 0xffff, v74
	v_and_b32_e32 v44, 0xffff, v44
	v_or_b32_e32 v97, 0x400000, v69
	v_or_b32_e32 v126, 0x400000, v76
	v_add3_u32 v96, v96, v69, 0x7fff
	v_cvt_f32_fp8_e32 v74, v74
	v_and_b32_e32 v13, 0xffff0000, v13
	v_cvt_f32_fp8_e32 v44, v44
	v_and_b32_e32 v11, 0xffff0000, v11
	v_add3_u32 v123, v123, v76, 0x7fff
	v_dual_mul_f32 v74, s4, v74 :: v_dual_and_b32 v75, 0xff, v45
	v_lshrrev_b16 v45, 8, v45
	v_mul_f32_e32 v44, s4, v44
	v_add3_u32 v125, v125, v46, 0x7fff
	s_delay_alu instid0(VALU_DEP_4)
	v_bfe_u32 v115, v74, 16, 1
	v_and_b32_e32 v75, 0xffff, v75
	v_and_b32_e32 v45, 0xffff, v45
	v_bfe_u32 v117, v44, 16, 1
	v_or_b32_e32 v118, 0x400000, v74
	v_add3_u32 v115, v115, v74, 0x7fff
	v_cvt_f32_fp8_e32 v75, v75
	v_cvt_f32_fp8_e32 v45, v45
	v_and_b32_e32 v14, 0xffff0000, v14
	v_and_b32_e32 v16, 0xffff0000, v16
	v_or_b32_e32 v120, 0x400000, v44
	v_mul_f32_e32 v75, s4, v75
	v_mul_f32_e32 v45, s4, v45
	v_and_b32_e32 v77, 0xff, v47
	v_lshrrev_b16 v47, 8, v47
	v_add3_u32 v117, v117, v44, 0x7fff
	v_bfe_u32 v119, v75, 16, 1
	v_bfe_u32 v121, v45, 16, 1
	v_and_b32_e32 v77, 0xffff, v77
	v_and_b32_e32 v47, 0xffff, v47
	v_or_b32_e32 v122, 0x400000, v75
	v_add3_u32 v119, v119, v75, 0x7fff
	v_or_b32_e32 v124, 0x400000, v45
	v_cvt_f32_fp8_e32 v77, v77
	v_cvt_f32_fp8_e32 v47, v47
	v_and_b32_e32 v12, 0xffff0000, v12
	v_and_b32_e32 v10, 0xffff0000, v10
	v_add3_u32 v121, v121, v45, 0x7fff
	v_mul_f32_e32 v77, s4, v77
	v_mul_f32_e32 v47, s4, v47
	v_cmp_u_f32_e64 s4, v6, v6
	v_or_b32_e32 v6, 0x400000, v46
	v_bfe_u32 v83, v79, 16, 1
	v_bfe_u32 v127, v77, 16, 1
	;; [unrolled: 1-line block ×3, first 2 shown]
	s_wait_alu 0xf1ff
	v_cndmask_b32_e64 v80, v80, v81, s4
	v_cmp_u_f32_e64 s4, v68, v68
	v_or_b32_e32 v66, 0x400000, v77
	v_add3_u32 v127, v127, v77, 0x7fff
	v_or_b32_e32 v67, 0x400000, v47
	v_and_b32_e32 v80, 0xffff0000, v80
	s_wait_alu 0xf1ff
	v_cndmask_b32_e64 v68, v92, v93, s4
	v_cmp_u_f32_e64 s4, v38, v38
	v_add3_u32 v35, v35, v47, 0x7fff
	v_or_b32_e32 v81, 0x400000, v78
	v_fmac_f32_e32 v59, v58, v80
	v_or_b32_e32 v85, 0x400000, v48
	s_wait_alu 0xf1ff
	v_cndmask_b32_e64 v38, v94, v95, s4
	v_cmp_u_f32_e64 s4, v69, v69
	v_add3_u32 v37, v37, v48, 0x7fff
	v_fmac_f32_e32 v59, v60, v84
	v_add3_u32 v83, v83, v79, 0x7fff
	v_and_b32_e32 v38, 0xffff0000, v38
	s_wait_alu 0xf1ff
	v_cndmask_b32_e64 v69, v96, v97, s4
	v_cmp_u_f32_e64 s4, v39, v39
	s_delay_alu instid0(VALU_DEP_3) | instskip(NEXT) | instid1(VALU_DEP_3)
	v_fmac_f32_e32 v18, v16, v38
	v_and_b32_e32 v58, 0xffff0000, v69
	s_wait_alu 0xf1ff
	s_delay_alu instid0(VALU_DEP_3) | instskip(SKIP_1) | instid1(VALU_DEP_2)
	v_cndmask_b32_e64 v39, v98, v99, s4
	v_cmp_u_f32_e64 s4, v70, v70
	v_and_b32_e32 v39, 0xffff0000, v39
	s_wait_alu 0xf1ff
	s_delay_alu instid0(VALU_DEP_2) | instskip(SKIP_1) | instid1(VALU_DEP_3)
	v_cndmask_b32_e64 v70, v100, v101, s4
	v_cmp_u_f32_e64 s4, v40, v40
	v_fmac_f32_e32 v18, v13, v39
	s_delay_alu instid0(VALU_DEP_3) | instskip(SKIP_1) | instid1(VALU_DEP_3)
	v_and_b32_e32 v38, 0xffff0000, v70
	s_wait_alu 0xf1ff
	v_cndmask_b32_e64 v40, v102, v103, s4
	v_cmp_u_f32_e64 s4, v71, v71
	s_delay_alu instid0(VALU_DEP_2) | instskip(SKIP_1) | instid1(VALU_DEP_2)
	v_and_b32_e32 v40, 0xffff0000, v40
	s_wait_alu 0xf1ff
	v_cndmask_b32_e64 v71, v104, v105, s4
	v_cmp_u_f32_e64 s4, v41, v41
	s_delay_alu instid0(VALU_DEP_2) | instskip(SKIP_1) | instid1(VALU_DEP_2)
	v_dual_fmac_f32 v18, v14, v40 :: v_dual_and_b32 v39, 0xffff0000, v71
	s_wait_alu 0xf1ff
	v_cndmask_b32_e64 v41, v106, v107, s4
	v_cmp_u_f32_e64 s4, v72, v72
	s_delay_alu instid0(VALU_DEP_2) | instskip(SKIP_1) | instid1(VALU_DEP_2)
	v_and_b32_e32 v41, 0xffff0000, v41
	s_wait_alu 0xf1ff
	v_cndmask_b32_e64 v72, v108, v109, s4
	v_cmp_u_f32_e64 s4, v42, v42
	s_delay_alu instid0(VALU_DEP_3) | instskip(NEXT) | instid1(VALU_DEP_3)
	v_fmac_f32_e32 v18, v11, v41
	v_and_b32_e32 v14, 0xffff0000, v72
	s_wait_alu 0xf1ff
	s_delay_alu instid0(VALU_DEP_3) | instskip(SKIP_2) | instid1(VALU_DEP_1)
	v_cndmask_b32_e64 v42, v110, v112, s4
	v_cmp_u_f32_e64 s4, v73, v73
	s_wait_alu 0xf1ff
	v_cndmask_b32_e64 v73, v111, v114, s4
	v_cmp_u_f32_e64 s4, v43, v43
	s_wait_alu 0xf1ff
	s_delay_alu instid0(VALU_DEP_1) | instskip(SKIP_1) | instid1(VALU_DEP_2)
	v_cndmask_b32_e64 v43, v113, v116, s4
	v_cmp_u_f32_e64 s4, v74, v74
	v_and_b32_e32 v40, 0xffff0000, v43
	s_wait_alu 0xf1ff
	s_delay_alu instid0(VALU_DEP_2) | instskip(SKIP_3) | instid1(VALU_DEP_2)
	v_cndmask_b32_e64 v74, v115, v118, s4
	v_cmp_u_f32_e64 s4, v44, v44
	v_and_b32_e32 v44, 0xffff0000, v68
	s_wait_alu 0xf1ff
	v_cndmask_b32_e64 v17, v117, v120, s4
	v_cmp_u_f32_e64 s4, v75, v75
	s_delay_alu instid0(VALU_DEP_3) | instskip(NEXT) | instid1(VALU_DEP_3)
	v_fmac_f32_e32 v59, v61, v44
	v_and_b32_e32 v17, 0xffff0000, v17
	s_wait_alu 0xf1ff
	s_delay_alu instid0(VALU_DEP_3) | instskip(SKIP_2) | instid1(VALU_DEP_3)
	v_cndmask_b32_e64 v15, v119, v122, s4
	v_cmp_u_f32_e64 s4, v45, v45
	v_fmac_f32_e32 v59, v62, v58
	v_and_b32_e32 v15, 0xffff0000, v15
	s_wait_alu 0xf1ff
	s_delay_alu instid0(VALU_DEP_3) | instskip(SKIP_3) | instid1(VALU_DEP_4)
	v_cndmask_b32_e64 v16, v121, v124, s4
	v_cmp_u_f32_e64 s4, v76, v76
	v_fmac_f32_e32 v59, v63, v38
	v_and_b32_e32 v38, 0xffff0000, v42
	v_and_b32_e32 v16, 0xffff0000, v16
	s_wait_alu 0xf1ff
	v_cndmask_b32_e64 v13, v123, v126, s4
	v_cmp_u_f32_e64 s4, v46, v46
	v_fmac_f32_e32 v59, v64, v39
	v_dual_fmac_f32 v18, v12, v38 :: v_dual_and_b32 v39, 0xffff0000, v73
	s_delay_alu instid0(VALU_DEP_4)
	v_and_b32_e32 v13, 0xffff0000, v13
	s_wait_alu 0xf1ff
	v_cndmask_b32_e64 v6, v125, v6, s4
	v_cmp_u_f32_e64 s4, v77, v77
	v_fmac_f32_e32 v59, v57, v14
	v_and_b32_e32 v14, 0xffff0000, v74
	v_fmac_f32_e32 v18, v65, v40
	v_and_b32_e32 v6, 0xffff0000, v6
	s_wait_alu 0xf1ff
	v_cndmask_b32_e64 v11, v127, v66, s4
	v_cmp_u_f32_e64 s4, v47, v47
	v_dual_fmac_f32 v59, v56, v39 :: v_dual_fmac_f32 v18, v10, v17
	s_delay_alu instid0(VALU_DEP_3) | instskip(SKIP_1) | instid1(VALU_DEP_3)
	v_and_b32_e32 v11, 0xffff0000, v11
	s_wait_alu 0xf1ff
	v_cndmask_b32_e64 v12, v35, v67, s4
	v_cmp_u_f32_e64 s4, v78, v78
	v_dual_fmac_f32 v59, v55, v14 :: v_dual_fmac_f32 v18, v9, v16
	s_delay_alu instid0(VALU_DEP_3) | instskip(SKIP_1) | instid1(VALU_DEP_3)
	v_and_b32_e32 v12, 0xffff0000, v12
	s_wait_alu 0xf1ff
	v_cndmask_b32_e64 v35, v36, v81, s4
	v_cmp_u_f32_e64 s4, v48, v48
	v_dual_fmac_f32 v59, v54, v15 :: v_dual_fmac_f32 v18, v8, v6
	s_delay_alu instid0(VALU_DEP_3) | instskip(SKIP_1) | instid1(VALU_DEP_3)
	v_and_b32_e32 v8, 0xffff0000, v35
	s_wait_alu 0xf1ff
	v_cndmask_b32_e64 v10, v37, v85, s4
	v_cmp_u_f32_e64 s4, v79, v79
	v_dual_fmac_f32 v59, v53, v13 :: v_dual_fmac_f32 v18, v7, v12
	v_and_b32_e32 v7, 0xffff0000, v34
	s_delay_alu instid0(VALU_DEP_4) | instskip(SKIP_3) | instid1(VALU_DEP_3)
	v_and_b32_e32 v10, 0xffff0000, v10
	s_wait_alu 0xf1ff
	v_cndmask_b32_e64 v9, v83, v89, s4
	v_cmp_u_f32_e64 s4, v49, v49
	v_dual_fmac_f32 v59, v52, v11 :: v_dual_fmac_f32 v18, v5, v10
	s_delay_alu instid0(VALU_DEP_3) | instskip(SKIP_1) | instid1(VALU_DEP_3)
	v_and_b32_e32 v9, 0xffff0000, v9
	s_wait_alu 0xf1ff
	v_cndmask_b32_e64 v6, v87, v91, s4
	s_delay_alu instid0(VALU_DEP_3) | instskip(SKIP_1) | instid1(VALU_DEP_2)
	v_fmac_f32_e32 v59, v51, v8
	v_cmp_gt_i32_e64 s4, 32, v31
	v_dual_fmac_f32 v59, v50, v9 :: v_dual_and_b32 v6, 0xffff0000, v6
	s_wait_alu 0xf1ff
	s_delay_alu instid0(VALU_DEP_2) | instskip(SKIP_1) | instid1(VALU_DEP_2)
	v_cndmask_b32_e64 v5, v23, v31, s4
	v_cmp_gt_i32_e64 s4, 32, v32
	v_dual_fmac_f32 v18, v7, v6 :: v_dual_lshlrev_b32 v5, 2, v5
	s_wait_alu 0xf1ff
	s_delay_alu instid0(VALU_DEP_2) | instskip(NEXT) | instid1(VALU_DEP_1)
	v_cndmask_b32_e64 v7, v23, v32, s4
	v_dual_add_f32 v6, v59, v18 :: v_dual_lshlrev_b32 v7, 2, v7
	ds_bpermute_b32 v5, v5, v6
	s_wait_dscnt 0x0
	v_add_f32_e32 v5, v6, v5
	ds_bpermute_b32 v6, v7, v5
	s_and_saveexec_b32 s5, s3
	s_cbranch_execz .LBB318_11
; %bb.19:                               ;   in Loop: Header=BB318_13 Depth=1
	s_wait_dscnt 0x0
	v_add_f32_e32 v5, v5, v6
	v_add_nc_u32_e32 v7, v28, v27
	s_delay_alu instid0(VALU_DEP_1) | instskip(NEXT) | instid1(VALU_DEP_1)
	v_cvt_f32_i32_e32 v7, v7
	v_mul_f32_e32 v7, s34, v7
	s_delay_alu instid0(VALU_DEP_1) | instskip(NEXT) | instid1(VALU_DEP_1)
	v_dual_cndmask_b32 v6, 0, v7 :: v_dual_max_num_f32 v7, v26, v26
	v_dual_fmac_f32 v6, s23, v5 :: v_dual_add_nc_u32 v5, v24, v27
	s_delay_alu instid0(VALU_DEP_1) | instskip(NEXT) | instid1(VALU_DEP_2)
	v_max_num_f32_e32 v7, v7, v6
	v_cmp_gt_i32_e64 s4, s40, v5
	s_wait_alu 0xf1ff
	s_delay_alu instid0(VALU_DEP_1) | instskip(NEXT) | instid1(VALU_DEP_3)
	v_cndmask_b32_e64 v5, 0, v6, s4
	v_cndmask_b32_e64 v26, v26, v7, s4
	ds_store_b32 v29, v5
	s_branch .LBB318_11
.LBB318_20:
	s_or_b32 exec_lo, exec_lo, s44
.LBB318_21:
	s_delay_alu instid0(SALU_CYCLE_1)
	s_or_b32 exec_lo, exec_lo, s22
	v_xor_b32_e32 v1, 16, v23
	v_xor_b32_e32 v3, 8, v23
	;; [unrolled: 1-line block ×3, first 2 shown]
	s_clause 0x2
	s_load_b128 s[4:7], s[0:1], 0x0
	s_load_b64 s[34:35], s[0:1], 0x10
	s_load_b64 s[8:9], s[0:1], 0x28
	v_and_b32_e32 v15, 31, v0
	v_cmp_gt_i32_e32 vcc_lo, 32, v1
	s_wait_alu 0xfffd
	v_dual_max_num_f32 v4, v26, v26 :: v_dual_cndmask_b32 v1, v23, v1
	v_cmp_gt_i32_e32 vcc_lo, 32, v3
	s_wait_alu 0xfffd
	s_delay_alu instid0(VALU_DEP_2)
	v_dual_cndmask_b32 v3, v23, v3 :: v_dual_lshlrev_b32 v2, 2, v1
	v_cmp_gt_i32_e32 vcc_lo, 32, v5
	ds_bpermute_b32 v1, v2, v26
	v_lshlrev_b32_e32 v3, 2, v3
	s_wait_alu 0xfffd
	v_cndmask_b32_e32 v5, v23, v5, vcc_lo
	v_cmp_eq_u32_e32 vcc_lo, 0, v15
	s_wait_dscnt 0x1
	s_delay_alu instid0(VALU_DEP_2) | instskip(SKIP_2) | instid1(VALU_DEP_1)
	v_lshlrev_b32_e32 v6, 2, v5
	s_wait_dscnt 0x0
	v_max_num_f32_e32 v1, v1, v1
	v_max_num_f32_e32 v1, v4, v1
	ds_bpermute_b32 v4, v3, v1
	s_wait_dscnt 0x0
	v_max_num_f32_e32 v4, v4, v4
	s_delay_alu instid0(VALU_DEP_1)
	v_dual_max_num_f32 v1, v1, v4 :: v_dual_lshlrev_b32 v4, 2, v19
	ds_bpermute_b32 v5, v6, v1
	s_and_saveexec_b32 s0, vcc_lo
	s_cbranch_execz .LBB318_23
; %bb.22:
	s_wait_dscnt 0x0
	v_max_num_f32_e32 v5, v5, v5
	v_max_num_f32_e32 v1, v1, v1
	s_delay_alu instid0(VALU_DEP_1)
	v_max_num_f32_e32 v1, v1, v5
	ds_store_b32 v4, v1 offset:240
.LBB318_23:
	s_or_b32 exec_lo, exec_lo, s0
	v_cmp_gt_u32_e64 s0, 4, v15
	v_mov_b32_e32 v1, 0xff7fffff
	s_wait_dscnt 0x0
	v_lshlrev_b32_e32 v5, 2, v15
	s_wait_loadcnt 0x0
	s_barrier_signal -1
	s_barrier_wait -1
	global_inv scope:SCOPE_SE
	s_and_saveexec_b32 s1, s0
; %bb.24:
	ds_load_b32 v1, v5 offset:240
; %bb.25:
	s_or_b32 exec_lo, exec_lo, s1
	v_xor_b32_e32 v7, 2, v23
	v_xor_b32_e32 v9, 1, v23
	v_lshl_add_u32 v16, v0, 2, 0x110
	s_delay_alu instid0(VALU_DEP_3) | instskip(NEXT) | instid1(VALU_DEP_1)
	v_cmp_gt_i32_e64 s1, 32, v7
	v_cndmask_b32_e64 v7, v23, v7, s1
	s_delay_alu instid0(VALU_DEP_4) | instskip(NEXT) | instid1(VALU_DEP_2)
	v_cmp_gt_i32_e64 s1, 32, v9
	v_lshlrev_b32_e32 v7, 2, v7
	s_wait_alu 0xf1ff
	s_delay_alu instid0(VALU_DEP_2)
	v_cndmask_b32_e64 v9, v23, v9, s1
	s_sub_co_i32 s1, s43, s16
	s_wait_alu 0xfffe
	s_lshl_b32 s1, s1, 3
	s_wait_dscnt 0x0
	ds_bpermute_b32 v8, v7, v1
	v_max_num_f32_e32 v1, v1, v1
	s_wait_alu 0xfffe
	s_add_co_i32 s1, s1, s38
	s_wait_alu 0xfffe
	s_min_i32 s1, s1, s40
	s_wait_alu 0xfffe
	s_sub_co_i32 s16, s1, s38
	s_wait_alu 0xfffe
	v_cmp_gt_i32_e64 s1, s16, v0
	s_wait_dscnt 0x0
	v_max_num_f32_e32 v10, v8, v8
	s_delay_alu instid0(VALU_DEP_1) | instskip(SKIP_3) | instid1(VALU_DEP_1)
	v_dual_max_num_f32 v1, v1, v10 :: v_dual_lshlrev_b32 v8, 2, v9
	ds_bpermute_b32 v9, v8, v1
	s_wait_dscnt 0x0
	v_max_num_f32_e32 v9, v9, v9
	v_max_num_f32_e32 v1, v1, v9
	v_mov_b32_e32 v9, 0
	ds_bpermute_b32 v1, v9, v1
	s_and_saveexec_b32 s19, s1
	s_cbranch_execz .LBB318_29
; %bb.26:
	v_lshl_add_u32 v10, v0, 2, 0x110
	v_mov_b32_e32 v9, 0
	v_mov_b32_e32 v11, v0
	s_mov_b32 s22, 0
.LBB318_27:                             ; =>This Inner Loop Header: Depth=1
	ds_load_b32 v12, v10
	v_add_nc_u32_e32 v11, 0x80, v11
	s_delay_alu instid0(VALU_DEP_1) | instskip(SKIP_4) | instid1(VALU_DEP_1)
	v_cmp_le_i32_e64 s3, s16, v11
	s_wait_alu 0xfffe
	s_or_b32 s22, s3, s22
	s_wait_dscnt 0x0
	v_sub_f32_e32 v12, v12, v1
	v_mul_f32_e32 v12, 0x3fb8aa3b, v12
	s_delay_alu instid0(VALU_DEP_1)
	v_exp_f32_e32 v12, v12
	ds_store_b32 v10, v12
	v_dual_add_f32 v9, v9, v12 :: v_dual_add_nc_u32 v10, 0x200, v10
	s_wait_alu 0xfffe
	s_and_not1_b32 exec_lo, exec_lo, s22
	s_cbranch_execnz .LBB318_27
; %bb.28:
	s_or_b32 exec_lo, exec_lo, s22
.LBB318_29:
	s_wait_alu 0xfffe
	s_or_b32 exec_lo, exec_lo, s19
	ds_bpermute_b32 v2, v2, v9
	s_wait_dscnt 0x0
	v_add_f32_e32 v2, v9, v2
	ds_bpermute_b32 v3, v3, v2
	s_wait_dscnt 0x0
	v_add_f32_e32 v2, v2, v3
	;; [unrolled: 3-line block ×5, first 2 shown]
	s_and_saveexec_b32 s3, vcc_lo
; %bb.30:
	ds_store_b32 v4, v2 offset:256
; %bb.31:
	s_wait_alu 0xfffe
	s_or_b32 exec_lo, exec_lo, s3
	s_wait_loadcnt_dscnt 0x0
	s_barrier_signal -1
	s_barrier_wait -1
	global_inv scope:SCOPE_SE
	s_and_saveexec_b32 s3, s0
; %bb.32:
	ds_load_b32 v2, v5 offset:256
; %bb.33:
	s_wait_alu 0xfffe
	s_or_b32 exec_lo, exec_lo, s3
	s_wait_dscnt 0x0
	ds_bpermute_b32 v3, v7, v2
	s_wait_dscnt 0x0
	v_add_f32_e32 v2, v2, v3
	ds_bpermute_b32 v3, v8, v2
	s_wait_dscnt 0x0
	v_dual_add_f32 v2, v2, v3 :: v_dual_mov_b32 v3, 0
	ds_bpermute_b32 v2, v3, v2
	s_and_saveexec_b32 s0, s1
	s_cbranch_execz .LBB318_36
; %bb.34:
	s_wait_dscnt 0x0
	v_add_f32_e32 v4, 0x358637bd, v2
	s_mov_b32 s1, 0
	s_delay_alu instid0(VALU_DEP_1) | instskip(NEXT) | instid1(VALU_DEP_1)
	v_div_scale_f32 v3, null, v4, v4, 1.0
	v_rcp_f32_e32 v5, v3
	s_delay_alu instid0(TRANS32_DEP_1) | instskip(NEXT) | instid1(VALU_DEP_1)
	v_fma_f32 v6, -v3, v5, 1.0
	v_fmac_f32_e32 v5, v6, v5
	v_div_scale_f32 v7, vcc_lo, 1.0, v4, 1.0
	s_delay_alu instid0(VALU_DEP_1) | instskip(NEXT) | instid1(VALU_DEP_1)
	v_mul_f32_e32 v6, v7, v5
	v_fma_f32 v8, -v3, v6, v7
	s_delay_alu instid0(VALU_DEP_1) | instskip(NEXT) | instid1(VALU_DEP_1)
	v_fmac_f32_e32 v6, v8, v5
	v_fma_f32 v3, -v3, v6, v7
	s_wait_alu 0xfffd
	s_delay_alu instid0(VALU_DEP_1) | instskip(SKIP_1) | instid1(VALU_DEP_2)
	v_div_fmas_f32 v5, v3, v5, v6
	v_mov_b32_e32 v3, v16
	v_div_fixup_f32 v4, v5, v4, 1.0
	v_mov_b32_e32 v5, v0
.LBB318_35:                             ; =>This Inner Loop Header: Depth=1
	ds_load_b32 v6, v3
	s_wait_dscnt 0x0
	v_dual_mul_f32 v6, v4, v6 :: v_dual_add_nc_u32 v5, 0x80, v5
	s_delay_alu instid0(VALU_DEP_1)
	v_cmp_le_i32_e32 vcc_lo, s16, v5
	ds_store_b32 v3, v6
	v_add_nc_u32_e32 v3, 0x200, v3
	s_wait_alu 0xfffe
	s_or_b32 s1, vcc_lo, s1
	s_wait_alu 0xfffe
	s_and_not1_b32 exec_lo, exec_lo, s1
	s_cbranch_execnz .LBB318_35
.LBB318_36:
	s_wait_alu 0xfffe
	s_or_b32 exec_lo, exec_lo, s0
	s_mul_i32 s0, s29, s36
	s_wait_loadcnt_dscnt 0x0
	s_wait_alu 0xfffe
	s_mul_i32 s36, s0, s37
	s_mov_b32 s0, exec_lo
	s_barrier_signal -1
	s_barrier_wait -1
	global_inv scope:SCOPE_SE
	v_cmpx_eq_u32_e32 0, v0
	s_cbranch_execz .LBB318_38
; %bb.37:
	s_ashr_i32 s37, s36, 31
	s_wait_alu 0xfffe
	s_mul_i32 s22, s29, ttmp9
	s_lshl_b32 s1, s33, 2
	s_lshl_b64 s[24:25], s[36:37], 2
	s_wait_alu 0xfffe
	s_ashr_i32 s23, s22, 31
	v_mov_b32_e32 v3, s1
	s_wait_kmcnt 0x0
	s_add_nc_u64 s[6:7], s[6:7], s[24:25]
	s_wait_alu 0xfffe
	s_lshl_b64 s[22:23], s[22:23], 2
	s_add_nc_u64 s[4:5], s[4:5], s[24:25]
	s_wait_alu 0xfffe
	s_add_nc_u64 s[6:7], s[6:7], s[22:23]
	s_add_nc_u64 s[4:5], s[4:5], s[22:23]
	s_clause 0x1
	global_store_b32 v3, v1, s[6:7]
	global_store_b32 v3, v2, s[4:5]
.LBB318_38:
	s_wait_alu 0xfffe
	s_or_b32 exec_lo, exec_lo, s0
	v_dual_mov_b32 v24, 0 :: v_dual_mov_b32 v23, 0
	v_dual_mov_b32 v18, 0 :: v_dual_mov_b32 v17, 0
	s_and_saveexec_b32 s37, s2
	s_cbranch_execz .LBB318_54
; %bb.39:
	s_abs_i32 s44, s14
	v_dual_mov_b32 v18, 0 :: v_dual_lshlrev_b32 v25, 3, v15
	s_wait_alu 0xfffe
	s_cvt_f32_u32 s0, s44
	s_sub_co_i32 s3, 0, s44
	v_lshl_add_u32 v26, v19, 5, 0x110
	v_dual_mov_b32 v23, 0 :: v_dual_mov_b32 v24, 0
	s_wait_alu 0xfffe
	v_rcp_iflag_f32_e32 v1, s0
	s_lshl_b64 s[0:1], s[20:21], 2
	s_ashr_i32 s19, s18, 31
	s_wait_alu 0xfffe
	s_add_nc_u64 s[0:1], s[10:11], s[0:1]
	s_sub_co_i32 s45, s15, s13
	s_wait_alu 0xfffe
	v_add_co_u32 v9, s0, s0, v22
	s_wait_alu 0xf1ff
	v_add_co_ci_u32_e64 v10, null, s1, 0, s0
	s_mov_b32 s46, s17
	v_readfirstlane_b32 s2, v1
	v_or_b32_e32 v1, 0x60, v15
	v_mov_b32_e32 v17, 0
	s_add_co_i32 s47, s12, -1
	s_wait_kmcnt 0x0
	s_add_nc_u64 s[38:39], s[8:9], s[18:19]
	s_mul_f32 s2, s2, 0x4f7ffffe
	v_lshlrev_b32_e32 v22, 3, v1
	s_mov_b32 s48, 0
	v_cmp_gt_u32_e32 vcc_lo, 0x78, v1
	s_wait_alu 0xfffe
	s_cvt_u32_f32 s2, s2
	s_wait_alu 0xfffe
	s_delay_alu instid0(SALU_CYCLE_2)
	s_mul_i32 s3, s3, s2
	s_wait_alu 0xfffe
	s_mul_hi_u32 s0, s2, s3
	s_wait_alu 0xfffe
	s_add_co_i32 s49, s2, s0
	s_branch .LBB318_43
.LBB318_40:                             ;   in Loop: Header=BB318_43 Depth=1
	s_wait_alu 0xfffe
	s_or_b32 exec_lo, exec_lo, s25
	v_perm_b32 v43, v44, v43, 0x7060302
	v_perm_b32 v44, v46, v45, 0x7060302
	;; [unrolled: 1-line block ×4, first 2 shown]
	v_lshlrev_b32_e32 v28, 16, v28
	v_lshlrev_b32_e32 v12, 16, v12
	;; [unrolled: 1-line block ×6, first 2 shown]
	v_and_b32_e32 v48, 0xffff0000, v43
	v_lshlrev_b32_e32 v43, 16, v43
	v_lshlrev_b32_e32 v33, 16, v33
	;; [unrolled: 1-line block ×3, first 2 shown]
	s_delay_alu instid0(VALU_DEP_3)
	v_mul_f32_e32 v43, v43, v49
	v_mul_f32_e32 v47, v48, v47
	v_and_b32_e32 v49, 0xffff0000, v45
	v_lshlrev_b32_e32 v45, 16, v45
	v_and_b32_e32 v48, 0xffff0000, v44
	v_or_b32_e32 v53, 0x400000, v43
	v_bfe_u32 v52, v47, 16, 1
	v_cmp_u_f32_e64 s0, v47, v47
	v_dual_mul_f32 v28, v45, v28 :: v_dual_and_b32 v45, 0xffff0000, v46
	v_lshlrev_b32_e32 v46, 16, v46
	v_lshlrev_b32_e32 v44, 16, v44
	v_add3_u32 v52, v52, v47, 0x7fff
	v_dual_mul_f32 v33, v49, v33 :: v_dual_mul_f32 v48, v48, v50
	v_bfe_u32 v50, v43, 16, 1
	v_dual_mul_f32 v12, v45, v12 :: v_dual_mul_f32 v11, v46, v11
	v_mul_f32_e32 v44, v44, v51
	v_or_b32_e32 v51, 0x400000, v47
	v_bfe_u32 v54, v48, 16, 1
	v_add3_u32 v50, v50, v43, 0x7fff
	v_or_b32_e32 v45, 0x400000, v33
	s_wait_alu 0xf1ff
	v_cndmask_b32_e64 v47, v52, v51, s0
	v_cmp_u_f32_e64 s0, v43, v43
	v_or_b32_e32 v51, 0x400000, v48
	v_bfe_u32 v52, v44, 16, 1
	s_delay_alu instid0(VALU_DEP_4)
	v_and_b32_e32 v47, 0xffff0000, v47
	s_wait_alu 0xf1ff
	v_cndmask_b32_e64 v43, v50, v53, s0
	v_add3_u32 v50, v54, v48, 0x7fff
	v_cmp_u_f32_e64 s0, v48, v48
	v_add3_u32 v49, v52, v44, 0x7fff
	v_bfe_u32 v52, v11, 16, 1
	v_and_b32_e32 v43, 0xffff0000, v43
	s_wait_alu 0xf1ff
	v_cndmask_b32_e64 v48, v50, v51, s0
	v_or_b32_e32 v50, 0x400000, v44
	v_bfe_u32 v51, v33, 16, 1
	v_cmp_u_f32_e64 s0, v44, v44
	s_delay_alu instid0(VALU_DEP_4) | instskip(SKIP_1) | instid1(VALU_DEP_2)
	v_dual_add_f32 v43, v43, v47 :: v_dual_and_b32 v48, 0xffff0000, v48
	s_wait_alu 0xf1ff
	v_cndmask_b32_e64 v44, v49, v50, s0
	v_bfe_u32 v49, v28, 16, 1
	v_add3_u32 v50, v51, v33, 0x7fff
	v_cmp_u_f32_e64 s0, v33, v33
	v_bfe_u32 v51, v12, 16, 1
	v_and_b32_e32 v44, 0xffff0000, v44
	v_add3_u32 v46, v49, v28, 0x7fff
	v_or_b32_e32 v49, 0x400000, v28
	s_wait_alu 0xf1ff
	v_cndmask_b32_e64 v33, v50, v45, s0
	v_cmp_u_f32_e64 s0, v28, v28
	v_add3_u32 v45, v51, v12, 0x7fff
	v_or_b32_e32 v50, 0x400000, v12
	s_delay_alu instid0(VALU_DEP_4)
	v_dual_add_f32 v44, v44, v48 :: v_dual_and_b32 v33, 0xffff0000, v33
	s_wait_alu 0xf1ff
	v_cndmask_b32_e64 v28, v46, v49, s0
	v_add3_u32 v46, v52, v11, 0x7fff
	v_or_b32_e32 v49, 0x400000, v11
	v_cmp_u_f32_e64 s0, v11, v11
	s_delay_alu instid0(VALU_DEP_4) | instskip(SKIP_1) | instid1(VALU_DEP_2)
	v_dual_add_f32 v43, v44, v43 :: v_dual_and_b32 v28, 0xffff0000, v28
	s_wait_alu 0xf1ff
	v_cndmask_b32_e64 v11, v46, v49, s0
	v_cmp_u_f32_e64 s0, v12, v12
	s_delay_alu instid0(VALU_DEP_2) | instskip(SKIP_1) | instid1(VALU_DEP_2)
	v_dual_add_f32 v28, v28, v33 :: v_dual_and_b32 v11, 0xffff0000, v11
	s_wait_alu 0xf1ff
	v_cndmask_b32_e64 v12, v45, v50, s0
	s_delay_alu instid0(VALU_DEP_2) | instskip(NEXT) | instid1(VALU_DEP_2)
	v_add_f32_e32 v28, v28, v43
	v_and_b32_e32 v12, 0xffff0000, v12
	s_delay_alu instid0(VALU_DEP_1) | instskip(NEXT) | instid1(VALU_DEP_1)
	v_add_f32_e32 v11, v11, v12
	v_add_f32_e32 v11, v11, v28
	s_delay_alu instid0(VALU_DEP_1)
	v_add_f32_e32 v17, v17, v11
.LBB318_41:                             ;   in Loop: Header=BB318_43 Depth=1
	s_or_b32 exec_lo, exec_lo, s52
	v_bfe_u32 v11, v40, 16, 1
	v_or_b32_e32 v12, 0x400000, v40
	v_bfe_u32 v28, v39, 16, 1
	v_bfe_u32 v43, v38, 16, 1
	v_or_b32_e32 v33, 0x400000, v39
	v_add3_u32 v11, v11, v40, 0x7fff
	v_bfe_u32 v40, v37, 16, 1
	v_add3_u32 v28, v28, v39, 0x7fff
	v_add3_u32 v39, v43, v38, 0x7fff
	v_bfe_u32 v44, v42, 16, 1
	s_wait_alu 0xf1ff
	v_cndmask_b32_e64 v11, v11, v12, s23
	v_or_b32_e32 v12, 0x400000, v38
	v_add3_u32 v38, v40, v37, 0x7fff
	v_or_b32_e32 v37, 0x400000, v37
	v_cndmask_b32_e64 v28, v28, v33, s19
	v_bfe_u32 v43, v41, 16, 1
	v_cndmask_b32_e64 v12, v39, v12, s20
	v_add3_u32 v40, v44, v42, 0x7fff
	v_cndmask_b32_e64 v33, v38, v37, s21
	v_or_b32_e32 v42, 0x400000, v42
	v_add3_u32 v38, v43, v41, 0x7fff
	v_and_b32_e32 v12, 0xffff0000, v12
	v_or_b32_e32 v39, 0x400000, v41
	v_and_b32_e32 v33, 0xffff0000, v33
	v_and_b32_e32 v11, 0xffff0000, v11
	v_cndmask_b32_e64 v37, v40, v42, s24
	v_bfe_u32 v40, v36, 16, 1
	v_cndmask_b32_e64 v38, v38, v39, s22
	v_add_f32_e32 v12, v33, v12
	v_and_b32_e32 v28, 0xffff0000, v28
	v_bfe_u32 v39, v35, 16, 1
	v_add3_u32 v40, v40, v36, 0x7fff
	v_and_b32_e32 v33, 0xffff0000, v37
	v_or_b32_e32 v36, 0x400000, v36
	v_add_f32_e32 v11, v28, v11
	v_add3_u32 v37, v39, v35, 0x7fff
	v_or_b32_e32 v35, 0x400000, v35
	s_delay_alu instid0(VALU_DEP_3) | instskip(NEXT) | instid1(VALU_DEP_2)
	v_dual_add_f32 v11, v12, v11 :: v_dual_and_b32 v28, 0xffff0000, v38
	v_cndmask_b32_e64 v35, v37, v35, s16
	v_bfe_u32 v37, v13, 16, 1
	s_delay_alu instid0(VALU_DEP_2) | instskip(SKIP_3) | instid1(VALU_DEP_3)
	v_dual_add_f32 v12, v28, v33 :: v_dual_and_b32 v35, 0xffff0000, v35
	v_cndmask_b32_e64 v28, v40, v36, s18
	v_bfe_u32 v33, v34, 16, 1
	v_bfe_u32 v36, v32, 16, 1
	v_dual_add_f32 v11, v12, v11 :: v_dual_and_b32 v12, 0xffff0000, v28
	s_delay_alu instid0(VALU_DEP_3) | instskip(SKIP_1) | instid1(VALU_DEP_4)
	v_add3_u32 v28, v33, v34, 0x7fff
	v_or_b32_e32 v33, 0x400000, v34
	v_add3_u32 v34, v36, v32, 0x7fff
	v_or_b32_e32 v32, 0x400000, v32
	v_bfe_u32 v36, v31, 16, 1
	s_delay_alu instid0(VALU_DEP_4) | instskip(SKIP_1) | instid1(VALU_DEP_4)
	v_cndmask_b32_e64 v28, v28, v33, s14
	v_bfe_u32 v33, v30, 16, 1
	v_cndmask_b32_e64 v32, v34, v32, s17
	v_bfe_u32 v34, v29, 16, 1
	v_add3_u32 v36, v36, v31, 0x7fff
	v_or_b32_e32 v31, 0x400000, v31
	v_add3_u32 v33, v33, v30, 0x7fff
	v_or_b32_e32 v30, 0x400000, v30
	;; [unrolled: 2-line block ×3, first 2 shown]
	v_cndmask_b32_e64 v31, v36, v31, s15
	v_bfe_u32 v36, v27, 16, 1
	v_cndmask_b32_e64 v30, v33, v30, s12
	v_add3_u32 v33, v37, v13, 0x7fff
	v_cndmask_b32_e64 v29, v34, v29, s13
	v_or_b32_e32 v13, 0x400000, v13
	v_add3_u32 v34, v36, v27, 0x7fff
	v_bfe_u32 v36, v14, 16, 1
	v_and_b32_e32 v28, 0xffff0000, v28
	v_and_b32_e32 v29, 0xffff0000, v29
	v_cndmask_b32_e64 v13, v33, v13, s9
	v_and_b32_e32 v30, 0xffff0000, v30
	v_add3_u32 v36, v36, v14, 0x7fff
	v_or_b32_e32 v14, 0x400000, v14
	v_bfe_u32 v33, v2, 16, 1
	v_or_b32_e32 v27, 0x400000, v27
	s_delay_alu instid0(VALU_DEP_3) | instskip(NEXT) | instid1(VALU_DEP_2)
	v_cndmask_b32_e64 v14, v36, v14, s11
	v_cndmask_b32_e64 v27, v34, v27, s10
	s_delay_alu instid0(VALU_DEP_2) | instskip(SKIP_1) | instid1(VALU_DEP_1)
	v_and_b32_e32 v14, 0xffff0000, v14
	v_and_b32_e32 v13, 0xffff0000, v13
	v_add_f32_e32 v13, v13, v29
	v_bfe_u32 v29, v3, 16, 1
	s_delay_alu instid0(VALU_DEP_1) | instskip(SKIP_1) | instid1(VALU_DEP_1)
	v_add3_u32 v29, v29, v3, 0x7fff
	v_or_b32_e32 v3, 0x400000, v3
	v_cndmask_b32_e64 v3, v29, v3, s3
	v_add3_u32 v29, v33, v2, 0x7fff
	v_or_b32_e32 v2, 0x400000, v2
	s_delay_alu instid0(VALU_DEP_3) | instskip(SKIP_1) | instid1(VALU_DEP_3)
	v_and_b32_e32 v3, 0xffff0000, v3
	v_and_b32_e32 v32, 0xffff0000, v32
	v_cndmask_b32_e64 v2, v29, v2, s1
	s_delay_alu instid0(VALU_DEP_2) | instskip(SKIP_1) | instid1(VALU_DEP_3)
	v_dual_add_f32 v28, v32, v28 :: v_dual_and_b32 v31, 0xffff0000, v31
	v_bfe_u32 v32, v4, 16, 1
	v_and_b32_e32 v2, 0xffff0000, v2
	s_delay_alu instid0(VALU_DEP_3) | instskip(SKIP_1) | instid1(VALU_DEP_4)
	v_add_f32_e32 v30, v30, v31
	v_bfe_u32 v31, v8, 16, 1
	v_add3_u32 v32, v32, v4, 0x7fff
	v_or_b32_e32 v4, 0x400000, v4
	s_delay_alu instid0(VALU_DEP_4) | instskip(SKIP_4) | instid1(VALU_DEP_4)
	v_add_f32_e32 v28, v30, v28
	v_bfe_u32 v30, v7, 16, 1
	v_add3_u32 v31, v31, v8, 0x7fff
	v_or_b32_e32 v8, 0x400000, v8
	v_cndmask_b32_e64 v4, v32, v4, s6
	v_add3_u32 v30, v30, v7, 0x7fff
	v_or_b32_e32 v7, 0x400000, v7
	s_delay_alu instid0(VALU_DEP_4) | instskip(SKIP_1) | instid1(VALU_DEP_3)
	v_cndmask_b32_e64 v8, v31, v8, s7
	v_bfe_u32 v31, v5, 16, 1
	v_cndmask_b32_e64 v7, v30, v7, s8
	v_bfe_u32 v30, v6, 16, 1
	s_delay_alu instid0(VALU_DEP_3) | instskip(SKIP_1) | instid1(VALU_DEP_3)
	v_add3_u32 v31, v31, v5, 0x7fff
	v_or_b32_e32 v5, 0x400000, v5
	v_add3_u32 v30, v30, v6, 0x7fff
	v_or_b32_e32 v6, 0x400000, v6
	s_delay_alu instid0(VALU_DEP_3) | instskip(NEXT) | instid1(VALU_DEP_2)
	v_cndmask_b32_e64 v5, v31, v5, s5
	v_cndmask_b32_e64 v6, v30, v6, s4
	v_bfe_u32 v30, v1, 16, 1
	s_delay_alu instid0(VALU_DEP_3) | instskip(NEXT) | instid1(VALU_DEP_3)
	v_and_b32_e32 v5, 0xffff0000, v5
	v_and_b32_e32 v6, 0xffff0000, v6
	s_delay_alu instid0(VALU_DEP_3) | instskip(SKIP_1) | instid1(VALU_DEP_3)
	v_add3_u32 v30, v30, v1, 0x7fff
	v_or_b32_e32 v1, 0x400000, v1
	v_add_f32_e32 v3, v6, v3
	s_delay_alu instid0(VALU_DEP_2) | instskip(NEXT) | instid1(VALU_DEP_1)
	v_cndmask_b32_e64 v1, v30, v1, s2
	v_and_b32_e32 v1, 0xffff0000, v1
	s_delay_alu instid0(VALU_DEP_1) | instskip(NEXT) | instid1(VALU_DEP_1)
	v_dual_add_f32 v1, v1, v2 :: v_dual_and_b32 v4, 0xffff0000, v4
	v_dual_add_f32 v4, v4, v5 :: v_dual_and_b32 v7, 0xffff0000, v7
	v_dual_add_f32 v5, v12, v35 :: v_dual_and_b32 v8, 0xffff0000, v8
	s_delay_alu instid0(VALU_DEP_1) | instskip(SKIP_1) | instid1(VALU_DEP_2)
	v_dual_add_f32 v7, v7, v8 :: v_dual_add_f32 v2, v5, v11
	v_and_b32_e32 v6, 0xffff0000, v27
	v_add_f32_e32 v3, v3, v7
	v_add_f32_e32 v7, v13, v28
	s_delay_alu instid0(VALU_DEP_4) | instskip(NEXT) | instid1(VALU_DEP_3)
	v_add_f32_e32 v23, v23, v2
	v_dual_add_f32 v6, v14, v6 :: v_dual_add_f32 v3, v4, v3
	s_delay_alu instid0(VALU_DEP_1) | instskip(NEXT) | instid1(VALU_DEP_1)
	v_add_f32_e32 v4, v6, v7
	v_dual_add_f32 v1, v1, v3 :: v_dual_add_f32 v24, v24, v4
	s_delay_alu instid0(VALU_DEP_1)
	v_add_f32_e32 v18, v18, v1
.LBB318_42:                             ;   in Loop: Header=BB318_43 Depth=1
	s_wait_alu 0xfffe
	s_or_b32 exec_lo, exec_lo, s50
	v_add_nc_u32_e32 v21, 4, v21
	v_add_co_u32 v9, s1, v9, 16
	s_wait_alu 0xf1ff
	v_add_co_ci_u32_e64 v10, null, 0, v10, s1
	s_delay_alu instid0(VALU_DEP_3)
	v_cmp_le_i32_e64 s0, s43, v21
	v_add_nc_u32_e32 v20, 32, v20
	v_add_nc_u32_e32 v26, 0x80, v26
	s_or_b32 s48, s0, s48
	s_wait_alu 0xfffe
	s_and_not1_b32 exec_lo, exec_lo, s48
	s_cbranch_execz .LBB318_53
.LBB318_43:                             ; =>This Inner Loop Header: Depth=1
	v_sub_nc_u32_e32 v1, 0, v20
	s_delay_alu instid0(VALU_DEP_1) | instskip(NEXT) | instid1(VALU_DEP_1)
	v_max_i32_e32 v1, v20, v1
	v_mul_hi_u32 v2, v1, s30
	s_delay_alu instid0(VALU_DEP_1) | instskip(NEXT) | instid1(VALU_DEP_1)
	v_mul_lo_u32 v3, v2, s41
	v_sub_nc_u32_e32 v1, v1, v3
	v_add_nc_u32_e32 v3, 1, v2
	s_delay_alu instid0(VALU_DEP_2) | instskip(SKIP_2) | instid1(VALU_DEP_1)
	v_subrev_nc_u32_e32 v4, s41, v1
	v_cmp_le_u32_e64 s0, s41, v1
	s_wait_alu 0xf1ff
	v_cndmask_b32_e64 v2, v2, v3, s0
	s_delay_alu instid0(VALU_DEP_3) | instskip(SKIP_1) | instid1(VALU_DEP_3)
	v_cndmask_b32_e64 v1, v1, v4, s0
	v_ashrrev_i32_e32 v3, 31, v20
	v_add_nc_u32_e32 v4, 1, v2
	s_delay_alu instid0(VALU_DEP_3) | instskip(NEXT) | instid1(VALU_DEP_3)
	v_cmp_le_u32_e64 s0, s41, v1
	v_xor_b32_e32 v3, s31, v3
	s_wait_alu 0xf1ff
	s_delay_alu instid0(VALU_DEP_2) | instskip(NEXT) | instid1(VALU_DEP_1)
	v_cndmask_b32_e64 v1, v2, v4, s0
	v_xor_b32_e32 v1, v1, v3
	s_delay_alu instid0(VALU_DEP_1) | instskip(NEXT) | instid1(VALU_DEP_1)
	v_sub_nc_u32_e32 v1, v1, v3
	v_add_nc_u32_e32 v2, s42, v1
	v_cmp_lt_i32_e64 s1, s45, v1
	s_delay_alu instid0(VALU_DEP_2) | instskip(NEXT) | instid1(VALU_DEP_1)
	v_sub_nc_u32_e32 v3, 0, v2
	v_max_i32_e32 v3, v2, v3
	v_ashrrev_i32_e32 v2, 31, v2
	s_delay_alu instid0(VALU_DEP_2) | instskip(NEXT) | instid1(VALU_DEP_1)
	v_mul_hi_u32 v4, v3, s49
	v_mul_lo_u32 v4, v4, s44
	s_delay_alu instid0(VALU_DEP_1) | instskip(NEXT) | instid1(VALU_DEP_1)
	v_sub_nc_u32_e32 v3, v3, v4
	v_subrev_nc_u32_e32 v4, s44, v3
	v_cmp_le_u32_e64 s0, s44, v3
	s_wait_alu 0xf1ff
	s_delay_alu instid0(VALU_DEP_1) | instskip(NEXT) | instid1(VALU_DEP_1)
	v_cndmask_b32_e64 v3, v3, v4, s0
	v_subrev_nc_u32_e32 v4, s44, v3
	v_cmp_le_u32_e64 s0, s44, v3
	s_wait_alu 0xf1ff
	s_delay_alu instid0(VALU_DEP_1) | instskip(NEXT) | instid1(VALU_DEP_1)
	v_cndmask_b32_e64 v3, v3, v4, s0
	v_xor_b32_e32 v3, v3, v2
	s_delay_alu instid0(VALU_DEP_1) | instskip(NEXT) | instid1(VALU_DEP_1)
	v_sub_nc_u32_e32 v2, v3, v2
	v_cmp_eq_u32_e64 s0, 0, v2
	s_or_b32 s0, s0, s1
	s_wait_alu 0xfffe
	s_and_saveexec_b32 s50, s0
	s_cbranch_execz .LBB318_42
; %bb.44:                               ;   in Loop: Header=BB318_43 Depth=1
	global_load_b32 v1, v[9:10], off
	s_load_b32 s51, s[26:27], 0x0
	s_wait_loadcnt 0x0
	v_mad_co_i64_i32 v[11:12], null, v1, s46, s[38:39]
	s_delay_alu instid0(VALU_DEP_1) | instskip(SKIP_1) | instid1(VALU_DEP_2)
	v_add_co_u32 v13, s0, v11, v25
	s_wait_alu 0xf1ff
	v_add_co_ci_u32_e64 v14, null, 0, v12, s0
	v_cmp_eq_u32_e64 s0, s47, v21
	global_load_b64 v[27:28], v[13:14], off
	ds_load_2addr_b64 v[5:8], v26 offset1:1
	ds_load_2addr_b64 v[1:4], v26 offset0:2 offset1:3
	s_wait_loadcnt 0x0
	v_bfe_u32 v30, v27, 8, 8
	v_bfe_u32 v31, v27, 16, 8
	;; [unrolled: 1-line block ×4, first 2 shown]
	s_delay_alu instid0(VALU_DEP_4)
	v_cvt_f32_fp8_e32 v30, v30
	v_and_b32_e32 v29, 0xff, v27
	v_lshrrev_b32_e32 v27, 24, v27
	v_cvt_f32_fp8_e32 v31, v31
	v_cvt_f32_fp8_e32 v34, v34
	s_wait_kmcnt 0x0
	v_mul_f32_e32 v30, s51, v30
	v_cvt_f32_fp8_e32 v29, v29
	v_and_b32_e32 v32, 0xff, v28
	v_cvt_f32_fp8_e32 v27, v27
	v_lshrrev_b32_e32 v28, 24, v28
	v_bfe_u32 v37, v30, 16, 1
	v_mul_f32_e32 v29, s51, v29
	v_cvt_f32_fp8_e32 v32, v32
	v_mul_f32_e32 v31, s51, v31
	v_dual_mul_f32 v27, s51, v27 :: v_dual_mul_f32 v34, s51, v34
	s_delay_alu instid0(VALU_DEP_4)
	v_bfe_u32 v35, v29, 16, 1
	v_or_b32_e32 v36, 0x400000, v29
	v_cmp_u_f32_e64 s1, v29, v29
	v_mul_f32_e32 v32, s51, v32
	v_or_b32_e32 v38, 0x400000, v30
	v_add3_u32 v35, v35, v29, 0x7fff
	v_bfe_u32 v39, v31, 16, 1
	v_add3_u32 v37, v37, v30, 0x7fff
	v_cvt_f32_fp8_e32 v33, v33
	v_or_b32_e32 v40, 0x400000, v31
	s_wait_alu 0xf1ff
	v_cndmask_b32_e64 v29, v35, v36, s1
	v_cmp_u_f32_e64 s1, v30, v30
	v_bfe_u32 v41, v27, 16, 1
	v_add3_u32 v39, v39, v31, 0x7fff
	v_cvt_f32_fp8_e32 v28, v28
	v_mul_f32_e32 v33, s51, v33
	s_wait_alu 0xf1ff
	v_cndmask_b32_e64 v30, v37, v38, s1
	v_cmp_u_f32_e64 s1, v31, v31
	v_or_b32_e32 v42, 0x400000, v27
	v_bfe_u32 v43, v32, 16, 1
	v_add3_u32 v41, v41, v27, 0x7fff
	v_mul_f32_e32 v28, s51, v28
	s_wait_alu 0xf1ff
	v_cndmask_b32_e64 v31, v39, v40, s1
	v_cmp_u_f32_e64 s1, v27, v27
	v_or_b32_e32 v44, 0x400000, v32
	v_bfe_u32 v45, v33, 16, 1
	v_add3_u32 v43, v43, v32, 0x7fff
	v_or_b32_e32 v46, 0x400000, v33
	s_wait_alu 0xf1ff
	v_cndmask_b32_e64 v27, v41, v42, s1
	v_cmp_u_f32_e64 s1, v32, v32
	v_bfe_u32 v47, v34, 16, 1
	v_add3_u32 v45, v45, v33, 0x7fff
	v_or_b32_e32 v48, 0x400000, v34
	v_bfe_u32 v49, v28, 16, 1
	s_wait_alu 0xf1ff
	v_cndmask_b32_e64 v35, v43, v44, s1
	v_cmp_u_f32_e64 s1, v33, v33
	v_add3_u32 v47, v47, v34, 0x7fff
	v_or_b32_e32 v50, 0x400000, v28
	v_add3_u32 v49, v49, v28, 0x7fff
	v_lshrrev_b32_e32 v33, 16, v29
	s_wait_alu 0xf1ff
	v_cndmask_b32_e64 v36, v45, v46, s1
	v_cmp_u_f32_e64 s1, v34, v34
	v_lshrrev_b32_e32 v34, 16, v30
	v_lshrrev_b32_e32 v31, 16, v31
	;; [unrolled: 1-line block ×4, first 2 shown]
	s_wait_alu 0xf1ff
	v_cndmask_b32_e64 v37, v47, v48, s1
	v_cmp_u_f32_e64 s1, v28, v28
	v_lshrrev_b32_e32 v30, 16, v36
	s_delay_alu instid0(VALU_DEP_3) | instskip(SKIP_1) | instid1(VALU_DEP_3)
	v_lshrrev_b32_e32 v27, 16, v37
	s_wait_alu 0xf1ff
	v_cndmask_b32_e64 v28, v49, v50, s1
	s_delay_alu instid0(VALU_DEP_1)
	v_lshrrev_b32_e32 v28, 16, v28
	s_and_saveexec_b32 s2, s0
	s_cbranch_execz .LBB318_46
; %bb.45:                               ;   in Loop: Header=BB318_43 Depth=1
	v_add_nc_u32_e32 v35, 1, v20
	v_cmp_gt_i32_e64 s1, s40, v20
	v_add_nc_u32_e32 v36, 2, v20
	v_add_nc_u32_e32 v37, 3, v20
	s_wait_alu 0xf1ff
	s_delay_alu instid0(VALU_DEP_3) | instskip(SKIP_3) | instid1(VALU_DEP_2)
	v_cndmask_b32_e64 v33, 0, v33, s1
	v_cmp_gt_i32_e64 s1, s40, v35
	v_add_nc_u32_e32 v35, 4, v20
	s_wait_alu 0xf1ff
	v_cndmask_b32_e64 v34, 0, v34, s1
	v_cmp_gt_i32_e64 s1, s40, v36
	v_add_nc_u32_e32 v36, 5, v20
	s_wait_alu 0xf1ff
	s_delay_alu instid0(VALU_DEP_2) | instskip(SKIP_3) | instid1(VALU_DEP_2)
	v_cndmask_b32_e64 v31, 0, v31, s1
	v_cmp_gt_i32_e64 s1, s40, v37
	v_add_nc_u32_e32 v37, 6, v20
	s_wait_alu 0xf1ff
	v_cndmask_b32_e64 v32, 0, v32, s1
	v_cmp_gt_i32_e64 s1, s40, v35
	v_add_nc_u32_e32 v35, 7, v20
	s_wait_alu 0xf1ff
	s_delay_alu instid0(VALU_DEP_2) | instskip(SKIP_2) | instid1(VALU_DEP_1)
	v_cndmask_b32_e64 v29, 0, v29, s1
	v_cmp_gt_i32_e64 s1, s40, v36
	s_wait_alu 0xf1ff
	v_cndmask_b32_e64 v30, 0, v30, s1
	v_cmp_gt_i32_e64 s1, s40, v37
	s_wait_alu 0xf1ff
	s_delay_alu instid0(VALU_DEP_1) | instskip(SKIP_2) | instid1(VALU_DEP_1)
	v_cndmask_b32_e64 v27, 0, v27, s1
	v_cmp_gt_i32_e64 s1, s40, v35
	s_wait_alu 0xf1ff
	v_cndmask_b32_e64 v28, 0, v28, s1
.LBB318_46:                             ;   in Loop: Header=BB318_43 Depth=1
	s_wait_alu 0xfffe
	s_or_b32 exec_lo, exec_lo, s2
	global_load_b64 v[35:36], v[13:14], off offset:256
	s_wait_loadcnt 0x0
	v_bfe_u32 v38, v35, 8, 8
	v_bfe_u32 v39, v35, 16, 8
	;; [unrolled: 1-line block ×4, first 2 shown]
	s_delay_alu instid0(VALU_DEP_4)
	v_cvt_f32_fp8_e32 v38, v38
	v_and_b32_e32 v37, 0xff, v35
	v_lshrrev_b32_e32 v35, 24, v35
	v_cvt_f32_fp8_e32 v39, v39
	v_cvt_f32_fp8_e32 v42, v42
	v_mul_f32_e32 v38, s51, v38
	v_cvt_f32_fp8_e32 v37, v37
	v_and_b32_e32 v40, 0xff, v36
	v_cvt_f32_fp8_e32 v35, v35
	v_lshrrev_b32_e32 v36, 24, v36
	v_bfe_u32 v45, v38, 16, 1
	v_mul_f32_e32 v37, s51, v37
	v_cvt_f32_fp8_e32 v40, v40
	v_mul_f32_e32 v39, s51, v39
	v_dual_mul_f32 v35, s51, v35 :: v_dual_mul_f32 v42, s51, v42
	s_delay_alu instid0(VALU_DEP_4)
	v_bfe_u32 v43, v37, 16, 1
	v_or_b32_e32 v44, 0x400000, v37
	v_cmp_u_f32_e64 s1, v37, v37
	v_mul_f32_e32 v40, s51, v40
	v_or_b32_e32 v46, 0x400000, v38
	v_add3_u32 v43, v43, v37, 0x7fff
	v_bfe_u32 v47, v39, 16, 1
	v_add3_u32 v45, v45, v38, 0x7fff
	v_cvt_f32_fp8_e32 v41, v41
	v_or_b32_e32 v48, 0x400000, v39
	s_wait_alu 0xf1ff
	v_cndmask_b32_e64 v37, v43, v44, s1
	v_cmp_u_f32_e64 s1, v38, v38
	v_bfe_u32 v49, v35, 16, 1
	v_add3_u32 v47, v47, v39, 0x7fff
	v_cvt_f32_fp8_e32 v36, v36
	v_mul_f32_e32 v41, s51, v41
	s_wait_alu 0xf1ff
	v_cndmask_b32_e64 v38, v45, v46, s1
	v_cmp_u_f32_e64 s1, v39, v39
	v_or_b32_e32 v50, 0x400000, v35
	v_bfe_u32 v51, v40, 16, 1
	v_add3_u32 v49, v49, v35, 0x7fff
	v_mul_f32_e32 v36, s51, v36
	s_wait_alu 0xf1ff
	v_cndmask_b32_e64 v43, v47, v48, s1
	v_cmp_u_f32_e64 s1, v35, v35
	v_or_b32_e32 v52, 0x400000, v40
	v_bfe_u32 v53, v41, 16, 1
	v_add3_u32 v51, v51, v40, 0x7fff
	v_or_b32_e32 v54, 0x400000, v41
	s_wait_alu 0xf1ff
	v_cndmask_b32_e64 v35, v49, v50, s1
	v_cmp_u_f32_e64 s1, v40, v40
	v_bfe_u32 v55, v42, 16, 1
	v_add3_u32 v53, v53, v41, 0x7fff
	v_or_b32_e32 v56, 0x400000, v42
	v_bfe_u32 v57, v36, 16, 1
	s_wait_alu 0xf1ff
	v_cndmask_b32_e64 v44, v51, v52, s1
	v_cmp_u_f32_e64 s1, v41, v41
	v_add3_u32 v55, v55, v42, 0x7fff
	v_or_b32_e32 v58, 0x400000, v36
	v_add3_u32 v57, v57, v36, 0x7fff
	v_lshrrev_b32_e32 v39, 16, v37
	s_wait_alu 0xf1ff
	v_cndmask_b32_e64 v45, v53, v54, s1
	v_cmp_u_f32_e64 s1, v42, v42
	v_lshrrev_b32_e32 v40, 16, v38
	v_lshrrev_b32_e32 v37, 16, v43
	;; [unrolled: 1-line block ×4, first 2 shown]
	s_wait_alu 0xf1ff
	v_cndmask_b32_e64 v46, v55, v56, s1
	v_cmp_u_f32_e64 s1, v36, v36
	v_lshrrev_b32_e32 v42, 16, v45
	s_delay_alu instid0(VALU_DEP_3) | instskip(SKIP_1) | instid1(VALU_DEP_3)
	v_lshrrev_b32_e32 v35, 16, v46
	s_wait_alu 0xf1ff
	v_cndmask_b32_e64 v36, v57, v58, s1
	s_delay_alu instid0(VALU_DEP_1)
	v_lshrrev_b32_e32 v36, 16, v36
	s_and_saveexec_b32 s2, s0
	s_cbranch_execz .LBB318_48
; %bb.47:                               ;   in Loop: Header=BB318_43 Depth=1
	v_add_nc_u32_e32 v43, 1, v20
	v_cmp_gt_i32_e64 s1, s40, v20
	v_add_nc_u32_e32 v44, 2, v20
	v_add_nc_u32_e32 v45, 3, v20
	s_wait_alu 0xf1ff
	s_delay_alu instid0(VALU_DEP_3) | instskip(SKIP_3) | instid1(VALU_DEP_2)
	v_cndmask_b32_e64 v39, 0, v39, s1
	v_cmp_gt_i32_e64 s1, s40, v43
	v_add_nc_u32_e32 v43, 4, v20
	s_wait_alu 0xf1ff
	v_cndmask_b32_e64 v40, 0, v40, s1
	v_cmp_gt_i32_e64 s1, s40, v44
	v_add_nc_u32_e32 v44, 5, v20
	s_wait_alu 0xf1ff
	s_delay_alu instid0(VALU_DEP_2) | instskip(SKIP_3) | instid1(VALU_DEP_2)
	v_cndmask_b32_e64 v37, 0, v37, s1
	v_cmp_gt_i32_e64 s1, s40, v45
	v_add_nc_u32_e32 v45, 6, v20
	s_wait_alu 0xf1ff
	v_cndmask_b32_e64 v38, 0, v38, s1
	v_cmp_gt_i32_e64 s1, s40, v43
	v_add_nc_u32_e32 v43, 7, v20
	s_wait_alu 0xf1ff
	s_delay_alu instid0(VALU_DEP_2) | instskip(SKIP_2) | instid1(VALU_DEP_1)
	v_cndmask_b32_e64 v41, 0, v41, s1
	v_cmp_gt_i32_e64 s1, s40, v44
	s_wait_alu 0xf1ff
	v_cndmask_b32_e64 v42, 0, v42, s1
	v_cmp_gt_i32_e64 s1, s40, v45
	s_wait_alu 0xf1ff
	s_delay_alu instid0(VALU_DEP_1) | instskip(SKIP_2) | instid1(VALU_DEP_1)
	v_cndmask_b32_e64 v35, 0, v35, s1
	v_cmp_gt_i32_e64 s1, s40, v43
	s_wait_alu 0xf1ff
	v_cndmask_b32_e64 v36, 0, v36, s1
.LBB318_48:                             ;   in Loop: Header=BB318_43 Depth=1
	s_wait_alu 0xfffe
	s_or_b32 exec_lo, exec_lo, s2
	global_load_b64 v[13:14], v[13:14], off offset:512
	s_wait_loadcnt 0x0
	v_bfe_u32 v44, v13, 8, 8
	v_bfe_u32 v45, v13, 16, 8
	;; [unrolled: 1-line block ×4, first 2 shown]
	s_delay_alu instid0(VALU_DEP_4)
	v_cvt_f32_fp8_e32 v44, v44
	v_and_b32_e32 v43, 0xff, v13
	v_lshrrev_b32_e32 v13, 24, v13
	v_cvt_f32_fp8_e32 v45, v45
	v_cvt_f32_fp8_e32 v48, v48
	v_mul_f32_e32 v44, s51, v44
	v_cvt_f32_fp8_e32 v43, v43
	v_and_b32_e32 v46, 0xff, v14
	v_cvt_f32_fp8_e32 v13, v13
	v_lshrrev_b32_e32 v14, 24, v14
	v_bfe_u32 v51, v44, 16, 1
	v_mul_f32_e32 v43, s51, v43
	v_cvt_f32_fp8_e32 v46, v46
	v_mul_f32_e32 v45, s51, v45
	v_dual_mul_f32 v13, s51, v13 :: v_dual_mul_f32 v48, s51, v48
	s_delay_alu instid0(VALU_DEP_4)
	v_bfe_u32 v49, v43, 16, 1
	v_or_b32_e32 v50, 0x400000, v43
	v_cmp_u_f32_e64 s1, v43, v43
	v_mul_f32_e32 v46, s51, v46
	v_or_b32_e32 v52, 0x400000, v44
	v_add3_u32 v49, v49, v43, 0x7fff
	v_bfe_u32 v53, v45, 16, 1
	v_add3_u32 v51, v51, v44, 0x7fff
	v_cvt_f32_fp8_e32 v47, v47
	v_or_b32_e32 v54, 0x400000, v45
	s_wait_alu 0xf1ff
	v_cndmask_b32_e64 v43, v49, v50, s1
	v_cmp_u_f32_e64 s1, v44, v44
	v_bfe_u32 v55, v13, 16, 1
	v_add3_u32 v53, v53, v45, 0x7fff
	v_cvt_f32_fp8_e32 v14, v14
	v_mul_f32_e32 v47, s51, v47
	s_wait_alu 0xf1ff
	v_cndmask_b32_e64 v44, v51, v52, s1
	v_cmp_u_f32_e64 s1, v45, v45
	v_or_b32_e32 v56, 0x400000, v13
	v_bfe_u32 v57, v46, 16, 1
	v_add3_u32 v55, v55, v13, 0x7fff
	v_mul_f32_e32 v14, s51, v14
	s_wait_alu 0xf1ff
	v_cndmask_b32_e64 v45, v53, v54, s1
	v_cmp_u_f32_e64 s1, v13, v13
	v_or_b32_e32 v58, 0x400000, v46
	v_bfe_u32 v59, v47, 16, 1
	v_add3_u32 v57, v57, v46, 0x7fff
	v_or_b32_e32 v60, 0x400000, v47
	s_wait_alu 0xf1ff
	v_cndmask_b32_e64 v13, v55, v56, s1
	v_cmp_u_f32_e64 s1, v46, v46
	v_bfe_u32 v61, v48, 16, 1
	v_add3_u32 v59, v59, v47, 0x7fff
	v_or_b32_e32 v62, 0x400000, v48
	v_bfe_u32 v63, v14, 16, 1
	s_wait_alu 0xf1ff
	v_cndmask_b32_e64 v46, v57, v58, s1
	v_cmp_u_f32_e64 s1, v47, v47
	v_add3_u32 v61, v61, v48, 0x7fff
	v_or_b32_e32 v64, 0x400000, v14
	v_add3_u32 v63, v63, v14, 0x7fff
	v_lshrrev_b32_e32 v56, 16, v43
	s_wait_alu 0xf1ff
	v_cndmask_b32_e64 v47, v59, v60, s1
	v_cmp_u_f32_e64 s1, v48, v48
	v_lshrrev_b32_e32 v57, 16, v44
	v_lshrrev_b32_e32 v55, 16, v45
	;; [unrolled: 1-line block ×4, first 2 shown]
	s_wait_alu 0xf1ff
	v_cndmask_b32_e64 v48, v61, v62, s1
	v_cmp_u_f32_e64 s1, v14, v14
	v_lshrrev_b32_e32 v14, 16, v13
	s_delay_alu instid0(VALU_DEP_3) | instskip(SKIP_1) | instid1(VALU_DEP_3)
	v_lshrrev_b32_e32 v51, 16, v48
	s_wait_alu 0xf1ff
	v_cndmask_b32_e64 v49, v63, v64, s1
	s_delay_alu instid0(VALU_DEP_1)
	v_lshrrev_b32_e32 v52, 16, v49
	s_and_saveexec_b32 s2, s0
	s_cbranch_execz .LBB318_50
; %bb.49:                               ;   in Loop: Header=BB318_43 Depth=1
	v_add_nc_u32_e32 v13, 1, v20
	v_cmp_gt_i32_e64 s1, s40, v20
	v_add_nc_u32_e32 v43, 2, v20
	v_add_nc_u32_e32 v44, 3, v20
	s_wait_alu 0xf1ff
	s_delay_alu instid0(VALU_DEP_3) | instskip(SKIP_3) | instid1(VALU_DEP_2)
	v_cndmask_b32_e64 v56, 0, v56, s1
	v_cmp_gt_i32_e64 s1, s40, v13
	v_add_nc_u32_e32 v13, 4, v20
	s_wait_alu 0xf1ff
	v_cndmask_b32_e64 v57, 0, v57, s1
	v_cmp_gt_i32_e64 s1, s40, v43
	v_add_nc_u32_e32 v43, 5, v20
	s_wait_alu 0xf1ff
	s_delay_alu instid0(VALU_DEP_2) | instskip(SKIP_3) | instid1(VALU_DEP_2)
	v_cndmask_b32_e64 v55, 0, v55, s1
	v_cmp_gt_i32_e64 s1, s40, v44
	v_add_nc_u32_e32 v44, 6, v20
	s_wait_alu 0xf1ff
	v_cndmask_b32_e64 v14, 0, v14, s1
	v_cmp_gt_i32_e64 s1, s40, v13
	v_add_nc_u32_e32 v13, 7, v20
	s_wait_alu 0xf1ff
	s_delay_alu instid0(VALU_DEP_2) | instskip(SKIP_2) | instid1(VALU_DEP_1)
	v_cndmask_b32_e64 v53, 0, v53, s1
	v_cmp_gt_i32_e64 s1, s40, v43
	s_wait_alu 0xf1ff
	v_cndmask_b32_e64 v54, 0, v54, s1
	v_cmp_gt_i32_e64 s1, s40, v44
	s_wait_alu 0xf1ff
	s_delay_alu instid0(VALU_DEP_1) | instskip(SKIP_2) | instid1(VALU_DEP_1)
	v_cndmask_b32_e64 v51, 0, v51, s1
	v_cmp_gt_i32_e64 s1, s40, v13
	s_wait_alu 0xf1ff
	v_cndmask_b32_e64 v52, 0, v52, s1
.LBB318_50:                             ;   in Loop: Header=BB318_43 Depth=1
	s_wait_alu 0xfffe
	s_or_b32 exec_lo, exec_lo, s2
	s_wait_dscnt 0x1
	v_bfe_u32 v13, v5, 16, 1
	v_or_b32_e32 v43, 0x400000, v5
	v_bfe_u32 v44, v6, 16, 1
	v_cmp_u_f32_e64 s1, v5, v5
	v_bfe_u32 v45, v7, 16, 1
	v_add3_u32 v13, v13, v5, 0x7fff
	v_or_b32_e32 v46, 0x400000, v6
	v_add3_u32 v44, v44, v6, 0x7fff
	v_or_b32_e32 v47, 0x400000, v7
	v_add3_u32 v45, v45, v7, 0x7fff
	s_wait_alu 0xf1ff
	v_cndmask_b32_e64 v43, v13, v43, s1
	v_cmp_u_f32_e64 s1, v6, v6
	v_bfe_u32 v5, v8, 16, 1
	s_wait_dscnt 0x0
	v_bfe_u32 v6, v1, 16, 1
	v_or_b32_e32 v13, 0x400000, v1
	v_bfe_u32 v48, v2, 16, 1
	s_wait_alu 0xf1ff
	v_cndmask_b32_e64 v44, v44, v46, s1
	v_cmp_u_f32_e64 s1, v7, v7
	v_add3_u32 v5, v5, v8, 0x7fff
	v_or_b32_e32 v7, 0x400000, v8
	v_add3_u32 v6, v6, v1, 0x7fff
	v_lshlrev_b32_e32 v51, 16, v51
	s_wait_alu 0xf1ff
	v_cndmask_b32_e64 v45, v45, v47, s1
	v_cmp_u_f32_e64 s1, v8, v8
	v_bfe_u32 v8, v4, 16, 1
	s_wait_alu 0xf1ff
	s_delay_alu instid0(VALU_DEP_2)
	v_cndmask_b32_e64 v46, v5, v7, s1
	v_cmp_u_f32_e64 s1, v1, v1
	v_bfe_u32 v5, v3, 16, 1
	v_add3_u32 v1, v48, v2, 0x7fff
	v_or_b32_e32 v7, 0x400000, v3
	s_wait_alu 0xf1ff
	v_cndmask_b32_e64 v47, v6, v13, s1
	v_or_b32_e32 v6, 0x400000, v2
	v_cmp_u_f32_e64 s1, v2, v2
	v_add3_u32 v5, v5, v3, 0x7fff
	v_or_b32_e32 v13, 0x400000, v4
	s_wait_alu 0xf1ff
	s_delay_alu instid0(VALU_DEP_3) | instskip(SKIP_3) | instid1(VALU_DEP_2)
	v_cndmask_b32_e64 v48, v1, v6, s1
	v_cmp_u_f32_e64 s1, v3, v3
	v_add3_u32 v1, v8, v4, 0x7fff
	s_wait_alu 0xf1ff
	v_cndmask_b32_e64 v49, v5, v7, s1
	v_cmp_u_f32_e64 s1, v4, v4
	v_lshlrev_b32_e32 v7, 16, v38
	s_delay_alu instid0(VALU_DEP_3) | instskip(SKIP_1) | instid1(VALU_DEP_3)
	v_and_b32_e32 v61, 0xffff0000, v49
	s_wait_alu 0xf1ff
	v_cndmask_b32_e64 v50, v1, v13, s1
	s_delay_alu instid0(VALU_DEP_1)
	v_and_b32_e32 v60, 0xffff0000, v50
	v_and_b32_e32 v58, 0xffff0000, v46
	;; [unrolled: 1-line block ×3, first 2 shown]
	v_lshlrev_b32_e32 v8, 16, v37
	v_lshlrev_b32_e32 v13, 16, v34
	v_and_b32_e32 v1, 0xffff0000, v48
	v_and_b32_e32 v59, 0xffff0000, v45
	v_lshlrev_b32_e32 v6, 16, v39
	v_dual_mul_f32 v38, v58, v7 :: v_dual_lshlrev_b32 v3, 16, v40
	s_delay_alu instid0(VALU_DEP_3) | instskip(SKIP_2) | instid1(VALU_DEP_4)
	v_dual_mul_f32 v37, v59, v8 :: v_dual_lshlrev_b32 v8, 16, v35
	v_and_b32_e32 v5, 0xffff0000, v43
	v_lshlrev_b32_e32 v7, 16, v36
	v_cmp_u_f32_e64 s20, v38, v38
	s_delay_alu instid0(VALU_DEP_4)
	v_cmp_u_f32_e64 s21, v37, v37
	v_mul_f32_e32 v36, v61, v8
	v_dual_mul_f32 v39, v5, v6 :: v_dual_and_b32 v2, 0xffff0000, v44
	v_mul_f32_e32 v35, v60, v7
	v_lshlrev_b32_e32 v7, 16, v31
	v_lshlrev_b32_e32 v8, 16, v30
	s_delay_alu instid0(VALU_DEP_4)
	v_dual_mul_f32 v40, v2, v3 :: v_dual_lshlrev_b32 v3, 16, v42
	v_mul_f32_e32 v34, v2, v13
	v_lshlrev_b32_e32 v6, 16, v41
	v_lshlrev_b32_e32 v13, 16, v29
	v_mul_f32_e32 v29, v1, v8
	v_mul_f32_e32 v42, v1, v3
	s_delay_alu instid0(VALU_DEP_4)
	v_dual_mul_f32 v30, v59, v7 :: v_dual_mul_f32 v41, v4, v6
	v_lshlrev_b32_e32 v6, 16, v32
	v_lshlrev_b32_e32 v7, 16, v57
	v_cmp_u_f32_e64 s23, v40, v40
	v_cmp_u_f32_e64 s19, v39, v39
	;; [unrolled: 1-line block ×3, first 2 shown]
	v_dual_mul_f32 v31, v58, v6 :: v_dual_lshlrev_b32 v6, 16, v27
	v_dual_mul_f32 v8, v2, v7 :: v_dual_lshlrev_b32 v3, 16, v33
	v_mul_f32_e32 v13, v4, v13
	v_lshlrev_b32_e32 v33, 16, v14
	s_delay_alu instid0(VALU_DEP_4) | instskip(SKIP_4) | instid1(VALU_DEP_4)
	v_mul_f32_e32 v14, v61, v6
	v_lshlrev_b32_e32 v2, 16, v55
	v_dual_mul_f32 v32, v5, v3 :: v_dual_lshlrev_b32 v3, 16, v28
	v_lshlrev_b32_e32 v28, 16, v56
	v_cmp_u_f32_e64 s22, v41, v41
	v_mul_f32_e32 v6, v59, v2
	v_cmp_u_f32_e64 s16, v35, v35
	v_mul_f32_e32 v27, v60, v3
	v_mul_f32_e32 v7, v5, v28
	;; [unrolled: 1-line block ×3, first 2 shown]
	v_lshlrev_b32_e32 v5, 16, v54
	v_lshlrev_b32_e32 v28, 16, v53
	;; [unrolled: 1-line block ×3, first 2 shown]
	v_cmp_u_f32_e64 s18, v36, v36
	v_cmp_u_f32_e64 s14, v34, v34
	s_delay_alu instid0(VALU_DEP_4) | instskip(NEXT) | instid1(VALU_DEP_4)
	v_dual_mul_f32 v5, v1, v5 :: v_dual_mul_f32 v4, v4, v28
	v_dual_mul_f32 v2, v60, v33 :: v_dual_mul_f32 v1, v61, v51
	v_cmp_u_f32_e64 s17, v32, v32
	v_cmp_u_f32_e64 s15, v31, v31
	;; [unrolled: 1-line block ×15, first 2 shown]
	s_and_saveexec_b32 s52, vcc_lo
	s_cbranch_execz .LBB318_41
; %bb.51:                               ;   in Loop: Header=BB318_43 Depth=1
	v_add_co_u32 v11, s25, v11, v22
	s_wait_alu 0xf1ff
	v_add_co_ci_u32_e64 v12, null, 0, v12, s25
	global_load_b64 v[11:12], v[11:12], off
	s_wait_loadcnt 0x0
	v_bfe_u32 v33, v11, 8, 8
	v_bfe_u32 v51, v11, 16, 8
	;; [unrolled: 1-line block ×4, first 2 shown]
	s_delay_alu instid0(VALU_DEP_4) | instskip(SKIP_3) | instid1(VALU_DEP_4)
	v_cvt_f32_fp8_e32 v33, v33
	v_and_b32_e32 v28, 0xff, v11
	v_lshrrev_b32_e32 v11, 24, v11
	v_cvt_f32_fp8_e32 v51, v51
	v_dual_mul_f32 v33, s51, v33 :: v_dual_and_b32 v52, 0xff, v12
	s_delay_alu instid0(VALU_DEP_4) | instskip(NEXT) | instid1(VALU_DEP_4)
	v_cvt_f32_fp8_e32 v28, v28
	v_cvt_f32_fp8_e32 v11, v11
	s_delay_alu instid0(VALU_DEP_4) | instskip(NEXT) | instid1(VALU_DEP_4)
	v_mul_f32_e32 v51, s51, v51
	v_cvt_f32_fp8_e32 v52, v52
	v_bfe_u32 v57, v33, 16, 1
	s_delay_alu instid0(VALU_DEP_4) | instskip(SKIP_2) | instid1(VALU_DEP_4)
	v_dual_mul_f32 v28, s51, v28 :: v_dual_mul_f32 v11, s51, v11
	v_or_b32_e32 v58, 0x400000, v33
	v_bfe_u32 v59, v51, 16, 1
	v_add3_u32 v57, v57, v33, 0x7fff
	s_delay_alu instid0(VALU_DEP_4)
	v_bfe_u32 v55, v28, 16, 1
	v_or_b32_e32 v56, 0x400000, v28
	v_cmp_u_f32_e64 s25, v28, v28
	v_cvt_f32_fp8_e32 v53, v53
	v_mul_f32_e32 v52, s51, v52
	v_add3_u32 v55, v55, v28, 0x7fff
	v_or_b32_e32 v60, 0x400000, v51
	v_bfe_u32 v61, v11, 16, 1
	v_add3_u32 v59, v59, v51, 0x7fff
	v_lshrrev_b32_e32 v12, 24, v12
	s_wait_alu 0xf1ff
	v_cndmask_b32_e64 v28, v55, v56, s25
	v_cmp_u_f32_e64 s25, v33, v33
	v_cvt_f32_fp8_e32 v54, v54
	v_mul_f32_e32 v53, s51, v53
	v_or_b32_e32 v62, 0x400000, v11
	v_bfe_u32 v63, v52, 16, 1
	s_wait_alu 0xf1ff
	v_cndmask_b32_e64 v33, v57, v58, s25
	v_cmp_u_f32_e64 s25, v51, v51
	v_add3_u32 v61, v61, v11, 0x7fff
	v_cvt_f32_fp8_e32 v12, v12
	v_mul_f32_e32 v54, s51, v54
	v_or_b32_e32 v64, 0x400000, v52
	s_wait_alu 0xf1ff
	v_cndmask_b32_e64 v51, v59, v60, s25
	v_cmp_u_f32_e64 s25, v11, v11
	v_bfe_u32 v65, v53, 16, 1
	v_add3_u32 v63, v63, v52, 0x7fff
	v_mul_f32_e32 v12, s51, v12
	v_or_b32_e32 v66, 0x400000, v53
	s_wait_alu 0xf1ff
	v_cndmask_b32_e64 v11, v61, v62, s25
	v_cmp_u_f32_e64 s25, v52, v52
	v_bfe_u32 v67, v54, 16, 1
	v_add3_u32 v65, v65, v53, 0x7fff
	v_or_b32_e32 v68, 0x400000, v54
	v_bfe_u32 v69, v12, 16, 1
	s_wait_alu 0xf1ff
	v_cndmask_b32_e64 v55, v63, v64, s25
	v_cmp_u_f32_e64 s25, v53, v53
	v_add3_u32 v67, v67, v54, 0x7fff
	v_or_b32_e32 v70, 0x400000, v12
	v_add3_u32 v69, v69, v12, 0x7fff
	v_lshrrev_b32_e32 v53, 16, v28
	s_wait_alu 0xf1ff
	v_cndmask_b32_e64 v56, v65, v66, s25
	v_cmp_u_f32_e64 s25, v54, v54
	v_lshrrev_b32_e32 v54, 16, v33
	v_lshrrev_b32_e32 v51, 16, v51
	;; [unrolled: 1-line block ×4, first 2 shown]
	s_wait_alu 0xf1ff
	v_cndmask_b32_e64 v57, v67, v68, s25
	v_cmp_u_f32_e64 s25, v12, v12
	v_lshrrev_b32_e32 v33, 16, v56
	s_delay_alu instid0(VALU_DEP_3) | instskip(SKIP_1) | instid1(VALU_DEP_3)
	v_lshrrev_b32_e32 v11, 16, v57
	s_wait_alu 0xf1ff
	v_cndmask_b32_e64 v12, v69, v70, s25
	s_delay_alu instid0(VALU_DEP_1)
	v_lshrrev_b32_e32 v12, 16, v12
	s_and_saveexec_b32 s25, s0
	s_cbranch_execz .LBB318_40
; %bb.52:                               ;   in Loop: Header=BB318_43 Depth=1
	v_add_nc_u32_e32 v55, 1, v20
	v_cmp_gt_i32_e64 s0, s40, v20
	v_add_nc_u32_e32 v56, 2, v20
	v_add_nc_u32_e32 v57, 3, v20
	s_wait_alu 0xf1ff
	s_delay_alu instid0(VALU_DEP_3) | instskip(SKIP_3) | instid1(VALU_DEP_2)
	v_cndmask_b32_e64 v53, 0, v53, s0
	v_cmp_gt_i32_e64 s0, s40, v55
	v_add_nc_u32_e32 v55, 4, v20
	s_wait_alu 0xf1ff
	v_cndmask_b32_e64 v54, 0, v54, s0
	v_cmp_gt_i32_e64 s0, s40, v56
	v_add_nc_u32_e32 v56, 5, v20
	s_wait_alu 0xf1ff
	s_delay_alu instid0(VALU_DEP_2) | instskip(SKIP_3) | instid1(VALU_DEP_2)
	v_cndmask_b32_e64 v51, 0, v51, s0
	v_cmp_gt_i32_e64 s0, s40, v57
	v_add_nc_u32_e32 v57, 6, v20
	s_wait_alu 0xf1ff
	v_cndmask_b32_e64 v52, 0, v52, s0
	v_cmp_gt_i32_e64 s0, s40, v55
	v_add_nc_u32_e32 v55, 7, v20
	s_wait_alu 0xf1ff
	s_delay_alu instid0(VALU_DEP_2) | instskip(SKIP_2) | instid1(VALU_DEP_1)
	v_cndmask_b32_e64 v28, 0, v28, s0
	v_cmp_gt_i32_e64 s0, s40, v56
	s_wait_alu 0xf1ff
	v_cndmask_b32_e64 v33, 0, v33, s0
	v_cmp_gt_i32_e64 s0, s40, v57
	s_wait_alu 0xf1ff
	s_delay_alu instid0(VALU_DEP_1) | instskip(SKIP_2) | instid1(VALU_DEP_1)
	v_cndmask_b32_e64 v11, 0, v11, s0
	v_cmp_gt_i32_e64 s0, s40, v55
	s_wait_alu 0xf1ff
	v_cndmask_b32_e64 v12, 0, v12, s0
	s_branch .LBB318_40
.LBB318_53:
	s_or_b32 exec_lo, exec_lo, s48
.LBB318_54:
	s_delay_alu instid0(SALU_CYCLE_1)
	s_or_b32 exec_lo, exec_lo, s37
	s_movk_i32 s0, 0x1e0
	v_and_b32_e32 v1, 0x3c0, v0
	s_wait_alu 0xfffe
	v_mad_u32_u24 v4, v19, s0, 0x110
	v_or_b32_e32 v3, 0x60, v0
	s_mov_b32 s0, exec_lo
	s_wait_loadcnt 0x0
	s_wait_storecnt 0x0
	s_barrier_signal -1
	s_barrier_wait -1
	global_inv scope:SCOPE_SE
	v_cmpx_eq_u32_e32 64, v1
	s_cbranch_execz .LBB318_57
; %bb.55:
	v_add_nc_u32_e32 v1, 0xfffffc40, v4
	v_cmp_gt_u32_e32 vcc_lo, 0x78, v3
	s_delay_alu instid0(VALU_DEP_2)
	v_lshl_add_u32 v2, v15, 2, v1
	ds_store_2addr_b32 v2, v24, v23 offset1:32
	ds_store_b32 v2, v18 offset:256
	s_and_b32 exec_lo, exec_lo, vcc_lo
; %bb.56:
	v_lshl_add_u32 v1, v3, 2, v1
	ds_store_b32 v1, v17
.LBB318_57:
	s_wait_alu 0xfffe
	s_or_b32 exec_lo, exec_lo, s0
	v_lshl_add_u32 v5, v15, 2, v4
	s_mov_b32 s0, exec_lo
	s_wait_loadcnt_dscnt 0x0
	s_barrier_signal -1
	s_barrier_wait -1
	global_inv scope:SCOPE_SE
	v_cmpx_gt_u32_e32 64, v0
	s_cbranch_execz .LBB318_61
; %bb.58:
	v_lshl_or_b32 v1, v0, 2, 0x80
	s_mov_b32 s1, exec_lo
	s_delay_alu instid0(VALU_DEP_1)
	v_add_nc_u32_e32 v6, v4, v1
	ds_load_2addr_stride64_b32 v[1:2], v5 offset1:1
	ds_load_b32 v6, v6
	v_cmpx_gt_u32_e32 0x78, v3
	s_cbranch_execz .LBB318_60
; %bb.59:
	v_lshl_add_u32 v7, v3, 2, v4
	ds_load_b32 v7, v7
	s_wait_dscnt 0x0
	v_add_f32_e32 v17, v17, v7
.LBB318_60:
	s_wait_alu 0xfffe
	s_or_b32 exec_lo, exec_lo, s1
	s_wait_dscnt 0x0
	v_dual_add_f32 v24, v24, v1 :: v_dual_add_f32 v23, v23, v6
	v_add_f32_e32 v18, v18, v2
.LBB318_61:
	s_wait_alu 0xfffe
	s_or_b32 exec_lo, exec_lo, s0
	v_and_b32_e32 v1, 0x3e0, v0
	s_mov_b32 s0, exec_lo
	s_wait_loadcnt 0x0
	s_barrier_signal -1
	s_barrier_wait -1
	global_inv scope:SCOPE_SE
	v_cmpx_eq_u32_e32 32, v1
	s_cbranch_execz .LBB318_64
; %bb.62:
	v_lshl_add_u32 v1, v15, 2, 0x110
	v_cmp_gt_u32_e32 vcc_lo, 0x78, v3
	ds_store_b32 v1, v24
	ds_store_b32 v16, v23
	ds_store_b32 v1, v18 offset:256
	s_and_b32 exec_lo, exec_lo, vcc_lo
; %bb.63:
	v_lshl_add_u32 v1, v3, 2, 0x110
	ds_store_b32 v1, v17
.LBB318_64:
	s_wait_alu 0xfffe
	s_or_b32 exec_lo, exec_lo, s0
	v_cmp_gt_u32_e32 vcc_lo, 32, v0
	s_wait_loadcnt_dscnt 0x0
	s_barrier_signal -1
	s_barrier_wait -1
	global_inv scope:SCOPE_SE
	s_and_saveexec_b32 s1, vcc_lo
	s_cbranch_execz .LBB318_68
; %bb.65:
	v_lshl_add_u32 v6, v0, 2, v4
	s_mov_b32 s2, exec_lo
	ds_load_b32 v4, v5
	ds_load_2addr_b32 v[1:2], v6 offset0:32 offset1:64
	v_cmpx_gt_u32_e32 0x78, v3
	s_cbranch_execz .LBB318_67
; %bb.66:
	ds_load_b32 v5, v6 offset:384
	s_wait_dscnt 0x0
	v_add_f32_e32 v17, v17, v5
.LBB318_67:
	s_wait_alu 0xfffe
	s_or_b32 exec_lo, exec_lo, s2
	s_wait_dscnt 0x0
	v_dual_add_f32 v24, v24, v4 :: v_dual_add_f32 v23, v23, v1
	v_add_f32_e32 v18, v18, v2
.LBB318_68:
	s_wait_alu 0xfffe
	s_or_b32 exec_lo, exec_lo, s1
	s_wait_loadcnt 0x0
	s_barrier_signal -1
	s_barrier_wait -1
	global_inv scope:SCOPE_SE
	s_and_saveexec_b32 s0, vcc_lo
	s_cbranch_execz .LBB318_71
; %bb.69:
	v_bfe_u32 v1, v24, 16, 1
	v_bfe_u32 v2, v23, 16, 1
	v_or_b32_e32 v5, 0x400000, v24
	v_cmp_u_f32_e32 vcc_lo, v24, v24
	v_bfe_u32 v4, v18, 16, 1
	v_add3_u32 v1, v1, v24, 0x7fff
	v_lshlrev_b32_e32 v0, 1, v0
	v_add3_u32 v2, v2, v23, 0x7fff
	v_or_b32_e32 v6, 0x400000, v23
	s_mul_i32 s0, s36, 0x78
	s_wait_alu 0xfffd
	v_cndmask_b32_e32 v1, v1, v5, vcc_lo
	v_cmp_u_f32_e32 vcc_lo, v23, v23
	s_mul_i32 s2, s29, s28
	s_wait_alu 0xfffe
	s_ashr_i32 s1, s0, 31
	v_add3_u32 v4, v4, v18, 0x7fff
	v_or_b32_e32 v7, 0x400000, v18
	s_wait_alu 0xfffd
	v_cndmask_b32_e32 v2, v2, v6, vcc_lo
	v_cmp_u_f32_e32 vcc_lo, v18, v18
	s_ashr_i32 s3, s2, 31
	s_wait_alu 0xfffe
	s_lshl_b64 s[0:1], s[0:1], 1
	s_lshl_b64 s[2:3], s[2:3], 1
	s_wait_kmcnt 0x0
	s_wait_alu 0xfffe
	s_add_nc_u64 s[0:1], s[34:35], s[0:1]
	s_wait_alu 0xfffd
	v_cndmask_b32_e32 v4, v4, v7, vcc_lo
	v_cmp_gt_u32_e32 vcc_lo, 0x78, v3
	s_mul_i32 s4, s33, 0xf0
	s_wait_alu 0xfffe
	s_add_nc_u64 s[0:1], s[0:1], s[2:3]
	s_mov_b32 s5, 0
	s_wait_alu 0xfffe
	s_add_nc_u64 s[0:1], s[0:1], s[4:5]
	s_clause 0x2
	global_store_d16_hi_b16 v0, v1, s[0:1]
	global_store_d16_hi_b16 v0, v2, s[0:1] offset:64
	global_store_d16_hi_b16 v0, v4, s[0:1] offset:128
	s_and_b32 exec_lo, exec_lo, vcc_lo
	s_cbranch_execz .LBB318_71
; %bb.70:
	v_bfe_u32 v1, v17, 16, 1
	v_or_b32_e32 v2, 0x400000, v17
	v_cmp_u_f32_e32 vcc_lo, v17, v17
	s_wait_alu 0xfffe
	v_add_co_u32 v0, s0, s0, v0
	v_add3_u32 v3, v1, v17, 0x7fff
	s_wait_alu 0xf1ff
	v_add_co_ci_u32_e64 v1, null, s1, 0, s0
	s_wait_alu 0xfffd
	s_delay_alu instid0(VALU_DEP_2)
	v_cndmask_b32_e32 v2, v3, v2, vcc_lo
	global_store_d16_hi_b16 v[0:1], v2, off offset:192
.LBB318_71:
	s_nop 0
	s_sendmsg sendmsg(MSG_DEALLOC_VGPRS)
	s_endpgm
	.section	.rodata,"a",@progbits
	.p2align	6, 0x0
	.amdhsa_kernel _ZN4vllm25paged_attention_v2_kernelI14__hip_bfloat16hLi120ELi8ELi128ELNS_18Fp8KVCacheDataTypeE1ELb1ELi512EEEvPfS3_PT_PKS4_PKT0_SA_ifPKiSC_iPKfiiiSE_SE_iiiii
		.amdhsa_group_segment_fixed_size 272
		.amdhsa_private_segment_fixed_size 0
		.amdhsa_kernarg_size 400
		.amdhsa_user_sgpr_count 2
		.amdhsa_user_sgpr_dispatch_ptr 0
		.amdhsa_user_sgpr_queue_ptr 0
		.amdhsa_user_sgpr_kernarg_segment_ptr 1
		.amdhsa_user_sgpr_dispatch_id 0
		.amdhsa_user_sgpr_private_segment_size 0
		.amdhsa_wavefront_size32 1
		.amdhsa_uses_dynamic_stack 0
		.amdhsa_enable_private_segment 0
		.amdhsa_system_sgpr_workgroup_id_x 1
		.amdhsa_system_sgpr_workgroup_id_y 1
		.amdhsa_system_sgpr_workgroup_id_z 1
		.amdhsa_system_sgpr_workgroup_info 0
		.amdhsa_system_vgpr_workitem_id 0
		.amdhsa_next_free_vgpr 128
		.amdhsa_next_free_sgpr 53
		.amdhsa_reserve_vcc 1
		.amdhsa_float_round_mode_32 0
		.amdhsa_float_round_mode_16_64 0
		.amdhsa_float_denorm_mode_32 3
		.amdhsa_float_denorm_mode_16_64 3
		.amdhsa_fp16_overflow 0
		.amdhsa_workgroup_processor_mode 1
		.amdhsa_memory_ordered 1
		.amdhsa_forward_progress 1
		.amdhsa_inst_pref_size 108
		.amdhsa_round_robin_scheduling 0
		.amdhsa_exception_fp_ieee_invalid_op 0
		.amdhsa_exception_fp_denorm_src 0
		.amdhsa_exception_fp_ieee_div_zero 0
		.amdhsa_exception_fp_ieee_overflow 0
		.amdhsa_exception_fp_ieee_underflow 0
		.amdhsa_exception_fp_ieee_inexact 0
		.amdhsa_exception_int_div_zero 0
	.end_amdhsa_kernel
	.section	.text._ZN4vllm25paged_attention_v2_kernelI14__hip_bfloat16hLi120ELi8ELi128ELNS_18Fp8KVCacheDataTypeE1ELb1ELi512EEEvPfS3_PT_PKS4_PKT0_SA_ifPKiSC_iPKfiiiSE_SE_iiiii,"axG",@progbits,_ZN4vllm25paged_attention_v2_kernelI14__hip_bfloat16hLi120ELi8ELi128ELNS_18Fp8KVCacheDataTypeE1ELb1ELi512EEEvPfS3_PT_PKS4_PKT0_SA_ifPKiSC_iPKfiiiSE_SE_iiiii,comdat
.Lfunc_end318:
	.size	_ZN4vllm25paged_attention_v2_kernelI14__hip_bfloat16hLi120ELi8ELi128ELNS_18Fp8KVCacheDataTypeE1ELb1ELi512EEEvPfS3_PT_PKS4_PKT0_SA_ifPKiSC_iPKfiiiSE_SE_iiiii, .Lfunc_end318-_ZN4vllm25paged_attention_v2_kernelI14__hip_bfloat16hLi120ELi8ELi128ELNS_18Fp8KVCacheDataTypeE1ELb1ELi512EEEvPfS3_PT_PKS4_PKT0_SA_ifPKiSC_iPKfiiiSE_SE_iiiii
                                        ; -- End function
	.set _ZN4vllm25paged_attention_v2_kernelI14__hip_bfloat16hLi120ELi8ELi128ELNS_18Fp8KVCacheDataTypeE1ELb1ELi512EEEvPfS3_PT_PKS4_PKT0_SA_ifPKiSC_iPKfiiiSE_SE_iiiii.num_vgpr, 128
	.set _ZN4vllm25paged_attention_v2_kernelI14__hip_bfloat16hLi120ELi8ELi128ELNS_18Fp8KVCacheDataTypeE1ELb1ELi512EEEvPfS3_PT_PKS4_PKT0_SA_ifPKiSC_iPKfiiiSE_SE_iiiii.num_agpr, 0
	.set _ZN4vllm25paged_attention_v2_kernelI14__hip_bfloat16hLi120ELi8ELi128ELNS_18Fp8KVCacheDataTypeE1ELb1ELi512EEEvPfS3_PT_PKS4_PKT0_SA_ifPKiSC_iPKfiiiSE_SE_iiiii.numbered_sgpr, 53
	.set _ZN4vllm25paged_attention_v2_kernelI14__hip_bfloat16hLi120ELi8ELi128ELNS_18Fp8KVCacheDataTypeE1ELb1ELi512EEEvPfS3_PT_PKS4_PKT0_SA_ifPKiSC_iPKfiiiSE_SE_iiiii.num_named_barrier, 0
	.set _ZN4vllm25paged_attention_v2_kernelI14__hip_bfloat16hLi120ELi8ELi128ELNS_18Fp8KVCacheDataTypeE1ELb1ELi512EEEvPfS3_PT_PKS4_PKT0_SA_ifPKiSC_iPKfiiiSE_SE_iiiii.private_seg_size, 0
	.set _ZN4vllm25paged_attention_v2_kernelI14__hip_bfloat16hLi120ELi8ELi128ELNS_18Fp8KVCacheDataTypeE1ELb1ELi512EEEvPfS3_PT_PKS4_PKT0_SA_ifPKiSC_iPKfiiiSE_SE_iiiii.uses_vcc, 1
	.set _ZN4vllm25paged_attention_v2_kernelI14__hip_bfloat16hLi120ELi8ELi128ELNS_18Fp8KVCacheDataTypeE1ELb1ELi512EEEvPfS3_PT_PKS4_PKT0_SA_ifPKiSC_iPKfiiiSE_SE_iiiii.uses_flat_scratch, 0
	.set _ZN4vllm25paged_attention_v2_kernelI14__hip_bfloat16hLi120ELi8ELi128ELNS_18Fp8KVCacheDataTypeE1ELb1ELi512EEEvPfS3_PT_PKS4_PKT0_SA_ifPKiSC_iPKfiiiSE_SE_iiiii.has_dyn_sized_stack, 0
	.set _ZN4vllm25paged_attention_v2_kernelI14__hip_bfloat16hLi120ELi8ELi128ELNS_18Fp8KVCacheDataTypeE1ELb1ELi512EEEvPfS3_PT_PKS4_PKT0_SA_ifPKiSC_iPKfiiiSE_SE_iiiii.has_recursion, 0
	.set _ZN4vllm25paged_attention_v2_kernelI14__hip_bfloat16hLi120ELi8ELi128ELNS_18Fp8KVCacheDataTypeE1ELb1ELi512EEEvPfS3_PT_PKS4_PKT0_SA_ifPKiSC_iPKfiiiSE_SE_iiiii.has_indirect_call, 0
	.section	.AMDGPU.csdata,"",@progbits
; Kernel info:
; codeLenInByte = 13772
; TotalNumSgprs: 55
; NumVgprs: 128
; ScratchSize: 0
; MemoryBound: 0
; FloatMode: 240
; IeeeMode: 1
; LDSByteSize: 272 bytes/workgroup (compile time only)
; SGPRBlocks: 0
; VGPRBlocks: 15
; NumSGPRsForWavesPerEU: 55
; NumVGPRsForWavesPerEU: 128
; Occupancy: 10
; WaveLimiterHint : 1
; COMPUTE_PGM_RSRC2:SCRATCH_EN: 0
; COMPUTE_PGM_RSRC2:USER_SGPR: 2
; COMPUTE_PGM_RSRC2:TRAP_HANDLER: 0
; COMPUTE_PGM_RSRC2:TGID_X_EN: 1
; COMPUTE_PGM_RSRC2:TGID_Y_EN: 1
; COMPUTE_PGM_RSRC2:TGID_Z_EN: 1
; COMPUTE_PGM_RSRC2:TIDIG_COMP_CNT: 0
	.section	.text._ZN4vllm25paged_attention_v2_kernelI14__hip_bfloat16hLi128ELi8ELi128ELNS_18Fp8KVCacheDataTypeE1ELb1ELi512EEEvPfS3_PT_PKS4_PKT0_SA_ifPKiSC_iPKfiiiSE_SE_iiiii,"axG",@progbits,_ZN4vllm25paged_attention_v2_kernelI14__hip_bfloat16hLi128ELi8ELi128ELNS_18Fp8KVCacheDataTypeE1ELb1ELi512EEEvPfS3_PT_PKS4_PKT0_SA_ifPKiSC_iPKfiiiSE_SE_iiiii,comdat
	.protected	_ZN4vllm25paged_attention_v2_kernelI14__hip_bfloat16hLi128ELi8ELi128ELNS_18Fp8KVCacheDataTypeE1ELb1ELi512EEEvPfS3_PT_PKS4_PKT0_SA_ifPKiSC_iPKfiiiSE_SE_iiiii ; -- Begin function _ZN4vllm25paged_attention_v2_kernelI14__hip_bfloat16hLi128ELi8ELi128ELNS_18Fp8KVCacheDataTypeE1ELb1ELi512EEEvPfS3_PT_PKS4_PKT0_SA_ifPKiSC_iPKfiiiSE_SE_iiiii
	.globl	_ZN4vllm25paged_attention_v2_kernelI14__hip_bfloat16hLi128ELi8ELi128ELNS_18Fp8KVCacheDataTypeE1ELb1ELi512EEEvPfS3_PT_PKS4_PKT0_SA_ifPKiSC_iPKfiiiSE_SE_iiiii
	.p2align	8
	.type	_ZN4vllm25paged_attention_v2_kernelI14__hip_bfloat16hLi128ELi8ELi128ELNS_18Fp8KVCacheDataTypeE1ELb1ELi512EEEvPfS3_PT_PKS4_PKT0_SA_ifPKiSC_iPKfiiiSE_SE_iiiii,@function
_ZN4vllm25paged_attention_v2_kernelI14__hip_bfloat16hLi128ELi8ELi128ELNS_18Fp8KVCacheDataTypeE1ELb1ELi512EEEvPfS3_PT_PKS4_PKT0_SA_ifPKiSC_iPKfiiiSE_SE_iiiii: ; @_ZN4vllm25paged_attention_v2_kernelI14__hip_bfloat16hLi128ELi8ELi128ELNS_18Fp8KVCacheDataTypeE1ELb1ELi512EEEvPfS3_PT_PKS4_PKT0_SA_ifPKiSC_iPKfiiiSE_SE_iiiii
; %bb.0:
	s_load_b64 s[2:3], s[0:1], 0x40
	s_and_b32 s48, ttmp7, 0xffff
	s_lshr_b32 s33, ttmp7, 16
	s_lshl_b32 s4, s48, 2
	s_lshl_b32 s50, s33, 9
	s_wait_kmcnt 0x0
	s_load_b32 s46, s[2:3], s4 offset:0x0
	s_wait_kmcnt 0x0
	s_cmp_ge_i32 s50, s46
	s_cbranch_scc1 .LBB319_62
; %bb.1:
	s_clause 0x1
	s_load_b32 s49, s[0:1], 0x90
	s_load_b64 s[44:45], s[0:1], 0x30
	s_wait_kmcnt 0x0
	s_abs_i32 s5, s49
	s_abs_i32 s2, s44
	s_delay_alu instid0(SALU_CYCLE_1) | instskip(SKIP_1) | instid1(SALU_CYCLE_2)
	s_cvt_f32_u32 s3, s2
	s_sub_co_i32 s4, 0, s2
	v_rcp_iflag_f32_e32 v1, s3
	s_delay_alu instid0(TRANS32_DEP_1) | instskip(SKIP_2) | instid1(SALU_CYCLE_2)
	v_readfirstlane_b32 s3, v1
	s_mul_f32 s3, s3, 0x4f7ffffe
	s_wait_alu 0xfffe
	s_cvt_u32_f32 s3, s3
	s_wait_alu 0xfffe
	s_delay_alu instid0(SALU_CYCLE_2) | instskip(NEXT) | instid1(SALU_CYCLE_1)
	s_mul_i32 s4, s4, s3
	s_mul_hi_u32 s4, s3, s4
	s_delay_alu instid0(SALU_CYCLE_1)
	s_add_co_i32 s3, s3, s4
	s_xor_b32 s4, s49, s44
	s_wait_alu 0xfffe
	s_mul_hi_u32 s3, s5, s3
	s_ashr_i32 s4, s4, 31
	s_wait_alu 0xfffe
	s_mul_i32 s6, s3, s2
	s_delay_alu instid0(SALU_CYCLE_1)
	s_sub_co_i32 s5, s5, s6
	s_add_co_i32 s6, s3, 1
	s_sub_co_i32 s7, s5, s2
	s_cmp_ge_u32 s5, s2
	s_cselect_b32 s3, s6, s3
	s_cselect_b32 s5, s7, s5
	s_wait_alu 0xfffe
	s_add_co_i32 s6, s3, 1
	s_cmp_ge_u32 s5, s2
	s_mov_b32 s5, 0
	s_cselect_b32 s2, s6, s3
	s_load_b64 s[6:7], s[0:1], 0x50
	s_xor_b32 s2, s2, s4
	s_mov_b32 s51, s5
	s_wait_alu 0xfffe
	s_sub_co_i32 s9, s2, s4
	s_abs_i32 s4, ttmp9
	s_abs_i32 s8, s9
	s_delay_alu instid0(SALU_CYCLE_1) | instskip(SKIP_2) | instid1(SALU_CYCLE_1)
	s_cvt_f32_u32 s2, s8
	s_sub_co_i32 s3, 0, s8
	s_wait_alu 0xfffe
	v_rcp_iflag_f32_e32 v1, s2
	s_delay_alu instid0(TRANS32_DEP_1) | instskip(SKIP_2) | instid1(SALU_CYCLE_2)
	v_readfirstlane_b32 s2, v1
	s_mul_f32 s2, s2, 0x4f7ffffe
	s_wait_alu 0xfffe
	s_cvt_u32_f32 s2, s2
	s_wait_alu 0xfffe
	s_delay_alu instid0(SALU_CYCLE_2)
	s_mul_i32 s3, s3, s2
	s_wait_alu 0xfffe
	s_mul_hi_u32 s3, s2, s3
	s_wait_alu 0xfffe
	s_add_co_i32 s2, s2, s3
	s_mov_b32 s3, s5
	s_wait_kmcnt 0x0
	s_cmp_eq_u64 s[6:7], 0
	s_cbranch_scc1 .LBB319_3
; %bb.2:
	s_mov_b32 s10, ttmp9
	s_ashr_i32 s11, ttmp9, 31
	s_delay_alu instid0(SALU_CYCLE_1) | instskip(NEXT) | instid1(SALU_CYCLE_1)
	s_lshl_b64 s[10:11], s[10:11], 2
	s_add_nc_u64 s[6:7], s[6:7], s[10:11]
	s_load_b32 s51, s[6:7], 0x0
.LBB319_3:
	s_load_b96 s[36:38], s[0:1], 0x58
	s_mul_u64 s[2:3], s[4:5], s[2:3]
	v_and_b32_e32 v1, 3, v0
	v_cmp_gt_u32_e64 s2, 64, v0
	s_ashr_i32 s5, ttmp9, 31
	s_ashr_i32 s6, s9, 31
	s_lshl_b32 s22, ttmp9, 7
	s_wait_alu 0xfffe
	s_and_saveexec_b32 s7, s2
	s_cbranch_execz .LBB319_5
; %bb.4:
	s_load_b64 s[10:11], s[0:1], 0x18
	s_wait_kmcnt 0x0
	s_mul_i32 s12, s36, s48
	s_ashr_i32 s23, s22, 31
	s_ashr_i32 s13, s12, 31
	v_lshlrev_b32_e32 v2, 2, v0
	s_lshl_b64 s[12:13], s[12:13], 1
	v_and_b32_e32 v3, 0x3fc, v0
	s_delay_alu instid0(VALU_DEP_1) | instskip(SKIP_2) | instid1(SALU_CYCLE_1)
	v_lshl_add_u32 v3, v1, 6, v3
	s_add_nc_u64 s[10:11], s[10:11], s[12:13]
	s_lshl_b64 s[12:13], s[22:23], 1
	s_add_nc_u64 s[10:11], s[10:11], s[12:13]
	global_load_b32 v2, v2, s[10:11]
	s_wait_loadcnt 0x0
	ds_store_b32 v3, v2
.LBB319_5:
	s_or_b32 exec_lo, exec_lo, s7
	s_load_b128 s[28:31], s[0:1], 0x78
	s_mul_i32 s7, s3, s8
	s_xor_b32 s5, s5, s6
	s_sub_co_i32 s4, s4, s7
	s_add_co_i32 s6, s3, 1
	s_sub_co_i32 s7, s4, s8
	s_cmp_ge_u32 s4, s8
	s_mov_b32 s10, -1
	s_cselect_b32 s3, s6, s3
	s_cselect_b32 s4, s7, s4
	s_wait_alu 0xfffe
	s_add_co_i32 s6, s3, 1
	s_cmp_ge_u32 s4, s8
                                        ; implicit-def: $sgpr47
	s_cselect_b32 s4, s6, s3
	s_load_b32 s3, s[0:1], 0x88
	s_xor_b32 s4, s4, s5
	s_add_co_i32 s9, s46, -1
	s_sub_co_i32 s8, s4, s5
	s_wait_dscnt 0x0
	s_barrier_signal -1
	s_wait_kmcnt 0x0
	s_abs_i32 s36, s31
	s_barrier_wait -1
	s_cvt_f32_u32 s6, s36
	global_inv scope:SCOPE_SE
	v_rcp_iflag_f32_e32 v2, s6
	s_delay_alu instid0(TRANS32_DEP_1) | instskip(SKIP_1) | instid1(SALU_CYCLE_3)
	v_readfirstlane_b32 s6, v2
	s_mul_f32 s4, s6, 0x4f7ffffe
	s_cvt_u32_f32 s6, s4
	s_sub_co_i32 s4, 0, s36
	s_wait_alu 0xfffe
	s_delay_alu instid0(SALU_CYCLE_1)
	s_mul_i32 s5, s4, s6
	s_abs_i32 s4, s9
	s_mul_hi_u32 s7, s6, s5
	s_mov_b32 s5, 0
	s_wait_alu 0xfffe
	s_add_co_i32 s34, s6, s7
	s_cmp_lt_i32 s3, 0
	s_mov_b32 s35, s5
	s_cbranch_scc0 .LBB319_7
; %bb.6:
	s_mul_i32 s6, s28, s44
	s_mov_b32 s10, s5
	s_wait_alu 0xfffe
	s_add_co_i32 s6, s8, s6
	s_wait_alu 0xfffe
	s_mul_i32 s6, s6, s3
	s_wait_alu 0xfffe
	s_sub_co_i32 s47, 1, s6
.LBB319_7:
	s_mul_u64 s[6:7], s[4:5], s[34:35]
	s_ashr_i32 s5, s9, 31
	s_and_not1_b32 vcc_lo, exec_lo, s10
	s_ashr_i32 s31, s31, 31
	s_cbranch_vccnz .LBB319_9
; %bb.8:
	s_mul_i32 s6, s49, s28
	s_wait_alu 0xfffe
	s_add_co_i32 s6, s6, ttmp9
	s_wait_alu 0xfffe
	s_mul_i32 s3, s6, s3
	s_wait_alu 0xfffe
	s_add_co_i32 s47, s3, 1
.LBB319_9:
	s_clause 0x3
	s_load_b32 s3, s[0:1], 0x48
	s_load_b64 s[40:41], s[0:1], 0x38
	s_load_b32 s23, s[0:1], 0x98
	s_load_b128 s[24:27], s[0:1], 0x68
	s_mul_i32 s6, s7, s36
	s_xor_b32 s5, s5, s31
	s_wait_alu 0xfffe
	s_sub_co_i32 s4, s4, s6
	s_add_co_i32 s9, s7, 1
	v_lshrrev_b32_e32 v21, 5, v0
	v_mov_b32_e32 v28, 0xff7fffff
	v_mbcnt_lo_u32_b32 v25, -1, 0
	s_mul_i32 s38, s8, s38
	s_delay_alu instid0(VALU_DEP_3)
	v_lshl_add_u32 v22, v21, 3, s50
	s_wait_kmcnt 0x0
	s_mul_i32 s42, s3, s48
	s_sub_co_i32 s3, s4, s36
	s_ashr_i32 s43, s42, 31
	s_cmp_ge_u32 s4, s36
	s_cselect_b32 s6, s9, s7
	s_wait_alu 0xfffe
	s_cselect_b32 s3, s3, s4
	s_add_co_i32 s4, s6, 1
	s_wait_alu 0xfffe
	s_cmp_ge_u32 s3, s36
	s_cselect_b32 s3, s4, s6
	s_add_co_i32 s4, s46, 7
	s_lshl_b32 s52, s33, 6
	s_ashr_i32 s6, s4, 31
	v_or_b32_e32 v23, s52, v21
	s_wait_alu 0xfffe
	s_lshr_b32 s6, s6, 29
	s_wait_alu 0xfffe
	s_add_co_i32 s4, s4, s6
	s_add_co_i32 s6, s52, 64
	s_ashr_i32 s35, s4, 3
	s_xor_b32 s4, s3, s5
	s_wait_alu 0xfffe
	s_min_i32 s28, s6, s35
	v_lshlrev_b32_e32 v24, 2, v23
	v_cmp_gt_i32_e64 s3, s28, v23
	s_sub_co_i32 s44, s4, s5
	s_and_saveexec_b32 s53, s3
	s_cbranch_execz .LBB319_21
; %bb.10:
	s_sub_co_i32 s54, s44, s29
	s_ashr_i32 s39, s38, 31
	s_cmp_neq_f32 s51, 0
	s_load_b64 s[6:7], s[0:1], 0x20
	v_bfe_u32 v26, v0, 2, 3
	v_dual_mov_b32 v32, 0xff7fffff :: v_dual_lshlrev_b32 v3, 1, v1
	s_cselect_b32 vcc_lo, -1, 0
	s_abs_i32 s55, s30
	v_dual_mov_b32 v28, 0xff7fffff :: v_dual_lshlrev_b32 v27, 6, v1
	s_cvt_f32_u32 s4, s55
	v_dual_mov_b32 v35, v23 :: v_dual_lshlrev_b32 v4, 2, v26
	s_lshl_b64 s[8:9], s[42:43], 2
	s_delay_alu instid0(SALU_CYCLE_1)
	v_rcp_iflag_f32_e32 v2, s4
	v_cmp_eq_u32_e64 s4, 0, v1
	v_lshlrev_b32_e32 v1, 4, v26
	v_subrev_nc_u32_e32 v5, s46, v26
	s_add_nc_u64 s[8:9], s[40:41], s[8:9]
	s_sub_co_i32 s10, 0, s55
	v_lshl_add_u32 v29, v21, 3, s50
	v_xor_b32_e32 v33, 2, v25
	s_wait_kmcnt 0x0
	s_add_nc_u64 s[6:7], s[6:7], s[38:39]
	v_add_nc_u32_e32 v30, 1, v5
	v_readfirstlane_b32 s5, v2
	s_wait_alu 0xfffe
	v_add_co_u32 v1, s6, s6, v1
	v_lshl_or_b32 v2, v21, 5, v4
	s_wait_alu 0xf1ff
	v_add_co_ci_u32_e64 v4, null, s7, 0, s6
	s_mul_f32 s5, s5, 0x4f7ffffe
	v_xor_b32_e32 v34, 1, v25
	v_add_nc_u32_e32 v31, 0x120, v2
	s_mov_b32 s56, 0
	s_wait_alu 0xfffe
	s_cvt_u32_f32 s6, s5
	v_add_co_u32 v17, s5, v1, v3
	s_wait_alu 0xf1ff
	v_add_co_ci_u32_e64 v18, null, 0, v4, s5
	v_add_co_u32 v19, s5, s8, v24
	s_wait_alu 0xfffe
	s_mul_i32 s10, s10, s6
	v_add_co_ci_u32_e64 v20, null, s9, 0, s5
	s_mul_hi_u32 s5, s6, s10
	s_mov_b32 s39, s37
	s_wait_alu 0xfffe
	s_add_co_i32 s57, s6, s5
	s_branch .LBB319_13
.LBB319_11:                             ;   in Loop: Header=BB319_13 Depth=1
	s_wait_alu 0xfffe
	s_or_b32 exec_lo, exec_lo, s6
.LBB319_12:                             ;   in Loop: Header=BB319_13 Depth=1
	s_delay_alu instid0(SALU_CYCLE_1) | instskip(SKIP_4) | instid1(VALU_DEP_3)
	s_or_b32 exec_lo, exec_lo, s58
	v_add_nc_u32_e32 v35, 4, v35
	v_add_co_u32 v19, s6, v19, 16
	s_wait_alu 0xf1ff
	v_add_co_ci_u32_e64 v20, null, 0, v20, s6
	v_cmp_le_i32_e64 s5, s28, v35
	v_add_nc_u32_e32 v29, 32, v29
	v_add_nc_u32_e32 v31, 0x80, v31
	s_or_b32 s56, s5, s56
	s_wait_alu 0xfffe
	s_and_not1_b32 exec_lo, exec_lo, s56
	s_cbranch_execz .LBB319_20
.LBB319_13:                             ; =>This Inner Loop Header: Depth=1
	v_sub_nc_u32_e32 v1, 0, v29
	s_delay_alu instid0(VALU_DEP_1) | instskip(SKIP_1) | instid1(VALU_DEP_1)
	v_max_i32_e32 v1, v29, v1
	s_wait_dscnt 0x0
	v_mul_hi_u32 v2, v1, s34
	s_delay_alu instid0(VALU_DEP_1) | instskip(NEXT) | instid1(VALU_DEP_1)
	v_mul_lo_u32 v3, v2, s36
	v_sub_nc_u32_e32 v1, v1, v3
	v_add_nc_u32_e32 v3, 1, v2
	s_delay_alu instid0(VALU_DEP_2) | instskip(SKIP_2) | instid1(VALU_DEP_1)
	v_subrev_nc_u32_e32 v4, s36, v1
	v_cmp_le_u32_e64 s5, s36, v1
	s_wait_alu 0xf1ff
	v_cndmask_b32_e64 v2, v2, v3, s5
	s_delay_alu instid0(VALU_DEP_3) | instskip(SKIP_1) | instid1(VALU_DEP_3)
	v_cndmask_b32_e64 v1, v1, v4, s5
	v_ashrrev_i32_e32 v3, 31, v29
	v_add_nc_u32_e32 v4, 1, v2
	s_delay_alu instid0(VALU_DEP_3) | instskip(NEXT) | instid1(VALU_DEP_3)
	v_cmp_le_u32_e64 s5, s36, v1
	v_xor_b32_e32 v3, s31, v3
	s_wait_alu 0xf1ff
	s_delay_alu instid0(VALU_DEP_2) | instskip(NEXT) | instid1(VALU_DEP_1)
	v_cndmask_b32_e64 v1, v2, v4, s5
	v_xor_b32_e32 v1, v1, v3
	s_delay_alu instid0(VALU_DEP_1) | instskip(NEXT) | instid1(VALU_DEP_1)
	v_sub_nc_u32_e32 v1, v1, v3
	v_add_nc_u32_e32 v2, s47, v1
	v_cmp_ge_i32_e64 s6, s54, v1
	s_delay_alu instid0(VALU_DEP_2) | instskip(NEXT) | instid1(VALU_DEP_1)
	v_sub_nc_u32_e32 v3, 0, v2
	v_max_i32_e32 v3, v2, v3
	v_ashrrev_i32_e32 v2, 31, v2
	s_delay_alu instid0(VALU_DEP_2) | instskip(NEXT) | instid1(VALU_DEP_1)
	v_mul_hi_u32 v4, v3, s57
	v_mul_lo_u32 v4, v4, s55
	s_delay_alu instid0(VALU_DEP_1) | instskip(NEXT) | instid1(VALU_DEP_1)
	v_sub_nc_u32_e32 v3, v3, v4
	v_subrev_nc_u32_e32 v4, s55, v3
	v_cmp_le_u32_e64 s5, s55, v3
	s_wait_alu 0xf1ff
	s_delay_alu instid0(VALU_DEP_1) | instskip(NEXT) | instid1(VALU_DEP_1)
	v_cndmask_b32_e64 v3, v3, v4, s5
	v_subrev_nc_u32_e32 v4, s55, v3
	v_cmp_le_u32_e64 s5, s55, v3
	s_wait_alu 0xf1ff
	s_delay_alu instid0(VALU_DEP_1) | instskip(NEXT) | instid1(VALU_DEP_1)
	v_cndmask_b32_e64 v3, v3, v4, s5
	v_xor_b32_e32 v3, v3, v2
	s_delay_alu instid0(VALU_DEP_1) | instskip(NEXT) | instid1(VALU_DEP_1)
	v_sub_nc_u32_e32 v2, v3, v2
	v_cmp_ne_u32_e64 s5, 0, v2
	s_and_b32 s5, s5, s6
	s_wait_alu 0xfffe
	s_and_saveexec_b32 s6, s5
	s_wait_alu 0xfffe
	s_xor_b32 s5, exec_lo, s6
	s_cbranch_execz .LBB319_17
; %bb.14:                               ;   in Loop: Header=BB319_13 Depth=1
	s_and_saveexec_b32 s6, s4
; %bb.15:                               ;   in Loop: Header=BB319_13 Depth=1
	ds_store_b32 v31, v32
; %bb.16:                               ;   in Loop: Header=BB319_13 Depth=1
	s_wait_alu 0xfffe
	s_or_b32 exec_lo, exec_lo, s6
.LBB319_17:                             ;   in Loop: Header=BB319_13 Depth=1
	s_wait_alu 0xfffe
	s_and_not1_saveexec_b32 s58, s5
	s_cbranch_execz .LBB319_12
; %bb.18:                               ;   in Loop: Header=BB319_13 Depth=1
	global_load_b32 v1, v[19:20], off
	s_wait_loadcnt 0x0
	v_mad_co_i64_i32 v[1:2], null, v1, s39, v[17:18]
	s_clause 0xf
	global_load_u16 v36, v[1:2], off
	global_load_u16 v37, v[1:2], off offset:8
	global_load_u16 v38, v[1:2], off offset:128
	;; [unrolled: 1-line block ×15, first 2 shown]
	ds_load_b128 v[13:16], v27
	ds_load_b128 v[9:12], v27 offset:16
	ds_load_b128 v[5:8], v27 offset:32
	;; [unrolled: 1-line block ×3, first 2 shown]
	s_load_b32 s5, s[24:25], 0x0
	s_wait_dscnt 0x3
	v_lshlrev_b32_e32 v65, 16, v15
	s_wait_dscnt 0x2
	v_lshlrev_b32_e32 v63, 16, v9
	v_lshlrev_b32_e32 v68, 16, v14
	;; [unrolled: 1-line block ×3, first 2 shown]
	s_wait_loadcnt 0xb
	v_and_b32_e32 v72, 0xff, v40
	v_lshrrev_b16 v40, 8, v40
	s_wait_loadcnt 0x9
	v_and_b32_e32 v74, 0xff, v42
	v_lshrrev_b16 v42, 8, v42
	;; [unrolled: 3-line block ×4, first 2 shown]
	s_wait_loadcnt 0x3
	v_and_b32_e32 v80, 0xff, v48
	v_and_b32_e32 v76, 0xffff, v76
	v_lshrrev_b16 v48, 8, v48
	s_wait_loadcnt 0x2
	v_and_b32_e32 v81, 0xff, v49
	v_and_b32_e32 v40, 0xffff, v40
	;; [unrolled: 1-line block ×3, first 2 shown]
	v_cvt_f32_fp8_e32 v76, v76
	v_and_b32_e32 v69, 0xffff0000, v13
	v_and_b32_e32 v48, 0xffff, v48
	;; [unrolled: 1-line block ×3, first 2 shown]
	v_cvt_f32_fp8_e32 v40, v40
	s_wait_kmcnt 0x0
	v_dual_mul_f32 v76, s5, v76 :: v_dual_and_b32 v73, 0xff, v41
	v_lshrrev_b16 v41, 8, v41
	v_cvt_f32_fp8_e32 v48, v48
	s_wait_dscnt 0x1
	v_dual_mul_f32 v40, s5, v40 :: v_dual_lshlrev_b32 v57, 16, v7
	v_and_b32_e32 v73, 0xffff, v73
	s_delay_alu instid0(VALU_DEP_3) | instskip(SKIP_2) | instid1(VALU_DEP_4)
	v_dual_mul_f32 v48, s5, v48 :: v_dual_and_b32 v7, 0xffff0000, v7
	v_and_b32_e32 v41, 0xffff, v41
	v_and_b32_e32 v81, 0xffff, v81
	v_cvt_f32_fp8_e32 v73, v73
	v_lshlrev_b32_e32 v58, 16, v6
	v_cvt_f32_fp8_e32 v44, v44
	v_cvt_f32_fp8_e32 v41, v41
	s_delay_alu instid0(VALU_DEP_4)
	v_dual_mul_f32 v73, s5, v73 :: v_dual_lshlrev_b32 v56, 16, v8
	v_and_b32_e32 v45, 0xffff, v45
	v_cvt_f32_fp8_e32 v80, v80
	v_cvt_f32_fp8_e32 v81, v81
	v_and_b32_e32 v72, 0xffff, v72
	v_and_b32_e32 v79, 0xff, v47
	v_cvt_f32_fp8_e32 v45, v45
	v_and_b32_e32 v66, 0xffff0000, v15
	v_dual_mul_f32 v44, s5, v44 :: v_dual_and_b32 v15, 0xffff0000, v9
	v_dual_mul_f32 v80, s5, v80 :: v_dual_and_b32 v9, 0xffff0000, v6
	;; [unrolled: 1-line block ×3, first 2 shown]
	v_lshrrev_b16 v8, 8, v36
	v_cvt_f32_fp8_e32 v72, v72
	v_lshlrev_b32_e32 v59, 16, v5
	v_lshrrev_b16 v47, 8, v47
	v_and_b32_e32 v74, 0xffff, v74
	v_and_b32_e32 v8, 0xffff, v8
	v_mul_f32_e32 v72, s5, v72
	s_wait_loadcnt 0x1
	v_and_b32_e32 v82, 0xff, v50
	v_and_b32_e32 v47, 0xffff, v47
	v_lshrrev_b16 v50, 8, v50
	v_cvt_f32_fp8_e32 v8, v8
	v_lshlrev_b32_e32 v67, 16, v13
	v_bfe_u32 v100, v72, 16, 1
	v_cmp_u_f32_e64 s9, v72, v72
	s_delay_alu instid0(VALU_DEP_4) | instskip(SKIP_1) | instid1(VALU_DEP_4)
	v_dual_mul_f32 v8, s5, v8 :: v_dual_and_b32 v77, 0xffff, v77
	v_and_b32_e32 v71, 0xff, v39
	v_add3_u32 v100, v100, v72, 0x7fff
	v_cvt_f32_fp8_e32 v74, v74
	v_cvt_f32_fp8_e32 v47, v47
	v_bfe_u32 v86, v8, 16, 1
	v_or_b32_e32 v87, 0x400000, v8
	v_cmp_u_f32_e64 s6, v8, v8
	s_wait_dscnt 0x0
	v_dual_mul_f32 v74, s5, v74 :: v_dual_lshlrev_b32 v55, 16, v1
	v_add3_u32 v86, v86, v8, 0x7fff
	v_or_b32_e32 v8, 0x400000, v72
	v_and_b32_e32 v42, 0xffff, v42
	v_and_b32_e32 v82, 0xffff, v82
	v_and_b32_e32 v50, 0xffff, v50
	v_cvt_f32_fp8_e32 v77, v77
	s_wait_alu 0xf1ff
	v_cndmask_b32_e64 v8, v100, v8, s9
	v_and_b32_e32 v70, 0xffff0000, v14
	v_dual_mul_f32 v47, s5, v47 :: v_dual_and_b32 v14, 0xffff0000, v10
	v_and_b32_e32 v71, 0xffff, v71
	s_delay_alu instid0(VALU_DEP_4)
	v_and_b32_e32 v8, 0xffff0000, v8
	s_wait_loadcnt 0x0
	v_and_b32_e32 v83, 0xff, v51
	v_cvt_f32_fp8_e32 v42, v42
	v_lshlrev_b32_e32 v53, 16, v3
	v_cvt_f32_fp8_e32 v71, v71
	v_lshlrev_b32_e32 v62, 16, v10
	v_and_b32_e32 v83, 0xffff, v83
	v_cvt_f32_fp8_e32 v82, v82
	v_cvt_f32_fp8_e32 v50, v50
	v_mul_f32_e32 v77, s5, v77
	v_lshrrev_b16 v39, 8, v39
	v_cvt_f32_fp8_e32 v83, v83
	v_and_b32_e32 v10, 0xffff0000, v5
	v_dual_mul_f32 v82, s5, v82 :: v_dual_and_b32 v5, 0xffff0000, v1
	v_dual_mul_f32 v50, s5, v50 :: v_dual_and_b32 v1, 0xffff0000, v3
	v_and_b32_e32 v3, 0xff, v36
	v_lshrrev_b16 v36, 8, v37
	v_and_b32_e32 v78, 0xff, v46
	v_lshrrev_b16 v46, 8, v46
	v_lshrrev_b16 v51, 8, v51
	v_and_b32_e32 v39, 0xffff, v39
	v_and_b32_e32 v36, 0xffff, v36
	;; [unrolled: 1-line block ×5, first 2 shown]
	v_cvt_f32_fp8_e32 v39, v39
	v_cvt_f32_fp8_e32 v36, v36
	v_lshlrev_b32_e32 v60, 16, v12
	v_cvt_f32_fp8_e32 v78, v78
	v_and_b32_e32 v13, 0xffff0000, v11
	v_cvt_f32_fp8_e32 v46, v46
	v_and_b32_e32 v11, 0xffff0000, v12
	v_cvt_f32_fp8_e32 v51, v51
	v_and_b32_e32 v12, 0xff, v37
	v_dual_mul_f32 v36, s5, v36 :: v_dual_mul_f32 v71, s5, v71
	v_cndmask_b32_e64 v86, v86, v87, s6
	s_delay_alu instid0(VALU_DEP_3) | instskip(NEXT) | instid1(VALU_DEP_3)
	v_dual_mul_f32 v51, s5, v51 :: v_dual_and_b32 v12, 0xffff, v12
	v_bfe_u32 v90, v36, 16, 1
	v_or_b32_e32 v91, 0x400000, v36
	v_cmp_u_f32_e64 s8, v36, v36
	v_and_b32_e32 v86, 0xffff0000, v86
	v_cvt_f32_fp8_e32 v12, v12
	v_add3_u32 v90, v90, v36, 0x7fff
	v_lshrrev_b16 v49, 8, v49
	v_and_b32_e32 v79, 0xffff, v79
	s_delay_alu instid0(VALU_DEP_4)
	v_dual_mul_f32 v41, s5, v41 :: v_dual_mul_f32 v12, s5, v12
	s_wait_alu 0xf1ff
	v_cndmask_b32_e64 v90, v90, v91, s8
	v_and_b32_e32 v75, 0xff, v43
	v_lshrrev_b16 v43, 8, v43
	v_and_b32_e32 v49, 0xffff, v49
	v_bfe_u32 v88, v12, 16, 1
	v_and_b32_e32 v90, 0xffff0000, v90
	v_or_b32_e32 v89, 0x400000, v12
	v_cmp_u_f32_e64 s7, v12, v12
	v_and_b32_e32 v43, 0xffff, v43
	v_add3_u32 v88, v88, v12, 0x7fff
	v_dual_mul_f32 v70, v70, v90 :: v_dual_and_b32 v3, 0xffff, v3
	v_mul_f32_e32 v46, s5, v46
	s_delay_alu instid0(VALU_DEP_4)
	v_cvt_f32_fp8_e32 v43, v43
	s_wait_alu 0xf1ff
	v_cndmask_b32_e64 v88, v88, v89, s7
	v_lshlrev_b32_e32 v52, 16, v4
	v_cvt_f32_fp8_e32 v3, v3
	v_dual_fmac_f32 v70, v69, v86 :: v_dual_mul_f32 v43, s5, v43
	s_delay_alu instid0(VALU_DEP_4) | instskip(SKIP_1) | instid1(VALU_DEP_4)
	v_and_b32_e32 v88, 0xffff0000, v88
	v_cvt_f32_fp8_e32 v79, v79
	v_mul_f32_e32 v3, s5, v3
	v_and_b32_e32 v37, 0xff, v38
	v_lshrrev_b16 v38, 8, v38
	v_bfe_u32 v69, v43, 16, 1
	v_cmp_u_f32_e64 s16, v43, v43
	s_delay_alu instid0(VALU_DEP_4) | instskip(NEXT) | instid1(VALU_DEP_4)
	v_dual_mul_f32 v68, v68, v88 :: v_dual_and_b32 v37, 0xffff, v37
	v_and_b32_e32 v38, 0xffff, v38
	s_delay_alu instid0(VALU_DEP_4)
	v_add3_u32 v69, v69, v43, 0x7fff
	v_cvt_f32_fp8_e32 v49, v49
	v_bfe_u32 v84, v3, 16, 1
	v_cvt_f32_fp8_e32 v37, v37
	v_cvt_f32_fp8_e32 v38, v38
	v_lshlrev_b32_e32 v64, 16, v16
	v_dual_mul_f32 v79, s5, v79 :: v_dual_and_b32 v16, 0xffff0000, v16
	s_delay_alu instid0(VALU_DEP_3) | instskip(SKIP_2) | instid1(VALU_DEP_3)
	v_dual_mul_f32 v37, s5, v37 :: v_dual_mul_f32 v38, s5, v38
	v_dual_mul_f32 v39, s5, v39 :: v_dual_mul_f32 v42, s5, v42
	;; [unrolled: 1-line block ×3, first 2 shown]
	v_bfe_u32 v94, v38, 16, 1
	v_or_b32_e32 v95, 0x400000, v38
	v_cmp_u_f32_e64 s6, v38, v38
	v_mul_f32_e32 v49, s5, v49
	v_mul_f32_e32 v83, s5, v83
	v_add3_u32 v94, v94, v38, 0x7fff
	v_or_b32_e32 v38, 0x400000, v43
	v_or_b32_e32 v85, 0x400000, v3
	v_add3_u32 v84, v84, v3, 0x7fff
	v_bfe_u32 v92, v37, 16, 1
	v_bfe_u32 v96, v71, 16, 1
	s_wait_alu 0xf1ff
	v_cndmask_b32_e64 v38, v69, v38, s16
	v_bfe_u32 v98, v39, 16, 1
	v_bfe_u32 v91, v74, 16, 1
	v_or_b32_e32 v93, 0x400000, v37
	v_or_b32_e32 v97, 0x400000, v71
	v_and_b32_e32 v38, 0xffff0000, v38
	v_and_b32_e32 v75, 0xffff, v75
	v_or_b32_e32 v99, 0x400000, v39
	v_bfe_u32 v12, v73, 16, 1
	v_or_b32_e32 v90, 0x400000, v74
	v_add3_u32 v92, v92, v37, 0x7fff
	v_cvt_f32_fp8_e32 v75, v75
	v_lshlrev_b32_e32 v54, 16, v2
	v_and_b32_e32 v2, 0xffff0000, v2
	v_add3_u32 v96, v96, v71, 0x7fff
	v_cmp_u_f32_e64 s7, v71, v71
	v_mul_f32_e32 v75, s5, v75
	v_cmp_u_f32_e64 s5, v3, v3
	v_bfe_u32 v3, v40, 16, 1
	v_bfe_u32 v71, v44, 16, 1
	v_add3_u32 v98, v98, v39, 0x7fff
	v_or_b32_e32 v86, 0x400000, v75
	s_wait_alu 0xf1ff
	v_cndmask_b32_e64 v84, v84, v85, s5
	v_cmp_u_f32_e64 s5, v37, v37
	v_bfe_u32 v37, v76, 16, 1
	v_cmp_u_f32_e64 s8, v39, v39
	v_add3_u32 v91, v91, v74, 0x7fff
	v_and_b32_e32 v84, 0xffff0000, v84
	v_cmp_u_f32_e64 s13, v74, v74
	v_bfe_u32 v74, v78, 16, 1
	v_cmp_u_f32_e64 s15, v75, v75
	v_cndmask_b32_e64 v94, v94, v95, s6
	v_fmac_f32_e32 v68, v67, v84
	v_bfe_u32 v67, v75, 16, 1
	v_or_b32_e32 v36, 0x400000, v40
	v_bfe_u32 v89, v41, 16, 1
	v_or_b32_e32 v85, 0x400000, v73
	v_bfe_u32 v88, v42, 16, 1
	v_add3_u32 v67, v67, v75, 0x7fff
	v_bfe_u32 v75, v46, 16, 1
	v_or_b32_e32 v39, 0x400000, v76
	v_bfe_u32 v72, v77, 16, 1
	v_add3_u32 v3, v3, v40, 0x7fff
	v_cmp_u_f32_e64 s10, v40, v40
	v_or_b32_e32 v40, 0x400000, v44
	v_add3_u32 v12, v12, v73, 0x7fff
	v_cmp_u_f32_e64 s11, v73, v73
	v_bfe_u32 v73, v45, 16, 1
	v_or_b32_e32 v43, 0x400000, v78
	v_add3_u32 v37, v37, v76, 0x7fff
	v_cmp_u_f32_e64 s17, v76, v76
	v_bfe_u32 v76, v79, 16, 1
	v_add3_u32 v71, v71, v44, 0x7fff
	v_cmp_u_f32_e64 s18, v44, v44
	v_or_b32_e32 v44, 0x400000, v46
	v_add3_u32 v74, v74, v78, 0x7fff
	v_cmp_u_f32_e64 s21, v78, v78
	s_wait_alu 0xf1ff
	v_cndmask_b32_e64 v92, v92, v93, s5
	v_cndmask_b32_e64 v96, v96, v97, s7
	;; [unrolled: 1-line block ×3, first 2 shown]
	v_add3_u32 v75, v75, v46, 0x7fff
	v_and_b32_e32 v94, 0xffff0000, v94
	v_cmp_u_f32_e64 s5, v46, v46
	v_or_b32_e32 v87, 0x400000, v41
	v_or_b32_e32 v84, 0x400000, v42
	v_add3_u32 v89, v89, v41, 0x7fff
	v_cmp_u_f32_e64 s12, v41, v41
	v_or_b32_e32 v41, 0x400000, v77
	v_add3_u32 v88, v88, v42, 0x7fff
	v_cmp_u_f32_e64 s14, v42, v42
	;; [unrolled: 3-line block ×3, first 2 shown]
	v_bfe_u32 v77, v47, 16, 1
	v_add3_u32 v73, v73, v45, 0x7fff
	v_cmp_u_f32_e64 s20, v45, v45
	v_or_b32_e32 v45, 0x400000, v79
	v_cndmask_b32_e64 v3, v3, v36, s10
	v_add3_u32 v76, v76, v79, 0x7fff
	v_and_b32_e32 v92, 0xffff0000, v92
	v_cndmask_b32_e64 v43, v74, v43, s21
	v_and_b32_e32 v74, 0xffff0000, v96
	v_and_b32_e32 v96, 0xffff0000, v98
	v_fmac_f32_e32 v70, v66, v94
	s_wait_alu 0xf1ff
	v_cndmask_b32_e64 v44, v75, v44, s5
	v_cmp_u_f32_e64 s5, v79, v79
	v_or_b32_e32 v93, 0x400000, v47
	v_cndmask_b32_e64 v87, v89, v87, s12
	v_add3_u32 v77, v77, v47, 0x7fff
	v_dual_fmac_f32 v68, v65, v92 :: v_dual_and_b32 v3, 0xffff0000, v3
	v_fmac_f32_e32 v70, v16, v96
	s_wait_alu 0xf1ff
	v_cndmask_b32_e64 v16, v76, v45, s5
	v_cmp_u_f32_e64 s5, v47, v47
	v_bfe_u32 v78, v80, 16, 1
	v_cndmask_b32_e64 v12, v12, v85, s11
	v_cndmask_b32_e64 v84, v88, v84, s14
	v_dual_fmac_f32 v68, v64, v74 :: v_dual_and_b32 v45, 0xffff0000, v87
	v_fmac_f32_e32 v70, v15, v3
	s_wait_alu 0xf1ff
	v_cndmask_b32_e64 v3, v77, v93, s5
	v_bfe_u32 v95, v48, 16, 1
	v_or_b32_e32 v97, 0x400000, v80
	v_cndmask_b32_e64 v90, v91, v90, s13
	v_add3_u32 v78, v78, v80, 0x7fff
	v_and_b32_e32 v12, 0xffff0000, v12
	v_fmac_f32_e32 v68, v63, v8
	v_fmac_f32_e32 v70, v14, v45
	v_cmp_u_f32_e64 s5, v80, v80
	v_and_b32_e32 v3, 0xffff0000, v3
	v_and_b32_e32 v15, 0xffff0000, v84
	v_bfe_u32 v99, v81, 16, 1
	v_or_b32_e32 v100, 0x400000, v48
	v_cndmask_b32_e64 v40, v71, v40, s18
	v_add3_u32 v95, v95, v48, 0x7fff
	v_and_b32_e32 v8, 0xffff0000, v90
	v_fmac_f32_e32 v68, v62, v12
	s_wait_alu 0xf1ff
	v_cndmask_b32_e64 v12, v78, v97, s5
	v_fmac_f32_e32 v70, v13, v15
	v_cmp_u_f32_e64 s5, v48, v48
	v_bfe_u32 v36, v49, 16, 1
	v_or_b32_e32 v85, 0x400000, v81
	v_cndmask_b32_e64 v37, v37, v39, s17
	v_cndmask_b32_e64 v42, v73, v42, s20
	v_add3_u32 v99, v99, v81, 0x7fff
	v_fmac_f32_e32 v68, v61, v8
	s_wait_alu 0xf1ff
	v_cndmask_b32_e64 v8, v95, v100, s5
	v_dual_fmac_f32 v70, v11, v38 :: v_dual_and_b32 v15, 0xffff0000, v40
	v_cmp_u_f32_e64 s5, v81, v81
	v_bfe_u32 v89, v82, 16, 1
	v_or_b32_e32 v91, 0x400000, v49
	v_add3_u32 v36, v36, v49, 0x7fff
	v_and_b32_e32 v13, 0xffff0000, v37
	s_wait_alu 0xf1ff
	v_cndmask_b32_e64 v11, v99, v85, s5
	v_dual_fmac_f32 v70, v10, v15 :: v_dual_and_b32 v37, 0xffff0000, v42
	v_cmp_u_f32_e64 s5, v49, v49
	v_or_b32_e32 v88, 0x400000, v82
	v_cndmask_b32_e64 v67, v67, v86, s15
	v_bfe_u32 v86, v50, 16, 1
	v_add3_u32 v89, v89, v82, 0x7fff
	s_wait_alu 0xf1ff
	v_cndmask_b32_e64 v10, v36, v91, s5
	v_dual_fmac_f32 v70, v9, v37 :: v_dual_and_b32 v15, 0xffff0000, v44
	v_cmp_u_f32_e64 s5, v82, v82
	v_bfe_u32 v69, v83, 16, 1
	v_or_b32_e32 v39, 0x400000, v50
	v_add3_u32 v86, v86, v50, 0x7fff
	v_fmac_f32_e32 v70, v7, v15
	s_wait_alu 0xf1ff
	v_cndmask_b32_e64 v9, v89, v88, s5
	v_cmp_u_f32_e64 s5, v50, v50
	v_bfe_u32 v71, v51, 16, 1
	v_cndmask_b32_e64 v41, v72, v41, s19
	v_or_b32_e32 v72, 0x400000, v83
	v_add3_u32 v69, v69, v83, 0x7fff
	v_and_b32_e32 v14, 0xffff0000, v67
	s_wait_alu 0xf1ff
	v_cndmask_b32_e64 v7, v86, v39, s5
	v_and_b32_e32 v8, 0xffff0000, v8
	v_fmac_f32_e32 v70, v6, v3
	v_cmp_u_f32_e64 s5, v83, v83
	v_or_b32_e32 v73, 0x400000, v51
	v_add3_u32 v71, v71, v51, 0x7fff
	v_fmac_f32_e32 v68, v60, v14
	v_and_b32_e32 v10, 0xffff0000, v10
	s_wait_alu 0xf1ff
	v_cndmask_b32_e64 v3, v69, v72, s5
	v_fmac_f32_e32 v70, v5, v8
	v_cmp_u_f32_e64 s5, v51, v51
	v_and_b32_e32 v14, 0xffff0000, v41
	v_dual_fmac_f32 v68, v59, v13 :: v_dual_and_b32 v7, 0xffff0000, v7
	s_delay_alu instid0(VALU_DEP_4)
	v_fmac_f32_e32 v70, v2, v10
	s_wait_alu 0xf1ff
	v_cndmask_b32_e64 v5, v71, v73, s5
	v_and_b32_e32 v2, 0xffff0000, v4
	v_fmac_f32_e32 v68, v58, v14
	v_and_b32_e32 v14, 0xffff0000, v16
	v_fmac_f32_e32 v70, v1, v7
	v_and_b32_e32 v4, 0xffff0000, v5
	v_and_b32_e32 v13, 0xffff0000, v43
	;; [unrolled: 1-line block ×5, first 2 shown]
	v_fmac_f32_e32 v70, v2, v4
	v_dual_fmac_f32 v68, v57, v13 :: v_dual_and_b32 v3, 0xffff0000, v3
	v_cmp_gt_i32_e64 s5, 32, v33
	s_delay_alu instid0(VALU_DEP_2) | instskip(SKIP_1) | instid1(VALU_DEP_2)
	v_fmac_f32_e32 v68, v56, v14
	s_wait_alu 0xf1ff
	v_cndmask_b32_e64 v1, v25, v33, s5
	v_cmp_gt_i32_e64 s5, 32, v34
	s_delay_alu instid0(VALU_DEP_2) | instskip(NEXT) | instid1(VALU_DEP_1)
	v_dual_fmac_f32 v68, v55, v12 :: v_dual_lshlrev_b32 v1, 2, v1
	v_fmac_f32_e32 v68, v54, v6
	s_delay_alu instid0(VALU_DEP_1) | instskip(NEXT) | instid1(VALU_DEP_1)
	v_fmac_f32_e32 v68, v53, v8
	v_fmac_f32_e32 v68, v52, v3
	s_wait_alu 0xf1ff
	v_cndmask_b32_e64 v3, v25, v34, s5
	s_delay_alu instid0(VALU_DEP_1)
	v_dual_add_f32 v2, v68, v70 :: v_dual_lshlrev_b32 v3, 2, v3
	ds_bpermute_b32 v1, v1, v2
	s_wait_dscnt 0x0
	v_add_f32_e32 v1, v2, v1
	ds_bpermute_b32 v2, v3, v1
	s_and_saveexec_b32 s6, s4
	s_cbranch_execz .LBB319_11
; %bb.19:                               ;   in Loop: Header=BB319_13 Depth=1
	v_add_nc_u32_e32 v3, v30, v29
	s_wait_dscnt 0x0
	v_add_f32_e32 v1, v1, v2
	s_delay_alu instid0(VALU_DEP_2) | instskip(NEXT) | instid1(VALU_DEP_1)
	v_cvt_f32_i32_e32 v3, v3
	v_mul_f32_e32 v3, s51, v3
	s_delay_alu instid0(VALU_DEP_1) | instskip(NEXT) | instid1(VALU_DEP_1)
	v_dual_cndmask_b32 v2, 0, v3 :: v_dual_max_num_f32 v3, v28, v28
	v_fmac_f32_e32 v2, s45, v1
	v_add_nc_u32_e32 v1, v26, v29
	s_delay_alu instid0(VALU_DEP_2) | instskip(NEXT) | instid1(VALU_DEP_2)
	v_max_num_f32_e32 v3, v3, v2
	v_cmp_gt_i32_e64 s5, s46, v1
	s_wait_alu 0xf1ff
	s_delay_alu instid0(VALU_DEP_1) | instskip(NEXT) | instid1(VALU_DEP_3)
	v_cndmask_b32_e64 v1, 0, v2, s5
	v_cndmask_b32_e64 v28, v28, v3, s5
	ds_store_b32 v31, v1
	s_branch .LBB319_11
.LBB319_20:
	s_or_b32 exec_lo, exec_lo, s56
.LBB319_21:
	s_wait_alu 0xfffe
	s_or_b32 exec_lo, exec_lo, s53
	v_xor_b32_e32 v1, 16, v25
	v_xor_b32_e32 v3, 8, v25
	s_clause 0x2
	s_load_b128 s[8:11], s[0:1], 0x0
	s_load_b64 s[6:7], s[0:1], 0x10
	s_load_b64 s[12:13], s[0:1], 0x28
	v_and_b32_e32 v15, 31, v0
	v_max_num_f32_e32 v5, v28, v28
	v_cmp_gt_i32_e32 vcc_lo, 32, v1
	s_wait_alu 0xfffd
	v_cndmask_b32_e32 v1, v25, v1, vcc_lo
	v_cmp_gt_i32_e32 vcc_lo, 32, v3
	s_wait_alu 0xfffd
	v_cndmask_b32_e32 v3, v25, v3, vcc_lo
	s_delay_alu instid0(VALU_DEP_1)
	v_lshlrev_b32_e32 v4, 2, v3
	s_wait_dscnt 0x0
	v_lshlrev_b32_e32 v2, 2, v1
	ds_bpermute_b32 v1, v2, v28
	s_wait_dscnt 0x0
	v_max_num_f32_e32 v1, v1, v1
	s_delay_alu instid0(VALU_DEP_1)
	v_max_num_f32_e32 v1, v5, v1
	v_xor_b32_e32 v5, 4, v25
	ds_bpermute_b32 v3, v4, v1
	v_cmp_gt_i32_e32 vcc_lo, 32, v5
	s_wait_alu 0xfffd
	v_cndmask_b32_e32 v5, v25, v5, vcc_lo
	v_cmp_eq_u32_e32 vcc_lo, 0, v15
	s_delay_alu instid0(VALU_DEP_2) | instskip(SKIP_3) | instid1(VALU_DEP_1)
	v_lshlrev_b32_e32 v7, 2, v5
	v_lshlrev_b32_e32 v5, 2, v21
	s_wait_dscnt 0x0
	v_max_num_f32_e32 v3, v3, v3
	v_max_num_f32_e32 v1, v1, v3
	ds_bpermute_b32 v3, v7, v1
	s_and_saveexec_b32 s0, vcc_lo
	s_cbranch_execz .LBB319_23
; %bb.22:
	s_wait_dscnt 0x0
	v_max_num_f32_e32 v3, v3, v3
	v_max_num_f32_e32 v1, v1, v1
	s_delay_alu instid0(VALU_DEP_1)
	v_max_num_f32_e32 v1, v1, v3
	ds_store_b32 v5, v1 offset:256
.LBB319_23:
	s_or_b32 exec_lo, exec_lo, s0
	v_cmp_gt_u32_e64 s0, 4, v15
	v_dual_mov_b32 v1, 0xff7fffff :: v_dual_lshlrev_b32 v6, 2, v15
	s_wait_loadcnt_dscnt 0x0
	s_barrier_signal -1
	s_barrier_wait -1
	global_inv scope:SCOPE_SE
	s_and_saveexec_b32 s1, s0
; %bb.24:
	ds_load_b32 v1, v6 offset:256
; %bb.25:
	s_or_b32 exec_lo, exec_lo, s1
	v_xor_b32_e32 v3, 2, v25
	v_xor_b32_e32 v9, 1, v25
	v_mov_b32_e32 v10, 0
	s_delay_alu instid0(VALU_DEP_3) | instskip(NEXT) | instid1(VALU_DEP_1)
	v_cmp_gt_i32_e64 s1, 32, v3
	v_cndmask_b32_e64 v3, v25, v3, s1
	s_delay_alu instid0(VALU_DEP_4) | instskip(NEXT) | instid1(VALU_DEP_2)
	v_cmp_gt_i32_e64 s1, 32, v9
	v_lshlrev_b32_e32 v8, 2, v3
	s_wait_alu 0xf1ff
	s_delay_alu instid0(VALU_DEP_2)
	v_cndmask_b32_e64 v9, v25, v9, s1
	s_sub_co_i32 s1, s28, s52
	s_wait_alu 0xfffe
	s_lshl_b32 s1, s1, 3
	s_wait_dscnt 0x0
	ds_bpermute_b32 v3, v8, v1
	v_max_num_f32_e32 v1, v1, v1
	v_lshlrev_b32_e32 v9, 2, v9
	s_wait_alu 0xfffe
	s_add_co_i32 s1, s1, s50
	s_wait_alu 0xfffe
	s_min_i32 s1, s1, s46
	s_wait_alu 0xfffe
	s_sub_co_i32 s5, s1, s50
	s_wait_alu 0xfffe
	v_cmp_gt_i32_e64 s1, s5, v0
	s_wait_dscnt 0x0
	v_max_num_f32_e32 v3, v3, v3
	s_delay_alu instid0(VALU_DEP_1) | instskip(SKIP_3) | instid1(VALU_DEP_1)
	v_max_num_f32_e32 v1, v1, v3
	ds_bpermute_b32 v3, v9, v1
	s_wait_dscnt 0x0
	v_max_num_f32_e32 v3, v3, v3
	v_max_num_f32_e32 v1, v1, v3
	v_lshl_add_u32 v3, v0, 2, 0x120
	ds_bpermute_b32 v1, v10, v1
	s_and_saveexec_b32 s14, s1
	s_cbranch_execz .LBB319_29
; %bb.26:
	v_lshl_add_u32 v11, v0, 2, 0x120
	v_mov_b32_e32 v10, 0
	v_mov_b32_e32 v12, v0
	s_mov_b32 s15, 0
.LBB319_27:                             ; =>This Inner Loop Header: Depth=1
	ds_load_b32 v13, v11
	v_add_nc_u32_e32 v12, 0x80, v12
	s_delay_alu instid0(VALU_DEP_1) | instskip(SKIP_4) | instid1(VALU_DEP_1)
	v_cmp_le_i32_e64 s4, s5, v12
	s_wait_alu 0xfffe
	s_or_b32 s15, s4, s15
	s_wait_dscnt 0x0
	v_sub_f32_e32 v13, v13, v1
	v_mul_f32_e32 v13, 0x3fb8aa3b, v13
	s_delay_alu instid0(VALU_DEP_1)
	v_exp_f32_e32 v13, v13
	ds_store_b32 v11, v13
	v_dual_add_f32 v10, v10, v13 :: v_dual_add_nc_u32 v11, 0x200, v11
	s_wait_alu 0xfffe
	s_and_not1_b32 exec_lo, exec_lo, s15
	s_cbranch_execnz .LBB319_27
; %bb.28:
	s_or_b32 exec_lo, exec_lo, s15
.LBB319_29:
	s_wait_alu 0xfffe
	s_or_b32 exec_lo, exec_lo, s14
	ds_bpermute_b32 v2, v2, v10
	s_wait_dscnt 0x0
	v_add_f32_e32 v2, v10, v2
	ds_bpermute_b32 v4, v4, v2
	s_wait_dscnt 0x0
	v_add_f32_e32 v2, v2, v4
	;; [unrolled: 3-line block ×5, first 2 shown]
	s_and_saveexec_b32 s4, vcc_lo
; %bb.30:
	ds_store_b32 v5, v2 offset:272
; %bb.31:
	s_wait_alu 0xfffe
	s_or_b32 exec_lo, exec_lo, s4
	s_wait_loadcnt_dscnt 0x0
	s_barrier_signal -1
	s_barrier_wait -1
	global_inv scope:SCOPE_SE
	s_and_saveexec_b32 s4, s0
; %bb.32:
	ds_load_b32 v2, v6 offset:272
; %bb.33:
	s_wait_alu 0xfffe
	s_or_b32 exec_lo, exec_lo, s4
	s_wait_dscnt 0x0
	ds_bpermute_b32 v4, v8, v2
	s_wait_dscnt 0x0
	v_add_f32_e32 v2, v2, v4
	ds_bpermute_b32 v4, v9, v2
	s_wait_dscnt 0x0
	v_add_f32_e32 v2, v2, v4
	v_mov_b32_e32 v4, 0
	ds_bpermute_b32 v2, v4, v2
	s_and_saveexec_b32 s0, s1
	s_cbranch_execz .LBB319_36
; %bb.34:
	s_wait_dscnt 0x0
	v_add_f32_e32 v4, 0x358637bd, v2
	s_mov_b32 s1, 0
	s_delay_alu instid0(VALU_DEP_1) | instskip(SKIP_1) | instid1(VALU_DEP_2)
	v_div_scale_f32 v5, null, v4, v4, 1.0
	v_div_scale_f32 v8, vcc_lo, 1.0, v4, 1.0
	v_rcp_f32_e32 v6, v5
	s_delay_alu instid0(TRANS32_DEP_1) | instskip(NEXT) | instid1(VALU_DEP_1)
	v_fma_f32 v7, -v5, v6, 1.0
	v_fmac_f32_e32 v6, v7, v6
	s_delay_alu instid0(VALU_DEP_1) | instskip(NEXT) | instid1(VALU_DEP_1)
	v_mul_f32_e32 v7, v8, v6
	v_fma_f32 v9, -v5, v7, v8
	s_delay_alu instid0(VALU_DEP_1) | instskip(NEXT) | instid1(VALU_DEP_1)
	v_fmac_f32_e32 v7, v9, v6
	v_fma_f32 v5, -v5, v7, v8
	s_wait_alu 0xfffd
	s_delay_alu instid0(VALU_DEP_1) | instskip(NEXT) | instid1(VALU_DEP_1)
	v_div_fmas_f32 v5, v5, v6, v7
	v_div_fixup_f32 v4, v5, v4, 1.0
	v_mov_b32_e32 v5, v0
.LBB319_35:                             ; =>This Inner Loop Header: Depth=1
	ds_load_b32 v6, v3
	s_wait_dscnt 0x0
	v_dual_mul_f32 v6, v4, v6 :: v_dual_add_nc_u32 v5, 0x80, v5
	s_delay_alu instid0(VALU_DEP_1)
	v_cmp_le_i32_e32 vcc_lo, s5, v5
	ds_store_b32 v3, v6
	v_add_nc_u32_e32 v3, 0x200, v3
	s_wait_alu 0xfffe
	s_or_b32 s1, vcc_lo, s1
	s_wait_alu 0xfffe
	s_and_not1_b32 exec_lo, exec_lo, s1
	s_cbranch_execnz .LBB319_35
.LBB319_36:
	s_wait_alu 0xfffe
	s_or_b32 exec_lo, exec_lo, s0
	s_mul_i32 s0, s23, s48
	s_wait_loadcnt_dscnt 0x0
	s_wait_alu 0xfffe
	s_mul_i32 s4, s0, s49
	s_mov_b32 s0, exec_lo
	s_barrier_signal -1
	s_barrier_wait -1
	global_inv scope:SCOPE_SE
	v_cmpx_eq_u32_e32 0, v0
	s_cbranch_execz .LBB319_38
; %bb.37:
	s_wait_alu 0xfffe
	s_ashr_i32 s5, s4, 31
	s_mul_i32 s14, s23, ttmp9
	s_lshl_b32 s1, s33, 2
	s_wait_alu 0xfffe
	s_lshl_b64 s[16:17], s[4:5], 2
	s_ashr_i32 s15, s14, 31
	v_mov_b32_e32 v3, s1
	s_wait_kmcnt 0x0
	s_wait_alu 0xfffe
	s_add_nc_u64 s[10:11], s[10:11], s[16:17]
	s_lshl_b64 s[14:15], s[14:15], 2
	s_add_nc_u64 s[8:9], s[8:9], s[16:17]
	s_wait_alu 0xfffe
	s_add_nc_u64 s[10:11], s[10:11], s[14:15]
	s_add_nc_u64 s[8:9], s[8:9], s[14:15]
	s_clause 0x1
	global_store_b32 v3, v1, s[10:11]
	global_store_b32 v3, v2, s[8:9]
.LBB319_38:
	s_wait_alu 0xfffe
	s_or_b32 exec_lo, exec_lo, s0
	v_dual_mov_b32 v19, 0 :: v_dual_mov_b32 v18, 0
	v_dual_mov_b32 v17, 0 :: v_dual_mov_b32 v16, 0
	s_and_saveexec_b32 s1, s3
	s_cbranch_execz .LBB319_52
; %bb.39:
	s_abs_i32 s3, s30
	s_wait_kmcnt 0x0
	s_lshl_b64 s[10:11], s[42:43], 2
	s_wait_alu 0xfffe
	s_cvt_f32_u32 s0, s3
	v_dual_mov_b32 v17, 0 :: v_dual_lshlrev_b32 v2, 3, v15
	s_ashr_i32 s39, s38, 31
	s_wait_alu 0xfffe
	v_rcp_iflag_f32_e32 v1, s0
	s_add_nc_u64 s[10:11], s[40:41], s[10:11]
	s_add_nc_u64 s[12:13], s[12:13], s[38:39]
	s_wait_alu 0xfffe
	v_add_co_u32 v9, s10, s10, v24
	s_sub_co_i32 s9, 0, s3
	v_add_co_ci_u32_e64 v10, null, s11, 0, s10
	v_add_co_u32 v11, s10, s12, v2
	s_delay_alu instid0(TRANS32_DEP_1)
	v_readfirstlane_b32 s0, v1
	v_dual_mov_b32 v16, 0 :: v_dual_mov_b32 v19, 0
	v_lshl_add_u32 v20, v21, 5, 0x120
	s_wait_alu 0xf1ff
	v_add_co_ci_u32_e64 v12, null, s13, 0, s10
	s_mul_f32 s0, s0, 0x4f7ffffe
	v_mov_b32_e32 v18, 0
	s_sub_co_i32 s5, s44, s29
	s_mov_b32 s8, s37
	s_wait_alu 0xfffe
	s_cvt_u32_f32 s0, s0
	s_add_co_i32 s35, s35, -1
	s_wait_alu 0xfffe
	s_delay_alu instid0(SALU_CYCLE_1)
	s_mul_i32 s9, s9, s0
	s_wait_alu 0xfffe
	s_mul_hi_u32 s10, s0, s9
	s_mov_b32 s9, 0
	s_wait_alu 0xfffe
	s_add_co_i32 s10, s0, s10
	s_branch .LBB319_42
.LBB319_40:                             ;   in Loop: Header=BB319_42 Depth=1
	s_wait_alu 0xfffe
	s_or_b32 exec_lo, exec_lo, s0
	s_wait_dscnt 0x1
	v_bfe_u32 v35, v5, 16, 1
	v_bfe_u32 v36, v6, 16, 1
	v_or_b32_e32 v37, 0x400000, v5
	v_cmp_u_f32_e32 vcc_lo, v5, v5
	v_or_b32_e32 v39, 0x400000, v6
	v_add3_u32 v35, v35, v5, 0x7fff
	v_bfe_u32 v40, v7, 16, 1
	v_add3_u32 v36, v36, v6, 0x7fff
	v_bfe_u32 v41, v8, 16, 1
	s_wait_alu 0xfffd
	v_dual_cndmask_b32 v5, v35, v37 :: v_dual_lshlrev_b32 v54, 16, v54
	v_cmp_u_f32_e32 vcc_lo, v6, v6
	v_add3_u32 v35, v40, v7, 0x7fff
	v_add3_u32 v37, v41, v8, 0x7fff
	s_wait_dscnt 0x0
	v_bfe_u32 v40, v1, 16, 1
	v_or_b32_e32 v41, 0x400000, v4
	s_wait_alu 0xfffd
	v_cndmask_b32_e32 v6, v36, v39, vcc_lo
	v_or_b32_e32 v36, 0x400000, v7
	v_cmp_u_f32_e32 vcc_lo, v7, v7
	v_or_b32_e32 v39, 0x400000, v8
	v_lshlrev_b32_e32 v38, 16, v38
	v_lshlrev_b32_e32 v33, 16, v33
	;; [unrolled: 1-line block ×3, first 2 shown]
	s_wait_alu 0xfffd
	v_cndmask_b32_e32 v7, v35, v36, vcc_lo
	v_cmp_u_f32_e32 vcc_lo, v8, v8
	v_bfe_u32 v35, v2, 16, 1
	v_add3_u32 v36, v40, v1, 0x7fff
	v_bfe_u32 v40, v3, 16, 1
	v_lshlrev_b32_e32 v42, 16, v42
	s_wait_alu 0xfffd
	v_cndmask_b32_e32 v8, v37, v39, vcc_lo
	v_or_b32_e32 v37, 0x400000, v1
	v_cmp_u_f32_e32 vcc_lo, v1, v1
	v_add3_u32 v35, v35, v2, 0x7fff
	v_or_b32_e32 v39, 0x400000, v2
	v_and_b32_e32 v8, 0xffff0000, v8
	s_wait_alu 0xfffd
	v_dual_cndmask_b32 v1, v36, v37 :: v_dual_lshlrev_b32 v32, 16, v32
	v_cmp_u_f32_e32 vcc_lo, v2, v2
	v_bfe_u32 v36, v4, 16, 1
	v_lshlrev_b32_e32 v30, 16, v30
	v_lshlrev_b32_e32 v28, 16, v28
	;; [unrolled: 1-line block ×3, first 2 shown]
	s_wait_alu 0xfffd
	v_cndmask_b32_e32 v2, v35, v39, vcc_lo
	v_add3_u32 v35, v40, v3, 0x7fff
	v_or_b32_e32 v40, 0x400000, v3
	v_cmp_u_f32_e32 vcc_lo, v3, v3
	v_lshlrev_b32_e32 v39, 16, v59
	v_add3_u32 v36, v36, v4, 0x7fff
	v_and_b32_e32 v2, 0xffff0000, v2
	v_and_b32_e32 v1, 0xffff0000, v1
	s_wait_alu 0xfffd
	v_dual_cndmask_b32 v3, v35, v40 :: v_dual_lshlrev_b32 v40, 16, v58
	v_and_b32_e32 v5, 0xffff0000, v5
	v_cmp_u_f32_e32 vcc_lo, v4, v4
	v_dual_mul_f32 v38, v2, v38 :: v_dual_lshlrev_b32 v37, 16, v60
	s_delay_alu instid0(VALU_DEP_4) | instskip(NEXT) | instid1(VALU_DEP_4)
	v_mul_f32_e32 v40, v8, v40
	v_dual_mul_f32 v39, v5, v39 :: v_dual_and_b32 v6, 0xffff0000, v6
	s_wait_alu 0xfffd
	v_dual_cndmask_b32 v4, v36, v41 :: v_dual_lshlrev_b32 v31, 16, v31
	s_delay_alu instid0(VALU_DEP_2) | instskip(NEXT) | instid1(VALU_DEP_3)
	v_dual_mul_f32 v30, v5, v30 :: v_dual_mul_f32 v37, v6, v37
	v_bfe_u32 v36, v39, 16, 1
	v_or_b32_e32 v46, 0x400000, v39
	s_delay_alu instid0(VALU_DEP_4)
	v_and_b32_e32 v4, 0xffff0000, v4
	v_lshlrev_b32_e32 v57, 16, v57
	v_bfe_u32 v35, v37, 16, 1
	v_or_b32_e32 v41, 0x400000, v37
	v_cmp_u_f32_e32 vcc_lo, v37, v37
	v_add3_u32 v36, v36, v39, 0x7fff
	v_mul_f32_e32 v54, v4, v54
	v_add3_u32 v35, v35, v37, 0x7fff
	v_bfe_u32 v37, v40, 16, 1
	v_dual_mul_f32 v33, v4, v33 :: v_dual_lshlrev_b32 v34, 16, v34
	s_delay_alu instid0(VALU_DEP_4)
	v_bfe_u32 v58, v54, 16, 1
	s_wait_alu 0xfffd
	v_cndmask_b32_e32 v35, v35, v41, vcc_lo
	v_cmp_u_f32_e32 vcc_lo, v39, v39
	v_lshlrev_b32_e32 v41, 16, v56
	v_add3_u32 v37, v37, v40, 0x7fff
	v_lshlrev_b32_e32 v24, 16, v24
	s_wait_alu 0xfffd
	v_dual_cndmask_b32 v36, v36, v46 :: v_dual_and_b32 v35, 0xffff0000, v35
	v_dual_mul_f32 v41, v2, v41 :: v_dual_lshlrev_b32 v46, 16, v55
	v_or_b32_e32 v55, 0x400000, v40
	v_cmp_u_f32_e32 vcc_lo, v40, v40
	s_delay_alu instid0(VALU_DEP_3)
	v_dual_mul_f32 v46, v1, v46 :: v_dual_and_b32 v7, 0xffff0000, v7
	v_lshlrev_b32_e32 v29, 16, v29
	v_lshlrev_b32_e32 v13, 16, v13
	s_wait_alu 0xfffd
	v_cndmask_b32_e32 v37, v37, v55, vcc_lo
	v_mul_f32_e32 v39, v7, v57
	v_bfe_u32 v57, v46, 16, 1
	s_delay_alu instid0(VALU_DEP_3) | instskip(NEXT) | instid1(VALU_DEP_3)
	v_dual_mul_f32 v28, v7, v28 :: v_dual_and_b32 v37, 0xffff0000, v37
	v_bfe_u32 v56, v39, 16, 1
	v_or_b32_e32 v55, 0x400000, v39
	v_cmp_u_f32_e32 vcc_lo, v39, v39
	s_delay_alu instid0(VALU_DEP_3) | instskip(SKIP_2) | instid1(VALU_DEP_2)
	v_add3_u32 v40, v56, v39, 0x7fff
	v_bfe_u32 v56, v41, 16, 1
	s_wait_alu 0xfffd
	v_cndmask_b32_e32 v39, v40, v55, vcc_lo
	s_delay_alu instid0(VALU_DEP_2)
	v_add3_u32 v40, v56, v41, 0x7fff
	v_or_b32_e32 v55, 0x400000, v41
	v_cmp_u_f32_e32 vcc_lo, v41, v41
	v_add3_u32 v56, v57, v46, 0x7fff
	v_or_b32_e32 v57, 0x400000, v46
	v_and_b32_e32 v39, 0xffff0000, v39
	v_and_b32_e32 v3, 0xffff0000, v3
	s_wait_alu 0xfffd
	v_cndmask_b32_e32 v40, v40, v55, vcc_lo
	v_cmp_u_f32_e32 vcc_lo, v46, v46
	v_or_b32_e32 v55, 0x400000, v54
	s_wait_alu 0xfffd
	v_cndmask_b32_e32 v46, v56, v57, vcc_lo
	v_cmp_u_f32_e32 vcc_lo, v54, v54
	v_and_b32_e32 v36, 0xffff0000, v36
	s_delay_alu instid0(VALU_DEP_1) | instskip(NEXT) | instid1(VALU_DEP_4)
	v_dual_add_f32 v35, v36, v35 :: v_dual_add_f32 v36, v39, v37
	v_and_b32_e32 v37, 0xffff0000, v46
	v_and_b32_e32 v39, 0xffff0000, v40
	v_lshlrev_b32_e32 v40, 16, v45
	s_delay_alu instid0(VALU_DEP_4) | instskip(NEXT) | instid1(VALU_DEP_3)
	v_dual_add_f32 v35, v36, v35 :: v_dual_lshlrev_b32 v44, 16, v44
	v_dual_add_f32 v36, v37, v39 :: v_dual_lshlrev_b32 v53, 16, v53
	s_delay_alu instid0(VALU_DEP_3) | instskip(NEXT) | instid1(VALU_DEP_3)
	v_mul_f32_e32 v37, v6, v40
	v_mul_f32_e32 v40, v5, v44
	;; [unrolled: 1-line block ×3, first 2 shown]
	s_delay_alu instid0(VALU_DEP_4)
	v_mul_f32_e32 v41, v3, v53
	v_add3_u32 v53, v58, v54, 0x7fff
	v_bfe_u32 v44, v37, 16, 1
	v_add_f32_e32 v35, v36, v35
	v_bfe_u32 v36, v40, 16, 1
	v_bfe_u32 v56, v41, 16, 1
	s_wait_alu 0xfffd
	v_cndmask_b32_e32 v53, v53, v55, vcc_lo
	v_or_b32_e32 v55, 0x400000, v41
	v_cmp_u_f32_e32 vcc_lo, v41, v41
	v_add3_u32 v36, v36, v40, 0x7fff
	v_add3_u32 v54, v56, v41, 0x7fff
	v_or_b32_e32 v45, 0x400000, v40
	v_dual_mul_f32 v34, v1, v34 :: v_dual_lshlrev_b32 v25, 16, v25
	s_wait_alu 0xfffd
	s_delay_alu instid0(VALU_DEP_3) | instskip(SKIP_3) | instid1(VALU_DEP_4)
	v_dual_mul_f32 v24, v3, v24 :: v_dual_cndmask_b32 v41, v54, v55
	v_cmp_u_f32_e32 vcc_lo, v37, v37
	v_mul_f32_e32 v26, v1, v26
	v_dual_mul_f32 v3, v3, v13 :: v_dual_lshlrev_b32 v14, 16, v14
	v_and_b32_e32 v39, 0xffff0000, v41
	v_and_b32_e32 v41, 0xffff0000, v53
	s_delay_alu instid0(VALU_DEP_1) | instskip(SKIP_3) | instid1(VALU_DEP_3)
	v_add_f32_e32 v39, v39, v41
	v_mul_f32_e32 v41, v8, v43
	v_add3_u32 v43, v44, v37, 0x7fff
	v_or_b32_e32 v44, 0x400000, v37
	v_bfe_u32 v46, v41, 16, 1
	s_wait_alu 0xfffd
	s_delay_alu instid0(VALU_DEP_2)
	v_cndmask_b32_e32 v37, v43, v44, vcc_lo
	v_cmp_u_f32_e32 vcc_lo, v40, v40
	v_mul_f32_e32 v40, v7, v42
	v_add3_u32 v42, v46, v41, 0x7fff
	v_or_b32_e32 v43, 0x400000, v41
	v_bfe_u32 v46, v33, 16, 1
	s_wait_alu 0xfffd
	v_cndmask_b32_e32 v36, v36, v45, vcc_lo
	v_bfe_u32 v44, v40, 16, 1
	v_cmp_u_f32_e32 vcc_lo, v41, v41
	v_bfe_u32 v45, v34, 16, 1
	s_wait_alu 0xfffd
	v_dual_cndmask_b32 v41, v42, v43 :: v_dual_and_b32 v36, 0xffff0000, v36
	v_add3_u32 v42, v44, v40, 0x7fff
	v_or_b32_e32 v43, 0x400000, v40
	v_bfe_u32 v44, v38, 16, 1
	v_cmp_u_f32_e32 vcc_lo, v40, v40
	s_wait_alu 0xfffd
	s_delay_alu instid0(VALU_DEP_3) | instskip(NEXT) | instid1(VALU_DEP_3)
	v_cndmask_b32_e32 v40, v42, v43, vcc_lo
	v_add3_u32 v42, v44, v38, 0x7fff
	v_or_b32_e32 v43, 0x400000, v38
	v_cmp_u_f32_e32 vcc_lo, v38, v38
	v_add3_u32 v44, v45, v34, 0x7fff
	v_or_b32_e32 v45, 0x400000, v34
	v_and_b32_e32 v40, 0xffff0000, v40
	s_wait_alu 0xfffd
	v_cndmask_b32_e32 v38, v42, v43, vcc_lo
	v_cmp_u_f32_e32 vcc_lo, v34, v34
	v_add3_u32 v42, v46, v33, 0x7fff
	v_or_b32_e32 v43, 0x400000, v33
	s_delay_alu instid0(VALU_DEP_4) | instskip(SKIP_3) | instid1(VALU_DEP_2)
	v_and_b32_e32 v38, 0xffff0000, v38
	s_wait_alu 0xfffd
	v_cndmask_b32_e32 v34, v44, v45, vcc_lo
	v_cmp_u_f32_e32 vcc_lo, v33, v33
	v_and_b32_e32 v34, 0xffff0000, v34
	s_delay_alu instid0(VALU_DEP_1) | instskip(SKIP_1) | instid1(VALU_DEP_2)
	v_dual_add_f32 v34, v34, v38 :: v_dual_and_b32 v37, 0xffff0000, v37
	v_and_b32_e32 v41, 0xffff0000, v41
	v_add_f32_e32 v36, v36, v37
	v_bfe_u32 v38, v30, 16, 1
	s_delay_alu instid0(VALU_DEP_3)
	v_add_f32_e32 v37, v40, v41
	v_or_b32_e32 v41, 0x400000, v32
	s_wait_alu 0xfffd
	v_cndmask_b32_e32 v33, v42, v43, vcc_lo
	v_bfe_u32 v42, v32, 16, 1
	v_cmp_u_f32_e32 vcc_lo, v32, v32
	v_add_f32_e32 v36, v37, v36
	s_delay_alu instid0(VALU_DEP_3) | instskip(NEXT) | instid1(VALU_DEP_2)
	v_add3_u32 v40, v42, v32, 0x7fff
	v_add_f32_e32 v34, v34, v36
	s_wait_alu 0xfffd
	s_delay_alu instid0(VALU_DEP_2) | instskip(SKIP_1) | instid1(VALU_DEP_2)
	v_dual_cndmask_b32 v32, v40, v41 :: v_dual_mul_f32 v31, v6, v31
	v_and_b32_e32 v33, 0xffff0000, v33
	v_and_b32_e32 v32, 0xffff0000, v32
	s_delay_alu instid0(VALU_DEP_3) | instskip(SKIP_1) | instid1(VALU_DEP_2)
	v_bfe_u32 v37, v31, 16, 1
	v_cmp_u_f32_e32 vcc_lo, v31, v31
	v_add3_u32 v36, v37, v31, 0x7fff
	v_or_b32_e32 v37, 0x400000, v31
	s_wait_alu 0xfffd
	s_delay_alu instid0(VALU_DEP_1) | instskip(SKIP_4) | instid1(VALU_DEP_2)
	v_cndmask_b32_e32 v31, v36, v37, vcc_lo
	v_add3_u32 v37, v38, v30, 0x7fff
	v_or_b32_e32 v38, 0x400000, v30
	v_cmp_u_f32_e32 vcc_lo, v30, v30
	s_wait_alu 0xfffd
	v_dual_mul_f32 v29, v8, v29 :: v_dual_cndmask_b32 v30, v37, v38
	s_delay_alu instid0(VALU_DEP_1)
	v_bfe_u32 v36, v29, 16, 1
	v_or_b32_e32 v40, 0x400000, v29
	v_bfe_u32 v37, v28, 16, 1
	v_cmp_u_f32_e32 vcc_lo, v29, v29
	v_or_b32_e32 v38, 0x400000, v28
	v_add3_u32 v36, v36, v29, 0x7fff
	v_and_b32_e32 v30, 0xffff0000, v30
	v_add3_u32 v37, v37, v28, 0x7fff
	s_wait_alu 0xfffd
	s_delay_alu instid0(VALU_DEP_3) | instskip(SKIP_3) | instid1(VALU_DEP_3)
	v_cndmask_b32_e32 v29, v36, v40, vcc_lo
	v_cmp_u_f32_e32 vcc_lo, v28, v28
	v_lshlrev_b32_e32 v27, 16, v27
	s_wait_alu 0xfffd
	v_dual_cndmask_b32 v28, v37, v38 :: v_dual_and_b32 v29, 0xffff0000, v29
	s_delay_alu instid0(VALU_DEP_2) | instskip(SKIP_2) | instid1(VALU_DEP_4)
	v_mul_f32_e32 v27, v2, v27
	v_mul_f32_e32 v25, v4, v25
	v_bfe_u32 v37, v26, 16, 1
	v_and_b32_e32 v28, 0xffff0000, v28
	s_delay_alu instid0(VALU_DEP_4)
	v_bfe_u32 v36, v27, 16, 1
	v_or_b32_e32 v40, 0x400000, v27
	v_cmp_u_f32_e32 vcc_lo, v27, v27
	v_bfe_u32 v38, v25, 16, 1
	v_dual_add_f32 v28, v28, v29 :: v_dual_and_b32 v31, 0xffff0000, v31
	v_add3_u32 v36, v36, v27, 0x7fff
	s_delay_alu instid0(VALU_DEP_3) | instskip(NEXT) | instid1(VALU_DEP_3)
	v_add3_u32 v38, v38, v25, 0x7fff
	v_add_f32_e32 v30, v30, v31
	v_lshlrev_b32_e32 v29, 16, v51
	s_wait_alu 0xfffd
	v_cndmask_b32_e32 v27, v36, v40, vcc_lo
	v_add3_u32 v36, v37, v26, 0x7fff
	v_or_b32_e32 v37, 0x400000, v26
	v_cmp_u_f32_e32 vcc_lo, v26, v26
	v_or_b32_e32 v40, 0x400000, v25
	v_dual_add_f32 v28, v28, v30 :: v_dual_mul_f32 v5, v5, v29
	s_wait_alu 0xfffd
	v_cndmask_b32_e32 v26, v36, v37, vcc_lo
	v_cmp_u_f32_e32 vcc_lo, v25, v25
	v_bfe_u32 v36, v24, 16, 1
	v_or_b32_e32 v37, 0x400000, v24
	v_bfe_u32 v31, v5, 16, 1
	s_wait_alu 0xfffd
	v_cndmask_b32_e32 v25, v38, v40, vcc_lo
	v_add3_u32 v36, v36, v24, 0x7fff
	v_and_b32_e32 v26, 0xffff0000, v26
	v_cmp_u_f32_e32 vcc_lo, v24, v24
	s_wait_alu 0xfffd
	s_delay_alu instid0(VALU_DEP_3) | instskip(NEXT) | instid1(VALU_DEP_1)
	v_dual_cndmask_b32 v24, v36, v37 :: v_dual_and_b32 v27, 0xffff0000, v27
	v_dual_add_f32 v26, v26, v27 :: v_dual_lshlrev_b32 v27, 16, v50
	s_delay_alu instid0(VALU_DEP_1) | instskip(NEXT) | instid1(VALU_DEP_1)
	v_dual_mul_f32 v8, v8, v27 :: v_dual_lshlrev_b32 v27, 16, v49
	v_dual_mul_f32 v7, v7, v27 :: v_dual_lshlrev_b32 v38, 16, v52
	s_delay_alu instid0(VALU_DEP_1) | instskip(NEXT) | instid1(VALU_DEP_1)
	v_dual_mul_f32 v6, v6, v38 :: v_dual_lshlrev_b32 v27, 16, v48
	v_bfe_u32 v30, v6, 16, 1
	v_cmp_u_f32_e32 vcc_lo, v6, v6
	s_delay_alu instid0(VALU_DEP_3) | instskip(NEXT) | instid1(VALU_DEP_3)
	v_mul_f32_e32 v2, v2, v27
	v_add3_u32 v29, v30, v6, 0x7fff
	v_or_b32_e32 v30, 0x400000, v6
	s_delay_alu instid0(VALU_DEP_3) | instskip(SKIP_1) | instid1(VALU_DEP_2)
	v_or_b32_e32 v13, 0x400000, v2
	s_wait_alu 0xfffd
	v_cndmask_b32_e32 v6, v29, v30, vcc_lo
	v_add3_u32 v29, v31, v5, 0x7fff
	v_or_b32_e32 v30, 0x400000, v5
	v_bfe_u32 v31, v8, 16, 1
	v_cmp_u_f32_e32 vcc_lo, v5, v5
	s_wait_alu 0xfffd
	s_delay_alu instid0(VALU_DEP_3) | instskip(NEXT) | instid1(VALU_DEP_3)
	v_dual_cndmask_b32 v5, v29, v30 :: v_dual_and_b32 v24, 0xffff0000, v24
	v_add3_u32 v29, v31, v8, 0x7fff
	v_or_b32_e32 v30, 0x400000, v8
	v_bfe_u32 v31, v7, 16, 1
	v_cmp_u_f32_e32 vcc_lo, v8, v8
	s_wait_alu 0xfffd
	s_delay_alu instid0(VALU_DEP_3) | instskip(NEXT) | instid1(VALU_DEP_3)
	v_dual_cndmask_b32 v8, v29, v30 :: v_dual_lshlrev_b32 v27, 16, v47
	v_add3_u32 v29, v31, v7, 0x7fff
	v_or_b32_e32 v30, 0x400000, v7
	v_bfe_u32 v31, v2, 16, 1
	s_delay_alu instid0(VALU_DEP_4) | instskip(SKIP_2) | instid1(VALU_DEP_3)
	v_mul_f32_e32 v1, v1, v27
	v_cmp_u_f32_e32 vcc_lo, v7, v7
	v_and_b32_e32 v8, 0xffff0000, v8
	v_bfe_u32 v27, v1, 16, 1
	s_wait_alu 0xfffd
	v_cndmask_b32_e32 v7, v29, v30, vcc_lo
	v_add3_u32 v29, v31, v2, 0x7fff
	v_cmp_u_f32_e32 vcc_lo, v2, v2
	v_bfe_u32 v31, v3, 16, 1
	s_delay_alu instid0(VALU_DEP_4)
	v_and_b32_e32 v7, 0xffff0000, v7
	v_and_b32_e32 v5, 0xffff0000, v5
	s_wait_alu 0xfffd
	v_cndmask_b32_e32 v2, v29, v13, vcc_lo
	v_cmp_u_f32_e32 vcc_lo, v1, v1
	v_mul_f32_e32 v4, v4, v14
	v_add3_u32 v14, v27, v1, 0x7fff
	v_or_b32_e32 v27, 0x400000, v1
	s_wait_alu 0xfffd
	s_delay_alu instid0(VALU_DEP_1)
	v_cndmask_b32_e32 v1, v14, v27, vcc_lo
	v_bfe_u32 v30, v4, 16, 1
	v_add3_u32 v14, v31, v3, 0x7fff
	v_or_b32_e32 v27, 0x400000, v3
	v_cmp_u_f32_e32 vcc_lo, v3, v3
	v_and_b32_e32 v6, 0xffff0000, v6
	v_add3_u32 v13, v30, v4, 0x7fff
	v_or_b32_e32 v29, 0x400000, v4
	v_and_b32_e32 v1, 0xffff0000, v1
	s_wait_alu 0xfffd
	v_cndmask_b32_e32 v3, v14, v27, vcc_lo
	v_dual_add_f32 v5, v5, v6 :: v_dual_add_f32 v6, v7, v8
	v_and_b32_e32 v2, 0xffff0000, v2
	v_cmp_u_f32_e32 vcc_lo, v4, v4
	s_delay_alu instid0(VALU_DEP_2) | instskip(SKIP_4) | instid1(VALU_DEP_3)
	v_dual_add_f32 v1, v1, v2 :: v_dual_and_b32 v2, 0xffff0000, v3
	v_and_b32_e32 v7, 0xffff0000, v25
	s_wait_alu 0xfffd
	v_cndmask_b32_e32 v4, v13, v29, vcc_lo
	v_add_f32_e32 v5, v6, v5
	v_dual_add_f32 v6, v26, v28 :: v_dual_add_f32 v7, v24, v7
	s_delay_alu instid0(VALU_DEP_3) | instskip(NEXT) | instid1(VALU_DEP_1)
	v_dual_add_f32 v4, v32, v33 :: v_dual_and_b32 v3, 0xffff0000, v4
	v_dual_add_f32 v4, v4, v34 :: v_dual_add_f32 v1, v1, v5
	s_delay_alu instid0(VALU_DEP_2) | instskip(NEXT) | instid1(VALU_DEP_2)
	v_dual_add_f32 v2, v2, v3 :: v_dual_add_f32 v5, v7, v6
	v_add_f32_e32 v18, v18, v4
	s_delay_alu instid0(VALU_DEP_2) | instskip(SKIP_1) | instid1(VALU_DEP_4)
	v_add_f32_e32 v1, v2, v1
	v_add_f32_e32 v3, v39, v35
	;; [unrolled: 1-line block ×3, first 2 shown]
	s_delay_alu instid0(VALU_DEP_2)
	v_dual_add_f32 v16, v16, v1 :: v_dual_add_f32 v17, v17, v3
.LBB319_41:                             ;   in Loop: Header=BB319_42 Depth=1
	s_wait_alu 0xfffe
	s_or_b32 exec_lo, exec_lo, s11
	v_add_nc_u32_e32 v23, 4, v23
	v_add_co_u32 v9, s0, v9, 16
	s_wait_alu 0xf1ff
	v_add_co_ci_u32_e64 v10, null, 0, v10, s0
	s_delay_alu instid0(VALU_DEP_3)
	v_cmp_le_i32_e32 vcc_lo, s28, v23
	v_add_nc_u32_e32 v22, 32, v22
	v_add_nc_u32_e32 v20, 0x80, v20
	s_or_b32 s9, vcc_lo, s9
	s_wait_alu 0xfffe
	s_and_not1_b32 exec_lo, exec_lo, s9
	s_cbranch_execz .LBB319_51
.LBB319_42:                             ; =>This Inner Loop Header: Depth=1
	v_sub_nc_u32_e32 v1, 0, v22
	s_delay_alu instid0(VALU_DEP_1) | instskip(NEXT) | instid1(VALU_DEP_1)
	v_max_i32_e32 v1, v22, v1
	v_mul_hi_u32 v2, v1, s34
	s_delay_alu instid0(VALU_DEP_1) | instskip(NEXT) | instid1(VALU_DEP_1)
	v_mul_lo_u32 v3, v2, s36
	v_sub_nc_u32_e32 v1, v1, v3
	v_add_nc_u32_e32 v3, 1, v2
	s_delay_alu instid0(VALU_DEP_2) | instskip(SKIP_2) | instid1(VALU_DEP_2)
	v_subrev_nc_u32_e32 v4, s36, v1
	v_cmp_le_u32_e32 vcc_lo, s36, v1
	s_wait_alu 0xfffd
	v_dual_cndmask_b32 v2, v2, v3 :: v_dual_cndmask_b32 v1, v1, v4
	v_ashrrev_i32_e32 v3, 31, v22
	s_delay_alu instid0(VALU_DEP_2) | instskip(NEXT) | instid1(VALU_DEP_3)
	v_add_nc_u32_e32 v4, 1, v2
	v_cmp_le_u32_e32 vcc_lo, s36, v1
	s_delay_alu instid0(VALU_DEP_3) | instskip(SKIP_1) | instid1(VALU_DEP_3)
	v_xor_b32_e32 v3, s31, v3
	s_wait_alu 0xfffd
	v_cndmask_b32_e32 v1, v2, v4, vcc_lo
	s_delay_alu instid0(VALU_DEP_1) | instskip(NEXT) | instid1(VALU_DEP_1)
	v_xor_b32_e32 v1, v1, v3
	v_sub_nc_u32_e32 v1, v1, v3
	s_delay_alu instid0(VALU_DEP_1) | instskip(SKIP_1) | instid1(VALU_DEP_2)
	v_add_nc_u32_e32 v2, s47, v1
	v_cmp_lt_i32_e64 s0, s5, v1
	v_sub_nc_u32_e32 v3, 0, v2
	s_delay_alu instid0(VALU_DEP_1) | instskip(SKIP_1) | instid1(VALU_DEP_1)
	v_max_i32_e32 v3, v2, v3
	s_wait_alu 0xfffe
	v_mul_hi_u32 v4, v3, s10
	s_delay_alu instid0(VALU_DEP_1) | instskip(NEXT) | instid1(VALU_DEP_1)
	v_mul_lo_u32 v4, v4, s3
	v_sub_nc_u32_e32 v3, v3, v4
	s_delay_alu instid0(VALU_DEP_1) | instskip(SKIP_2) | instid1(VALU_DEP_2)
	v_subrev_nc_u32_e32 v4, s3, v3
	v_cmp_le_u32_e32 vcc_lo, s3, v3
	s_wait_alu 0xfffd
	v_cndmask_b32_e32 v3, v3, v4, vcc_lo
	v_ashrrev_i32_e32 v2, 31, v2
	s_delay_alu instid0(VALU_DEP_2) | instskip(SKIP_2) | instid1(VALU_DEP_2)
	v_subrev_nc_u32_e32 v4, s3, v3
	v_cmp_le_u32_e32 vcc_lo, s3, v3
	s_wait_alu 0xfffd
	v_cndmask_b32_e32 v3, v3, v4, vcc_lo
	s_delay_alu instid0(VALU_DEP_1) | instskip(NEXT) | instid1(VALU_DEP_1)
	v_xor_b32_e32 v3, v3, v2
	v_sub_nc_u32_e32 v2, v3, v2
	s_delay_alu instid0(VALU_DEP_1)
	v_cmp_eq_u32_e32 vcc_lo, 0, v2
	s_or_b32 s0, vcc_lo, s0
	s_wait_alu 0xfffe
	s_and_saveexec_b32 s11, s0
	s_cbranch_execz .LBB319_41
; %bb.43:                               ;   in Loop: Header=BB319_42 Depth=1
	global_load_b32 v1, v[9:10], off
	v_cmp_eq_u32_e32 vcc_lo, s35, v23
	v_add_nc_u32_e32 v37, 4, v22
	v_add_nc_u32_e32 v35, 6, v22
	s_wait_loadcnt 0x0
	v_mad_co_i64_i32 v[13:14], null, v1, s8, v[11:12]
	global_load_b64 v[24:25], v[13:14], off
	ds_load_2addr_b64 v[5:8], v20 offset1:1
	ds_load_2addr_b64 v[1:4], v20 offset0:2 offset1:3
	s_load_b32 s12, s[26:27], 0x0
	s_wait_loadcnt 0x0
	v_bfe_u32 v31, v25, 16, 8
	v_bfe_u32 v27, v24, 8, 8
	;; [unrolled: 1-line block ×4, first 2 shown]
	s_delay_alu instid0(VALU_DEP_4)
	v_cvt_f32_fp8_e32 v31, v31
	v_and_b32_e32 v26, 0xff, v24
	v_cvt_f32_fp8_e32 v27, v27
	v_add_nc_u32_e32 v40, 2, v22
	v_lshrrev_b32_e32 v24, 24, v24
	s_wait_kmcnt 0x0
	v_mul_f32_e32 v31, s12, v31
	v_cvt_f32_fp8_e32 v26, v26
	v_and_b32_e32 v29, 0xff, v25
	v_cvt_f32_fp8_e32 v28, v28
	v_mul_f32_e32 v27, s12, v27
	v_add_nc_u32_e32 v41, 1, v22
	v_mul_f32_e32 v26, s12, v26
	v_cvt_f32_fp8_e32 v24, v24
	v_mul_f32_e32 v28, s12, v28
	v_bfe_u32 v34, v27, 16, 1
	v_add_nc_u32_e32 v39, 3, v22
	v_bfe_u32 v32, v26, 16, 1
	v_or_b32_e32 v33, 0x400000, v26
	v_cmp_u_f32_e64 s0, v26, v26
	v_cvt_f32_fp8_e32 v29, v29
	v_mul_f32_e32 v24, s12, v24
	v_add3_u32 v32, v32, v26, 0x7fff
	v_or_b32_e32 v38, 0x400000, v27
	v_bfe_u32 v42, v28, 16, 1
	v_add3_u32 v34, v34, v27, 0x7fff
	v_dual_mul_f32 v29, s12, v29 :: v_dual_add_nc_u32 v36, 5, v22
	s_wait_alu 0xf1ff
	v_cndmask_b32_e64 v26, v32, v33, s0
	v_cmp_u_f32_e64 s0, v27, v27
	v_lshrrev_b32_e32 v25, 24, v25
	v_cvt_f32_fp8_e32 v30, v30
	v_or_b32_e32 v43, 0x400000, v28
	v_bfe_u32 v44, v24, 16, 1
	v_add3_u32 v42, v42, v28, 0x7fff
	s_wait_alu 0xf1ff
	v_cndmask_b32_e64 v27, v34, v38, s0
	v_cmp_u_f32_e64 s0, v28, v28
	v_cvt_f32_fp8_e32 v25, v25
	v_mul_f32_e32 v30, s12, v30
	v_or_b32_e32 v45, 0x400000, v24
	v_bfe_u32 v46, v29, 16, 1
	v_add3_u32 v44, v44, v24, 0x7fff
	s_wait_alu 0xf1ff
	v_cndmask_b32_e64 v28, v42, v43, s0
	v_cmp_u_f32_e64 s0, v24, v24
	v_mul_f32_e32 v25, s12, v25
	v_or_b32_e32 v47, 0x400000, v29
	v_bfe_u32 v48, v30, 16, 1
	v_add3_u32 v46, v46, v29, 0x7fff
	s_wait_alu 0xf1ff
	v_cndmask_b32_e64 v24, v44, v45, s0
	v_cmp_u_f32_e64 s0, v29, v29
	v_or_b32_e32 v49, 0x400000, v30
	v_bfe_u32 v50, v31, 16, 1
	v_add3_u32 v48, v48, v30, 0x7fff
	v_or_b32_e32 v51, 0x400000, v31
	s_wait_alu 0xf1ff
	v_cndmask_b32_e64 v32, v46, v47, s0
	v_cmp_u_f32_e64 s0, v30, v30
	v_bfe_u32 v52, v25, 16, 1
	v_add3_u32 v50, v50, v31, 0x7fff
	v_or_b32_e32 v53, 0x400000, v25
	v_lshrrev_b32_e32 v30, 16, v26
	s_wait_alu 0xf1ff
	v_cndmask_b32_e64 v33, v48, v49, s0
	v_cmp_u_f32_e64 s0, v31, v31
	v_add3_u32 v52, v52, v25, 0x7fff
	v_lshrrev_b32_e32 v31, 16, v27
	v_lshrrev_b32_e32 v28, 16, v28
	;; [unrolled: 1-line block ×3, first 2 shown]
	s_wait_alu 0xf1ff
	v_cndmask_b32_e64 v34, v50, v51, s0
	v_cmp_u_f32_e64 s0, v25, v25
	v_lshrrev_b32_e32 v26, 16, v32
	v_lshrrev_b32_e32 v27, 16, v33
	v_add_nc_u32_e32 v46, 7, v22
	v_lshrrev_b32_e32 v24, 16, v34
	s_wait_alu 0xf1ff
	v_cndmask_b32_e64 v25, v52, v53, s0
	s_delay_alu instid0(VALU_DEP_1)
	v_lshrrev_b32_e32 v25, 16, v25
	s_and_saveexec_b32 s13, vcc_lo
	s_cbranch_execz .LBB319_45
; %bb.44:                               ;   in Loop: Header=BB319_42 Depth=1
	v_cmp_gt_i32_e64 s0, s46, v22
	s_wait_alu 0xf1ff
	s_delay_alu instid0(VALU_DEP_1) | instskip(SKIP_2) | instid1(VALU_DEP_1)
	v_cndmask_b32_e64 v30, 0, v30, s0
	v_cmp_gt_i32_e64 s0, s46, v41
	s_wait_alu 0xf1ff
	v_cndmask_b32_e64 v31, 0, v31, s0
	v_cmp_gt_i32_e64 s0, s46, v40
	s_wait_alu 0xf1ff
	s_delay_alu instid0(VALU_DEP_1) | instskip(SKIP_2) | instid1(VALU_DEP_1)
	v_cndmask_b32_e64 v28, 0, v28, s0
	v_cmp_gt_i32_e64 s0, s46, v39
	s_wait_alu 0xf1ff
	v_cndmask_b32_e64 v29, 0, v29, s0
	;; [unrolled: 7-line block ×4, first 2 shown]
.LBB319_45:                             ;   in Loop: Header=BB319_42 Depth=1
	s_wait_alu 0xfffe
	s_or_b32 exec_lo, exec_lo, s13
	global_load_b64 v[32:33], v[13:14], off offset:256
	s_wait_loadcnt 0x0
	v_and_b32_e32 v43, 0xff, v33
	v_bfe_u32 v38, v32, 8, 8
	v_bfe_u32 v42, v32, 16, 8
	;; [unrolled: 1-line block ×4, first 2 shown]
	v_cvt_f32_fp8_e32 v43, v43
	v_and_b32_e32 v34, 0xff, v32
	v_cvt_f32_fp8_e32 v38, v38
	v_lshrrev_b32_e32 v32, 24, v32
	v_lshrrev_b32_e32 v33, 24, v33
	v_mul_f32_e32 v43, s12, v43
	v_cvt_f32_fp8_e32 v34, v34
	v_cvt_f32_fp8_e32 v42, v42
	;; [unrolled: 1-line block ×3, first 2 shown]
	v_mul_f32_e32 v38, s12, v38
	v_cvt_f32_fp8_e32 v32, v32
	v_mul_f32_e32 v34, s12, v34
	v_cvt_f32_fp8_e32 v33, v33
	v_dual_mul_f32 v42, s12, v42 :: v_dual_mul_f32 v45, s12, v45
	v_bfe_u32 v49, v38, 16, 1
	s_delay_alu instid0(VALU_DEP_4) | instskip(SKIP_3) | instid1(VALU_DEP_4)
	v_bfe_u32 v47, v34, 16, 1
	v_or_b32_e32 v48, 0x400000, v34
	v_cmp_u_f32_e64 s0, v34, v34
	v_dual_mul_f32 v32, s12, v32 :: v_dual_mul_f32 v33, s12, v33
	v_add3_u32 v47, v47, v34, 0x7fff
	v_or_b32_e32 v50, 0x400000, v38
	v_bfe_u32 v51, v42, 16, 1
	v_add3_u32 v49, v49, v38, 0x7fff
	v_cvt_f32_fp8_e32 v44, v44
	s_wait_alu 0xf1ff
	v_cndmask_b32_e64 v34, v47, v48, s0
	v_cmp_u_f32_e64 s0, v38, v38
	v_or_b32_e32 v52, 0x400000, v42
	v_bfe_u32 v53, v32, 16, 1
	v_add3_u32 v51, v51, v42, 0x7fff
	v_mul_f32_e32 v44, s12, v44
	s_wait_alu 0xf1ff
	v_cndmask_b32_e64 v38, v49, v50, s0
	v_cmp_u_f32_e64 s0, v42, v42
	v_or_b32_e32 v54, 0x400000, v32
	v_bfe_u32 v55, v43, 16, 1
	v_add3_u32 v53, v53, v32, 0x7fff
	v_or_b32_e32 v56, 0x400000, v43
	s_wait_alu 0xf1ff
	v_cndmask_b32_e64 v42, v51, v52, s0
	v_cmp_u_f32_e64 s0, v32, v32
	v_bfe_u32 v57, v44, 16, 1
	v_add3_u32 v55, v55, v43, 0x7fff
	v_or_b32_e32 v58, 0x400000, v44
	v_bfe_u32 v59, v45, 16, 1
	s_wait_alu 0xf1ff
	v_cndmask_b32_e64 v32, v53, v54, s0
	v_cmp_u_f32_e64 s0, v43, v43
	v_add3_u32 v57, v57, v44, 0x7fff
	v_or_b32_e32 v60, 0x400000, v45
	v_bfe_u32 v61, v33, 16, 1
	v_add3_u32 v59, v59, v45, 0x7fff
	s_wait_alu 0xf1ff
	v_cndmask_b32_e64 v47, v55, v56, s0
	v_cmp_u_f32_e64 s0, v44, v44
	v_or_b32_e32 v62, 0x400000, v33
	v_add3_u32 v61, v61, v33, 0x7fff
	v_lshrrev_b32_e32 v44, 16, v34
	v_lshrrev_b32_e32 v42, 16, v42
	s_wait_alu 0xf1ff
	v_cndmask_b32_e64 v48, v57, v58, s0
	v_cmp_u_f32_e64 s0, v45, v45
	v_lshrrev_b32_e32 v45, 16, v38
	v_lshrrev_b32_e32 v43, 16, v32
	;; [unrolled: 1-line block ×4, first 2 shown]
	s_wait_alu 0xf1ff
	v_cndmask_b32_e64 v49, v59, v60, s0
	v_cmp_u_f32_e64 s0, v33, v33
	s_delay_alu instid0(VALU_DEP_2) | instskip(SKIP_1) | instid1(VALU_DEP_2)
	v_lshrrev_b32_e32 v32, 16, v49
	s_wait_alu 0xf1ff
	v_cndmask_b32_e64 v33, v61, v62, s0
	s_delay_alu instid0(VALU_DEP_1)
	v_lshrrev_b32_e32 v33, 16, v33
	s_and_saveexec_b32 s13, vcc_lo
	s_cbranch_execz .LBB319_47
; %bb.46:                               ;   in Loop: Header=BB319_42 Depth=1
	v_cmp_gt_i32_e64 s0, s46, v22
	s_wait_alu 0xf1ff
	s_delay_alu instid0(VALU_DEP_1) | instskip(SKIP_2) | instid1(VALU_DEP_1)
	v_cndmask_b32_e64 v44, 0, v44, s0
	v_cmp_gt_i32_e64 s0, s46, v41
	s_wait_alu 0xf1ff
	v_cndmask_b32_e64 v45, 0, v45, s0
	v_cmp_gt_i32_e64 s0, s46, v40
	s_wait_alu 0xf1ff
	s_delay_alu instid0(VALU_DEP_1) | instskip(SKIP_2) | instid1(VALU_DEP_1)
	v_cndmask_b32_e64 v42, 0, v42, s0
	v_cmp_gt_i32_e64 s0, s46, v39
	s_wait_alu 0xf1ff
	v_cndmask_b32_e64 v43, 0, v43, s0
	;; [unrolled: 7-line block ×4, first 2 shown]
.LBB319_47:                             ;   in Loop: Header=BB319_42 Depth=1
	s_wait_alu 0xfffe
	s_or_b32 exec_lo, exec_lo, s13
	global_load_b64 v[47:48], v[13:14], off offset:512
	s_wait_loadcnt 0x0
	v_bfe_u32 v50, v47, 8, 8
	v_bfe_u32 v51, v47, 16, 8
	;; [unrolled: 1-line block ×4, first 2 shown]
	s_delay_alu instid0(VALU_DEP_4)
	v_cvt_f32_fp8_e32 v50, v50
	v_and_b32_e32 v49, 0xff, v47
	v_lshrrev_b32_e32 v47, 24, v47
	v_cvt_f32_fp8_e32 v51, v51
	v_cvt_f32_fp8_e32 v54, v54
	v_mul_f32_e32 v50, s12, v50
	v_cvt_f32_fp8_e32 v49, v49
	v_and_b32_e32 v52, 0xff, v48
	v_cvt_f32_fp8_e32 v47, v47
	v_lshrrev_b32_e32 v48, 24, v48
	v_bfe_u32 v57, v50, 16, 1
	v_mul_f32_e32 v49, s12, v49
	v_cvt_f32_fp8_e32 v52, v52
	v_mul_f32_e32 v51, s12, v51
	v_dual_mul_f32 v47, s12, v47 :: v_dual_mul_f32 v54, s12, v54
	s_delay_alu instid0(VALU_DEP_4)
	v_bfe_u32 v55, v49, 16, 1
	v_or_b32_e32 v56, 0x400000, v49
	v_cmp_u_f32_e64 s0, v49, v49
	v_mul_f32_e32 v52, s12, v52
	v_or_b32_e32 v58, 0x400000, v50
	v_add3_u32 v55, v55, v49, 0x7fff
	v_bfe_u32 v59, v51, 16, 1
	v_add3_u32 v57, v57, v50, 0x7fff
	v_cvt_f32_fp8_e32 v53, v53
	v_or_b32_e32 v60, 0x400000, v51
	s_wait_alu 0xf1ff
	v_cndmask_b32_e64 v49, v55, v56, s0
	v_cmp_u_f32_e64 s0, v50, v50
	v_bfe_u32 v61, v47, 16, 1
	v_add3_u32 v59, v59, v51, 0x7fff
	v_cvt_f32_fp8_e32 v48, v48
	v_mul_f32_e32 v53, s12, v53
	s_wait_alu 0xf1ff
	v_cndmask_b32_e64 v50, v57, v58, s0
	v_cmp_u_f32_e64 s0, v51, v51
	v_or_b32_e32 v62, 0x400000, v47
	v_bfe_u32 v63, v52, 16, 1
	v_add3_u32 v61, v61, v47, 0x7fff
	v_mul_f32_e32 v48, s12, v48
	s_wait_alu 0xf1ff
	v_cndmask_b32_e64 v51, v59, v60, s0
	v_cmp_u_f32_e64 s0, v47, v47
	v_or_b32_e32 v64, 0x400000, v52
	v_bfe_u32 v65, v53, 16, 1
	v_add3_u32 v63, v63, v52, 0x7fff
	v_or_b32_e32 v66, 0x400000, v53
	s_wait_alu 0xf1ff
	v_cndmask_b32_e64 v47, v61, v62, s0
	v_cmp_u_f32_e64 s0, v52, v52
	v_bfe_u32 v67, v54, 16, 1
	v_add3_u32 v65, v65, v53, 0x7fff
	v_or_b32_e32 v68, 0x400000, v54
	v_bfe_u32 v69, v48, 16, 1
	s_wait_alu 0xf1ff
	v_cndmask_b32_e64 v52, v63, v64, s0
	v_cmp_u_f32_e64 s0, v53, v53
	v_add3_u32 v67, v67, v54, 0x7fff
	v_or_b32_e32 v70, 0x400000, v48
	v_add3_u32 v69, v69, v48, 0x7fff
	v_lshrrev_b32_e32 v59, 16, v49
	s_wait_alu 0xf1ff
	v_cndmask_b32_e64 v53, v65, v66, s0
	v_cmp_u_f32_e64 s0, v54, v54
	v_lshrrev_b32_e32 v60, 16, v50
	v_lshrrev_b32_e32 v57, 16, v51
	;; [unrolled: 1-line block ×4, first 2 shown]
	s_wait_alu 0xf1ff
	v_cndmask_b32_e64 v54, v67, v68, s0
	v_cmp_u_f32_e64 s0, v48, v48
	v_lshrrev_b32_e32 v56, 16, v53
	s_delay_alu instid0(VALU_DEP_3) | instskip(SKIP_1) | instid1(VALU_DEP_3)
	v_lshrrev_b32_e32 v53, 16, v54
	s_wait_alu 0xf1ff
	v_cndmask_b32_e64 v48, v69, v70, s0
	s_delay_alu instid0(VALU_DEP_1)
	v_lshrrev_b32_e32 v54, 16, v48
	s_and_saveexec_b32 s13, vcc_lo
	s_cbranch_execz .LBB319_49
; %bb.48:                               ;   in Loop: Header=BB319_42 Depth=1
	v_cmp_gt_i32_e64 s0, s46, v22
	s_wait_alu 0xf1ff
	s_delay_alu instid0(VALU_DEP_1) | instskip(SKIP_2) | instid1(VALU_DEP_1)
	v_cndmask_b32_e64 v59, 0, v59, s0
	v_cmp_gt_i32_e64 s0, s46, v41
	s_wait_alu 0xf1ff
	v_cndmask_b32_e64 v60, 0, v60, s0
	v_cmp_gt_i32_e64 s0, s46, v40
	s_wait_alu 0xf1ff
	s_delay_alu instid0(VALU_DEP_1) | instskip(SKIP_2) | instid1(VALU_DEP_1)
	v_cndmask_b32_e64 v57, 0, v57, s0
	v_cmp_gt_i32_e64 s0, s46, v39
	s_wait_alu 0xf1ff
	v_cndmask_b32_e64 v58, 0, v58, s0
	;; [unrolled: 7-line block ×4, first 2 shown]
.LBB319_49:                             ;   in Loop: Header=BB319_42 Depth=1
	s_wait_alu 0xfffe
	s_or_b32 exec_lo, exec_lo, s13
	global_load_b64 v[13:14], v[13:14], off offset:768
	s_wait_loadcnt 0x0
	v_bfe_u32 v48, v13, 8, 8
	v_bfe_u32 v49, v13, 16, 8
	;; [unrolled: 1-line block ×4, first 2 shown]
	s_delay_alu instid0(VALU_DEP_4)
	v_cvt_f32_fp8_e32 v48, v48
	v_and_b32_e32 v47, 0xff, v13
	v_lshrrev_b32_e32 v13, 24, v13
	v_cvt_f32_fp8_e32 v49, v49
	v_cvt_f32_fp8_e32 v52, v52
	v_mul_f32_e32 v48, s12, v48
	v_cvt_f32_fp8_e32 v47, v47
	v_and_b32_e32 v50, 0xff, v14
	v_cvt_f32_fp8_e32 v13, v13
	v_lshrrev_b32_e32 v14, 24, v14
	v_bfe_u32 v63, v48, 16, 1
	v_mul_f32_e32 v47, s12, v47
	v_cvt_f32_fp8_e32 v50, v50
	v_mul_f32_e32 v49, s12, v49
	v_dual_mul_f32 v13, s12, v13 :: v_dual_mul_f32 v52, s12, v52
	s_delay_alu instid0(VALU_DEP_4)
	v_bfe_u32 v61, v47, 16, 1
	v_or_b32_e32 v62, 0x400000, v47
	v_cmp_u_f32_e64 s0, v47, v47
	v_mul_f32_e32 v50, s12, v50
	v_or_b32_e32 v64, 0x400000, v48
	v_add3_u32 v61, v61, v47, 0x7fff
	v_bfe_u32 v65, v49, 16, 1
	v_add3_u32 v63, v63, v48, 0x7fff
	v_cvt_f32_fp8_e32 v51, v51
	v_or_b32_e32 v66, 0x400000, v49
	s_wait_alu 0xf1ff
	v_cndmask_b32_e64 v47, v61, v62, s0
	v_cmp_u_f32_e64 s0, v48, v48
	v_bfe_u32 v67, v13, 16, 1
	v_add3_u32 v65, v65, v49, 0x7fff
	v_cvt_f32_fp8_e32 v14, v14
	v_mul_f32_e32 v51, s12, v51
	s_wait_alu 0xf1ff
	v_cndmask_b32_e64 v48, v63, v64, s0
	v_cmp_u_f32_e64 s0, v49, v49
	v_or_b32_e32 v68, 0x400000, v13
	v_bfe_u32 v69, v50, 16, 1
	v_add3_u32 v67, v67, v13, 0x7fff
	v_mul_f32_e32 v14, s12, v14
	s_wait_alu 0xf1ff
	v_cndmask_b32_e64 v49, v65, v66, s0
	v_cmp_u_f32_e64 s0, v13, v13
	v_or_b32_e32 v70, 0x400000, v50
	v_bfe_u32 v71, v51, 16, 1
	v_add3_u32 v69, v69, v50, 0x7fff
	v_or_b32_e32 v72, 0x400000, v51
	s_wait_alu 0xf1ff
	v_cndmask_b32_e64 v13, v67, v68, s0
	v_cmp_u_f32_e64 s0, v50, v50
	v_bfe_u32 v73, v52, 16, 1
	v_add3_u32 v71, v71, v51, 0x7fff
	v_or_b32_e32 v74, 0x400000, v52
	v_bfe_u32 v75, v14, 16, 1
	s_wait_alu 0xf1ff
	v_cndmask_b32_e64 v61, v69, v70, s0
	v_cmp_u_f32_e64 s0, v51, v51
	v_add3_u32 v73, v73, v52, 0x7fff
	v_or_b32_e32 v76, 0x400000, v14
	v_add3_u32 v75, v75, v14, 0x7fff
	v_lshrrev_b32_e32 v51, 16, v47
	s_wait_alu 0xf1ff
	v_cndmask_b32_e64 v62, v71, v72, s0
	v_cmp_u_f32_e64 s0, v52, v52
	v_lshrrev_b32_e32 v52, 16, v48
	v_lshrrev_b32_e32 v49, 16, v49
	;; [unrolled: 1-line block ×4, first 2 shown]
	s_wait_alu 0xf1ff
	v_cndmask_b32_e64 v63, v73, v74, s0
	v_cmp_u_f32_e64 s0, v14, v14
	v_lshrrev_b32_e32 v48, 16, v62
	s_delay_alu instid0(VALU_DEP_3) | instskip(SKIP_1) | instid1(VALU_DEP_3)
	v_lshrrev_b32_e32 v13, 16, v63
	s_wait_alu 0xf1ff
	v_cndmask_b32_e64 v14, v75, v76, s0
	s_delay_alu instid0(VALU_DEP_1)
	v_lshrrev_b32_e32 v14, 16, v14
	s_and_saveexec_b32 s0, vcc_lo
	s_cbranch_execz .LBB319_40
; %bb.50:                               ;   in Loop: Header=BB319_42 Depth=1
	v_cmp_gt_i32_e32 vcc_lo, s46, v22
	s_wait_alu 0xfffd
	v_cndmask_b32_e32 v51, 0, v51, vcc_lo
	v_cmp_gt_i32_e32 vcc_lo, s46, v41
	s_wait_alu 0xfffd
	v_cndmask_b32_e32 v52, 0, v52, vcc_lo
	;; [unrolled: 3-line block ×8, first 2 shown]
	s_branch .LBB319_40
.LBB319_51:
	s_or_b32 exec_lo, exec_lo, s9
.LBB319_52:
	s_wait_alu 0xfffe
	s_or_b32 exec_lo, exec_lo, s1
	v_lshl_add_u32 v2, v15, 2, 0x120
	v_and_b32_e32 v3, 0x3c0, v0
	s_mov_b32 s0, exec_lo
	s_wait_loadcnt 0x0
	s_wait_storecnt 0x0
	s_barrier_signal -1
	v_lshl_add_u32 v1, v21, 9, v2
	s_barrier_wait -1
	global_inv scope:SCOPE_SE
	v_cmpx_eq_u32_e32 64, v3
	s_cbranch_execz .LBB319_54
; %bb.53:
	v_add_nc_u32_e32 v3, 0xfffffc00, v1
	v_add_nc_u32_e32 v4, 0xfffffc80, v1
	v_add_nc_u32_e32 v5, 0xfffffd00, v1
	v_add_nc_u32_e32 v6, 0xfffffd80, v1
	ds_store_b32 v3, v19
	ds_store_b32 v4, v18
	;; [unrolled: 1-line block ×4, first 2 shown]
.LBB319_54:
	s_wait_alu 0xfffe
	s_or_b32 exec_lo, exec_lo, s0
	s_wait_loadcnt_dscnt 0x0
	s_barrier_signal -1
	s_barrier_wait -1
	global_inv scope:SCOPE_SE
	s_and_saveexec_b32 s0, s2
	s_cbranch_execz .LBB319_56
; %bb.55:
	ds_load_2addr_b32 v[3:4], v1 offset1:32
	ds_load_2addr_b32 v[5:6], v1 offset0:64 offset1:96
	s_wait_dscnt 0x1
	v_dual_add_f32 v19, v19, v3 :: v_dual_add_f32 v18, v18, v4
	s_wait_dscnt 0x0
	v_dual_add_f32 v17, v17, v5 :: v_dual_add_f32 v16, v16, v6
.LBB319_56:
	s_wait_alu 0xfffe
	s_or_b32 exec_lo, exec_lo, s0
	v_and_b32_e32 v3, 0x3e0, v0
	s_mov_b32 s0, exec_lo
	s_wait_loadcnt 0x0
	s_barrier_signal -1
	s_barrier_wait -1
	global_inv scope:SCOPE_SE
	v_cmpx_eq_u32_e32 32, v3
	s_cbranch_execz .LBB319_58
; %bb.57:
	ds_store_2addr_b32 v2, v19, v18 offset1:32
	ds_store_2addr_b32 v2, v17, v16 offset0:64 offset1:96
.LBB319_58:
	s_wait_alu 0xfffe
	s_or_b32 exec_lo, exec_lo, s0
	v_cmp_gt_u32_e32 vcc_lo, 32, v0
	s_wait_loadcnt_dscnt 0x0
	s_barrier_signal -1
	s_barrier_wait -1
	global_inv scope:SCOPE_SE
	s_and_saveexec_b32 s0, vcc_lo
	s_cbranch_execz .LBB319_60
; %bb.59:
	ds_load_2addr_b32 v[2:3], v1 offset1:32
	ds_load_2addr_b32 v[4:5], v1 offset0:64 offset1:96
	s_wait_dscnt 0x1
	v_dual_add_f32 v19, v19, v2 :: v_dual_add_f32 v18, v18, v3
	s_wait_dscnt 0x0
	v_dual_add_f32 v17, v17, v4 :: v_dual_add_f32 v16, v16, v5
.LBB319_60:
	s_wait_alu 0xfffe
	s_or_b32 exec_lo, exec_lo, s0
	s_wait_loadcnt 0x0
	s_barrier_signal -1
	s_barrier_wait -1
	global_inv scope:SCOPE_SE
	s_and_saveexec_b32 s0, vcc_lo
	s_cbranch_execz .LBB319_62
; %bb.61:
	v_bfe_u32 v1, v19, 16, 1
	v_or_b32_e32 v2, 0x400000, v19
	v_bfe_u32 v3, v18, 16, 1
	v_cmp_u_f32_e32 vcc_lo, v19, v19
	v_bfe_u32 v4, v17, 16, 1
	v_add3_u32 v1, v1, v19, 0x7fff
	v_lshlrev_b32_e32 v0, 1, v0
	v_add3_u32 v3, v3, v18, 0x7fff
	v_or_b32_e32 v5, 0x400000, v18
	s_lshl_b32 s0, s4, 7
	s_wait_alu 0xfffd
	v_cndmask_b32_e32 v1, v1, v2, vcc_lo
	v_cmp_u_f32_e32 vcc_lo, v18, v18
	v_bfe_u32 v2, v16, 16, 1
	v_add3_u32 v4, v4, v17, 0x7fff
	v_or_b32_e32 v6, 0x400000, v17
	s_mul_i32 s2, s23, s22
	s_wait_alu 0xfffd
	v_cndmask_b32_e32 v3, v3, v5, vcc_lo
	v_cmp_u_f32_e32 vcc_lo, v17, v17
	s_wait_alu 0xfffe
	s_ashr_i32 s1, s0, 31
	s_ashr_i32 s3, s2, 31
	s_wait_alu 0xfffe
	s_lshl_b64 s[0:1], s[0:1], 1
	v_add3_u32 v2, v2, v16, 0x7fff
	v_or_b32_e32 v7, 0x400000, v16
	s_wait_alu 0xfffd
	v_cndmask_b32_e32 v4, v4, v6, vcc_lo
	v_cmp_u_f32_e32 vcc_lo, v16, v16
	s_lshl_b64 s[2:3], s[2:3], 1
	s_wait_kmcnt 0x0
	s_wait_alu 0xfffe
	s_add_nc_u64 s[0:1], s[6:7], s[0:1]
	s_wait_alu 0xfffe
	s_add_nc_u64 s[0:1], s[0:1], s[2:3]
	s_lshl_b32 s2, s33, 8
	s_mov_b32 s3, 0
	s_wait_alu 0xfffd
	v_cndmask_b32_e32 v2, v2, v7, vcc_lo
	s_wait_alu 0xfffe
	s_add_nc_u64 s[0:1], s[0:1], s[2:3]
	s_clause 0x3
	global_store_d16_hi_b16 v0, v1, s[0:1]
	global_store_d16_hi_b16 v0, v3, s[0:1] offset:64
	global_store_d16_hi_b16 v0, v4, s[0:1] offset:128
	;; [unrolled: 1-line block ×3, first 2 shown]
.LBB319_62:
	s_nop 0
	s_sendmsg sendmsg(MSG_DEALLOC_VGPRS)
	s_endpgm
	.section	.rodata,"a",@progbits
	.p2align	6, 0x0
	.amdhsa_kernel _ZN4vllm25paged_attention_v2_kernelI14__hip_bfloat16hLi128ELi8ELi128ELNS_18Fp8KVCacheDataTypeE1ELb1ELi512EEEvPfS3_PT_PKS4_PKT0_SA_ifPKiSC_iPKfiiiSE_SE_iiiii
		.amdhsa_group_segment_fixed_size 288
		.amdhsa_private_segment_fixed_size 0
		.amdhsa_kernarg_size 400
		.amdhsa_user_sgpr_count 2
		.amdhsa_user_sgpr_dispatch_ptr 0
		.amdhsa_user_sgpr_queue_ptr 0
		.amdhsa_user_sgpr_kernarg_segment_ptr 1
		.amdhsa_user_sgpr_dispatch_id 0
		.amdhsa_user_sgpr_private_segment_size 0
		.amdhsa_wavefront_size32 1
		.amdhsa_uses_dynamic_stack 0
		.amdhsa_enable_private_segment 0
		.amdhsa_system_sgpr_workgroup_id_x 1
		.amdhsa_system_sgpr_workgroup_id_y 1
		.amdhsa_system_sgpr_workgroup_id_z 1
		.amdhsa_system_sgpr_workgroup_info 0
		.amdhsa_system_vgpr_workitem_id 0
		.amdhsa_next_free_vgpr 101
		.amdhsa_next_free_sgpr 59
		.amdhsa_reserve_vcc 1
		.amdhsa_float_round_mode_32 0
		.amdhsa_float_round_mode_16_64 0
		.amdhsa_float_denorm_mode_32 3
		.amdhsa_float_denorm_mode_16_64 3
		.amdhsa_fp16_overflow 0
		.amdhsa_workgroup_processor_mode 1
		.amdhsa_memory_ordered 1
		.amdhsa_forward_progress 1
		.amdhsa_inst_pref_size 102
		.amdhsa_round_robin_scheduling 0
		.amdhsa_exception_fp_ieee_invalid_op 0
		.amdhsa_exception_fp_denorm_src 0
		.amdhsa_exception_fp_ieee_div_zero 0
		.amdhsa_exception_fp_ieee_overflow 0
		.amdhsa_exception_fp_ieee_underflow 0
		.amdhsa_exception_fp_ieee_inexact 0
		.amdhsa_exception_int_div_zero 0
	.end_amdhsa_kernel
	.section	.text._ZN4vllm25paged_attention_v2_kernelI14__hip_bfloat16hLi128ELi8ELi128ELNS_18Fp8KVCacheDataTypeE1ELb1ELi512EEEvPfS3_PT_PKS4_PKT0_SA_ifPKiSC_iPKfiiiSE_SE_iiiii,"axG",@progbits,_ZN4vllm25paged_attention_v2_kernelI14__hip_bfloat16hLi128ELi8ELi128ELNS_18Fp8KVCacheDataTypeE1ELb1ELi512EEEvPfS3_PT_PKS4_PKT0_SA_ifPKiSC_iPKfiiiSE_SE_iiiii,comdat
.Lfunc_end319:
	.size	_ZN4vllm25paged_attention_v2_kernelI14__hip_bfloat16hLi128ELi8ELi128ELNS_18Fp8KVCacheDataTypeE1ELb1ELi512EEEvPfS3_PT_PKS4_PKT0_SA_ifPKiSC_iPKfiiiSE_SE_iiiii, .Lfunc_end319-_ZN4vllm25paged_attention_v2_kernelI14__hip_bfloat16hLi128ELi8ELi128ELNS_18Fp8KVCacheDataTypeE1ELb1ELi512EEEvPfS3_PT_PKS4_PKT0_SA_ifPKiSC_iPKfiiiSE_SE_iiiii
                                        ; -- End function
	.set _ZN4vllm25paged_attention_v2_kernelI14__hip_bfloat16hLi128ELi8ELi128ELNS_18Fp8KVCacheDataTypeE1ELb1ELi512EEEvPfS3_PT_PKS4_PKT0_SA_ifPKiSC_iPKfiiiSE_SE_iiiii.num_vgpr, 101
	.set _ZN4vllm25paged_attention_v2_kernelI14__hip_bfloat16hLi128ELi8ELi128ELNS_18Fp8KVCacheDataTypeE1ELb1ELi512EEEvPfS3_PT_PKS4_PKT0_SA_ifPKiSC_iPKfiiiSE_SE_iiiii.num_agpr, 0
	.set _ZN4vllm25paged_attention_v2_kernelI14__hip_bfloat16hLi128ELi8ELi128ELNS_18Fp8KVCacheDataTypeE1ELb1ELi512EEEvPfS3_PT_PKS4_PKT0_SA_ifPKiSC_iPKfiiiSE_SE_iiiii.numbered_sgpr, 59
	.set _ZN4vllm25paged_attention_v2_kernelI14__hip_bfloat16hLi128ELi8ELi128ELNS_18Fp8KVCacheDataTypeE1ELb1ELi512EEEvPfS3_PT_PKS4_PKT0_SA_ifPKiSC_iPKfiiiSE_SE_iiiii.num_named_barrier, 0
	.set _ZN4vllm25paged_attention_v2_kernelI14__hip_bfloat16hLi128ELi8ELi128ELNS_18Fp8KVCacheDataTypeE1ELb1ELi512EEEvPfS3_PT_PKS4_PKT0_SA_ifPKiSC_iPKfiiiSE_SE_iiiii.private_seg_size, 0
	.set _ZN4vllm25paged_attention_v2_kernelI14__hip_bfloat16hLi128ELi8ELi128ELNS_18Fp8KVCacheDataTypeE1ELb1ELi512EEEvPfS3_PT_PKS4_PKT0_SA_ifPKiSC_iPKfiiiSE_SE_iiiii.uses_vcc, 1
	.set _ZN4vllm25paged_attention_v2_kernelI14__hip_bfloat16hLi128ELi8ELi128ELNS_18Fp8KVCacheDataTypeE1ELb1ELi512EEEvPfS3_PT_PKS4_PKT0_SA_ifPKiSC_iPKfiiiSE_SE_iiiii.uses_flat_scratch, 0
	.set _ZN4vllm25paged_attention_v2_kernelI14__hip_bfloat16hLi128ELi8ELi128ELNS_18Fp8KVCacheDataTypeE1ELb1ELi512EEEvPfS3_PT_PKS4_PKT0_SA_ifPKiSC_iPKfiiiSE_SE_iiiii.has_dyn_sized_stack, 0
	.set _ZN4vllm25paged_attention_v2_kernelI14__hip_bfloat16hLi128ELi8ELi128ELNS_18Fp8KVCacheDataTypeE1ELb1ELi512EEEvPfS3_PT_PKS4_PKT0_SA_ifPKiSC_iPKfiiiSE_SE_iiiii.has_recursion, 0
	.set _ZN4vllm25paged_attention_v2_kernelI14__hip_bfloat16hLi128ELi8ELi128ELNS_18Fp8KVCacheDataTypeE1ELb1ELi512EEEvPfS3_PT_PKS4_PKT0_SA_ifPKiSC_iPKfiiiSE_SE_iiiii.has_indirect_call, 0
	.section	.AMDGPU.csdata,"",@progbits
; Kernel info:
; codeLenInByte = 12932
; TotalNumSgprs: 61
; NumVgprs: 101
; ScratchSize: 0
; MemoryBound: 0
; FloatMode: 240
; IeeeMode: 1
; LDSByteSize: 288 bytes/workgroup (compile time only)
; SGPRBlocks: 0
; VGPRBlocks: 12
; NumSGPRsForWavesPerEU: 61
; NumVGPRsForWavesPerEU: 101
; Occupancy: 12
; WaveLimiterHint : 1
; COMPUTE_PGM_RSRC2:SCRATCH_EN: 0
; COMPUTE_PGM_RSRC2:USER_SGPR: 2
; COMPUTE_PGM_RSRC2:TRAP_HANDLER: 0
; COMPUTE_PGM_RSRC2:TGID_X_EN: 1
; COMPUTE_PGM_RSRC2:TGID_Y_EN: 1
; COMPUTE_PGM_RSRC2:TGID_Z_EN: 1
; COMPUTE_PGM_RSRC2:TIDIG_COMP_CNT: 0
	.section	.text._ZN4vllm25paged_attention_v2_kernelI14__hip_bfloat16hLi192ELi8ELi128ELNS_18Fp8KVCacheDataTypeE1ELb1ELi512EEEvPfS3_PT_PKS4_PKT0_SA_ifPKiSC_iPKfiiiSE_SE_iiiii,"axG",@progbits,_ZN4vllm25paged_attention_v2_kernelI14__hip_bfloat16hLi192ELi8ELi128ELNS_18Fp8KVCacheDataTypeE1ELb1ELi512EEEvPfS3_PT_PKS4_PKT0_SA_ifPKiSC_iPKfiiiSE_SE_iiiii,comdat
	.protected	_ZN4vllm25paged_attention_v2_kernelI14__hip_bfloat16hLi192ELi8ELi128ELNS_18Fp8KVCacheDataTypeE1ELb1ELi512EEEvPfS3_PT_PKS4_PKT0_SA_ifPKiSC_iPKfiiiSE_SE_iiiii ; -- Begin function _ZN4vllm25paged_attention_v2_kernelI14__hip_bfloat16hLi192ELi8ELi128ELNS_18Fp8KVCacheDataTypeE1ELb1ELi512EEEvPfS3_PT_PKS4_PKT0_SA_ifPKiSC_iPKfiiiSE_SE_iiiii
	.globl	_ZN4vllm25paged_attention_v2_kernelI14__hip_bfloat16hLi192ELi8ELi128ELNS_18Fp8KVCacheDataTypeE1ELb1ELi512EEEvPfS3_PT_PKS4_PKT0_SA_ifPKiSC_iPKfiiiSE_SE_iiiii
	.p2align	8
	.type	_ZN4vllm25paged_attention_v2_kernelI14__hip_bfloat16hLi192ELi8ELi128ELNS_18Fp8KVCacheDataTypeE1ELb1ELi512EEEvPfS3_PT_PKS4_PKT0_SA_ifPKiSC_iPKfiiiSE_SE_iiiii,@function
_ZN4vllm25paged_attention_v2_kernelI14__hip_bfloat16hLi192ELi8ELi128ELNS_18Fp8KVCacheDataTypeE1ELb1ELi512EEEvPfS3_PT_PKS4_PKT0_SA_ifPKiSC_iPKfiiiSE_SE_iiiii: ; @_ZN4vllm25paged_attention_v2_kernelI14__hip_bfloat16hLi192ELi8ELi128ELNS_18Fp8KVCacheDataTypeE1ELb1ELi512EEEvPfS3_PT_PKS4_PKT0_SA_ifPKiSC_iPKfiiiSE_SE_iiiii
; %bb.0:
	s_load_b64 s[2:3], s[0:1], 0x40
	s_and_b32 s49, ttmp7, 0xffff
	s_lshr_b32 s33, ttmp7, 16
	s_lshl_b32 s4, s49, 2
	s_lshl_b32 s51, s33, 9
	s_wait_kmcnt 0x0
	s_load_b32 s48, s[2:3], s4 offset:0x0
	s_wait_kmcnt 0x0
	s_cmp_ge_i32 s51, s48
	s_cbranch_scc1 .LBB320_66
; %bb.1:
	s_clause 0x1
	s_load_b32 s50, s[0:1], 0x90
	s_load_b64 s[46:47], s[0:1], 0x30
	s_wait_kmcnt 0x0
	s_abs_i32 s5, s50
	s_abs_i32 s2, s46
	s_delay_alu instid0(SALU_CYCLE_1) | instskip(SKIP_1) | instid1(SALU_CYCLE_2)
	s_cvt_f32_u32 s3, s2
	s_sub_co_i32 s4, 0, s2
	v_rcp_iflag_f32_e32 v1, s3
	s_delay_alu instid0(TRANS32_DEP_1) | instskip(SKIP_2) | instid1(SALU_CYCLE_2)
	v_readfirstlane_b32 s3, v1
	s_mul_f32 s3, s3, 0x4f7ffffe
	s_wait_alu 0xfffe
	s_cvt_u32_f32 s3, s3
	s_wait_alu 0xfffe
	s_delay_alu instid0(SALU_CYCLE_2) | instskip(NEXT) | instid1(SALU_CYCLE_1)
	s_mul_i32 s4, s4, s3
	s_mul_hi_u32 s4, s3, s4
	s_delay_alu instid0(SALU_CYCLE_1)
	s_add_co_i32 s3, s3, s4
	s_xor_b32 s4, s50, s46
	s_wait_alu 0xfffe
	s_mul_hi_u32 s3, s5, s3
	s_ashr_i32 s4, s4, 31
	s_wait_alu 0xfffe
	s_mul_i32 s6, s3, s2
	s_delay_alu instid0(SALU_CYCLE_1)
	s_sub_co_i32 s5, s5, s6
	s_add_co_i32 s6, s3, 1
	s_sub_co_i32 s7, s5, s2
	s_cmp_ge_u32 s5, s2
	s_cselect_b32 s3, s6, s3
	s_cselect_b32 s5, s7, s5
	s_wait_alu 0xfffe
	s_add_co_i32 s6, s3, 1
	s_cmp_ge_u32 s5, s2
	s_cselect_b32 s2, s6, s3
	s_load_b64 s[6:7], s[0:1], 0x50
	s_xor_b32 s2, s2, s4
	s_mov_b32 s3, 0
	s_wait_alu 0xfffe
	s_sub_co_i32 s9, s2, s4
	s_mov_b32 s54, s3
	s_abs_i32 s8, s9
	s_delay_alu instid0(SALU_CYCLE_1) | instskip(SKIP_1) | instid1(SALU_CYCLE_2)
	s_cvt_f32_u32 s2, s8
	s_wait_alu 0xfffe
	v_rcp_iflag_f32_e32 v1, s2
	s_delay_alu instid0(TRANS32_DEP_1) | instskip(SKIP_2) | instid1(SALU_CYCLE_2)
	v_readfirstlane_b32 s2, v1
	s_mul_f32 s2, s2, 0x4f7ffffe
	s_wait_alu 0xfffe
	s_cvt_u32_f32 s4, s2
	s_sub_co_i32 s2, 0, s8
	s_wait_alu 0xfffe
	s_delay_alu instid0(SALU_CYCLE_1)
	s_mul_i32 s2, s2, s4
	s_wait_alu 0xfffe
	s_mul_hi_u32 s5, s4, s2
	s_abs_i32 s2, ttmp9
	s_add_co_i32 s4, s4, s5
	s_mov_b32 s5, s3
	s_wait_kmcnt 0x0
	s_cmp_eq_u64 s[6:7], 0
	s_cbranch_scc1 .LBB320_3
; %bb.2:
	s_mov_b32 s10, ttmp9
	s_ashr_i32 s11, ttmp9, 31
	s_delay_alu instid0(SALU_CYCLE_1) | instskip(NEXT) | instid1(SALU_CYCLE_1)
	s_lshl_b64 s[10:11], s[10:11], 2
	s_add_nc_u64 s[6:7], s[6:7], s[10:11]
	s_load_b32 s54, s[6:7], 0x0
.LBB320_3:
	s_load_b96 s[36:38], s[0:1], 0x58
	v_and_b32_e32 v1, 3, v0
	s_mul_u64 s[4:5], s[2:3], s[4:5]
	s_ashr_i32 s3, ttmp9, 31
	s_ashr_i32 s4, s9, 31
	s_mul_i32 s34, ttmp9, 0xc0
	s_mov_b32 s6, exec_lo
	v_cmpx_gt_u32_e32 0x60, v0
	s_cbranch_execz .LBB320_5
; %bb.4:
	s_load_b64 s[10:11], s[0:1], 0x18
	s_wait_kmcnt 0x0
	s_mul_i32 s12, s36, s49
	s_ashr_i32 s35, s34, 31
	s_ashr_i32 s13, s12, 31
	v_lshlrev_b32_e32 v2, 2, v0
	s_lshl_b64 s[12:13], s[12:13], 1
	v_and_b32_e32 v3, 0x3fc, v0
	s_delay_alu instid0(VALU_DEP_1) | instskip(SKIP_2) | instid1(SALU_CYCLE_1)
	v_mad_u32_u24 v3, 0x60, v1, v3
	s_add_nc_u64 s[10:11], s[10:11], s[12:13]
	s_lshl_b64 s[12:13], s[34:35], 1
	s_add_nc_u64 s[10:11], s[10:11], s[12:13]
	global_load_b32 v2, v2, s[10:11]
	s_wait_loadcnt 0x0
	ds_store_b32 v3, v2
.LBB320_5:
	s_or_b32 exec_lo, exec_lo, s6
	s_clause 0x1
	s_load_b128 s[24:27], s[0:1], 0x78
	s_load_b32 s7, s[0:1], 0x88
	s_mul_i32 s6, s5, s8
	s_xor_b32 s3, s3, s4
	s_sub_co_i32 s2, s2, s6
	s_add_co_i32 s4, s5, 1
	s_wait_alu 0xfffe
	s_sub_co_i32 s6, s2, s8
	s_cmp_ge_u32 s2, s8
	s_mov_b32 s9, -1
	s_cselect_b32 s4, s4, s5
	s_cselect_b32 s2, s6, s2
	s_add_co_i32 s5, s4, 1
	s_wait_alu 0xfffe
	s_cmp_ge_u32 s2, s8
	s_wait_dscnt 0x0
	s_cselect_b32 s2, s5, s4
	s_add_co_i32 s8, s48, -1
	s_wait_alu 0xfffe
	s_xor_b32 s2, s2, s3
	s_barrier_signal -1
	s_wait_alu 0xfffe
	s_sub_co_i32 s6, s2, s3
	s_barrier_wait -1
	s_wait_kmcnt 0x0
	s_abs_i32 s35, s27
	global_inv scope:SCOPE_SE
	s_cvt_f32_u32 s4, s35
                                        ; implicit-def: $sgpr36
	s_delay_alu instid0(SALU_CYCLE_3) | instskip(NEXT) | instid1(TRANS32_DEP_1)
	v_rcp_iflag_f32_e32 v2, s4
	v_readfirstlane_b32 s4, v2
	s_mul_f32 s2, s4, 0x4f7ffffe
	s_wait_alu 0xfffe
	s_delay_alu instid0(SALU_CYCLE_2) | instskip(SKIP_2) | instid1(SALU_CYCLE_1)
	s_cvt_u32_f32 s4, s2
	s_sub_co_i32 s2, 0, s35
	s_wait_alu 0xfffe
	s_mul_i32 s3, s2, s4
	s_abs_i32 s2, s8
	s_wait_alu 0xfffe
	s_mul_hi_u32 s5, s4, s3
	s_mov_b32 s3, 0
	s_wait_alu 0xfffe
	s_add_co_i32 s40, s4, s5
	s_cmp_lt_i32 s7, 0
	s_mov_b32 s41, s3
	s_cbranch_scc0 .LBB320_7
; %bb.6:
	s_mul_i32 s4, s24, s46
	s_mov_b32 s9, s3
	s_wait_alu 0xfffe
	s_add_co_i32 s4, s6, s4
	s_wait_alu 0xfffe
	s_mul_i32 s4, s4, s7
	s_wait_alu 0xfffe
	s_sub_co_i32 s36, 1, s4
.LBB320_7:
	s_mul_u64 s[4:5], s[2:3], s[40:41]
	s_ashr_i32 s3, s8, 31
	s_and_not1_b32 vcc_lo, exec_lo, s9
	s_ashr_i32 s41, s27, 31
	s_cbranch_vccnz .LBB320_9
; %bb.8:
	s_mul_i32 s4, s50, s24
	s_wait_alu 0xfffe
	s_add_co_i32 s4, s4, ttmp9
	s_wait_alu 0xfffe
	s_mul_i32 s4, s4, s7
	s_wait_alu 0xfffe
	s_add_co_i32 s36, s4, 1
.LBB320_9:
	s_clause 0x3
	s_load_b32 s4, s[0:1], 0x48
	s_load_b64 s[42:43], s[0:1], 0x38
	s_load_b32 s27, s[0:1], 0x98
	s_load_b128 s[28:31], s[0:1], 0x68
	s_mul_i32 s7, s5, s35
	s_xor_b32 s3, s3, s41
	s_sub_co_i32 s2, s2, s7
	s_add_co_i32 s8, s5, 1
	v_lshrrev_b32_e32 v29, 5, v0
	v_mov_b32_e32 v36, 0xff7fffff
	v_mbcnt_lo_u32_b32 v33, -1, 0
	s_mul_i32 s38, s6, s38
	s_delay_alu instid0(VALU_DEP_3)
	v_lshl_add_u32 v30, v29, 3, s51
	s_wait_kmcnt 0x0
	s_mul_i32 s44, s4, s49
	s_wait_alu 0xfffe
	s_sub_co_i32 s4, s2, s35
	s_ashr_i32 s45, s44, 31
	s_cmp_ge_u32 s2, s35
	s_cselect_b32 s5, s8, s5
	s_wait_alu 0xfffe
	s_cselect_b32 s2, s4, s2
	s_add_co_i32 s4, s5, 1
	s_wait_alu 0xfffe
	s_cmp_ge_u32 s2, s35
	s_cselect_b32 s2, s4, s5
	s_add_co_i32 s4, s48, 7
	s_lshl_b32 s55, s33, 6
	s_wait_alu 0xfffe
	s_ashr_i32 s5, s4, 31
	v_or_b32_e32 v31, s55, v29
	s_wait_alu 0xfffe
	s_lshr_b32 s5, s5, 29
	s_wait_alu 0xfffe
	s_add_co_i32 s4, s4, s5
	s_add_co_i32 s5, s55, 64
	s_wait_alu 0xfffe
	s_ashr_i32 s52, s4, 3
	s_xor_b32 s4, s2, s3
	s_min_i32 s46, s5, s52
	v_lshlrev_b32_e32 v32, 2, v31
	v_cmp_gt_i32_e64 s2, s46, v31
	s_wait_alu 0xfffe
	s_sub_co_i32 s53, s4, s3
	s_and_saveexec_b32 s56, s2
	s_cbranch_execz .LBB320_21
; %bb.10:
	s_sub_co_i32 s57, s53, s25
	s_ashr_i32 s39, s38, 31
	s_cmp_neq_f32 s54, 0
	s_load_b64 s[4:5], s[0:1], 0x20
	v_bfe_u32 v34, v0, 2, 3
	v_dual_mov_b32 v40, 0xff7fffff :: v_dual_lshlrev_b32 v3, 1, v1
	s_cselect_b32 vcc_lo, -1, 0
	s_abs_i32 s58, s26
	v_mul_u32_u24_e32 v35, 0x60, v1
	s_cvt_f32_u32 s3, s58
	v_dual_mov_b32 v43, v31 :: v_dual_lshlrev_b32 v4, 2, v34
	v_mov_b32_e32 v36, 0xff7fffff
	s_wait_alu 0xfffe
	v_rcp_iflag_f32_e32 v2, s3
	v_cmp_eq_u32_e64 s3, 0, v1
	v_lshlrev_b32_e32 v1, 4, v34
	s_lshl_b64 s[6:7], s[44:45], 2
	v_subrev_nc_u32_e32 v5, s48, v34
	s_add_nc_u64 s[6:7], s[42:43], s[6:7]
	s_sub_co_i32 s9, 0, s58
	v_lshl_add_u32 v37, v29, 3, s51
	v_xor_b32_e32 v41, 2, v33
	s_wait_kmcnt 0x0
	s_add_nc_u64 s[4:5], s[4:5], s[38:39]
	v_readfirstlane_b32 s8, v2
	s_wait_alu 0xfffe
	v_add_co_u32 v1, s4, s4, v1
	v_lshl_or_b32 v2, v29, 5, v4
	s_wait_alu 0xf1ff
	v_add_co_ci_u32_e64 v4, null, s5, 0, s4
	s_mul_f32 s8, s8, 0x4f7ffffe
	v_add_co_u32 v25, s4, v1, v3
	s_wait_alu 0xf1ff
	v_add_co_ci_u32_e64 v26, null, 0, v4, s4
	s_cvt_u32_f32 s5, s8
	v_add_co_u32 v27, s4, s6, v32
	s_wait_alu 0xf1ff
	v_add_co_ci_u32_e64 v28, null, s7, 0, s4
	s_wait_alu 0xfffe
	s_mul_i32 s9, s9, s5
	v_add_nc_u32_e32 v38, 1, v5
	v_add_nc_u32_e32 v39, 0x1a0, v2
	v_xor_b32_e32 v42, 1, v33
	s_mul_hi_u32 s4, s5, s9
	s_mov_b32 s59, 0
	s_mov_b32 s39, s37
	s_wait_alu 0xfffe
	s_add_co_i32 s60, s5, s4
	s_branch .LBB320_13
.LBB320_11:                             ;   in Loop: Header=BB320_13 Depth=1
	s_wait_alu 0xfffe
	s_or_b32 exec_lo, exec_lo, s5
.LBB320_12:                             ;   in Loop: Header=BB320_13 Depth=1
	s_wait_alu 0xfffe
	s_or_b32 exec_lo, exec_lo, s61
	v_add_nc_u32_e32 v43, 4, v43
	v_add_co_u32 v27, s5, v27, 16
	s_wait_alu 0xf1ff
	v_add_co_ci_u32_e64 v28, null, 0, v28, s5
	s_delay_alu instid0(VALU_DEP_3)
	v_cmp_le_i32_e64 s4, s46, v43
	v_add_nc_u32_e32 v37, 32, v37
	v_add_nc_u32_e32 v39, 0x80, v39
	s_or_b32 s59, s4, s59
	s_wait_alu 0xfffe
	s_and_not1_b32 exec_lo, exec_lo, s59
	s_cbranch_execz .LBB320_20
.LBB320_13:                             ; =>This Inner Loop Header: Depth=1
	v_sub_nc_u32_e32 v1, 0, v37
	s_delay_alu instid0(VALU_DEP_1) | instskip(SKIP_1) | instid1(VALU_DEP_1)
	v_max_i32_e32 v1, v37, v1
	s_wait_dscnt 0x0
	v_mul_hi_u32 v2, v1, s40
	s_delay_alu instid0(VALU_DEP_1) | instskip(NEXT) | instid1(VALU_DEP_1)
	v_mul_lo_u32 v3, v2, s35
	v_sub_nc_u32_e32 v1, v1, v3
	v_add_nc_u32_e32 v3, 1, v2
	s_delay_alu instid0(VALU_DEP_2) | instskip(SKIP_2) | instid1(VALU_DEP_1)
	v_subrev_nc_u32_e32 v4, s35, v1
	v_cmp_le_u32_e64 s4, s35, v1
	s_wait_alu 0xf1ff
	v_cndmask_b32_e64 v2, v2, v3, s4
	s_delay_alu instid0(VALU_DEP_3) | instskip(SKIP_1) | instid1(VALU_DEP_3)
	v_cndmask_b32_e64 v1, v1, v4, s4
	v_ashrrev_i32_e32 v3, 31, v37
	v_add_nc_u32_e32 v4, 1, v2
	s_delay_alu instid0(VALU_DEP_3) | instskip(NEXT) | instid1(VALU_DEP_3)
	v_cmp_le_u32_e64 s4, s35, v1
	v_xor_b32_e32 v3, s41, v3
	s_wait_alu 0xf1ff
	s_delay_alu instid0(VALU_DEP_2) | instskip(NEXT) | instid1(VALU_DEP_1)
	v_cndmask_b32_e64 v1, v2, v4, s4
	v_xor_b32_e32 v1, v1, v3
	s_delay_alu instid0(VALU_DEP_1) | instskip(NEXT) | instid1(VALU_DEP_1)
	v_sub_nc_u32_e32 v1, v1, v3
	v_add_nc_u32_e32 v2, s36, v1
	v_cmp_ge_i32_e64 s5, s57, v1
	s_delay_alu instid0(VALU_DEP_2) | instskip(NEXT) | instid1(VALU_DEP_1)
	v_sub_nc_u32_e32 v3, 0, v2
	v_max_i32_e32 v3, v2, v3
	v_ashrrev_i32_e32 v2, 31, v2
	s_delay_alu instid0(VALU_DEP_2) | instskip(NEXT) | instid1(VALU_DEP_1)
	v_mul_hi_u32 v4, v3, s60
	v_mul_lo_u32 v4, v4, s58
	s_delay_alu instid0(VALU_DEP_1) | instskip(NEXT) | instid1(VALU_DEP_1)
	v_sub_nc_u32_e32 v3, v3, v4
	v_subrev_nc_u32_e32 v4, s58, v3
	v_cmp_le_u32_e64 s4, s58, v3
	s_wait_alu 0xf1ff
	s_delay_alu instid0(VALU_DEP_1) | instskip(NEXT) | instid1(VALU_DEP_1)
	v_cndmask_b32_e64 v3, v3, v4, s4
	v_subrev_nc_u32_e32 v4, s58, v3
	v_cmp_le_u32_e64 s4, s58, v3
	s_wait_alu 0xf1ff
	s_delay_alu instid0(VALU_DEP_1) | instskip(NEXT) | instid1(VALU_DEP_1)
	v_cndmask_b32_e64 v3, v3, v4, s4
	v_xor_b32_e32 v3, v3, v2
	s_delay_alu instid0(VALU_DEP_1) | instskip(NEXT) | instid1(VALU_DEP_1)
	v_sub_nc_u32_e32 v2, v3, v2
	v_cmp_ne_u32_e64 s4, 0, v2
	s_and_b32 s4, s4, s5
	s_wait_alu 0xfffe
	s_and_saveexec_b32 s5, s4
	s_wait_alu 0xfffe
	s_xor_b32 s4, exec_lo, s5
	s_cbranch_execz .LBB320_17
; %bb.14:                               ;   in Loop: Header=BB320_13 Depth=1
	s_and_saveexec_b32 s5, s3
; %bb.15:                               ;   in Loop: Header=BB320_13 Depth=1
	ds_store_b32 v39, v40
; %bb.16:                               ;   in Loop: Header=BB320_13 Depth=1
	s_wait_alu 0xfffe
	s_or_b32 exec_lo, exec_lo, s5
.LBB320_17:                             ;   in Loop: Header=BB320_13 Depth=1
	s_wait_alu 0xfffe
	s_and_not1_saveexec_b32 s61, s4
	s_cbranch_execz .LBB320_12
; %bb.18:                               ;   in Loop: Header=BB320_13 Depth=1
	global_load_b32 v1, v[27:28], off
	s_wait_loadcnt 0x0
	v_mad_co_i64_i32 v[1:2], null, v1, s39, v[25:26]
	s_clause 0x17
	global_load_u16 v44, v[1:2], off offset:8
	global_load_u16 v45, v[1:2], off offset:128
	;; [unrolled: 1-line block ×7, first 2 shown]
	global_load_u16 v54, v[1:2], off
	global_load_u16 v51, v[1:2], off offset:512
	global_load_u16 v52, v[1:2], off offset:520
	;; [unrolled: 1-line block ×16, first 2 shown]
	ds_load_b128 v[21:24], v35
	ds_load_b128 v[17:20], v35 offset:16
	ds_load_b128 v[13:16], v35 offset:32
	;; [unrolled: 1-line block ×5, first 2 shown]
	s_load_b32 s4, s[28:29], 0x0
	s_wait_dscnt 0x5
	v_lshlrev_b32_e32 v94, 16, v22
	s_wait_dscnt 0x4
	v_lshlrev_b32_e32 v87, 16, v17
	v_lshlrev_b32_e32 v92, 16, v21
	s_wait_dscnt 0x3
	v_lshlrev_b32_e32 v83, 16, v13
	s_wait_loadcnt 0x15
	v_and_b32_e32 v95, 0xff, v46
	v_lshrrev_b16 v46, 8, v46
	s_wait_loadcnt 0x13
	v_and_b32_e32 v97, 0xff, v48
	v_lshrrev_b16 v48, 8, v48
	;; [unrolled: 3-line block ×3, first 2 shown]
	s_delay_alu instid0(VALU_DEP_3)
	v_and_b32_e32 v48, 0xffff, v48
	s_wait_loadcnt 0xc
	v_and_b32_e32 v103, 0xff, v55
	v_lshrrev_b16 v55, 8, v55
	s_wait_loadcnt 0xa
	v_and_b32_e32 v105, 0xff, v57
	v_and_b32_e32 v51, 0xffff, v51
	v_lshrrev_b16 v57, 8, v57
	v_cvt_f32_fp8_e32 v48, v48
	v_and_b32_e32 v55, 0xffff, v55
	s_wait_dscnt 0x2
	v_lshlrev_b32_e32 v77, 16, v11
	v_cvt_f32_fp8_e32 v51, v51
	v_lshlrev_b32_e32 v78, 16, v10
	s_wait_kmcnt 0x0
	v_mul_f32_e32 v122, s4, v48
	v_cvt_f32_fp8_e32 v55, v55
	s_wait_dscnt 0x0
	v_dual_mul_f32 v125, s4, v51 :: v_dual_lshlrev_b32 v70, 16, v2
	v_and_b32_e32 v95, 0xffff, v95
	v_and_b32_e32 v97, 0xffff, v97
	v_mul_f32_e32 v55, s4, v55
	v_and_b32_e32 v105, 0xffff, v105
	s_wait_loadcnt 0x4
	v_and_b32_e32 v111, 0xff, v63
	v_cvt_f32_fp8_e32 v95, v95
	v_lshlrev_b32_e32 v88, 16, v24
	v_cvt_f32_fp8_e32 v97, v97
	v_cvt_f32_fp8_e32 v105, v105
	s_delay_alu instid0(VALU_DEP_4) | instskip(SKIP_2) | instid1(VALU_DEP_4)
	v_dual_mul_f32 v95, s4, v95 :: v_dual_lshlrev_b32 v68, 16, v4
	v_and_b32_e32 v101, 0xff, v52
	v_lshrrev_b16 v52, 8, v52
	v_mul_f32_e32 v105, s4, v105
	v_and_b32_e32 v103, 0xffff, v103
	v_dual_mul_f32 v97, s4, v97 :: v_dual_lshlrev_b32 v84, 16, v20
	s_delay_alu instid0(VALU_DEP_4) | instskip(SKIP_1) | instid1(VALU_DEP_4)
	v_and_b32_e32 v52, 0xffff, v52
	v_and_b32_e32 v109, 0xff, v61
	v_cvt_f32_fp8_e32 v103, v103
	v_lshlrev_b32_e32 v72, 16, v8
	v_lshrrev_b16 v61, 8, v61
	v_cvt_f32_fp8_e32 v52, v52
	v_lshlrev_b32_e32 v69, 16, v3
	v_mul_f32_e32 v103, s4, v103
	v_and_b32_e32 v101, 0xffff, v101
	v_lshrrev_b16 v63, 8, v63
	v_dual_mul_f32 v52, s4, v52 :: v_dual_and_b32 v57, 0xffff, v57
	v_and_b32_e32 v104, 0xff, v56
	s_delay_alu instid0(VALU_DEP_4) | instskip(SKIP_3) | instid1(VALU_DEP_4)
	v_cvt_f32_fp8_e32 v101, v101
	v_lshlrev_b32_e32 v76, 16, v12
	v_and_b32_e32 v61, 0xffff, v61
	v_cvt_f32_fp8_e32 v57, v57
	v_dual_mul_f32 v101, s4, v101 :: v_dual_and_b32 v90, 0xffff0000, v23
	v_and_b32_e32 v63, 0xffff, v63
	s_delay_alu instid0(VALU_DEP_3)
	v_dual_mul_f32 v57, s4, v57 :: v_dual_and_b32 v104, 0xffff, v104
	v_and_b32_e32 v96, 0xff, v47
	v_lshrrev_b16 v47, 8, v47
	v_cvt_f32_fp8_e32 v61, v61
	v_cvt_f32_fp8_e32 v63, v63
	s_wait_loadcnt 0x1
	v_and_b32_e32 v114, 0xff, v66
	v_cvt_f32_fp8_e32 v104, v104
	v_and_b32_e32 v47, 0xffff, v47
	v_and_b32_e32 v93, 0xffff0000, v22
	;; [unrolled: 1-line block ×4, first 2 shown]
	v_mul_f32_e32 v104, s4, v104
	v_cvt_f32_fp8_e32 v47, v47
	v_lshlrev_b32_e32 v86, 16, v18
	v_lshrrev_b16 v56, 8, v56
	v_cvt_f32_fp8_e32 v114, v114
	s_delay_alu instid0(VALU_DEP_4)
	v_dual_mul_f32 v121, s4, v47 :: v_dual_and_b32 v108, 0xff, v60
	v_and_b32_e32 v107, 0xff, v59
	v_lshrrev_b16 v59, 8, v59
	v_mul_f32_e32 v61, s4, v61
	v_lshrrev_b16 v60, 8, v60
	v_cvt_f32_fp8_e32 v109, v109
	v_and_b32_e32 v107, 0xffff, v107
	v_and_b32_e32 v59, 0xffff, v59
	;; [unrolled: 1-line block ×5, first 2 shown]
	v_cvt_f32_fp8_e32 v107, v107
	v_and_b32_e32 v24, 0xffff0000, v24
	v_cvt_f32_fp8_e32 v59, v59
	v_and_b32_e32 v22, 0xffff0000, v18
	s_delay_alu instid0(VALU_DEP_4) | instskip(SKIP_4) | instid1(VALU_DEP_4)
	v_dual_mul_f32 v107, s4, v107 :: v_dual_and_b32 v18, 0xffff0000, v14
	v_and_b32_e32 v98, 0xff, v49
	v_lshrrev_b16 v49, 8, v49
	v_and_b32_e32 v112, 0xff, v65
	v_lshrrev_b16 v65, 8, v65
	v_dual_mul_f32 v59, s4, v59 :: v_dual_and_b32 v98, 0xffff, v98
	v_and_b32_e32 v102, 0xff, v53
	v_lshrrev_b16 v53, 8, v53
	s_delay_alu instid0(VALU_DEP_4)
	v_and_b32_e32 v65, 0xffff, v65
	v_and_b32_e32 v108, 0xffff, v108
	v_cvt_f32_fp8_e32 v98, v98
	v_lshlrev_b32_e32 v75, 16, v5
	v_mul_f32_e32 v51, s4, v63
	v_cvt_f32_fp8_e32 v65, v65
	v_and_b32_e32 v60, 0xffff, v60
	v_dual_mul_f32 v98, s4, v98 :: v_dual_and_b32 v49, 0xffff, v49
	v_dual_mul_f32 v109, s4, v109 :: v_dual_and_b32 v112, 0xffff, v112
	v_and_b32_e32 v106, 0xff, v58
	v_lshrrev_b16 v58, 8, v58
	s_delay_alu instid0(VALU_DEP_4)
	v_cvt_f32_fp8_e32 v49, v49
	v_lshlrev_b32_e32 v82, 16, v14
	v_and_b32_e32 v14, 0xffff0000, v10
	v_and_b32_e32 v46, 0xffff, v46
	;; [unrolled: 1-line block ×3, first 2 shown]
	v_dual_mul_f32 v48, s4, v65 :: v_dual_and_b32 v5, 0xffff0000, v8
	v_and_b32_e32 v8, 0xff, v54
	s_delay_alu instid0(VALU_DEP_4)
	v_cvt_f32_fp8_e32 v46, v46
	v_lshlrev_b32_e32 v81, 16, v15
	v_mul_f32_e32 v123, s4, v49
	v_and_b32_e32 v113, 0xff, v64
	v_lshrrev_b16 v64, 8, v64
	s_wait_loadcnt 0x0
	v_dual_mul_f32 v120, s4, v46 :: v_dual_and_b32 v115, 0xff, v67
	v_lshrrev_b16 v67, 8, v67
	v_and_b32_e32 v8, 0xffff, v8
	v_and_b32_e32 v64, 0xffff, v64
	;; [unrolled: 1-line block ×5, first 2 shown]
	v_cvt_f32_fp8_e32 v8, v8
	v_lshlrev_b32_e32 v89, 16, v23
	v_cvt_f32_fp8_e32 v64, v64
	v_and_b32_e32 v58, 0xffff, v58
	v_cvt_f32_fp8_e32 v67, v67
	v_and_b32_e32 v2, 0xffff0000, v2
	v_and_b32_e32 v100, 0xffff, v100
	v_dual_mul_f32 v8, s4, v8 :: v_dual_and_b32 v99, 0xff, v50
	v_lshrrev_b16 v50, 8, v50
	v_mul_f32_e32 v46, s4, v64
	s_delay_alu instid0(VALU_DEP_4)
	v_cvt_f32_fp8_e32 v100, v100
	v_lshlrev_b32_e32 v71, 16, v1
	v_and_b32_e32 v1, 0xffff0000, v1
	v_and_b32_e32 v50, 0xffff, v50
	v_cvt_f32_fp8_e32 v96, v96
	v_dual_mul_f32 v100, s4, v100 :: v_dual_and_b32 v53, 0xffff, v53
	v_lshlrev_b32_e32 v79, 16, v9
	s_delay_alu instid0(VALU_DEP_4)
	v_cvt_f32_fp8_e32 v50, v50
	v_lshlrev_b32_e32 v73, 16, v7
	v_cvt_f32_fp8_e32 v56, v56
	v_and_b32_e32 v23, 0xffff0000, v17
	v_cvt_f32_fp8_e32 v53, v53
	v_lshlrev_b32_e32 v74, 16, v6
	v_cvt_f32_fp8_e32 v108, v108
	v_and_b32_e32 v17, 0xffff0000, v15
	v_cvt_f32_fp8_e32 v60, v60
	v_and_b32_e32 v15, 0xffff0000, v9
	;; [unrolled: 2-line block ×5, first 2 shown]
	v_lshrrev_b16 v44, 8, v44
	v_and_b32_e32 v102, 0xffff, v102
	v_and_b32_e32 v106, 0xffff, v106
	v_cvt_f32_fp8_e32 v58, v58
	v_mul_f32_e32 v124, s4, v50
	v_mul_f32_e32 v50, s4, v112
	v_and_b32_e32 v44, 0xffff, v44
	v_cvt_f32_fp8_e32 v102, v102
	v_and_b32_e32 v91, 0xffff0000, v21
	v_cvt_f32_fp8_e32 v106, v106
	;; [unrolled: 2-line block ×3, first 2 shown]
	v_lshlrev_b32_e32 v85, 16, v19
	v_dual_mul_f32 v58, s4, v58 :: v_dual_and_b32 v19, 0xffff0000, v13
	v_and_b32_e32 v110, 0xff, v62
	v_lshrrev_b16 v62, 8, v62
	v_mul_f32_e32 v102, s4, v102
	v_dual_mul_f32 v96, s4, v96 :: v_dual_mul_f32 v53, s4, v53
	s_delay_alu instid0(VALU_DEP_4) | instskip(NEXT) | instid1(VALU_DEP_4)
	v_and_b32_e32 v110, 0xffff, v110
	v_and_b32_e32 v62, 0xffff, v62
	;; [unrolled: 1-line block ×3, first 2 shown]
	v_lshrrev_b16 v66, 8, v66
	v_and_b32_e32 v111, 0xffff, v111
	v_cvt_f32_fp8_e32 v110, v110
	v_and_b32_e32 v13, 0xffff0000, v11
	v_cvt_f32_fp8_e32 v62, v62
	v_and_b32_e32 v11, 0xffff0000, v12
	v_lshrrev_b16 v12, 8, v54
	v_and_b32_e32 v54, 0xff, v45
	v_lshrrev_b16 v45, 8, v45
	v_cvt_f32_fp8_e32 v99, v99
	v_lshlrev_b32_e32 v80, 16, v16
	v_and_b32_e32 v66, 0xffff, v66
	s_delay_alu instid0(VALU_DEP_4) | instskip(NEXT) | instid1(VALU_DEP_4)
	v_dual_mul_f32 v60, s4, v60 :: v_dual_and_b32 v45, 0xffff, v45
	v_dual_mul_f32 v99, s4, v99 :: v_dual_and_b32 v54, 0xffff, v54
	v_cvt_f32_fp8_e32 v111, v111
	s_delay_alu instid0(VALU_DEP_4) | instskip(NEXT) | instid1(VALU_DEP_4)
	v_cvt_f32_fp8_e32 v66, v66
	v_cvt_f32_fp8_e32 v45, v45
	v_and_b32_e32 v16, 0xffff0000, v16
	v_cvt_f32_fp8_e32 v54, v54
	v_dual_mul_f32 v118, s4, v44 :: v_dual_and_b32 v3, 0xffff0000, v3
	s_delay_alu instid0(VALU_DEP_4) | instskip(SKIP_1) | instid1(VALU_DEP_4)
	v_mul_f32_e32 v119, s4, v45
	v_dual_mul_f32 v45, s4, v114 :: v_dual_and_b32 v12, 0xffff, v12
	v_mul_f32_e32 v54, s4, v54
	v_mul_f32_e32 v56, s4, v56
	;; [unrolled: 1-line block ×4, first 2 shown]
	v_cvt_f32_fp8_e32 v12, v12
	v_mul_f32_e32 v110, s4, v110
	v_dual_mul_f32 v62, s4, v62 :: v_dual_mul_f32 v111, s4, v111
	v_mul_f32_e32 v47, s4, v113
	s_delay_alu instid0(VALU_DEP_4) | instskip(SKIP_3) | instid1(VALU_DEP_4)
	v_dual_mul_f32 v117, s4, v12 :: v_dual_mul_f32 v12, s4, v115
	v_dual_mul_f32 v44, s4, v66 :: v_dual_and_b32 v7, 0xffff, v7
	v_bfe_u32 v63, v8, 16, 1
	v_or_b32_e32 v65, 0x400000, v8
	v_bfe_u32 v66, v117, 16, 1
	s_delay_alu instid0(VALU_DEP_4)
	v_cvt_f32_fp8_e32 v7, v7
	v_cmp_u_f32_e64 s5, v118, v118
	v_add3_u32 v63, v63, v8, 0x7fff
	v_or_b32_e32 v112, 0x400000, v54
	v_add3_u32 v66, v66, v117, 0x7fff
	v_mul_f32_e32 v116, s4, v7
	v_mul_f32_e32 v7, s4, v67
	v_bfe_u32 v67, v118, 16, 1
	v_or_b32_e32 v114, 0x400000, v119
	v_or_b32_e32 v115, 0x400000, v95
	v_bfe_u32 v49, v116, 16, 1
	v_or_b32_e32 v64, 0x400000, v116
	v_cmp_u_f32_e64 s4, v116, v116
	v_add3_u32 v67, v67, v118, 0x7fff
	v_cmp_u_f32_e64 s6, v54, v54
	v_add3_u32 v49, v49, v116, 0x7fff
	v_or_b32_e32 v116, 0x400000, v120
	v_cmp_u_f32_e64 s7, v124, v124
	v_cmp_u_f32_e64 s8, v100, v100
	;; [unrolled: 1-line block ×3, first 2 shown]
	s_wait_alu 0xf1ff
	v_cndmask_b32_e64 v49, v49, v64, s4
	v_cmp_u_f32_e64 s4, v8, v8
	v_or_b32_e32 v64, 0x400000, v117
	v_cmp_u_f32_e64 s14, v103, v103
	v_cmp_u_f32_e64 s10, v101, v101
	v_and_b32_e32 v49, 0xffff0000, v49
	s_wait_alu 0xf1ff
	v_cndmask_b32_e64 v8, v63, v65, s4
	v_or_b32_e32 v65, 0x400000, v118
	v_bfe_u32 v63, v54, 16, 1
	v_cmp_u_f32_e64 s4, v117, v117
	v_or_b32_e32 v117, 0x400000, v96
	v_dual_mul_f32 v8, v94, v49 :: v_dual_and_b32 v113, 0xffff0000, v8
	v_bfe_u32 v49, v119, 16, 1
	v_bfe_u32 v94, v95, 16, 1
	v_cndmask_b32_e64 v65, v67, v65, s5
	v_add3_u32 v63, v63, v54, 0x7fff
	v_fmac_f32_e32 v8, v92, v113
	v_bfe_u32 v92, v120, 16, 1
	v_bfe_u32 v113, v96, 16, 1
	v_add3_u32 v118, v49, v119, 0x7fff
	v_cmp_u_f32_e64 s5, v119, v119
	s_wait_alu 0xf1ff
	v_cndmask_b32_e64 v49, v66, v64, s4
	v_and_b32_e32 v64, 0xffff0000, v65
	v_add3_u32 v94, v94, v95, 0x7fff
	v_cmp_u_f32_e64 s4, v95, v95
	v_bfe_u32 v54, v121, 16, 1
	v_cndmask_b32_e64 v63, v63, v112, s6
	v_dual_mul_f32 v49, v93, v64 :: v_dual_and_b32 v112, 0xffff0000, v49
	v_cndmask_b32_e64 v93, v118, v114, s5
	v_add3_u32 v92, v92, v120, 0x7fff
	v_cmp_u_f32_e64 s5, v120, v120
	s_wait_alu 0xf1ff
	v_cndmask_b32_e64 v94, v94, v115, s4
	v_add3_u32 v113, v113, v96, 0x7fff
	v_cmp_u_f32_e64 s4, v96, v96
	v_or_b32_e32 v67, 0x400000, v121
	v_bfe_u32 v119, v97, 16, 1
	v_bfe_u32 v66, v122, 16, 1
	v_and_b32_e32 v63, 0xffff0000, v63
	v_fmac_f32_e32 v49, v91, v112
	v_and_b32_e32 v93, 0xffff0000, v93
	v_cndmask_b32_e64 v92, v92, v116, s5
	s_wait_alu 0xf1ff
	v_cndmask_b32_e64 v113, v113, v117, s4
	v_add3_u32 v54, v54, v121, 0x7fff
	v_cmp_u_f32_e64 s4, v121, v121
	v_or_b32_e32 v65, 0x400000, v97
	v_or_b32_e32 v64, 0x400000, v122
	v_bfe_u32 v114, v98, 16, 1
	v_bfe_u32 v112, v123, 16, 1
	v_dual_fmac_f32 v8, v89, v63 :: v_dual_fmac_f32 v49, v90, v93
	v_and_b32_e32 v94, 0xffff0000, v94
	v_and_b32_e32 v92, 0xffff0000, v92
	v_add3_u32 v119, v119, v97, 0x7fff
	v_cmp_u_f32_e64 s5, v97, v97
	s_wait_alu 0xf1ff
	v_cndmask_b32_e64 v54, v54, v67, s4
	v_add3_u32 v66, v66, v122, 0x7fff
	v_cmp_u_f32_e64 s4, v122, v122
	v_or_b32_e32 v91, 0x400000, v98
	v_bfe_u32 v63, v99, 16, 1
	v_or_b32_e32 v89, 0x400000, v123
	v_bfe_u32 v93, v124, 16, 1
	v_fmac_f32_e32 v8, v88, v94
	v_dual_fmac_f32 v49, v24, v92 :: v_dual_and_b32 v94, 0xffff0000, v113
	v_cndmask_b32_e64 v65, v119, v65, s5
	v_and_b32_e32 v54, 0xffff0000, v54
	s_wait_alu 0xf1ff
	v_cndmask_b32_e64 v64, v66, v64, s4
	v_add3_u32 v114, v114, v98, 0x7fff
	v_cmp_u_f32_e64 s4, v98, v98
	v_add3_u32 v112, v112, v123, 0x7fff
	v_cmp_u_f32_e64 s5, v123, v123
	v_or_b32_e32 v90, 0x400000, v99
	v_or_b32_e32 v95, 0x400000, v124
	v_bfe_u32 v118, v100, 16, 1
	v_bfe_u32 v96, v125, 16, 1
	v_fmac_f32_e32 v8, v87, v94
	v_bfe_u32 v97, v103, 16, 1
	v_and_b32_e32 v65, 0xffff0000, v65
	v_dual_fmac_f32 v49, v23, v54 :: v_dual_and_b32 v54, 0xffff0000, v64
	v_add3_u32 v63, v63, v99, 0x7fff
	v_cmp_u_f32_e64 s6, v99, v99
	v_add3_u32 v93, v93, v124, 0x7fff
	s_wait_alu 0xf1ff
	v_cndmask_b32_e64 v91, v114, v91, s4
	v_cndmask_b32_e64 v89, v112, v89, s5
	v_or_b32_e32 v115, 0x400000, v100
	v_or_b32_e32 v116, 0x400000, v125
	v_bfe_u32 v117, v101, 16, 1
	v_bfe_u32 v113, v52, 16, 1
	v_or_b32_e32 v67, 0x400000, v103
	v_bfe_u32 v66, v104, 16, 1
	v_bfe_u32 v64, v56, 16, 1
	v_fmac_f32_e32 v8, v86, v65
	v_fmac_f32_e32 v49, v22, v54
	v_add3_u32 v118, v118, v100, 0x7fff
	v_add3_u32 v96, v96, v125, 0x7fff
	;; [unrolled: 1-line block ×3, first 2 shown]
	v_bfe_u32 v103, v60, 16, 1
	v_cndmask_b32_e64 v63, v63, v90, s6
	v_cndmask_b32_e64 v93, v93, v95, s7
	v_and_b32_e32 v91, 0xffff0000, v91
	v_and_b32_e32 v89, 0xffff0000, v89
	v_or_b32_e32 v88, 0x400000, v101
	v_or_b32_e32 v24, 0x400000, v52
	v_bfe_u32 v92, v102, 16, 1
	v_bfe_u32 v94, v53, 16, 1
	v_or_b32_e32 v23, 0x400000, v104
	v_or_b32_e32 v65, 0x400000, v56
	v_bfe_u32 v86, v105, 16, 1
	v_bfe_u32 v54, v57, 16, 1
	v_add3_u32 v117, v117, v101, 0x7fff
	v_add3_u32 v113, v113, v52, 0x7fff
	v_cmp_u_f32_e64 s11, v52, v52
	v_add3_u32 v66, v66, v104, 0x7fff
	v_cmp_u_f32_e64 s16, v104, v104
	v_bfe_u32 v104, v109, 16, 1
	v_add3_u32 v64, v64, v56, 0x7fff
	v_cmp_u_f32_e64 s17, v56, v56
	v_or_b32_e32 v56, 0x400000, v60
	v_cndmask_b32_e64 v115, v118, v115, s8
	v_cndmask_b32_e64 v96, v96, v116, s9
	v_add3_u32 v103, v103, v60, 0x7fff
	v_and_b32_e32 v63, 0xffff0000, v63
	v_dual_fmac_f32 v8, v85, v91 :: v_dual_and_b32 v93, 0xffff0000, v93
	v_fmac_f32_e32 v49, v21, v89
	v_cmp_u_f32_e64 s4, v60, v60
	v_or_b32_e32 v87, 0x400000, v102
	v_or_b32_e32 v120, 0x400000, v53
	v_bfe_u32 v121, v55, 16, 1
	v_or_b32_e32 v22, 0x400000, v105
	v_or_b32_e32 v98, 0x400000, v57
	v_bfe_u32 v122, v106, 16, 1
	v_bfe_u32 v99, v58, 16, 1
	v_add3_u32 v92, v92, v102, 0x7fff
	v_cmp_u_f32_e64 s12, v102, v102
	v_add3_u32 v94, v94, v53, 0x7fff
	v_cmp_u_f32_e64 s13, v53, v53
	;; [unrolled: 2-line block ×3, first 2 shown]
	v_bfe_u32 v105, v61, 16, 1
	v_add3_u32 v54, v54, v57, 0x7fff
	v_cmp_u_f32_e64 s19, v57, v57
	v_or_b32_e32 v57, 0x400000, v109
	v_cndmask_b32_e64 v88, v117, v88, s10
	s_wait_alu 0xf1ff
	v_cndmask_b32_e64 v24, v113, v24, s11
	v_add3_u32 v104, v104, v109, 0x7fff
	v_cndmask_b32_e64 v21, v103, v56, s4
	v_and_b32_e32 v56, 0xffff0000, v115
	v_and_b32_e32 v60, 0xffff0000, v96
	v_fmac_f32_e32 v8, v84, v63
	v_fmac_f32_e32 v49, v20, v93
	v_cmp_u_f32_e64 s4, v109, v109
	v_or_b32_e32 v119, 0x400000, v55
	v_or_b32_e32 v123, 0x400000, v106
	v_bfe_u32 v100, v107, 16, 1
	v_or_b32_e32 v124, 0x400000, v58
	v_bfe_u32 v101, v59, 16, 1
	v_add3_u32 v121, v121, v55, 0x7fff
	v_cmp_u_f32_e64 s15, v55, v55
	v_add3_u32 v122, v122, v106, 0x7fff
	v_cmp_u_f32_e64 s20, v106, v106
	v_bfe_u32 v106, v110, 16, 1
	v_add3_u32 v99, v99, v58, 0x7fff
	v_cmp_u_f32_e64 s21, v58, v58
	v_or_b32_e32 v58, 0x400000, v61
	v_cndmask_b32_e64 v87, v92, v87, s12
	v_cndmask_b32_e64 v94, v94, v120, s13
	v_add3_u32 v105, v105, v61, 0x7fff
	s_wait_alu 0xf1ff
	v_cndmask_b32_e64 v20, v104, v57, s4
	v_and_b32_e32 v57, 0xffff0000, v88
	v_and_b32_e32 v24, 0xffff0000, v24
	v_fmac_f32_e32 v8, v83, v56
	v_fmac_f32_e32 v49, v19, v60
	v_cmp_u_f32_e64 s4, v61, v61
	v_or_b32_e32 v52, 0x400000, v107
	v_bfe_u32 v102, v108, 16, 1
	v_or_b32_e32 v53, 0x400000, v59
	v_add3_u32 v100, v100, v107, 0x7fff
	v_cmp_u_f32_e64 s22, v107, v107
	v_bfe_u32 v107, v62, 16, 1
	v_add3_u32 v101, v101, v59, 0x7fff
	v_cmp_u_f32_e64 s23, v59, v59
	v_or_b32_e32 v59, 0x400000, v110
	v_cndmask_b32_e64 v67, v97, v67, s14
	v_cndmask_b32_e64 v119, v121, v119, s15
	v_add3_u32 v106, v106, v110, 0x7fff
	s_wait_alu 0xf1ff
	v_cndmask_b32_e64 v19, v105, v58, s4
	v_and_b32_e32 v56, 0xffff0000, v87
	v_and_b32_e32 v58, 0xffff0000, v94
	v_fmac_f32_e32 v8, v82, v57
	v_fmac_f32_e32 v49, v18, v24
	v_cmp_u_f32_e64 s4, v110, v110
	v_or_b32_e32 v55, 0x400000, v108
	v_add3_u32 v102, v102, v108, 0x7fff
	v_cmp_u_f32_e64 s24, v108, v108
	v_bfe_u32 v108, v111, 16, 1
	v_or_b32_e32 v114, 0x400000, v62
	v_cndmask_b32_e64 v23, v66, v23, s16
	v_cndmask_b32_e64 v64, v64, v65, s17
	v_add3_u32 v107, v107, v62, 0x7fff
	s_wait_alu 0xf1ff
	v_cndmask_b32_e64 v18, v106, v59, s4
	v_and_b32_e32 v24, 0xffff0000, v67
	v_dual_fmac_f32 v8, v81, v56 :: v_dual_and_b32 v57, 0xffff0000, v119
	v_fmac_f32_e32 v49, v17, v58
	v_cmp_u_f32_e64 s4, v62, v62
	v_bfe_u32 v112, v51, 16, 1
	v_or_b32_e32 v90, 0x400000, v111
	v_cndmask_b32_e64 v22, v86, v22, s18
	v_cndmask_b32_e64 v54, v54, v98, s19
	v_add3_u32 v108, v108, v111, 0x7fff
	s_wait_alu 0xf1ff
	v_cndmask_b32_e64 v17, v107, v114, s4
	v_and_b32_e32 v23, 0xffff0000, v23
	v_and_b32_e32 v56, 0xffff0000, v64
	v_fmac_f32_e32 v8, v80, v24
	v_fmac_f32_e32 v49, v16, v57
	v_cmp_u_f32_e64 s4, v111, v111
	v_bfe_u32 v95, v50, 16, 1
	v_or_b32_e32 v118, 0x400000, v51
	v_cndmask_b32_e64 v122, v122, v123, s20
	v_cndmask_b32_e64 v99, v99, v124, s21
	v_add3_u32 v112, v112, v51, 0x7fff
	s_wait_alu 0xf1ff
	v_cndmask_b32_e64 v16, v108, v90, s4
	v_and_b32_e32 v22, 0xffff0000, v22
	v_and_b32_e32 v24, 0xffff0000, v54
	v_fmac_f32_e32 v8, v79, v23
	v_fmac_f32_e32 v49, v15, v56
	v_cmp_u_f32_e64 s4, v51, v51
	v_bfe_u32 v116, v48, 16, 1
	v_or_b32_e32 v117, 0x400000, v50
	v_cndmask_b32_e64 v52, v100, v52, s22
	v_cndmask_b32_e64 v53, v101, v53, s23
	v_add3_u32 v95, v95, v50, 0x7fff
	s_wait_alu 0xf1ff
	v_cndmask_b32_e64 v15, v112, v118, s4
	v_and_b32_e32 v23, 0xffff0000, v122
	v_dual_fmac_f32 v8, v78, v22 :: v_dual_and_b32 v51, 0xffff0000, v99
	v_fmac_f32_e32 v49, v14, v24
	v_cmp_u_f32_e64 s4, v50, v50
	v_bfe_u32 v113, v47, 16, 1
	v_or_b32_e32 v92, 0x400000, v48
	v_add3_u32 v116, v116, v48, 0x7fff
	v_cndmask_b32_e64 v55, v102, v55, s24
	s_wait_alu 0xf1ff
	v_cndmask_b32_e64 v14, v95, v117, s4
	v_and_b32_e32 v22, 0xffff0000, v52
	v_and_b32_e32 v24, 0xffff0000, v53
	v_fmac_f32_e32 v8, v77, v23
	v_fmac_f32_e32 v49, v13, v51
	v_cmp_u_f32_e64 s4, v48, v48
	v_bfe_u32 v120, v46, 16, 1
	v_or_b32_e32 v97, 0x400000, v47
	v_add3_u32 v113, v113, v47, 0x7fff
	v_and_b32_e32 v23, 0xffff0000, v55
	s_wait_alu 0xf1ff
	v_cndmask_b32_e64 v13, v116, v92, s4
	v_dual_fmac_f32 v8, v76, v22 :: v_dual_and_b32 v21, 0xffff0000, v21
	v_fmac_f32_e32 v49, v11, v24
	v_cmp_u_f32_e64 s4, v47, v47
	v_bfe_u32 v121, v45, 16, 1
	v_or_b32_e32 v66, 0x400000, v46
	v_add3_u32 v120, v120, v46, 0x7fff
	v_and_b32_e32 v20, 0xffff0000, v20
	s_wait_alu 0xf1ff
	v_cndmask_b32_e64 v11, v113, v97, s4
	v_and_b32_e32 v19, 0xffff0000, v19
	v_dual_fmac_f32 v8, v75, v23 :: v_dual_fmac_f32 v49, v10, v21
	v_cmp_u_f32_e64 s4, v46, v46
	v_bfe_u32 v65, v44, 16, 1
	v_or_b32_e32 v86, 0x400000, v45
	v_add3_u32 v121, v121, v45, 0x7fff
	v_and_b32_e32 v18, 0xffff0000, v18
	s_wait_alu 0xf1ff
	v_cndmask_b32_e64 v10, v120, v66, s4
	v_dual_fmac_f32 v8, v74, v20 :: v_dual_and_b32 v17, 0xffff0000, v17
	v_fmac_f32_e32 v49, v9, v19
	v_cmp_u_f32_e64 s4, v45, v45
	v_bfe_u32 v98, v12, 16, 1
	v_or_b32_e32 v123, 0x400000, v44
	v_add3_u32 v65, v65, v44, 0x7fff
	v_and_b32_e32 v16, 0xffff0000, v16
	s_wait_alu 0xf1ff
	v_cndmask_b32_e64 v9, v121, v86, s4
	v_dual_fmac_f32 v8, v73, v18 :: v_dual_and_b32 v15, 0xffff0000, v15
	v_fmac_f32_e32 v49, v6, v17
	v_cmp_u_f32_e64 s4, v44, v44
	v_bfe_u32 v124, v7, 16, 1
	v_or_b32_e32 v100, 0x400000, v12
	v_add3_u32 v98, v98, v12, 0x7fff
	v_and_b32_e32 v14, 0xffff0000, v14
	s_wait_alu 0xf1ff
	v_cndmask_b32_e64 v6, v65, v123, s4
	v_dual_fmac_f32 v8, v72, v16 :: v_dual_and_b32 v13, 0xffff0000, v13
	v_fmac_f32_e32 v49, v5, v15
	v_cmp_u_f32_e64 s4, v12, v12
	v_or_b32_e32 v101, 0x400000, v7
	v_add3_u32 v124, v124, v7, 0x7fff
	v_and_b32_e32 v11, 0xffff0000, v11
	v_and_b32_e32 v10, 0xffff0000, v10
	s_wait_alu 0xf1ff
	v_cndmask_b32_e64 v5, v98, v100, s4
	v_dual_fmac_f32 v8, v71, v14 :: v_dual_fmac_f32 v49, v1, v13
	v_cmp_u_f32_e64 s4, v7, v7
	v_and_b32_e32 v7, 0xffff0000, v9
	v_and_b32_e32 v6, 0xffff0000, v6
	s_delay_alu instid0(VALU_DEP_4)
	v_fmac_f32_e32 v8, v70, v11
	v_fmac_f32_e32 v49, v2, v10
	s_wait_alu 0xf1ff
	v_cndmask_b32_e64 v1, v124, v101, s4
	v_and_b32_e32 v2, 0xffff0000, v4
	v_and_b32_e32 v4, 0xffff0000, v5
	v_dual_fmac_f32 v8, v69, v7 :: v_dual_fmac_f32 v49, v3, v6
	s_delay_alu instid0(VALU_DEP_4) | instskip(SKIP_1) | instid1(VALU_DEP_2)
	v_and_b32_e32 v1, 0xffff0000, v1
	v_cmp_gt_i32_e64 s4, 32, v41
	v_dual_fmac_f32 v8, v68, v4 :: v_dual_fmac_f32 v49, v2, v1
	s_wait_alu 0xf1ff
	s_delay_alu instid0(VALU_DEP_2) | instskip(SKIP_1) | instid1(VALU_DEP_2)
	v_cndmask_b32_e64 v3, v33, v41, s4
	v_cmp_gt_i32_e64 s4, 32, v42
	v_dual_add_f32 v2, v8, v49 :: v_dual_lshlrev_b32 v1, 2, v3
	s_wait_alu 0xf1ff
	s_delay_alu instid0(VALU_DEP_2)
	v_cndmask_b32_e64 v3, v33, v42, s4
	ds_bpermute_b32 v1, v1, v2
	v_lshlrev_b32_e32 v3, 2, v3
	s_wait_dscnt 0x0
	v_add_f32_e32 v1, v2, v1
	ds_bpermute_b32 v2, v3, v1
	s_and_saveexec_b32 s5, s3
	s_cbranch_execz .LBB320_11
; %bb.19:                               ;   in Loop: Header=BB320_13 Depth=1
	v_add_nc_u32_e32 v3, v38, v37
	s_wait_dscnt 0x0
	v_add_f32_e32 v1, v1, v2
	s_delay_alu instid0(VALU_DEP_2) | instskip(NEXT) | instid1(VALU_DEP_1)
	v_cvt_f32_i32_e32 v3, v3
	v_mul_f32_e32 v3, s54, v3
	s_delay_alu instid0(VALU_DEP_1) | instskip(NEXT) | instid1(VALU_DEP_1)
	v_dual_cndmask_b32 v2, 0, v3 :: v_dual_max_num_f32 v3, v36, v36
	v_fmac_f32_e32 v2, s47, v1
	v_add_nc_u32_e32 v1, v34, v37
	s_delay_alu instid0(VALU_DEP_2) | instskip(NEXT) | instid1(VALU_DEP_2)
	v_max_num_f32_e32 v3, v3, v2
	v_cmp_gt_i32_e64 s4, s48, v1
	s_wait_alu 0xf1ff
	s_delay_alu instid0(VALU_DEP_1) | instskip(NEXT) | instid1(VALU_DEP_3)
	v_cndmask_b32_e64 v1, 0, v2, s4
	v_cndmask_b32_e64 v36, v36, v3, s4
	ds_store_b32 v39, v1
	s_branch .LBB320_11
.LBB320_20:
	s_or_b32 exec_lo, exec_lo, s59
.LBB320_21:
	s_delay_alu instid0(SALU_CYCLE_1)
	s_or_b32 exec_lo, exec_lo, s56
	v_xor_b32_e32 v1, 16, v33
	v_xor_b32_e32 v3, 8, v33
	s_clause 0x2
	s_load_b128 s[4:7], s[0:1], 0x0
	s_load_b64 s[8:9], s[0:1], 0x10
	s_load_b64 s[12:13], s[0:1], 0x28
	v_and_b32_e32 v15, 31, v0
	v_max_num_f32_e32 v5, v36, v36
	v_cmp_gt_i32_e32 vcc_lo, 32, v1
	s_wait_alu 0xfffd
	v_cndmask_b32_e32 v1, v33, v1, vcc_lo
	v_cmp_gt_i32_e32 vcc_lo, 32, v3
	s_wait_alu 0xfffd
	v_cndmask_b32_e32 v3, v33, v3, vcc_lo
	s_delay_alu instid0(VALU_DEP_1)
	v_lshlrev_b32_e32 v4, 2, v3
	s_wait_dscnt 0x0
	v_lshlrev_b32_e32 v2, 2, v1
	ds_bpermute_b32 v1, v2, v36
	s_wait_dscnt 0x0
	v_max_num_f32_e32 v1, v1, v1
	s_delay_alu instid0(VALU_DEP_1)
	v_max_num_f32_e32 v1, v5, v1
	v_xor_b32_e32 v5, 4, v33
	ds_bpermute_b32 v3, v4, v1
	v_cmp_gt_i32_e32 vcc_lo, 32, v5
	s_wait_alu 0xfffd
	v_cndmask_b32_e32 v5, v33, v5, vcc_lo
	v_cmp_eq_u32_e32 vcc_lo, 0, v15
	s_delay_alu instid0(VALU_DEP_2) | instskip(SKIP_3) | instid1(VALU_DEP_1)
	v_lshlrev_b32_e32 v7, 2, v5
	v_lshlrev_b32_e32 v5, 2, v29
	s_wait_dscnt 0x0
	v_max_num_f32_e32 v3, v3, v3
	v_max_num_f32_e32 v1, v1, v3
	ds_bpermute_b32 v3, v7, v1
	s_and_saveexec_b32 s0, vcc_lo
	s_cbranch_execz .LBB320_23
; %bb.22:
	s_wait_dscnt 0x0
	v_max_num_f32_e32 v3, v3, v3
	v_max_num_f32_e32 v1, v1, v1
	s_delay_alu instid0(VALU_DEP_1)
	v_max_num_f32_e32 v1, v1, v3
	ds_store_b32 v5, v1 offset:384
.LBB320_23:
	s_or_b32 exec_lo, exec_lo, s0
	v_cmp_gt_u32_e64 s0, 4, v15
	v_dual_mov_b32 v1, 0xff7fffff :: v_dual_lshlrev_b32 v6, 2, v15
	s_wait_loadcnt_dscnt 0x0
	s_barrier_signal -1
	s_barrier_wait -1
	global_inv scope:SCOPE_SE
	s_and_saveexec_b32 s1, s0
; %bb.24:
	ds_load_b32 v1, v6 offset:384
; %bb.25:
	s_or_b32 exec_lo, exec_lo, s1
	v_xor_b32_e32 v3, 2, v33
	v_xor_b32_e32 v9, 1, v33
	v_mov_b32_e32 v10, 0
	s_delay_alu instid0(VALU_DEP_3) | instskip(NEXT) | instid1(VALU_DEP_1)
	v_cmp_gt_i32_e64 s1, 32, v3
	v_cndmask_b32_e64 v3, v33, v3, s1
	s_delay_alu instid0(VALU_DEP_4) | instskip(NEXT) | instid1(VALU_DEP_2)
	v_cmp_gt_i32_e64 s1, 32, v9
	v_lshlrev_b32_e32 v8, 2, v3
	s_wait_alu 0xf1ff
	s_delay_alu instid0(VALU_DEP_2)
	v_cndmask_b32_e64 v9, v33, v9, s1
	s_sub_co_i32 s1, s46, s55
	s_wait_alu 0xfffe
	s_lshl_b32 s1, s1, 3
	s_wait_dscnt 0x0
	ds_bpermute_b32 v3, v8, v1
	v_max_num_f32_e32 v1, v1, v1
	v_lshlrev_b32_e32 v9, 2, v9
	s_wait_alu 0xfffe
	s_add_co_i32 s1, s1, s51
	s_wait_alu 0xfffe
	s_min_i32 s1, s1, s48
	s_wait_alu 0xfffe
	s_sub_co_i32 s10, s1, s51
	s_wait_alu 0xfffe
	v_cmp_gt_i32_e64 s1, s10, v0
	s_wait_dscnt 0x0
	v_max_num_f32_e32 v3, v3, v3
	s_delay_alu instid0(VALU_DEP_1) | instskip(SKIP_3) | instid1(VALU_DEP_1)
	v_max_num_f32_e32 v1, v1, v3
	ds_bpermute_b32 v3, v9, v1
	s_wait_dscnt 0x0
	v_max_num_f32_e32 v3, v3, v3
	v_max_num_f32_e32 v1, v1, v3
	v_lshl_add_u32 v3, v0, 2, 0x1a0
	ds_bpermute_b32 v1, v10, v1
	s_and_saveexec_b32 s11, s1
	s_cbranch_execz .LBB320_29
; %bb.26:
	v_lshl_add_u32 v11, v0, 2, 0x1a0
	v_mov_b32_e32 v10, 0
	v_mov_b32_e32 v12, v0
	s_mov_b32 s14, 0
.LBB320_27:                             ; =>This Inner Loop Header: Depth=1
	ds_load_b32 v13, v11
	v_add_nc_u32_e32 v12, 0x80, v12
	s_delay_alu instid0(VALU_DEP_1) | instskip(SKIP_4) | instid1(VALU_DEP_1)
	v_cmp_le_i32_e64 s3, s10, v12
	s_wait_alu 0xfffe
	s_or_b32 s14, s3, s14
	s_wait_dscnt 0x0
	v_sub_f32_e32 v13, v13, v1
	v_mul_f32_e32 v13, 0x3fb8aa3b, v13
	s_delay_alu instid0(VALU_DEP_1)
	v_exp_f32_e32 v13, v13
	ds_store_b32 v11, v13
	v_dual_add_f32 v10, v10, v13 :: v_dual_add_nc_u32 v11, 0x200, v11
	s_wait_alu 0xfffe
	s_and_not1_b32 exec_lo, exec_lo, s14
	s_cbranch_execnz .LBB320_27
; %bb.28:
	s_or_b32 exec_lo, exec_lo, s14
.LBB320_29:
	s_wait_alu 0xfffe
	s_or_b32 exec_lo, exec_lo, s11
	ds_bpermute_b32 v2, v2, v10
	s_wait_dscnt 0x0
	v_add_f32_e32 v2, v10, v2
	ds_bpermute_b32 v4, v4, v2
	s_wait_dscnt 0x0
	v_add_f32_e32 v2, v2, v4
	;; [unrolled: 3-line block ×5, first 2 shown]
	s_and_saveexec_b32 s3, vcc_lo
; %bb.30:
	ds_store_b32 v5, v2 offset:400
; %bb.31:
	s_wait_alu 0xfffe
	s_or_b32 exec_lo, exec_lo, s3
	s_wait_loadcnt_dscnt 0x0
	s_barrier_signal -1
	s_barrier_wait -1
	global_inv scope:SCOPE_SE
	s_and_saveexec_b32 s3, s0
; %bb.32:
	ds_load_b32 v2, v6 offset:400
; %bb.33:
	s_wait_alu 0xfffe
	s_or_b32 exec_lo, exec_lo, s3
	s_wait_dscnt 0x0
	ds_bpermute_b32 v4, v8, v2
	s_wait_dscnt 0x0
	v_add_f32_e32 v2, v2, v4
	ds_bpermute_b32 v4, v9, v2
	s_wait_dscnt 0x0
	v_add_f32_e32 v2, v2, v4
	v_mov_b32_e32 v4, 0
	ds_bpermute_b32 v2, v4, v2
	s_and_saveexec_b32 s0, s1
	s_cbranch_execz .LBB320_36
; %bb.34:
	s_wait_dscnt 0x0
	v_add_f32_e32 v4, 0x358637bd, v2
	s_mov_b32 s1, 0
	s_delay_alu instid0(VALU_DEP_1) | instskip(SKIP_1) | instid1(VALU_DEP_2)
	v_div_scale_f32 v5, null, v4, v4, 1.0
	v_div_scale_f32 v8, vcc_lo, 1.0, v4, 1.0
	v_rcp_f32_e32 v6, v5
	s_delay_alu instid0(TRANS32_DEP_1) | instskip(NEXT) | instid1(VALU_DEP_1)
	v_fma_f32 v7, -v5, v6, 1.0
	v_fmac_f32_e32 v6, v7, v6
	s_delay_alu instid0(VALU_DEP_1) | instskip(NEXT) | instid1(VALU_DEP_1)
	v_mul_f32_e32 v7, v8, v6
	v_fma_f32 v9, -v5, v7, v8
	s_delay_alu instid0(VALU_DEP_1) | instskip(NEXT) | instid1(VALU_DEP_1)
	v_fmac_f32_e32 v7, v9, v6
	v_fma_f32 v5, -v5, v7, v8
	s_wait_alu 0xfffd
	s_delay_alu instid0(VALU_DEP_1) | instskip(NEXT) | instid1(VALU_DEP_1)
	v_div_fmas_f32 v5, v5, v6, v7
	v_div_fixup_f32 v4, v5, v4, 1.0
	v_mov_b32_e32 v5, v0
.LBB320_35:                             ; =>This Inner Loop Header: Depth=1
	ds_load_b32 v6, v3
	s_wait_dscnt 0x0
	v_dual_mul_f32 v6, v4, v6 :: v_dual_add_nc_u32 v5, 0x80, v5
	s_delay_alu instid0(VALU_DEP_1)
	v_cmp_le_i32_e32 vcc_lo, s10, v5
	ds_store_b32 v3, v6
	v_add_nc_u32_e32 v3, 0x200, v3
	s_wait_alu 0xfffe
	s_or_b32 s1, vcc_lo, s1
	s_wait_alu 0xfffe
	s_and_not1_b32 exec_lo, exec_lo, s1
	s_cbranch_execnz .LBB320_35
.LBB320_36:
	s_wait_alu 0xfffe
	s_or_b32 exec_lo, exec_lo, s0
	s_mul_i32 s0, s27, s49
	s_wait_loadcnt_dscnt 0x0
	s_wait_alu 0xfffe
	s_mul_i32 s10, s0, s50
	s_mov_b32 s0, exec_lo
	s_barrier_signal -1
	s_barrier_wait -1
	global_inv scope:SCOPE_SE
	v_cmpx_eq_u32_e32 0, v0
	s_cbranch_execz .LBB320_38
; %bb.37:
	s_wait_alu 0xfffe
	s_ashr_i32 s11, s10, 31
	s_mul_i32 s14, s27, ttmp9
	s_lshl_b32 s1, s33, 2
	s_wait_alu 0xfffe
	s_lshl_b64 s[16:17], s[10:11], 2
	s_ashr_i32 s15, s14, 31
	v_mov_b32_e32 v3, s1
	s_wait_kmcnt 0x0
	s_wait_alu 0xfffe
	s_add_nc_u64 s[6:7], s[6:7], s[16:17]
	s_lshl_b64 s[14:15], s[14:15], 2
	s_add_nc_u64 s[4:5], s[4:5], s[16:17]
	s_wait_alu 0xfffe
	s_add_nc_u64 s[6:7], s[6:7], s[14:15]
	s_add_nc_u64 s[4:5], s[4:5], s[14:15]
	s_clause 0x1
	global_store_b32 v3, v1, s[6:7]
	global_store_b32 v3, v2, s[4:5]
.LBB320_38:
	s_wait_alu 0xfffe
	s_or_b32 exec_lo, exec_lo, s0
	v_dual_mov_b32 v21, 0 :: v_dual_mov_b32 v20, 0
	v_dual_mov_b32 v19, 0 :: v_dual_mov_b32 v18, 0
	;; [unrolled: 1-line block ×3, first 2 shown]
	s_and_saveexec_b32 s1, s2
	s_cbranch_execz .LBB320_56
; %bb.39:
	s_abs_i32 s2, s26
	s_wait_kmcnt 0x0
	s_lshl_b64 s[6:7], s[44:45], 2
	s_wait_alu 0xfffe
	s_cvt_f32_u32 s0, s2
	v_dual_mov_b32 v17, 0 :: v_dual_lshlrev_b32 v2, 3, v15
	s_ashr_i32 s39, s38, 31
	s_wait_alu 0xfffe
	v_rcp_iflag_f32_e32 v1, s0
	s_add_nc_u64 s[6:7], s[42:43], s[6:7]
	s_add_nc_u64 s[12:13], s[12:13], s[38:39]
	s_wait_alu 0xfffe
	v_add_co_u32 v9, s6, s6, v32
	s_sub_co_i32 s5, 0, s2
	v_add_co_ci_u32_e64 v10, null, s7, 0, s6
	v_add_co_u32 v11, s6, s12, v2
	s_delay_alu instid0(TRANS32_DEP_1)
	v_readfirstlane_b32 s0, v1
	v_dual_mov_b32 v16, 0 :: v_dual_mov_b32 v19, 0
	v_lshl_add_u32 v22, v29, 5, 0x1a0
	v_dual_mov_b32 v18, 0 :: v_dual_mov_b32 v21, 0
	s_mul_f32 s0, s0, 0x4f7ffffe
	v_add_co_ci_u32_e64 v12, null, s13, 0, s6
	v_mov_b32_e32 v20, 0
	s_wait_alu 0xfffe
	s_cvt_u32_f32 s0, s0
	s_sub_co_i32 s3, s53, s25
	s_mov_b32 s4, s37
	s_add_co_i32 s52, s52, -1
	s_wait_alu 0xfffe
	s_mul_i32 s5, s5, s0
	s_wait_alu 0xfffe
	s_mul_hi_u32 s6, s0, s5
	s_mov_b32 s5, 0
	s_wait_alu 0xfffe
	s_add_co_i32 s6, s0, s6
	s_branch .LBB320_42
.LBB320_40:                             ;   in Loop: Header=BB320_42 Depth=1
	s_wait_alu 0xfffe
	s_or_b32 exec_lo, exec_lo, s0
	s_wait_dscnt 0x1
	v_bfe_u32 v42, v5, 16, 1
	v_or_b32_e32 v43, 0x400000, v5
	v_bfe_u32 v44, v6, 16, 1
	v_cmp_u_f32_e32 vcc_lo, v5, v5
	v_bfe_u32 v45, v7, 16, 1
	v_add3_u32 v42, v42, v5, 0x7fff
	v_or_b32_e32 v46, 0x400000, v6
	v_add3_u32 v44, v44, v6, 0x7fff
	v_or_b32_e32 v47, 0x400000, v7
	v_add3_u32 v45, v45, v7, 0x7fff
	s_wait_alu 0xfffd
	v_cndmask_b32_e32 v5, v42, v43, vcc_lo
	v_cmp_u_f32_e32 vcc_lo, v6, v6
	v_bfe_u32 v42, v8, 16, 1
	s_wait_dscnt 0x0
	v_bfe_u32 v43, v1, 16, 1
	v_lshlrev_b32_e32 v72, 16, v72
	v_lshlrev_b32_e32 v40, 16, v40
	s_wait_alu 0xfffd
	v_cndmask_b32_e32 v6, v44, v46, vcc_lo
	v_cmp_u_f32_e32 vcc_lo, v7, v7
	v_add3_u32 v42, v42, v8, 0x7fff
	v_or_b32_e32 v44, 0x400000, v8
	v_add3_u32 v43, v43, v1, 0x7fff
	v_bfe_u32 v46, v2, 16, 1
	s_wait_alu 0xfffd
	v_cndmask_b32_e32 v7, v45, v47, vcc_lo
	v_cmp_u_f32_e32 vcc_lo, v8, v8
	v_or_b32_e32 v45, 0x400000, v1
	v_lshlrev_b32_e32 v38, 16, v38
	v_lshlrev_b32_e32 v33, 16, v33
	;; [unrolled: 1-line block ×3, first 2 shown]
	s_wait_alu 0xfffd
	v_cndmask_b32_e32 v8, v42, v44, vcc_lo
	v_cmp_u_f32_e32 vcc_lo, v1, v1
	v_or_b32_e32 v44, 0x400000, v2
	v_and_b32_e32 v1, 0xffff0000, v6
	v_lshlrev_b32_e32 v24, 16, v24
	s_wait_alu 0xfffd
	v_dual_cndmask_b32 v42, v43, v45 :: v_dual_lshlrev_b32 v67, 16, v67
	v_add3_u32 v43, v46, v2, 0x7fff
	v_bfe_u32 v45, v3, 16, 1
	v_cmp_u_f32_e32 vcc_lo, v2, v2
	v_lshlrev_b32_e32 v6, 16, v78
	v_bfe_u32 v46, v4, 16, 1
	v_and_b32_e32 v2, 0xffff0000, v5
	v_lshlrev_b32_e32 v5, 16, v77
	s_wait_alu 0xfffd
	v_cndmask_b32_e32 v43, v43, v44, vcc_lo
	v_add3_u32 v44, v45, v3, 0x7fff
	v_or_b32_e32 v45, 0x400000, v3
	v_mul_f32_e32 v6, v1, v6
	v_cmp_u_f32_e32 vcc_lo, v3, v3
	v_add3_u32 v3, v46, v4, 0x7fff
	v_lshlrev_b32_e32 v64, 16, v64
	v_lshlrev_b32_e32 v63, 16, v63
	v_bfe_u32 v46, v6, 16, 1
	s_wait_alu 0xfffd
	v_cndmask_b32_e32 v44, v44, v45, vcc_lo
	v_or_b32_e32 v45, 0x400000, v4
	v_cmp_u_f32_e32 vcc_lo, v4, v4
	v_and_b32_e32 v4, 0xffff0000, v7
	v_lshlrev_b32_e32 v50, 16, v50
	v_lshlrev_b32_e32 v48, 16, v48
	s_wait_alu 0xfffd
	v_dual_cndmask_b32 v3, v3, v45 :: v_dual_lshlrev_b32 v36, 16, v36
	v_add3_u32 v45, v46, v6, 0x7fff
	v_or_b32_e32 v46, 0x400000, v6
	v_cmp_u_f32_e32 vcc_lo, v6, v6
	v_dual_mul_f32 v33, v1, v33 :: v_dual_lshlrev_b32 v34, 16, v34
	v_lshlrev_b32_e32 v27, 16, v27
	v_lshlrev_b32_e32 v25, 16, v25
	s_wait_alu 0xfffd
	v_cndmask_b32_e32 v45, v45, v46, vcc_lo
	v_mul_f32_e32 v47, v2, v5
	v_and_b32_e32 v5, 0xffff0000, v8
	v_lshlrev_b32_e32 v8, 16, v76
	s_delay_alu instid0(VALU_DEP_4) | instskip(NEXT) | instid1(VALU_DEP_4)
	v_dual_mul_f32 v40, v2, v40 :: v_dual_and_b32 v45, 0xffff0000, v45
	v_bfe_u32 v51, v47, 16, 1
	v_cmp_u_f32_e32 vcc_lo, v47, v47
	s_delay_alu instid0(VALU_DEP_4) | instskip(SKIP_1) | instid1(VALU_DEP_4)
	v_dual_mul_f32 v8, v5, v8 :: v_dual_and_b32 v3, 0xffff0000, v3
	v_lshlrev_b32_e32 v7, 16, v75
	v_add3_u32 v46, v51, v47, 0x7fff
	v_or_b32_e32 v51, 0x400000, v47
	s_delay_alu instid0(VALU_DEP_4)
	v_bfe_u32 v75, v8, 16, 1
	v_and_b32_e32 v6, 0xffff0000, v43
	v_or_b32_e32 v47, 0x400000, v8
	v_lshlrev_b32_e32 v23, 16, v23
	s_wait_alu 0xfffd
	v_cndmask_b32_e32 v43, v46, v51, vcc_lo
	v_add3_u32 v46, v75, v8, 0x7fff
	v_cmp_u_f32_e32 vcc_lo, v8, v8
	v_lshlrev_b32_e32 v13, 16, v13
	s_delay_alu instid0(VALU_DEP_4) | instskip(SKIP_1) | instid1(VALU_DEP_1)
	v_and_b32_e32 v43, 0xffff0000, v43
	s_wait_alu 0xfffd
	v_dual_cndmask_b32 v46, v46, v47 :: v_dual_add_f32 v43, v43, v45
	v_lshlrev_b32_e32 v65, 16, v65
	s_delay_alu instid0(VALU_DEP_2) | instskip(SKIP_2) | instid1(VALU_DEP_1)
	v_and_b32_e32 v46, 0xffff0000, v46
	v_and_b32_e32 v8, 0xffff0000, v44
	v_lshlrev_b32_e32 v44, 16, v71
	v_mul_f32_e32 v44, v8, v44
	v_mul_f32_e32 v72, v3, v72
	v_dual_mul_f32 v76, v4, v7 :: v_dual_lshlrev_b32 v7, 16, v74
	v_mul_f32_e32 v64, v3, v64
	s_delay_alu instid0(VALU_DEP_4) | instskip(SKIP_1) | instid1(VALU_DEP_4)
	v_bfe_u32 v77, v44, 16, 1
	v_mul_f32_e32 v24, v3, v24
	v_bfe_u32 v51, v76, 16, 1
	v_dual_mul_f32 v74, v6, v7 :: v_dual_and_b32 v7, 0xffff0000, v42
	v_lshlrev_b32_e32 v42, 16, v73
	v_cmp_u_f32_e32 vcc_lo, v76, v76
	s_delay_alu instid0(VALU_DEP_4)
	v_add3_u32 v47, v51, v76, 0x7fff
	v_or_b32_e32 v51, 0x400000, v76
	v_bfe_u32 v73, v74, 16, 1
	v_bfe_u32 v76, v72, 16, 1
	v_dual_mul_f32 v50, v7, v50 :: v_dual_lshlrev_b32 v37, 16, v37
	v_mul_f32_e32 v36, v7, v36
	s_wait_alu 0xfffd
	v_cndmask_b32_e32 v47, v47, v51, vcc_lo
	v_mul_f32_e32 v42, v7, v42
	v_add3_u32 v71, v73, v74, 0x7fff
	v_or_b32_e32 v73, 0x400000, v74
	v_cmp_u_f32_e32 vcc_lo, v74, v74
	v_and_b32_e32 v47, 0xffff0000, v47
	v_bfe_u32 v51, v42, 16, 1
	v_or_b32_e32 v75, 0x400000, v42
	v_or_b32_e32 v74, 0x400000, v44
	s_wait_alu 0xfffd
	v_cndmask_b32_e32 v71, v71, v73, vcc_lo
	v_cmp_u_f32_e32 vcc_lo, v42, v42
	v_add3_u32 v51, v51, v42, 0x7fff
	v_add3_u32 v73, v77, v44, 0x7fff
	s_delay_alu instid0(VALU_DEP_4)
	v_dual_add_f32 v45, v47, v46 :: v_dual_and_b32 v46, 0xffff0000, v71
	v_dual_mul_f32 v48, v8, v48 :: v_dual_lshlrev_b32 v49, 16, v49
	s_wait_alu 0xfffd
	v_cndmask_b32_e32 v42, v51, v75, vcc_lo
	v_cmp_u_f32_e32 vcc_lo, v44, v44
	v_add3_u32 v51, v76, v72, 0x7fff
	v_or_b32_e32 v75, 0x400000, v72
	s_delay_alu instid0(VALU_DEP_4)
	v_dual_add_f32 v43, v45, v43 :: v_dual_and_b32 v42, 0xffff0000, v42
	s_wait_alu 0xfffd
	v_cndmask_b32_e32 v44, v73, v74, vcc_lo
	v_cmp_u_f32_e32 vcc_lo, v72, v72
	v_mul_f32_e32 v38, v4, v38
	v_mul_f32_e32 v34, v8, v34
	v_add_f32_e32 v42, v42, v46
	s_wait_alu 0xfffd
	v_dual_cndmask_b32 v47, v51, v75 :: v_dual_lshlrev_b32 v46, 16, v70
	v_dual_mul_f32 v27, v4, v27 :: v_dual_lshlrev_b32 v32, 16, v32
	s_delay_alu instid0(VALU_DEP_3) | instskip(SKIP_1) | instid1(VALU_DEP_4)
	v_add_f32_e32 v42, v42, v43
	v_dual_mul_f32 v25, v7, v25 :: v_dual_lshlrev_b32 v28, 16, v28
	v_and_b32_e32 v45, 0xffff0000, v47
	v_lshlrev_b32_e32 v47, 16, v69
	v_and_b32_e32 v44, 0xffff0000, v44
	v_mul_f32_e32 v32, v2, v32
	v_mul_f32_e32 v28, v5, v28
	v_dual_mul_f32 v23, v8, v23 :: v_dual_lshlrev_b32 v26, 16, v26
	s_delay_alu instid0(VALU_DEP_4) | instskip(SKIP_3) | instid1(VALU_DEP_4)
	v_add_f32_e32 v43, v44, v45
	v_mul_f32_e32 v45, v2, v47
	v_lshlrev_b32_e32 v47, 16, v68
	v_bfe_u32 v68, v64, 16, 1
	v_add_f32_e32 v42, v43, v42
	s_delay_alu instid0(VALU_DEP_4) | instskip(NEXT) | instid1(VALU_DEP_4)
	v_or_b32_e32 v51, 0x400000, v45
	v_mul_f32_e32 v47, v5, v47
	v_mul_f32_e32 v44, v1, v46
	v_bfe_u32 v46, v45, 16, 1
	v_add_f32_e32 v17, v17, v42
	s_delay_alu instid0(VALU_DEP_3) | instskip(SKIP_1) | instid1(VALU_DEP_4)
	v_bfe_u32 v43, v44, 16, 1
	v_cmp_u_f32_e32 vcc_lo, v44, v44
	v_add3_u32 v46, v46, v45, 0x7fff
	s_delay_alu instid0(VALU_DEP_3) | instskip(SKIP_2) | instid1(VALU_DEP_1)
	v_add3_u32 v42, v43, v44, 0x7fff
	v_or_b32_e32 v43, 0x400000, v44
	s_wait_alu 0xfffd
	v_cndmask_b32_e32 v42, v42, v43, vcc_lo
	v_cmp_u_f32_e32 vcc_lo, v45, v45
	v_bfe_u32 v43, v47, 16, 1
	v_mul_f32_e32 v45, v4, v67
	s_wait_alu 0xfffd
	v_cndmask_b32_e32 v44, v46, v51, vcc_lo
	v_lshlrev_b32_e32 v46, 16, v66
	v_add3_u32 v43, v43, v47, 0x7fff
	v_or_b32_e32 v51, 0x400000, v47
	v_bfe_u32 v66, v45, 16, 1
	v_cmp_u_f32_e32 vcc_lo, v47, v47
	v_dual_mul_f32 v46, v6, v46 :: v_dual_mul_f32 v47, v7, v65
	v_or_b32_e32 v65, 0x400000, v45
	s_wait_alu 0xfffd
	v_cndmask_b32_e32 v43, v43, v51, vcc_lo
	v_add3_u32 v51, v66, v45, 0x7fff
	v_bfe_u32 v66, v46, 16, 1
	v_cmp_u_f32_e32 vcc_lo, v45, v45
	v_bfe_u32 v67, v47, 16, 1
	s_wait_alu 0xfffd
	v_cndmask_b32_e32 v45, v51, v65, vcc_lo
	v_add3_u32 v51, v66, v46, 0x7fff
	v_or_b32_e32 v65, 0x400000, v46
	v_cmp_u_f32_e32 vcc_lo, v46, v46
	v_add3_u32 v66, v67, v47, 0x7fff
	v_or_b32_e32 v67, 0x400000, v47
	v_and_b32_e32 v45, 0xffff0000, v45
	v_and_b32_e32 v44, 0xffff0000, v44
	s_wait_alu 0xfffd
	v_dual_cndmask_b32 v46, v51, v65 :: v_dual_mul_f32 v51, v8, v63
	v_cmp_u_f32_e32 vcc_lo, v47, v47
	v_add3_u32 v63, v68, v64, 0x7fff
	v_or_b32_e32 v65, 0x400000, v64
	s_wait_alu 0xfffd
	v_dual_mul_f32 v8, v8, v13 :: v_dual_cndmask_b32 v47, v66, v67
	v_cmp_u_f32_e32 vcc_lo, v64, v64
	v_bfe_u32 v66, v51, 16, 1
	s_wait_alu 0xfffd
	v_dual_cndmask_b32 v63, v63, v65 :: v_dual_and_b32 v42, 0xffff0000, v42
	s_delay_alu instid0(VALU_DEP_1) | instskip(NEXT) | instid1(VALU_DEP_3)
	v_dual_add_f32 v42, v44, v42 :: v_dual_and_b32 v43, 0xffff0000, v43
	v_add3_u32 v64, v66, v51, 0x7fff
	v_or_b32_e32 v65, 0x400000, v51
	v_cmp_u_f32_e32 vcc_lo, v51, v51
	s_delay_alu instid0(VALU_DEP_4)
	v_add_f32_e32 v43, v45, v43
	v_and_b32_e32 v44, 0xffff0000, v47
	v_lshlrev_b32_e32 v47, 16, v55
	v_and_b32_e32 v45, 0xffff0000, v46
	s_wait_alu 0xfffd
	v_dual_cndmask_b32 v51, v64, v65 :: v_dual_lshlrev_b32 v46, 16, v56
	s_delay_alu instid0(VALU_DEP_2) | instskip(NEXT) | instid1(VALU_DEP_2)
	v_dual_add_f32 v42, v43, v42 :: v_dual_add_f32 v43, v44, v45
	v_mul_f32_e32 v46, v1, v46
	v_mul_f32_e32 v44, v2, v47
	s_delay_alu instid0(VALU_DEP_4)
	v_and_b32_e32 v45, 0xffff0000, v51
	v_lshlrev_b32_e32 v54, 16, v54
	v_and_b32_e32 v47, 0xffff0000, v63
	v_bfe_u32 v51, v46, 16, 1
	v_add_f32_e32 v42, v43, v42
	v_bfe_u32 v55, v44, 16, 1
	v_mul_f32_e32 v54, v5, v54
	v_add_f32_e32 v43, v45, v47
	v_add3_u32 v45, v51, v46, 0x7fff
	v_or_b32_e32 v47, 0x400000, v46
	v_cmp_u_f32_e32 vcc_lo, v46, v46
	v_add3_u32 v51, v55, v44, 0x7fff
	v_or_b32_e32 v55, 0x400000, v44
	v_bfe_u32 v46, v54, 16, 1
	s_wait_alu 0xfffd
	v_cndmask_b32_e32 v45, v45, v47, vcc_lo
	v_cmp_u_f32_e32 vcc_lo, v44, v44
	v_lshlrev_b32_e32 v53, 16, v53
	v_add3_u32 v46, v46, v54, 0x7fff
	s_wait_alu 0xfffd
	v_dual_cndmask_b32 v44, v51, v55 :: v_dual_and_b32 v45, 0xffff0000, v45
	v_lshlrev_b32_e32 v51, 16, v52
	v_or_b32_e32 v52, 0x400000, v54
	v_cmp_u_f32_e32 vcc_lo, v54, v54
	v_mul_f32_e32 v47, v4, v53
	v_bfe_u32 v55, v50, 16, 1
	v_mul_f32_e32 v51, v6, v51
	v_dual_mul_f32 v49, v3, v49 :: v_dual_and_b32 v44, 0xffff0000, v44
	s_wait_alu 0xfffd
	v_cndmask_b32_e32 v46, v46, v52, vcc_lo
	v_bfe_u32 v53, v47, 16, 1
	v_bfe_u32 v54, v51, 16, 1
	v_cmp_u_f32_e32 vcc_lo, v47, v47
	v_bfe_u32 v56, v49, 16, 1
	v_and_b32_e32 v46, 0xffff0000, v46
	v_add3_u32 v52, v53, v47, 0x7fff
	v_or_b32_e32 v53, 0x400000, v47
	v_add_f32_e32 v44, v44, v45
	s_wait_alu 0xfffd
	s_delay_alu instid0(VALU_DEP_2)
	v_cndmask_b32_e32 v47, v52, v53, vcc_lo
	v_add3_u32 v52, v54, v51, 0x7fff
	v_or_b32_e32 v53, 0x400000, v51
	v_cmp_u_f32_e32 vcc_lo, v51, v51
	v_add3_u32 v54, v55, v50, 0x7fff
	v_or_b32_e32 v55, 0x400000, v50
	s_wait_alu 0xfffd
	v_cndmask_b32_e32 v51, v52, v53, vcc_lo
	v_cmp_u_f32_e32 vcc_lo, v50, v50
	v_add3_u32 v52, v56, v49, 0x7fff
	v_or_b32_e32 v53, 0x400000, v49
	s_wait_alu 0xfffd
	v_cndmask_b32_e32 v50, v54, v55, vcc_lo
	v_bfe_u32 v54, v48, 16, 1
	v_cmp_u_f32_e32 vcc_lo, v49, v49
	v_and_b32_e32 v47, 0xffff0000, v47
	s_wait_alu 0xfffd
	v_cndmask_b32_e32 v49, v52, v53, vcc_lo
	v_add3_u32 v52, v54, v48, 0x7fff
	v_or_b32_e32 v53, 0x400000, v48
	v_cmp_u_f32_e32 vcc_lo, v48, v48
	v_add_f32_e32 v45, v47, v46
	v_and_b32_e32 v46, 0xffff0000, v50
	s_wait_alu 0xfffd
	v_dual_cndmask_b32 v48, v52, v53 :: v_dual_and_b32 v47, 0xffff0000, v51
	s_delay_alu instid0(VALU_DEP_1) | instskip(SKIP_1) | instid1(VALU_DEP_3)
	v_dual_add_f32 v44, v45, v44 :: v_dual_add_f32 v45, v46, v47
	v_lshlrev_b32_e32 v41, 16, v41
	v_and_b32_e32 v46, 0xffff0000, v48
	v_and_b32_e32 v47, 0xffff0000, v49
	v_or_b32_e32 v49, 0x400000, v40
	v_add_f32_e32 v44, v45, v44
	v_mul_f32_e32 v41, v1, v41
	v_bfe_u32 v45, v40, 16, 1
	s_delay_alu instid0(VALU_DEP_2) | instskip(SKIP_2) | instid1(VALU_DEP_4)
	v_bfe_u32 v48, v41, 16, 1
	v_cmp_u_f32_e32 vcc_lo, v41, v41
	v_add_f32_e32 v46, v46, v47
	v_add3_u32 v45, v45, v40, 0x7fff
	s_delay_alu instid0(VALU_DEP_4) | instskip(SKIP_2) | instid1(VALU_DEP_1)
	v_add3_u32 v47, v48, v41, 0x7fff
	v_or_b32_e32 v48, 0x400000, v41
	s_wait_alu 0xfffd
	v_cndmask_b32_e32 v41, v47, v48, vcc_lo
	v_cmp_u_f32_e32 vcc_lo, v40, v40
	v_lshlrev_b32_e32 v39, 16, v39
	v_bfe_u32 v48, v38, 16, 1
	s_wait_alu 0xfffd
	v_cndmask_b32_e32 v40, v45, v49, vcc_lo
	s_delay_alu instid0(VALU_DEP_3) | instskip(SKIP_1) | instid1(VALU_DEP_2)
	v_mul_f32_e32 v39, v5, v39
	v_bfe_u32 v49, v36, 16, 1
	v_bfe_u32 v50, v39, 16, 1
	v_or_b32_e32 v47, 0x400000, v39
	v_cmp_u_f32_e32 vcc_lo, v39, v39
	s_delay_alu instid0(VALU_DEP_3) | instskip(SKIP_1) | instid1(VALU_DEP_1)
	v_add3_u32 v45, v50, v39, 0x7fff
	s_wait_alu 0xfffd
	v_cndmask_b32_e32 v39, v45, v47, vcc_lo
	v_add3_u32 v45, v48, v38, 0x7fff
	v_or_b32_e32 v47, 0x400000, v38
	v_cmp_u_f32_e32 vcc_lo, v38, v38
	s_wait_alu 0xfffd
	s_delay_alu instid0(VALU_DEP_2) | instskip(NEXT) | instid1(VALU_DEP_1)
	v_dual_mul_f32 v37, v6, v37 :: v_dual_cndmask_b32 v38, v45, v47
	v_bfe_u32 v48, v37, 16, 1
	v_or_b32_e32 v47, 0x400000, v37
	v_cmp_u_f32_e32 vcc_lo, v37, v37
	s_delay_alu instid0(VALU_DEP_4) | instskip(NEXT) | instid1(VALU_DEP_4)
	v_and_b32_e32 v38, 0xffff0000, v38
	v_add3_u32 v45, v48, v37, 0x7fff
	v_add3_u32 v48, v49, v36, 0x7fff
	v_or_b32_e32 v49, 0x400000, v36
	s_wait_alu 0xfffd
	s_delay_alu instid0(VALU_DEP_3) | instskip(SKIP_3) | instid1(VALU_DEP_1)
	v_cndmask_b32_e32 v37, v45, v47, vcc_lo
	v_cmp_u_f32_e32 vcc_lo, v36, v36
	s_wait_alu 0xfffd
	v_dual_cndmask_b32 v36, v48, v49 :: v_dual_lshlrev_b32 v35, 16, v35
	v_mul_f32_e32 v35, v3, v35
	v_mul_f32_e32 v3, v3, v14
	s_delay_alu instid0(VALU_DEP_2) | instskip(SKIP_2) | instid1(VALU_DEP_3)
	v_bfe_u32 v50, v35, 16, 1
	v_or_b32_e32 v47, 0x400000, v35
	v_cmp_u_f32_e32 vcc_lo, v35, v35
	v_add3_u32 v45, v50, v35, 0x7fff
	s_wait_alu 0xfffd
	s_delay_alu instid0(VALU_DEP_1)
	v_dual_cndmask_b32 v35, v45, v47 :: v_dual_and_b32 v40, 0xffff0000, v40
	v_and_b32_e32 v39, 0xffff0000, v39
	v_and_b32_e32 v41, 0xffff0000, v41
	v_bfe_u32 v45, v34, 16, 1
	v_cmp_u_f32_e32 vcc_lo, v34, v34
	v_and_b32_e32 v35, 0xffff0000, v35
	v_add_f32_e32 v38, v38, v39
	v_add_f32_e32 v40, v40, v41
	v_add3_u32 v39, v45, v34, 0x7fff
	v_or_b32_e32 v41, 0x400000, v34
	s_delay_alu instid0(VALU_DEP_3) | instskip(SKIP_1) | instid1(VALU_DEP_2)
	v_dual_add_f32 v38, v38, v40 :: v_dual_and_b32 v37, 0xffff0000, v37
	s_wait_alu 0xfffd
	v_cndmask_b32_e32 v34, v39, v41, vcc_lo
	v_cmp_u_f32_e32 vcc_lo, v33, v33
	v_and_b32_e32 v36, 0xffff0000, v36
	v_bfe_u32 v39, v32, 16, 1
	v_or_b32_e32 v40, 0x400000, v28
	s_delay_alu instid0(VALU_DEP_3) | instskip(SKIP_1) | instid1(VALU_DEP_2)
	v_add_f32_e32 v36, v36, v37
	v_bfe_u32 v37, v33, 16, 1
	v_add_f32_e32 v36, v36, v38
	s_delay_alu instid0(VALU_DEP_2) | instskip(SKIP_2) | instid1(VALU_DEP_1)
	v_add3_u32 v37, v37, v33, 0x7fff
	v_or_b32_e32 v38, 0x400000, v33
	s_wait_alu 0xfffd
	v_cndmask_b32_e32 v33, v37, v38, vcc_lo
	v_bfe_u32 v37, v28, 16, 1
	v_add3_u32 v38, v39, v32, 0x7fff
	v_or_b32_e32 v39, 0x400000, v32
	v_cmp_u_f32_e32 vcc_lo, v32, v32
	v_dual_mul_f32 v26, v6, v26 :: v_dual_and_b32 v33, 0xffff0000, v33
	v_add3_u32 v37, v37, v28, 0x7fff
	s_wait_alu 0xfffd
	v_cndmask_b32_e32 v32, v38, v39, vcc_lo
	v_bfe_u32 v38, v27, 16, 1
	v_cmp_u_f32_e32 vcc_lo, v28, v28
	v_or_b32_e32 v39, 0x400000, v27
	s_delay_alu instid0(VALU_DEP_3)
	v_add3_u32 v38, v38, v27, 0x7fff
	s_wait_alu 0xfffd
	v_cndmask_b32_e32 v28, v37, v40, vcc_lo
	v_bfe_u32 v37, v26, 16, 1
	v_cmp_u_f32_e32 vcc_lo, v27, v27
	v_and_b32_e32 v34, 0xffff0000, v34
	v_or_b32_e32 v40, 0x400000, v26
	s_delay_alu instid0(VALU_DEP_4)
	v_add3_u32 v37, v37, v26, 0x7fff
	s_wait_alu 0xfffd
	v_cndmask_b32_e32 v27, v38, v39, vcc_lo
	v_bfe_u32 v38, v25, 16, 1
	v_cmp_u_f32_e32 vcc_lo, v26, v26
	v_bfe_u32 v39, v24, 16, 1
	s_wait_alu 0xfffd
	v_dual_cndmask_b32 v26, v37, v40 :: v_dual_and_b32 v27, 0xffff0000, v27
	v_add3_u32 v37, v38, v25, 0x7fff
	v_or_b32_e32 v38, 0x400000, v25
	v_cmp_u_f32_e32 vcc_lo, v25, v25
	v_add3_u32 v39, v39, v24, 0x7fff
	v_or_b32_e32 v40, 0x400000, v24
	s_wait_alu 0xfffd
	v_cndmask_b32_e32 v25, v37, v38, vcc_lo
	v_cmp_u_f32_e32 vcc_lo, v24, v24
	v_bfe_u32 v37, v23, 16, 1
	v_or_b32_e32 v38, 0x400000, v23
	s_delay_alu instid0(VALU_DEP_4) | instskip(SKIP_1) | instid1(VALU_DEP_4)
	v_and_b32_e32 v25, 0xffff0000, v25
	v_and_b32_e32 v26, 0xffff0000, v26
	v_add3_u32 v37, v37, v23, 0x7fff
	s_wait_alu 0xfffd
	v_dual_cndmask_b32 v24, v39, v40 :: v_dual_lshlrev_b32 v39, 16, v62
	s_delay_alu instid0(VALU_DEP_3) | instskip(SKIP_1) | instid1(VALU_DEP_3)
	v_dual_add_f32 v25, v25, v26 :: v_dual_and_b32 v32, 0xffff0000, v32
	v_cmp_u_f32_e32 vcc_lo, v23, v23
	v_dual_mul_f32 v1, v1, v39 :: v_dual_lshlrev_b32 v26, 16, v60
	s_wait_alu 0xfffd
	v_dual_cndmask_b32 v23, v37, v38 :: v_dual_and_b32 v28, 0xffff0000, v28
	s_delay_alu instid0(VALU_DEP_2) | instskip(NEXT) | instid1(VALU_DEP_3)
	v_mul_f32_e32 v5, v5, v26
	v_cmp_u_f32_e32 vcc_lo, v1, v1
	v_lshlrev_b32_e32 v26, 16, v59
	s_delay_alu instid0(VALU_DEP_4) | instskip(NEXT) | instid1(VALU_DEP_2)
	v_dual_add_f32 v32, v32, v33 :: v_dual_add_f32 v27, v27, v28
	v_dual_mul_f32 v4, v4, v26 :: v_dual_and_b32 v23, 0xffff0000, v23
	s_delay_alu instid0(VALU_DEP_2) | instskip(SKIP_1) | instid1(VALU_DEP_2)
	v_dual_add_f32 v27, v27, v32 :: v_dual_lshlrev_b32 v26, 16, v58
	v_bfe_u32 v32, v1, 16, 1
	v_mul_f32_e32 v6, v6, v26
	v_lshlrev_b32_e32 v26, 16, v57
	s_delay_alu instid0(VALU_DEP_1) | instskip(NEXT) | instid1(VALU_DEP_1)
	v_dual_mul_f32 v7, v7, v26 :: v_dual_lshlrev_b32 v28, 16, v61
	v_mul_f32_e32 v2, v2, v28
	v_add3_u32 v28, v32, v1, 0x7fff
	v_or_b32_e32 v32, 0x400000, v1
	s_delay_alu instid0(VALU_DEP_4) | instskip(NEXT) | instid1(VALU_DEP_4)
	v_bfe_u32 v26, v7, 16, 1
	v_bfe_u32 v33, v2, 16, 1
	s_wait_alu 0xfffd
	s_delay_alu instid0(VALU_DEP_3)
	v_cndmask_b32_e32 v1, v28, v32, vcc_lo
	v_or_b32_e32 v32, 0x400000, v2
	v_cmp_u_f32_e32 vcc_lo, v2, v2
	v_add3_u32 v28, v33, v2, 0x7fff
	v_bfe_u32 v33, v5, 16, 1
	v_add3_u32 v14, v26, v7, 0x7fff
	v_or_b32_e32 v26, 0x400000, v7
	s_wait_alu 0xfffd
	v_dual_cndmask_b32 v2, v28, v32 :: v_dual_and_b32 v1, 0xffff0000, v1
	v_add3_u32 v28, v33, v5, 0x7fff
	v_or_b32_e32 v32, 0x400000, v5
	v_bfe_u32 v33, v4, 16, 1
	v_cmp_u_f32_e32 vcc_lo, v5, v5
	v_or_b32_e32 v13, 0x400000, v6
	s_wait_alu 0xfffd
	v_cndmask_b32_e32 v5, v28, v32, vcc_lo
	v_add3_u32 v28, v33, v4, 0x7fff
	v_or_b32_e32 v32, 0x400000, v4
	v_bfe_u32 v33, v6, 16, 1
	v_cmp_u_f32_e32 vcc_lo, v4, v4
	s_wait_alu 0xfffd
	s_delay_alu instid0(VALU_DEP_3) | instskip(NEXT) | instid1(VALU_DEP_3)
	v_dual_cndmask_b32 v4, v28, v32 :: v_dual_and_b32 v5, 0xffff0000, v5
	v_add3_u32 v28, v33, v6, 0x7fff
	v_cmp_u_f32_e32 vcc_lo, v6, v6
	v_bfe_u32 v32, v3, 16, 1
	s_wait_alu 0xfffd
	s_delay_alu instid0(VALU_DEP_3) | instskip(SKIP_1) | instid1(VALU_DEP_3)
	v_cndmask_b32_e32 v6, v28, v13, vcc_lo
	v_cmp_u_f32_e32 vcc_lo, v7, v7
	v_add3_u32 v13, v32, v3, 0x7fff
	v_or_b32_e32 v28, 0x400000, v3
	s_wait_alu 0xfffd
	v_cndmask_b32_e32 v7, v14, v26, vcc_lo
	v_and_b32_e32 v2, 0xffff0000, v2
	s_delay_alu instid0(VALU_DEP_1) | instskip(NEXT) | instid1(VALU_DEP_1)
	v_dual_add_f32 v1, v2, v1 :: v_dual_and_b32 v4, 0xffff0000, v4
	v_dual_add_f32 v2, v4, v5 :: v_dual_and_b32 v5, 0xffff0000, v6
	v_bfe_u32 v33, v8, 16, 1
	v_or_b32_e32 v26, 0x400000, v8
	v_cmp_u_f32_e32 vcc_lo, v8, v8
	s_delay_alu instid0(VALU_DEP_4) | instskip(NEXT) | instid1(VALU_DEP_4)
	v_dual_add_f32 v1, v2, v1 :: v_dual_and_b32 v4, 0xffff0000, v7
	v_add3_u32 v14, v33, v8, 0x7fff
	s_delay_alu instid0(VALU_DEP_2) | instskip(SKIP_1) | instid1(VALU_DEP_2)
	v_dual_add_f32 v7, v25, v27 :: v_dual_add_f32 v2, v4, v5
	s_wait_alu 0xfffd
	v_cndmask_b32_e32 v8, v14, v26, vcc_lo
	v_cmp_u_f32_e32 vcc_lo, v3, v3
	s_delay_alu instid0(VALU_DEP_2) | instskip(SKIP_2) | instid1(VALU_DEP_2)
	v_dual_add_f32 v5, v34, v35 :: v_dual_and_b32 v4, 0xffff0000, v8
	s_wait_alu 0xfffd
	v_cndmask_b32_e32 v3, v13, v28, vcc_lo
	v_add_f32_e32 v5, v5, v36
	v_add_f32_e32 v1, v2, v1
	s_delay_alu instid0(VALU_DEP_2) | instskip(NEXT) | instid1(VALU_DEP_1)
	v_dual_add_f32 v20, v20, v5 :: v_dual_and_b32 v3, 0xffff0000, v3
	v_add_f32_e32 v2, v4, v3
	v_dual_add_f32 v4, v46, v44 :: v_dual_add_f32 v3, v43, v42
	s_delay_alu instid0(VALU_DEP_1) | instskip(NEXT) | instid1(VALU_DEP_3)
	v_add_f32_e32 v19, v19, v4
	v_dual_add_f32 v1, v2, v1 :: v_dual_and_b32 v6, 0xffff0000, v24
	s_delay_alu instid0(VALU_DEP_3) | instskip(NEXT) | instid1(VALU_DEP_2)
	v_add_f32_e32 v18, v18, v3
	v_add_f32_e32 v6, v23, v6
	s_delay_alu instid0(VALU_DEP_3) | instskip(NEXT) | instid1(VALU_DEP_2)
	v_add_f32_e32 v16, v16, v1
	v_add_f32_e32 v6, v6, v7
	s_delay_alu instid0(VALU_DEP_1)
	v_add_f32_e32 v21, v21, v6
.LBB320_41:                             ;   in Loop: Header=BB320_42 Depth=1
	s_wait_alu 0xfffe
	s_or_b32 exec_lo, exec_lo, s7
	v_add_nc_u32_e32 v31, 4, v31
	v_add_co_u32 v9, s0, v9, 16
	s_wait_alu 0xf1ff
	v_add_co_ci_u32_e64 v10, null, 0, v10, s0
	s_delay_alu instid0(VALU_DEP_3)
	v_cmp_le_i32_e32 vcc_lo, s46, v31
	v_add_nc_u32_e32 v30, 32, v30
	v_add_nc_u32_e32 v22, 0x80, v22
	s_or_b32 s5, vcc_lo, s5
	s_wait_alu 0xfffe
	s_and_not1_b32 exec_lo, exec_lo, s5
	s_cbranch_execz .LBB320_55
.LBB320_42:                             ; =>This Inner Loop Header: Depth=1
	v_sub_nc_u32_e32 v1, 0, v30
	s_delay_alu instid0(VALU_DEP_1) | instskip(NEXT) | instid1(VALU_DEP_1)
	v_max_i32_e32 v1, v30, v1
	v_mul_hi_u32 v2, v1, s40
	s_delay_alu instid0(VALU_DEP_1) | instskip(NEXT) | instid1(VALU_DEP_1)
	v_mul_lo_u32 v3, v2, s35
	v_sub_nc_u32_e32 v1, v1, v3
	v_add_nc_u32_e32 v3, 1, v2
	s_delay_alu instid0(VALU_DEP_2) | instskip(SKIP_2) | instid1(VALU_DEP_2)
	v_subrev_nc_u32_e32 v4, s35, v1
	v_cmp_le_u32_e32 vcc_lo, s35, v1
	s_wait_alu 0xfffd
	v_dual_cndmask_b32 v2, v2, v3 :: v_dual_cndmask_b32 v1, v1, v4
	v_ashrrev_i32_e32 v3, 31, v30
	s_delay_alu instid0(VALU_DEP_2) | instskip(NEXT) | instid1(VALU_DEP_3)
	v_add_nc_u32_e32 v4, 1, v2
	v_cmp_le_u32_e32 vcc_lo, s35, v1
	s_delay_alu instid0(VALU_DEP_3) | instskip(SKIP_1) | instid1(VALU_DEP_3)
	v_xor_b32_e32 v3, s41, v3
	s_wait_alu 0xfffd
	v_cndmask_b32_e32 v1, v2, v4, vcc_lo
	s_delay_alu instid0(VALU_DEP_1) | instskip(NEXT) | instid1(VALU_DEP_1)
	v_xor_b32_e32 v1, v1, v3
	v_sub_nc_u32_e32 v1, v1, v3
	s_delay_alu instid0(VALU_DEP_1) | instskip(SKIP_1) | instid1(VALU_DEP_2)
	v_add_nc_u32_e32 v2, s36, v1
	v_cmp_lt_i32_e64 s0, s3, v1
	v_sub_nc_u32_e32 v3, 0, v2
	s_delay_alu instid0(VALU_DEP_1) | instskip(SKIP_1) | instid1(VALU_DEP_1)
	v_max_i32_e32 v3, v2, v3
	s_wait_alu 0xfffe
	v_mul_hi_u32 v4, v3, s6
	s_delay_alu instid0(VALU_DEP_1) | instskip(NEXT) | instid1(VALU_DEP_1)
	v_mul_lo_u32 v4, v4, s2
	v_sub_nc_u32_e32 v3, v3, v4
	s_delay_alu instid0(VALU_DEP_1) | instskip(SKIP_2) | instid1(VALU_DEP_2)
	v_subrev_nc_u32_e32 v4, s2, v3
	v_cmp_le_u32_e32 vcc_lo, s2, v3
	s_wait_alu 0xfffd
	v_cndmask_b32_e32 v3, v3, v4, vcc_lo
	v_ashrrev_i32_e32 v2, 31, v2
	s_delay_alu instid0(VALU_DEP_2) | instskip(SKIP_2) | instid1(VALU_DEP_2)
	v_subrev_nc_u32_e32 v4, s2, v3
	v_cmp_le_u32_e32 vcc_lo, s2, v3
	s_wait_alu 0xfffd
	v_cndmask_b32_e32 v3, v3, v4, vcc_lo
	s_delay_alu instid0(VALU_DEP_1) | instskip(NEXT) | instid1(VALU_DEP_1)
	v_xor_b32_e32 v3, v3, v2
	v_sub_nc_u32_e32 v2, v3, v2
	s_delay_alu instid0(VALU_DEP_1)
	v_cmp_eq_u32_e32 vcc_lo, 0, v2
	s_or_b32 s0, vcc_lo, s0
	s_wait_alu 0xfffe
	s_and_saveexec_b32 s7, s0
	s_cbranch_execz .LBB320_41
; %bb.43:                               ;   in Loop: Header=BB320_42 Depth=1
	global_load_b32 v1, v[9:10], off
	v_cmp_eq_u32_e32 vcc_lo, s52, v31
	s_wait_loadcnt 0x0
	v_mad_co_i64_i32 v[13:14], null, v1, s4, v[11:12]
	global_load_b64 v[23:24], v[13:14], off
	ds_load_2addr_b64 v[5:8], v22 offset1:1
	ds_load_2addr_b64 v[1:4], v22 offset0:2 offset1:3
	s_load_b32 s11, s[30:31], 0x0
	s_wait_loadcnt 0x0
	v_bfe_u32 v26, v23, 8, 8
	v_bfe_u32 v27, v23, 16, 8
	;; [unrolled: 1-line block ×4, first 2 shown]
	s_delay_alu instid0(VALU_DEP_4)
	v_cvt_f32_fp8_e32 v26, v26
	v_and_b32_e32 v25, 0xff, v23
	v_lshrrev_b32_e32 v23, 24, v23
	v_cvt_f32_fp8_e32 v27, v27
	v_add_nc_u32_e32 v44, 4, v30
	s_wait_kmcnt 0x0
	v_mul_f32_e32 v26, s11, v26
	v_cvt_f32_fp8_e32 v25, v25
	v_add_nc_u32_e32 v46, 2, v30
	v_cvt_f32_fp8_e32 v23, v23
	v_cvt_f32_fp8_e32 v33, v33
	s_delay_alu instid0(VALU_DEP_4) | instskip(SKIP_3) | instid1(VALU_DEP_4)
	v_dual_mul_f32 v25, s11, v25 :: v_dual_and_b32 v28, 0xff, v24
	v_mul_f32_e32 v27, s11, v27
	v_bfe_u32 v36, v26, 16, 1
	v_dual_mul_f32 v23, s11, v23 :: v_dual_add_nc_u32 v42, 6, v30
	v_bfe_u32 v34, v25, 16, 1
	v_or_b32_e32 v35, 0x400000, v25
	v_cmp_u_f32_e64 s0, v25, v25
	v_mul_f32_e32 v33, s11, v33
	v_cvt_f32_fp8_e32 v28, v28
	v_add3_u32 v34, v34, v25, 0x7fff
	v_or_b32_e32 v37, 0x400000, v26
	v_bfe_u32 v38, v27, 16, 1
	v_add3_u32 v36, v36, v26, 0x7fff
	v_dual_mul_f32 v28, s11, v28 :: v_dual_add_nc_u32 v47, 1, v30
	s_wait_alu 0xf1ff
	v_cndmask_b32_e64 v25, v34, v35, s0
	v_cmp_u_f32_e64 s0, v26, v26
	v_cvt_f32_fp8_e32 v32, v32
	v_or_b32_e32 v39, 0x400000, v27
	v_bfe_u32 v40, v23, 16, 1
	v_add3_u32 v38, v38, v27, 0x7fff
	s_wait_alu 0xf1ff
	v_cndmask_b32_e64 v26, v36, v37, s0
	v_cmp_u_f32_e64 s0, v27, v27
	v_dual_mul_f32 v32, s11, v32 :: v_dual_add_nc_u32 v45, 3, v30
	v_lshrrev_b32_e32 v24, 24, v24
	v_or_b32_e32 v41, 0x400000, v23
	v_bfe_u32 v48, v28, 16, 1
	v_add3_u32 v40, v40, v23, 0x7fff
	s_wait_alu 0xf1ff
	v_cndmask_b32_e64 v27, v38, v39, s0
	v_cmp_u_f32_e64 s0, v23, v23
	v_cvt_f32_fp8_e32 v24, v24
	v_or_b32_e32 v49, 0x400000, v28
	v_bfe_u32 v50, v32, 16, 1
	v_add3_u32 v48, v48, v28, 0x7fff
	s_wait_alu 0xf1ff
	v_cndmask_b32_e64 v23, v40, v41, s0
	v_cmp_u_f32_e64 s0, v28, v28
	v_dual_mul_f32 v24, s11, v24 :: v_dual_add_nc_u32 v43, 5, v30
	v_or_b32_e32 v51, 0x400000, v32
	v_bfe_u32 v52, v33, 16, 1
	v_add3_u32 v50, v50, v32, 0x7fff
	s_wait_alu 0xf1ff
	v_cndmask_b32_e64 v34, v48, v49, s0
	v_cmp_u_f32_e64 s0, v32, v32
	v_or_b32_e32 v53, 0x400000, v33
	v_bfe_u32 v54, v24, 16, 1
	v_add3_u32 v52, v52, v33, 0x7fff
	v_or_b32_e32 v55, 0x400000, v24
	s_wait_alu 0xf1ff
	v_cndmask_b32_e64 v35, v50, v51, s0
	v_cmp_u_f32_e64 s0, v33, v33
	v_add3_u32 v54, v54, v24, 0x7fff
	v_lshrrev_b32_e32 v32, 16, v25
	v_lshrrev_b32_e32 v33, 16, v26
	;; [unrolled: 1-line block ×3, first 2 shown]
	s_wait_alu 0xf1ff
	v_cndmask_b32_e64 v36, v52, v53, s0
	v_cmp_u_f32_e64 s0, v24, v24
	v_lshrrev_b32_e32 v28, 16, v23
	v_lshrrev_b32_e32 v25, 16, v34
	;; [unrolled: 1-line block ×4, first 2 shown]
	s_wait_alu 0xf1ff
	v_cndmask_b32_e64 v24, v54, v55, s0
	v_add_nc_u32_e32 v51, 7, v30
	s_delay_alu instid0(VALU_DEP_2)
	v_lshrrev_b32_e32 v24, 16, v24
	s_and_saveexec_b32 s12, vcc_lo
	s_cbranch_execz .LBB320_45
; %bb.44:                               ;   in Loop: Header=BB320_42 Depth=1
	v_cmp_gt_i32_e64 s0, s48, v30
	s_wait_alu 0xf1ff
	s_delay_alu instid0(VALU_DEP_1) | instskip(SKIP_2) | instid1(VALU_DEP_1)
	v_cndmask_b32_e64 v32, 0, v32, s0
	v_cmp_gt_i32_e64 s0, s48, v47
	s_wait_alu 0xf1ff
	v_cndmask_b32_e64 v33, 0, v33, s0
	v_cmp_gt_i32_e64 s0, s48, v46
	s_wait_alu 0xf1ff
	s_delay_alu instid0(VALU_DEP_1) | instskip(SKIP_2) | instid1(VALU_DEP_1)
	v_cndmask_b32_e64 v27, 0, v27, s0
	v_cmp_gt_i32_e64 s0, s48, v45
	s_wait_alu 0xf1ff
	v_cndmask_b32_e64 v28, 0, v28, s0
	;; [unrolled: 7-line block ×4, first 2 shown]
.LBB320_45:                             ;   in Loop: Header=BB320_42 Depth=1
	s_wait_alu 0xfffe
	s_or_b32 exec_lo, exec_lo, s12
	global_load_b64 v[34:35], v[13:14], off offset:256
	s_wait_loadcnt 0x0
	v_bfe_u32 v37, v34, 8, 8
	v_bfe_u32 v38, v34, 16, 8
	;; [unrolled: 1-line block ×4, first 2 shown]
	s_delay_alu instid0(VALU_DEP_4)
	v_cvt_f32_fp8_e32 v37, v37
	v_and_b32_e32 v36, 0xff, v34
	v_lshrrev_b32_e32 v34, 24, v34
	v_cvt_f32_fp8_e32 v38, v38
	v_cvt_f32_fp8_e32 v41, v41
	v_mul_f32_e32 v37, s11, v37
	v_cvt_f32_fp8_e32 v36, v36
	v_and_b32_e32 v39, 0xff, v35
	v_cvt_f32_fp8_e32 v34, v34
	v_lshrrev_b32_e32 v35, 24, v35
	v_bfe_u32 v50, v37, 16, 1
	v_mul_f32_e32 v36, s11, v36
	v_cvt_f32_fp8_e32 v39, v39
	v_mul_f32_e32 v38, s11, v38
	v_dual_mul_f32 v34, s11, v34 :: v_dual_mul_f32 v41, s11, v41
	s_delay_alu instid0(VALU_DEP_4)
	v_bfe_u32 v48, v36, 16, 1
	v_or_b32_e32 v49, 0x400000, v36
	v_cmp_u_f32_e64 s0, v36, v36
	v_mul_f32_e32 v39, s11, v39
	v_or_b32_e32 v52, 0x400000, v37
	v_add3_u32 v48, v48, v36, 0x7fff
	v_bfe_u32 v53, v38, 16, 1
	v_add3_u32 v50, v50, v37, 0x7fff
	v_cvt_f32_fp8_e32 v40, v40
	v_or_b32_e32 v54, 0x400000, v38
	s_wait_alu 0xf1ff
	v_cndmask_b32_e64 v36, v48, v49, s0
	v_cmp_u_f32_e64 s0, v37, v37
	v_bfe_u32 v55, v34, 16, 1
	v_add3_u32 v53, v53, v38, 0x7fff
	v_cvt_f32_fp8_e32 v35, v35
	v_mul_f32_e32 v40, s11, v40
	s_wait_alu 0xf1ff
	v_cndmask_b32_e64 v37, v50, v52, s0
	v_cmp_u_f32_e64 s0, v38, v38
	v_or_b32_e32 v56, 0x400000, v34
	v_bfe_u32 v57, v39, 16, 1
	v_add3_u32 v55, v55, v34, 0x7fff
	v_mul_f32_e32 v35, s11, v35
	s_wait_alu 0xf1ff
	v_cndmask_b32_e64 v38, v53, v54, s0
	v_cmp_u_f32_e64 s0, v34, v34
	v_or_b32_e32 v58, 0x400000, v39
	v_bfe_u32 v59, v40, 16, 1
	v_add3_u32 v57, v57, v39, 0x7fff
	v_or_b32_e32 v60, 0x400000, v40
	s_wait_alu 0xf1ff
	v_cndmask_b32_e64 v34, v55, v56, s0
	v_cmp_u_f32_e64 s0, v39, v39
	v_bfe_u32 v61, v41, 16, 1
	v_add3_u32 v59, v59, v40, 0x7fff
	v_or_b32_e32 v62, 0x400000, v41
	v_bfe_u32 v63, v35, 16, 1
	s_wait_alu 0xf1ff
	v_cndmask_b32_e64 v48, v57, v58, s0
	v_cmp_u_f32_e64 s0, v40, v40
	v_add3_u32 v61, v61, v41, 0x7fff
	v_or_b32_e32 v64, 0x400000, v35
	v_add3_u32 v63, v63, v35, 0x7fff
	v_lshrrev_b32_e32 v40, 16, v36
	s_wait_alu 0xf1ff
	v_cndmask_b32_e64 v49, v59, v60, s0
	v_cmp_u_f32_e64 s0, v41, v41
	v_lshrrev_b32_e32 v41, 16, v37
	v_lshrrev_b32_e32 v38, 16, v38
	;; [unrolled: 1-line block ×4, first 2 shown]
	s_wait_alu 0xf1ff
	v_cndmask_b32_e64 v50, v61, v62, s0
	v_cmp_u_f32_e64 s0, v35, v35
	v_lshrrev_b32_e32 v37, 16, v49
	s_delay_alu instid0(VALU_DEP_3) | instskip(SKIP_1) | instid1(VALU_DEP_3)
	v_lshrrev_b32_e32 v34, 16, v50
	s_wait_alu 0xf1ff
	v_cndmask_b32_e64 v35, v63, v64, s0
	s_delay_alu instid0(VALU_DEP_1)
	v_lshrrev_b32_e32 v35, 16, v35
	s_and_saveexec_b32 s12, vcc_lo
	s_cbranch_execz .LBB320_47
; %bb.46:                               ;   in Loop: Header=BB320_42 Depth=1
	v_cmp_gt_i32_e64 s0, s48, v30
	s_wait_alu 0xf1ff
	s_delay_alu instid0(VALU_DEP_1) | instskip(SKIP_2) | instid1(VALU_DEP_1)
	v_cndmask_b32_e64 v40, 0, v40, s0
	v_cmp_gt_i32_e64 s0, s48, v47
	s_wait_alu 0xf1ff
	v_cndmask_b32_e64 v41, 0, v41, s0
	v_cmp_gt_i32_e64 s0, s48, v46
	s_wait_alu 0xf1ff
	s_delay_alu instid0(VALU_DEP_1) | instskip(SKIP_2) | instid1(VALU_DEP_1)
	v_cndmask_b32_e64 v38, 0, v38, s0
	v_cmp_gt_i32_e64 s0, s48, v45
	s_wait_alu 0xf1ff
	v_cndmask_b32_e64 v39, 0, v39, s0
	;; [unrolled: 7-line block ×4, first 2 shown]
.LBB320_47:                             ;   in Loop: Header=BB320_42 Depth=1
	s_wait_alu 0xfffe
	s_or_b32 exec_lo, exec_lo, s12
	global_load_b64 v[48:49], v[13:14], off offset:512
	s_wait_loadcnt 0x0
	v_bfe_u32 v53, v48, 16, 8
	v_bfe_u32 v55, v49, 8, 8
	;; [unrolled: 1-line block ×4, first 2 shown]
	s_delay_alu instid0(VALU_DEP_4)
	v_cvt_f32_fp8_e32 v53, v53
	v_and_b32_e32 v50, 0xff, v48
	v_cvt_f32_fp8_e32 v55, v55
	v_and_b32_e32 v54, 0xff, v49
	v_lshrrev_b32_e32 v49, 24, v49
	v_mul_f32_e32 v53, s11, v53
	v_cvt_f32_fp8_e32 v50, v50
	v_cvt_f32_fp8_e32 v52, v52
	v_lshrrev_b32_e32 v48, 24, v48
	v_cvt_f32_fp8_e32 v49, v49
	s_delay_alu instid0(VALU_DEP_4) | instskip(NEXT) | instid1(VALU_DEP_4)
	v_dual_mul_f32 v55, s11, v55 :: v_dual_mul_f32 v50, s11, v50
	v_mul_f32_e32 v52, s11, v52
	s_delay_alu instid0(VALU_DEP_4) | instskip(NEXT) | instid1(VALU_DEP_4)
	v_cvt_f32_fp8_e32 v48, v48
	v_mul_f32_e32 v49, s11, v49
	v_cvt_f32_fp8_e32 v54, v54
	v_bfe_u32 v57, v50, 16, 1
	v_or_b32_e32 v58, 0x400000, v50
	v_bfe_u32 v59, v52, 16, 1
	v_cmp_u_f32_e64 s0, v50, v50
	v_mul_f32_e32 v48, s11, v48
	v_add3_u32 v57, v57, v50, 0x7fff
	v_or_b32_e32 v60, 0x400000, v52
	v_bfe_u32 v61, v53, 16, 1
	v_add3_u32 v59, v59, v52, 0x7fff
	v_mul_f32_e32 v54, s11, v54
	s_wait_alu 0xf1ff
	v_cndmask_b32_e64 v50, v57, v58, s0
	v_cmp_u_f32_e64 s0, v52, v52
	v_or_b32_e32 v62, 0x400000, v53
	v_bfe_u32 v63, v48, 16, 1
	v_add3_u32 v61, v61, v53, 0x7fff
	v_cvt_f32_fp8_e32 v56, v56
	s_wait_alu 0xf1ff
	v_cndmask_b32_e64 v52, v59, v60, s0
	v_cmp_u_f32_e64 s0, v53, v53
	v_or_b32_e32 v64, 0x400000, v48
	v_bfe_u32 v65, v54, 16, 1
	v_add3_u32 v63, v63, v48, 0x7fff
	v_mul_f32_e32 v56, s11, v56
	s_wait_alu 0xf1ff
	v_cndmask_b32_e64 v53, v61, v62, s0
	v_cmp_u_f32_e64 s0, v48, v48
	v_or_b32_e32 v66, 0x400000, v54
	v_bfe_u32 v67, v55, 16, 1
	v_add3_u32 v65, v65, v54, 0x7fff
	v_or_b32_e32 v68, 0x400000, v55
	s_wait_alu 0xf1ff
	v_cndmask_b32_e64 v48, v63, v64, s0
	v_cmp_u_f32_e64 s0, v54, v54
	v_bfe_u32 v69, v56, 16, 1
	v_add3_u32 v67, v67, v55, 0x7fff
	v_or_b32_e32 v70, 0x400000, v56
	v_bfe_u32 v71, v49, 16, 1
	s_wait_alu 0xf1ff
	v_cndmask_b32_e64 v57, v65, v66, s0
	v_cmp_u_f32_e64 s0, v55, v55
	v_add3_u32 v69, v69, v56, 0x7fff
	v_or_b32_e32 v72, 0x400000, v49
	v_add3_u32 v71, v71, v49, 0x7fff
	v_lshrrev_b32_e32 v55, 16, v50
	s_wait_alu 0xf1ff
	v_cndmask_b32_e64 v58, v67, v68, s0
	v_cmp_u_f32_e64 s0, v56, v56
	v_lshrrev_b32_e32 v56, 16, v52
	v_lshrrev_b32_e32 v53, 16, v53
	;; [unrolled: 1-line block ×4, first 2 shown]
	s_wait_alu 0xf1ff
	v_cndmask_b32_e64 v59, v69, v70, s0
	v_cmp_u_f32_e64 s0, v49, v49
	v_lshrrev_b32_e32 v52, 16, v58
	s_delay_alu instid0(VALU_DEP_3) | instskip(SKIP_1) | instid1(VALU_DEP_3)
	v_lshrrev_b32_e32 v48, 16, v59
	s_wait_alu 0xf1ff
	v_cndmask_b32_e64 v49, v71, v72, s0
	s_delay_alu instid0(VALU_DEP_1)
	v_lshrrev_b32_e32 v49, 16, v49
	s_and_saveexec_b32 s12, vcc_lo
	s_cbranch_execz .LBB320_49
; %bb.48:                               ;   in Loop: Header=BB320_42 Depth=1
	v_cmp_gt_i32_e64 s0, s48, v30
	s_wait_alu 0xf1ff
	s_delay_alu instid0(VALU_DEP_1) | instskip(SKIP_2) | instid1(VALU_DEP_1)
	v_cndmask_b32_e64 v55, 0, v55, s0
	v_cmp_gt_i32_e64 s0, s48, v47
	s_wait_alu 0xf1ff
	v_cndmask_b32_e64 v56, 0, v56, s0
	v_cmp_gt_i32_e64 s0, s48, v46
	s_wait_alu 0xf1ff
	s_delay_alu instid0(VALU_DEP_1) | instskip(SKIP_2) | instid1(VALU_DEP_1)
	v_cndmask_b32_e64 v53, 0, v53, s0
	v_cmp_gt_i32_e64 s0, s48, v45
	s_wait_alu 0xf1ff
	v_cndmask_b32_e64 v54, 0, v54, s0
	;; [unrolled: 7-line block ×4, first 2 shown]
.LBB320_49:                             ;   in Loop: Header=BB320_42 Depth=1
	s_wait_alu 0xfffe
	s_or_b32 exec_lo, exec_lo, s12
	global_load_b64 v[57:58], v[13:14], off offset:768
	s_wait_loadcnt 0x0
	v_bfe_u32 v60, v57, 8, 8
	v_bfe_u32 v61, v57, 16, 8
	;; [unrolled: 1-line block ×4, first 2 shown]
	s_delay_alu instid0(VALU_DEP_4)
	v_cvt_f32_fp8_e32 v60, v60
	v_and_b32_e32 v59, 0xff, v57
	v_lshrrev_b32_e32 v57, 24, v57
	v_cvt_f32_fp8_e32 v61, v61
	v_cvt_f32_fp8_e32 v64, v64
	v_mul_f32_e32 v60, s11, v60
	v_cvt_f32_fp8_e32 v59, v59
	v_and_b32_e32 v62, 0xff, v58
	v_cvt_f32_fp8_e32 v57, v57
	v_lshrrev_b32_e32 v58, 24, v58
	v_bfe_u32 v67, v60, 16, 1
	v_mul_f32_e32 v59, s11, v59
	v_cvt_f32_fp8_e32 v62, v62
	v_mul_f32_e32 v61, s11, v61
	v_dual_mul_f32 v57, s11, v57 :: v_dual_mul_f32 v64, s11, v64
	s_delay_alu instid0(VALU_DEP_4)
	v_bfe_u32 v65, v59, 16, 1
	v_or_b32_e32 v66, 0x400000, v59
	v_cmp_u_f32_e64 s0, v59, v59
	v_mul_f32_e32 v62, s11, v62
	v_or_b32_e32 v68, 0x400000, v60
	v_add3_u32 v65, v65, v59, 0x7fff
	v_bfe_u32 v69, v61, 16, 1
	v_add3_u32 v67, v67, v60, 0x7fff
	v_cvt_f32_fp8_e32 v63, v63
	v_or_b32_e32 v70, 0x400000, v61
	s_wait_alu 0xf1ff
	v_cndmask_b32_e64 v59, v65, v66, s0
	v_cmp_u_f32_e64 s0, v60, v60
	v_bfe_u32 v71, v57, 16, 1
	v_add3_u32 v69, v69, v61, 0x7fff
	v_cvt_f32_fp8_e32 v58, v58
	v_mul_f32_e32 v63, s11, v63
	s_wait_alu 0xf1ff
	v_cndmask_b32_e64 v60, v67, v68, s0
	v_cmp_u_f32_e64 s0, v61, v61
	v_or_b32_e32 v72, 0x400000, v57
	v_bfe_u32 v73, v62, 16, 1
	v_add3_u32 v71, v71, v57, 0x7fff
	v_mul_f32_e32 v58, s11, v58
	s_wait_alu 0xf1ff
	v_cndmask_b32_e64 v61, v69, v70, s0
	v_cmp_u_f32_e64 s0, v57, v57
	v_or_b32_e32 v74, 0x400000, v62
	v_bfe_u32 v75, v63, 16, 1
	v_add3_u32 v73, v73, v62, 0x7fff
	v_or_b32_e32 v76, 0x400000, v63
	s_wait_alu 0xf1ff
	v_cndmask_b32_e64 v57, v71, v72, s0
	v_cmp_u_f32_e64 s0, v62, v62
	v_bfe_u32 v77, v64, 16, 1
	v_add3_u32 v75, v75, v63, 0x7fff
	v_or_b32_e32 v78, 0x400000, v64
	v_bfe_u32 v79, v58, 16, 1
	s_wait_alu 0xf1ff
	v_cndmask_b32_e64 v62, v73, v74, s0
	v_cmp_u_f32_e64 s0, v63, v63
	v_add3_u32 v77, v77, v64, 0x7fff
	v_or_b32_e32 v80, 0x400000, v58
	v_add3_u32 v79, v79, v58, 0x7fff
	v_lshrrev_b32_e32 v69, 16, v59
	s_wait_alu 0xf1ff
	v_cndmask_b32_e64 v63, v75, v76, s0
	v_cmp_u_f32_e64 s0, v64, v64
	v_lshrrev_b32_e32 v70, 16, v60
	v_lshrrev_b32_e32 v67, 16, v61
	;; [unrolled: 1-line block ×4, first 2 shown]
	s_wait_alu 0xf1ff
	v_cndmask_b32_e64 v64, v77, v78, s0
	v_cmp_u_f32_e64 s0, v58, v58
	v_lshrrev_b32_e32 v66, 16, v63
	s_delay_alu instid0(VALU_DEP_3) | instskip(SKIP_1) | instid1(VALU_DEP_3)
	v_lshrrev_b32_e32 v63, 16, v64
	s_wait_alu 0xf1ff
	v_cndmask_b32_e64 v58, v79, v80, s0
	s_delay_alu instid0(VALU_DEP_1)
	v_lshrrev_b32_e32 v64, 16, v58
	s_and_saveexec_b32 s12, vcc_lo
	s_cbranch_execz .LBB320_51
; %bb.50:                               ;   in Loop: Header=BB320_42 Depth=1
	v_cmp_gt_i32_e64 s0, s48, v30
	s_wait_alu 0xf1ff
	s_delay_alu instid0(VALU_DEP_1) | instskip(SKIP_2) | instid1(VALU_DEP_1)
	v_cndmask_b32_e64 v69, 0, v69, s0
	v_cmp_gt_i32_e64 s0, s48, v47
	s_wait_alu 0xf1ff
	v_cndmask_b32_e64 v70, 0, v70, s0
	v_cmp_gt_i32_e64 s0, s48, v46
	s_wait_alu 0xf1ff
	s_delay_alu instid0(VALU_DEP_1) | instskip(SKIP_2) | instid1(VALU_DEP_1)
	v_cndmask_b32_e64 v67, 0, v67, s0
	v_cmp_gt_i32_e64 s0, s48, v45
	s_wait_alu 0xf1ff
	v_cndmask_b32_e64 v68, 0, v68, s0
	;; [unrolled: 7-line block ×4, first 2 shown]
.LBB320_51:                             ;   in Loop: Header=BB320_42 Depth=1
	s_wait_alu 0xfffe
	s_or_b32 exec_lo, exec_lo, s12
	global_load_b64 v[57:58], v[13:14], off offset:1024
	s_wait_loadcnt 0x0
	v_bfe_u32 v60, v57, 8, 8
	v_bfe_u32 v61, v57, 16, 8
	;; [unrolled: 1-line block ×4, first 2 shown]
	s_delay_alu instid0(VALU_DEP_4)
	v_cvt_f32_fp8_e32 v60, v60
	v_and_b32_e32 v59, 0xff, v57
	v_lshrrev_b32_e32 v57, 24, v57
	v_cvt_f32_fp8_e32 v61, v61
	v_cvt_f32_fp8_e32 v72, v72
	v_mul_f32_e32 v60, s11, v60
	v_cvt_f32_fp8_e32 v59, v59
	v_and_b32_e32 v62, 0xff, v58
	v_cvt_f32_fp8_e32 v57, v57
	v_lshrrev_b32_e32 v58, 24, v58
	v_bfe_u32 v75, v60, 16, 1
	v_mul_f32_e32 v59, s11, v59
	v_cvt_f32_fp8_e32 v62, v62
	v_mul_f32_e32 v61, s11, v61
	v_dual_mul_f32 v57, s11, v57 :: v_dual_mul_f32 v72, s11, v72
	s_delay_alu instid0(VALU_DEP_4)
	v_bfe_u32 v73, v59, 16, 1
	v_or_b32_e32 v74, 0x400000, v59
	v_cmp_u_f32_e64 s0, v59, v59
	v_mul_f32_e32 v62, s11, v62
	v_or_b32_e32 v76, 0x400000, v60
	v_add3_u32 v73, v73, v59, 0x7fff
	v_bfe_u32 v77, v61, 16, 1
	v_add3_u32 v75, v75, v60, 0x7fff
	v_cvt_f32_fp8_e32 v71, v71
	v_or_b32_e32 v78, 0x400000, v61
	s_wait_alu 0xf1ff
	v_cndmask_b32_e64 v59, v73, v74, s0
	v_cmp_u_f32_e64 s0, v60, v60
	v_bfe_u32 v79, v57, 16, 1
	v_add3_u32 v77, v77, v61, 0x7fff
	v_cvt_f32_fp8_e32 v58, v58
	v_mul_f32_e32 v71, s11, v71
	s_wait_alu 0xf1ff
	v_cndmask_b32_e64 v60, v75, v76, s0
	v_cmp_u_f32_e64 s0, v61, v61
	v_or_b32_e32 v80, 0x400000, v57
	v_bfe_u32 v81, v62, 16, 1
	v_add3_u32 v79, v79, v57, 0x7fff
	v_mul_f32_e32 v58, s11, v58
	s_wait_alu 0xf1ff
	v_cndmask_b32_e64 v61, v77, v78, s0
	v_cmp_u_f32_e64 s0, v57, v57
	v_or_b32_e32 v82, 0x400000, v62
	v_bfe_u32 v83, v71, 16, 1
	v_add3_u32 v81, v81, v62, 0x7fff
	v_or_b32_e32 v84, 0x400000, v71
	s_wait_alu 0xf1ff
	v_cndmask_b32_e64 v57, v79, v80, s0
	v_cmp_u_f32_e64 s0, v62, v62
	v_bfe_u32 v85, v72, 16, 1
	v_add3_u32 v83, v83, v71, 0x7fff
	v_or_b32_e32 v86, 0x400000, v72
	v_bfe_u32 v87, v58, 16, 1
	s_wait_alu 0xf1ff
	v_cndmask_b32_e64 v62, v81, v82, s0
	v_cmp_u_f32_e64 s0, v71, v71
	v_add3_u32 v85, v85, v72, 0x7fff
	v_or_b32_e32 v88, 0x400000, v58
	v_add3_u32 v87, v87, v58, 0x7fff
	v_lshrrev_b32_e32 v77, 16, v59
	s_wait_alu 0xf1ff
	v_cndmask_b32_e64 v71, v83, v84, s0
	v_cmp_u_f32_e64 s0, v72, v72
	v_lshrrev_b32_e32 v78, 16, v60
	v_lshrrev_b32_e32 v75, 16, v61
	v_lshrrev_b32_e32 v76, 16, v57
	v_lshrrev_b32_e32 v73, 16, v62
	s_wait_alu 0xf1ff
	v_cndmask_b32_e64 v72, v85, v86, s0
	v_cmp_u_f32_e64 s0, v58, v58
	v_lshrrev_b32_e32 v74, 16, v71
	s_delay_alu instid0(VALU_DEP_3) | instskip(SKIP_1) | instid1(VALU_DEP_3)
	v_lshrrev_b32_e32 v71, 16, v72
	s_wait_alu 0xf1ff
	v_cndmask_b32_e64 v58, v87, v88, s0
	s_delay_alu instid0(VALU_DEP_1)
	v_lshrrev_b32_e32 v72, 16, v58
	s_and_saveexec_b32 s12, vcc_lo
	s_cbranch_execz .LBB320_53
; %bb.52:                               ;   in Loop: Header=BB320_42 Depth=1
	v_cmp_gt_i32_e64 s0, s48, v30
	s_wait_alu 0xf1ff
	s_delay_alu instid0(VALU_DEP_1) | instskip(SKIP_2) | instid1(VALU_DEP_1)
	v_cndmask_b32_e64 v77, 0, v77, s0
	v_cmp_gt_i32_e64 s0, s48, v47
	s_wait_alu 0xf1ff
	v_cndmask_b32_e64 v78, 0, v78, s0
	v_cmp_gt_i32_e64 s0, s48, v46
	s_wait_alu 0xf1ff
	s_delay_alu instid0(VALU_DEP_1) | instskip(SKIP_2) | instid1(VALU_DEP_1)
	v_cndmask_b32_e64 v75, 0, v75, s0
	v_cmp_gt_i32_e64 s0, s48, v45
	s_wait_alu 0xf1ff
	v_cndmask_b32_e64 v76, 0, v76, s0
	;; [unrolled: 7-line block ×4, first 2 shown]
.LBB320_53:                             ;   in Loop: Header=BB320_42 Depth=1
	s_wait_alu 0xfffe
	s_or_b32 exec_lo, exec_lo, s12
	global_load_b64 v[13:14], v[13:14], off offset:1280
	s_wait_loadcnt 0x0
	v_bfe_u32 v58, v13, 8, 8
	v_bfe_u32 v59, v13, 16, 8
	;; [unrolled: 1-line block ×4, first 2 shown]
	s_delay_alu instid0(VALU_DEP_4)
	v_cvt_f32_fp8_e32 v58, v58
	v_and_b32_e32 v57, 0xff, v13
	v_lshrrev_b32_e32 v13, 24, v13
	v_cvt_f32_fp8_e32 v59, v59
	v_cvt_f32_fp8_e32 v62, v62
	v_mul_f32_e32 v58, s11, v58
	v_cvt_f32_fp8_e32 v57, v57
	v_and_b32_e32 v60, 0xff, v14
	v_cvt_f32_fp8_e32 v13, v13
	v_lshrrev_b32_e32 v14, 24, v14
	v_bfe_u32 v81, v58, 16, 1
	v_mul_f32_e32 v57, s11, v57
	v_cvt_f32_fp8_e32 v60, v60
	v_mul_f32_e32 v59, s11, v59
	v_dual_mul_f32 v13, s11, v13 :: v_dual_mul_f32 v62, s11, v62
	s_delay_alu instid0(VALU_DEP_4)
	v_bfe_u32 v79, v57, 16, 1
	v_or_b32_e32 v80, 0x400000, v57
	v_cmp_u_f32_e64 s0, v57, v57
	v_mul_f32_e32 v60, s11, v60
	v_or_b32_e32 v82, 0x400000, v58
	v_add3_u32 v79, v79, v57, 0x7fff
	v_bfe_u32 v83, v59, 16, 1
	v_add3_u32 v81, v81, v58, 0x7fff
	v_cvt_f32_fp8_e32 v61, v61
	v_or_b32_e32 v84, 0x400000, v59
	s_wait_alu 0xf1ff
	v_cndmask_b32_e64 v57, v79, v80, s0
	v_cmp_u_f32_e64 s0, v58, v58
	v_bfe_u32 v85, v13, 16, 1
	v_add3_u32 v83, v83, v59, 0x7fff
	v_cvt_f32_fp8_e32 v14, v14
	v_mul_f32_e32 v61, s11, v61
	s_wait_alu 0xf1ff
	v_cndmask_b32_e64 v58, v81, v82, s0
	v_cmp_u_f32_e64 s0, v59, v59
	v_or_b32_e32 v86, 0x400000, v13
	v_bfe_u32 v87, v60, 16, 1
	v_add3_u32 v85, v85, v13, 0x7fff
	v_mul_f32_e32 v14, s11, v14
	s_wait_alu 0xf1ff
	v_cndmask_b32_e64 v59, v83, v84, s0
	v_cmp_u_f32_e64 s0, v13, v13
	v_or_b32_e32 v88, 0x400000, v60
	v_bfe_u32 v89, v61, 16, 1
	v_add3_u32 v87, v87, v60, 0x7fff
	v_or_b32_e32 v90, 0x400000, v61
	s_wait_alu 0xf1ff
	v_cndmask_b32_e64 v13, v85, v86, s0
	v_cmp_u_f32_e64 s0, v60, v60
	v_bfe_u32 v91, v62, 16, 1
	v_add3_u32 v89, v89, v61, 0x7fff
	v_or_b32_e32 v92, 0x400000, v62
	v_bfe_u32 v93, v14, 16, 1
	s_wait_alu 0xf1ff
	v_cndmask_b32_e64 v79, v87, v88, s0
	v_cmp_u_f32_e64 s0, v61, v61
	v_add3_u32 v91, v91, v62, 0x7fff
	v_or_b32_e32 v94, 0x400000, v14
	v_add3_u32 v93, v93, v14, 0x7fff
	v_lshrrev_b32_e32 v61, 16, v57
	s_wait_alu 0xf1ff
	v_cndmask_b32_e64 v80, v89, v90, s0
	v_cmp_u_f32_e64 s0, v62, v62
	v_lshrrev_b32_e32 v62, 16, v58
	v_lshrrev_b32_e32 v59, 16, v59
	;; [unrolled: 1-line block ×4, first 2 shown]
	s_wait_alu 0xf1ff
	v_cndmask_b32_e64 v81, v91, v92, s0
	v_cmp_u_f32_e64 s0, v14, v14
	v_lshrrev_b32_e32 v58, 16, v80
	s_delay_alu instid0(VALU_DEP_3) | instskip(SKIP_1) | instid1(VALU_DEP_3)
	v_lshrrev_b32_e32 v13, 16, v81
	s_wait_alu 0xf1ff
	v_cndmask_b32_e64 v14, v93, v94, s0
	s_delay_alu instid0(VALU_DEP_1)
	v_lshrrev_b32_e32 v14, 16, v14
	s_and_saveexec_b32 s0, vcc_lo
	s_cbranch_execz .LBB320_40
; %bb.54:                               ;   in Loop: Header=BB320_42 Depth=1
	v_cmp_gt_i32_e32 vcc_lo, s48, v30
	s_wait_alu 0xfffd
	v_cndmask_b32_e32 v61, 0, v61, vcc_lo
	v_cmp_gt_i32_e32 vcc_lo, s48, v47
	s_wait_alu 0xfffd
	v_cndmask_b32_e32 v62, 0, v62, vcc_lo
	v_cmp_gt_i32_e32 vcc_lo, s48, v46
	s_wait_alu 0xfffd
	v_cndmask_b32_e32 v59, 0, v59, vcc_lo
	v_cmp_gt_i32_e32 vcc_lo, s48, v45
	s_wait_alu 0xfffd
	v_cndmask_b32_e32 v60, 0, v60, vcc_lo
	v_cmp_gt_i32_e32 vcc_lo, s48, v44
	s_wait_alu 0xfffd
	v_cndmask_b32_e32 v57, 0, v57, vcc_lo
	v_cmp_gt_i32_e32 vcc_lo, s48, v43
	s_wait_alu 0xfffd
	v_cndmask_b32_e32 v58, 0, v58, vcc_lo
	v_cmp_gt_i32_e32 vcc_lo, s48, v42
	s_wait_alu 0xfffd
	v_cndmask_b32_e32 v13, 0, v13, vcc_lo
	v_cmp_gt_i32_e32 vcc_lo, s48, v51
	s_wait_alu 0xfffd
	v_cndmask_b32_e32 v14, 0, v14, vcc_lo
	s_branch .LBB320_40
.LBB320_55:
	s_or_b32 exec_lo, exec_lo, s5
.LBB320_56:
	s_wait_alu 0xfffe
	s_or_b32 exec_lo, exec_lo, s1
	v_lshl_add_u32 v2, v15, 2, 0x1a0
	v_and_b32_e32 v3, 0x3c0, v0
	s_mov_b32 s0, exec_lo
	s_wait_loadcnt 0x0
	s_wait_storecnt 0x0
	s_barrier_signal -1
	v_mad_u32_u24 v1, 0x300, v29, v2
	s_barrier_wait -1
	global_inv scope:SCOPE_SE
	v_cmpx_eq_u32_e32 64, v3
	s_cbranch_execz .LBB320_58
; %bb.57:
	v_add_nc_u32_e32 v3, 0xfffffa00, v1
	v_add_nc_u32_e32 v4, 0xfffffa80, v1
	;; [unrolled: 1-line block ×6, first 2 shown]
	ds_store_b32 v3, v21
	ds_store_b32 v4, v20
	;; [unrolled: 1-line block ×6, first 2 shown]
.LBB320_58:
	s_wait_alu 0xfffe
	s_or_b32 exec_lo, exec_lo, s0
	s_delay_alu instid0(SALU_CYCLE_1)
	s_mov_b32 s0, exec_lo
	s_wait_loadcnt_dscnt 0x0
	s_barrier_signal -1
	s_barrier_wait -1
	global_inv scope:SCOPE_SE
	v_cmpx_gt_u32_e32 64, v0
	s_cbranch_execz .LBB320_60
; %bb.59:
	ds_load_2addr_b32 v[3:4], v1 offset1:32
	ds_load_2addr_b32 v[5:6], v1 offset0:64 offset1:96
	ds_load_2addr_b32 v[7:8], v1 offset0:128 offset1:160
	s_wait_dscnt 0x2
	v_dual_add_f32 v21, v21, v3 :: v_dual_add_f32 v20, v20, v4
	s_wait_dscnt 0x1
	v_dual_add_f32 v19, v19, v5 :: v_dual_add_f32 v18, v18, v6
	;; [unrolled: 2-line block ×3, first 2 shown]
.LBB320_60:
	s_wait_alu 0xfffe
	s_or_b32 exec_lo, exec_lo, s0
	v_and_b32_e32 v3, 0x3e0, v0
	s_mov_b32 s0, exec_lo
	s_wait_loadcnt 0x0
	s_barrier_signal -1
	s_barrier_wait -1
	global_inv scope:SCOPE_SE
	v_cmpx_eq_u32_e32 32, v3
	s_cbranch_execz .LBB320_62
; %bb.61:
	ds_store_2addr_b32 v2, v21, v20 offset1:32
	ds_store_2addr_b32 v2, v19, v18 offset0:64 offset1:96
	ds_store_2addr_b32 v2, v17, v16 offset0:128 offset1:160
.LBB320_62:
	s_wait_alu 0xfffe
	s_or_b32 exec_lo, exec_lo, s0
	v_cmp_gt_u32_e32 vcc_lo, 32, v0
	s_wait_loadcnt_dscnt 0x0
	s_barrier_signal -1
	s_barrier_wait -1
	global_inv scope:SCOPE_SE
	s_and_saveexec_b32 s0, vcc_lo
	s_cbranch_execz .LBB320_64
; %bb.63:
	ds_load_2addr_b32 v[2:3], v1 offset1:32
	ds_load_2addr_b32 v[4:5], v1 offset0:64 offset1:96
	ds_load_2addr_b32 v[6:7], v1 offset0:128 offset1:160
	s_wait_dscnt 0x2
	v_dual_add_f32 v21, v21, v2 :: v_dual_add_f32 v20, v20, v3
	s_wait_dscnt 0x1
	v_dual_add_f32 v19, v19, v4 :: v_dual_add_f32 v18, v18, v5
	;; [unrolled: 2-line block ×3, first 2 shown]
.LBB320_64:
	s_wait_alu 0xfffe
	s_or_b32 exec_lo, exec_lo, s0
	s_wait_loadcnt 0x0
	s_barrier_signal -1
	s_barrier_wait -1
	global_inv scope:SCOPE_SE
	s_and_saveexec_b32 s0, vcc_lo
	s_cbranch_execz .LBB320_66
; %bb.65:
	v_bfe_u32 v1, v21, 16, 1
	v_bfe_u32 v2, v20, 16, 1
	v_or_b32_e32 v3, 0x400000, v21
	v_cmp_u_f32_e32 vcc_lo, v21, v21
	v_bfe_u32 v4, v19, 16, 1
	v_add3_u32 v1, v1, v21, 0x7fff
	v_lshlrev_b32_e32 v0, 1, v0
	v_add3_u32 v2, v2, v20, 0x7fff
	v_or_b32_e32 v5, 0x400000, v20
	v_bfe_u32 v6, v17, 16, 1
	s_wait_alu 0xfffd
	v_cndmask_b32_e32 v1, v1, v3, vcc_lo
	v_cmp_u_f32_e32 vcc_lo, v20, v20
	v_add3_u32 v3, v4, v19, 0x7fff
	v_or_b32_e32 v4, 0x400000, v19
	v_or_b32_e32 v7, 0x400000, v18
	s_mul_i32 s0, s10, 0xc0
	s_wait_alu 0xfffd
	v_cndmask_b32_e32 v2, v2, v5, vcc_lo
	v_bfe_u32 v5, v18, 16, 1
	v_cmp_u_f32_e32 vcc_lo, v19, v19
	s_mul_i32 s2, s27, s34
	s_wait_alu 0xfffe
	s_ashr_i32 s1, s0, 31
	v_add3_u32 v6, v6, v17, 0x7fff
	v_add3_u32 v5, v5, v18, 0x7fff
	s_wait_alu 0xfffd
	v_cndmask_b32_e32 v3, v3, v4, vcc_lo
	v_cmp_u_f32_e32 vcc_lo, v18, v18
	v_bfe_u32 v4, v16, 16, 1
	v_or_b32_e32 v8, 0x400000, v17
	s_ashr_i32 s3, s2, 31
	s_wait_alu 0xfffe
	s_lshl_b64 s[0:1], s[0:1], 1
	s_wait_alu 0xfffd
	v_cndmask_b32_e32 v5, v5, v7, vcc_lo
	v_cmp_u_f32_e32 vcc_lo, v17, v17
	s_lshl_b64 s[2:3], s[2:3], 1
	s_wait_kmcnt 0x0
	s_wait_alu 0xfffe
	s_add_nc_u64 s[0:1], s[8:9], s[0:1]
	v_add3_u32 v4, v4, v16, 0x7fff
	v_or_b32_e32 v9, 0x400000, v16
	s_wait_alu 0xfffd
	v_cndmask_b32_e32 v6, v6, v8, vcc_lo
	v_cmp_u_f32_e32 vcc_lo, v16, v16
	s_mul_i32 s4, s33, 0x180
	s_wait_alu 0xfffe
	s_add_nc_u64 s[0:1], s[0:1], s[2:3]
	s_mov_b32 s5, 0
	s_wait_alu 0xfffe
	s_add_nc_u64 s[0:1], s[0:1], s[4:5]
	s_wait_alu 0xfffd
	v_cndmask_b32_e32 v4, v4, v9, vcc_lo
	s_clause 0x5
	global_store_d16_hi_b16 v0, v1, s[0:1]
	global_store_d16_hi_b16 v0, v2, s[0:1] offset:64
	global_store_d16_hi_b16 v0, v3, s[0:1] offset:128
	;; [unrolled: 1-line block ×5, first 2 shown]
.LBB320_66:
	s_nop 0
	s_sendmsg sendmsg(MSG_DEALLOC_VGPRS)
	s_endpgm
	.section	.rodata,"a",@progbits
	.p2align	6, 0x0
	.amdhsa_kernel _ZN4vllm25paged_attention_v2_kernelI14__hip_bfloat16hLi192ELi8ELi128ELNS_18Fp8KVCacheDataTypeE1ELb1ELi512EEEvPfS3_PT_PKS4_PKT0_SA_ifPKiSC_iPKfiiiSE_SE_iiiii
		.amdhsa_group_segment_fixed_size 416
		.amdhsa_private_segment_fixed_size 0
		.amdhsa_kernarg_size 400
		.amdhsa_user_sgpr_count 2
		.amdhsa_user_sgpr_dispatch_ptr 0
		.amdhsa_user_sgpr_queue_ptr 0
		.amdhsa_user_sgpr_kernarg_segment_ptr 1
		.amdhsa_user_sgpr_dispatch_id 0
		.amdhsa_user_sgpr_private_segment_size 0
		.amdhsa_wavefront_size32 1
		.amdhsa_uses_dynamic_stack 0
		.amdhsa_enable_private_segment 0
		.amdhsa_system_sgpr_workgroup_id_x 1
		.amdhsa_system_sgpr_workgroup_id_y 1
		.amdhsa_system_sgpr_workgroup_id_z 1
		.amdhsa_system_sgpr_workgroup_info 0
		.amdhsa_system_vgpr_workitem_id 0
		.amdhsa_next_free_vgpr 126
		.amdhsa_next_free_sgpr 62
		.amdhsa_reserve_vcc 1
		.amdhsa_float_round_mode_32 0
		.amdhsa_float_round_mode_16_64 0
		.amdhsa_float_denorm_mode_32 3
		.amdhsa_float_denorm_mode_16_64 3
		.amdhsa_fp16_overflow 0
		.amdhsa_workgroup_processor_mode 1
		.amdhsa_memory_ordered 1
		.amdhsa_forward_progress 1
		.amdhsa_inst_pref_size 135
		.amdhsa_round_robin_scheduling 0
		.amdhsa_exception_fp_ieee_invalid_op 0
		.amdhsa_exception_fp_denorm_src 0
		.amdhsa_exception_fp_ieee_div_zero 0
		.amdhsa_exception_fp_ieee_overflow 0
		.amdhsa_exception_fp_ieee_underflow 0
		.amdhsa_exception_fp_ieee_inexact 0
		.amdhsa_exception_int_div_zero 0
	.end_amdhsa_kernel
	.section	.text._ZN4vllm25paged_attention_v2_kernelI14__hip_bfloat16hLi192ELi8ELi128ELNS_18Fp8KVCacheDataTypeE1ELb1ELi512EEEvPfS3_PT_PKS4_PKT0_SA_ifPKiSC_iPKfiiiSE_SE_iiiii,"axG",@progbits,_ZN4vllm25paged_attention_v2_kernelI14__hip_bfloat16hLi192ELi8ELi128ELNS_18Fp8KVCacheDataTypeE1ELb1ELi512EEEvPfS3_PT_PKS4_PKT0_SA_ifPKiSC_iPKfiiiSE_SE_iiiii,comdat
.Lfunc_end320:
	.size	_ZN4vllm25paged_attention_v2_kernelI14__hip_bfloat16hLi192ELi8ELi128ELNS_18Fp8KVCacheDataTypeE1ELb1ELi512EEEvPfS3_PT_PKS4_PKT0_SA_ifPKiSC_iPKfiiiSE_SE_iiiii, .Lfunc_end320-_ZN4vllm25paged_attention_v2_kernelI14__hip_bfloat16hLi192ELi8ELi128ELNS_18Fp8KVCacheDataTypeE1ELb1ELi512EEEvPfS3_PT_PKS4_PKT0_SA_ifPKiSC_iPKfiiiSE_SE_iiiii
                                        ; -- End function
	.set _ZN4vllm25paged_attention_v2_kernelI14__hip_bfloat16hLi192ELi8ELi128ELNS_18Fp8KVCacheDataTypeE1ELb1ELi512EEEvPfS3_PT_PKS4_PKT0_SA_ifPKiSC_iPKfiiiSE_SE_iiiii.num_vgpr, 126
	.set _ZN4vllm25paged_attention_v2_kernelI14__hip_bfloat16hLi192ELi8ELi128ELNS_18Fp8KVCacheDataTypeE1ELb1ELi512EEEvPfS3_PT_PKS4_PKT0_SA_ifPKiSC_iPKfiiiSE_SE_iiiii.num_agpr, 0
	.set _ZN4vllm25paged_attention_v2_kernelI14__hip_bfloat16hLi192ELi8ELi128ELNS_18Fp8KVCacheDataTypeE1ELb1ELi512EEEvPfS3_PT_PKS4_PKT0_SA_ifPKiSC_iPKfiiiSE_SE_iiiii.numbered_sgpr, 62
	.set _ZN4vllm25paged_attention_v2_kernelI14__hip_bfloat16hLi192ELi8ELi128ELNS_18Fp8KVCacheDataTypeE1ELb1ELi512EEEvPfS3_PT_PKS4_PKT0_SA_ifPKiSC_iPKfiiiSE_SE_iiiii.num_named_barrier, 0
	.set _ZN4vllm25paged_attention_v2_kernelI14__hip_bfloat16hLi192ELi8ELi128ELNS_18Fp8KVCacheDataTypeE1ELb1ELi512EEEvPfS3_PT_PKS4_PKT0_SA_ifPKiSC_iPKfiiiSE_SE_iiiii.private_seg_size, 0
	.set _ZN4vllm25paged_attention_v2_kernelI14__hip_bfloat16hLi192ELi8ELi128ELNS_18Fp8KVCacheDataTypeE1ELb1ELi512EEEvPfS3_PT_PKS4_PKT0_SA_ifPKiSC_iPKfiiiSE_SE_iiiii.uses_vcc, 1
	.set _ZN4vllm25paged_attention_v2_kernelI14__hip_bfloat16hLi192ELi8ELi128ELNS_18Fp8KVCacheDataTypeE1ELb1ELi512EEEvPfS3_PT_PKS4_PKT0_SA_ifPKiSC_iPKfiiiSE_SE_iiiii.uses_flat_scratch, 0
	.set _ZN4vllm25paged_attention_v2_kernelI14__hip_bfloat16hLi192ELi8ELi128ELNS_18Fp8KVCacheDataTypeE1ELb1ELi512EEEvPfS3_PT_PKS4_PKT0_SA_ifPKiSC_iPKfiiiSE_SE_iiiii.has_dyn_sized_stack, 0
	.set _ZN4vllm25paged_attention_v2_kernelI14__hip_bfloat16hLi192ELi8ELi128ELNS_18Fp8KVCacheDataTypeE1ELb1ELi512EEEvPfS3_PT_PKS4_PKT0_SA_ifPKiSC_iPKfiiiSE_SE_iiiii.has_recursion, 0
	.set _ZN4vllm25paged_attention_v2_kernelI14__hip_bfloat16hLi192ELi8ELi128ELNS_18Fp8KVCacheDataTypeE1ELb1ELi512EEEvPfS3_PT_PKS4_PKT0_SA_ifPKiSC_iPKfiiiSE_SE_iiiii.has_indirect_call, 0
	.section	.AMDGPU.csdata,"",@progbits
; Kernel info:
; codeLenInByte = 17256
; TotalNumSgprs: 64
; NumVgprs: 126
; ScratchSize: 0
; MemoryBound: 0
; FloatMode: 240
; IeeeMode: 1
; LDSByteSize: 416 bytes/workgroup (compile time only)
; SGPRBlocks: 0
; VGPRBlocks: 15
; NumSGPRsForWavesPerEU: 64
; NumVGPRsForWavesPerEU: 126
; Occupancy: 10
; WaveLimiterHint : 1
; COMPUTE_PGM_RSRC2:SCRATCH_EN: 0
; COMPUTE_PGM_RSRC2:USER_SGPR: 2
; COMPUTE_PGM_RSRC2:TRAP_HANDLER: 0
; COMPUTE_PGM_RSRC2:TGID_X_EN: 1
; COMPUTE_PGM_RSRC2:TGID_Y_EN: 1
; COMPUTE_PGM_RSRC2:TGID_Z_EN: 1
; COMPUTE_PGM_RSRC2:TIDIG_COMP_CNT: 0
	.section	.text._ZN4vllm25paged_attention_v2_kernelI14__hip_bfloat16hLi256ELi8ELi128ELNS_18Fp8KVCacheDataTypeE1ELb1ELi512EEEvPfS3_PT_PKS4_PKT0_SA_ifPKiSC_iPKfiiiSE_SE_iiiii,"axG",@progbits,_ZN4vllm25paged_attention_v2_kernelI14__hip_bfloat16hLi256ELi8ELi128ELNS_18Fp8KVCacheDataTypeE1ELb1ELi512EEEvPfS3_PT_PKS4_PKT0_SA_ifPKiSC_iPKfiiiSE_SE_iiiii,comdat
	.protected	_ZN4vllm25paged_attention_v2_kernelI14__hip_bfloat16hLi256ELi8ELi128ELNS_18Fp8KVCacheDataTypeE1ELb1ELi512EEEvPfS3_PT_PKS4_PKT0_SA_ifPKiSC_iPKfiiiSE_SE_iiiii ; -- Begin function _ZN4vllm25paged_attention_v2_kernelI14__hip_bfloat16hLi256ELi8ELi128ELNS_18Fp8KVCacheDataTypeE1ELb1ELi512EEEvPfS3_PT_PKS4_PKT0_SA_ifPKiSC_iPKfiiiSE_SE_iiiii
	.globl	_ZN4vllm25paged_attention_v2_kernelI14__hip_bfloat16hLi256ELi8ELi128ELNS_18Fp8KVCacheDataTypeE1ELb1ELi512EEEvPfS3_PT_PKS4_PKT0_SA_ifPKiSC_iPKfiiiSE_SE_iiiii
	.p2align	8
	.type	_ZN4vllm25paged_attention_v2_kernelI14__hip_bfloat16hLi256ELi8ELi128ELNS_18Fp8KVCacheDataTypeE1ELb1ELi512EEEvPfS3_PT_PKS4_PKT0_SA_ifPKiSC_iPKfiiiSE_SE_iiiii,@function
_ZN4vllm25paged_attention_v2_kernelI14__hip_bfloat16hLi256ELi8ELi128ELNS_18Fp8KVCacheDataTypeE1ELb1ELi512EEEvPfS3_PT_PKS4_PKT0_SA_ifPKiSC_iPKfiiiSE_SE_iiiii: ; @_ZN4vllm25paged_attention_v2_kernelI14__hip_bfloat16hLi256ELi8ELi128ELNS_18Fp8KVCacheDataTypeE1ELb1ELi512EEEvPfS3_PT_PKS4_PKT0_SA_ifPKiSC_iPKfiiiSE_SE_iiiii
; %bb.0:
	s_load_b64 s[2:3], s[0:1], 0x40
	s_and_b32 s51, ttmp7, 0xffff
	s_lshr_b32 s50, ttmp7, 16
	s_lshl_b32 s4, s51, 2
	s_lshl_b32 s34, s50, 9
	s_wait_kmcnt 0x0
	s_load_b32 s33, s[2:3], s4 offset:0x0
	s_wait_kmcnt 0x0
	s_cmp_ge_i32 s34, s33
	s_cbranch_scc1 .LBB321_70
; %bb.1:
	s_clause 0x1
	s_load_b32 s52, s[0:1], 0x90
	s_load_b64 s[48:49], s[0:1], 0x30
	s_wait_kmcnt 0x0
	s_abs_i32 s5, s52
	s_abs_i32 s2, s48
	s_delay_alu instid0(SALU_CYCLE_1) | instskip(SKIP_1) | instid1(SALU_CYCLE_2)
	s_cvt_f32_u32 s3, s2
	s_sub_co_i32 s4, 0, s2
	v_rcp_iflag_f32_e32 v1, s3
	s_delay_alu instid0(TRANS32_DEP_1) | instskip(SKIP_2) | instid1(SALU_CYCLE_2)
	v_readfirstlane_b32 s3, v1
	s_mul_f32 s3, s3, 0x4f7ffffe
	s_wait_alu 0xfffe
	s_cvt_u32_f32 s3, s3
	s_wait_alu 0xfffe
	s_delay_alu instid0(SALU_CYCLE_2) | instskip(NEXT) | instid1(SALU_CYCLE_1)
	s_mul_i32 s4, s4, s3
	s_mul_hi_u32 s4, s3, s4
	s_delay_alu instid0(SALU_CYCLE_1)
	s_add_co_i32 s3, s3, s4
	s_xor_b32 s4, s52, s48
	s_wait_alu 0xfffe
	s_mul_hi_u32 s3, s5, s3
	s_ashr_i32 s4, s4, 31
	s_wait_alu 0xfffe
	s_mul_i32 s6, s3, s2
	s_delay_alu instid0(SALU_CYCLE_1)
	s_sub_co_i32 s5, s5, s6
	s_add_co_i32 s6, s3, 1
	s_sub_co_i32 s7, s5, s2
	s_cmp_ge_u32 s5, s2
	s_cselect_b32 s3, s6, s3
	s_cselect_b32 s5, s7, s5
	s_wait_alu 0xfffe
	s_add_co_i32 s6, s3, 1
	s_cmp_ge_u32 s5, s2
	s_cselect_b32 s2, s6, s3
	s_load_b64 s[6:7], s[0:1], 0x50
	s_xor_b32 s2, s2, s4
	s_mov_b32 s3, 0
	s_wait_alu 0xfffe
	s_sub_co_i32 s9, s2, s4
	s_mov_b32 s54, s3
	s_abs_i32 s8, s9
	s_delay_alu instid0(SALU_CYCLE_1) | instskip(SKIP_1) | instid1(SALU_CYCLE_2)
	s_cvt_f32_u32 s2, s8
	s_wait_alu 0xfffe
	v_rcp_iflag_f32_e32 v1, s2
	s_delay_alu instid0(TRANS32_DEP_1) | instskip(SKIP_2) | instid1(SALU_CYCLE_2)
	v_readfirstlane_b32 s2, v1
	s_mul_f32 s2, s2, 0x4f7ffffe
	s_wait_alu 0xfffe
	s_cvt_u32_f32 s4, s2
	s_sub_co_i32 s2, 0, s8
	s_wait_alu 0xfffe
	s_delay_alu instid0(SALU_CYCLE_1)
	s_mul_i32 s2, s2, s4
	s_wait_alu 0xfffe
	s_mul_hi_u32 s5, s4, s2
	s_abs_i32 s2, ttmp9
	s_add_co_i32 s4, s4, s5
	s_mov_b32 s5, s3
	s_wait_kmcnt 0x0
	s_cmp_eq_u64 s[6:7], 0
	s_cbranch_scc1 .LBB321_3
; %bb.2:
	s_mov_b32 s10, ttmp9
	s_ashr_i32 s11, ttmp9, 31
	s_delay_alu instid0(SALU_CYCLE_1) | instskip(NEXT) | instid1(SALU_CYCLE_1)
	s_lshl_b64 s[10:11], s[10:11], 2
	s_add_nc_u64 s[6:7], s[6:7], s[10:11]
	s_load_b32 s54, s[6:7], 0x0
.LBB321_3:
	s_load_b96 s[36:38], s[0:1], 0x58
	v_and_b32_e32 v1, 3, v0
	s_mul_u64 s[4:5], s[2:3], s[4:5]
	s_ashr_i32 s3, ttmp9, 31
	s_ashr_i32 s4, s9, 31
	s_lshl_b32 s40, ttmp9, 8
	s_mov_b32 s6, exec_lo
	v_cmpx_gt_u32_e32 0x80, v0
	s_cbranch_execz .LBB321_5
; %bb.4:
	s_load_b64 s[10:11], s[0:1], 0x18
	s_wait_kmcnt 0x0
	s_mul_i32 s12, s36, s51
	s_ashr_i32 s41, s40, 31
	s_ashr_i32 s13, s12, 31
	v_lshlrev_b32_e32 v2, 2, v0
	s_lshl_b64 s[12:13], s[12:13], 1
	v_and_b32_e32 v3, 0x3fc, v0
	s_delay_alu instid0(VALU_DEP_1) | instskip(SKIP_2) | instid1(SALU_CYCLE_1)
	v_lshl_add_u32 v3, v1, 7, v3
	s_add_nc_u64 s[10:11], s[10:11], s[12:13]
	s_lshl_b64 s[12:13], s[40:41], 1
	s_add_nc_u64 s[10:11], s[10:11], s[12:13]
	global_load_b32 v2, v2, s[10:11]
	s_wait_loadcnt 0x0
	ds_store_b32 v3, v2
.LBB321_5:
	s_or_b32 exec_lo, exec_lo, s6
	s_clause 0x1
	s_load_b128 s[24:27], s[0:1], 0x78
	s_load_b32 s7, s[0:1], 0x88
	s_mul_i32 s6, s5, s8
	s_xor_b32 s3, s3, s4
	s_sub_co_i32 s2, s2, s6
	s_add_co_i32 s4, s5, 1
	s_wait_alu 0xfffe
	s_sub_co_i32 s6, s2, s8
	s_cmp_ge_u32 s2, s8
	s_mov_b32 s9, -1
	s_cselect_b32 s4, s4, s5
	s_cselect_b32 s2, s6, s2
	s_add_co_i32 s5, s4, 1
	s_wait_alu 0xfffe
	s_cmp_ge_u32 s2, s8
	s_wait_dscnt 0x0
	s_cselect_b32 s2, s5, s4
	s_add_co_i32 s8, s33, -1
	s_wait_alu 0xfffe
	s_xor_b32 s2, s2, s3
	s_barrier_signal -1
	s_wait_alu 0xfffe
	s_sub_co_i32 s6, s2, s3
	s_barrier_wait -1
	s_wait_kmcnt 0x0
	s_abs_i32 s35, s27
	global_inv scope:SCOPE_SE
	s_cvt_f32_u32 s4, s35
                                        ; implicit-def: $sgpr36
	s_delay_alu instid0(SALU_CYCLE_3) | instskip(NEXT) | instid1(TRANS32_DEP_1)
	v_rcp_iflag_f32_e32 v2, s4
	v_readfirstlane_b32 s4, v2
	s_mul_f32 s2, s4, 0x4f7ffffe
	s_wait_alu 0xfffe
	s_delay_alu instid0(SALU_CYCLE_2) | instskip(SKIP_2) | instid1(SALU_CYCLE_1)
	s_cvt_u32_f32 s4, s2
	s_sub_co_i32 s2, 0, s35
	s_wait_alu 0xfffe
	s_mul_i32 s3, s2, s4
	s_abs_i32 s2, s8
	s_wait_alu 0xfffe
	s_mul_hi_u32 s5, s4, s3
	s_mov_b32 s3, 0
	s_wait_alu 0xfffe
	s_add_co_i32 s42, s4, s5
	s_cmp_lt_i32 s7, 0
	s_mov_b32 s43, s3
	s_cbranch_scc0 .LBB321_7
; %bb.6:
	s_mul_i32 s4, s24, s48
	s_mov_b32 s9, s3
	s_wait_alu 0xfffe
	s_add_co_i32 s4, s6, s4
	s_wait_alu 0xfffe
	s_mul_i32 s4, s4, s7
	s_wait_alu 0xfffe
	s_sub_co_i32 s36, 1, s4
.LBB321_7:
	s_mul_u64 s[4:5], s[2:3], s[42:43]
	s_ashr_i32 s3, s8, 31
	s_and_not1_b32 vcc_lo, exec_lo, s9
	s_ashr_i32 s41, s27, 31
	s_cbranch_vccnz .LBB321_9
; %bb.8:
	s_mul_i32 s4, s52, s24
	s_wait_alu 0xfffe
	s_add_co_i32 s4, s4, ttmp9
	s_wait_alu 0xfffe
	s_mul_i32 s4, s4, s7
	s_wait_alu 0xfffe
	s_add_co_i32 s36, s4, 1
.LBB321_9:
	s_clause 0x3
	s_load_b32 s4, s[0:1], 0x48
	s_load_b64 s[44:45], s[0:1], 0x38
	s_load_b32 s27, s[0:1], 0x98
	s_load_b128 s[28:31], s[0:1], 0x68
	s_mul_i32 s7, s5, s35
	s_xor_b32 s3, s3, s41
	s_sub_co_i32 s2, s2, s7
	s_add_co_i32 s8, s5, 1
	v_lshrrev_b32_e32 v15, 5, v0
	v_mov_b32_e32 v13, 0xff7fffff
	v_mbcnt_lo_u32_b32 v10, -1, 0
	s_mul_i32 s38, s6, s38
	s_delay_alu instid0(VALU_DEP_3)
	v_lshl_add_u32 v16, v15, 3, s34
	s_wait_kmcnt 0x0
	s_mul_i32 s46, s4, s51
	s_wait_alu 0xfffe
	s_sub_co_i32 s4, s2, s35
	s_ashr_i32 s47, s46, 31
	s_cmp_ge_u32 s2, s35
	s_cselect_b32 s5, s8, s5
	s_wait_alu 0xfffe
	s_cselect_b32 s2, s4, s2
	s_add_co_i32 s4, s5, 1
	s_wait_alu 0xfffe
	s_cmp_ge_u32 s2, s35
	s_cselect_b32 s2, s4, s5
	s_add_co_i32 s4, s33, 7
	s_lshl_b32 s55, s50, 6
	s_wait_alu 0xfffe
	s_ashr_i32 s5, s4, 31
	v_or_b32_e32 v17, s55, v15
	s_wait_alu 0xfffe
	s_lshr_b32 s5, s5, 29
	s_wait_alu 0xfffe
	s_add_co_i32 s4, s4, s5
	s_add_co_i32 s5, s55, 64
	s_wait_alu 0xfffe
	s_ashr_i32 s48, s4, 3
	s_xor_b32 s4, s2, s3
	s_min_i32 s43, s5, s48
	v_lshlrev_b32_e32 v9, 2, v17
	v_cmp_gt_i32_e64 s2, s43, v17
	s_wait_alu 0xfffe
	s_sub_co_i32 s53, s4, s3
	s_and_saveexec_b32 s56, s2
	s_cbranch_execz .LBB321_21
; %bb.10:
	s_sub_co_i32 s57, s53, s25
	s_ashr_i32 s39, s38, 31
	s_cmp_neq_f32 s54, 0
	s_load_b64 s[4:5], s[0:1], 0x20
	v_bfe_u32 v11, v0, 2, 3
	v_dual_mov_b32 v20, 0xff7fffff :: v_dual_lshlrev_b32 v3, 1, v1
	s_cselect_b32 vcc_lo, -1, 0
	s_abs_i32 s58, s26
	v_lshlrev_b32_e32 v12, 7, v1
	s_cvt_f32_u32 s3, s58
	v_dual_mov_b32 v23, v17 :: v_dual_lshlrev_b32 v4, 2, v11
	s_lshl_b64 s[6:7], s[46:47], 2
	s_wait_alu 0xfffe
	v_rcp_iflag_f32_e32 v2, s3
	v_cmp_eq_u32_e64 s3, 0, v1
	v_lshlrev_b32_e32 v1, 4, v11
	v_subrev_nc_u32_e32 v13, s33, v11
	s_add_nc_u64 s[6:7], s[44:45], s[6:7]
	s_sub_co_i32 s9, 0, s58
	v_lshl_add_u32 v14, v15, 3, s34
	v_xor_b32_e32 v21, 2, v10
	v_add_nc_u32_e32 v18, 1, v13
	s_wait_kmcnt 0x0
	s_add_nc_u64 s[4:5], s[4:5], s[38:39]
	v_readfirstlane_b32 s8, v2
	s_wait_alu 0xfffe
	v_add_co_u32 v1, s4, s4, v1
	v_lshl_or_b32 v2, v15, 5, v4
	s_wait_alu 0xf1ff
	v_add_co_ci_u32_e64 v4, null, s5, 0, s4
	s_mul_f32 s8, s8, 0x4f7ffffe
	v_add_co_u32 v5, s4, v1, v3
	s_wait_alu 0xf1ff
	v_add_co_ci_u32_e64 v6, null, 0, v4, s4
	s_cvt_u32_f32 s5, s8
	v_add_co_u32 v7, s4, s6, v9
	s_wait_alu 0xf1ff
	v_add_co_ci_u32_e64 v8, null, s7, 0, s4
	s_wait_alu 0xfffe
	s_mul_i32 s9, s9, s5
	v_add_nc_u32_e32 v19, 0x220, v2
	v_xor_b32_e32 v22, 1, v10
	v_mov_b32_e32 v13, 0xff7fffff
	s_mul_hi_u32 s4, s5, s9
	s_mov_b32 s59, 0
	s_mov_b32 s39, s37
	s_wait_alu 0xfffe
	s_add_co_i32 s60, s5, s4
	s_branch .LBB321_13
.LBB321_11:                             ;   in Loop: Header=BB321_13 Depth=1
	s_wait_alu 0xfffe
	s_or_b32 exec_lo, exec_lo, s5
.LBB321_12:                             ;   in Loop: Header=BB321_13 Depth=1
	s_wait_alu 0xfffe
	s_or_b32 exec_lo, exec_lo, s61
	v_add_nc_u32_e32 v23, 4, v23
	v_add_co_u32 v7, s5, v7, 16
	s_wait_alu 0xf1ff
	v_add_co_ci_u32_e64 v8, null, 0, v8, s5
	s_delay_alu instid0(VALU_DEP_3)
	v_cmp_le_i32_e64 s4, s43, v23
	v_add_nc_u32_e32 v14, 32, v14
	v_add_nc_u32_e32 v19, 0x80, v19
	s_or_b32 s59, s4, s59
	s_wait_alu 0xfffe
	s_and_not1_b32 exec_lo, exec_lo, s59
	s_cbranch_execz .LBB321_20
.LBB321_13:                             ; =>This Inner Loop Header: Depth=1
	v_sub_nc_u32_e32 v1, 0, v14
	s_delay_alu instid0(VALU_DEP_1) | instskip(SKIP_1) | instid1(VALU_DEP_1)
	v_max_i32_e32 v1, v14, v1
	s_wait_dscnt 0x0
	v_mul_hi_u32 v2, v1, s42
	s_delay_alu instid0(VALU_DEP_1) | instskip(NEXT) | instid1(VALU_DEP_1)
	v_mul_lo_u32 v3, v2, s35
	v_sub_nc_u32_e32 v1, v1, v3
	v_add_nc_u32_e32 v3, 1, v2
	s_delay_alu instid0(VALU_DEP_2) | instskip(SKIP_2) | instid1(VALU_DEP_1)
	v_subrev_nc_u32_e32 v4, s35, v1
	v_cmp_le_u32_e64 s4, s35, v1
	s_wait_alu 0xf1ff
	v_cndmask_b32_e64 v2, v2, v3, s4
	s_delay_alu instid0(VALU_DEP_3) | instskip(SKIP_1) | instid1(VALU_DEP_3)
	v_cndmask_b32_e64 v1, v1, v4, s4
	v_ashrrev_i32_e32 v3, 31, v14
	v_add_nc_u32_e32 v4, 1, v2
	s_delay_alu instid0(VALU_DEP_3) | instskip(NEXT) | instid1(VALU_DEP_3)
	v_cmp_le_u32_e64 s4, s35, v1
	v_xor_b32_e32 v3, s41, v3
	s_wait_alu 0xf1ff
	s_delay_alu instid0(VALU_DEP_2) | instskip(NEXT) | instid1(VALU_DEP_1)
	v_cndmask_b32_e64 v1, v2, v4, s4
	v_xor_b32_e32 v1, v1, v3
	s_delay_alu instid0(VALU_DEP_1) | instskip(NEXT) | instid1(VALU_DEP_1)
	v_sub_nc_u32_e32 v1, v1, v3
	v_add_nc_u32_e32 v2, s36, v1
	v_cmp_ge_i32_e64 s5, s57, v1
	s_delay_alu instid0(VALU_DEP_2) | instskip(NEXT) | instid1(VALU_DEP_1)
	v_sub_nc_u32_e32 v3, 0, v2
	v_max_i32_e32 v3, v2, v3
	v_ashrrev_i32_e32 v2, 31, v2
	s_delay_alu instid0(VALU_DEP_2) | instskip(NEXT) | instid1(VALU_DEP_1)
	v_mul_hi_u32 v4, v3, s60
	v_mul_lo_u32 v4, v4, s58
	s_delay_alu instid0(VALU_DEP_1) | instskip(NEXT) | instid1(VALU_DEP_1)
	v_sub_nc_u32_e32 v3, v3, v4
	v_subrev_nc_u32_e32 v4, s58, v3
	v_cmp_le_u32_e64 s4, s58, v3
	s_wait_alu 0xf1ff
	s_delay_alu instid0(VALU_DEP_1) | instskip(NEXT) | instid1(VALU_DEP_1)
	v_cndmask_b32_e64 v3, v3, v4, s4
	v_subrev_nc_u32_e32 v4, s58, v3
	v_cmp_le_u32_e64 s4, s58, v3
	s_wait_alu 0xf1ff
	s_delay_alu instid0(VALU_DEP_1) | instskip(NEXT) | instid1(VALU_DEP_1)
	v_cndmask_b32_e64 v3, v3, v4, s4
	v_xor_b32_e32 v3, v3, v2
	s_delay_alu instid0(VALU_DEP_1) | instskip(NEXT) | instid1(VALU_DEP_1)
	v_sub_nc_u32_e32 v2, v3, v2
	v_cmp_ne_u32_e64 s4, 0, v2
	s_and_b32 s4, s4, s5
	s_wait_alu 0xfffe
	s_and_saveexec_b32 s5, s4
	s_wait_alu 0xfffe
	s_xor_b32 s4, exec_lo, s5
	s_cbranch_execz .LBB321_17
; %bb.14:                               ;   in Loop: Header=BB321_13 Depth=1
	s_and_saveexec_b32 s5, s3
; %bb.15:                               ;   in Loop: Header=BB321_13 Depth=1
	ds_store_b32 v19, v20
; %bb.16:                               ;   in Loop: Header=BB321_13 Depth=1
	s_wait_alu 0xfffe
	s_or_b32 exec_lo, exec_lo, s5
.LBB321_17:                             ;   in Loop: Header=BB321_13 Depth=1
	s_wait_alu 0xfffe
	s_and_not1_saveexec_b32 s61, s4
	s_cbranch_execz .LBB321_12
; %bb.18:                               ;   in Loop: Header=BB321_13 Depth=1
	global_load_b32 v1, v[7:8], off
	s_wait_loadcnt 0x0
	v_mad_co_i64_i32 v[1:2], null, v1, s39, v[5:6]
	s_clause 0x1f
	global_load_u16 v24, v[1:2], off offset:8
	global_load_u16 v25, v[1:2], off offset:128
	;; [unrolled: 1-line block ×7, first 2 shown]
	global_load_u16 v31, v[1:2], off
	global_load_u16 v71, v[1:2], off offset:512
	global_load_u16 v79, v[1:2], off offset:520
	;; [unrolled: 1-line block ×24, first 2 shown]
	ds_load_b128 v[55:58], v12
	ds_load_b128 v[101:104], v12 offset:16
	ds_load_b128 v[116:119], v12 offset:32
	;; [unrolled: 1-line block ×5, first 2 shown]
	s_load_b32 s7, s[28:29], 0x0
	ds_load_b128 v[132:135], v12 offset:96
	ds_load_b128 v[1:4], v12 offset:112
	s_wait_dscnt 0x7
	v_and_b32_e32 v113, 0xffff0000, v56
	s_wait_dscnt 0x6
	v_and_b32_e32 v77, 0xffff0000, v104
	s_wait_dscnt 0x5
	v_lshlrev_b32_e32 v64, 16, v119
	v_and_b32_e32 v65, 0xffff0000, v119
	v_lshlrev_b32_e32 v66, 16, v118
	v_and_b32_e32 v67, 0xffff0000, v118
	v_and_b32_e32 v69, 0xffff0000, v117
	v_lshlrev_b32_e32 v70, 16, v116
	v_and_b32_e32 v72, 0xffff0000, v116
	s_wait_dscnt 0x3
	v_lshlrev_b32_e32 v50, 16, v124
	v_and_b32_e32 v110, 0xffff0000, v57
	v_and_b32_e32 v112, 0xffff0000, v55
	v_lshlrev_b32_e32 v52, 16, v123
	v_and_b32_e32 v108, 0xffff0000, v58
	v_and_b32_e32 v106, 0xffff0000, v101
	v_lshlrev_b32_e32 v48, 16, v125
	s_wait_loadcnt 0x1e
	v_and_b32_e32 v118, 0xff, v25
	s_wait_loadcnt 0x1d
	v_and_b32_e32 v119, 0xff, v26
	v_lshrrev_b16 v26, 8, v26
	v_lshrrev_b16 v25, 8, v25
	v_and_b32_e32 v118, 0xffff, v118
	s_wait_loadcnt 0x18
	v_and_b32_e32 v116, 0xff, v31
	v_and_b32_e32 v26, 0xffff, v26
	v_lshrrev_b16 v31, 8, v31
	v_and_b32_e32 v25, 0xffff, v25
	v_cvt_f32_fp8_e32 v118, v118
	v_lshlrev_b32_e32 v68, 16, v117
	v_cvt_f32_fp8_e32 v26, v26
	v_lshlrev_b32_e32 v73, 16, v104
	v_and_b32_e32 v104, 0xff, v24
	v_lshrrev_b16 v24, 8, v24
	v_and_b32_e32 v116, 0xffff, v116
	s_wait_kmcnt 0x0
	v_dual_mul_f32 v26, s7, v26 :: v_dual_and_b32 v119, 0xffff, v119
	v_and_b32_e32 v117, 0xffff, v104
	v_and_b32_e32 v24, 0xffff, v24
	v_cvt_f32_fp8_e32 v116, v116
	v_lshlrev_b32_e32 v111, 16, v57
	v_cvt_f32_fp8_e32 v119, v119
	v_cvt_f32_fp8_e32 v117, v117
	v_lshlrev_b32_e32 v114, 16, v55
	v_lshlrev_b32_e32 v60, 16, v121
	v_cvt_f32_fp8_e32 v24, v24
	s_delay_alu instid0(VALU_DEP_4) | instskip(SKIP_3) | instid1(VALU_DEP_4)
	v_dual_mul_f32 v117, s7, v117 :: v_dual_lshlrev_b32 v100, 16, v103
	v_and_b32_e32 v61, 0xffff0000, v121
	v_and_b32_e32 v57, 0xffff0000, v124
	v_dual_mul_f32 v116, s7, v116 :: v_dual_and_b32 v31, 0xffff, v31
	v_bfe_u32 v121, v117, 16, 1
	v_or_b32_e32 v124, 0x400000, v117
	v_cmp_u_f32_e64 s4, v117, v117
	s_delay_alu instid0(VALU_DEP_4) | instskip(SKIP_4) | instid1(VALU_DEP_4)
	v_cmp_u_f32_e64 s5, v116, v116
	v_cvt_f32_fp8_e32 v31, v31
	v_add3_u32 v121, v121, v117, 0x7fff
	v_or_b32_e32 v117, 0x400000, v116
	v_mul_f32_e32 v119, s7, v119
	v_mul_f32_e32 v31, s7, v31
	s_wait_alu 0xf1ff
	v_cndmask_b32_e64 v121, v121, v124, s4
	s_delay_alu instid0(VALU_DEP_1) | instskip(SKIP_3) | instid1(VALU_DEP_1)
	v_and_b32_e32 v121, 0xffff0000, v121
	v_lshlrev_b32_e32 v109, 16, v58
	v_and_b32_e32 v58, 0xffff0000, v123
	v_bfe_u32 v123, v116, 16, 1
	v_add3_u32 v123, v123, v116, 0x7fff
	s_delay_alu instid0(VALU_DEP_1) | instskip(SKIP_2) | instid1(VALU_DEP_3)
	v_cndmask_b32_e64 v117, v123, v117, s5
	v_mul_f32_e32 v123, s7, v24
	v_cmp_u_f32_e64 s5, v31, v31
	v_and_b32_e32 v117, 0xffff0000, v117
	v_lshlrev_b32_e32 v115, 16, v56
	s_delay_alu instid0(VALU_DEP_4) | instskip(SKIP_2) | instid1(VALU_DEP_4)
	v_cmp_u_f32_e64 s4, v123, v123
	v_and_b32_e32 v56, 0xffff0000, v125
	v_cvt_f32_fp8_e32 v125, v25
	v_dual_mul_f32 v24, v115, v121 :: v_dual_mul_f32 v115, s7, v118
	v_bfe_u32 v118, v123, 16, 1
	v_or_b32_e32 v121, 0x400000, v123
	s_delay_alu instid0(VALU_DEP_3)
	v_fmac_f32_e32 v24, v114, v117
	v_bfe_u32 v114, v31, 16, 1
	v_bfe_u32 v117, v115, 16, 1
	v_add3_u32 v118, v118, v123, 0x7fff
	v_or_b32_e32 v123, 0x400000, v31
	v_cmp_u_f32_e64 s6, v115, v115
	v_add3_u32 v114, v114, v31, 0x7fff
	v_or_b32_e32 v31, 0x400000, v115
	v_add3_u32 v117, v117, v115, 0x7fff
	s_wait_alu 0xf1ff
	v_cndmask_b32_e64 v118, v118, v121, s4
	s_wait_loadcnt 0x16
	v_and_b32_e32 v121, 0xff, v79
	v_cndmask_b32_e64 v114, v114, v123, s5
	v_cmp_u_f32_e64 s5, v119, v119
	v_cndmask_b32_e64 v31, v117, v31, s6
	v_and_b32_e32 v117, 0xffff0000, v118
	v_lshrrev_b16 v79, 8, v79
	v_and_b32_e32 v114, 0xffff0000, v114
	s_wait_loadcnt 0x15
	v_and_b32_e32 v123, 0xff, v82
	v_lshrrev_b16 v82, 8, v82
	v_mul_f32_e32 v25, v113, v117
	v_mul_f32_e32 v117, s7, v125
	v_and_b32_e32 v31, 0xffff0000, v31
	v_lshlrev_b32_e32 v107, 16, v101
	v_and_b32_e32 v79, 0xffff, v79
	v_fmac_f32_e32 v25, v112, v114
	v_bfe_u32 v114, v117, 16, 1
	v_fmac_f32_e32 v24, v111, v31
	v_bfe_u32 v31, v119, 16, 1
	v_or_b32_e32 v111, 0x400000, v117
	v_cmp_u_f32_e64 s4, v117, v117
	v_add3_u32 v114, v114, v117, 0x7fff
	v_or_b32_e32 v117, 0x400000, v119
	v_add3_u32 v31, v31, v119, 0x7fff
	v_cvt_f32_fp8_e32 v79, v79
	s_wait_loadcnt 0x11
	v_and_b32_e32 v119, 0xff, v81
	s_wait_alu 0xf1ff
	v_cndmask_b32_e64 v111, v114, v111, s4
	v_lshrrev_b16 v81, 8, v81
	v_cndmask_b32_e64 v31, v31, v117, s5
	v_mul_f32_e32 v79, s7, v79
	v_and_b32_e32 v113, 0xff, v84
	v_lshrrev_b16 v84, 8, v84
	v_cmp_u_f32_e64 s4, v26, v26
	v_and_b32_e32 v31, 0xffff0000, v31
	v_lshlrev_b32_e32 v63, 16, v120
	v_and_b32_e32 v81, 0xffff, v81
	v_and_b32_e32 v84, 0xffff, v84
	s_wait_loadcnt 0xf
	v_dual_fmac_f32 v24, v109, v31 :: v_dual_and_b32 v117, 0xff, v88
	v_and_b32_e32 v111, 0xffff0000, v111
	v_lshlrev_b32_e32 v54, 16, v122
	v_or_b32_e32 v109, 0x400000, v26
	v_cvt_f32_fp8_e32 v81, v81
	v_and_b32_e32 v78, 0xffff0000, v103
	v_fmac_f32_e32 v25, v110, v111
	v_bfe_u32 v111, v26, 16, 1
	v_cvt_f32_fp8_e32 v84, v84
	v_and_b32_e32 v59, 0xffff0000, v122
	v_dual_mul_f32 v81, s7, v81 :: v_dual_and_b32 v122, 0xff, v28
	s_delay_alu instid0(VALU_DEP_4)
	v_add3_u32 v111, v111, v26, 0x7fff
	v_lshrrev_b16 v28, 8, v28
	v_lshrrev_b16 v88, 8, v88
	v_and_b32_e32 v82, 0xffff, v82
	v_and_b32_e32 v119, 0xffff, v119
	s_wait_alu 0xf1ff
	v_cndmask_b32_e64 v109, v111, v109, s4
	s_wait_loadcnt 0xc
	v_and_b32_e32 v111, 0xff, v97
	v_and_b32_e32 v28, 0xffff, v28
	v_lshrrev_b16 v97, 8, v97
	v_and_b32_e32 v88, 0xffff, v88
	v_cvt_f32_fp8_e32 v82, v82
	v_and_b32_e32 v111, 0xffff, v111
	v_cvt_f32_fp8_e32 v28, v28
	v_and_b32_e32 v97, 0xffff, v97
	s_delay_alu instid0(VALU_DEP_4) | instskip(NEXT) | instid1(VALU_DEP_4)
	v_dual_mul_f32 v82, s7, v82 :: v_dual_and_b32 v53, 0xffff0000, v127
	v_cvt_f32_fp8_e32 v111, v111
	s_delay_alu instid0(VALU_DEP_4)
	v_mul_f32_e32 v28, s7, v28
	v_and_b32_e32 v124, 0xff, v30
	v_cvt_f32_fp8_e32 v97, v97
	v_lshrrev_b16 v30, 8, v30
	v_mul_f32_e32 v111, s7, v111
	v_and_b32_e32 v110, 0xff, v91
	v_lshrrev_b16 v91, 8, v91
	v_dual_mul_f32 v97, s7, v97 :: v_dual_and_b32 v124, 0xffff, v124
	v_and_b32_e32 v30, 0xffff, v30
	v_cvt_f32_fp8_e32 v119, v119
	s_delay_alu instid0(VALU_DEP_4) | instskip(NEXT) | instid1(VALU_DEP_4)
	v_and_b32_e32 v91, 0xffff, v91
	v_cvt_f32_fp8_e32 v124, v124
	v_cvt_f32_fp8_e32 v88, v88
	;; [unrolled: 1-line block ×3, first 2 shown]
	s_wait_dscnt 0x2
	v_and_b32_e32 v47, 0xffff0000, v130
	v_cvt_f32_fp8_e32 v91, v91
	v_and_b32_e32 v62, 0xffff0000, v120
	v_and_b32_e32 v120, 0xff, v27
	v_mul_f32_e32 v124, s7, v124
	v_and_b32_e32 v118, 0xff, v85
	v_lshrrev_b16 v27, 8, v27
	v_mul_f32_e32 v30, s7, v30
	v_and_b32_e32 v120, 0xffff, v120
	v_and_b32_e32 v116, 0xff, v29
	v_and_b32_e32 v118, 0xffff, v118
	v_lshrrev_b16 v29, 8, v29
	v_lshrrev_b16 v85, 8, v85
	v_cvt_f32_fp8_e32 v120, v120
	v_lshlrev_b32_e32 v105, 16, v102
	v_cvt_f32_fp8_e32 v118, v118
	v_and_b32_e32 v51, 0xffff0000, v128
	s_delay_alu instid0(VALU_DEP_4) | instskip(NEXT) | instid1(VALU_DEP_3)
	v_dual_mul_f32 v120, s7, v120 :: v_dual_and_b32 v27, 0xffff, v27
	v_dual_mul_f32 v118, s7, v118 :: v_dual_and_b32 v29, 0xffff, v29
	v_and_b32_e32 v122, 0xffff, v122
	s_delay_alu instid0(VALU_DEP_3) | instskip(NEXT) | instid1(VALU_DEP_4)
	v_cvt_f32_fp8_e32 v27, v27
	v_bfe_u32 v31, v120, 16, 1
	v_or_b32_e32 v26, 0x400000, v120
	v_cmp_u_f32_e64 s5, v120, v120
	v_cvt_f32_fp8_e32 v122, v122
	v_cvt_f32_fp8_e32 v29, v29
	v_add3_u32 v31, v31, v120, 0x7fff
	v_and_b32_e32 v85, 0xffff, v85
	v_lshlrev_b32_e32 v44, 16, v127
	v_dual_mul_f32 v122, s7, v122 :: v_dual_lshlrev_b32 v37, 16, v129
	s_wait_alu 0xf1ff
	v_cndmask_b32_e64 v26, v31, v26, s5
	v_mul_f32_e32 v27, s7, v27
	v_mul_f32_e32 v29, s7, v29
	v_and_b32_e32 v109, 0xffff0000, v109
	v_cvt_f32_fp8_e32 v85, v85
	v_and_b32_e32 v26, 0xffff0000, v26
	v_lshlrev_b32_e32 v33, 16, v131
	v_cmp_u_f32_e64 s4, v27, v27
	v_cmp_u_f32_e64 s5, v122, v122
	v_dual_mul_f32 v85, s7, v85 :: v_dual_lshlrev_b32 v46, 16, v126
	v_fmac_f32_e32 v25, v108, v109
	v_bfe_u32 v109, v27, 16, 1
	v_fmac_f32_e32 v24, v107, v26
	v_bfe_u32 v26, v122, 16, 1
	v_or_b32_e32 v107, 0x400000, v27
	v_and_b32_e32 v116, 0xffff, v116
	v_add3_u32 v109, v109, v27, 0x7fff
	v_or_b32_e32 v27, 0x400000, v122
	v_add3_u32 v26, v26, v122, 0x7fff
	s_wait_loadcnt 0x9
	v_and_b32_e32 v122, 0xff, v95
	v_cvt_f32_fp8_e32 v116, v116
	s_wait_alu 0xf1ff
	v_cndmask_b32_e64 v107, v109, v107, s4
	v_lshrrev_b16 v95, 8, v95
	v_cndmask_b32_e64 v26, v26, v27, s5
	v_dual_mul_f32 v119, s7, v119 :: v_dual_mul_f32 v116, s7, v116
	s_delay_alu instid0(VALU_DEP_4) | instskip(NEXT) | instid1(VALU_DEP_4)
	v_and_b32_e32 v107, 0xffff0000, v107
	v_and_b32_e32 v95, 0xffff, v95
	s_delay_alu instid0(VALU_DEP_4)
	v_and_b32_e32 v26, 0xffff0000, v26
	v_mul_f32_e32 v88, s7, v88
	v_and_b32_e32 v108, 0xff, v98
	v_lshrrev_b16 v98, 8, v98
	v_fmac_f32_e32 v25, v106, v107
	v_bfe_u32 v107, v28, 16, 1
	v_fmac_f32_e32 v24, v105, v26
	v_bfe_u32 v26, v116, 16, 1
	v_or_b32_e32 v105, 0x400000, v28
	v_cmp_u_f32_e64 s4, v28, v28
	v_add3_u32 v107, v107, v28, 0x7fff
	v_or_b32_e32 v28, 0x400000, v116
	v_add3_u32 v26, v26, v116, 0x7fff
	v_cmp_u_f32_e64 s5, v116, v116
	v_and_b32_e32 v98, 0xffff, v98
	v_cvt_f32_fp8_e32 v95, v95
	s_wait_dscnt 0x1
	v_and_b32_e32 v42, 0xffff0000, v133
	s_wait_alu 0xf1ff
	v_cndmask_b32_e64 v105, v107, v105, s4
	v_cndmask_b32_e64 v26, v26, v28, s5
	v_cvt_f32_fp8_e32 v98, v98
	s_wait_loadcnt 0x5
	v_dual_mul_f32 v95, s7, v95 :: v_dual_and_b32 v116, 0xff, v89
	v_lshrrev_b16 v89, 8, v89
	s_wait_dscnt 0x0
	v_dual_mul_f32 v98, s7, v98 :: v_dual_lshlrev_b32 v103, 16, v3
	v_and_b32_e32 v26, 0xffff0000, v26
	v_and_b32_e32 v113, 0xffff, v113
	;; [unrolled: 1-line block ×5, first 2 shown]
	v_fmac_f32_e32 v24, v100, v26
	v_and_b32_e32 v112, 0xff, v80
	v_cvt_f32_fp8_e32 v113, v113
	v_and_b32_e32 v102, 0xffff0000, v102
	v_cvt_f32_fp8_e32 v89, v89
	v_and_b32_e32 v110, 0xffff, v110
	v_and_b32_e32 v112, 0xffff, v112
	v_cvt_f32_fp8_e32 v108, v108
	v_lshlrev_b32_e32 v101, 16, v2
	v_dual_mul_f32 v89, s7, v89 :: v_dual_and_b32 v2, 0xffff0000, v2
	s_wait_loadcnt 0x3
	v_dual_mul_f32 v113, s7, v113 :: v_dual_and_b32 v28, 0xff, v83
	v_dual_fmac_f32 v25, v102, v105 :: v_dual_lshlrev_b32 v40, 16, v128
	v_bfe_u32 v102, v29, 16, 1
	v_or_b32_e32 v105, 0x400000, v29
	v_bfe_u32 v26, v124, 16, 1
	v_cmp_u_f32_e64 s4, v29, v29
	v_and_b32_e32 v28, 0xffff, v28
	v_add3_u32 v102, v102, v29, 0x7fff
	v_cvt_f32_fp8_e32 v112, v112
	v_cvt_f32_fp8_e32 v110, v110
	v_and_b32_e32 v55, 0xffff0000, v126
	v_lshlrev_b32_e32 v41, 16, v133
	v_and_b32_e32 v109, 0xff, v94
	v_or_b32_e32 v29, 0x400000, v124
	v_add3_u32 v26, v26, v124, 0x7fff
	v_cmp_u_f32_e64 s5, v124, v124
	s_wait_alu 0xf1ff
	v_cndmask_b32_e64 v102, v102, v105, s4
	v_cvt_f32_fp8_e32 v28, v28
	v_dual_mul_f32 v112, s7, v112 :: v_dual_and_b32 v115, 0xff, v71
	v_and_b32_e32 v120, 0xff, v92
	v_lshrrev_b16 v92, 8, v92
	s_wait_loadcnt 0x1
	v_dual_mul_f32 v110, s7, v110 :: v_dual_and_b32 v105, 0xff, v75
	v_lshrrev_b16 v75, 8, v75
	v_cndmask_b32_e64 v125, v26, v29, s5
	s_wait_loadcnt 0x0
	v_and_b32_e32 v26, 0xff, v74
	v_lshrrev_b16 v29, 8, v74
	v_and_b32_e32 v74, 0xffff, v115
	v_and_b32_e32 v92, 0xffff, v92
	;; [unrolled: 1-line block ×4, first 2 shown]
	v_lshrrev_b16 v71, 8, v71
	v_and_b32_e32 v107, 0xff, v87
	v_lshrrev_b16 v87, 8, v87
	v_lshrrev_b16 v83, 8, v83
	v_cvt_f32_fp8_e32 v74, v74
	v_cvt_f32_fp8_e32 v92, v92
	;; [unrolled: 1-line block ×4, first 2 shown]
	v_lshlrev_b32_e32 v38, 16, v134
	s_delay_alu instid0(VALU_DEP_4)
	v_dual_mul_f32 v92, s7, v92 :: v_dual_lshlrev_b32 v35, 16, v135
	v_lshrrev_b16 v80, 8, v80
	v_and_b32_e32 v27, 0xff, v93
	v_bfe_u32 v100, v30, 16, 1
	v_and_b32_e32 v87, 0xffff, v87
	v_dual_mul_f32 v128, s7, v74 :: v_dual_and_b32 v83, 0xffff, v83
	v_mul_f32_e32 v109, s7, v109
	v_dual_mul_f32 v74, s7, v28 :: v_dual_and_b32 v71, 0xffff, v71
	v_dual_mul_f32 v28, s7, v126 :: v_dual_and_b32 v115, 0xffff, v121
	v_and_b32_e32 v114, 0xff, v86
	v_or_b32_e32 v124, 0x400000, v30
	v_add3_u32 v100, v100, v30, 0x7fff
	v_cmp_u_f32_e64 s6, v30, v30
	v_and_b32_e32 v80, 0xffff, v80
	v_and_b32_e32 v27, 0xffff, v27
	;; [unrolled: 1-line block ×4, first 2 shown]
	v_cvt_f32_fp8_e32 v71, v71
	v_cvt_f32_fp8_e32 v115, v115
	;; [unrolled: 1-line block ×4, first 2 shown]
	v_lshlrev_b32_e32 v34, 16, v130
	s_delay_alu instid0(VALU_DEP_4) | instskip(NEXT) | instid1(VALU_DEP_4)
	v_dual_mul_f32 v115, s7, v115 :: v_dual_lshlrev_b32 v32, 16, v132
	v_dual_mul_f32 v75, s7, v87 :: v_dual_lshlrev_b32 v104, 16, v4
	v_and_b32_e32 v114, 0xffff, v114
	v_cvt_f32_fp8_e32 v80, v80
	v_and_b32_e32 v49, 0xffff0000, v129
	v_cvt_f32_fp8_e32 v27, v27
	v_cvt_f32_fp8_e32 v26, v26
	;; [unrolled: 1-line block ×3, first 2 shown]
	v_mul_f32_e32 v129, s7, v71
	v_mul_f32_e32 v71, s7, v83
	v_and_b32_e32 v83, 0xffff0000, v102
	s_wait_alu 0xf1ff
	v_cndmask_b32_e64 v87, v100, v124, s6
	v_bfe_u32 v100, v128, 16, 1
	v_and_b32_e32 v102, 0xffff0000, v125
	v_and_b32_e32 v30, 0xff, v76
	v_lshrrev_b16 v76, 8, v76
	v_and_b32_e32 v107, 0xffff, v107
	v_cvt_f32_fp8_e32 v114, v114
	v_and_b32_e32 v45, 0xffff0000, v131
	v_mul_f32_e32 v131, s7, v27
	v_dual_mul_f32 v27, s7, v26 :: v_dual_mul_f32 v26, s7, v127
	v_and_b32_e32 v121, 0xffff, v123
	v_fmac_f32_e32 v25, v78, v83
	v_or_b32_e32 v78, 0x400000, v128
	v_and_b32_e32 v83, 0xffff0000, v87
	v_bfe_u32 v87, v129, 16, 1
	v_fmac_f32_e32 v24, v73, v102
	v_bfe_u32 v73, v115, 16, 1
	v_add3_u32 v100, v100, v128, 0x7fff
	v_cmp_u_f32_e64 s4, v128, v128
	v_and_b32_e32 v76, 0xffff, v76
	v_and_b32_e32 v105, 0xffff, v105
	v_cvt_f32_fp8_e32 v121, v121
	v_cvt_f32_fp8_e32 v107, v107
	v_or_b32_e32 v102, 0x400000, v129
	v_fmac_f32_e32 v25, v77, v83
	v_or_b32_e32 v77, 0x400000, v115
	v_bfe_u32 v83, v79, 16, 1
	v_add3_u32 v87, v87, v129, 0x7fff
	v_cmp_u_f32_e64 s5, v129, v129
	s_wait_alu 0xf1ff
	v_cndmask_b32_e64 v78, v100, v78, s4
	v_add3_u32 v73, v73, v115, 0x7fff
	v_cmp_u_f32_e64 s4, v115, v115
	v_and_b32_e32 v117, 0xffff, v117
	v_cvt_f32_fp8_e32 v123, v76
	v_cvt_f32_fp8_e32 v105, v105
	v_dual_mul_f32 v121, s7, v121 :: v_dual_mul_f32 v76, s7, v107
	v_or_b32_e32 v107, 0x400000, v79
	v_bfe_u32 v115, v82, 16, 1
	v_cndmask_b32_e64 v87, v87, v102, s5
	s_wait_alu 0xf1ff
	v_cndmask_b32_e64 v73, v73, v77, s4
	v_add3_u32 v83, v83, v79, 0x7fff
	v_cmp_u_f32_e64 s4, v79, v79
	v_cvt_f32_fp8_e32 v117, v117
	v_mul_f32_e32 v29, s7, v105
	v_bfe_u32 v105, v121, 16, 1
	v_and_b32_e32 v78, 0xffff0000, v78
	v_bfe_u32 v102, v118, 16, 1
	v_or_b32_e32 v77, 0x400000, v82
	v_and_b32_e32 v87, 0xffff0000, v87
	s_wait_alu 0xf1ff
	v_cndmask_b32_e64 v83, v83, v107, s4
	v_add3_u32 v115, v115, v82, 0x7fff
	v_cmp_u_f32_e64 s4, v82, v82
	v_dual_mul_f32 v84, s7, v84 :: v_dual_mul_f32 v117, s7, v117
	v_or_b32_e32 v100, 0x400000, v121
	v_fmac_f32_e32 v24, v70, v78
	v_or_b32_e32 v70, 0x400000, v118
	v_and_b32_e32 v73, 0xffff0000, v73
	v_fmac_f32_e32 v25, v72, v87
	v_bfe_u32 v72, v113, 16, 1
	v_add3_u32 v105, v105, v121, 0x7fff
	v_cmp_u_f32_e64 s5, v121, v121
	s_wait_alu 0xf1ff
	v_cndmask_b32_e64 v77, v115, v77, s4
	v_add3_u32 v102, v102, v118, 0x7fff
	v_cmp_u_f32_e64 s4, v118, v118
	v_mul_f32_e32 v80, s7, v80
	v_bfe_u32 v78, v85, 16, 1
	v_fmac_f32_e32 v24, v68, v73
	v_or_b32_e32 v68, 0x400000, v113
	v_bfe_u32 v73, v84, 16, 1
	v_cndmask_b32_e64 v100, v105, v100, s5
	s_wait_alu 0xf1ff
	v_cndmask_b32_e64 v70, v102, v70, s4
	v_add3_u32 v72, v72, v113, 0x7fff
	v_cmp_u_f32_e64 s4, v113, v113
	v_or_b32_e32 v87, 0x400000, v85
	v_or_b32_e32 v79, 0x400000, v84
	v_bfe_u32 v121, v112, 16, 1
	v_bfe_u32 v82, v80, 16, 1
	v_and_b32_e32 v83, 0xffff0000, v83
	v_and_b32_e32 v100, 0xffff0000, v100
	v_add3_u32 v78, v78, v85, 0x7fff
	v_cmp_u_f32_e64 s5, v85, v85
	s_wait_alu 0xf1ff
	v_cndmask_b32_e64 v68, v72, v68, s4
	v_add3_u32 v73, v73, v84, 0x7fff
	v_cmp_u_f32_e64 s4, v84, v84
	v_mul_f32_e32 v114, s7, v114
	v_or_b32_e32 v107, 0x400000, v112
	v_or_b32_e32 v105, 0x400000, v80
	v_bfe_u32 v115, v119, 16, 1
	v_fmac_f32_e32 v25, v69, v83
	v_dual_fmac_f32 v24, v66, v100 :: v_dual_and_b32 v77, 0xffff0000, v77
	v_cndmask_b32_e64 v78, v78, v87, s5
	v_and_b32_e32 v70, 0xffff0000, v70
	v_add3_u32 v121, v121, v112, 0x7fff
	v_cmp_u_f32_e64 s5, v112, v112
	s_wait_alu 0xf1ff
	v_cndmask_b32_e64 v73, v73, v79, s4
	v_add3_u32 v82, v82, v80, 0x7fff
	v_cmp_u_f32_e64 s4, v80, v80
	v_or_b32_e32 v69, 0x400000, v119
	v_bfe_u32 v83, v81, 16, 1
	v_bfe_u32 v66, v114, 16, 1
	v_dual_fmac_f32 v25, v67, v77 :: v_dual_and_b32 v78, 0xffff0000, v78
	v_fmac_f32_e32 v24, v64, v70
	v_and_b32_e32 v68, 0xffff0000, v68
	v_cndmask_b32_e64 v107, v121, v107, s5
	s_wait_alu 0xf1ff
	v_cndmask_b32_e64 v82, v82, v105, s4
	v_add3_u32 v115, v115, v119, 0x7fff
	v_cmp_u_f32_e64 s4, v119, v119
	v_or_b32_e32 v100, 0x400000, v81
	v_or_b32_e32 v67, 0x400000, v114
	v_bfe_u32 v85, v117, 16, 1
	v_dual_fmac_f32 v25, v65, v78 :: v_dual_fmac_f32 v24, v63, v68
	v_and_b32_e32 v73, 0xffff0000, v73
	v_and_b32_e32 v107, 0xffff0000, v107
	v_add3_u32 v83, v83, v81, 0x7fff
	v_cmp_u_f32_e64 s5, v81, v81
	v_add3_u32 v66, v66, v114, 0x7fff
	v_cmp_u_f32_e64 s6, v114, v114
	s_wait_alu 0xf1ff
	v_cndmask_b32_e64 v69, v115, v69, s4
	v_lshrrev_b16 v93, 8, v93
	v_mul_f32_e32 v91, s7, v91
	v_or_b32_e32 v102, 0x400000, v117
	v_fmac_f32_e32 v25, v62, v73
	v_dual_fmac_f32 v24, v60, v107 :: v_dual_and_b32 v73, 0xffff0000, v82
	v_add3_u32 v85, v85, v117, 0x7fff
	v_cmp_u_f32_e64 s8, v117, v117
	v_cndmask_b32_e64 v83, v83, v100, s5
	v_cndmask_b32_e64 v66, v66, v67, s6
	v_and_b32_e32 v69, 0xffff0000, v69
	v_lshrrev_b16 v86, 8, v86
	v_and_b32_e32 v93, 0xffff, v93
	v_fmac_f32_e32 v25, v61, v73
	s_wait_alu 0xf1ff
	v_cndmask_b32_e64 v85, v85, v102, s8
	v_and_b32_e32 v83, 0xffff0000, v83
	v_and_b32_e32 v66, 0xffff0000, v66
	v_fmac_f32_e32 v24, v54, v69
	v_and_b32_e32 v86, 0xffff, v86
	v_cvt_f32_fp8_e32 v93, v93
	v_fmac_f32_e32 v25, v59, v83
	s_delay_alu instid0(VALU_DEP_4) | instskip(NEXT) | instid1(VALU_DEP_3)
	v_dual_fmac_f32 v24, v52, v66 :: v_dual_and_b32 v59, 0xffff0000, v85
	v_dual_mul_f32 v93, s7, v93 :: v_dual_and_b32 v36, 0xffff0000, v135
	v_lshrrev_b16 v94, 8, v94
	v_and_b32_e32 v106, 0xff, v90
	v_lshrrev_b16 v90, 8, v90
	v_cvt_f32_fp8_e32 v86, v86
	v_dual_fmac_f32 v24, v50, v59 :: v_dual_and_b32 v31, 0xff, v96
	v_lshrrev_b16 v96, 8, v96
	s_delay_alu instid0(VALU_DEP_3) | instskip(SKIP_1) | instid1(VALU_DEP_4)
	v_dual_mul_f32 v86, s7, v86 :: v_dual_and_b32 v43, 0xffff0000, v132
	v_and_b32_e32 v120, 0xffff, v120
	v_and_b32_e32 v31, 0xffff, v31
	s_delay_alu instid0(VALU_DEP_4)
	v_and_b32_e32 v96, 0xffff, v96
	v_and_b32_e32 v122, 0xffff, v122
	;; [unrolled: 1-line block ×7, first 2 shown]
	v_cvt_f32_fp8_e32 v120, v120
	v_cvt_f32_fp8_e32 v31, v31
	;; [unrolled: 1-line block ×9, first 2 shown]
	v_bfe_u32 v77, v86, 16, 1
	v_dual_mul_f32 v120, s7, v120 :: v_dual_and_b32 v39, 0xffff0000, v134
	v_dual_mul_f32 v130, s7, v31 :: v_dual_lshlrev_b32 v99, 16, v1
	v_dual_mul_f32 v96, s7, v96 :: v_dual_and_b32 v1, 0xffff0000, v1
	v_dual_mul_f32 v122, s7, v122 :: v_dual_and_b32 v3, 0xffff0000, v3
	v_mul_f32_e32 v108, s7, v108
	v_mul_f32_e32 v94, s7, v94
	;; [unrolled: 1-line block ×4, first 2 shown]
	v_dual_mul_f32 v116, s7, v116 :: v_dual_mul_f32 v31, s7, v30
	v_mul_f32_e32 v30, s7, v123
	v_or_b32_e32 v118, 0x400000, v86
	v_bfe_u32 v113, v88, 16, 1
	v_bfe_u32 v112, v111, 16, 1
	v_add3_u32 v77, v77, v86, 0x7fff
	v_cmp_u_f32_e64 s7, v86, v86
	v_or_b32_e32 v87, 0x400000, v88
	v_bfe_u32 v72, v110, 16, 1
	v_bfe_u32 v70, v91, 16, 1
	v_or_b32_e32 v79, 0x400000, v111
	v_bfe_u32 v82, v96, 16, 1
	v_add3_u32 v113, v113, v88, 0x7fff
	v_cmp_u_f32_e64 s9, v88, v88
	v_add3_u32 v112, v112, v111, 0x7fff
	v_cmp_u_f32_e64 s14, v111, v111
	v_bfe_u32 v111, v93, 16, 1
	s_wait_alu 0xf1ff
	v_cndmask_b32_e64 v77, v77, v118, s7
	v_or_b32_e32 v64, 0x400000, v110
	v_or_b32_e32 v65, 0x400000, v91
	v_bfe_u32 v78, v120, 16, 1
	v_bfe_u32 v68, v92, 16, 1
	v_or_b32_e32 v60, 0x400000, v96
	v_bfe_u32 v107, v108, 16, 1
	v_bfe_u32 v73, v98, 16, 1
	v_add3_u32 v72, v72, v110, 0x7fff
	v_cmp_u_f32_e64 s10, v110, v110
	v_add3_u32 v70, v70, v91, 0x7fff
	v_cmp_u_f32_e64 s11, v91, v91
	v_bfe_u32 v123, v106, 16, 1
	v_add3_u32 v82, v82, v96, 0x7fff
	v_cmp_u_f32_e64 s17, v96, v96
	v_or_b32_e32 v96, 0x400000, v93
	v_cndmask_b32_e64 v87, v113, v87, s9
	v_add3_u32 v111, v111, v93, 0x7fff
	v_and_b32_e32 v77, 0xffff0000, v77
	v_cmp_u_f32_e64 s4, v93, v93
	v_or_b32_e32 v63, 0x400000, v120
	v_or_b32_e32 v84, 0x400000, v92
	v_bfe_u32 v80, v97, 16, 1
	v_or_b32_e32 v61, 0x400000, v108
	v_or_b32_e32 v119, 0x400000, v98
	v_bfe_u32 v81, v122, 16, 1
	v_bfe_u32 v114, v95, 16, 1
	v_add3_u32 v78, v78, v120, 0x7fff
	v_cmp_u_f32_e64 s12, v120, v120
	v_add3_u32 v68, v68, v92, 0x7fff
	v_cmp_u_f32_e64 s13, v92, v92
	;; [unrolled: 2-line block ×3, first 2 shown]
	v_bfe_u32 v108, v90, 16, 1
	v_add3_u32 v73, v73, v98, 0x7fff
	v_cmp_u_f32_e64 s19, v98, v98
	v_or_b32_e32 v98, 0x400000, v106
	s_wait_alu 0xf1ff
	v_cndmask_b32_e64 v64, v72, v64, s10
	v_cndmask_b32_e64 v65, v70, v65, s11
	v_add3_u32 v123, v123, v106, 0x7fff
	v_cndmask_b32_e64 v54, v111, v96, s4
	v_and_b32_e32 v69, 0xffff0000, v87
	v_fmac_f32_e32 v25, v58, v77
	v_cmp_u_f32_e64 s4, v106, v106
	v_or_b32_e32 v121, 0x400000, v97
	v_bfe_u32 v105, v130, 16, 1
	v_or_b32_e32 v86, 0x400000, v122
	v_bfe_u32 v117, v109, 16, 1
	;; [unrolled: 2-line block ×3, first 2 shown]
	v_add3_u32 v80, v80, v97, 0x7fff
	v_cmp_u_f32_e64 s15, v97, v97
	v_add3_u32 v81, v81, v122, 0x7fff
	v_cmp_u_f32_e64 s20, v122, v122
	v_bfe_u32 v122, v116, 16, 1
	v_add3_u32 v114, v114, v95, 0x7fff
	v_cmp_u_f32_e64 s21, v95, v95
	v_or_b32_e32 v95, 0x400000, v90
	v_cndmask_b32_e64 v63, v78, v63, s12
	v_cndmask_b32_e64 v68, v68, v84, s13
	v_add3_u32 v108, v108, v90, 0x7fff
	s_wait_alu 0xf1ff
	v_cndmask_b32_e64 v52, v123, v98, s4
	v_and_b32_e32 v58, 0xffff0000, v64
	v_and_b32_e32 v64, 0xffff0000, v65
	v_fmac_f32_e32 v25, v57, v69
	v_cmp_u_f32_e64 s4, v90, v90
	v_or_b32_e32 v62, 0x400000, v130
	v_or_b32_e32 v91, 0x400000, v109
	;; [unrolled: 1-line block ×3, first 2 shown]
	v_add3_u32 v105, v105, v130, 0x7fff
	v_cmp_u_f32_e64 s16, v130, v130
	v_add3_u32 v117, v117, v109, 0x7fff
	v_cmp_u_f32_e64 s22, v109, v109
	v_bfe_u32 v109, v89, 16, 1
	v_add3_u32 v110, v110, v94, 0x7fff
	v_cmp_u_f32_e64 s23, v94, v94
	v_or_b32_e32 v94, 0x400000, v116
	v_cndmask_b32_e64 v79, v112, v79, s14
	v_cndmask_b32_e64 v80, v80, v121, s15
	v_add3_u32 v122, v122, v116, 0x7fff
	s_wait_alu 0xf1ff
	v_cndmask_b32_e64 v50, v108, v95, s4
	v_and_b32_e32 v57, 0xffff0000, v63
	v_dual_fmac_f32 v24, v48, v58 :: v_dual_and_b32 v59, 0xffff0000, v68
	v_fmac_f32_e32 v25, v56, v64
	v_cmp_u_f32_e64 s4, v116, v116
	v_bfe_u32 v124, v76, 16, 1
	v_or_b32_e32 v115, 0x400000, v89
	v_cndmask_b32_e64 v62, v105, v62, s16
	v_cndmask_b32_e64 v60, v82, v60, s17
	v_add3_u32 v109, v109, v89, 0x7fff
	s_wait_alu 0xf1ff
	v_cndmask_b32_e64 v48, v122, v94, s4
	v_and_b32_e32 v56, 0xffff0000, v79
	v_and_b32_e32 v58, 0xffff0000, v80
	v_dual_fmac_f32 v24, v46, v57 :: v_dual_fmac_f32 v25, v55, v59
	v_cmp_u_f32_e64 s4, v89, v89
	v_bfe_u32 v100, v75, 16, 1
	v_or_b32_e32 v67, 0x400000, v76
	v_cndmask_b32_e64 v61, v107, v61, s18
	v_cndmask_b32_e64 v73, v73, v119, s19
	v_add3_u32 v124, v124, v76, 0x7fff
	s_wait_alu 0xf1ff
	v_cndmask_b32_e64 v46, v109, v115, s4
	v_and_b32_e32 v55, 0xffff0000, v62
	v_and_b32_e32 v57, 0xffff0000, v60
	v_dual_fmac_f32 v24, v44, v56 :: v_dual_fmac_f32 v25, v53, v58
	v_cmp_u_f32_e64 s4, v76, v76
	v_bfe_u32 v120, v131, 16, 1
	v_bfe_u32 v118, v74, 16, 1
	v_or_b32_e32 v102, 0x400000, v75
	v_cndmask_b32_e64 v81, v81, v86, s20
	v_cndmask_b32_e64 v88, v114, v88, s21
	v_add3_u32 v100, v100, v75, 0x7fff
	s_wait_alu 0xf1ff
	v_cndmask_b32_e64 v44, v124, v67, s4
	v_and_b32_e32 v53, 0xffff0000, v61
	v_and_b32_e32 v56, 0xffff0000, v73
	v_dual_fmac_f32 v24, v40, v55 :: v_dual_fmac_f32 v25, v51, v57
	v_cmp_u_f32_e64 s4, v75, v75
	v_or_b32_e32 v97, 0x400000, v131
	v_add3_u32 v120, v120, v131, 0x7fff
	v_cmp_u_f32_e64 s24, v131, v131
	v_bfe_u32 v113, v71, 16, 1
	v_or_b32_e32 v72, 0x400000, v74
	v_cndmask_b32_e64 v91, v117, v91, s22
	v_cndmask_b32_e64 v92, v110, v92, s23
	v_add3_u32 v118, v118, v74, 0x7fff
	s_wait_alu 0xf1ff
	v_cndmask_b32_e64 v40, v100, v102, s4
	v_and_b32_e32 v51, 0xffff0000, v81
	v_dual_fmac_f32 v24, v37, v53 :: v_dual_and_b32 v55, 0xffff0000, v88
	v_fmac_f32_e32 v25, v49, v56
	v_cmp_u_f32_e64 s4, v74, v74
	v_bfe_u32 v70, v31, 16, 1
	v_or_b32_e32 v78, 0x400000, v71
	v_add3_u32 v113, v113, v71, 0x7fff
	v_cndmask_b32_e64 v97, v120, v97, s24
	s_wait_alu 0xf1ff
	v_cndmask_b32_e64 v37, v118, v72, s4
	v_and_b32_e32 v49, 0xffff0000, v91
	v_dual_fmac_f32 v24, v34, v51 :: v_dual_and_b32 v53, 0xffff0000, v92
	v_fmac_f32_e32 v25, v47, v55
	v_cmp_u_f32_e64 s4, v71, v71
	v_bfe_u32 v84, v30, 16, 1
	v_or_b32_e32 v112, 0x400000, v31
	v_add3_u32 v70, v70, v31, 0x7fff
	v_and_b32_e32 v47, 0xffff0000, v97
	s_wait_alu 0xf1ff
	v_cndmask_b32_e64 v34, v113, v78, s4
	v_dual_fmac_f32 v24, v33, v49 :: v_dual_and_b32 v51, 0xffff0000, v54
	v_fmac_f32_e32 v25, v45, v53
	v_cmp_u_f32_e64 s4, v31, v31
	v_bfe_u32 v121, v29, 16, 1
	v_or_b32_e32 v105, 0x400000, v30
	v_add3_u32 v84, v84, v30, 0x7fff
	v_and_b32_e32 v33, 0xffff0000, v52
	s_wait_alu 0xf1ff
	v_cndmask_b32_e64 v31, v70, v112, s4
	;; [unrolled: 9-line block ×4, first 2 shown]
	v_and_b32_e32 v40, 0xffff0000, v40
	v_dual_fmac_f32 v24, v32, v38 :: v_dual_fmac_f32 v25, v43, v39
	v_cmp_u_f32_e64 s4, v28, v28
	v_bfe_u32 v114, v26, 16, 1
	v_or_b32_e32 v117, 0x400000, v27
	v_add3_u32 v119, v119, v27, 0x7fff
	v_and_b32_e32 v32, 0xffff0000, v37
	s_wait_alu 0xf1ff
	v_cndmask_b32_e64 v28, v82, v86, s4
	v_and_b32_e32 v34, 0xffff0000, v34
	v_dual_fmac_f32 v24, v33, v35 :: v_dual_fmac_f32 v25, v40, v36
	v_cmp_u_f32_e64 s4, v27, v27
	v_or_b32_e32 v110, 0x400000, v26
	v_add3_u32 v114, v114, v26, 0x7fff
	v_and_b32_e32 v31, 0xffff0000, v31
	v_and_b32_e32 v30, 0xffff0000, v30
	s_wait_alu 0xf1ff
	v_cndmask_b32_e64 v27, v119, v117, s4
	v_dual_fmac_f32 v24, v32, v99 :: v_dual_fmac_f32 v25, v34, v1
	v_cmp_u_f32_e64 s4, v26, v26
	v_and_b32_e32 v26, 0xffff0000, v29
	v_and_b32_e32 v28, 0xffff0000, v28
	s_delay_alu instid0(VALU_DEP_4)
	v_dual_fmac_f32 v24, v31, v101 :: v_dual_fmac_f32 v25, v30, v2
	s_wait_alu 0xf1ff
	v_cndmask_b32_e64 v1, v114, v110, s4
	v_and_b32_e32 v2, 0xffff0000, v4
	v_and_b32_e32 v4, 0xffff0000, v27
	v_fmac_f32_e32 v24, v26, v103
	v_fmac_f32_e32 v25, v28, v3
	v_and_b32_e32 v1, 0xffff0000, v1
	v_cmp_gt_i32_e64 s4, 32, v21
	s_delay_alu instid0(VALU_DEP_2) | instskip(SKIP_1) | instid1(VALU_DEP_2)
	v_dual_fmac_f32 v24, v4, v104 :: v_dual_fmac_f32 v25, v1, v2
	s_wait_alu 0xf1ff
	v_cndmask_b32_e64 v3, v10, v21, s4
	v_cmp_gt_i32_e64 s4, 32, v22
	s_delay_alu instid0(VALU_DEP_2) | instskip(SKIP_1) | instid1(VALU_DEP_2)
	v_dual_add_f32 v2, v24, v25 :: v_dual_lshlrev_b32 v1, 2, v3
	s_wait_alu 0xf1ff
	v_cndmask_b32_e64 v3, v10, v22, s4
	ds_bpermute_b32 v1, v1, v2
	v_lshlrev_b32_e32 v3, 2, v3
	s_wait_dscnt 0x0
	v_add_f32_e32 v1, v2, v1
	ds_bpermute_b32 v2, v3, v1
	s_and_saveexec_b32 s5, s3
	s_cbranch_execz .LBB321_11
; %bb.19:                               ;   in Loop: Header=BB321_13 Depth=1
	s_wait_dscnt 0x0
	v_add_f32_e32 v1, v1, v2
	v_add_nc_u32_e32 v3, v18, v14
	s_delay_alu instid0(VALU_DEP_1) | instskip(NEXT) | instid1(VALU_DEP_1)
	v_cvt_f32_i32_e32 v3, v3
	v_mul_f32_e32 v3, s54, v3
	s_delay_alu instid0(VALU_DEP_1) | instskip(NEXT) | instid1(VALU_DEP_1)
	v_dual_cndmask_b32 v2, 0, v3 :: v_dual_max_num_f32 v3, v13, v13
	v_dual_fmac_f32 v2, s49, v1 :: v_dual_add_nc_u32 v1, v11, v14
	s_delay_alu instid0(VALU_DEP_1) | instskip(NEXT) | instid1(VALU_DEP_2)
	v_max_num_f32_e32 v3, v3, v2
	v_cmp_gt_i32_e64 s4, s33, v1
	s_wait_alu 0xf1ff
	s_delay_alu instid0(VALU_DEP_1) | instskip(NEXT) | instid1(VALU_DEP_3)
	v_cndmask_b32_e64 v1, 0, v2, s4
	v_cndmask_b32_e64 v13, v13, v3, s4
	ds_store_b32 v19, v1
	s_branch .LBB321_11
.LBB321_20:
	s_or_b32 exec_lo, exec_lo, s59
.LBB321_21:
	s_delay_alu instid0(SALU_CYCLE_1)
	s_or_b32 exec_lo, exec_lo, s56
	v_xor_b32_e32 v1, 16, v10
	v_xor_b32_e32 v3, 8, v10
	v_dual_max_num_f32 v5, v13, v13 :: v_dual_and_b32 v18, 31, v0
	s_clause 0x2
	s_load_b128 s[4:7], s[0:1], 0x0
	s_load_b64 s[8:9], s[0:1], 0x10
	s_load_b64 s[12:13], s[0:1], 0x28
	v_cmp_gt_i32_e32 vcc_lo, 32, v1
	s_wait_alu 0xfffd
	v_cndmask_b32_e32 v1, v10, v1, vcc_lo
	v_cmp_gt_i32_e32 vcc_lo, 32, v3
	s_wait_alu 0xfffd
	v_cndmask_b32_e32 v3, v10, v3, vcc_lo
	s_delay_alu instid0(VALU_DEP_1)
	v_lshlrev_b32_e32 v4, 2, v3
	s_wait_dscnt 0x0
	v_lshlrev_b32_e32 v2, 2, v1
	ds_bpermute_b32 v1, v2, v13
	s_wait_dscnt 0x0
	v_max_num_f32_e32 v1, v1, v1
	s_delay_alu instid0(VALU_DEP_1)
	v_max_num_f32_e32 v1, v5, v1
	v_xor_b32_e32 v5, 4, v10
	ds_bpermute_b32 v3, v4, v1
	v_cmp_gt_i32_e32 vcc_lo, 32, v5
	s_wait_alu 0xfffd
	v_cndmask_b32_e32 v5, v10, v5, vcc_lo
	v_cmp_eq_u32_e32 vcc_lo, 0, v18
	s_delay_alu instid0(VALU_DEP_2) | instskip(SKIP_3) | instid1(VALU_DEP_1)
	v_lshlrev_b32_e32 v7, 2, v5
	v_lshlrev_b32_e32 v5, 2, v15
	s_wait_dscnt 0x0
	v_max_num_f32_e32 v3, v3, v3
	v_max_num_f32_e32 v1, v1, v3
	ds_bpermute_b32 v3, v7, v1
	s_and_saveexec_b32 s0, vcc_lo
	s_cbranch_execz .LBB321_23
; %bb.22:
	s_wait_dscnt 0x0
	v_max_num_f32_e32 v3, v3, v3
	v_max_num_f32_e32 v1, v1, v1
	s_delay_alu instid0(VALU_DEP_1)
	v_max_num_f32_e32 v1, v1, v3
	ds_store_b32 v5, v1 offset:512
.LBB321_23:
	s_or_b32 exec_lo, exec_lo, s0
	v_cmp_gt_u32_e64 s0, 4, v18
	v_dual_mov_b32 v1, 0xff7fffff :: v_dual_lshlrev_b32 v6, 2, v18
	s_wait_loadcnt_dscnt 0x0
	s_barrier_signal -1
	s_barrier_wait -1
	global_inv scope:SCOPE_SE
	s_and_saveexec_b32 s1, s0
; %bb.24:
	ds_load_b32 v1, v6 offset:512
; %bb.25:
	s_or_b32 exec_lo, exec_lo, s1
	v_xor_b32_e32 v3, 2, v10
	v_xor_b32_e32 v11, 1, v10
	s_delay_alu instid0(VALU_DEP_2) | instskip(NEXT) | instid1(VALU_DEP_1)
	v_cmp_gt_i32_e64 s1, 32, v3
	v_cndmask_b32_e64 v3, v10, v3, s1
	s_delay_alu instid0(VALU_DEP_3) | instskip(NEXT) | instid1(VALU_DEP_2)
	v_cmp_gt_i32_e64 s1, 32, v11
	v_lshlrev_b32_e32 v8, 2, v3
	s_wait_alu 0xf1ff
	s_delay_alu instid0(VALU_DEP_2)
	v_cndmask_b32_e64 v10, v10, v11, s1
	v_mov_b32_e32 v11, 0
	s_sub_co_i32 s1, s43, s55
	s_wait_alu 0xfffe
	s_lshl_b32 s1, s1, 3
	s_wait_dscnt 0x0
	ds_bpermute_b32 v3, v8, v1
	v_max_num_f32_e32 v1, v1, v1
	s_wait_alu 0xfffe
	s_add_co_i32 s1, s1, s34
	v_lshlrev_b32_e32 v10, 2, v10
	s_wait_alu 0xfffe
	s_min_i32 s1, s1, s33
	s_wait_alu 0xfffe
	s_sub_co_i32 s10, s1, s34
	s_wait_alu 0xfffe
	v_cmp_gt_i32_e64 s1, s10, v0
	s_wait_dscnt 0x0
	v_max_num_f32_e32 v3, v3, v3
	s_delay_alu instid0(VALU_DEP_1) | instskip(SKIP_3) | instid1(VALU_DEP_1)
	v_max_num_f32_e32 v1, v1, v3
	ds_bpermute_b32 v3, v10, v1
	s_wait_dscnt 0x0
	v_max_num_f32_e32 v3, v3, v3
	v_max_num_f32_e32 v1, v1, v3
	v_lshl_add_u32 v3, v0, 2, 0x220
	ds_bpermute_b32 v1, v11, v1
	s_and_saveexec_b32 s11, s1
	s_cbranch_execz .LBB321_29
; %bb.26:
	v_lshl_add_u32 v12, v0, 2, 0x220
	v_mov_b32_e32 v11, 0
	v_mov_b32_e32 v13, v0
	s_mov_b32 s14, 0
.LBB321_27:                             ; =>This Inner Loop Header: Depth=1
	ds_load_b32 v14, v12
	v_add_nc_u32_e32 v13, 0x80, v13
	s_delay_alu instid0(VALU_DEP_1) | instskip(SKIP_4) | instid1(VALU_DEP_1)
	v_cmp_le_i32_e64 s3, s10, v13
	s_wait_alu 0xfffe
	s_or_b32 s14, s3, s14
	s_wait_dscnt 0x0
	v_sub_f32_e32 v14, v14, v1
	v_mul_f32_e32 v14, 0x3fb8aa3b, v14
	s_delay_alu instid0(VALU_DEP_1)
	v_exp_f32_e32 v14, v14
	ds_store_b32 v12, v14
	v_dual_add_f32 v11, v11, v14 :: v_dual_add_nc_u32 v12, 0x200, v12
	s_wait_alu 0xfffe
	s_and_not1_b32 exec_lo, exec_lo, s14
	s_cbranch_execnz .LBB321_27
; %bb.28:
	s_or_b32 exec_lo, exec_lo, s14
.LBB321_29:
	s_wait_alu 0xfffe
	s_or_b32 exec_lo, exec_lo, s11
	ds_bpermute_b32 v2, v2, v11
	s_wait_dscnt 0x0
	v_add_f32_e32 v2, v11, v2
	ds_bpermute_b32 v4, v4, v2
	s_wait_dscnt 0x0
	v_add_f32_e32 v2, v2, v4
	;; [unrolled: 3-line block ×5, first 2 shown]
	s_and_saveexec_b32 s3, vcc_lo
; %bb.30:
	ds_store_b32 v5, v2 offset:528
; %bb.31:
	s_wait_alu 0xfffe
	s_or_b32 exec_lo, exec_lo, s3
	s_wait_loadcnt_dscnt 0x0
	s_barrier_signal -1
	s_barrier_wait -1
	global_inv scope:SCOPE_SE
	s_and_saveexec_b32 s3, s0
; %bb.32:
	ds_load_b32 v2, v6 offset:528
; %bb.33:
	s_wait_alu 0xfffe
	s_or_b32 exec_lo, exec_lo, s3
	s_wait_dscnt 0x0
	ds_bpermute_b32 v4, v8, v2
	s_wait_dscnt 0x0
	v_add_f32_e32 v2, v2, v4
	ds_bpermute_b32 v4, v10, v2
	s_wait_dscnt 0x0
	v_add_f32_e32 v2, v2, v4
	v_mov_b32_e32 v4, 0
	ds_bpermute_b32 v2, v4, v2
	s_and_saveexec_b32 s0, s1
	s_cbranch_execz .LBB321_36
; %bb.34:
	s_wait_dscnt 0x0
	v_add_f32_e32 v4, 0x358637bd, v2
	s_mov_b32 s1, 0
	s_delay_alu instid0(VALU_DEP_1) | instskip(SKIP_1) | instid1(VALU_DEP_2)
	v_div_scale_f32 v5, null, v4, v4, 1.0
	v_div_scale_f32 v8, vcc_lo, 1.0, v4, 1.0
	v_rcp_f32_e32 v6, v5
	s_delay_alu instid0(TRANS32_DEP_1) | instskip(NEXT) | instid1(VALU_DEP_1)
	v_fma_f32 v7, -v5, v6, 1.0
	v_fmac_f32_e32 v6, v7, v6
	s_delay_alu instid0(VALU_DEP_1) | instskip(NEXT) | instid1(VALU_DEP_1)
	v_mul_f32_e32 v7, v8, v6
	v_fma_f32 v10, -v5, v7, v8
	s_delay_alu instid0(VALU_DEP_1) | instskip(NEXT) | instid1(VALU_DEP_1)
	v_fmac_f32_e32 v7, v10, v6
	v_fma_f32 v5, -v5, v7, v8
	s_wait_alu 0xfffd
	s_delay_alu instid0(VALU_DEP_1) | instskip(NEXT) | instid1(VALU_DEP_1)
	v_div_fmas_f32 v5, v5, v6, v7
	v_div_fixup_f32 v4, v5, v4, 1.0
	v_mov_b32_e32 v5, v0
.LBB321_35:                             ; =>This Inner Loop Header: Depth=1
	ds_load_b32 v6, v3
	s_wait_dscnt 0x0
	v_dual_mul_f32 v6, v4, v6 :: v_dual_add_nc_u32 v5, 0x80, v5
	s_delay_alu instid0(VALU_DEP_1)
	v_cmp_le_i32_e32 vcc_lo, s10, v5
	ds_store_b32 v3, v6
	v_add_nc_u32_e32 v3, 0x200, v3
	s_wait_alu 0xfffe
	s_or_b32 s1, vcc_lo, s1
	s_wait_alu 0xfffe
	s_and_not1_b32 exec_lo, exec_lo, s1
	s_cbranch_execnz .LBB321_35
.LBB321_36:
	s_wait_alu 0xfffe
	s_or_b32 exec_lo, exec_lo, s0
	s_mul_i32 s0, s27, s51
	s_wait_loadcnt_dscnt 0x0
	s_wait_alu 0xfffe
	s_mul_i32 s10, s0, s52
	s_mov_b32 s0, exec_lo
	s_barrier_signal -1
	s_barrier_wait -1
	global_inv scope:SCOPE_SE
	v_cmpx_eq_u32_e32 0, v0
	s_cbranch_execz .LBB321_38
; %bb.37:
	s_wait_alu 0xfffe
	s_ashr_i32 s11, s10, 31
	s_mul_i32 s14, s27, ttmp9
	s_lshl_b32 s1, s50, 2
	s_wait_alu 0xfffe
	s_lshl_b64 s[16:17], s[10:11], 2
	s_ashr_i32 s15, s14, 31
	v_mov_b32_e32 v3, s1
	s_wait_kmcnt 0x0
	s_wait_alu 0xfffe
	s_add_nc_u64 s[6:7], s[6:7], s[16:17]
	s_lshl_b64 s[14:15], s[14:15], 2
	s_add_nc_u64 s[4:5], s[4:5], s[16:17]
	s_wait_alu 0xfffe
	s_add_nc_u64 s[6:7], s[6:7], s[14:15]
	s_add_nc_u64 s[4:5], s[4:5], s[14:15]
	s_clause 0x1
	global_store_b32 v3, v1, s[6:7]
	global_store_b32 v3, v2, s[4:5]
.LBB321_38:
	s_wait_alu 0xfffe
	s_or_b32 exec_lo, exec_lo, s0
	v_dual_mov_b32 v26, 0 :: v_dual_mov_b32 v25, 0
	v_dual_mov_b32 v24, 0 :: v_dual_mov_b32 v23, 0
	v_dual_mov_b32 v22, 0 :: v_dual_mov_b32 v21, 0
	v_dual_mov_b32 v20, 0 :: v_dual_mov_b32 v19, 0
	s_and_saveexec_b32 s1, s2
	s_cbranch_execz .LBB321_60
; %bb.39:
	s_abs_i32 s2, s26
	s_wait_kmcnt 0x0
	s_lshl_b64 s[6:7], s[46:47], 2
	s_wait_alu 0xfffe
	s_cvt_f32_u32 s0, s2
	v_dual_mov_b32 v19, 0 :: v_dual_lshlrev_b32 v2, 3, v18
	s_ashr_i32 s39, s38, 31
	s_wait_alu 0xfffe
	v_rcp_iflag_f32_e32 v1, s0
	s_add_nc_u64 s[6:7], s[44:45], s[6:7]
	s_add_nc_u64 s[12:13], s[12:13], s[38:39]
	s_wait_alu 0xfffe
	v_add_co_u32 v9, s6, s6, v9
	s_sub_co_i32 s5, 0, s2
	v_add_co_ci_u32_e64 v10, null, s7, 0, s6
	v_add_co_u32 v11, s6, s12, v2
	s_delay_alu instid0(TRANS32_DEP_1)
	v_readfirstlane_b32 s0, v1
	v_lshl_add_u32 v27, v15, 5, 0x220
	v_dual_mov_b32 v20, 0 :: v_dual_mov_b32 v21, 0
	v_dual_mov_b32 v22, 0 :: v_dual_mov_b32 v23, 0
	s_mul_f32 s0, s0, 0x4f7ffffe
	v_add_co_ci_u32_e64 v12, null, s13, 0, s6
	v_dual_mov_b32 v24, 0 :: v_dual_mov_b32 v25, 0
	s_wait_alu 0xfffe
	s_cvt_u32_f32 s0, s0
	v_mov_b32_e32 v26, 0
	s_sub_co_i32 s3, s53, s25
	s_mov_b32 s4, s37
	s_wait_alu 0xfffe
	s_mul_i32 s5, s5, s0
	s_add_co_i32 s48, s48, -1
	s_wait_alu 0xfffe
	s_mul_hi_u32 s6, s0, s5
	s_mov_b32 s5, 0
	s_wait_alu 0xfffe
	s_add_co_i32 s6, s0, s6
	s_branch .LBB321_42
.LBB321_40:                             ;   in Loop: Header=BB321_42 Depth=1
	s_wait_alu 0xfffe
	s_or_b32 exec_lo, exec_lo, s0
	s_wait_dscnt 0x1
	v_bfe_u32 v52, v5, 16, 1
	v_or_b32_e32 v53, 0x400000, v5
	v_bfe_u32 v54, v6, 16, 1
	v_cmp_u_f32_e32 vcc_lo, v5, v5
	v_bfe_u32 v55, v7, 16, 1
	v_add3_u32 v52, v52, v5, 0x7fff
	v_or_b32_e32 v56, 0x400000, v6
	v_add3_u32 v54, v54, v6, 0x7fff
	v_or_b32_e32 v57, 0x400000, v7
	v_add3_u32 v55, v55, v7, 0x7fff
	s_wait_alu 0xfffd
	v_cndmask_b32_e32 v5, v52, v53, vcc_lo
	v_cmp_u_f32_e32 vcc_lo, v6, v6
	v_bfe_u32 v52, v8, 16, 1
	s_wait_dscnt 0x0
	v_bfe_u32 v53, v1, 16, 1
	v_lshlrev_b32_e32 v84, 16, v84
	s_wait_alu 0xfffd
	v_dual_cndmask_b32 v6, v54, v56 :: v_dual_lshlrev_b32 v81, 16, v81
	v_cmp_u_f32_e32 vcc_lo, v7, v7
	v_add3_u32 v52, v52, v8, 0x7fff
	v_or_b32_e32 v54, 0x400000, v8
	v_add3_u32 v53, v53, v1, 0x7fff
	v_bfe_u32 v56, v2, 16, 1
	s_wait_alu 0xfffd
	v_cndmask_b32_e32 v7, v55, v57, vcc_lo
	v_cmp_u_f32_e32 vcc_lo, v8, v8
	v_or_b32_e32 v55, 0x400000, v1
	v_lshlrev_b32_e32 v77, 16, v77
	v_lshlrev_b32_e32 v73, 16, v73
	s_wait_alu 0xfffd
	v_dual_cndmask_b32 v8, v52, v54 :: v_dual_lshlrev_b32 v71, 16, v71
	v_cmp_u_f32_e32 vcc_lo, v1, v1
	v_or_b32_e32 v54, 0x400000, v2
	v_and_b32_e32 v1, 0xffff0000, v6
	v_lshlrev_b32_e32 v65, 16, v65
	v_lshlrev_b32_e32 v63, 16, v63
	s_wait_alu 0xfffd
	v_cndmask_b32_e32 v52, v53, v55, vcc_lo
	v_add3_u32 v53, v56, v2, 0x7fff
	v_bfe_u32 v55, v3, 16, 1
	v_cmp_u_f32_e32 vcc_lo, v2, v2
	v_lshlrev_b32_e32 v6, 16, v96
	v_bfe_u32 v56, v4, 16, 1
	v_lshlrev_b32_e32 v50, 16, v50
	v_lshlrev_b32_e32 v45, 16, v45
	s_wait_alu 0xfffd
	v_cndmask_b32_e32 v53, v53, v54, vcc_lo
	v_add3_u32 v54, v55, v3, 0x7fff
	v_or_b32_e32 v55, 0x400000, v3
	v_cmp_u_f32_e32 vcc_lo, v3, v3
	v_mul_f32_e32 v6, v1, v6
	v_add3_u32 v3, v56, v4, 0x7fff
	v_lshlrev_b32_e32 v42, 16, v42
	v_lshlrev_b32_e32 v30, 16, v30
	s_wait_alu 0xfffd
	v_cndmask_b32_e32 v54, v54, v55, vcc_lo
	v_or_b32_e32 v55, 0x400000, v4
	v_cmp_u_f32_e32 vcc_lo, v4, v4
	v_and_b32_e32 v2, 0xffff0000, v5
	v_lshlrev_b32_e32 v5, 16, v95
	v_bfe_u32 v56, v6, 16, 1
	v_lshlrev_b32_e32 v83, 16, v83
	s_wait_alu 0xfffd
	v_cndmask_b32_e32 v3, v3, v55, vcc_lo
	v_cmp_u_f32_e32 vcc_lo, v6, v6
	v_mul_f32_e32 v57, v2, v5
	v_and_b32_e32 v5, 0xffff0000, v8
	v_lshlrev_b32_e32 v8, 16, v94
	v_add3_u32 v55, v56, v6, 0x7fff
	v_or_b32_e32 v56, 0x400000, v6
	v_bfe_u32 v58, v57, 16, 1
	v_and_b32_e32 v4, 0xffff0000, v7
	v_dual_mul_f32 v8, v5, v8 :: v_dual_lshlrev_b32 v7, 16, v93
	s_wait_alu 0xfffd
	v_cndmask_b32_e32 v55, v55, v56, vcc_lo
	v_add3_u32 v56, v58, v57, 0x7fff
	v_or_b32_e32 v58, 0x400000, v57
	v_bfe_u32 v93, v8, 16, 1
	v_dual_mul_f32 v94, v4, v7 :: v_dual_lshlrev_b32 v7, 16, v92
	v_cmp_u_f32_e32 vcc_lo, v57, v57
	v_and_b32_e32 v6, 0xffff0000, v53
	v_or_b32_e32 v57, 0x400000, v8
	v_and_b32_e32 v3, 0xffff0000, v3
	v_and_b32_e32 v55, 0xffff0000, v55
	s_wait_alu 0xfffd
	v_cndmask_b32_e32 v53, v56, v58, vcc_lo
	v_add3_u32 v56, v93, v8, 0x7fff
	v_bfe_u32 v58, v94, 16, 1
	v_cmp_u_f32_e32 vcc_lo, v8, v8
	v_dual_mul_f32 v92, v6, v7 :: v_dual_and_b32 v7, 0xffff0000, v52
	v_and_b32_e32 v53, 0xffff0000, v53
	s_delay_alu instid0(VALU_DEP_4)
	v_add3_u32 v8, v58, v94, 0x7fff
	s_wait_alu 0xfffd
	v_cndmask_b32_e32 v56, v56, v57, vcc_lo
	v_or_b32_e32 v57, 0x400000, v94
	v_cmp_u_f32_e32 vcc_lo, v94, v94
	v_lshlrev_b32_e32 v52, 16, v91
	v_bfe_u32 v58, v92, 16, 1
	v_dual_add_f32 v53, v53, v55 :: v_dual_lshlrev_b32 v90, 16, v90
	s_wait_alu 0xfffd
	s_delay_alu instid0(VALU_DEP_3) | instskip(NEXT) | instid1(VALU_DEP_3)
	v_dual_cndmask_b32 v57, v8, v57 :: v_dual_mul_f32 v52, v7, v52
	v_add3_u32 v58, v58, v92, 0x7fff
	s_delay_alu instid0(VALU_DEP_3) | instskip(SKIP_1) | instid1(VALU_DEP_4)
	v_mul_f32_e32 v90, v3, v90
	v_cmp_u_f32_e32 vcc_lo, v92, v92
	v_and_b32_e32 v57, 0xffff0000, v57
	v_bfe_u32 v91, v52, 16, 1
	v_and_b32_e32 v56, 0xffff0000, v56
	v_and_b32_e32 v8, 0xffff0000, v54
	v_lshlrev_b32_e32 v54, 16, v89
	v_or_b32_e32 v89, 0x400000, v92
	v_add3_u32 v91, v91, v52, 0x7fff
	v_or_b32_e32 v93, 0x400000, v52
	s_delay_alu instid0(VALU_DEP_4)
	v_dual_add_f32 v55, v57, v56 :: v_dual_mul_f32 v54, v8, v54
	s_wait_alu 0xfffd
	v_cndmask_b32_e32 v58, v58, v89, vcc_lo
	v_cmp_u_f32_e32 vcc_lo, v52, v52
	v_bfe_u32 v94, v90, 16, 1
	v_add_f32_e32 v53, v55, v53
	v_lshlrev_b32_e32 v55, 16, v88
	v_or_b32_e32 v92, 0x400000, v90
	s_wait_alu 0xfffd
	v_cndmask_b32_e32 v52, v91, v93, vcc_lo
	v_bfe_u32 v91, v54, 16, 1
	v_or_b32_e32 v93, 0x400000, v54
	v_cmp_u_f32_e32 vcc_lo, v54, v54
	v_add3_u32 v89, v94, v90, 0x7fff
	v_mul_f32_e32 v55, v1, v55
	v_add3_u32 v91, v91, v54, 0x7fff
	v_dual_mul_f32 v81, v8, v81 :: v_dual_and_b32 v56, 0xffff0000, v58
	v_lshlrev_b32_e32 v85, 16, v85
	v_lshlrev_b32_e32 v66, 16, v66
	s_wait_alu 0xfffd
	v_cndmask_b32_e32 v54, v91, v93, vcc_lo
	v_cmp_u_f32_e32 vcc_lo, v90, v90
	v_mul_f32_e32 v77, v4, v77
	v_lshlrev_b32_e32 v75, 16, v75
	v_mul_f32_e32 v73, v7, v73
	v_mul_f32_e32 v71, v3, v71
	s_wait_alu 0xfffd
	v_cndmask_b32_e32 v57, v89, v92, vcc_lo
	v_cmp_u_f32_e32 vcc_lo, v55, v55
	v_dual_mul_f32 v75, v6, v75 :: v_dual_and_b32 v52, 0xffff0000, v52
	v_lshlrev_b32_e32 v69, 16, v69
	s_delay_alu instid0(VALU_DEP_4) | instskip(SKIP_1) | instid1(VALU_DEP_4)
	v_and_b32_e32 v57, 0xffff0000, v57
	v_lshlrev_b32_e32 v60, 16, v60
	v_add_f32_e32 v52, v52, v56
	v_lshlrev_b32_e32 v56, 16, v87
	v_and_b32_e32 v54, 0xffff0000, v54
	v_lshlrev_b32_e32 v48, 16, v48
	v_mul_f32_e32 v60, v3, v60
	s_delay_alu instid0(VALU_DEP_4) | instskip(NEXT) | instid1(VALU_DEP_4)
	v_dual_add_f32 v52, v52, v53 :: v_dual_mul_f32 v53, v2, v56
	v_add_f32_e32 v54, v54, v57
	v_lshlrev_b32_e32 v56, 16, v86
	v_bfe_u32 v57, v55, 16, 1
	v_mul_f32_e32 v48, v4, v48
	v_bfe_u32 v58, v53, 16, 1
	v_add_f32_e32 v52, v54, v52
	v_mul_f32_e32 v54, v5, v56
	v_add3_u32 v56, v57, v55, 0x7fff
	v_or_b32_e32 v57, 0x400000, v55
	v_add3_u32 v58, v58, v53, 0x7fff
	v_or_b32_e32 v86, 0x400000, v53
	v_add_f32_e32 v20, v20, v52
	s_wait_alu 0xfffd
	v_dual_cndmask_b32 v55, v56, v57 :: v_dual_lshlrev_b32 v46, 16, v46
	v_cmp_u_f32_e32 vcc_lo, v53, v53
	v_lshlrev_b32_e32 v47, 16, v47
	v_lshlrev_b32_e32 v44, 16, v44
	s_delay_alu instid0(VALU_DEP_4) | instskip(SKIP_2) | instid1(VALU_DEP_3)
	v_dual_mul_f32 v46, v7, v46 :: v_dual_and_b32 v55, 0xffff0000, v55
	s_wait_alu 0xfffd
	v_cndmask_b32_e32 v53, v58, v86, vcc_lo
	v_dual_mul_f32 v47, v6, v47 :: v_dual_mul_f32 v44, v8, v44
	v_dual_mul_f32 v42, v2, v42 :: v_dual_lshlrev_b32 v39, 16, v39
	s_delay_alu instid0(VALU_DEP_3)
	v_and_b32_e32 v53, 0xffff0000, v53
	v_bfe_u32 v87, v54, 16, 1
	v_mul_f32_e32 v56, v4, v85
	v_or_b32_e32 v58, 0x400000, v54
	v_cmp_u_f32_e32 vcc_lo, v54, v54
	v_add_f32_e32 v53, v53, v55
	v_add3_u32 v57, v87, v54, 0x7fff
	v_bfe_u32 v85, v56, 16, 1
	v_dual_mul_f32 v39, v6, v39 :: v_dual_lshlrev_b32 v38, 16, v38
	s_wait_alu 0xfffd
	s_delay_alu instid0(VALU_DEP_3) | instskip(SKIP_4) | instid1(VALU_DEP_4)
	v_dual_cndmask_b32 v54, v57, v58 :: v_dual_lshlrev_b32 v37, 16, v37
	v_dual_mul_f32 v57, v6, v84 :: v_dual_mul_f32 v58, v7, v83
	v_add3_u32 v83, v85, v56, 0x7fff
	v_or_b32_e32 v84, 0x400000, v56
	v_cmp_u_f32_e32 vcc_lo, v56, v56
	v_bfe_u32 v85, v57, 16, 1
	v_bfe_u32 v86, v58, 16, 1
	v_mul_f32_e32 v38, v7, v38
	v_mul_f32_e32 v37, v3, v37
	s_wait_alu 0xfffd
	v_cndmask_b32_e32 v56, v83, v84, vcc_lo
	v_add3_u32 v83, v85, v57, 0x7fff
	v_or_b32_e32 v84, 0x400000, v57
	v_cmp_u_f32_e32 vcc_lo, v57, v57
	v_add3_u32 v85, v86, v58, 0x7fff
	v_or_b32_e32 v86, 0x400000, v58
	v_lshlrev_b32_e32 v36, 16, v36
	v_lshlrev_b32_e32 v33, 16, v33
	s_wait_alu 0xfffd
	v_cndmask_b32_e32 v57, v83, v84, vcc_lo
	v_cmp_u_f32_e32 vcc_lo, v58, v58
	v_lshlrev_b32_e32 v31, 16, v31
	v_dual_mul_f32 v33, v5, v33 :: v_dual_lshlrev_b32 v34, 16, v34
	s_wait_alu 0xfffd
	v_dual_cndmask_b32 v58, v85, v86 :: v_dual_and_b32 v57, 0xffff0000, v57
	s_delay_alu instid0(VALU_DEP_3) | instskip(NEXT) | instid1(VALU_DEP_3)
	v_dual_mul_f32 v31, v6, v31 :: v_dual_and_b32 v54, 0xffff0000, v54
	v_dual_mul_f32 v34, v2, v34 :: v_dual_lshlrev_b32 v29, 16, v29
	s_delay_alu instid0(VALU_DEP_3)
	v_and_b32_e32 v55, 0xffff0000, v58
	v_lshlrev_b32_e32 v82, 16, v82
	v_lshlrev_b32_e32 v32, 16, v32
	;; [unrolled: 1-line block ×3, first 2 shown]
	v_mul_f32_e32 v29, v3, v29
	v_dual_add_f32 v55, v55, v57 :: v_dual_and_b32 v56, 0xffff0000, v56
	s_delay_alu instid0(VALU_DEP_1) | instskip(SKIP_2) | instid1(VALU_DEP_3)
	v_add_f32_e32 v54, v56, v54
	v_lshlrev_b32_e32 v56, 16, v80
	v_or_b32_e32 v80, 0x400000, v81
	v_dual_mul_f32 v82, v3, v82 :: v_dual_add_f32 v53, v54, v53
	s_delay_alu instid0(VALU_DEP_3) | instskip(SKIP_1) | instid1(VALU_DEP_3)
	v_mul_f32_e32 v54, v1, v56
	v_lshlrev_b32_e32 v56, 16, v79
	v_bfe_u32 v87, v82, 16, 1
	v_or_b32_e32 v84, 0x400000, v82
	v_cmp_u_f32_e32 vcc_lo, v82, v82
	v_add_f32_e32 v53, v55, v53
	v_mul_f32_e32 v55, v2, v56
	v_add3_u32 v83, v87, v82, 0x7fff
	v_lshlrev_b32_e32 v56, 16, v78
	v_or_b32_e32 v78, 0x400000, v54
	s_delay_alu instid0(VALU_DEP_4)
	v_bfe_u32 v79, v55, 16, 1
	s_wait_alu 0xfffd
	v_cndmask_b32_e32 v82, v83, v84, vcc_lo
	v_bfe_u32 v83, v81, 16, 1
	v_cmp_u_f32_e32 vcc_lo, v81, v81
	v_mul_f32_e32 v56, v5, v56
	s_delay_alu instid0(VALU_DEP_3) | instskip(SKIP_2) | instid1(VALU_DEP_2)
	v_add3_u32 v58, v83, v81, 0x7fff
	v_bfe_u32 v81, v71, 16, 1
	s_wait_alu 0xfffd
	v_cndmask_b32_e32 v57, v58, v80, vcc_lo
	v_bfe_u32 v58, v54, 16, 1
	v_cmp_u_f32_e32 vcc_lo, v54, v54
	v_or_b32_e32 v80, 0x400000, v73
	s_delay_alu instid0(VALU_DEP_4) | instskip(NEXT) | instid1(VALU_DEP_4)
	v_and_b32_e32 v57, 0xffff0000, v57
	v_add3_u32 v58, v58, v54, 0x7fff
	s_wait_alu 0xfffd
	s_delay_alu instid0(VALU_DEP_1)
	v_cndmask_b32_e32 v54, v58, v78, vcc_lo
	v_add3_u32 v58, v79, v55, 0x7fff
	v_or_b32_e32 v78, 0x400000, v55
	v_bfe_u32 v79, v56, 16, 1
	v_cmp_u_f32_e32 vcc_lo, v55, v55
	v_dual_mul_f32 v69, v8, v69 :: v_dual_and_b32 v54, 0xffff0000, v54
	s_wait_alu 0xfffd
	v_cndmask_b32_e32 v55, v58, v78, vcc_lo
	v_add3_u32 v58, v79, v56, 0x7fff
	v_or_b32_e32 v78, 0x400000, v56
	v_bfe_u32 v79, v77, 16, 1
	v_cmp_u_f32_e32 vcc_lo, v56, v56
	v_bfe_u32 v83, v69, 16, 1
	s_wait_alu 0xfffd
	v_dual_cndmask_b32 v56, v58, v78 :: v_dual_and_b32 v55, 0xffff0000, v55
	v_add3_u32 v58, v79, v77, 0x7fff
	v_or_b32_e32 v78, 0x400000, v77
	v_bfe_u32 v79, v75, 16, 1
	v_cmp_u_f32_e32 vcc_lo, v77, v77
	v_bfe_u32 v77, v73, 16, 1
	v_add_f32_e32 v54, v55, v54
	s_wait_alu 0xfffd
	v_cndmask_b32_e32 v58, v58, v78, vcc_lo
	v_add3_u32 v78, v79, v75, 0x7fff
	v_or_b32_e32 v79, 0x400000, v75
	v_cmp_u_f32_e32 vcc_lo, v75, v75
	v_add3_u32 v77, v77, v73, 0x7fff
	s_wait_alu 0xfffd
	s_delay_alu instid0(VALU_DEP_3)
	v_dual_cndmask_b32 v75, v78, v79 :: v_dual_and_b32 v58, 0xffff0000, v58
	v_cmp_u_f32_e32 vcc_lo, v73, v73
	v_add3_u32 v78, v83, v69, 0x7fff
	v_or_b32_e32 v79, 0x400000, v69
	s_wait_alu 0xfffd
	v_cndmask_b32_e32 v73, v77, v80, vcc_lo
	v_cmp_u_f32_e32 vcc_lo, v69, v69
	v_add3_u32 v77, v81, v71, 0x7fff
	v_and_b32_e32 v56, 0xffff0000, v56
	v_or_b32_e32 v80, 0x400000, v71
	s_wait_alu 0xfffd
	v_cndmask_b32_e32 v69, v78, v79, vcc_lo
	v_cmp_u_f32_e32 vcc_lo, v71, v71
	v_dual_add_f32 v55, v58, v56 :: v_dual_and_b32 v56, 0xffff0000, v73
	v_and_b32_e32 v58, 0xffff0000, v75
	v_and_b32_e32 v73, 0xffff0000, v82
	s_wait_alu 0xfffd
	s_delay_alu instid0(VALU_DEP_3) | instskip(NEXT) | instid1(VALU_DEP_3)
	v_dual_cndmask_b32 v71, v77, v80 :: v_dual_add_f32 v54, v55, v54
	v_dual_add_f32 v55, v56, v58 :: v_dual_and_b32 v56, 0xffff0000, v69
	s_delay_alu instid0(VALU_DEP_2) | instskip(NEXT) | instid1(VALU_DEP_1)
	v_dual_add_f32 v57, v57, v73 :: v_dual_and_b32 v58, 0xffff0000, v71
	v_dual_add_f32 v54, v55, v54 :: v_dual_add_f32 v53, v57, v53
	s_delay_alu instid0(VALU_DEP_2) | instskip(SKIP_1) | instid1(VALU_DEP_2)
	v_add_f32_e32 v55, v56, v58
	v_dual_mul_f32 v57, v2, v65 :: v_dual_mul_f32 v56, v1, v66
	v_dual_add_f32 v21, v21, v53 :: v_dual_add_f32 v52, v55, v54
	s_delay_alu instid0(VALU_DEP_2) | instskip(NEXT) | instid1(VALU_DEP_3)
	v_bfe_u32 v53, v57, 16, 1
	v_bfe_u32 v54, v56, 16, 1
	v_cmp_u_f32_e32 vcc_lo, v56, v56
	v_or_b32_e32 v58, 0x400000, v57
	v_add_f32_e32 v22, v22, v52
	v_add3_u32 v53, v53, v57, 0x7fff
	v_add3_u32 v52, v54, v56, 0x7fff
	v_or_b32_e32 v54, 0x400000, v56
	v_dual_mul_f32 v56, v4, v63 :: v_dual_lshlrev_b32 v55, 16, v64
	v_bfe_u32 v64, v60, 16, 1
	s_wait_alu 0xfffd
	s_delay_alu instid0(VALU_DEP_3)
	v_cndmask_b32_e32 v52, v52, v54, vcc_lo
	v_cmp_u_f32_e32 vcc_lo, v57, v57
	v_mul_f32_e32 v55, v5, v55
	v_lshlrev_b32_e32 v57, 16, v62
	v_bfe_u32 v62, v56, 16, 1
	s_wait_alu 0xfffd
	v_dual_cndmask_b32 v53, v53, v58 :: v_dual_and_b32 v52, 0xffff0000, v52
	v_bfe_u32 v54, v55, 16, 1
	v_or_b32_e32 v58, 0x400000, v55
	v_cmp_u_f32_e32 vcc_lo, v55, v55
	v_mul_f32_e32 v57, v6, v57
	v_and_b32_e32 v53, 0xffff0000, v53
	v_lshlrev_b32_e32 v59, 16, v59
	v_lshlrev_b32_e32 v61, 16, v61
	v_add3_u32 v54, v54, v55, 0x7fff
	s_delay_alu instid0(VALU_DEP_2) | instskip(SKIP_1) | instid1(VALU_DEP_2)
	v_dual_add_f32 v52, v53, v52 :: v_dual_mul_f32 v55, v7, v61
	s_wait_alu 0xfffd
	v_cndmask_b32_e32 v54, v54, v58, vcc_lo
	v_add3_u32 v58, v62, v56, 0x7fff
	v_or_b32_e32 v61, 0x400000, v56
	v_bfe_u32 v62, v57, 16, 1
	v_cmp_u_f32_e32 vcc_lo, v56, v56
	v_bfe_u32 v63, v55, 16, 1
	v_and_b32_e32 v54, 0xffff0000, v54
	s_wait_alu 0xfffd
	v_cndmask_b32_e32 v56, v58, v61, vcc_lo
	v_add3_u32 v58, v62, v57, 0x7fff
	v_or_b32_e32 v61, 0x400000, v57
	v_cmp_u_f32_e32 vcc_lo, v57, v57
	v_add3_u32 v62, v63, v55, 0x7fff
	v_or_b32_e32 v63, 0x400000, v55
	s_wait_alu 0xfffd
	v_dual_cndmask_b32 v57, v58, v61 :: v_dual_and_b32 v56, 0xffff0000, v56
	v_mul_f32_e32 v58, v8, v59
	v_cmp_u_f32_e32 vcc_lo, v55, v55
	v_add3_u32 v59, v64, v60, 0x7fff
	v_or_b32_e32 v61, 0x400000, v60
	s_wait_alu 0xfffd
	v_cndmask_b32_e32 v55, v62, v63, vcc_lo
	v_bfe_u32 v62, v58, 16, 1
	v_cmp_u_f32_e32 vcc_lo, v60, v60
	s_delay_alu instid0(VALU_DEP_2)
	v_add3_u32 v60, v62, v58, 0x7fff
	s_wait_alu 0xfffd
	v_cndmask_b32_e32 v59, v59, v61, vcc_lo
	v_or_b32_e32 v61, 0x400000, v58
	v_dual_add_f32 v53, v56, v54 :: v_dual_and_b32 v54, 0xffff0000, v55
	v_and_b32_e32 v55, 0xffff0000, v57
	v_cmp_u_f32_e32 vcc_lo, v58, v58
	s_delay_alu instid0(VALU_DEP_3) | instskip(SKIP_1) | instid1(VALU_DEP_3)
	v_dual_add_f32 v52, v53, v52 :: v_dual_lshlrev_b32 v51, 16, v51
	s_wait_alu 0xfffd
	v_dual_add_f32 v53, v54, v55 :: v_dual_cndmask_b32 v56, v60, v61
	s_delay_alu instid0(VALU_DEP_2) | instskip(NEXT) | instid1(VALU_DEP_2)
	v_dual_mul_f32 v51, v1, v51 :: v_dual_mul_f32 v54, v2, v50
	v_dual_add_f32 v50, v53, v52 :: v_dual_lshlrev_b32 v53, 16, v49
	s_delay_alu instid0(VALU_DEP_2) | instskip(NEXT) | instid1(VALU_DEP_3)
	v_bfe_u32 v57, v51, 16, 1
	v_bfe_u32 v52, v54, 16, 1
	v_cmp_u_f32_e32 vcc_lo, v51, v51
	s_delay_alu instid0(VALU_DEP_4) | instskip(NEXT) | instid1(VALU_DEP_3)
	v_mul_f32_e32 v53, v5, v53
	v_add3_u32 v52, v52, v54, 0x7fff
	v_and_b32_e32 v55, 0xffff0000, v56
	v_and_b32_e32 v56, 0xffff0000, v59
	s_delay_alu instid0(VALU_DEP_1) | instskip(SKIP_4) | instid1(VALU_DEP_2)
	v_add_f32_e32 v49, v55, v56
	v_add3_u32 v55, v57, v51, 0x7fff
	v_or_b32_e32 v56, 0x400000, v51
	v_or_b32_e32 v57, 0x400000, v54
	s_wait_alu 0xfffd
	v_cndmask_b32_e32 v51, v55, v56, vcc_lo
	v_bfe_u32 v55, v53, 16, 1
	v_cmp_u_f32_e32 vcc_lo, v54, v54
	v_bfe_u32 v56, v48, 16, 1
	s_delay_alu instid0(VALU_DEP_3)
	v_add3_u32 v54, v55, v53, 0x7fff
	s_wait_alu 0xfffd
	v_cndmask_b32_e32 v52, v52, v57, vcc_lo
	v_or_b32_e32 v55, 0x400000, v53
	v_cmp_u_f32_e32 vcc_lo, v53, v53
	v_bfe_u32 v57, v46, 16, 1
	s_delay_alu instid0(VALU_DEP_4)
	v_dual_mul_f32 v45, v3, v45 :: v_dual_and_b32 v52, 0xffff0000, v52
	s_wait_alu 0xfffd
	v_cndmask_b32_e32 v53, v54, v55, vcc_lo
	v_add3_u32 v54, v56, v48, 0x7fff
	v_or_b32_e32 v55, 0x400000, v48
	v_bfe_u32 v56, v47, 16, 1
	v_cmp_u_f32_e32 vcc_lo, v48, v48
	v_bfe_u32 v58, v45, 16, 1
	s_wait_alu 0xfffd
	v_dual_cndmask_b32 v48, v54, v55 :: v_dual_and_b32 v53, 0xffff0000, v53
	v_add3_u32 v54, v56, v47, 0x7fff
	v_or_b32_e32 v55, 0x400000, v47
	v_cmp_u_f32_e32 vcc_lo, v47, v47
	v_add3_u32 v56, v57, v46, 0x7fff
	v_or_b32_e32 v57, 0x400000, v46
	s_wait_alu 0xfffd
	v_cndmask_b32_e32 v47, v54, v55, vcc_lo
	v_cmp_u_f32_e32 vcc_lo, v46, v46
	v_add3_u32 v54, v58, v45, 0x7fff
	v_or_b32_e32 v55, 0x400000, v45
	s_wait_alu 0xfffd
	v_cndmask_b32_e32 v46, v56, v57, vcc_lo
	v_cmp_u_f32_e32 vcc_lo, v45, v45
	v_and_b32_e32 v48, 0xffff0000, v48
	v_bfe_u32 v56, v44, 16, 1
	v_and_b32_e32 v47, 0xffff0000, v47
	s_wait_alu 0xfffd
	v_dual_cndmask_b32 v45, v54, v55 :: v_dual_and_b32 v46, 0xffff0000, v46
	v_dual_add_f32 v48, v48, v53 :: v_dual_and_b32 v51, 0xffff0000, v51
	v_add3_u32 v54, v56, v44, 0x7fff
	v_or_b32_e32 v55, 0x400000, v44
	v_cmp_u_f32_e32 vcc_lo, v44, v44
	s_delay_alu instid0(VALU_DEP_4) | instskip(SKIP_3) | instid1(VALU_DEP_3)
	v_add_f32_e32 v51, v52, v51
	v_dual_add_f32 v46, v46, v47 :: v_dual_and_b32 v45, 0xffff0000, v45
	s_wait_alu 0xfffd
	v_cndmask_b32_e32 v44, v54, v55, vcc_lo
	v_add_f32_e32 v48, v48, v51
	v_lshlrev_b32_e32 v43, 16, v43
	v_or_b32_e32 v51, 0x400000, v42
	s_delay_alu instid0(VALU_DEP_2) | instskip(SKIP_1) | instid1(VALU_DEP_2)
	v_dual_add_f32 v46, v46, v48 :: v_dual_mul_f32 v43, v1, v43
	v_bfe_u32 v48, v42, 16, 1
	v_bfe_u32 v47, v43, 16, 1
	s_delay_alu instid0(VALU_DEP_2) | instskip(SKIP_3) | instid1(VALU_DEP_3)
	v_add3_u32 v48, v48, v42, 0x7fff
	v_lshlrev_b32_e32 v41, 16, v41
	v_and_b32_e32 v44, 0xffff0000, v44
	v_cmp_u_f32_e32 vcc_lo, v43, v43
	v_mul_f32_e32 v41, v5, v41
	s_delay_alu instid0(VALU_DEP_3) | instskip(SKIP_2) | instid1(VALU_DEP_4)
	v_add_f32_e32 v44, v44, v45
	v_add3_u32 v45, v47, v43, 0x7fff
	v_or_b32_e32 v47, 0x400000, v43
	v_bfe_u32 v52, v41, 16, 1
	s_wait_alu 0xfffd
	s_delay_alu instid0(VALU_DEP_2) | instskip(SKIP_1) | instid1(VALU_DEP_3)
	v_cndmask_b32_e32 v43, v45, v47, vcc_lo
	v_cmp_u_f32_e32 vcc_lo, v42, v42
	v_add3_u32 v45, v52, v41, 0x7fff
	v_or_b32_e32 v47, 0x400000, v41
	v_bfe_u32 v52, v37, 16, 1
	v_dual_mul_f32 v36, v8, v36 :: v_dual_and_b32 v43, 0xffff0000, v43
	s_wait_alu 0xfffd
	v_cndmask_b32_e32 v42, v48, v51, vcc_lo
	v_cmp_u_f32_e32 vcc_lo, v41, v41
	v_lshlrev_b32_e32 v40, 16, v40
	v_bfe_u32 v51, v38, 16, 1
	s_wait_alu 0xfffd
	s_delay_alu instid0(VALU_DEP_2) | instskip(NEXT) | instid1(VALU_DEP_1)
	v_dual_cndmask_b32 v41, v45, v47 :: v_dual_mul_f32 v40, v4, v40
	v_and_b32_e32 v41, 0xffff0000, v41
	s_delay_alu instid0(VALU_DEP_2) | instskip(SKIP_2) | instid1(VALU_DEP_3)
	v_bfe_u32 v48, v40, 16, 1
	v_or_b32_e32 v47, 0x400000, v40
	v_cmp_u_f32_e32 vcc_lo, v40, v40
	v_add3_u32 v45, v48, v40, 0x7fff
	v_bfe_u32 v48, v39, 16, 1
	s_wait_alu 0xfffd
	s_delay_alu instid0(VALU_DEP_2) | instskip(NEXT) | instid1(VALU_DEP_2)
	v_cndmask_b32_e32 v40, v45, v47, vcc_lo
	v_add3_u32 v45, v48, v39, 0x7fff
	v_or_b32_e32 v47, 0x400000, v39
	v_cmp_u_f32_e32 vcc_lo, v39, v39
	v_add3_u32 v48, v51, v38, 0x7fff
	v_or_b32_e32 v51, 0x400000, v38
	s_wait_alu 0xfffd
	v_cndmask_b32_e32 v39, v45, v47, vcc_lo
	v_cmp_u_f32_e32 vcc_lo, v38, v38
	v_add3_u32 v45, v52, v37, 0x7fff
	v_or_b32_e32 v47, 0x400000, v37
	s_delay_alu instid0(VALU_DEP_4)
	v_and_b32_e32 v39, 0xffff0000, v39
	s_wait_alu 0xfffd
	v_cndmask_b32_e32 v38, v48, v51, vcc_lo
	v_cmp_u_f32_e32 vcc_lo, v37, v37
	v_and_b32_e32 v42, 0xffff0000, v42
	s_wait_alu 0xfffd
	s_delay_alu instid0(VALU_DEP_3) | instskip(NEXT) | instid1(VALU_DEP_2)
	v_dual_cndmask_b32 v37, v45, v47 :: v_dual_and_b32 v38, 0xffff0000, v38
	v_add_f32_e32 v42, v42, v43
	v_lshlrev_b32_e32 v35, 16, v35
	v_and_b32_e32 v40, 0xffff0000, v40
	s_delay_alu instid0(VALU_DEP_4) | instskip(SKIP_1) | instid1(VALU_DEP_3)
	v_dual_add_f32 v38, v38, v39 :: v_dual_and_b32 v37, 0xffff0000, v37
	v_bfe_u32 v45, v36, 16, 1
	v_dual_mul_f32 v35, v1, v35 :: v_dual_add_f32 v40, v40, v41
	v_or_b32_e32 v43, 0x400000, v36
	v_cmp_u_f32_e32 vcc_lo, v36, v36
	s_delay_alu instid0(VALU_DEP_4) | instskip(NEXT) | instid1(VALU_DEP_4)
	v_add3_u32 v41, v45, v36, 0x7fff
	v_bfe_u32 v39, v35, 16, 1
	v_add_f32_e32 v40, v40, v42
	v_or_b32_e32 v42, 0x400000, v33
	s_delay_alu instid0(VALU_DEP_3) | instskip(NEXT) | instid1(VALU_DEP_3)
	v_add3_u32 v39, v39, v35, 0x7fff
	v_add_f32_e32 v38, v38, v40
	v_or_b32_e32 v40, 0x400000, v35
	s_wait_alu 0xfffd
	v_cndmask_b32_e32 v36, v41, v43, vcc_lo
	v_bfe_u32 v41, v34, 16, 1
	v_cmp_u_f32_e32 vcc_lo, v35, v35
	s_wait_alu 0xfffd
	v_cndmask_b32_e32 v35, v39, v40, vcc_lo
	v_bfe_u32 v39, v33, 16, 1
	v_add3_u32 v40, v41, v34, 0x7fff
	v_or_b32_e32 v41, 0x400000, v34
	v_cmp_u_f32_e32 vcc_lo, v34, v34
	v_dual_mul_f32 v30, v7, v30 :: v_dual_and_b32 v35, 0xffff0000, v35
	v_add3_u32 v39, v39, v33, 0x7fff
	s_wait_alu 0xfffd
	v_cndmask_b32_e32 v34, v40, v41, vcc_lo
	v_cmp_u_f32_e32 vcc_lo, v33, v33
	s_wait_alu 0xfffd
	v_dual_cndmask_b32 v33, v39, v42 :: v_dual_and_b32 v36, 0xffff0000, v36
	v_bfe_u32 v39, v31, 16, 1
	v_or_b32_e32 v42, 0x400000, v31
	s_delay_alu instid0(VALU_DEP_3) | instskip(NEXT) | instid1(VALU_DEP_3)
	v_and_b32_e32 v33, 0xffff0000, v33
	v_add3_u32 v39, v39, v31, 0x7fff
	v_mul_f32_e32 v32, v4, v32
	s_delay_alu instid0(VALU_DEP_1) | instskip(SKIP_2) | instid1(VALU_DEP_3)
	v_bfe_u32 v40, v32, 16, 1
	v_or_b32_e32 v41, 0x400000, v32
	v_cmp_u_f32_e32 vcc_lo, v32, v32
	v_add3_u32 v40, v40, v32, 0x7fff
	s_wait_alu 0xfffd
	s_delay_alu instid0(VALU_DEP_1)
	v_cndmask_b32_e32 v32, v40, v41, vcc_lo
	v_bfe_u32 v40, v30, 16, 1
	v_cmp_u_f32_e32 vcc_lo, v31, v31
	v_bfe_u32 v41, v29, 16, 1
	s_wait_alu 0xfffd
	v_cndmask_b32_e32 v31, v39, v42, vcc_lo
	v_add3_u32 v39, v40, v30, 0x7fff
	v_or_b32_e32 v40, 0x400000, v30
	v_cmp_u_f32_e32 vcc_lo, v30, v30
	v_add3_u32 v41, v41, v29, 0x7fff
	v_and_b32_e32 v31, 0xffff0000, v31
	v_or_b32_e32 v42, 0x400000, v29
	s_wait_alu 0xfffd
	v_cndmask_b32_e32 v30, v39, v40, vcc_lo
	v_cmp_u_f32_e32 vcc_lo, v29, v29
	s_delay_alu instid0(VALU_DEP_2) | instskip(SKIP_2) | instid1(VALU_DEP_2)
	v_and_b32_e32 v30, 0xffff0000, v30
	s_wait_alu 0xfffd
	v_cndmask_b32_e32 v29, v41, v42, vcc_lo
	v_dual_add_f32 v30, v30, v31 :: v_dual_lshlrev_b32 v41, 16, v76
	v_lshlrev_b32_e32 v31, 16, v72
	s_delay_alu instid0(VALU_DEP_2) | instskip(NEXT) | instid1(VALU_DEP_1)
	v_dual_mul_f32 v1, v1, v41 :: v_dual_lshlrev_b32 v28, 16, v28
	v_dual_mul_f32 v5, v5, v31 :: v_dual_mul_f32 v28, v8, v28
	v_dual_mul_f32 v8, v8, v13 :: v_dual_lshlrev_b32 v31, 16, v70
	s_delay_alu instid0(VALU_DEP_2) | instskip(SKIP_2) | instid1(VALU_DEP_4)
	v_bfe_u32 v39, v28, 16, 1
	v_or_b32_e32 v40, 0x400000, v28
	v_cmp_u_f32_e32 vcc_lo, v28, v28
	v_dual_mul_f32 v4, v4, v31 :: v_dual_lshlrev_b32 v31, 16, v68
	s_delay_alu instid0(VALU_DEP_4) | instskip(NEXT) | instid1(VALU_DEP_2)
	v_add3_u32 v39, v39, v28, 0x7fff
	v_mul_f32_e32 v6, v6, v31
	s_wait_alu 0xfffd
	s_delay_alu instid0(VALU_DEP_2) | instskip(SKIP_2) | instid1(VALU_DEP_3)
	v_dual_cndmask_b32 v28, v39, v40 :: v_dual_lshlrev_b32 v31, 16, v67
	v_cmp_u_f32_e32 vcc_lo, v1, v1
	v_and_b32_e32 v32, 0xffff0000, v32
	v_dual_mul_f32 v7, v7, v31 :: v_dual_and_b32 v34, 0xffff0000, v34
	s_delay_alu instid0(VALU_DEP_2) | instskip(NEXT) | instid1(VALU_DEP_2)
	v_add_f32_e32 v32, v32, v33
	v_dual_add_f32 v34, v34, v35 :: v_dual_lshlrev_b32 v33, 16, v74
	s_delay_alu instid0(VALU_DEP_3) | instskip(NEXT) | instid1(VALU_DEP_2)
	v_bfe_u32 v31, v7, 16, 1
	v_add_f32_e32 v32, v32, v34
	v_bfe_u32 v34, v1, 16, 1
	s_delay_alu instid0(VALU_DEP_4) | instskip(NEXT) | instid1(VALU_DEP_2)
	v_mul_f32_e32 v2, v2, v33
	v_add3_u32 v33, v34, v1, 0x7fff
	v_or_b32_e32 v34, 0x400000, v1
	s_delay_alu instid0(VALU_DEP_3) | instskip(SKIP_1) | instid1(VALU_DEP_2)
	v_bfe_u32 v35, v2, 16, 1
	s_wait_alu 0xfffd
	v_cndmask_b32_e32 v1, v33, v34, vcc_lo
	s_delay_alu instid0(VALU_DEP_2) | instskip(SKIP_4) | instid1(VALU_DEP_3)
	v_add3_u32 v33, v35, v2, 0x7fff
	v_or_b32_e32 v34, 0x400000, v2
	v_bfe_u32 v35, v5, 16, 1
	v_cmp_u_f32_e32 vcc_lo, v2, v2
	s_wait_alu 0xfffd
	v_dual_cndmask_b32 v2, v33, v34 :: v_dual_and_b32 v1, 0xffff0000, v1
	s_delay_alu instid0(VALU_DEP_3)
	v_add3_u32 v33, v35, v5, 0x7fff
	v_or_b32_e32 v34, 0x400000, v5
	v_cmp_u_f32_e32 vcc_lo, v5, v5
	v_bfe_u32 v35, v4, 16, 1
	v_and_b32_e32 v2, 0xffff0000, v2
	v_lshlrev_b32_e32 v14, 16, v14
	s_wait_alu 0xfffd
	v_cndmask_b32_e32 v5, v33, v34, vcc_lo
	v_add3_u32 v33, v35, v4, 0x7fff
	v_or_b32_e32 v34, 0x400000, v4
	v_cmp_u_f32_e32 vcc_lo, v4, v4
	v_add_f32_e32 v1, v2, v1
	v_and_b32_e32 v5, 0xffff0000, v5
	v_bfe_u32 v35, v6, 16, 1
	v_or_b32_e32 v13, 0x400000, v6
	s_wait_alu 0xfffd
	v_cndmask_b32_e32 v4, v33, v34, vcc_lo
	v_cmp_u_f32_e32 vcc_lo, v6, v6
	v_dual_mul_f32 v3, v3, v14 :: v_dual_and_b32 v28, 0xffff0000, v28
	v_add3_u32 v33, v35, v6, 0x7fff
	s_delay_alu instid0(VALU_DEP_4)
	v_and_b32_e32 v4, 0xffff0000, v4
	v_add3_u32 v14, v31, v7, 0x7fff
	v_or_b32_e32 v31, 0x400000, v7
	v_bfe_u32 v34, v3, 16, 1
	s_wait_alu 0xfffd
	v_cndmask_b32_e32 v6, v33, v13, vcc_lo
	v_cmp_u_f32_e32 vcc_lo, v7, v7
	v_add_f32_e32 v2, v4, v5
	v_or_b32_e32 v33, 0x400000, v3
	v_add3_u32 v13, v34, v3, 0x7fff
	v_and_b32_e32 v5, 0xffff0000, v6
	v_bfe_u32 v35, v8, 16, 1
	s_wait_alu 0xfffd
	v_cndmask_b32_e32 v7, v14, v31, vcc_lo
	v_or_b32_e32 v31, 0x400000, v8
	v_cmp_u_f32_e32 vcc_lo, v8, v8
	v_add3_u32 v14, v35, v8, 0x7fff
	s_delay_alu instid0(VALU_DEP_4) | instskip(SKIP_2) | instid1(VALU_DEP_3)
	v_dual_add_f32 v7, v30, v32 :: v_dual_and_b32 v4, 0xffff0000, v7
	v_add_f32_e32 v1, v2, v1
	s_wait_alu 0xfffd
	v_cndmask_b32_e32 v8, v14, v31, vcc_lo
	v_cmp_u_f32_e32 vcc_lo, v3, v3
	v_add_f32_e32 v2, v4, v5
	v_add_f32_e32 v5, v36, v37
	v_and_b32_e32 v6, 0xffff0000, v29
	s_wait_alu 0xfffd
	v_cndmask_b32_e32 v3, v13, v33, vcc_lo
	v_dual_add_f32 v1, v2, v1 :: v_dual_and_b32 v4, 0xffff0000, v8
	v_add_f32_e32 v5, v5, v38
	s_delay_alu instid0(VALU_DEP_3) | instskip(NEXT) | instid1(VALU_DEP_1)
	v_dual_add_f32 v6, v28, v6 :: v_dual_and_b32 v3, 0xffff0000, v3
	v_dual_add_f32 v25, v25, v5 :: v_dual_add_f32 v6, v6, v7
	s_delay_alu instid0(VALU_DEP_2) | instskip(SKIP_1) | instid1(VALU_DEP_3)
	v_dual_add_f32 v2, v4, v3 :: v_dual_add_f32 v3, v49, v50
	v_add_f32_e32 v4, v44, v46
	v_add_f32_e32 v26, v26, v6
	s_delay_alu instid0(VALU_DEP_3) | instskip(NEXT) | instid1(VALU_DEP_3)
	v_add_f32_e32 v1, v2, v1
	v_dual_add_f32 v23, v23, v3 :: v_dual_add_f32 v24, v24, v4
	s_delay_alu instid0(VALU_DEP_2)
	v_add_f32_e32 v19, v19, v1
.LBB321_41:                             ;   in Loop: Header=BB321_42 Depth=1
	s_wait_alu 0xfffe
	s_or_b32 exec_lo, exec_lo, s7
	v_add_nc_u32_e32 v17, 4, v17
	v_add_co_u32 v9, s0, v9, 16
	s_wait_alu 0xf1ff
	v_add_co_ci_u32_e64 v10, null, 0, v10, s0
	s_delay_alu instid0(VALU_DEP_3)
	v_cmp_le_i32_e32 vcc_lo, s43, v17
	v_add_nc_u32_e32 v16, 32, v16
	v_add_nc_u32_e32 v27, 0x80, v27
	s_or_b32 s5, vcc_lo, s5
	s_wait_alu 0xfffe
	s_and_not1_b32 exec_lo, exec_lo, s5
	s_cbranch_execz .LBB321_59
.LBB321_42:                             ; =>This Inner Loop Header: Depth=1
	v_sub_nc_u32_e32 v1, 0, v16
	s_delay_alu instid0(VALU_DEP_1) | instskip(NEXT) | instid1(VALU_DEP_1)
	v_max_i32_e32 v1, v16, v1
	v_mul_hi_u32 v2, v1, s42
	s_delay_alu instid0(VALU_DEP_1) | instskip(NEXT) | instid1(VALU_DEP_1)
	v_mul_lo_u32 v3, v2, s35
	v_sub_nc_u32_e32 v1, v1, v3
	v_add_nc_u32_e32 v3, 1, v2
	s_delay_alu instid0(VALU_DEP_2) | instskip(SKIP_2) | instid1(VALU_DEP_2)
	v_subrev_nc_u32_e32 v4, s35, v1
	v_cmp_le_u32_e32 vcc_lo, s35, v1
	s_wait_alu 0xfffd
	v_dual_cndmask_b32 v2, v2, v3 :: v_dual_cndmask_b32 v1, v1, v4
	v_ashrrev_i32_e32 v3, 31, v16
	s_delay_alu instid0(VALU_DEP_2) | instskip(NEXT) | instid1(VALU_DEP_3)
	v_add_nc_u32_e32 v4, 1, v2
	v_cmp_le_u32_e32 vcc_lo, s35, v1
	s_delay_alu instid0(VALU_DEP_3) | instskip(SKIP_1) | instid1(VALU_DEP_3)
	v_xor_b32_e32 v3, s41, v3
	s_wait_alu 0xfffd
	v_cndmask_b32_e32 v1, v2, v4, vcc_lo
	s_delay_alu instid0(VALU_DEP_1) | instskip(NEXT) | instid1(VALU_DEP_1)
	v_xor_b32_e32 v1, v1, v3
	v_sub_nc_u32_e32 v1, v1, v3
	s_delay_alu instid0(VALU_DEP_1) | instskip(SKIP_1) | instid1(VALU_DEP_2)
	v_add_nc_u32_e32 v2, s36, v1
	v_cmp_lt_i32_e64 s0, s3, v1
	v_sub_nc_u32_e32 v3, 0, v2
	s_delay_alu instid0(VALU_DEP_1) | instskip(SKIP_1) | instid1(VALU_DEP_1)
	v_max_i32_e32 v3, v2, v3
	s_wait_alu 0xfffe
	v_mul_hi_u32 v4, v3, s6
	s_delay_alu instid0(VALU_DEP_1) | instskip(NEXT) | instid1(VALU_DEP_1)
	v_mul_lo_u32 v4, v4, s2
	v_sub_nc_u32_e32 v3, v3, v4
	s_delay_alu instid0(VALU_DEP_1) | instskip(SKIP_2) | instid1(VALU_DEP_2)
	v_subrev_nc_u32_e32 v4, s2, v3
	v_cmp_le_u32_e32 vcc_lo, s2, v3
	s_wait_alu 0xfffd
	v_cndmask_b32_e32 v3, v3, v4, vcc_lo
	v_ashrrev_i32_e32 v2, 31, v2
	s_delay_alu instid0(VALU_DEP_2) | instskip(SKIP_2) | instid1(VALU_DEP_2)
	v_subrev_nc_u32_e32 v4, s2, v3
	v_cmp_le_u32_e32 vcc_lo, s2, v3
	s_wait_alu 0xfffd
	v_cndmask_b32_e32 v3, v3, v4, vcc_lo
	s_delay_alu instid0(VALU_DEP_1) | instskip(NEXT) | instid1(VALU_DEP_1)
	v_xor_b32_e32 v3, v3, v2
	v_sub_nc_u32_e32 v2, v3, v2
	s_delay_alu instid0(VALU_DEP_1)
	v_cmp_eq_u32_e32 vcc_lo, 0, v2
	s_or_b32 s0, vcc_lo, s0
	s_wait_alu 0xfffe
	s_and_saveexec_b32 s7, s0
	s_cbranch_execz .LBB321_41
; %bb.43:                               ;   in Loop: Header=BB321_42 Depth=1
	global_load_b32 v1, v[9:10], off
	v_cmp_eq_u32_e32 vcc_lo, s48, v17
	v_add_nc_u32_e32 v53, 5, v16
	v_add_nc_u32_e32 v58, 7, v16
	s_wait_loadcnt 0x0
	v_mad_co_i64_i32 v[13:14], null, v1, s4, v[11:12]
	global_load_b64 v[28:29], v[13:14], off
	ds_load_2addr_b64 v[5:8], v27 offset1:1
	ds_load_2addr_b64 v[1:4], v27 offset0:2 offset1:3
	s_load_b32 s11, s[30:31], 0x0
	s_wait_loadcnt 0x0
	v_bfe_u32 v32, v28, 16, 8
	v_bfe_u32 v34, v29, 8, 8
	;; [unrolled: 1-line block ×4, first 2 shown]
	s_delay_alu instid0(VALU_DEP_4) | instskip(SKIP_2) | instid1(VALU_DEP_4)
	v_cvt_f32_fp8_e32 v32, v32
	v_and_b32_e32 v33, 0xff, v29
	v_lshrrev_b32_e32 v29, 24, v29
	v_cvt_f32_fp8_e32 v31, v31
	v_add_nc_u32_e32 v56, 2, v16
	s_wait_kmcnt 0x0
	v_mul_f32_e32 v32, s11, v32
	v_cvt_f32_fp8_e32 v33, v33
	v_cvt_f32_fp8_e32 v29, v29
	v_and_b32_e32 v30, 0xff, v28
	v_lshrrev_b32_e32 v28, 24, v28
	v_mul_f32_e32 v31, s11, v31
	v_bfe_u32 v40, v32, 16, 1
	v_mul_f32_e32 v29, s11, v29
	v_cvt_f32_fp8_e32 v30, v30
	v_add_nc_u32_e32 v57, 1, v16
	v_cvt_f32_fp8_e32 v28, v28
	v_bfe_u32 v38, v31, 16, 1
	v_or_b32_e32 v39, 0x400000, v31
	v_mul_f32_e32 v30, s11, v30
	v_dual_mul_f32 v33, s11, v33 :: v_dual_add_nc_u32 v54, 4, v16
	v_mul_f32_e32 v28, s11, v28
	v_add3_u32 v38, v38, v31, 0x7fff
	s_delay_alu instid0(VALU_DEP_4)
	v_bfe_u32 v36, v30, 16, 1
	v_or_b32_e32 v37, 0x400000, v30
	v_cmp_u_f32_e64 s0, v30, v30
	v_cvt_f32_fp8_e32 v34, v34
	v_or_b32_e32 v41, 0x400000, v32
	v_add3_u32 v36, v36, v30, 0x7fff
	v_bfe_u32 v42, v28, 16, 1
	v_add3_u32 v40, v40, v32, 0x7fff
	v_dual_mul_f32 v34, s11, v34 :: v_dual_add_nc_u32 v55, 3, v16
	s_wait_alu 0xf1ff
	v_cndmask_b32_e64 v30, v36, v37, s0
	v_cmp_u_f32_e64 s0, v31, v31
	v_cvt_f32_fp8_e32 v35, v35
	v_or_b32_e32 v43, 0x400000, v28
	v_bfe_u32 v44, v33, 16, 1
	v_add3_u32 v42, v42, v28, 0x7fff
	s_wait_alu 0xf1ff
	v_cndmask_b32_e64 v31, v38, v39, s0
	v_cmp_u_f32_e64 s0, v32, v32
	v_dual_mul_f32 v35, s11, v35 :: v_dual_add_nc_u32 v52, 6, v16
	v_or_b32_e32 v45, 0x400000, v33
	v_bfe_u32 v46, v34, 16, 1
	s_wait_alu 0xf1ff
	v_cndmask_b32_e64 v32, v40, v41, s0
	v_cmp_u_f32_e64 s0, v28, v28
	v_add3_u32 v44, v44, v33, 0x7fff
	v_or_b32_e32 v47, 0x400000, v34
	v_bfe_u32 v48, v35, 16, 1
	v_add3_u32 v46, v46, v34, 0x7fff
	s_wait_alu 0xf1ff
	v_cndmask_b32_e64 v28, v42, v43, s0
	v_cmp_u_f32_e64 s0, v33, v33
	v_or_b32_e32 v49, 0x400000, v35
	v_bfe_u32 v50, v29, 16, 1
	v_add3_u32 v48, v48, v35, 0x7fff
	v_or_b32_e32 v51, 0x400000, v29
	s_wait_alu 0xf1ff
	v_cndmask_b32_e64 v36, v44, v45, s0
	v_cmp_u_f32_e64 s0, v34, v34
	v_add3_u32 v50, v50, v29, 0x7fff
	v_lshrrev_b32_e32 v34, 16, v30
	v_lshrrev_b32_e32 v32, 16, v32
	;; [unrolled: 1-line block ×3, first 2 shown]
	s_wait_alu 0xf1ff
	v_cndmask_b32_e64 v37, v46, v47, s0
	v_cmp_u_f32_e64 s0, v35, v35
	v_lshrrev_b32_e32 v35, 16, v31
	v_lshrrev_b32_e32 v30, 16, v36
	s_delay_alu instid0(VALU_DEP_4) | instskip(SKIP_3) | instid1(VALU_DEP_2)
	v_lshrrev_b32_e32 v31, 16, v37
	s_wait_alu 0xf1ff
	v_cndmask_b32_e64 v38, v48, v49, s0
	v_cmp_u_f32_e64 s0, v29, v29
	v_lshrrev_b32_e32 v28, 16, v38
	s_wait_alu 0xf1ff
	s_delay_alu instid0(VALU_DEP_2) | instskip(NEXT) | instid1(VALU_DEP_1)
	v_cndmask_b32_e64 v29, v50, v51, s0
	v_lshrrev_b32_e32 v29, 16, v29
	s_and_saveexec_b32 s12, vcc_lo
	s_cbranch_execz .LBB321_45
; %bb.44:                               ;   in Loop: Header=BB321_42 Depth=1
	v_cmp_gt_i32_e64 s0, s33, v16
	s_wait_alu 0xf1ff
	s_delay_alu instid0(VALU_DEP_1) | instskip(SKIP_2) | instid1(VALU_DEP_1)
	v_cndmask_b32_e64 v34, 0, v34, s0
	v_cmp_gt_i32_e64 s0, s33, v57
	s_wait_alu 0xf1ff
	v_cndmask_b32_e64 v35, 0, v35, s0
	v_cmp_gt_i32_e64 s0, s33, v56
	s_wait_alu 0xf1ff
	s_delay_alu instid0(VALU_DEP_1) | instskip(SKIP_2) | instid1(VALU_DEP_1)
	v_cndmask_b32_e64 v32, 0, v32, s0
	v_cmp_gt_i32_e64 s0, s33, v55
	s_wait_alu 0xf1ff
	v_cndmask_b32_e64 v33, 0, v33, s0
	;; [unrolled: 7-line block ×4, first 2 shown]
.LBB321_45:                             ;   in Loop: Header=BB321_42 Depth=1
	s_wait_alu 0xfffe
	s_or_b32 exec_lo, exec_lo, s12
	global_load_b64 v[36:37], v[13:14], off offset:256
	s_wait_loadcnt 0x0
	v_bfe_u32 v39, v36, 8, 8
	v_bfe_u32 v40, v36, 16, 8
	;; [unrolled: 1-line block ×4, first 2 shown]
	s_delay_alu instid0(VALU_DEP_4)
	v_cvt_f32_fp8_e32 v39, v39
	v_and_b32_e32 v38, 0xff, v36
	v_lshrrev_b32_e32 v36, 24, v36
	v_cvt_f32_fp8_e32 v40, v40
	v_cvt_f32_fp8_e32 v43, v43
	v_mul_f32_e32 v39, s11, v39
	v_cvt_f32_fp8_e32 v38, v38
	v_and_b32_e32 v41, 0xff, v37
	v_cvt_f32_fp8_e32 v36, v36
	v_lshrrev_b32_e32 v37, 24, v37
	v_bfe_u32 v46, v39, 16, 1
	v_mul_f32_e32 v38, s11, v38
	v_cvt_f32_fp8_e32 v41, v41
	v_mul_f32_e32 v40, s11, v40
	v_dual_mul_f32 v36, s11, v36 :: v_dual_mul_f32 v43, s11, v43
	s_delay_alu instid0(VALU_DEP_4)
	v_bfe_u32 v44, v38, 16, 1
	v_or_b32_e32 v45, 0x400000, v38
	v_cmp_u_f32_e64 s0, v38, v38
	v_mul_f32_e32 v41, s11, v41
	v_or_b32_e32 v47, 0x400000, v39
	v_add3_u32 v44, v44, v38, 0x7fff
	v_bfe_u32 v48, v40, 16, 1
	v_add3_u32 v46, v46, v39, 0x7fff
	v_cvt_f32_fp8_e32 v42, v42
	v_or_b32_e32 v49, 0x400000, v40
	s_wait_alu 0xf1ff
	v_cndmask_b32_e64 v38, v44, v45, s0
	v_cmp_u_f32_e64 s0, v39, v39
	v_bfe_u32 v50, v36, 16, 1
	v_add3_u32 v48, v48, v40, 0x7fff
	v_cvt_f32_fp8_e32 v37, v37
	v_mul_f32_e32 v42, s11, v42
	s_wait_alu 0xf1ff
	v_cndmask_b32_e64 v39, v46, v47, s0
	v_cmp_u_f32_e64 s0, v40, v40
	v_or_b32_e32 v51, 0x400000, v36
	v_bfe_u32 v59, v41, 16, 1
	v_add3_u32 v50, v50, v36, 0x7fff
	v_mul_f32_e32 v37, s11, v37
	s_wait_alu 0xf1ff
	v_cndmask_b32_e64 v40, v48, v49, s0
	v_cmp_u_f32_e64 s0, v36, v36
	v_or_b32_e32 v60, 0x400000, v41
	v_bfe_u32 v61, v42, 16, 1
	v_add3_u32 v59, v59, v41, 0x7fff
	v_or_b32_e32 v62, 0x400000, v42
	s_wait_alu 0xf1ff
	v_cndmask_b32_e64 v36, v50, v51, s0
	v_cmp_u_f32_e64 s0, v41, v41
	v_bfe_u32 v63, v43, 16, 1
	v_add3_u32 v61, v61, v42, 0x7fff
	v_or_b32_e32 v64, 0x400000, v43
	v_bfe_u32 v65, v37, 16, 1
	s_wait_alu 0xf1ff
	v_cndmask_b32_e64 v44, v59, v60, s0
	v_cmp_u_f32_e64 s0, v42, v42
	v_add3_u32 v63, v63, v43, 0x7fff
	v_or_b32_e32 v66, 0x400000, v37
	v_add3_u32 v65, v65, v37, 0x7fff
	v_lshrrev_b32_e32 v42, 16, v38
	s_wait_alu 0xf1ff
	v_cndmask_b32_e64 v45, v61, v62, s0
	v_cmp_u_f32_e64 s0, v43, v43
	v_lshrrev_b32_e32 v43, 16, v39
	v_lshrrev_b32_e32 v40, 16, v40
	;; [unrolled: 1-line block ×4, first 2 shown]
	s_wait_alu 0xf1ff
	v_cndmask_b32_e64 v46, v63, v64, s0
	v_cmp_u_f32_e64 s0, v37, v37
	v_lshrrev_b32_e32 v39, 16, v45
	s_delay_alu instid0(VALU_DEP_3) | instskip(SKIP_1) | instid1(VALU_DEP_3)
	v_lshrrev_b32_e32 v36, 16, v46
	s_wait_alu 0xf1ff
	v_cndmask_b32_e64 v37, v65, v66, s0
	s_delay_alu instid0(VALU_DEP_1)
	v_lshrrev_b32_e32 v37, 16, v37
	s_and_saveexec_b32 s12, vcc_lo
	s_cbranch_execz .LBB321_47
; %bb.46:                               ;   in Loop: Header=BB321_42 Depth=1
	v_cmp_gt_i32_e64 s0, s33, v16
	s_wait_alu 0xf1ff
	s_delay_alu instid0(VALU_DEP_1) | instskip(SKIP_2) | instid1(VALU_DEP_1)
	v_cndmask_b32_e64 v42, 0, v42, s0
	v_cmp_gt_i32_e64 s0, s33, v57
	s_wait_alu 0xf1ff
	v_cndmask_b32_e64 v43, 0, v43, s0
	v_cmp_gt_i32_e64 s0, s33, v56
	s_wait_alu 0xf1ff
	s_delay_alu instid0(VALU_DEP_1) | instskip(SKIP_2) | instid1(VALU_DEP_1)
	v_cndmask_b32_e64 v40, 0, v40, s0
	v_cmp_gt_i32_e64 s0, s33, v55
	s_wait_alu 0xf1ff
	v_cndmask_b32_e64 v41, 0, v41, s0
	;; [unrolled: 7-line block ×4, first 2 shown]
.LBB321_47:                             ;   in Loop: Header=BB321_42 Depth=1
	s_wait_alu 0xfffe
	s_or_b32 exec_lo, exec_lo, s12
	global_load_b64 v[44:45], v[13:14], off offset:512
	s_wait_loadcnt 0x0
	v_bfe_u32 v47, v44, 8, 8
	v_bfe_u32 v48, v44, 16, 8
	v_bfe_u32 v51, v45, 16, 8
	v_bfe_u32 v50, v45, 8, 8
	s_delay_alu instid0(VALU_DEP_4)
	v_cvt_f32_fp8_e32 v47, v47
	v_and_b32_e32 v46, 0xff, v44
	v_lshrrev_b32_e32 v44, 24, v44
	v_cvt_f32_fp8_e32 v48, v48
	v_cvt_f32_fp8_e32 v51, v51
	v_mul_f32_e32 v47, s11, v47
	v_cvt_f32_fp8_e32 v46, v46
	v_and_b32_e32 v49, 0xff, v45
	v_cvt_f32_fp8_e32 v44, v44
	v_lshrrev_b32_e32 v45, 24, v45
	v_bfe_u32 v61, v47, 16, 1
	v_mul_f32_e32 v46, s11, v46
	v_cvt_f32_fp8_e32 v49, v49
	v_mul_f32_e32 v48, s11, v48
	v_dual_mul_f32 v44, s11, v44 :: v_dual_mul_f32 v51, s11, v51
	s_delay_alu instid0(VALU_DEP_4)
	v_bfe_u32 v59, v46, 16, 1
	v_or_b32_e32 v60, 0x400000, v46
	v_cmp_u_f32_e64 s0, v46, v46
	v_mul_f32_e32 v49, s11, v49
	v_or_b32_e32 v62, 0x400000, v47
	v_add3_u32 v59, v59, v46, 0x7fff
	v_bfe_u32 v63, v48, 16, 1
	v_add3_u32 v61, v61, v47, 0x7fff
	v_cvt_f32_fp8_e32 v50, v50
	v_or_b32_e32 v64, 0x400000, v48
	s_wait_alu 0xf1ff
	v_cndmask_b32_e64 v46, v59, v60, s0
	v_cmp_u_f32_e64 s0, v47, v47
	v_bfe_u32 v65, v44, 16, 1
	v_add3_u32 v63, v63, v48, 0x7fff
	v_cvt_f32_fp8_e32 v45, v45
	v_mul_f32_e32 v50, s11, v50
	s_wait_alu 0xf1ff
	v_cndmask_b32_e64 v47, v61, v62, s0
	v_cmp_u_f32_e64 s0, v48, v48
	v_or_b32_e32 v66, 0x400000, v44
	v_bfe_u32 v67, v49, 16, 1
	v_add3_u32 v65, v65, v44, 0x7fff
	v_mul_f32_e32 v45, s11, v45
	s_wait_alu 0xf1ff
	v_cndmask_b32_e64 v48, v63, v64, s0
	v_cmp_u_f32_e64 s0, v44, v44
	v_or_b32_e32 v68, 0x400000, v49
	v_bfe_u32 v69, v50, 16, 1
	v_add3_u32 v67, v67, v49, 0x7fff
	v_or_b32_e32 v70, 0x400000, v50
	s_wait_alu 0xf1ff
	v_cndmask_b32_e64 v44, v65, v66, s0
	v_cmp_u_f32_e64 s0, v49, v49
	v_bfe_u32 v71, v51, 16, 1
	v_add3_u32 v69, v69, v50, 0x7fff
	v_or_b32_e32 v72, 0x400000, v51
	v_bfe_u32 v73, v45, 16, 1
	s_wait_alu 0xf1ff
	v_cndmask_b32_e64 v59, v67, v68, s0
	v_cmp_u_f32_e64 s0, v50, v50
	v_add3_u32 v71, v71, v51, 0x7fff
	v_or_b32_e32 v74, 0x400000, v45
	v_add3_u32 v73, v73, v45, 0x7fff
	v_lshrrev_b32_e32 v50, 16, v46
	s_wait_alu 0xf1ff
	v_cndmask_b32_e64 v60, v69, v70, s0
	v_cmp_u_f32_e64 s0, v51, v51
	v_lshrrev_b32_e32 v51, 16, v47
	v_lshrrev_b32_e32 v48, 16, v48
	;; [unrolled: 1-line block ×4, first 2 shown]
	s_wait_alu 0xf1ff
	v_cndmask_b32_e64 v61, v71, v72, s0
	v_cmp_u_f32_e64 s0, v45, v45
	v_lshrrev_b32_e32 v47, 16, v60
	s_delay_alu instid0(VALU_DEP_3) | instskip(SKIP_1) | instid1(VALU_DEP_3)
	v_lshrrev_b32_e32 v44, 16, v61
	s_wait_alu 0xf1ff
	v_cndmask_b32_e64 v45, v73, v74, s0
	s_delay_alu instid0(VALU_DEP_1)
	v_lshrrev_b32_e32 v45, 16, v45
	s_and_saveexec_b32 s12, vcc_lo
	s_cbranch_execz .LBB321_49
; %bb.48:                               ;   in Loop: Header=BB321_42 Depth=1
	v_cmp_gt_i32_e64 s0, s33, v16
	s_wait_alu 0xf1ff
	s_delay_alu instid0(VALU_DEP_1) | instskip(SKIP_2) | instid1(VALU_DEP_1)
	v_cndmask_b32_e64 v50, 0, v50, s0
	v_cmp_gt_i32_e64 s0, s33, v57
	s_wait_alu 0xf1ff
	v_cndmask_b32_e64 v51, 0, v51, s0
	v_cmp_gt_i32_e64 s0, s33, v56
	s_wait_alu 0xf1ff
	s_delay_alu instid0(VALU_DEP_1) | instskip(SKIP_2) | instid1(VALU_DEP_1)
	v_cndmask_b32_e64 v48, 0, v48, s0
	v_cmp_gt_i32_e64 s0, s33, v55
	s_wait_alu 0xf1ff
	v_cndmask_b32_e64 v49, 0, v49, s0
	;; [unrolled: 7-line block ×4, first 2 shown]
.LBB321_49:                             ;   in Loop: Header=BB321_42 Depth=1
	s_wait_alu 0xfffe
	s_or_b32 exec_lo, exec_lo, s12
	global_load_b64 v[59:60], v[13:14], off offset:768
	s_wait_loadcnt 0x0
	v_bfe_u32 v62, v59, 8, 8
	v_bfe_u32 v63, v59, 16, 8
	v_bfe_u32 v66, v60, 16, 8
	v_bfe_u32 v65, v60, 8, 8
	s_delay_alu instid0(VALU_DEP_4)
	v_cvt_f32_fp8_e32 v62, v62
	v_and_b32_e32 v61, 0xff, v59
	v_lshrrev_b32_e32 v59, 24, v59
	v_cvt_f32_fp8_e32 v63, v63
	v_cvt_f32_fp8_e32 v66, v66
	v_mul_f32_e32 v62, s11, v62
	v_cvt_f32_fp8_e32 v61, v61
	v_and_b32_e32 v64, 0xff, v60
	v_cvt_f32_fp8_e32 v59, v59
	v_lshrrev_b32_e32 v60, 24, v60
	v_bfe_u32 v69, v62, 16, 1
	v_mul_f32_e32 v61, s11, v61
	v_cvt_f32_fp8_e32 v64, v64
	v_mul_f32_e32 v63, s11, v63
	v_dual_mul_f32 v59, s11, v59 :: v_dual_mul_f32 v66, s11, v66
	s_delay_alu instid0(VALU_DEP_4)
	v_bfe_u32 v67, v61, 16, 1
	v_or_b32_e32 v68, 0x400000, v61
	v_cmp_u_f32_e64 s0, v61, v61
	v_mul_f32_e32 v64, s11, v64
	v_or_b32_e32 v70, 0x400000, v62
	v_add3_u32 v67, v67, v61, 0x7fff
	v_bfe_u32 v71, v63, 16, 1
	v_add3_u32 v69, v69, v62, 0x7fff
	v_cvt_f32_fp8_e32 v65, v65
	v_or_b32_e32 v72, 0x400000, v63
	s_wait_alu 0xf1ff
	v_cndmask_b32_e64 v61, v67, v68, s0
	v_cmp_u_f32_e64 s0, v62, v62
	v_bfe_u32 v73, v59, 16, 1
	v_add3_u32 v71, v71, v63, 0x7fff
	v_cvt_f32_fp8_e32 v60, v60
	v_mul_f32_e32 v65, s11, v65
	s_wait_alu 0xf1ff
	v_cndmask_b32_e64 v62, v69, v70, s0
	v_cmp_u_f32_e64 s0, v63, v63
	v_or_b32_e32 v74, 0x400000, v59
	v_bfe_u32 v75, v64, 16, 1
	v_add3_u32 v73, v73, v59, 0x7fff
	v_mul_f32_e32 v60, s11, v60
	s_wait_alu 0xf1ff
	v_cndmask_b32_e64 v63, v71, v72, s0
	v_cmp_u_f32_e64 s0, v59, v59
	v_or_b32_e32 v76, 0x400000, v64
	v_bfe_u32 v77, v65, 16, 1
	v_add3_u32 v75, v75, v64, 0x7fff
	v_or_b32_e32 v78, 0x400000, v65
	s_wait_alu 0xf1ff
	v_cndmask_b32_e64 v59, v73, v74, s0
	v_cmp_u_f32_e64 s0, v64, v64
	v_bfe_u32 v79, v66, 16, 1
	v_add3_u32 v77, v77, v65, 0x7fff
	v_or_b32_e32 v80, 0x400000, v66
	v_bfe_u32 v81, v60, 16, 1
	s_wait_alu 0xf1ff
	v_cndmask_b32_e64 v67, v75, v76, s0
	v_cmp_u_f32_e64 s0, v65, v65
	v_add3_u32 v79, v79, v66, 0x7fff
	v_or_b32_e32 v82, 0x400000, v60
	v_add3_u32 v81, v81, v60, 0x7fff
	v_lshrrev_b32_e32 v65, 16, v61
	s_wait_alu 0xf1ff
	v_cndmask_b32_e64 v68, v77, v78, s0
	v_cmp_u_f32_e64 s0, v66, v66
	v_lshrrev_b32_e32 v66, 16, v62
	v_lshrrev_b32_e32 v63, 16, v63
	;; [unrolled: 1-line block ×4, first 2 shown]
	s_wait_alu 0xf1ff
	v_cndmask_b32_e64 v69, v79, v80, s0
	v_cmp_u_f32_e64 s0, v60, v60
	v_lshrrev_b32_e32 v62, 16, v68
	s_delay_alu instid0(VALU_DEP_3) | instskip(SKIP_1) | instid1(VALU_DEP_3)
	v_lshrrev_b32_e32 v59, 16, v69
	s_wait_alu 0xf1ff
	v_cndmask_b32_e64 v60, v81, v82, s0
	s_delay_alu instid0(VALU_DEP_1)
	v_lshrrev_b32_e32 v60, 16, v60
	s_and_saveexec_b32 s12, vcc_lo
	s_cbranch_execz .LBB321_51
; %bb.50:                               ;   in Loop: Header=BB321_42 Depth=1
	v_cmp_gt_i32_e64 s0, s33, v16
	s_wait_alu 0xf1ff
	s_delay_alu instid0(VALU_DEP_1) | instskip(SKIP_2) | instid1(VALU_DEP_1)
	v_cndmask_b32_e64 v65, 0, v65, s0
	v_cmp_gt_i32_e64 s0, s33, v57
	s_wait_alu 0xf1ff
	v_cndmask_b32_e64 v66, 0, v66, s0
	v_cmp_gt_i32_e64 s0, s33, v56
	s_wait_alu 0xf1ff
	s_delay_alu instid0(VALU_DEP_1) | instskip(SKIP_2) | instid1(VALU_DEP_1)
	v_cndmask_b32_e64 v63, 0, v63, s0
	v_cmp_gt_i32_e64 s0, s33, v55
	s_wait_alu 0xf1ff
	v_cndmask_b32_e64 v64, 0, v64, s0
	;; [unrolled: 7-line block ×4, first 2 shown]
.LBB321_51:                             ;   in Loop: Header=BB321_42 Depth=1
	s_wait_alu 0xfffe
	s_or_b32 exec_lo, exec_lo, s12
	global_load_b64 v[67:68], v[13:14], off offset:1024
	s_wait_loadcnt 0x0
	v_bfe_u32 v70, v67, 8, 8
	v_bfe_u32 v71, v67, 16, 8
	;; [unrolled: 1-line block ×4, first 2 shown]
	s_delay_alu instid0(VALU_DEP_4)
	v_cvt_f32_fp8_e32 v70, v70
	v_and_b32_e32 v69, 0xff, v67
	v_lshrrev_b32_e32 v67, 24, v67
	v_cvt_f32_fp8_e32 v71, v71
	v_cvt_f32_fp8_e32 v74, v74
	v_mul_f32_e32 v70, s11, v70
	v_cvt_f32_fp8_e32 v69, v69
	v_and_b32_e32 v72, 0xff, v68
	v_cvt_f32_fp8_e32 v67, v67
	v_lshrrev_b32_e32 v68, 24, v68
	v_bfe_u32 v77, v70, 16, 1
	v_mul_f32_e32 v69, s11, v69
	v_cvt_f32_fp8_e32 v72, v72
	v_mul_f32_e32 v71, s11, v71
	v_dual_mul_f32 v67, s11, v67 :: v_dual_mul_f32 v74, s11, v74
	s_delay_alu instid0(VALU_DEP_4)
	v_bfe_u32 v75, v69, 16, 1
	v_or_b32_e32 v76, 0x400000, v69
	v_cmp_u_f32_e64 s0, v69, v69
	v_mul_f32_e32 v72, s11, v72
	v_or_b32_e32 v78, 0x400000, v70
	v_add3_u32 v75, v75, v69, 0x7fff
	v_bfe_u32 v79, v71, 16, 1
	v_add3_u32 v77, v77, v70, 0x7fff
	v_cvt_f32_fp8_e32 v73, v73
	v_or_b32_e32 v80, 0x400000, v71
	s_wait_alu 0xf1ff
	v_cndmask_b32_e64 v69, v75, v76, s0
	v_cmp_u_f32_e64 s0, v70, v70
	v_bfe_u32 v81, v67, 16, 1
	v_add3_u32 v79, v79, v71, 0x7fff
	v_cvt_f32_fp8_e32 v68, v68
	v_mul_f32_e32 v73, s11, v73
	s_wait_alu 0xf1ff
	v_cndmask_b32_e64 v70, v77, v78, s0
	v_cmp_u_f32_e64 s0, v71, v71
	v_or_b32_e32 v82, 0x400000, v67
	v_bfe_u32 v83, v72, 16, 1
	v_add3_u32 v81, v81, v67, 0x7fff
	v_mul_f32_e32 v68, s11, v68
	s_wait_alu 0xf1ff
	v_cndmask_b32_e64 v71, v79, v80, s0
	v_cmp_u_f32_e64 s0, v67, v67
	v_or_b32_e32 v84, 0x400000, v72
	v_bfe_u32 v85, v73, 16, 1
	v_add3_u32 v83, v83, v72, 0x7fff
	v_or_b32_e32 v86, 0x400000, v73
	s_wait_alu 0xf1ff
	v_cndmask_b32_e64 v67, v81, v82, s0
	v_cmp_u_f32_e64 s0, v72, v72
	v_bfe_u32 v87, v74, 16, 1
	v_add3_u32 v85, v85, v73, 0x7fff
	v_or_b32_e32 v88, 0x400000, v74
	v_bfe_u32 v89, v68, 16, 1
	s_wait_alu 0xf1ff
	v_cndmask_b32_e64 v72, v83, v84, s0
	v_cmp_u_f32_e64 s0, v73, v73
	v_add3_u32 v87, v87, v74, 0x7fff
	v_or_b32_e32 v90, 0x400000, v68
	v_add3_u32 v89, v89, v68, 0x7fff
	v_lshrrev_b32_e32 v79, 16, v69
	s_wait_alu 0xf1ff
	v_cndmask_b32_e64 v75, v85, v86, s0
	v_cmp_u_f32_e64 s0, v74, v74
	v_lshrrev_b32_e32 v80, 16, v70
	v_lshrrev_b32_e32 v77, 16, v71
	;; [unrolled: 1-line block ×4, first 2 shown]
	s_wait_alu 0xf1ff
	v_cndmask_b32_e64 v74, v87, v88, s0
	v_cmp_u_f32_e64 s0, v68, v68
	v_lshrrev_b32_e32 v75, 16, v75
	s_delay_alu instid0(VALU_DEP_3) | instskip(SKIP_1) | instid1(VALU_DEP_3)
	v_lshrrev_b32_e32 v69, 16, v74
	s_wait_alu 0xf1ff
	v_cndmask_b32_e64 v68, v89, v90, s0
	s_delay_alu instid0(VALU_DEP_1)
	v_lshrrev_b32_e32 v71, 16, v68
	s_and_saveexec_b32 s12, vcc_lo
	s_cbranch_execz .LBB321_53
; %bb.52:                               ;   in Loop: Header=BB321_42 Depth=1
	v_cmp_gt_i32_e64 s0, s33, v16
	s_wait_alu 0xf1ff
	s_delay_alu instid0(VALU_DEP_1) | instskip(SKIP_2) | instid1(VALU_DEP_1)
	v_cndmask_b32_e64 v79, 0, v79, s0
	v_cmp_gt_i32_e64 s0, s33, v57
	s_wait_alu 0xf1ff
	v_cndmask_b32_e64 v80, 0, v80, s0
	v_cmp_gt_i32_e64 s0, s33, v56
	s_wait_alu 0xf1ff
	s_delay_alu instid0(VALU_DEP_1) | instskip(SKIP_2) | instid1(VALU_DEP_1)
	v_cndmask_b32_e64 v77, 0, v77, s0
	v_cmp_gt_i32_e64 s0, s33, v55
	s_wait_alu 0xf1ff
	v_cndmask_b32_e64 v78, 0, v78, s0
	;; [unrolled: 7-line block ×4, first 2 shown]
.LBB321_53:                             ;   in Loop: Header=BB321_42 Depth=1
	s_wait_alu 0xfffe
	s_or_b32 exec_lo, exec_lo, s12
	global_load_b64 v[67:68], v[13:14], off offset:1280
	s_wait_loadcnt 0x0
	v_bfe_u32 v81, v68, 8, 8
	v_bfe_u32 v72, v67, 8, 8
	;; [unrolled: 1-line block ×4, first 2 shown]
	s_delay_alu instid0(VALU_DEP_4)
	v_cvt_f32_fp8_e32 v81, v81
	v_and_b32_e32 v70, 0xff, v67
	v_cvt_f32_fp8_e32 v72, v72
	v_lshrrev_b32_e32 v67, 24, v67
	v_cvt_f32_fp8_e32 v74, v74
	v_mul_f32_e32 v81, s11, v81
	v_cvt_f32_fp8_e32 v70, v70
	v_mul_f32_e32 v72, s11, v72
	v_cvt_f32_fp8_e32 v67, v67
	v_and_b32_e32 v76, 0xff, v68
	v_mul_f32_e32 v74, s11, v74
	v_mul_f32_e32 v70, s11, v70
	v_bfe_u32 v85, v72, 16, 1
	v_mul_f32_e32 v67, s11, v67
	v_cvt_f32_fp8_e32 v76, v76
	v_or_b32_e32 v86, 0x400000, v72
	v_bfe_u32 v83, v70, 16, 1
	v_or_b32_e32 v84, 0x400000, v70
	v_cmp_u_f32_e64 s0, v70, v70
	v_bfe_u32 v87, v74, 16, 1
	v_add3_u32 v85, v85, v72, 0x7fff
	v_add3_u32 v83, v83, v70, 0x7fff
	v_mul_f32_e32 v76, s11, v76
	v_or_b32_e32 v88, 0x400000, v74
	v_bfe_u32 v89, v67, 16, 1
	v_add3_u32 v87, v87, v74, 0x7fff
	s_wait_alu 0xf1ff
	v_cndmask_b32_e64 v70, v83, v84, s0
	v_cmp_u_f32_e64 s0, v72, v72
	v_lshrrev_b32_e32 v68, 24, v68
	v_cvt_f32_fp8_e32 v82, v82
	v_or_b32_e32 v90, 0x400000, v67
	v_bfe_u32 v91, v76, 16, 1
	s_wait_alu 0xf1ff
	v_cndmask_b32_e64 v72, v85, v86, s0
	v_cmp_u_f32_e64 s0, v74, v74
	v_add3_u32 v89, v89, v67, 0x7fff
	v_cvt_f32_fp8_e32 v68, v68
	v_mul_f32_e32 v82, s11, v82
	v_or_b32_e32 v92, 0x400000, v76
	s_wait_alu 0xf1ff
	v_cndmask_b32_e64 v74, v87, v88, s0
	v_cmp_u_f32_e64 s0, v67, v67
	v_bfe_u32 v93, v81, 16, 1
	v_add3_u32 v91, v91, v76, 0x7fff
	v_mul_f32_e32 v68, s11, v68
	v_or_b32_e32 v94, 0x400000, v81
	s_wait_alu 0xf1ff
	v_cndmask_b32_e64 v67, v89, v90, s0
	v_cmp_u_f32_e64 s0, v76, v76
	v_bfe_u32 v95, v82, 16, 1
	v_add3_u32 v93, v93, v81, 0x7fff
	v_or_b32_e32 v96, 0x400000, v82
	v_bfe_u32 v97, v68, 16, 1
	s_wait_alu 0xf1ff
	v_cndmask_b32_e64 v76, v91, v92, s0
	v_cmp_u_f32_e64 s0, v81, v81
	v_add3_u32 v95, v95, v82, 0x7fff
	v_or_b32_e32 v98, 0x400000, v68
	v_add3_u32 v97, v97, v68, 0x7fff
	v_lshrrev_b32_e32 v87, 16, v70
	s_wait_alu 0xf1ff
	v_cndmask_b32_e64 v81, v93, v94, s0
	v_cmp_u_f32_e64 s0, v82, v82
	v_lshrrev_b32_e32 v88, 16, v72
	v_lshrrev_b32_e32 v85, 16, v74
	;; [unrolled: 1-line block ×4, first 2 shown]
	s_wait_alu 0xf1ff
	v_cndmask_b32_e64 v82, v95, v96, s0
	v_cmp_u_f32_e64 s0, v68, v68
	v_lshrrev_b32_e32 v84, 16, v81
	s_delay_alu instid0(VALU_DEP_3) | instskip(SKIP_1) | instid1(VALU_DEP_3)
	v_lshrrev_b32_e32 v81, 16, v82
	s_wait_alu 0xf1ff
	v_cndmask_b32_e64 v68, v97, v98, s0
	s_delay_alu instid0(VALU_DEP_1)
	v_lshrrev_b32_e32 v82, 16, v68
	s_and_saveexec_b32 s12, vcc_lo
	s_cbranch_execz .LBB321_55
; %bb.54:                               ;   in Loop: Header=BB321_42 Depth=1
	v_cmp_gt_i32_e64 s0, s33, v16
	s_wait_alu 0xf1ff
	s_delay_alu instid0(VALU_DEP_1) | instskip(SKIP_2) | instid1(VALU_DEP_1)
	v_cndmask_b32_e64 v87, 0, v87, s0
	v_cmp_gt_i32_e64 s0, s33, v57
	s_wait_alu 0xf1ff
	v_cndmask_b32_e64 v88, 0, v88, s0
	v_cmp_gt_i32_e64 s0, s33, v56
	s_wait_alu 0xf1ff
	s_delay_alu instid0(VALU_DEP_1) | instskip(SKIP_2) | instid1(VALU_DEP_1)
	v_cndmask_b32_e64 v85, 0, v85, s0
	v_cmp_gt_i32_e64 s0, s33, v55
	s_wait_alu 0xf1ff
	v_cndmask_b32_e64 v86, 0, v86, s0
	;; [unrolled: 7-line block ×4, first 2 shown]
.LBB321_55:                             ;   in Loop: Header=BB321_42 Depth=1
	s_wait_alu 0xfffe
	s_or_b32 exec_lo, exec_lo, s12
	global_load_b64 v[67:68], v[13:14], off offset:1536
	s_wait_loadcnt 0x0
	v_bfe_u32 v89, v68, 8, 8
	v_bfe_u32 v72, v67, 8, 8
	;; [unrolled: 1-line block ×4, first 2 shown]
	s_delay_alu instid0(VALU_DEP_4)
	v_cvt_f32_fp8_e32 v89, v89
	v_and_b32_e32 v70, 0xff, v67
	v_cvt_f32_fp8_e32 v72, v72
	v_lshrrev_b32_e32 v67, 24, v67
	v_cvt_f32_fp8_e32 v74, v74
	v_mul_f32_e32 v89, s11, v89
	v_cvt_f32_fp8_e32 v70, v70
	v_mul_f32_e32 v72, s11, v72
	v_cvt_f32_fp8_e32 v67, v67
	v_and_b32_e32 v76, 0xff, v68
	v_mul_f32_e32 v74, s11, v74
	v_mul_f32_e32 v70, s11, v70
	v_bfe_u32 v93, v72, 16, 1
	v_mul_f32_e32 v67, s11, v67
	v_cvt_f32_fp8_e32 v76, v76
	v_or_b32_e32 v94, 0x400000, v72
	v_bfe_u32 v91, v70, 16, 1
	v_or_b32_e32 v92, 0x400000, v70
	v_cmp_u_f32_e64 s0, v70, v70
	v_bfe_u32 v95, v74, 16, 1
	v_add3_u32 v93, v93, v72, 0x7fff
	v_add3_u32 v91, v91, v70, 0x7fff
	v_mul_f32_e32 v76, s11, v76
	v_or_b32_e32 v96, 0x400000, v74
	v_bfe_u32 v97, v67, 16, 1
	v_add3_u32 v95, v95, v74, 0x7fff
	s_wait_alu 0xf1ff
	v_cndmask_b32_e64 v70, v91, v92, s0
	v_cmp_u_f32_e64 s0, v72, v72
	v_lshrrev_b32_e32 v68, 24, v68
	v_cvt_f32_fp8_e32 v90, v90
	v_or_b32_e32 v98, 0x400000, v67
	v_bfe_u32 v99, v76, 16, 1
	s_wait_alu 0xf1ff
	v_cndmask_b32_e64 v72, v93, v94, s0
	v_cmp_u_f32_e64 s0, v74, v74
	v_add3_u32 v97, v97, v67, 0x7fff
	v_cvt_f32_fp8_e32 v68, v68
	v_mul_f32_e32 v90, s11, v90
	v_or_b32_e32 v100, 0x400000, v76
	s_wait_alu 0xf1ff
	v_cndmask_b32_e64 v74, v95, v96, s0
	v_cmp_u_f32_e64 s0, v67, v67
	v_bfe_u32 v101, v89, 16, 1
	v_add3_u32 v99, v99, v76, 0x7fff
	v_mul_f32_e32 v68, s11, v68
	v_or_b32_e32 v102, 0x400000, v89
	s_wait_alu 0xf1ff
	v_cndmask_b32_e64 v67, v97, v98, s0
	v_cmp_u_f32_e64 s0, v76, v76
	v_bfe_u32 v103, v90, 16, 1
	v_add3_u32 v101, v101, v89, 0x7fff
	v_or_b32_e32 v104, 0x400000, v90
	v_bfe_u32 v105, v68, 16, 1
	s_wait_alu 0xf1ff
	v_cndmask_b32_e64 v76, v99, v100, s0
	v_cmp_u_f32_e64 s0, v89, v89
	v_add3_u32 v103, v103, v90, 0x7fff
	v_or_b32_e32 v106, 0x400000, v68
	v_add3_u32 v105, v105, v68, 0x7fff
	v_lshrrev_b32_e32 v95, 16, v70
	s_wait_alu 0xf1ff
	v_cndmask_b32_e64 v89, v101, v102, s0
	v_cmp_u_f32_e64 s0, v90, v90
	v_lshrrev_b32_e32 v96, 16, v72
	v_lshrrev_b32_e32 v93, 16, v74
	;; [unrolled: 1-line block ×4, first 2 shown]
	s_wait_alu 0xf1ff
	v_cndmask_b32_e64 v90, v103, v104, s0
	v_cmp_u_f32_e64 s0, v68, v68
	v_lshrrev_b32_e32 v92, 16, v89
	s_delay_alu instid0(VALU_DEP_3) | instskip(SKIP_1) | instid1(VALU_DEP_3)
	v_lshrrev_b32_e32 v89, 16, v90
	s_wait_alu 0xf1ff
	v_cndmask_b32_e64 v68, v105, v106, s0
	s_delay_alu instid0(VALU_DEP_1)
	v_lshrrev_b32_e32 v90, 16, v68
	s_and_saveexec_b32 s12, vcc_lo
	s_cbranch_execz .LBB321_57
; %bb.56:                               ;   in Loop: Header=BB321_42 Depth=1
	v_cmp_gt_i32_e64 s0, s33, v16
	s_wait_alu 0xf1ff
	s_delay_alu instid0(VALU_DEP_1) | instskip(SKIP_2) | instid1(VALU_DEP_1)
	v_cndmask_b32_e64 v95, 0, v95, s0
	v_cmp_gt_i32_e64 s0, s33, v57
	s_wait_alu 0xf1ff
	v_cndmask_b32_e64 v96, 0, v96, s0
	v_cmp_gt_i32_e64 s0, s33, v56
	s_wait_alu 0xf1ff
	s_delay_alu instid0(VALU_DEP_1) | instskip(SKIP_2) | instid1(VALU_DEP_1)
	v_cndmask_b32_e64 v93, 0, v93, s0
	v_cmp_gt_i32_e64 s0, s33, v55
	s_wait_alu 0xf1ff
	v_cndmask_b32_e64 v94, 0, v94, s0
	;; [unrolled: 7-line block ×4, first 2 shown]
.LBB321_57:                             ;   in Loop: Header=BB321_42 Depth=1
	s_wait_alu 0xfffe
	s_or_b32 exec_lo, exec_lo, s12
	global_load_b64 v[13:14], v[13:14], off offset:1792
	s_wait_loadcnt 0x0
	v_bfe_u32 v68, v13, 8, 8
	v_bfe_u32 v70, v13, 16, 8
	;; [unrolled: 1-line block ×4, first 2 shown]
	s_delay_alu instid0(VALU_DEP_4)
	v_cvt_f32_fp8_e32 v68, v68
	v_and_b32_e32 v67, 0xff, v13
	v_lshrrev_b32_e32 v13, 24, v13
	v_cvt_f32_fp8_e32 v70, v70
	v_cvt_f32_fp8_e32 v74, v74
	v_mul_f32_e32 v68, s11, v68
	v_cvt_f32_fp8_e32 v67, v67
	v_and_b32_e32 v72, 0xff, v14
	v_cvt_f32_fp8_e32 v13, v13
	v_mul_f32_e32 v70, s11, v70
	v_bfe_u32 v99, v68, 16, 1
	v_mul_f32_e32 v67, s11, v67
	v_cvt_f32_fp8_e32 v72, v72
	v_mul_f32_e32 v13, s11, v13
	v_or_b32_e32 v100, 0x400000, v68
	v_bfe_u32 v101, v70, 16, 1
	v_bfe_u32 v97, v67, 16, 1
	v_or_b32_e32 v98, 0x400000, v67
	v_cmp_u_f32_e64 s0, v67, v67
	v_add3_u32 v99, v99, v68, 0x7fff
	v_mul_f32_e32 v72, s11, v72
	v_add3_u32 v97, v97, v67, 0x7fff
	v_or_b32_e32 v102, 0x400000, v70
	v_bfe_u32 v103, v13, 16, 1
	v_add3_u32 v101, v101, v70, 0x7fff
	v_lshrrev_b32_e32 v14, 24, v14
	s_wait_alu 0xf1ff
	v_cndmask_b32_e64 v67, v97, v98, s0
	v_cmp_u_f32_e64 s0, v68, v68
	v_cvt_f32_fp8_e32 v76, v76
	v_mul_f32_e32 v74, s11, v74
	v_or_b32_e32 v104, 0x400000, v13
	v_bfe_u32 v105, v72, 16, 1
	s_wait_alu 0xf1ff
	v_cndmask_b32_e64 v68, v99, v100, s0
	v_cmp_u_f32_e64 s0, v70, v70
	v_add3_u32 v103, v103, v13, 0x7fff
	v_cvt_f32_fp8_e32 v14, v14
	v_mul_f32_e32 v76, s11, v76
	v_or_b32_e32 v106, 0x400000, v72
	s_wait_alu 0xf1ff
	v_cndmask_b32_e64 v70, v101, v102, s0
	v_cmp_u_f32_e64 s0, v13, v13
	v_bfe_u32 v107, v74, 16, 1
	v_add3_u32 v105, v105, v72, 0x7fff
	v_mul_f32_e32 v14, s11, v14
	v_or_b32_e32 v108, 0x400000, v74
	s_wait_alu 0xf1ff
	v_cndmask_b32_e64 v13, v103, v104, s0
	v_cmp_u_f32_e64 s0, v72, v72
	v_bfe_u32 v109, v76, 16, 1
	v_add3_u32 v107, v107, v74, 0x7fff
	v_or_b32_e32 v110, 0x400000, v76
	v_bfe_u32 v111, v14, 16, 1
	s_wait_alu 0xf1ff
	v_cndmask_b32_e64 v97, v105, v106, s0
	v_cmp_u_f32_e64 s0, v74, v74
	v_add3_u32 v109, v109, v76, 0x7fff
	v_or_b32_e32 v112, 0x400000, v14
	v_add3_u32 v111, v111, v14, 0x7fff
	v_lshrrev_b32_e32 v74, 16, v67
	s_wait_alu 0xf1ff
	v_cndmask_b32_e64 v98, v107, v108, s0
	v_cmp_u_f32_e64 s0, v76, v76
	v_lshrrev_b32_e32 v76, 16, v68
	v_lshrrev_b32_e32 v70, 16, v70
	v_lshrrev_b32_e32 v72, 16, v13
	v_lshrrev_b32_e32 v67, 16, v97
	s_wait_alu 0xf1ff
	v_cndmask_b32_e64 v99, v109, v110, s0
	v_cmp_u_f32_e64 s0, v14, v14
	v_lshrrev_b32_e32 v68, 16, v98
	s_delay_alu instid0(VALU_DEP_3) | instskip(SKIP_1) | instid1(VALU_DEP_3)
	v_lshrrev_b32_e32 v13, 16, v99
	s_wait_alu 0xf1ff
	v_cndmask_b32_e64 v14, v111, v112, s0
	s_delay_alu instid0(VALU_DEP_1)
	v_lshrrev_b32_e32 v14, 16, v14
	s_and_saveexec_b32 s0, vcc_lo
	s_cbranch_execz .LBB321_40
; %bb.58:                               ;   in Loop: Header=BB321_42 Depth=1
	v_cmp_gt_i32_e32 vcc_lo, s33, v16
	s_wait_alu 0xfffd
	v_cndmask_b32_e32 v74, 0, v74, vcc_lo
	v_cmp_gt_i32_e32 vcc_lo, s33, v57
	s_wait_alu 0xfffd
	v_cndmask_b32_e32 v76, 0, v76, vcc_lo
	;; [unrolled: 3-line block ×8, first 2 shown]
	s_branch .LBB321_40
.LBB321_59:
	s_or_b32 exec_lo, exec_lo, s5
.LBB321_60:
	s_wait_alu 0xfffe
	s_or_b32 exec_lo, exec_lo, s1
	v_lshl_add_u32 v2, v18, 2, 0x220
	v_and_b32_e32 v3, 0x3c0, v0
	s_mov_b32 s0, exec_lo
	s_wait_loadcnt 0x0
	s_wait_storecnt 0x0
	s_barrier_signal -1
	v_lshl_add_u32 v1, v15, 10, v2
	s_barrier_wait -1
	global_inv scope:SCOPE_SE
	v_cmpx_eq_u32_e32 64, v3
	s_cbranch_execz .LBB321_62
; %bb.61:
	v_add_nc_u32_e32 v3, 0xfffff800, v1
	v_add_nc_u32_e32 v4, 0xfffff880, v1
	;; [unrolled: 1-line block ×8, first 2 shown]
	ds_store_b32 v3, v26
	ds_store_b32 v4, v25
	;; [unrolled: 1-line block ×8, first 2 shown]
.LBB321_62:
	s_wait_alu 0xfffe
	s_or_b32 exec_lo, exec_lo, s0
	s_delay_alu instid0(SALU_CYCLE_1)
	s_mov_b32 s0, exec_lo
	s_wait_loadcnt_dscnt 0x0
	s_barrier_signal -1
	s_barrier_wait -1
	global_inv scope:SCOPE_SE
	v_cmpx_gt_u32_e32 64, v0
	s_cbranch_execz .LBB321_64
; %bb.63:
	ds_load_2addr_b32 v[3:4], v1 offset1:32
	ds_load_2addr_b32 v[5:6], v1 offset0:64 offset1:96
	ds_load_2addr_b32 v[7:8], v1 offset0:128 offset1:160
	;; [unrolled: 1-line block ×3, first 2 shown]
	s_wait_dscnt 0x3
	v_dual_add_f32 v26, v26, v3 :: v_dual_add_f32 v25, v25, v4
	s_wait_dscnt 0x2
	v_dual_add_f32 v24, v24, v5 :: v_dual_add_f32 v23, v23, v6
	;; [unrolled: 2-line block ×4, first 2 shown]
.LBB321_64:
	s_wait_alu 0xfffe
	s_or_b32 exec_lo, exec_lo, s0
	v_and_b32_e32 v3, 0x3e0, v0
	s_mov_b32 s0, exec_lo
	s_wait_loadcnt 0x0
	s_barrier_signal -1
	s_barrier_wait -1
	global_inv scope:SCOPE_SE
	v_cmpx_eq_u32_e32 32, v3
	s_cbranch_execz .LBB321_66
; %bb.65:
	ds_store_2addr_b32 v2, v26, v25 offset1:32
	ds_store_2addr_b32 v2, v24, v23 offset0:64 offset1:96
	ds_store_2addr_b32 v2, v22, v21 offset0:128 offset1:160
	;; [unrolled: 1-line block ×3, first 2 shown]
.LBB321_66:
	s_wait_alu 0xfffe
	s_or_b32 exec_lo, exec_lo, s0
	v_cmp_gt_u32_e32 vcc_lo, 32, v0
	s_wait_loadcnt_dscnt 0x0
	s_barrier_signal -1
	s_barrier_wait -1
	global_inv scope:SCOPE_SE
	s_and_saveexec_b32 s0, vcc_lo
	s_cbranch_execz .LBB321_68
; %bb.67:
	ds_load_2addr_b32 v[2:3], v1 offset1:32
	ds_load_2addr_b32 v[4:5], v1 offset0:64 offset1:96
	ds_load_2addr_b32 v[6:7], v1 offset0:128 offset1:160
	;; [unrolled: 1-line block ×3, first 2 shown]
	s_wait_dscnt 0x3
	v_dual_add_f32 v26, v26, v2 :: v_dual_add_f32 v25, v25, v3
	s_wait_dscnt 0x2
	v_dual_add_f32 v24, v24, v4 :: v_dual_add_f32 v23, v23, v5
	;; [unrolled: 2-line block ×4, first 2 shown]
.LBB321_68:
	s_wait_alu 0xfffe
	s_or_b32 exec_lo, exec_lo, s0
	s_wait_loadcnt 0x0
	s_barrier_signal -1
	s_barrier_wait -1
	global_inv scope:SCOPE_SE
	s_and_saveexec_b32 s0, vcc_lo
	s_cbranch_execz .LBB321_70
; %bb.69:
	v_bfe_u32 v1, v26, 16, 1
	v_bfe_u32 v2, v25, 16, 1
	v_or_b32_e32 v3, 0x400000, v26
	v_cmp_u_f32_e32 vcc_lo, v26, v26
	v_or_b32_e32 v4, 0x400000, v25
	v_add3_u32 v1, v1, v26, 0x7fff
	v_lshlrev_b32_e32 v0, 1, v0
	v_add3_u32 v2, v2, v25, 0x7fff
	v_bfe_u32 v5, v24, 16, 1
	v_or_b32_e32 v7, 0x400000, v23
	s_wait_alu 0xfffd
	v_cndmask_b32_e32 v1, v1, v3, vcc_lo
	v_bfe_u32 v3, v23, 16, 1
	v_cmp_u_f32_e32 vcc_lo, v25, v25
	v_bfe_u32 v6, v22, 16, 1
	v_bfe_u32 v8, v20, 16, 1
	v_or_b32_e32 v9, 0x400000, v21
	v_add3_u32 v3, v3, v23, 0x7fff
	s_wait_alu 0xfffd
	v_cndmask_b32_e32 v2, v2, v4, vcc_lo
	v_add3_u32 v4, v5, v24, 0x7fff
	v_or_b32_e32 v5, 0x400000, v24
	v_cmp_u_f32_e32 vcc_lo, v24, v24
	s_lshl_b32 s0, s10, 8
	s_mul_i32 s2, s27, s40
	s_wait_alu 0xfffe
	s_ashr_i32 s1, s0, 31
	v_add3_u32 v8, v8, v20, 0x7fff
	s_wait_alu 0xfffd
	v_cndmask_b32_e32 v4, v4, v5, vcc_lo
	v_cmp_u_f32_e32 vcc_lo, v23, v23
	v_add3_u32 v5, v6, v22, 0x7fff
	v_or_b32_e32 v6, 0x400000, v22
	v_or_b32_e32 v10, 0x400000, v20
	s_ashr_i32 s3, s2, 31
	s_wait_alu 0xfffd
	v_cndmask_b32_e32 v3, v3, v7, vcc_lo
	v_bfe_u32 v7, v21, 16, 1
	v_cmp_u_f32_e32 vcc_lo, v22, v22
	s_wait_alu 0xfffe
	s_lshl_b64 s[0:1], s[0:1], 1
	s_lshl_b64 s[2:3], s[2:3], 1
	s_wait_kmcnt 0x0
	s_wait_alu 0xfffe
	s_add_nc_u64 s[0:1], s[8:9], s[0:1]
	v_add3_u32 v7, v7, v21, 0x7fff
	s_wait_alu 0xfffd
	v_cndmask_b32_e32 v5, v5, v6, vcc_lo
	v_cmp_u_f32_e32 vcc_lo, v21, v21
	v_bfe_u32 v6, v19, 16, 1
	v_or_b32_e32 v11, 0x400000, v19
	s_wait_alu 0xfffe
	s_add_nc_u64 s[0:1], s[0:1], s[2:3]
	s_mov_b32 s35, 0
	s_wait_alu 0xfffd
	v_cndmask_b32_e32 v7, v7, v9, vcc_lo
	v_cmp_u_f32_e32 vcc_lo, v20, v20
	v_add3_u32 v6, v6, v19, 0x7fff
	s_wait_alu 0xfffe
	s_add_nc_u64 s[0:1], s[0:1], s[34:35]
	s_wait_alu 0xfffd
	v_cndmask_b32_e32 v8, v8, v10, vcc_lo
	v_cmp_u_f32_e32 vcc_lo, v19, v19
	s_wait_alu 0xfffd
	v_cndmask_b32_e32 v6, v6, v11, vcc_lo
	s_clause 0x7
	global_store_d16_hi_b16 v0, v1, s[0:1]
	global_store_d16_hi_b16 v0, v2, s[0:1] offset:64
	global_store_d16_hi_b16 v0, v4, s[0:1] offset:128
	;; [unrolled: 1-line block ×7, first 2 shown]
.LBB321_70:
	s_nop 0
	s_sendmsg sendmsg(MSG_DEALLOC_VGPRS)
	s_endpgm
	.section	.rodata,"a",@progbits
	.p2align	6, 0x0
	.amdhsa_kernel _ZN4vllm25paged_attention_v2_kernelI14__hip_bfloat16hLi256ELi8ELi128ELNS_18Fp8KVCacheDataTypeE1ELb1ELi512EEEvPfS3_PT_PKS4_PKT0_SA_ifPKiSC_iPKfiiiSE_SE_iiiii
		.amdhsa_group_segment_fixed_size 544
		.amdhsa_private_segment_fixed_size 0
		.amdhsa_kernarg_size 400
		.amdhsa_user_sgpr_count 2
		.amdhsa_user_sgpr_dispatch_ptr 0
		.amdhsa_user_sgpr_queue_ptr 0
		.amdhsa_user_sgpr_kernarg_segment_ptr 1
		.amdhsa_user_sgpr_dispatch_id 0
		.amdhsa_user_sgpr_private_segment_size 0
		.amdhsa_wavefront_size32 1
		.amdhsa_uses_dynamic_stack 0
		.amdhsa_enable_private_segment 0
		.amdhsa_system_sgpr_workgroup_id_x 1
		.amdhsa_system_sgpr_workgroup_id_y 1
		.amdhsa_system_sgpr_workgroup_id_z 1
		.amdhsa_system_sgpr_workgroup_info 0
		.amdhsa_system_vgpr_workitem_id 0
		.amdhsa_next_free_vgpr 136
		.amdhsa_next_free_sgpr 62
		.amdhsa_reserve_vcc 1
		.amdhsa_float_round_mode_32 0
		.amdhsa_float_round_mode_16_64 0
		.amdhsa_float_denorm_mode_32 3
		.amdhsa_float_denorm_mode_16_64 3
		.amdhsa_fp16_overflow 0
		.amdhsa_workgroup_processor_mode 1
		.amdhsa_memory_ordered 1
		.amdhsa_forward_progress 1
		.amdhsa_inst_pref_size 169
		.amdhsa_round_robin_scheduling 0
		.amdhsa_exception_fp_ieee_invalid_op 0
		.amdhsa_exception_fp_denorm_src 0
		.amdhsa_exception_fp_ieee_div_zero 0
		.amdhsa_exception_fp_ieee_overflow 0
		.amdhsa_exception_fp_ieee_underflow 0
		.amdhsa_exception_fp_ieee_inexact 0
		.amdhsa_exception_int_div_zero 0
	.end_amdhsa_kernel
	.section	.text._ZN4vllm25paged_attention_v2_kernelI14__hip_bfloat16hLi256ELi8ELi128ELNS_18Fp8KVCacheDataTypeE1ELb1ELi512EEEvPfS3_PT_PKS4_PKT0_SA_ifPKiSC_iPKfiiiSE_SE_iiiii,"axG",@progbits,_ZN4vllm25paged_attention_v2_kernelI14__hip_bfloat16hLi256ELi8ELi128ELNS_18Fp8KVCacheDataTypeE1ELb1ELi512EEEvPfS3_PT_PKS4_PKT0_SA_ifPKiSC_iPKfiiiSE_SE_iiiii,comdat
.Lfunc_end321:
	.size	_ZN4vllm25paged_attention_v2_kernelI14__hip_bfloat16hLi256ELi8ELi128ELNS_18Fp8KVCacheDataTypeE1ELb1ELi512EEEvPfS3_PT_PKS4_PKT0_SA_ifPKiSC_iPKfiiiSE_SE_iiiii, .Lfunc_end321-_ZN4vllm25paged_attention_v2_kernelI14__hip_bfloat16hLi256ELi8ELi128ELNS_18Fp8KVCacheDataTypeE1ELb1ELi512EEEvPfS3_PT_PKS4_PKT0_SA_ifPKiSC_iPKfiiiSE_SE_iiiii
                                        ; -- End function
	.set _ZN4vllm25paged_attention_v2_kernelI14__hip_bfloat16hLi256ELi8ELi128ELNS_18Fp8KVCacheDataTypeE1ELb1ELi512EEEvPfS3_PT_PKS4_PKT0_SA_ifPKiSC_iPKfiiiSE_SE_iiiii.num_vgpr, 136
	.set _ZN4vllm25paged_attention_v2_kernelI14__hip_bfloat16hLi256ELi8ELi128ELNS_18Fp8KVCacheDataTypeE1ELb1ELi512EEEvPfS3_PT_PKS4_PKT0_SA_ifPKiSC_iPKfiiiSE_SE_iiiii.num_agpr, 0
	.set _ZN4vllm25paged_attention_v2_kernelI14__hip_bfloat16hLi256ELi8ELi128ELNS_18Fp8KVCacheDataTypeE1ELb1ELi512EEEvPfS3_PT_PKS4_PKT0_SA_ifPKiSC_iPKfiiiSE_SE_iiiii.numbered_sgpr, 62
	.set _ZN4vllm25paged_attention_v2_kernelI14__hip_bfloat16hLi256ELi8ELi128ELNS_18Fp8KVCacheDataTypeE1ELb1ELi512EEEvPfS3_PT_PKS4_PKT0_SA_ifPKiSC_iPKfiiiSE_SE_iiiii.num_named_barrier, 0
	.set _ZN4vllm25paged_attention_v2_kernelI14__hip_bfloat16hLi256ELi8ELi128ELNS_18Fp8KVCacheDataTypeE1ELb1ELi512EEEvPfS3_PT_PKS4_PKT0_SA_ifPKiSC_iPKfiiiSE_SE_iiiii.private_seg_size, 0
	.set _ZN4vllm25paged_attention_v2_kernelI14__hip_bfloat16hLi256ELi8ELi128ELNS_18Fp8KVCacheDataTypeE1ELb1ELi512EEEvPfS3_PT_PKS4_PKT0_SA_ifPKiSC_iPKfiiiSE_SE_iiiii.uses_vcc, 1
	.set _ZN4vllm25paged_attention_v2_kernelI14__hip_bfloat16hLi256ELi8ELi128ELNS_18Fp8KVCacheDataTypeE1ELb1ELi512EEEvPfS3_PT_PKS4_PKT0_SA_ifPKiSC_iPKfiiiSE_SE_iiiii.uses_flat_scratch, 0
	.set _ZN4vllm25paged_attention_v2_kernelI14__hip_bfloat16hLi256ELi8ELi128ELNS_18Fp8KVCacheDataTypeE1ELb1ELi512EEEvPfS3_PT_PKS4_PKT0_SA_ifPKiSC_iPKfiiiSE_SE_iiiii.has_dyn_sized_stack, 0
	.set _ZN4vllm25paged_attention_v2_kernelI14__hip_bfloat16hLi256ELi8ELi128ELNS_18Fp8KVCacheDataTypeE1ELb1ELi512EEEvPfS3_PT_PKS4_PKT0_SA_ifPKiSC_iPKfiiiSE_SE_iiiii.has_recursion, 0
	.set _ZN4vllm25paged_attention_v2_kernelI14__hip_bfloat16hLi256ELi8ELi128ELNS_18Fp8KVCacheDataTypeE1ELb1ELi512EEEvPfS3_PT_PKS4_PKT0_SA_ifPKiSC_iPKfiiiSE_SE_iiiii.has_indirect_call, 0
	.section	.AMDGPU.csdata,"",@progbits
; Kernel info:
; codeLenInByte = 21508
; TotalNumSgprs: 64
; NumVgprs: 136
; ScratchSize: 0
; MemoryBound: 0
; FloatMode: 240
; IeeeMode: 1
; LDSByteSize: 544 bytes/workgroup (compile time only)
; SGPRBlocks: 0
; VGPRBlocks: 16
; NumSGPRsForWavesPerEU: 64
; NumVGPRsForWavesPerEU: 136
; Occupancy: 10
; WaveLimiterHint : 1
; COMPUTE_PGM_RSRC2:SCRATCH_EN: 0
; COMPUTE_PGM_RSRC2:USER_SGPR: 2
; COMPUTE_PGM_RSRC2:TRAP_HANDLER: 0
; COMPUTE_PGM_RSRC2:TGID_X_EN: 1
; COMPUTE_PGM_RSRC2:TGID_Y_EN: 1
; COMPUTE_PGM_RSRC2:TGID_Z_EN: 1
; COMPUTE_PGM_RSRC2:TIDIG_COMP_CNT: 0
	.section	.text._ZN4vllm25paged_attention_v2_kernelI14__hip_bfloat16hLi32ELi8ELi128ELNS_18Fp8KVCacheDataTypeE1ELb0ELi512EEEvPfS3_PT_PKS4_PKT0_SA_ifPKiSC_iPKfiiiSE_SE_iiiii,"axG",@progbits,_ZN4vllm25paged_attention_v2_kernelI14__hip_bfloat16hLi32ELi8ELi128ELNS_18Fp8KVCacheDataTypeE1ELb0ELi512EEEvPfS3_PT_PKS4_PKT0_SA_ifPKiSC_iPKfiiiSE_SE_iiiii,comdat
	.protected	_ZN4vllm25paged_attention_v2_kernelI14__hip_bfloat16hLi32ELi8ELi128ELNS_18Fp8KVCacheDataTypeE1ELb0ELi512EEEvPfS3_PT_PKS4_PKT0_SA_ifPKiSC_iPKfiiiSE_SE_iiiii ; -- Begin function _ZN4vllm25paged_attention_v2_kernelI14__hip_bfloat16hLi32ELi8ELi128ELNS_18Fp8KVCacheDataTypeE1ELb0ELi512EEEvPfS3_PT_PKS4_PKT0_SA_ifPKiSC_iPKfiiiSE_SE_iiiii
	.globl	_ZN4vllm25paged_attention_v2_kernelI14__hip_bfloat16hLi32ELi8ELi128ELNS_18Fp8KVCacheDataTypeE1ELb0ELi512EEEvPfS3_PT_PKS4_PKT0_SA_ifPKiSC_iPKfiiiSE_SE_iiiii
	.p2align	8
	.type	_ZN4vllm25paged_attention_v2_kernelI14__hip_bfloat16hLi32ELi8ELi128ELNS_18Fp8KVCacheDataTypeE1ELb0ELi512EEEvPfS3_PT_PKS4_PKT0_SA_ifPKiSC_iPKfiiiSE_SE_iiiii,@function
_ZN4vllm25paged_attention_v2_kernelI14__hip_bfloat16hLi32ELi8ELi128ELNS_18Fp8KVCacheDataTypeE1ELb0ELi512EEEvPfS3_PT_PKS4_PKT0_SA_ifPKiSC_iPKfiiiSE_SE_iiiii: ; @_ZN4vllm25paged_attention_v2_kernelI14__hip_bfloat16hLi32ELi8ELi128ELNS_18Fp8KVCacheDataTypeE1ELb0ELi512EEEvPfS3_PT_PKS4_PKT0_SA_ifPKiSC_iPKfiiiSE_SE_iiiii
; %bb.0:
	s_load_b64 s[2:3], s[0:1], 0x40
	s_and_b32 s22, ttmp7, 0xffff
	s_lshr_b32 s29, ttmp7, 16
	s_lshl_b32 s4, s22, 2
	s_lshl_b32 s28, s29, 9
	s_wait_kmcnt 0x0
	s_load_b32 s26, s[2:3], s4 offset:0x0
	s_wait_kmcnt 0x0
	s_cmp_ge_i32 s28, s26
	s_cbranch_scc1 .LBB322_46
; %bb.1:
	s_clause 0x1
	s_load_b32 s23, s[0:1], 0x90
	s_load_b64 s[8:9], s[0:1], 0x30
	s_wait_kmcnt 0x0
	s_abs_i32 s5, s23
	s_abs_i32 s2, s8
	s_delay_alu instid0(SALU_CYCLE_1) | instskip(SKIP_1) | instid1(SALU_CYCLE_2)
	s_cvt_f32_u32 s3, s2
	s_sub_co_i32 s4, 0, s2
	v_rcp_iflag_f32_e32 v1, s3
	s_delay_alu instid0(TRANS32_DEP_1) | instskip(SKIP_2) | instid1(SALU_CYCLE_2)
	v_readfirstlane_b32 s3, v1
	s_mul_f32 s3, s3, 0x4f7ffffe
	s_wait_alu 0xfffe
	s_cvt_u32_f32 s3, s3
	s_wait_alu 0xfffe
	s_delay_alu instid0(SALU_CYCLE_2) | instskip(NEXT) | instid1(SALU_CYCLE_1)
	s_mul_i32 s4, s4, s3
	s_mul_hi_u32 s4, s3, s4
	s_delay_alu instid0(SALU_CYCLE_1)
	s_add_co_i32 s3, s3, s4
	s_xor_b32 s4, s23, s8
	s_wait_alu 0xfffe
	s_mul_hi_u32 s3, s5, s3
	s_ashr_i32 s4, s4, 31
	s_wait_alu 0xfffe
	s_mul_i32 s6, s3, s2
	s_delay_alu instid0(SALU_CYCLE_1)
	s_sub_co_i32 s5, s5, s6
	s_add_co_i32 s6, s3, 1
	s_sub_co_i32 s7, s5, s2
	s_cmp_ge_u32 s5, s2
	s_cselect_b32 s3, s6, s3
	s_cselect_b32 s5, s7, s5
	s_wait_alu 0xfffe
	s_add_co_i32 s6, s3, 1
	s_cmp_ge_u32 s5, s2
	s_cselect_b32 s2, s6, s3
	s_load_b64 s[6:7], s[0:1], 0x50
	s_xor_b32 s2, s2, s4
	s_mov_b32 s3, 0
	s_wait_alu 0xfffe
	s_sub_co_i32 s11, s2, s4
	s_mov_b32 s8, s3
	s_abs_i32 s10, s11
	s_delay_alu instid0(SALU_CYCLE_1) | instskip(SKIP_1) | instid1(SALU_CYCLE_2)
	s_cvt_f32_u32 s2, s10
	s_wait_alu 0xfffe
	v_rcp_iflag_f32_e32 v1, s2
	s_delay_alu instid0(TRANS32_DEP_1) | instskip(SKIP_2) | instid1(SALU_CYCLE_2)
	v_readfirstlane_b32 s2, v1
	s_mul_f32 s2, s2, 0x4f7ffffe
	s_wait_alu 0xfffe
	s_cvt_u32_f32 s4, s2
	s_sub_co_i32 s2, 0, s10
	s_wait_alu 0xfffe
	s_delay_alu instid0(SALU_CYCLE_1)
	s_mul_i32 s2, s2, s4
	s_wait_alu 0xfffe
	s_mul_hi_u32 s5, s4, s2
	s_abs_i32 s2, ttmp9
	s_add_co_i32 s4, s4, s5
	s_mov_b32 s5, s3
	s_wait_kmcnt 0x0
	s_cmp_eq_u64 s[6:7], 0
	s_cbranch_scc1 .LBB322_3
; %bb.2:
	s_mov_b32 s12, ttmp9
	s_ashr_i32 s13, ttmp9, 31
	s_delay_alu instid0(SALU_CYCLE_1) | instskip(NEXT) | instid1(SALU_CYCLE_1)
	s_lshl_b64 s[12:13], s[12:13], 2
	s_add_nc_u64 s[6:7], s[6:7], s[12:13]
	s_load_b32 s8, s[6:7], 0x0
.LBB322_3:
	s_load_b96 s[12:14], s[0:1], 0x58
	v_and_b32_e32 v1, 3, v0
	s_mul_u64 s[4:5], s[2:3], s[4:5]
	s_ashr_i32 s3, ttmp9, 31
	s_ashr_i32 s4, s11, 31
	s_lshl_b32 s16, ttmp9, 5
	s_mov_b32 s6, exec_lo
	v_cmpx_gt_u32_e32 16, v0
	s_cbranch_execz .LBB322_5
; %bb.4:
	s_load_b64 s[18:19], s[0:1], 0x18
	s_wait_kmcnt 0x0
	s_mul_i32 s20, s12, s22
	s_ashr_i32 s17, s16, 31
	s_ashr_i32 s21, s20, 31
	v_lshlrev_b32_e32 v2, 2, v0
	s_lshl_b64 s[20:21], s[20:21], 1
	v_and_b32_e32 v3, 0x3fc, v0
	s_delay_alu instid0(VALU_DEP_1) | instskip(SKIP_2) | instid1(SALU_CYCLE_1)
	v_lshl_add_u32 v3, v1, 4, v3
	s_add_nc_u64 s[18:19], s[18:19], s[20:21]
	s_lshl_b64 s[20:21], s[16:17], 1
	s_add_nc_u64 s[18:19], s[18:19], s[20:21]
	global_load_b32 v2, v2, s[18:19]
	s_wait_loadcnt 0x0
	ds_store_b32 v3, v2
.LBB322_5:
	s_or_b32 exec_lo, exec_lo, s6
	s_add_co_i32 s6, s26, 7
	s_wait_alu 0xfffe
	s_xor_b32 s3, s3, s4
	s_ashr_i32 s7, s6, 31
	s_wait_kmcnt 0x0
	s_lshl_b32 s12, s29, 6
	s_lshr_b32 s4, s7, 29
	s_mul_i32 s7, s5, s10
	s_add_co_i32 s6, s6, s4
	s_add_co_i32 s4, s12, 64
	s_ashr_i32 s30, s6, 3
	s_load_b32 s6, s[0:1], 0x48
	s_sub_co_i32 s2, s2, s7
	s_min_i32 s27, s4, s30
	s_add_co_i32 s4, s5, 1
	s_wait_alu 0xfffe
	s_sub_co_i32 s7, s2, s10
	s_cmp_ge_u32 s2, s10
	v_lshrrev_b32_e32 v13, 5, v0
	s_cselect_b32 s4, s4, s5
	s_cselect_b32 s2, s7, s2
	s_add_co_i32 s5, s4, 1
	s_wait_alu 0xfffe
	s_cmp_ge_u32 s2, s10
	v_or_b32_e32 v14, s12, v13
	s_cselect_b32 s2, s5, s4
	v_mbcnt_lo_u32_b32 v7, -1, 0
	s_wait_alu 0xfffe
	s_xor_b32 s2, s2, s3
	s_mov_b32 s4, exec_lo
	s_wait_alu 0xfffe
	s_sub_co_i32 s3, s2, s3
	v_cmp_gt_i32_e64 s2, s27, v14
	s_wait_dscnt 0x0
	s_barrier_signal -1
	s_wait_kmcnt 0x0
	s_mul_i32 s18, s6, s22
	s_barrier_wait -1
	s_ashr_i32 s19, s18, 31
	global_inv scope:SCOPE_SE
                                        ; implicit-def: $vgpr8
                                        ; implicit-def: $vgpr9
	v_cmpx_le_i32_e64 s27, v14
	s_xor_b32 s4, exec_lo, s4
; %bb.6:
	v_dual_mov_b32 v8, 0 :: v_dual_mov_b32 v9, 32
	v_mbcnt_lo_u32_b32 v7, -1, 0
                                        ; implicit-def: $vgpr1
; %bb.7:
	s_or_saveexec_b32 s10, s4
	s_clause 0x2
	s_load_b32 s17, s[0:1], 0x98
	s_load_b64 s[20:21], s[0:1], 0x38
	s_load_b128 s[4:7], s[0:1], 0x68
	v_dual_mov_b32 v10, 0xff7fffff :: v_dual_lshlrev_b32 v5, 2, v14
	v_lshlrev_b32_e32 v6, 3, v13
	s_mul_i32 s14, s3, s14
	s_xor_b32 exec_lo, exec_lo, s10
	s_cbranch_execz .LBB322_13
; %bb.8:
	v_lshlrev_b32_e32 v2, 4, v1
	s_load_b64 s[24:25], s[0:1], 0x20
	v_bfe_u32 v3, v0, 2, 3
	v_xor_b32_e32 v9, 1, v7
	s_ashr_i32 s15, s14, 31
	ds_load_b128 v[17:20], v2
	v_xor_b32_e32 v2, 2, v7
	v_lshlrev_b32_e32 v10, 4, v3
	s_wait_kmcnt 0x0
	s_load_b32 s11, s[4:5], 0x0
	v_dual_mov_b32 v25, v14 :: v_dual_lshlrev_b32 v4, 1, v1
	v_cmp_gt_i32_e32 vcc_lo, 32, v2
	v_mov_b32_e32 v8, 0
	s_cmp_neq_f32 s8, 0
	v_cndmask_b32_e32 v2, v7, v2, vcc_lo
	v_cmp_gt_i32_e32 vcc_lo, 32, v9
	s_add_nc_u64 s[24:25], s[24:25], s[14:15]
	s_mov_b32 s15, 0
	v_add_co_u32 v10, s3, s24, v10
	s_wait_alu 0xf1ff
	v_add_co_ci_u32_e64 v23, null, s25, 0, s3
	s_wait_dscnt 0x0
	v_lshlrev_b32_e32 v11, 16, v17
	v_and_b32_e32 v12, 0xffff0000, v17
	v_lshlrev_b32_e32 v17, 16, v19
	v_lshlrev_b32_e32 v21, 2, v2
	;; [unrolled: 1-line block ×3, first 2 shown]
	s_wait_alu 0xfffd
	v_dual_cndmask_b32 v22, v7, v9 :: v_dual_lshlrev_b32 v15, 16, v18
	v_cmp_eq_u32_e32 vcc_lo, 0, v1
	v_add_co_u32 v1, s4, v10, v4
	s_cselect_b32 s3, -1, 0
	v_lshl_or_b32 v24, v13, 5, v2
	v_add_co_ci_u32_e64 v2, null, 0, v23, s4
	s_lshl_b64 s[4:5], s[18:19], 2
	v_add3_u32 v23, s28, v6, v3
	s_wait_alu 0xfffe
	s_add_nc_u64 s[4:5], s[20:21], s[4:5]
	v_and_b32_e32 v16, 0xffff0000, v18
	s_wait_alu 0xfffe
	v_add_co_u32 v3, s4, s4, v5
	v_and_b32_e32 v18, 0xffff0000, v19
	v_dual_mov_b32 v10, 0xff7fffff :: v_dual_lshlrev_b32 v19, 16, v20
	v_dual_mov_b32 v9, 32 :: v_dual_and_b32 v20, 0xffff0000, v20
	v_lshlrev_b32_e32 v22, 2, v22
	v_add_nc_u32_e32 v24, 0x60, v24
	s_wait_alu 0xf1ff
	v_add_co_ci_u32_e64 v4, null, s5, 0, s4
	s_mov_b32 s24, s13
	s_sub_co_i32 s25, 1, s26
	s_branch .LBB322_10
.LBB322_9:                              ;   in Loop: Header=BB322_10 Depth=1
	s_wait_alu 0xfffe
	s_or_b32 exec_lo, exec_lo, s5
	v_add_nc_u32_e32 v25, 4, v25
	v_add_co_u32 v3, s5, v3, 16
	v_add_nc_u32_e32 v23, 32, v23
	v_add_nc_u32_e32 v24, 0x80, v24
	s_delay_alu instid0(VALU_DEP_4) | instskip(SKIP_3) | instid1(SALU_CYCLE_1)
	v_cmp_le_i32_e64 s4, s27, v25
	s_wait_alu 0xf1ff
	v_add_co_ci_u32_e64 v4, null, 0, v4, s5
	s_or_b32 s15, s4, s15
	s_and_not1_b32 exec_lo, exec_lo, s15
	s_cbranch_execz .LBB322_12
.LBB322_10:                             ; =>This Inner Loop Header: Depth=1
	global_load_b32 v26, v[3:4], off
	s_wait_loadcnt_dscnt 0x0
	s_wait_alu 0xfffe
	v_mad_co_i64_i32 v[26:27], null, v26, s24, v[1:2]
	s_clause 0x3
	global_load_u16 v28, v[26:27], off
	global_load_u16 v29, v[26:27], off offset:8
	global_load_u16 v30, v[26:27], off offset:128
	;; [unrolled: 1-line block ×3, first 2 shown]
	s_wait_loadcnt 0x1
	v_and_b32_e32 v32, 0xff, v30
	v_lshrrev_b16 v30, 8, v30
	s_delay_alu instid0(VALU_DEP_1) | instskip(NEXT) | instid1(VALU_DEP_1)
	v_and_b32_e32 v30, 0xffff, v30
	v_cvt_f32_fp8_e32 v30, v30
	v_and_b32_e32 v27, 0xff, v28
	v_lshrrev_b16 v28, 8, v28
	s_wait_kmcnt 0x0
	s_delay_alu instid0(VALU_DEP_2) | instskip(NEXT) | instid1(VALU_DEP_2)
	v_dual_mul_f32 v30, s11, v30 :: v_dual_and_b32 v27, 0xffff, v27
	v_and_b32_e32 v28, 0xffff, v28
	s_delay_alu instid0(VALU_DEP_2) | instskip(NEXT) | instid1(VALU_DEP_3)
	v_bfe_u32 v44, v30, 16, 1
	v_cvt_f32_fp8_e32 v27, v27
	s_delay_alu instid0(VALU_DEP_3) | instskip(SKIP_3) | instid1(VALU_DEP_4)
	v_cvt_f32_fp8_e32 v28, v28
	v_and_b32_e32 v31, 0xff, v29
	v_lshrrev_b16 v29, 8, v29
	v_or_b32_e32 v45, 0x400000, v30
	v_dual_mul_f32 v27, s11, v27 :: v_dual_mul_f32 v28, s11, v28
	s_delay_alu instid0(VALU_DEP_4) | instskip(NEXT) | instid1(VALU_DEP_4)
	v_and_b32_e32 v31, 0xffff, v31
	v_and_b32_e32 v29, 0xffff, v29
	v_add3_u32 v44, v44, v30, 0x7fff
	s_delay_alu instid0(VALU_DEP_4)
	v_bfe_u32 v34, v27, 16, 1
	v_or_b32_e32 v35, 0x400000, v27
	v_cvt_f32_fp8_e32 v31, v31
	v_bfe_u32 v36, v28, 16, 1
	v_cmp_u_f32_e64 s4, v27, v27
	v_add3_u32 v34, v34, v27, 0x7fff
	v_cvt_f32_fp8_e32 v29, v29
	v_dual_mul_f32 v31, s11, v31 :: v_dual_and_b32 v32, 0xffff, v32
	v_or_b32_e32 v37, 0x400000, v28
	v_add3_u32 v36, v36, v28, 0x7fff
	s_wait_alu 0xf1ff
	v_cndmask_b32_e64 v27, v34, v35, s4
	v_bfe_u32 v38, v31, 16, 1
	v_cmp_u_f32_e64 s4, v28, v28
	v_mul_f32_e32 v29, s11, v29
	v_cvt_f32_fp8_e32 v32, v32
	s_wait_loadcnt 0x0
	v_and_b32_e32 v33, 0xff, v26
	v_or_b32_e32 v39, 0x400000, v31
	v_add3_u32 v38, v38, v31, 0x7fff
	s_wait_alu 0xf1ff
	v_cndmask_b32_e64 v28, v36, v37, s4
	v_cmp_u_f32_e64 s4, v31, v31
	v_lshrrev_b16 v26, 8, v26
	v_dual_mul_f32 v32, s11, v32 :: v_dual_and_b32 v33, 0xffff, v33
	v_bfe_u32 v40, v29, 16, 1
	s_wait_alu 0xf1ff
	v_cndmask_b32_e64 v31, v38, v39, s4
	v_or_b32_e32 v41, 0x400000, v29
	v_bfe_u32 v42, v32, 16, 1
	v_cvt_f32_fp8_e32 v33, v33
	v_add3_u32 v40, v40, v29, 0x7fff
	v_cmp_u_f32_e64 s4, v29, v29
	v_and_b32_e32 v31, 0xffff0000, v31
	s_delay_alu instid0(VALU_DEP_4)
	v_dual_mul_f32 v33, s11, v33 :: v_dual_and_b32 v26, 0xffff, v26
	v_or_b32_e32 v43, 0x400000, v32
	v_add3_u32 v42, v42, v32, 0x7fff
	s_wait_alu 0xf1ff
	v_cndmask_b32_e64 v29, v40, v41, s4
	v_cmp_u_f32_e64 s4, v32, v32
	v_mul_f32_e32 v31, v15, v31
	v_cvt_f32_fp8_e32 v26, v26
	v_bfe_u32 v46, v33, 16, 1
	v_or_b32_e32 v47, 0x400000, v33
	s_wait_alu 0xf1ff
	v_cndmask_b32_e64 v32, v42, v43, s4
	v_cmp_u_f32_e64 s4, v30, v30
	v_mul_f32_e32 v26, s11, v26
	v_add3_u32 v46, v46, v33, 0x7fff
	v_and_b32_e32 v29, 0xffff0000, v29
	v_and_b32_e32 v28, 0xffff0000, v28
	s_wait_alu 0xf1ff
	v_cndmask_b32_e64 v30, v44, v45, s4
	v_bfe_u32 v48, v26, 16, 1
	v_cmp_u_f32_e64 s4, v33, v33
	v_or_b32_e32 v49, 0x400000, v26
	s_delay_alu instid0(VALU_DEP_4) | instskip(NEXT) | instid1(VALU_DEP_4)
	v_dual_mul_f32 v29, v16, v29 :: v_dual_and_b32 v30, 0xffff0000, v30
	v_add3_u32 v48, v48, v26, 0x7fff
	s_wait_alu 0xf1ff
	v_cndmask_b32_e64 v33, v46, v47, s4
	v_cmp_u_f32_e64 s4, v26, v26
	v_fmac_f32_e32 v29, v12, v28
	s_wait_alu 0xf1ff
	s_delay_alu instid0(VALU_DEP_2) | instskip(NEXT) | instid1(VALU_DEP_2)
	v_cndmask_b32_e64 v26, v48, v49, s4
	v_fmac_f32_e32 v29, v18, v30
	s_delay_alu instid0(VALU_DEP_2) | instskip(NEXT) | instid1(VALU_DEP_1)
	v_and_b32_e32 v26, 0xffff0000, v26
	v_fmac_f32_e32 v29, v20, v26
	v_and_b32_e32 v27, 0xffff0000, v27
	s_delay_alu instid0(VALU_DEP_1) | instskip(SKIP_1) | instid1(VALU_DEP_2)
	v_dual_fmac_f32 v31, v11, v27 :: v_dual_and_b32 v32, 0xffff0000, v32
	v_and_b32_e32 v27, 0xffff0000, v33
	v_fmac_f32_e32 v31, v17, v32
	s_delay_alu instid0(VALU_DEP_1) | instskip(NEXT) | instid1(VALU_DEP_1)
	v_fmac_f32_e32 v31, v19, v27
	v_add_f32_e32 v26, v31, v29
	ds_bpermute_b32 v27, v21, v26
	s_wait_dscnt 0x0
	v_add_f32_e32 v26, v26, v27
	ds_bpermute_b32 v27, v22, v26
	s_and_saveexec_b32 s5, vcc_lo
	s_cbranch_execz .LBB322_9
; %bb.11:                               ;   in Loop: Header=BB322_10 Depth=1
	s_wait_dscnt 0x0
	v_add_f32_e32 v26, v26, v27
	v_add_nc_u32_e32 v28, s25, v23
	v_cmp_gt_i32_e64 s4, s26, v23
	s_delay_alu instid0(VALU_DEP_2) | instskip(NEXT) | instid1(VALU_DEP_1)
	v_cvt_f32_i32_e32 v28, v28
	v_mul_f32_e32 v28, s8, v28
	s_delay_alu instid0(VALU_DEP_1) | instskip(SKIP_1) | instid1(VALU_DEP_2)
	v_cndmask_b32_e64 v27, 0, v28, s3
	v_max_num_f32_e32 v28, v10, v10
	v_fmac_f32_e32 v27, s9, v26
	s_delay_alu instid0(VALU_DEP_1) | instskip(SKIP_2) | instid1(VALU_DEP_2)
	v_max_num_f32_e32 v26, v28, v27
	s_wait_alu 0xf1ff
	v_cndmask_b32_e64 v27, 0, v27, s4
	v_cndmask_b32_e64 v10, v10, v26, s4
	ds_store_b32 v24, v27
	s_branch .LBB322_9
.LBB322_12:
	s_or_b32 exec_lo, exec_lo, s15
.LBB322_13:
	s_delay_alu instid0(SALU_CYCLE_1)
	s_or_b32 exec_lo, exec_lo, s10
	v_xor_b32_e32 v1, 16, v7
	v_xor_b32_e32 v3, 8, v7
	s_load_b128 s[8:11], s[0:1], 0x0
	s_wait_kmcnt 0x0
	s_clause 0x1
	s_load_b64 s[4:5], s[0:1], 0x10
	s_load_b64 s[24:25], s[0:1], 0x28
	v_and_b32_e32 v15, 31, v0
	v_cmp_lt_i32_e32 vcc_lo, v1, v9
	s_wait_alu 0xfffd
	v_cndmask_b32_e32 v1, v7, v1, vcc_lo
	v_cmp_lt_i32_e32 vcc_lo, v3, v9
	s_wait_alu 0xfffd
	s_delay_alu instid0(VALU_DEP_2) | instskip(SKIP_4) | instid1(VALU_DEP_1)
	v_dual_cndmask_b32 v3, v7, v3 :: v_dual_lshlrev_b32 v2, 2, v1
	ds_bpermute_b32 v1, v2, v10
	v_max_num_f32_e32 v10, v10, v10
	s_wait_dscnt 0x0
	v_dual_max_num_f32 v1, v1, v1 :: v_dual_lshlrev_b32 v4, 2, v3
	v_max_num_f32_e32 v1, v10, v1
	v_xor_b32_e32 v10, 4, v7
	s_delay_alu instid0(VALU_DEP_1)
	v_cmp_lt_i32_e32 vcc_lo, v10, v9
	s_wait_alu 0xfffd
	v_cndmask_b32_e32 v10, v7, v10, vcc_lo
	ds_bpermute_b32 v3, v4, v1
	v_cmp_eq_u32_e32 vcc_lo, 0, v15
	v_lshlrev_b32_e32 v12, 2, v10
	s_wait_dscnt 0x0
	v_dual_max_num_f32 v3, v3, v3 :: v_dual_lshlrev_b32 v10, 2, v13
	s_delay_alu instid0(VALU_DEP_1)
	v_max_num_f32_e32 v1, v1, v3
	ds_bpermute_b32 v3, v12, v1
	s_and_saveexec_b32 s0, vcc_lo
	s_cbranch_execz .LBB322_15
; %bb.14:
	s_wait_dscnt 0x0
	v_max_num_f32_e32 v3, v3, v3
	v_max_num_f32_e32 v1, v1, v1
	s_delay_alu instid0(VALU_DEP_1)
	v_max_num_f32_e32 v1, v1, v3
	ds_store_b32 v10, v1 offset:64
.LBB322_15:
	s_or_b32 exec_lo, exec_lo, s0
	v_cmp_gt_u32_e64 s0, 4, v15
	v_mov_b32_e32 v1, 0xff7fffff
	v_lshlrev_b32_e32 v11, 2, v15
	s_wait_loadcnt_dscnt 0x0
	s_barrier_signal -1
	s_barrier_wait -1
	global_inv scope:SCOPE_SE
	s_and_saveexec_b32 s1, s0
; %bb.16:
	ds_load_b32 v1, v11 offset:64
; %bb.17:
	s_or_b32 exec_lo, exec_lo, s1
	v_xor_b32_e32 v3, 2, v7
	v_xor_b32_e32 v17, 1, v7
	s_delay_alu instid0(VALU_DEP_2) | instskip(NEXT) | instid1(VALU_DEP_1)
	v_cmp_lt_i32_e64 s1, v3, v9
	v_cndmask_b32_e64 v3, v7, v3, s1
	s_delay_alu instid0(VALU_DEP_3) | instskip(NEXT) | instid1(VALU_DEP_2)
	v_cmp_lt_i32_e64 s1, v17, v9
	v_lshlrev_b32_e32 v16, 2, v3
	s_wait_alu 0xf1ff
	s_delay_alu instid0(VALU_DEP_2)
	v_cndmask_b32_e64 v9, v7, v17, s1
	s_sub_co_i32 s1, s27, s12
	s_wait_alu 0xfffe
	s_lshl_b32 s1, s1, 3
	s_wait_dscnt 0x0
	ds_bpermute_b32 v3, v16, v1
	v_max_num_f32_e32 v1, v1, v1
	v_lshlrev_b32_e32 v9, 2, v9
	s_wait_alu 0xfffe
	s_add_co_i32 s1, s1, s28
	s_wait_alu 0xfffe
	s_min_i32 s1, s1, s26
	s_wait_alu 0xfffe
	s_sub_co_i32 s15, s1, s28
	s_delay_alu instid0(SALU_CYCLE_1) | instskip(SKIP_2) | instid1(VALU_DEP_1)
	v_cmp_gt_i32_e64 s1, s15, v0
	s_wait_dscnt 0x0
	v_max_num_f32_e32 v3, v3, v3
	v_max_num_f32_e32 v1, v1, v3
	ds_bpermute_b32 v3, v9, v1
	s_wait_dscnt 0x0
	v_max_num_f32_e32 v3, v3, v3
	s_delay_alu instid0(VALU_DEP_1)
	v_max_num_f32_e32 v1, v1, v3
	v_dual_mov_b32 v8, 0 :: v_dual_lshlrev_b32 v3, 2, v8
	ds_bpermute_b32 v1, v3, v1
	v_lshl_add_u32 v3, v0, 2, 0x60
	s_and_saveexec_b32 s31, s1
	s_cbranch_execz .LBB322_21
; %bb.18:
	v_lshl_add_u32 v17, v0, 2, 0x60
	v_mov_b32_e32 v8, 0
	v_mov_b32_e32 v18, v0
	s_mov_b32 s33, 0
.LBB322_19:                             ; =>This Inner Loop Header: Depth=1
	ds_load_b32 v19, v17
	v_add_nc_u32_e32 v18, 0x80, v18
	s_delay_alu instid0(VALU_DEP_1) | instskip(SKIP_3) | instid1(VALU_DEP_1)
	v_cmp_le_i32_e64 s3, s15, v18
	s_or_b32 s33, s3, s33
	s_wait_dscnt 0x0
	v_sub_f32_e32 v19, v19, v1
	v_mul_f32_e32 v19, 0x3fb8aa3b, v19
	s_delay_alu instid0(VALU_DEP_1)
	v_exp_f32_e32 v19, v19
	ds_store_b32 v17, v19
	v_dual_add_f32 v8, v8, v19 :: v_dual_add_nc_u32 v17, 0x200, v17
	s_and_not1_b32 exec_lo, exec_lo, s33
	s_cbranch_execnz .LBB322_19
; %bb.20:
	s_or_b32 exec_lo, exec_lo, s33
.LBB322_21:
	s_delay_alu instid0(SALU_CYCLE_1)
	s_or_b32 exec_lo, exec_lo, s31
	ds_bpermute_b32 v2, v2, v8
	s_wait_dscnt 0x0
	v_add_f32_e32 v2, v8, v2
	ds_bpermute_b32 v4, v4, v2
	s_wait_dscnt 0x0
	v_add_f32_e32 v2, v2, v4
	;; [unrolled: 3-line block ×5, first 2 shown]
	s_and_saveexec_b32 s3, vcc_lo
; %bb.22:
	ds_store_b32 v10, v2 offset:80
; %bb.23:
	s_wait_alu 0xfffe
	s_or_b32 exec_lo, exec_lo, s3
	s_wait_loadcnt_dscnt 0x0
	s_barrier_signal -1
	s_barrier_wait -1
	global_inv scope:SCOPE_SE
	s_and_saveexec_b32 s3, s0
; %bb.24:
	ds_load_b32 v2, v11 offset:80
; %bb.25:
	s_wait_alu 0xfffe
	s_or_b32 exec_lo, exec_lo, s3
	s_wait_dscnt 0x0
	ds_bpermute_b32 v4, v16, v2
	s_wait_dscnt 0x0
	v_dual_add_f32 v2, v2, v4 :: v_dual_lshlrev_b32 v7, 2, v7
	ds_bpermute_b32 v4, v9, v2
	s_wait_dscnt 0x0
	v_add_f32_e32 v2, v2, v4
	v_and_b32_e32 v4, 0xffffff80, v7
	ds_bpermute_b32 v2, v4, v2
	s_and_saveexec_b32 s0, s1
	s_cbranch_execz .LBB322_28
; %bb.26:
	s_wait_dscnt 0x0
	v_add_f32_e32 v4, 0x358637bd, v2
	s_mov_b32 s1, 0
	s_delay_alu instid0(VALU_DEP_1) | instskip(SKIP_1) | instid1(VALU_DEP_2)
	v_div_scale_f32 v7, null, v4, v4, 1.0
	v_div_scale_f32 v10, vcc_lo, 1.0, v4, 1.0
	v_rcp_f32_e32 v8, v7
	s_delay_alu instid0(TRANS32_DEP_1) | instskip(NEXT) | instid1(VALU_DEP_1)
	v_fma_f32 v9, -v7, v8, 1.0
	v_fmac_f32_e32 v8, v9, v8
	s_delay_alu instid0(VALU_DEP_1) | instskip(NEXT) | instid1(VALU_DEP_1)
	v_mul_f32_e32 v9, v10, v8
	v_fma_f32 v11, -v7, v9, v10
	s_delay_alu instid0(VALU_DEP_1) | instskip(NEXT) | instid1(VALU_DEP_1)
	v_fmac_f32_e32 v9, v11, v8
	v_fma_f32 v7, -v7, v9, v10
	s_wait_alu 0xfffd
	s_delay_alu instid0(VALU_DEP_1) | instskip(NEXT) | instid1(VALU_DEP_1)
	v_div_fmas_f32 v7, v7, v8, v9
	v_div_fixup_f32 v4, v7, v4, 1.0
	v_mov_b32_e32 v7, v0
.LBB322_27:                             ; =>This Inner Loop Header: Depth=1
	ds_load_b32 v8, v3
	s_wait_dscnt 0x0
	v_dual_mul_f32 v8, v4, v8 :: v_dual_add_nc_u32 v7, 0x80, v7
	s_delay_alu instid0(VALU_DEP_1)
	v_cmp_le_i32_e32 vcc_lo, s15, v7
	ds_store_b32 v3, v8
	v_add_nc_u32_e32 v3, 0x200, v3
	s_wait_alu 0xfffe
	s_or_b32 s1, vcc_lo, s1
	s_wait_alu 0xfffe
	s_and_not1_b32 exec_lo, exec_lo, s1
	s_cbranch_execnz .LBB322_27
.LBB322_28:
	s_wait_alu 0xfffe
	s_or_b32 exec_lo, exec_lo, s0
	s_mul_i32 s0, s17, s22
	s_wait_loadcnt_dscnt 0x0
	s_wait_alu 0xfffe
	s_mul_i32 s22, s0, s23
	s_mov_b32 s0, exec_lo
	s_barrier_signal -1
	s_barrier_wait -1
	global_inv scope:SCOPE_SE
	v_cmpx_eq_u32_e32 0, v0
	s_cbranch_execz .LBB322_30
; %bb.29:
	s_ashr_i32 s23, s22, 31
	s_wait_alu 0xfffe
	s_mul_i32 s34, s17, ttmp9
	s_lshl_b32 s1, s29, 2
	s_lshl_b64 s[36:37], s[22:23], 2
	s_ashr_i32 s35, s34, 31
	s_wait_alu 0xfffe
	v_mov_b32_e32 v3, s1
	s_add_nc_u64 s[10:11], s[10:11], s[36:37]
	s_lshl_b64 s[34:35], s[34:35], 2
	s_add_nc_u64 s[8:9], s[8:9], s[36:37]
	s_wait_alu 0xfffe
	s_add_nc_u64 s[10:11], s[10:11], s[34:35]
	s_add_nc_u64 s[8:9], s[8:9], s[34:35]
	s_clause 0x1
	global_store_b32 v3, v1, s[10:11]
	global_store_b32 v3, v2, s[8:9]
.LBB322_30:
	s_wait_alu 0xfffe
	s_or_b32 exec_lo, exec_lo, s0
	v_mov_b32_e32 v16, 0
	s_and_saveexec_b32 s1, s2
	s_cbranch_execz .LBB322_36
; %bb.31:
	s_load_b32 s2, s[6:7], 0x0
	v_dual_mov_b32 v16, 0 :: v_dual_lshlrev_b32 v1, 3, v15
	s_ashr_i32 s15, s14, 31
	v_add3_u32 v17, s28, v6, 7
	s_wait_kmcnt 0x0
	s_wait_alu 0xfffe
	s_add_nc_u64 s[6:7], s[24:25], s[14:15]
	v_lshl_add_u32 v18, v13, 5, 0x60
	v_add_co_u32 v9, s0, s6, v1
	s_wait_alu 0xf1ff
	v_add_co_ci_u32_e64 v10, null, s7, 0, s0
	s_lshl_b64 s[6:7], s[18:19], 2
	s_mov_b32 s3, s13
	s_wait_alu 0xfffe
	s_add_nc_u64 s[6:7], s[20:21], s[6:7]
	s_add_co_i32 s30, s30, -1
	s_wait_alu 0xfffe
	v_add_co_u32 v11, s0, s6, v5
	s_wait_alu 0xf1ff
	v_add_co_ci_u32_e64 v12, null, s7, 0, s0
	s_mov_b32 s6, 0
	s_branch .LBB322_33
.LBB322_32:                             ;   in Loop: Header=BB322_33 Depth=1
	s_wait_alu 0xfffe
	s_or_b32 exec_lo, exec_lo, s0
	s_wait_dscnt 0x1
	v_bfe_u32 v27, v5, 16, 1
	v_or_b32_e32 v28, 0x400000, v5
	v_bfe_u32 v29, v6, 16, 1
	v_cmp_u_f32_e32 vcc_lo, v5, v5
	v_bfe_u32 v30, v7, 16, 1
	v_add3_u32 v27, v27, v5, 0x7fff
	v_or_b32_e32 v31, 0x400000, v6
	v_add3_u32 v29, v29, v6, 0x7fff
	v_or_b32_e32 v32, 0x400000, v7
	v_add3_u32 v30, v30, v7, 0x7fff
	s_wait_alu 0xfffd
	v_cndmask_b32_e32 v5, v27, v28, vcc_lo
	v_cmp_u_f32_e32 vcc_lo, v6, v6
	v_bfe_u32 v27, v8, 16, 1
	s_wait_dscnt 0x0
	v_bfe_u32 v28, v1, 16, 1
	v_lshlrev_b32_e32 v20, 16, v20
	v_lshlrev_b32_e32 v24, 16, v24
	s_wait_alu 0xfffd
	v_cndmask_b32_e32 v6, v29, v31, vcc_lo
	v_cmp_u_f32_e32 vcc_lo, v7, v7
	v_add3_u32 v27, v27, v8, 0x7fff
	v_or_b32_e32 v29, 0x400000, v8
	v_add3_u32 v28, v28, v1, 0x7fff
	v_bfe_u32 v31, v2, 16, 1
	s_wait_alu 0xfffd
	v_cndmask_b32_e32 v7, v30, v32, vcc_lo
	v_cmp_u_f32_e32 vcc_lo, v8, v8
	v_or_b32_e32 v30, 0x400000, v1
	v_lshlrev_b32_e32 v22, 16, v22
	v_lshlrev_b32_e32 v19, 16, v19
	;; [unrolled: 1-line block ×3, first 2 shown]
	s_wait_alu 0xfffd
	v_cndmask_b32_e32 v8, v27, v29, vcc_lo
	v_cmp_u_f32_e32 vcc_lo, v1, v1
	v_add3_u32 v27, v31, v2, 0x7fff
	v_bfe_u32 v29, v3, 16, 1
	v_and_b32_e32 v7, 0xffff0000, v7
	v_and_b32_e32 v6, 0xffff0000, v6
	s_wait_alu 0xfffd
	v_cndmask_b32_e32 v1, v28, v30, vcc_lo
	v_or_b32_e32 v28, 0x400000, v2
	v_cmp_u_f32_e32 vcc_lo, v2, v2
	v_mul_f32_e32 v7, v7, v24
	v_add_co_u32 v11, s0, v11, 16
	s_wait_alu 0xfffd
	v_dual_cndmask_b32 v2, v27, v28 :: v_dual_add_nc_u32 v17, 32, v17
	v_add3_u32 v27, v29, v3, 0x7fff
	v_or_b32_e32 v28, 0x400000, v3
	v_cmp_u_f32_e32 vcc_lo, v3, v3
	v_lshlrev_b32_e32 v26, 16, v26
	v_and_b32_e32 v1, 0xffff0000, v1
	v_and_b32_e32 v8, 0xffff0000, v8
	v_bfe_u32 v29, v4, 16, 1
	s_wait_alu 0xfffd
	v_cndmask_b32_e32 v3, v27, v28, vcc_lo
	v_or_b32_e32 v27, 0x400000, v4
	v_cmp_u_f32_e32 vcc_lo, v4, v4
	v_and_b32_e32 v5, 0xffff0000, v5
	v_mul_f32_e32 v1, v1, v22
	v_and_b32_e32 v3, 0xffff0000, v3
	v_and_b32_e32 v2, 0xffff0000, v2
	v_add_nc_u32_e32 v18, 0x80, v18
	s_wait_alu 0xf1ff
	v_add_co_ci_u32_e64 v12, null, 0, v12, s0
	v_mul_f32_e32 v3, v3, v20
	v_dual_mul_f32 v2, v2, v21 :: v_dual_lshlrev_b32 v23, 16, v23
	v_lshlrev_b32_e32 v25, 16, v25
	v_add_nc_u32_e32 v14, 4, v14
	s_delay_alu instid0(VALU_DEP_3) | instskip(NEXT) | instid1(VALU_DEP_3)
	v_dual_mul_f32 v8, v8, v23 :: v_dual_mul_f32 v5, v5, v26
	v_mul_f32_e32 v6, v6, v25
	v_add3_u32 v26, v29, v4, 0x7fff
	v_bfe_u32 v21, v2, 16, 1
	s_delay_alu instid0(VALU_DEP_4) | instskip(SKIP_1) | instid1(VALU_DEP_3)
	v_bfe_u32 v28, v5, 16, 1
	s_wait_alu 0xfffd
	v_cndmask_b32_e32 v4, v26, v27, vcc_lo
	v_or_b32_e32 v26, 0x400000, v5
	v_bfe_u32 v27, v6, 16, 1
	v_add3_u32 v25, v28, v5, 0x7fff
	v_cmp_u_f32_e32 vcc_lo, v5, v5
	v_add3_u32 v20, v21, v2, 0x7fff
	v_or_b32_e32 v21, 0x400000, v2
	v_add3_u32 v24, v27, v6, 0x7fff
	s_wait_alu 0xfffd
	v_cndmask_b32_e32 v5, v25, v26, vcc_lo
	v_or_b32_e32 v25, 0x400000, v6
	v_bfe_u32 v26, v7, 16, 1
	v_cmp_u_f32_e32 vcc_lo, v6, v6
	s_delay_alu instid0(VALU_DEP_2)
	v_add3_u32 v23, v26, v7, 0x7fff
	s_wait_alu 0xfffd
	v_cndmask_b32_e32 v6, v24, v25, vcc_lo
	v_or_b32_e32 v24, 0x400000, v7
	v_bfe_u32 v25, v8, 16, 1
	v_cmp_u_f32_e32 vcc_lo, v7, v7
	s_delay_alu instid0(VALU_DEP_4) | instskip(NEXT) | instid1(VALU_DEP_3)
	v_and_b32_e32 v6, 0xffff0000, v6
	v_add3_u32 v22, v25, v8, 0x7fff
	s_wait_alu 0xfffd
	v_cndmask_b32_e32 v7, v23, v24, vcc_lo
	v_or_b32_e32 v23, 0x400000, v8
	v_cmp_u_f32_e32 vcc_lo, v8, v8
	v_bfe_u32 v24, v1, 16, 1
	s_delay_alu instid0(VALU_DEP_4) | instskip(SKIP_2) | instid1(VALU_DEP_3)
	v_and_b32_e32 v7, 0xffff0000, v7
	s_wait_alu 0xfffd
	v_cndmask_b32_e32 v8, v22, v23, vcc_lo
	v_add3_u32 v22, v24, v1, 0x7fff
	v_cmp_u_f32_e32 vcc_lo, v1, v1
	v_bfe_u32 v23, v3, 16, 1
	s_delay_alu instid0(VALU_DEP_4) | instskip(SKIP_1) | instid1(VALU_DEP_1)
	v_and_b32_e32 v8, 0xffff0000, v8
	v_and_b32_e32 v5, 0xffff0000, v5
	v_dual_add_f32 v5, v5, v6 :: v_dual_and_b32 v4, 0xffff0000, v4
	s_delay_alu instid0(VALU_DEP_1) | instskip(SKIP_1) | instid1(VALU_DEP_2)
	v_mul_f32_e32 v4, v4, v19
	v_or_b32_e32 v19, 0x400000, v1
	v_bfe_u32 v24, v4, 16, 1
	s_wait_alu 0xfffd
	s_delay_alu instid0(VALU_DEP_2) | instskip(SKIP_3) | instid1(VALU_DEP_4)
	v_cndmask_b32_e32 v1, v22, v19, vcc_lo
	v_cmp_u_f32_e32 vcc_lo, v2, v2
	v_add3_u32 v19, v23, v3, 0x7fff
	v_or_b32_e32 v22, 0x400000, v3
	v_and_b32_e32 v1, 0xffff0000, v1
	s_wait_alu 0xfffd
	v_cndmask_b32_e32 v2, v20, v21, vcc_lo
	v_add3_u32 v20, v24, v4, 0x7fff
	v_or_b32_e32 v21, 0x400000, v4
	v_cmp_u_f32_e32 vcc_lo, v4, v4
	s_delay_alu instid0(VALU_DEP_4) | instskip(SKIP_1) | instid1(VALU_DEP_3)
	v_and_b32_e32 v2, 0xffff0000, v2
	s_wait_alu 0xfffd
	v_cndmask_b32_e32 v4, v20, v21, vcc_lo
	v_cmp_u_f32_e32 vcc_lo, v3, v3
	s_delay_alu instid0(VALU_DEP_2) | instskip(SKIP_3) | instid1(VALU_DEP_2)
	v_dual_add_f32 v1, v1, v2 :: v_dual_and_b32 v2, 0xffff0000, v4
	s_wait_alu 0xfffd
	v_cndmask_b32_e32 v3, v19, v22, vcc_lo
	v_cmp_le_i32_e32 vcc_lo, s27, v14
	v_and_b32_e32 v3, 0xffff0000, v3
	s_or_b32 s6, vcc_lo, s6
	s_delay_alu instid0(VALU_DEP_1) | instskip(SKIP_1) | instid1(VALU_DEP_1)
	v_add_f32_e32 v2, v3, v2
	v_add_f32_e32 v6, v7, v8
	;; [unrolled: 1-line block ×3, first 2 shown]
	s_delay_alu instid0(VALU_DEP_1) | instskip(NEXT) | instid1(VALU_DEP_1)
	v_add_f32_e32 v1, v1, v5
	v_add_f32_e32 v1, v2, v1
	s_delay_alu instid0(VALU_DEP_1)
	v_add_f32_e32 v16, v16, v1
	s_wait_alu 0xfffe
	s_and_not1_b32 exec_lo, exec_lo, s6
	s_cbranch_execz .LBB322_35
.LBB322_33:                             ; =>This Inner Loop Header: Depth=1
	global_load_b32 v1, v[11:12], off
	s_mov_b32 s0, exec_lo
	s_wait_loadcnt 0x0
	v_mad_co_i64_i32 v[1:2], null, v1, s3, v[9:10]
	global_load_b64 v[19:20], v[1:2], off
	ds_load_2addr_b64 v[5:8], v18 offset1:1
	ds_load_2addr_b64 v[1:4], v18 offset0:2 offset1:3
	s_wait_loadcnt 0x0
	v_bfe_u32 v22, v19, 8, 8
	v_bfe_u32 v23, v19, 16, 8
	;; [unrolled: 1-line block ×4, first 2 shown]
	s_delay_alu instid0(VALU_DEP_4)
	v_cvt_f32_fp8_e32 v22, v22
	v_and_b32_e32 v21, 0xff, v19
	v_lshrrev_b32_e32 v19, 24, v19
	v_cvt_f32_fp8_e32 v23, v23
	v_cvt_f32_fp8_e32 v25, v25
	v_mul_f32_e32 v22, s2, v22
	v_cvt_f32_fp8_e32 v21, v21
	v_and_b32_e32 v24, 0xff, v20
	v_lshrrev_b32_e32 v20, 24, v20
	v_cvt_f32_fp8_e32 v19, v19
	v_bfe_u32 v29, v22, 16, 1
	v_mul_f32_e32 v21, s2, v21
	v_cvt_f32_fp8_e32 v24, v24
	v_mul_f32_e32 v23, s2, v23
	v_cvt_f32_fp8_e32 v26, v26
	v_cvt_f32_fp8_e32 v20, v20
	v_bfe_u32 v27, v21, 16, 1
	v_or_b32_e32 v28, 0x400000, v21
	v_cmp_u_f32_e32 vcc_lo, v21, v21
	v_dual_mul_f32 v19, s2, v19 :: v_dual_mul_f32 v26, s2, v26
	s_delay_alu instid0(VALU_DEP_4)
	v_add3_u32 v27, v27, v21, 0x7fff
	v_dual_mul_f32 v24, s2, v24 :: v_dual_mul_f32 v25, s2, v25
	v_mul_f32_e32 v20, s2, v20
	v_or_b32_e32 v30, 0x400000, v22
	v_bfe_u32 v31, v23, 16, 1
	v_add3_u32 v29, v29, v22, 0x7fff
	s_wait_alu 0xfffd
	v_cndmask_b32_e32 v21, v27, v28, vcc_lo
	v_cmp_u_f32_e32 vcc_lo, v22, v22
	v_or_b32_e32 v32, 0x400000, v23
	v_bfe_u32 v33, v19, 16, 1
	v_bfe_u32 v37, v25, 16, 1
	v_add3_u32 v31, v31, v23, 0x7fff
	s_wait_alu 0xfffd
	v_cndmask_b32_e32 v22, v29, v30, vcc_lo
	v_cmp_u_f32_e32 vcc_lo, v23, v23
	v_or_b32_e32 v34, 0x400000, v19
	v_bfe_u32 v35, v24, 16, 1
	v_or_b32_e32 v38, 0x400000, v25
	v_add3_u32 v33, v33, v19, 0x7fff
	v_add3_u32 v37, v37, v25, 0x7fff
	s_wait_alu 0xfffd
	v_cndmask_b32_e32 v23, v31, v32, vcc_lo
	v_cmp_u_f32_e32 vcc_lo, v19, v19
	v_or_b32_e32 v36, 0x400000, v24
	v_bfe_u32 v41, v20, 16, 1
	v_add3_u32 v35, v35, v24, 0x7fff
	v_bfe_u32 v39, v26, 16, 1
	s_wait_alu 0xfffd
	v_cndmask_b32_e32 v19, v33, v34, vcc_lo
	v_cmp_u_f32_e32 vcc_lo, v24, v24
	v_or_b32_e32 v42, 0x400000, v20
	v_add3_u32 v41, v41, v20, 0x7fff
	v_or_b32_e32 v40, 0x400000, v26
	v_add3_u32 v39, v39, v26, 0x7fff
	s_wait_alu 0xfffd
	v_cndmask_b32_e32 v27, v35, v36, vcc_lo
	v_cmp_u_f32_e32 vcc_lo, v25, v25
	v_lshrrev_b32_e32 v25, 16, v22
	s_wait_alu 0xfffd
	v_cndmask_b32_e32 v28, v37, v38, vcc_lo
	v_cmp_u_f32_e32 vcc_lo, v26, v26
	v_lshrrev_b32_e32 v26, 16, v21
	v_lshrrev_b32_e32 v24, 16, v23
	;; [unrolled: 1-line block ×4, first 2 shown]
	s_wait_alu 0xfffd
	v_cndmask_b32_e32 v29, v39, v40, vcc_lo
	v_cmp_u_f32_e32 vcc_lo, v20, v20
	s_delay_alu instid0(VALU_DEP_2) | instskip(SKIP_3) | instid1(VALU_DEP_2)
	v_lshrrev_b32_e32 v20, 16, v29
	s_wait_alu 0xfffd
	v_cndmask_b32_e32 v30, v41, v42, vcc_lo
	v_lshrrev_b32_e32 v22, 16, v27
	v_lshrrev_b32_e32 v19, 16, v30
	v_cmpx_eq_u32_e64 s30, v14
	s_cbranch_execz .LBB322_32
; %bb.34:                               ;   in Loop: Header=BB322_33 Depth=1
	v_add_nc_u32_e32 v27, -7, v17
	v_add_nc_u32_e32 v28, -6, v17
	v_add_nc_u32_e32 v29, -5, v17
	s_delay_alu instid0(VALU_DEP_3)
	v_cmp_gt_i32_e32 vcc_lo, s26, v27
	s_wait_alu 0xfffd
	v_dual_cndmask_b32 v26, 0, v26 :: v_dual_add_nc_u32 v27, -4, v17
	v_cmp_gt_i32_e32 vcc_lo, s26, v28
	v_add_nc_u32_e32 v28, -3, v17
	s_wait_alu 0xfffd
	v_cndmask_b32_e32 v25, 0, v25, vcc_lo
	v_cmp_gt_i32_e32 vcc_lo, s26, v29
	s_wait_alu 0xfffd
	v_dual_cndmask_b32 v24, 0, v24 :: v_dual_add_nc_u32 v29, -2, v17
	v_cmp_gt_i32_e32 vcc_lo, s26, v27
	v_add_nc_u32_e32 v27, -1, v17
	s_wait_alu 0xfffd
	v_cndmask_b32_e32 v23, 0, v23, vcc_lo
	v_cmp_gt_i32_e32 vcc_lo, s26, v28
	s_wait_alu 0xfffd
	v_cndmask_b32_e32 v22, 0, v22, vcc_lo
	v_cmp_gt_i32_e32 vcc_lo, s26, v29
	s_wait_alu 0xfffd
	v_cndmask_b32_e32 v21, 0, v21, vcc_lo
	v_cmp_gt_i32_e32 vcc_lo, s26, v27
	s_wait_alu 0xfffd
	v_cndmask_b32_e32 v20, 0, v20, vcc_lo
	v_cmp_gt_i32_e32 vcc_lo, s26, v17
	s_wait_alu 0xfffd
	v_cndmask_b32_e32 v19, 0, v19, vcc_lo
	s_branch .LBB322_32
.LBB322_35:
	s_or_b32 exec_lo, exec_lo, s6
.LBB322_36:
	s_wait_alu 0xfffe
	s_or_b32 exec_lo, exec_lo, s1
	v_and_b32_e32 v1, 0x3c0, v0
	v_lshl_add_u32 v2, v15, 2, 0x60
	s_mov_b32 s0, exec_lo
	s_wait_loadcnt 0x0
	s_wait_storecnt 0x0
	s_barrier_signal -1
	s_barrier_wait -1
	global_inv scope:SCOPE_SE
	v_cmpx_eq_u32_e32 64, v1
; %bb.37:
	v_lshlrev_b32_e32 v1, 7, v13
	s_delay_alu instid0(VALU_DEP_1)
	v_add3_u32 v1, v2, v1, 0xffffff00
	ds_store_b32 v1, v16
; %bb.38:
	s_wait_alu 0xfffe
	s_or_b32 exec_lo, exec_lo, s0
	v_and_b32_e32 v3, 0x3e0, v0
	s_mov_b32 s0, exec_lo
	s_wait_loadcnt_dscnt 0x0
	s_barrier_signal -1
	s_barrier_wait -1
	v_lshl_add_u32 v1, v3, 2, v2
	global_inv scope:SCOPE_SE
	v_cmpx_gt_u32_e32 64, v0
	s_cbranch_execz .LBB322_40
; %bb.39:
	ds_load_b32 v4, v1
	s_wait_dscnt 0x0
	v_add_f32_e32 v16, v16, v4
.LBB322_40:
	s_wait_alu 0xfffe
	s_or_b32 exec_lo, exec_lo, s0
	s_delay_alu instid0(SALU_CYCLE_1)
	s_mov_b32 s0, exec_lo
	s_wait_loadcnt 0x0
	s_barrier_signal -1
	s_barrier_wait -1
	global_inv scope:SCOPE_SE
	v_cmpx_eq_u32_e32 32, v3
; %bb.41:
	ds_store_b32 v2, v16
; %bb.42:
	s_wait_alu 0xfffe
	s_or_b32 exec_lo, exec_lo, s0
	v_cmp_gt_u32_e32 vcc_lo, 32, v0
	s_wait_loadcnt_dscnt 0x0
	s_barrier_signal -1
	s_barrier_wait -1
	global_inv scope:SCOPE_SE
	s_and_saveexec_b32 s0, vcc_lo
	s_cbranch_execz .LBB322_44
; %bb.43:
	ds_load_b32 v0, v1
	s_wait_dscnt 0x0
	v_add_f32_e32 v16, v16, v0
.LBB322_44:
	s_wait_alu 0xfffe
	s_or_b32 exec_lo, exec_lo, s0
	s_wait_loadcnt 0x0
	s_barrier_signal -1
	s_barrier_wait -1
	global_inv scope:SCOPE_SE
	s_and_saveexec_b32 s0, vcc_lo
	s_cbranch_execz .LBB322_46
; %bb.45:
	v_bfe_u32 v0, v16, 16, 1
	s_lshl_b32 s0, s22, 5
	s_mul_i32 s2, s17, s16
	s_wait_alu 0xfffe
	s_ashr_i32 s1, s0, 31
	v_or_b32_e32 v1, 0x400000, v16
	v_add3_u32 v0, v0, v16, 0x7fff
	v_cmp_u_f32_e32 vcc_lo, v16, v16
	s_wait_alu 0xfffe
	s_lshl_b64 s[0:1], s[0:1], 1
	s_ashr_i32 s3, s2, 31
	s_wait_kmcnt 0x0
	s_wait_alu 0xfffe
	s_add_nc_u64 s[0:1], s[4:5], s[0:1]
	s_lshl_b64 s[2:3], s[2:3], 1
	v_lshlrev_b32_e32 v2, 1, v15
	s_wait_alu 0xfffd
	v_cndmask_b32_e32 v0, v0, v1, vcc_lo
	s_wait_alu 0xfffe
	s_add_nc_u64 s[0:1], s[0:1], s[2:3]
	s_mov_b32 s13, 0
	s_wait_alu 0xfffe
	s_add_nc_u64 s[0:1], s[0:1], s[12:13]
	global_store_d16_hi_b16 v2, v0, s[0:1]
.LBB322_46:
	s_endpgm
	.section	.rodata,"a",@progbits
	.p2align	6, 0x0
	.amdhsa_kernel _ZN4vllm25paged_attention_v2_kernelI14__hip_bfloat16hLi32ELi8ELi128ELNS_18Fp8KVCacheDataTypeE1ELb0ELi512EEEvPfS3_PT_PKS4_PKT0_SA_ifPKiSC_iPKfiiiSE_SE_iiiii
		.amdhsa_group_segment_fixed_size 96
		.amdhsa_private_segment_fixed_size 0
		.amdhsa_kernarg_size 400
		.amdhsa_user_sgpr_count 2
		.amdhsa_user_sgpr_dispatch_ptr 0
		.amdhsa_user_sgpr_queue_ptr 0
		.amdhsa_user_sgpr_kernarg_segment_ptr 1
		.amdhsa_user_sgpr_dispatch_id 0
		.amdhsa_user_sgpr_private_segment_size 0
		.amdhsa_wavefront_size32 1
		.amdhsa_uses_dynamic_stack 0
		.amdhsa_enable_private_segment 0
		.amdhsa_system_sgpr_workgroup_id_x 1
		.amdhsa_system_sgpr_workgroup_id_y 1
		.amdhsa_system_sgpr_workgroup_id_z 1
		.amdhsa_system_sgpr_workgroup_info 0
		.amdhsa_system_vgpr_workitem_id 0
		.amdhsa_next_free_vgpr 50
		.amdhsa_next_free_sgpr 38
		.amdhsa_reserve_vcc 1
		.amdhsa_float_round_mode_32 0
		.amdhsa_float_round_mode_16_64 0
		.amdhsa_float_denorm_mode_32 3
		.amdhsa_float_denorm_mode_16_64 3
		.amdhsa_fp16_overflow 0
		.amdhsa_workgroup_processor_mode 1
		.amdhsa_memory_ordered 1
		.amdhsa_forward_progress 1
		.amdhsa_inst_pref_size 43
		.amdhsa_round_robin_scheduling 0
		.amdhsa_exception_fp_ieee_invalid_op 0
		.amdhsa_exception_fp_denorm_src 0
		.amdhsa_exception_fp_ieee_div_zero 0
		.amdhsa_exception_fp_ieee_overflow 0
		.amdhsa_exception_fp_ieee_underflow 0
		.amdhsa_exception_fp_ieee_inexact 0
		.amdhsa_exception_int_div_zero 0
	.end_amdhsa_kernel
	.section	.text._ZN4vllm25paged_attention_v2_kernelI14__hip_bfloat16hLi32ELi8ELi128ELNS_18Fp8KVCacheDataTypeE1ELb0ELi512EEEvPfS3_PT_PKS4_PKT0_SA_ifPKiSC_iPKfiiiSE_SE_iiiii,"axG",@progbits,_ZN4vllm25paged_attention_v2_kernelI14__hip_bfloat16hLi32ELi8ELi128ELNS_18Fp8KVCacheDataTypeE1ELb0ELi512EEEvPfS3_PT_PKS4_PKT0_SA_ifPKiSC_iPKfiiiSE_SE_iiiii,comdat
.Lfunc_end322:
	.size	_ZN4vllm25paged_attention_v2_kernelI14__hip_bfloat16hLi32ELi8ELi128ELNS_18Fp8KVCacheDataTypeE1ELb0ELi512EEEvPfS3_PT_PKS4_PKT0_SA_ifPKiSC_iPKfiiiSE_SE_iiiii, .Lfunc_end322-_ZN4vllm25paged_attention_v2_kernelI14__hip_bfloat16hLi32ELi8ELi128ELNS_18Fp8KVCacheDataTypeE1ELb0ELi512EEEvPfS3_PT_PKS4_PKT0_SA_ifPKiSC_iPKfiiiSE_SE_iiiii
                                        ; -- End function
	.set _ZN4vllm25paged_attention_v2_kernelI14__hip_bfloat16hLi32ELi8ELi128ELNS_18Fp8KVCacheDataTypeE1ELb0ELi512EEEvPfS3_PT_PKS4_PKT0_SA_ifPKiSC_iPKfiiiSE_SE_iiiii.num_vgpr, 50
	.set _ZN4vllm25paged_attention_v2_kernelI14__hip_bfloat16hLi32ELi8ELi128ELNS_18Fp8KVCacheDataTypeE1ELb0ELi512EEEvPfS3_PT_PKS4_PKT0_SA_ifPKiSC_iPKfiiiSE_SE_iiiii.num_agpr, 0
	.set _ZN4vllm25paged_attention_v2_kernelI14__hip_bfloat16hLi32ELi8ELi128ELNS_18Fp8KVCacheDataTypeE1ELb0ELi512EEEvPfS3_PT_PKS4_PKT0_SA_ifPKiSC_iPKfiiiSE_SE_iiiii.numbered_sgpr, 38
	.set _ZN4vllm25paged_attention_v2_kernelI14__hip_bfloat16hLi32ELi8ELi128ELNS_18Fp8KVCacheDataTypeE1ELb0ELi512EEEvPfS3_PT_PKS4_PKT0_SA_ifPKiSC_iPKfiiiSE_SE_iiiii.num_named_barrier, 0
	.set _ZN4vllm25paged_attention_v2_kernelI14__hip_bfloat16hLi32ELi8ELi128ELNS_18Fp8KVCacheDataTypeE1ELb0ELi512EEEvPfS3_PT_PKS4_PKT0_SA_ifPKiSC_iPKfiiiSE_SE_iiiii.private_seg_size, 0
	.set _ZN4vllm25paged_attention_v2_kernelI14__hip_bfloat16hLi32ELi8ELi128ELNS_18Fp8KVCacheDataTypeE1ELb0ELi512EEEvPfS3_PT_PKS4_PKT0_SA_ifPKiSC_iPKfiiiSE_SE_iiiii.uses_vcc, 1
	.set _ZN4vllm25paged_attention_v2_kernelI14__hip_bfloat16hLi32ELi8ELi128ELNS_18Fp8KVCacheDataTypeE1ELb0ELi512EEEvPfS3_PT_PKS4_PKT0_SA_ifPKiSC_iPKfiiiSE_SE_iiiii.uses_flat_scratch, 0
	.set _ZN4vllm25paged_attention_v2_kernelI14__hip_bfloat16hLi32ELi8ELi128ELNS_18Fp8KVCacheDataTypeE1ELb0ELi512EEEvPfS3_PT_PKS4_PKT0_SA_ifPKiSC_iPKfiiiSE_SE_iiiii.has_dyn_sized_stack, 0
	.set _ZN4vllm25paged_attention_v2_kernelI14__hip_bfloat16hLi32ELi8ELi128ELNS_18Fp8KVCacheDataTypeE1ELb0ELi512EEEvPfS3_PT_PKS4_PKT0_SA_ifPKiSC_iPKfiiiSE_SE_iiiii.has_recursion, 0
	.set _ZN4vllm25paged_attention_v2_kernelI14__hip_bfloat16hLi32ELi8ELi128ELNS_18Fp8KVCacheDataTypeE1ELb0ELi512EEEvPfS3_PT_PKS4_PKT0_SA_ifPKiSC_iPKfiiiSE_SE_iiiii.has_indirect_call, 0
	.section	.AMDGPU.csdata,"",@progbits
; Kernel info:
; codeLenInByte = 5464
; TotalNumSgprs: 40
; NumVgprs: 50
; ScratchSize: 0
; MemoryBound: 0
; FloatMode: 240
; IeeeMode: 1
; LDSByteSize: 96 bytes/workgroup (compile time only)
; SGPRBlocks: 0
; VGPRBlocks: 6
; NumSGPRsForWavesPerEU: 40
; NumVGPRsForWavesPerEU: 50
; Occupancy: 16
; WaveLimiterHint : 1
; COMPUTE_PGM_RSRC2:SCRATCH_EN: 0
; COMPUTE_PGM_RSRC2:USER_SGPR: 2
; COMPUTE_PGM_RSRC2:TRAP_HANDLER: 0
; COMPUTE_PGM_RSRC2:TGID_X_EN: 1
; COMPUTE_PGM_RSRC2:TGID_Y_EN: 1
; COMPUTE_PGM_RSRC2:TGID_Z_EN: 1
; COMPUTE_PGM_RSRC2:TIDIG_COMP_CNT: 0
	.section	.text._ZN4vllm25paged_attention_v2_kernelI14__hip_bfloat16hLi64ELi8ELi128ELNS_18Fp8KVCacheDataTypeE1ELb0ELi512EEEvPfS3_PT_PKS4_PKT0_SA_ifPKiSC_iPKfiiiSE_SE_iiiii,"axG",@progbits,_ZN4vllm25paged_attention_v2_kernelI14__hip_bfloat16hLi64ELi8ELi128ELNS_18Fp8KVCacheDataTypeE1ELb0ELi512EEEvPfS3_PT_PKS4_PKT0_SA_ifPKiSC_iPKfiiiSE_SE_iiiii,comdat
	.protected	_ZN4vllm25paged_attention_v2_kernelI14__hip_bfloat16hLi64ELi8ELi128ELNS_18Fp8KVCacheDataTypeE1ELb0ELi512EEEvPfS3_PT_PKS4_PKT0_SA_ifPKiSC_iPKfiiiSE_SE_iiiii ; -- Begin function _ZN4vllm25paged_attention_v2_kernelI14__hip_bfloat16hLi64ELi8ELi128ELNS_18Fp8KVCacheDataTypeE1ELb0ELi512EEEvPfS3_PT_PKS4_PKT0_SA_ifPKiSC_iPKfiiiSE_SE_iiiii
	.globl	_ZN4vllm25paged_attention_v2_kernelI14__hip_bfloat16hLi64ELi8ELi128ELNS_18Fp8KVCacheDataTypeE1ELb0ELi512EEEvPfS3_PT_PKS4_PKT0_SA_ifPKiSC_iPKfiiiSE_SE_iiiii
	.p2align	8
	.type	_ZN4vllm25paged_attention_v2_kernelI14__hip_bfloat16hLi64ELi8ELi128ELNS_18Fp8KVCacheDataTypeE1ELb0ELi512EEEvPfS3_PT_PKS4_PKT0_SA_ifPKiSC_iPKfiiiSE_SE_iiiii,@function
_ZN4vllm25paged_attention_v2_kernelI14__hip_bfloat16hLi64ELi8ELi128ELNS_18Fp8KVCacheDataTypeE1ELb0ELi512EEEvPfS3_PT_PKS4_PKT0_SA_ifPKiSC_iPKfiiiSE_SE_iiiii: ; @_ZN4vllm25paged_attention_v2_kernelI14__hip_bfloat16hLi64ELi8ELi128ELNS_18Fp8KVCacheDataTypeE1ELb0ELi512EEEvPfS3_PT_PKS4_PKT0_SA_ifPKiSC_iPKfiiiSE_SE_iiiii
; %bb.0:
	s_load_b64 s[2:3], s[0:1], 0x40
	s_and_b32 s30, ttmp7, 0xffff
	s_lshr_b32 s29, ttmp7, 16
	s_lshl_b32 s4, s30, 2
	s_lshl_b32 s28, s29, 9
	s_wait_kmcnt 0x0
	s_load_b32 s26, s[2:3], s4 offset:0x0
	s_wait_kmcnt 0x0
	s_cmp_ge_i32 s28, s26
	s_cbranch_scc1 .LBB323_48
; %bb.1:
	s_clause 0x1
	s_load_b32 s31, s[0:1], 0x90
	s_load_b64 s[6:7], s[0:1], 0x30
	s_wait_kmcnt 0x0
	s_abs_i32 s5, s31
	s_abs_i32 s2, s6
	s_delay_alu instid0(SALU_CYCLE_1) | instskip(SKIP_1) | instid1(SALU_CYCLE_2)
	s_cvt_f32_u32 s3, s2
	s_sub_co_i32 s4, 0, s2
	v_rcp_iflag_f32_e32 v1, s3
	s_delay_alu instid0(TRANS32_DEP_1) | instskip(SKIP_2) | instid1(SALU_CYCLE_2)
	v_readfirstlane_b32 s3, v1
	s_mul_f32 s3, s3, 0x4f7ffffe
	s_wait_alu 0xfffe
	s_cvt_u32_f32 s3, s3
	s_wait_alu 0xfffe
	s_delay_alu instid0(SALU_CYCLE_2) | instskip(NEXT) | instid1(SALU_CYCLE_1)
	s_mul_i32 s4, s4, s3
	s_mul_hi_u32 s4, s3, s4
	s_delay_alu instid0(SALU_CYCLE_1)
	s_add_co_i32 s3, s3, s4
	s_xor_b32 s4, s31, s6
	s_wait_alu 0xfffe
	s_mul_hi_u32 s3, s5, s3
	s_ashr_i32 s4, s4, 31
	s_wait_alu 0xfffe
	s_mul_i32 s6, s3, s2
	s_delay_alu instid0(SALU_CYCLE_1)
	s_sub_co_i32 s5, s5, s6
	s_add_co_i32 s6, s3, 1
	s_sub_co_i32 s8, s5, s2
	s_cmp_ge_u32 s5, s2
	s_cselect_b32 s3, s6, s3
	s_cselect_b32 s5, s8, s5
	s_wait_alu 0xfffe
	s_add_co_i32 s6, s3, 1
	s_cmp_ge_u32 s5, s2
	s_load_b64 s[8:9], s[0:1], 0x50
	s_cselect_b32 s2, s6, s3
	s_mov_b32 s5, 0
	s_wait_alu 0xfffe
	s_xor_b32 s2, s2, s4
	s_mov_b32 s12, s5
	s_wait_alu 0xfffe
	s_sub_co_i32 s10, s2, s4
	s_abs_i32 s4, ttmp9
	s_abs_i32 s6, s10
	s_delay_alu instid0(SALU_CYCLE_1) | instskip(SKIP_2) | instid1(SALU_CYCLE_1)
	s_cvt_f32_u32 s2, s6
	s_sub_co_i32 s3, 0, s6
	s_wait_alu 0xfffe
	v_rcp_iflag_f32_e32 v1, s2
	s_delay_alu instid0(TRANS32_DEP_1) | instskip(SKIP_2) | instid1(SALU_CYCLE_2)
	v_readfirstlane_b32 s2, v1
	s_mul_f32 s2, s2, 0x4f7ffffe
	s_wait_alu 0xfffe
	s_cvt_u32_f32 s2, s2
	s_wait_alu 0xfffe
	s_delay_alu instid0(SALU_CYCLE_2)
	s_mul_i32 s3, s3, s2
	s_wait_alu 0xfffe
	s_mul_hi_u32 s3, s2, s3
	s_wait_alu 0xfffe
	s_add_co_i32 s2, s2, s3
	s_mov_b32 s3, s5
	s_wait_kmcnt 0x0
	s_cmp_eq_u64 s[8:9], 0
	s_cbranch_scc1 .LBB323_3
; %bb.2:
	s_mov_b32 s12, ttmp9
	s_ashr_i32 s13, ttmp9, 31
	s_delay_alu instid0(SALU_CYCLE_1) | instskip(NEXT) | instid1(SALU_CYCLE_1)
	s_lshl_b64 s[12:13], s[12:13], 2
	s_add_nc_u64 s[8:9], s[8:9], s[12:13]
	s_load_b32 s12, s[8:9], 0x0
.LBB323_3:
	s_load_b96 s[16:18], s[0:1], 0x58
	s_mul_u64 s[2:3], s[4:5], s[2:3]
	v_and_b32_e32 v1, 3, v0
	v_cmp_gt_u32_e64 s2, 32, v0
	s_ashr_i32 s5, ttmp9, 31
	s_ashr_i32 s8, s10, 31
	s_lshl_b32 s20, ttmp9, 6
	s_wait_alu 0xfffe
	s_and_saveexec_b32 s9, s2
	s_cbranch_execz .LBB323_5
; %bb.4:
	s_load_b64 s[10:11], s[0:1], 0x18
	s_wait_kmcnt 0x0
	s_mul_i32 s14, s16, s30
	s_ashr_i32 s21, s20, 31
	s_ashr_i32 s15, s14, 31
	v_lshlrev_b32_e32 v2, 2, v0
	s_lshl_b64 s[14:15], s[14:15], 1
	v_and_b32_e32 v3, 0x3fc, v0
	s_delay_alu instid0(VALU_DEP_1) | instskip(SKIP_2) | instid1(SALU_CYCLE_1)
	v_lshl_add_u32 v3, v1, 5, v3
	s_add_nc_u64 s[10:11], s[10:11], s[14:15]
	s_lshl_b64 s[14:15], s[20:21], 1
	s_add_nc_u64 s[10:11], s[10:11], s[14:15]
	global_load_b32 v2, v2, s[10:11]
	s_wait_loadcnt 0x0
	ds_store_b32 v3, v2
.LBB323_5:
	s_or_b32 exec_lo, exec_lo, s9
	s_add_co_i32 s9, s26, 7
	s_xor_b32 s5, s5, s8
	s_ashr_i32 s10, s9, 31
	s_wait_kmcnt 0x0
	s_lshl_b32 s16, s29, 6
	s_lshr_b32 s8, s10, 29
	s_mul_i32 s10, s3, s6
	s_add_co_i32 s9, s9, s8
	s_add_co_i32 s8, s16, 64
	s_ashr_i32 s33, s9, 3
	s_load_b32 s9, s[0:1], 0x48
	s_sub_co_i32 s4, s4, s10
	s_min_i32 s27, s8, s33
	s_add_co_i32 s8, s3, 1
	s_sub_co_i32 s10, s4, s6
	s_cmp_ge_u32 s4, s6
	v_lshrrev_b32_e32 v15, 5, v0
	s_cselect_b32 s3, s8, s3
	s_cselect_b32 s4, s10, s4
	s_wait_alu 0xfffe
	s_add_co_i32 s8, s3, 1
	s_cmp_ge_u32 s4, s6
	v_or_b32_e32 v16, s16, v15
	s_cselect_b32 s3, s8, s3
	v_mbcnt_lo_u32_b32 v7, -1, 0
	s_wait_alu 0xfffe
	s_xor_b32 s3, s3, s5
	s_wait_dscnt 0x0
	s_wait_alu 0xfffe
	s_sub_co_i32 s4, s3, s5
	v_cmp_gt_i32_e64 s3, s27, v16
	s_mov_b32 s5, exec_lo
	s_barrier_signal -1
	s_wait_kmcnt 0x0
	s_mul_i32 s22, s9, s30
	s_barrier_wait -1
	s_ashr_i32 s23, s22, 31
	global_inv scope:SCOPE_SE
                                        ; implicit-def: $vgpr8
                                        ; implicit-def: $vgpr9
	v_cmpx_le_i32_e64 s27, v16
	s_xor_b32 s5, exec_lo, s5
; %bb.6:
	v_dual_mov_b32 v8, 0 :: v_dual_mov_b32 v9, 32
	v_mbcnt_lo_u32_b32 v7, -1, 0
                                        ; implicit-def: $vgpr1
; %bb.7:
	s_or_saveexec_b32 s13, s5
	s_clause 0x2
	s_load_b32 s21, s[0:1], 0x98
	s_load_b64 s[24:25], s[0:1], 0x38
	s_load_b128 s[8:11], s[0:1], 0x68
	v_dual_mov_b32 v26, 0xff7fffff :: v_dual_lshlrev_b32 v5, 2, v16
	v_lshlrev_b32_e32 v6, 3, v15
	s_mul_i32 s18, s4, s18
	s_xor_b32 exec_lo, exec_lo, s13
	s_cbranch_execz .LBB323_13
; %bb.8:
	v_xor_b32_e32 v9, 2, v7
	v_lshlrev_b32_e32 v2, 5, v1
	s_load_b64 s[4:5], s[0:1], 0x20
	v_xor_b32_e32 v29, 1, v7
	v_bfe_u32 v3, v0, 2, 3
	v_cmp_gt_i32_e32 vcc_lo, 32, v9
	s_wait_kmcnt 0x0
	s_load_b32 s8, s[8:9], 0x0
	s_ashr_i32 s19, s18, 31
	s_cmp_neq_f32 s12, 0
	v_lshlrev_b32_e32 v32, 2, v3
	v_dual_cndmask_b32 v30, v7, v9 :: v_dual_mov_b32 v9, 32
	ds_load_b128 v[17:20], v2
	ds_load_b128 v[23:26], v2 offset:16
	v_cmp_gt_i32_e32 vcc_lo, 32, v29
	v_dual_mov_b32 v33, v16 :: v_dual_lshlrev_b32 v2, 4, v3
	v_lshlrev_b32_e32 v4, 1, v1
	v_mov_b32_e32 v8, 0
	s_mov_b32 s9, 0
	s_add_nc_u64 s[4:5], s[4:5], s[18:19]
	s_delay_alu instid0(SALU_CYCLE_1) | instskip(SKIP_4) | instid1(SALU_CYCLE_1)
	v_add_co_u32 v2, s4, s4, v2
	s_wait_alu 0xf1ff
	v_add_co_ci_u32_e64 v31, null, s5, 0, s4
	s_cselect_b32 s4, -1, 0
	s_lshl_b64 s[14:15], s[22:23], 2
	s_add_nc_u64 s[14:15], s[24:25], s[14:15]
	s_wait_dscnt 0x1
	v_and_b32_e32 v13, 0xffff0000, v18
	s_wait_dscnt 0x0
	v_lshlrev_b32_e32 v27, 16, v26
	v_and_b32_e32 v28, 0xffff0000, v26
	s_wait_alu 0xfffd
	v_dual_cndmask_b32 v26, v7, v29 :: v_dual_lshlrev_b32 v29, 2, v30
	v_cmp_eq_u32_e32 vcc_lo, 0, v1
	v_add_co_u32 v1, s5, v2, v4
	s_delay_alu instid0(VALU_DEP_3)
	v_lshlrev_b32_e32 v30, 2, v26
	v_lshl_or_b32 v26, v15, 5, v32
	s_wait_alu 0xf1ff
	v_add_co_ci_u32_e64 v2, null, 0, v31, s5
	v_add3_u32 v31, s28, v6, v3
	v_add_co_u32 v3, s5, s14, v5
	v_lshlrev_b32_e32 v10, 16, v17
	v_and_b32_e32 v11, 0xffff0000, v17
	v_lshlrev_b32_e32 v12, 16, v18
	v_lshlrev_b32_e32 v14, 16, v19
	v_and_b32_e32 v17, 0xffff0000, v19
	v_lshlrev_b32_e32 v18, 16, v20
	v_and_b32_e32 v19, 0xffff0000, v20
	;; [unrolled: 2-line block ×5, first 2 shown]
	v_add_nc_u32_e32 v32, 0xa0, v26
	s_wait_alu 0xf1ff
	v_add_co_ci_u32_e64 v4, null, s15, 0, s5
	v_mov_b32_e32 v26, 0xff7fffff
	s_mov_b32 s14, s17
	s_sub_co_i32 s15, 1, s26
	s_branch .LBB323_10
.LBB323_9:                              ;   in Loop: Header=BB323_10 Depth=1
	s_wait_alu 0xfffe
	s_or_b32 exec_lo, exec_lo, s6
	v_add_nc_u32_e32 v33, 4, v33
	v_add_co_u32 v3, s6, v3, 16
	v_add_nc_u32_e32 v31, 32, v31
	v_add_nc_u32_e32 v32, 0x80, v32
	s_delay_alu instid0(VALU_DEP_4)
	v_cmp_le_i32_e64 s5, s27, v33
	s_wait_alu 0xf1ff
	v_add_co_ci_u32_e64 v4, null, 0, v4, s6
	s_or_b32 s9, s5, s9
	s_wait_alu 0xfffe
	s_and_not1_b32 exec_lo, exec_lo, s9
	s_cbranch_execz .LBB323_12
.LBB323_10:                             ; =>This Inner Loop Header: Depth=1
	global_load_b32 v34, v[3:4], off
	s_wait_loadcnt_dscnt 0x0
	s_wait_alu 0xfffe
	v_mad_co_i64_i32 v[34:35], null, v34, s14, v[1:2]
	s_clause 0x7
	global_load_u16 v36, v[34:35], off
	global_load_u16 v37, v[34:35], off offset:8
	global_load_u16 v38, v[34:35], off offset:128
	;; [unrolled: 1-line block ×7, first 2 shown]
	s_wait_loadcnt 0x5
	v_and_b32_e32 v44, 0xff, v38
	v_lshrrev_b16 v38, 8, v38
	s_delay_alu instid0(VALU_DEP_1) | instskip(NEXT) | instid1(VALU_DEP_1)
	v_and_b32_e32 v38, 0xffff, v38
	v_cvt_f32_fp8_e32 v38, v38
	v_and_b32_e32 v35, 0xff, v36
	v_lshrrev_b16 v36, 8, v36
	s_wait_kmcnt 0x0
	s_delay_alu instid0(VALU_DEP_3) | instskip(NEXT) | instid1(VALU_DEP_2)
	v_mul_f32_e32 v38, s8, v38
	v_and_b32_e32 v36, 0xffff, v36
	s_delay_alu instid0(VALU_DEP_2) | instskip(SKIP_1) | instid1(VALU_DEP_3)
	v_bfe_u32 v60, v38, 16, 1
	v_or_b32_e32 v61, 0x400000, v38
	v_cvt_f32_fp8_e32 v36, v36
	v_and_b32_e32 v43, 0xff, v37
	v_lshrrev_b16 v37, 8, v37
	v_add3_u32 v60, v60, v38, 0x7fff
	s_delay_alu instid0(VALU_DEP_2) | instskip(NEXT) | instid1(VALU_DEP_1)
	v_dual_mul_f32 v36, s8, v36 :: v_dual_and_b32 v37, 0xffff, v37
	v_bfe_u32 v52, v36, 16, 1
	v_or_b32_e32 v53, 0x400000, v36
	s_delay_alu instid0(VALU_DEP_3) | instskip(SKIP_4) | instid1(VALU_DEP_3)
	v_cvt_f32_fp8_e32 v37, v37
	s_wait_loadcnt 0x1
	v_and_b32_e32 v48, 0xff, v42
	v_lshrrev_b16 v42, 8, v42
	v_add3_u32 v52, v52, v36, 0x7fff
	v_dual_mul_f32 v37, s8, v37 :: v_dual_and_b32 v48, 0xffff, v48
	s_delay_alu instid0(VALU_DEP_3) | instskip(NEXT) | instid1(VALU_DEP_2)
	v_and_b32_e32 v42, 0xffff, v42
	v_bfe_u32 v56, v37, 16, 1
	s_delay_alu instid0(VALU_DEP_3) | instskip(SKIP_1) | instid1(VALU_DEP_4)
	v_cvt_f32_fp8_e32 v48, v48
	v_and_b32_e32 v35, 0xffff, v35
	v_cvt_f32_fp8_e32 v42, v42
	v_and_b32_e32 v43, 0xffff, v43
	v_or_b32_e32 v57, 0x400000, v37
	v_mul_f32_e32 v48, s8, v48
	v_cvt_f32_fp8_e32 v35, v35
	v_mul_f32_e32 v42, s8, v42
	v_cvt_f32_fp8_e32 v43, v43
	v_and_b32_e32 v46, 0xff, v40
	v_add3_u32 v56, v56, v37, 0x7fff
	v_dual_mul_f32 v35, s8, v35 :: v_dual_and_b32 v44, 0xffff, v44
	s_delay_alu instid0(VALU_DEP_4) | instskip(SKIP_2) | instid1(VALU_DEP_4)
	v_mul_f32_e32 v43, s8, v43
	v_lshrrev_b16 v40, 8, v40
	v_and_b32_e32 v46, 0xffff, v46
	v_bfe_u32 v50, v35, 16, 1
	v_or_b32_e32 v51, 0x400000, v35
	v_cmp_u_f32_e64 s5, v35, v35
	v_cvt_f32_fp8_e32 v44, v44
	v_and_b32_e32 v45, 0xff, v39
	v_add3_u32 v50, v50, v35, 0x7fff
	v_bfe_u32 v54, v43, 16, 1
	v_lshrrev_b16 v39, 8, v39
	s_delay_alu instid0(VALU_DEP_4)
	v_dual_mul_f32 v44, s8, v44 :: v_dual_and_b32 v45, 0xffff, v45
	s_wait_alu 0xf1ff
	v_cndmask_b32_e64 v35, v50, v51, s5
	v_cmp_u_f32_e64 s5, v36, v36
	v_or_b32_e32 v55, 0x400000, v43
	v_add3_u32 v54, v54, v43, 0x7fff
	v_and_b32_e32 v39, 0xffff, v39
	v_cvt_f32_fp8_e32 v45, v45
	s_wait_alu 0xf1ff
	v_cndmask_b32_e64 v36, v52, v53, s5
	v_cmp_u_f32_e64 s5, v43, v43
	v_bfe_u32 v58, v44, 16, 1
	v_cvt_f32_fp8_e32 v39, v39
	v_mul_f32_e32 v45, s8, v45
	v_or_b32_e32 v59, 0x400000, v44
	s_wait_alu 0xf1ff
	v_cndmask_b32_e64 v43, v54, v55, s5
	v_cmp_u_f32_e64 s5, v37, v37
	v_add3_u32 v58, v58, v44, 0x7fff
	v_and_b32_e32 v40, 0xffff, v40
	v_cvt_f32_fp8_e32 v46, v46
	v_and_b32_e32 v47, 0xff, v41
	s_wait_alu 0xf1ff
	v_cndmask_b32_e64 v37, v56, v57, s5
	v_cmp_u_f32_e64 s5, v44, v44
	v_mul_f32_e32 v39, s8, v39
	v_bfe_u32 v62, v45, 16, 1
	v_lshrrev_b16 v41, 8, v41
	v_cvt_f32_fp8_e32 v40, v40
	s_wait_alu 0xf1ff
	v_cndmask_b32_e64 v44, v58, v59, s5
	v_cmp_u_f32_e64 s5, v38, v38
	v_dual_mul_f32 v46, s8, v46 :: v_dual_and_b32 v47, 0xffff, v47
	v_or_b32_e32 v63, 0x400000, v45
	v_bfe_u32 v64, v39, 16, 1
	v_add3_u32 v62, v62, v45, 0x7fff
	s_wait_alu 0xf1ff
	v_cndmask_b32_e64 v38, v60, v61, s5
	v_cmp_u_f32_e64 s5, v45, v45
	s_wait_loadcnt 0x0
	v_dual_mul_f32 v40, s8, v40 :: v_dual_and_b32 v49, 0xff, v34
	v_and_b32_e32 v41, 0xffff, v41
	v_cvt_f32_fp8_e32 v47, v47
	v_or_b32_e32 v65, 0x400000, v39
	v_bfe_u32 v66, v46, 16, 1
	v_add3_u32 v64, v64, v39, 0x7fff
	s_wait_alu 0xf1ff
	v_cndmask_b32_e64 v45, v62, v63, s5
	v_cmp_u_f32_e64 s5, v39, v39
	v_cvt_f32_fp8_e32 v41, v41
	v_mul_f32_e32 v47, s8, v47
	v_or_b32_e32 v67, 0x400000, v46
	v_bfe_u32 v68, v40, 16, 1
	v_add3_u32 v66, v66, v46, 0x7fff
	s_wait_alu 0xf1ff
	v_cndmask_b32_e64 v39, v64, v65, s5
	v_cmp_u_f32_e64 s5, v46, v46
	v_mul_f32_e32 v41, s8, v41
	v_or_b32_e32 v69, 0x400000, v40
	v_bfe_u32 v70, v47, 16, 1
	v_add3_u32 v68, v68, v40, 0x7fff
	s_wait_alu 0xf1ff
	v_cndmask_b32_e64 v46, v66, v67, s5
	v_cmp_u_f32_e64 s5, v40, v40
	v_and_b32_e32 v37, 0xffff0000, v37
	v_lshrrev_b16 v34, 8, v34
	v_and_b32_e32 v49, 0xffff, v49
	v_or_b32_e32 v71, 0x400000, v47
	v_bfe_u32 v72, v41, 16, 1
	v_add3_u32 v70, v70, v47, 0x7fff
	s_wait_alu 0xf1ff
	v_cndmask_b32_e64 v40, v68, v69, s5
	v_and_b32_e32 v43, 0xffff0000, v43
	v_cmp_u_f32_e64 s5, v47, v47
	v_dual_mul_f32 v37, v13, v37 :: v_dual_and_b32 v38, 0xffff0000, v38
	v_and_b32_e32 v36, 0xffff0000, v36
	v_cvt_f32_fp8_e32 v49, v49
	v_or_b32_e32 v73, 0x400000, v41
	v_bfe_u32 v74, v48, 16, 1
	v_add3_u32 v72, v72, v41, 0x7fff
	s_wait_alu 0xf1ff
	v_cndmask_b32_e64 v47, v70, v71, s5
	v_and_b32_e32 v35, 0xffff0000, v35
	v_dual_mul_f32 v43, v12, v43 :: v_dual_and_b32 v34, 0xffff, v34
	v_cmp_u_f32_e64 s5, v41, v41
	v_fmac_f32_e32 v37, v11, v36
	v_mul_f32_e32 v49, s8, v49
	v_or_b32_e32 v75, 0x400000, v48
	v_bfe_u32 v76, v42, 16, 1
	v_add3_u32 v74, v74, v48, 0x7fff
	s_wait_alu 0xf1ff
	v_cndmask_b32_e64 v41, v72, v73, s5
	v_fmac_f32_e32 v43, v10, v35
	v_cvt_f32_fp8_e32 v34, v34
	v_cmp_u_f32_e64 s5, v48, v48
	v_and_b32_e32 v39, 0xffff0000, v39
	v_dual_fmac_f32 v37, v17, v38 :: v_dual_and_b32 v44, 0xffff0000, v44
	s_delay_alu instid0(VALU_DEP_4)
	v_mul_f32_e32 v34, s8, v34
	v_or_b32_e32 v77, 0x400000, v42
	v_bfe_u32 v78, v49, 16, 1
	v_add3_u32 v76, v76, v42, 0x7fff
	s_wait_alu 0xf1ff
	v_cndmask_b32_e64 v35, v74, v75, s5
	v_cmp_u_f32_e64 s5, v42, v42
	v_dual_fmac_f32 v37, v19, v39 :: v_dual_and_b32 v36, 0xffff0000, v45
	v_fmac_f32_e32 v43, v14, v44
	v_or_b32_e32 v79, 0x400000, v49
	v_bfe_u32 v80, v34, 16, 1
	v_add3_u32 v78, v78, v49, 0x7fff
	s_wait_alu 0xf1ff
	v_cndmask_b32_e64 v38, v76, v77, s5
	v_dual_fmac_f32 v43, v18, v36 :: v_dual_and_b32 v42, 0xffff0000, v46
	v_and_b32_e32 v40, 0xffff0000, v40
	v_cmp_u_f32_e64 s5, v49, v49
	v_or_b32_e32 v81, 0x400000, v34
	v_add3_u32 v80, v80, v34, 0x7fff
	v_and_b32_e32 v39, 0xffff0000, v47
	v_and_b32_e32 v41, 0xffff0000, v41
	s_wait_alu 0xf1ff
	v_cndmask_b32_e64 v36, v78, v79, s5
	v_fmac_f32_e32 v43, v20, v42
	v_dual_fmac_f32 v37, v21, v40 :: v_dual_and_b32 v38, 0xffff0000, v38
	v_cmp_u_f32_e64 s5, v34, v34
	v_and_b32_e32 v35, 0xffff0000, v35
	s_delay_alu instid0(VALU_DEP_4) | instskip(SKIP_1) | instid1(VALU_DEP_3)
	v_dual_fmac_f32 v43, v22, v39 :: v_dual_and_b32 v36, 0xffff0000, v36
	s_wait_alu 0xf1ff
	v_cndmask_b32_e64 v34, v80, v81, s5
	v_fmac_f32_e32 v37, v23, v41
	s_delay_alu instid0(VALU_DEP_2) | instskip(NEXT) | instid1(VALU_DEP_2)
	v_dual_fmac_f32 v43, v24, v35 :: v_dual_and_b32 v34, 0xffff0000, v34
	v_fmac_f32_e32 v37, v25, v38
	s_delay_alu instid0(VALU_DEP_2) | instskip(NEXT) | instid1(VALU_DEP_2)
	v_fmac_f32_e32 v43, v27, v36
	v_fmac_f32_e32 v37, v28, v34
	s_delay_alu instid0(VALU_DEP_1)
	v_add_f32_e32 v34, v43, v37
	ds_bpermute_b32 v35, v29, v34
	s_wait_dscnt 0x0
	v_add_f32_e32 v34, v34, v35
	ds_bpermute_b32 v35, v30, v34
	s_and_saveexec_b32 s6, vcc_lo
	s_cbranch_execz .LBB323_9
; %bb.11:                               ;   in Loop: Header=BB323_10 Depth=1
	s_wait_dscnt 0x0
	v_add_f32_e32 v34, v34, v35
	v_add_nc_u32_e32 v36, s15, v31
	v_cmp_gt_i32_e64 s5, s26, v31
	s_delay_alu instid0(VALU_DEP_2) | instskip(NEXT) | instid1(VALU_DEP_1)
	v_cvt_f32_i32_e32 v36, v36
	v_mul_f32_e32 v36, s12, v36
	s_delay_alu instid0(VALU_DEP_1) | instskip(SKIP_1) | instid1(VALU_DEP_2)
	v_cndmask_b32_e64 v35, 0, v36, s4
	v_max_num_f32_e32 v36, v26, v26
	v_fmac_f32_e32 v35, s7, v34
	s_delay_alu instid0(VALU_DEP_1) | instskip(SKIP_2) | instid1(VALU_DEP_2)
	v_max_num_f32_e32 v34, v36, v35
	s_wait_alu 0xf1ff
	v_cndmask_b32_e64 v35, 0, v35, s5
	v_cndmask_b32_e64 v26, v26, v34, s5
	ds_store_b32 v32, v35
	s_branch .LBB323_9
.LBB323_12:
	s_or_b32 exec_lo, exec_lo, s9
.LBB323_13:
	s_delay_alu instid0(SALU_CYCLE_1)
	s_or_b32 exec_lo, exec_lo, s13
	v_xor_b32_e32 v1, 16, v7
	v_xor_b32_e32 v3, 8, v7
	s_clause 0x1
	s_load_b128 s[12:15], s[0:1], 0x0
	s_load_b64 s[6:7], s[0:1], 0x10
	s_wait_kmcnt 0x0
	s_load_b64 s[8:9], s[0:1], 0x28
	v_dual_max_num_f32 v10, v26, v26 :: v_dual_and_b32 v17, 31, v0
	v_cmp_lt_i32_e32 vcc_lo, v1, v9
	s_wait_alu 0xfffd
	v_cndmask_b32_e32 v1, v7, v1, vcc_lo
	v_cmp_lt_i32_e32 vcc_lo, v3, v9
	s_wait_alu 0xfffd
	s_delay_alu instid0(VALU_DEP_2) | instskip(SKIP_3) | instid1(VALU_DEP_1)
	v_dual_cndmask_b32 v3, v7, v3 :: v_dual_lshlrev_b32 v2, 2, v1
	ds_bpermute_b32 v1, v2, v26
	s_wait_dscnt 0x0
	v_dual_max_num_f32 v1, v1, v1 :: v_dual_lshlrev_b32 v4, 2, v3
	v_max_num_f32_e32 v1, v10, v1
	v_xor_b32_e32 v10, 4, v7
	s_delay_alu instid0(VALU_DEP_1)
	v_cmp_lt_i32_e32 vcc_lo, v10, v9
	s_wait_alu 0xfffd
	v_cndmask_b32_e32 v10, v7, v10, vcc_lo
	ds_bpermute_b32 v3, v4, v1
	v_cmp_eq_u32_e32 vcc_lo, 0, v17
	v_lshlrev_b32_e32 v12, 2, v10
	v_lshlrev_b32_e32 v10, 2, v15
	s_wait_dscnt 0x0
	v_max_num_f32_e32 v3, v3, v3
	s_delay_alu instid0(VALU_DEP_1)
	v_max_num_f32_e32 v1, v1, v3
	ds_bpermute_b32 v3, v12, v1
	s_and_saveexec_b32 s0, vcc_lo
	s_cbranch_execz .LBB323_15
; %bb.14:
	s_wait_dscnt 0x0
	v_max_num_f32_e32 v3, v3, v3
	v_max_num_f32_e32 v1, v1, v1
	s_delay_alu instid0(VALU_DEP_1)
	v_max_num_f32_e32 v1, v1, v3
	ds_store_b32 v10, v1 offset:128
.LBB323_15:
	s_or_b32 exec_lo, exec_lo, s0
	v_cmp_gt_u32_e64 s0, 4, v17
	v_mov_b32_e32 v1, 0xff7fffff
	v_lshlrev_b32_e32 v11, 2, v17
	s_wait_loadcnt_dscnt 0x0
	s_barrier_signal -1
	s_barrier_wait -1
	global_inv scope:SCOPE_SE
	s_and_saveexec_b32 s1, s0
; %bb.16:
	ds_load_b32 v1, v11 offset:128
; %bb.17:
	s_or_b32 exec_lo, exec_lo, s1
	v_xor_b32_e32 v3, 2, v7
	v_xor_b32_e32 v14, 1, v7
	s_delay_alu instid0(VALU_DEP_2) | instskip(NEXT) | instid1(VALU_DEP_1)
	v_cmp_lt_i32_e64 s1, v3, v9
	v_cndmask_b32_e64 v3, v7, v3, s1
	s_delay_alu instid0(VALU_DEP_3) | instskip(NEXT) | instid1(VALU_DEP_2)
	v_cmp_lt_i32_e64 s1, v14, v9
	v_lshlrev_b32_e32 v13, 2, v3
	s_wait_alu 0xf1ff
	s_delay_alu instid0(VALU_DEP_2)
	v_cndmask_b32_e64 v9, v7, v14, s1
	s_sub_co_i32 s1, s27, s16
	s_wait_alu 0xfffe
	s_lshl_b32 s1, s1, 3
	s_wait_dscnt 0x0
	ds_bpermute_b32 v3, v13, v1
	v_max_num_f32_e32 v1, v1, v1
	v_lshlrev_b32_e32 v9, 2, v9
	s_wait_alu 0xfffe
	s_add_co_i32 s1, s1, s28
	s_wait_alu 0xfffe
	s_min_i32 s1, s1, s26
	s_wait_alu 0xfffe
	s_sub_co_i32 s5, s1, s28
	s_wait_alu 0xfffe
	v_cmp_gt_i32_e64 s1, s5, v0
	s_wait_dscnt 0x0
	v_max_num_f32_e32 v3, v3, v3
	s_delay_alu instid0(VALU_DEP_1) | instskip(SKIP_3) | instid1(VALU_DEP_1)
	v_max_num_f32_e32 v1, v1, v3
	ds_bpermute_b32 v3, v9, v1
	s_wait_dscnt 0x0
	v_max_num_f32_e32 v3, v3, v3
	v_max_num_f32_e32 v1, v1, v3
	v_dual_mov_b32 v8, 0 :: v_dual_lshlrev_b32 v3, 2, v8
	ds_bpermute_b32 v1, v3, v1
	v_lshl_add_u32 v3, v0, 2, 0xa0
	s_and_saveexec_b32 s19, s1
	s_cbranch_execz .LBB323_21
; %bb.18:
	v_lshl_add_u32 v14, v0, 2, 0xa0
	v_mov_b32_e32 v8, 0
	v_mov_b32_e32 v18, v0
	s_mov_b32 s34, 0
.LBB323_19:                             ; =>This Inner Loop Header: Depth=1
	ds_load_b32 v19, v14
	v_add_nc_u32_e32 v18, 0x80, v18
	s_delay_alu instid0(VALU_DEP_1) | instskip(SKIP_3) | instid1(VALU_DEP_1)
	v_cmp_le_i32_e64 s4, s5, v18
	s_or_b32 s34, s4, s34
	s_wait_dscnt 0x0
	v_sub_f32_e32 v19, v19, v1
	v_mul_f32_e32 v19, 0x3fb8aa3b, v19
	s_delay_alu instid0(VALU_DEP_1)
	v_exp_f32_e32 v19, v19
	ds_store_b32 v14, v19
	v_add_f32_e32 v8, v8, v19
	v_add_nc_u32_e32 v14, 0x200, v14
	s_and_not1_b32 exec_lo, exec_lo, s34
	s_cbranch_execnz .LBB323_19
; %bb.20:
	s_or_b32 exec_lo, exec_lo, s34
.LBB323_21:
	s_delay_alu instid0(SALU_CYCLE_1)
	s_or_b32 exec_lo, exec_lo, s19
	ds_bpermute_b32 v2, v2, v8
	s_wait_dscnt 0x0
	v_add_f32_e32 v2, v8, v2
	ds_bpermute_b32 v4, v4, v2
	s_wait_dscnt 0x0
	v_add_f32_e32 v2, v2, v4
	;; [unrolled: 3-line block ×5, first 2 shown]
	s_and_saveexec_b32 s4, vcc_lo
; %bb.22:
	ds_store_b32 v10, v2 offset:144
; %bb.23:
	s_wait_alu 0xfffe
	s_or_b32 exec_lo, exec_lo, s4
	s_wait_loadcnt_dscnt 0x0
	s_barrier_signal -1
	s_barrier_wait -1
	global_inv scope:SCOPE_SE
	s_and_saveexec_b32 s4, s0
; %bb.24:
	ds_load_b32 v2, v11 offset:144
; %bb.25:
	s_wait_alu 0xfffe
	s_or_b32 exec_lo, exec_lo, s4
	s_wait_dscnt 0x0
	ds_bpermute_b32 v4, v13, v2
	s_wait_dscnt 0x0
	v_dual_add_f32 v2, v2, v4 :: v_dual_lshlrev_b32 v7, 2, v7
	ds_bpermute_b32 v4, v9, v2
	s_wait_dscnt 0x0
	v_add_f32_e32 v2, v2, v4
	v_and_b32_e32 v4, 0xffffff80, v7
	ds_bpermute_b32 v2, v4, v2
	s_and_saveexec_b32 s0, s1
	s_cbranch_execz .LBB323_28
; %bb.26:
	s_wait_dscnt 0x0
	v_add_f32_e32 v4, 0x358637bd, v2
	s_mov_b32 s1, 0
	s_delay_alu instid0(VALU_DEP_1) | instskip(SKIP_1) | instid1(VALU_DEP_2)
	v_div_scale_f32 v7, null, v4, v4, 1.0
	v_div_scale_f32 v10, vcc_lo, 1.0, v4, 1.0
	v_rcp_f32_e32 v8, v7
	s_delay_alu instid0(TRANS32_DEP_1) | instskip(NEXT) | instid1(VALU_DEP_1)
	v_fma_f32 v9, -v7, v8, 1.0
	v_fmac_f32_e32 v8, v9, v8
	s_delay_alu instid0(VALU_DEP_1) | instskip(NEXT) | instid1(VALU_DEP_1)
	v_mul_f32_e32 v9, v10, v8
	v_fma_f32 v11, -v7, v9, v10
	s_delay_alu instid0(VALU_DEP_1) | instskip(NEXT) | instid1(VALU_DEP_1)
	v_fmac_f32_e32 v9, v11, v8
	v_fma_f32 v7, -v7, v9, v10
	s_wait_alu 0xfffd
	s_delay_alu instid0(VALU_DEP_1) | instskip(NEXT) | instid1(VALU_DEP_1)
	v_div_fmas_f32 v7, v7, v8, v9
	v_div_fixup_f32 v4, v7, v4, 1.0
	v_mov_b32_e32 v7, v0
.LBB323_27:                             ; =>This Inner Loop Header: Depth=1
	ds_load_b32 v8, v3
	s_wait_dscnt 0x0
	v_dual_mul_f32 v8, v4, v8 :: v_dual_add_nc_u32 v7, 0x80, v7
	s_delay_alu instid0(VALU_DEP_1)
	v_cmp_le_i32_e32 vcc_lo, s5, v7
	ds_store_b32 v3, v8
	v_add_nc_u32_e32 v3, 0x200, v3
	s_wait_alu 0xfffe
	s_or_b32 s1, vcc_lo, s1
	s_wait_alu 0xfffe
	s_and_not1_b32 exec_lo, exec_lo, s1
	s_cbranch_execnz .LBB323_27
.LBB323_28:
	s_wait_alu 0xfffe
	s_or_b32 exec_lo, exec_lo, s0
	s_mul_i32 s0, s21, s30
	s_wait_loadcnt_dscnt 0x0
	s_wait_alu 0xfffe
	s_mul_i32 s4, s0, s31
	s_mov_b32 s0, exec_lo
	s_barrier_signal -1
	s_barrier_wait -1
	global_inv scope:SCOPE_SE
	v_cmpx_eq_u32_e32 0, v0
	s_cbranch_execz .LBB323_30
; %bb.29:
	s_wait_alu 0xfffe
	s_ashr_i32 s5, s4, 31
	s_mul_i32 s30, s21, ttmp9
	s_lshl_b32 s1, s29, 2
	s_wait_alu 0xfffe
	s_lshl_b64 s[34:35], s[4:5], 2
	s_ashr_i32 s31, s30, 31
	v_mov_b32_e32 v3, s1
	s_add_nc_u64 s[14:15], s[14:15], s[34:35]
	s_lshl_b64 s[30:31], s[30:31], 2
	s_add_nc_u64 s[12:13], s[12:13], s[34:35]
	s_wait_alu 0xfffe
	s_add_nc_u64 s[14:15], s[14:15], s[30:31]
	s_add_nc_u64 s[12:13], s[12:13], s[30:31]
	s_clause 0x1
	global_store_b32 v3, v1, s[14:15]
	global_store_b32 v3, v2, s[12:13]
.LBB323_30:
	s_wait_alu 0xfffe
	s_or_b32 exec_lo, exec_lo, s0
	v_dual_mov_b32 v19, 0 :: v_dual_mov_b32 v18, 0
	s_and_saveexec_b32 s1, s3
	s_cbranch_execz .LBB323_38
; %bb.31:
	s_load_b32 s3, s[10:11], 0x0
	v_dual_mov_b32 v18, 0 :: v_dual_lshlrev_b32 v1, 3, v17
	s_ashr_i32 s19, s18, 31
	v_add3_u32 v20, s28, v6, 7
	s_wait_kmcnt 0x0
	s_add_nc_u64 s[8:9], s[8:9], s[18:19]
	v_lshl_add_u32 v21, v15, 5, 0xa0
	s_wait_alu 0xfffe
	v_add_co_u32 v9, s0, s8, v1
	s_wait_alu 0xf1ff
	v_add_co_ci_u32_e64 v10, null, s9, 0, s0
	s_lshl_b64 s[8:9], s[22:23], 2
	v_mov_b32_e32 v19, 0
	s_wait_alu 0xfffe
	s_add_nc_u64 s[8:9], s[24:25], s[8:9]
	s_mov_b32 s5, s17
	s_wait_alu 0xfffe
	v_add_co_u32 v11, s0, s8, v5
	s_wait_alu 0xf1ff
	v_add_co_ci_u32_e64 v12, null, s9, 0, s0
	s_add_co_i32 s33, s33, -1
	s_mov_b32 s8, 0
	s_branch .LBB323_33
.LBB323_32:                             ;   in Loop: Header=BB323_33 Depth=1
	s_wait_alu 0xfffe
	s_or_b32 exec_lo, exec_lo, s0
	s_wait_dscnt 0x1
	v_bfe_u32 v25, v5, 16, 1
	v_or_b32_e32 v32, 0x400000, v5
	v_bfe_u32 v33, v6, 16, 1
	v_cmp_u_f32_e32 vcc_lo, v5, v5
	v_bfe_u32 v34, v7, 16, 1
	v_add3_u32 v25, v25, v5, 0x7fff
	v_or_b32_e32 v36, 0x400000, v6
	v_add3_u32 v33, v33, v6, 0x7fff
	v_or_b32_e32 v37, 0x400000, v7
	v_add3_u32 v34, v34, v7, 0x7fff
	s_wait_alu 0xfffd
	v_dual_cndmask_b32 v5, v25, v32 :: v_dual_lshlrev_b32 v30, 16, v30
	v_cmp_u_f32_e32 vcc_lo, v6, v6
	v_bfe_u32 v25, v8, 16, 1
	s_wait_dscnt 0x0
	v_bfe_u32 v32, v1, 16, 1
	v_lshlrev_b32_e32 v14, 16, v14
	v_add_nc_u32_e32 v16, 4, v16
	s_wait_alu 0xfffd
	v_cndmask_b32_e32 v6, v33, v36, vcc_lo
	v_cmp_u_f32_e32 vcc_lo, v7, v7
	v_add3_u32 v25, v25, v8, 0x7fff
	v_or_b32_e32 v33, 0x400000, v8
	v_add3_u32 v32, v32, v1, 0x7fff
	v_bfe_u32 v36, v2, 16, 1
	s_wait_alu 0xfffd
	v_cndmask_b32_e32 v7, v34, v37, vcc_lo
	v_cmp_u_f32_e32 vcc_lo, v8, v8
	v_or_b32_e32 v34, 0x400000, v1
	v_add_co_u32 v11, s0, v11, 16
	v_add_nc_u32_e32 v20, 32, v20
	s_wait_alu 0xfffd
	v_cndmask_b32_e32 v8, v25, v33, vcc_lo
	v_cmp_u_f32_e32 vcc_lo, v1, v1
	v_add3_u32 v25, v36, v2, 0x7fff
	v_bfe_u32 v33, v3, 16, 1
	s_wait_alu 0xf1ff
	v_add_co_ci_u32_e64 v12, null, 0, v12, s0
	s_wait_alu 0xfffd
	v_cndmask_b32_e32 v1, v32, v34, vcc_lo
	v_or_b32_e32 v32, 0x400000, v2
	v_cmp_u_f32_e32 vcc_lo, v2, v2
	v_and_b32_e32 v5, 0xffff0000, v5
	v_lshlrev_b32_e32 v29, 16, v29
	v_lshlrev_b32_e32 v28, 16, v28
	s_wait_alu 0xfffd
	v_dual_cndmask_b32 v2, v25, v32 :: v_dual_lshlrev_b32 v27, 16, v27
	v_add3_u32 v25, v33, v3, 0x7fff
	v_or_b32_e32 v32, 0x400000, v3
	v_bfe_u32 v33, v4, 16, 1
	v_mul_f32_e32 v30, v5, v30
	v_cmp_u_f32_e32 vcc_lo, v3, v3
	v_and_b32_e32 v6, 0xffff0000, v6
	v_lshlrev_b32_e32 v26, 16, v26
	v_lshlrev_b32_e32 v13, 16, v13
	v_add_nc_u32_e32 v21, 0x80, v21
	s_wait_alu 0xfffd
	v_cndmask_b32_e32 v3, v25, v32, vcc_lo
	v_add3_u32 v25, v33, v4, 0x7fff
	v_or_b32_e32 v32, 0x400000, v4
	v_bfe_u32 v33, v30, 16, 1
	v_mul_f32_e32 v29, v6, v29
	v_cmp_u_f32_e32 vcc_lo, v4, v4
	s_wait_alu 0xfffd
	v_dual_cndmask_b32 v4, v25, v32 :: v_dual_and_b32 v7, 0xffff0000, v7
	v_add3_u32 v25, v33, v30, 0x7fff
	v_or_b32_e32 v32, 0x400000, v30
	v_bfe_u32 v33, v29, 16, 1
	s_delay_alu instid0(VALU_DEP_4) | instskip(SKIP_1) | instid1(VALU_DEP_3)
	v_mul_f32_e32 v28, v7, v28
	v_cmp_u_f32_e32 vcc_lo, v30, v30
	v_add3_u32 v30, v33, v29, 0x7fff
	v_or_b32_e32 v33, 0x400000, v29
	s_wait_alu 0xfffd
	v_cndmask_b32_e32 v25, v25, v32, vcc_lo
	v_bfe_u32 v32, v28, 16, 1
	v_cmp_u_f32_e32 vcc_lo, v29, v29
	v_and_b32_e32 v8, 0xffff0000, v8
	v_or_b32_e32 v34, 0x400000, v28
	s_delay_alu instid0(VALU_DEP_4)
	v_add3_u32 v32, v32, v28, 0x7fff
	s_wait_alu 0xfffd
	v_cndmask_b32_e32 v29, v30, v33, vcc_lo
	v_cmp_u_f32_e32 vcc_lo, v28, v28
	v_and_b32_e32 v1, 0xffff0000, v1
	s_wait_alu 0xfffd
	s_delay_alu instid0(VALU_DEP_3) | instskip(NEXT) | instid1(VALU_DEP_2)
	v_dual_cndmask_b32 v28, v32, v34 :: v_dual_and_b32 v29, 0xffff0000, v29
	v_dual_mul_f32 v27, v8, v27 :: v_dual_mul_f32 v26, v1, v26
	s_delay_alu instid0(VALU_DEP_2) | instskip(NEXT) | instid1(VALU_DEP_2)
	v_and_b32_e32 v28, 0xffff0000, v28
	v_bfe_u32 v36, v27, 16, 1
	s_delay_alu instid0(VALU_DEP_3)
	v_bfe_u32 v32, v26, 16, 1
	v_or_b32_e32 v33, 0x400000, v27
	v_cmp_u_f32_e32 vcc_lo, v27, v27
	v_or_b32_e32 v34, 0x400000, v26
	v_add3_u32 v30, v36, v27, 0x7fff
	v_lshlrev_b32_e32 v24, 16, v24
	v_add3_u32 v32, v32, v26, 0x7fff
	s_wait_alu 0xfffd
	s_delay_alu instid0(VALU_DEP_3)
	v_cndmask_b32_e32 v27, v30, v33, vcc_lo
	v_cmp_u_f32_e32 vcc_lo, v26, v26
	v_and_b32_e32 v3, 0xffff0000, v3
	v_lshlrev_b32_e32 v23, 16, v23
	s_wait_alu 0xfffd
	v_dual_cndmask_b32 v26, v32, v34 :: v_dual_and_b32 v27, 0xffff0000, v27
	s_delay_alu instid0(VALU_DEP_2) | instskip(NEXT) | instid1(VALU_DEP_2)
	v_dual_mul_f32 v23, v3, v23 :: v_dual_and_b32 v2, 0xffff0000, v2
	v_and_b32_e32 v26, 0xffff0000, v26
	s_delay_alu instid0(VALU_DEP_2) | instskip(NEXT) | instid1(VALU_DEP_3)
	v_mul_f32_e32 v24, v2, v24
	v_bfe_u32 v32, v23, 16, 1
	v_or_b32_e32 v34, 0x400000, v23
	v_and_b32_e32 v25, 0xffff0000, v25
	v_lshlrev_b32_e32 v22, 16, v22
	v_bfe_u32 v30, v24, 16, 1
	v_or_b32_e32 v33, 0x400000, v24
	v_cmp_u_f32_e32 vcc_lo, v24, v24
	v_add3_u32 v32, v32, v23, 0x7fff
	v_add_f32_e32 v25, v25, v29
	v_add3_u32 v30, v30, v24, 0x7fff
	s_wait_alu 0xfffd
	s_delay_alu instid0(VALU_DEP_1)
	v_dual_mul_f32 v3, v3, v14 :: v_dual_cndmask_b32 v24, v30, v33
	v_cmp_u_f32_e32 vcc_lo, v23, v23
	v_and_b32_e32 v4, 0xffff0000, v4
	v_lshlrev_b32_e32 v33, 16, v41
	s_wait_alu 0xfffd
	v_cndmask_b32_e32 v23, v32, v34, vcc_lo
	s_delay_alu instid0(VALU_DEP_2) | instskip(SKIP_2) | instid1(VALU_DEP_3)
	v_dual_mul_f32 v22, v4, v22 :: v_dual_mul_f32 v5, v5, v33
	v_dual_add_f32 v27, v28, v27 :: v_dual_and_b32 v24, 0xffff0000, v24
	v_lshlrev_b32_e32 v28, 16, v40
	v_bfe_u32 v30, v22, 16, 1
	v_or_b32_e32 v32, 0x400000, v22
	v_cmp_u_f32_e32 vcc_lo, v22, v22
	v_add_f32_e32 v25, v27, v25
	v_bfe_u32 v27, v5, 16, 1
	v_add3_u32 v30, v30, v22, 0x7fff
	v_mul_f32_e32 v6, v6, v28
	v_or_b32_e32 v28, 0x400000, v5
	v_mul_f32_e32 v4, v4, v13
	v_add3_u32 v27, v27, v5, 0x7fff
	s_wait_alu 0xfffd
	v_cndmask_b32_e32 v22, v30, v32, vcc_lo
	v_cmp_u_f32_e32 vcc_lo, v5, v5
	v_bfe_u32 v29, v6, 16, 1
	s_wait_alu 0xfffd
	v_cndmask_b32_e32 v5, v27, v28, vcc_lo
	v_add_f32_e32 v24, v26, v24
	v_lshlrev_b32_e32 v26, 16, v39
	v_add3_u32 v27, v29, v6, 0x7fff
	v_or_b32_e32 v28, 0x400000, v6
	v_cmp_u_f32_e32 vcc_lo, v6, v6
	v_and_b32_e32 v5, 0xffff0000, v5
	v_mul_f32_e32 v7, v7, v26
	v_lshlrev_b32_e32 v26, 16, v38
	s_delay_alu instid0(VALU_DEP_2) | instskip(NEXT) | instid1(VALU_DEP_2)
	v_bfe_u32 v29, v7, 16, 1
	v_mul_f32_e32 v8, v8, v26
	v_lshlrev_b32_e32 v26, 16, v35
	s_wait_alu 0xfffd
	v_cndmask_b32_e32 v6, v27, v28, vcc_lo
	v_or_b32_e32 v28, 0x400000, v7
	v_add3_u32 v27, v29, v7, 0x7fff
	v_bfe_u32 v29, v8, 16, 1
	v_cmp_u_f32_e32 vcc_lo, v7, v7
	v_mul_f32_e32 v1, v1, v26
	v_and_b32_e32 v6, 0xffff0000, v6
	s_wait_alu 0xfffd
	v_dual_cndmask_b32 v7, v27, v28 :: v_dual_lshlrev_b32 v26, 16, v31
	v_add3_u32 v27, v29, v8, 0x7fff
	v_or_b32_e32 v28, 0x400000, v8
	v_cmp_u_f32_e32 vcc_lo, v8, v8
	v_bfe_u32 v29, v1, 16, 1
	v_add_f32_e32 v5, v5, v6
	v_dual_mul_f32 v2, v2, v26 :: v_dual_and_b32 v7, 0xffff0000, v7
	s_wait_alu 0xfffd
	v_cndmask_b32_e32 v8, v27, v28, vcc_lo
	v_add3_u32 v27, v29, v1, 0x7fff
	v_or_b32_e32 v13, 0x400000, v1
	v_bfe_u32 v26, v2, 16, 1
	v_cmp_u_f32_e32 vcc_lo, v1, v1
	v_and_b32_e32 v22, 0xffff0000, v22
	v_bfe_u32 v28, v3, 16, 1
	s_delay_alu instid0(VALU_DEP_4)
	v_add3_u32 v14, v26, v2, 0x7fff
	v_or_b32_e32 v26, 0x400000, v2
	s_wait_alu 0xfffd
	v_cndmask_b32_e32 v1, v27, v13, vcc_lo
	v_cmp_u_f32_e32 vcc_lo, v2, v2
	v_add3_u32 v13, v28, v3, 0x7fff
	v_or_b32_e32 v27, 0x400000, v3
	s_wait_alu 0xfffd
	v_dual_cndmask_b32 v2, v14, v26 :: v_dual_and_b32 v1, 0xffff0000, v1
	s_delay_alu instid0(VALU_DEP_1) | instskip(NEXT) | instid1(VALU_DEP_1)
	v_and_b32_e32 v2, 0xffff0000, v2
	v_dual_add_f32 v1, v1, v2 :: v_dual_and_b32 v8, 0xffff0000, v8
	s_delay_alu instid0(VALU_DEP_1) | instskip(SKIP_3) | instid1(VALU_DEP_4)
	v_dual_add_f32 v6, v7, v8 :: v_dual_and_b32 v7, 0xffff0000, v23
	v_bfe_u32 v29, v4, 16, 1
	v_or_b32_e32 v26, 0x400000, v4
	v_cmp_u_f32_e32 vcc_lo, v4, v4
	v_dual_add_f32 v5, v6, v5 :: v_dual_add_f32 v6, v7, v22
	s_delay_alu instid0(VALU_DEP_4) | instskip(SKIP_1) | instid1(VALU_DEP_1)
	v_add3_u32 v14, v29, v4, 0x7fff
	s_wait_alu 0xfffd
	v_dual_add_f32 v1, v1, v5 :: v_dual_cndmask_b32 v4, v14, v26
	v_cmp_u_f32_e32 vcc_lo, v3, v3
	s_wait_alu 0xfffd
	v_cndmask_b32_e32 v3, v13, v27, vcc_lo
	v_cmp_le_i32_e32 vcc_lo, s27, v16
	s_delay_alu instid0(VALU_DEP_2) | instskip(SKIP_3) | instid1(VALU_DEP_1)
	v_and_b32_e32 v3, 0xffff0000, v3
	v_and_b32_e32 v2, 0xffff0000, v4
	v_add_f32_e32 v4, v24, v25
	s_or_b32 s8, vcc_lo, s8
	v_dual_add_f32 v2, v3, v2 :: v_dual_add_f32 v3, v6, v4
	s_delay_alu instid0(VALU_DEP_1) | instskip(NEXT) | instid1(VALU_DEP_1)
	v_add_f32_e32 v1, v2, v1
	v_dual_add_f32 v18, v18, v3 :: v_dual_add_f32 v19, v19, v1
	s_wait_alu 0xfffe
	s_and_not1_b32 exec_lo, exec_lo, s8
	s_cbranch_execz .LBB323_37
.LBB323_33:                             ; =>This Inner Loop Header: Depth=1
	global_load_b32 v1, v[11:12], off
	v_cmp_eq_u32_e32 vcc_lo, s33, v16
	s_wait_loadcnt 0x0
	v_mad_co_i64_i32 v[13:14], null, v1, s5, v[9:10]
	global_load_b64 v[22:23], v[13:14], off
	ds_load_2addr_b64 v[5:8], v21 offset1:1
	ds_load_2addr_b64 v[1:4], v21 offset0:2 offset1:3
	s_wait_loadcnt 0x0
	v_and_b32_e32 v24, 0xff, v22
	v_bfe_u32 v26, v22, 8, 8
	v_bfe_u32 v27, v22, 16, 8
	v_lshrrev_b32_e32 v22, 24, v22
	v_and_b32_e32 v28, 0xff, v23
	v_cvt_f32_fp8_e32 v24, v24
	v_cvt_f32_fp8_e32 v26, v26
	v_add_nc_u32_e32 v25, -7, v20
	v_cvt_f32_fp8_e32 v27, v27
	v_add_nc_u32_e32 v36, -5, v20
	v_mul_f32_e32 v24, s3, v24
	v_mul_f32_e32 v26, s3, v26
	v_cvt_f32_fp8_e32 v22, v22
	v_mul_f32_e32 v27, s3, v27
	v_add_nc_u32_e32 v37, -6, v20
	v_bfe_u32 v31, v24, 16, 1
	v_or_b32_e32 v35, 0x400000, v24
	v_bfe_u32 v38, v26, 16, 1
	v_cmp_u_f32_e64 s0, v24, v24
	v_bfe_u32 v29, v23, 8, 8
	v_add3_u32 v31, v31, v24, 0x7fff
	v_cvt_f32_fp8_e32 v28, v28
	v_mul_f32_e32 v22, s3, v22
	v_or_b32_e32 v39, 0x400000, v26
	v_bfe_u32 v40, v27, 16, 1
	v_add3_u32 v38, v38, v26, 0x7fff
	s_wait_alu 0xf1ff
	v_cndmask_b32_e64 v24, v31, v35, s0
	v_cmp_u_f32_e64 s0, v26, v26
	v_bfe_u32 v30, v23, 16, 8
	v_cvt_f32_fp8_e32 v29, v29
	v_mul_f32_e32 v28, s3, v28
	v_or_b32_e32 v41, 0x400000, v27
	v_bfe_u32 v42, v22, 16, 1
	v_add3_u32 v40, v40, v27, 0x7fff
	s_wait_alu 0xf1ff
	v_cndmask_b32_e64 v26, v38, v39, s0
	v_cmp_u_f32_e64 s0, v27, v27
	v_dual_mul_f32 v29, s3, v29 :: v_dual_add_nc_u32 v34, -4, v20
	v_lshrrev_b32_e32 v23, 24, v23
	v_cvt_f32_fp8_e32 v30, v30
	v_or_b32_e32 v43, 0x400000, v22
	v_bfe_u32 v44, v28, 16, 1
	v_add3_u32 v42, v42, v22, 0x7fff
	s_wait_alu 0xf1ff
	v_cndmask_b32_e64 v27, v40, v41, s0
	v_cmp_u_f32_e64 s0, v22, v22
	v_dual_mul_f32 v30, s3, v30 :: v_dual_add_nc_u32 v33, -3, v20
	v_cvt_f32_fp8_e32 v23, v23
	v_or_b32_e32 v45, 0x400000, v28
	v_bfe_u32 v46, v29, 16, 1
	v_add3_u32 v44, v44, v28, 0x7fff
	s_wait_alu 0xf1ff
	v_cndmask_b32_e64 v22, v42, v43, s0
	v_cmp_u_f32_e64 s0, v28, v28
	v_dual_mul_f32 v23, s3, v23 :: v_dual_add_nc_u32 v32, -2, v20
	v_or_b32_e32 v47, 0x400000, v29
	v_bfe_u32 v48, v30, 16, 1
	v_add3_u32 v46, v46, v29, 0x7fff
	s_wait_alu 0xf1ff
	v_cndmask_b32_e64 v31, v44, v45, s0
	v_cmp_u_f32_e64 s0, v29, v29
	v_or_b32_e32 v49, 0x400000, v30
	v_bfe_u32 v50, v23, 16, 1
	v_add3_u32 v48, v48, v30, 0x7fff
	v_or_b32_e32 v51, 0x400000, v23
	s_wait_alu 0xf1ff
	v_cndmask_b32_e64 v35, v46, v47, s0
	v_cmp_u_f32_e64 s0, v30, v30
	v_add3_u32 v50, v50, v23, 0x7fff
	v_lshrrev_b32_e32 v30, 16, v24
	v_lshrrev_b32_e32 v29, 16, v26
	;; [unrolled: 1-line block ×3, first 2 shown]
	s_wait_alu 0xf1ff
	v_cndmask_b32_e64 v38, v48, v49, s0
	v_cmp_u_f32_e64 s0, v23, v23
	v_lshrrev_b32_e32 v27, 16, v22
	v_lshrrev_b32_e32 v26, 16, v31
	;; [unrolled: 1-line block ×4, first 2 shown]
	s_wait_alu 0xf1ff
	v_cndmask_b32_e64 v39, v50, v51, s0
	v_add_nc_u32_e32 v42, -1, v20
	s_delay_alu instid0(VALU_DEP_2)
	v_lshrrev_b32_e32 v22, 16, v39
	s_and_saveexec_b32 s9, vcc_lo
	s_cbranch_execz .LBB323_35
; %bb.34:                               ;   in Loop: Header=BB323_33 Depth=1
	v_cmp_gt_i32_e64 s0, s26, v25
	s_wait_alu 0xf1ff
	s_delay_alu instid0(VALU_DEP_1) | instskip(SKIP_2) | instid1(VALU_DEP_1)
	v_cndmask_b32_e64 v30, 0, v30, s0
	v_cmp_gt_i32_e64 s0, s26, v37
	s_wait_alu 0xf1ff
	v_cndmask_b32_e64 v29, 0, v29, s0
	v_cmp_gt_i32_e64 s0, s26, v36
	s_wait_alu 0xf1ff
	s_delay_alu instid0(VALU_DEP_1) | instskip(SKIP_2) | instid1(VALU_DEP_1)
	v_cndmask_b32_e64 v28, 0, v28, s0
	v_cmp_gt_i32_e64 s0, s26, v34
	s_wait_alu 0xf1ff
	v_cndmask_b32_e64 v27, 0, v27, s0
	;; [unrolled: 7-line block ×4, first 2 shown]
.LBB323_35:                             ;   in Loop: Header=BB323_33 Depth=1
	s_wait_alu 0xfffe
	s_or_b32 exec_lo, exec_lo, s9
	global_load_b64 v[13:14], v[13:14], off offset:256
	s_wait_loadcnt 0x0
	v_bfe_u32 v38, v13, 16, 8
	v_bfe_u32 v40, v14, 8, 8
	;; [unrolled: 1-line block ×4, first 2 shown]
	s_delay_alu instid0(VALU_DEP_4)
	v_cvt_f32_fp8_e32 v38, v38
	v_and_b32_e32 v31, 0xff, v13
	v_cvt_f32_fp8_e32 v40, v40
	v_and_b32_e32 v39, 0xff, v14
	v_lshrrev_b32_e32 v14, 24, v14
	v_mul_f32_e32 v38, s3, v38
	v_cvt_f32_fp8_e32 v31, v31
	v_cvt_f32_fp8_e32 v35, v35
	v_lshrrev_b32_e32 v13, 24, v13
	v_cvt_f32_fp8_e32 v14, v14
	s_delay_alu instid0(VALU_DEP_4) | instskip(NEXT) | instid1(VALU_DEP_4)
	v_dual_mul_f32 v40, s3, v40 :: v_dual_mul_f32 v31, s3, v31
	v_mul_f32_e32 v35, s3, v35
	s_delay_alu instid0(VALU_DEP_4) | instskip(NEXT) | instid1(VALU_DEP_4)
	v_cvt_f32_fp8_e32 v13, v13
	v_mul_f32_e32 v14, s3, v14
	v_cvt_f32_fp8_e32 v39, v39
	v_bfe_u32 v43, v31, 16, 1
	v_or_b32_e32 v44, 0x400000, v31
	v_bfe_u32 v45, v35, 16, 1
	v_cmp_u_f32_e64 s0, v31, v31
	v_mul_f32_e32 v13, s3, v13
	v_add3_u32 v43, v43, v31, 0x7fff
	v_or_b32_e32 v46, 0x400000, v35
	v_bfe_u32 v47, v38, 16, 1
	v_add3_u32 v45, v45, v35, 0x7fff
	v_mul_f32_e32 v39, s3, v39
	s_wait_alu 0xf1ff
	v_cndmask_b32_e64 v31, v43, v44, s0
	v_cmp_u_f32_e64 s0, v35, v35
	v_or_b32_e32 v48, 0x400000, v38
	v_bfe_u32 v49, v13, 16, 1
	v_add3_u32 v47, v47, v38, 0x7fff
	v_cvt_f32_fp8_e32 v41, v41
	s_wait_alu 0xf1ff
	v_cndmask_b32_e64 v35, v45, v46, s0
	v_cmp_u_f32_e64 s0, v38, v38
	v_or_b32_e32 v50, 0x400000, v13
	v_bfe_u32 v51, v39, 16, 1
	v_add3_u32 v49, v49, v13, 0x7fff
	v_mul_f32_e32 v41, s3, v41
	s_wait_alu 0xf1ff
	v_cndmask_b32_e64 v38, v47, v48, s0
	v_cmp_u_f32_e64 s0, v13, v13
	v_or_b32_e32 v52, 0x400000, v39
	v_bfe_u32 v53, v40, 16, 1
	v_add3_u32 v51, v51, v39, 0x7fff
	v_or_b32_e32 v54, 0x400000, v40
	s_wait_alu 0xf1ff
	v_cndmask_b32_e64 v13, v49, v50, s0
	v_cmp_u_f32_e64 s0, v39, v39
	v_bfe_u32 v55, v41, 16, 1
	v_add3_u32 v53, v53, v40, 0x7fff
	v_or_b32_e32 v56, 0x400000, v41
	v_bfe_u32 v57, v14, 16, 1
	s_wait_alu 0xf1ff
	v_cndmask_b32_e64 v43, v51, v52, s0
	v_cmp_u_f32_e64 s0, v40, v40
	v_add3_u32 v55, v55, v41, 0x7fff
	v_or_b32_e32 v58, 0x400000, v14
	v_add3_u32 v57, v57, v14, 0x7fff
	v_lshrrev_b32_e32 v40, 16, v35
	s_wait_alu 0xf1ff
	v_cndmask_b32_e64 v44, v53, v54, s0
	v_cmp_u_f32_e64 s0, v41, v41
	v_lshrrev_b32_e32 v41, 16, v31
	v_lshrrev_b32_e32 v39, 16, v38
	;; [unrolled: 1-line block ×4, first 2 shown]
	s_wait_alu 0xf1ff
	v_cndmask_b32_e64 v45, v55, v56, s0
	v_cmp_u_f32_e64 s0, v14, v14
	v_lshrrev_b32_e32 v31, 16, v44
	s_delay_alu instid0(VALU_DEP_3) | instskip(SKIP_1) | instid1(VALU_DEP_3)
	v_lshrrev_b32_e32 v14, 16, v45
	s_wait_alu 0xf1ff
	v_cndmask_b32_e64 v46, v57, v58, s0
	s_delay_alu instid0(VALU_DEP_1)
	v_lshrrev_b32_e32 v13, 16, v46
	s_and_saveexec_b32 s0, vcc_lo
	s_cbranch_execz .LBB323_32
; %bb.36:                               ;   in Loop: Header=BB323_33 Depth=1
	v_cmp_gt_i32_e32 vcc_lo, s26, v25
	s_wait_alu 0xfffd
	v_cndmask_b32_e32 v41, 0, v41, vcc_lo
	v_cmp_gt_i32_e32 vcc_lo, s26, v37
	s_wait_alu 0xfffd
	v_cndmask_b32_e32 v40, 0, v40, vcc_lo
	;; [unrolled: 3-line block ×8, first 2 shown]
	s_branch .LBB323_32
.LBB323_37:
	s_or_b32 exec_lo, exec_lo, s8
.LBB323_38:
	s_wait_alu 0xfffe
	s_or_b32 exec_lo, exec_lo, s1
	v_lshl_add_u32 v2, v17, 2, 0xa0
	v_and_b32_e32 v3, 0x3c0, v0
	s_mov_b32 s0, exec_lo
	s_wait_loadcnt 0x0
	s_wait_storecnt 0x0
	s_barrier_signal -1
	v_lshl_add_u32 v1, v15, 8, v2
	s_barrier_wait -1
	global_inv scope:SCOPE_SE
	v_cmpx_eq_u32_e32 64, v3
	s_cbranch_execz .LBB323_40
; %bb.39:
	v_add_nc_u32_e32 v3, 0xfffffe00, v1
	v_add_nc_u32_e32 v4, 0xfffffe80, v1
	ds_store_b32 v3, v18
	ds_store_b32 v4, v19
.LBB323_40:
	s_wait_alu 0xfffe
	s_or_b32 exec_lo, exec_lo, s0
	s_delay_alu instid0(SALU_CYCLE_1)
	s_mov_b32 s0, exec_lo
	s_wait_loadcnt_dscnt 0x0
	s_barrier_signal -1
	s_barrier_wait -1
	global_inv scope:SCOPE_SE
	v_cmpx_gt_u32_e32 64, v0
	s_cbranch_execz .LBB323_42
; %bb.41:
	ds_load_2addr_b32 v[3:4], v1 offset1:32
	s_wait_dscnt 0x0
	v_dual_add_f32 v18, v18, v3 :: v_dual_add_f32 v19, v19, v4
.LBB323_42:
	s_wait_alu 0xfffe
	s_or_b32 exec_lo, exec_lo, s0
	v_and_b32_e32 v3, 0x3e0, v0
	s_mov_b32 s0, exec_lo
	s_wait_loadcnt 0x0
	s_barrier_signal -1
	s_barrier_wait -1
	global_inv scope:SCOPE_SE
	v_cmpx_eq_u32_e32 32, v3
; %bb.43:
	ds_store_2addr_b32 v2, v18, v19 offset1:32
; %bb.44:
	s_wait_alu 0xfffe
	s_or_b32 exec_lo, exec_lo, s0
	s_wait_loadcnt_dscnt 0x0
	s_barrier_signal -1
	s_barrier_wait -1
	global_inv scope:SCOPE_SE
	s_and_saveexec_b32 s0, s2
	s_cbranch_execz .LBB323_46
; %bb.45:
	ds_load_2addr_b32 v[1:2], v1 offset1:32
	s_wait_dscnt 0x0
	v_dual_add_f32 v18, v18, v1 :: v_dual_add_f32 v19, v19, v2
.LBB323_46:
	s_wait_alu 0xfffe
	s_or_b32 exec_lo, exec_lo, s0
	s_wait_loadcnt 0x0
	s_barrier_signal -1
	s_barrier_wait -1
	global_inv scope:SCOPE_SE
	s_and_saveexec_b32 s0, s2
	s_cbranch_execz .LBB323_48
; %bb.47:
	v_bfe_u32 v1, v18, 16, 1
	v_bfe_u32 v2, v19, 16, 1
	v_or_b32_e32 v3, 0x400000, v18
	v_cmp_u_f32_e32 vcc_lo, v18, v18
	s_lshl_b32 s0, s4, 6
	v_add3_u32 v1, v1, v18, 0x7fff
	s_mul_i32 s2, s21, s20
	s_wait_alu 0xfffe
	s_ashr_i32 s1, s0, 31
	v_add3_u32 v2, v2, v19, 0x7fff
	v_or_b32_e32 v4, 0x400000, v19
	s_wait_alu 0xfffd
	v_dual_cndmask_b32 v1, v1, v3 :: v_dual_lshlrev_b32 v0, 1, v0
	v_cmp_u_f32_e32 vcc_lo, v19, v19
	s_ashr_i32 s3, s2, 31
	s_wait_alu 0xfffe
	s_lshl_b64 s[0:1], s[0:1], 1
	s_lshl_b64 s[2:3], s[2:3], 1
	s_wait_alu 0xfffe
	s_add_nc_u64 s[0:1], s[6:7], s[0:1]
	s_wait_alu 0xfffd
	v_cndmask_b32_e32 v2, v2, v4, vcc_lo
	s_wait_alu 0xfffe
	s_add_nc_u64 s[0:1], s[0:1], s[2:3]
	s_lshl_b32 s2, s16, 1
	s_mov_b32 s3, 0
	s_wait_alu 0xfffe
	s_add_nc_u64 s[0:1], s[0:1], s[2:3]
	s_clause 0x1
	global_store_d16_hi_b16 v0, v1, s[0:1]
	global_store_d16_hi_b16 v0, v2, s[0:1] offset:64
.LBB323_48:
	s_endpgm
	.section	.rodata,"a",@progbits
	.p2align	6, 0x0
	.amdhsa_kernel _ZN4vllm25paged_attention_v2_kernelI14__hip_bfloat16hLi64ELi8ELi128ELNS_18Fp8KVCacheDataTypeE1ELb0ELi512EEEvPfS3_PT_PKS4_PKT0_SA_ifPKiSC_iPKfiiiSE_SE_iiiii
		.amdhsa_group_segment_fixed_size 160
		.amdhsa_private_segment_fixed_size 0
		.amdhsa_kernarg_size 400
		.amdhsa_user_sgpr_count 2
		.amdhsa_user_sgpr_dispatch_ptr 0
		.amdhsa_user_sgpr_queue_ptr 0
		.amdhsa_user_sgpr_kernarg_segment_ptr 1
		.amdhsa_user_sgpr_dispatch_id 0
		.amdhsa_user_sgpr_private_segment_size 0
		.amdhsa_wavefront_size32 1
		.amdhsa_uses_dynamic_stack 0
		.amdhsa_enable_private_segment 0
		.amdhsa_system_sgpr_workgroup_id_x 1
		.amdhsa_system_sgpr_workgroup_id_y 1
		.amdhsa_system_sgpr_workgroup_id_z 1
		.amdhsa_system_sgpr_workgroup_info 0
		.amdhsa_system_vgpr_workitem_id 0
		.amdhsa_next_free_vgpr 82
		.amdhsa_next_free_sgpr 36
		.amdhsa_reserve_vcc 1
		.amdhsa_float_round_mode_32 0
		.amdhsa_float_round_mode_16_64 0
		.amdhsa_float_denorm_mode_32 3
		.amdhsa_float_denorm_mode_16_64 3
		.amdhsa_fp16_overflow 0
		.amdhsa_workgroup_processor_mode 1
		.amdhsa_memory_ordered 1
		.amdhsa_forward_progress 1
		.amdhsa_inst_pref_size 60
		.amdhsa_round_robin_scheduling 0
		.amdhsa_exception_fp_ieee_invalid_op 0
		.amdhsa_exception_fp_denorm_src 0
		.amdhsa_exception_fp_ieee_div_zero 0
		.amdhsa_exception_fp_ieee_overflow 0
		.amdhsa_exception_fp_ieee_underflow 0
		.amdhsa_exception_fp_ieee_inexact 0
		.amdhsa_exception_int_div_zero 0
	.end_amdhsa_kernel
	.section	.text._ZN4vllm25paged_attention_v2_kernelI14__hip_bfloat16hLi64ELi8ELi128ELNS_18Fp8KVCacheDataTypeE1ELb0ELi512EEEvPfS3_PT_PKS4_PKT0_SA_ifPKiSC_iPKfiiiSE_SE_iiiii,"axG",@progbits,_ZN4vllm25paged_attention_v2_kernelI14__hip_bfloat16hLi64ELi8ELi128ELNS_18Fp8KVCacheDataTypeE1ELb0ELi512EEEvPfS3_PT_PKS4_PKT0_SA_ifPKiSC_iPKfiiiSE_SE_iiiii,comdat
.Lfunc_end323:
	.size	_ZN4vllm25paged_attention_v2_kernelI14__hip_bfloat16hLi64ELi8ELi128ELNS_18Fp8KVCacheDataTypeE1ELb0ELi512EEEvPfS3_PT_PKS4_PKT0_SA_ifPKiSC_iPKfiiiSE_SE_iiiii, .Lfunc_end323-_ZN4vllm25paged_attention_v2_kernelI14__hip_bfloat16hLi64ELi8ELi128ELNS_18Fp8KVCacheDataTypeE1ELb0ELi512EEEvPfS3_PT_PKS4_PKT0_SA_ifPKiSC_iPKfiiiSE_SE_iiiii
                                        ; -- End function
	.set _ZN4vllm25paged_attention_v2_kernelI14__hip_bfloat16hLi64ELi8ELi128ELNS_18Fp8KVCacheDataTypeE1ELb0ELi512EEEvPfS3_PT_PKS4_PKT0_SA_ifPKiSC_iPKfiiiSE_SE_iiiii.num_vgpr, 82
	.set _ZN4vllm25paged_attention_v2_kernelI14__hip_bfloat16hLi64ELi8ELi128ELNS_18Fp8KVCacheDataTypeE1ELb0ELi512EEEvPfS3_PT_PKS4_PKT0_SA_ifPKiSC_iPKfiiiSE_SE_iiiii.num_agpr, 0
	.set _ZN4vllm25paged_attention_v2_kernelI14__hip_bfloat16hLi64ELi8ELi128ELNS_18Fp8KVCacheDataTypeE1ELb0ELi512EEEvPfS3_PT_PKS4_PKT0_SA_ifPKiSC_iPKfiiiSE_SE_iiiii.numbered_sgpr, 36
	.set _ZN4vllm25paged_attention_v2_kernelI14__hip_bfloat16hLi64ELi8ELi128ELNS_18Fp8KVCacheDataTypeE1ELb0ELi512EEEvPfS3_PT_PKS4_PKT0_SA_ifPKiSC_iPKfiiiSE_SE_iiiii.num_named_barrier, 0
	.set _ZN4vllm25paged_attention_v2_kernelI14__hip_bfloat16hLi64ELi8ELi128ELNS_18Fp8KVCacheDataTypeE1ELb0ELi512EEEvPfS3_PT_PKS4_PKT0_SA_ifPKiSC_iPKfiiiSE_SE_iiiii.private_seg_size, 0
	.set _ZN4vllm25paged_attention_v2_kernelI14__hip_bfloat16hLi64ELi8ELi128ELNS_18Fp8KVCacheDataTypeE1ELb0ELi512EEEvPfS3_PT_PKS4_PKT0_SA_ifPKiSC_iPKfiiiSE_SE_iiiii.uses_vcc, 1
	.set _ZN4vllm25paged_attention_v2_kernelI14__hip_bfloat16hLi64ELi8ELi128ELNS_18Fp8KVCacheDataTypeE1ELb0ELi512EEEvPfS3_PT_PKS4_PKT0_SA_ifPKiSC_iPKfiiiSE_SE_iiiii.uses_flat_scratch, 0
	.set _ZN4vllm25paged_attention_v2_kernelI14__hip_bfloat16hLi64ELi8ELi128ELNS_18Fp8KVCacheDataTypeE1ELb0ELi512EEEvPfS3_PT_PKS4_PKT0_SA_ifPKiSC_iPKfiiiSE_SE_iiiii.has_dyn_sized_stack, 0
	.set _ZN4vllm25paged_attention_v2_kernelI14__hip_bfloat16hLi64ELi8ELi128ELNS_18Fp8KVCacheDataTypeE1ELb0ELi512EEEvPfS3_PT_PKS4_PKT0_SA_ifPKiSC_iPKfiiiSE_SE_iiiii.has_recursion, 0
	.set _ZN4vllm25paged_attention_v2_kernelI14__hip_bfloat16hLi64ELi8ELi128ELNS_18Fp8KVCacheDataTypeE1ELb0ELi512EEEvPfS3_PT_PKS4_PKT0_SA_ifPKiSC_iPKfiiiSE_SE_iiiii.has_indirect_call, 0
	.section	.AMDGPU.csdata,"",@progbits
; Kernel info:
; codeLenInByte = 7656
; TotalNumSgprs: 38
; NumVgprs: 82
; ScratchSize: 0
; MemoryBound: 0
; FloatMode: 240
; IeeeMode: 1
; LDSByteSize: 160 bytes/workgroup (compile time only)
; SGPRBlocks: 0
; VGPRBlocks: 10
; NumSGPRsForWavesPerEU: 38
; NumVGPRsForWavesPerEU: 82
; Occupancy: 16
; WaveLimiterHint : 1
; COMPUTE_PGM_RSRC2:SCRATCH_EN: 0
; COMPUTE_PGM_RSRC2:USER_SGPR: 2
; COMPUTE_PGM_RSRC2:TRAP_HANDLER: 0
; COMPUTE_PGM_RSRC2:TGID_X_EN: 1
; COMPUTE_PGM_RSRC2:TGID_Y_EN: 1
; COMPUTE_PGM_RSRC2:TGID_Z_EN: 1
; COMPUTE_PGM_RSRC2:TIDIG_COMP_CNT: 0
	.section	.text._ZN4vllm25paged_attention_v2_kernelI14__hip_bfloat16hLi80ELi8ELi128ELNS_18Fp8KVCacheDataTypeE1ELb0ELi512EEEvPfS3_PT_PKS4_PKT0_SA_ifPKiSC_iPKfiiiSE_SE_iiiii,"axG",@progbits,_ZN4vllm25paged_attention_v2_kernelI14__hip_bfloat16hLi80ELi8ELi128ELNS_18Fp8KVCacheDataTypeE1ELb0ELi512EEEvPfS3_PT_PKS4_PKT0_SA_ifPKiSC_iPKfiiiSE_SE_iiiii,comdat
	.protected	_ZN4vllm25paged_attention_v2_kernelI14__hip_bfloat16hLi80ELi8ELi128ELNS_18Fp8KVCacheDataTypeE1ELb0ELi512EEEvPfS3_PT_PKS4_PKT0_SA_ifPKiSC_iPKfiiiSE_SE_iiiii ; -- Begin function _ZN4vllm25paged_attention_v2_kernelI14__hip_bfloat16hLi80ELi8ELi128ELNS_18Fp8KVCacheDataTypeE1ELb0ELi512EEEvPfS3_PT_PKS4_PKT0_SA_ifPKiSC_iPKfiiiSE_SE_iiiii
	.globl	_ZN4vllm25paged_attention_v2_kernelI14__hip_bfloat16hLi80ELi8ELi128ELNS_18Fp8KVCacheDataTypeE1ELb0ELi512EEEvPfS3_PT_PKS4_PKT0_SA_ifPKiSC_iPKfiiiSE_SE_iiiii
	.p2align	8
	.type	_ZN4vllm25paged_attention_v2_kernelI14__hip_bfloat16hLi80ELi8ELi128ELNS_18Fp8KVCacheDataTypeE1ELb0ELi512EEEvPfS3_PT_PKS4_PKT0_SA_ifPKiSC_iPKfiiiSE_SE_iiiii,@function
_ZN4vllm25paged_attention_v2_kernelI14__hip_bfloat16hLi80ELi8ELi128ELNS_18Fp8KVCacheDataTypeE1ELb0ELi512EEEvPfS3_PT_PKS4_PKT0_SA_ifPKiSC_iPKfiiiSE_SE_iiiii: ; @_ZN4vllm25paged_attention_v2_kernelI14__hip_bfloat16hLi80ELi8ELi128ELNS_18Fp8KVCacheDataTypeE1ELb0ELi512EEEvPfS3_PT_PKS4_PKT0_SA_ifPKiSC_iPKfiiiSE_SE_iiiii
; %bb.0:
	s_load_b64 s[2:3], s[0:1], 0x40
	s_and_b32 s15, ttmp7, 0xffff
	s_lshr_b32 s26, ttmp7, 16
	s_lshl_b32 s4, s15, 2
	s_lshl_b32 s28, s26, 9
	s_wait_kmcnt 0x0
	s_load_b32 s27, s[2:3], s4 offset:0x0
	s_wait_kmcnt 0x0
	s_cmp_ge_i32 s28, s27
	s_cbranch_scc1 .LBB324_59
; %bb.1:
	s_clause 0x1
	s_load_b32 s29, s[0:1], 0x90
	s_load_b64 s[8:9], s[0:1], 0x30
	s_wait_kmcnt 0x0
	s_abs_i32 s5, s29
	s_abs_i32 s2, s8
	s_delay_alu instid0(SALU_CYCLE_1) | instskip(SKIP_1) | instid1(SALU_CYCLE_2)
	s_cvt_f32_u32 s3, s2
	s_sub_co_i32 s4, 0, s2
	v_rcp_iflag_f32_e32 v1, s3
	s_delay_alu instid0(TRANS32_DEP_1) | instskip(SKIP_2) | instid1(SALU_CYCLE_2)
	v_readfirstlane_b32 s3, v1
	s_mul_f32 s3, s3, 0x4f7ffffe
	s_wait_alu 0xfffe
	s_cvt_u32_f32 s3, s3
	s_wait_alu 0xfffe
	s_delay_alu instid0(SALU_CYCLE_2) | instskip(NEXT) | instid1(SALU_CYCLE_1)
	s_mul_i32 s4, s4, s3
	s_mul_hi_u32 s4, s3, s4
	s_delay_alu instid0(SALU_CYCLE_1)
	s_add_co_i32 s3, s3, s4
	s_xor_b32 s4, s29, s8
	s_wait_alu 0xfffe
	s_mul_hi_u32 s3, s5, s3
	s_ashr_i32 s4, s4, 31
	s_wait_alu 0xfffe
	s_mul_i32 s6, s3, s2
	s_delay_alu instid0(SALU_CYCLE_1)
	s_sub_co_i32 s5, s5, s6
	s_add_co_i32 s6, s3, 1
	s_sub_co_i32 s7, s5, s2
	s_cmp_ge_u32 s5, s2
	s_cselect_b32 s3, s6, s3
	s_cselect_b32 s5, s7, s5
	s_wait_alu 0xfffe
	s_add_co_i32 s6, s3, 1
	s_cmp_ge_u32 s5, s2
	s_cselect_b32 s2, s6, s3
	s_load_b64 s[6:7], s[0:1], 0x50
	s_xor_b32 s2, s2, s4
	s_mov_b32 s3, 0
	s_wait_alu 0xfffe
	s_sub_co_i32 s11, s2, s4
	s_mov_b32 s8, s3
	s_abs_i32 s10, s11
	s_delay_alu instid0(SALU_CYCLE_1) | instskip(SKIP_1) | instid1(SALU_CYCLE_2)
	s_cvt_f32_u32 s2, s10
	s_wait_alu 0xfffe
	v_rcp_iflag_f32_e32 v1, s2
	s_delay_alu instid0(TRANS32_DEP_1) | instskip(SKIP_2) | instid1(SALU_CYCLE_2)
	v_readfirstlane_b32 s2, v1
	s_mul_f32 s2, s2, 0x4f7ffffe
	s_wait_alu 0xfffe
	s_cvt_u32_f32 s4, s2
	s_sub_co_i32 s2, 0, s10
	s_wait_alu 0xfffe
	s_delay_alu instid0(SALU_CYCLE_1)
	s_mul_i32 s2, s2, s4
	s_wait_alu 0xfffe
	s_mul_hi_u32 s5, s4, s2
	s_abs_i32 s2, ttmp9
	s_add_co_i32 s4, s4, s5
	s_mov_b32 s5, s3
	s_wait_kmcnt 0x0
	s_cmp_eq_u64 s[6:7], 0
	s_cbranch_scc1 .LBB324_3
; %bb.2:
	s_mov_b32 s12, ttmp9
	s_ashr_i32 s13, ttmp9, 31
	s_delay_alu instid0(SALU_CYCLE_1) | instskip(NEXT) | instid1(SALU_CYCLE_1)
	s_lshl_b64 s[12:13], s[12:13], 2
	s_add_nc_u64 s[6:7], s[6:7], s[12:13]
	s_load_b32 s8, s[6:7], 0x0
.LBB324_3:
	s_load_b96 s[12:14], s[0:1], 0x58
	v_and_b32_e32 v1, 3, v0
	s_mul_u64 s[4:5], s[2:3], s[4:5]
	s_ashr_i32 s3, ttmp9, 31
	s_ashr_i32 s4, s11, 31
	s_mul_i32 s16, ttmp9, 0x50
	s_mov_b32 s6, exec_lo
	v_cmpx_gt_u32_e32 40, v0
	s_cbranch_execz .LBB324_5
; %bb.4:
	s_load_b64 s[18:19], s[0:1], 0x18
	s_wait_kmcnt 0x0
	s_mul_i32 s20, s12, s15
	s_ashr_i32 s17, s16, 31
	s_ashr_i32 s21, s20, 31
	v_lshlrev_b32_e32 v2, 2, v0
	s_lshl_b64 s[20:21], s[20:21], 1
	v_and_b32_e32 v3, 0x3fc, v0
	s_delay_alu instid0(VALU_DEP_1) | instskip(SKIP_2) | instid1(SALU_CYCLE_1)
	v_mad_u32_u24 v3, v1, 40, v3
	s_add_nc_u64 s[18:19], s[18:19], s[20:21]
	s_lshl_b64 s[20:21], s[16:17], 1
	s_add_nc_u64 s[18:19], s[18:19], s[20:21]
	global_load_b32 v2, v2, s[18:19]
	s_wait_loadcnt 0x0
	ds_store_b32 v3, v2
.LBB324_5:
	s_or_b32 exec_lo, exec_lo, s6
	s_add_co_i32 s6, s27, 7
	s_wait_alu 0xfffe
	s_xor_b32 s3, s3, s4
	s_ashr_i32 s7, s6, 31
	s_lshl_b32 s31, s26, 6
	s_lshr_b32 s4, s7, 29
	s_mul_i32 s7, s5, s10
	s_add_co_i32 s6, s6, s4
	s_add_co_i32 s4, s31, 64
	s_ashr_i32 s30, s6, 3
	s_load_b32 s6, s[0:1], 0x48
	s_sub_co_i32 s2, s2, s7
	s_min_i32 s17, s4, s30
	s_add_co_i32 s4, s5, 1
	s_wait_alu 0xfffe
	s_sub_co_i32 s7, s2, s10
	s_cmp_ge_u32 s2, s10
	v_lshrrev_b32_e32 v15, 5, v0
	s_cselect_b32 s4, s4, s5
	s_cselect_b32 s2, s7, s2
	s_add_co_i32 s5, s4, 1
	s_wait_alu 0xfffe
	s_cmp_ge_u32 s2, s10
	v_or_b32_e32 v16, s31, v15
	s_cselect_b32 s2, s5, s4
	v_mbcnt_lo_u32_b32 v7, -1, 0
	s_wait_alu 0xfffe
	s_xor_b32 s2, s2, s3
	s_mov_b32 s4, exec_lo
	s_wait_alu 0xfffe
	s_sub_co_i32 s3, s2, s3
	v_cmp_gt_i32_e64 s2, s17, v16
	s_wait_dscnt 0x0
	s_barrier_signal -1
	s_wait_kmcnt 0x0
	s_mul_i32 s18, s6, s15
	s_barrier_wait -1
	s_ashr_i32 s19, s18, 31
	global_inv scope:SCOPE_SE
                                        ; implicit-def: $vgpr8
                                        ; implicit-def: $vgpr9
	v_cmpx_le_i32_e64 s17, v16
	s_xor_b32 s4, exec_lo, s4
; %bb.6:
	v_dual_mov_b32 v8, 0 :: v_dual_mov_b32 v9, 32
	v_mbcnt_lo_u32_b32 v7, -1, 0
                                        ; implicit-def: $vgpr1
; %bb.7:
	s_or_saveexec_b32 s10, s4
	s_clause 0x2
	s_load_b32 s12, s[0:1], 0x98
	s_load_b64 s[20:21], s[0:1], 0x38
	s_load_b128 s[4:7], s[0:1], 0x68
	v_dual_mov_b32 v30, 0xff7fffff :: v_dual_lshlrev_b32 v5, 2, v16
	v_lshlrev_b32_e32 v6, 3, v15
	s_mul_i32 s22, s3, s14
	s_xor_b32 exec_lo, exec_lo, s10
	s_cbranch_execz .LBB324_13
; %bb.8:
	s_load_b64 s[24:25], s[0:1], 0x20
	v_mul_u32_u24_e32 v2, 40, v1
	v_bfe_u32 v4, v0, 2, 3
	v_mov_b32_e32 v8, 0
	s_ashr_i32 s23, s22, 31
	s_wait_kmcnt 0x0
	s_load_b32 s11, s[4:5], 0x0
	ds_load_2addr_b64 v[17:20], v2 offset1:1
	ds_load_2addr_b64 v[24:27], v2 offset0:2 offset1:3
	ds_load_b64 v[2:3], v2 offset:32
	v_lshlrev_b32_e32 v9, 4, v4
	v_lshlrev_b32_e32 v30, 1, v1
	s_cmp_neq_f32 s8, 0
	s_mov_b32 s14, 0
	v_mov_b32_e32 v37, v16
	s_add_nc_u64 s[24:25], s[24:25], s[22:23]
	s_mov_b32 s23, s13
	v_add_co_u32 v35, s3, s24, v9
	v_xor_b32_e32 v9, 2, v7
	s_wait_alu 0xf1ff
	v_add_co_ci_u32_e64 v36, null, s25, 0, s3
	s_cselect_b32 s3, -1, 0
	s_wait_dscnt 0x0
	v_lshlrev_b32_e32 v28, 16, v2
	v_and_b32_e32 v29, 0xffff0000, v2
	v_xor_b32_e32 v2, 1, v7
	v_cmp_gt_i32_e32 vcc_lo, 32, v9
	v_lshlrev_b32_e32 v12, 16, v18
	v_lshlrev_b32_e32 v31, 16, v3
	v_and_b32_e32 v32, 0xffff0000, v3
	v_lshlrev_b32_e32 v3, 2, v4
	v_cndmask_b32_e32 v33, v7, v9, vcc_lo
	v_cmp_gt_i32_e32 vcc_lo, 32, v2
	v_and_b32_e32 v11, 0xffff0000, v17
	v_mov_b32_e32 v9, 32
	v_lshl_or_b32 v3, v15, 5, v3
	v_lshlrev_b32_e32 v10, 16, v17
	s_wait_alu 0xfffd
	v_cndmask_b32_e32 v2, v7, v2, vcc_lo
	v_cmp_eq_u32_e32 vcc_lo, 0, v1
	v_add_co_u32 v1, s4, v35, v30
	v_and_b32_e32 v13, 0xffff0000, v18
	s_delay_alu instid0(VALU_DEP_4)
	v_lshlrev_b32_e32 v34, 2, v2
	v_add_co_ci_u32_e64 v2, null, 0, v36, s4
	s_lshl_b64 s[4:5], s[18:19], 2
	v_add_nc_u32_e32 v36, 0xc0, v3
	s_wait_alu 0xfffe
	s_add_nc_u64 s[4:5], s[20:21], s[4:5]
	v_lshlrev_b32_e32 v14, 16, v19
	s_wait_alu 0xfffe
	v_add_co_u32 v3, s4, s4, v5
	v_and_b32_e32 v17, 0xffff0000, v19
	v_lshlrev_b32_e32 v18, 16, v20
	v_and_b32_e32 v19, 0xffff0000, v20
	v_lshlrev_b32_e32 v20, 16, v24
	;; [unrolled: 2-line block ×6, first 2 shown]
	v_add3_u32 v35, s28, v6, v4
	s_wait_alu 0xf1ff
	v_add_co_ci_u32_e64 v4, null, s5, 0, s4
	v_mov_b32_e32 v30, 0xff7fffff
	s_sub_co_i32 s24, 1, s27
	s_branch .LBB324_10
.LBB324_9:                              ;   in Loop: Header=BB324_10 Depth=1
	s_wait_alu 0xfffe
	s_or_b32 exec_lo, exec_lo, s5
	v_add_nc_u32_e32 v37, 4, v37
	v_add_co_u32 v3, s5, v3, 16
	v_add_nc_u32_e32 v35, 32, v35
	v_add_nc_u32_e32 v36, 0x80, v36
	s_delay_alu instid0(VALU_DEP_4) | instskip(SKIP_3) | instid1(SALU_CYCLE_1)
	v_cmp_le_i32_e64 s4, s17, v37
	s_wait_alu 0xf1ff
	v_add_co_ci_u32_e64 v4, null, 0, v4, s5
	s_or_b32 s14, s4, s14
	s_and_not1_b32 exec_lo, exec_lo, s14
	s_cbranch_execz .LBB324_12
.LBB324_10:                             ; =>This Inner Loop Header: Depth=1
	global_load_b32 v38, v[3:4], off
	s_wait_loadcnt_dscnt 0x0
	v_mad_co_i64_i32 v[38:39], null, v38, s23, v[1:2]
	s_clause 0x9
	global_load_u16 v40, v[38:39], off
	global_load_u16 v41, v[38:39], off offset:8
	global_load_u16 v42, v[38:39], off offset:128
	;; [unrolled: 1-line block ×9, first 2 shown]
	s_wait_loadcnt 0x7
	v_and_b32_e32 v50, 0xff, v42
	v_lshrrev_b16 v42, 8, v42
	s_delay_alu instid0(VALU_DEP_2) | instskip(NEXT) | instid1(VALU_DEP_2)
	v_and_b32_e32 v50, 0xffff, v50
	v_and_b32_e32 v42, 0xffff, v42
	s_delay_alu instid0(VALU_DEP_2) | instskip(NEXT) | instid1(VALU_DEP_2)
	v_cvt_f32_fp8_e32 v50, v50
	v_cvt_f32_fp8_e32 v42, v42
	s_wait_loadcnt 0x6
	v_and_b32_e32 v51, 0xff, v43
	v_lshrrev_b16 v43, 8, v43
	s_wait_kmcnt 0x0
	v_dual_mul_f32 v50, s11, v50 :: v_dual_and_b32 v39, 0xff, v40
	v_lshrrev_b16 v40, 8, v40
	v_dual_mul_f32 v42, s11, v42 :: v_dual_and_b32 v51, 0xffff, v51
	v_and_b32_e32 v43, 0xffff, v43
	s_delay_alu instid0(VALU_DEP_4) | instskip(SKIP_1) | instid1(VALU_DEP_4)
	v_bfe_u32 v66, v50, 16, 1
	v_or_b32_e32 v67, 0x400000, v50
	v_bfe_u32 v68, v42, 16, 1
	v_cvt_f32_fp8_e32 v51, v51
	s_wait_loadcnt 0x1
	v_and_b32_e32 v56, 0xff, v48
	v_lshrrev_b16 v48, 8, v48
	v_cvt_f32_fp8_e32 v43, v43
	v_dual_mul_f32 v51, s11, v51 :: v_dual_and_b32 v40, 0xffff, v40
	s_delay_alu instid0(VALU_DEP_4) | instskip(NEXT) | instid1(VALU_DEP_3)
	v_and_b32_e32 v56, 0xffff, v56
	v_dual_mul_f32 v43, s11, v43 :: v_dual_and_b32 v48, 0xffff, v48
	s_delay_alu instid0(VALU_DEP_3)
	v_cvt_f32_fp8_e32 v40, v40
	v_and_b32_e32 v49, 0xff, v41
	v_lshrrev_b16 v41, 8, v41
	v_cvt_f32_fp8_e32 v56, v56
	s_wait_loadcnt 0x0
	v_and_b32_e32 v57, 0xff, v38
	v_cvt_f32_fp8_e32 v48, v48
	v_dual_mul_f32 v40, s11, v40 :: v_dual_and_b32 v41, 0xffff, v41
	s_delay_alu instid0(VALU_DEP_3) | instskip(NEXT) | instid1(VALU_DEP_3)
	v_dual_mul_f32 v56, s11, v56 :: v_dual_and_b32 v57, 0xffff, v57
	v_mul_f32_e32 v48, s11, v48
	s_delay_alu instid0(VALU_DEP_3) | instskip(NEXT) | instid1(VALU_DEP_4)
	v_bfe_u32 v60, v40, 16, 1
	v_cvt_f32_fp8_e32 v41, v41
	v_and_b32_e32 v54, 0xff, v46
	v_cvt_f32_fp8_e32 v57, v57
	v_lshrrev_b16 v46, 8, v46
	v_or_b32_e32 v61, 0x400000, v40
	s_delay_alu instid0(VALU_DEP_4) | instskip(NEXT) | instid1(VALU_DEP_3)
	v_dual_mul_f32 v41, s11, v41 :: v_dual_and_b32 v54, 0xffff, v54
	v_dual_mul_f32 v57, s11, v57 :: v_dual_and_b32 v46, 0xffff, v46
	v_add3_u32 v60, v60, v40, 0x7fff
	s_delay_alu instid0(VALU_DEP_3) | instskip(NEXT) | instid1(VALU_DEP_4)
	v_bfe_u32 v64, v41, 16, 1
	v_cvt_f32_fp8_e32 v54, v54
	v_and_b32_e32 v39, 0xffff, v39
	v_cvt_f32_fp8_e32 v46, v46
	v_and_b32_e32 v49, 0xffff, v49
	v_or_b32_e32 v65, 0x400000, v41
	v_mul_f32_e32 v54, s11, v54
	v_cvt_f32_fp8_e32 v39, v39
	v_mul_f32_e32 v46, s11, v46
	v_cvt_f32_fp8_e32 v49, v49
	v_and_b32_e32 v52, 0xff, v44
	v_lshrrev_b16 v44, 8, v44
	v_mul_f32_e32 v39, s11, v39
	v_add3_u32 v64, v64, v41, 0x7fff
	v_mul_f32_e32 v49, s11, v49
	v_add3_u32 v66, v66, v50, 0x7fff
	v_and_b32_e32 v44, 0xffff, v44
	v_bfe_u32 v58, v39, 16, 1
	v_or_b32_e32 v59, 0x400000, v39
	v_cmp_u_f32_e64 s4, v39, v39
	v_bfe_u32 v62, v49, 16, 1
	v_cvt_f32_fp8_e32 v44, v44
	v_add3_u32 v58, v58, v39, 0x7fff
	v_and_b32_e32 v55, 0xff, v47
	v_or_b32_e32 v63, 0x400000, v49
	v_add3_u32 v62, v62, v49, 0x7fff
	v_mul_f32_e32 v44, s11, v44
	s_wait_alu 0xf1ff
	v_cndmask_b32_e64 v39, v58, v59, s4
	v_cmp_u_f32_e64 s4, v40, v40
	v_and_b32_e32 v55, 0xffff, v55
	v_or_b32_e32 v69, 0x400000, v42
	v_bfe_u32 v70, v51, 16, 1
	v_add3_u32 v68, v68, v42, 0x7fff
	s_wait_alu 0xf1ff
	v_cndmask_b32_e64 v40, v60, v61, s4
	v_cmp_u_f32_e64 s4, v49, v49
	v_cvt_f32_fp8_e32 v55, v55
	v_and_b32_e32 v52, 0xffff, v52
	v_or_b32_e32 v71, 0x400000, v51
	v_bfe_u32 v72, v43, 16, 1
	s_wait_alu 0xf1ff
	v_cndmask_b32_e64 v49, v62, v63, s4
	v_cmp_u_f32_e64 s4, v41, v41
	v_mul_f32_e32 v55, s11, v55
	v_cvt_f32_fp8_e32 v52, v52
	v_and_b32_e32 v53, 0xff, v45
	v_lshrrev_b16 v45, 8, v45
	s_wait_alu 0xf1ff
	v_cndmask_b32_e64 v41, v64, v65, s4
	v_cmp_u_f32_e64 s4, v50, v50
	v_dual_mul_f32 v52, s11, v52 :: v_dual_and_b32 v53, 0xffff, v53
	v_add3_u32 v70, v70, v51, 0x7fff
	v_and_b32_e32 v45, 0xffff, v45
	s_wait_alu 0xf1ff
	v_cndmask_b32_e64 v50, v66, v67, s4
	v_cmp_u_f32_e64 s4, v42, v42
	v_cvt_f32_fp8_e32 v53, v53
	v_or_b32_e32 v73, 0x400000, v43
	v_bfe_u32 v74, v52, 16, 1
	v_add3_u32 v72, v72, v43, 0x7fff
	s_wait_alu 0xf1ff
	v_cndmask_b32_e64 v42, v68, v69, s4
	v_cmp_u_f32_e64 s4, v51, v51
	v_cvt_f32_fp8_e32 v45, v45
	v_mul_f32_e32 v53, s11, v53
	v_or_b32_e32 v75, 0x400000, v52
	v_bfe_u32 v76, v44, 16, 1
	s_wait_alu 0xf1ff
	v_cndmask_b32_e64 v51, v70, v71, s4
	v_cmp_u_f32_e64 s4, v43, v43
	v_add3_u32 v74, v74, v52, 0x7fff
	v_mul_f32_e32 v45, s11, v45
	v_or_b32_e32 v77, 0x400000, v44
	v_bfe_u32 v78, v53, 16, 1
	s_wait_alu 0xf1ff
	v_cndmask_b32_e64 v43, v72, v73, s4
	v_cmp_u_f32_e64 s4, v52, v52
	v_add3_u32 v76, v76, v44, 0x7fff
	v_lshrrev_b16 v47, 8, v47
	v_or_b32_e32 v79, 0x400000, v53
	v_bfe_u32 v80, v45, 16, 1
	s_wait_alu 0xf1ff
	v_cndmask_b32_e64 v52, v74, v75, s4
	v_cmp_u_f32_e64 s4, v44, v44
	v_add3_u32 v78, v78, v53, 0x7fff
	v_and_b32_e32 v47, 0xffff, v47
	v_or_b32_e32 v81, 0x400000, v45
	v_bfe_u32 v82, v54, 16, 1
	s_wait_alu 0xf1ff
	v_cndmask_b32_e64 v44, v76, v77, s4
	v_cmp_u_f32_e64 s4, v53, v53
	v_add3_u32 v80, v80, v45, 0x7fff
	v_and_b32_e32 v49, 0xffff0000, v49
	v_cvt_f32_fp8_e32 v47, v47
	v_or_b32_e32 v83, 0x400000, v54
	s_wait_alu 0xf1ff
	v_cndmask_b32_e64 v53, v78, v79, s4
	v_cmp_u_f32_e64 s4, v45, v45
	v_bfe_u32 v84, v46, 16, 1
	v_add3_u32 v82, v82, v54, 0x7fff
	v_and_b32_e32 v41, 0xffff0000, v41
	v_and_b32_e32 v39, 0xffff0000, v39
	s_wait_alu 0xf1ff
	v_cndmask_b32_e64 v45, v80, v81, s4
	v_cmp_u_f32_e64 s4, v54, v54
	v_mul_f32_e32 v49, v12, v49
	v_lshrrev_b16 v38, 8, v38
	v_mul_f32_e32 v47, s11, v47
	v_or_b32_e32 v85, 0x400000, v46
	v_bfe_u32 v86, v55, 16, 1
	v_add3_u32 v84, v84, v46, 0x7fff
	s_wait_alu 0xf1ff
	v_cndmask_b32_e64 v54, v82, v83, s4
	v_mul_f32_e32 v41, v13, v41
	v_cmp_u_f32_e64 s4, v46, v46
	v_dual_fmac_f32 v49, v10, v39 :: v_dual_and_b32 v50, 0xffff0000, v50
	v_and_b32_e32 v40, 0xffff0000, v40
	v_or_b32_e32 v87, 0x400000, v55
	v_bfe_u32 v88, v47, 16, 1
	v_add3_u32 v86, v86, v55, 0x7fff
	s_wait_alu 0xf1ff
	v_cndmask_b32_e64 v46, v84, v85, s4
	v_cmp_u_f32_e64 s4, v55, v55
	v_and_b32_e32 v43, 0xffff0000, v43
	v_and_b32_e32 v42, 0xffff0000, v42
	v_fmac_f32_e32 v49, v14, v50
	v_dual_fmac_f32 v41, v11, v40 :: v_dual_and_b32 v38, 0xffff, v38
	v_or_b32_e32 v89, 0x400000, v47
	v_bfe_u32 v90, v56, 16, 1
	v_add3_u32 v88, v88, v47, 0x7fff
	s_wait_alu 0xf1ff
	v_cndmask_b32_e64 v39, v86, v87, s4
	v_dual_fmac_f32 v41, v17, v42 :: v_dual_and_b32 v40, 0xffff0000, v51
	v_cmp_u_f32_e64 s4, v47, v47
	v_cvt_f32_fp8_e32 v38, v38
	v_or_b32_e32 v91, 0x400000, v56
	v_bfe_u32 v92, v48, 16, 1
	v_add3_u32 v90, v90, v56, 0x7fff
	s_wait_alu 0xf1ff
	v_cndmask_b32_e64 v42, v88, v89, s4
	v_and_b32_e32 v47, 0xffff0000, v52
	v_fmac_f32_e32 v49, v18, v40
	v_dual_fmac_f32 v41, v19, v43 :: v_dual_and_b32 v44, 0xffff0000, v44
	v_cmp_u_f32_e64 s4, v56, v56
	v_mul_f32_e32 v38, s11, v38
	v_or_b32_e32 v93, 0x400000, v48
	v_bfe_u32 v94, v57, 16, 1
	v_add3_u32 v92, v92, v48, 0x7fff
	s_wait_alu 0xf1ff
	v_cndmask_b32_e64 v40, v90, v91, s4
	v_and_b32_e32 v43, 0xffff0000, v53
	v_and_b32_e32 v45, 0xffff0000, v45
	v_fmac_f32_e32 v49, v20, v47
	v_dual_fmac_f32 v41, v21, v44 :: v_dual_and_b32 v46, 0xffff0000, v46
	v_cmp_u_f32_e64 s4, v48, v48
	v_or_b32_e32 v95, 0x400000, v57
	v_bfe_u32 v96, v38, 16, 1
	v_add3_u32 v94, v94, v57, 0x7fff
	v_and_b32_e32 v47, 0xffff0000, v54
	s_wait_alu 0xf1ff
	v_cndmask_b32_e64 v44, v92, v93, s4
	v_dual_fmac_f32 v49, v22, v43 :: v_dual_and_b32 v42, 0xffff0000, v42
	v_dual_fmac_f32 v41, v23, v45 :: v_dual_and_b32 v40, 0xffff0000, v40
	v_cmp_u_f32_e64 s4, v57, v57
	v_or_b32_e32 v97, 0x400000, v38
	v_add3_u32 v96, v96, v38, 0x7fff
	v_and_b32_e32 v39, 0xffff0000, v39
	v_dual_fmac_f32 v49, v24, v47 :: v_dual_and_b32 v44, 0xffff0000, v44
	s_wait_alu 0xf1ff
	v_cndmask_b32_e64 v43, v94, v95, s4
	v_fmac_f32_e32 v41, v25, v46
	v_cmp_u_f32_e64 s4, v38, v38
	s_delay_alu instid0(VALU_DEP_2) | instskip(SKIP_1) | instid1(VALU_DEP_2)
	v_fmac_f32_e32 v41, v27, v42
	s_wait_alu 0xf1ff
	v_cndmask_b32_e64 v38, v96, v97, s4
	v_fmac_f32_e32 v49, v26, v39
	v_and_b32_e32 v39, 0xffff0000, v43
	s_delay_alu instid0(VALU_DEP_3) | instskip(NEXT) | instid1(VALU_DEP_3)
	v_dual_fmac_f32 v41, v29, v44 :: v_dual_and_b32 v38, 0xffff0000, v38
	v_fmac_f32_e32 v49, v28, v40
	s_delay_alu instid0(VALU_DEP_2) | instskip(NEXT) | instid1(VALU_DEP_2)
	v_fmac_f32_e32 v41, v32, v38
	v_fmac_f32_e32 v49, v31, v39
	s_delay_alu instid0(VALU_DEP_1)
	v_add_f32_e32 v38, v49, v41
	ds_bpermute_b32 v39, v33, v38
	s_wait_dscnt 0x0
	v_add_f32_e32 v38, v38, v39
	ds_bpermute_b32 v39, v34, v38
	s_and_saveexec_b32 s5, vcc_lo
	s_cbranch_execz .LBB324_9
; %bb.11:                               ;   in Loop: Header=BB324_10 Depth=1
	s_wait_dscnt 0x0
	v_add_f32_e32 v38, v38, v39
	s_wait_alu 0xfffe
	v_add_nc_u32_e32 v40, s24, v35
	v_cmp_gt_i32_e64 s4, s27, v35
	s_delay_alu instid0(VALU_DEP_2) | instskip(NEXT) | instid1(VALU_DEP_1)
	v_cvt_f32_i32_e32 v40, v40
	v_mul_f32_e32 v40, s8, v40
	s_delay_alu instid0(VALU_DEP_1) | instskip(SKIP_1) | instid1(VALU_DEP_2)
	v_cndmask_b32_e64 v39, 0, v40, s3
	v_max_num_f32_e32 v40, v30, v30
	v_fmac_f32_e32 v39, s9, v38
	s_delay_alu instid0(VALU_DEP_1) | instskip(SKIP_2) | instid1(VALU_DEP_2)
	v_max_num_f32_e32 v38, v40, v39
	s_wait_alu 0xf1ff
	v_cndmask_b32_e64 v39, 0, v39, s4
	v_cndmask_b32_e64 v30, v30, v38, s4
	ds_store_b32 v36, v39
	s_branch .LBB324_9
.LBB324_12:
	s_or_b32 exec_lo, exec_lo, s14
.LBB324_13:
	s_delay_alu instid0(SALU_CYCLE_1)
	s_or_b32 exec_lo, exec_lo, s10
	v_xor_b32_e32 v1, 16, v7
	v_xor_b32_e32 v3, 8, v7
	;; [unrolled: 1-line block ×3, first 2 shown]
	s_load_b128 s[8:11], s[0:1], 0x0
	s_wait_kmcnt 0x0
	s_clause 0x1
	s_load_b64 s[4:5], s[0:1], 0x10
	s_load_b64 s[24:25], s[0:1], 0x28
	v_and_b32_e32 v17, 31, v0
	v_cmp_lt_i32_e32 vcc_lo, v1, v9
	s_wait_alu 0xfffd
	v_dual_max_num_f32 v4, v30, v30 :: v_dual_cndmask_b32 v1, v7, v1
	v_cmp_lt_i32_e32 vcc_lo, v3, v9
	s_wait_alu 0xfffd
	s_delay_alu instid0(VALU_DEP_2)
	v_dual_cndmask_b32 v3, v7, v3 :: v_dual_lshlrev_b32 v2, 2, v1
	v_cmp_lt_i32_e32 vcc_lo, v10, v9
	ds_bpermute_b32 v1, v2, v30
	s_wait_alu 0xfffd
	v_dual_cndmask_b32 v10, v7, v10 :: v_dual_lshlrev_b32 v3, 2, v3
	v_cmp_eq_u32_e32 vcc_lo, 0, v17
	s_delay_alu instid0(VALU_DEP_2) | instskip(SKIP_2) | instid1(VALU_DEP_1)
	v_lshlrev_b32_e32 v11, 2, v10
	s_wait_dscnt 0x0
	v_max_num_f32_e32 v1, v1, v1
	v_max_num_f32_e32 v1, v4, v1
	ds_bpermute_b32 v4, v3, v1
	s_wait_dscnt 0x0
	v_max_num_f32_e32 v4, v4, v4
	s_delay_alu instid0(VALU_DEP_1)
	v_dual_max_num_f32 v1, v1, v4 :: v_dual_lshlrev_b32 v4, 2, v15
	ds_bpermute_b32 v10, v11, v1
	s_and_saveexec_b32 s0, vcc_lo
	s_cbranch_execz .LBB324_15
; %bb.14:
	s_wait_dscnt 0x0
	v_dual_max_num_f32 v10, v10, v10 :: v_dual_max_num_f32 v1, v1, v1
	s_delay_alu instid0(VALU_DEP_1)
	v_max_num_f32_e32 v1, v1, v10
	ds_store_b32 v4, v1 offset:160
.LBB324_15:
	s_or_b32 exec_lo, exec_lo, s0
	v_cmp_gt_u32_e64 s0, 4, v17
	s_wait_dscnt 0x0
	v_dual_mov_b32 v1, 0xff7fffff :: v_dual_lshlrev_b32 v10, 2, v17
	s_wait_loadcnt 0x0
	s_barrier_signal -1
	s_barrier_wait -1
	global_inv scope:SCOPE_SE
	s_and_saveexec_b32 s1, s0
; %bb.16:
	ds_load_b32 v1, v10 offset:160
; %bb.17:
	s_or_b32 exec_lo, exec_lo, s1
	v_xor_b32_e32 v12, 2, v7
	v_xor_b32_e32 v14, 1, v7
	v_lshl_add_u32 v18, v0, 2, 0xc0
	v_lshlrev_b32_e32 v8, 2, v8
	s_delay_alu instid0(VALU_DEP_4) | instskip(NEXT) | instid1(VALU_DEP_1)
	v_cmp_lt_i32_e64 s1, v12, v9
	v_cndmask_b32_e64 v12, v7, v12, s1
	v_cmp_lt_i32_e64 s1, v14, v9
	s_delay_alu instid0(VALU_DEP_2) | instskip(SKIP_1) | instid1(VALU_DEP_2)
	v_lshlrev_b32_e32 v12, 2, v12
	s_wait_alu 0xf1ff
	v_cndmask_b32_e64 v9, v7, v14, s1
	s_sub_co_i32 s1, s17, s31
	s_wait_alu 0xfffe
	s_lshl_b32 s1, s1, 3
	s_wait_dscnt 0x0
	ds_bpermute_b32 v13, v12, v1
	v_max_num_f32_e32 v1, v1, v1
	v_lshlrev_b32_e32 v9, 2, v9
	s_wait_alu 0xfffe
	s_add_co_i32 s1, s1, s28
	s_wait_alu 0xfffe
	s_min_i32 s1, s1, s27
	s_wait_alu 0xfffe
	s_sub_co_i32 s14, s1, s28
	s_delay_alu instid0(SALU_CYCLE_1) | instskip(SKIP_2) | instid1(VALU_DEP_1)
	v_cmp_gt_i32_e64 s1, s14, v0
	s_wait_dscnt 0x0
	v_max_num_f32_e32 v13, v13, v13
	v_max_num_f32_e32 v1, v1, v13
	ds_bpermute_b32 v13, v9, v1
	s_wait_dscnt 0x0
	v_max_num_f32_e32 v13, v13, v13
	s_delay_alu instid0(VALU_DEP_1)
	v_max_num_f32_e32 v1, v1, v13
	ds_bpermute_b32 v1, v8, v1
	v_mov_b32_e32 v8, 0
	s_and_saveexec_b32 s23, s1
	s_cbranch_execz .LBB324_21
; %bb.18:
	v_lshl_add_u32 v13, v0, 2, 0xc0
	v_mov_b32_e32 v8, 0
	v_mov_b32_e32 v14, v0
	s_mov_b32 s31, 0
.LBB324_19:                             ; =>This Inner Loop Header: Depth=1
	ds_load_b32 v19, v13
	v_add_nc_u32_e32 v14, 0x80, v14
	s_delay_alu instid0(VALU_DEP_1) | instskip(SKIP_4) | instid1(VALU_DEP_1)
	v_cmp_le_i32_e64 s3, s14, v14
	s_wait_alu 0xfffe
	s_or_b32 s31, s3, s31
	s_wait_dscnt 0x0
	v_sub_f32_e32 v19, v19, v1
	v_mul_f32_e32 v19, 0x3fb8aa3b, v19
	s_delay_alu instid0(VALU_DEP_1)
	v_exp_f32_e32 v19, v19
	ds_store_b32 v13, v19
	v_dual_add_f32 v8, v8, v19 :: v_dual_add_nc_u32 v13, 0x200, v13
	s_wait_alu 0xfffe
	s_and_not1_b32 exec_lo, exec_lo, s31
	s_cbranch_execnz .LBB324_19
; %bb.20:
	s_or_b32 exec_lo, exec_lo, s31
.LBB324_21:
	s_wait_alu 0xfffe
	s_or_b32 exec_lo, exec_lo, s23
	ds_bpermute_b32 v2, v2, v8
	s_wait_dscnt 0x0
	v_add_f32_e32 v2, v8, v2
	ds_bpermute_b32 v3, v3, v2
	s_wait_dscnt 0x0
	v_add_f32_e32 v2, v2, v3
	;; [unrolled: 3-line block ×5, first 2 shown]
	s_and_saveexec_b32 s3, vcc_lo
; %bb.22:
	ds_store_b32 v4, v2 offset:176
; %bb.23:
	s_wait_alu 0xfffe
	s_or_b32 exec_lo, exec_lo, s3
	s_wait_loadcnt_dscnt 0x0
	s_barrier_signal -1
	s_barrier_wait -1
	global_inv scope:SCOPE_SE
	s_and_saveexec_b32 s3, s0
; %bb.24:
	ds_load_b32 v2, v10 offset:176
; %bb.25:
	s_wait_alu 0xfffe
	s_or_b32 exec_lo, exec_lo, s3
	s_wait_dscnt 0x0
	ds_bpermute_b32 v3, v12, v2
	v_lshlrev_b32_e32 v4, 2, v7
	s_wait_dscnt 0x0
	v_add_f32_e32 v2, v2, v3
	ds_bpermute_b32 v3, v9, v2
	s_wait_dscnt 0x0
	v_dual_add_f32 v2, v2, v3 :: v_dual_and_b32 v3, 0xffffff80, v4
	ds_bpermute_b32 v2, v3, v2
	s_and_saveexec_b32 s0, s1
	s_cbranch_execz .LBB324_28
; %bb.26:
	s_wait_dscnt 0x0
	v_add_f32_e32 v4, 0x358637bd, v2
	s_mov_b32 s1, 0
	s_delay_alu instid0(VALU_DEP_1) | instskip(NEXT) | instid1(VALU_DEP_1)
	v_div_scale_f32 v3, null, v4, v4, 1.0
	v_rcp_f32_e32 v7, v3
	s_delay_alu instid0(TRANS32_DEP_1) | instskip(NEXT) | instid1(VALU_DEP_1)
	v_fma_f32 v8, -v3, v7, 1.0
	v_fmac_f32_e32 v7, v8, v7
	v_div_scale_f32 v9, vcc_lo, 1.0, v4, 1.0
	s_delay_alu instid0(VALU_DEP_1) | instskip(NEXT) | instid1(VALU_DEP_1)
	v_mul_f32_e32 v8, v9, v7
	v_fma_f32 v10, -v3, v8, v9
	s_delay_alu instid0(VALU_DEP_1) | instskip(NEXT) | instid1(VALU_DEP_1)
	v_fmac_f32_e32 v8, v10, v7
	v_fma_f32 v3, -v3, v8, v9
	s_wait_alu 0xfffd
	s_delay_alu instid0(VALU_DEP_1) | instskip(SKIP_1) | instid1(VALU_DEP_2)
	v_div_fmas_f32 v7, v3, v7, v8
	v_mov_b32_e32 v3, v18
	v_div_fixup_f32 v4, v7, v4, 1.0
	v_mov_b32_e32 v7, v0
.LBB324_27:                             ; =>This Inner Loop Header: Depth=1
	ds_load_b32 v8, v3
	s_wait_dscnt 0x0
	v_dual_mul_f32 v8, v4, v8 :: v_dual_add_nc_u32 v7, 0x80, v7
	s_delay_alu instid0(VALU_DEP_1)
	v_cmp_le_i32_e32 vcc_lo, s14, v7
	ds_store_b32 v3, v8
	v_add_nc_u32_e32 v3, 0x200, v3
	s_wait_alu 0xfffe
	s_or_b32 s1, vcc_lo, s1
	s_wait_alu 0xfffe
	s_and_not1_b32 exec_lo, exec_lo, s1
	s_cbranch_execnz .LBB324_27
.LBB324_28:
	s_wait_alu 0xfffe
	s_or_b32 exec_lo, exec_lo, s0
	s_mul_i32 s0, s12, s15
	s_wait_loadcnt_dscnt 0x0
	s_wait_alu 0xfffe
	s_mul_i32 s14, s0, s29
	s_mov_b32 s0, exec_lo
	s_barrier_signal -1
	s_barrier_wait -1
	global_inv scope:SCOPE_SE
	v_cmpx_eq_u32_e32 0, v0
	s_cbranch_execz .LBB324_30
; %bb.29:
	s_wait_alu 0xfffe
	s_ashr_i32 s15, s14, 31
	s_mul_i32 s34, s12, ttmp9
	s_lshl_b32 s1, s26, 2
	s_wait_alu 0xfffe
	s_lshl_b64 s[36:37], s[14:15], 2
	s_ashr_i32 s35, s34, 31
	v_mov_b32_e32 v3, s1
	s_add_nc_u64 s[10:11], s[10:11], s[36:37]
	s_lshl_b64 s[34:35], s[34:35], 2
	s_add_nc_u64 s[8:9], s[8:9], s[36:37]
	s_wait_alu 0xfffe
	s_add_nc_u64 s[10:11], s[10:11], s[34:35]
	s_add_nc_u64 s[8:9], s[8:9], s[34:35]
	s_clause 0x1
	global_store_b32 v3, v1, s[10:11]
	global_store_b32 v3, v2, s[8:9]
.LBB324_30:
	s_wait_alu 0xfffe
	s_or_b32 exec_lo, exec_lo, s0
	v_dual_mov_b32 v21, 0 :: v_dual_mov_b32 v20, 0
	v_or_b32_e32 v22, 64, v17
	v_mov_b32_e32 v19, 0
	s_and_saveexec_b32 s8, s2
	s_cbranch_execz .LBB324_42
; %bb.31:
	s_load_b32 s6, s[6:7], 0x0
	s_lshl_b64 s[0:1], s[18:19], 2
	v_dual_mov_b32 v20, 0 :: v_dual_lshlrev_b32 v23, 3, v17
	s_wait_alu 0xfffe
	s_add_nc_u64 s[0:1], s[20:21], s[0:1]
	v_dual_mov_b32 v19, 0 :: v_dual_lshlrev_b32 v24, 3, v22
	s_wait_alu 0xfffe
	v_add_co_u32 v9, s0, s0, v5
	v_add3_u32 v25, s28, v6, 7
	v_lshl_add_u32 v26, v15, 5, 0xc0
	s_wait_alu 0xf1ff
	v_add_co_ci_u32_e64 v10, null, s1, 0, s0
	v_mov_b32_e32 v21, 0
	s_ashr_i32 s23, s22, 31
	s_mov_b32 s9, s13
	s_wait_kmcnt 0x0
	s_wait_alu 0xfffe
	s_add_nc_u64 s[2:3], s[24:25], s[22:23]
	s_add_co_i32 s10, s30, -1
	s_mov_b32 s7, 0
	v_cmp_gt_u32_e32 vcc_lo, 0x50, v22
	s_branch .LBB324_34
.LBB324_32:                             ;   in Loop: Header=BB324_34 Depth=1
	s_wait_alu 0xfffe
	s_or_b32 exec_lo, exec_lo, s1
	v_lshlrev_b32_e32 v8, 16, v8
	v_and_b32_e32 v45, 0xffff0000, v3
	v_lshlrev_b32_e32 v7, 16, v7
	v_lshlrev_b32_e32 v12, 16, v12
	;; [unrolled: 1-line block ×5, first 2 shown]
	s_delay_alu instid0(VALU_DEP_4) | instskip(SKIP_3) | instid1(VALU_DEP_4)
	v_dual_mul_f32 v12, v45, v12 :: v_dual_lshlrev_b32 v5, 16, v5
	v_lshlrev_b32_e32 v44, 16, v4
	v_and_b32_e32 v35, 0xffff0000, v4
	v_lshlrev_b32_e32 v6, 16, v6
	v_bfe_u32 v47, v12, 16, 1
	s_delay_alu instid0(VALU_DEP_3) | instskip(NEXT) | instid1(VALU_DEP_1)
	v_dual_mul_f32 v42, v44, v42 :: v_dual_mul_f32 v35, v35, v43
	v_or_b32_e32 v46, 0x400000, v42
	s_delay_alu instid0(VALU_DEP_2) | instskip(SKIP_2) | instid1(VALU_DEP_3)
	v_bfe_u32 v44, v35, 16, 1
	v_or_b32_e32 v45, 0x400000, v35
	v_cmp_u_f32_e64 s0, v35, v35
	v_add3_u32 v44, v44, v35, 0x7fff
	s_wait_alu 0xf1ff
	s_delay_alu instid0(VALU_DEP_1) | instskip(SKIP_3) | instid1(VALU_DEP_3)
	v_cndmask_b32_e64 v35, v44, v45, s0
	v_and_b32_e32 v44, 0xffff0000, v2
	v_cmp_u_f32_e64 s0, v42, v42
	v_or_b32_e32 v45, 0x400000, v12
	v_dual_mul_f32 v8, v44, v8 :: v_dual_and_b32 v35, 0xffff0000, v35
	v_lshlrev_b32_e32 v44, 16, v2
	s_delay_alu instid0(VALU_DEP_1) | instskip(NEXT) | instid1(VALU_DEP_1)
	v_dual_mul_f32 v7, v44, v7 :: v_dual_and_b32 v44, 0xffff0000, v1
	v_dual_mul_f32 v6, v44, v6 :: v_dual_lshlrev_b32 v43, 16, v3
	s_delay_alu instid0(VALU_DEP_1) | instskip(SKIP_2) | instid1(VALU_DEP_2)
	v_mul_f32_e32 v11, v43, v11
	v_bfe_u32 v43, v42, 16, 1
	v_or_b32_e32 v44, 0x400000, v8
	v_add3_u32 v43, v43, v42, 0x7fff
	s_wait_alu 0xf1ff
	s_delay_alu instid0(VALU_DEP_1)
	v_cndmask_b32_e64 v42, v43, v46, s0
	v_add3_u32 v43, v47, v12, 0x7fff
	v_bfe_u32 v46, v11, 16, 1
	v_cmp_u_f32_e64 s0, v12, v12
	v_lshlrev_b32_e32 v47, 16, v1
	s_wait_alu 0xf1ff
	s_delay_alu instid0(VALU_DEP_2)
	v_cndmask_b32_e64 v12, v43, v45, s0
	v_add3_u32 v43, v46, v11, 0x7fff
	v_or_b32_e32 v45, 0x400000, v11
	v_bfe_u32 v46, v8, 16, 1
	v_cmp_u_f32_e64 s0, v11, v11
	v_mul_f32_e32 v5, v47, v5
	v_bfe_u32 v47, v6, 16, 1
	s_wait_alu 0xf1ff
	s_delay_alu instid0(VALU_DEP_3)
	v_cndmask_b32_e64 v11, v43, v45, s0
	v_bfe_u32 v43, v7, 16, 1
	v_add3_u32 v45, v46, v8, 0x7fff
	v_cmp_u_f32_e64 s0, v8, v8
	v_or_b32_e32 v46, 0x400000, v7
	v_bfe_u32 v48, v5, 16, 1
	v_add3_u32 v43, v43, v7, 0x7fff
	v_and_b32_e32 v11, 0xffff0000, v11
	s_wait_alu 0xf1ff
	v_cndmask_b32_e64 v8, v45, v44, s0
	v_cmp_u_f32_e64 s0, v7, v7
	v_add3_u32 v44, v48, v5, 0x7fff
	v_or_b32_e32 v45, 0x400000, v5
	s_wait_alu 0xf1ff
	s_delay_alu instid0(VALU_DEP_3) | instskip(SKIP_3) | instid1(VALU_DEP_4)
	v_cndmask_b32_e64 v7, v43, v46, s0
	v_cmp_u_f32_e64 s0, v5, v5
	v_add3_u32 v43, v47, v6, 0x7fff
	v_or_b32_e32 v46, 0x400000, v6
	v_and_b32_e32 v7, 0xffff0000, v7
	s_wait_alu 0xf1ff
	v_cndmask_b32_e64 v5, v44, v45, s0
	v_cmp_u_f32_e64 s0, v6, v6
	s_delay_alu instid0(VALU_DEP_2) | instskip(SKIP_1) | instid1(VALU_DEP_2)
	v_and_b32_e32 v5, 0xffff0000, v5
	s_wait_alu 0xf1ff
	v_cndmask_b32_e64 v6, v43, v46, s0
	s_delay_alu instid0(VALU_DEP_1) | instskip(NEXT) | instid1(VALU_DEP_1)
	v_and_b32_e32 v6, 0xffff0000, v6
	v_dual_add_f32 v5, v5, v6 :: v_dual_and_b32 v12, 0xffff0000, v12
	v_and_b32_e32 v8, 0xffff0000, v8
	s_delay_alu instid0(VALU_DEP_2) | instskip(NEXT) | instid1(VALU_DEP_2)
	v_add_f32_e32 v11, v11, v12
	v_dual_add_f32 v7, v7, v8 :: v_dual_and_b32 v42, 0xffff0000, v42
	s_delay_alu instid0(VALU_DEP_1) | instskip(NEXT) | instid1(VALU_DEP_1)
	v_add_f32_e32 v35, v42, v35
	v_add_f32_e32 v11, v11, v35
	s_delay_alu instid0(VALU_DEP_1) | instskip(NEXT) | instid1(VALU_DEP_1)
	v_add_f32_e32 v7, v7, v11
	v_add_f32_e32 v5, v5, v7
	s_delay_alu instid0(VALU_DEP_1)
	v_add_f32_e32 v19, v19, v5
.LBB324_33:                             ;   in Loop: Header=BB324_34 Depth=1
	s_wait_alu 0xfffe
	s_or_b32 exec_lo, exec_lo, s11
	v_lshlrev_b32_e32 v12, 16, v38
	v_and_b32_e32 v38, 0xffff0000, v2
	v_lshlrev_b32_e32 v2, 16, v2
	v_lshlrev_b32_e32 v34, 16, v34
	;; [unrolled: 1-line block ×4, first 2 shown]
	v_and_b32_e32 v5, 0xffff0000, v4
	v_lshlrev_b32_e32 v36, 16, v36
	v_lshlrev_b32_e32 v13, 16, v13
	v_and_b32_e32 v8, 0xffff0000, v3
	v_lshlrev_b32_e32 v3, 16, v3
	v_lshlrev_b32_e32 v7, 16, v40
	v_dual_mul_f32 v36, v2, v36 :: v_dual_lshlrev_b32 v11, 16, v39
	v_lshlrev_b32_e32 v28, 16, v28
	s_delay_alu instid0(VALU_DEP_4) | instskip(SKIP_3) | instid1(VALU_DEP_4)
	v_mul_f32_e32 v12, v3, v12
	v_lshlrev_b32_e32 v4, 16, v4
	v_lshlrev_b32_e32 v29, 16, v29
	v_dual_mul_f32 v11, v8, v11 :: v_dual_lshlrev_b32 v6, 16, v41
	v_bfe_u32 v42, v12, 16, 1
	s_delay_alu instid0(VALU_DEP_4) | instskip(NEXT) | instid1(VALU_DEP_3)
	v_dual_mul_f32 v7, v4, v7 :: v_dual_add_nc_u32 v16, 4, v16
	v_bfe_u32 v41, v11, 16, 1
	s_delay_alu instid0(VALU_DEP_4) | instskip(SKIP_1) | instid1(VALU_DEP_4)
	v_mul_f32_e32 v6, v5, v6
	v_add_co_u32 v9, s1, v9, 16
	v_bfe_u32 v39, v7, 16, 1
	v_add_nc_u32_e32 v25, 32, v25
	s_delay_alu instid0(VALU_DEP_4)
	v_bfe_u32 v35, v6, 16, 1
	v_or_b32_e32 v40, 0x400000, v6
	v_cmp_u_f32_e64 s0, v6, v6
	v_add3_u32 v39, v39, v7, 0x7fff
	v_add_nc_u32_e32 v26, 0x80, v26
	v_add3_u32 v35, v35, v6, 0x7fff
	s_wait_alu 0xf1ff
	v_add_co_ci_u32_e64 v10, null, 0, v10, s1
	s_delay_alu instid0(VALU_DEP_2) | instskip(SKIP_3) | instid1(VALU_DEP_4)
	v_cndmask_b32_e64 v6, v35, v40, s0
	v_cmp_u_f32_e64 s0, v7, v7
	v_add3_u32 v40, v41, v11, 0x7fff
	v_or_b32_e32 v41, 0x400000, v11
	v_and_b32_e32 v6, 0xffff0000, v6
	v_lshlrev_b32_e32 v35, 16, v37
	v_or_b32_e32 v37, 0x400000, v7
	s_wait_alu 0xf1ff
	s_delay_alu instid0(VALU_DEP_1) | instskip(SKIP_3) | instid1(VALU_DEP_2)
	v_cndmask_b32_e64 v7, v39, v37, s0
	v_cmp_u_f32_e64 s0, v11, v11
	v_add3_u32 v37, v42, v12, 0x7fff
	s_wait_alu 0xf1ff
	v_cndmask_b32_e64 v11, v40, v41, s0
	v_or_b32_e32 v41, 0x400000, v12
	v_cmp_u_f32_e64 s0, v12, v12
	v_and_b32_e32 v40, 0xffff0000, v1
	v_lshlrev_b32_e32 v33, 16, v33
	v_and_b32_e32 v7, 0xffff0000, v7
	v_and_b32_e32 v11, 0xffff0000, v11
	s_wait_alu 0xf1ff
	v_cndmask_b32_e64 v12, v37, v41, s0
	v_bfe_u32 v37, v36, 16, 1
	v_mul_f32_e32 v4, v4, v33
	v_add_f32_e32 v6, v7, v6
	v_or_b32_e32 v41, 0x400000, v36
	v_and_b32_e32 v12, 0xffff0000, v12
	v_add3_u32 v37, v37, v36, 0x7fff
	v_bfe_u32 v33, v4, 16, 1
	s_delay_alu instid0(VALU_DEP_3) | instskip(SKIP_1) | instid1(VALU_DEP_2)
	v_add_f32_e32 v7, v12, v11
	v_mul_f32_e32 v35, v38, v35
	v_dual_add_f32 v6, v7, v6 :: v_dual_lshlrev_b32 v1, 16, v1
	s_delay_alu instid0(VALU_DEP_2) | instskip(SKIP_2) | instid1(VALU_DEP_4)
	v_bfe_u32 v39, v35, 16, 1
	v_or_b32_e32 v42, 0x400000, v35
	v_cmp_u_f32_e64 s0, v35, v35
	v_mul_f32_e32 v13, v1, v13
	v_mul_f32_e32 v1, v1, v27
	v_add3_u32 v39, v39, v35, 0x7fff
	s_wait_alu 0xf1ff
	s_delay_alu instid0(VALU_DEP_1) | instskip(SKIP_1) | instid1(VALU_DEP_2)
	v_cndmask_b32_e64 v35, v39, v42, s0
	v_cmp_u_f32_e64 s0, v36, v36
	v_and_b32_e32 v12, 0xffff0000, v35
	s_wait_alu 0xf1ff
	s_delay_alu instid0(VALU_DEP_2) | instskip(SKIP_1) | instid1(VALU_DEP_2)
	v_cndmask_b32_e64 v36, v37, v41, s0
	v_bfe_u32 v37, v13, 16, 1
	v_and_b32_e32 v11, 0xffff0000, v36
	s_delay_alu instid0(VALU_DEP_2) | instskip(NEXT) | instid1(VALU_DEP_2)
	v_add3_u32 v37, v37, v13, 0x7fff
	v_add_f32_e32 v11, v11, v12
	v_lshlrev_b32_e32 v12, 16, v32
	v_mul_f32_e32 v2, v2, v29
	s_delay_alu instid0(VALU_DEP_2) | instskip(SKIP_2) | instid1(VALU_DEP_2)
	v_mul_f32_e32 v8, v8, v12
	v_lshlrev_b32_e32 v12, 16, v31
	v_or_b32_e32 v31, 0x400000, v4
	v_dual_mul_f32 v3, v3, v12 :: v_dual_mul_f32 v14, v40, v14
	v_mul_f32_e32 v5, v5, v34
	v_lshlrev_b32_e32 v12, 16, v30
	v_or_b32_e32 v30, 0x400000, v8
	v_mul_f32_e32 v28, v40, v28
	v_bfe_u32 v39, v14, 16, 1
	v_or_b32_e32 v42, 0x400000, v14
	v_cmp_u_f32_e64 s0, v14, v14
	v_bfe_u32 v7, v5, 16, 1
	v_or_b32_e32 v32, 0x400000, v5
	v_add3_u32 v39, v39, v14, 0x7fff
	v_mul_f32_e32 v12, v38, v12
	s_delay_alu instid0(VALU_DEP_4) | instskip(SKIP_1) | instid1(VALU_DEP_3)
	v_add3_u32 v7, v7, v5, 0x7fff
	s_wait_alu 0xf1ff
	v_cndmask_b32_e64 v14, v39, v42, s0
	v_or_b32_e32 v39, 0x400000, v13
	v_cmp_u_f32_e64 s0, v13, v13
	v_or_b32_e32 v27, 0x400000, v12
	s_wait_alu 0xf1ff
	s_delay_alu instid0(VALU_DEP_2) | instskip(SKIP_2) | instid1(VALU_DEP_1)
	v_cndmask_b32_e64 v13, v37, v39, s0
	v_cmp_u_f32_e64 s0, v5, v5
	s_wait_alu 0xf1ff
	v_cndmask_b32_e64 v5, v7, v32, s0
	v_add3_u32 v7, v33, v4, 0x7fff
	v_bfe_u32 v32, v8, 16, 1
	v_cmp_u_f32_e64 s0, v4, v4
	s_delay_alu instid0(VALU_DEP_4) | instskip(SKIP_1) | instid1(VALU_DEP_2)
	v_and_b32_e32 v5, 0xffff0000, v5
	s_wait_alu 0xf1ff
	v_cndmask_b32_e64 v4, v7, v31, s0
	v_add3_u32 v7, v32, v8, 0x7fff
	v_bfe_u32 v31, v3, 16, 1
	v_cmp_u_f32_e64 s0, v8, v8
	v_bfe_u32 v32, v1, 16, 1
	v_and_b32_e32 v4, 0xffff0000, v4
	s_delay_alu instid0(VALU_DEP_4)
	v_add3_u32 v8, v31, v3, 0x7fff
	s_wait_alu 0xf1ff
	v_cndmask_b32_e64 v7, v7, v30, s0
	v_or_b32_e32 v30, 0x400000, v3
	v_bfe_u32 v31, v12, 16, 1
	v_cmp_u_f32_e64 s0, v3, v3
	s_delay_alu instid0(VALU_DEP_4) | instskip(NEXT) | instid1(VALU_DEP_3)
	v_dual_add_f32 v4, v4, v5 :: v_dual_and_b32 v7, 0xffff0000, v7
	v_add3_u32 v29, v31, v12, 0x7fff
	s_wait_alu 0xf1ff
	s_delay_alu instid0(VALU_DEP_3) | instskip(SKIP_4) | instid1(VALU_DEP_4)
	v_cndmask_b32_e64 v3, v8, v30, s0
	v_bfe_u32 v8, v2, 16, 1
	v_cmp_u_f32_e64 s0, v12, v12
	v_or_b32_e32 v30, 0x400000, v2
	v_bfe_u32 v31, v28, 16, 1
	v_add3_u32 v8, v8, v2, 0x7fff
	s_wait_alu 0xf1ff
	v_cndmask_b32_e64 v12, v29, v27, s0
	v_cmp_u_f32_e64 s0, v2, v2
	v_add3_u32 v27, v32, v1, 0x7fff
	v_or_b32_e32 v29, 0x400000, v1
	s_delay_alu instid0(VALU_DEP_4)
	v_and_b32_e32 v5, 0xffff0000, v12
	s_wait_alu 0xf1ff
	v_cndmask_b32_e64 v2, v8, v30, s0
	v_cmp_u_f32_e64 s0, v1, v1
	v_add3_u32 v8, v31, v28, 0x7fff
	v_or_b32_e32 v30, 0x400000, v28
	s_delay_alu instid0(VALU_DEP_4) | instskip(SKIP_4) | instid1(VALU_DEP_3)
	v_and_b32_e32 v2, 0xffff0000, v2
	v_and_b32_e32 v3, 0xffff0000, v3
	s_wait_alu 0xf1ff
	v_cndmask_b32_e64 v1, v27, v29, s0
	v_cmp_u_f32_e64 s0, v28, v28
	v_dual_add_f32 v2, v2, v5 :: v_dual_add_f32 v3, v3, v7
	s_delay_alu instid0(VALU_DEP_3) | instskip(SKIP_1) | instid1(VALU_DEP_3)
	v_and_b32_e32 v1, 0xffff0000, v1
	s_wait_alu 0xf1ff
	v_cndmask_b32_e64 v7, v8, v30, s0
	v_and_b32_e32 v8, 0xffff0000, v14
	v_add_f32_e32 v5, v11, v6
	v_add_f32_e32 v3, v3, v4
	v_and_b32_e32 v13, 0xffff0000, v13
	v_and_b32_e32 v4, 0xffff0000, v7
	v_cmp_le_i32_e64 s0, s17, v16
	s_delay_alu instid0(VALU_DEP_4) | instskip(NEXT) | instid1(VALU_DEP_4)
	v_add_f32_e32 v2, v2, v3
	v_add_f32_e32 v6, v13, v8
	s_delay_alu instid0(VALU_DEP_4) | instskip(SKIP_1) | instid1(VALU_DEP_2)
	v_add_f32_e32 v1, v1, v4
	s_or_b32 s7, s0, s7
	v_add_f32_e32 v3, v6, v5
	s_delay_alu instid0(VALU_DEP_1) | instskip(NEXT) | instid1(VALU_DEP_1)
	v_dual_add_f32 v1, v1, v2 :: v_dual_add_f32 v20, v20, v3
	v_add_f32_e32 v21, v21, v1
	s_wait_alu 0xfffe
	s_and_not1_b32 exec_lo, exec_lo, s7
	s_cbranch_execz .LBB324_41
.LBB324_34:                             ; =>This Inner Loop Header: Depth=1
	global_load_b32 v1, v[9:10], off
	s_wait_loadcnt 0x0
	s_wait_alu 0xfffe
	v_mad_co_i64_i32 v[11:12], null, v1, s9, s[2:3]
	s_delay_alu instid0(VALU_DEP_1) | instskip(SKIP_1) | instid1(VALU_DEP_2)
	v_add_co_u32 v13, s0, v11, v23
	s_wait_alu 0xf1ff
	v_add_co_ci_u32_e64 v14, null, 0, v12, s0
	v_cmp_eq_u32_e64 s0, s10, v16
	global_load_b64 v[27:28], v[13:14], off
	ds_load_2addr_b64 v[5:8], v26 offset1:1
	ds_load_2addr_b64 v[1:4], v26 offset0:2 offset1:3
	s_wait_loadcnt 0x0
	v_and_b32_e32 v32, 0xff, v28
	v_bfe_u32 v30, v27, 8, 8
	v_bfe_u32 v31, v27, 16, 8
	;; [unrolled: 1-line block ×4, first 2 shown]
	v_cvt_f32_fp8_e32 v32, v32
	v_and_b32_e32 v29, 0xff, v27
	v_cvt_f32_fp8_e32 v30, v30
	v_add_nc_u32_e32 v35, -7, v25
	v_lshrrev_b32_e32 v27, 24, v27
	v_mul_f32_e32 v32, s6, v32
	v_cvt_f32_fp8_e32 v29, v29
	v_cvt_f32_fp8_e32 v31, v31
	v_mul_f32_e32 v30, s6, v30
	v_lshrrev_b32_e32 v28, 24, v28
	v_cvt_f32_fp8_e32 v27, v27
	v_mul_f32_e32 v29, s6, v29
	v_cvt_f32_fp8_e32 v34, v34
	v_mul_f32_e32 v31, s6, v31
	v_bfe_u32 v38, v30, 16, 1
	v_cvt_f32_fp8_e32 v28, v28
	v_bfe_u32 v36, v29, 16, 1
	v_or_b32_e32 v37, 0x400000, v29
	v_cmp_u_f32_e64 s1, v29, v29
	s_delay_alu instid0(VALU_DEP_4) | instskip(NEXT) | instid1(VALU_DEP_4)
	v_dual_mul_f32 v27, s6, v27 :: v_dual_mul_f32 v28, s6, v28
	v_add3_u32 v36, v36, v29, 0x7fff
	v_mul_f32_e32 v34, s6, v34
	v_or_b32_e32 v39, 0x400000, v30
	v_bfe_u32 v40, v31, 16, 1
	v_add3_u32 v38, v38, v30, 0x7fff
	s_wait_alu 0xf1ff
	v_cndmask_b32_e64 v29, v36, v37, s1
	v_cmp_u_f32_e64 s1, v30, v30
	v_cvt_f32_fp8_e32 v33, v33
	v_or_b32_e32 v41, 0x400000, v31
	v_bfe_u32 v42, v27, 16, 1
	v_add3_u32 v40, v40, v31, 0x7fff
	s_wait_alu 0xf1ff
	v_cndmask_b32_e64 v30, v38, v39, s1
	v_cmp_u_f32_e64 s1, v31, v31
	v_mul_f32_e32 v33, s6, v33
	v_or_b32_e32 v43, 0x400000, v27
	v_bfe_u32 v44, v32, 16, 1
	v_add3_u32 v42, v42, v27, 0x7fff
	s_wait_alu 0xf1ff
	v_cndmask_b32_e64 v31, v40, v41, s1
	v_cmp_u_f32_e64 s1, v27, v27
	v_or_b32_e32 v45, 0x400000, v32
	v_bfe_u32 v46, v33, 16, 1
	v_add3_u32 v44, v44, v32, 0x7fff
	v_or_b32_e32 v47, 0x400000, v33
	s_wait_alu 0xf1ff
	v_cndmask_b32_e64 v27, v42, v43, s1
	v_cmp_u_f32_e64 s1, v32, v32
	v_bfe_u32 v48, v34, 16, 1
	v_add3_u32 v46, v46, v33, 0x7fff
	v_or_b32_e32 v49, 0x400000, v34
	v_bfe_u32 v50, v28, 16, 1
	s_wait_alu 0xf1ff
	v_cndmask_b32_e64 v36, v44, v45, s1
	v_cmp_u_f32_e64 s1, v33, v33
	v_add3_u32 v48, v48, v34, 0x7fff
	v_or_b32_e32 v51, 0x400000, v28
	v_add3_u32 v50, v50, v28, 0x7fff
	v_lshrrev_b32_e32 v33, 16, v29
	s_wait_alu 0xf1ff
	v_cndmask_b32_e64 v37, v46, v47, s1
	v_cmp_u_f32_e64 s1, v34, v34
	v_lshrrev_b32_e32 v34, 16, v30
	v_lshrrev_b32_e32 v31, 16, v31
	;; [unrolled: 1-line block ×4, first 2 shown]
	s_wait_alu 0xf1ff
	v_cndmask_b32_e64 v38, v48, v49, s1
	v_cmp_u_f32_e64 s1, v28, v28
	v_lshrrev_b32_e32 v30, 16, v37
	s_delay_alu instid0(VALU_DEP_3) | instskip(SKIP_1) | instid1(VALU_DEP_3)
	v_lshrrev_b32_e32 v27, 16, v38
	s_wait_alu 0xf1ff
	v_cndmask_b32_e64 v28, v50, v51, s1
	s_delay_alu instid0(VALU_DEP_1)
	v_lshrrev_b32_e32 v28, 16, v28
	s_and_saveexec_b32 s11, s0
	s_cbranch_execz .LBB324_36
; %bb.35:                               ;   in Loop: Header=BB324_34 Depth=1
	v_add_nc_u32_e32 v36, -6, v25
	v_cmp_gt_i32_e64 s1, s27, v35
	v_add_nc_u32_e32 v37, -5, v25
	v_add_nc_u32_e32 v38, -2, v25
	s_wait_alu 0xf1ff
	s_delay_alu instid0(VALU_DEP_3) | instskip(SKIP_3) | instid1(VALU_DEP_2)
	v_cndmask_b32_e64 v33, 0, v33, s1
	v_cmp_gt_i32_e64 s1, s27, v36
	v_add_nc_u32_e32 v36, -4, v25
	s_wait_alu 0xf1ff
	v_cndmask_b32_e64 v34, 0, v34, s1
	v_cmp_gt_i32_e64 s1, s27, v37
	v_add_nc_u32_e32 v37, -3, v25
	s_wait_alu 0xf1ff
	s_delay_alu instid0(VALU_DEP_2) | instskip(SKIP_3) | instid1(VALU_DEP_2)
	v_cndmask_b32_e64 v31, 0, v31, s1
	v_cmp_gt_i32_e64 s1, s27, v36
	v_add_nc_u32_e32 v36, -1, v25
	s_wait_alu 0xf1ff
	v_cndmask_b32_e64 v32, 0, v32, s1
	v_cmp_gt_i32_e64 s1, s27, v37
	s_wait_alu 0xf1ff
	s_delay_alu instid0(VALU_DEP_1) | instskip(SKIP_2) | instid1(VALU_DEP_1)
	v_cndmask_b32_e64 v29, 0, v29, s1
	v_cmp_gt_i32_e64 s1, s27, v38
	s_wait_alu 0xf1ff
	v_cndmask_b32_e64 v30, 0, v30, s1
	v_cmp_gt_i32_e64 s1, s27, v36
	s_wait_alu 0xf1ff
	s_delay_alu instid0(VALU_DEP_1) | instskip(SKIP_2) | instid1(VALU_DEP_1)
	v_cndmask_b32_e64 v27, 0, v27, s1
	v_cmp_gt_i32_e64 s1, s27, v25
	s_wait_alu 0xf1ff
	v_cndmask_b32_e64 v28, 0, v28, s1
.LBB324_36:                             ;   in Loop: Header=BB324_34 Depth=1
	s_wait_alu 0xfffe
	s_or_b32 exec_lo, exec_lo, s11
	global_load_b64 v[13:14], v[13:14], off offset:256
	s_wait_loadcnt 0x0
	v_and_b32_e32 v39, 0xff, v14
	v_bfe_u32 v37, v13, 8, 8
	v_bfe_u32 v38, v13, 16, 8
	;; [unrolled: 1-line block ×4, first 2 shown]
	v_cvt_f32_fp8_e32 v39, v39
	v_and_b32_e32 v36, 0xff, v13
	v_cvt_f32_fp8_e32 v37, v37
	v_lshrrev_b32_e32 v13, 24, v13
	v_cvt_f32_fp8_e32 v38, v38
	v_mul_f32_e32 v39, s6, v39
	v_cvt_f32_fp8_e32 v36, v36
	v_mul_f32_e32 v37, s6, v37
	;; [unrolled: 2-line block ×4, first 2 shown]
	v_bfe_u32 v44, v37, 16, 1
	v_mul_f32_e32 v13, s6, v13
	v_or_b32_e32 v45, 0x400000, v37
	v_bfe_u32 v46, v38, 16, 1
	v_bfe_u32 v42, v36, 16, 1
	v_or_b32_e32 v43, 0x400000, v36
	v_cmp_u_f32_e64 s1, v36, v36
	v_add3_u32 v44, v44, v37, 0x7fff
	v_mul_f32_e32 v40, s6, v40
	v_add3_u32 v42, v42, v36, 0x7fff
	v_or_b32_e32 v47, 0x400000, v38
	v_bfe_u32 v48, v13, 16, 1
	v_add3_u32 v46, v46, v38, 0x7fff
	v_lshrrev_b32_e32 v14, 24, v14
	s_wait_alu 0xf1ff
	v_cndmask_b32_e64 v36, v42, v43, s1
	v_cmp_u_f32_e64 s1, v37, v37
	v_cvt_f32_fp8_e32 v41, v41
	v_or_b32_e32 v49, 0x400000, v13
	v_bfe_u32 v50, v39, 16, 1
	v_add3_u32 v48, v48, v13, 0x7fff
	s_wait_alu 0xf1ff
	v_cndmask_b32_e64 v37, v44, v45, s1
	v_cmp_u_f32_e64 s1, v38, v38
	v_cvt_f32_fp8_e32 v14, v14
	v_mul_f32_e32 v41, s6, v41
	v_or_b32_e32 v51, 0x400000, v39
	v_bfe_u32 v52, v40, 16, 1
	s_wait_alu 0xf1ff
	v_cndmask_b32_e64 v38, v46, v47, s1
	v_cmp_u_f32_e64 s1, v13, v13
	v_add3_u32 v50, v50, v39, 0x7fff
	v_mul_f32_e32 v14, s6, v14
	v_or_b32_e32 v53, 0x400000, v40
	v_bfe_u32 v54, v41, 16, 1
	s_wait_alu 0xf1ff
	v_cndmask_b32_e64 v13, v48, v49, s1
	v_cmp_u_f32_e64 s1, v39, v39
	v_add3_u32 v52, v52, v40, 0x7fff
	v_or_b32_e32 v55, 0x400000, v41
	v_bfe_u32 v56, v14, 16, 1
	v_add3_u32 v54, v54, v41, 0x7fff
	s_wait_alu 0xf1ff
	v_cndmask_b32_e64 v42, v50, v51, s1
	v_cmp_u_f32_e64 s1, v40, v40
	v_or_b32_e32 v57, 0x400000, v14
	v_add3_u32 v56, v56, v14, 0x7fff
	v_lshrrev_b32_e32 v40, 16, v36
	v_lshrrev_b32_e32 v38, 16, v38
	s_wait_alu 0xf1ff
	v_cndmask_b32_e64 v43, v52, v53, s1
	v_cmp_u_f32_e64 s1, v41, v41
	v_lshrrev_b32_e32 v41, 16, v37
	v_lshrrev_b32_e32 v39, 16, v13
	v_lshrrev_b32_e32 v36, 16, v42
	v_lshrrev_b32_e32 v37, 16, v43
	s_wait_alu 0xf1ff
	v_cndmask_b32_e64 v44, v54, v55, s1
	v_cmp_u_f32_e64 s1, v14, v14
	s_delay_alu instid0(VALU_DEP_2) | instskip(SKIP_1) | instid1(VALU_DEP_2)
	v_lshrrev_b32_e32 v13, 16, v44
	s_wait_alu 0xf1ff
	v_cndmask_b32_e64 v14, v56, v57, s1
	s_delay_alu instid0(VALU_DEP_1)
	v_lshrrev_b32_e32 v14, 16, v14
	s_and_saveexec_b32 s11, s0
	s_cbranch_execz .LBB324_38
; %bb.37:                               ;   in Loop: Header=BB324_34 Depth=1
	v_add_nc_u32_e32 v42, -6, v25
	v_cmp_gt_i32_e64 s1, s27, v35
	v_add_nc_u32_e32 v43, -5, v25
	v_add_nc_u32_e32 v44, -2, v25
	s_wait_alu 0xf1ff
	s_delay_alu instid0(VALU_DEP_3) | instskip(SKIP_3) | instid1(VALU_DEP_2)
	v_cndmask_b32_e64 v40, 0, v40, s1
	v_cmp_gt_i32_e64 s1, s27, v42
	v_add_nc_u32_e32 v42, -4, v25
	s_wait_alu 0xf1ff
	v_cndmask_b32_e64 v41, 0, v41, s1
	v_cmp_gt_i32_e64 s1, s27, v43
	v_add_nc_u32_e32 v43, -3, v25
	s_wait_alu 0xf1ff
	s_delay_alu instid0(VALU_DEP_2) | instskip(SKIP_3) | instid1(VALU_DEP_2)
	v_cndmask_b32_e64 v38, 0, v38, s1
	v_cmp_gt_i32_e64 s1, s27, v42
	v_add_nc_u32_e32 v42, -1, v25
	s_wait_alu 0xf1ff
	v_cndmask_b32_e64 v39, 0, v39, s1
	v_cmp_gt_i32_e64 s1, s27, v43
	s_wait_alu 0xf1ff
	s_delay_alu instid0(VALU_DEP_1) | instskip(SKIP_2) | instid1(VALU_DEP_1)
	v_cndmask_b32_e64 v36, 0, v36, s1
	v_cmp_gt_i32_e64 s1, s27, v44
	s_wait_alu 0xf1ff
	v_cndmask_b32_e64 v37, 0, v37, s1
	v_cmp_gt_i32_e64 s1, s27, v42
	s_wait_alu 0xf1ff
	s_delay_alu instid0(VALU_DEP_1) | instskip(SKIP_2) | instid1(VALU_DEP_1)
	v_cndmask_b32_e64 v13, 0, v13, s1
	v_cmp_gt_i32_e64 s1, s27, v25
	s_wait_alu 0xf1ff
	v_cndmask_b32_e64 v14, 0, v14, s1
.LBB324_38:                             ;   in Loop: Header=BB324_34 Depth=1
	s_wait_alu 0xfffe
	s_or_b32 exec_lo, exec_lo, s11
	s_wait_dscnt 0x1
	v_bfe_u32 v42, v5, 16, 1
	v_bfe_u32 v43, v6, 16, 1
	v_or_b32_e32 v44, 0x400000, v5
	v_cmp_u_f32_e64 s1, v5, v5
	v_or_b32_e32 v45, 0x400000, v6
	v_add3_u32 v42, v42, v5, 0x7fff
	v_bfe_u32 v46, v7, 16, 1
	v_add3_u32 v43, v43, v6, 0x7fff
	v_bfe_u32 v47, v8, 16, 1
	s_wait_alu 0xf1ff
	v_cndmask_b32_e64 v5, v42, v44, s1
	v_cmp_u_f32_e64 s1, v6, v6
	v_add3_u32 v42, v46, v7, 0x7fff
	s_wait_dscnt 0x0
	v_bfe_u32 v44, v1, 16, 1
	v_or_b32_e32 v46, 0x400000, v8
	s_wait_alu 0xf1ff
	v_cndmask_b32_e64 v6, v43, v45, s1
	v_or_b32_e32 v43, 0x400000, v7
	v_cmp_u_f32_e64 s1, v7, v7
	v_add3_u32 v45, v47, v8, 0x7fff
	v_or_b32_e32 v47, 0x400000, v4
	s_wait_alu 0xf1ff
	s_delay_alu instid0(VALU_DEP_3)
	v_cndmask_b32_e64 v7, v42, v43, s1
	v_cmp_u_f32_e64 s1, v8, v8
	v_add3_u32 v42, v44, v1, 0x7fff
	v_or_b32_e32 v43, 0x400000, v1
	v_bfe_u32 v44, v2, 16, 1
	s_wait_alu 0xf1ff
	v_cndmask_b32_e64 v8, v45, v46, s1
	v_cmp_u_f32_e64 s1, v1, v1
	v_bfe_u32 v45, v3, 16, 1
	v_or_b32_e32 v46, 0x400000, v3
	s_wait_alu 0xf1ff
	s_delay_alu instid0(VALU_DEP_3)
	v_cndmask_b32_e64 v1, v42, v43, s1
	v_add3_u32 v43, v44, v2, 0x7fff
	v_or_b32_e32 v44, 0x400000, v2
	v_cmp_u_f32_e64 s1, v2, v2
	v_bfe_u32 v42, v4, 16, 1
	v_add3_u32 v45, v45, v3, 0x7fff
	s_wait_alu 0xf1ff
	s_delay_alu instid0(VALU_DEP_3) | instskip(SKIP_3) | instid1(VALU_DEP_4)
	v_cndmask_b32_e64 v2, v43, v44, s1
	v_cmp_u_f32_e64 s1, v3, v3
	v_add3_u32 v42, v42, v4, 0x7fff
	v_perm_b32 v3, v8, v7, 0x7060302
	v_perm_b32 v2, v2, v1, 0x7060302
	s_wait_alu 0xf1ff
	v_cndmask_b32_e64 v43, v45, v46, s1
	v_cmp_u_f32_e64 s1, v4, v4
	v_perm_b32 v4, v6, v5, 0x7060302
	s_wait_alu 0xf1ff
	s_delay_alu instid0(VALU_DEP_2) | instskip(NEXT) | instid1(VALU_DEP_1)
	v_cndmask_b32_e64 v42, v42, v47, s1
	v_perm_b32 v1, v42, v43, 0x7060302
	s_and_saveexec_b32 s11, vcc_lo
	s_cbranch_execz .LBB324_33
; %bb.39:                               ;   in Loop: Header=BB324_34 Depth=1
	v_add_co_u32 v5, s1, v11, v24
	s_wait_alu 0xf1ff
	v_add_co_ci_u32_e64 v6, null, 0, v12, s1
	global_load_b64 v[5:6], v[5:6], off
	s_wait_loadcnt 0x0
	v_bfe_u32 v8, v5, 8, 8
	v_bfe_u32 v11, v5, 16, 8
	;; [unrolled: 1-line block ×4, first 2 shown]
	s_delay_alu instid0(VALU_DEP_4)
	v_cvt_f32_fp8_e32 v8, v8
	v_and_b32_e32 v7, 0xff, v5
	v_lshrrev_b32_e32 v5, 24, v5
	v_cvt_f32_fp8_e32 v11, v11
	v_cvt_f32_fp8_e32 v42, v42
	v_mul_f32_e32 v8, s6, v8
	v_cvt_f32_fp8_e32 v7, v7
	v_and_b32_e32 v12, 0xff, v6
	v_cvt_f32_fp8_e32 v5, v5
	v_lshrrev_b32_e32 v6, 24, v6
	v_bfe_u32 v46, v8, 16, 1
	v_mul_f32_e32 v7, s6, v7
	v_cvt_f32_fp8_e32 v12, v12
	v_mul_f32_e32 v11, s6, v11
	v_dual_mul_f32 v5, s6, v5 :: v_dual_mul_f32 v42, s6, v42
	s_delay_alu instid0(VALU_DEP_4)
	v_bfe_u32 v44, v7, 16, 1
	v_or_b32_e32 v45, 0x400000, v7
	v_cmp_u_f32_e64 s1, v7, v7
	v_mul_f32_e32 v12, s6, v12
	v_or_b32_e32 v47, 0x400000, v8
	v_add3_u32 v44, v44, v7, 0x7fff
	v_bfe_u32 v48, v11, 16, 1
	v_add3_u32 v46, v46, v8, 0x7fff
	v_or_b32_e32 v49, 0x400000, v11
	v_bfe_u32 v50, v5, 16, 1
	s_wait_alu 0xf1ff
	v_cndmask_b32_e64 v7, v44, v45, s1
	v_cmp_u_f32_e64 s1, v8, v8
	v_add3_u32 v48, v48, v11, 0x7fff
	v_cvt_f32_fp8_e32 v43, v43
	v_or_b32_e32 v51, 0x400000, v5
	v_bfe_u32 v52, v12, 16, 1
	s_wait_alu 0xf1ff
	v_cndmask_b32_e64 v8, v46, v47, s1
	v_cmp_u_f32_e64 s1, v11, v11
	v_add3_u32 v50, v50, v5, 0x7fff
	v_cvt_f32_fp8_e32 v6, v6
	v_mul_f32_e32 v43, s6, v43
	v_or_b32_e32 v53, 0x400000, v12
	s_wait_alu 0xf1ff
	v_cndmask_b32_e64 v11, v48, v49, s1
	v_cmp_u_f32_e64 s1, v5, v5
	v_bfe_u32 v54, v42, 16, 1
	v_add3_u32 v52, v52, v12, 0x7fff
	v_mul_f32_e32 v6, s6, v6
	v_or_b32_e32 v55, 0x400000, v42
	s_wait_alu 0xf1ff
	v_cndmask_b32_e64 v5, v50, v51, s1
	v_cmp_u_f32_e64 s1, v12, v12
	v_bfe_u32 v56, v43, 16, 1
	v_add3_u32 v54, v54, v42, 0x7fff
	v_or_b32_e32 v57, 0x400000, v43
	v_bfe_u32 v58, v6, 16, 1
	s_wait_alu 0xf1ff
	v_cndmask_b32_e64 v44, v52, v53, s1
	v_cmp_u_f32_e64 s1, v42, v42
	v_add3_u32 v56, v56, v43, 0x7fff
	v_or_b32_e32 v59, 0x400000, v6
	v_add3_u32 v58, v58, v6, 0x7fff
	v_lshrrev_b32_e32 v42, 16, v7
	s_wait_alu 0xf1ff
	v_cndmask_b32_e64 v45, v54, v55, s1
	v_cmp_u_f32_e64 s1, v43, v43
	v_lshrrev_b32_e32 v43, 16, v8
	v_lshrrev_b32_e32 v11, 16, v11
	;; [unrolled: 1-line block ×4, first 2 shown]
	s_wait_alu 0xf1ff
	v_cndmask_b32_e64 v46, v56, v57, s1
	v_cmp_u_f32_e64 s1, v6, v6
	v_lshrrev_b32_e32 v8, 16, v45
	s_delay_alu instid0(VALU_DEP_3) | instskip(SKIP_1) | instid1(VALU_DEP_3)
	v_lshrrev_b32_e32 v5, 16, v46
	s_wait_alu 0xf1ff
	v_cndmask_b32_e64 v6, v58, v59, s1
	s_delay_alu instid0(VALU_DEP_1)
	v_lshrrev_b32_e32 v6, 16, v6
	s_and_saveexec_b32 s1, s0
	s_cbranch_execz .LBB324_32
; %bb.40:                               ;   in Loop: Header=BB324_34 Depth=1
	v_add_nc_u32_e32 v44, -6, v25
	v_cmp_gt_i32_e64 s0, s27, v35
	v_add_nc_u32_e32 v45, -5, v25
	v_add_nc_u32_e32 v35, -4, v25
	s_wait_alu 0xf1ff
	s_delay_alu instid0(VALU_DEP_3) | instskip(SKIP_3) | instid1(VALU_DEP_2)
	v_cndmask_b32_e64 v42, 0, v42, s0
	v_cmp_gt_i32_e64 s0, s27, v44
	v_add_nc_u32_e32 v44, -3, v25
	s_wait_alu 0xf1ff
	v_cndmask_b32_e64 v43, 0, v43, s0
	v_cmp_gt_i32_e64 s0, s27, v45
	v_add_nc_u32_e32 v45, -2, v25
	s_wait_alu 0xf1ff
	s_delay_alu instid0(VALU_DEP_2) | instskip(SKIP_3) | instid1(VALU_DEP_2)
	v_cndmask_b32_e64 v11, 0, v11, s0
	v_cmp_gt_i32_e64 s0, s27, v35
	v_add_nc_u32_e32 v35, -1, v25
	s_wait_alu 0xf1ff
	v_cndmask_b32_e64 v12, 0, v12, s0
	v_cmp_gt_i32_e64 s0, s27, v44
	s_wait_alu 0xf1ff
	s_delay_alu instid0(VALU_DEP_1) | instskip(SKIP_2) | instid1(VALU_DEP_1)
	v_cndmask_b32_e64 v7, 0, v7, s0
	v_cmp_gt_i32_e64 s0, s27, v45
	s_wait_alu 0xf1ff
	v_cndmask_b32_e64 v8, 0, v8, s0
	v_cmp_gt_i32_e64 s0, s27, v35
	s_wait_alu 0xf1ff
	s_delay_alu instid0(VALU_DEP_1) | instskip(SKIP_2) | instid1(VALU_DEP_1)
	v_cndmask_b32_e64 v5, 0, v5, s0
	v_cmp_gt_i32_e64 s0, s27, v25
	s_wait_alu 0xf1ff
	v_cndmask_b32_e64 v6, 0, v6, s0
	s_branch .LBB324_32
.LBB324_41:
	s_or_b32 exec_lo, exec_lo, s7
.LBB324_42:
	s_wait_alu 0xfffe
	s_or_b32 exec_lo, exec_lo, s8
	s_movk_i32 s0, 0x140
	v_and_b32_e32 v2, 0x3c0, v0
	s_wait_alu 0xfffe
	v_mad_u32_u24 v1, v15, s0, 0xc0
	s_mov_b32 s0, exec_lo
	s_wait_loadcnt 0x0
	s_wait_storecnt 0x0
	s_barrier_signal -1
	s_barrier_wait -1
	global_inv scope:SCOPE_SE
	v_cmpx_eq_u32_e32 64, v2
	s_cbranch_execz .LBB324_45
; %bb.43:
	v_add_nc_u32_e32 v2, 0xfffffd80, v1
	v_cmp_gt_u32_e32 vcc_lo, 0x50, v22
	s_delay_alu instid0(VALU_DEP_2)
	v_lshl_add_u32 v3, v17, 2, v2
	ds_store_2addr_b32 v3, v21, v20 offset1:32
	s_and_b32 exec_lo, exec_lo, vcc_lo
; %bb.44:
	v_lshl_add_u32 v2, v22, 2, v2
	ds_store_b32 v2, v19
.LBB324_45:
	s_wait_alu 0xfffe
	s_or_b32 exec_lo, exec_lo, s0
	v_lshl_add_u32 v2, v17, 2, v1
	s_mov_b32 s0, exec_lo
	s_wait_loadcnt_dscnt 0x0
	s_barrier_signal -1
	s_barrier_wait -1
	global_inv scope:SCOPE_SE
	v_cmpx_gt_u32_e32 64, v0
	s_cbranch_execz .LBB324_49
; %bb.46:
	v_lshl_or_b32 v3, v0, 2, 0x80
	s_mov_b32 s1, exec_lo
	s_delay_alu instid0(VALU_DEP_1)
	v_add_nc_u32_e32 v4, v1, v3
	ds_load_b32 v3, v2
	ds_load_b32 v4, v4
	v_cmpx_gt_u32_e32 0x50, v22
	s_cbranch_execz .LBB324_48
; %bb.47:
	ds_load_b32 v5, v2 offset:256
	s_wait_dscnt 0x0
	v_add_f32_e32 v19, v19, v5
.LBB324_48:
	s_wait_alu 0xfffe
	s_or_b32 exec_lo, exec_lo, s1
	s_wait_dscnt 0x0
	v_dual_add_f32 v21, v21, v3 :: v_dual_add_f32 v20, v20, v4
.LBB324_49:
	s_wait_alu 0xfffe
	s_or_b32 exec_lo, exec_lo, s0
	v_and_b32_e32 v3, 0x3e0, v0
	s_mov_b32 s0, exec_lo
	s_wait_loadcnt 0x0
	s_barrier_signal -1
	s_barrier_wait -1
	global_inv scope:SCOPE_SE
	v_cmpx_eq_u32_e32 32, v3
	s_cbranch_execz .LBB324_52
; %bb.50:
	v_lshl_add_u32 v3, v17, 2, 0xc0
	v_cmp_gt_u32_e32 vcc_lo, 0x50, v22
	ds_store_b32 v3, v21
	ds_store_b32 v18, v20
	s_and_b32 exec_lo, exec_lo, vcc_lo
; %bb.51:
	ds_store_b32 v3, v19 offset:256
.LBB324_52:
	s_wait_alu 0xfffe
	s_or_b32 exec_lo, exec_lo, s0
	v_cmp_gt_u32_e32 vcc_lo, 32, v0
	v_or_b32_e32 v3, 64, v0
	s_wait_loadcnt_dscnt 0x0
	s_barrier_signal -1
	s_barrier_wait -1
	global_inv scope:SCOPE_SE
	s_and_saveexec_b32 s1, vcc_lo
	s_cbranch_execz .LBB324_56
; %bb.53:
	v_lshl_add_u32 v4, v0, 2, v1
	s_mov_b32 s2, exec_lo
	ds_load_b32 v1, v2
	ds_load_b32 v2, v4 offset:128
	v_cmpx_gt_u32_e32 0x50, v3
	s_cbranch_execz .LBB324_55
; %bb.54:
	ds_load_b32 v4, v4 offset:256
	s_wait_dscnt 0x0
	v_add_f32_e32 v19, v19, v4
.LBB324_55:
	s_wait_alu 0xfffe
	s_or_b32 exec_lo, exec_lo, s2
	s_wait_dscnt 0x0
	v_dual_add_f32 v21, v21, v1 :: v_dual_add_f32 v20, v20, v2
.LBB324_56:
	s_wait_alu 0xfffe
	s_or_b32 exec_lo, exec_lo, s1
	s_wait_loadcnt 0x0
	s_barrier_signal -1
	s_barrier_wait -1
	global_inv scope:SCOPE_SE
	s_and_saveexec_b32 s0, vcc_lo
	s_cbranch_execz .LBB324_59
; %bb.57:
	v_bfe_u32 v1, v21, 16, 1
	v_bfe_u32 v2, v20, 16, 1
	v_or_b32_e32 v4, 0x400000, v21
	v_cmp_u_f32_e32 vcc_lo, v21, v21
	s_mul_i32 s0, s14, 0x50
	v_add3_u32 v1, v1, v21, 0x7fff
	s_mul_i32 s2, s12, s16
	s_wait_alu 0xfffe
	s_ashr_i32 s1, s0, 31
	v_add3_u32 v2, v2, v20, 0x7fff
	v_or_b32_e32 v5, 0x400000, v20
	s_wait_alu 0xfffd
	v_cndmask_b32_e32 v1, v1, v4, vcc_lo
	v_cmp_u_f32_e32 vcc_lo, v20, v20
	s_ashr_i32 s3, s2, 31
	s_wait_alu 0xfffe
	s_lshl_b64 s[0:1], s[0:1], 1
	s_lshl_b64 s[2:3], s[2:3], 1
	s_wait_kmcnt 0x0
	s_wait_alu 0xfffe
	s_add_nc_u64 s[0:1], s[4:5], s[0:1]
	v_lshlrev_b32_e32 v0, 1, v0
	s_wait_alu 0xfffd
	v_cndmask_b32_e32 v2, v2, v5, vcc_lo
	v_cmp_gt_u32_e32 vcc_lo, 0x50, v3
	s_wait_alu 0xfffe
	s_add_nc_u64 s[0:1], s[0:1], s[2:3]
	s_mul_i32 s2, s26, 0xa0
	s_mov_b32 s3, 0
	s_wait_alu 0xfffe
	s_add_nc_u64 s[0:1], s[0:1], s[2:3]
	s_clause 0x1
	global_store_d16_hi_b16 v0, v1, s[0:1]
	global_store_d16_hi_b16 v0, v2, s[0:1] offset:64
	s_and_b32 exec_lo, exec_lo, vcc_lo
	s_cbranch_execz .LBB324_59
; %bb.58:
	v_bfe_u32 v1, v19, 16, 1
	v_or_b32_e32 v2, 0x400000, v19
	v_cmp_u_f32_e32 vcc_lo, v19, v19
	s_wait_alu 0xfffe
	v_add_co_u32 v0, s0, s0, v0
	v_add3_u32 v3, v1, v19, 0x7fff
	s_wait_alu 0xf1ff
	v_add_co_ci_u32_e64 v1, null, s1, 0, s0
	s_wait_alu 0xfffd
	s_delay_alu instid0(VALU_DEP_2)
	v_cndmask_b32_e32 v2, v3, v2, vcc_lo
	global_store_d16_hi_b16 v[0:1], v2, off offset:128
.LBB324_59:
	s_nop 0
	s_sendmsg sendmsg(MSG_DEALLOC_VGPRS)
	s_endpgm
	.section	.rodata,"a",@progbits
	.p2align	6, 0x0
	.amdhsa_kernel _ZN4vllm25paged_attention_v2_kernelI14__hip_bfloat16hLi80ELi8ELi128ELNS_18Fp8KVCacheDataTypeE1ELb0ELi512EEEvPfS3_PT_PKS4_PKT0_SA_ifPKiSC_iPKfiiiSE_SE_iiiii
		.amdhsa_group_segment_fixed_size 192
		.amdhsa_private_segment_fixed_size 0
		.amdhsa_kernarg_size 400
		.amdhsa_user_sgpr_count 2
		.amdhsa_user_sgpr_dispatch_ptr 0
		.amdhsa_user_sgpr_queue_ptr 0
		.amdhsa_user_sgpr_kernarg_segment_ptr 1
		.amdhsa_user_sgpr_dispatch_id 0
		.amdhsa_user_sgpr_private_segment_size 0
		.amdhsa_wavefront_size32 1
		.amdhsa_uses_dynamic_stack 0
		.amdhsa_enable_private_segment 0
		.amdhsa_system_sgpr_workgroup_id_x 1
		.amdhsa_system_sgpr_workgroup_id_y 1
		.amdhsa_system_sgpr_workgroup_id_z 1
		.amdhsa_system_sgpr_workgroup_info 0
		.amdhsa_system_vgpr_workitem_id 0
		.amdhsa_next_free_vgpr 98
		.amdhsa_next_free_sgpr 38
		.amdhsa_reserve_vcc 1
		.amdhsa_float_round_mode_32 0
		.amdhsa_float_round_mode_16_64 0
		.amdhsa_float_denorm_mode_32 3
		.amdhsa_float_denorm_mode_16_64 3
		.amdhsa_fp16_overflow 0
		.amdhsa_workgroup_processor_mode 1
		.amdhsa_memory_ordered 1
		.amdhsa_forward_progress 1
		.amdhsa_inst_pref_size 81
		.amdhsa_round_robin_scheduling 0
		.amdhsa_exception_fp_ieee_invalid_op 0
		.amdhsa_exception_fp_denorm_src 0
		.amdhsa_exception_fp_ieee_div_zero 0
		.amdhsa_exception_fp_ieee_overflow 0
		.amdhsa_exception_fp_ieee_underflow 0
		.amdhsa_exception_fp_ieee_inexact 0
		.amdhsa_exception_int_div_zero 0
	.end_amdhsa_kernel
	.section	.text._ZN4vllm25paged_attention_v2_kernelI14__hip_bfloat16hLi80ELi8ELi128ELNS_18Fp8KVCacheDataTypeE1ELb0ELi512EEEvPfS3_PT_PKS4_PKT0_SA_ifPKiSC_iPKfiiiSE_SE_iiiii,"axG",@progbits,_ZN4vllm25paged_attention_v2_kernelI14__hip_bfloat16hLi80ELi8ELi128ELNS_18Fp8KVCacheDataTypeE1ELb0ELi512EEEvPfS3_PT_PKS4_PKT0_SA_ifPKiSC_iPKfiiiSE_SE_iiiii,comdat
.Lfunc_end324:
	.size	_ZN4vllm25paged_attention_v2_kernelI14__hip_bfloat16hLi80ELi8ELi128ELNS_18Fp8KVCacheDataTypeE1ELb0ELi512EEEvPfS3_PT_PKS4_PKT0_SA_ifPKiSC_iPKfiiiSE_SE_iiiii, .Lfunc_end324-_ZN4vllm25paged_attention_v2_kernelI14__hip_bfloat16hLi80ELi8ELi128ELNS_18Fp8KVCacheDataTypeE1ELb0ELi512EEEvPfS3_PT_PKS4_PKT0_SA_ifPKiSC_iPKfiiiSE_SE_iiiii
                                        ; -- End function
	.set _ZN4vllm25paged_attention_v2_kernelI14__hip_bfloat16hLi80ELi8ELi128ELNS_18Fp8KVCacheDataTypeE1ELb0ELi512EEEvPfS3_PT_PKS4_PKT0_SA_ifPKiSC_iPKfiiiSE_SE_iiiii.num_vgpr, 98
	.set _ZN4vllm25paged_attention_v2_kernelI14__hip_bfloat16hLi80ELi8ELi128ELNS_18Fp8KVCacheDataTypeE1ELb0ELi512EEEvPfS3_PT_PKS4_PKT0_SA_ifPKiSC_iPKfiiiSE_SE_iiiii.num_agpr, 0
	.set _ZN4vllm25paged_attention_v2_kernelI14__hip_bfloat16hLi80ELi8ELi128ELNS_18Fp8KVCacheDataTypeE1ELb0ELi512EEEvPfS3_PT_PKS4_PKT0_SA_ifPKiSC_iPKfiiiSE_SE_iiiii.numbered_sgpr, 38
	.set _ZN4vllm25paged_attention_v2_kernelI14__hip_bfloat16hLi80ELi8ELi128ELNS_18Fp8KVCacheDataTypeE1ELb0ELi512EEEvPfS3_PT_PKS4_PKT0_SA_ifPKiSC_iPKfiiiSE_SE_iiiii.num_named_barrier, 0
	.set _ZN4vllm25paged_attention_v2_kernelI14__hip_bfloat16hLi80ELi8ELi128ELNS_18Fp8KVCacheDataTypeE1ELb0ELi512EEEvPfS3_PT_PKS4_PKT0_SA_ifPKiSC_iPKfiiiSE_SE_iiiii.private_seg_size, 0
	.set _ZN4vllm25paged_attention_v2_kernelI14__hip_bfloat16hLi80ELi8ELi128ELNS_18Fp8KVCacheDataTypeE1ELb0ELi512EEEvPfS3_PT_PKS4_PKT0_SA_ifPKiSC_iPKfiiiSE_SE_iiiii.uses_vcc, 1
	.set _ZN4vllm25paged_attention_v2_kernelI14__hip_bfloat16hLi80ELi8ELi128ELNS_18Fp8KVCacheDataTypeE1ELb0ELi512EEEvPfS3_PT_PKS4_PKT0_SA_ifPKiSC_iPKfiiiSE_SE_iiiii.uses_flat_scratch, 0
	.set _ZN4vllm25paged_attention_v2_kernelI14__hip_bfloat16hLi80ELi8ELi128ELNS_18Fp8KVCacheDataTypeE1ELb0ELi512EEEvPfS3_PT_PKS4_PKT0_SA_ifPKiSC_iPKfiiiSE_SE_iiiii.has_dyn_sized_stack, 0
	.set _ZN4vllm25paged_attention_v2_kernelI14__hip_bfloat16hLi80ELi8ELi128ELNS_18Fp8KVCacheDataTypeE1ELb0ELi512EEEvPfS3_PT_PKS4_PKT0_SA_ifPKiSC_iPKfiiiSE_SE_iiiii.has_recursion, 0
	.set _ZN4vllm25paged_attention_v2_kernelI14__hip_bfloat16hLi80ELi8ELi128ELNS_18Fp8KVCacheDataTypeE1ELb0ELi512EEEvPfS3_PT_PKS4_PKT0_SA_ifPKiSC_iPKfiiiSE_SE_iiiii.has_indirect_call, 0
	.section	.AMDGPU.csdata,"",@progbits
; Kernel info:
; codeLenInByte = 10244
; TotalNumSgprs: 40
; NumVgprs: 98
; ScratchSize: 0
; MemoryBound: 0
; FloatMode: 240
; IeeeMode: 1
; LDSByteSize: 192 bytes/workgroup (compile time only)
; SGPRBlocks: 0
; VGPRBlocks: 12
; NumSGPRsForWavesPerEU: 40
; NumVGPRsForWavesPerEU: 98
; Occupancy: 12
; WaveLimiterHint : 1
; COMPUTE_PGM_RSRC2:SCRATCH_EN: 0
; COMPUTE_PGM_RSRC2:USER_SGPR: 2
; COMPUTE_PGM_RSRC2:TRAP_HANDLER: 0
; COMPUTE_PGM_RSRC2:TGID_X_EN: 1
; COMPUTE_PGM_RSRC2:TGID_Y_EN: 1
; COMPUTE_PGM_RSRC2:TGID_Z_EN: 1
; COMPUTE_PGM_RSRC2:TIDIG_COMP_CNT: 0
	.section	.text._ZN4vllm25paged_attention_v2_kernelI14__hip_bfloat16hLi96ELi8ELi128ELNS_18Fp8KVCacheDataTypeE1ELb0ELi512EEEvPfS3_PT_PKS4_PKT0_SA_ifPKiSC_iPKfiiiSE_SE_iiiii,"axG",@progbits,_ZN4vllm25paged_attention_v2_kernelI14__hip_bfloat16hLi96ELi8ELi128ELNS_18Fp8KVCacheDataTypeE1ELb0ELi512EEEvPfS3_PT_PKS4_PKT0_SA_ifPKiSC_iPKfiiiSE_SE_iiiii,comdat
	.protected	_ZN4vllm25paged_attention_v2_kernelI14__hip_bfloat16hLi96ELi8ELi128ELNS_18Fp8KVCacheDataTypeE1ELb0ELi512EEEvPfS3_PT_PKS4_PKT0_SA_ifPKiSC_iPKfiiiSE_SE_iiiii ; -- Begin function _ZN4vllm25paged_attention_v2_kernelI14__hip_bfloat16hLi96ELi8ELi128ELNS_18Fp8KVCacheDataTypeE1ELb0ELi512EEEvPfS3_PT_PKS4_PKT0_SA_ifPKiSC_iPKfiiiSE_SE_iiiii
	.globl	_ZN4vllm25paged_attention_v2_kernelI14__hip_bfloat16hLi96ELi8ELi128ELNS_18Fp8KVCacheDataTypeE1ELb0ELi512EEEvPfS3_PT_PKS4_PKT0_SA_ifPKiSC_iPKfiiiSE_SE_iiiii
	.p2align	8
	.type	_ZN4vllm25paged_attention_v2_kernelI14__hip_bfloat16hLi96ELi8ELi128ELNS_18Fp8KVCacheDataTypeE1ELb0ELi512EEEvPfS3_PT_PKS4_PKT0_SA_ifPKiSC_iPKfiiiSE_SE_iiiii,@function
_ZN4vllm25paged_attention_v2_kernelI14__hip_bfloat16hLi96ELi8ELi128ELNS_18Fp8KVCacheDataTypeE1ELb0ELi512EEEvPfS3_PT_PKS4_PKT0_SA_ifPKiSC_iPKfiiiSE_SE_iiiii: ; @_ZN4vllm25paged_attention_v2_kernelI14__hip_bfloat16hLi96ELi8ELi128ELNS_18Fp8KVCacheDataTypeE1ELb0ELi512EEEvPfS3_PT_PKS4_PKT0_SA_ifPKiSC_iPKfiiiSE_SE_iiiii
; %bb.0:
	s_load_b64 s[2:3], s[0:1], 0x40
	s_and_b32 s15, ttmp7, 0xffff
	s_lshr_b32 s26, ttmp7, 16
	s_lshl_b32 s4, s15, 2
	s_lshl_b32 s28, s26, 9
	s_wait_kmcnt 0x0
	s_load_b32 s27, s[2:3], s4 offset:0x0
	s_wait_kmcnt 0x0
	s_cmp_ge_i32 s28, s27
	s_cbranch_scc1 .LBB325_50
; %bb.1:
	s_clause 0x1
	s_load_b32 s29, s[0:1], 0x90
	s_load_b64 s[8:9], s[0:1], 0x30
	s_wait_kmcnt 0x0
	s_abs_i32 s5, s29
	s_abs_i32 s2, s8
	s_delay_alu instid0(SALU_CYCLE_1) | instskip(SKIP_1) | instid1(SALU_CYCLE_2)
	s_cvt_f32_u32 s3, s2
	s_sub_co_i32 s4, 0, s2
	v_rcp_iflag_f32_e32 v1, s3
	s_delay_alu instid0(TRANS32_DEP_1) | instskip(SKIP_2) | instid1(SALU_CYCLE_2)
	v_readfirstlane_b32 s3, v1
	s_mul_f32 s3, s3, 0x4f7ffffe
	s_wait_alu 0xfffe
	s_cvt_u32_f32 s3, s3
	s_wait_alu 0xfffe
	s_delay_alu instid0(SALU_CYCLE_2) | instskip(NEXT) | instid1(SALU_CYCLE_1)
	s_mul_i32 s4, s4, s3
	s_mul_hi_u32 s4, s3, s4
	s_delay_alu instid0(SALU_CYCLE_1)
	s_add_co_i32 s3, s3, s4
	s_xor_b32 s4, s29, s8
	s_wait_alu 0xfffe
	s_mul_hi_u32 s3, s5, s3
	s_ashr_i32 s4, s4, 31
	s_wait_alu 0xfffe
	s_mul_i32 s6, s3, s2
	s_delay_alu instid0(SALU_CYCLE_1)
	s_sub_co_i32 s5, s5, s6
	s_add_co_i32 s6, s3, 1
	s_sub_co_i32 s7, s5, s2
	s_cmp_ge_u32 s5, s2
	s_cselect_b32 s3, s6, s3
	s_cselect_b32 s5, s7, s5
	s_wait_alu 0xfffe
	s_add_co_i32 s6, s3, 1
	s_cmp_ge_u32 s5, s2
	s_cselect_b32 s2, s6, s3
	s_load_b64 s[6:7], s[0:1], 0x50
	s_xor_b32 s2, s2, s4
	s_mov_b32 s3, 0
	s_wait_alu 0xfffe
	s_sub_co_i32 s11, s2, s4
	s_mov_b32 s8, s3
	s_abs_i32 s10, s11
	s_delay_alu instid0(SALU_CYCLE_1) | instskip(SKIP_1) | instid1(SALU_CYCLE_2)
	s_cvt_f32_u32 s2, s10
	s_wait_alu 0xfffe
	v_rcp_iflag_f32_e32 v1, s2
	s_delay_alu instid0(TRANS32_DEP_1) | instskip(SKIP_2) | instid1(SALU_CYCLE_2)
	v_readfirstlane_b32 s2, v1
	s_mul_f32 s2, s2, 0x4f7ffffe
	s_wait_alu 0xfffe
	s_cvt_u32_f32 s4, s2
	s_sub_co_i32 s2, 0, s10
	s_wait_alu 0xfffe
	s_delay_alu instid0(SALU_CYCLE_1)
	s_mul_i32 s2, s2, s4
	s_wait_alu 0xfffe
	s_mul_hi_u32 s5, s4, s2
	s_abs_i32 s2, ttmp9
	s_add_co_i32 s4, s4, s5
	s_mov_b32 s5, s3
	s_wait_kmcnt 0x0
	s_cmp_eq_u64 s[6:7], 0
	s_cbranch_scc1 .LBB325_3
; %bb.2:
	s_mov_b32 s12, ttmp9
	s_ashr_i32 s13, ttmp9, 31
	s_delay_alu instid0(SALU_CYCLE_1) | instskip(NEXT) | instid1(SALU_CYCLE_1)
	s_lshl_b64 s[12:13], s[12:13], 2
	s_add_nc_u64 s[6:7], s[6:7], s[12:13]
	s_load_b32 s8, s[6:7], 0x0
.LBB325_3:
	s_load_b96 s[12:14], s[0:1], 0x58
	v_and_b32_e32 v1, 3, v0
	s_mul_u64 s[4:5], s[2:3], s[4:5]
	s_ashr_i32 s3, ttmp9, 31
	s_ashr_i32 s4, s11, 31
	s_mul_i32 s16, ttmp9, 0x60
	s_mov_b32 s6, exec_lo
	v_cmpx_gt_u32_e32 48, v0
	s_cbranch_execz .LBB325_5
; %bb.4:
	s_load_b64 s[18:19], s[0:1], 0x18
	s_wait_kmcnt 0x0
	s_mul_i32 s20, s12, s15
	s_ashr_i32 s17, s16, 31
	s_ashr_i32 s21, s20, 31
	v_lshlrev_b32_e32 v2, 2, v0
	s_lshl_b64 s[20:21], s[20:21], 1
	v_and_b32_e32 v3, 0x3fc, v0
	s_delay_alu instid0(VALU_DEP_1) | instskip(SKIP_2) | instid1(SALU_CYCLE_1)
	v_mad_u32_u24 v3, v1, 48, v3
	s_add_nc_u64 s[18:19], s[18:19], s[20:21]
	s_lshl_b64 s[20:21], s[16:17], 1
	s_add_nc_u64 s[18:19], s[18:19], s[20:21]
	global_load_b32 v2, v2, s[18:19]
	s_wait_loadcnt 0x0
	ds_store_b32 v3, v2
.LBB325_5:
	s_or_b32 exec_lo, exec_lo, s6
	s_add_co_i32 s6, s27, 7
	s_wait_alu 0xfffe
	s_xor_b32 s3, s3, s4
	s_ashr_i32 s7, s6, 31
	s_lshl_b32 s31, s26, 6
	s_lshr_b32 s4, s7, 29
	s_mul_i32 s7, s5, s10
	s_add_co_i32 s6, s6, s4
	s_add_co_i32 s4, s31, 64
	s_ashr_i32 s30, s6, 3
	s_load_b32 s6, s[0:1], 0x48
	s_sub_co_i32 s2, s2, s7
	s_min_i32 s17, s4, s30
	s_add_co_i32 s4, s5, 1
	s_wait_alu 0xfffe
	s_sub_co_i32 s7, s2, s10
	s_cmp_ge_u32 s2, s10
	v_lshrrev_b32_e32 v15, 5, v0
	s_cselect_b32 s4, s4, s5
	s_cselect_b32 s2, s7, s2
	s_add_co_i32 s5, s4, 1
	s_wait_alu 0xfffe
	s_cmp_ge_u32 s2, s10
	v_or_b32_e32 v16, s31, v15
	s_cselect_b32 s2, s5, s4
	v_mbcnt_lo_u32_b32 v7, -1, 0
	s_wait_alu 0xfffe
	s_xor_b32 s2, s2, s3
	s_mov_b32 s4, exec_lo
	s_wait_alu 0xfffe
	s_sub_co_i32 s3, s2, s3
	v_cmp_gt_i32_e64 s2, s17, v16
	s_wait_dscnt 0x0
	s_barrier_signal -1
	s_wait_kmcnt 0x0
	s_mul_i32 s18, s6, s15
	s_barrier_wait -1
	s_ashr_i32 s19, s18, 31
	global_inv scope:SCOPE_SE
                                        ; implicit-def: $vgpr8
                                        ; implicit-def: $vgpr9
	v_cmpx_le_i32_e64 s17, v16
	s_xor_b32 s4, exec_lo, s4
; %bb.6:
	v_dual_mov_b32 v8, 0 :: v_dual_mov_b32 v9, 32
	v_mbcnt_lo_u32_b32 v7, -1, 0
                                        ; implicit-def: $vgpr1
; %bb.7:
	s_or_saveexec_b32 s10, s4
	s_clause 0x2
	s_load_b32 s12, s[0:1], 0x98
	s_load_b64 s[20:21], s[0:1], 0x38
	s_load_b128 s[4:7], s[0:1], 0x68
	v_dual_mov_b32 v34, 0xff7fffff :: v_dual_lshlrev_b32 v5, 2, v16
	v_lshlrev_b32_e32 v6, 3, v15
	s_mul_i32 s22, s3, s14
	s_xor_b32 exec_lo, exec_lo, s10
	s_cbranch_execz .LBB325_13
; %bb.8:
	v_mul_u32_u24_e32 v2, 48, v1
	s_load_b64 s[24:25], s[0:1], 0x20
	v_xor_b32_e32 v9, 2, v7
	v_bfe_u32 v3, v0, 2, 3
	v_xor_b32_e32 v37, 1, v7
	ds_load_b128 v[17:20], v2
	ds_load_b128 v[24:27], v2 offset:16
	ds_load_b128 v[31:34], v2 offset:32
	v_cmp_gt_i32_e32 vcc_lo, 32, v9
	v_lshlrev_b32_e32 v4, 4, v3
	s_ashr_i32 s23, s22, 31
	s_wait_kmcnt 0x0
	s_load_b32 s11, s[4:5], 0x0
	v_dual_mov_b32 v8, 0 :: v_dual_lshlrev_b32 v39, 1, v1
	s_cmp_neq_f32 s8, 0
	v_lshlrev_b32_e32 v40, 2, v3
	s_mov_b32 s14, 0
	v_cndmask_b32_e32 v38, v7, v9, vcc_lo
	v_cmp_gt_i32_e32 vcc_lo, 32, v37
	v_mov_b32_e32 v9, 32
	v_mov_b32_e32 v41, v16
	s_add_nc_u64 s[24:25], s[24:25], s[22:23]
	s_mov_b32 s23, s13
	v_add_co_u32 v2, s3, s24, v4
	s_wait_dscnt 0x2
	v_and_b32_e32 v13, 0xffff0000, v18
	v_lshlrev_b32_e32 v10, 16, v17
	s_wait_alu 0xf1ff
	v_add_co_ci_u32_e64 v4, null, s25, 0, s3
	v_and_b32_e32 v11, 0xffff0000, v17
	v_and_b32_e32 v17, 0xffff0000, v19
	s_wait_dscnt 0x0
	v_lshlrev_b32_e32 v35, 16, v34
	v_and_b32_e32 v36, 0xffff0000, v34
	s_wait_alu 0xfffd
	v_cndmask_b32_e32 v34, v7, v37, vcc_lo
	v_cmp_eq_u32_e32 vcc_lo, 0, v1
	v_add_co_u32 v1, s4, v2, v39
	s_cselect_b32 s3, -1, 0
	v_add_co_ci_u32_e64 v2, null, 0, v4, s4
	s_lshl_b64 s[4:5], s[18:19], 2
	v_lshlrev_b32_e32 v37, 2, v38
	v_lshlrev_b32_e32 v38, 2, v34
	v_lshl_or_b32 v34, v15, 5, v40
	s_wait_alu 0xfffe
	s_add_nc_u64 s[4:5], s[20:21], s[4:5]
	v_add3_u32 v39, s28, v6, v3
	s_wait_alu 0xfffe
	v_add_co_u32 v3, s4, s4, v5
	v_lshlrev_b32_e32 v12, 16, v18
	v_lshlrev_b32_e32 v14, 16, v19
	;; [unrolled: 1-line block ×3, first 2 shown]
	v_and_b32_e32 v19, 0xffff0000, v20
	v_lshlrev_b32_e32 v20, 16, v24
	v_and_b32_e32 v21, 0xffff0000, v24
	v_lshlrev_b32_e32 v22, 16, v25
	;; [unrolled: 2-line block ×7, first 2 shown]
	v_and_b32_e32 v33, 0xffff0000, v33
	v_add_nc_u32_e32 v40, 0xe0, v34
	s_wait_alu 0xf1ff
	v_add_co_ci_u32_e64 v4, null, s5, 0, s4
	v_mov_b32_e32 v34, 0xff7fffff
	s_sub_co_i32 s24, 1, s27
	s_branch .LBB325_10
.LBB325_9:                              ;   in Loop: Header=BB325_10 Depth=1
	s_wait_alu 0xfffe
	s_or_b32 exec_lo, exec_lo, s5
	v_add_nc_u32_e32 v41, 4, v41
	v_add_co_u32 v3, s5, v3, 16
	v_add_nc_u32_e32 v39, 32, v39
	v_add_nc_u32_e32 v40, 0x80, v40
	s_delay_alu instid0(VALU_DEP_4) | instskip(SKIP_3) | instid1(SALU_CYCLE_1)
	v_cmp_le_i32_e64 s4, s17, v41
	s_wait_alu 0xf1ff
	v_add_co_ci_u32_e64 v4, null, 0, v4, s5
	s_or_b32 s14, s4, s14
	s_and_not1_b32 exec_lo, exec_lo, s14
	s_cbranch_execz .LBB325_12
.LBB325_10:                             ; =>This Inner Loop Header: Depth=1
	global_load_b32 v42, v[3:4], off
	s_wait_loadcnt_dscnt 0x0
	v_mad_co_i64_i32 v[42:43], null, v42, s23, v[1:2]
	s_clause 0xb
	global_load_u16 v44, v[42:43], off
	global_load_u16 v45, v[42:43], off offset:8
	global_load_u16 v46, v[42:43], off offset:128
	;; [unrolled: 1-line block ×11, first 2 shown]
	s_wait_loadcnt 0x9
	v_and_b32_e32 v56, 0xff, v46
	v_lshrrev_b16 v46, 8, v46
	s_delay_alu instid0(VALU_DEP_1) | instskip(NEXT) | instid1(VALU_DEP_1)
	v_and_b32_e32 v46, 0xffff, v46
	v_cvt_f32_fp8_e32 v46, v46
	v_and_b32_e32 v43, 0xff, v44
	v_lshrrev_b16 v44, 8, v44
	s_wait_kmcnt 0x0
	s_delay_alu instid0(VALU_DEP_3) | instskip(NEXT) | instid1(VALU_DEP_2)
	v_mul_f32_e32 v46, s11, v46
	v_and_b32_e32 v44, 0xffff, v44
	s_delay_alu instid0(VALU_DEP_2) | instskip(SKIP_1) | instid1(VALU_DEP_3)
	v_bfe_u32 v76, v46, 16, 1
	v_or_b32_e32 v77, 0x400000, v46
	v_cvt_f32_fp8_e32 v44, v44
	v_and_b32_e32 v55, 0xff, v45
	v_lshrrev_b16 v45, 8, v45
	v_add3_u32 v76, v76, v46, 0x7fff
	s_delay_alu instid0(VALU_DEP_2) | instskip(NEXT) | instid1(VALU_DEP_1)
	v_dual_mul_f32 v44, s11, v44 :: v_dual_and_b32 v45, 0xffff, v45
	v_bfe_u32 v68, v44, 16, 1
	v_or_b32_e32 v69, 0x400000, v44
	s_delay_alu instid0(VALU_DEP_3) | instskip(SKIP_4) | instid1(VALU_DEP_3)
	v_cvt_f32_fp8_e32 v45, v45
	s_wait_loadcnt 0x5
	v_and_b32_e32 v60, 0xff, v50
	v_lshrrev_b16 v50, 8, v50
	v_add3_u32 v68, v68, v44, 0x7fff
	v_dual_mul_f32 v45, s11, v45 :: v_dual_and_b32 v60, 0xffff, v60
	s_delay_alu instid0(VALU_DEP_3) | instskip(NEXT) | instid1(VALU_DEP_2)
	v_and_b32_e32 v50, 0xffff, v50
	v_bfe_u32 v72, v45, 16, 1
	s_delay_alu instid0(VALU_DEP_3) | instskip(NEXT) | instid1(VALU_DEP_3)
	v_cvt_f32_fp8_e32 v60, v60
	v_cvt_f32_fp8_e32 v50, v50
	v_and_b32_e32 v43, 0xffff, v43
	s_wait_loadcnt 0x2
	v_and_b32_e32 v63, 0xff, v53
	v_or_b32_e32 v73, 0x400000, v45
	v_mul_f32_e32 v60, s11, v60
	v_mul_f32_e32 v50, s11, v50
	v_cvt_f32_fp8_e32 v43, v43
	v_and_b32_e32 v63, 0xffff, v63
	v_add3_u32 v72, v72, v45, 0x7fff
	v_bfe_u32 v90, v60, 16, 1
	v_or_b32_e32 v91, 0x400000, v60
	v_dual_mul_f32 v43, s11, v43 :: v_dual_and_b32 v56, 0xffff, v56
	v_cvt_f32_fp8_e32 v63, v63
	v_bfe_u32 v92, v50, 16, 1
	v_add3_u32 v90, v90, v60, 0x7fff
	s_delay_alu instid0(VALU_DEP_4)
	v_bfe_u32 v66, v43, 16, 1
	v_cvt_f32_fp8_e32 v56, v56
	v_and_b32_e32 v57, 0xff, v47
	v_lshrrev_b16 v47, 8, v47
	v_or_b32_e32 v67, 0x400000, v43
	v_add3_u32 v66, v66, v43, 0x7fff
	v_cmp_u_f32_e64 s4, v43, v43
	s_delay_alu instid0(VALU_DEP_4)
	v_dual_mul_f32 v56, s11, v56 :: v_dual_and_b32 v47, 0xffff, v47
	v_or_b32_e32 v93, 0x400000, v50
	v_add3_u32 v92, v92, v50, 0x7fff
	s_wait_alu 0xf1ff
	v_cndmask_b32_e64 v43, v66, v67, s4
	v_cmp_u_f32_e64 s4, v44, v44
	v_cvt_f32_fp8_e32 v47, v47
	s_wait_loadcnt 0x1
	v_and_b32_e32 v64, 0xff, v54
	v_lshrrev_b16 v54, 8, v54
	v_bfe_u32 v74, v56, 16, 1
	s_wait_alu 0xf1ff
	v_cndmask_b32_e64 v44, v68, v69, s4
	v_or_b32_e32 v75, 0x400000, v56
	v_mul_f32_e32 v47, s11, v47
	v_lshrrev_b16 v53, 8, v53
	v_add3_u32 v74, v74, v56, 0x7fff
	v_and_b32_e32 v44, 0xffff0000, v44
	v_and_b32_e32 v54, 0xffff, v54
	v_bfe_u32 v80, v47, 16, 1
	v_or_b32_e32 v81, 0x400000, v47
	v_and_b32_e32 v43, 0xffff0000, v43
	v_and_b32_e32 v53, 0xffff, v53
	v_cvt_f32_fp8_e32 v54, v54
	v_and_b32_e32 v57, 0xffff, v57
	v_add3_u32 v80, v80, v47, 0x7fff
	v_mul_f32_e32 v63, s11, v63
	v_cvt_f32_fp8_e32 v53, v53
	v_mul_f32_e32 v54, s11, v54
	v_cvt_f32_fp8_e32 v57, v57
	v_and_b32_e32 v62, 0xff, v52
	v_lshrrev_b16 v52, 8, v52
	v_mul_f32_e32 v53, s11, v53
	v_bfe_u32 v108, v54, 16, 1
	s_delay_alu instid0(VALU_DEP_4) | instskip(SKIP_1) | instid1(VALU_DEP_4)
	v_dual_mul_f32 v57, s11, v57 :: v_dual_and_b32 v62, 0xffff, v62
	v_or_b32_e32 v109, 0x400000, v54
	v_bfe_u32 v104, v53, 16, 1
	v_or_b32_e32 v105, 0x400000, v53
	s_delay_alu instid0(VALU_DEP_4)
	v_bfe_u32 v78, v57, 16, 1
	v_cvt_f32_fp8_e32 v62, v62
	v_and_b32_e32 v55, 0xffff, v55
	v_or_b32_e32 v79, 0x400000, v57
	v_bfe_u32 v102, v63, 16, 1
	v_add3_u32 v78, v78, v57, 0x7fff
	v_mul_f32_e32 v62, s11, v62
	v_cvt_f32_fp8_e32 v55, v55
	v_and_b32_e32 v58, 0xff, v48
	v_lshrrev_b16 v48, 8, v48
	v_or_b32_e32 v103, 0x400000, v63
	v_bfe_u32 v98, v62, 16, 1
	v_mul_f32_e32 v55, s11, v55
	v_or_b32_e32 v99, 0x400000, v62
	v_and_b32_e32 v48, 0xffff, v48
	v_add3_u32 v102, v102, v63, 0x7fff
	v_add3_u32 v98, v98, v62, 0x7fff
	v_bfe_u32 v70, v55, 16, 1
	v_or_b32_e32 v71, 0x400000, v55
	v_cvt_f32_fp8_e32 v48, v48
	v_and_b32_e32 v61, 0xff, v51
	v_lshrrev_b16 v51, 8, v51
	v_add3_u32 v70, v70, v55, 0x7fff
	v_cmp_u_f32_e64 s4, v55, v55
	s_delay_alu instid0(VALU_DEP_4) | instskip(NEXT) | instid1(VALU_DEP_4)
	v_dual_mul_f32 v48, s11, v48 :: v_dual_and_b32 v61, 0xffff, v61
	v_and_b32_e32 v51, 0xffff, v51
	v_add3_u32 v104, v104, v53, 0x7fff
	s_wait_alu 0xf1ff
	v_cndmask_b32_e64 v55, v70, v71, s4
	v_cmp_u_f32_e64 s4, v45, v45
	v_bfe_u32 v84, v48, 16, 1
	v_cvt_f32_fp8_e32 v51, v51
	v_and_b32_e32 v58, 0xffff, v58
	v_or_b32_e32 v85, 0x400000, v48
	s_wait_alu 0xf1ff
	v_cndmask_b32_e64 v45, v72, v73, s4
	v_cmp_u_f32_e64 s4, v56, v56
	v_mul_f32_e32 v51, s11, v51
	v_cvt_f32_fp8_e32 v58, v58
	v_and_b32_e32 v59, 0xff, v49
	v_lshrrev_b16 v49, 8, v49
	s_wait_alu 0xf1ff
	v_cndmask_b32_e64 v56, v74, v75, s4
	v_cmp_u_f32_e64 s4, v46, v46
	v_dual_mul_f32 v58, s11, v58 :: v_dual_and_b32 v59, 0xffff, v59
	v_and_b32_e32 v49, 0xffff, v49
	v_add3_u32 v84, v84, v48, 0x7fff
	s_wait_alu 0xf1ff
	v_cndmask_b32_e64 v46, v76, v77, s4
	v_cmp_u_f32_e64 s4, v57, v57
	v_cvt_f32_fp8_e32 v59, v59
	v_bfe_u32 v82, v58, 16, 1
	v_cvt_f32_fp8_e32 v49, v49
	v_or_b32_e32 v83, 0x400000, v58
	s_wait_alu 0xf1ff
	v_cndmask_b32_e64 v57, v78, v79, s4
	v_cmp_u_f32_e64 s4, v47, v47
	v_mul_f32_e32 v59, s11, v59
	v_add3_u32 v82, v82, v58, 0x7fff
	v_mul_f32_e32 v49, s11, v49
	v_cvt_f32_fp8_e32 v61, v61
	s_wait_alu 0xf1ff
	v_cndmask_b32_e64 v47, v80, v81, s4
	v_cmp_u_f32_e64 s4, v58, v58
	v_bfe_u32 v86, v59, 16, 1
	v_or_b32_e32 v87, 0x400000, v59
	v_bfe_u32 v88, v49, 16, 1
	v_or_b32_e32 v89, 0x400000, v49
	s_wait_alu 0xf1ff
	v_cndmask_b32_e64 v58, v82, v83, s4
	v_cmp_u_f32_e64 s4, v48, v48
	v_add3_u32 v86, v86, v59, 0x7fff
	v_add3_u32 v88, v88, v49, 0x7fff
	v_mul_f32_e32 v61, s11, v61
	v_and_b32_e32 v45, 0xffff0000, v45
	s_wait_alu 0xf1ff
	v_cndmask_b32_e64 v48, v84, v85, s4
	v_cmp_u_f32_e64 s4, v59, v59
	v_and_b32_e32 v52, 0xffff, v52
	v_bfe_u32 v94, v61, 16, 1
	v_or_b32_e32 v95, 0x400000, v61
	v_bfe_u32 v96, v51, 16, 1
	s_wait_alu 0xf1ff
	v_cndmask_b32_e64 v59, v86, v87, s4
	v_cmp_u_f32_e64 s4, v49, v49
	v_add3_u32 v94, v94, v61, 0x7fff
	v_mul_f32_e32 v45, v13, v45
	v_cvt_f32_fp8_e32 v52, v52
	s_wait_loadcnt 0x0
	v_and_b32_e32 v65, 0xff, v42
	s_wait_alu 0xf1ff
	v_cndmask_b32_e64 v49, v88, v89, s4
	v_cmp_u_f32_e64 s4, v60, v60
	v_or_b32_e32 v97, 0x400000, v51
	v_mul_f32_e32 v52, s11, v52
	v_add3_u32 v96, v96, v51, 0x7fff
	v_and_b32_e32 v55, 0xffff0000, v55
	s_wait_alu 0xf1ff
	v_cndmask_b32_e64 v60, v90, v91, s4
	v_cmp_u_f32_e64 s4, v50, v50
	v_bfe_u32 v100, v52, 16, 1
	v_or_b32_e32 v101, 0x400000, v52
	v_dual_mul_f32 v55, v12, v55 :: v_dual_and_b32 v64, 0xffff, v64
	s_wait_alu 0xf1ff
	v_cndmask_b32_e64 v50, v92, v93, s4
	v_cmp_u_f32_e64 s4, v61, v61
	v_add3_u32 v100, v100, v52, 0x7fff
	v_fmac_f32_e32 v55, v10, v43
	v_fmac_f32_e32 v45, v11, v44
	v_and_b32_e32 v48, 0xffff0000, v48
	s_wait_alu 0xf1ff
	v_cndmask_b32_e64 v61, v94, v95, s4
	v_cmp_u_f32_e64 s4, v51, v51
	v_lshrrev_b16 v42, 8, v42
	v_and_b32_e32 v47, 0xffff0000, v47
	v_cvt_f32_fp8_e32 v64, v64
	v_and_b32_e32 v65, 0xffff, v65
	s_wait_alu 0xf1ff
	v_cndmask_b32_e64 v51, v96, v97, s4
	v_cmp_u_f32_e64 s4, v62, v62
	v_dual_mul_f32 v64, s11, v64 :: v_dual_and_b32 v49, 0xffff0000, v49
	v_cvt_f32_fp8_e32 v65, v65
	v_add3_u32 v108, v108, v54, 0x7fff
	s_wait_alu 0xf1ff
	v_cndmask_b32_e64 v43, v98, v99, s4
	v_cmp_u_f32_e64 s4, v52, v52
	v_and_b32_e32 v52, 0xffff0000, v58
	v_and_b32_e32 v44, 0xffff0000, v57
	;; [unrolled: 1-line block ×3, first 2 shown]
	v_bfe_u32 v106, v64, 16, 1
	v_mul_f32_e32 v65, s11, v65
	v_or_b32_e32 v107, 0x400000, v64
	v_and_b32_e32 v51, 0xffff0000, v51
	v_dual_fmac_f32 v45, v17, v46 :: v_dual_and_b32 v56, 0xffff0000, v56
	s_wait_alu 0xf1ff
	v_cndmask_b32_e64 v46, v100, v101, s4
	v_cmp_u_f32_e64 s4, v63, v63
	v_add3_u32 v106, v106, v64, 0x7fff
	v_dual_fmac_f32 v45, v19, v47 :: v_dual_and_b32 v42, 0xffff, v42
	v_fmac_f32_e32 v55, v14, v56
	v_and_b32_e32 v47, 0xffff0000, v59
	v_bfe_u32 v110, v65, 16, 1
	s_delay_alu instid0(VALU_DEP_4)
	v_fmac_f32_e32 v45, v21, v48
	v_cvt_f32_fp8_e32 v42, v42
	v_fmac_f32_e32 v55, v18, v44
	s_wait_alu 0xf1ff
	v_cndmask_b32_e64 v44, v102, v103, s4
	v_cmp_u_f32_e64 s4, v53, v53
	v_dual_fmac_f32 v45, v23, v49 :: v_dual_mul_f32 v42, s11, v42
	v_fmac_f32_e32 v55, v20, v52
	v_and_b32_e32 v52, 0xffff0000, v60
	s_wait_alu 0xf1ff
	v_cndmask_b32_e64 v48, v104, v105, s4
	v_cmp_u_f32_e64 s4, v64, v64
	v_and_b32_e32 v49, 0xffff0000, v61
	v_dual_fmac_f32 v55, v22, v47 :: v_dual_and_b32 v50, 0xffff0000, v50
	v_or_b32_e32 v111, 0x400000, v65
	s_wait_alu 0xf1ff
	v_cndmask_b32_e64 v47, v106, v107, s4
	v_cmp_u_f32_e64 s4, v54, v54
	v_fmac_f32_e32 v55, v24, v52
	v_dual_fmac_f32 v45, v25, v50 :: v_dual_and_b32 v44, 0xffff0000, v44
	v_bfe_u32 v112, v42, 16, 1
	v_add3_u32 v110, v110, v65, 0x7fff
	s_wait_alu 0xf1ff
	v_cndmask_b32_e64 v50, v108, v109, s4
	v_and_b32_e32 v43, 0xffff0000, v43
	v_dual_fmac_f32 v55, v26, v49 :: v_dual_and_b32 v46, 0xffff0000, v46
	v_dual_fmac_f32 v45, v27, v51 :: v_dual_and_b32 v48, 0xffff0000, v48
	v_cmp_u_f32_e64 s4, v65, v65
	v_or_b32_e32 v113, 0x400000, v42
	v_add3_u32 v112, v112, v42, 0x7fff
	v_fmac_f32_e32 v55, v28, v43
	v_and_b32_e32 v43, 0xffff0000, v47
	s_wait_alu 0xf1ff
	v_cndmask_b32_e64 v49, v110, v111, s4
	v_fmac_f32_e32 v45, v29, v46
	v_cmp_u_f32_e64 s4, v42, v42
	v_and_b32_e32 v46, 0xffff0000, v50
	s_wait_alu 0xf1ff
	s_delay_alu instid0(VALU_DEP_2) | instskip(SKIP_1) | instid1(VALU_DEP_2)
	v_cndmask_b32_e64 v42, v112, v113, s4
	v_dual_fmac_f32 v55, v30, v44 :: v_dual_and_b32 v44, 0xffff0000, v49
	v_dual_fmac_f32 v45, v31, v48 :: v_dual_and_b32 v42, 0xffff0000, v42
	s_delay_alu instid0(VALU_DEP_2) | instskip(NEXT) | instid1(VALU_DEP_2)
	v_fmac_f32_e32 v55, v32, v43
	v_fmac_f32_e32 v45, v33, v46
	s_delay_alu instid0(VALU_DEP_2) | instskip(NEXT) | instid1(VALU_DEP_2)
	v_fmac_f32_e32 v55, v35, v44
	v_fmac_f32_e32 v45, v36, v42
	s_delay_alu instid0(VALU_DEP_1)
	v_add_f32_e32 v42, v55, v45
	ds_bpermute_b32 v43, v37, v42
	s_wait_dscnt 0x0
	v_add_f32_e32 v42, v42, v43
	ds_bpermute_b32 v43, v38, v42
	s_and_saveexec_b32 s5, vcc_lo
	s_cbranch_execz .LBB325_9
; %bb.11:                               ;   in Loop: Header=BB325_10 Depth=1
	s_wait_dscnt 0x0
	v_add_f32_e32 v42, v42, v43
	s_wait_alu 0xfffe
	v_add_nc_u32_e32 v44, s24, v39
	v_cmp_gt_i32_e64 s4, s27, v39
	s_delay_alu instid0(VALU_DEP_2) | instskip(NEXT) | instid1(VALU_DEP_1)
	v_cvt_f32_i32_e32 v44, v44
	v_mul_f32_e32 v44, s8, v44
	s_delay_alu instid0(VALU_DEP_1) | instskip(SKIP_1) | instid1(VALU_DEP_2)
	v_cndmask_b32_e64 v43, 0, v44, s3
	v_max_num_f32_e32 v44, v34, v34
	v_fmac_f32_e32 v43, s9, v42
	s_delay_alu instid0(VALU_DEP_1) | instskip(SKIP_2) | instid1(VALU_DEP_2)
	v_max_num_f32_e32 v42, v44, v43
	s_wait_alu 0xf1ff
	v_cndmask_b32_e64 v43, 0, v43, s4
	v_cndmask_b32_e64 v34, v34, v42, s4
	ds_store_b32 v40, v43
	s_branch .LBB325_9
.LBB325_12:
	s_or_b32 exec_lo, exec_lo, s14
.LBB325_13:
	s_delay_alu instid0(SALU_CYCLE_1)
	s_or_b32 exec_lo, exec_lo, s10
	v_xor_b32_e32 v1, 16, v7
	v_xor_b32_e32 v3, 8, v7
	s_load_b128 s[8:11], s[0:1], 0x0
	s_wait_kmcnt 0x0
	s_clause 0x1
	s_load_b64 s[4:5], s[0:1], 0x10
	s_load_b64 s[24:25], s[0:1], 0x28
	v_dual_max_num_f32 v10, v34, v34 :: v_dual_and_b32 v17, 31, v0
	v_cmp_lt_i32_e32 vcc_lo, v1, v9
	s_wait_alu 0xfffd
	v_cndmask_b32_e32 v1, v7, v1, vcc_lo
	v_cmp_lt_i32_e32 vcc_lo, v3, v9
	s_wait_alu 0xfffd
	s_delay_alu instid0(VALU_DEP_2) | instskip(SKIP_3) | instid1(VALU_DEP_1)
	v_dual_cndmask_b32 v3, v7, v3 :: v_dual_lshlrev_b32 v2, 2, v1
	ds_bpermute_b32 v1, v2, v34
	s_wait_dscnt 0x0
	v_dual_max_num_f32 v1, v1, v1 :: v_dual_lshlrev_b32 v4, 2, v3
	v_max_num_f32_e32 v1, v10, v1
	v_xor_b32_e32 v10, 4, v7
	s_delay_alu instid0(VALU_DEP_1)
	v_cmp_lt_i32_e32 vcc_lo, v10, v9
	s_wait_alu 0xfffd
	v_cndmask_b32_e32 v10, v7, v10, vcc_lo
	ds_bpermute_b32 v3, v4, v1
	v_cmp_eq_u32_e32 vcc_lo, 0, v17
	v_lshlrev_b32_e32 v12, 2, v10
	v_lshlrev_b32_e32 v10, 2, v15
	s_wait_dscnt 0x0
	v_max_num_f32_e32 v3, v3, v3
	s_delay_alu instid0(VALU_DEP_1)
	v_max_num_f32_e32 v1, v1, v3
	ds_bpermute_b32 v3, v12, v1
	s_and_saveexec_b32 s0, vcc_lo
	s_cbranch_execz .LBB325_15
; %bb.14:
	s_wait_dscnt 0x0
	v_max_num_f32_e32 v3, v3, v3
	v_max_num_f32_e32 v1, v1, v1
	s_delay_alu instid0(VALU_DEP_1)
	v_max_num_f32_e32 v1, v1, v3
	ds_store_b32 v10, v1 offset:192
.LBB325_15:
	s_or_b32 exec_lo, exec_lo, s0
	v_cmp_gt_u32_e64 s0, 4, v17
	v_mov_b32_e32 v1, 0xff7fffff
	v_lshlrev_b32_e32 v11, 2, v17
	s_wait_loadcnt_dscnt 0x0
	s_barrier_signal -1
	s_barrier_wait -1
	global_inv scope:SCOPE_SE
	s_and_saveexec_b32 s1, s0
; %bb.16:
	ds_load_b32 v1, v11 offset:192
; %bb.17:
	s_or_b32 exec_lo, exec_lo, s1
	v_xor_b32_e32 v3, 2, v7
	v_xor_b32_e32 v14, 1, v7
	s_delay_alu instid0(VALU_DEP_2) | instskip(NEXT) | instid1(VALU_DEP_1)
	v_cmp_lt_i32_e64 s1, v3, v9
	v_cndmask_b32_e64 v3, v7, v3, s1
	s_delay_alu instid0(VALU_DEP_3) | instskip(NEXT) | instid1(VALU_DEP_2)
	v_cmp_lt_i32_e64 s1, v14, v9
	v_lshlrev_b32_e32 v13, 2, v3
	s_wait_alu 0xf1ff
	s_delay_alu instid0(VALU_DEP_2)
	v_cndmask_b32_e64 v9, v7, v14, s1
	s_sub_co_i32 s1, s17, s31
	s_wait_alu 0xfffe
	s_lshl_b32 s1, s1, 3
	s_wait_dscnt 0x0
	ds_bpermute_b32 v3, v13, v1
	v_max_num_f32_e32 v1, v1, v1
	v_lshlrev_b32_e32 v9, 2, v9
	s_wait_alu 0xfffe
	s_add_co_i32 s1, s1, s28
	s_wait_alu 0xfffe
	s_min_i32 s1, s1, s27
	s_wait_alu 0xfffe
	s_sub_co_i32 s14, s1, s28
	s_delay_alu instid0(SALU_CYCLE_1) | instskip(SKIP_2) | instid1(VALU_DEP_1)
	v_cmp_gt_i32_e64 s1, s14, v0
	s_wait_dscnt 0x0
	v_max_num_f32_e32 v3, v3, v3
	v_max_num_f32_e32 v1, v1, v3
	ds_bpermute_b32 v3, v9, v1
	s_wait_dscnt 0x0
	v_max_num_f32_e32 v3, v3, v3
	s_delay_alu instid0(VALU_DEP_1)
	v_max_num_f32_e32 v1, v1, v3
	v_dual_mov_b32 v8, 0 :: v_dual_lshlrev_b32 v3, 2, v8
	ds_bpermute_b32 v1, v3, v1
	v_lshl_add_u32 v3, v0, 2, 0xe0
	s_and_saveexec_b32 s23, s1
	s_cbranch_execz .LBB325_21
; %bb.18:
	v_lshl_add_u32 v14, v0, 2, 0xe0
	v_mov_b32_e32 v8, 0
	v_mov_b32_e32 v18, v0
	s_mov_b32 s31, 0
.LBB325_19:                             ; =>This Inner Loop Header: Depth=1
	ds_load_b32 v19, v14
	v_add_nc_u32_e32 v18, 0x80, v18
	s_delay_alu instid0(VALU_DEP_1) | instskip(SKIP_4) | instid1(VALU_DEP_1)
	v_cmp_le_i32_e64 s3, s14, v18
	s_wait_alu 0xfffe
	s_or_b32 s31, s3, s31
	s_wait_dscnt 0x0
	v_sub_f32_e32 v19, v19, v1
	v_mul_f32_e32 v19, 0x3fb8aa3b, v19
	s_delay_alu instid0(VALU_DEP_1)
	v_exp_f32_e32 v19, v19
	ds_store_b32 v14, v19
	v_add_f32_e32 v8, v8, v19
	v_add_nc_u32_e32 v14, 0x200, v14
	s_wait_alu 0xfffe
	s_and_not1_b32 exec_lo, exec_lo, s31
	s_cbranch_execnz .LBB325_19
; %bb.20:
	s_or_b32 exec_lo, exec_lo, s31
.LBB325_21:
	s_wait_alu 0xfffe
	s_or_b32 exec_lo, exec_lo, s23
	ds_bpermute_b32 v2, v2, v8
	s_wait_dscnt 0x0
	v_add_f32_e32 v2, v8, v2
	ds_bpermute_b32 v4, v4, v2
	s_wait_dscnt 0x0
	v_add_f32_e32 v2, v2, v4
	;; [unrolled: 3-line block ×5, first 2 shown]
	s_and_saveexec_b32 s3, vcc_lo
; %bb.22:
	ds_store_b32 v10, v2 offset:208
; %bb.23:
	s_wait_alu 0xfffe
	s_or_b32 exec_lo, exec_lo, s3
	s_wait_loadcnt_dscnt 0x0
	s_barrier_signal -1
	s_barrier_wait -1
	global_inv scope:SCOPE_SE
	s_and_saveexec_b32 s3, s0
; %bb.24:
	ds_load_b32 v2, v11 offset:208
; %bb.25:
	s_wait_alu 0xfffe
	s_or_b32 exec_lo, exec_lo, s3
	s_wait_dscnt 0x0
	ds_bpermute_b32 v4, v13, v2
	s_wait_dscnt 0x0
	v_dual_add_f32 v2, v2, v4 :: v_dual_lshlrev_b32 v7, 2, v7
	ds_bpermute_b32 v4, v9, v2
	s_wait_dscnt 0x0
	v_add_f32_e32 v2, v2, v4
	v_and_b32_e32 v4, 0xffffff80, v7
	ds_bpermute_b32 v2, v4, v2
	s_and_saveexec_b32 s0, s1
	s_cbranch_execz .LBB325_28
; %bb.26:
	s_wait_dscnt 0x0
	v_add_f32_e32 v4, 0x358637bd, v2
	s_mov_b32 s1, 0
	s_delay_alu instid0(VALU_DEP_1) | instskip(SKIP_1) | instid1(VALU_DEP_2)
	v_div_scale_f32 v7, null, v4, v4, 1.0
	v_div_scale_f32 v10, vcc_lo, 1.0, v4, 1.0
	v_rcp_f32_e32 v8, v7
	s_delay_alu instid0(TRANS32_DEP_1) | instskip(NEXT) | instid1(VALU_DEP_1)
	v_fma_f32 v9, -v7, v8, 1.0
	v_fmac_f32_e32 v8, v9, v8
	s_delay_alu instid0(VALU_DEP_1) | instskip(NEXT) | instid1(VALU_DEP_1)
	v_mul_f32_e32 v9, v10, v8
	v_fma_f32 v11, -v7, v9, v10
	s_delay_alu instid0(VALU_DEP_1) | instskip(NEXT) | instid1(VALU_DEP_1)
	v_fmac_f32_e32 v9, v11, v8
	v_fma_f32 v7, -v7, v9, v10
	s_wait_alu 0xfffd
	s_delay_alu instid0(VALU_DEP_1) | instskip(NEXT) | instid1(VALU_DEP_1)
	v_div_fmas_f32 v7, v7, v8, v9
	v_div_fixup_f32 v4, v7, v4, 1.0
	v_mov_b32_e32 v7, v0
.LBB325_27:                             ; =>This Inner Loop Header: Depth=1
	ds_load_b32 v8, v3
	s_wait_dscnt 0x0
	v_dual_mul_f32 v8, v4, v8 :: v_dual_add_nc_u32 v7, 0x80, v7
	s_delay_alu instid0(VALU_DEP_1)
	v_cmp_le_i32_e32 vcc_lo, s14, v7
	ds_store_b32 v3, v8
	v_add_nc_u32_e32 v3, 0x200, v3
	s_wait_alu 0xfffe
	s_or_b32 s1, vcc_lo, s1
	s_wait_alu 0xfffe
	s_and_not1_b32 exec_lo, exec_lo, s1
	s_cbranch_execnz .LBB325_27
.LBB325_28:
	s_wait_alu 0xfffe
	s_or_b32 exec_lo, exec_lo, s0
	s_mul_i32 s0, s12, s15
	s_wait_loadcnt_dscnt 0x0
	s_wait_alu 0xfffe
	s_mul_i32 s14, s0, s29
	s_mov_b32 s0, exec_lo
	s_barrier_signal -1
	s_barrier_wait -1
	global_inv scope:SCOPE_SE
	v_cmpx_eq_u32_e32 0, v0
	s_cbranch_execz .LBB325_30
; %bb.29:
	s_wait_alu 0xfffe
	s_ashr_i32 s15, s14, 31
	s_mul_i32 s34, s12, ttmp9
	s_lshl_b32 s1, s26, 2
	s_wait_alu 0xfffe
	s_lshl_b64 s[36:37], s[14:15], 2
	s_ashr_i32 s35, s34, 31
	v_mov_b32_e32 v3, s1
	s_add_nc_u64 s[10:11], s[10:11], s[36:37]
	s_lshl_b64 s[34:35], s[34:35], 2
	s_add_nc_u64 s[8:9], s[8:9], s[36:37]
	s_wait_alu 0xfffe
	s_add_nc_u64 s[10:11], s[10:11], s[34:35]
	s_add_nc_u64 s[8:9], s[8:9], s[34:35]
	s_clause 0x1
	global_store_b32 v3, v1, s[10:11]
	global_store_b32 v3, v2, s[8:9]
.LBB325_30:
	s_wait_alu 0xfffe
	s_or_b32 exec_lo, exec_lo, s0
	v_dual_mov_b32 v20, 0 :: v_dual_mov_b32 v19, 0
	v_mov_b32_e32 v18, 0
	s_and_saveexec_b32 s1, s2
	s_cbranch_execz .LBB325_40
; %bb.31:
	s_load_b32 s2, s[6:7], 0x0
	v_dual_mov_b32 v18, 0 :: v_dual_lshlrev_b32 v1, 3, v17
	s_ashr_i32 s23, s22, 31
	s_lshl_b64 s[6:7], s[18:19], 2
	s_wait_kmcnt 0x0
	s_wait_alu 0xfffe
	s_add_nc_u64 s[8:9], s[24:25], s[22:23]
	s_add_nc_u64 s[6:7], s[20:21], s[6:7]
	s_wait_alu 0xfffe
	v_add_co_u32 v9, s0, s8, v1
	s_wait_alu 0xf1ff
	v_add_co_ci_u32_e64 v10, null, s9, 0, s0
	v_add_co_u32 v11, s0, s6, v5
	v_add3_u32 v21, s28, v6, 7
	v_lshl_add_u32 v22, v15, 5, 0xe0
	s_wait_alu 0xf1ff
	v_add_co_ci_u32_e64 v12, null, s7, 0, s0
	v_dual_mov_b32 v19, 0 :: v_dual_mov_b32 v20, 0
	s_mov_b32 s3, s13
	s_add_co_i32 s30, s30, -1
	s_mov_b32 s6, 0
	s_branch .LBB325_33
.LBB325_32:                             ;   in Loop: Header=BB325_33 Depth=1
	s_wait_alu 0xfffe
	s_or_b32 exec_lo, exec_lo, s0
	s_wait_dscnt 0x1
	v_bfe_u32 v31, v5, 16, 1
	v_bfe_u32 v32, v6, 16, 1
	v_or_b32_e32 v33, 0x400000, v5
	v_cmp_u_f32_e32 vcc_lo, v5, v5
	v_or_b32_e32 v34, 0x400000, v6
	v_add3_u32 v31, v31, v5, 0x7fff
	v_bfe_u32 v35, v7, 16, 1
	v_add3_u32 v32, v32, v6, 0x7fff
	v_bfe_u32 v36, v8, 16, 1
	v_lshlrev_b32_e32 v45, 16, v45
	s_wait_alu 0xfffd
	v_cndmask_b32_e32 v5, v31, v33, vcc_lo
	v_cmp_u_f32_e32 vcc_lo, v6, v6
	v_add3_u32 v31, v35, v7, 0x7fff
	s_wait_dscnt 0x0
	v_bfe_u32 v33, v1, 16, 1
	v_or_b32_e32 v35, 0x400000, v8
	s_wait_alu 0xfffd
	v_dual_cndmask_b32 v6, v32, v34 :: v_dual_lshlrev_b32 v13, 16, v13
	v_or_b32_e32 v32, 0x400000, v7
	v_cmp_u_f32_e32 vcc_lo, v7, v7
	v_add3_u32 v34, v36, v8, 0x7fff
	v_add_co_u32 v11, s0, v11, 16
	v_add_nc_u32_e32 v21, 32, v21
	s_wait_alu 0xfffd
	v_cndmask_b32_e32 v7, v31, v32, vcc_lo
	v_cmp_u_f32_e32 vcc_lo, v8, v8
	v_add3_u32 v31, v33, v1, 0x7fff
	v_or_b32_e32 v32, 0x400000, v1
	v_bfe_u32 v33, v2, 16, 1
	s_wait_alu 0xf1ff
	v_add_co_ci_u32_e64 v12, null, 0, v12, s0
	s_wait_alu 0xfffd
	v_cndmask_b32_e32 v8, v34, v35, vcc_lo
	v_cmp_u_f32_e32 vcc_lo, v1, v1
	v_add3_u32 v33, v33, v2, 0x7fff
	v_or_b32_e32 v34, 0x400000, v2
	v_and_b32_e32 v6, 0xffff0000, v6
	v_or_b32_e32 v35, 0x400000, v3
	s_wait_alu 0xfffd
	v_cndmask_b32_e32 v1, v31, v32, vcc_lo
	v_bfe_u32 v31, v3, 16, 1
	v_cmp_u_f32_e32 vcc_lo, v2, v2
	v_lshlrev_b32_e32 v32, 16, v51
	v_and_b32_e32 v5, 0xffff0000, v5
	v_and_b32_e32 v1, 0xffff0000, v1
	v_add3_u32 v31, v31, v3, 0x7fff
	s_wait_alu 0xfffd
	v_cndmask_b32_e32 v2, v33, v34, vcc_lo
	v_bfe_u32 v33, v4, 16, 1
	v_cmp_u_f32_e32 vcc_lo, v3, v3
	v_mul_f32_e32 v32, v6, v32
	v_lshlrev_b32_e32 v28, 16, v28
	v_lshlrev_b32_e32 v27, 16, v27
	v_add3_u32 v33, v33, v4, 0x7fff
	s_wait_alu 0xfffd
	v_cndmask_b32_e32 v3, v31, v35, vcc_lo
	v_or_b32_e32 v35, 0x400000, v4
	v_cmp_u_f32_e32 vcc_lo, v4, v4
	v_lshlrev_b32_e32 v39, 16, v49
	v_bfe_u32 v31, v32, 16, 1
	v_or_b32_e32 v36, 0x400000, v32
	v_and_b32_e32 v7, 0xffff0000, v7
	s_wait_alu 0xfffd
	v_dual_cndmask_b32 v4, v33, v35 :: v_dual_lshlrev_b32 v35, 16, v48
	v_and_b32_e32 v8, 0xffff0000, v8
	v_lshlrev_b32_e32 v34, 16, v50
	v_add3_u32 v31, v31, v32, 0x7fff
	v_cmp_u_f32_e32 vcc_lo, v32, v32
	v_dual_mul_f32 v27, v7, v27 :: v_dual_lshlrev_b32 v26, 16, v26
	s_delay_alu instid0(VALU_DEP_4) | instskip(SKIP_3) | instid1(VALU_DEP_3)
	v_dual_mul_f32 v33, v8, v39 :: v_dual_mul_f32 v34, v5, v34
	s_wait_alu 0xfffd
	v_dual_cndmask_b32 v31, v31, v36 :: v_dual_lshlrev_b32 v36, 16, v47
	v_lshlrev_b32_e32 v43, 16, v43
	v_bfe_u32 v47, v33, 16, 1
	v_bfe_u32 v32, v34, 16, 1
	v_or_b32_e32 v39, 0x400000, v34
	v_cmp_u_f32_e32 vcc_lo, v34, v34
	v_and_b32_e32 v31, 0xffff0000, v31
	v_lshlrev_b32_e32 v30, 16, v30
	v_add3_u32 v32, v32, v34, 0x7fff
	v_add3_u32 v34, v47, v33, 0x7fff
	v_lshlrev_b32_e32 v41, 16, v41
	v_lshlrev_b32_e32 v24, 16, v24
	v_mul_f32_e32 v30, v6, v30
	s_wait_alu 0xfffd
	v_cndmask_b32_e32 v32, v32, v39, vcc_lo
	v_mul_f32_e32 v35, v7, v35
	v_or_b32_e32 v39, 0x400000, v33
	v_cmp_u_f32_e32 vcc_lo, v33, v33
	v_and_b32_e32 v2, 0xffff0000, v2
	v_and_b32_e32 v32, 0xffff0000, v32
	v_bfe_u32 v47, v35, 16, 1
	s_wait_alu 0xfffd
	v_dual_mul_f32 v28, v8, v28 :: v_dual_cndmask_b32 v33, v34, v39
	v_or_b32_e32 v39, 0x400000, v35
	v_cmp_u_f32_e32 vcc_lo, v35, v35
	v_add3_u32 v34, v47, v35, 0x7fff
	v_add_f32_e32 v31, v32, v31
	v_dual_mul_f32 v26, v2, v26 :: v_dual_and_b32 v33, 0xffff0000, v33
	v_lshlrev_b32_e32 v14, 16, v14
	s_wait_alu 0xfffd
	v_dual_cndmask_b32 v34, v34, v39 :: v_dual_mul_f32 v45, v1, v45
	v_mul_f32_e32 v36, v2, v36
	v_add_nc_u32_e32 v16, 4, v16
	v_add_nc_u32_e32 v22, 0x80, v22
	s_delay_alu instid0(VALU_DEP_4) | instskip(NEXT) | instid1(VALU_DEP_4)
	v_bfe_u32 v49, v45, 16, 1
	v_bfe_u32 v48, v36, 16, 1
	v_cmp_u_f32_e32 vcc_lo, v36, v36
	s_delay_alu instid0(VALU_DEP_3) | instskip(NEXT) | instid1(VALU_DEP_3)
	v_add3_u32 v39, v49, v45, 0x7fff
	v_add3_u32 v47, v48, v36, 0x7fff
	v_or_b32_e32 v48, 0x400000, v36
	s_wait_alu 0xfffd
	s_delay_alu instid0(VALU_DEP_1) | instskip(SKIP_2) | instid1(VALU_DEP_1)
	v_cndmask_b32_e32 v36, v47, v48, vcc_lo
	v_cmp_u_f32_e32 vcc_lo, v45, v45
	v_and_b32_e32 v4, 0xffff0000, v4
	v_mul_f32_e32 v35, v4, v43
	v_or_b32_e32 v43, 0x400000, v45
	s_delay_alu instid0(VALU_DEP_2) | instskip(SKIP_1) | instid1(VALU_DEP_2)
	v_bfe_u32 v47, v35, 16, 1
	s_wait_alu 0xfffd
	v_cndmask_b32_e32 v39, v39, v43, vcc_lo
	v_or_b32_e32 v45, 0x400000, v35
	v_cmp_u_f32_e32 vcc_lo, v35, v35
	v_mul_f32_e32 v24, v4, v24
	v_add3_u32 v43, v47, v35, 0x7fff
	v_and_b32_e32 v34, 0xffff0000, v34
	v_mul_f32_e32 v4, v4, v13
	s_wait_alu 0xfffd
	s_delay_alu instid0(VALU_DEP_3) | instskip(NEXT) | instid1(VALU_DEP_3)
	v_cndmask_b32_e32 v35, v43, v45, vcc_lo
	v_dual_add_f32 v32, v34, v33 :: v_dual_and_b32 v3, 0xffff0000, v3
	v_and_b32_e32 v34, 0xffff0000, v36
	v_and_b32_e32 v33, 0xffff0000, v39
	s_delay_alu instid0(VALU_DEP_4) | instskip(NEXT) | instid1(VALU_DEP_4)
	v_and_b32_e32 v35, 0xffff0000, v35
	v_mul_f32_e32 v41, v3, v41
	s_delay_alu instid0(VALU_DEP_3) | instskip(SKIP_1) | instid1(VALU_DEP_3)
	v_dual_add_f32 v31, v32, v31 :: v_dual_add_f32 v32, v33, v34
	v_bfe_u32 v34, v30, 16, 1
	v_bfe_u32 v43, v41, 16, 1
	v_or_b32_e32 v39, 0x400000, v41
	v_cmp_u_f32_e32 vcc_lo, v41, v41
	v_add_f32_e32 v31, v32, v31
	s_delay_alu instid0(VALU_DEP_4) | instskip(SKIP_1) | instid1(VALU_DEP_1)
	v_add3_u32 v36, v43, v41, 0x7fff
	s_wait_alu 0xfffd
	v_cndmask_b32_e32 v33, v36, v39, vcc_lo
	v_cmp_u_f32_e32 vcc_lo, v30, v30
	v_or_b32_e32 v39, 0x400000, v28
	s_delay_alu instid0(VALU_DEP_3) | instskip(SKIP_3) | instid1(VALU_DEP_1)
	v_and_b32_e32 v32, 0xffff0000, v33
	v_add3_u32 v33, v34, v30, 0x7fff
	v_or_b32_e32 v34, 0x400000, v30
	s_wait_alu 0xfffd
	v_dual_cndmask_b32 v30, v33, v34 :: v_dual_lshlrev_b32 v29, 16, v29
	s_delay_alu instid0(VALU_DEP_1) | instskip(SKIP_1) | instid1(VALU_DEP_3)
	v_mul_f32_e32 v29, v5, v29
	v_bfe_u32 v33, v28, 16, 1
	v_and_b32_e32 v30, 0xffff0000, v30
	s_delay_alu instid0(VALU_DEP_3) | instskip(SKIP_1) | instid1(VALU_DEP_4)
	v_bfe_u32 v36, v29, 16, 1
	v_cmp_u_f32_e32 vcc_lo, v29, v29
	v_add3_u32 v33, v33, v28, 0x7fff
	s_delay_alu instid0(VALU_DEP_3) | instskip(SKIP_2) | instid1(VALU_DEP_1)
	v_add3_u32 v34, v36, v29, 0x7fff
	v_or_b32_e32 v36, 0x400000, v29
	s_wait_alu 0xfffd
	v_cndmask_b32_e32 v29, v34, v36, vcc_lo
	v_bfe_u32 v34, v27, 16, 1
	v_cmp_u_f32_e32 vcc_lo, v28, v28
	v_or_b32_e32 v36, 0x400000, v27
	s_delay_alu instid0(VALU_DEP_3)
	v_add3_u32 v34, v34, v27, 0x7fff
	s_wait_alu 0xfffd
	v_cndmask_b32_e32 v28, v33, v39, vcc_lo
	v_bfe_u32 v33, v26, 16, 1
	v_cmp_u_f32_e32 vcc_lo, v27, v27
	v_or_b32_e32 v39, 0x400000, v26
	s_delay_alu instid0(VALU_DEP_4) | instskip(NEXT) | instid1(VALU_DEP_4)
	v_and_b32_e32 v28, 0xffff0000, v28
	v_add3_u32 v33, v33, v26, 0x7fff
	s_wait_alu 0xfffd
	v_cndmask_b32_e32 v27, v34, v36, vcc_lo
	v_bfe_u32 v36, v24, 16, 1
	v_cmp_u_f32_e32 vcc_lo, v26, v26
	v_lshlrev_b32_e32 v25, 16, v25
	s_delay_alu instid0(VALU_DEP_3) | instskip(SKIP_4) | instid1(VALU_DEP_1)
	v_add3_u32 v36, v36, v24, 0x7fff
	s_wait_alu 0xfffd
	v_cndmask_b32_e32 v26, v33, v39, vcc_lo
	v_or_b32_e32 v39, 0x400000, v24
	v_mul_f32_e32 v25, v1, v25
	v_bfe_u32 v34, v25, 16, 1
	v_cmp_u_f32_e32 vcc_lo, v25, v25
	s_delay_alu instid0(VALU_DEP_2) | instskip(SKIP_2) | instid1(VALU_DEP_1)
	v_add3_u32 v33, v34, v25, 0x7fff
	v_or_b32_e32 v34, 0x400000, v25
	s_wait_alu 0xfffd
	v_cndmask_b32_e32 v25, v33, v34, vcc_lo
	v_cmp_u_f32_e32 vcc_lo, v24, v24
	s_wait_alu 0xfffd
	s_delay_alu instid0(VALU_DEP_2) | instskip(SKIP_3) | instid1(VALU_DEP_3)
	v_dual_cndmask_b32 v24, v36, v39 :: v_dual_and_b32 v25, 0xffff0000, v25
	v_lshlrev_b32_e32 v36, 16, v46
	v_and_b32_e32 v26, 0xffff0000, v26
	v_and_b32_e32 v27, 0xffff0000, v27
	v_mul_f32_e32 v5, v5, v36
	s_delay_alu instid0(VALU_DEP_3) | instskip(NEXT) | instid1(VALU_DEP_3)
	v_add_f32_e32 v25, v25, v26
	v_dual_add_f32 v27, v27, v28 :: v_dual_lshlrev_b32 v26, 16, v42
	s_delay_alu instid0(VALU_DEP_1) | instskip(SKIP_1) | instid1(VALU_DEP_2)
	v_dual_mul_f32 v7, v7, v26 :: v_dual_lshlrev_b32 v28, 16, v44
	v_lshlrev_b32_e32 v26, 16, v40
	v_dual_mul_f32 v6, v6, v28 :: v_dual_lshlrev_b32 v23, 16, v23
	s_delay_alu instid0(VALU_DEP_1) | instskip(SKIP_2) | instid1(VALU_DEP_3)
	v_dual_mul_f32 v8, v8, v26 :: v_dual_mul_f32 v23, v3, v23
	v_lshlrev_b32_e32 v26, 16, v38
	v_mul_f32_e32 v3, v3, v14
	v_bfe_u32 v33, v23, 16, 1
	v_or_b32_e32 v34, 0x400000, v23
	v_cmp_u_f32_e32 vcc_lo, v23, v23
	v_dual_mul_f32 v1, v1, v26 :: v_dual_lshlrev_b32 v26, 16, v37
	s_delay_alu instid0(VALU_DEP_4) | instskip(NEXT) | instid1(VALU_DEP_2)
	v_add3_u32 v33, v33, v23, 0x7fff
	v_dual_mul_f32 v2, v2, v26 :: v_dual_and_b32 v29, 0xffff0000, v29
	s_wait_alu 0xfffd
	s_delay_alu instid0(VALU_DEP_2) | instskip(NEXT) | instid1(VALU_DEP_2)
	v_cndmask_b32_e32 v23, v33, v34, vcc_lo
	v_add_f32_e32 v29, v29, v30
	v_bfe_u32 v30, v6, 16, 1
	v_cmp_u_f32_e32 vcc_lo, v5, v5
	v_bfe_u32 v26, v2, 16, 1
	s_delay_alu instid0(VALU_DEP_4) | instskip(SKIP_1) | instid1(VALU_DEP_3)
	v_add_f32_e32 v27, v27, v29
	v_bfe_u32 v29, v5, 16, 1
	v_add3_u32 v14, v26, v2, 0x7fff
	v_or_b32_e32 v26, 0x400000, v2
	s_delay_alu instid0(VALU_DEP_3) | instskip(SKIP_2) | instid1(VALU_DEP_1)
	v_add3_u32 v28, v29, v5, 0x7fff
	v_or_b32_e32 v29, 0x400000, v5
	s_wait_alu 0xfffd
	v_cndmask_b32_e32 v5, v28, v29, vcc_lo
	v_add3_u32 v28, v30, v6, 0x7fff
	v_or_b32_e32 v29, 0x400000, v6
	v_bfe_u32 v30, v7, 16, 1
	v_cmp_u_f32_e32 vcc_lo, v6, v6
	v_and_b32_e32 v5, 0xffff0000, v5
	s_wait_alu 0xfffd
	v_cndmask_b32_e32 v6, v28, v29, vcc_lo
	v_add3_u32 v28, v30, v7, 0x7fff
	v_or_b32_e32 v29, 0x400000, v7
	v_bfe_u32 v30, v8, 16, 1
	v_cmp_u_f32_e32 vcc_lo, v7, v7
	s_wait_alu 0xfffd
	s_delay_alu instid0(VALU_DEP_3) | instskip(NEXT) | instid1(VALU_DEP_3)
	v_dual_cndmask_b32 v7, v28, v29 :: v_dual_and_b32 v6, 0xffff0000, v6
	v_add3_u32 v28, v30, v8, 0x7fff
	v_or_b32_e32 v29, 0x400000, v8
	v_cmp_u_f32_e32 vcc_lo, v8, v8
	v_and_b32_e32 v23, 0xffff0000, v23
	v_and_b32_e32 v7, 0xffff0000, v7
	s_wait_alu 0xfffd
	v_dual_add_f32 v5, v5, v6 :: v_dual_cndmask_b32 v8, v28, v29
	s_delay_alu instid0(VALU_DEP_1) | instskip(NEXT) | instid1(VALU_DEP_1)
	v_and_b32_e32 v8, 0xffff0000, v8
	v_add_f32_e32 v6, v7, v8
	v_bfe_u32 v30, v1, 16, 1
	v_or_b32_e32 v13, 0x400000, v1
	v_cmp_u_f32_e32 vcc_lo, v1, v1
	v_and_b32_e32 v7, 0xffff0000, v24
	v_add_f32_e32 v5, v6, v5
	v_add3_u32 v28, v30, v1, 0x7fff
	v_bfe_u32 v30, v4, 16, 1
	v_add_f32_e32 v6, v25, v27
	v_add_f32_e32 v7, v23, v7
	s_wait_alu 0xfffd
	v_cndmask_b32_e32 v1, v28, v13, vcc_lo
	v_cmp_u_f32_e32 vcc_lo, v2, v2
	s_wait_alu 0xfffd
	v_cndmask_b32_e32 v2, v14, v26, vcc_lo
	v_add3_u32 v14, v30, v4, 0x7fff
	v_or_b32_e32 v26, 0x400000, v4
	v_cmp_u_f32_e32 vcc_lo, v4, v4
	s_delay_alu instid0(VALU_DEP_4) | instskip(SKIP_1) | instid1(VALU_DEP_3)
	v_and_b32_e32 v2, 0xffff0000, v2
	s_wait_alu 0xfffd
	v_dual_cndmask_b32 v4, v14, v26 :: v_dual_and_b32 v1, 0xffff0000, v1
	s_delay_alu instid0(VALU_DEP_1) | instskip(SKIP_4) | instid1(VALU_DEP_4)
	v_dual_add_f32 v1, v1, v2 :: v_dual_and_b32 v2, 0xffff0000, v4
	v_bfe_u32 v29, v3, 16, 1
	v_or_b32_e32 v28, 0x400000, v3
	v_cmp_u_f32_e32 vcc_lo, v3, v3
	v_add_f32_e32 v4, v32, v35
	v_add3_u32 v13, v29, v3, 0x7fff
	s_wait_alu 0xfffd
	s_delay_alu instid0(VALU_DEP_1) | instskip(SKIP_1) | instid1(VALU_DEP_2)
	v_cndmask_b32_e32 v3, v13, v28, vcc_lo
	v_cmp_le_i32_e32 vcc_lo, s17, v16
	v_and_b32_e32 v3, 0xffff0000, v3
	s_or_b32 s6, vcc_lo, s6
	s_delay_alu instid0(VALU_DEP_1) | instskip(SKIP_1) | instid1(VALU_DEP_1)
	v_dual_add_f32 v2, v3, v2 :: v_dual_add_f32 v3, v4, v31
	v_add_f32_e32 v4, v7, v6
	v_dual_add_f32 v19, v19, v3 :: v_dual_add_f32 v20, v20, v4
	v_add_f32_e32 v1, v1, v5
	s_delay_alu instid0(VALU_DEP_1) | instskip(NEXT) | instid1(VALU_DEP_1)
	v_add_f32_e32 v1, v2, v1
	v_add_f32_e32 v18, v18, v1
	s_wait_alu 0xfffe
	s_and_not1_b32 exec_lo, exec_lo, s6
	s_cbranch_execz .LBB325_39
.LBB325_33:                             ; =>This Inner Loop Header: Depth=1
	global_load_b32 v1, v[11:12], off
	s_wait_alu 0xfffe
	v_cmp_eq_u32_e32 vcc_lo, s30, v16
	v_add_nc_u32_e32 v32, -2, v21
	s_wait_loadcnt 0x0
	v_mad_co_i64_i32 v[13:14], null, v1, s3, v[9:10]
	global_load_b64 v[23:24], v[13:14], off
	ds_load_2addr_b64 v[5:8], v22 offset1:1
	ds_load_2addr_b64 v[1:4], v22 offset0:2 offset1:3
	s_wait_loadcnt 0x0
	v_and_b32_e32 v28, 0xff, v24
	v_bfe_u32 v29, v24, 8, 8
	v_bfe_u32 v30, v24, 16, 8
	v_lshrrev_b32_e32 v24, 24, v24
	v_bfe_u32 v26, v23, 8, 8
	v_bfe_u32 v27, v23, 16, 8
	v_cvt_f32_fp8_e32 v29, v29
	v_cvt_f32_fp8_e32 v30, v30
	;; [unrolled: 1-line block ×3, first 2 shown]
	v_and_b32_e32 v25, 0xff, v23
	v_cvt_f32_fp8_e32 v26, v26
	v_add_nc_u32_e32 v31, -7, v21
	v_lshrrev_b32_e32 v23, 24, v23
	v_mul_f32_e32 v24, s2, v24
	v_cvt_f32_fp8_e32 v25, v25
	v_cvt_f32_fp8_e32 v27, v27
	v_mul_f32_e32 v26, s2, v26
	v_add_nc_u32_e32 v36, -6, v21
	v_cvt_f32_fp8_e32 v23, v23
	v_mul_f32_e32 v25, s2, v25
	v_mul_f32_e32 v27, s2, v27
	v_bfe_u32 v39, v26, 16, 1
	s_delay_alu instid0(VALU_DEP_4) | instskip(NEXT) | instid1(VALU_DEP_4)
	v_dual_mul_f32 v23, s2, v23 :: v_dual_add_nc_u32 v34, -4, v21
	v_bfe_u32 v37, v25, 16, 1
	v_or_b32_e32 v38, 0x400000, v25
	v_cmp_u_f32_e64 s0, v25, v25
	v_cvt_f32_fp8_e32 v28, v28
	v_or_b32_e32 v40, 0x400000, v26
	v_add3_u32 v37, v37, v25, 0x7fff
	v_bfe_u32 v41, v27, 16, 1
	v_add3_u32 v39, v39, v26, 0x7fff
	v_dual_mul_f32 v28, s2, v28 :: v_dual_add_nc_u32 v35, -5, v21
	s_wait_alu 0xf1ff
	v_cndmask_b32_e64 v25, v37, v38, s0
	v_cmp_u_f32_e64 s0, v26, v26
	v_or_b32_e32 v42, 0x400000, v27
	v_bfe_u32 v43, v23, 16, 1
	v_add3_u32 v41, v41, v27, 0x7fff
	v_mul_f32_e32 v29, s2, v29
	s_wait_alu 0xf1ff
	v_cndmask_b32_e64 v26, v39, v40, s0
	v_cmp_u_f32_e64 s0, v27, v27
	v_or_b32_e32 v44, 0x400000, v23
	v_bfe_u32 v45, v28, 16, 1
	v_add3_u32 v43, v43, v23, 0x7fff
	v_dual_mul_f32 v30, s2, v30 :: v_dual_add_nc_u32 v33, -3, v21
	s_wait_alu 0xf1ff
	v_cndmask_b32_e64 v27, v41, v42, s0
	v_cmp_u_f32_e64 s0, v23, v23
	v_or_b32_e32 v46, 0x400000, v28
	v_bfe_u32 v47, v29, 16, 1
	v_add3_u32 v45, v45, v28, 0x7fff
	v_or_b32_e32 v48, 0x400000, v29
	s_wait_alu 0xf1ff
	v_cndmask_b32_e64 v23, v43, v44, s0
	v_cmp_u_f32_e64 s0, v28, v28
	v_bfe_u32 v49, v30, 16, 1
	v_add3_u32 v47, v47, v29, 0x7fff
	v_or_b32_e32 v50, 0x400000, v30
	v_bfe_u32 v51, v24, 16, 1
	s_wait_alu 0xf1ff
	v_cndmask_b32_e64 v37, v45, v46, s0
	v_cmp_u_f32_e64 s0, v29, v29
	v_add3_u32 v49, v49, v30, 0x7fff
	v_or_b32_e32 v52, 0x400000, v24
	v_add3_u32 v51, v51, v24, 0x7fff
	v_lshrrev_b32_e32 v29, 16, v25
	s_wait_alu 0xf1ff
	v_cndmask_b32_e64 v38, v47, v48, s0
	v_cmp_u_f32_e64 s0, v30, v30
	v_lshrrev_b32_e32 v30, 16, v26
	v_lshrrev_b32_e32 v27, 16, v27
	;; [unrolled: 1-line block ×4, first 2 shown]
	s_wait_alu 0xf1ff
	v_cndmask_b32_e64 v39, v49, v50, s0
	v_cmp_u_f32_e64 s0, v24, v24
	v_lshrrev_b32_e32 v26, 16, v38
	s_delay_alu instid0(VALU_DEP_3) | instskip(SKIP_1) | instid1(VALU_DEP_3)
	v_lshrrev_b32_e32 v23, 16, v39
	s_wait_alu 0xf1ff
	v_cndmask_b32_e64 v24, v51, v52, s0
	v_add_nc_u32_e32 v39, -1, v21
	s_delay_alu instid0(VALU_DEP_2)
	v_lshrrev_b32_e32 v24, 16, v24
	s_and_saveexec_b32 s7, vcc_lo
	s_cbranch_execz .LBB325_35
; %bb.34:                               ;   in Loop: Header=BB325_33 Depth=1
	v_cmp_gt_i32_e64 s0, s27, v31
	s_wait_alu 0xf1ff
	s_delay_alu instid0(VALU_DEP_1) | instskip(SKIP_2) | instid1(VALU_DEP_1)
	v_cndmask_b32_e64 v29, 0, v29, s0
	v_cmp_gt_i32_e64 s0, s27, v36
	s_wait_alu 0xf1ff
	v_cndmask_b32_e64 v30, 0, v30, s0
	v_cmp_gt_i32_e64 s0, s27, v35
	s_wait_alu 0xf1ff
	s_delay_alu instid0(VALU_DEP_1) | instskip(SKIP_2) | instid1(VALU_DEP_1)
	v_cndmask_b32_e64 v27, 0, v27, s0
	v_cmp_gt_i32_e64 s0, s27, v34
	s_wait_alu 0xf1ff
	v_cndmask_b32_e64 v28, 0, v28, s0
	v_cmp_gt_i32_e64 s0, s27, v33
	s_wait_alu 0xf1ff
	s_delay_alu instid0(VALU_DEP_1) | instskip(SKIP_2) | instid1(VALU_DEP_1)
	v_cndmask_b32_e64 v25, 0, v25, s0
	v_cmp_gt_i32_e64 s0, s27, v32
	s_wait_alu 0xf1ff
	v_cndmask_b32_e64 v26, 0, v26, s0
	v_cmp_gt_i32_e64 s0, s27, v39
	s_wait_alu 0xf1ff
	s_delay_alu instid0(VALU_DEP_1) | instskip(SKIP_2) | instid1(VALU_DEP_1)
	v_cndmask_b32_e64 v23, 0, v23, s0
	v_cmp_gt_i32_e64 s0, s27, v21
	s_wait_alu 0xf1ff
	v_cndmask_b32_e64 v24, 0, v24, s0
.LBB325_35:                             ;   in Loop: Header=BB325_33 Depth=1
	s_wait_alu 0xfffe
	s_or_b32 exec_lo, exec_lo, s7
	global_load_b64 v[37:38], v[13:14], off offset:256
	s_wait_loadcnt 0x0
	v_and_b32_e32 v43, 0xff, v38
	v_bfe_u32 v41, v37, 8, 8
	v_bfe_u32 v42, v37, 16, 8
	;; [unrolled: 1-line block ×4, first 2 shown]
	v_cvt_f32_fp8_e32 v43, v43
	v_and_b32_e32 v40, 0xff, v37
	v_cvt_f32_fp8_e32 v41, v41
	v_lshrrev_b32_e32 v37, 24, v37
	v_cvt_f32_fp8_e32 v42, v42
	v_mul_f32_e32 v43, s2, v43
	v_cvt_f32_fp8_e32 v40, v40
	v_mul_f32_e32 v41, s2, v41
	;; [unrolled: 2-line block ×4, first 2 shown]
	v_bfe_u32 v48, v41, 16, 1
	v_mul_f32_e32 v37, s2, v37
	v_or_b32_e32 v49, 0x400000, v41
	v_bfe_u32 v50, v42, 16, 1
	v_bfe_u32 v46, v40, 16, 1
	v_or_b32_e32 v47, 0x400000, v40
	v_cmp_u_f32_e64 s0, v40, v40
	v_add3_u32 v48, v48, v41, 0x7fff
	v_mul_f32_e32 v44, s2, v44
	v_add3_u32 v46, v46, v40, 0x7fff
	v_or_b32_e32 v51, 0x400000, v42
	v_bfe_u32 v52, v37, 16, 1
	v_add3_u32 v50, v50, v42, 0x7fff
	v_lshrrev_b32_e32 v38, 24, v38
	s_wait_alu 0xf1ff
	v_cndmask_b32_e64 v40, v46, v47, s0
	v_cmp_u_f32_e64 s0, v41, v41
	v_cvt_f32_fp8_e32 v45, v45
	v_or_b32_e32 v53, 0x400000, v37
	v_bfe_u32 v54, v43, 16, 1
	v_add3_u32 v52, v52, v37, 0x7fff
	s_wait_alu 0xf1ff
	v_cndmask_b32_e64 v41, v48, v49, s0
	v_cmp_u_f32_e64 s0, v42, v42
	v_cvt_f32_fp8_e32 v38, v38
	v_mul_f32_e32 v45, s2, v45
	v_or_b32_e32 v55, 0x400000, v43
	v_bfe_u32 v56, v44, 16, 1
	s_wait_alu 0xf1ff
	v_cndmask_b32_e64 v42, v50, v51, s0
	v_cmp_u_f32_e64 s0, v37, v37
	v_add3_u32 v54, v54, v43, 0x7fff
	v_mul_f32_e32 v38, s2, v38
	v_or_b32_e32 v57, 0x400000, v44
	v_bfe_u32 v58, v45, 16, 1
	s_wait_alu 0xf1ff
	v_cndmask_b32_e64 v37, v52, v53, s0
	v_cmp_u_f32_e64 s0, v43, v43
	v_add3_u32 v56, v56, v44, 0x7fff
	v_or_b32_e32 v59, 0x400000, v45
	v_bfe_u32 v60, v38, 16, 1
	v_add3_u32 v58, v58, v45, 0x7fff
	s_wait_alu 0xf1ff
	v_cndmask_b32_e64 v43, v54, v55, s0
	v_cmp_u_f32_e64 s0, v44, v44
	v_or_b32_e32 v61, 0x400000, v38
	v_add3_u32 v60, v60, v38, 0x7fff
	v_lshrrev_b32_e32 v50, 16, v40
	v_lshrrev_b32_e32 v51, 16, v41
	s_wait_alu 0xf1ff
	v_cndmask_b32_e64 v44, v56, v57, s0
	v_cmp_u_f32_e64 s0, v45, v45
	v_lshrrev_b32_e32 v48, 16, v42
	v_lshrrev_b32_e32 v49, 16, v37
	;; [unrolled: 1-line block ×4, first 2 shown]
	s_wait_alu 0xf1ff
	v_cndmask_b32_e64 v46, v58, v59, s0
	v_cmp_u_f32_e64 s0, v38, v38
	s_delay_alu instid0(VALU_DEP_2) | instskip(SKIP_1) | instid1(VALU_DEP_2)
	v_lshrrev_b32_e32 v41, 16, v46
	s_wait_alu 0xf1ff
	v_cndmask_b32_e64 v38, v60, v61, s0
	s_delay_alu instid0(VALU_DEP_1)
	v_lshrrev_b32_e32 v43, 16, v38
	s_and_saveexec_b32 s7, vcc_lo
	s_cbranch_execz .LBB325_37
; %bb.36:                               ;   in Loop: Header=BB325_33 Depth=1
	v_cmp_gt_i32_e64 s0, s27, v31
	s_wait_alu 0xf1ff
	s_delay_alu instid0(VALU_DEP_1) | instskip(SKIP_2) | instid1(VALU_DEP_1)
	v_cndmask_b32_e64 v50, 0, v50, s0
	v_cmp_gt_i32_e64 s0, s27, v36
	s_wait_alu 0xf1ff
	v_cndmask_b32_e64 v51, 0, v51, s0
	v_cmp_gt_i32_e64 s0, s27, v35
	s_wait_alu 0xf1ff
	s_delay_alu instid0(VALU_DEP_1) | instskip(SKIP_2) | instid1(VALU_DEP_1)
	v_cndmask_b32_e64 v48, 0, v48, s0
	v_cmp_gt_i32_e64 s0, s27, v34
	s_wait_alu 0xf1ff
	v_cndmask_b32_e64 v49, 0, v49, s0
	;; [unrolled: 7-line block ×4, first 2 shown]
.LBB325_37:                             ;   in Loop: Header=BB325_33 Depth=1
	s_wait_alu 0xfffe
	s_or_b32 exec_lo, exec_lo, s7
	global_load_b64 v[13:14], v[13:14], off offset:512
	s_wait_loadcnt 0x0
	v_bfe_u32 v38, v13, 8, 8
	v_bfe_u32 v40, v13, 16, 8
	;; [unrolled: 1-line block ×4, first 2 shown]
	s_delay_alu instid0(VALU_DEP_4)
	v_cvt_f32_fp8_e32 v38, v38
	v_and_b32_e32 v37, 0xff, v13
	v_lshrrev_b32_e32 v13, 24, v13
	v_cvt_f32_fp8_e32 v40, v40
	v_cvt_f32_fp8_e32 v44, v44
	v_mul_f32_e32 v38, s2, v38
	v_cvt_f32_fp8_e32 v37, v37
	v_and_b32_e32 v42, 0xff, v14
	v_cvt_f32_fp8_e32 v13, v13
	v_mul_f32_e32 v40, s2, v40
	v_bfe_u32 v54, v38, 16, 1
	v_mul_f32_e32 v37, s2, v37
	v_cvt_f32_fp8_e32 v42, v42
	v_mul_f32_e32 v13, s2, v13
	v_or_b32_e32 v55, 0x400000, v38
	v_bfe_u32 v56, v40, 16, 1
	v_bfe_u32 v52, v37, 16, 1
	v_or_b32_e32 v53, 0x400000, v37
	v_cmp_u_f32_e64 s0, v37, v37
	v_add3_u32 v54, v54, v38, 0x7fff
	v_mul_f32_e32 v42, s2, v42
	v_add3_u32 v52, v52, v37, 0x7fff
	v_or_b32_e32 v57, 0x400000, v40
	v_bfe_u32 v58, v13, 16, 1
	v_add3_u32 v56, v56, v40, 0x7fff
	v_lshrrev_b32_e32 v14, 24, v14
	s_wait_alu 0xf1ff
	v_cndmask_b32_e64 v37, v52, v53, s0
	v_cmp_u_f32_e64 s0, v38, v38
	v_cvt_f32_fp8_e32 v46, v46
	v_mul_f32_e32 v44, s2, v44
	v_or_b32_e32 v59, 0x400000, v13
	v_bfe_u32 v60, v42, 16, 1
	s_wait_alu 0xf1ff
	v_cndmask_b32_e64 v38, v54, v55, s0
	v_cmp_u_f32_e64 s0, v40, v40
	v_add3_u32 v58, v58, v13, 0x7fff
	v_cvt_f32_fp8_e32 v14, v14
	v_mul_f32_e32 v46, s2, v46
	v_or_b32_e32 v61, 0x400000, v42
	s_wait_alu 0xf1ff
	v_cndmask_b32_e64 v40, v56, v57, s0
	v_cmp_u_f32_e64 s0, v13, v13
	v_bfe_u32 v62, v44, 16, 1
	v_add3_u32 v60, v60, v42, 0x7fff
	v_mul_f32_e32 v14, s2, v14
	v_or_b32_e32 v63, 0x400000, v44
	s_wait_alu 0xf1ff
	v_cndmask_b32_e64 v13, v58, v59, s0
	v_cmp_u_f32_e64 s0, v42, v42
	v_bfe_u32 v64, v46, 16, 1
	v_add3_u32 v62, v62, v44, 0x7fff
	v_or_b32_e32 v65, 0x400000, v46
	v_bfe_u32 v66, v14, 16, 1
	s_wait_alu 0xf1ff
	v_cndmask_b32_e64 v52, v60, v61, s0
	v_cmp_u_f32_e64 s0, v44, v44
	v_add3_u32 v64, v64, v46, 0x7fff
	v_or_b32_e32 v67, 0x400000, v14
	v_add3_u32 v66, v66, v14, 0x7fff
	v_lshrrev_b32_e32 v44, 16, v38
	s_wait_alu 0xf1ff
	v_cndmask_b32_e64 v53, v62, v63, s0
	v_cmp_u_f32_e64 s0, v46, v46
	v_lshrrev_b32_e32 v46, 16, v37
	v_lshrrev_b32_e32 v42, 16, v40
	;; [unrolled: 1-line block ×4, first 2 shown]
	s_wait_alu 0xf1ff
	v_cndmask_b32_e64 v54, v64, v65, s0
	v_cmp_u_f32_e64 s0, v14, v14
	v_lshrrev_b32_e32 v37, 16, v53
	s_delay_alu instid0(VALU_DEP_3) | instskip(SKIP_1) | instid1(VALU_DEP_3)
	v_lshrrev_b32_e32 v14, 16, v54
	s_wait_alu 0xf1ff
	v_cndmask_b32_e64 v55, v66, v67, s0
	s_delay_alu instid0(VALU_DEP_1)
	v_lshrrev_b32_e32 v13, 16, v55
	s_and_saveexec_b32 s0, vcc_lo
	s_cbranch_execz .LBB325_32
; %bb.38:                               ;   in Loop: Header=BB325_33 Depth=1
	v_cmp_gt_i32_e32 vcc_lo, s27, v31
	s_wait_alu 0xfffd
	v_cndmask_b32_e32 v46, 0, v46, vcc_lo
	v_cmp_gt_i32_e32 vcc_lo, s27, v36
	s_wait_alu 0xfffd
	v_cndmask_b32_e32 v44, 0, v44, vcc_lo
	;; [unrolled: 3-line block ×8, first 2 shown]
	s_branch .LBB325_32
.LBB325_39:
	s_or_b32 exec_lo, exec_lo, s6
.LBB325_40:
	s_wait_alu 0xfffe
	s_or_b32 exec_lo, exec_lo, s1
	v_lshl_add_u32 v2, v17, 2, 0xe0
	v_and_b32_e32 v3, 0x3c0, v0
	s_mov_b32 s0, exec_lo
	s_wait_loadcnt 0x0
	s_wait_storecnt 0x0
	s_barrier_signal -1
	v_mad_u32_u24 v1, 0x180, v15, v2
	s_barrier_wait -1
	global_inv scope:SCOPE_SE
	v_cmpx_eq_u32_e32 64, v3
	s_cbranch_execz .LBB325_42
; %bb.41:
	v_add_nc_u32_e32 v3, 0xfffffd00, v1
	v_add_nc_u32_e32 v4, 0xfffffd80, v1
	;; [unrolled: 1-line block ×3, first 2 shown]
	ds_store_b32 v3, v20
	ds_store_b32 v4, v19
	;; [unrolled: 1-line block ×3, first 2 shown]
.LBB325_42:
	s_wait_alu 0xfffe
	s_or_b32 exec_lo, exec_lo, s0
	s_delay_alu instid0(SALU_CYCLE_1)
	s_mov_b32 s0, exec_lo
	s_wait_loadcnt_dscnt 0x0
	s_barrier_signal -1
	s_barrier_wait -1
	global_inv scope:SCOPE_SE
	v_cmpx_gt_u32_e32 64, v0
	s_cbranch_execz .LBB325_44
; %bb.43:
	ds_load_2addr_b32 v[3:4], v1 offset1:32
	ds_load_b32 v5, v1 offset:256
	s_wait_dscnt 0x1
	v_dual_add_f32 v20, v20, v3 :: v_dual_add_f32 v19, v19, v4
	s_wait_dscnt 0x0
	v_add_f32_e32 v18, v18, v5
.LBB325_44:
	s_wait_alu 0xfffe
	s_or_b32 exec_lo, exec_lo, s0
	v_and_b32_e32 v3, 0x3e0, v0
	s_mov_b32 s0, exec_lo
	s_wait_loadcnt 0x0
	s_barrier_signal -1
	s_barrier_wait -1
	global_inv scope:SCOPE_SE
	v_cmpx_eq_u32_e32 32, v3
	s_cbranch_execz .LBB325_46
; %bb.45:
	ds_store_2addr_b32 v2, v20, v19 offset1:32
	ds_store_b32 v2, v18 offset:256
.LBB325_46:
	s_wait_alu 0xfffe
	s_or_b32 exec_lo, exec_lo, s0
	v_cmp_gt_u32_e32 vcc_lo, 32, v0
	s_wait_loadcnt_dscnt 0x0
	s_barrier_signal -1
	s_barrier_wait -1
	global_inv scope:SCOPE_SE
	s_and_saveexec_b32 s0, vcc_lo
	s_cbranch_execz .LBB325_48
; %bb.47:
	ds_load_2addr_b32 v[2:3], v1 offset1:32
	ds_load_b32 v1, v1 offset:256
	s_wait_dscnt 0x1
	v_dual_add_f32 v20, v20, v2 :: v_dual_add_f32 v19, v19, v3
	s_wait_dscnt 0x0
	v_add_f32_e32 v18, v18, v1
.LBB325_48:
	s_wait_alu 0xfffe
	s_or_b32 exec_lo, exec_lo, s0
	s_wait_loadcnt 0x0
	s_barrier_signal -1
	s_barrier_wait -1
	global_inv scope:SCOPE_SE
	s_and_saveexec_b32 s0, vcc_lo
	s_cbranch_execz .LBB325_50
; %bb.49:
	v_bfe_u32 v1, v20, 16, 1
	v_bfe_u32 v2, v19, 16, 1
	v_or_b32_e32 v4, 0x400000, v20
	v_cmp_u_f32_e32 vcc_lo, v20, v20
	v_bfe_u32 v3, v18, 16, 1
	v_add3_u32 v1, v1, v20, 0x7fff
	v_add3_u32 v2, v2, v19, 0x7fff
	v_or_b32_e32 v5, 0x400000, v19
	s_mul_i32 s0, s14, 0x60
	s_mul_i32 s2, s12, s16
	s_wait_alu 0xfffd
	v_cndmask_b32_e32 v1, v1, v4, vcc_lo
	v_cmp_u_f32_e32 vcc_lo, v19, v19
	s_wait_alu 0xfffe
	s_ashr_i32 s1, s0, 31
	s_ashr_i32 s3, s2, 31
	s_wait_alu 0xfffe
	s_lshl_b64 s[0:1], s[0:1], 1
	v_add3_u32 v3, v3, v18, 0x7fff
	v_or_b32_e32 v6, 0x400000, v18
	s_wait_alu 0xfffd
	v_cndmask_b32_e32 v2, v2, v5, vcc_lo
	v_cmp_u_f32_e32 vcc_lo, v18, v18
	s_lshl_b64 s[2:3], s[2:3], 1
	s_wait_kmcnt 0x0
	s_wait_alu 0xfffe
	s_add_nc_u64 s[0:1], s[4:5], s[0:1]
	v_lshlrev_b32_e32 v0, 1, v0
	s_mul_i32 s4, s26, 0xc0
	s_wait_alu 0xfffe
	s_add_nc_u64 s[0:1], s[0:1], s[2:3]
	s_mov_b32 s5, 0
	s_wait_alu 0xfffd
	v_cndmask_b32_e32 v3, v3, v6, vcc_lo
	s_wait_alu 0xfffe
	s_add_nc_u64 s[0:1], s[0:1], s[4:5]
	s_clause 0x2
	global_store_d16_hi_b16 v0, v1, s[0:1]
	global_store_d16_hi_b16 v0, v2, s[0:1] offset:64
	global_store_d16_hi_b16 v0, v3, s[0:1] offset:128
.LBB325_50:
	s_nop 0
	s_sendmsg sendmsg(MSG_DEALLOC_VGPRS)
	s_endpgm
	.section	.rodata,"a",@progbits
	.p2align	6, 0x0
	.amdhsa_kernel _ZN4vllm25paged_attention_v2_kernelI14__hip_bfloat16hLi96ELi8ELi128ELNS_18Fp8KVCacheDataTypeE1ELb0ELi512EEEvPfS3_PT_PKS4_PKT0_SA_ifPKiSC_iPKfiiiSE_SE_iiiii
		.amdhsa_group_segment_fixed_size 224
		.amdhsa_private_segment_fixed_size 0
		.amdhsa_kernarg_size 400
		.amdhsa_user_sgpr_count 2
		.amdhsa_user_sgpr_dispatch_ptr 0
		.amdhsa_user_sgpr_queue_ptr 0
		.amdhsa_user_sgpr_kernarg_segment_ptr 1
		.amdhsa_user_sgpr_dispatch_id 0
		.amdhsa_user_sgpr_private_segment_size 0
		.amdhsa_wavefront_size32 1
		.amdhsa_uses_dynamic_stack 0
		.amdhsa_enable_private_segment 0
		.amdhsa_system_sgpr_workgroup_id_x 1
		.amdhsa_system_sgpr_workgroup_id_y 1
		.amdhsa_system_sgpr_workgroup_id_z 1
		.amdhsa_system_sgpr_workgroup_info 0
		.amdhsa_system_vgpr_workitem_id 0
		.amdhsa_next_free_vgpr 114
		.amdhsa_next_free_sgpr 38
		.amdhsa_reserve_vcc 1
		.amdhsa_float_round_mode_32 0
		.amdhsa_float_round_mode_16_64 0
		.amdhsa_float_denorm_mode_32 3
		.amdhsa_float_denorm_mode_16_64 3
		.amdhsa_fp16_overflow 0
		.amdhsa_workgroup_processor_mode 1
		.amdhsa_memory_ordered 1
		.amdhsa_forward_progress 1
		.amdhsa_inst_pref_size 78
		.amdhsa_round_robin_scheduling 0
		.amdhsa_exception_fp_ieee_invalid_op 0
		.amdhsa_exception_fp_denorm_src 0
		.amdhsa_exception_fp_ieee_div_zero 0
		.amdhsa_exception_fp_ieee_overflow 0
		.amdhsa_exception_fp_ieee_underflow 0
		.amdhsa_exception_fp_ieee_inexact 0
		.amdhsa_exception_int_div_zero 0
	.end_amdhsa_kernel
	.section	.text._ZN4vllm25paged_attention_v2_kernelI14__hip_bfloat16hLi96ELi8ELi128ELNS_18Fp8KVCacheDataTypeE1ELb0ELi512EEEvPfS3_PT_PKS4_PKT0_SA_ifPKiSC_iPKfiiiSE_SE_iiiii,"axG",@progbits,_ZN4vllm25paged_attention_v2_kernelI14__hip_bfloat16hLi96ELi8ELi128ELNS_18Fp8KVCacheDataTypeE1ELb0ELi512EEEvPfS3_PT_PKS4_PKT0_SA_ifPKiSC_iPKfiiiSE_SE_iiiii,comdat
.Lfunc_end325:
	.size	_ZN4vllm25paged_attention_v2_kernelI14__hip_bfloat16hLi96ELi8ELi128ELNS_18Fp8KVCacheDataTypeE1ELb0ELi512EEEvPfS3_PT_PKS4_PKT0_SA_ifPKiSC_iPKfiiiSE_SE_iiiii, .Lfunc_end325-_ZN4vllm25paged_attention_v2_kernelI14__hip_bfloat16hLi96ELi8ELi128ELNS_18Fp8KVCacheDataTypeE1ELb0ELi512EEEvPfS3_PT_PKS4_PKT0_SA_ifPKiSC_iPKfiiiSE_SE_iiiii
                                        ; -- End function
	.set _ZN4vllm25paged_attention_v2_kernelI14__hip_bfloat16hLi96ELi8ELi128ELNS_18Fp8KVCacheDataTypeE1ELb0ELi512EEEvPfS3_PT_PKS4_PKT0_SA_ifPKiSC_iPKfiiiSE_SE_iiiii.num_vgpr, 114
	.set _ZN4vllm25paged_attention_v2_kernelI14__hip_bfloat16hLi96ELi8ELi128ELNS_18Fp8KVCacheDataTypeE1ELb0ELi512EEEvPfS3_PT_PKS4_PKT0_SA_ifPKiSC_iPKfiiiSE_SE_iiiii.num_agpr, 0
	.set _ZN4vllm25paged_attention_v2_kernelI14__hip_bfloat16hLi96ELi8ELi128ELNS_18Fp8KVCacheDataTypeE1ELb0ELi512EEEvPfS3_PT_PKS4_PKT0_SA_ifPKiSC_iPKfiiiSE_SE_iiiii.numbered_sgpr, 38
	.set _ZN4vllm25paged_attention_v2_kernelI14__hip_bfloat16hLi96ELi8ELi128ELNS_18Fp8KVCacheDataTypeE1ELb0ELi512EEEvPfS3_PT_PKS4_PKT0_SA_ifPKiSC_iPKfiiiSE_SE_iiiii.num_named_barrier, 0
	.set _ZN4vllm25paged_attention_v2_kernelI14__hip_bfloat16hLi96ELi8ELi128ELNS_18Fp8KVCacheDataTypeE1ELb0ELi512EEEvPfS3_PT_PKS4_PKT0_SA_ifPKiSC_iPKfiiiSE_SE_iiiii.private_seg_size, 0
	.set _ZN4vllm25paged_attention_v2_kernelI14__hip_bfloat16hLi96ELi8ELi128ELNS_18Fp8KVCacheDataTypeE1ELb0ELi512EEEvPfS3_PT_PKS4_PKT0_SA_ifPKiSC_iPKfiiiSE_SE_iiiii.uses_vcc, 1
	.set _ZN4vllm25paged_attention_v2_kernelI14__hip_bfloat16hLi96ELi8ELi128ELNS_18Fp8KVCacheDataTypeE1ELb0ELi512EEEvPfS3_PT_PKS4_PKT0_SA_ifPKiSC_iPKfiiiSE_SE_iiiii.uses_flat_scratch, 0
	.set _ZN4vllm25paged_attention_v2_kernelI14__hip_bfloat16hLi96ELi8ELi128ELNS_18Fp8KVCacheDataTypeE1ELb0ELi512EEEvPfS3_PT_PKS4_PKT0_SA_ifPKiSC_iPKfiiiSE_SE_iiiii.has_dyn_sized_stack, 0
	.set _ZN4vllm25paged_attention_v2_kernelI14__hip_bfloat16hLi96ELi8ELi128ELNS_18Fp8KVCacheDataTypeE1ELb0ELi512EEEvPfS3_PT_PKS4_PKT0_SA_ifPKiSC_iPKfiiiSE_SE_iiiii.has_recursion, 0
	.set _ZN4vllm25paged_attention_v2_kernelI14__hip_bfloat16hLi96ELi8ELi128ELNS_18Fp8KVCacheDataTypeE1ELb0ELi512EEEvPfS3_PT_PKS4_PKT0_SA_ifPKiSC_iPKfiiiSE_SE_iiiii.has_indirect_call, 0
	.section	.AMDGPU.csdata,"",@progbits
; Kernel info:
; codeLenInByte = 9884
; TotalNumSgprs: 40
; NumVgprs: 114
; ScratchSize: 0
; MemoryBound: 0
; FloatMode: 240
; IeeeMode: 1
; LDSByteSize: 224 bytes/workgroup (compile time only)
; SGPRBlocks: 0
; VGPRBlocks: 14
; NumSGPRsForWavesPerEU: 40
; NumVGPRsForWavesPerEU: 114
; Occupancy: 12
; WaveLimiterHint : 1
; COMPUTE_PGM_RSRC2:SCRATCH_EN: 0
; COMPUTE_PGM_RSRC2:USER_SGPR: 2
; COMPUTE_PGM_RSRC2:TRAP_HANDLER: 0
; COMPUTE_PGM_RSRC2:TGID_X_EN: 1
; COMPUTE_PGM_RSRC2:TGID_Y_EN: 1
; COMPUTE_PGM_RSRC2:TGID_Z_EN: 1
; COMPUTE_PGM_RSRC2:TIDIG_COMP_CNT: 0
	.section	.text._ZN4vllm25paged_attention_v2_kernelI14__hip_bfloat16hLi112ELi8ELi128ELNS_18Fp8KVCacheDataTypeE1ELb0ELi512EEEvPfS3_PT_PKS4_PKT0_SA_ifPKiSC_iPKfiiiSE_SE_iiiii,"axG",@progbits,_ZN4vllm25paged_attention_v2_kernelI14__hip_bfloat16hLi112ELi8ELi128ELNS_18Fp8KVCacheDataTypeE1ELb0ELi512EEEvPfS3_PT_PKS4_PKT0_SA_ifPKiSC_iPKfiiiSE_SE_iiiii,comdat
	.protected	_ZN4vllm25paged_attention_v2_kernelI14__hip_bfloat16hLi112ELi8ELi128ELNS_18Fp8KVCacheDataTypeE1ELb0ELi512EEEvPfS3_PT_PKS4_PKT0_SA_ifPKiSC_iPKfiiiSE_SE_iiiii ; -- Begin function _ZN4vllm25paged_attention_v2_kernelI14__hip_bfloat16hLi112ELi8ELi128ELNS_18Fp8KVCacheDataTypeE1ELb0ELi512EEEvPfS3_PT_PKS4_PKT0_SA_ifPKiSC_iPKfiiiSE_SE_iiiii
	.globl	_ZN4vllm25paged_attention_v2_kernelI14__hip_bfloat16hLi112ELi8ELi128ELNS_18Fp8KVCacheDataTypeE1ELb0ELi512EEEvPfS3_PT_PKS4_PKT0_SA_ifPKiSC_iPKfiiiSE_SE_iiiii
	.p2align	8
	.type	_ZN4vllm25paged_attention_v2_kernelI14__hip_bfloat16hLi112ELi8ELi128ELNS_18Fp8KVCacheDataTypeE1ELb0ELi512EEEvPfS3_PT_PKS4_PKT0_SA_ifPKiSC_iPKfiiiSE_SE_iiiii,@function
_ZN4vllm25paged_attention_v2_kernelI14__hip_bfloat16hLi112ELi8ELi128ELNS_18Fp8KVCacheDataTypeE1ELb0ELi512EEEvPfS3_PT_PKS4_PKT0_SA_ifPKiSC_iPKfiiiSE_SE_iiiii: ; @_ZN4vllm25paged_attention_v2_kernelI14__hip_bfloat16hLi112ELi8ELi128ELNS_18Fp8KVCacheDataTypeE1ELb0ELi512EEEvPfS3_PT_PKS4_PKT0_SA_ifPKiSC_iPKfiiiSE_SE_iiiii
; %bb.0:
	s_load_b64 s[2:3], s[0:1], 0x40
	s_and_b32 s15, ttmp7, 0xffff
	s_lshr_b32 s26, ttmp7, 16
	s_lshl_b32 s4, s15, 2
	s_lshl_b32 s28, s26, 9
	s_wait_kmcnt 0x0
	s_load_b32 s27, s[2:3], s4 offset:0x0
	s_wait_kmcnt 0x0
	s_cmp_ge_i32 s28, s27
	s_cbranch_scc1 .LBB326_61
; %bb.1:
	s_clause 0x1
	s_load_b32 s29, s[0:1], 0x90
	s_load_b64 s[8:9], s[0:1], 0x30
	s_wait_kmcnt 0x0
	s_abs_i32 s5, s29
	s_abs_i32 s2, s8
	s_delay_alu instid0(SALU_CYCLE_1) | instskip(SKIP_1) | instid1(SALU_CYCLE_2)
	s_cvt_f32_u32 s3, s2
	s_sub_co_i32 s4, 0, s2
	v_rcp_iflag_f32_e32 v1, s3
	s_delay_alu instid0(TRANS32_DEP_1) | instskip(SKIP_2) | instid1(SALU_CYCLE_2)
	v_readfirstlane_b32 s3, v1
	s_mul_f32 s3, s3, 0x4f7ffffe
	s_wait_alu 0xfffe
	s_cvt_u32_f32 s3, s3
	s_wait_alu 0xfffe
	s_delay_alu instid0(SALU_CYCLE_2) | instskip(NEXT) | instid1(SALU_CYCLE_1)
	s_mul_i32 s4, s4, s3
	s_mul_hi_u32 s4, s3, s4
	s_delay_alu instid0(SALU_CYCLE_1)
	s_add_co_i32 s3, s3, s4
	s_xor_b32 s4, s29, s8
	s_wait_alu 0xfffe
	s_mul_hi_u32 s3, s5, s3
	s_ashr_i32 s4, s4, 31
	s_wait_alu 0xfffe
	s_mul_i32 s6, s3, s2
	s_delay_alu instid0(SALU_CYCLE_1)
	s_sub_co_i32 s5, s5, s6
	s_add_co_i32 s6, s3, 1
	s_sub_co_i32 s7, s5, s2
	s_cmp_ge_u32 s5, s2
	s_cselect_b32 s3, s6, s3
	s_cselect_b32 s5, s7, s5
	s_wait_alu 0xfffe
	s_add_co_i32 s6, s3, 1
	s_cmp_ge_u32 s5, s2
	s_cselect_b32 s2, s6, s3
	s_load_b64 s[6:7], s[0:1], 0x50
	s_xor_b32 s2, s2, s4
	s_mov_b32 s3, 0
	s_wait_alu 0xfffe
	s_sub_co_i32 s11, s2, s4
	s_mov_b32 s8, s3
	s_abs_i32 s10, s11
	s_delay_alu instid0(SALU_CYCLE_1) | instskip(SKIP_1) | instid1(SALU_CYCLE_2)
	s_cvt_f32_u32 s2, s10
	s_wait_alu 0xfffe
	v_rcp_iflag_f32_e32 v1, s2
	s_delay_alu instid0(TRANS32_DEP_1) | instskip(SKIP_2) | instid1(SALU_CYCLE_2)
	v_readfirstlane_b32 s2, v1
	s_mul_f32 s2, s2, 0x4f7ffffe
	s_wait_alu 0xfffe
	s_cvt_u32_f32 s4, s2
	s_sub_co_i32 s2, 0, s10
	s_wait_alu 0xfffe
	s_delay_alu instid0(SALU_CYCLE_1)
	s_mul_i32 s2, s2, s4
	s_wait_alu 0xfffe
	s_mul_hi_u32 s5, s4, s2
	s_abs_i32 s2, ttmp9
	s_add_co_i32 s4, s4, s5
	s_mov_b32 s5, s3
	s_wait_kmcnt 0x0
	s_cmp_eq_u64 s[6:7], 0
	s_cbranch_scc1 .LBB326_3
; %bb.2:
	s_mov_b32 s12, ttmp9
	s_ashr_i32 s13, ttmp9, 31
	s_delay_alu instid0(SALU_CYCLE_1) | instskip(NEXT) | instid1(SALU_CYCLE_1)
	s_lshl_b64 s[12:13], s[12:13], 2
	s_add_nc_u64 s[6:7], s[6:7], s[12:13]
	s_load_b32 s8, s[6:7], 0x0
.LBB326_3:
	s_load_b96 s[12:14], s[0:1], 0x58
	v_and_b32_e32 v1, 3, v0
	s_mul_u64 s[4:5], s[2:3], s[4:5]
	s_ashr_i32 s3, ttmp9, 31
	s_ashr_i32 s4, s11, 31
	s_mul_i32 s16, ttmp9, 0x70
	s_mov_b32 s6, exec_lo
	v_cmpx_gt_u32_e32 56, v0
	s_cbranch_execz .LBB326_5
; %bb.4:
	s_load_b64 s[18:19], s[0:1], 0x18
	s_wait_kmcnt 0x0
	s_mul_i32 s20, s12, s15
	s_ashr_i32 s17, s16, 31
	s_ashr_i32 s21, s20, 31
	v_lshlrev_b32_e32 v2, 2, v0
	s_lshl_b64 s[20:21], s[20:21], 1
	v_and_b32_e32 v3, 0x3fc, v0
	s_delay_alu instid0(VALU_DEP_1) | instskip(SKIP_2) | instid1(SALU_CYCLE_1)
	v_mad_u32_u24 v3, v1, 56, v3
	s_add_nc_u64 s[18:19], s[18:19], s[20:21]
	s_lshl_b64 s[20:21], s[16:17], 1
	s_add_nc_u64 s[18:19], s[18:19], s[20:21]
	global_load_b32 v2, v2, s[18:19]
	s_wait_loadcnt 0x0
	ds_store_b32 v3, v2
.LBB326_5:
	s_or_b32 exec_lo, exec_lo, s6
	s_add_co_i32 s6, s27, 7
	s_wait_alu 0xfffe
	s_xor_b32 s3, s3, s4
	s_ashr_i32 s7, s6, 31
	s_lshl_b32 s31, s26, 6
	s_lshr_b32 s4, s7, 29
	s_mul_i32 s7, s5, s10
	s_add_co_i32 s6, s6, s4
	s_add_co_i32 s4, s31, 64
	s_ashr_i32 s30, s6, 3
	s_load_b32 s6, s[0:1], 0x48
	s_sub_co_i32 s2, s2, s7
	s_min_i32 s17, s4, s30
	s_add_co_i32 s4, s5, 1
	s_wait_alu 0xfffe
	s_sub_co_i32 s7, s2, s10
	s_cmp_ge_u32 s2, s10
	v_lshrrev_b32_e32 v15, 5, v0
	s_cselect_b32 s4, s4, s5
	s_cselect_b32 s2, s7, s2
	s_add_co_i32 s5, s4, 1
	s_wait_alu 0xfffe
	s_cmp_ge_u32 s2, s10
	v_or_b32_e32 v16, s31, v15
	s_cselect_b32 s2, s5, s4
	v_mbcnt_lo_u32_b32 v7, -1, 0
	s_wait_alu 0xfffe
	s_xor_b32 s2, s2, s3
	s_mov_b32 s4, exec_lo
	s_wait_alu 0xfffe
	s_sub_co_i32 s3, s2, s3
	v_cmp_gt_i32_e64 s2, s17, v16
	s_wait_dscnt 0x0
	s_barrier_signal -1
	s_wait_kmcnt 0x0
	s_mul_i32 s18, s6, s15
	s_barrier_wait -1
	s_ashr_i32 s19, s18, 31
	global_inv scope:SCOPE_SE
                                        ; implicit-def: $vgpr8
                                        ; implicit-def: $vgpr9
	v_cmpx_le_i32_e64 s17, v16
	s_xor_b32 s4, exec_lo, s4
; %bb.6:
	v_dual_mov_b32 v8, 0 :: v_dual_mov_b32 v9, 32
	v_mbcnt_lo_u32_b32 v7, -1, 0
                                        ; implicit-def: $vgpr1
; %bb.7:
	s_or_saveexec_b32 s10, s4
	s_clause 0x2
	s_load_b32 s12, s[0:1], 0x98
	s_load_b64 s[20:21], s[0:1], 0x38
	s_load_b128 s[4:7], s[0:1], 0x68
	v_dual_mov_b32 v38, 0xff7fffff :: v_dual_lshlrev_b32 v5, 2, v16
	v_lshlrev_b32_e32 v6, 3, v15
	s_mul_i32 s22, s3, s14
	s_xor_b32 exec_lo, exec_lo, s10
	s_cbranch_execz .LBB326_13
; %bb.8:
	s_load_b64 s[24:25], s[0:1], 0x20
	v_mul_u32_u24_e32 v2, 56, v1
	v_bfe_u32 v4, v0, 2, 3
	v_mov_b32_e32 v8, 0
	s_ashr_i32 s23, s22, 31
	v_lshlrev_b32_e32 v38, 1, v1
	ds_load_2addr_b64 v[17:20], v2 offset1:1
	ds_load_2addr_b64 v[24:27], v2 offset0:2 offset1:3
	ds_load_2addr_b64 v[32:35], v2 offset0:4 offset1:5
	ds_load_b64 v[2:3], v2 offset:48
	v_lshlrev_b32_e32 v9, 4, v4
	s_wait_kmcnt 0x0
	s_load_b32 s11, s[4:5], 0x0
	s_cmp_neq_f32 s8, 0
	s_mov_b32 s14, 0
	v_mov_b32_e32 v45, v16
	s_add_nc_u64 s[24:25], s[24:25], s[22:23]
	s_mov_b32 s23, s13
	v_add_co_u32 v43, s3, s24, v9
	v_xor_b32_e32 v9, 2, v7
	s_wait_alu 0xf1ff
	v_add_co_ci_u32_e64 v44, null, s25, 0, s3
	s_cselect_b32 s3, -1, 0
	s_wait_dscnt 0x0
	v_lshlrev_b32_e32 v36, 16, v2
	v_and_b32_e32 v37, 0xffff0000, v2
	v_xor_b32_e32 v2, 1, v7
	v_cmp_gt_i32_e32 vcc_lo, 32, v9
	v_lshlrev_b32_e32 v12, 16, v18
	v_lshlrev_b32_e32 v39, 16, v3
	v_and_b32_e32 v40, 0xffff0000, v3
	v_lshlrev_b32_e32 v3, 2, v4
	v_cndmask_b32_e32 v41, v7, v9, vcc_lo
	v_cmp_gt_i32_e32 vcc_lo, 32, v2
	v_and_b32_e32 v11, 0xffff0000, v17
	v_mov_b32_e32 v9, 32
	v_lshl_or_b32 v3, v15, 5, v3
	v_lshlrev_b32_e32 v10, 16, v17
	s_wait_alu 0xfffd
	v_cndmask_b32_e32 v2, v7, v2, vcc_lo
	v_cmp_eq_u32_e32 vcc_lo, 0, v1
	v_add_co_u32 v1, s4, v43, v38
	v_and_b32_e32 v13, 0xffff0000, v18
	s_delay_alu instid0(VALU_DEP_4)
	v_lshlrev_b32_e32 v42, 2, v2
	v_add_co_ci_u32_e64 v2, null, 0, v44, s4
	s_lshl_b64 s[4:5], s[18:19], 2
	v_add_nc_u32_e32 v44, 0x100, v3
	s_wait_alu 0xfffe
	s_add_nc_u64 s[4:5], s[20:21], s[4:5]
	v_lshlrev_b32_e32 v14, 16, v19
	s_wait_alu 0xfffe
	v_add_co_u32 v3, s4, s4, v5
	v_and_b32_e32 v17, 0xffff0000, v19
	v_lshlrev_b32_e32 v18, 16, v20
	v_and_b32_e32 v19, 0xffff0000, v20
	v_lshlrev_b32_e32 v20, 16, v24
	;; [unrolled: 2-line block ×10, first 2 shown]
	v_add3_u32 v43, s28, v6, v4
	s_wait_alu 0xf1ff
	v_add_co_ci_u32_e64 v4, null, s5, 0, s4
	v_mov_b32_e32 v38, 0xff7fffff
	s_sub_co_i32 s24, 1, s27
	s_branch .LBB326_10
.LBB326_9:                              ;   in Loop: Header=BB326_10 Depth=1
	s_wait_alu 0xfffe
	s_or_b32 exec_lo, exec_lo, s5
	v_add_nc_u32_e32 v45, 4, v45
	v_add_co_u32 v3, s5, v3, 16
	v_add_nc_u32_e32 v43, 32, v43
	v_add_nc_u32_e32 v44, 0x80, v44
	s_delay_alu instid0(VALU_DEP_4) | instskip(SKIP_3) | instid1(SALU_CYCLE_1)
	v_cmp_le_i32_e64 s4, s17, v45
	s_wait_alu 0xf1ff
	v_add_co_ci_u32_e64 v4, null, 0, v4, s5
	s_or_b32 s14, s4, s14
	s_and_not1_b32 exec_lo, exec_lo, s14
	s_cbranch_execz .LBB326_12
.LBB326_10:                             ; =>This Inner Loop Header: Depth=1
	global_load_b32 v46, v[3:4], off
	s_wait_loadcnt_dscnt 0x0
	v_mad_co_i64_i32 v[46:47], null, v46, s23, v[1:2]
	s_clause 0xd
	global_load_u16 v48, v[46:47], off
	global_load_u16 v49, v[46:47], off offset:8
	global_load_u16 v50, v[46:47], off offset:128
	;; [unrolled: 1-line block ×13, first 2 shown]
	s_wait_loadcnt 0xc
	v_and_b32_e32 v61, 0xff, v49
	v_lshrrev_b16 v49, 8, v49
	s_delay_alu instid0(VALU_DEP_1) | instskip(NEXT) | instid1(VALU_DEP_1)
	v_and_b32_e32 v49, 0xffff, v49
	v_cvt_f32_fp8_e32 v49, v49
	v_and_b32_e32 v47, 0xff, v48
	v_lshrrev_b16 v48, 8, v48
	s_wait_kmcnt 0x0
	s_delay_alu instid0(VALU_DEP_3) | instskip(NEXT) | instid1(VALU_DEP_2)
	v_mul_f32_e32 v76, s11, v49
	v_and_b32_e32 v48, 0xffff, v48
	s_delay_alu instid0(VALU_DEP_1) | instskip(SKIP_3) | instid1(VALU_DEP_1)
	v_cvt_f32_fp8_e32 v48, v48
	s_wait_loadcnt 0xb
	v_and_b32_e32 v62, 0xff, v50
	v_lshrrev_b16 v50, 8, v50
	v_dual_mul_f32 v75, s11, v48 :: v_dual_and_b32 v50, 0xffff, v50
	s_delay_alu instid0(VALU_DEP_1) | instskip(SKIP_3) | instid1(VALU_DEP_2)
	v_cvt_f32_fp8_e32 v50, v50
	s_wait_loadcnt 0x5
	v_and_b32_e32 v68, 0xff, v56
	v_lshrrev_b16 v56, 8, v56
	v_dual_mul_f32 v77, s11, v50 :: v_dual_and_b32 v68, 0xffff, v68
	s_delay_alu instid0(VALU_DEP_2) | instskip(NEXT) | instid1(VALU_DEP_2)
	v_and_b32_e32 v56, 0xffff, v56
	v_bfe_u32 v84, v77, 16, 1
	s_delay_alu instid0(VALU_DEP_3) | instskip(NEXT) | instid1(VALU_DEP_3)
	v_cvt_f32_fp8_e32 v68, v68
	v_cvt_f32_fp8_e32 v56, v56
	v_and_b32_e32 v47, 0xffff, v47
	s_wait_loadcnt 0x0
	v_and_b32_e32 v73, 0xff, v46
	v_lshrrev_b16 v46, 8, v46
	v_mul_f32_e32 v68, s11, v68
	v_mul_f32_e32 v56, s11, v56
	v_cvt_f32_fp8_e32 v47, v47
	v_and_b32_e32 v73, 0xffff, v73
	v_and_b32_e32 v46, 0xffff, v46
	v_or_b32_e32 v85, 0x400000, v77
	v_add3_u32 v84, v84, v77, 0x7fff
	v_dual_mul_f32 v74, s11, v47 :: v_dual_and_b32 v61, 0xffff, v61
	s_delay_alu instid0(VALU_DEP_4) | instskip(SKIP_2) | instid1(VALU_DEP_4)
	v_cvt_f32_fp8_e32 v46, v46
	v_cvt_f32_fp8_e32 v73, v73
	v_bfe_u32 v106, v68, 16, 1
	v_cmp_u_f32_e64 s4, v74, v74
	v_cvt_f32_fp8_e32 v61, v61
	v_and_b32_e32 v64, 0xff, v52
	v_lshrrev_b16 v52, 8, v52
	v_mul_f32_e32 v47, s11, v73
	v_or_b32_e32 v73, 0x400000, v76
	s_delay_alu instid0(VALU_DEP_4) | instskip(NEXT) | instid1(VALU_DEP_4)
	v_dual_mul_f32 v61, s11, v61 :: v_dual_and_b32 v64, 0xffff, v64
	v_and_b32_e32 v52, 0xffff, v52
	v_or_b32_e32 v107, 0x400000, v68
	v_bfe_u32 v108, v56, 16, 1
	v_add3_u32 v106, v106, v68, 0x7fff
	v_cvt_f32_fp8_e32 v64, v64
	v_and_b32_e32 v67, 0xff, v55
	v_cvt_f32_fp8_e32 v52, v52
	v_and_b32_e32 v70, 0xff, v58
	v_lshrrev_b16 v58, 8, v58
	s_delay_alu instid0(VALU_DEP_4) | instskip(NEXT) | instid1(VALU_DEP_4)
	v_dual_mul_f32 v64, s11, v64 :: v_dual_and_b32 v67, 0xffff, v67
	v_mul_f32_e32 v79, s11, v52
	v_lshrrev_b16 v55, 8, v55
	s_delay_alu instid0(VALU_DEP_4) | instskip(NEXT) | instid1(VALU_DEP_4)
	v_and_b32_e32 v58, 0xffff, v58
	v_bfe_u32 v90, v64, 16, 1
	v_cvt_f32_fp8_e32 v67, v67
	v_and_b32_e32 v62, 0xffff, v62
	v_or_b32_e32 v91, 0x400000, v64
	v_cvt_f32_fp8_e32 v58, v58
	v_bfe_u32 v92, v79, 16, 1
	v_mul_f32_e32 v67, s11, v67
	v_cvt_f32_fp8_e32 v62, v62
	v_and_b32_e32 v63, 0xff, v51
	v_lshrrev_b16 v51, 8, v51
	v_mul_f32_e32 v46, s11, v46
	v_mul_f32_e32 v52, s11, v58
	s_delay_alu instid0(VALU_DEP_4) | instskip(NEXT) | instid1(VALU_DEP_4)
	v_dual_mul_f32 v62, s11, v62 :: v_dual_and_b32 v63, 0xffff, v63
	v_and_b32_e32 v51, 0xffff, v51
	v_or_b32_e32 v58, 0x400000, v74
	v_add3_u32 v90, v90, v64, 0x7fff
	s_delay_alu instid0(VALU_DEP_4) | instskip(SKIP_4) | instid1(VALU_DEP_4)
	v_bfe_u32 v82, v62, 16, 1
	v_cvt_f32_fp8_e32 v63, v63
	v_cvt_f32_fp8_e32 v51, v51
	v_and_b32_e32 v65, 0xff, v53
	v_lshrrev_b16 v53, 8, v53
	v_dual_mul_f32 v63, s11, v63 :: v_dual_and_b32 v66, 0xff, v54
	s_delay_alu instid0(VALU_DEP_3) | instskip(NEXT) | instid1(VALU_DEP_3)
	v_dual_mul_f32 v78, s11, v51 :: v_dual_and_b32 v65, 0xffff, v65
	v_and_b32_e32 v53, 0xffff, v53
	v_lshrrev_b16 v54, 8, v54
	v_or_b32_e32 v83, 0x400000, v62
	v_add3_u32 v82, v82, v62, 0x7fff
	v_cvt_f32_fp8_e32 v65, v65
	v_cvt_f32_fp8_e32 v53, v53
	v_and_b32_e32 v71, 0xff, v59
	v_and_b32_e32 v72, 0xff, v60
	v_lshrrev_b16 v59, 8, v59
	v_mul_f32_e32 v65, s11, v65
	s_delay_alu instid0(VALU_DEP_4) | instskip(NEXT) | instid1(VALU_DEP_4)
	v_dual_mul_f32 v80, s11, v53 :: v_dual_and_b32 v71, 0xffff, v71
	v_and_b32_e32 v72, 0xffff, v72
	v_lshrrev_b16 v60, 8, v60
	v_and_b32_e32 v59, 0xffff, v59
	v_bfe_u32 v86, v63, 16, 1
	v_cvt_f32_fp8_e32 v71, v71
	v_and_b32_e32 v66, 0xffff, v66
	v_cvt_f32_fp8_e32 v72, v72
	v_and_b32_e32 v54, 0xffff, v54
	s_delay_alu instid0(VALU_DEP_4) | instskip(NEXT) | instid1(VALU_DEP_4)
	v_dual_mul_f32 v51, s11, v71 :: v_dual_and_b32 v60, 0xffff, v60
	v_cvt_f32_fp8_e32 v66, v66
	v_and_b32_e32 v69, 0xff, v57
	v_lshrrev_b16 v57, 8, v57
	v_mul_f32_e32 v49, s11, v72
	v_cvt_f32_fp8_e32 v54, v54
	v_cvt_f32_fp8_e32 v59, v59
	;; [unrolled: 1-line block ×3, first 2 shown]
	v_and_b32_e32 v57, 0xffff, v57
	v_or_b32_e32 v71, 0x400000, v61
	s_delay_alu instid0(VALU_DEP_4) | instskip(SKIP_1) | instid1(VALU_DEP_4)
	v_dual_mul_f32 v81, s11, v54 :: v_dual_mul_f32 v50, s11, v59
	v_bfe_u32 v59, v75, 16, 1
	v_cvt_f32_fp8_e32 v57, v57
	v_mul_f32_e32 v48, s11, v60
	v_or_b32_e32 v60, 0x400000, v75
	v_bfe_u32 v72, v76, 16, 1
	v_add3_u32 v59, v59, v75, 0x7fff
	v_mul_f32_e32 v54, s11, v57
	v_bfe_u32 v57, v74, 16, 1
	v_or_b32_e32 v87, 0x400000, v63
	v_add3_u32 v72, v72, v76, 0x7fff
	v_bfe_u32 v88, v78, 16, 1
	v_add3_u32 v86, v86, v63, 0x7fff
	v_add3_u32 v57, v57, v74, 0x7fff
	v_or_b32_e32 v89, 0x400000, v78
	v_or_b32_e32 v93, 0x400000, v79
	v_add3_u32 v88, v88, v78, 0x7fff
	v_bfe_u32 v94, v65, 16, 1
	s_wait_alu 0xf1ff
	v_cndmask_b32_e64 v57, v57, v58, s4
	v_cmp_u_f32_e64 s4, v75, v75
	v_add3_u32 v92, v92, v79, 0x7fff
	v_mul_f32_e32 v66, s11, v66
	v_or_b32_e32 v95, 0x400000, v65
	v_bfe_u32 v96, v80, 16, 1
	s_wait_alu 0xf1ff
	v_cndmask_b32_e64 v59, v59, v60, s4
	v_cmp_u_f32_e64 s4, v61, v61
	v_add3_u32 v94, v94, v65, 0x7fff
	v_and_b32_e32 v57, 0xffff0000, v57
	v_or_b32_e32 v97, 0x400000, v80
	v_and_b32_e32 v59, 0xffff0000, v59
	v_and_b32_e32 v70, 0xffff, v70
	v_bfe_u32 v98, v66, 16, 1
	v_add3_u32 v96, v96, v80, 0x7fff
	v_or_b32_e32 v99, 0x400000, v66
	v_bfe_u32 v100, v81, 16, 1
	v_cvt_f32_fp8_e32 v70, v70
	v_add3_u32 v98, v98, v66, 0x7fff
	v_or_b32_e32 v101, 0x400000, v81
	v_bfe_u32 v102, v67, 16, 1
	v_add3_u32 v100, v100, v81, 0x7fff
	v_mul_f32_e32 v53, s11, v70
	v_bfe_u32 v70, v61, 16, 1
	v_or_b32_e32 v103, 0x400000, v67
	v_add3_u32 v102, v102, v67, 0x7fff
	v_or_b32_e32 v109, 0x400000, v56
	v_add3_u32 v108, v108, v56, 0x7fff
	v_add3_u32 v70, v70, v61, 0x7fff
	v_bfe_u32 v112, v54, 16, 1
	v_or_b32_e32 v113, 0x400000, v54
	v_bfe_u32 v114, v53, 16, 1
	v_or_b32_e32 v115, 0x400000, v53
	s_wait_alu 0xf1ff
	v_cndmask_b32_e64 v60, v70, v71, s4
	v_cmp_u_f32_e64 s4, v76, v76
	v_add3_u32 v112, v112, v54, 0x7fff
	v_bfe_u32 v116, v52, 16, 1
	v_add3_u32 v114, v114, v53, 0x7fff
	v_and_b32_e32 v60, 0xffff0000, v60
	s_wait_alu 0xf1ff
	v_cndmask_b32_e64 v61, v72, v73, s4
	v_cmp_u_f32_e64 s4, v62, v62
	v_bfe_u32 v117, v51, 16, 1
	v_or_b32_e32 v118, 0x400000, v52
	s_delay_alu instid0(VALU_DEP_4)
	v_dual_mul_f32 v60, v12, v60 :: v_dual_and_b32 v61, 0xffff0000, v61
	s_wait_alu 0xf1ff
	v_cndmask_b32_e64 v62, v82, v83, s4
	v_cmp_u_f32_e64 s4, v77, v77
	v_add3_u32 v116, v116, v52, 0x7fff
	v_fmac_f32_e32 v60, v10, v57
	s_delay_alu instid0(VALU_DEP_4)
	v_dual_mul_f32 v61, v13, v61 :: v_dual_and_b32 v62, 0xffff0000, v62
	s_wait_alu 0xf1ff
	v_cndmask_b32_e64 v70, v84, v85, s4
	v_cmp_u_f32_e64 s4, v63, v63
	v_and_b32_e32 v55, 0xffff, v55
	v_dual_fmac_f32 v61, v11, v59 :: v_dual_fmac_f32 v60, v14, v62
	v_bfe_u32 v119, v50, 16, 1
	s_wait_alu 0xf1ff
	v_cndmask_b32_e64 v63, v86, v87, s4
	v_cmp_u_f32_e64 s4, v78, v78
	v_cvt_f32_fp8_e32 v55, v55
	v_or_b32_e32 v120, 0x400000, v51
	v_add3_u32 v117, v117, v51, 0x7fff
	v_and_b32_e32 v59, 0xffff0000, v63
	s_wait_alu 0xf1ff
	v_cndmask_b32_e64 v71, v88, v89, s4
	v_cmp_u_f32_e64 s4, v64, v64
	v_mul_f32_e32 v55, s11, v55
	v_dual_fmac_f32 v60, v18, v59 :: v_dual_and_b32 v69, 0xffff, v69
	v_bfe_u32 v121, v49, 16, 1
	s_wait_alu 0xf1ff
	v_cndmask_b32_e64 v64, v90, v91, s4
	v_cmp_u_f32_e64 s4, v79, v79
	v_bfe_u32 v104, v55, 16, 1
	v_cvt_f32_fp8_e32 v69, v69
	v_or_b32_e32 v105, 0x400000, v55
	v_or_b32_e32 v122, 0x400000, v50
	s_wait_alu 0xf1ff
	v_cndmask_b32_e64 v72, v92, v93, s4
	v_cmp_u_f32_e64 s4, v65, v65
	v_add3_u32 v104, v104, v55, 0x7fff
	v_mul_f32_e32 v69, s11, v69
	v_add3_u32 v119, v119, v50, 0x7fff
	v_bfe_u32 v123, v48, 16, 1
	s_wait_alu 0xf1ff
	v_cndmask_b32_e64 v65, v94, v95, s4
	v_cmp_u_f32_e64 s4, v80, v80
	v_bfe_u32 v110, v69, 16, 1
	v_or_b32_e32 v111, 0x400000, v69
	v_or_b32_e32 v124, 0x400000, v49
	v_add3_u32 v121, v121, v49, 0x7fff
	s_wait_alu 0xf1ff
	v_cndmask_b32_e64 v73, v96, v97, s4
	v_cmp_u_f32_e64 s4, v66, v66
	v_add3_u32 v110, v110, v69, 0x7fff
	v_bfe_u32 v125, v47, 16, 1
	v_or_b32_e32 v126, 0x400000, v48
	v_add3_u32 v123, v123, v48, 0x7fff
	s_wait_alu 0xf1ff
	v_cndmask_b32_e64 v66, v98, v99, s4
	v_cmp_u_f32_e64 s4, v81, v81
	v_or_b32_e32 v74, 0x400000, v47
	v_add3_u32 v125, v125, v47, 0x7fff
	v_and_b32_e32 v63, 0xffff0000, v71
	v_bfe_u32 v127, v46, 16, 1
	s_wait_alu 0xf1ff
	v_cndmask_b32_e64 v75, v100, v101, s4
	v_cmp_u_f32_e64 s4, v67, v67
	v_or_b32_e32 v58, 0x400000, v46
	v_add3_u32 v127, v127, v46, 0x7fff
	s_wait_alu 0xf1ff
	s_delay_alu instid0(VALU_DEP_3) | instskip(SKIP_2) | instid1(VALU_DEP_1)
	v_cndmask_b32_e64 v67, v102, v103, s4
	v_cmp_u_f32_e64 s4, v55, v55
	s_wait_alu 0xf1ff
	v_cndmask_b32_e64 v55, v104, v105, s4
	v_cmp_u_f32_e64 s4, v68, v68
	s_delay_alu instid0(VALU_DEP_2) | instskip(SKIP_1) | instid1(VALU_DEP_2)
	v_and_b32_e32 v55, 0xffff0000, v55
	s_wait_alu 0xf1ff
	v_cndmask_b32_e64 v68, v106, v107, s4
	v_cmp_u_f32_e64 s4, v56, v56
	s_wait_alu 0xf1ff
	s_delay_alu instid0(VALU_DEP_1) | instskip(SKIP_1) | instid1(VALU_DEP_2)
	v_cndmask_b32_e64 v56, v108, v109, s4
	v_cmp_u_f32_e64 s4, v69, v69
	v_and_b32_e32 v56, 0xffff0000, v56
	s_wait_alu 0xf1ff
	s_delay_alu instid0(VALU_DEP_2) | instskip(SKIP_3) | instid1(VALU_DEP_2)
	v_cndmask_b32_e64 v57, v110, v111, s4
	v_cmp_u_f32_e64 s4, v54, v54
	v_and_b32_e32 v70, 0xffff0000, v70
	s_wait_alu 0xf1ff
	v_cndmask_b32_e64 v54, v112, v113, s4
	v_cmp_u_f32_e64 s4, v53, v53
	s_delay_alu instid0(VALU_DEP_3) | instskip(NEXT) | instid1(VALU_DEP_3)
	v_fmac_f32_e32 v61, v17, v70
	v_and_b32_e32 v54, 0xffff0000, v54
	s_wait_alu 0xf1ff
	s_delay_alu instid0(VALU_DEP_3) | instskip(SKIP_2) | instid1(VALU_DEP_3)
	v_cndmask_b32_e64 v53, v114, v115, s4
	v_cmp_u_f32_e64 s4, v52, v52
	v_dual_fmac_f32 v61, v19, v63 :: v_dual_and_b32 v62, 0xffff0000, v64
	v_and_b32_e32 v53, 0xffff0000, v53
	s_wait_alu 0xf1ff
	s_delay_alu instid0(VALU_DEP_3) | instskip(SKIP_1) | instid1(VALU_DEP_2)
	v_cndmask_b32_e64 v52, v116, v118, s4
	v_cmp_u_f32_e64 s4, v51, v51
	v_and_b32_e32 v52, 0xffff0000, v52
	s_wait_alu 0xf1ff
	s_delay_alu instid0(VALU_DEP_2) | instskip(SKIP_1) | instid1(VALU_DEP_2)
	v_cndmask_b32_e64 v51, v117, v120, s4
	v_cmp_u_f32_e64 s4, v50, v50
	v_and_b32_e32 v51, 0xffff0000, v51
	s_wait_alu 0xf1ff
	s_delay_alu instid0(VALU_DEP_2) | instskip(SKIP_2) | instid1(VALU_DEP_3)
	v_cndmask_b32_e64 v50, v119, v122, s4
	v_cmp_u_f32_e64 s4, v49, v49
	v_and_b32_e32 v59, 0xffff0000, v65
	v_and_b32_e32 v50, 0xffff0000, v50
	s_wait_alu 0xf1ff
	s_delay_alu instid0(VALU_DEP_3) | instskip(SKIP_2) | instid1(VALU_DEP_3)
	v_cndmask_b32_e64 v49, v121, v124, s4
	v_cmp_u_f32_e64 s4, v48, v48
	v_and_b32_e32 v64, 0xffff0000, v72
	v_and_b32_e32 v49, 0xffff0000, v49
	s_wait_alu 0xf1ff
	s_delay_alu instid0(VALU_DEP_3) | instskip(SKIP_2) | instid1(VALU_DEP_3)
	v_cndmask_b32_e64 v48, v123, v126, s4
	v_cmp_u_f32_e64 s4, v47, v47
	v_fmac_f32_e32 v61, v21, v64
	v_and_b32_e32 v48, 0xffff0000, v48
	s_wait_alu 0xf1ff
	s_delay_alu instid0(VALU_DEP_3) | instskip(SKIP_2) | instid1(VALU_DEP_3)
	v_cndmask_b32_e64 v47, v125, v74, s4
	v_and_b32_e32 v64, 0xffff0000, v75
	v_cmp_u_f32_e64 s4, v46, v46
	v_and_b32_e32 v47, 0xffff0000, v47
	v_and_b32_e32 v63, 0xffff0000, v73
	s_wait_alu 0xf1ff
	s_delay_alu instid0(VALU_DEP_3) | instskip(NEXT) | instid1(VALU_DEP_1)
	v_cndmask_b32_e64 v46, v127, v58, s4
	v_dual_fmac_f32 v61, v23, v63 :: v_dual_and_b32 v46, 0xffff0000, v46
	s_delay_alu instid0(VALU_DEP_1) | instskip(NEXT) | instid1(VALU_DEP_1)
	v_fmac_f32_e32 v61, v25, v64
	v_fmac_f32_e32 v61, v27, v55
	v_and_b32_e32 v55, 0xffff0000, v57
	s_delay_alu instid0(VALU_DEP_2) | instskip(NEXT) | instid1(VALU_DEP_1)
	v_fmac_f32_e32 v61, v29, v56
	v_fmac_f32_e32 v61, v31, v54
	v_fmac_f32_e32 v60, v20, v62
	s_delay_alu instid0(VALU_DEP_2) | instskip(NEXT) | instid1(VALU_DEP_2)
	v_dual_fmac_f32 v61, v33, v52 :: v_dual_and_b32 v62, 0xffff0000, v66
	v_fmac_f32_e32 v60, v22, v59
	v_and_b32_e32 v59, 0xffff0000, v67
	s_delay_alu instid0(VALU_DEP_3) | instskip(NEXT) | instid1(VALU_DEP_1)
	v_fmac_f32_e32 v61, v35, v50
	v_dual_fmac_f32 v60, v24, v62 :: v_dual_fmac_f32 v61, v37, v48
	v_and_b32_e32 v62, 0xffff0000, v68
	s_delay_alu instid0(VALU_DEP_2) | instskip(NEXT) | instid1(VALU_DEP_1)
	v_dual_fmac_f32 v60, v26, v59 :: v_dual_fmac_f32 v61, v40, v46
	v_fmac_f32_e32 v60, v28, v62
	s_delay_alu instid0(VALU_DEP_1) | instskip(NEXT) | instid1(VALU_DEP_1)
	v_fmac_f32_e32 v60, v30, v55
	v_fmac_f32_e32 v60, v32, v53
	s_delay_alu instid0(VALU_DEP_1) | instskip(NEXT) | instid1(VALU_DEP_1)
	v_fmac_f32_e32 v60, v34, v51
	;; [unrolled: 3-line block ×3, first 2 shown]
	v_add_f32_e32 v46, v60, v61
	ds_bpermute_b32 v47, v41, v46
	s_wait_dscnt 0x0
	v_add_f32_e32 v46, v46, v47
	ds_bpermute_b32 v47, v42, v46
	s_and_saveexec_b32 s5, vcc_lo
	s_cbranch_execz .LBB326_9
; %bb.11:                               ;   in Loop: Header=BB326_10 Depth=1
	s_wait_dscnt 0x0
	v_add_f32_e32 v46, v46, v47
	s_wait_alu 0xfffe
	v_add_nc_u32_e32 v48, s24, v43
	v_cmp_gt_i32_e64 s4, s27, v43
	s_delay_alu instid0(VALU_DEP_2) | instskip(NEXT) | instid1(VALU_DEP_1)
	v_cvt_f32_i32_e32 v48, v48
	v_mul_f32_e32 v48, s8, v48
	s_delay_alu instid0(VALU_DEP_1) | instskip(SKIP_1) | instid1(VALU_DEP_2)
	v_cndmask_b32_e64 v47, 0, v48, s3
	v_max_num_f32_e32 v48, v38, v38
	v_fmac_f32_e32 v47, s9, v46
	s_delay_alu instid0(VALU_DEP_1) | instskip(SKIP_2) | instid1(VALU_DEP_2)
	v_max_num_f32_e32 v46, v48, v47
	s_wait_alu 0xf1ff
	v_cndmask_b32_e64 v47, 0, v47, s4
	v_cndmask_b32_e64 v38, v38, v46, s4
	ds_store_b32 v44, v47
	s_branch .LBB326_9
.LBB326_12:
	s_or_b32 exec_lo, exec_lo, s14
.LBB326_13:
	s_delay_alu instid0(SALU_CYCLE_1)
	s_or_b32 exec_lo, exec_lo, s10
	v_xor_b32_e32 v1, 16, v7
	v_xor_b32_e32 v3, 8, v7
	;; [unrolled: 1-line block ×3, first 2 shown]
	s_load_b128 s[8:11], s[0:1], 0x0
	s_wait_kmcnt 0x0
	s_clause 0x1
	s_load_b64 s[4:5], s[0:1], 0x10
	s_load_b64 s[24:25], s[0:1], 0x28
	v_and_b32_e32 v17, 31, v0
	v_cmp_lt_i32_e32 vcc_lo, v1, v9
	s_wait_alu 0xfffd
	v_dual_max_num_f32 v4, v38, v38 :: v_dual_cndmask_b32 v1, v7, v1
	v_cmp_lt_i32_e32 vcc_lo, v3, v9
	s_wait_alu 0xfffd
	s_delay_alu instid0(VALU_DEP_2)
	v_dual_cndmask_b32 v3, v7, v3 :: v_dual_lshlrev_b32 v2, 2, v1
	v_cmp_lt_i32_e32 vcc_lo, v10, v9
	ds_bpermute_b32 v1, v2, v38
	s_wait_alu 0xfffd
	v_dual_cndmask_b32 v10, v7, v10 :: v_dual_lshlrev_b32 v3, 2, v3
	v_cmp_eq_u32_e32 vcc_lo, 0, v17
	s_delay_alu instid0(VALU_DEP_2) | instskip(SKIP_2) | instid1(VALU_DEP_1)
	v_lshlrev_b32_e32 v11, 2, v10
	s_wait_dscnt 0x0
	v_max_num_f32_e32 v1, v1, v1
	v_max_num_f32_e32 v1, v4, v1
	ds_bpermute_b32 v4, v3, v1
	s_wait_dscnt 0x0
	v_max_num_f32_e32 v4, v4, v4
	s_delay_alu instid0(VALU_DEP_1)
	v_dual_max_num_f32 v1, v1, v4 :: v_dual_lshlrev_b32 v4, 2, v15
	ds_bpermute_b32 v10, v11, v1
	s_and_saveexec_b32 s0, vcc_lo
	s_cbranch_execz .LBB326_15
; %bb.14:
	s_wait_dscnt 0x0
	v_dual_max_num_f32 v10, v10, v10 :: v_dual_max_num_f32 v1, v1, v1
	s_delay_alu instid0(VALU_DEP_1)
	v_max_num_f32_e32 v1, v1, v10
	ds_store_b32 v4, v1 offset:224
.LBB326_15:
	s_or_b32 exec_lo, exec_lo, s0
	v_cmp_gt_u32_e64 s0, 4, v17
	s_wait_dscnt 0x0
	v_dual_mov_b32 v1, 0xff7fffff :: v_dual_lshlrev_b32 v10, 2, v17
	s_wait_loadcnt 0x0
	s_barrier_signal -1
	s_barrier_wait -1
	global_inv scope:SCOPE_SE
	s_and_saveexec_b32 s1, s0
; %bb.16:
	ds_load_b32 v1, v10 offset:224
; %bb.17:
	s_or_b32 exec_lo, exec_lo, s1
	v_xor_b32_e32 v12, 2, v7
	v_xor_b32_e32 v14, 1, v7
	v_lshl_add_u32 v18, v0, 2, 0x100
	v_lshlrev_b32_e32 v8, 2, v8
	s_delay_alu instid0(VALU_DEP_4) | instskip(NEXT) | instid1(VALU_DEP_1)
	v_cmp_lt_i32_e64 s1, v12, v9
	v_cndmask_b32_e64 v12, v7, v12, s1
	v_cmp_lt_i32_e64 s1, v14, v9
	s_delay_alu instid0(VALU_DEP_2) | instskip(SKIP_1) | instid1(VALU_DEP_2)
	v_lshlrev_b32_e32 v12, 2, v12
	s_wait_alu 0xf1ff
	v_cndmask_b32_e64 v9, v7, v14, s1
	s_sub_co_i32 s1, s17, s31
	s_wait_alu 0xfffe
	s_lshl_b32 s1, s1, 3
	s_wait_dscnt 0x0
	ds_bpermute_b32 v13, v12, v1
	v_max_num_f32_e32 v1, v1, v1
	v_lshlrev_b32_e32 v9, 2, v9
	s_wait_alu 0xfffe
	s_add_co_i32 s1, s1, s28
	s_wait_alu 0xfffe
	s_min_i32 s1, s1, s27
	s_wait_alu 0xfffe
	s_sub_co_i32 s14, s1, s28
	s_delay_alu instid0(SALU_CYCLE_1) | instskip(SKIP_2) | instid1(VALU_DEP_1)
	v_cmp_gt_i32_e64 s1, s14, v0
	s_wait_dscnt 0x0
	v_max_num_f32_e32 v13, v13, v13
	v_max_num_f32_e32 v1, v1, v13
	ds_bpermute_b32 v13, v9, v1
	s_wait_dscnt 0x0
	v_max_num_f32_e32 v13, v13, v13
	s_delay_alu instid0(VALU_DEP_1)
	v_max_num_f32_e32 v1, v1, v13
	ds_bpermute_b32 v1, v8, v1
	v_mov_b32_e32 v8, 0
	s_and_saveexec_b32 s23, s1
	s_cbranch_execz .LBB326_21
; %bb.18:
	v_lshl_add_u32 v13, v0, 2, 0x100
	v_mov_b32_e32 v8, 0
	v_mov_b32_e32 v14, v0
	s_mov_b32 s31, 0
.LBB326_19:                             ; =>This Inner Loop Header: Depth=1
	ds_load_b32 v19, v13
	v_add_nc_u32_e32 v14, 0x80, v14
	s_delay_alu instid0(VALU_DEP_1) | instskip(SKIP_4) | instid1(VALU_DEP_1)
	v_cmp_le_i32_e64 s3, s14, v14
	s_wait_alu 0xfffe
	s_or_b32 s31, s3, s31
	s_wait_dscnt 0x0
	v_sub_f32_e32 v19, v19, v1
	v_mul_f32_e32 v19, 0x3fb8aa3b, v19
	s_delay_alu instid0(VALU_DEP_1)
	v_exp_f32_e32 v19, v19
	ds_store_b32 v13, v19
	v_dual_add_f32 v8, v8, v19 :: v_dual_add_nc_u32 v13, 0x200, v13
	s_wait_alu 0xfffe
	s_and_not1_b32 exec_lo, exec_lo, s31
	s_cbranch_execnz .LBB326_19
; %bb.20:
	s_or_b32 exec_lo, exec_lo, s31
.LBB326_21:
	s_wait_alu 0xfffe
	s_or_b32 exec_lo, exec_lo, s23
	ds_bpermute_b32 v2, v2, v8
	s_wait_dscnt 0x0
	v_add_f32_e32 v2, v8, v2
	ds_bpermute_b32 v3, v3, v2
	s_wait_dscnt 0x0
	v_add_f32_e32 v2, v2, v3
	;; [unrolled: 3-line block ×5, first 2 shown]
	s_and_saveexec_b32 s3, vcc_lo
; %bb.22:
	ds_store_b32 v4, v2 offset:240
; %bb.23:
	s_wait_alu 0xfffe
	s_or_b32 exec_lo, exec_lo, s3
	s_wait_loadcnt_dscnt 0x0
	s_barrier_signal -1
	s_barrier_wait -1
	global_inv scope:SCOPE_SE
	s_and_saveexec_b32 s3, s0
; %bb.24:
	ds_load_b32 v2, v10 offset:240
; %bb.25:
	s_wait_alu 0xfffe
	s_or_b32 exec_lo, exec_lo, s3
	s_wait_dscnt 0x0
	ds_bpermute_b32 v3, v12, v2
	v_lshlrev_b32_e32 v4, 2, v7
	s_wait_dscnt 0x0
	v_add_f32_e32 v2, v2, v3
	ds_bpermute_b32 v3, v9, v2
	s_wait_dscnt 0x0
	v_dual_add_f32 v2, v2, v3 :: v_dual_and_b32 v3, 0xffffff80, v4
	ds_bpermute_b32 v2, v3, v2
	s_and_saveexec_b32 s0, s1
	s_cbranch_execz .LBB326_28
; %bb.26:
	s_wait_dscnt 0x0
	v_add_f32_e32 v4, 0x358637bd, v2
	s_mov_b32 s1, 0
	s_delay_alu instid0(VALU_DEP_1) | instskip(NEXT) | instid1(VALU_DEP_1)
	v_div_scale_f32 v3, null, v4, v4, 1.0
	v_rcp_f32_e32 v7, v3
	s_delay_alu instid0(TRANS32_DEP_1) | instskip(NEXT) | instid1(VALU_DEP_1)
	v_fma_f32 v8, -v3, v7, 1.0
	v_fmac_f32_e32 v7, v8, v7
	v_div_scale_f32 v9, vcc_lo, 1.0, v4, 1.0
	s_delay_alu instid0(VALU_DEP_1) | instskip(NEXT) | instid1(VALU_DEP_1)
	v_mul_f32_e32 v8, v9, v7
	v_fma_f32 v10, -v3, v8, v9
	s_delay_alu instid0(VALU_DEP_1) | instskip(NEXT) | instid1(VALU_DEP_1)
	v_fmac_f32_e32 v8, v10, v7
	v_fma_f32 v3, -v3, v8, v9
	s_wait_alu 0xfffd
	s_delay_alu instid0(VALU_DEP_1) | instskip(SKIP_1) | instid1(VALU_DEP_2)
	v_div_fmas_f32 v7, v3, v7, v8
	v_mov_b32_e32 v3, v18
	v_div_fixup_f32 v4, v7, v4, 1.0
	v_mov_b32_e32 v7, v0
.LBB326_27:                             ; =>This Inner Loop Header: Depth=1
	ds_load_b32 v8, v3
	s_wait_dscnt 0x0
	v_dual_mul_f32 v8, v4, v8 :: v_dual_add_nc_u32 v7, 0x80, v7
	s_delay_alu instid0(VALU_DEP_1)
	v_cmp_le_i32_e32 vcc_lo, s14, v7
	ds_store_b32 v3, v8
	v_add_nc_u32_e32 v3, 0x200, v3
	s_wait_alu 0xfffe
	s_or_b32 s1, vcc_lo, s1
	s_wait_alu 0xfffe
	s_and_not1_b32 exec_lo, exec_lo, s1
	s_cbranch_execnz .LBB326_27
.LBB326_28:
	s_wait_alu 0xfffe
	s_or_b32 exec_lo, exec_lo, s0
	s_mul_i32 s0, s12, s15
	s_wait_loadcnt_dscnt 0x0
	s_wait_alu 0xfffe
	s_mul_i32 s14, s0, s29
	s_mov_b32 s0, exec_lo
	s_barrier_signal -1
	s_barrier_wait -1
	global_inv scope:SCOPE_SE
	v_cmpx_eq_u32_e32 0, v0
	s_cbranch_execz .LBB326_30
; %bb.29:
	s_wait_alu 0xfffe
	s_ashr_i32 s15, s14, 31
	s_mul_i32 s34, s12, ttmp9
	s_lshl_b32 s1, s26, 2
	s_wait_alu 0xfffe
	s_lshl_b64 s[36:37], s[14:15], 2
	s_ashr_i32 s35, s34, 31
	v_mov_b32_e32 v3, s1
	s_add_nc_u64 s[10:11], s[10:11], s[36:37]
	s_lshl_b64 s[34:35], s[34:35], 2
	s_add_nc_u64 s[8:9], s[8:9], s[36:37]
	s_wait_alu 0xfffe
	s_add_nc_u64 s[10:11], s[10:11], s[34:35]
	s_add_nc_u64 s[8:9], s[8:9], s[34:35]
	s_clause 0x1
	global_store_b32 v3, v1, s[10:11]
	global_store_b32 v3, v2, s[8:9]
.LBB326_30:
	s_wait_alu 0xfffe
	s_or_b32 exec_lo, exec_lo, s0
	v_dual_mov_b32 v22, 0 :: v_dual_mov_b32 v21, 0
	v_dual_mov_b32 v20, 0 :: v_dual_mov_b32 v19, 0
	s_and_saveexec_b32 s8, s2
	s_cbranch_execz .LBB326_44
; %bb.31:
	s_load_b32 s6, s[6:7], 0x0
	s_lshl_b64 s[0:1], s[18:19], 2
	v_or_b32_e32 v1, 0x60, v17
	s_wait_alu 0xfffe
	s_add_nc_u64 s[0:1], s[20:21], s[0:1]
	v_dual_mov_b32 v20, 0 :: v_dual_lshlrev_b32 v23, 3, v17
	s_wait_alu 0xfffe
	v_add_co_u32 v9, s0, s0, v5
	v_dual_mov_b32 v19, 0 :: v_dual_lshlrev_b32 v24, 3, v1
	v_add3_u32 v25, s28, v6, 7
	v_lshl_add_u32 v26, v15, 5, 0x100
	s_wait_alu 0xf1ff
	v_add_co_ci_u32_e64 v10, null, s1, 0, s0
	v_dual_mov_b32 v21, 0 :: v_dual_mov_b32 v22, 0
	s_ashr_i32 s23, s22, 31
	s_mov_b32 s9, s13
	s_wait_kmcnt 0x0
	s_wait_alu 0xfffe
	s_add_nc_u64 s[2:3], s[24:25], s[22:23]
	s_add_co_i32 s30, s30, -1
	s_mov_b32 s7, 0
	v_cmp_gt_u32_e32 vcc_lo, 0x70, v1
	s_branch .LBB326_34
.LBB326_32:                             ;   in Loop: Header=BB326_34 Depth=1
	s_wait_alu 0xfffe
	s_or_b32 exec_lo, exec_lo, s1
	v_lshlrev_b32_e32 v8, 16, v8
	v_and_b32_e32 v53, 0xffff0000, v3
	v_lshlrev_b32_e32 v7, 16, v7
	v_lshlrev_b32_e32 v12, 16, v12
	;; [unrolled: 1-line block ×5, first 2 shown]
	s_delay_alu instid0(VALU_DEP_4) | instskip(SKIP_3) | instid1(VALU_DEP_4)
	v_dual_mul_f32 v12, v53, v12 :: v_dual_lshlrev_b32 v5, 16, v5
	v_lshlrev_b32_e32 v52, 16, v4
	v_and_b32_e32 v39, 0xffff0000, v4
	v_lshlrev_b32_e32 v6, 16, v6
	v_bfe_u32 v55, v12, 16, 1
	s_delay_alu instid0(VALU_DEP_3) | instskip(NEXT) | instid1(VALU_DEP_1)
	v_dual_mul_f32 v50, v52, v50 :: v_dual_mul_f32 v39, v39, v51
	v_or_b32_e32 v54, 0x400000, v50
	s_delay_alu instid0(VALU_DEP_2) | instskip(SKIP_2) | instid1(VALU_DEP_3)
	v_bfe_u32 v52, v39, 16, 1
	v_or_b32_e32 v53, 0x400000, v39
	v_cmp_u_f32_e64 s0, v39, v39
	v_add3_u32 v52, v52, v39, 0x7fff
	s_wait_alu 0xf1ff
	s_delay_alu instid0(VALU_DEP_1) | instskip(SKIP_3) | instid1(VALU_DEP_3)
	v_cndmask_b32_e64 v39, v52, v53, s0
	v_and_b32_e32 v52, 0xffff0000, v2
	v_cmp_u_f32_e64 s0, v50, v50
	v_or_b32_e32 v53, 0x400000, v12
	v_dual_mul_f32 v8, v52, v8 :: v_dual_and_b32 v39, 0xffff0000, v39
	v_lshlrev_b32_e32 v52, 16, v2
	s_delay_alu instid0(VALU_DEP_1) | instskip(NEXT) | instid1(VALU_DEP_1)
	v_dual_mul_f32 v7, v52, v7 :: v_dual_and_b32 v52, 0xffff0000, v1
	v_dual_mul_f32 v6, v52, v6 :: v_dual_lshlrev_b32 v51, 16, v3
	s_delay_alu instid0(VALU_DEP_1) | instskip(SKIP_2) | instid1(VALU_DEP_2)
	v_mul_f32_e32 v11, v51, v11
	v_bfe_u32 v51, v50, 16, 1
	v_or_b32_e32 v52, 0x400000, v8
	v_add3_u32 v51, v51, v50, 0x7fff
	s_wait_alu 0xf1ff
	s_delay_alu instid0(VALU_DEP_1)
	v_cndmask_b32_e64 v50, v51, v54, s0
	v_add3_u32 v51, v55, v12, 0x7fff
	v_bfe_u32 v54, v11, 16, 1
	v_cmp_u_f32_e64 s0, v12, v12
	v_lshlrev_b32_e32 v55, 16, v1
	s_wait_alu 0xf1ff
	s_delay_alu instid0(VALU_DEP_2)
	v_cndmask_b32_e64 v12, v51, v53, s0
	v_add3_u32 v51, v54, v11, 0x7fff
	v_or_b32_e32 v53, 0x400000, v11
	v_bfe_u32 v54, v8, 16, 1
	v_cmp_u_f32_e64 s0, v11, v11
	v_mul_f32_e32 v5, v55, v5
	v_bfe_u32 v55, v6, 16, 1
	s_wait_alu 0xf1ff
	s_delay_alu instid0(VALU_DEP_3)
	v_cndmask_b32_e64 v11, v51, v53, s0
	v_bfe_u32 v51, v7, 16, 1
	v_add3_u32 v53, v54, v8, 0x7fff
	v_cmp_u_f32_e64 s0, v8, v8
	v_or_b32_e32 v54, 0x400000, v7
	v_bfe_u32 v56, v5, 16, 1
	v_add3_u32 v51, v51, v7, 0x7fff
	v_and_b32_e32 v11, 0xffff0000, v11
	s_wait_alu 0xf1ff
	v_cndmask_b32_e64 v8, v53, v52, s0
	v_cmp_u_f32_e64 s0, v7, v7
	v_add3_u32 v52, v56, v5, 0x7fff
	v_or_b32_e32 v53, 0x400000, v5
	s_wait_alu 0xf1ff
	s_delay_alu instid0(VALU_DEP_3) | instskip(SKIP_3) | instid1(VALU_DEP_4)
	v_cndmask_b32_e64 v7, v51, v54, s0
	v_cmp_u_f32_e64 s0, v5, v5
	v_add3_u32 v51, v55, v6, 0x7fff
	v_or_b32_e32 v54, 0x400000, v6
	v_and_b32_e32 v7, 0xffff0000, v7
	s_wait_alu 0xf1ff
	v_cndmask_b32_e64 v5, v52, v53, s0
	v_cmp_u_f32_e64 s0, v6, v6
	s_delay_alu instid0(VALU_DEP_2) | instskip(SKIP_1) | instid1(VALU_DEP_2)
	v_and_b32_e32 v5, 0xffff0000, v5
	s_wait_alu 0xf1ff
	v_cndmask_b32_e64 v6, v51, v54, s0
	s_delay_alu instid0(VALU_DEP_1) | instskip(NEXT) | instid1(VALU_DEP_1)
	v_and_b32_e32 v6, 0xffff0000, v6
	v_dual_add_f32 v5, v5, v6 :: v_dual_and_b32 v12, 0xffff0000, v12
	v_and_b32_e32 v8, 0xffff0000, v8
	s_delay_alu instid0(VALU_DEP_2) | instskip(NEXT) | instid1(VALU_DEP_2)
	v_add_f32_e32 v11, v11, v12
	v_dual_add_f32 v7, v7, v8 :: v_dual_and_b32 v50, 0xffff0000, v50
	s_delay_alu instid0(VALU_DEP_1) | instskip(NEXT) | instid1(VALU_DEP_1)
	v_add_f32_e32 v39, v50, v39
	v_add_f32_e32 v11, v11, v39
	s_delay_alu instid0(VALU_DEP_1) | instskip(NEXT) | instid1(VALU_DEP_1)
	v_add_f32_e32 v7, v7, v11
	v_add_f32_e32 v5, v5, v7
	s_delay_alu instid0(VALU_DEP_1)
	v_add_f32_e32 v19, v19, v5
.LBB326_33:                             ;   in Loop: Header=BB326_34 Depth=1
	s_wait_alu 0xfffe
	s_or_b32 exec_lo, exec_lo, s10
	v_lshlrev_b32_e32 v44, 16, v44
	v_lshlrev_b32_e32 v14, 16, v14
	v_and_b32_e32 v5, 0xffff0000, v4
	v_lshlrev_b32_e32 v40, 16, v40
	v_lshlrev_b32_e32 v13, 16, v13
	;; [unrolled: 1-line block ×3, first 2 shown]
	v_and_b32_e32 v46, 0xffff0000, v2
	v_lshlrev_b32_e32 v2, 16, v2
	v_lshlrev_b32_e32 v45, 16, v45
	v_and_b32_e32 v8, 0xffff0000, v3
	v_lshlrev_b32_e32 v3, 16, v3
	v_lshlrev_b32_e32 v7, 16, v48
	v_dual_mul_f32 v44, v2, v44 :: v_dual_lshlrev_b32 v11, 16, v47
	s_delay_alu instid0(VALU_DEP_3) | instskip(SKIP_1) | instid1(VALU_DEP_3)
	v_dual_mul_f32 v45, v46, v45 :: v_dual_mul_f32 v12, v3, v12
	v_lshlrev_b32_e32 v4, 16, v4
	v_bfe_u32 v51, v44, 16, 1
	s_delay_alu instid0(VALU_DEP_4) | instskip(NEXT) | instid1(VALU_DEP_4)
	v_dual_mul_f32 v11, v8, v11 :: v_dual_lshlrev_b32 v6, 16, v49
	v_or_b32_e32 v50, 0x400000, v45
	s_delay_alu instid0(VALU_DEP_4) | instskip(SKIP_1) | instid1(VALU_DEP_4)
	v_dual_mul_f32 v7, v4, v7 :: v_dual_lshlrev_b32 v38, 16, v38
	v_lshlrev_b32_e32 v36, 16, v36
	v_mul_f32_e32 v6, v5, v6
	v_lshlrev_b32_e32 v28, 16, v28
	s_delay_alu instid0(VALU_DEP_4)
	v_bfe_u32 v47, v7, 16, 1
	v_or_b32_e32 v49, 0x400000, v7
	v_lshlrev_b32_e32 v37, 16, v37
	v_bfe_u32 v39, v6, 16, 1
	v_or_b32_e32 v48, 0x400000, v6
	v_cmp_u_f32_e64 s0, v6, v6
	v_add3_u32 v47, v47, v7, 0x7fff
	v_lshlrev_b32_e32 v33, 16, v33
	v_add3_u32 v39, v39, v6, 0x7fff
	v_lshlrev_b32_e32 v32, 16, v32
	v_dual_mul_f32 v40, v3, v40 :: v_dual_lshlrev_b32 v27, 16, v27
	v_lshlrev_b32_e32 v29, 16, v29
	s_wait_alu 0xf1ff
	v_cndmask_b32_e64 v6, v39, v48, s0
	v_bfe_u32 v39, v11, 16, 1
	v_cmp_u_f32_e64 s0, v7, v7
	v_bfe_u32 v48, v12, 16, 1
	v_lshlrev_b32_e32 v30, 16, v30
	v_and_b32_e32 v6, 0xffff0000, v6
	v_add3_u32 v39, v39, v11, 0x7fff
	s_wait_alu 0xf1ff
	v_cndmask_b32_e64 v7, v47, v49, s0
	v_or_b32_e32 v47, 0x400000, v11
	v_cmp_u_f32_e64 s0, v11, v11
	v_bfe_u32 v49, v45, 16, 1
	v_lshlrev_b32_e32 v31, 16, v31
	v_and_b32_e32 v7, 0xffff0000, v7
	v_lshlrev_b32_e32 v35, 16, v35
	s_wait_alu 0xf1ff
	v_cndmask_b32_e64 v11, v39, v47, s0
	v_add3_u32 v39, v48, v12, 0x7fff
	v_or_b32_e32 v47, 0x400000, v12
	v_cmp_u_f32_e64 s0, v12, v12
	v_add3_u32 v48, v49, v45, 0x7fff
	v_dual_add_f32 v6, v7, v6 :: v_dual_and_b32 v11, 0xffff0000, v11
	v_add_nc_u32_e32 v16, 4, v16
	s_wait_alu 0xf1ff
	v_cndmask_b32_e64 v12, v39, v47, s0
	v_cmp_u_f32_e64 s0, v45, v45
	v_add3_u32 v45, v51, v44, 0x7fff
	v_or_b32_e32 v47, 0x400000, v44
	v_add_co_u32 v9, s1, v9, 16
	s_wait_alu 0xf1ff
	v_cndmask_b32_e64 v39, v48, v50, s0
	v_cmp_u_f32_e64 s0, v44, v44
	v_and_b32_e32 v12, 0xffff0000, v12
	v_add_nc_u32_e32 v25, 32, v25
	v_add_co_ci_u32_e64 v10, null, 0, v10, s1
	s_wait_alu 0xf1ff
	v_cndmask_b32_e64 v44, v45, v47, s0
	v_add_f32_e32 v7, v12, v11
	v_and_b32_e32 v49, 0xffff0000, v1
	v_dual_mul_f32 v30, v46, v30 :: v_dual_and_b32 v39, 0xffff0000, v39
	s_delay_alu instid0(VALU_DEP_3) | instskip(NEXT) | instid1(VALU_DEP_3)
	v_dual_add_f32 v6, v7, v6 :: v_dual_and_b32 v11, 0xffff0000, v44
	v_mul_f32_e32 v14, v49, v14
	v_dual_mul_f32 v28, v49, v28 :: v_dual_mul_f32 v3, v3, v31
	s_delay_alu instid0(VALU_DEP_3) | instskip(SKIP_1) | instid1(VALU_DEP_4)
	v_add_f32_e32 v11, v11, v39
	v_lshlrev_b32_e32 v1, 16, v1
	v_bfe_u32 v48, v14, 16, 1
	v_or_b32_e32 v47, 0x400000, v14
	v_cmp_u_f32_e64 s0, v14, v14
	s_delay_alu instid0(VALU_DEP_4) | instskip(NEXT) | instid1(VALU_DEP_4)
	v_dual_add_f32 v6, v11, v6 :: v_dual_mul_f32 v13, v1, v13
	v_add3_u32 v45, v48, v14, 0x7fff
	v_lshlrev_b32_e32 v34, 16, v34
	v_lshlrev_b32_e32 v12, 16, v43
	;; [unrolled: 1-line block ×3, first 2 shown]
	v_or_b32_e32 v44, 0x400000, v13
	s_wait_alu 0xf1ff
	v_cndmask_b32_e64 v14, v45, v47, s0
	v_bfe_u32 v45, v13, 16, 1
	v_mul_f32_e32 v7, v5, v12
	v_cmp_u_f32_e64 s0, v13, v13
	v_mul_f32_e32 v37, v2, v37
	v_mul_f32_e32 v2, v2, v29
	v_add3_u32 v43, v45, v13, 0x7fff
	v_lshlrev_b32_e32 v13, 16, v42
	v_bfe_u32 v39, v7, 16, 1
	v_or_b32_e32 v41, 0x400000, v7
	v_mul_f32_e32 v11, v8, v11
	s_wait_alu 0xf1ff
	v_cndmask_b32_e64 v12, v43, v44, s0
	v_mul_f32_e32 v13, v4, v13
	v_add3_u32 v39, v39, v7, 0x7fff
	v_cmp_u_f32_e64 s0, v7, v7
	v_or_b32_e32 v43, 0x400000, v11
	v_dual_mul_f32 v35, v1, v35 :: v_dual_and_b32 v12, 0xffff0000, v12
	v_bfe_u32 v42, v13, 16, 1
	s_wait_alu 0xf1ff
	v_cndmask_b32_e64 v7, v39, v41, s0
	v_bfe_u32 v39, v11, 16, 1
	v_cmp_u_f32_e64 s0, v13, v13
	v_mul_f32_e32 v1, v1, v27
	v_add3_u32 v41, v42, v13, 0x7fff
	v_or_b32_e32 v42, 0x400000, v13
	v_add3_u32 v39, v39, v11, 0x7fff
	v_and_b32_e32 v7, 0xffff0000, v7
	v_dual_mul_f32 v5, v5, v34 :: v_dual_mul_f32 v4, v4, v33
	s_wait_alu 0xf1ff
	v_cndmask_b32_e64 v13, v41, v42, s0
	v_bfe_u32 v41, v40, 16, 1
	v_cmp_u_f32_e64 s0, v11, v11
	v_or_b32_e32 v42, 0x400000, v40
	s_delay_alu instid0(VALU_DEP_4) | instskip(NEXT) | instid1(VALU_DEP_4)
	v_dual_mul_f32 v8, v8, v32 :: v_dual_and_b32 v13, 0xffff0000, v13
	v_add3_u32 v41, v41, v40, 0x7fff
	s_wait_alu 0xf1ff
	v_cndmask_b32_e64 v11, v39, v43, s0
	v_cmp_u_f32_e64 s0, v40, v40
	v_dual_add_f32 v7, v13, v7 :: v_dual_and_b32 v14, 0xffff0000, v14
	v_or_b32_e32 v32, 0x400000, v4
	s_delay_alu instid0(VALU_DEP_4)
	v_and_b32_e32 v11, 0xffff0000, v11
	s_wait_alu 0xf1ff
	v_cndmask_b32_e64 v40, v41, v42, s0
	v_bfe_u32 v41, v37, 16, 1
	v_or_b32_e32 v31, 0x400000, v8
	v_or_b32_e32 v27, 0x400000, v30
	v_add_nc_u32_e32 v26, 0x80, v26
	v_and_b32_e32 v40, 0xffff0000, v40
	s_delay_alu instid0(VALU_DEP_1) | instskip(NEXT) | instid1(VALU_DEP_1)
	v_dual_add_f32 v11, v40, v11 :: v_dual_mul_f32 v38, v46, v38
	v_add_f32_e32 v7, v11, v7
	s_delay_alu instid0(VALU_DEP_2) | instskip(SKIP_3) | instid1(VALU_DEP_4)
	v_bfe_u32 v39, v38, 16, 1
	v_or_b32_e32 v43, 0x400000, v38
	v_cmp_u_f32_e64 s0, v38, v38
	v_bfe_u32 v11, v5, 16, 1
	v_add3_u32 v39, v39, v38, 0x7fff
	s_delay_alu instid0(VALU_DEP_2) | instskip(SKIP_1) | instid1(VALU_DEP_2)
	v_add3_u32 v11, v11, v5, 0x7fff
	s_wait_alu 0xf1ff
	v_cndmask_b32_e64 v38, v39, v43, s0
	v_add3_u32 v39, v41, v37, 0x7fff
	v_or_b32_e32 v41, 0x400000, v37
	v_cmp_u_f32_e64 s0, v37, v37
	s_wait_alu 0xf1ff
	s_delay_alu instid0(VALU_DEP_1) | instskip(SKIP_2) | instid1(VALU_DEP_3)
	v_cndmask_b32_e64 v37, v39, v41, s0
	v_bfe_u32 v39, v35, 16, 1
	v_or_b32_e32 v41, 0x400000, v35
	v_and_b32_e32 v13, 0xffff0000, v37
	v_and_b32_e32 v37, 0xffff0000, v38
	s_delay_alu instid0(VALU_DEP_4) | instskip(NEXT) | instid1(VALU_DEP_2)
	v_add3_u32 v39, v39, v35, 0x7fff
	v_add_f32_e32 v13, v13, v37
	v_mul_f32_e32 v36, v49, v36
	s_delay_alu instid0(VALU_DEP_2) | instskip(NEXT) | instid1(VALU_DEP_2)
	v_add_f32_e32 v7, v13, v7
	v_bfe_u32 v42, v36, 16, 1
	v_or_b32_e32 v43, 0x400000, v36
	v_cmp_u_f32_e64 s0, v36, v36
	s_delay_alu instid0(VALU_DEP_3) | instskip(SKIP_1) | instid1(VALU_DEP_1)
	v_add3_u32 v42, v42, v36, 0x7fff
	s_wait_alu 0xf1ff
	v_cndmask_b32_e64 v36, v42, v43, s0
	v_cmp_u_f32_e64 s0, v35, v35
	v_bfe_u32 v35, v4, 16, 1
	s_wait_alu 0xf1ff
	s_delay_alu instid0(VALU_DEP_2) | instskip(SKIP_1) | instid1(VALU_DEP_2)
	v_cndmask_b32_e64 v34, v39, v41, s0
	v_cmp_u_f32_e64 s0, v5, v5
	v_and_b32_e32 v33, 0xffff0000, v34
	v_or_b32_e32 v34, 0x400000, v5
	s_wait_alu 0xf1ff
	s_delay_alu instid0(VALU_DEP_1) | instskip(SKIP_3) | instid1(VALU_DEP_4)
	v_cndmask_b32_e64 v5, v11, v34, s0
	v_add3_u32 v11, v35, v4, 0x7fff
	v_bfe_u32 v34, v8, 16, 1
	v_cmp_u_f32_e64 s0, v4, v4
	v_and_b32_e32 v5, 0xffff0000, v5
	s_wait_alu 0xf1ff
	s_delay_alu instid0(VALU_DEP_2)
	v_cndmask_b32_e64 v4, v11, v32, s0
	v_add3_u32 v11, v34, v8, 0x7fff
	v_bfe_u32 v32, v3, 16, 1
	v_cmp_u_f32_e64 s0, v8, v8
	v_bfe_u32 v34, v1, 16, 1
	v_and_b32_e32 v4, 0xffff0000, v4
	s_wait_alu 0xf1ff
	s_delay_alu instid0(VALU_DEP_3)
	v_cndmask_b32_e64 v8, v11, v31, s0
	v_add3_u32 v11, v32, v3, 0x7fff
	v_or_b32_e32 v31, 0x400000, v3
	v_bfe_u32 v32, v30, 16, 1
	v_cmp_u_f32_e64 s0, v3, v3
	v_and_b32_e32 v8, 0xffff0000, v8
	v_add_f32_e32 v4, v4, v5
	s_delay_alu instid0(VALU_DEP_4)
	v_add3_u32 v29, v32, v30, 0x7fff
	s_wait_alu 0xf1ff
	v_cndmask_b32_e64 v3, v11, v31, s0
	v_bfe_u32 v11, v2, 16, 1
	v_cmp_u_f32_e64 s0, v30, v30
	v_or_b32_e32 v31, 0x400000, v2
	v_bfe_u32 v32, v28, 16, 1
	v_or_b32_e32 v30, 0x400000, v1
	v_add3_u32 v11, v11, v2, 0x7fff
	s_wait_alu 0xf1ff
	v_cndmask_b32_e64 v27, v29, v27, s0
	v_cmp_u_f32_e64 s0, v2, v2
	v_add3_u32 v29, v34, v1, 0x7fff
	v_and_b32_e32 v3, 0xffff0000, v3
	s_delay_alu instid0(VALU_DEP_4)
	v_and_b32_e32 v5, 0xffff0000, v27
	s_wait_alu 0xf1ff
	v_cndmask_b32_e64 v2, v11, v31, s0
	v_cmp_u_f32_e64 s0, v1, v1
	v_add3_u32 v11, v32, v28, 0x7fff
	v_or_b32_e32 v31, 0x400000, v28
	s_delay_alu instid0(VALU_DEP_4) | instskip(SKIP_3) | instid1(VALU_DEP_3)
	v_dual_add_f32 v3, v3, v8 :: v_dual_and_b32 v2, 0xffff0000, v2
	s_wait_alu 0xf1ff
	v_cndmask_b32_e64 v1, v29, v30, s0
	v_cmp_u_f32_e64 s0, v28, v28
	v_dual_add_f32 v3, v3, v4 :: v_dual_add_f32 v2, v2, v5
	s_delay_alu instid0(VALU_DEP_3) | instskip(SKIP_1) | instid1(VALU_DEP_3)
	v_and_b32_e32 v1, 0xffff0000, v1
	s_wait_alu 0xf1ff
	v_cndmask_b32_e64 v8, v11, v31, s0
	v_and_b32_e32 v11, 0xffff0000, v36
	v_dual_add_f32 v5, v12, v14 :: v_dual_add_f32 v2, v2, v3
	v_cmp_le_i32_e64 s0, s17, v16
	s_delay_alu instid0(VALU_DEP_4) | instskip(NEXT) | instid1(VALU_DEP_4)
	v_and_b32_e32 v4, 0xffff0000, v8
	v_add_f32_e32 v8, v33, v11
	s_delay_alu instid0(VALU_DEP_4) | instskip(SKIP_1) | instid1(VALU_DEP_2)
	v_add_f32_e32 v3, v5, v6
	s_or_b32 s7, s0, s7
	v_dual_add_f32 v1, v1, v4 :: v_dual_add_f32 v4, v8, v7
	s_delay_alu instid0(VALU_DEP_1) | instskip(NEXT) | instid1(VALU_DEP_1)
	v_dual_add_f32 v20, v20, v3 :: v_dual_add_f32 v1, v1, v2
	v_dual_add_f32 v21, v21, v4 :: v_dual_add_f32 v22, v22, v1
	s_wait_alu 0xfffe
	s_and_not1_b32 exec_lo, exec_lo, s7
	s_cbranch_execz .LBB326_43
.LBB326_34:                             ; =>This Inner Loop Header: Depth=1
	global_load_b32 v1, v[9:10], off
	s_wait_loadcnt 0x0
	s_wait_alu 0xfffe
	v_mad_co_i64_i32 v[11:12], null, v1, s9, s[2:3]
	s_delay_alu instid0(VALU_DEP_1) | instskip(SKIP_1) | instid1(VALU_DEP_2)
	v_add_co_u32 v13, s0, v11, v23
	s_wait_alu 0xf1ff
	v_add_co_ci_u32_e64 v14, null, 0, v12, s0
	v_cmp_eq_u32_e64 s0, s30, v16
	global_load_b64 v[27:28], v[13:14], off
	ds_load_2addr_b64 v[5:8], v26 offset1:1
	ds_load_2addr_b64 v[1:4], v26 offset0:2 offset1:3
	s_wait_loadcnt 0x0
	v_and_b32_e32 v32, 0xff, v28
	v_bfe_u32 v30, v27, 8, 8
	v_bfe_u32 v31, v27, 16, 8
	;; [unrolled: 1-line block ×4, first 2 shown]
	v_cvt_f32_fp8_e32 v32, v32
	v_and_b32_e32 v29, 0xff, v27
	v_cvt_f32_fp8_e32 v30, v30
	v_add_nc_u32_e32 v39, -7, v25
	v_lshrrev_b32_e32 v27, 24, v27
	v_mul_f32_e32 v32, s6, v32
	v_cvt_f32_fp8_e32 v29, v29
	v_cvt_f32_fp8_e32 v31, v31
	v_mul_f32_e32 v30, s6, v30
	v_lshrrev_b32_e32 v28, 24, v28
	v_cvt_f32_fp8_e32 v27, v27
	v_mul_f32_e32 v29, s6, v29
	v_cvt_f32_fp8_e32 v34, v34
	v_mul_f32_e32 v31, s6, v31
	v_bfe_u32 v37, v30, 16, 1
	v_cvt_f32_fp8_e32 v28, v28
	v_bfe_u32 v35, v29, 16, 1
	v_or_b32_e32 v36, 0x400000, v29
	v_cmp_u_f32_e64 s1, v29, v29
	s_delay_alu instid0(VALU_DEP_4) | instskip(NEXT) | instid1(VALU_DEP_4)
	v_dual_mul_f32 v27, s6, v27 :: v_dual_mul_f32 v28, s6, v28
	v_add3_u32 v35, v35, v29, 0x7fff
	v_mul_f32_e32 v34, s6, v34
	v_or_b32_e32 v38, 0x400000, v30
	v_bfe_u32 v40, v31, 16, 1
	v_add3_u32 v37, v37, v30, 0x7fff
	s_wait_alu 0xf1ff
	v_cndmask_b32_e64 v29, v35, v36, s1
	v_cmp_u_f32_e64 s1, v30, v30
	v_cvt_f32_fp8_e32 v33, v33
	v_or_b32_e32 v41, 0x400000, v31
	v_bfe_u32 v42, v27, 16, 1
	v_add3_u32 v40, v40, v31, 0x7fff
	s_wait_alu 0xf1ff
	v_cndmask_b32_e64 v30, v37, v38, s1
	v_cmp_u_f32_e64 s1, v31, v31
	v_mul_f32_e32 v33, s6, v33
	v_or_b32_e32 v43, 0x400000, v27
	v_bfe_u32 v44, v32, 16, 1
	v_add3_u32 v42, v42, v27, 0x7fff
	s_wait_alu 0xf1ff
	v_cndmask_b32_e64 v31, v40, v41, s1
	v_cmp_u_f32_e64 s1, v27, v27
	v_or_b32_e32 v45, 0x400000, v32
	v_bfe_u32 v46, v33, 16, 1
	v_add3_u32 v44, v44, v32, 0x7fff
	v_or_b32_e32 v47, 0x400000, v33
	s_wait_alu 0xf1ff
	v_cndmask_b32_e64 v27, v42, v43, s1
	v_cmp_u_f32_e64 s1, v32, v32
	v_bfe_u32 v48, v34, 16, 1
	v_add3_u32 v46, v46, v33, 0x7fff
	v_or_b32_e32 v49, 0x400000, v34
	v_bfe_u32 v50, v28, 16, 1
	s_wait_alu 0xf1ff
	v_cndmask_b32_e64 v35, v44, v45, s1
	v_cmp_u_f32_e64 s1, v33, v33
	v_add3_u32 v48, v48, v34, 0x7fff
	v_or_b32_e32 v51, 0x400000, v28
	v_add3_u32 v50, v50, v28, 0x7fff
	v_lshrrev_b32_e32 v33, 16, v29
	s_wait_alu 0xf1ff
	v_cndmask_b32_e64 v36, v46, v47, s1
	v_cmp_u_f32_e64 s1, v34, v34
	v_lshrrev_b32_e32 v34, 16, v30
	v_lshrrev_b32_e32 v31, 16, v31
	;; [unrolled: 1-line block ×4, first 2 shown]
	s_wait_alu 0xf1ff
	v_cndmask_b32_e64 v37, v48, v49, s1
	v_cmp_u_f32_e64 s1, v28, v28
	v_lshrrev_b32_e32 v30, 16, v36
	s_delay_alu instid0(VALU_DEP_3) | instskip(SKIP_1) | instid1(VALU_DEP_3)
	v_lshrrev_b32_e32 v27, 16, v37
	s_wait_alu 0xf1ff
	v_cndmask_b32_e64 v28, v50, v51, s1
	s_delay_alu instid0(VALU_DEP_1)
	v_lshrrev_b32_e32 v28, 16, v28
	s_and_saveexec_b32 s10, s0
	s_cbranch_execz .LBB326_36
; %bb.35:                               ;   in Loop: Header=BB326_34 Depth=1
	v_add_nc_u32_e32 v35, -6, v25
	v_cmp_gt_i32_e64 s1, s27, v39
	v_add_nc_u32_e32 v36, -5, v25
	v_add_nc_u32_e32 v37, -2, v25
	s_wait_alu 0xf1ff
	s_delay_alu instid0(VALU_DEP_3) | instskip(SKIP_3) | instid1(VALU_DEP_2)
	v_cndmask_b32_e64 v33, 0, v33, s1
	v_cmp_gt_i32_e64 s1, s27, v35
	v_add_nc_u32_e32 v35, -4, v25
	s_wait_alu 0xf1ff
	v_cndmask_b32_e64 v34, 0, v34, s1
	v_cmp_gt_i32_e64 s1, s27, v36
	v_add_nc_u32_e32 v36, -3, v25
	s_wait_alu 0xf1ff
	s_delay_alu instid0(VALU_DEP_2) | instskip(SKIP_3) | instid1(VALU_DEP_2)
	v_cndmask_b32_e64 v31, 0, v31, s1
	v_cmp_gt_i32_e64 s1, s27, v35
	v_add_nc_u32_e32 v35, -1, v25
	s_wait_alu 0xf1ff
	v_cndmask_b32_e64 v32, 0, v32, s1
	v_cmp_gt_i32_e64 s1, s27, v36
	s_wait_alu 0xf1ff
	s_delay_alu instid0(VALU_DEP_1) | instskip(SKIP_2) | instid1(VALU_DEP_1)
	v_cndmask_b32_e64 v29, 0, v29, s1
	v_cmp_gt_i32_e64 s1, s27, v37
	s_wait_alu 0xf1ff
	v_cndmask_b32_e64 v30, 0, v30, s1
	v_cmp_gt_i32_e64 s1, s27, v35
	s_wait_alu 0xf1ff
	s_delay_alu instid0(VALU_DEP_1) | instskip(SKIP_2) | instid1(VALU_DEP_1)
	v_cndmask_b32_e64 v27, 0, v27, s1
	v_cmp_gt_i32_e64 s1, s27, v25
	s_wait_alu 0xf1ff
	v_cndmask_b32_e64 v28, 0, v28, s1
.LBB326_36:                             ;   in Loop: Header=BB326_34 Depth=1
	s_wait_alu 0xfffe
	s_or_b32 exec_lo, exec_lo, s10
	global_load_b64 v[35:36], v[13:14], off offset:256
	s_wait_loadcnt 0x0
	v_bfe_u32 v38, v35, 8, 8
	v_bfe_u32 v40, v35, 16, 8
	;; [unrolled: 1-line block ×4, first 2 shown]
	s_delay_alu instid0(VALU_DEP_4)
	v_cvt_f32_fp8_e32 v38, v38
	v_and_b32_e32 v37, 0xff, v35
	v_cvt_f32_fp8_e32 v40, v40
	v_lshrrev_b32_e32 v35, 24, v35
	v_cvt_f32_fp8_e32 v42, v42
	v_mul_f32_e32 v38, s6, v38
	v_cvt_f32_fp8_e32 v37, v37
	v_and_b32_e32 v41, 0xff, v36
	v_lshrrev_b32_e32 v36, 24, v36
	v_cvt_f32_fp8_e32 v35, v35
	s_delay_alu instid0(VALU_DEP_4) | instskip(SKIP_1) | instid1(VALU_DEP_4)
	v_dual_mul_f32 v40, s6, v40 :: v_dual_mul_f32 v37, s6, v37
	v_bfe_u32 v46, v38, 16, 1
	v_cvt_f32_fp8_e32 v36, v36
	s_delay_alu instid0(VALU_DEP_4) | instskip(NEXT) | instid1(VALU_DEP_4)
	v_dual_mul_f32 v35, s6, v35 :: v_dual_mul_f32 v42, s6, v42
	v_bfe_u32 v44, v37, 16, 1
	v_or_b32_e32 v45, 0x400000, v37
	v_cmp_u_f32_e64 s1, v37, v37
	v_cvt_f32_fp8_e32 v41, v41
	v_or_b32_e32 v47, 0x400000, v38
	v_add3_u32 v44, v44, v37, 0x7fff
	v_bfe_u32 v48, v40, 16, 1
	v_add3_u32 v46, v46, v38, 0x7fff
	v_dual_mul_f32 v41, s6, v41 :: v_dual_mul_f32 v36, s6, v36
	s_wait_alu 0xf1ff
	v_cndmask_b32_e64 v37, v44, v45, s1
	v_cmp_u_f32_e64 s1, v38, v38
	v_or_b32_e32 v49, 0x400000, v40
	v_bfe_u32 v50, v35, 16, 1
	v_add3_u32 v48, v48, v40, 0x7fff
	v_cvt_f32_fp8_e32 v43, v43
	s_wait_alu 0xf1ff
	v_cndmask_b32_e64 v38, v46, v47, s1
	v_cmp_u_f32_e64 s1, v40, v40
	v_or_b32_e32 v51, 0x400000, v35
	v_bfe_u32 v52, v41, 16, 1
	v_add3_u32 v50, v50, v35, 0x7fff
	v_mul_f32_e32 v43, s6, v43
	s_wait_alu 0xf1ff
	v_cndmask_b32_e64 v40, v48, v49, s1
	v_cmp_u_f32_e64 s1, v35, v35
	v_or_b32_e32 v53, 0x400000, v41
	v_bfe_u32 v54, v42, 16, 1
	v_add3_u32 v52, v52, v41, 0x7fff
	v_or_b32_e32 v55, 0x400000, v42
	s_wait_alu 0xf1ff
	v_cndmask_b32_e64 v35, v50, v51, s1
	v_cmp_u_f32_e64 s1, v41, v41
	v_bfe_u32 v56, v43, 16, 1
	v_add3_u32 v54, v54, v42, 0x7fff
	v_or_b32_e32 v57, 0x400000, v43
	v_bfe_u32 v58, v36, 16, 1
	s_wait_alu 0xf1ff
	v_cndmask_b32_e64 v44, v52, v53, s1
	v_cmp_u_f32_e64 s1, v42, v42
	v_add3_u32 v56, v56, v43, 0x7fff
	v_or_b32_e32 v59, 0x400000, v36
	v_add3_u32 v58, v58, v36, 0x7fff
	v_lshrrev_b32_e32 v42, 16, v37
	s_wait_alu 0xf1ff
	v_cndmask_b32_e64 v45, v54, v55, s1
	v_cmp_u_f32_e64 s1, v43, v43
	v_lshrrev_b32_e32 v43, 16, v38
	v_lshrrev_b32_e32 v40, 16, v40
	;; [unrolled: 1-line block ×4, first 2 shown]
	s_wait_alu 0xf1ff
	v_cndmask_b32_e64 v46, v56, v57, s1
	v_cmp_u_f32_e64 s1, v36, v36
	v_lshrrev_b32_e32 v38, 16, v45
	s_delay_alu instid0(VALU_DEP_3) | instskip(SKIP_1) | instid1(VALU_DEP_3)
	v_lshrrev_b32_e32 v35, 16, v46
	s_wait_alu 0xf1ff
	v_cndmask_b32_e64 v36, v58, v59, s1
	s_delay_alu instid0(VALU_DEP_1)
	v_lshrrev_b32_e32 v36, 16, v36
	s_and_saveexec_b32 s10, s0
	s_cbranch_execz .LBB326_38
; %bb.37:                               ;   in Loop: Header=BB326_34 Depth=1
	v_add_nc_u32_e32 v44, -6, v25
	v_cmp_gt_i32_e64 s1, s27, v39
	v_add_nc_u32_e32 v45, -5, v25
	v_add_nc_u32_e32 v46, -2, v25
	s_wait_alu 0xf1ff
	s_delay_alu instid0(VALU_DEP_3) | instskip(SKIP_3) | instid1(VALU_DEP_2)
	v_cndmask_b32_e64 v42, 0, v42, s1
	v_cmp_gt_i32_e64 s1, s27, v44
	v_add_nc_u32_e32 v44, -4, v25
	s_wait_alu 0xf1ff
	v_cndmask_b32_e64 v43, 0, v43, s1
	v_cmp_gt_i32_e64 s1, s27, v45
	v_add_nc_u32_e32 v45, -3, v25
	s_wait_alu 0xf1ff
	s_delay_alu instid0(VALU_DEP_2) | instskip(SKIP_3) | instid1(VALU_DEP_2)
	v_cndmask_b32_e64 v40, 0, v40, s1
	v_cmp_gt_i32_e64 s1, s27, v44
	v_add_nc_u32_e32 v44, -1, v25
	s_wait_alu 0xf1ff
	v_cndmask_b32_e64 v41, 0, v41, s1
	v_cmp_gt_i32_e64 s1, s27, v45
	s_wait_alu 0xf1ff
	s_delay_alu instid0(VALU_DEP_1) | instskip(SKIP_2) | instid1(VALU_DEP_1)
	v_cndmask_b32_e64 v37, 0, v37, s1
	v_cmp_gt_i32_e64 s1, s27, v46
	s_wait_alu 0xf1ff
	v_cndmask_b32_e64 v38, 0, v38, s1
	v_cmp_gt_i32_e64 s1, s27, v44
	s_wait_alu 0xf1ff
	s_delay_alu instid0(VALU_DEP_1) | instskip(SKIP_2) | instid1(VALU_DEP_1)
	v_cndmask_b32_e64 v35, 0, v35, s1
	v_cmp_gt_i32_e64 s1, s27, v25
	s_wait_alu 0xf1ff
	v_cndmask_b32_e64 v36, 0, v36, s1
.LBB326_38:                             ;   in Loop: Header=BB326_34 Depth=1
	s_wait_alu 0xfffe
	s_or_b32 exec_lo, exec_lo, s10
	global_load_b64 v[13:14], v[13:14], off offset:512
	s_wait_loadcnt 0x0
	v_and_b32_e32 v47, 0xff, v14
	v_bfe_u32 v45, v13, 8, 8
	v_bfe_u32 v46, v13, 16, 8
	;; [unrolled: 1-line block ×4, first 2 shown]
	v_cvt_f32_fp8_e32 v47, v47
	v_and_b32_e32 v44, 0xff, v13
	v_cvt_f32_fp8_e32 v45, v45
	v_lshrrev_b32_e32 v13, 24, v13
	v_cvt_f32_fp8_e32 v46, v46
	v_mul_f32_e32 v47, s6, v47
	v_cvt_f32_fp8_e32 v44, v44
	v_mul_f32_e32 v45, s6, v45
	;; [unrolled: 2-line block ×4, first 2 shown]
	v_bfe_u32 v52, v45, 16, 1
	v_mul_f32_e32 v13, s6, v13
	v_or_b32_e32 v53, 0x400000, v45
	v_bfe_u32 v54, v46, 16, 1
	v_bfe_u32 v50, v44, 16, 1
	v_or_b32_e32 v51, 0x400000, v44
	v_cmp_u_f32_e64 s1, v44, v44
	v_add3_u32 v52, v52, v45, 0x7fff
	v_mul_f32_e32 v48, s6, v48
	v_add3_u32 v50, v50, v44, 0x7fff
	v_or_b32_e32 v55, 0x400000, v46
	v_bfe_u32 v56, v13, 16, 1
	v_add3_u32 v54, v54, v46, 0x7fff
	v_lshrrev_b32_e32 v14, 24, v14
	s_wait_alu 0xf1ff
	v_cndmask_b32_e64 v44, v50, v51, s1
	v_cmp_u_f32_e64 s1, v45, v45
	v_cvt_f32_fp8_e32 v49, v49
	v_or_b32_e32 v57, 0x400000, v13
	v_bfe_u32 v58, v47, 16, 1
	v_add3_u32 v56, v56, v13, 0x7fff
	s_wait_alu 0xf1ff
	v_cndmask_b32_e64 v45, v52, v53, s1
	v_cmp_u_f32_e64 s1, v46, v46
	v_cvt_f32_fp8_e32 v14, v14
	v_mul_f32_e32 v49, s6, v49
	v_or_b32_e32 v59, 0x400000, v47
	v_bfe_u32 v60, v48, 16, 1
	s_wait_alu 0xf1ff
	v_cndmask_b32_e64 v46, v54, v55, s1
	v_cmp_u_f32_e64 s1, v13, v13
	v_add3_u32 v58, v58, v47, 0x7fff
	v_mul_f32_e32 v14, s6, v14
	v_or_b32_e32 v61, 0x400000, v48
	v_bfe_u32 v62, v49, 16, 1
	s_wait_alu 0xf1ff
	v_cndmask_b32_e64 v13, v56, v57, s1
	v_cmp_u_f32_e64 s1, v47, v47
	v_add3_u32 v60, v60, v48, 0x7fff
	v_or_b32_e32 v63, 0x400000, v49
	v_bfe_u32 v64, v14, 16, 1
	v_add3_u32 v62, v62, v49, 0x7fff
	s_wait_alu 0xf1ff
	v_cndmask_b32_e64 v50, v58, v59, s1
	v_cmp_u_f32_e64 s1, v48, v48
	v_or_b32_e32 v65, 0x400000, v14
	v_add3_u32 v64, v64, v14, 0x7fff
	v_lshrrev_b32_e32 v48, 16, v44
	v_lshrrev_b32_e32 v46, 16, v46
	s_wait_alu 0xf1ff
	v_cndmask_b32_e64 v51, v60, v61, s1
	v_cmp_u_f32_e64 s1, v49, v49
	v_lshrrev_b32_e32 v49, 16, v45
	v_lshrrev_b32_e32 v47, 16, v13
	;; [unrolled: 1-line block ×4, first 2 shown]
	s_wait_alu 0xf1ff
	v_cndmask_b32_e64 v52, v62, v63, s1
	v_cmp_u_f32_e64 s1, v14, v14
	s_delay_alu instid0(VALU_DEP_2) | instskip(SKIP_1) | instid1(VALU_DEP_2)
	v_lshrrev_b32_e32 v13, 16, v52
	s_wait_alu 0xf1ff
	v_cndmask_b32_e64 v14, v64, v65, s1
	s_delay_alu instid0(VALU_DEP_1)
	v_lshrrev_b32_e32 v14, 16, v14
	s_and_saveexec_b32 s10, s0
	s_cbranch_execz .LBB326_40
; %bb.39:                               ;   in Loop: Header=BB326_34 Depth=1
	v_add_nc_u32_e32 v50, -6, v25
	v_cmp_gt_i32_e64 s1, s27, v39
	v_add_nc_u32_e32 v51, -5, v25
	v_add_nc_u32_e32 v52, -2, v25
	s_wait_alu 0xf1ff
	s_delay_alu instid0(VALU_DEP_3) | instskip(SKIP_3) | instid1(VALU_DEP_2)
	v_cndmask_b32_e64 v48, 0, v48, s1
	v_cmp_gt_i32_e64 s1, s27, v50
	v_add_nc_u32_e32 v50, -4, v25
	s_wait_alu 0xf1ff
	v_cndmask_b32_e64 v49, 0, v49, s1
	v_cmp_gt_i32_e64 s1, s27, v51
	v_add_nc_u32_e32 v51, -3, v25
	s_wait_alu 0xf1ff
	s_delay_alu instid0(VALU_DEP_2) | instskip(SKIP_3) | instid1(VALU_DEP_2)
	v_cndmask_b32_e64 v46, 0, v46, s1
	v_cmp_gt_i32_e64 s1, s27, v50
	v_add_nc_u32_e32 v50, -1, v25
	s_wait_alu 0xf1ff
	v_cndmask_b32_e64 v47, 0, v47, s1
	v_cmp_gt_i32_e64 s1, s27, v51
	s_wait_alu 0xf1ff
	s_delay_alu instid0(VALU_DEP_1) | instskip(SKIP_2) | instid1(VALU_DEP_1)
	v_cndmask_b32_e64 v44, 0, v44, s1
	v_cmp_gt_i32_e64 s1, s27, v52
	s_wait_alu 0xf1ff
	v_cndmask_b32_e64 v45, 0, v45, s1
	v_cmp_gt_i32_e64 s1, s27, v50
	s_wait_alu 0xf1ff
	s_delay_alu instid0(VALU_DEP_1) | instskip(SKIP_2) | instid1(VALU_DEP_1)
	v_cndmask_b32_e64 v13, 0, v13, s1
	v_cmp_gt_i32_e64 s1, s27, v25
	s_wait_alu 0xf1ff
	v_cndmask_b32_e64 v14, 0, v14, s1
.LBB326_40:                             ;   in Loop: Header=BB326_34 Depth=1
	s_wait_alu 0xfffe
	s_or_b32 exec_lo, exec_lo, s10
	s_wait_dscnt 0x1
	v_bfe_u32 v50, v5, 16, 1
	v_bfe_u32 v51, v6, 16, 1
	v_or_b32_e32 v52, 0x400000, v5
	v_cmp_u_f32_e64 s1, v5, v5
	v_or_b32_e32 v53, 0x400000, v6
	v_add3_u32 v50, v50, v5, 0x7fff
	v_bfe_u32 v54, v7, 16, 1
	v_add3_u32 v51, v51, v6, 0x7fff
	v_bfe_u32 v55, v8, 16, 1
	s_wait_alu 0xf1ff
	v_cndmask_b32_e64 v5, v50, v52, s1
	v_cmp_u_f32_e64 s1, v6, v6
	v_add3_u32 v50, v54, v7, 0x7fff
	s_wait_dscnt 0x0
	v_bfe_u32 v52, v1, 16, 1
	v_or_b32_e32 v54, 0x400000, v8
	s_wait_alu 0xf1ff
	v_cndmask_b32_e64 v6, v51, v53, s1
	v_or_b32_e32 v51, 0x400000, v7
	v_cmp_u_f32_e64 s1, v7, v7
	v_add3_u32 v53, v55, v8, 0x7fff
	v_or_b32_e32 v55, 0x400000, v4
	s_wait_alu 0xf1ff
	s_delay_alu instid0(VALU_DEP_3)
	v_cndmask_b32_e64 v7, v50, v51, s1
	v_cmp_u_f32_e64 s1, v8, v8
	v_add3_u32 v50, v52, v1, 0x7fff
	v_or_b32_e32 v51, 0x400000, v1
	v_bfe_u32 v52, v2, 16, 1
	s_wait_alu 0xf1ff
	v_cndmask_b32_e64 v8, v53, v54, s1
	v_cmp_u_f32_e64 s1, v1, v1
	v_bfe_u32 v53, v3, 16, 1
	v_or_b32_e32 v54, 0x400000, v3
	s_wait_alu 0xf1ff
	s_delay_alu instid0(VALU_DEP_3)
	v_cndmask_b32_e64 v1, v50, v51, s1
	v_add3_u32 v51, v52, v2, 0x7fff
	v_or_b32_e32 v52, 0x400000, v2
	v_cmp_u_f32_e64 s1, v2, v2
	v_bfe_u32 v50, v4, 16, 1
	v_add3_u32 v53, v53, v3, 0x7fff
	s_wait_alu 0xf1ff
	s_delay_alu instid0(VALU_DEP_3) | instskip(SKIP_3) | instid1(VALU_DEP_4)
	v_cndmask_b32_e64 v2, v51, v52, s1
	v_cmp_u_f32_e64 s1, v3, v3
	v_add3_u32 v50, v50, v4, 0x7fff
	v_perm_b32 v3, v8, v7, 0x7060302
	v_perm_b32 v2, v2, v1, 0x7060302
	s_wait_alu 0xf1ff
	v_cndmask_b32_e64 v51, v53, v54, s1
	v_cmp_u_f32_e64 s1, v4, v4
	v_perm_b32 v4, v6, v5, 0x7060302
	s_wait_alu 0xf1ff
	s_delay_alu instid0(VALU_DEP_2) | instskip(NEXT) | instid1(VALU_DEP_1)
	v_cndmask_b32_e64 v50, v50, v55, s1
	v_perm_b32 v1, v50, v51, 0x7060302
	s_and_saveexec_b32 s10, vcc_lo
	s_cbranch_execz .LBB326_33
; %bb.41:                               ;   in Loop: Header=BB326_34 Depth=1
	v_add_co_u32 v5, s1, v11, v24
	s_wait_alu 0xf1ff
	v_add_co_ci_u32_e64 v6, null, 0, v12, s1
	global_load_b64 v[5:6], v[5:6], off
	s_wait_loadcnt 0x0
	v_bfe_u32 v8, v5, 8, 8
	v_bfe_u32 v11, v5, 16, 8
	;; [unrolled: 1-line block ×4, first 2 shown]
	s_delay_alu instid0(VALU_DEP_4)
	v_cvt_f32_fp8_e32 v8, v8
	v_and_b32_e32 v7, 0xff, v5
	v_lshrrev_b32_e32 v5, 24, v5
	v_cvt_f32_fp8_e32 v11, v11
	v_cvt_f32_fp8_e32 v50, v50
	v_mul_f32_e32 v8, s6, v8
	v_cvt_f32_fp8_e32 v7, v7
	v_and_b32_e32 v12, 0xff, v6
	v_cvt_f32_fp8_e32 v5, v5
	v_lshrrev_b32_e32 v6, 24, v6
	v_bfe_u32 v54, v8, 16, 1
	v_mul_f32_e32 v7, s6, v7
	v_cvt_f32_fp8_e32 v12, v12
	v_mul_f32_e32 v11, s6, v11
	v_dual_mul_f32 v5, s6, v5 :: v_dual_mul_f32 v50, s6, v50
	s_delay_alu instid0(VALU_DEP_4)
	v_bfe_u32 v52, v7, 16, 1
	v_or_b32_e32 v53, 0x400000, v7
	v_cmp_u_f32_e64 s1, v7, v7
	v_mul_f32_e32 v12, s6, v12
	v_or_b32_e32 v55, 0x400000, v8
	v_add3_u32 v52, v52, v7, 0x7fff
	v_bfe_u32 v56, v11, 16, 1
	v_add3_u32 v54, v54, v8, 0x7fff
	v_or_b32_e32 v57, 0x400000, v11
	v_bfe_u32 v58, v5, 16, 1
	s_wait_alu 0xf1ff
	v_cndmask_b32_e64 v7, v52, v53, s1
	v_cmp_u_f32_e64 s1, v8, v8
	v_add3_u32 v56, v56, v11, 0x7fff
	v_cvt_f32_fp8_e32 v51, v51
	v_or_b32_e32 v59, 0x400000, v5
	v_bfe_u32 v60, v12, 16, 1
	s_wait_alu 0xf1ff
	v_cndmask_b32_e64 v8, v54, v55, s1
	v_cmp_u_f32_e64 s1, v11, v11
	v_add3_u32 v58, v58, v5, 0x7fff
	v_cvt_f32_fp8_e32 v6, v6
	v_mul_f32_e32 v51, s6, v51
	v_or_b32_e32 v61, 0x400000, v12
	s_wait_alu 0xf1ff
	v_cndmask_b32_e64 v11, v56, v57, s1
	v_cmp_u_f32_e64 s1, v5, v5
	v_bfe_u32 v62, v50, 16, 1
	v_add3_u32 v60, v60, v12, 0x7fff
	v_mul_f32_e32 v6, s6, v6
	v_or_b32_e32 v63, 0x400000, v50
	s_wait_alu 0xf1ff
	v_cndmask_b32_e64 v5, v58, v59, s1
	v_cmp_u_f32_e64 s1, v12, v12
	v_bfe_u32 v64, v51, 16, 1
	v_add3_u32 v62, v62, v50, 0x7fff
	v_or_b32_e32 v65, 0x400000, v51
	v_bfe_u32 v66, v6, 16, 1
	s_wait_alu 0xf1ff
	v_cndmask_b32_e64 v52, v60, v61, s1
	v_cmp_u_f32_e64 s1, v50, v50
	v_add3_u32 v64, v64, v51, 0x7fff
	v_or_b32_e32 v67, 0x400000, v6
	v_add3_u32 v66, v66, v6, 0x7fff
	v_lshrrev_b32_e32 v50, 16, v7
	s_wait_alu 0xf1ff
	v_cndmask_b32_e64 v53, v62, v63, s1
	v_cmp_u_f32_e64 s1, v51, v51
	v_lshrrev_b32_e32 v51, 16, v8
	v_lshrrev_b32_e32 v11, 16, v11
	;; [unrolled: 1-line block ×4, first 2 shown]
	s_wait_alu 0xf1ff
	v_cndmask_b32_e64 v54, v64, v65, s1
	v_cmp_u_f32_e64 s1, v6, v6
	v_lshrrev_b32_e32 v8, 16, v53
	s_delay_alu instid0(VALU_DEP_3) | instskip(SKIP_1) | instid1(VALU_DEP_3)
	v_lshrrev_b32_e32 v5, 16, v54
	s_wait_alu 0xf1ff
	v_cndmask_b32_e64 v6, v66, v67, s1
	s_delay_alu instid0(VALU_DEP_1)
	v_lshrrev_b32_e32 v6, 16, v6
	s_and_saveexec_b32 s1, s0
	s_cbranch_execz .LBB326_32
; %bb.42:                               ;   in Loop: Header=BB326_34 Depth=1
	v_add_nc_u32_e32 v52, -6, v25
	v_cmp_gt_i32_e64 s0, s27, v39
	v_add_nc_u32_e32 v53, -5, v25
	v_add_nc_u32_e32 v39, -4, v25
	s_wait_alu 0xf1ff
	s_delay_alu instid0(VALU_DEP_3) | instskip(SKIP_3) | instid1(VALU_DEP_2)
	v_cndmask_b32_e64 v50, 0, v50, s0
	v_cmp_gt_i32_e64 s0, s27, v52
	v_add_nc_u32_e32 v52, -3, v25
	s_wait_alu 0xf1ff
	v_cndmask_b32_e64 v51, 0, v51, s0
	v_cmp_gt_i32_e64 s0, s27, v53
	v_add_nc_u32_e32 v53, -2, v25
	s_wait_alu 0xf1ff
	s_delay_alu instid0(VALU_DEP_2) | instskip(SKIP_3) | instid1(VALU_DEP_2)
	v_cndmask_b32_e64 v11, 0, v11, s0
	v_cmp_gt_i32_e64 s0, s27, v39
	v_add_nc_u32_e32 v39, -1, v25
	s_wait_alu 0xf1ff
	v_cndmask_b32_e64 v12, 0, v12, s0
	v_cmp_gt_i32_e64 s0, s27, v52
	s_wait_alu 0xf1ff
	s_delay_alu instid0(VALU_DEP_1) | instskip(SKIP_2) | instid1(VALU_DEP_1)
	v_cndmask_b32_e64 v7, 0, v7, s0
	v_cmp_gt_i32_e64 s0, s27, v53
	s_wait_alu 0xf1ff
	v_cndmask_b32_e64 v8, 0, v8, s0
	v_cmp_gt_i32_e64 s0, s27, v39
	s_wait_alu 0xf1ff
	s_delay_alu instid0(VALU_DEP_1) | instskip(SKIP_2) | instid1(VALU_DEP_1)
	v_cndmask_b32_e64 v5, 0, v5, s0
	v_cmp_gt_i32_e64 s0, s27, v25
	s_wait_alu 0xf1ff
	v_cndmask_b32_e64 v6, 0, v6, s0
	s_branch .LBB326_32
.LBB326_43:
	s_or_b32 exec_lo, exec_lo, s7
.LBB326_44:
	s_wait_alu 0xfffe
	s_or_b32 exec_lo, exec_lo, s8
	s_movk_i32 s0, 0x1c0
	v_and_b32_e32 v1, 0x3c0, v0
	s_wait_alu 0xfffe
	v_mad_u32_u24 v4, v15, s0, 0x100
	v_or_b32_e32 v3, 0x60, v0
	s_mov_b32 s0, exec_lo
	s_wait_loadcnt 0x0
	s_wait_storecnt 0x0
	s_barrier_signal -1
	s_barrier_wait -1
	global_inv scope:SCOPE_SE
	v_cmpx_eq_u32_e32 64, v1
	s_cbranch_execz .LBB326_47
; %bb.45:
	v_add_nc_u32_e32 v1, 0xfffffc80, v4
	v_cmp_gt_u32_e32 vcc_lo, 0x70, v3
	s_delay_alu instid0(VALU_DEP_2)
	v_lshl_add_u32 v2, v17, 2, v1
	ds_store_2addr_b32 v2, v22, v21 offset1:32
	ds_store_b32 v2, v20 offset:256
	s_and_b32 exec_lo, exec_lo, vcc_lo
; %bb.46:
	v_lshl_add_u32 v1, v3, 2, v1
	ds_store_b32 v1, v19
.LBB326_47:
	s_wait_alu 0xfffe
	s_or_b32 exec_lo, exec_lo, s0
	v_lshl_add_u32 v5, v17, 2, v4
	s_mov_b32 s0, exec_lo
	s_wait_loadcnt_dscnt 0x0
	s_barrier_signal -1
	s_barrier_wait -1
	global_inv scope:SCOPE_SE
	v_cmpx_gt_u32_e32 64, v0
	s_cbranch_execz .LBB326_51
; %bb.48:
	v_lshl_or_b32 v1, v0, 2, 0x80
	s_mov_b32 s1, exec_lo
	s_delay_alu instid0(VALU_DEP_1)
	v_add_nc_u32_e32 v6, v4, v1
	ds_load_2addr_stride64_b32 v[1:2], v5 offset1:1
	ds_load_b32 v6, v6
	v_cmpx_gt_u32_e32 0x70, v3
	s_cbranch_execz .LBB326_50
; %bb.49:
	v_lshl_add_u32 v7, v3, 2, v4
	ds_load_b32 v7, v7
	s_wait_dscnt 0x0
	v_add_f32_e32 v19, v19, v7
.LBB326_50:
	s_wait_alu 0xfffe
	s_or_b32 exec_lo, exec_lo, s1
	s_wait_dscnt 0x0
	v_dual_add_f32 v22, v22, v1 :: v_dual_add_f32 v21, v21, v6
	v_add_f32_e32 v20, v20, v2
.LBB326_51:
	s_wait_alu 0xfffe
	s_or_b32 exec_lo, exec_lo, s0
	v_and_b32_e32 v1, 0x3e0, v0
	s_mov_b32 s0, exec_lo
	s_wait_loadcnt 0x0
	s_barrier_signal -1
	s_barrier_wait -1
	global_inv scope:SCOPE_SE
	v_cmpx_eq_u32_e32 32, v1
	s_cbranch_execz .LBB326_54
; %bb.52:
	v_lshl_add_u32 v1, v17, 2, 0x100
	v_cmp_gt_u32_e32 vcc_lo, 0x70, v3
	ds_store_b32 v1, v22
	ds_store_b32 v18, v21
	ds_store_b32 v1, v20 offset:256
	s_and_b32 exec_lo, exec_lo, vcc_lo
; %bb.53:
	v_lshl_add_u32 v1, v3, 2, 0x100
	ds_store_b32 v1, v19
.LBB326_54:
	s_wait_alu 0xfffe
	s_or_b32 exec_lo, exec_lo, s0
	v_cmp_gt_u32_e32 vcc_lo, 32, v0
	s_wait_loadcnt_dscnt 0x0
	s_barrier_signal -1
	s_barrier_wait -1
	global_inv scope:SCOPE_SE
	s_and_saveexec_b32 s1, vcc_lo
	s_cbranch_execz .LBB326_58
; %bb.55:
	v_lshl_add_u32 v6, v0, 2, v4
	s_mov_b32 s2, exec_lo
	ds_load_b32 v4, v5
	ds_load_2addr_b32 v[1:2], v6 offset0:32 offset1:64
	v_cmpx_gt_u32_e32 0x70, v3
	s_cbranch_execz .LBB326_57
; %bb.56:
	ds_load_b32 v5, v6 offset:384
	s_wait_dscnt 0x0
	v_add_f32_e32 v19, v19, v5
.LBB326_57:
	s_wait_alu 0xfffe
	s_or_b32 exec_lo, exec_lo, s2
	s_wait_dscnt 0x0
	v_dual_add_f32 v22, v22, v4 :: v_dual_add_f32 v21, v21, v1
	v_add_f32_e32 v20, v20, v2
.LBB326_58:
	s_wait_alu 0xfffe
	s_or_b32 exec_lo, exec_lo, s1
	s_wait_loadcnt 0x0
	s_barrier_signal -1
	s_barrier_wait -1
	global_inv scope:SCOPE_SE
	s_and_saveexec_b32 s0, vcc_lo
	s_cbranch_execz .LBB326_61
; %bb.59:
	v_bfe_u32 v1, v22, 16, 1
	v_bfe_u32 v2, v21, 16, 1
	v_or_b32_e32 v5, 0x400000, v22
	v_cmp_u_f32_e32 vcc_lo, v22, v22
	v_bfe_u32 v4, v20, 16, 1
	v_add3_u32 v1, v1, v22, 0x7fff
	v_lshlrev_b32_e32 v0, 1, v0
	v_add3_u32 v2, v2, v21, 0x7fff
	v_or_b32_e32 v6, 0x400000, v21
	s_mul_i32 s0, s14, 0x70
	s_wait_alu 0xfffd
	v_cndmask_b32_e32 v1, v1, v5, vcc_lo
	v_cmp_u_f32_e32 vcc_lo, v21, v21
	s_mul_i32 s2, s12, s16
	s_wait_alu 0xfffe
	s_ashr_i32 s1, s0, 31
	v_add3_u32 v4, v4, v20, 0x7fff
	v_or_b32_e32 v7, 0x400000, v20
	s_wait_alu 0xfffd
	v_cndmask_b32_e32 v2, v2, v6, vcc_lo
	v_cmp_u_f32_e32 vcc_lo, v20, v20
	s_ashr_i32 s3, s2, 31
	s_wait_alu 0xfffe
	s_lshl_b64 s[0:1], s[0:1], 1
	s_lshl_b64 s[2:3], s[2:3], 1
	s_wait_kmcnt 0x0
	s_wait_alu 0xfffe
	s_add_nc_u64 s[0:1], s[4:5], s[0:1]
	s_wait_alu 0xfffd
	v_cndmask_b32_e32 v4, v4, v7, vcc_lo
	v_cmp_gt_u32_e32 vcc_lo, 0x70, v3
	s_mul_i32 s4, s26, 0xe0
	s_wait_alu 0xfffe
	s_add_nc_u64 s[0:1], s[0:1], s[2:3]
	s_mov_b32 s5, 0
	s_wait_alu 0xfffe
	s_add_nc_u64 s[0:1], s[0:1], s[4:5]
	s_clause 0x2
	global_store_d16_hi_b16 v0, v1, s[0:1]
	global_store_d16_hi_b16 v0, v2, s[0:1] offset:64
	global_store_d16_hi_b16 v0, v4, s[0:1] offset:128
	s_and_b32 exec_lo, exec_lo, vcc_lo
	s_cbranch_execz .LBB326_61
; %bb.60:
	v_bfe_u32 v1, v19, 16, 1
	v_or_b32_e32 v2, 0x400000, v19
	v_cmp_u_f32_e32 vcc_lo, v19, v19
	s_wait_alu 0xfffe
	v_add_co_u32 v0, s0, s0, v0
	v_add3_u32 v3, v1, v19, 0x7fff
	s_wait_alu 0xf1ff
	v_add_co_ci_u32_e64 v1, null, s1, 0, s0
	s_wait_alu 0xfffd
	s_delay_alu instid0(VALU_DEP_2)
	v_cndmask_b32_e32 v2, v3, v2, vcc_lo
	global_store_d16_hi_b16 v[0:1], v2, off offset:192
.LBB326_61:
	s_nop 0
	s_sendmsg sendmsg(MSG_DEALLOC_VGPRS)
	s_endpgm
	.section	.rodata,"a",@progbits
	.p2align	6, 0x0
	.amdhsa_kernel _ZN4vllm25paged_attention_v2_kernelI14__hip_bfloat16hLi112ELi8ELi128ELNS_18Fp8KVCacheDataTypeE1ELb0ELi512EEEvPfS3_PT_PKS4_PKT0_SA_ifPKiSC_iPKfiiiSE_SE_iiiii
		.amdhsa_group_segment_fixed_size 256
		.amdhsa_private_segment_fixed_size 0
		.amdhsa_kernarg_size 400
		.amdhsa_user_sgpr_count 2
		.amdhsa_user_sgpr_dispatch_ptr 0
		.amdhsa_user_sgpr_queue_ptr 0
		.amdhsa_user_sgpr_kernarg_segment_ptr 1
		.amdhsa_user_sgpr_dispatch_id 0
		.amdhsa_user_sgpr_private_segment_size 0
		.amdhsa_wavefront_size32 1
		.amdhsa_uses_dynamic_stack 0
		.amdhsa_enable_private_segment 0
		.amdhsa_system_sgpr_workgroup_id_x 1
		.amdhsa_system_sgpr_workgroup_id_y 1
		.amdhsa_system_sgpr_workgroup_id_z 1
		.amdhsa_system_sgpr_workgroup_info 0
		.amdhsa_system_vgpr_workitem_id 0
		.amdhsa_next_free_vgpr 128
		.amdhsa_next_free_sgpr 38
		.amdhsa_reserve_vcc 1
		.amdhsa_float_round_mode_32 0
		.amdhsa_float_round_mode_16_64 0
		.amdhsa_float_denorm_mode_32 3
		.amdhsa_float_denorm_mode_16_64 3
		.amdhsa_fp16_overflow 0
		.amdhsa_workgroup_processor_mode 1
		.amdhsa_memory_ordered 1
		.amdhsa_forward_progress 1
		.amdhsa_inst_pref_size 99
		.amdhsa_round_robin_scheduling 0
		.amdhsa_exception_fp_ieee_invalid_op 0
		.amdhsa_exception_fp_denorm_src 0
		.amdhsa_exception_fp_ieee_div_zero 0
		.amdhsa_exception_fp_ieee_overflow 0
		.amdhsa_exception_fp_ieee_underflow 0
		.amdhsa_exception_fp_ieee_inexact 0
		.amdhsa_exception_int_div_zero 0
	.end_amdhsa_kernel
	.section	.text._ZN4vllm25paged_attention_v2_kernelI14__hip_bfloat16hLi112ELi8ELi128ELNS_18Fp8KVCacheDataTypeE1ELb0ELi512EEEvPfS3_PT_PKS4_PKT0_SA_ifPKiSC_iPKfiiiSE_SE_iiiii,"axG",@progbits,_ZN4vllm25paged_attention_v2_kernelI14__hip_bfloat16hLi112ELi8ELi128ELNS_18Fp8KVCacheDataTypeE1ELb0ELi512EEEvPfS3_PT_PKS4_PKT0_SA_ifPKiSC_iPKfiiiSE_SE_iiiii,comdat
.Lfunc_end326:
	.size	_ZN4vllm25paged_attention_v2_kernelI14__hip_bfloat16hLi112ELi8ELi128ELNS_18Fp8KVCacheDataTypeE1ELb0ELi512EEEvPfS3_PT_PKS4_PKT0_SA_ifPKiSC_iPKfiiiSE_SE_iiiii, .Lfunc_end326-_ZN4vllm25paged_attention_v2_kernelI14__hip_bfloat16hLi112ELi8ELi128ELNS_18Fp8KVCacheDataTypeE1ELb0ELi512EEEvPfS3_PT_PKS4_PKT0_SA_ifPKiSC_iPKfiiiSE_SE_iiiii
                                        ; -- End function
	.set _ZN4vllm25paged_attention_v2_kernelI14__hip_bfloat16hLi112ELi8ELi128ELNS_18Fp8KVCacheDataTypeE1ELb0ELi512EEEvPfS3_PT_PKS4_PKT0_SA_ifPKiSC_iPKfiiiSE_SE_iiiii.num_vgpr, 128
	.set _ZN4vllm25paged_attention_v2_kernelI14__hip_bfloat16hLi112ELi8ELi128ELNS_18Fp8KVCacheDataTypeE1ELb0ELi512EEEvPfS3_PT_PKS4_PKT0_SA_ifPKiSC_iPKfiiiSE_SE_iiiii.num_agpr, 0
	.set _ZN4vllm25paged_attention_v2_kernelI14__hip_bfloat16hLi112ELi8ELi128ELNS_18Fp8KVCacheDataTypeE1ELb0ELi512EEEvPfS3_PT_PKS4_PKT0_SA_ifPKiSC_iPKfiiiSE_SE_iiiii.numbered_sgpr, 38
	.set _ZN4vllm25paged_attention_v2_kernelI14__hip_bfloat16hLi112ELi8ELi128ELNS_18Fp8KVCacheDataTypeE1ELb0ELi512EEEvPfS3_PT_PKS4_PKT0_SA_ifPKiSC_iPKfiiiSE_SE_iiiii.num_named_barrier, 0
	.set _ZN4vllm25paged_attention_v2_kernelI14__hip_bfloat16hLi112ELi8ELi128ELNS_18Fp8KVCacheDataTypeE1ELb0ELi512EEEvPfS3_PT_PKS4_PKT0_SA_ifPKiSC_iPKfiiiSE_SE_iiiii.private_seg_size, 0
	.set _ZN4vllm25paged_attention_v2_kernelI14__hip_bfloat16hLi112ELi8ELi128ELNS_18Fp8KVCacheDataTypeE1ELb0ELi512EEEvPfS3_PT_PKS4_PKT0_SA_ifPKiSC_iPKfiiiSE_SE_iiiii.uses_vcc, 1
	.set _ZN4vllm25paged_attention_v2_kernelI14__hip_bfloat16hLi112ELi8ELi128ELNS_18Fp8KVCacheDataTypeE1ELb0ELi512EEEvPfS3_PT_PKS4_PKT0_SA_ifPKiSC_iPKfiiiSE_SE_iiiii.uses_flat_scratch, 0
	.set _ZN4vllm25paged_attention_v2_kernelI14__hip_bfloat16hLi112ELi8ELi128ELNS_18Fp8KVCacheDataTypeE1ELb0ELi512EEEvPfS3_PT_PKS4_PKT0_SA_ifPKiSC_iPKfiiiSE_SE_iiiii.has_dyn_sized_stack, 0
	.set _ZN4vllm25paged_attention_v2_kernelI14__hip_bfloat16hLi112ELi8ELi128ELNS_18Fp8KVCacheDataTypeE1ELb0ELi512EEEvPfS3_PT_PKS4_PKT0_SA_ifPKiSC_iPKfiiiSE_SE_iiiii.has_recursion, 0
	.set _ZN4vllm25paged_attention_v2_kernelI14__hip_bfloat16hLi112ELi8ELi128ELNS_18Fp8KVCacheDataTypeE1ELb0ELi512EEEvPfS3_PT_PKS4_PKT0_SA_ifPKiSC_iPKfiiiSE_SE_iiiii.has_indirect_call, 0
	.section	.AMDGPU.csdata,"",@progbits
; Kernel info:
; codeLenInByte = 12580
; TotalNumSgprs: 40
; NumVgprs: 128
; ScratchSize: 0
; MemoryBound: 0
; FloatMode: 240
; IeeeMode: 1
; LDSByteSize: 256 bytes/workgroup (compile time only)
; SGPRBlocks: 0
; VGPRBlocks: 15
; NumSGPRsForWavesPerEU: 40
; NumVGPRsForWavesPerEU: 128
; Occupancy: 10
; WaveLimiterHint : 1
; COMPUTE_PGM_RSRC2:SCRATCH_EN: 0
; COMPUTE_PGM_RSRC2:USER_SGPR: 2
; COMPUTE_PGM_RSRC2:TRAP_HANDLER: 0
; COMPUTE_PGM_RSRC2:TGID_X_EN: 1
; COMPUTE_PGM_RSRC2:TGID_Y_EN: 1
; COMPUTE_PGM_RSRC2:TGID_Z_EN: 1
; COMPUTE_PGM_RSRC2:TIDIG_COMP_CNT: 0
	.section	.text._ZN4vllm25paged_attention_v2_kernelI14__hip_bfloat16hLi120ELi8ELi128ELNS_18Fp8KVCacheDataTypeE1ELb0ELi512EEEvPfS3_PT_PKS4_PKT0_SA_ifPKiSC_iPKfiiiSE_SE_iiiii,"axG",@progbits,_ZN4vllm25paged_attention_v2_kernelI14__hip_bfloat16hLi120ELi8ELi128ELNS_18Fp8KVCacheDataTypeE1ELb0ELi512EEEvPfS3_PT_PKS4_PKT0_SA_ifPKiSC_iPKfiiiSE_SE_iiiii,comdat
	.protected	_ZN4vllm25paged_attention_v2_kernelI14__hip_bfloat16hLi120ELi8ELi128ELNS_18Fp8KVCacheDataTypeE1ELb0ELi512EEEvPfS3_PT_PKS4_PKT0_SA_ifPKiSC_iPKfiiiSE_SE_iiiii ; -- Begin function _ZN4vllm25paged_attention_v2_kernelI14__hip_bfloat16hLi120ELi8ELi128ELNS_18Fp8KVCacheDataTypeE1ELb0ELi512EEEvPfS3_PT_PKS4_PKT0_SA_ifPKiSC_iPKfiiiSE_SE_iiiii
	.globl	_ZN4vllm25paged_attention_v2_kernelI14__hip_bfloat16hLi120ELi8ELi128ELNS_18Fp8KVCacheDataTypeE1ELb0ELi512EEEvPfS3_PT_PKS4_PKT0_SA_ifPKiSC_iPKfiiiSE_SE_iiiii
	.p2align	8
	.type	_ZN4vllm25paged_attention_v2_kernelI14__hip_bfloat16hLi120ELi8ELi128ELNS_18Fp8KVCacheDataTypeE1ELb0ELi512EEEvPfS3_PT_PKS4_PKT0_SA_ifPKiSC_iPKfiiiSE_SE_iiiii,@function
_ZN4vllm25paged_attention_v2_kernelI14__hip_bfloat16hLi120ELi8ELi128ELNS_18Fp8KVCacheDataTypeE1ELb0ELi512EEEvPfS3_PT_PKS4_PKT0_SA_ifPKiSC_iPKfiiiSE_SE_iiiii: ; @_ZN4vllm25paged_attention_v2_kernelI14__hip_bfloat16hLi120ELi8ELi128ELNS_18Fp8KVCacheDataTypeE1ELb0ELi512EEEvPfS3_PT_PKS4_PKT0_SA_ifPKiSC_iPKfiiiSE_SE_iiiii
; %bb.0:
	s_load_b64 s[2:3], s[0:1], 0x40
	s_and_b32 s29, ttmp7, 0xffff
	s_lshr_b32 s26, ttmp7, 16
	s_lshl_b32 s4, s29, 2
	s_lshl_b32 s28, s26, 9
	s_wait_kmcnt 0x0
	s_load_b32 s27, s[2:3], s4 offset:0x0
	s_wait_kmcnt 0x0
	s_cmp_ge_i32 s28, s27
	s_cbranch_scc1 .LBB327_61
; %bb.1:
	s_clause 0x1
	s_load_b32 s30, s[0:1], 0x90
	s_load_b64 s[14:15], s[0:1], 0x30
	s_wait_kmcnt 0x0
	s_abs_i32 s5, s30
	s_abs_i32 s2, s14
	s_delay_alu instid0(SALU_CYCLE_1) | instskip(SKIP_1) | instid1(SALU_CYCLE_2)
	s_cvt_f32_u32 s3, s2
	s_sub_co_i32 s4, 0, s2
	v_rcp_iflag_f32_e32 v1, s3
	s_delay_alu instid0(TRANS32_DEP_1) | instskip(SKIP_2) | instid1(SALU_CYCLE_2)
	v_readfirstlane_b32 s3, v1
	s_mul_f32 s3, s3, 0x4f7ffffe
	s_wait_alu 0xfffe
	s_cvt_u32_f32 s3, s3
	s_wait_alu 0xfffe
	s_delay_alu instid0(SALU_CYCLE_2) | instskip(NEXT) | instid1(SALU_CYCLE_1)
	s_mul_i32 s4, s4, s3
	s_mul_hi_u32 s4, s3, s4
	s_delay_alu instid0(SALU_CYCLE_1)
	s_add_co_i32 s3, s3, s4
	s_xor_b32 s4, s30, s14
	s_wait_alu 0xfffe
	s_mul_hi_u32 s3, s5, s3
	s_ashr_i32 s4, s4, 31
	s_wait_alu 0xfffe
	s_mul_i32 s6, s3, s2
	s_delay_alu instid0(SALU_CYCLE_1)
	s_sub_co_i32 s5, s5, s6
	s_add_co_i32 s6, s3, 1
	s_sub_co_i32 s7, s5, s2
	s_cmp_ge_u32 s5, s2
	s_cselect_b32 s3, s6, s3
	s_cselect_b32 s5, s7, s5
	s_wait_alu 0xfffe
	s_add_co_i32 s6, s3, 1
	s_cmp_ge_u32 s5, s2
	s_cselect_b32 s2, s6, s3
	s_load_b64 s[6:7], s[0:1], 0x50
	s_xor_b32 s2, s2, s4
	s_mov_b32 s3, 0
	s_wait_alu 0xfffe
	s_sub_co_i32 s9, s2, s4
	s_mov_b32 s24, s3
	s_abs_i32 s8, s9
	s_delay_alu instid0(SALU_CYCLE_1) | instskip(SKIP_1) | instid1(SALU_CYCLE_2)
	s_cvt_f32_u32 s2, s8
	s_wait_alu 0xfffe
	v_rcp_iflag_f32_e32 v1, s2
	s_delay_alu instid0(TRANS32_DEP_1) | instskip(SKIP_2) | instid1(SALU_CYCLE_2)
	v_readfirstlane_b32 s2, v1
	s_mul_f32 s2, s2, 0x4f7ffffe
	s_wait_alu 0xfffe
	s_cvt_u32_f32 s4, s2
	s_sub_co_i32 s2, 0, s8
	s_wait_alu 0xfffe
	s_delay_alu instid0(SALU_CYCLE_1)
	s_mul_i32 s2, s2, s4
	s_wait_alu 0xfffe
	s_mul_hi_u32 s5, s4, s2
	s_abs_i32 s2, ttmp9
	s_add_co_i32 s4, s4, s5
	s_mov_b32 s5, s3
	s_wait_kmcnt 0x0
	s_cmp_eq_u64 s[6:7], 0
	s_cbranch_scc1 .LBB327_3
; %bb.2:
	s_mov_b32 s10, ttmp9
	s_ashr_i32 s11, ttmp9, 31
	s_delay_alu instid0(SALU_CYCLE_1) | instskip(NEXT) | instid1(SALU_CYCLE_1)
	s_lshl_b64 s[10:11], s[10:11], 2
	s_add_nc_u64 s[6:7], s[6:7], s[10:11]
	s_load_b32 s24, s[6:7], 0x0
.LBB327_3:
	s_load_b96 s[12:14], s[0:1], 0x58
	v_and_b32_e32 v1, 3, v0
	s_mul_u64 s[4:5], s[2:3], s[4:5]
	s_ashr_i32 s3, ttmp9, 31
	s_ashr_i32 s4, s9, 31
	s_mul_i32 s16, ttmp9, 0x78
	s_mov_b32 s6, exec_lo
	v_cmpx_gt_u32_e32 60, v0
	s_cbranch_execz .LBB327_5
; %bb.4:
	s_load_b64 s[10:11], s[0:1], 0x18
	s_wait_kmcnt 0x0
	s_mul_i32 s18, s12, s29
	s_ashr_i32 s17, s16, 31
	s_ashr_i32 s19, s18, 31
	v_lshlrev_b32_e32 v2, 2, v0
	s_lshl_b64 s[18:19], s[18:19], 1
	v_and_b32_e32 v3, 0x3fc, v0
	s_delay_alu instid0(VALU_DEP_1) | instskip(SKIP_2) | instid1(SALU_CYCLE_1)
	v_mad_u32_u24 v3, v1, 60, v3
	s_add_nc_u64 s[10:11], s[10:11], s[18:19]
	s_lshl_b64 s[18:19], s[16:17], 1
	s_add_nc_u64 s[10:11], s[10:11], s[18:19]
	global_load_b32 v2, v2, s[10:11]
	s_wait_loadcnt 0x0
	ds_store_b32 v3, v2
.LBB327_5:
	s_or_b32 exec_lo, exec_lo, s6
	s_add_co_i32 s6, s27, 7
	s_wait_alu 0xfffe
	s_xor_b32 s3, s3, s4
	s_ashr_i32 s7, s6, 31
	s_lshl_b32 s33, s26, 6
	s_lshr_b32 s4, s7, 29
	s_mul_i32 s7, s5, s8
	s_add_co_i32 s6, s6, s4
	s_add_co_i32 s4, s33, 64
	s_ashr_i32 s31, s6, 3
	s_load_b32 s6, s[0:1], 0x48
	s_sub_co_i32 s2, s2, s7
	s_min_i32 s17, s4, s31
	s_add_co_i32 s4, s5, 1
	s_wait_alu 0xfffe
	s_sub_co_i32 s7, s2, s8
	s_cmp_ge_u32 s2, s8
	v_lshrrev_b32_e32 v15, 5, v0
	s_cselect_b32 s4, s4, s5
	s_cselect_b32 s2, s7, s2
	s_add_co_i32 s5, s4, 1
	s_wait_alu 0xfffe
	s_cmp_ge_u32 s2, s8
	v_or_b32_e32 v16, s33, v15
	s_cselect_b32 s2, s5, s4
	v_mbcnt_lo_u32_b32 v7, -1, 0
	s_wait_alu 0xfffe
	s_xor_b32 s2, s2, s3
	s_mov_b32 s4, exec_lo
	s_wait_alu 0xfffe
	s_sub_co_i32 s3, s2, s3
	v_cmp_gt_i32_e64 s2, s17, v16
	s_wait_dscnt 0x0
	s_barrier_signal -1
	s_wait_kmcnt 0x0
	s_mul_i32 s18, s6, s29
	s_barrier_wait -1
	s_ashr_i32 s19, s18, 31
	global_inv scope:SCOPE_SE
                                        ; implicit-def: $vgpr8
                                        ; implicit-def: $vgpr9
	v_cmpx_le_i32_e64 s17, v16
	s_xor_b32 s4, exec_lo, s4
; %bb.6:
	v_dual_mov_b32 v8, 0 :: v_dual_mov_b32 v9, 32
	v_mbcnt_lo_u32_b32 v7, -1, 0
                                        ; implicit-def: $vgpr1
; %bb.7:
	s_or_saveexec_b32 s25, s4
	s_clause 0x2
	s_load_b32 s12, s[0:1], 0x98
	s_load_b64 s[20:21], s[0:1], 0x38
	s_load_b128 s[8:11], s[0:1], 0x68
	v_dual_mov_b32 v40, 0xff7fffff :: v_dual_lshlrev_b32 v5, 2, v16
	v_lshlrev_b32_e32 v6, 3, v15
	s_mul_i32 s22, s3, s14
	s_xor_b32 exec_lo, exec_lo, s25
	s_cbranch_execz .LBB327_13
; %bb.8:
	v_mul_u32_u24_e32 v4, 60, v1
	s_load_b64 s[4:5], s[0:1], 0x20
	v_bfe_u32 v40, v0, 2, 3
	s_ashr_i32 s23, s22, 31
	v_dual_mov_b32 v8, 0 :: v_dual_lshlrev_b32 v45, 1, v1
	ds_load_2addr_b32 v[2:3], v4 offset1:1
	ds_load_2addr_b32 v[18:19], v4 offset0:2 offset1:3
	ds_load_2addr_b32 v[22:23], v4 offset0:4 offset1:5
	;; [unrolled: 1-line block ×6, first 2 shown]
	v_lshlrev_b32_e32 v9, 4, v40
	s_wait_kmcnt 0x0
	s_load_b32 s9, s[8:9], 0x0
	s_cmp_neq_f32 s24, 0
	s_mov_b32 s14, 0
	s_add_nc_u64 s[4:5], s[4:5], s[22:23]
	s_mov_b32 s23, s13
	v_add_co_u32 v46, s3, s4, v9
	s_wait_dscnt 0x6
	v_dual_mov_b32 v9, 32 :: v_dual_lshlrev_b32 v12, 16, v3
	v_and_b32_e32 v13, 0xffff0000, v3
	v_xor_b32_e32 v3, 2, v7
	v_and_b32_e32 v11, 0xffff0000, v2
	s_wait_alu 0xf1ff
	v_add_co_ci_u32_e64 v47, null, s5, 0, s3
	s_cselect_b32 s3, -1, 0
	v_cmp_gt_i32_e32 vcc_lo, 32, v3
	v_lshlrev_b32_e32 v10, 16, v2
	ds_load_b32 v2, v4 offset:56
	v_xor_b32_e32 v4, 1, v7
	s_wait_dscnt 0x6
	v_dual_cndmask_b32 v3, v7, v3 :: v_dual_lshlrev_b32 v14, 16, v18
	v_and_b32_e32 v17, 0xffff0000, v18
	v_lshlrev_b32_e32 v18, 16, v19
	v_cmp_gt_i32_e32 vcc_lo, 32, v4
	v_and_b32_e32 v19, 0xffff0000, v19
	v_lshlrev_b32_e32 v43, 2, v3
	v_lshlrev_b32_e32 v3, 2, v40
	s_wait_dscnt 0x5
	v_lshlrev_b32_e32 v20, 16, v22
	v_and_b32_e32 v21, 0xffff0000, v22
	v_lshlrev_b32_e32 v22, 16, v23
	v_and_b32_e32 v23, 0xffff0000, v23
	v_lshl_or_b32 v3, v15, 5, v3
	s_wait_dscnt 0x4
	v_lshlrev_b32_e32 v24, 16, v26
	v_and_b32_e32 v25, 0xffff0000, v26
	v_lshlrev_b32_e32 v26, 16, v27
	v_and_b32_e32 v27, 0xffff0000, v27
	s_wait_dscnt 0x3
	v_lshlrev_b32_e32 v28, 16, v30
	s_wait_dscnt 0x0
	v_lshlrev_b32_e32 v41, 16, v2
	v_and_b32_e32 v42, 0xffff0000, v2
	s_wait_alu 0xfffd
	v_cndmask_b32_e32 v2, v7, v4, vcc_lo
	v_cmp_eq_u32_e32 vcc_lo, 0, v1
	v_add_co_u32 v1, s4, v46, v45
	v_add_nc_u32_e32 v46, 0x110, v3
	s_delay_alu instid0(VALU_DEP_4)
	v_lshlrev_b32_e32 v44, 2, v2
	s_wait_alu 0xf1ff
	v_add_co_ci_u32_e64 v2, null, 0, v47, s4
	s_lshl_b64 s[4:5], s[18:19], 2
	v_and_b32_e32 v29, 0xffff0000, v30
	s_wait_alu 0xfffe
	s_add_nc_u64 s[4:5], s[20:21], s[4:5]
	v_lshlrev_b32_e32 v30, 16, v31
	s_wait_alu 0xfffe
	v_add_co_u32 v3, s4, s4, v5
	v_and_b32_e32 v31, 0xffff0000, v31
	v_lshlrev_b32_e32 v32, 16, v34
	v_and_b32_e32 v33, 0xffff0000, v34
	v_lshlrev_b32_e32 v34, 16, v35
	;; [unrolled: 2-line block ×4, first 2 shown]
	v_and_b32_e32 v39, 0xffff0000, v39
	v_add3_u32 v45, s28, v6, v40
	s_wait_alu 0xf1ff
	v_add_co_ci_u32_e64 v4, null, s5, 0, s4
	v_dual_mov_b32 v40, 0xff7fffff :: v_dual_mov_b32 v47, v16
	s_sub_co_i32 s34, 1, s27
	s_branch .LBB327_10
.LBB327_9:                              ;   in Loop: Header=BB327_10 Depth=1
	s_wait_alu 0xfffe
	s_or_b32 exec_lo, exec_lo, s5
	v_add_nc_u32_e32 v47, 4, v47
	v_add_co_u32 v3, s5, v3, 16
	v_add_nc_u32_e32 v45, 32, v45
	v_add_nc_u32_e32 v46, 0x80, v46
	s_delay_alu instid0(VALU_DEP_4)
	v_cmp_le_i32_e64 s4, s17, v47
	s_wait_alu 0xf1ff
	v_add_co_ci_u32_e64 v4, null, 0, v4, s5
	s_or_b32 s14, s4, s14
	s_wait_alu 0xfffe
	s_and_not1_b32 exec_lo, exec_lo, s14
	s_cbranch_execz .LBB327_12
.LBB327_10:                             ; =>This Inner Loop Header: Depth=1
	global_load_b32 v48, v[3:4], off
	s_wait_loadcnt_dscnt 0x0
	v_mad_co_i64_i32 v[48:49], null, v48, s23, v[1:2]
	s_clause 0xe
	global_load_u16 v50, v[48:49], off
	global_load_u16 v51, v[48:49], off offset:8
	global_load_u16 v52, v[48:49], off offset:128
	;; [unrolled: 1-line block ×14, first 2 shown]
	s_wait_loadcnt 0xd
	v_and_b32_e32 v64, 0xff, v51
	v_lshrrev_b16 v51, 8, v51
	s_delay_alu instid0(VALU_DEP_1) | instskip(SKIP_3) | instid1(VALU_DEP_3)
	v_and_b32_e32 v51, 0xffff, v51
	s_wait_loadcnt 0x5
	v_and_b32_e32 v72, 0xff, v59
	v_lshrrev_b16 v59, 8, v59
	v_cvt_f32_fp8_e32 v51, v51
	v_and_b32_e32 v66, 0xff, v53
	v_lshrrev_b16 v53, 8, v53
	v_and_b32_e32 v72, 0xffff, v72
	v_and_b32_e32 v59, 0xffff, v59
	s_wait_kmcnt 0x0
	v_dual_mul_f32 v91, s9, v51 :: v_dual_and_b32 v66, 0xffff, v66
	v_and_b32_e32 v53, 0xffff, v53
	v_cvt_f32_fp8_e32 v82, v72
	v_and_b32_e32 v64, 0xffff, v64
	v_cvt_f32_fp8_e32 v83, v59
	v_cvt_f32_fp8_e32 v66, v66
	;; [unrolled: 1-line block ×3, first 2 shown]
	v_and_b32_e32 v69, 0xff, v56
	v_lshrrev_b16 v56, 8, v56
	v_mul_f32_e32 v59, s9, v82
	v_cvt_f32_fp8_e32 v64, v64
	v_and_b32_e32 v49, 0xff, v50
	v_and_b32_e32 v68, 0xff, v55
	;; [unrolled: 1-line block ×3, first 2 shown]
	v_lshrrev_b16 v55, 8, v55
	v_mul_f32_e32 v90, s9, v64
	v_lshrrev_b16 v50, 8, v50
	v_cmp_u_f32_e64 s7, v91, v91
	v_cvt_f32_fp8_e32 v56, v56
	v_and_b32_e32 v49, 0xffff, v49
	v_and_b32_e32 v55, 0xffff, v55
	v_cmp_u_f32_e64 s6, v90, v90
	v_bfe_u32 v113, v59, 16, 1
	v_mul_f32_e32 v64, s9, v56
	v_cvt_f32_fp8_e32 v49, v49
	v_and_b32_e32 v65, 0xff, v52
	v_lshrrev_b16 v52, 8, v52
	v_cvt_f32_fp8_e32 v55, v55
	s_wait_loadcnt 0x2
	v_dual_mul_f32 v88, s9, v49 :: v_dual_and_b32 v75, 0xff, v62
	v_and_b32_e32 v65, 0xffff, v65
	v_and_b32_e32 v52, 0xffff, v52
	v_lshrrev_b16 v62, 8, v62
	v_bfe_u32 v104, v64, 16, 1
	v_cmp_u_f32_e64 s4, v88, v88
	v_cvt_f32_fp8_e32 v65, v65
	v_and_b32_e32 v67, 0xff, v54
	v_cvt_f32_fp8_e32 v52, v52
	v_and_b32_e32 v71, 0xff, v58
	v_lshrrev_b16 v54, 8, v54
	s_delay_alu instid0(VALU_DEP_4) | instskip(NEXT) | instid1(VALU_DEP_3)
	v_dual_mul_f32 v92, s9, v65 :: v_dual_and_b32 v67, 0xffff, v67
	v_dual_mul_f32 v72, s9, v52 :: v_dual_and_b32 v71, 0xffff, v71
	v_lshrrev_b16 v58, 8, v58
	s_delay_alu instid0(VALU_DEP_3) | instskip(NEXT) | instid1(VALU_DEP_4)
	v_or_b32_e32 v82, 0x400000, v92
	v_cvt_f32_fp8_e32 v67, v67
	v_and_b32_e32 v70, 0xff, v57
	v_cvt_f32_fp8_e32 v81, v71
	v_and_b32_e32 v50, 0xffff, v50
	v_dual_mul_f32 v71, s9, v66 :: v_dual_mul_f32 v66, s9, v55
	s_delay_alu instid0(VALU_DEP_4)
	v_and_b32_e32 v70, 0xffff, v70
	v_and_b32_e32 v75, 0xffff, v75
	v_cmp_u_f32_e64 s8, v92, v92
	v_lshrrev_b16 v57, 8, v57
	v_bfe_u32 v100, v66, 16, 1
	v_cvt_f32_fp8_e32 v80, v70
	s_wait_loadcnt 0x1
	v_and_b32_e32 v76, 0xff, v63
	v_lshrrev_b16 v63, 8, v63
	v_mul_f32_e32 v70, s9, v53
	v_cvt_f32_fp8_e32 v75, v75
	v_and_b32_e32 v57, 0xffff, v57
	v_or_b32_e32 v101, 0x400000, v66
	v_and_b32_e32 v63, 0xffff, v63
	v_or_b32_e32 v93, 0x400000, v70
	v_mul_f32_e32 v53, s9, v75
	v_cvt_f32_fp8_e32 v57, v57
	s_wait_loadcnt 0x0
	v_and_b32_e32 v77, 0xff, v48
	v_cvt_f32_fp8_e32 v87, v63
	v_and_b32_e32 v69, 0xffff, v69
	v_mul_f32_e32 v63, s9, v80
	v_and_b32_e32 v76, 0xffff, v76
	v_or_b32_e32 v80, 0x400000, v91
	v_add3_u32 v100, v100, v66, 0x7fff
	v_cvt_f32_fp8_e32 v79, v69
	v_and_b32_e32 v74, 0xff, v61
	v_lshrrev_b16 v61, 8, v61
	v_cvt_f32_fp8_e32 v76, v76
	s_delay_alu instid0(VALU_DEP_4) | instskip(SKIP_1) | instid1(VALU_DEP_4)
	v_dual_mul_f32 v65, s9, v79 :: v_dual_and_b32 v54, 0xffff, v54
	v_bfe_u32 v79, v91, 16, 1
	v_and_b32_e32 v61, 0xffff, v61
	s_delay_alu instid0(VALU_DEP_4) | instskip(NEXT) | instid1(VALU_DEP_4)
	v_mul_f32_e32 v51, s9, v76
	v_cvt_f32_fp8_e32 v54, v54
	v_and_b32_e32 v73, 0xff, v60
	v_add3_u32 v79, v79, v91, 0x7fff
	v_cvt_f32_fp8_e32 v85, v61
	v_mul_f32_e32 v61, s9, v81
	v_cvt_f32_fp8_e32 v50, v50
	v_bfe_u32 v81, v92, 16, 1
	s_wait_alu 0xf1ff
	v_cndmask_b32_e64 v79, v79, v80, s7
	v_lshrrev_b16 v60, 8, v60
	v_mul_f32_e32 v69, s9, v67
	v_mul_f32_e32 v89, s9, v50
	v_add3_u32 v81, v81, v92, 0x7fff
	v_and_b32_e32 v79, 0xffff0000, v79
	v_and_b32_e32 v58, 0xffff, v58
	v_mul_f32_e32 v50, s9, v87
	v_bfe_u32 v75, v89, 16, 1
	v_cndmask_b32_e64 v81, v81, v82, s8
	v_or_b32_e32 v76, 0x400000, v89
	v_cmp_u_f32_e64 s5, v89, v89
	v_mul_f32_e32 v79, v13, v79
	v_add3_u32 v75, v75, v89, 0x7fff
	v_and_b32_e32 v81, 0xffff0000, v81
	v_and_b32_e32 v74, 0xffff, v74
	v_cvt_f32_fp8_e32 v58, v58
	v_bfe_u32 v87, v70, 16, 1
	s_wait_alu 0xf1ff
	v_cndmask_b32_e64 v75, v75, v76, s5
	v_bfe_u32 v94, v69, 16, 1
	v_cvt_f32_fp8_e32 v74, v74
	v_and_b32_e32 v68, 0xffff, v68
	v_add3_u32 v87, v87, v70, 0x7fff
	v_and_b32_e32 v75, 0xffff0000, v75
	s_delay_alu instid0(VALU_DEP_4) | instskip(NEXT) | instid1(VALU_DEP_4)
	v_dual_mul_f32 v55, s9, v74 :: v_dual_and_b32 v60, 0xffff, v60
	v_cvt_f32_fp8_e32 v78, v68
	v_dual_mul_f32 v68, s9, v54 :: v_dual_and_b32 v73, 0xffff, v73
	s_delay_alu instid0(VALU_DEP_4) | instskip(NEXT) | instid1(VALU_DEP_4)
	v_dual_fmac_f32 v79, v11, v75 :: v_dual_and_b32 v62, 0xffff, v62
	v_cvt_f32_fp8_e32 v84, v60
	v_mul_f32_e32 v60, s9, v58
	s_delay_alu instid0(VALU_DEP_4)
	v_cvt_f32_fp8_e32 v73, v73
	v_mul_f32_e32 v58, s9, v83
	v_cvt_f32_fp8_e32 v86, v62
	v_mul_f32_e32 v62, s9, v57
	v_or_b32_e32 v74, 0x400000, v88
	v_mul_f32_e32 v57, s9, v73
	v_bfe_u32 v73, v88, 16, 1
	v_bfe_u32 v83, v72, 16, 1
	v_mul_f32_e32 v56, s9, v84
	v_mul_f32_e32 v54, s9, v85
	v_or_b32_e32 v84, 0x400000, v72
	v_add3_u32 v73, v73, v88, 0x7fff
	v_bfe_u32 v85, v71, 16, 1
	v_add3_u32 v83, v83, v72, 0x7fff
	v_mul_f32_e32 v52, s9, v86
	v_or_b32_e32 v86, 0x400000, v71
	v_cndmask_b32_e64 v73, v73, v74, s4
	v_cmp_u_f32_e64 s4, v72, v72
	v_add3_u32 v85, v85, v71, 0x7fff
	v_mul_f32_e32 v67, s9, v78
	v_or_b32_e32 v95, 0x400000, v69
	v_bfe_u32 v96, v68, 16, 1
	s_wait_alu 0xf1ff
	v_cndmask_b32_e64 v72, v83, v84, s4
	v_cmp_u_f32_e64 s4, v71, v71
	v_add3_u32 v94, v94, v69, 0x7fff
	v_or_b32_e32 v97, 0x400000, v68
	v_bfe_u32 v98, v67, 16, 1
	v_add3_u32 v96, v96, v68, 0x7fff
	s_wait_alu 0xf1ff
	v_cndmask_b32_e64 v71, v85, v86, s4
	v_cmp_u_f32_e64 s4, v70, v70
	v_or_b32_e32 v99, 0x400000, v67
	v_add3_u32 v98, v98, v67, 0x7fff
	v_bfe_u32 v102, v65, 16, 1
	v_and_b32_e32 v77, 0xffff, v77
	s_wait_alu 0xf1ff
	v_cndmask_b32_e64 v70, v87, v93, s4
	v_cmp_u_f32_e64 s4, v69, v69
	v_or_b32_e32 v103, 0x400000, v65
	v_add3_u32 v102, v102, v65, 0x7fff
	v_cvt_f32_fp8_e32 v77, v77
	v_or_b32_e32 v105, 0x400000, v64
	s_wait_alu 0xf1ff
	v_cndmask_b32_e64 v69, v94, v95, s4
	v_cmp_u_f32_e64 s4, v68, v68
	v_bfe_u32 v106, v63, 16, 1
	v_add3_u32 v104, v104, v64, 0x7fff
	v_mul_f32_e32 v49, s9, v77
	v_bfe_u32 v77, v90, 16, 1
	s_wait_alu 0xf1ff
	v_cndmask_b32_e64 v68, v96, v97, s4
	v_cmp_u_f32_e64 s4, v67, v67
	v_or_b32_e32 v107, 0x400000, v63
	v_bfe_u32 v108, v62, 16, 1
	v_add3_u32 v106, v106, v63, 0x7fff
	v_or_b32_e32 v78, 0x400000, v90
	s_wait_alu 0xf1ff
	v_cndmask_b32_e64 v67, v98, v99, s4
	v_cmp_u_f32_e64 s4, v66, v66
	v_or_b32_e32 v109, 0x400000, v62
	v_bfe_u32 v110, v61, 16, 1
	v_add3_u32 v77, v77, v90, 0x7fff
	v_add3_u32 v108, v108, v62, 0x7fff
	s_wait_alu 0xf1ff
	v_cndmask_b32_e64 v66, v100, v101, s4
	v_cmp_u_f32_e64 s4, v65, v65
	v_or_b32_e32 v111, 0x400000, v61
	v_bfe_u32 v112, v60, 16, 1
	v_cndmask_b32_e64 v77, v77, v78, s6
	v_add3_u32 v110, v110, v61, 0x7fff
	s_wait_alu 0xf1ff
	v_cndmask_b32_e64 v65, v102, v103, s4
	v_cmp_u_f32_e64 s4, v64, v64
	v_or_b32_e32 v114, 0x400000, v60
	v_add3_u32 v112, v112, v60, 0x7fff
	v_and_b32_e32 v77, 0xffff0000, v77
	v_bfe_u32 v115, v58, 16, 1
	s_wait_alu 0xf1ff
	v_cndmask_b32_e64 v64, v104, v105, s4
	v_cmp_u_f32_e64 s4, v63, v63
	v_or_b32_e32 v116, 0x400000, v59
	v_add3_u32 v113, v113, v59, 0x7fff
	v_and_b32_e32 v73, 0xffff0000, v73
	v_mul_f32_e32 v77, v12, v77
	s_wait_alu 0xf1ff
	v_cndmask_b32_e64 v63, v106, v107, s4
	v_cmp_u_f32_e64 s4, v62, v62
	v_bfe_u32 v117, v57, 16, 1
	v_or_b32_e32 v118, 0x400000, v58
	v_add3_u32 v115, v115, v58, 0x7fff
	v_fmac_f32_e32 v77, v10, v73
	s_wait_alu 0xf1ff
	v_cndmask_b32_e64 v62, v108, v109, s4
	v_cmp_u_f32_e64 s4, v61, v61
	v_bfe_u32 v119, v56, 16, 1
	v_or_b32_e32 v120, 0x400000, v57
	v_add3_u32 v117, v117, v57, 0x7fff
	v_and_b32_e32 v71, 0xffff0000, v71
	s_wait_alu 0xf1ff
	v_cndmask_b32_e64 v61, v110, v111, s4
	v_cmp_u_f32_e64 s4, v60, v60
	v_fmac_f32_e32 v77, v14, v81
	v_bfe_u32 v121, v55, 16, 1
	v_or_b32_e32 v122, 0x400000, v56
	v_add3_u32 v119, v119, v56, 0x7fff
	s_wait_alu 0xf1ff
	v_cndmask_b32_e64 v60, v112, v114, s4
	v_cmp_u_f32_e64 s4, v59, v59
	v_and_b32_e32 v69, 0xffff0000, v69
	v_fmac_f32_e32 v77, v18, v71
	v_bfe_u32 v123, v54, 16, 1
	v_or_b32_e32 v124, 0x400000, v55
	s_wait_alu 0xf1ff
	v_cndmask_b32_e64 v59, v113, v116, s4
	v_cmp_u_f32_e64 s4, v58, v58
	v_add3_u32 v121, v121, v55, 0x7fff
	v_dual_fmac_f32 v77, v20, v69 :: v_dual_and_b32 v72, 0xffff0000, v72
	v_and_b32_e32 v67, 0xffff0000, v67
	s_wait_alu 0xf1ff
	v_cndmask_b32_e64 v58, v115, v118, s4
	v_cmp_u_f32_e64 s4, v57, v57
	v_lshrrev_b16 v48, 8, v48
	v_bfe_u32 v125, v53, 16, 1
	v_or_b32_e32 v126, 0x400000, v54
	v_add3_u32 v123, v123, v54, 0x7fff
	s_wait_alu 0xf1ff
	v_cndmask_b32_e64 v57, v117, v120, s4
	v_cmp_u_f32_e64 s4, v56, v56
	v_fmac_f32_e32 v79, v17, v72
	v_dual_fmac_f32 v77, v22, v67 :: v_dual_and_b32 v68, 0xffff0000, v68
	v_and_b32_e32 v70, 0xffff0000, v70
	s_wait_alu 0xf1ff
	v_cndmask_b32_e64 v56, v119, v122, s4
	v_cmp_u_f32_e64 s4, v55, v55
	v_and_b32_e32 v48, 0xffff, v48
	v_bfe_u32 v127, v52, 16, 1
	v_or_b32_e32 v88, 0x400000, v53
	v_add3_u32 v125, v125, v53, 0x7fff
	s_wait_alu 0xf1ff
	v_cndmask_b32_e64 v55, v121, v124, s4
	v_cmp_u_f32_e64 s4, v54, v54
	v_fmac_f32_e32 v79, v19, v70
	v_bfe_u32 v89, v51, 16, 1
	v_or_b32_e32 v90, 0x400000, v52
	v_add3_u32 v127, v127, v52, 0x7fff
	s_wait_alu 0xf1ff
	v_cndmask_b32_e64 v54, v123, v126, s4
	v_cmp_u_f32_e64 s4, v53, v53
	v_fmac_f32_e32 v79, v21, v68
	v_and_b32_e32 v65, 0xffff0000, v65
	v_and_b32_e32 v66, 0xffff0000, v66
	v_cvt_f32_fp8_e32 v48, v48
	s_wait_alu 0xf1ff
	v_cndmask_b32_e64 v53, v125, v88, s4
	v_cmp_u_f32_e64 s4, v52, v52
	v_bfe_u32 v91, v50, 16, 1
	v_or_b32_e32 v92, 0x400000, v51
	v_add3_u32 v89, v89, v51, 0x7fff
	v_dual_fmac_f32 v77, v24, v65 :: v_dual_and_b32 v64, 0xffff0000, v64
	v_fmac_f32_e32 v79, v23, v66
	s_wait_alu 0xf1ff
	v_cndmask_b32_e64 v52, v127, v90, s4
	v_cmp_u_f32_e64 s4, v51, v51
	v_mul_f32_e32 v48, s9, v48
	v_bfe_u32 v74, v49, 16, 1
	v_or_b32_e32 v76, 0x400000, v50
	v_add3_u32 v91, v91, v50, 0x7fff
	v_and_b32_e32 v63, 0xffff0000, v63
	v_dual_fmac_f32 v79, v25, v64 :: v_dual_and_b32 v62, 0xffff0000, v62
	s_wait_alu 0xf1ff
	v_cndmask_b32_e64 v51, v89, v92, s4
	v_cmp_u_f32_e64 s4, v50, v50
	v_bfe_u32 v78, v48, 16, 1
	v_or_b32_e32 v80, 0x400000, v49
	v_add3_u32 v74, v74, v49, 0x7fff
	v_and_b32_e32 v61, 0xffff0000, v61
	v_dual_fmac_f32 v77, v26, v63 :: v_dual_and_b32 v60, 0xffff0000, v60
	v_dual_fmac_f32 v79, v27, v62 :: v_dual_and_b32 v56, 0xffff0000, v56
	s_wait_alu 0xf1ff
	v_cndmask_b32_e64 v50, v91, v76, s4
	v_cmp_u_f32_e64 s4, v49, v49
	v_or_b32_e32 v82, 0x400000, v48
	v_add3_u32 v78, v78, v48, 0x7fff
	v_and_b32_e32 v59, 0xffff0000, v59
	v_dual_fmac_f32 v77, v28, v61 :: v_dual_and_b32 v58, 0xffff0000, v58
	v_dual_fmac_f32 v79, v29, v60 :: v_dual_and_b32 v54, 0xffff0000, v54
	s_wait_alu 0xf1ff
	v_cndmask_b32_e64 v49, v74, v80, s4
	v_cmp_u_f32_e64 s4, v48, v48
	v_and_b32_e32 v57, 0xffff0000, v57
	v_dual_fmac_f32 v77, v30, v59 :: v_dual_and_b32 v52, 0xffff0000, v52
	v_and_b32_e32 v55, 0xffff0000, v55
	s_wait_alu 0xf1ff
	v_cndmask_b32_e64 v48, v78, v82, s4
	v_fmac_f32_e32 v79, v31, v58
	v_dual_fmac_f32 v77, v32, v57 :: v_dual_and_b32 v50, 0xffff0000, v50
	v_and_b32_e32 v53, 0xffff0000, v53
	s_delay_alu instid0(VALU_DEP_4) | instskip(NEXT) | instid1(VALU_DEP_4)
	v_and_b32_e32 v48, 0xffff0000, v48
	v_fmac_f32_e32 v79, v33, v56
	s_delay_alu instid0(VALU_DEP_4) | instskip(SKIP_2) | instid1(VALU_DEP_4)
	v_fmac_f32_e32 v77, v34, v55
	v_and_b32_e32 v51, 0xffff0000, v51
	v_and_b32_e32 v49, 0xffff0000, v49
	v_fmac_f32_e32 v79, v35, v54
	s_delay_alu instid0(VALU_DEP_4) | instskip(NEXT) | instid1(VALU_DEP_2)
	v_fmac_f32_e32 v77, v36, v53
	v_fmac_f32_e32 v79, v37, v52
	s_delay_alu instid0(VALU_DEP_2) | instskip(NEXT) | instid1(VALU_DEP_2)
	v_fmac_f32_e32 v77, v38, v51
	v_fmac_f32_e32 v79, v39, v50
	s_delay_alu instid0(VALU_DEP_2) | instskip(NEXT) | instid1(VALU_DEP_2)
	v_fmac_f32_e32 v77, v41, v49
	v_fmac_f32_e32 v79, v42, v48
	s_delay_alu instid0(VALU_DEP_1)
	v_add_f32_e32 v48, v77, v79
	ds_bpermute_b32 v49, v43, v48
	s_wait_dscnt 0x0
	v_add_f32_e32 v48, v48, v49
	ds_bpermute_b32 v49, v44, v48
	s_and_saveexec_b32 s5, vcc_lo
	s_cbranch_execz .LBB327_9
; %bb.11:                               ;   in Loop: Header=BB327_10 Depth=1
	s_wait_dscnt 0x0
	v_add_f32_e32 v48, v48, v49
	v_add_nc_u32_e32 v50, s34, v45
	v_cmp_gt_i32_e64 s4, s27, v45
	s_delay_alu instid0(VALU_DEP_2) | instskip(NEXT) | instid1(VALU_DEP_1)
	v_cvt_f32_i32_e32 v50, v50
	v_mul_f32_e32 v50, s24, v50
	s_delay_alu instid0(VALU_DEP_1) | instskip(SKIP_1) | instid1(VALU_DEP_2)
	v_cndmask_b32_e64 v49, 0, v50, s3
	v_max_num_f32_e32 v50, v40, v40
	v_fmac_f32_e32 v49, s15, v48
	s_delay_alu instid0(VALU_DEP_1) | instskip(SKIP_2) | instid1(VALU_DEP_2)
	v_max_num_f32_e32 v48, v50, v49
	s_wait_alu 0xf1ff
	v_cndmask_b32_e64 v49, 0, v49, s4
	v_cndmask_b32_e64 v40, v40, v48, s4
	ds_store_b32 v46, v49
	s_branch .LBB327_9
.LBB327_12:
	s_or_b32 exec_lo, exec_lo, s14
.LBB327_13:
	s_delay_alu instid0(SALU_CYCLE_1)
	s_or_b32 exec_lo, exec_lo, s25
	v_xor_b32_e32 v1, 16, v7
	v_xor_b32_e32 v3, 8, v7
	;; [unrolled: 1-line block ×3, first 2 shown]
	s_load_b128 s[4:7], s[0:1], 0x0
	s_wait_kmcnt 0x0
	s_clause 0x1
	s_load_b64 s[8:9], s[0:1], 0x10
	s_load_b64 s[24:25], s[0:1], 0x28
	v_and_b32_e32 v17, 31, v0
	v_cmp_lt_i32_e32 vcc_lo, v1, v9
	s_wait_alu 0xfffd
	v_dual_max_num_f32 v4, v40, v40 :: v_dual_cndmask_b32 v1, v7, v1
	v_cmp_lt_i32_e32 vcc_lo, v3, v9
	s_wait_alu 0xfffd
	s_delay_alu instid0(VALU_DEP_2)
	v_dual_cndmask_b32 v3, v7, v3 :: v_dual_lshlrev_b32 v2, 2, v1
	v_cmp_lt_i32_e32 vcc_lo, v10, v9
	ds_bpermute_b32 v1, v2, v40
	s_wait_alu 0xfffd
	v_dual_cndmask_b32 v10, v7, v10 :: v_dual_lshlrev_b32 v3, 2, v3
	v_cmp_eq_u32_e32 vcc_lo, 0, v17
	s_delay_alu instid0(VALU_DEP_2) | instskip(SKIP_2) | instid1(VALU_DEP_1)
	v_lshlrev_b32_e32 v11, 2, v10
	s_wait_dscnt 0x0
	v_max_num_f32_e32 v1, v1, v1
	v_max_num_f32_e32 v1, v4, v1
	ds_bpermute_b32 v4, v3, v1
	s_wait_dscnt 0x0
	v_max_num_f32_e32 v4, v4, v4
	s_delay_alu instid0(VALU_DEP_1)
	v_dual_max_num_f32 v1, v1, v4 :: v_dual_lshlrev_b32 v4, 2, v15
	ds_bpermute_b32 v10, v11, v1
	s_and_saveexec_b32 s0, vcc_lo
	s_cbranch_execz .LBB327_15
; %bb.14:
	s_wait_dscnt 0x0
	v_dual_max_num_f32 v10, v10, v10 :: v_dual_max_num_f32 v1, v1, v1
	s_delay_alu instid0(VALU_DEP_1)
	v_max_num_f32_e32 v1, v1, v10
	ds_store_b32 v4, v1 offset:240
.LBB327_15:
	s_or_b32 exec_lo, exec_lo, s0
	v_cmp_gt_u32_e64 s0, 4, v17
	s_wait_dscnt 0x0
	v_dual_mov_b32 v1, 0xff7fffff :: v_dual_lshlrev_b32 v10, 2, v17
	s_wait_loadcnt 0x0
	s_barrier_signal -1
	s_barrier_wait -1
	global_inv scope:SCOPE_SE
	s_and_saveexec_b32 s1, s0
; %bb.16:
	ds_load_b32 v1, v10 offset:240
; %bb.17:
	s_or_b32 exec_lo, exec_lo, s1
	v_xor_b32_e32 v12, 2, v7
	v_xor_b32_e32 v14, 1, v7
	v_lshl_add_u32 v18, v0, 2, 0x110
	v_lshlrev_b32_e32 v8, 2, v8
	s_delay_alu instid0(VALU_DEP_4) | instskip(NEXT) | instid1(VALU_DEP_1)
	v_cmp_lt_i32_e64 s1, v12, v9
	v_cndmask_b32_e64 v12, v7, v12, s1
	v_cmp_lt_i32_e64 s1, v14, v9
	s_delay_alu instid0(VALU_DEP_2) | instskip(SKIP_1) | instid1(VALU_DEP_2)
	v_lshlrev_b32_e32 v12, 2, v12
	s_wait_alu 0xf1ff
	v_cndmask_b32_e64 v9, v7, v14, s1
	s_sub_co_i32 s1, s17, s33
	s_wait_alu 0xfffe
	s_lshl_b32 s1, s1, 3
	s_wait_dscnt 0x0
	ds_bpermute_b32 v13, v12, v1
	v_max_num_f32_e32 v1, v1, v1
	v_lshlrev_b32_e32 v9, 2, v9
	s_wait_alu 0xfffe
	s_add_co_i32 s1, s1, s28
	s_wait_alu 0xfffe
	s_min_i32 s1, s1, s27
	s_wait_alu 0xfffe
	s_sub_co_i32 s14, s1, s28
	s_wait_alu 0xfffe
	v_cmp_gt_i32_e64 s1, s14, v0
	s_wait_dscnt 0x0
	v_max_num_f32_e32 v13, v13, v13
	s_delay_alu instid0(VALU_DEP_1) | instskip(SKIP_3) | instid1(VALU_DEP_1)
	v_max_num_f32_e32 v1, v1, v13
	ds_bpermute_b32 v13, v9, v1
	s_wait_dscnt 0x0
	v_max_num_f32_e32 v13, v13, v13
	v_max_num_f32_e32 v1, v1, v13
	ds_bpermute_b32 v1, v8, v1
	v_mov_b32_e32 v8, 0
	s_and_saveexec_b32 s15, s1
	s_cbranch_execz .LBB327_21
; %bb.18:
	v_lshl_add_u32 v13, v0, 2, 0x110
	v_mov_b32_e32 v8, 0
	v_mov_b32_e32 v14, v0
	s_mov_b32 s23, 0
.LBB327_19:                             ; =>This Inner Loop Header: Depth=1
	ds_load_b32 v19, v13
	v_add_nc_u32_e32 v14, 0x80, v14
	s_delay_alu instid0(VALU_DEP_1) | instskip(SKIP_4) | instid1(VALU_DEP_1)
	v_cmp_le_i32_e64 s3, s14, v14
	s_wait_alu 0xfffe
	s_or_b32 s23, s3, s23
	s_wait_dscnt 0x0
	v_sub_f32_e32 v19, v19, v1
	v_mul_f32_e32 v19, 0x3fb8aa3b, v19
	s_delay_alu instid0(VALU_DEP_1)
	v_exp_f32_e32 v19, v19
	ds_store_b32 v13, v19
	v_dual_add_f32 v8, v8, v19 :: v_dual_add_nc_u32 v13, 0x200, v13
	s_wait_alu 0xfffe
	s_and_not1_b32 exec_lo, exec_lo, s23
	s_cbranch_execnz .LBB327_19
; %bb.20:
	s_or_b32 exec_lo, exec_lo, s23
.LBB327_21:
	s_wait_alu 0xfffe
	s_or_b32 exec_lo, exec_lo, s15
	ds_bpermute_b32 v2, v2, v8
	s_wait_dscnt 0x0
	v_add_f32_e32 v2, v8, v2
	ds_bpermute_b32 v3, v3, v2
	s_wait_dscnt 0x0
	v_add_f32_e32 v2, v2, v3
	;; [unrolled: 3-line block ×5, first 2 shown]
	s_and_saveexec_b32 s3, vcc_lo
; %bb.22:
	ds_store_b32 v4, v2 offset:256
; %bb.23:
	s_wait_alu 0xfffe
	s_or_b32 exec_lo, exec_lo, s3
	s_wait_loadcnt_dscnt 0x0
	s_barrier_signal -1
	s_barrier_wait -1
	global_inv scope:SCOPE_SE
	s_and_saveexec_b32 s3, s0
; %bb.24:
	ds_load_b32 v2, v10 offset:256
; %bb.25:
	s_wait_alu 0xfffe
	s_or_b32 exec_lo, exec_lo, s3
	s_wait_dscnt 0x0
	ds_bpermute_b32 v3, v12, v2
	v_lshlrev_b32_e32 v4, 2, v7
	s_wait_dscnt 0x0
	v_add_f32_e32 v2, v2, v3
	ds_bpermute_b32 v3, v9, v2
	s_wait_dscnt 0x0
	v_dual_add_f32 v2, v2, v3 :: v_dual_and_b32 v3, 0xffffff80, v4
	ds_bpermute_b32 v2, v3, v2
	s_and_saveexec_b32 s0, s1
	s_cbranch_execz .LBB327_28
; %bb.26:
	s_wait_dscnt 0x0
	v_add_f32_e32 v4, 0x358637bd, v2
	s_mov_b32 s1, 0
	s_delay_alu instid0(VALU_DEP_1) | instskip(NEXT) | instid1(VALU_DEP_1)
	v_div_scale_f32 v3, null, v4, v4, 1.0
	v_rcp_f32_e32 v7, v3
	s_delay_alu instid0(TRANS32_DEP_1) | instskip(NEXT) | instid1(VALU_DEP_1)
	v_fma_f32 v8, -v3, v7, 1.0
	v_fmac_f32_e32 v7, v8, v7
	v_div_scale_f32 v9, vcc_lo, 1.0, v4, 1.0
	s_delay_alu instid0(VALU_DEP_1) | instskip(NEXT) | instid1(VALU_DEP_1)
	v_mul_f32_e32 v8, v9, v7
	v_fma_f32 v10, -v3, v8, v9
	s_delay_alu instid0(VALU_DEP_1) | instskip(NEXT) | instid1(VALU_DEP_1)
	v_fmac_f32_e32 v8, v10, v7
	v_fma_f32 v3, -v3, v8, v9
	s_wait_alu 0xfffd
	s_delay_alu instid0(VALU_DEP_1) | instskip(SKIP_1) | instid1(VALU_DEP_2)
	v_div_fmas_f32 v7, v3, v7, v8
	v_mov_b32_e32 v3, v18
	v_div_fixup_f32 v4, v7, v4, 1.0
	v_mov_b32_e32 v7, v0
.LBB327_27:                             ; =>This Inner Loop Header: Depth=1
	ds_load_b32 v8, v3
	s_wait_dscnt 0x0
	v_dual_mul_f32 v8, v4, v8 :: v_dual_add_nc_u32 v7, 0x80, v7
	s_delay_alu instid0(VALU_DEP_1)
	v_cmp_le_i32_e32 vcc_lo, s14, v7
	ds_store_b32 v3, v8
	v_add_nc_u32_e32 v3, 0x200, v3
	s_wait_alu 0xfffe
	s_or_b32 s1, vcc_lo, s1
	s_wait_alu 0xfffe
	s_and_not1_b32 exec_lo, exec_lo, s1
	s_cbranch_execnz .LBB327_27
.LBB327_28:
	s_wait_alu 0xfffe
	s_or_b32 exec_lo, exec_lo, s0
	s_mul_i32 s0, s12, s29
	s_wait_loadcnt_dscnt 0x0
	s_wait_alu 0xfffe
	s_mul_i32 s14, s0, s30
	s_mov_b32 s0, exec_lo
	s_barrier_signal -1
	s_barrier_wait -1
	global_inv scope:SCOPE_SE
	v_cmpx_eq_u32_e32 0, v0
	s_cbranch_execz .LBB327_30
; %bb.29:
	s_wait_alu 0xfffe
	s_ashr_i32 s15, s14, 31
	s_mul_i32 s34, s12, ttmp9
	s_lshl_b32 s1, s26, 2
	s_wait_alu 0xfffe
	s_lshl_b64 s[36:37], s[14:15], 2
	s_ashr_i32 s35, s34, 31
	v_mov_b32_e32 v3, s1
	s_add_nc_u64 s[6:7], s[6:7], s[36:37]
	s_wait_alu 0xfffe
	s_lshl_b64 s[34:35], s[34:35], 2
	s_add_nc_u64 s[4:5], s[4:5], s[36:37]
	s_wait_alu 0xfffe
	s_add_nc_u64 s[6:7], s[6:7], s[34:35]
	s_add_nc_u64 s[4:5], s[4:5], s[34:35]
	s_clause 0x1
	global_store_b32 v3, v1, s[6:7]
	global_store_b32 v3, v2, s[4:5]
.LBB327_30:
	s_wait_alu 0xfffe
	s_or_b32 exec_lo, exec_lo, s0
	v_dual_mov_b32 v22, 0 :: v_dual_mov_b32 v21, 0
	v_dual_mov_b32 v20, 0 :: v_dual_mov_b32 v19, 0
	s_and_saveexec_b32 s4, s2
	s_cbranch_execz .LBB327_44
; %bb.31:
	s_load_b32 s6, s[10:11], 0x0
	s_lshl_b64 s[0:1], s[18:19], 2
	v_or_b32_e32 v1, 0x60, v17
	s_wait_alu 0xfffe
	s_add_nc_u64 s[0:1], s[20:21], s[0:1]
	v_dual_mov_b32 v20, 0 :: v_dual_lshlrev_b32 v23, 3, v17
	s_wait_alu 0xfffe
	v_add_co_u32 v9, s0, s0, v5
	v_dual_mov_b32 v19, 0 :: v_dual_lshlrev_b32 v24, 3, v1
	v_add3_u32 v25, s28, v6, 7
	v_lshl_add_u32 v26, v15, 5, 0x110
	s_wait_alu 0xf1ff
	v_add_co_ci_u32_e64 v10, null, s1, 0, s0
	v_dual_mov_b32 v21, 0 :: v_dual_mov_b32 v22, 0
	s_ashr_i32 s23, s22, 31
	s_mov_b32 s5, s13
	s_wait_kmcnt 0x0
	s_wait_alu 0xfffe
	s_add_nc_u64 s[2:3], s[24:25], s[22:23]
	s_add_co_i32 s31, s31, -1
	s_mov_b32 s7, 0
	v_cmp_gt_u32_e32 vcc_lo, 0x78, v1
	s_branch .LBB327_34
.LBB327_32:                             ;   in Loop: Header=BB327_34 Depth=1
	s_wait_alu 0xfffe
	s_or_b32 exec_lo, exec_lo, s1
	v_lshlrev_b32_e32 v8, 16, v8
	v_and_b32_e32 v53, 0xffff0000, v3
	v_lshlrev_b32_e32 v7, 16, v7
	v_lshlrev_b32_e32 v12, 16, v12
	;; [unrolled: 1-line block ×5, first 2 shown]
	s_delay_alu instid0(VALU_DEP_4) | instskip(SKIP_3) | instid1(VALU_DEP_4)
	v_dual_mul_f32 v12, v53, v12 :: v_dual_lshlrev_b32 v5, 16, v5
	v_lshlrev_b32_e32 v52, 16, v4
	v_and_b32_e32 v39, 0xffff0000, v4
	v_lshlrev_b32_e32 v6, 16, v6
	v_bfe_u32 v55, v12, 16, 1
	s_delay_alu instid0(VALU_DEP_3) | instskip(NEXT) | instid1(VALU_DEP_1)
	v_dual_mul_f32 v50, v52, v50 :: v_dual_mul_f32 v39, v39, v51
	v_or_b32_e32 v54, 0x400000, v50
	s_delay_alu instid0(VALU_DEP_2) | instskip(SKIP_2) | instid1(VALU_DEP_3)
	v_bfe_u32 v52, v39, 16, 1
	v_or_b32_e32 v53, 0x400000, v39
	v_cmp_u_f32_e64 s0, v39, v39
	v_add3_u32 v52, v52, v39, 0x7fff
	s_wait_alu 0xf1ff
	s_delay_alu instid0(VALU_DEP_1) | instskip(SKIP_3) | instid1(VALU_DEP_3)
	v_cndmask_b32_e64 v39, v52, v53, s0
	v_and_b32_e32 v52, 0xffff0000, v2
	v_cmp_u_f32_e64 s0, v50, v50
	v_or_b32_e32 v53, 0x400000, v12
	v_dual_mul_f32 v8, v52, v8 :: v_dual_and_b32 v39, 0xffff0000, v39
	v_lshlrev_b32_e32 v52, 16, v2
	s_delay_alu instid0(VALU_DEP_1) | instskip(NEXT) | instid1(VALU_DEP_1)
	v_dual_mul_f32 v7, v52, v7 :: v_dual_and_b32 v52, 0xffff0000, v1
	v_dual_mul_f32 v6, v52, v6 :: v_dual_lshlrev_b32 v51, 16, v3
	s_delay_alu instid0(VALU_DEP_1) | instskip(SKIP_2) | instid1(VALU_DEP_2)
	v_mul_f32_e32 v11, v51, v11
	v_bfe_u32 v51, v50, 16, 1
	v_or_b32_e32 v52, 0x400000, v8
	v_add3_u32 v51, v51, v50, 0x7fff
	s_wait_alu 0xf1ff
	s_delay_alu instid0(VALU_DEP_1)
	v_cndmask_b32_e64 v50, v51, v54, s0
	v_add3_u32 v51, v55, v12, 0x7fff
	v_bfe_u32 v54, v11, 16, 1
	v_cmp_u_f32_e64 s0, v12, v12
	v_lshlrev_b32_e32 v55, 16, v1
	s_wait_alu 0xf1ff
	s_delay_alu instid0(VALU_DEP_2)
	v_cndmask_b32_e64 v12, v51, v53, s0
	v_add3_u32 v51, v54, v11, 0x7fff
	v_or_b32_e32 v53, 0x400000, v11
	v_bfe_u32 v54, v8, 16, 1
	v_cmp_u_f32_e64 s0, v11, v11
	v_mul_f32_e32 v5, v55, v5
	v_bfe_u32 v55, v6, 16, 1
	s_wait_alu 0xf1ff
	s_delay_alu instid0(VALU_DEP_3)
	v_cndmask_b32_e64 v11, v51, v53, s0
	v_bfe_u32 v51, v7, 16, 1
	v_add3_u32 v53, v54, v8, 0x7fff
	v_cmp_u_f32_e64 s0, v8, v8
	v_or_b32_e32 v54, 0x400000, v7
	v_bfe_u32 v56, v5, 16, 1
	v_add3_u32 v51, v51, v7, 0x7fff
	v_and_b32_e32 v11, 0xffff0000, v11
	s_wait_alu 0xf1ff
	v_cndmask_b32_e64 v8, v53, v52, s0
	v_cmp_u_f32_e64 s0, v7, v7
	v_add3_u32 v52, v56, v5, 0x7fff
	v_or_b32_e32 v53, 0x400000, v5
	s_wait_alu 0xf1ff
	s_delay_alu instid0(VALU_DEP_3) | instskip(SKIP_3) | instid1(VALU_DEP_4)
	v_cndmask_b32_e64 v7, v51, v54, s0
	v_cmp_u_f32_e64 s0, v5, v5
	v_add3_u32 v51, v55, v6, 0x7fff
	v_or_b32_e32 v54, 0x400000, v6
	v_and_b32_e32 v7, 0xffff0000, v7
	s_wait_alu 0xf1ff
	v_cndmask_b32_e64 v5, v52, v53, s0
	v_cmp_u_f32_e64 s0, v6, v6
	s_delay_alu instid0(VALU_DEP_2) | instskip(SKIP_1) | instid1(VALU_DEP_2)
	v_and_b32_e32 v5, 0xffff0000, v5
	s_wait_alu 0xf1ff
	v_cndmask_b32_e64 v6, v51, v54, s0
	s_delay_alu instid0(VALU_DEP_1) | instskip(NEXT) | instid1(VALU_DEP_1)
	v_and_b32_e32 v6, 0xffff0000, v6
	v_dual_add_f32 v5, v5, v6 :: v_dual_and_b32 v12, 0xffff0000, v12
	v_and_b32_e32 v8, 0xffff0000, v8
	s_delay_alu instid0(VALU_DEP_2) | instskip(NEXT) | instid1(VALU_DEP_2)
	v_add_f32_e32 v11, v11, v12
	v_dual_add_f32 v7, v7, v8 :: v_dual_and_b32 v50, 0xffff0000, v50
	s_delay_alu instid0(VALU_DEP_1) | instskip(NEXT) | instid1(VALU_DEP_1)
	v_add_f32_e32 v39, v50, v39
	v_add_f32_e32 v11, v11, v39
	s_delay_alu instid0(VALU_DEP_1) | instskip(NEXT) | instid1(VALU_DEP_1)
	v_add_f32_e32 v7, v7, v11
	v_add_f32_e32 v5, v5, v7
	s_delay_alu instid0(VALU_DEP_1)
	v_add_f32_e32 v19, v19, v5
.LBB327_33:                             ;   in Loop: Header=BB327_34 Depth=1
	s_or_b32 exec_lo, exec_lo, s10
	v_lshlrev_b32_e32 v44, 16, v44
	v_lshlrev_b32_e32 v14, 16, v14
	v_and_b32_e32 v5, 0xffff0000, v4
	v_lshlrev_b32_e32 v40, 16, v40
	v_lshlrev_b32_e32 v13, 16, v13
	;; [unrolled: 1-line block ×3, first 2 shown]
	v_and_b32_e32 v46, 0xffff0000, v2
	v_lshlrev_b32_e32 v2, 16, v2
	v_lshlrev_b32_e32 v45, 16, v45
	v_and_b32_e32 v8, 0xffff0000, v3
	v_lshlrev_b32_e32 v3, 16, v3
	v_lshlrev_b32_e32 v7, 16, v48
	v_dual_mul_f32 v44, v2, v44 :: v_dual_lshlrev_b32 v11, 16, v47
	s_delay_alu instid0(VALU_DEP_3) | instskip(SKIP_1) | instid1(VALU_DEP_3)
	v_dual_mul_f32 v45, v46, v45 :: v_dual_mul_f32 v12, v3, v12
	v_lshlrev_b32_e32 v4, 16, v4
	v_bfe_u32 v51, v44, 16, 1
	s_delay_alu instid0(VALU_DEP_4) | instskip(NEXT) | instid1(VALU_DEP_4)
	v_dual_mul_f32 v11, v8, v11 :: v_dual_lshlrev_b32 v6, 16, v49
	v_or_b32_e32 v50, 0x400000, v45
	s_delay_alu instid0(VALU_DEP_4) | instskip(SKIP_1) | instid1(VALU_DEP_4)
	v_dual_mul_f32 v7, v4, v7 :: v_dual_lshlrev_b32 v38, 16, v38
	v_lshlrev_b32_e32 v36, 16, v36
	v_mul_f32_e32 v6, v5, v6
	v_lshlrev_b32_e32 v28, 16, v28
	s_delay_alu instid0(VALU_DEP_4)
	v_bfe_u32 v47, v7, 16, 1
	v_or_b32_e32 v49, 0x400000, v7
	v_lshlrev_b32_e32 v37, 16, v37
	v_bfe_u32 v39, v6, 16, 1
	v_or_b32_e32 v48, 0x400000, v6
	v_cmp_u_f32_e64 s0, v6, v6
	v_add3_u32 v47, v47, v7, 0x7fff
	v_lshlrev_b32_e32 v33, 16, v33
	v_add3_u32 v39, v39, v6, 0x7fff
	v_lshlrev_b32_e32 v32, 16, v32
	v_dual_mul_f32 v40, v3, v40 :: v_dual_lshlrev_b32 v27, 16, v27
	v_lshlrev_b32_e32 v29, 16, v29
	s_wait_alu 0xf1ff
	v_cndmask_b32_e64 v6, v39, v48, s0
	v_bfe_u32 v39, v11, 16, 1
	v_cmp_u_f32_e64 s0, v7, v7
	v_bfe_u32 v48, v12, 16, 1
	v_lshlrev_b32_e32 v30, 16, v30
	v_and_b32_e32 v6, 0xffff0000, v6
	v_add3_u32 v39, v39, v11, 0x7fff
	s_wait_alu 0xf1ff
	v_cndmask_b32_e64 v7, v47, v49, s0
	v_or_b32_e32 v47, 0x400000, v11
	v_cmp_u_f32_e64 s0, v11, v11
	v_bfe_u32 v49, v45, 16, 1
	v_lshlrev_b32_e32 v31, 16, v31
	v_and_b32_e32 v7, 0xffff0000, v7
	v_lshlrev_b32_e32 v35, 16, v35
	s_wait_alu 0xf1ff
	v_cndmask_b32_e64 v11, v39, v47, s0
	v_add3_u32 v39, v48, v12, 0x7fff
	v_or_b32_e32 v47, 0x400000, v12
	v_cmp_u_f32_e64 s0, v12, v12
	v_add3_u32 v48, v49, v45, 0x7fff
	v_dual_add_f32 v6, v7, v6 :: v_dual_and_b32 v11, 0xffff0000, v11
	v_add_nc_u32_e32 v16, 4, v16
	s_wait_alu 0xf1ff
	v_cndmask_b32_e64 v12, v39, v47, s0
	v_cmp_u_f32_e64 s0, v45, v45
	v_add3_u32 v45, v51, v44, 0x7fff
	v_or_b32_e32 v47, 0x400000, v44
	v_add_co_u32 v9, s1, v9, 16
	s_wait_alu 0xf1ff
	v_cndmask_b32_e64 v39, v48, v50, s0
	v_cmp_u_f32_e64 s0, v44, v44
	v_and_b32_e32 v12, 0xffff0000, v12
	v_add_nc_u32_e32 v25, 32, v25
	v_add_co_ci_u32_e64 v10, null, 0, v10, s1
	s_wait_alu 0xf1ff
	v_cndmask_b32_e64 v44, v45, v47, s0
	v_add_f32_e32 v7, v12, v11
	v_and_b32_e32 v49, 0xffff0000, v1
	v_dual_mul_f32 v30, v46, v30 :: v_dual_and_b32 v39, 0xffff0000, v39
	s_delay_alu instid0(VALU_DEP_3) | instskip(NEXT) | instid1(VALU_DEP_3)
	v_dual_add_f32 v6, v7, v6 :: v_dual_and_b32 v11, 0xffff0000, v44
	v_mul_f32_e32 v14, v49, v14
	v_dual_mul_f32 v28, v49, v28 :: v_dual_mul_f32 v3, v3, v31
	s_delay_alu instid0(VALU_DEP_3) | instskip(SKIP_1) | instid1(VALU_DEP_4)
	v_add_f32_e32 v11, v11, v39
	v_lshlrev_b32_e32 v1, 16, v1
	v_bfe_u32 v48, v14, 16, 1
	v_or_b32_e32 v47, 0x400000, v14
	v_cmp_u_f32_e64 s0, v14, v14
	s_delay_alu instid0(VALU_DEP_4) | instskip(NEXT) | instid1(VALU_DEP_4)
	v_dual_add_f32 v6, v11, v6 :: v_dual_mul_f32 v13, v1, v13
	v_add3_u32 v45, v48, v14, 0x7fff
	v_lshlrev_b32_e32 v34, 16, v34
	v_lshlrev_b32_e32 v12, 16, v43
	;; [unrolled: 1-line block ×3, first 2 shown]
	v_or_b32_e32 v44, 0x400000, v13
	s_wait_alu 0xf1ff
	v_cndmask_b32_e64 v14, v45, v47, s0
	v_bfe_u32 v45, v13, 16, 1
	v_mul_f32_e32 v7, v5, v12
	v_cmp_u_f32_e64 s0, v13, v13
	v_mul_f32_e32 v37, v2, v37
	v_mul_f32_e32 v2, v2, v29
	v_add3_u32 v43, v45, v13, 0x7fff
	v_lshlrev_b32_e32 v13, 16, v42
	v_bfe_u32 v39, v7, 16, 1
	v_or_b32_e32 v41, 0x400000, v7
	v_mul_f32_e32 v11, v8, v11
	s_wait_alu 0xf1ff
	v_cndmask_b32_e64 v12, v43, v44, s0
	v_mul_f32_e32 v13, v4, v13
	v_add3_u32 v39, v39, v7, 0x7fff
	v_cmp_u_f32_e64 s0, v7, v7
	v_or_b32_e32 v43, 0x400000, v11
	v_dual_mul_f32 v35, v1, v35 :: v_dual_and_b32 v12, 0xffff0000, v12
	v_bfe_u32 v42, v13, 16, 1
	s_wait_alu 0xf1ff
	v_cndmask_b32_e64 v7, v39, v41, s0
	v_bfe_u32 v39, v11, 16, 1
	v_cmp_u_f32_e64 s0, v13, v13
	v_mul_f32_e32 v1, v1, v27
	v_add3_u32 v41, v42, v13, 0x7fff
	v_or_b32_e32 v42, 0x400000, v13
	v_add3_u32 v39, v39, v11, 0x7fff
	v_and_b32_e32 v7, 0xffff0000, v7
	v_dual_mul_f32 v5, v5, v34 :: v_dual_mul_f32 v4, v4, v33
	s_wait_alu 0xf1ff
	v_cndmask_b32_e64 v13, v41, v42, s0
	v_bfe_u32 v41, v40, 16, 1
	v_cmp_u_f32_e64 s0, v11, v11
	v_or_b32_e32 v42, 0x400000, v40
	s_delay_alu instid0(VALU_DEP_4) | instskip(NEXT) | instid1(VALU_DEP_4)
	v_dual_mul_f32 v8, v8, v32 :: v_dual_and_b32 v13, 0xffff0000, v13
	v_add3_u32 v41, v41, v40, 0x7fff
	s_wait_alu 0xf1ff
	v_cndmask_b32_e64 v11, v39, v43, s0
	v_cmp_u_f32_e64 s0, v40, v40
	v_dual_add_f32 v7, v13, v7 :: v_dual_and_b32 v14, 0xffff0000, v14
	v_or_b32_e32 v32, 0x400000, v4
	s_delay_alu instid0(VALU_DEP_4)
	v_and_b32_e32 v11, 0xffff0000, v11
	s_wait_alu 0xf1ff
	v_cndmask_b32_e64 v40, v41, v42, s0
	v_bfe_u32 v41, v37, 16, 1
	v_or_b32_e32 v31, 0x400000, v8
	v_or_b32_e32 v27, 0x400000, v30
	v_add_nc_u32_e32 v26, 0x80, v26
	v_and_b32_e32 v40, 0xffff0000, v40
	s_delay_alu instid0(VALU_DEP_1) | instskip(NEXT) | instid1(VALU_DEP_1)
	v_dual_add_f32 v11, v40, v11 :: v_dual_mul_f32 v38, v46, v38
	v_add_f32_e32 v7, v11, v7
	s_delay_alu instid0(VALU_DEP_2) | instskip(SKIP_3) | instid1(VALU_DEP_4)
	v_bfe_u32 v39, v38, 16, 1
	v_or_b32_e32 v43, 0x400000, v38
	v_cmp_u_f32_e64 s0, v38, v38
	v_bfe_u32 v11, v5, 16, 1
	v_add3_u32 v39, v39, v38, 0x7fff
	s_delay_alu instid0(VALU_DEP_2) | instskip(SKIP_1) | instid1(VALU_DEP_2)
	v_add3_u32 v11, v11, v5, 0x7fff
	s_wait_alu 0xf1ff
	v_cndmask_b32_e64 v38, v39, v43, s0
	v_add3_u32 v39, v41, v37, 0x7fff
	v_or_b32_e32 v41, 0x400000, v37
	v_cmp_u_f32_e64 s0, v37, v37
	s_wait_alu 0xf1ff
	s_delay_alu instid0(VALU_DEP_1) | instskip(SKIP_2) | instid1(VALU_DEP_3)
	v_cndmask_b32_e64 v37, v39, v41, s0
	v_bfe_u32 v39, v35, 16, 1
	v_or_b32_e32 v41, 0x400000, v35
	v_and_b32_e32 v13, 0xffff0000, v37
	v_and_b32_e32 v37, 0xffff0000, v38
	s_delay_alu instid0(VALU_DEP_4) | instskip(NEXT) | instid1(VALU_DEP_2)
	v_add3_u32 v39, v39, v35, 0x7fff
	v_add_f32_e32 v13, v13, v37
	v_mul_f32_e32 v36, v49, v36
	s_delay_alu instid0(VALU_DEP_2) | instskip(NEXT) | instid1(VALU_DEP_2)
	v_add_f32_e32 v7, v13, v7
	v_bfe_u32 v42, v36, 16, 1
	v_or_b32_e32 v43, 0x400000, v36
	v_cmp_u_f32_e64 s0, v36, v36
	s_delay_alu instid0(VALU_DEP_3) | instskip(SKIP_1) | instid1(VALU_DEP_1)
	v_add3_u32 v42, v42, v36, 0x7fff
	s_wait_alu 0xf1ff
	v_cndmask_b32_e64 v36, v42, v43, s0
	v_cmp_u_f32_e64 s0, v35, v35
	v_bfe_u32 v35, v4, 16, 1
	s_wait_alu 0xf1ff
	s_delay_alu instid0(VALU_DEP_2) | instskip(SKIP_1) | instid1(VALU_DEP_2)
	v_cndmask_b32_e64 v34, v39, v41, s0
	v_cmp_u_f32_e64 s0, v5, v5
	v_and_b32_e32 v33, 0xffff0000, v34
	v_or_b32_e32 v34, 0x400000, v5
	s_wait_alu 0xf1ff
	s_delay_alu instid0(VALU_DEP_1) | instskip(SKIP_3) | instid1(VALU_DEP_4)
	v_cndmask_b32_e64 v5, v11, v34, s0
	v_add3_u32 v11, v35, v4, 0x7fff
	v_bfe_u32 v34, v8, 16, 1
	v_cmp_u_f32_e64 s0, v4, v4
	v_and_b32_e32 v5, 0xffff0000, v5
	s_wait_alu 0xf1ff
	s_delay_alu instid0(VALU_DEP_2)
	v_cndmask_b32_e64 v4, v11, v32, s0
	v_add3_u32 v11, v34, v8, 0x7fff
	v_bfe_u32 v32, v3, 16, 1
	v_cmp_u_f32_e64 s0, v8, v8
	v_bfe_u32 v34, v1, 16, 1
	v_and_b32_e32 v4, 0xffff0000, v4
	s_wait_alu 0xf1ff
	s_delay_alu instid0(VALU_DEP_3)
	v_cndmask_b32_e64 v8, v11, v31, s0
	v_add3_u32 v11, v32, v3, 0x7fff
	v_or_b32_e32 v31, 0x400000, v3
	v_bfe_u32 v32, v30, 16, 1
	v_cmp_u_f32_e64 s0, v3, v3
	v_and_b32_e32 v8, 0xffff0000, v8
	v_add_f32_e32 v4, v4, v5
	s_delay_alu instid0(VALU_DEP_4)
	v_add3_u32 v29, v32, v30, 0x7fff
	s_wait_alu 0xf1ff
	v_cndmask_b32_e64 v3, v11, v31, s0
	v_bfe_u32 v11, v2, 16, 1
	v_cmp_u_f32_e64 s0, v30, v30
	v_or_b32_e32 v31, 0x400000, v2
	v_bfe_u32 v32, v28, 16, 1
	v_or_b32_e32 v30, 0x400000, v1
	v_add3_u32 v11, v11, v2, 0x7fff
	s_wait_alu 0xf1ff
	v_cndmask_b32_e64 v27, v29, v27, s0
	v_cmp_u_f32_e64 s0, v2, v2
	v_add3_u32 v29, v34, v1, 0x7fff
	v_and_b32_e32 v3, 0xffff0000, v3
	s_delay_alu instid0(VALU_DEP_4)
	v_and_b32_e32 v5, 0xffff0000, v27
	s_wait_alu 0xf1ff
	v_cndmask_b32_e64 v2, v11, v31, s0
	v_cmp_u_f32_e64 s0, v1, v1
	v_add3_u32 v11, v32, v28, 0x7fff
	v_or_b32_e32 v31, 0x400000, v28
	s_delay_alu instid0(VALU_DEP_4) | instskip(SKIP_3) | instid1(VALU_DEP_3)
	v_dual_add_f32 v3, v3, v8 :: v_dual_and_b32 v2, 0xffff0000, v2
	s_wait_alu 0xf1ff
	v_cndmask_b32_e64 v1, v29, v30, s0
	v_cmp_u_f32_e64 s0, v28, v28
	v_dual_add_f32 v3, v3, v4 :: v_dual_add_f32 v2, v2, v5
	s_delay_alu instid0(VALU_DEP_3) | instskip(SKIP_1) | instid1(VALU_DEP_3)
	v_and_b32_e32 v1, 0xffff0000, v1
	s_wait_alu 0xf1ff
	v_cndmask_b32_e64 v8, v11, v31, s0
	v_and_b32_e32 v11, 0xffff0000, v36
	v_dual_add_f32 v5, v12, v14 :: v_dual_add_f32 v2, v2, v3
	v_cmp_le_i32_e64 s0, s17, v16
	s_delay_alu instid0(VALU_DEP_4) | instskip(NEXT) | instid1(VALU_DEP_4)
	v_and_b32_e32 v4, 0xffff0000, v8
	v_add_f32_e32 v8, v33, v11
	s_delay_alu instid0(VALU_DEP_4) | instskip(SKIP_1) | instid1(VALU_DEP_2)
	v_add_f32_e32 v3, v5, v6
	s_or_b32 s7, s0, s7
	v_dual_add_f32 v1, v1, v4 :: v_dual_add_f32 v4, v8, v7
	s_delay_alu instid0(VALU_DEP_1) | instskip(NEXT) | instid1(VALU_DEP_1)
	v_dual_add_f32 v20, v20, v3 :: v_dual_add_f32 v1, v1, v2
	v_dual_add_f32 v21, v21, v4 :: v_dual_add_f32 v22, v22, v1
	s_wait_alu 0xfffe
	s_and_not1_b32 exec_lo, exec_lo, s7
	s_cbranch_execz .LBB327_43
.LBB327_34:                             ; =>This Inner Loop Header: Depth=1
	global_load_b32 v1, v[9:10], off
	s_wait_loadcnt 0x0
	s_wait_alu 0xfffe
	v_mad_co_i64_i32 v[11:12], null, v1, s5, s[2:3]
	s_delay_alu instid0(VALU_DEP_1) | instskip(SKIP_1) | instid1(VALU_DEP_2)
	v_add_co_u32 v13, s0, v11, v23
	s_wait_alu 0xf1ff
	v_add_co_ci_u32_e64 v14, null, 0, v12, s0
	v_cmp_eq_u32_e64 s0, s31, v16
	global_load_b64 v[27:28], v[13:14], off
	ds_load_2addr_b64 v[5:8], v26 offset1:1
	ds_load_2addr_b64 v[1:4], v26 offset0:2 offset1:3
	s_wait_loadcnt 0x0
	v_and_b32_e32 v32, 0xff, v28
	v_bfe_u32 v30, v27, 8, 8
	v_bfe_u32 v31, v27, 16, 8
	;; [unrolled: 1-line block ×4, first 2 shown]
	v_cvt_f32_fp8_e32 v32, v32
	v_and_b32_e32 v29, 0xff, v27
	v_cvt_f32_fp8_e32 v30, v30
	v_add_nc_u32_e32 v39, -7, v25
	v_lshrrev_b32_e32 v27, 24, v27
	v_mul_f32_e32 v32, s6, v32
	v_cvt_f32_fp8_e32 v29, v29
	v_cvt_f32_fp8_e32 v31, v31
	v_mul_f32_e32 v30, s6, v30
	v_lshrrev_b32_e32 v28, 24, v28
	v_cvt_f32_fp8_e32 v27, v27
	v_mul_f32_e32 v29, s6, v29
	v_cvt_f32_fp8_e32 v34, v34
	v_mul_f32_e32 v31, s6, v31
	v_bfe_u32 v37, v30, 16, 1
	v_cvt_f32_fp8_e32 v28, v28
	v_bfe_u32 v35, v29, 16, 1
	v_or_b32_e32 v36, 0x400000, v29
	v_cmp_u_f32_e64 s1, v29, v29
	s_delay_alu instid0(VALU_DEP_4) | instskip(NEXT) | instid1(VALU_DEP_4)
	v_dual_mul_f32 v27, s6, v27 :: v_dual_mul_f32 v28, s6, v28
	v_add3_u32 v35, v35, v29, 0x7fff
	v_mul_f32_e32 v34, s6, v34
	v_or_b32_e32 v38, 0x400000, v30
	v_bfe_u32 v40, v31, 16, 1
	v_add3_u32 v37, v37, v30, 0x7fff
	s_wait_alu 0xf1ff
	v_cndmask_b32_e64 v29, v35, v36, s1
	v_cmp_u_f32_e64 s1, v30, v30
	v_cvt_f32_fp8_e32 v33, v33
	v_or_b32_e32 v41, 0x400000, v31
	v_bfe_u32 v42, v27, 16, 1
	v_add3_u32 v40, v40, v31, 0x7fff
	s_wait_alu 0xf1ff
	v_cndmask_b32_e64 v30, v37, v38, s1
	v_cmp_u_f32_e64 s1, v31, v31
	v_mul_f32_e32 v33, s6, v33
	v_or_b32_e32 v43, 0x400000, v27
	v_bfe_u32 v44, v32, 16, 1
	v_add3_u32 v42, v42, v27, 0x7fff
	s_wait_alu 0xf1ff
	v_cndmask_b32_e64 v31, v40, v41, s1
	v_cmp_u_f32_e64 s1, v27, v27
	v_or_b32_e32 v45, 0x400000, v32
	v_bfe_u32 v46, v33, 16, 1
	v_add3_u32 v44, v44, v32, 0x7fff
	v_or_b32_e32 v47, 0x400000, v33
	s_wait_alu 0xf1ff
	v_cndmask_b32_e64 v27, v42, v43, s1
	v_cmp_u_f32_e64 s1, v32, v32
	v_bfe_u32 v48, v34, 16, 1
	v_add3_u32 v46, v46, v33, 0x7fff
	v_or_b32_e32 v49, 0x400000, v34
	v_bfe_u32 v50, v28, 16, 1
	s_wait_alu 0xf1ff
	v_cndmask_b32_e64 v35, v44, v45, s1
	v_cmp_u_f32_e64 s1, v33, v33
	v_add3_u32 v48, v48, v34, 0x7fff
	v_or_b32_e32 v51, 0x400000, v28
	v_add3_u32 v50, v50, v28, 0x7fff
	v_lshrrev_b32_e32 v33, 16, v29
	s_wait_alu 0xf1ff
	v_cndmask_b32_e64 v36, v46, v47, s1
	v_cmp_u_f32_e64 s1, v34, v34
	v_lshrrev_b32_e32 v34, 16, v30
	v_lshrrev_b32_e32 v31, 16, v31
	v_lshrrev_b32_e32 v32, 16, v27
	v_lshrrev_b32_e32 v29, 16, v35
	s_wait_alu 0xf1ff
	v_cndmask_b32_e64 v37, v48, v49, s1
	v_cmp_u_f32_e64 s1, v28, v28
	v_lshrrev_b32_e32 v30, 16, v36
	s_delay_alu instid0(VALU_DEP_3) | instskip(SKIP_1) | instid1(VALU_DEP_3)
	v_lshrrev_b32_e32 v27, 16, v37
	s_wait_alu 0xf1ff
	v_cndmask_b32_e64 v28, v50, v51, s1
	s_delay_alu instid0(VALU_DEP_1)
	v_lshrrev_b32_e32 v28, 16, v28
	s_and_saveexec_b32 s10, s0
	s_cbranch_execz .LBB327_36
; %bb.35:                               ;   in Loop: Header=BB327_34 Depth=1
	v_add_nc_u32_e32 v35, -6, v25
	v_cmp_gt_i32_e64 s1, s27, v39
	v_add_nc_u32_e32 v36, -5, v25
	v_add_nc_u32_e32 v37, -2, v25
	s_wait_alu 0xf1ff
	s_delay_alu instid0(VALU_DEP_3) | instskip(SKIP_3) | instid1(VALU_DEP_2)
	v_cndmask_b32_e64 v33, 0, v33, s1
	v_cmp_gt_i32_e64 s1, s27, v35
	v_add_nc_u32_e32 v35, -4, v25
	s_wait_alu 0xf1ff
	v_cndmask_b32_e64 v34, 0, v34, s1
	v_cmp_gt_i32_e64 s1, s27, v36
	v_add_nc_u32_e32 v36, -3, v25
	s_wait_alu 0xf1ff
	s_delay_alu instid0(VALU_DEP_2) | instskip(SKIP_3) | instid1(VALU_DEP_2)
	v_cndmask_b32_e64 v31, 0, v31, s1
	v_cmp_gt_i32_e64 s1, s27, v35
	v_add_nc_u32_e32 v35, -1, v25
	s_wait_alu 0xf1ff
	v_cndmask_b32_e64 v32, 0, v32, s1
	v_cmp_gt_i32_e64 s1, s27, v36
	s_wait_alu 0xf1ff
	s_delay_alu instid0(VALU_DEP_1) | instskip(SKIP_2) | instid1(VALU_DEP_1)
	v_cndmask_b32_e64 v29, 0, v29, s1
	v_cmp_gt_i32_e64 s1, s27, v37
	s_wait_alu 0xf1ff
	v_cndmask_b32_e64 v30, 0, v30, s1
	v_cmp_gt_i32_e64 s1, s27, v35
	s_wait_alu 0xf1ff
	s_delay_alu instid0(VALU_DEP_1) | instskip(SKIP_2) | instid1(VALU_DEP_1)
	v_cndmask_b32_e64 v27, 0, v27, s1
	v_cmp_gt_i32_e64 s1, s27, v25
	s_wait_alu 0xf1ff
	v_cndmask_b32_e64 v28, 0, v28, s1
.LBB327_36:                             ;   in Loop: Header=BB327_34 Depth=1
	s_or_b32 exec_lo, exec_lo, s10
	global_load_b64 v[35:36], v[13:14], off offset:256
	s_wait_loadcnt 0x0
	v_bfe_u32 v38, v35, 8, 8
	v_bfe_u32 v40, v35, 16, 8
	;; [unrolled: 1-line block ×4, first 2 shown]
	s_delay_alu instid0(VALU_DEP_4)
	v_cvt_f32_fp8_e32 v38, v38
	v_and_b32_e32 v37, 0xff, v35
	v_cvt_f32_fp8_e32 v40, v40
	v_lshrrev_b32_e32 v35, 24, v35
	v_cvt_f32_fp8_e32 v42, v42
	v_mul_f32_e32 v38, s6, v38
	v_cvt_f32_fp8_e32 v37, v37
	v_and_b32_e32 v41, 0xff, v36
	v_lshrrev_b32_e32 v36, 24, v36
	v_cvt_f32_fp8_e32 v35, v35
	s_delay_alu instid0(VALU_DEP_4) | instskip(SKIP_1) | instid1(VALU_DEP_4)
	v_dual_mul_f32 v40, s6, v40 :: v_dual_mul_f32 v37, s6, v37
	v_bfe_u32 v46, v38, 16, 1
	v_cvt_f32_fp8_e32 v36, v36
	s_delay_alu instid0(VALU_DEP_4) | instskip(NEXT) | instid1(VALU_DEP_4)
	v_dual_mul_f32 v35, s6, v35 :: v_dual_mul_f32 v42, s6, v42
	v_bfe_u32 v44, v37, 16, 1
	v_or_b32_e32 v45, 0x400000, v37
	v_cmp_u_f32_e64 s1, v37, v37
	v_cvt_f32_fp8_e32 v41, v41
	v_or_b32_e32 v47, 0x400000, v38
	v_add3_u32 v44, v44, v37, 0x7fff
	v_bfe_u32 v48, v40, 16, 1
	v_add3_u32 v46, v46, v38, 0x7fff
	v_dual_mul_f32 v41, s6, v41 :: v_dual_mul_f32 v36, s6, v36
	s_wait_alu 0xf1ff
	v_cndmask_b32_e64 v37, v44, v45, s1
	v_cmp_u_f32_e64 s1, v38, v38
	v_or_b32_e32 v49, 0x400000, v40
	v_bfe_u32 v50, v35, 16, 1
	v_add3_u32 v48, v48, v40, 0x7fff
	v_cvt_f32_fp8_e32 v43, v43
	s_wait_alu 0xf1ff
	v_cndmask_b32_e64 v38, v46, v47, s1
	v_cmp_u_f32_e64 s1, v40, v40
	v_or_b32_e32 v51, 0x400000, v35
	v_bfe_u32 v52, v41, 16, 1
	v_add3_u32 v50, v50, v35, 0x7fff
	v_mul_f32_e32 v43, s6, v43
	s_wait_alu 0xf1ff
	v_cndmask_b32_e64 v40, v48, v49, s1
	v_cmp_u_f32_e64 s1, v35, v35
	v_or_b32_e32 v53, 0x400000, v41
	v_bfe_u32 v54, v42, 16, 1
	v_add3_u32 v52, v52, v41, 0x7fff
	v_or_b32_e32 v55, 0x400000, v42
	s_wait_alu 0xf1ff
	v_cndmask_b32_e64 v35, v50, v51, s1
	v_cmp_u_f32_e64 s1, v41, v41
	v_bfe_u32 v56, v43, 16, 1
	v_add3_u32 v54, v54, v42, 0x7fff
	v_or_b32_e32 v57, 0x400000, v43
	v_bfe_u32 v58, v36, 16, 1
	s_wait_alu 0xf1ff
	v_cndmask_b32_e64 v44, v52, v53, s1
	v_cmp_u_f32_e64 s1, v42, v42
	v_add3_u32 v56, v56, v43, 0x7fff
	v_or_b32_e32 v59, 0x400000, v36
	v_add3_u32 v58, v58, v36, 0x7fff
	v_lshrrev_b32_e32 v42, 16, v37
	s_wait_alu 0xf1ff
	v_cndmask_b32_e64 v45, v54, v55, s1
	v_cmp_u_f32_e64 s1, v43, v43
	v_lshrrev_b32_e32 v43, 16, v38
	v_lshrrev_b32_e32 v40, 16, v40
	;; [unrolled: 1-line block ×4, first 2 shown]
	s_wait_alu 0xf1ff
	v_cndmask_b32_e64 v46, v56, v57, s1
	v_cmp_u_f32_e64 s1, v36, v36
	v_lshrrev_b32_e32 v38, 16, v45
	s_delay_alu instid0(VALU_DEP_3) | instskip(SKIP_1) | instid1(VALU_DEP_3)
	v_lshrrev_b32_e32 v35, 16, v46
	s_wait_alu 0xf1ff
	v_cndmask_b32_e64 v36, v58, v59, s1
	s_delay_alu instid0(VALU_DEP_1)
	v_lshrrev_b32_e32 v36, 16, v36
	s_and_saveexec_b32 s10, s0
	s_cbranch_execz .LBB327_38
; %bb.37:                               ;   in Loop: Header=BB327_34 Depth=1
	v_add_nc_u32_e32 v44, -6, v25
	v_cmp_gt_i32_e64 s1, s27, v39
	v_add_nc_u32_e32 v45, -5, v25
	v_add_nc_u32_e32 v46, -2, v25
	s_wait_alu 0xf1ff
	s_delay_alu instid0(VALU_DEP_3) | instskip(SKIP_3) | instid1(VALU_DEP_2)
	v_cndmask_b32_e64 v42, 0, v42, s1
	v_cmp_gt_i32_e64 s1, s27, v44
	v_add_nc_u32_e32 v44, -4, v25
	s_wait_alu 0xf1ff
	v_cndmask_b32_e64 v43, 0, v43, s1
	v_cmp_gt_i32_e64 s1, s27, v45
	v_add_nc_u32_e32 v45, -3, v25
	s_wait_alu 0xf1ff
	s_delay_alu instid0(VALU_DEP_2) | instskip(SKIP_3) | instid1(VALU_DEP_2)
	v_cndmask_b32_e64 v40, 0, v40, s1
	v_cmp_gt_i32_e64 s1, s27, v44
	v_add_nc_u32_e32 v44, -1, v25
	s_wait_alu 0xf1ff
	v_cndmask_b32_e64 v41, 0, v41, s1
	v_cmp_gt_i32_e64 s1, s27, v45
	s_wait_alu 0xf1ff
	s_delay_alu instid0(VALU_DEP_1) | instskip(SKIP_2) | instid1(VALU_DEP_1)
	v_cndmask_b32_e64 v37, 0, v37, s1
	v_cmp_gt_i32_e64 s1, s27, v46
	s_wait_alu 0xf1ff
	v_cndmask_b32_e64 v38, 0, v38, s1
	v_cmp_gt_i32_e64 s1, s27, v44
	s_wait_alu 0xf1ff
	s_delay_alu instid0(VALU_DEP_1) | instskip(SKIP_2) | instid1(VALU_DEP_1)
	v_cndmask_b32_e64 v35, 0, v35, s1
	v_cmp_gt_i32_e64 s1, s27, v25
	s_wait_alu 0xf1ff
	v_cndmask_b32_e64 v36, 0, v36, s1
.LBB327_38:                             ;   in Loop: Header=BB327_34 Depth=1
	s_or_b32 exec_lo, exec_lo, s10
	global_load_b64 v[13:14], v[13:14], off offset:512
	s_wait_loadcnt 0x0
	v_and_b32_e32 v47, 0xff, v14
	v_bfe_u32 v45, v13, 8, 8
	v_bfe_u32 v46, v13, 16, 8
	;; [unrolled: 1-line block ×4, first 2 shown]
	v_cvt_f32_fp8_e32 v47, v47
	v_and_b32_e32 v44, 0xff, v13
	v_cvt_f32_fp8_e32 v45, v45
	v_lshrrev_b32_e32 v13, 24, v13
	v_cvt_f32_fp8_e32 v46, v46
	v_mul_f32_e32 v47, s6, v47
	v_cvt_f32_fp8_e32 v44, v44
	v_mul_f32_e32 v45, s6, v45
	;; [unrolled: 2-line block ×4, first 2 shown]
	v_bfe_u32 v52, v45, 16, 1
	v_mul_f32_e32 v13, s6, v13
	v_or_b32_e32 v53, 0x400000, v45
	v_bfe_u32 v54, v46, 16, 1
	v_bfe_u32 v50, v44, 16, 1
	v_or_b32_e32 v51, 0x400000, v44
	v_cmp_u_f32_e64 s1, v44, v44
	v_add3_u32 v52, v52, v45, 0x7fff
	v_mul_f32_e32 v48, s6, v48
	v_add3_u32 v50, v50, v44, 0x7fff
	v_or_b32_e32 v55, 0x400000, v46
	v_bfe_u32 v56, v13, 16, 1
	v_add3_u32 v54, v54, v46, 0x7fff
	v_lshrrev_b32_e32 v14, 24, v14
	s_wait_alu 0xf1ff
	v_cndmask_b32_e64 v44, v50, v51, s1
	v_cmp_u_f32_e64 s1, v45, v45
	v_cvt_f32_fp8_e32 v49, v49
	v_or_b32_e32 v57, 0x400000, v13
	v_bfe_u32 v58, v47, 16, 1
	v_add3_u32 v56, v56, v13, 0x7fff
	s_wait_alu 0xf1ff
	v_cndmask_b32_e64 v45, v52, v53, s1
	v_cmp_u_f32_e64 s1, v46, v46
	v_cvt_f32_fp8_e32 v14, v14
	v_mul_f32_e32 v49, s6, v49
	v_or_b32_e32 v59, 0x400000, v47
	v_bfe_u32 v60, v48, 16, 1
	s_wait_alu 0xf1ff
	v_cndmask_b32_e64 v46, v54, v55, s1
	v_cmp_u_f32_e64 s1, v13, v13
	v_add3_u32 v58, v58, v47, 0x7fff
	v_mul_f32_e32 v14, s6, v14
	v_or_b32_e32 v61, 0x400000, v48
	v_bfe_u32 v62, v49, 16, 1
	s_wait_alu 0xf1ff
	v_cndmask_b32_e64 v13, v56, v57, s1
	v_cmp_u_f32_e64 s1, v47, v47
	v_add3_u32 v60, v60, v48, 0x7fff
	v_or_b32_e32 v63, 0x400000, v49
	v_bfe_u32 v64, v14, 16, 1
	v_add3_u32 v62, v62, v49, 0x7fff
	s_wait_alu 0xf1ff
	v_cndmask_b32_e64 v50, v58, v59, s1
	v_cmp_u_f32_e64 s1, v48, v48
	v_or_b32_e32 v65, 0x400000, v14
	v_add3_u32 v64, v64, v14, 0x7fff
	v_lshrrev_b32_e32 v48, 16, v44
	v_lshrrev_b32_e32 v46, 16, v46
	s_wait_alu 0xf1ff
	v_cndmask_b32_e64 v51, v60, v61, s1
	v_cmp_u_f32_e64 s1, v49, v49
	v_lshrrev_b32_e32 v49, 16, v45
	v_lshrrev_b32_e32 v47, 16, v13
	;; [unrolled: 1-line block ×4, first 2 shown]
	s_wait_alu 0xf1ff
	v_cndmask_b32_e64 v52, v62, v63, s1
	v_cmp_u_f32_e64 s1, v14, v14
	s_delay_alu instid0(VALU_DEP_2) | instskip(SKIP_1) | instid1(VALU_DEP_2)
	v_lshrrev_b32_e32 v13, 16, v52
	s_wait_alu 0xf1ff
	v_cndmask_b32_e64 v14, v64, v65, s1
	s_delay_alu instid0(VALU_DEP_1)
	v_lshrrev_b32_e32 v14, 16, v14
	s_and_saveexec_b32 s10, s0
	s_cbranch_execz .LBB327_40
; %bb.39:                               ;   in Loop: Header=BB327_34 Depth=1
	v_add_nc_u32_e32 v50, -6, v25
	v_cmp_gt_i32_e64 s1, s27, v39
	v_add_nc_u32_e32 v51, -5, v25
	v_add_nc_u32_e32 v52, -2, v25
	s_wait_alu 0xf1ff
	s_delay_alu instid0(VALU_DEP_3) | instskip(SKIP_3) | instid1(VALU_DEP_2)
	v_cndmask_b32_e64 v48, 0, v48, s1
	v_cmp_gt_i32_e64 s1, s27, v50
	v_add_nc_u32_e32 v50, -4, v25
	s_wait_alu 0xf1ff
	v_cndmask_b32_e64 v49, 0, v49, s1
	v_cmp_gt_i32_e64 s1, s27, v51
	v_add_nc_u32_e32 v51, -3, v25
	s_wait_alu 0xf1ff
	s_delay_alu instid0(VALU_DEP_2) | instskip(SKIP_3) | instid1(VALU_DEP_2)
	v_cndmask_b32_e64 v46, 0, v46, s1
	v_cmp_gt_i32_e64 s1, s27, v50
	v_add_nc_u32_e32 v50, -1, v25
	s_wait_alu 0xf1ff
	v_cndmask_b32_e64 v47, 0, v47, s1
	v_cmp_gt_i32_e64 s1, s27, v51
	s_wait_alu 0xf1ff
	s_delay_alu instid0(VALU_DEP_1) | instskip(SKIP_2) | instid1(VALU_DEP_1)
	v_cndmask_b32_e64 v44, 0, v44, s1
	v_cmp_gt_i32_e64 s1, s27, v52
	s_wait_alu 0xf1ff
	v_cndmask_b32_e64 v45, 0, v45, s1
	v_cmp_gt_i32_e64 s1, s27, v50
	s_wait_alu 0xf1ff
	s_delay_alu instid0(VALU_DEP_1) | instskip(SKIP_2) | instid1(VALU_DEP_1)
	v_cndmask_b32_e64 v13, 0, v13, s1
	v_cmp_gt_i32_e64 s1, s27, v25
	s_wait_alu 0xf1ff
	v_cndmask_b32_e64 v14, 0, v14, s1
.LBB327_40:                             ;   in Loop: Header=BB327_34 Depth=1
	s_or_b32 exec_lo, exec_lo, s10
	s_wait_dscnt 0x1
	v_bfe_u32 v50, v5, 16, 1
	v_bfe_u32 v51, v6, 16, 1
	v_or_b32_e32 v52, 0x400000, v5
	v_cmp_u_f32_e64 s1, v5, v5
	v_or_b32_e32 v53, 0x400000, v6
	v_add3_u32 v50, v50, v5, 0x7fff
	v_bfe_u32 v54, v7, 16, 1
	v_add3_u32 v51, v51, v6, 0x7fff
	v_bfe_u32 v55, v8, 16, 1
	s_wait_alu 0xf1ff
	v_cndmask_b32_e64 v5, v50, v52, s1
	v_cmp_u_f32_e64 s1, v6, v6
	v_add3_u32 v50, v54, v7, 0x7fff
	s_wait_dscnt 0x0
	v_bfe_u32 v52, v1, 16, 1
	v_or_b32_e32 v54, 0x400000, v8
	s_wait_alu 0xf1ff
	v_cndmask_b32_e64 v6, v51, v53, s1
	v_or_b32_e32 v51, 0x400000, v7
	v_cmp_u_f32_e64 s1, v7, v7
	v_add3_u32 v53, v55, v8, 0x7fff
	v_or_b32_e32 v55, 0x400000, v4
	s_wait_alu 0xf1ff
	s_delay_alu instid0(VALU_DEP_3)
	v_cndmask_b32_e64 v7, v50, v51, s1
	v_cmp_u_f32_e64 s1, v8, v8
	v_add3_u32 v50, v52, v1, 0x7fff
	v_or_b32_e32 v51, 0x400000, v1
	v_bfe_u32 v52, v2, 16, 1
	s_wait_alu 0xf1ff
	v_cndmask_b32_e64 v8, v53, v54, s1
	v_cmp_u_f32_e64 s1, v1, v1
	v_bfe_u32 v53, v3, 16, 1
	v_or_b32_e32 v54, 0x400000, v3
	s_wait_alu 0xf1ff
	s_delay_alu instid0(VALU_DEP_3)
	v_cndmask_b32_e64 v1, v50, v51, s1
	v_add3_u32 v51, v52, v2, 0x7fff
	v_or_b32_e32 v52, 0x400000, v2
	v_cmp_u_f32_e64 s1, v2, v2
	v_bfe_u32 v50, v4, 16, 1
	v_add3_u32 v53, v53, v3, 0x7fff
	s_wait_alu 0xf1ff
	s_delay_alu instid0(VALU_DEP_3) | instskip(SKIP_3) | instid1(VALU_DEP_4)
	v_cndmask_b32_e64 v2, v51, v52, s1
	v_cmp_u_f32_e64 s1, v3, v3
	v_add3_u32 v50, v50, v4, 0x7fff
	v_perm_b32 v3, v8, v7, 0x7060302
	v_perm_b32 v2, v2, v1, 0x7060302
	s_wait_alu 0xf1ff
	v_cndmask_b32_e64 v51, v53, v54, s1
	v_cmp_u_f32_e64 s1, v4, v4
	v_perm_b32 v4, v6, v5, 0x7060302
	s_wait_alu 0xf1ff
	s_delay_alu instid0(VALU_DEP_2) | instskip(NEXT) | instid1(VALU_DEP_1)
	v_cndmask_b32_e64 v50, v50, v55, s1
	v_perm_b32 v1, v50, v51, 0x7060302
	s_and_saveexec_b32 s10, vcc_lo
	s_cbranch_execz .LBB327_33
; %bb.41:                               ;   in Loop: Header=BB327_34 Depth=1
	v_add_co_u32 v5, s1, v11, v24
	s_wait_alu 0xf1ff
	v_add_co_ci_u32_e64 v6, null, 0, v12, s1
	global_load_b64 v[5:6], v[5:6], off
	s_wait_loadcnt 0x0
	v_bfe_u32 v8, v5, 8, 8
	v_bfe_u32 v11, v5, 16, 8
	;; [unrolled: 1-line block ×4, first 2 shown]
	s_delay_alu instid0(VALU_DEP_4)
	v_cvt_f32_fp8_e32 v8, v8
	v_and_b32_e32 v7, 0xff, v5
	v_lshrrev_b32_e32 v5, 24, v5
	v_cvt_f32_fp8_e32 v11, v11
	v_cvt_f32_fp8_e32 v50, v50
	v_mul_f32_e32 v8, s6, v8
	v_cvt_f32_fp8_e32 v7, v7
	v_and_b32_e32 v12, 0xff, v6
	v_cvt_f32_fp8_e32 v5, v5
	v_lshrrev_b32_e32 v6, 24, v6
	v_bfe_u32 v54, v8, 16, 1
	v_mul_f32_e32 v7, s6, v7
	v_cvt_f32_fp8_e32 v12, v12
	v_mul_f32_e32 v11, s6, v11
	v_dual_mul_f32 v5, s6, v5 :: v_dual_mul_f32 v50, s6, v50
	s_delay_alu instid0(VALU_DEP_4)
	v_bfe_u32 v52, v7, 16, 1
	v_or_b32_e32 v53, 0x400000, v7
	v_cmp_u_f32_e64 s1, v7, v7
	v_mul_f32_e32 v12, s6, v12
	v_or_b32_e32 v55, 0x400000, v8
	v_add3_u32 v52, v52, v7, 0x7fff
	v_bfe_u32 v56, v11, 16, 1
	v_add3_u32 v54, v54, v8, 0x7fff
	v_or_b32_e32 v57, 0x400000, v11
	v_bfe_u32 v58, v5, 16, 1
	s_wait_alu 0xf1ff
	v_cndmask_b32_e64 v7, v52, v53, s1
	v_cmp_u_f32_e64 s1, v8, v8
	v_add3_u32 v56, v56, v11, 0x7fff
	v_cvt_f32_fp8_e32 v51, v51
	v_or_b32_e32 v59, 0x400000, v5
	v_bfe_u32 v60, v12, 16, 1
	s_wait_alu 0xf1ff
	v_cndmask_b32_e64 v8, v54, v55, s1
	v_cmp_u_f32_e64 s1, v11, v11
	v_add3_u32 v58, v58, v5, 0x7fff
	v_cvt_f32_fp8_e32 v6, v6
	v_mul_f32_e32 v51, s6, v51
	v_or_b32_e32 v61, 0x400000, v12
	s_wait_alu 0xf1ff
	v_cndmask_b32_e64 v11, v56, v57, s1
	v_cmp_u_f32_e64 s1, v5, v5
	v_bfe_u32 v62, v50, 16, 1
	v_add3_u32 v60, v60, v12, 0x7fff
	v_mul_f32_e32 v6, s6, v6
	v_or_b32_e32 v63, 0x400000, v50
	s_wait_alu 0xf1ff
	v_cndmask_b32_e64 v5, v58, v59, s1
	v_cmp_u_f32_e64 s1, v12, v12
	v_bfe_u32 v64, v51, 16, 1
	v_add3_u32 v62, v62, v50, 0x7fff
	v_or_b32_e32 v65, 0x400000, v51
	v_bfe_u32 v66, v6, 16, 1
	s_wait_alu 0xf1ff
	v_cndmask_b32_e64 v52, v60, v61, s1
	v_cmp_u_f32_e64 s1, v50, v50
	v_add3_u32 v64, v64, v51, 0x7fff
	v_or_b32_e32 v67, 0x400000, v6
	v_add3_u32 v66, v66, v6, 0x7fff
	v_lshrrev_b32_e32 v50, 16, v7
	s_wait_alu 0xf1ff
	v_cndmask_b32_e64 v53, v62, v63, s1
	v_cmp_u_f32_e64 s1, v51, v51
	v_lshrrev_b32_e32 v51, 16, v8
	v_lshrrev_b32_e32 v11, 16, v11
	;; [unrolled: 1-line block ×4, first 2 shown]
	s_wait_alu 0xf1ff
	v_cndmask_b32_e64 v54, v64, v65, s1
	v_cmp_u_f32_e64 s1, v6, v6
	v_lshrrev_b32_e32 v8, 16, v53
	s_delay_alu instid0(VALU_DEP_3) | instskip(SKIP_1) | instid1(VALU_DEP_3)
	v_lshrrev_b32_e32 v5, 16, v54
	s_wait_alu 0xf1ff
	v_cndmask_b32_e64 v6, v66, v67, s1
	s_delay_alu instid0(VALU_DEP_1)
	v_lshrrev_b32_e32 v6, 16, v6
	s_and_saveexec_b32 s1, s0
	s_cbranch_execz .LBB327_32
; %bb.42:                               ;   in Loop: Header=BB327_34 Depth=1
	v_add_nc_u32_e32 v52, -6, v25
	v_cmp_gt_i32_e64 s0, s27, v39
	v_add_nc_u32_e32 v53, -5, v25
	v_add_nc_u32_e32 v39, -4, v25
	s_wait_alu 0xf1ff
	s_delay_alu instid0(VALU_DEP_3) | instskip(SKIP_3) | instid1(VALU_DEP_2)
	v_cndmask_b32_e64 v50, 0, v50, s0
	v_cmp_gt_i32_e64 s0, s27, v52
	v_add_nc_u32_e32 v52, -3, v25
	s_wait_alu 0xf1ff
	v_cndmask_b32_e64 v51, 0, v51, s0
	v_cmp_gt_i32_e64 s0, s27, v53
	v_add_nc_u32_e32 v53, -2, v25
	s_wait_alu 0xf1ff
	s_delay_alu instid0(VALU_DEP_2) | instskip(SKIP_3) | instid1(VALU_DEP_2)
	v_cndmask_b32_e64 v11, 0, v11, s0
	v_cmp_gt_i32_e64 s0, s27, v39
	v_add_nc_u32_e32 v39, -1, v25
	s_wait_alu 0xf1ff
	v_cndmask_b32_e64 v12, 0, v12, s0
	v_cmp_gt_i32_e64 s0, s27, v52
	s_wait_alu 0xf1ff
	s_delay_alu instid0(VALU_DEP_1) | instskip(SKIP_2) | instid1(VALU_DEP_1)
	v_cndmask_b32_e64 v7, 0, v7, s0
	v_cmp_gt_i32_e64 s0, s27, v53
	s_wait_alu 0xf1ff
	v_cndmask_b32_e64 v8, 0, v8, s0
	v_cmp_gt_i32_e64 s0, s27, v39
	s_wait_alu 0xf1ff
	s_delay_alu instid0(VALU_DEP_1) | instskip(SKIP_2) | instid1(VALU_DEP_1)
	v_cndmask_b32_e64 v5, 0, v5, s0
	v_cmp_gt_i32_e64 s0, s27, v25
	s_wait_alu 0xf1ff
	v_cndmask_b32_e64 v6, 0, v6, s0
	s_branch .LBB327_32
.LBB327_43:
	s_or_b32 exec_lo, exec_lo, s7
.LBB327_44:
	s_wait_alu 0xfffe
	s_or_b32 exec_lo, exec_lo, s4
	s_movk_i32 s0, 0x1e0
	v_and_b32_e32 v1, 0x3c0, v0
	s_wait_alu 0xfffe
	v_mad_u32_u24 v4, v15, s0, 0x110
	v_or_b32_e32 v3, 0x60, v0
	s_mov_b32 s0, exec_lo
	s_wait_loadcnt 0x0
	s_wait_storecnt 0x0
	s_barrier_signal -1
	s_barrier_wait -1
	global_inv scope:SCOPE_SE
	v_cmpx_eq_u32_e32 64, v1
	s_cbranch_execz .LBB327_47
; %bb.45:
	v_add_nc_u32_e32 v1, 0xfffffc40, v4
	v_cmp_gt_u32_e32 vcc_lo, 0x78, v3
	s_delay_alu instid0(VALU_DEP_2)
	v_lshl_add_u32 v2, v17, 2, v1
	ds_store_2addr_b32 v2, v22, v21 offset1:32
	ds_store_b32 v2, v20 offset:256
	s_and_b32 exec_lo, exec_lo, vcc_lo
; %bb.46:
	v_lshl_add_u32 v1, v3, 2, v1
	ds_store_b32 v1, v19
.LBB327_47:
	s_wait_alu 0xfffe
	s_or_b32 exec_lo, exec_lo, s0
	v_lshl_add_u32 v5, v17, 2, v4
	s_mov_b32 s0, exec_lo
	s_wait_loadcnt_dscnt 0x0
	s_barrier_signal -1
	s_barrier_wait -1
	global_inv scope:SCOPE_SE
	v_cmpx_gt_u32_e32 64, v0
	s_cbranch_execz .LBB327_51
; %bb.48:
	v_lshl_or_b32 v1, v0, 2, 0x80
	s_mov_b32 s1, exec_lo
	s_delay_alu instid0(VALU_DEP_1)
	v_add_nc_u32_e32 v6, v4, v1
	ds_load_2addr_stride64_b32 v[1:2], v5 offset1:1
	ds_load_b32 v6, v6
	v_cmpx_gt_u32_e32 0x78, v3
	s_cbranch_execz .LBB327_50
; %bb.49:
	v_lshl_add_u32 v7, v3, 2, v4
	ds_load_b32 v7, v7
	s_wait_dscnt 0x0
	v_add_f32_e32 v19, v19, v7
.LBB327_50:
	s_wait_alu 0xfffe
	s_or_b32 exec_lo, exec_lo, s1
	s_wait_dscnt 0x0
	v_dual_add_f32 v22, v22, v1 :: v_dual_add_f32 v21, v21, v6
	v_add_f32_e32 v20, v20, v2
.LBB327_51:
	s_wait_alu 0xfffe
	s_or_b32 exec_lo, exec_lo, s0
	v_and_b32_e32 v1, 0x3e0, v0
	s_mov_b32 s0, exec_lo
	s_wait_loadcnt 0x0
	s_barrier_signal -1
	s_barrier_wait -1
	global_inv scope:SCOPE_SE
	v_cmpx_eq_u32_e32 32, v1
	s_cbranch_execz .LBB327_54
; %bb.52:
	v_lshl_add_u32 v1, v17, 2, 0x110
	v_cmp_gt_u32_e32 vcc_lo, 0x78, v3
	ds_store_b32 v1, v22
	ds_store_b32 v18, v21
	ds_store_b32 v1, v20 offset:256
	s_and_b32 exec_lo, exec_lo, vcc_lo
; %bb.53:
	v_lshl_add_u32 v1, v3, 2, 0x110
	ds_store_b32 v1, v19
.LBB327_54:
	s_wait_alu 0xfffe
	s_or_b32 exec_lo, exec_lo, s0
	v_cmp_gt_u32_e32 vcc_lo, 32, v0
	s_wait_loadcnt_dscnt 0x0
	s_barrier_signal -1
	s_barrier_wait -1
	global_inv scope:SCOPE_SE
	s_and_saveexec_b32 s1, vcc_lo
	s_cbranch_execz .LBB327_58
; %bb.55:
	v_lshl_add_u32 v6, v0, 2, v4
	s_mov_b32 s2, exec_lo
	ds_load_b32 v4, v5
	ds_load_2addr_b32 v[1:2], v6 offset0:32 offset1:64
	v_cmpx_gt_u32_e32 0x78, v3
	s_cbranch_execz .LBB327_57
; %bb.56:
	ds_load_b32 v5, v6 offset:384
	s_wait_dscnt 0x0
	v_add_f32_e32 v19, v19, v5
.LBB327_57:
	s_wait_alu 0xfffe
	s_or_b32 exec_lo, exec_lo, s2
	s_wait_dscnt 0x0
	v_dual_add_f32 v22, v22, v4 :: v_dual_add_f32 v21, v21, v1
	v_add_f32_e32 v20, v20, v2
.LBB327_58:
	s_wait_alu 0xfffe
	s_or_b32 exec_lo, exec_lo, s1
	s_wait_loadcnt 0x0
	s_barrier_signal -1
	s_barrier_wait -1
	global_inv scope:SCOPE_SE
	s_and_saveexec_b32 s0, vcc_lo
	s_cbranch_execz .LBB327_61
; %bb.59:
	v_bfe_u32 v1, v22, 16, 1
	v_bfe_u32 v2, v21, 16, 1
	v_or_b32_e32 v5, 0x400000, v22
	v_cmp_u_f32_e32 vcc_lo, v22, v22
	v_bfe_u32 v4, v20, 16, 1
	v_add3_u32 v1, v1, v22, 0x7fff
	v_lshlrev_b32_e32 v0, 1, v0
	v_add3_u32 v2, v2, v21, 0x7fff
	v_or_b32_e32 v6, 0x400000, v21
	s_mul_i32 s0, s14, 0x78
	s_wait_alu 0xfffd
	v_cndmask_b32_e32 v1, v1, v5, vcc_lo
	v_cmp_u_f32_e32 vcc_lo, v21, v21
	s_mul_i32 s2, s12, s16
	s_wait_alu 0xfffe
	s_ashr_i32 s1, s0, 31
	v_add3_u32 v4, v4, v20, 0x7fff
	v_or_b32_e32 v7, 0x400000, v20
	s_wait_alu 0xfffd
	v_cndmask_b32_e32 v2, v2, v6, vcc_lo
	v_cmp_u_f32_e32 vcc_lo, v20, v20
	s_ashr_i32 s3, s2, 31
	s_wait_alu 0xfffe
	s_lshl_b64 s[0:1], s[0:1], 1
	s_lshl_b64 s[2:3], s[2:3], 1
	s_wait_kmcnt 0x0
	s_wait_alu 0xfffe
	s_add_nc_u64 s[0:1], s[8:9], s[0:1]
	s_wait_alu 0xfffd
	v_cndmask_b32_e32 v4, v4, v7, vcc_lo
	v_cmp_gt_u32_e32 vcc_lo, 0x78, v3
	s_mul_i32 s4, s26, 0xf0
	s_wait_alu 0xfffe
	s_add_nc_u64 s[0:1], s[0:1], s[2:3]
	s_mov_b32 s5, 0
	s_wait_alu 0xfffe
	s_add_nc_u64 s[0:1], s[0:1], s[4:5]
	s_clause 0x2
	global_store_d16_hi_b16 v0, v1, s[0:1]
	global_store_d16_hi_b16 v0, v2, s[0:1] offset:64
	global_store_d16_hi_b16 v0, v4, s[0:1] offset:128
	s_and_b32 exec_lo, exec_lo, vcc_lo
	s_cbranch_execz .LBB327_61
; %bb.60:
	v_bfe_u32 v1, v19, 16, 1
	v_or_b32_e32 v2, 0x400000, v19
	v_cmp_u_f32_e32 vcc_lo, v19, v19
	s_wait_alu 0xfffe
	v_add_co_u32 v0, s0, s0, v0
	v_add3_u32 v3, v1, v19, 0x7fff
	s_wait_alu 0xf1ff
	v_add_co_ci_u32_e64 v1, null, s1, 0, s0
	s_wait_alu 0xfffd
	s_delay_alu instid0(VALU_DEP_2)
	v_cndmask_b32_e32 v2, v3, v2, vcc_lo
	global_store_d16_hi_b16 v[0:1], v2, off offset:192
.LBB327_61:
	s_nop 0
	s_sendmsg sendmsg(MSG_DEALLOC_VGPRS)
	s_endpgm
	.section	.rodata,"a",@progbits
	.p2align	6, 0x0
	.amdhsa_kernel _ZN4vllm25paged_attention_v2_kernelI14__hip_bfloat16hLi120ELi8ELi128ELNS_18Fp8KVCacheDataTypeE1ELb0ELi512EEEvPfS3_PT_PKS4_PKT0_SA_ifPKiSC_iPKfiiiSE_SE_iiiii
		.amdhsa_group_segment_fixed_size 272
		.amdhsa_private_segment_fixed_size 0
		.amdhsa_kernarg_size 400
		.amdhsa_user_sgpr_count 2
		.amdhsa_user_sgpr_dispatch_ptr 0
		.amdhsa_user_sgpr_queue_ptr 0
		.amdhsa_user_sgpr_kernarg_segment_ptr 1
		.amdhsa_user_sgpr_dispatch_id 0
		.amdhsa_user_sgpr_private_segment_size 0
		.amdhsa_wavefront_size32 1
		.amdhsa_uses_dynamic_stack 0
		.amdhsa_enable_private_segment 0
		.amdhsa_system_sgpr_workgroup_id_x 1
		.amdhsa_system_sgpr_workgroup_id_y 1
		.amdhsa_system_sgpr_workgroup_id_z 1
		.amdhsa_system_sgpr_workgroup_info 0
		.amdhsa_system_vgpr_workitem_id 0
		.amdhsa_next_free_vgpr 128
		.amdhsa_next_free_sgpr 38
		.amdhsa_reserve_vcc 1
		.amdhsa_float_round_mode_32 0
		.amdhsa_float_round_mode_16_64 0
		.amdhsa_float_denorm_mode_32 3
		.amdhsa_float_denorm_mode_16_64 3
		.amdhsa_fp16_overflow 0
		.amdhsa_workgroup_processor_mode 1
		.amdhsa_memory_ordered 1
		.amdhsa_forward_progress 1
		.amdhsa_inst_pref_size 100
		.amdhsa_round_robin_scheduling 0
		.amdhsa_exception_fp_ieee_invalid_op 0
		.amdhsa_exception_fp_denorm_src 0
		.amdhsa_exception_fp_ieee_div_zero 0
		.amdhsa_exception_fp_ieee_overflow 0
		.amdhsa_exception_fp_ieee_underflow 0
		.amdhsa_exception_fp_ieee_inexact 0
		.amdhsa_exception_int_div_zero 0
	.end_amdhsa_kernel
	.section	.text._ZN4vllm25paged_attention_v2_kernelI14__hip_bfloat16hLi120ELi8ELi128ELNS_18Fp8KVCacheDataTypeE1ELb0ELi512EEEvPfS3_PT_PKS4_PKT0_SA_ifPKiSC_iPKfiiiSE_SE_iiiii,"axG",@progbits,_ZN4vllm25paged_attention_v2_kernelI14__hip_bfloat16hLi120ELi8ELi128ELNS_18Fp8KVCacheDataTypeE1ELb0ELi512EEEvPfS3_PT_PKS4_PKT0_SA_ifPKiSC_iPKfiiiSE_SE_iiiii,comdat
.Lfunc_end327:
	.size	_ZN4vllm25paged_attention_v2_kernelI14__hip_bfloat16hLi120ELi8ELi128ELNS_18Fp8KVCacheDataTypeE1ELb0ELi512EEEvPfS3_PT_PKS4_PKT0_SA_ifPKiSC_iPKfiiiSE_SE_iiiii, .Lfunc_end327-_ZN4vllm25paged_attention_v2_kernelI14__hip_bfloat16hLi120ELi8ELi128ELNS_18Fp8KVCacheDataTypeE1ELb0ELi512EEEvPfS3_PT_PKS4_PKT0_SA_ifPKiSC_iPKfiiiSE_SE_iiiii
                                        ; -- End function
	.set _ZN4vllm25paged_attention_v2_kernelI14__hip_bfloat16hLi120ELi8ELi128ELNS_18Fp8KVCacheDataTypeE1ELb0ELi512EEEvPfS3_PT_PKS4_PKT0_SA_ifPKiSC_iPKfiiiSE_SE_iiiii.num_vgpr, 128
	.set _ZN4vllm25paged_attention_v2_kernelI14__hip_bfloat16hLi120ELi8ELi128ELNS_18Fp8KVCacheDataTypeE1ELb0ELi512EEEvPfS3_PT_PKS4_PKT0_SA_ifPKiSC_iPKfiiiSE_SE_iiiii.num_agpr, 0
	.set _ZN4vllm25paged_attention_v2_kernelI14__hip_bfloat16hLi120ELi8ELi128ELNS_18Fp8KVCacheDataTypeE1ELb0ELi512EEEvPfS3_PT_PKS4_PKT0_SA_ifPKiSC_iPKfiiiSE_SE_iiiii.numbered_sgpr, 38
	.set _ZN4vllm25paged_attention_v2_kernelI14__hip_bfloat16hLi120ELi8ELi128ELNS_18Fp8KVCacheDataTypeE1ELb0ELi512EEEvPfS3_PT_PKS4_PKT0_SA_ifPKiSC_iPKfiiiSE_SE_iiiii.num_named_barrier, 0
	.set _ZN4vllm25paged_attention_v2_kernelI14__hip_bfloat16hLi120ELi8ELi128ELNS_18Fp8KVCacheDataTypeE1ELb0ELi512EEEvPfS3_PT_PKS4_PKT0_SA_ifPKiSC_iPKfiiiSE_SE_iiiii.private_seg_size, 0
	.set _ZN4vllm25paged_attention_v2_kernelI14__hip_bfloat16hLi120ELi8ELi128ELNS_18Fp8KVCacheDataTypeE1ELb0ELi512EEEvPfS3_PT_PKS4_PKT0_SA_ifPKiSC_iPKfiiiSE_SE_iiiii.uses_vcc, 1
	.set _ZN4vllm25paged_attention_v2_kernelI14__hip_bfloat16hLi120ELi8ELi128ELNS_18Fp8KVCacheDataTypeE1ELb0ELi512EEEvPfS3_PT_PKS4_PKT0_SA_ifPKiSC_iPKfiiiSE_SE_iiiii.uses_flat_scratch, 0
	.set _ZN4vllm25paged_attention_v2_kernelI14__hip_bfloat16hLi120ELi8ELi128ELNS_18Fp8KVCacheDataTypeE1ELb0ELi512EEEvPfS3_PT_PKS4_PKT0_SA_ifPKiSC_iPKfiiiSE_SE_iiiii.has_dyn_sized_stack, 0
	.set _ZN4vllm25paged_attention_v2_kernelI14__hip_bfloat16hLi120ELi8ELi128ELNS_18Fp8KVCacheDataTypeE1ELb0ELi512EEEvPfS3_PT_PKS4_PKT0_SA_ifPKiSC_iPKfiiiSE_SE_iiiii.has_recursion, 0
	.set _ZN4vllm25paged_attention_v2_kernelI14__hip_bfloat16hLi120ELi8ELi128ELNS_18Fp8KVCacheDataTypeE1ELb0ELi512EEEvPfS3_PT_PKS4_PKT0_SA_ifPKiSC_iPKfiiiSE_SE_iiiii.has_indirect_call, 0
	.section	.AMDGPU.csdata,"",@progbits
; Kernel info:
; codeLenInByte = 12712
; TotalNumSgprs: 40
; NumVgprs: 128
; ScratchSize: 0
; MemoryBound: 0
; FloatMode: 240
; IeeeMode: 1
; LDSByteSize: 272 bytes/workgroup (compile time only)
; SGPRBlocks: 0
; VGPRBlocks: 15
; NumSGPRsForWavesPerEU: 40
; NumVGPRsForWavesPerEU: 128
; Occupancy: 10
; WaveLimiterHint : 1
; COMPUTE_PGM_RSRC2:SCRATCH_EN: 0
; COMPUTE_PGM_RSRC2:USER_SGPR: 2
; COMPUTE_PGM_RSRC2:TRAP_HANDLER: 0
; COMPUTE_PGM_RSRC2:TGID_X_EN: 1
; COMPUTE_PGM_RSRC2:TGID_Y_EN: 1
; COMPUTE_PGM_RSRC2:TGID_Z_EN: 1
; COMPUTE_PGM_RSRC2:TIDIG_COMP_CNT: 0
	.section	.text._ZN4vllm25paged_attention_v2_kernelI14__hip_bfloat16hLi128ELi8ELi128ELNS_18Fp8KVCacheDataTypeE1ELb0ELi512EEEvPfS3_PT_PKS4_PKT0_SA_ifPKiSC_iPKfiiiSE_SE_iiiii,"axG",@progbits,_ZN4vllm25paged_attention_v2_kernelI14__hip_bfloat16hLi128ELi8ELi128ELNS_18Fp8KVCacheDataTypeE1ELb0ELi512EEEvPfS3_PT_PKS4_PKT0_SA_ifPKiSC_iPKfiiiSE_SE_iiiii,comdat
	.protected	_ZN4vllm25paged_attention_v2_kernelI14__hip_bfloat16hLi128ELi8ELi128ELNS_18Fp8KVCacheDataTypeE1ELb0ELi512EEEvPfS3_PT_PKS4_PKT0_SA_ifPKiSC_iPKfiiiSE_SE_iiiii ; -- Begin function _ZN4vllm25paged_attention_v2_kernelI14__hip_bfloat16hLi128ELi8ELi128ELNS_18Fp8KVCacheDataTypeE1ELb0ELi512EEEvPfS3_PT_PKS4_PKT0_SA_ifPKiSC_iPKfiiiSE_SE_iiiii
	.globl	_ZN4vllm25paged_attention_v2_kernelI14__hip_bfloat16hLi128ELi8ELi128ELNS_18Fp8KVCacheDataTypeE1ELb0ELi512EEEvPfS3_PT_PKS4_PKT0_SA_ifPKiSC_iPKfiiiSE_SE_iiiii
	.p2align	8
	.type	_ZN4vllm25paged_attention_v2_kernelI14__hip_bfloat16hLi128ELi8ELi128ELNS_18Fp8KVCacheDataTypeE1ELb0ELi512EEEvPfS3_PT_PKS4_PKT0_SA_ifPKiSC_iPKfiiiSE_SE_iiiii,@function
_ZN4vllm25paged_attention_v2_kernelI14__hip_bfloat16hLi128ELi8ELi128ELNS_18Fp8KVCacheDataTypeE1ELb0ELi512EEEvPfS3_PT_PKS4_PKT0_SA_ifPKiSC_iPKfiiiSE_SE_iiiii: ; @_ZN4vllm25paged_attention_v2_kernelI14__hip_bfloat16hLi128ELi8ELi128ELNS_18Fp8KVCacheDataTypeE1ELb0ELi512EEEvPfS3_PT_PKS4_PKT0_SA_ifPKiSC_iPKfiiiSE_SE_iiiii
; %bb.0:
	s_load_b64 s[2:3], s[0:1], 0x40
	s_and_b32 s31, ttmp7, 0xffff
	s_lshr_b32 s28, ttmp7, 16
	s_lshl_b32 s4, s31, 2
	s_lshl_b32 s30, s28, 9
	s_wait_kmcnt 0x0
	s_load_b32 s29, s[2:3], s4 offset:0x0
	s_wait_kmcnt 0x0
	s_cmp_ge_i32 s30, s29
	s_cbranch_scc1 .LBB328_52
; %bb.1:
	s_clause 0x1
	s_load_b32 s33, s[0:1], 0x90
	s_load_b64 s[26:27], s[0:1], 0x30
	s_wait_kmcnt 0x0
	s_abs_i32 s5, s33
	s_abs_i32 s2, s26
	s_delay_alu instid0(SALU_CYCLE_1) | instskip(SKIP_1) | instid1(SALU_CYCLE_2)
	s_cvt_f32_u32 s3, s2
	s_sub_co_i32 s4, 0, s2
	v_rcp_iflag_f32_e32 v1, s3
	s_delay_alu instid0(TRANS32_DEP_1) | instskip(SKIP_2) | instid1(SALU_CYCLE_2)
	v_readfirstlane_b32 s3, v1
	s_mul_f32 s3, s3, 0x4f7ffffe
	s_wait_alu 0xfffe
	s_cvt_u32_f32 s3, s3
	s_wait_alu 0xfffe
	s_delay_alu instid0(SALU_CYCLE_2) | instskip(NEXT) | instid1(SALU_CYCLE_1)
	s_mul_i32 s4, s4, s3
	s_mul_hi_u32 s4, s3, s4
	s_delay_alu instid0(SALU_CYCLE_1)
	s_add_co_i32 s3, s3, s4
	s_xor_b32 s4, s33, s26
	s_wait_alu 0xfffe
	s_mul_hi_u32 s3, s5, s3
	s_ashr_i32 s4, s4, 31
	s_wait_alu 0xfffe
	s_mul_i32 s6, s3, s2
	s_delay_alu instid0(SALU_CYCLE_1)
	s_sub_co_i32 s5, s5, s6
	s_add_co_i32 s6, s3, 1
	s_sub_co_i32 s7, s5, s2
	s_cmp_ge_u32 s5, s2
	s_cselect_b32 s3, s6, s3
	s_cselect_b32 s5, s7, s5
	s_wait_alu 0xfffe
	s_add_co_i32 s6, s3, 1
	s_cmp_ge_u32 s5, s2
	s_mov_b32 s5, 0
	s_cselect_b32 s2, s6, s3
	s_load_b64 s[6:7], s[0:1], 0x50
	s_xor_b32 s2, s2, s4
	s_mov_b32 s35, s5
	s_wait_alu 0xfffe
	s_sub_co_i32 s9, s2, s4
	s_abs_i32 s4, ttmp9
	s_abs_i32 s8, s9
	s_delay_alu instid0(SALU_CYCLE_1) | instskip(SKIP_2) | instid1(SALU_CYCLE_1)
	s_cvt_f32_u32 s2, s8
	s_sub_co_i32 s3, 0, s8
	s_wait_alu 0xfffe
	v_rcp_iflag_f32_e32 v1, s2
	s_delay_alu instid0(TRANS32_DEP_1) | instskip(SKIP_2) | instid1(SALU_CYCLE_2)
	v_readfirstlane_b32 s2, v1
	s_mul_f32 s2, s2, 0x4f7ffffe
	s_wait_alu 0xfffe
	s_cvt_u32_f32 s2, s2
	s_wait_alu 0xfffe
	s_delay_alu instid0(SALU_CYCLE_2)
	s_mul_i32 s3, s3, s2
	s_wait_alu 0xfffe
	s_mul_hi_u32 s3, s2, s3
	s_wait_alu 0xfffe
	s_add_co_i32 s2, s2, s3
	s_mov_b32 s3, s5
	s_wait_kmcnt 0x0
	s_cmp_eq_u64 s[6:7], 0
	s_cbranch_scc1 .LBB328_3
; %bb.2:
	s_mov_b32 s10, ttmp9
	s_ashr_i32 s11, ttmp9, 31
	s_delay_alu instid0(SALU_CYCLE_1) | instskip(NEXT) | instid1(SALU_CYCLE_1)
	s_lshl_b64 s[10:11], s[10:11], 2
	s_add_nc_u64 s[6:7], s[6:7], s[10:11]
	s_load_b32 s35, s[6:7], 0x0
.LBB328_3:
	s_load_b96 s[16:18], s[0:1], 0x58
	s_mul_u64 s[2:3], s[4:5], s[2:3]
	v_and_b32_e32 v1, 3, v0
	v_cmp_gt_u32_e64 s2, 64, v0
	s_ashr_i32 s5, ttmp9, 31
	s_ashr_i32 s6, s9, 31
	s_lshl_b32 s20, ttmp9, 7
	s_wait_alu 0xfffe
	s_and_saveexec_b32 s7, s2
	s_cbranch_execz .LBB328_5
; %bb.4:
	s_load_b64 s[10:11], s[0:1], 0x18
	s_wait_kmcnt 0x0
	s_mul_i32 s12, s16, s31
	s_ashr_i32 s21, s20, 31
	s_ashr_i32 s13, s12, 31
	v_lshlrev_b32_e32 v2, 2, v0
	s_lshl_b64 s[12:13], s[12:13], 1
	v_and_b32_e32 v3, 0x3fc, v0
	s_delay_alu instid0(VALU_DEP_1) | instskip(SKIP_2) | instid1(SALU_CYCLE_1)
	v_lshl_add_u32 v3, v1, 6, v3
	s_add_nc_u64 s[10:11], s[10:11], s[12:13]
	s_lshl_b64 s[12:13], s[20:21], 1
	s_add_nc_u64 s[10:11], s[10:11], s[12:13]
	global_load_b32 v2, v2, s[10:11]
	s_wait_loadcnt 0x0
	ds_store_b32 v3, v2
.LBB328_5:
	s_or_b32 exec_lo, exec_lo, s7
	s_add_co_i32 s7, s29, 7
	s_xor_b32 s5, s5, s6
	s_ashr_i32 s9, s7, 31
	s_lshl_b32 s34, s28, 6
	s_lshr_b32 s6, s9, 29
	s_mul_i32 s9, s3, s8
	s_add_co_i32 s7, s7, s6
	s_add_co_i32 s6, s34, 64
	s_ashr_i32 s26, s7, 3
	s_load_b32 s7, s[0:1], 0x48
	s_sub_co_i32 s4, s4, s9
	s_min_i32 s21, s6, s26
	s_add_co_i32 s6, s3, 1
	s_sub_co_i32 s9, s4, s8
	s_cmp_ge_u32 s4, s8
	v_lshrrev_b32_e32 v15, 5, v0
	s_cselect_b32 s3, s6, s3
	s_cselect_b32 s4, s9, s4
	s_wait_alu 0xfffe
	s_add_co_i32 s6, s3, 1
	s_cmp_ge_u32 s4, s8
	v_or_b32_e32 v16, s34, v15
	s_cselect_b32 s3, s6, s3
	v_mbcnt_lo_u32_b32 v7, -1, 0
	s_wait_alu 0xfffe
	s_xor_b32 s3, s3, s5
	s_wait_dscnt 0x0
	s_wait_alu 0xfffe
	s_sub_co_i32 s4, s3, s5
	v_cmp_gt_i32_e64 s3, s21, v16
	s_mov_b32 s5, exec_lo
	s_barrier_signal -1
	s_wait_kmcnt 0x0
	s_mul_i32 s22, s7, s31
	s_barrier_wait -1
	s_ashr_i32 s23, s22, 31
	global_inv scope:SCOPE_SE
                                        ; implicit-def: $vgpr8
                                        ; implicit-def: $vgpr9
	v_cmpx_le_i32_e64 s21, v16
	s_xor_b32 s5, exec_lo, s5
; %bb.6:
	v_dual_mov_b32 v8, 0 :: v_dual_mov_b32 v9, 32
	v_mbcnt_lo_u32_b32 v7, -1, 0
                                        ; implicit-def: $vgpr1
; %bb.7:
	s_or_saveexec_b32 s36, s5
	s_clause 0x2
	s_load_b32 s16, s[0:1], 0x98
	s_load_b64 s[24:25], s[0:1], 0x38
	s_load_b128 s[12:15], s[0:1], 0x68
	v_dual_mov_b32 v42, 0xff7fffff :: v_dual_lshlrev_b32 v5, 2, v16
	v_lshlrev_b32_e32 v6, 3, v15
	s_mul_i32 s18, s4, s18
	s_xor_b32 exec_lo, exec_lo, s36
	s_cbranch_execz .LBB328_13
; %bb.8:
	s_load_b64 s[4:5], s[0:1], 0x20
	v_lshlrev_b32_e32 v2, 6, v1
	v_bfe_u32 v3, v0, 2, 3
	v_mov_b32_e32 v8, 0
	s_ashr_i32 s19, s18, 31
	v_xor_b32_e32 v45, 1, v7
	ds_load_b128 v[17:20], v2
	ds_load_b128 v[24:27], v2 offset:16
	v_lshlrev_b32_e32 v9, 4, v3
	ds_load_b128 v[32:35], v2 offset:32
	ds_load_b128 v[39:42], v2 offset:48
	s_cmp_neq_f32 s35, 0
	v_lshlrev_b32_e32 v48, 2, v3
	v_dual_mov_b32 v49, v16 :: v_dual_lshlrev_b32 v4, 1, v1
	s_mov_b32 s38, s17
	s_mov_b32 s37, 0
	s_wait_kmcnt 0x0
	s_add_nc_u64 s[4:5], s[4:5], s[18:19]
	s_load_b32 s19, s[12:13], 0x0
	v_add_co_u32 v2, s4, s4, v9
	v_xor_b32_e32 v9, 2, v7
	s_wait_alu 0xf1ff
	v_add_co_ci_u32_e64 v47, null, s5, 0, s4
	s_wait_dscnt 0x3
	v_lshlrev_b32_e32 v10, 16, v17
	v_and_b32_e32 v11, 0xffff0000, v17
	v_cmp_gt_i32_e32 vcc_lo, 32, v9
	v_and_b32_e32 v13, 0xffff0000, v18
	s_wait_dscnt 0x0
	v_lshlrev_b32_e32 v43, 16, v42
	v_and_b32_e32 v44, 0xffff0000, v42
	s_cselect_b32 s4, -1, 0
	v_cndmask_b32_e32 v46, v7, v9, vcc_lo
	v_cmp_gt_i32_e32 vcc_lo, 32, v45
	v_and_b32_e32 v17, 0xffff0000, v19
	s_lshl_b64 s[6:7], s[22:23], 2
	v_lshlrev_b32_e32 v12, 16, v18
	s_add_nc_u64 s[6:7], s[24:25], s[6:7]
	s_wait_alu 0xfffd
	v_dual_cndmask_b32 v42, v7, v45 :: v_dual_lshlrev_b32 v45, 2, v46
	v_cmp_eq_u32_e32 vcc_lo, 0, v1
	v_add_co_u32 v1, s5, v2, v4
	s_delay_alu instid0(VALU_DEP_3)
	v_lshlrev_b32_e32 v46, 2, v42
	v_lshl_or_b32 v42, v15, 5, v48
	s_wait_alu 0xf1ff
	v_add_co_ci_u32_e64 v2, null, 0, v47, s5
	v_add3_u32 v47, s30, v6, v3
	v_add_co_u32 v3, s5, s6, v5
	v_lshlrev_b32_e32 v14, 16, v19
	v_lshlrev_b32_e32 v18, 16, v20
	v_and_b32_e32 v19, 0xffff0000, v20
	v_lshlrev_b32_e32 v20, 16, v24
	v_and_b32_e32 v21, 0xffff0000, v24
	;; [unrolled: 2-line block ×12, first 2 shown]
	v_dual_mov_b32 v9, 32 :: v_dual_add_nc_u32 v48, 0x120, v42
	s_wait_alu 0xf1ff
	v_add_co_ci_u32_e64 v4, null, s7, 0, s5
	v_mov_b32_e32 v42, 0xff7fffff
	s_sub_co_i32 s39, 1, s29
	s_branch .LBB328_10
.LBB328_9:                              ;   in Loop: Header=BB328_10 Depth=1
	s_wait_alu 0xfffe
	s_or_b32 exec_lo, exec_lo, s6
	v_add_nc_u32_e32 v49, 4, v49
	v_add_co_u32 v3, s6, v3, 16
	v_add_nc_u32_e32 v47, 32, v47
	v_add_nc_u32_e32 v48, 0x80, v48
	s_delay_alu instid0(VALU_DEP_4) | instskip(SKIP_3) | instid1(SALU_CYCLE_1)
	v_cmp_le_i32_e64 s5, s21, v49
	s_wait_alu 0xf1ff
	v_add_co_ci_u32_e64 v4, null, 0, v4, s6
	s_or_b32 s37, s5, s37
	s_and_not1_b32 exec_lo, exec_lo, s37
	s_cbranch_execz .LBB328_12
.LBB328_10:                             ; =>This Inner Loop Header: Depth=1
	global_load_b32 v50, v[3:4], off
	s_wait_loadcnt_dscnt 0x0
	v_mad_co_i64_i32 v[50:51], null, v50, s38, v[1:2]
	s_clause 0xf
	global_load_u16 v52, v[50:51], off
	global_load_u16 v53, v[50:51], off offset:8
	global_load_u16 v54, v[50:51], off offset:128
	;; [unrolled: 1-line block ×15, first 2 shown]
	s_wait_loadcnt 0xe
	v_and_b32_e32 v67, 0xff, v53
	v_lshrrev_b16 v53, 8, v53
	s_delay_alu instid0(VALU_DEP_1) | instskip(NEXT) | instid1(VALU_DEP_1)
	v_and_b32_e32 v53, 0xffff, v53
	v_cvt_f32_fp8_e32 v53, v53
	s_wait_loadcnt 0xb
	v_and_b32_e32 v70, 0xff, v56
	v_lshrrev_b16 v56, 8, v56
	s_wait_kmcnt 0x0
	s_delay_alu instid0(VALU_DEP_2) | instskip(NEXT) | instid1(VALU_DEP_2)
	v_dual_mul_f32 v91, s19, v53 :: v_dual_and_b32 v70, 0xffff, v70
	v_and_b32_e32 v56, 0xffff, v56
	s_delay_alu instid0(VALU_DEP_2) | instskip(NEXT) | instid1(VALU_DEP_3)
	v_cmp_u_f32_e64 s8, v91, v91
	v_cvt_f32_fp8_e32 v70, v70
	s_wait_loadcnt 0xa
	v_and_b32_e32 v71, 0xff, v57
	v_cvt_f32_fp8_e32 v56, v56
	s_wait_loadcnt 0x6
	v_and_b32_e32 v75, 0xff, v61
	v_lshrrev_b16 v61, 8, v61
	v_dual_mul_f32 v96, s19, v70 :: v_dual_and_b32 v71, 0xffff, v71
	v_lshrrev_b16 v57, 8, v57
	s_delay_alu instid0(VALU_DEP_3) | instskip(NEXT) | instid1(VALU_DEP_3)
	v_and_b32_e32 v61, 0xffff, v61
	v_bfe_u32 v98, v96, 16, 1
	s_delay_alu instid0(VALU_DEP_4)
	v_cvt_f32_fp8_e32 v71, v71
	s_wait_loadcnt 0x5
	v_and_b32_e32 v76, 0xff, v62
	v_lshrrev_b16 v62, 8, v62
	v_cvt_f32_fp8_e32 v61, v61
	v_and_b32_e32 v67, 0xffff, v67
	v_and_b32_e32 v57, 0xffff, v57
	s_delay_alu instid0(VALU_DEP_4) | instskip(SKIP_2) | instid1(VALU_DEP_4)
	v_dual_mul_f32 v71, s19, v71 :: v_dual_and_b32 v62, 0xffff, v62
	v_or_b32_e32 v99, 0x400000, v96
	v_add3_u32 v98, v98, v96, 0x7fff
	v_cvt_f32_fp8_e32 v57, v57
	s_wait_loadcnt 0x4
	v_and_b32_e32 v77, 0xff, v63
	v_cvt_f32_fp8_e32 v83, v62
	v_mul_f32_e32 v62, s19, v61
	v_cvt_f32_fp8_e32 v67, v67
	v_and_b32_e32 v51, 0xff, v52
	v_lshrrev_b16 v52, 8, v52
	v_lshrrev_b16 v63, 8, v63
	v_mul_f32_e32 v70, s19, v57
	v_dual_mul_f32 v90, s19, v67 :: v_dual_and_b32 v77, 0xffff, v77
	s_delay_alu instid0(VALU_DEP_4) | instskip(NEXT) | instid1(VALU_DEP_4)
	v_and_b32_e32 v52, 0xffff, v52
	v_and_b32_e32 v63, 0xffff, v63
	v_bfe_u32 v102, v71, 16, 1
	s_delay_alu instid0(VALU_DEP_4)
	v_cmp_u_f32_e64 s7, v90, v90
	v_cvt_f32_fp8_e32 v77, v77
	v_cvt_f32_fp8_e32 v52, v52
	v_and_b32_e32 v68, 0xff, v54
	v_cvt_f32_fp8_e32 v84, v63
	v_lshrrev_b16 v54, 8, v54
	v_or_b32_e32 v103, 0x400000, v71
	v_mul_f32_e32 v89, s19, v52
	v_and_b32_e32 v68, 0xffff, v68
	v_bfe_u32 v104, v70, 16, 1
	v_add3_u32 v102, v102, v71, 0x7fff
	v_or_b32_e32 v105, 0x400000, v70
	v_cmp_u_f32_e64 s6, v89, v89
	v_cvt_f32_fp8_e32 v68, v68
	v_and_b32_e32 v69, 0xff, v55
	v_lshrrev_b16 v55, 8, v55
	v_add3_u32 v104, v104, v70, 0x7fff
	v_bfe_u32 v119, v62, 16, 1
	s_delay_alu instid0(VALU_DEP_4) | instskip(NEXT) | instid1(VALU_DEP_4)
	v_dual_mul_f32 v92, s19, v68 :: v_dual_and_b32 v69, 0xffff, v69
	v_and_b32_e32 v55, 0xffff, v55
	v_or_b32_e32 v122, 0x400000, v62
	s_delay_alu instid0(VALU_DEP_4) | instskip(NEXT) | instid1(VALU_DEP_4)
	v_add3_u32 v119, v119, v62, 0x7fff
	v_cmp_u_f32_e64 s9, v92, v92
	v_cmp_u_f32_e64 s13, v96, v96
	v_cvt_f32_fp8_e32 v55, v55
	v_and_b32_e32 v72, 0xff, v58
	v_lshrrev_b16 v58, 8, v58
	s_wait_alu 0xf1ff
	v_cndmask_b32_e64 v98, v98, v99, s13
	s_delay_alu instid0(VALU_DEP_2) | instskip(NEXT) | instid1(VALU_DEP_1)
	v_dual_mul_f32 v95, s19, v55 :: v_dual_and_b32 v58, 0xffff, v58
	v_or_b32_e32 v97, 0x400000, v95
	v_cmp_u_f32_e64 s12, v95, v95
	s_delay_alu instid0(VALU_DEP_3) | instskip(SKIP_3) | instid1(VALU_DEP_3)
	v_cvt_f32_fp8_e32 v58, v58
	s_wait_loadcnt 0x2
	v_and_b32_e32 v79, 0xff, v65
	v_lshrrev_b16 v65, 8, v65
	v_mul_f32_e32 v68, s19, v58
	v_mul_f32_e32 v58, s19, v84
	v_cvt_f32_fp8_e32 v69, v69
	v_and_b32_e32 v73, 0xff, v59
	v_lshrrev_b16 v59, 8, v59
	v_and_b32_e32 v79, 0xffff, v79
	v_and_b32_e32 v65, 0xffff, v65
	v_mul_f32_e32 v94, s19, v69
	v_bfe_u32 v108, v68, 16, 1
	v_and_b32_e32 v59, 0xffff, v59
	v_cvt_f32_fp8_e32 v79, v79
	v_and_b32_e32 v72, 0xffff, v72
	v_cvt_f32_fp8_e32 v86, v65
	v_or_b32_e32 v110, 0x400000, v68
	v_cvt_f32_fp8_e32 v59, v59
	s_wait_loadcnt 0x0
	v_and_b32_e32 v81, 0xff, v50
	v_lshrrev_b16 v50, 8, v50
	v_mul_f32_e32 v55, s19, v79
	v_bfe_u32 v79, v91, 16, 1
	v_cvt_f32_fp8_e32 v82, v72
	v_mul_f32_e32 v72, s19, v56
	v_and_b32_e32 v50, 0xffff, v50
	v_and_b32_e32 v75, 0xffff, v75
	v_add3_u32 v79, v79, v91, 0x7fff
	v_dual_mul_f32 v69, s19, v82 :: v_dual_and_b32 v78, 0xff, v64
	s_delay_alu instid0(VALU_DEP_4)
	v_cvt_f32_fp8_e32 v50, v50
	v_and_b32_e32 v73, 0xffff, v73
	v_cvt_f32_fp8_e32 v75, v75
	v_lshrrev_b16 v64, 8, v64
	v_bfe_u32 v100, v72, 16, 1
	v_mul_f32_e32 v50, s19, v50
	v_cvt_f32_fp8_e32 v73, v73
	v_dual_mul_f32 v63, s19, v75 :: v_dual_and_b32 v80, 0xff, v66
	v_bfe_u32 v75, v89, 16, 1
	v_lshrrev_b16 v66, 8, v66
	s_delay_alu instid0(VALU_DEP_3) | instskip(SKIP_1) | instid1(VALU_DEP_4)
	v_dual_mul_f32 v67, s19, v73 :: v_dual_and_b32 v80, 0xffff, v80
	v_and_b32_e32 v64, 0xffff, v64
	v_add3_u32 v75, v75, v89, 0x7fff
	s_delay_alu instid0(VALU_DEP_4)
	v_and_b32_e32 v66, 0xffff, v66
	v_or_b32_e32 v101, 0x400000, v72
	v_cvt_f32_fp8_e32 v80, v80
	v_cvt_f32_fp8_e32 v85, v64
	v_add3_u32 v100, v100, v72, 0x7fff
	v_cvt_f32_fp8_e32 v87, v66
	s_delay_alu instid0(VALU_DEP_4)
	v_dual_mul_f32 v66, s19, v59 :: v_dual_mul_f32 v53, s19, v80
	v_or_b32_e32 v80, 0x400000, v91
	v_mul_f32_e32 v59, s19, v77
	v_bfe_u32 v77, v90, 16, 1
	v_and_b32_e32 v81, 0xffff, v81
	v_bfe_u32 v106, v69, 16, 1
	v_cndmask_b32_e64 v79, v79, v80, s8
	v_or_b32_e32 v107, 0x400000, v69
	v_add3_u32 v77, v77, v90, 0x7fff
	v_cvt_f32_fp8_e32 v81, v81
	v_add3_u32 v106, v106, v69, 0x7fff
	v_and_b32_e32 v79, 0xffff0000, v79
	v_and_b32_e32 v76, 0xffff, v76
	v_bfe_u32 v109, v67, 16, 1
	v_add3_u32 v108, v108, v68, 0x7fff
	v_bfe_u32 v111, v66, 16, 1
	v_mul_f32_e32 v79, v13, v79
	v_cvt_f32_fp8_e32 v76, v76
	v_and_b32_e32 v54, 0xffff, v54
	v_or_b32_e32 v112, 0x400000, v67
	v_add3_u32 v109, v109, v67, 0x7fff
	v_or_b32_e32 v114, 0x400000, v66
	v_mul_f32_e32 v61, s19, v76
	v_or_b32_e32 v76, 0x400000, v89
	v_cvt_f32_fp8_e32 v54, v54
	v_and_b32_e32 v74, 0xff, v60
	v_lshrrev_b16 v60, 8, v60
	v_add3_u32 v111, v111, v66, 0x7fff
	v_cndmask_b32_e64 v75, v75, v76, s6
	v_mul_f32_e32 v93, s19, v54
	v_and_b32_e32 v74, 0xffff, v74
	v_bfe_u32 v117, v63, 16, 1
	v_or_b32_e32 v120, 0x400000, v63
	v_and_b32_e32 v75, 0xffff0000, v75
	v_and_b32_e32 v78, 0xffff, v78
	v_bfe_u32 v121, v61, 16, 1
	v_add3_u32 v117, v117, v63, 0x7fff
	v_or_b32_e32 v124, 0x400000, v61
	v_fmac_f32_e32 v79, v11, v75
	v_cvt_f32_fp8_e32 v78, v78
	v_add3_u32 v121, v121, v61, 0x7fff
	v_mul_f32_e32 v56, s19, v85
	v_mul_f32_e32 v52, s19, v87
	v_or_b32_e32 v82, 0x400000, v92
	v_mul_f32_e32 v57, s19, v78
	v_or_b32_e32 v78, 0x400000, v90
	v_or_b32_e32 v84, 0x400000, v93
	v_bfe_u32 v85, v94, 16, 1
	v_bfe_u32 v87, v95, 16, 1
	;; [unrolled: 1-line block ×3, first 2 shown]
	v_cndmask_b32_e64 v77, v77, v78, s7
	v_cmp_u_f32_e64 s10, v93, v93
	v_mul_f32_e32 v54, s19, v86
	v_or_b32_e32 v86, 0x400000, v94
	v_bfe_u32 v127, v58, 16, 1
	v_and_b32_e32 v77, 0xffff0000, v77
	v_and_b32_e32 v60, 0xffff, v60
	v_add3_u32 v85, v85, v94, 0x7fff
	v_cmp_u_f32_e64 s11, v94, v94
	v_add3_u32 v87, v87, v95, 0x7fff
	v_mul_f32_e32 v77, v12, v77
	v_cvt_f32_fp8_e32 v60, v60
	v_and_b32_e32 v51, 0xffff, v51
	v_add3_u32 v125, v125, v59, 0x7fff
	v_bfe_u32 v89, v57, 16, 1
	v_or_b32_e32 v90, 0x400000, v58
	v_mul_f32_e32 v64, s19, v60
	v_cvt_f32_fp8_e32 v51, v51
	v_mul_f32_e32 v60, s19, v83
	v_bfe_u32 v83, v93, 16, 1
	s_wait_alu 0xf1ff
	v_cndmask_b32_e64 v85, v85, v86, s11
	v_bfe_u32 v115, v64, 16, 1
	v_dual_mul_f32 v88, s19, v51 :: v_dual_mul_f32 v51, s19, v81
	v_cvt_f32_fp8_e32 v74, v74
	v_or_b32_e32 v118, 0x400000, v64
	s_delay_alu instid0(VALU_DEP_4) | instskip(NEXT) | instid1(VALU_DEP_4)
	v_add3_u32 v115, v115, v64, 0x7fff
	v_bfe_u32 v73, v88, 16, 1
	v_cmp_u_f32_e64 s5, v88, v88
	v_mul_f32_e32 v65, s19, v74
	v_or_b32_e32 v74, 0x400000, v88
	v_bfe_u32 v81, v92, 16, 1
	v_add3_u32 v73, v73, v88, 0x7fff
	v_bfe_u32 v123, v60, 16, 1
	v_bfe_u32 v113, v65, 16, 1
	v_or_b32_e32 v116, 0x400000, v65
	v_or_b32_e32 v126, 0x400000, v60
	s_wait_alu 0xf1ff
	v_cndmask_b32_e64 v73, v73, v74, s5
	v_cmp_u_f32_e64 s5, v72, v72
	v_add3_u32 v113, v113, v65, 0x7fff
	v_add3_u32 v81, v81, v92, 0x7fff
	;; [unrolled: 1-line block ×4, first 2 shown]
	s_wait_alu 0xf1ff
	v_cndmask_b32_e64 v72, v100, v101, s5
	v_cmp_u_f32_e64 s5, v71, v71
	v_or_b32_e32 v88, 0x400000, v59
	v_cndmask_b32_e64 v81, v81, v82, s9
	v_cndmask_b32_e64 v83, v83, v84, s10
	v_and_b32_e32 v73, 0xffff0000, v73
	s_wait_alu 0xf1ff
	v_cndmask_b32_e64 v71, v102, v103, s5
	v_cmp_u_f32_e64 s5, v70, v70
	v_cndmask_b32_e64 v87, v87, v97, s12
	v_add3_u32 v127, v127, v58, 0x7fff
	v_and_b32_e32 v81, 0xffff0000, v81
	v_and_b32_e32 v83, 0xffff0000, v83
	s_wait_alu 0xf1ff
	v_cndmask_b32_e64 v70, v104, v105, s5
	v_cmp_u_f32_e64 s5, v69, v69
	v_fmac_f32_e32 v77, v10, v73
	v_bfe_u32 v91, v56, 16, 1
	v_or_b32_e32 v92, 0x400000, v57
	v_add3_u32 v89, v89, v57, 0x7fff
	s_wait_alu 0xf1ff
	v_cndmask_b32_e64 v69, v106, v107, s5
	v_cmp_u_f32_e64 s5, v68, v68
	v_and_b32_e32 v73, 0xffff0000, v85
	v_and_b32_e32 v75, 0xffff0000, v87
	v_fmac_f32_e32 v77, v14, v81
	v_fmac_f32_e32 v79, v17, v83
	s_wait_alu 0xf1ff
	v_cndmask_b32_e64 v68, v108, v110, s5
	v_cmp_u_f32_e64 s5, v67, v67
	v_bfe_u32 v93, v55, 16, 1
	v_or_b32_e32 v94, 0x400000, v56
	v_add3_u32 v91, v91, v56, 0x7fff
	v_and_b32_e32 v81, 0xffff0000, v98
	s_wait_alu 0xf1ff
	v_cndmask_b32_e64 v67, v109, v112, s5
	v_cmp_u_f32_e64 s5, v66, v66
	v_dual_fmac_f32 v77, v18, v73 :: v_dual_and_b32 v72, 0xffff0000, v72
	v_fmac_f32_e32 v79, v19, v75
	v_bfe_u32 v95, v54, 16, 1
	s_wait_alu 0xf1ff
	v_cndmask_b32_e64 v66, v111, v114, s5
	v_cmp_u_f32_e64 s5, v65, v65
	v_or_b32_e32 v96, 0x400000, v55
	v_add3_u32 v93, v93, v55, 0x7fff
	v_and_b32_e32 v71, 0xffff0000, v71
	v_fmac_f32_e32 v77, v20, v81
	s_wait_alu 0xf1ff
	v_cndmask_b32_e64 v65, v113, v116, s5
	v_cmp_u_f32_e64 s5, v64, v64
	v_dual_fmac_f32 v79, v21, v72 :: v_dual_and_b32 v70, 0xffff0000, v70
	v_bfe_u32 v74, v53, 16, 1
	v_or_b32_e32 v76, 0x400000, v54
	s_wait_alu 0xf1ff
	v_cndmask_b32_e64 v64, v115, v118, s5
	v_cmp_u_f32_e64 s5, v63, v63
	v_add3_u32 v95, v95, v54, 0x7fff
	v_and_b32_e32 v69, 0xffff0000, v69
	v_dual_fmac_f32 v77, v22, v71 :: v_dual_and_b32 v68, 0xffff0000, v68
	s_wait_alu 0xf1ff
	v_cndmask_b32_e64 v63, v117, v120, s5
	v_cmp_u_f32_e64 s5, v62, v62
	v_dual_fmac_f32 v79, v23, v70 :: v_dual_and_b32 v64, 0xffff0000, v64
	v_bfe_u32 v78, v52, 16, 1
	v_or_b32_e32 v80, 0x400000, v53
	s_wait_alu 0xf1ff
	v_cndmask_b32_e64 v62, v119, v122, s5
	v_cmp_u_f32_e64 s5, v61, v61
	v_add3_u32 v74, v74, v53, 0x7fff
	v_and_b32_e32 v67, 0xffff0000, v67
	v_dual_fmac_f32 v77, v24, v69 :: v_dual_and_b32 v66, 0xffff0000, v66
	s_wait_alu 0xf1ff
	v_cndmask_b32_e64 v61, v121, v124, s5
	v_cmp_u_f32_e64 s5, v60, v60
	v_dual_fmac_f32 v79, v25, v68 :: v_dual_and_b32 v62, 0xffff0000, v62
	v_bfe_u32 v82, v51, 16, 1
	v_or_b32_e32 v84, 0x400000, v52
	s_wait_alu 0xf1ff
	v_cndmask_b32_e64 v60, v123, v126, s5
	v_cmp_u_f32_e64 s5, v59, v59
	v_add3_u32 v78, v78, v52, 0x7fff
	v_and_b32_e32 v65, 0xffff0000, v65
	s_delay_alu instid0(VALU_DEP_4)
	v_dual_fmac_f32 v77, v26, v67 :: v_dual_and_b32 v60, 0xffff0000, v60
	s_wait_alu 0xf1ff
	v_cndmask_b32_e64 v59, v125, v88, s5
	v_cmp_u_f32_e64 s5, v58, v58
	v_bfe_u32 v86, v50, 16, 1
	v_or_b32_e32 v97, 0x400000, v51
	v_add3_u32 v82, v82, v51, 0x7fff
	v_and_b32_e32 v63, 0xffff0000, v63
	s_wait_alu 0xf1ff
	v_cndmask_b32_e64 v58, v127, v90, s5
	v_cmp_u_f32_e64 s5, v57, v57
	v_fmac_f32_e32 v77, v28, v65
	v_or_b32_e32 v99, 0x400000, v50
	v_add3_u32 v86, v86, v50, 0x7fff
	v_and_b32_e32 v61, 0xffff0000, v61
	s_wait_alu 0xf1ff
	v_cndmask_b32_e64 v57, v89, v92, s5
	v_cmp_u_f32_e64 s5, v56, v56
	v_and_b32_e32 v58, 0xffff0000, v58
	v_and_b32_e32 v59, 0xffff0000, v59
	s_delay_alu instid0(VALU_DEP_4) | instskip(SKIP_3) | instid1(VALU_DEP_2)
	v_and_b32_e32 v57, 0xffff0000, v57
	s_wait_alu 0xf1ff
	v_cndmask_b32_e64 v56, v91, v94, s5
	v_cmp_u_f32_e64 s5, v55, v55
	v_dual_fmac_f32 v79, v27, v66 :: v_dual_and_b32 v56, 0xffff0000, v56
	s_wait_alu 0xf1ff
	s_delay_alu instid0(VALU_DEP_2) | instskip(SKIP_1) | instid1(VALU_DEP_2)
	v_cndmask_b32_e64 v55, v93, v96, s5
	v_cmp_u_f32_e64 s5, v54, v54
	v_and_b32_e32 v55, 0xffff0000, v55
	s_wait_alu 0xf1ff
	s_delay_alu instid0(VALU_DEP_2) | instskip(SKIP_1) | instid1(VALU_DEP_2)
	v_cndmask_b32_e64 v54, v95, v76, s5
	v_cmp_u_f32_e64 s5, v53, v53
	v_dual_fmac_f32 v79, v29, v64 :: v_dual_and_b32 v54, 0xffff0000, v54
	s_wait_alu 0xf1ff
	s_delay_alu instid0(VALU_DEP_2) | instskip(SKIP_1) | instid1(VALU_DEP_3)
	v_cndmask_b32_e64 v53, v74, v80, s5
	v_cmp_u_f32_e64 s5, v52, v52
	v_fmac_f32_e32 v79, v31, v62
	s_delay_alu instid0(VALU_DEP_3) | instskip(SKIP_1) | instid1(VALU_DEP_3)
	v_and_b32_e32 v53, 0xffff0000, v53
	s_wait_alu 0xf1ff
	v_cndmask_b32_e64 v52, v78, v84, s5
	v_cmp_u_f32_e64 s5, v51, v51
	v_fmac_f32_e32 v77, v30, v63
	v_fmac_f32_e32 v79, v33, v60
	s_delay_alu instid0(VALU_DEP_4) | instskip(SKIP_4) | instid1(VALU_DEP_3)
	v_and_b32_e32 v52, 0xffff0000, v52
	s_wait_alu 0xf1ff
	v_cndmask_b32_e64 v51, v82, v97, s5
	v_cmp_u_f32_e64 s5, v50, v50
	v_fmac_f32_e32 v79, v35, v58
	v_and_b32_e32 v51, 0xffff0000, v51
	s_wait_alu 0xf1ff
	s_delay_alu instid0(VALU_DEP_3) | instskip(SKIP_1) | instid1(VALU_DEP_2)
	v_cndmask_b32_e64 v50, v86, v99, s5
	v_fmac_f32_e32 v77, v32, v61
	v_dual_fmac_f32 v79, v37, v56 :: v_dual_and_b32 v50, 0xffff0000, v50
	s_delay_alu instid0(VALU_DEP_2) | instskip(NEXT) | instid1(VALU_DEP_2)
	v_fmac_f32_e32 v77, v34, v59
	v_fmac_f32_e32 v79, v39, v54
	s_delay_alu instid0(VALU_DEP_2) | instskip(NEXT) | instid1(VALU_DEP_2)
	v_fmac_f32_e32 v77, v36, v57
	v_fmac_f32_e32 v79, v41, v52
	;; [unrolled: 3-line block ×3, first 2 shown]
	s_delay_alu instid0(VALU_DEP_2) | instskip(NEXT) | instid1(VALU_DEP_1)
	v_fmac_f32_e32 v77, v40, v53
	v_fmac_f32_e32 v77, v43, v51
	s_delay_alu instid0(VALU_DEP_1)
	v_add_f32_e32 v50, v77, v79
	ds_bpermute_b32 v51, v45, v50
	s_wait_dscnt 0x0
	v_add_f32_e32 v50, v50, v51
	ds_bpermute_b32 v51, v46, v50
	s_and_saveexec_b32 s6, vcc_lo
	s_cbranch_execz .LBB328_9
; %bb.11:                               ;   in Loop: Header=BB328_10 Depth=1
	s_wait_dscnt 0x0
	v_add_f32_e32 v50, v50, v51
	v_add_nc_u32_e32 v52, s39, v47
	v_cmp_gt_i32_e64 s5, s29, v47
	s_delay_alu instid0(VALU_DEP_2) | instskip(NEXT) | instid1(VALU_DEP_1)
	v_cvt_f32_i32_e32 v52, v52
	v_mul_f32_e32 v52, s35, v52
	s_wait_alu 0xfffe
	s_delay_alu instid0(VALU_DEP_1) | instskip(SKIP_1) | instid1(VALU_DEP_2)
	v_cndmask_b32_e64 v51, 0, v52, s4
	v_max_num_f32_e32 v52, v42, v42
	v_fmac_f32_e32 v51, s27, v50
	s_delay_alu instid0(VALU_DEP_1) | instskip(SKIP_2) | instid1(VALU_DEP_2)
	v_max_num_f32_e32 v50, v52, v51
	s_wait_alu 0xf1ff
	v_cndmask_b32_e64 v51, 0, v51, s5
	v_cndmask_b32_e64 v42, v42, v50, s5
	ds_store_b32 v48, v51
	s_branch .LBB328_9
.LBB328_12:
	s_or_b32 exec_lo, exec_lo, s37
.LBB328_13:
	s_delay_alu instid0(SALU_CYCLE_1)
	s_or_b32 exec_lo, exec_lo, s36
	v_xor_b32_e32 v1, 16, v7
	v_xor_b32_e32 v3, 8, v7
	s_clause 0x1
	s_load_b128 s[8:11], s[0:1], 0x0
	s_load_b64 s[6:7], s[0:1], 0x10
	s_wait_kmcnt 0x0
	s_load_b64 s[12:13], s[0:1], 0x28
	v_dual_max_num_f32 v10, v42, v42 :: v_dual_and_b32 v17, 31, v0
	v_cmp_lt_i32_e32 vcc_lo, v1, v9
	s_wait_alu 0xfffd
	v_cndmask_b32_e32 v1, v7, v1, vcc_lo
	v_cmp_lt_i32_e32 vcc_lo, v3, v9
	s_wait_alu 0xfffd
	s_delay_alu instid0(VALU_DEP_2) | instskip(SKIP_3) | instid1(VALU_DEP_1)
	v_dual_cndmask_b32 v3, v7, v3 :: v_dual_lshlrev_b32 v2, 2, v1
	ds_bpermute_b32 v1, v2, v42
	s_wait_dscnt 0x0
	v_dual_max_num_f32 v1, v1, v1 :: v_dual_lshlrev_b32 v4, 2, v3
	v_max_num_f32_e32 v1, v10, v1
	v_xor_b32_e32 v10, 4, v7
	s_delay_alu instid0(VALU_DEP_1)
	v_cmp_lt_i32_e32 vcc_lo, v10, v9
	s_wait_alu 0xfffd
	v_cndmask_b32_e32 v10, v7, v10, vcc_lo
	ds_bpermute_b32 v3, v4, v1
	v_cmp_eq_u32_e32 vcc_lo, 0, v17
	v_lshlrev_b32_e32 v12, 2, v10
	v_lshlrev_b32_e32 v10, 2, v15
	s_wait_dscnt 0x0
	v_max_num_f32_e32 v3, v3, v3
	s_delay_alu instid0(VALU_DEP_1)
	v_max_num_f32_e32 v1, v1, v3
	ds_bpermute_b32 v3, v12, v1
	s_and_saveexec_b32 s0, vcc_lo
	s_cbranch_execz .LBB328_15
; %bb.14:
	s_wait_dscnt 0x0
	v_max_num_f32_e32 v3, v3, v3
	v_max_num_f32_e32 v1, v1, v1
	s_delay_alu instid0(VALU_DEP_1)
	v_max_num_f32_e32 v1, v1, v3
	ds_store_b32 v10, v1 offset:256
.LBB328_15:
	s_or_b32 exec_lo, exec_lo, s0
	v_cmp_gt_u32_e64 s0, 4, v17
	v_mov_b32_e32 v1, 0xff7fffff
	v_lshlrev_b32_e32 v11, 2, v17
	s_wait_loadcnt_dscnt 0x0
	s_barrier_signal -1
	s_barrier_wait -1
	global_inv scope:SCOPE_SE
	s_and_saveexec_b32 s1, s0
; %bb.16:
	ds_load_b32 v1, v11 offset:256
; %bb.17:
	s_or_b32 exec_lo, exec_lo, s1
	v_xor_b32_e32 v3, 2, v7
	v_xor_b32_e32 v14, 1, v7
	s_delay_alu instid0(VALU_DEP_2) | instskip(NEXT) | instid1(VALU_DEP_1)
	v_cmp_lt_i32_e64 s1, v3, v9
	v_cndmask_b32_e64 v3, v7, v3, s1
	s_delay_alu instid0(VALU_DEP_3) | instskip(NEXT) | instid1(VALU_DEP_2)
	v_cmp_lt_i32_e64 s1, v14, v9
	v_lshlrev_b32_e32 v13, 2, v3
	s_wait_alu 0xf1ff
	s_delay_alu instid0(VALU_DEP_2)
	v_cndmask_b32_e64 v9, v7, v14, s1
	s_sub_co_i32 s1, s21, s34
	s_wait_alu 0xfffe
	s_lshl_b32 s1, s1, 3
	s_wait_dscnt 0x0
	ds_bpermute_b32 v3, v13, v1
	v_max_num_f32_e32 v1, v1, v1
	v_lshlrev_b32_e32 v9, 2, v9
	s_wait_alu 0xfffe
	s_add_co_i32 s1, s1, s30
	s_wait_alu 0xfffe
	s_min_i32 s1, s1, s29
	s_wait_alu 0xfffe
	s_sub_co_i32 s5, s1, s30
	s_wait_alu 0xfffe
	v_cmp_gt_i32_e64 s1, s5, v0
	s_wait_dscnt 0x0
	v_max_num_f32_e32 v3, v3, v3
	s_delay_alu instid0(VALU_DEP_1) | instskip(SKIP_3) | instid1(VALU_DEP_1)
	v_max_num_f32_e32 v1, v1, v3
	ds_bpermute_b32 v3, v9, v1
	s_wait_dscnt 0x0
	v_max_num_f32_e32 v3, v3, v3
	v_max_num_f32_e32 v1, v1, v3
	v_dual_mov_b32 v8, 0 :: v_dual_lshlrev_b32 v3, 2, v8
	ds_bpermute_b32 v1, v3, v1
	v_lshl_add_u32 v3, v0, 2, 0x120
	s_and_saveexec_b32 s19, s1
	s_cbranch_execz .LBB328_21
; %bb.18:
	v_lshl_add_u32 v14, v0, 2, 0x120
	v_mov_b32_e32 v8, 0
	v_mov_b32_e32 v18, v0
	s_mov_b32 s27, 0
.LBB328_19:                             ; =>This Inner Loop Header: Depth=1
	ds_load_b32 v19, v14
	v_add_nc_u32_e32 v18, 0x80, v18
	s_delay_alu instid0(VALU_DEP_1) | instskip(SKIP_4) | instid1(VALU_DEP_1)
	v_cmp_le_i32_e64 s4, s5, v18
	s_wait_alu 0xfffe
	s_or_b32 s27, s4, s27
	s_wait_dscnt 0x0
	v_sub_f32_e32 v19, v19, v1
	v_mul_f32_e32 v19, 0x3fb8aa3b, v19
	s_delay_alu instid0(VALU_DEP_1)
	v_exp_f32_e32 v19, v19
	ds_store_b32 v14, v19
	v_add_f32_e32 v8, v8, v19
	v_add_nc_u32_e32 v14, 0x200, v14
	s_wait_alu 0xfffe
	s_and_not1_b32 exec_lo, exec_lo, s27
	s_cbranch_execnz .LBB328_19
; %bb.20:
	s_or_b32 exec_lo, exec_lo, s27
.LBB328_21:
	s_wait_alu 0xfffe
	s_or_b32 exec_lo, exec_lo, s19
	ds_bpermute_b32 v2, v2, v8
	s_wait_dscnt 0x0
	v_add_f32_e32 v2, v8, v2
	ds_bpermute_b32 v4, v4, v2
	s_wait_dscnt 0x0
	v_add_f32_e32 v2, v2, v4
	;; [unrolled: 3-line block ×5, first 2 shown]
	s_and_saveexec_b32 s4, vcc_lo
; %bb.22:
	ds_store_b32 v10, v2 offset:272
; %bb.23:
	s_wait_alu 0xfffe
	s_or_b32 exec_lo, exec_lo, s4
	s_wait_loadcnt_dscnt 0x0
	s_barrier_signal -1
	s_barrier_wait -1
	global_inv scope:SCOPE_SE
	s_and_saveexec_b32 s4, s0
; %bb.24:
	ds_load_b32 v2, v11 offset:272
; %bb.25:
	s_wait_alu 0xfffe
	s_or_b32 exec_lo, exec_lo, s4
	s_wait_dscnt 0x0
	ds_bpermute_b32 v4, v13, v2
	s_wait_dscnt 0x0
	v_dual_add_f32 v2, v2, v4 :: v_dual_lshlrev_b32 v7, 2, v7
	ds_bpermute_b32 v4, v9, v2
	s_wait_dscnt 0x0
	v_add_f32_e32 v2, v2, v4
	v_and_b32_e32 v4, 0xffffff80, v7
	ds_bpermute_b32 v2, v4, v2
	s_and_saveexec_b32 s0, s1
	s_cbranch_execz .LBB328_28
; %bb.26:
	s_wait_dscnt 0x0
	v_add_f32_e32 v4, 0x358637bd, v2
	s_mov_b32 s1, 0
	s_delay_alu instid0(VALU_DEP_1) | instskip(SKIP_1) | instid1(VALU_DEP_2)
	v_div_scale_f32 v7, null, v4, v4, 1.0
	v_div_scale_f32 v10, vcc_lo, 1.0, v4, 1.0
	v_rcp_f32_e32 v8, v7
	s_delay_alu instid0(TRANS32_DEP_1) | instskip(NEXT) | instid1(VALU_DEP_1)
	v_fma_f32 v9, -v7, v8, 1.0
	v_fmac_f32_e32 v8, v9, v8
	s_delay_alu instid0(VALU_DEP_1) | instskip(NEXT) | instid1(VALU_DEP_1)
	v_mul_f32_e32 v9, v10, v8
	v_fma_f32 v11, -v7, v9, v10
	s_delay_alu instid0(VALU_DEP_1) | instskip(NEXT) | instid1(VALU_DEP_1)
	v_fmac_f32_e32 v9, v11, v8
	v_fma_f32 v7, -v7, v9, v10
	s_wait_alu 0xfffd
	s_delay_alu instid0(VALU_DEP_1) | instskip(NEXT) | instid1(VALU_DEP_1)
	v_div_fmas_f32 v7, v7, v8, v9
	v_div_fixup_f32 v4, v7, v4, 1.0
	v_mov_b32_e32 v7, v0
.LBB328_27:                             ; =>This Inner Loop Header: Depth=1
	ds_load_b32 v8, v3
	s_wait_dscnt 0x0
	v_dual_mul_f32 v8, v4, v8 :: v_dual_add_nc_u32 v7, 0x80, v7
	s_delay_alu instid0(VALU_DEP_1)
	v_cmp_le_i32_e32 vcc_lo, s5, v7
	ds_store_b32 v3, v8
	v_add_nc_u32_e32 v3, 0x200, v3
	s_wait_alu 0xfffe
	s_or_b32 s1, vcc_lo, s1
	s_wait_alu 0xfffe
	s_and_not1_b32 exec_lo, exec_lo, s1
	s_cbranch_execnz .LBB328_27
.LBB328_28:
	s_wait_alu 0xfffe
	s_or_b32 exec_lo, exec_lo, s0
	s_mul_i32 s0, s16, s31
	s_wait_loadcnt_dscnt 0x0
	s_wait_alu 0xfffe
	s_mul_i32 s4, s0, s33
	s_mov_b32 s0, exec_lo
	s_barrier_signal -1
	s_barrier_wait -1
	global_inv scope:SCOPE_SE
	v_cmpx_eq_u32_e32 0, v0
	s_cbranch_execz .LBB328_30
; %bb.29:
	s_wait_alu 0xfffe
	s_ashr_i32 s5, s4, 31
	s_mul_i32 s34, s16, ttmp9
	s_lshl_b32 s1, s28, 2
	s_wait_alu 0xfffe
	s_lshl_b64 s[36:37], s[4:5], 2
	s_ashr_i32 s35, s34, 31
	v_mov_b32_e32 v3, s1
	s_add_nc_u64 s[10:11], s[10:11], s[36:37]
	s_wait_alu 0xfffe
	s_lshl_b64 s[34:35], s[34:35], 2
	s_add_nc_u64 s[8:9], s[8:9], s[36:37]
	s_wait_alu 0xfffe
	s_add_nc_u64 s[10:11], s[10:11], s[34:35]
	s_add_nc_u64 s[8:9], s[8:9], s[34:35]
	s_clause 0x1
	global_store_b32 v3, v1, s[10:11]
	global_store_b32 v3, v2, s[8:9]
.LBB328_30:
	s_wait_alu 0xfffe
	s_or_b32 exec_lo, exec_lo, s0
	v_dual_mov_b32 v21, 0 :: v_dual_mov_b32 v20, 0
	v_dual_mov_b32 v19, 0 :: v_dual_mov_b32 v18, 0
	s_and_saveexec_b32 s1, s3
	s_cbranch_execz .LBB328_42
; %bb.31:
	s_load_b32 s3, s[14:15], 0x0
	v_dual_mov_b32 v18, 0 :: v_dual_lshlrev_b32 v1, 3, v17
	s_ashr_i32 s19, s18, 31
	v_add3_u32 v22, s30, v6, 7
	s_wait_kmcnt 0x0
	s_wait_alu 0xfffe
	s_add_nc_u64 s[8:9], s[12:13], s[18:19]
	v_lshl_add_u32 v23, v15, 5, 0x120
	s_wait_alu 0xfffe
	v_add_co_u32 v9, s0, s8, v1
	s_wait_alu 0xf1ff
	v_add_co_ci_u32_e64 v10, null, s9, 0, s0
	s_lshl_b64 s[8:9], s[22:23], 2
	v_dual_mov_b32 v19, 0 :: v_dual_mov_b32 v20, 0
	s_wait_alu 0xfffe
	s_add_nc_u64 s[8:9], s[24:25], s[8:9]
	v_mov_b32_e32 v21, 0
	s_wait_alu 0xfffe
	v_add_co_u32 v11, s0, s8, v5
	s_wait_alu 0xf1ff
	v_add_co_ci_u32_e64 v12, null, s9, 0, s0
	s_mov_b32 s5, s17
	s_add_co_i32 s26, s26, -1
	s_mov_b32 s8, 0
	s_branch .LBB328_33
.LBB328_32:                             ;   in Loop: Header=BB328_33 Depth=1
	s_wait_alu 0xfffe
	s_or_b32 exec_lo, exec_lo, s0
	s_wait_dscnt 0x1
	v_bfe_u32 v32, v5, 16, 1
	v_bfe_u32 v37, v6, 16, 1
	v_or_b32_e32 v38, 0x400000, v5
	v_cmp_u_f32_e32 vcc_lo, v5, v5
	v_or_b32_e32 v39, 0x400000, v6
	v_add3_u32 v32, v32, v5, 0x7fff
	v_bfe_u32 v40, v7, 16, 1
	v_add3_u32 v37, v37, v6, 0x7fff
	v_bfe_u32 v41, v8, 16, 1
	v_lshlrev_b32_e32 v54, 16, v54
	s_wait_alu 0xfffd
	v_cndmask_b32_e32 v5, v32, v38, vcc_lo
	v_cmp_u_f32_e32 vcc_lo, v6, v6
	v_add3_u32 v32, v40, v7, 0x7fff
	v_add3_u32 v38, v41, v8, 0x7fff
	s_wait_dscnt 0x0
	v_bfe_u32 v40, v1, 16, 1
	v_or_b32_e32 v41, 0x400000, v4
	s_wait_alu 0xfffd
	v_cndmask_b32_e32 v6, v37, v39, vcc_lo
	v_or_b32_e32 v37, 0x400000, v7
	v_cmp_u_f32_e32 vcc_lo, v7, v7
	v_or_b32_e32 v39, 0x400000, v8
	v_and_b32_e32 v5, 0xffff0000, v5
	v_lshlrev_b32_e32 v42, 16, v42
	s_wait_alu 0xfffd
	v_dual_cndmask_b32 v7, v32, v37 :: v_dual_lshlrev_b32 v30, 16, v30
	v_cmp_u_f32_e32 vcc_lo, v8, v8
	v_bfe_u32 v32, v2, 16, 1
	v_add3_u32 v37, v40, v1, 0x7fff
	v_bfe_u32 v40, v3, 16, 1
	s_wait_alu 0xfffd
	v_dual_cndmask_b32 v8, v38, v39 :: v_dual_lshlrev_b32 v13, 16, v13
	v_or_b32_e32 v38, 0x400000, v1
	v_cmp_u_f32_e32 vcc_lo, v1, v1
	v_add3_u32 v32, v32, v2, 0x7fff
	v_or_b32_e32 v39, 0x400000, v2
	v_add_co_u32 v11, s0, v11, 16
	s_wait_alu 0xfffd
	v_cndmask_b32_e32 v1, v37, v38, vcc_lo
	v_cmp_u_f32_e32 vcc_lo, v2, v2
	v_bfe_u32 v37, v4, 16, 1
	v_add_nc_u32_e32 v23, 0x80, v23
	s_wait_alu 0xf1ff
	v_add_co_ci_u32_e64 v12, null, 0, v12, s0
	s_wait_alu 0xfffd
	v_cndmask_b32_e32 v2, v32, v39, vcc_lo
	v_add3_u32 v32, v40, v3, 0x7fff
	v_or_b32_e32 v40, 0x400000, v3
	v_cmp_u_f32_e32 vcc_lo, v3, v3
	v_add3_u32 v37, v37, v4, 0x7fff
	v_and_b32_e32 v1, 0xffff0000, v1
	v_lshlrev_b32_e32 v35, 16, v35
	v_lshlrev_b32_e32 v36, 16, v36
	s_wait_alu 0xfffd
	v_dual_cndmask_b32 v3, v32, v40 :: v_dual_lshlrev_b32 v40, 16, v58
	v_cmp_u_f32_e32 vcc_lo, v4, v4
	v_lshlrev_b32_e32 v39, 16, v59
	v_mul_f32_e32 v35, v1, v35
	v_lshlrev_b32_e32 v33, 16, v33
	v_lshlrev_b32_e32 v28, 16, v28
	s_wait_alu 0xfffd
	v_cndmask_b32_e32 v4, v37, v41, vcc_lo
	v_dual_mul_f32 v39, v5, v39 :: v_dual_and_b32 v6, 0xffff0000, v6
	v_lshlrev_b32_e32 v26, 16, v26
	v_lshlrev_b32_e32 v27, 16, v27
	v_add_nc_u32_e32 v16, 4, v16
	v_add_nc_u32_e32 v22, 32, v22
	v_bfe_u32 v37, v39, 16, 1
	v_or_b32_e32 v46, 0x400000, v39
	v_mul_f32_e32 v26, v1, v26
	s_delay_alu instid0(VALU_DEP_3) | instskip(SKIP_1) | instid1(VALU_DEP_1)
	v_add3_u32 v37, v37, v39, 0x7fff
	v_lshlrev_b32_e32 v38, 16, v60
	v_dual_mul_f32 v38, v6, v38 :: v_dual_lshlrev_b32 v31, 16, v31
	v_mul_f32_e32 v30, v5, v30
	v_lshlrev_b32_e32 v24, 16, v24
	s_delay_alu instid0(VALU_DEP_3) | instskip(SKIP_3) | instid1(VALU_DEP_4)
	v_bfe_u32 v32, v38, 16, 1
	v_or_b32_e32 v41, 0x400000, v38
	v_cmp_u_f32_e32 vcc_lo, v38, v38
	v_mul_f32_e32 v31, v6, v31
	v_add3_u32 v32, v32, v38, 0x7fff
	s_wait_alu 0xfffd
	s_delay_alu instid0(VALU_DEP_1) | instskip(SKIP_1) | instid1(VALU_DEP_2)
	v_dual_cndmask_b32 v32, v32, v41 :: v_dual_and_b32 v7, 0xffff0000, v7
	v_cmp_u_f32_e32 vcc_lo, v39, v39
	v_dual_mul_f32 v28, v7, v28 :: v_dual_lshlrev_b32 v29, 16, v29
	s_wait_alu 0xfffd
	v_dual_cndmask_b32 v37, v37, v46 :: v_dual_lshlrev_b32 v46, 16, v55
	v_lshlrev_b32_e32 v57, 16, v57
	v_and_b32_e32 v8, 0xffff0000, v8
	s_delay_alu instid0(VALU_DEP_3) | instskip(NEXT) | instid1(VALU_DEP_2)
	v_and_b32_e32 v37, 0xffff0000, v37
	v_dual_mul_f32 v39, v7, v57 :: v_dual_mul_f32 v40, v8, v40
	v_mul_f32_e32 v29, v8, v29
	s_delay_alu instid0(VALU_DEP_2) | instskip(SKIP_2) | instid1(VALU_DEP_3)
	v_bfe_u32 v38, v40, 16, 1
	v_or_b32_e32 v55, 0x400000, v40
	v_cmp_u_f32_e32 vcc_lo, v40, v40
	v_add3_u32 v38, v38, v40, 0x7fff
	v_lshlrev_b32_e32 v41, 16, v56
	v_bfe_u32 v56, v39, 16, 1
	s_wait_alu 0xfffd
	s_delay_alu instid0(VALU_DEP_3) | instskip(SKIP_1) | instid1(VALU_DEP_3)
	v_cndmask_b32_e32 v38, v38, v55, vcc_lo
	v_or_b32_e32 v55, 0x400000, v39
	v_add3_u32 v40, v56, v39, 0x7fff
	v_cmp_u_f32_e32 vcc_lo, v39, v39
	s_wait_alu 0xfffd
	s_delay_alu instid0(VALU_DEP_2) | instskip(NEXT) | instid1(VALU_DEP_1)
	v_dual_cndmask_b32 v39, v40, v55 :: v_dual_and_b32 v2, 0xffff0000, v2
	v_dual_mul_f32 v41, v2, v41 :: v_dual_mul_f32 v46, v1, v46
	s_delay_alu instid0(VALU_DEP_2) | instskip(NEXT) | instid1(VALU_DEP_2)
	v_dual_mul_f32 v36, v2, v36 :: v_dual_and_b32 v39, 0xffff0000, v39
	v_bfe_u32 v56, v41, 16, 1
	s_delay_alu instid0(VALU_DEP_3) | instskip(SKIP_2) | instid1(VALU_DEP_4)
	v_bfe_u32 v57, v46, 16, 1
	v_or_b32_e32 v55, 0x400000, v41
	v_cmp_u_f32_e32 vcc_lo, v41, v41
	v_add3_u32 v40, v56, v41, 0x7fff
	s_delay_alu instid0(VALU_DEP_4)
	v_add3_u32 v56, v57, v46, 0x7fff
	v_lshlrev_b32_e32 v53, 16, v53
	v_or_b32_e32 v57, 0x400000, v46
	s_wait_alu 0xfffd
	v_cndmask_b32_e32 v40, v40, v55, vcc_lo
	v_cmp_u_f32_e32 vcc_lo, v46, v46
	s_wait_alu 0xfffd
	v_dual_cndmask_b32 v46, v56, v57 :: v_dual_and_b32 v3, 0xffff0000, v3
	s_delay_alu instid0(VALU_DEP_1) | instskip(SKIP_2) | instid1(VALU_DEP_3)
	v_dual_mul_f32 v41, v3, v53 :: v_dual_and_b32 v4, 0xffff0000, v4
	v_mul_f32_e32 v33, v3, v33
	v_dual_mul_f32 v24, v3, v24 :: v_dual_lshlrev_b32 v25, 16, v25
	v_mul_f32_e32 v54, v4, v54
	s_delay_alu instid0(VALU_DEP_4) | instskip(NEXT) | instid1(VALU_DEP_2)
	v_bfe_u32 v56, v41, 16, 1
	v_bfe_u32 v58, v54, 16, 1
	v_or_b32_e32 v55, 0x400000, v54
	v_cmp_u_f32_e32 vcc_lo, v54, v54
	s_delay_alu instid0(VALU_DEP_3) | instskip(SKIP_2) | instid1(VALU_DEP_2)
	v_add3_u32 v53, v58, v54, 0x7fff
	v_add3_u32 v54, v56, v41, 0x7fff
	s_wait_alu 0xfffd
	v_cndmask_b32_e32 v53, v53, v55, vcc_lo
	v_or_b32_e32 v55, 0x400000, v41
	v_cmp_u_f32_e32 vcc_lo, v41, v41
	s_wait_alu 0xfffd
	s_delay_alu instid0(VALU_DEP_2) | instskip(SKIP_1) | instid1(VALU_DEP_1)
	v_dual_cndmask_b32 v41, v54, v55 :: v_dual_and_b32 v38, 0xffff0000, v38
	v_and_b32_e32 v32, 0xffff0000, v32
	v_dual_add_f32 v32, v37, v32 :: v_dual_add_f32 v37, v39, v38
	v_and_b32_e32 v38, 0xffff0000, v46
	v_and_b32_e32 v39, 0xffff0000, v40
	v_lshlrev_b32_e32 v40, 16, v45
	s_delay_alu instid0(VALU_DEP_2) | instskip(NEXT) | instid1(VALU_DEP_2)
	v_dual_add_f32 v32, v37, v32 :: v_dual_add_f32 v37, v38, v39
	v_dual_mul_f32 v38, v6, v40 :: v_dual_and_b32 v39, 0xffff0000, v41
	v_and_b32_e32 v41, 0xffff0000, v53
	s_delay_alu instid0(VALU_DEP_3) | instskip(SKIP_1) | instid1(VALU_DEP_4)
	v_dual_add_f32 v32, v37, v32 :: v_dual_lshlrev_b32 v43, 16, v43
	v_lshlrev_b32_e32 v44, 16, v44
	v_cmp_u_f32_e32 vcc_lo, v38, v38
	s_delay_alu instid0(VALU_DEP_4) | instskip(NEXT) | instid1(VALU_DEP_3)
	v_add_f32_e32 v39, v39, v41
	v_dual_mul_f32 v41, v8, v43 :: v_dual_mul_f32 v40, v5, v44
	v_bfe_u32 v44, v38, 16, 1
	s_delay_alu instid0(VALU_DEP_2) | instskip(NEXT) | instid1(VALU_DEP_3)
	v_bfe_u32 v46, v41, 16, 1
	v_bfe_u32 v37, v40, 16, 1
	s_delay_alu instid0(VALU_DEP_3) | instskip(SKIP_2) | instid1(VALU_DEP_4)
	v_add3_u32 v43, v44, v38, 0x7fff
	v_or_b32_e32 v44, 0x400000, v38
	v_or_b32_e32 v45, 0x400000, v40
	v_add3_u32 v37, v37, v40, 0x7fff
	s_wait_alu 0xfffd
	s_delay_alu instid0(VALU_DEP_3)
	v_cndmask_b32_e32 v38, v43, v44, vcc_lo
	v_cmp_u_f32_e32 vcc_lo, v40, v40
	v_or_b32_e32 v43, 0x400000, v41
	s_wait_alu 0xfffd
	v_dual_cndmask_b32 v37, v37, v45 :: v_dual_mul_f32 v40, v7, v42
	v_add3_u32 v42, v46, v41, 0x7fff
	v_cmp_u_f32_e32 vcc_lo, v41, v41
	v_bfe_u32 v45, v35, 16, 1
	s_delay_alu instid0(VALU_DEP_4)
	v_and_b32_e32 v37, 0xffff0000, v37
	v_bfe_u32 v44, v40, 16, 1
	s_wait_alu 0xfffd
	v_cndmask_b32_e32 v41, v42, v43, vcc_lo
	v_or_b32_e32 v43, 0x400000, v40
	v_cmp_u_f32_e32 vcc_lo, v40, v40
	v_add3_u32 v42, v44, v40, 0x7fff
	v_bfe_u32 v44, v36, 16, 1
	v_and_b32_e32 v38, 0xffff0000, v38
	s_wait_alu 0xfffd
	s_delay_alu instid0(VALU_DEP_3) | instskip(NEXT) | instid1(VALU_DEP_3)
	v_dual_cndmask_b32 v40, v42, v43 :: v_dual_and_b32 v41, 0xffff0000, v41
	v_add3_u32 v42, v44, v36, 0x7fff
	v_or_b32_e32 v43, 0x400000, v36
	v_cmp_u_f32_e32 vcc_lo, v36, v36
	v_add3_u32 v44, v45, v35, 0x7fff
	v_or_b32_e32 v45, 0x400000, v35
	v_dual_add_f32 v37, v37, v38 :: v_dual_and_b32 v40, 0xffff0000, v40
	s_wait_alu 0xfffd
	v_cndmask_b32_e32 v36, v42, v43, vcc_lo
	v_cmp_u_f32_e32 vcc_lo, v35, v35
	s_wait_alu 0xfffd
	v_dual_cndmask_b32 v35, v44, v45 :: v_dual_lshlrev_b32 v34, 16, v34
	s_delay_alu instid0(VALU_DEP_1) | instskip(SKIP_2) | instid1(VALU_DEP_4)
	v_mul_f32_e32 v34, v4, v34
	v_add_f32_e32 v38, v40, v41
	v_or_b32_e32 v41, 0x400000, v33
	v_and_b32_e32 v35, 0xffff0000, v35
	s_delay_alu instid0(VALU_DEP_4) | instskip(SKIP_3) | instid1(VALU_DEP_4)
	v_bfe_u32 v46, v34, 16, 1
	v_or_b32_e32 v43, 0x400000, v34
	v_cmp_u_f32_e32 vcc_lo, v34, v34
	v_dual_add_f32 v37, v38, v37 :: v_dual_and_b32 v36, 0xffff0000, v36
	v_add3_u32 v42, v46, v34, 0x7fff
	v_bfe_u32 v38, v30, 16, 1
	s_delay_alu instid0(VALU_DEP_3)
	v_add_f32_e32 v35, v35, v36
	v_bfe_u32 v36, v31, 16, 1
	s_wait_alu 0xfffd
	v_cndmask_b32_e32 v34, v42, v43, vcc_lo
	v_bfe_u32 v42, v33, 16, 1
	v_cmp_u_f32_e32 vcc_lo, v33, v33
	v_add_f32_e32 v35, v35, v37
	v_add3_u32 v36, v36, v31, 0x7fff
	v_or_b32_e32 v37, 0x400000, v31
	v_add3_u32 v40, v42, v33, 0x7fff
	s_wait_alu 0xfffd
	s_delay_alu instid0(VALU_DEP_1)
	v_dual_cndmask_b32 v33, v40, v41 :: v_dual_and_b32 v34, 0xffff0000, v34
	v_cmp_u_f32_e32 vcc_lo, v31, v31
	v_or_b32_e32 v40, 0x400000, v29
	s_wait_alu 0xfffd
	v_cndmask_b32_e32 v31, v36, v37, vcc_lo
	v_bfe_u32 v36, v29, 16, 1
	v_add3_u32 v37, v38, v30, 0x7fff
	v_or_b32_e32 v38, 0x400000, v30
	v_cmp_u_f32_e32 vcc_lo, v30, v30
	v_and_b32_e32 v33, 0xffff0000, v33
	v_add3_u32 v36, v36, v29, 0x7fff
	s_wait_alu 0xfffd
	v_cndmask_b32_e32 v30, v37, v38, vcc_lo
	v_bfe_u32 v37, v28, 16, 1
	v_cmp_u_f32_e32 vcc_lo, v29, v29
	v_or_b32_e32 v38, 0x400000, v28
	s_delay_alu instid0(VALU_DEP_4) | instskip(NEXT) | instid1(VALU_DEP_4)
	v_and_b32_e32 v30, 0xffff0000, v30
	v_add3_u32 v37, v37, v28, 0x7fff
	s_wait_alu 0xfffd
	v_cndmask_b32_e32 v29, v36, v40, vcc_lo
	v_cmp_u_f32_e32 vcc_lo, v28, v28
	v_mul_f32_e32 v27, v2, v27
	s_wait_alu 0xfffd
	s_delay_alu instid0(VALU_DEP_3) | instskip(NEXT) | instid1(VALU_DEP_2)
	v_dual_cndmask_b32 v28, v37, v38 :: v_dual_and_b32 v29, 0xffff0000, v29
	v_bfe_u32 v36, v27, 16, 1
	v_mul_f32_e32 v25, v4, v25
	v_or_b32_e32 v40, 0x400000, v27
	v_bfe_u32 v37, v26, 16, 1
	v_cmp_u_f32_e32 vcc_lo, v27, v27
	v_add3_u32 v36, v36, v27, 0x7fff
	v_and_b32_e32 v28, 0xffff0000, v28
	v_bfe_u32 v38, v25, 16, 1
	v_dual_mul_f32 v4, v4, v13 :: v_dual_and_b32 v31, 0xffff0000, v31
	s_delay_alu instid0(VALU_DEP_3) | instskip(SKIP_1) | instid1(VALU_DEP_2)
	v_add_f32_e32 v28, v28, v29
	s_wait_alu 0xfffd
	v_dual_cndmask_b32 v27, v36, v40 :: v_dual_add_f32 v30, v30, v31
	v_add3_u32 v36, v37, v26, 0x7fff
	v_or_b32_e32 v37, 0x400000, v26
	v_cmp_u_f32_e32 vcc_lo, v26, v26
	v_add3_u32 v38, v38, v25, 0x7fff
	v_or_b32_e32 v40, 0x400000, v25
	v_dual_add_f32 v28, v28, v30 :: v_dual_lshlrev_b32 v29, 16, v51
	s_wait_alu 0xfffd
	v_cndmask_b32_e32 v26, v36, v37, vcc_lo
	v_cmp_u_f32_e32 vcc_lo, v25, v25
	v_bfe_u32 v36, v24, 16, 1
	v_or_b32_e32 v37, 0x400000, v24
	s_wait_alu 0xfffd
	v_cndmask_b32_e32 v25, v38, v40, vcc_lo
	s_delay_alu instid0(VALU_DEP_3) | instskip(SKIP_3) | instid1(VALU_DEP_3)
	v_add3_u32 v36, v36, v24, 0x7fff
	v_and_b32_e32 v26, 0xffff0000, v26
	v_cmp_u_f32_e32 vcc_lo, v24, v24
	s_wait_alu 0xfffd
	v_dual_cndmask_b32 v24, v36, v37 :: v_dual_and_b32 v27, 0xffff0000, v27
	s_delay_alu instid0(VALU_DEP_1) | instskip(NEXT) | instid1(VALU_DEP_1)
	v_dual_add_f32 v26, v26, v27 :: v_dual_lshlrev_b32 v27, 16, v50
	v_dual_mul_f32 v7, v7, v27 :: v_dual_lshlrev_b32 v38, 16, v52
	s_delay_alu instid0(VALU_DEP_1) | instskip(NEXT) | instid1(VALU_DEP_1)
	v_mul_f32_e32 v5, v5, v38
	v_bfe_u32 v30, v5, 16, 1
	v_cmp_u_f32_e32 vcc_lo, v5, v5
	v_mul_f32_e32 v6, v6, v29
	s_delay_alu instid0(VALU_DEP_3) | instskip(SKIP_2) | instid1(VALU_DEP_1)
	v_add3_u32 v29, v30, v5, 0x7fff
	v_or_b32_e32 v30, 0x400000, v5
	s_wait_alu 0xfffd
	v_cndmask_b32_e32 v5, v29, v30, vcc_lo
	v_bfe_u32 v31, v6, 16, 1
	v_or_b32_e32 v30, 0x400000, v6
	v_cmp_u_f32_e32 vcc_lo, v6, v6
	s_delay_alu instid0(VALU_DEP_3) | instskip(SKIP_3) | instid1(VALU_DEP_3)
	v_add3_u32 v29, v31, v6, 0x7fff
	v_lshlrev_b32_e32 v27, 16, v49
	v_bfe_u32 v31, v7, 16, 1
	s_wait_alu 0xfffd
	v_cndmask_b32_e32 v6, v29, v30, vcc_lo
	s_delay_alu instid0(VALU_DEP_3) | instskip(NEXT) | instid1(VALU_DEP_3)
	v_dual_mul_f32 v8, v8, v27 :: v_dual_lshlrev_b32 v27, 16, v48
	v_add3_u32 v29, v31, v7, 0x7fff
	v_or_b32_e32 v30, 0x400000, v7
	v_cmp_u_f32_e32 vcc_lo, v7, v7
	s_delay_alu instid0(VALU_DEP_4) | instskip(SKIP_3) | instid1(VALU_DEP_3)
	v_bfe_u32 v31, v8, 16, 1
	v_dual_mul_f32 v1, v1, v27 :: v_dual_and_b32 v24, 0xffff0000, v24
	s_wait_alu 0xfffd
	v_cndmask_b32_e32 v7, v29, v30, vcc_lo
	v_add3_u32 v29, v31, v8, 0x7fff
	v_or_b32_e32 v30, 0x400000, v8
	v_bfe_u32 v31, v1, 16, 1
	v_cmp_u_f32_e32 vcc_lo, v8, v8
	v_lshlrev_b32_e32 v27, 16, v47
	v_or_b32_e32 v13, 0x400000, v1
	s_wait_alu 0xfffd
	v_dual_cndmask_b32 v8, v29, v30 :: v_dual_and_b32 v7, 0xffff0000, v7
	v_add3_u32 v29, v31, v1, 0x7fff
	v_cmp_u_f32_e32 vcc_lo, v1, v1
	v_lshlrev_b32_e32 v14, 16, v14
	v_bfe_u32 v31, v4, 16, 1
	s_wait_alu 0xfffd
	v_dual_cndmask_b32 v1, v29, v13 :: v_dual_mul_f32 v2, v2, v27
	s_delay_alu instid0(VALU_DEP_3) | instskip(NEXT) | instid1(VALU_DEP_2)
	v_mul_f32_e32 v3, v3, v14
	v_and_b32_e32 v1, 0xffff0000, v1
	s_delay_alu instid0(VALU_DEP_3) | instskip(SKIP_1) | instid1(VALU_DEP_4)
	v_bfe_u32 v27, v2, 16, 1
	v_cmp_u_f32_e32 vcc_lo, v2, v2
	v_bfe_u32 v30, v3, 16, 1
	v_or_b32_e32 v29, 0x400000, v3
	s_delay_alu instid0(VALU_DEP_4) | instskip(SKIP_1) | instid1(VALU_DEP_4)
	v_add3_u32 v14, v27, v2, 0x7fff
	v_or_b32_e32 v27, 0x400000, v2
	v_add3_u32 v13, v30, v3, 0x7fff
	s_wait_alu 0xfffd
	s_delay_alu instid0(VALU_DEP_2) | instskip(SKIP_4) | instid1(VALU_DEP_2)
	v_cndmask_b32_e32 v2, v14, v27, vcc_lo
	v_add3_u32 v14, v31, v4, 0x7fff
	v_or_b32_e32 v27, 0x400000, v4
	v_cmp_u_f32_e32 vcc_lo, v4, v4
	s_wait_alu 0xfffd
	v_dual_cndmask_b32 v4, v14, v27 :: v_dual_and_b32 v5, 0xffff0000, v5
	v_cmp_u_f32_e32 vcc_lo, v3, v3
	s_wait_alu 0xfffd
	v_dual_cndmask_b32 v3, v13, v29 :: v_dual_and_b32 v6, 0xffff0000, v6
	s_delay_alu instid0(VALU_DEP_1) | instskip(SKIP_2) | instid1(VALU_DEP_2)
	v_dual_add_f32 v5, v5, v6 :: v_dual_and_b32 v8, 0xffff0000, v8
	v_and_b32_e32 v2, 0xffff0000, v2
	v_cmp_le_i32_e32 vcc_lo, s21, v16
	v_dual_add_f32 v1, v1, v2 :: v_dual_and_b32 v2, 0xffff0000, v4
	v_add_f32_e32 v4, v33, v34
	v_dual_add_f32 v6, v7, v8 :: v_dual_and_b32 v7, 0xffff0000, v25
	s_or_b32 s8, vcc_lo, s8
	s_delay_alu instid0(VALU_DEP_1) | instskip(SKIP_1) | instid1(VALU_DEP_2)
	v_dual_add_f32 v4, v4, v35 :: v_dual_add_f32 v5, v6, v5
	v_dual_add_f32 v6, v26, v28 :: v_dual_and_b32 v3, 0xffff0000, v3
	v_dual_add_f32 v20, v20, v4 :: v_dual_add_f32 v1, v1, v5
	s_delay_alu instid0(VALU_DEP_2) | instskip(NEXT) | instid1(VALU_DEP_1)
	v_dual_add_f32 v7, v24, v7 :: v_dual_add_f32 v2, v3, v2
	v_add_f32_e32 v5, v7, v6
	s_delay_alu instid0(VALU_DEP_2) | instskip(SKIP_1) | instid1(VALU_DEP_3)
	v_add_f32_e32 v1, v2, v1
	v_add_f32_e32 v3, v39, v32
	;; [unrolled: 1-line block ×3, first 2 shown]
	s_delay_alu instid0(VALU_DEP_2)
	v_dual_add_f32 v18, v18, v1 :: v_dual_add_f32 v19, v19, v3
	s_wait_alu 0xfffe
	s_and_not1_b32 exec_lo, exec_lo, s8
	s_cbranch_execz .LBB328_41
.LBB328_33:                             ; =>This Inner Loop Header: Depth=1
	global_load_b32 v1, v[11:12], off
	s_wait_alu 0xfffe
	v_cmp_eq_u32_e32 vcc_lo, s26, v16
	v_add_nc_u32_e32 v37, -2, v22
	s_wait_loadcnt 0x0
	v_mad_co_i64_i32 v[13:14], null, v1, s5, v[9:10]
	global_load_b64 v[24:25], v[13:14], off
	ds_load_2addr_b64 v[5:8], v23 offset1:1
	ds_load_2addr_b64 v[1:4], v23 offset0:2 offset1:3
	s_wait_loadcnt 0x0
	v_and_b32_e32 v29, 0xff, v25
	v_bfe_u32 v30, v25, 8, 8
	v_bfe_u32 v31, v25, 16, 8
	v_lshrrev_b32_e32 v25, 24, v25
	v_bfe_u32 v27, v24, 8, 8
	v_bfe_u32 v28, v24, 16, 8
	v_cvt_f32_fp8_e32 v30, v30
	v_cvt_f32_fp8_e32 v31, v31
	;; [unrolled: 1-line block ×3, first 2 shown]
	v_and_b32_e32 v26, 0xff, v24
	v_cvt_f32_fp8_e32 v27, v27
	v_add_nc_u32_e32 v32, -7, v22
	v_lshrrev_b32_e32 v24, 24, v24
	v_mul_f32_e32 v25, s3, v25
	v_cvt_f32_fp8_e32 v26, v26
	v_cvt_f32_fp8_e32 v28, v28
	v_mul_f32_e32 v27, s3, v27
	v_add_nc_u32_e32 v41, -6, v22
	v_cvt_f32_fp8_e32 v24, v24
	v_mul_f32_e32 v26, s3, v26
	v_mul_f32_e32 v28, s3, v28
	v_bfe_u32 v35, v27, 16, 1
	s_delay_alu instid0(VALU_DEP_4) | instskip(NEXT) | instid1(VALU_DEP_4)
	v_dual_mul_f32 v24, s3, v24 :: v_dual_add_nc_u32 v39, -4, v22
	v_bfe_u32 v33, v26, 16, 1
	v_or_b32_e32 v34, 0x400000, v26
	v_cmp_u_f32_e64 s0, v26, v26
	v_cvt_f32_fp8_e32 v29, v29
	v_or_b32_e32 v36, 0x400000, v27
	v_add3_u32 v33, v33, v26, 0x7fff
	v_bfe_u32 v42, v28, 16, 1
	v_add3_u32 v35, v35, v27, 0x7fff
	v_dual_mul_f32 v29, s3, v29 :: v_dual_add_nc_u32 v40, -5, v22
	s_wait_alu 0xf1ff
	v_cndmask_b32_e64 v26, v33, v34, s0
	v_cmp_u_f32_e64 s0, v27, v27
	v_or_b32_e32 v43, 0x400000, v28
	v_bfe_u32 v44, v24, 16, 1
	v_add3_u32 v42, v42, v28, 0x7fff
	v_mul_f32_e32 v30, s3, v30
	s_wait_alu 0xf1ff
	v_cndmask_b32_e64 v27, v35, v36, s0
	v_cmp_u_f32_e64 s0, v28, v28
	v_or_b32_e32 v45, 0x400000, v24
	v_bfe_u32 v46, v29, 16, 1
	v_add3_u32 v44, v44, v24, 0x7fff
	v_dual_mul_f32 v31, s3, v31 :: v_dual_add_nc_u32 v38, -3, v22
	s_wait_alu 0xf1ff
	v_cndmask_b32_e64 v28, v42, v43, s0
	v_cmp_u_f32_e64 s0, v24, v24
	v_or_b32_e32 v47, 0x400000, v29
	v_bfe_u32 v48, v30, 16, 1
	v_add3_u32 v46, v46, v29, 0x7fff
	v_or_b32_e32 v49, 0x400000, v30
	s_wait_alu 0xf1ff
	v_cndmask_b32_e64 v24, v44, v45, s0
	v_cmp_u_f32_e64 s0, v29, v29
	v_bfe_u32 v50, v31, 16, 1
	v_add3_u32 v48, v48, v30, 0x7fff
	v_or_b32_e32 v51, 0x400000, v31
	v_bfe_u32 v52, v25, 16, 1
	s_wait_alu 0xf1ff
	v_cndmask_b32_e64 v33, v46, v47, s0
	v_cmp_u_f32_e64 s0, v30, v30
	v_add3_u32 v50, v50, v31, 0x7fff
	v_or_b32_e32 v53, 0x400000, v25
	v_add3_u32 v52, v52, v25, 0x7fff
	v_lshrrev_b32_e32 v30, 16, v26
	s_wait_alu 0xf1ff
	v_cndmask_b32_e64 v34, v48, v49, s0
	v_cmp_u_f32_e64 s0, v31, v31
	v_lshrrev_b32_e32 v31, 16, v27
	v_lshrrev_b32_e32 v28, 16, v28
	v_lshrrev_b32_e32 v29, 16, v24
	v_lshrrev_b32_e32 v26, 16, v33
	s_wait_alu 0xf1ff
	v_cndmask_b32_e64 v35, v50, v51, s0
	v_cmp_u_f32_e64 s0, v25, v25
	v_lshrrev_b32_e32 v27, 16, v34
	v_add_nc_u32_e32 v46, -1, v22
	s_delay_alu instid0(VALU_DEP_4) | instskip(SKIP_2) | instid1(VALU_DEP_1)
	v_lshrrev_b32_e32 v24, 16, v35
	s_wait_alu 0xf1ff
	v_cndmask_b32_e64 v25, v52, v53, s0
	v_lshrrev_b32_e32 v25, 16, v25
	s_and_saveexec_b32 s9, vcc_lo
	s_cbranch_execz .LBB328_35
; %bb.34:                               ;   in Loop: Header=BB328_33 Depth=1
	v_cmp_gt_i32_e64 s0, s29, v32
	s_wait_alu 0xf1ff
	s_delay_alu instid0(VALU_DEP_1) | instskip(SKIP_2) | instid1(VALU_DEP_1)
	v_cndmask_b32_e64 v30, 0, v30, s0
	v_cmp_gt_i32_e64 s0, s29, v41
	s_wait_alu 0xf1ff
	v_cndmask_b32_e64 v31, 0, v31, s0
	v_cmp_gt_i32_e64 s0, s29, v40
	s_wait_alu 0xf1ff
	s_delay_alu instid0(VALU_DEP_1) | instskip(SKIP_2) | instid1(VALU_DEP_1)
	v_cndmask_b32_e64 v28, 0, v28, s0
	v_cmp_gt_i32_e64 s0, s29, v39
	s_wait_alu 0xf1ff
	v_cndmask_b32_e64 v29, 0, v29, s0
	;; [unrolled: 7-line block ×4, first 2 shown]
.LBB328_35:                             ;   in Loop: Header=BB328_33 Depth=1
	s_wait_alu 0xfffe
	s_or_b32 exec_lo, exec_lo, s9
	global_load_b64 v[33:34], v[13:14], off offset:256
	s_wait_loadcnt 0x0
	v_bfe_u32 v36, v33, 8, 8
	v_bfe_u32 v42, v33, 16, 8
	;; [unrolled: 1-line block ×4, first 2 shown]
	s_delay_alu instid0(VALU_DEP_4)
	v_cvt_f32_fp8_e32 v36, v36
	v_and_b32_e32 v35, 0xff, v33
	v_cvt_f32_fp8_e32 v42, v42
	v_lshrrev_b32_e32 v33, 24, v33
	v_cvt_f32_fp8_e32 v44, v44
	v_mul_f32_e32 v36, s3, v36
	v_cvt_f32_fp8_e32 v35, v35
	v_and_b32_e32 v43, 0xff, v34
	v_lshrrev_b32_e32 v34, 24, v34
	v_cvt_f32_fp8_e32 v33, v33
	s_delay_alu instid0(VALU_DEP_4) | instskip(SKIP_1) | instid1(VALU_DEP_4)
	v_dual_mul_f32 v42, s3, v42 :: v_dual_mul_f32 v35, s3, v35
	v_bfe_u32 v49, v36, 16, 1
	v_cvt_f32_fp8_e32 v34, v34
	s_delay_alu instid0(VALU_DEP_4) | instskip(NEXT) | instid1(VALU_DEP_4)
	v_dual_mul_f32 v33, s3, v33 :: v_dual_mul_f32 v44, s3, v44
	v_bfe_u32 v47, v35, 16, 1
	v_or_b32_e32 v48, 0x400000, v35
	v_cmp_u_f32_e64 s0, v35, v35
	v_cvt_f32_fp8_e32 v43, v43
	v_or_b32_e32 v50, 0x400000, v36
	v_add3_u32 v47, v47, v35, 0x7fff
	v_bfe_u32 v51, v42, 16, 1
	v_add3_u32 v49, v49, v36, 0x7fff
	v_dual_mul_f32 v43, s3, v43 :: v_dual_mul_f32 v34, s3, v34
	s_wait_alu 0xf1ff
	v_cndmask_b32_e64 v35, v47, v48, s0
	v_cmp_u_f32_e64 s0, v36, v36
	v_or_b32_e32 v52, 0x400000, v42
	v_bfe_u32 v53, v33, 16, 1
	v_add3_u32 v51, v51, v42, 0x7fff
	v_cvt_f32_fp8_e32 v45, v45
	s_wait_alu 0xf1ff
	v_cndmask_b32_e64 v36, v49, v50, s0
	v_cmp_u_f32_e64 s0, v42, v42
	v_or_b32_e32 v54, 0x400000, v33
	v_bfe_u32 v55, v43, 16, 1
	v_add3_u32 v53, v53, v33, 0x7fff
	v_mul_f32_e32 v45, s3, v45
	s_wait_alu 0xf1ff
	v_cndmask_b32_e64 v42, v51, v52, s0
	v_cmp_u_f32_e64 s0, v33, v33
	v_or_b32_e32 v56, 0x400000, v43
	v_bfe_u32 v57, v44, 16, 1
	v_add3_u32 v55, v55, v43, 0x7fff
	v_or_b32_e32 v58, 0x400000, v44
	s_wait_alu 0xf1ff
	v_cndmask_b32_e64 v33, v53, v54, s0
	v_cmp_u_f32_e64 s0, v43, v43
	v_bfe_u32 v59, v45, 16, 1
	v_add3_u32 v57, v57, v44, 0x7fff
	v_or_b32_e32 v60, 0x400000, v45
	v_bfe_u32 v61, v34, 16, 1
	s_wait_alu 0xf1ff
	v_cndmask_b32_e64 v47, v55, v56, s0
	v_cmp_u_f32_e64 s0, v44, v44
	v_add3_u32 v59, v59, v45, 0x7fff
	v_or_b32_e32 v62, 0x400000, v34
	v_add3_u32 v61, v61, v34, 0x7fff
	v_lshrrev_b32_e32 v44, 16, v35
	s_wait_alu 0xf1ff
	v_cndmask_b32_e64 v48, v57, v58, s0
	v_cmp_u_f32_e64 s0, v45, v45
	v_lshrrev_b32_e32 v45, 16, v36
	v_lshrrev_b32_e32 v42, 16, v42
	;; [unrolled: 1-line block ×4, first 2 shown]
	s_wait_alu 0xf1ff
	v_cndmask_b32_e64 v49, v59, v60, s0
	v_cmp_u_f32_e64 s0, v34, v34
	v_lshrrev_b32_e32 v36, 16, v48
	s_delay_alu instid0(VALU_DEP_3) | instskip(SKIP_1) | instid1(VALU_DEP_3)
	v_lshrrev_b32_e32 v33, 16, v49
	s_wait_alu 0xf1ff
	v_cndmask_b32_e64 v34, v61, v62, s0
	s_delay_alu instid0(VALU_DEP_1)
	v_lshrrev_b32_e32 v34, 16, v34
	s_and_saveexec_b32 s9, vcc_lo
	s_cbranch_execz .LBB328_37
; %bb.36:                               ;   in Loop: Header=BB328_33 Depth=1
	v_cmp_gt_i32_e64 s0, s29, v32
	s_wait_alu 0xf1ff
	s_delay_alu instid0(VALU_DEP_1) | instskip(SKIP_2) | instid1(VALU_DEP_1)
	v_cndmask_b32_e64 v44, 0, v44, s0
	v_cmp_gt_i32_e64 s0, s29, v41
	s_wait_alu 0xf1ff
	v_cndmask_b32_e64 v45, 0, v45, s0
	v_cmp_gt_i32_e64 s0, s29, v40
	s_wait_alu 0xf1ff
	s_delay_alu instid0(VALU_DEP_1) | instskip(SKIP_2) | instid1(VALU_DEP_1)
	v_cndmask_b32_e64 v42, 0, v42, s0
	v_cmp_gt_i32_e64 s0, s29, v39
	s_wait_alu 0xf1ff
	v_cndmask_b32_e64 v43, 0, v43, s0
	;; [unrolled: 7-line block ×4, first 2 shown]
.LBB328_37:                             ;   in Loop: Header=BB328_33 Depth=1
	s_wait_alu 0xfffe
	s_or_b32 exec_lo, exec_lo, s9
	global_load_b64 v[47:48], v[13:14], off offset:512
	s_wait_loadcnt 0x0
	v_bfe_u32 v50, v47, 8, 8
	v_bfe_u32 v51, v47, 16, 8
	;; [unrolled: 1-line block ×4, first 2 shown]
	s_delay_alu instid0(VALU_DEP_4)
	v_cvt_f32_fp8_e32 v50, v50
	v_and_b32_e32 v49, 0xff, v47
	v_lshrrev_b32_e32 v47, 24, v47
	v_cvt_f32_fp8_e32 v51, v51
	v_cvt_f32_fp8_e32 v54, v54
	v_mul_f32_e32 v50, s3, v50
	v_cvt_f32_fp8_e32 v49, v49
	v_and_b32_e32 v52, 0xff, v48
	v_cvt_f32_fp8_e32 v47, v47
	v_lshrrev_b32_e32 v48, 24, v48
	v_bfe_u32 v57, v50, 16, 1
	v_mul_f32_e32 v49, s3, v49
	v_cvt_f32_fp8_e32 v52, v52
	v_mul_f32_e32 v51, s3, v51
	v_dual_mul_f32 v47, s3, v47 :: v_dual_mul_f32 v54, s3, v54
	s_delay_alu instid0(VALU_DEP_4)
	v_bfe_u32 v55, v49, 16, 1
	v_or_b32_e32 v56, 0x400000, v49
	v_cmp_u_f32_e64 s0, v49, v49
	v_mul_f32_e32 v52, s3, v52
	v_or_b32_e32 v58, 0x400000, v50
	v_add3_u32 v55, v55, v49, 0x7fff
	v_bfe_u32 v59, v51, 16, 1
	v_add3_u32 v57, v57, v50, 0x7fff
	v_cvt_f32_fp8_e32 v53, v53
	v_or_b32_e32 v60, 0x400000, v51
	s_wait_alu 0xf1ff
	v_cndmask_b32_e64 v49, v55, v56, s0
	v_cmp_u_f32_e64 s0, v50, v50
	v_bfe_u32 v61, v47, 16, 1
	v_add3_u32 v59, v59, v51, 0x7fff
	v_cvt_f32_fp8_e32 v48, v48
	v_mul_f32_e32 v53, s3, v53
	s_wait_alu 0xf1ff
	v_cndmask_b32_e64 v50, v57, v58, s0
	v_cmp_u_f32_e64 s0, v51, v51
	v_or_b32_e32 v62, 0x400000, v47
	v_bfe_u32 v63, v52, 16, 1
	v_add3_u32 v61, v61, v47, 0x7fff
	v_mul_f32_e32 v48, s3, v48
	s_wait_alu 0xf1ff
	v_cndmask_b32_e64 v51, v59, v60, s0
	v_cmp_u_f32_e64 s0, v47, v47
	v_or_b32_e32 v64, 0x400000, v52
	v_bfe_u32 v65, v53, 16, 1
	v_add3_u32 v63, v63, v52, 0x7fff
	v_or_b32_e32 v66, 0x400000, v53
	s_wait_alu 0xf1ff
	v_cndmask_b32_e64 v47, v61, v62, s0
	v_cmp_u_f32_e64 s0, v52, v52
	v_bfe_u32 v67, v54, 16, 1
	v_add3_u32 v65, v65, v53, 0x7fff
	v_or_b32_e32 v68, 0x400000, v54
	v_bfe_u32 v69, v48, 16, 1
	s_wait_alu 0xf1ff
	v_cndmask_b32_e64 v52, v63, v64, s0
	v_cmp_u_f32_e64 s0, v53, v53
	v_add3_u32 v67, v67, v54, 0x7fff
	v_or_b32_e32 v70, 0x400000, v48
	v_add3_u32 v69, v69, v48, 0x7fff
	v_lshrrev_b32_e32 v59, 16, v49
	s_wait_alu 0xf1ff
	v_cndmask_b32_e64 v53, v65, v66, s0
	v_cmp_u_f32_e64 s0, v54, v54
	v_lshrrev_b32_e32 v60, 16, v50
	v_lshrrev_b32_e32 v57, 16, v51
	;; [unrolled: 1-line block ×4, first 2 shown]
	s_wait_alu 0xf1ff
	v_cndmask_b32_e64 v54, v67, v68, s0
	v_cmp_u_f32_e64 s0, v48, v48
	v_lshrrev_b32_e32 v56, 16, v53
	s_delay_alu instid0(VALU_DEP_3) | instskip(SKIP_1) | instid1(VALU_DEP_3)
	v_lshrrev_b32_e32 v53, 16, v54
	s_wait_alu 0xf1ff
	v_cndmask_b32_e64 v48, v69, v70, s0
	s_delay_alu instid0(VALU_DEP_1)
	v_lshrrev_b32_e32 v54, 16, v48
	s_and_saveexec_b32 s9, vcc_lo
	s_cbranch_execz .LBB328_39
; %bb.38:                               ;   in Loop: Header=BB328_33 Depth=1
	v_cmp_gt_i32_e64 s0, s29, v32
	s_wait_alu 0xf1ff
	s_delay_alu instid0(VALU_DEP_1) | instskip(SKIP_2) | instid1(VALU_DEP_1)
	v_cndmask_b32_e64 v59, 0, v59, s0
	v_cmp_gt_i32_e64 s0, s29, v41
	s_wait_alu 0xf1ff
	v_cndmask_b32_e64 v60, 0, v60, s0
	v_cmp_gt_i32_e64 s0, s29, v40
	s_wait_alu 0xf1ff
	s_delay_alu instid0(VALU_DEP_1) | instskip(SKIP_2) | instid1(VALU_DEP_1)
	v_cndmask_b32_e64 v57, 0, v57, s0
	v_cmp_gt_i32_e64 s0, s29, v39
	s_wait_alu 0xf1ff
	v_cndmask_b32_e64 v58, 0, v58, s0
	;; [unrolled: 7-line block ×4, first 2 shown]
.LBB328_39:                             ;   in Loop: Header=BB328_33 Depth=1
	s_wait_alu 0xfffe
	s_or_b32 exec_lo, exec_lo, s9
	global_load_b64 v[13:14], v[13:14], off offset:768
	s_wait_loadcnt 0x0
	v_bfe_u32 v48, v13, 8, 8
	v_bfe_u32 v49, v13, 16, 8
	;; [unrolled: 1-line block ×4, first 2 shown]
	s_delay_alu instid0(VALU_DEP_4)
	v_cvt_f32_fp8_e32 v48, v48
	v_and_b32_e32 v47, 0xff, v13
	v_lshrrev_b32_e32 v13, 24, v13
	v_cvt_f32_fp8_e32 v49, v49
	v_cvt_f32_fp8_e32 v52, v52
	v_mul_f32_e32 v48, s3, v48
	v_cvt_f32_fp8_e32 v47, v47
	v_and_b32_e32 v50, 0xff, v14
	v_cvt_f32_fp8_e32 v13, v13
	v_lshrrev_b32_e32 v14, 24, v14
	v_bfe_u32 v63, v48, 16, 1
	v_mul_f32_e32 v47, s3, v47
	v_cvt_f32_fp8_e32 v50, v50
	v_mul_f32_e32 v49, s3, v49
	v_dual_mul_f32 v13, s3, v13 :: v_dual_mul_f32 v52, s3, v52
	s_delay_alu instid0(VALU_DEP_4)
	v_bfe_u32 v61, v47, 16, 1
	v_or_b32_e32 v62, 0x400000, v47
	v_cmp_u_f32_e64 s0, v47, v47
	v_mul_f32_e32 v50, s3, v50
	v_or_b32_e32 v64, 0x400000, v48
	v_add3_u32 v61, v61, v47, 0x7fff
	v_bfe_u32 v65, v49, 16, 1
	v_add3_u32 v63, v63, v48, 0x7fff
	v_cvt_f32_fp8_e32 v51, v51
	v_or_b32_e32 v66, 0x400000, v49
	s_wait_alu 0xf1ff
	v_cndmask_b32_e64 v47, v61, v62, s0
	v_cmp_u_f32_e64 s0, v48, v48
	v_bfe_u32 v67, v13, 16, 1
	v_add3_u32 v65, v65, v49, 0x7fff
	v_cvt_f32_fp8_e32 v14, v14
	v_mul_f32_e32 v51, s3, v51
	s_wait_alu 0xf1ff
	v_cndmask_b32_e64 v48, v63, v64, s0
	v_cmp_u_f32_e64 s0, v49, v49
	v_or_b32_e32 v68, 0x400000, v13
	v_bfe_u32 v69, v50, 16, 1
	v_add3_u32 v67, v67, v13, 0x7fff
	v_mul_f32_e32 v14, s3, v14
	s_wait_alu 0xf1ff
	v_cndmask_b32_e64 v49, v65, v66, s0
	v_cmp_u_f32_e64 s0, v13, v13
	v_or_b32_e32 v70, 0x400000, v50
	v_bfe_u32 v71, v51, 16, 1
	v_add3_u32 v69, v69, v50, 0x7fff
	v_or_b32_e32 v72, 0x400000, v51
	s_wait_alu 0xf1ff
	v_cndmask_b32_e64 v13, v67, v68, s0
	v_cmp_u_f32_e64 s0, v50, v50
	v_bfe_u32 v73, v52, 16, 1
	v_add3_u32 v71, v71, v51, 0x7fff
	v_or_b32_e32 v74, 0x400000, v52
	v_bfe_u32 v75, v14, 16, 1
	s_wait_alu 0xf1ff
	v_cndmask_b32_e64 v61, v69, v70, s0
	v_cmp_u_f32_e64 s0, v51, v51
	v_add3_u32 v73, v73, v52, 0x7fff
	v_or_b32_e32 v76, 0x400000, v14
	v_add3_u32 v75, v75, v14, 0x7fff
	v_lshrrev_b32_e32 v51, 16, v48
	s_wait_alu 0xf1ff
	v_cndmask_b32_e64 v62, v71, v72, s0
	v_cmp_u_f32_e64 s0, v52, v52
	v_lshrrev_b32_e32 v52, 16, v47
	v_lshrrev_b32_e32 v50, 16, v49
	;; [unrolled: 1-line block ×4, first 2 shown]
	s_wait_alu 0xf1ff
	v_cndmask_b32_e64 v63, v73, v74, s0
	v_cmp_u_f32_e64 s0, v14, v14
	v_lshrrev_b32_e32 v47, 16, v62
	s_delay_alu instid0(VALU_DEP_3) | instskip(SKIP_1) | instid1(VALU_DEP_3)
	v_lshrrev_b32_e32 v14, 16, v63
	s_wait_alu 0xf1ff
	v_cndmask_b32_e64 v64, v75, v76, s0
	s_delay_alu instid0(VALU_DEP_1)
	v_lshrrev_b32_e32 v13, 16, v64
	s_and_saveexec_b32 s0, vcc_lo
	s_cbranch_execz .LBB328_32
; %bb.40:                               ;   in Loop: Header=BB328_33 Depth=1
	v_cmp_gt_i32_e32 vcc_lo, s29, v32
	s_wait_alu 0xfffd
	v_cndmask_b32_e32 v52, 0, v52, vcc_lo
	v_cmp_gt_i32_e32 vcc_lo, s29, v41
	s_wait_alu 0xfffd
	v_cndmask_b32_e32 v51, 0, v51, vcc_lo
	;; [unrolled: 3-line block ×8, first 2 shown]
	s_branch .LBB328_32
.LBB328_41:
	s_or_b32 exec_lo, exec_lo, s8
.LBB328_42:
	s_wait_alu 0xfffe
	s_or_b32 exec_lo, exec_lo, s1
	v_lshl_add_u32 v2, v17, 2, 0x120
	v_and_b32_e32 v3, 0x3c0, v0
	s_mov_b32 s0, exec_lo
	s_wait_loadcnt 0x0
	s_wait_storecnt 0x0
	s_barrier_signal -1
	v_lshl_add_u32 v1, v15, 9, v2
	s_barrier_wait -1
	global_inv scope:SCOPE_SE
	v_cmpx_eq_u32_e32 64, v3
	s_cbranch_execz .LBB328_44
; %bb.43:
	v_add_nc_u32_e32 v3, 0xfffffc00, v1
	v_add_nc_u32_e32 v4, 0xfffffc80, v1
	;; [unrolled: 1-line block ×4, first 2 shown]
	ds_store_b32 v3, v21
	ds_store_b32 v4, v20
	;; [unrolled: 1-line block ×4, first 2 shown]
.LBB328_44:
	s_wait_alu 0xfffe
	s_or_b32 exec_lo, exec_lo, s0
	s_wait_loadcnt_dscnt 0x0
	s_barrier_signal -1
	s_barrier_wait -1
	global_inv scope:SCOPE_SE
	s_and_saveexec_b32 s0, s2
	s_cbranch_execz .LBB328_46
; %bb.45:
	ds_load_2addr_b32 v[3:4], v1 offset1:32
	ds_load_2addr_b32 v[5:6], v1 offset0:64 offset1:96
	s_wait_dscnt 0x1
	v_dual_add_f32 v21, v21, v3 :: v_dual_add_f32 v20, v20, v4
	s_wait_dscnt 0x0
	v_dual_add_f32 v19, v19, v5 :: v_dual_add_f32 v18, v18, v6
.LBB328_46:
	s_wait_alu 0xfffe
	s_or_b32 exec_lo, exec_lo, s0
	v_and_b32_e32 v3, 0x3e0, v0
	s_mov_b32 s0, exec_lo
	s_wait_loadcnt 0x0
	s_barrier_signal -1
	s_barrier_wait -1
	global_inv scope:SCOPE_SE
	v_cmpx_eq_u32_e32 32, v3
	s_cbranch_execz .LBB328_48
; %bb.47:
	ds_store_2addr_b32 v2, v21, v20 offset1:32
	ds_store_2addr_b32 v2, v19, v18 offset0:64 offset1:96
.LBB328_48:
	s_wait_alu 0xfffe
	s_or_b32 exec_lo, exec_lo, s0
	v_cmp_gt_u32_e32 vcc_lo, 32, v0
	s_wait_loadcnt_dscnt 0x0
	s_barrier_signal -1
	s_barrier_wait -1
	global_inv scope:SCOPE_SE
	s_and_saveexec_b32 s0, vcc_lo
	s_cbranch_execz .LBB328_50
; %bb.49:
	ds_load_2addr_b32 v[2:3], v1 offset1:32
	ds_load_2addr_b32 v[4:5], v1 offset0:64 offset1:96
	s_wait_dscnt 0x1
	v_dual_add_f32 v21, v21, v2 :: v_dual_add_f32 v20, v20, v3
	s_wait_dscnt 0x0
	v_dual_add_f32 v19, v19, v4 :: v_dual_add_f32 v18, v18, v5
.LBB328_50:
	s_wait_alu 0xfffe
	s_or_b32 exec_lo, exec_lo, s0
	s_wait_loadcnt 0x0
	s_barrier_signal -1
	s_barrier_wait -1
	global_inv scope:SCOPE_SE
	s_and_saveexec_b32 s0, vcc_lo
	s_cbranch_execz .LBB328_52
; %bb.51:
	v_bfe_u32 v1, v21, 16, 1
	v_or_b32_e32 v2, 0x400000, v21
	v_bfe_u32 v3, v20, 16, 1
	v_cmp_u_f32_e32 vcc_lo, v21, v21
	v_bfe_u32 v4, v19, 16, 1
	v_add3_u32 v1, v1, v21, 0x7fff
	v_lshlrev_b32_e32 v0, 1, v0
	v_add3_u32 v3, v3, v20, 0x7fff
	v_or_b32_e32 v5, 0x400000, v20
	s_lshl_b32 s0, s4, 7
	s_wait_alu 0xfffd
	v_cndmask_b32_e32 v1, v1, v2, vcc_lo
	v_cmp_u_f32_e32 vcc_lo, v20, v20
	v_bfe_u32 v2, v18, 16, 1
	v_add3_u32 v4, v4, v19, 0x7fff
	v_or_b32_e32 v6, 0x400000, v19
	s_mul_i32 s2, s16, s20
	s_wait_alu 0xfffd
	v_cndmask_b32_e32 v3, v3, v5, vcc_lo
	v_cmp_u_f32_e32 vcc_lo, v19, v19
	s_wait_alu 0xfffe
	s_ashr_i32 s1, s0, 31
	s_ashr_i32 s3, s2, 31
	s_wait_alu 0xfffe
	s_lshl_b64 s[0:1], s[0:1], 1
	v_add3_u32 v2, v2, v18, 0x7fff
	v_or_b32_e32 v7, 0x400000, v18
	s_wait_alu 0xfffd
	v_cndmask_b32_e32 v4, v4, v6, vcc_lo
	v_cmp_u_f32_e32 vcc_lo, v18, v18
	s_lshl_b64 s[2:3], s[2:3], 1
	s_wait_alu 0xfffe
	s_add_nc_u64 s[0:1], s[6:7], s[0:1]
	s_wait_alu 0xfffe
	s_add_nc_u64 s[0:1], s[0:1], s[2:3]
	s_lshl_b32 s2, s28, 8
	s_mov_b32 s3, 0
	s_wait_alu 0xfffd
	v_cndmask_b32_e32 v2, v2, v7, vcc_lo
	s_wait_alu 0xfffe
	s_add_nc_u64 s[0:1], s[0:1], s[2:3]
	s_clause 0x3
	global_store_d16_hi_b16 v0, v1, s[0:1]
	global_store_d16_hi_b16 v0, v3, s[0:1] offset:64
	global_store_d16_hi_b16 v0, v4, s[0:1] offset:128
	;; [unrolled: 1-line block ×3, first 2 shown]
.LBB328_52:
	s_nop 0
	s_sendmsg sendmsg(MSG_DEALLOC_VGPRS)
	s_endpgm
	.section	.rodata,"a",@progbits
	.p2align	6, 0x0
	.amdhsa_kernel _ZN4vllm25paged_attention_v2_kernelI14__hip_bfloat16hLi128ELi8ELi128ELNS_18Fp8KVCacheDataTypeE1ELb0ELi512EEEvPfS3_PT_PKS4_PKT0_SA_ifPKiSC_iPKfiiiSE_SE_iiiii
		.amdhsa_group_segment_fixed_size 288
		.amdhsa_private_segment_fixed_size 0
		.amdhsa_kernarg_size 400
		.amdhsa_user_sgpr_count 2
		.amdhsa_user_sgpr_dispatch_ptr 0
		.amdhsa_user_sgpr_queue_ptr 0
		.amdhsa_user_sgpr_kernarg_segment_ptr 1
		.amdhsa_user_sgpr_dispatch_id 0
		.amdhsa_user_sgpr_private_segment_size 0
		.amdhsa_wavefront_size32 1
		.amdhsa_uses_dynamic_stack 0
		.amdhsa_enable_private_segment 0
		.amdhsa_system_sgpr_workgroup_id_x 1
		.amdhsa_system_sgpr_workgroup_id_y 1
		.amdhsa_system_sgpr_workgroup_id_z 1
		.amdhsa_system_sgpr_workgroup_info 0
		.amdhsa_system_vgpr_workitem_id 0
		.amdhsa_next_free_vgpr 128
		.amdhsa_next_free_sgpr 40
		.amdhsa_reserve_vcc 1
		.amdhsa_float_round_mode_32 0
		.amdhsa_float_round_mode_16_64 0
		.amdhsa_float_denorm_mode_32 3
		.amdhsa_float_denorm_mode_16_64 3
		.amdhsa_fp16_overflow 0
		.amdhsa_workgroup_processor_mode 1
		.amdhsa_memory_ordered 1
		.amdhsa_forward_progress 1
		.amdhsa_inst_pref_size 95
		.amdhsa_round_robin_scheduling 0
		.amdhsa_exception_fp_ieee_invalid_op 0
		.amdhsa_exception_fp_denorm_src 0
		.amdhsa_exception_fp_ieee_div_zero 0
		.amdhsa_exception_fp_ieee_overflow 0
		.amdhsa_exception_fp_ieee_underflow 0
		.amdhsa_exception_fp_ieee_inexact 0
		.amdhsa_exception_int_div_zero 0
	.end_amdhsa_kernel
	.section	.text._ZN4vllm25paged_attention_v2_kernelI14__hip_bfloat16hLi128ELi8ELi128ELNS_18Fp8KVCacheDataTypeE1ELb0ELi512EEEvPfS3_PT_PKS4_PKT0_SA_ifPKiSC_iPKfiiiSE_SE_iiiii,"axG",@progbits,_ZN4vllm25paged_attention_v2_kernelI14__hip_bfloat16hLi128ELi8ELi128ELNS_18Fp8KVCacheDataTypeE1ELb0ELi512EEEvPfS3_PT_PKS4_PKT0_SA_ifPKiSC_iPKfiiiSE_SE_iiiii,comdat
.Lfunc_end328:
	.size	_ZN4vllm25paged_attention_v2_kernelI14__hip_bfloat16hLi128ELi8ELi128ELNS_18Fp8KVCacheDataTypeE1ELb0ELi512EEEvPfS3_PT_PKS4_PKT0_SA_ifPKiSC_iPKfiiiSE_SE_iiiii, .Lfunc_end328-_ZN4vllm25paged_attention_v2_kernelI14__hip_bfloat16hLi128ELi8ELi128ELNS_18Fp8KVCacheDataTypeE1ELb0ELi512EEEvPfS3_PT_PKS4_PKT0_SA_ifPKiSC_iPKfiiiSE_SE_iiiii
                                        ; -- End function
	.set _ZN4vllm25paged_attention_v2_kernelI14__hip_bfloat16hLi128ELi8ELi128ELNS_18Fp8KVCacheDataTypeE1ELb0ELi512EEEvPfS3_PT_PKS4_PKT0_SA_ifPKiSC_iPKfiiiSE_SE_iiiii.num_vgpr, 128
	.set _ZN4vllm25paged_attention_v2_kernelI14__hip_bfloat16hLi128ELi8ELi128ELNS_18Fp8KVCacheDataTypeE1ELb0ELi512EEEvPfS3_PT_PKS4_PKT0_SA_ifPKiSC_iPKfiiiSE_SE_iiiii.num_agpr, 0
	.set _ZN4vllm25paged_attention_v2_kernelI14__hip_bfloat16hLi128ELi8ELi128ELNS_18Fp8KVCacheDataTypeE1ELb0ELi512EEEvPfS3_PT_PKS4_PKT0_SA_ifPKiSC_iPKfiiiSE_SE_iiiii.numbered_sgpr, 40
	.set _ZN4vllm25paged_attention_v2_kernelI14__hip_bfloat16hLi128ELi8ELi128ELNS_18Fp8KVCacheDataTypeE1ELb0ELi512EEEvPfS3_PT_PKS4_PKT0_SA_ifPKiSC_iPKfiiiSE_SE_iiiii.num_named_barrier, 0
	.set _ZN4vllm25paged_attention_v2_kernelI14__hip_bfloat16hLi128ELi8ELi128ELNS_18Fp8KVCacheDataTypeE1ELb0ELi512EEEvPfS3_PT_PKS4_PKT0_SA_ifPKiSC_iPKfiiiSE_SE_iiiii.private_seg_size, 0
	.set _ZN4vllm25paged_attention_v2_kernelI14__hip_bfloat16hLi128ELi8ELi128ELNS_18Fp8KVCacheDataTypeE1ELb0ELi512EEEvPfS3_PT_PKS4_PKT0_SA_ifPKiSC_iPKfiiiSE_SE_iiiii.uses_vcc, 1
	.set _ZN4vllm25paged_attention_v2_kernelI14__hip_bfloat16hLi128ELi8ELi128ELNS_18Fp8KVCacheDataTypeE1ELb0ELi512EEEvPfS3_PT_PKS4_PKT0_SA_ifPKiSC_iPKfiiiSE_SE_iiiii.uses_flat_scratch, 0
	.set _ZN4vllm25paged_attention_v2_kernelI14__hip_bfloat16hLi128ELi8ELi128ELNS_18Fp8KVCacheDataTypeE1ELb0ELi512EEEvPfS3_PT_PKS4_PKT0_SA_ifPKiSC_iPKfiiiSE_SE_iiiii.has_dyn_sized_stack, 0
	.set _ZN4vllm25paged_attention_v2_kernelI14__hip_bfloat16hLi128ELi8ELi128ELNS_18Fp8KVCacheDataTypeE1ELb0ELi512EEEvPfS3_PT_PKS4_PKT0_SA_ifPKiSC_iPKfiiiSE_SE_iiiii.has_recursion, 0
	.set _ZN4vllm25paged_attention_v2_kernelI14__hip_bfloat16hLi128ELi8ELi128ELNS_18Fp8KVCacheDataTypeE1ELb0ELi512EEEvPfS3_PT_PKS4_PKT0_SA_ifPKiSC_iPKfiiiSE_SE_iiiii.has_indirect_call, 0
	.section	.AMDGPU.csdata,"",@progbits
; Kernel info:
; codeLenInByte = 12076
; TotalNumSgprs: 42
; NumVgprs: 128
; ScratchSize: 0
; MemoryBound: 0
; FloatMode: 240
; IeeeMode: 1
; LDSByteSize: 288 bytes/workgroup (compile time only)
; SGPRBlocks: 0
; VGPRBlocks: 15
; NumSGPRsForWavesPerEU: 42
; NumVGPRsForWavesPerEU: 128
; Occupancy: 10
; WaveLimiterHint : 1
; COMPUTE_PGM_RSRC2:SCRATCH_EN: 0
; COMPUTE_PGM_RSRC2:USER_SGPR: 2
; COMPUTE_PGM_RSRC2:TRAP_HANDLER: 0
; COMPUTE_PGM_RSRC2:TGID_X_EN: 1
; COMPUTE_PGM_RSRC2:TGID_Y_EN: 1
; COMPUTE_PGM_RSRC2:TGID_Z_EN: 1
; COMPUTE_PGM_RSRC2:TIDIG_COMP_CNT: 0
	.section	.text._ZN4vllm25paged_attention_v2_kernelI14__hip_bfloat16hLi192ELi8ELi128ELNS_18Fp8KVCacheDataTypeE1ELb0ELi512EEEvPfS3_PT_PKS4_PKT0_SA_ifPKiSC_iPKfiiiSE_SE_iiiii,"axG",@progbits,_ZN4vllm25paged_attention_v2_kernelI14__hip_bfloat16hLi192ELi8ELi128ELNS_18Fp8KVCacheDataTypeE1ELb0ELi512EEEvPfS3_PT_PKS4_PKT0_SA_ifPKiSC_iPKfiiiSE_SE_iiiii,comdat
	.protected	_ZN4vllm25paged_attention_v2_kernelI14__hip_bfloat16hLi192ELi8ELi128ELNS_18Fp8KVCacheDataTypeE1ELb0ELi512EEEvPfS3_PT_PKS4_PKT0_SA_ifPKiSC_iPKfiiiSE_SE_iiiii ; -- Begin function _ZN4vllm25paged_attention_v2_kernelI14__hip_bfloat16hLi192ELi8ELi128ELNS_18Fp8KVCacheDataTypeE1ELb0ELi512EEEvPfS3_PT_PKS4_PKT0_SA_ifPKiSC_iPKfiiiSE_SE_iiiii
	.globl	_ZN4vllm25paged_attention_v2_kernelI14__hip_bfloat16hLi192ELi8ELi128ELNS_18Fp8KVCacheDataTypeE1ELb0ELi512EEEvPfS3_PT_PKS4_PKT0_SA_ifPKiSC_iPKfiiiSE_SE_iiiii
	.p2align	8
	.type	_ZN4vllm25paged_attention_v2_kernelI14__hip_bfloat16hLi192ELi8ELi128ELNS_18Fp8KVCacheDataTypeE1ELb0ELi512EEEvPfS3_PT_PKS4_PKT0_SA_ifPKiSC_iPKfiiiSE_SE_iiiii,@function
_ZN4vllm25paged_attention_v2_kernelI14__hip_bfloat16hLi192ELi8ELi128ELNS_18Fp8KVCacheDataTypeE1ELb0ELi512EEEvPfS3_PT_PKS4_PKT0_SA_ifPKiSC_iPKfiiiSE_SE_iiiii: ; @_ZN4vllm25paged_attention_v2_kernelI14__hip_bfloat16hLi192ELi8ELi128ELNS_18Fp8KVCacheDataTypeE1ELb0ELi512EEEvPfS3_PT_PKS4_PKT0_SA_ifPKiSC_iPKfiiiSE_SE_iiiii
; %bb.0:
	s_load_b64 s[2:3], s[0:1], 0x40
	s_and_b32 s48, ttmp7, 0xffff
	s_lshr_b32 s33, ttmp7, 16
	s_lshl_b32 s4, s48, 2
	s_lshl_b32 s47, s33, 9
	s_wait_kmcnt 0x0
	s_load_b32 s46, s[2:3], s4 offset:0x0
	s_wait_kmcnt 0x0
	s_cmp_ge_i32 s47, s46
	s_cbranch_scc1 .LBB329_56
; %bb.1:
	s_clause 0x1
	s_load_b32 s49, s[0:1], 0x90
	s_load_b64 s[44:45], s[0:1], 0x30
	s_wait_kmcnt 0x0
	s_abs_i32 s5, s49
	s_abs_i32 s2, s44
	s_delay_alu instid0(SALU_CYCLE_1) | instskip(SKIP_1) | instid1(SALU_CYCLE_2)
	s_cvt_f32_u32 s3, s2
	s_sub_co_i32 s4, 0, s2
	v_rcp_iflag_f32_e32 v1, s3
	s_delay_alu instid0(TRANS32_DEP_1) | instskip(SKIP_2) | instid1(SALU_CYCLE_2)
	v_readfirstlane_b32 s3, v1
	s_mul_f32 s3, s3, 0x4f7ffffe
	s_wait_alu 0xfffe
	s_cvt_u32_f32 s3, s3
	s_wait_alu 0xfffe
	s_delay_alu instid0(SALU_CYCLE_2) | instskip(NEXT) | instid1(SALU_CYCLE_1)
	s_mul_i32 s4, s4, s3
	s_mul_hi_u32 s4, s3, s4
	s_delay_alu instid0(SALU_CYCLE_1)
	s_add_co_i32 s3, s3, s4
	s_xor_b32 s4, s49, s44
	s_wait_alu 0xfffe
	s_mul_hi_u32 s3, s5, s3
	s_ashr_i32 s4, s4, 31
	s_wait_alu 0xfffe
	s_mul_i32 s6, s3, s2
	s_delay_alu instid0(SALU_CYCLE_1)
	s_sub_co_i32 s5, s5, s6
	s_add_co_i32 s6, s3, 1
	s_sub_co_i32 s7, s5, s2
	s_cmp_ge_u32 s5, s2
	s_cselect_b32 s3, s6, s3
	s_cselect_b32 s5, s7, s5
	s_wait_alu 0xfffe
	s_add_co_i32 s6, s3, 1
	s_cmp_ge_u32 s5, s2
	s_cselect_b32 s2, s6, s3
	s_load_b64 s[6:7], s[0:1], 0x50
	s_xor_b32 s2, s2, s4
	s_mov_b32 s3, 0
	s_wait_alu 0xfffe
	s_sub_co_i32 s9, s2, s4
	s_mov_b32 s51, s3
	s_abs_i32 s8, s9
	s_delay_alu instid0(SALU_CYCLE_1) | instskip(SKIP_1) | instid1(SALU_CYCLE_2)
	s_cvt_f32_u32 s2, s8
	s_wait_alu 0xfffe
	v_rcp_iflag_f32_e32 v1, s2
	s_delay_alu instid0(TRANS32_DEP_1) | instskip(SKIP_2) | instid1(SALU_CYCLE_2)
	v_readfirstlane_b32 s2, v1
	s_mul_f32 s2, s2, 0x4f7ffffe
	s_wait_alu 0xfffe
	s_cvt_u32_f32 s4, s2
	s_sub_co_i32 s2, 0, s8
	s_wait_alu 0xfffe
	s_delay_alu instid0(SALU_CYCLE_1)
	s_mul_i32 s2, s2, s4
	s_wait_alu 0xfffe
	s_mul_hi_u32 s5, s4, s2
	s_abs_i32 s2, ttmp9
	s_add_co_i32 s4, s4, s5
	s_mov_b32 s5, s3
	s_wait_kmcnt 0x0
	s_cmp_eq_u64 s[6:7], 0
	s_cbranch_scc1 .LBB329_3
; %bb.2:
	s_mov_b32 s10, ttmp9
	s_ashr_i32 s11, ttmp9, 31
	s_delay_alu instid0(SALU_CYCLE_1) | instskip(NEXT) | instid1(SALU_CYCLE_1)
	s_lshl_b64 s[10:11], s[10:11], 2
	s_add_nc_u64 s[6:7], s[6:7], s[10:11]
	s_load_b32 s51, s[6:7], 0x0
.LBB329_3:
	s_load_b96 s[36:38], s[0:1], 0x58
	v_and_b32_e32 v1, 3, v0
	s_mul_u64 s[4:5], s[2:3], s[4:5]
	s_ashr_i32 s3, ttmp9, 31
	s_ashr_i32 s4, s9, 31
	s_mul_i32 s34, ttmp9, 0xc0
	s_mov_b32 s6, exec_lo
	v_cmpx_gt_u32_e32 0x60, v0
	s_cbranch_execz .LBB329_5
; %bb.4:
	s_load_b64 s[10:11], s[0:1], 0x18
	s_wait_kmcnt 0x0
	s_mul_i32 s12, s36, s48
	s_ashr_i32 s35, s34, 31
	s_ashr_i32 s13, s12, 31
	v_lshlrev_b32_e32 v2, 2, v0
	s_lshl_b64 s[12:13], s[12:13], 1
	v_and_b32_e32 v3, 0x3fc, v0
	s_delay_alu instid0(VALU_DEP_1) | instskip(SKIP_2) | instid1(SALU_CYCLE_1)
	v_mad_u32_u24 v3, 0x60, v1, v3
	s_add_nc_u64 s[10:11], s[10:11], s[12:13]
	s_lshl_b64 s[12:13], s[34:35], 1
	s_add_nc_u64 s[10:11], s[10:11], s[12:13]
	global_load_b32 v2, v2, s[10:11]
	s_wait_loadcnt 0x0
	ds_store_b32 v3, v2
.LBB329_5:
	s_or_b32 exec_lo, exec_lo, s6
	s_add_co_i32 s6, s46, 7
	s_wait_alu 0xfffe
	s_xor_b32 s3, s3, s4
	s_ashr_i32 s7, s6, 31
	s_lshl_b32 s50, s33, 6
	s_lshr_b32 s4, s7, 29
	s_mul_i32 s7, s5, s8
	s_add_co_i32 s6, s6, s4
	s_add_co_i32 s4, s50, 64
	s_ashr_i32 s44, s6, 3
	s_load_b32 s6, s[0:1], 0x48
	s_sub_co_i32 s2, s2, s7
	s_wait_kmcnt 0x0
	s_min_i32 s36, s4, s44
	s_add_co_i32 s4, s5, 1
	s_wait_alu 0xfffe
	s_sub_co_i32 s7, s2, s8
	s_cmp_ge_u32 s2, s8
	v_lshrrev_b32_e32 v15, 5, v0
	s_cselect_b32 s4, s4, s5
	s_cselect_b32 s2, s7, s2
	s_add_co_i32 s5, s4, 1
	s_wait_alu 0xfffe
	s_cmp_ge_u32 s2, s8
	v_or_b32_e32 v16, s50, v15
	s_cselect_b32 s2, s5, s4
	v_mbcnt_lo_u32_b32 v9, -1, 0
	s_wait_alu 0xfffe
	s_xor_b32 s2, s2, s3
	s_mov_b32 s4, exec_lo
	s_wait_alu 0xfffe
	s_sub_co_i32 s3, s2, s3
	v_cmp_gt_i32_e64 s2, s36, v16
	s_wait_dscnt 0x0
	s_barrier_signal -1
	s_mul_i32 s40, s6, s48
	s_barrier_wait -1
	s_ashr_i32 s41, s40, 31
	global_inv scope:SCOPE_SE
                                        ; implicit-def: $vgpr10
                                        ; implicit-def: $vgpr11
	v_cmpx_le_i32_e64 s36, v16
	s_xor_b32 s4, exec_lo, s4
; %bb.6:
	v_dual_mov_b32 v10, 0 :: v_dual_mov_b32 v11, 32
	v_mbcnt_lo_u32_b32 v9, -1, 0
                                        ; implicit-def: $vgpr1
; %bb.7:
	s_or_saveexec_b32 s52, s4
	s_clause 0x2
	s_load_b32 s35, s[0:1], 0x98
	s_load_b64 s[42:43], s[0:1], 0x38
	s_load_b128 s[28:31], s[0:1], 0x68
	v_dual_mov_b32 v60, 0xff7fffff :: v_dual_lshlrev_b32 v7, 2, v16
	v_lshlrev_b32_e32 v8, 3, v15
	s_mul_i32 s38, s3, s38
	s_xor_b32 exec_lo, exec_lo, s52
	s_cbranch_execz .LBB329_13
; %bb.8:
	v_mul_u32_u24_e32 v6, 0x60, v1
	s_load_b64 s[4:5], s[0:1], 0x20
	v_bfe_u32 v65, v0, 2, 3
	v_mov_b32_e32 v10, 0
	s_ashr_i32 s39, s38, 31
	ds_load_b128 v[2:5], v6
	ds_load_b128 v[26:29], v6 offset:16
	ds_load_b128 v[34:37], v6 offset:32
	;; [unrolled: 1-line block ×3, first 2 shown]
	v_lshlrev_b32_e32 v11, 4, v65
	s_wait_kmcnt 0x0
	s_load_b32 s28, s[28:29], 0x0
	s_cmp_neq_f32 s51, 0
	s_mov_b32 s29, 0
	ds_load_b128 v[57:60], v6 offset:80
	s_add_nc_u64 s[4:5], s[4:5], s[38:39]
	s_mov_b32 s39, s37
	v_add_co_u32 v67, s3, s4, v11
	s_wait_dscnt 0x4
	v_dual_mov_b32 v11, 32 :: v_dual_lshlrev_b32 v12, 16, v2
	v_and_b32_e32 v13, 0xffff0000, v2
	v_lshlrev_b32_e32 v14, 16, v3
	v_and_b32_e32 v17, 0xffff0000, v3
	v_lshlrev_b32_e32 v18, 16, v4
	;; [unrolled: 2-line block ×3, first 2 shown]
	v_and_b32_e32 v21, 0xffff0000, v5
	ds_load_b128 v[2:5], v6 offset:64
	s_wait_alu 0xf1ff
	v_add_co_ci_u32_e64 v68, null, s5, 0, s3
	s_cselect_b32 s3, -1, 0
	s_wait_dscnt 0x4
	v_lshlrev_b32_e32 v22, 16, v26
	v_and_b32_e32 v23, 0xffff0000, v26
	v_lshlrev_b32_e32 v24, 16, v27
	v_and_b32_e32 v25, 0xffff0000, v27
	;; [unrolled: 2-line block ×4, first 2 shown]
	s_wait_dscnt 0x3
	v_lshlrev_b32_e32 v30, 16, v34
	v_and_b32_e32 v31, 0xffff0000, v34
	v_lshlrev_b32_e32 v32, 16, v35
	v_and_b32_e32 v33, 0xffff0000, v35
	;; [unrolled: 2-line block ×4, first 2 shown]
	s_wait_dscnt 0x0
	v_lshlrev_b32_e32 v46, 16, v2
	v_and_b32_e32 v47, 0xffff0000, v2
	v_xor_b32_e32 v2, 2, v9
	v_lshlrev_b32_e32 v48, 16, v3
	v_and_b32_e32 v49, 0xffff0000, v3
	v_xor_b32_e32 v3, 1, v9
	v_lshlrev_b32_e32 v38, 16, v42
	v_cmp_gt_i32_e32 vcc_lo, 32, v2
	v_and_b32_e32 v39, 0xffff0000, v42
	v_lshlrev_b32_e32 v40, 16, v43
	v_and_b32_e32 v41, 0xffff0000, v43
	v_lshlrev_b32_e32 v42, 16, v44
	v_cndmask_b32_e32 v2, v9, v2, vcc_lo
	v_cmp_gt_i32_e32 vcc_lo, 32, v3
	v_lshlrev_b32_e32 v66, 1, v1
	v_and_b32_e32 v43, 0xffff0000, v44
	v_lshlrev_b32_e32 v44, 16, v45
	v_lshlrev_b32_e32 v63, 2, v2
	s_wait_alu 0xfffd
	v_dual_cndmask_b32 v3, v9, v3 :: v_dual_lshlrev_b32 v2, 2, v65
	v_cmp_eq_u32_e32 vcc_lo, 0, v1
	v_add_co_u32 v1, s4, v67, v66
	s_delay_alu instid0(VALU_DEP_3) | instskip(NEXT) | instid1(VALU_DEP_4)
	v_lshlrev_b32_e32 v64, 2, v3
	v_lshl_or_b32 v3, v15, 5, v2
	s_wait_alu 0xf1ff
	v_add_co_ci_u32_e64 v2, null, 0, v68, s4
	s_lshl_b64 s[4:5], s[40:41], 2
	v_and_b32_e32 v45, 0xffff0000, v45
	s_wait_alu 0xfffe
	s_add_nc_u64 s[4:5], s[42:43], s[4:5]
	v_add_nc_u32_e32 v66, 0x1a0, v3
	s_wait_alu 0xfffe
	v_add_co_u32 v3, s4, s4, v7
	v_lshlrev_b32_e32 v50, 16, v4
	v_and_b32_e32 v51, 0xffff0000, v4
	v_lshlrev_b32_e32 v52, 16, v5
	v_and_b32_e32 v53, 0xffff0000, v5
	;; [unrolled: 2-line block ×6, first 2 shown]
	v_add3_u32 v65, s47, v8, v65
	s_wait_alu 0xf1ff
	v_add_co_ci_u32_e64 v4, null, s5, 0, s4
	v_dual_mov_b32 v60, 0xff7fffff :: v_dual_mov_b32 v67, v16
	s_sub_co_i32 s53, 1, s46
	s_branch .LBB329_10
.LBB329_9:                              ;   in Loop: Header=BB329_10 Depth=1
	s_wait_alu 0xfffe
	s_or_b32 exec_lo, exec_lo, s5
	v_add_nc_u32_e32 v67, 4, v67
	v_add_co_u32 v3, s5, v3, 16
	v_add_nc_u32_e32 v65, 32, v65
	v_add_nc_u32_e32 v66, 0x80, v66
	s_delay_alu instid0(VALU_DEP_4)
	v_cmp_le_i32_e64 s4, s36, v67
	s_wait_alu 0xf1ff
	v_add_co_ci_u32_e64 v4, null, 0, v4, s5
	s_or_b32 s29, s4, s29
	s_wait_alu 0xfffe
	s_and_not1_b32 exec_lo, exec_lo, s29
	s_cbranch_execz .LBB329_12
.LBB329_10:                             ; =>This Inner Loop Header: Depth=1
	global_load_b32 v5, v[3:4], off
	s_wait_loadcnt_dscnt 0x0
	v_mad_co_i64_i32 v[5:6], null, v5, s39, v[1:2]
	s_clause 0x17
	global_load_u16 v68, v[5:6], off
	global_load_u16 v69, v[5:6], off offset:128
	global_load_u16 v70, v[5:6], off offset:256
	;; [unrolled: 1-line block ×23, first 2 shown]
	s_wait_loadcnt 0x16
	v_and_b32_e32 v85, 0xff, v69
	s_wait_loadcnt 0x14
	v_and_b32_e32 v93, 0xff, v77
	;; [unrolled: 2-line block ×3, first 2 shown]
	v_lshrrev_b16 v89, 8, v89
	s_delay_alu instid0(VALU_DEP_2) | instskip(NEXT) | instid1(VALU_DEP_2)
	v_and_b32_e32 v97, 0xffff, v97
	v_and_b32_e32 v89, 0xffff, v89
	s_delay_alu instid0(VALU_DEP_2) | instskip(NEXT) | instid1(VALU_DEP_2)
	v_cvt_f32_fp8_e32 v97, v97
	v_cvt_f32_fp8_e32 v89, v89
	v_and_b32_e32 v100, 0xff, v84
	v_lshrrev_b16 v84, 8, v84
	s_wait_kmcnt 0x0
	v_dual_mul_f32 v97, s28, v97 :: v_dual_and_b32 v94, 0xff, v91
	v_lshrrev_b16 v91, 8, v91
	s_delay_alu instid0(VALU_DEP_3) | instskip(SKIP_1) | instid1(VALU_DEP_4)
	v_dual_mul_f32 v89, s28, v89 :: v_dual_and_b32 v84, 0xffff, v84
	v_and_b32_e32 v100, 0xffff, v100
	v_bfe_u32 v128, v97, 16, 1
	v_cmp_u_f32_e64 s5, v97, v97
	s_delay_alu instid0(VALU_DEP_4)
	v_bfe_u32 v129, v89, 16, 1
	v_cvt_f32_fp8_e32 v84, v84
	v_and_b32_e32 v91, 0xffff, v91
	v_cvt_f32_fp8_e32 v100, v100
	v_and_b32_e32 v93, 0xffff, v93
	v_cmp_u_f32_e64 s6, v89, v89
	v_mul_f32_e32 v106, s28, v84
	v_cvt_f32_fp8_e32 v91, v91
	v_and_b32_e32 v96, 0xff, v90
	v_lshrrev_b16 v90, 8, v90
	v_mul_f32_e32 v100, s28, v100
	v_cvt_f32_fp8_e32 v93, v93
	s_delay_alu instid0(VALU_DEP_4) | instskip(NEXT) | instid1(VALU_DEP_4)
	v_dual_mul_f32 v91, s28, v91 :: v_dual_and_b32 v96, 0xffff, v96
	v_and_b32_e32 v90, 0xffff, v90
	s_delay_alu instid0(VALU_DEP_3) | instskip(NEXT) | instid1(VALU_DEP_3)
	v_dual_mul_f32 v93, s28, v93 :: v_dual_and_b32 v86, 0xff, v70
	v_or_b32_e32 v126, 0x400000, v91
	s_delay_alu instid0(VALU_DEP_4) | instskip(SKIP_4) | instid1(VALU_DEP_4)
	v_cvt_f32_fp8_e32 v96, v96
	v_and_b32_e32 v99, 0xff, v87
	v_cvt_f32_fp8_e32 v90, v90
	v_and_b32_e32 v101, 0xff, v83
	v_lshrrev_b16 v83, 8, v83
	v_dual_mul_f32 v96, s28, v96 :: v_dual_and_b32 v99, 0xffff, v99
	v_lshrrev_b16 v87, 8, v87
	s_delay_alu instid0(VALU_DEP_3) | instskip(NEXT) | instid1(VALU_DEP_3)
	v_dual_mul_f32 v90, s28, v90 :: v_dual_and_b32 v83, 0xffff, v83
	v_bfe_u32 v119, v96, 16, 1
	v_or_b32_e32 v109, 0x400000, v96
	v_cmp_u_f32_e64 s19, v96, v96
	v_cvt_f32_fp8_e32 v99, v99
	v_and_b32_e32 v102, 0xff, v82
	v_add3_u32 v121, v119, v96, 0x7fff
	v_cvt_f32_fp8_e32 v83, v83
	s_delay_alu instid0(VALU_DEP_4)
	v_dual_mul_f32 v99, s28, v99 :: v_dual_and_b32 v94, 0xffff, v94
	v_and_b32_e32 v87, 0xffff, v87
	s_wait_alu 0xf1ff
	v_cndmask_b32_e64 v109, v121, v109, s19
	s_wait_loadcnt 0x2
	v_and_b32_e32 v121, 0xff, v73
	v_mul_f32_e32 v111, s28, v83
	v_cvt_f32_fp8_e32 v94, v94
	v_and_b32_e32 v95, 0xff, v92
	v_lshrrev_b16 v73, 8, v73
	v_and_b32_e32 v121, 0xffff, v121
	v_lshrrev_b16 v82, 8, v82
	v_mul_f32_e32 v94, s28, v94
	v_cvt_f32_fp8_e32 v87, v87
	v_and_b32_e32 v73, 0xffff, v73
	v_cvt_f32_fp8_e32 v121, v121
	v_and_b32_e32 v102, 0xffff, v102
	v_lshrrev_b16 v92, 8, v92
	v_and_b32_e32 v101, 0xffff, v101
	v_cvt_f32_fp8_e32 v73, v73
	v_mul_f32_e32 v121, s28, v121
	v_cvt_f32_fp8_e32 v102, v102
	v_and_b32_e32 v95, 0xffff, v95
	s_delay_alu instid0(VALU_DEP_4) | instskip(SKIP_1) | instid1(VALU_DEP_4)
	v_dual_mul_f32 v73, s28, v73 :: v_dual_and_b32 v82, 0xffff, v82
	v_cvt_f32_fp8_e32 v101, v101
	v_mul_f32_e32 v112, s28, v102
	s_delay_alu instid0(VALU_DEP_4) | instskip(SKIP_3) | instid1(VALU_DEP_3)
	v_cvt_f32_fp8_e32 v95, v95
	v_and_b32_e32 v98, 0xff, v88
	v_lshrrev_b16 v88, 8, v88
	v_dual_mul_f32 v107, s28, v101 :: v_dual_and_b32 v86, 0xffff, v86
	v_dual_mul_f32 v95, s28, v95 :: v_dual_and_b32 v98, 0xffff, v98
	s_delay_alu instid0(VALU_DEP_3)
	v_and_b32_e32 v88, 0xffff, v88
	v_cvt_f32_fp8_e32 v82, v82
	v_and_b32_e32 v92, 0xffff, v92
	v_cvt_f32_fp8_e32 v86, v86
	v_cvt_f32_fp8_e32 v98, v98
	;; [unrolled: 1-line block ×3, first 2 shown]
	v_and_b32_e32 v85, 0xffff, v85
	v_and_b32_e32 v103, 0xff, v81
	v_lshrrev_b16 v81, 8, v81
	s_delay_alu instid0(VALU_DEP_4) | instskip(NEXT) | instid1(VALU_DEP_4)
	v_dual_mul_f32 v105, s28, v87 :: v_dual_mul_f32 v104, s28, v88
	v_cvt_f32_fp8_e32 v85, v85
	v_and_b32_e32 v6, 0xff, v68
	s_delay_alu instid0(VALU_DEP_4) | instskip(SKIP_1) | instid1(VALU_DEP_3)
	v_dual_mul_f32 v98, s28, v98 :: v_dual_and_b32 v81, 0xffff, v81
	v_and_b32_e32 v103, 0xffff, v103
	v_dual_mul_f32 v85, s28, v85 :: v_dual_and_b32 v6, 0xffff, v6
	s_delay_alu instid0(VALU_DEP_3) | instskip(SKIP_1) | instid1(VALU_DEP_4)
	v_cvt_f32_fp8_e32 v81, v81
	v_lshrrev_b16 v68, 8, v68
	v_cvt_f32_fp8_e32 v103, v103
	v_mul_f32_e32 v113, s28, v82
	v_cvt_f32_fp8_e32 v6, v6
	v_cvt_f32_fp8_e32 v92, v92
	v_dual_mul_f32 v115, s28, v81 :: v_dual_and_b32 v68, 0xffff, v68
	v_mul_f32_e32 v86, s28, v86
	s_delay_alu instid0(VALU_DEP_4) | instskip(NEXT) | instid1(VALU_DEP_4)
	v_mul_f32_e32 v6, s28, v6
	v_mul_f32_e32 v92, s28, v92
	;; [unrolled: 1-line block ×3, first 2 shown]
	v_bfe_u32 v101, v94, 16, 1
	v_bfe_u32 v103, v95, 16, 1
	;; [unrolled: 1-line block ×3, first 2 shown]
	v_or_b32_e32 v116, 0x400000, v6
	v_cmp_u_f32_e64 s22, v6, v6
	v_cvt_f32_fp8_e32 v68, v68
	v_bfe_u32 v87, v86, 16, 1
	v_add3_u32 v130, v81, v6, 0x7fff
	v_bfe_u32 v6, v98, 16, 1
	v_or_b32_e32 v125, 0x400000, v94
	v_bfe_u32 v102, v91, 16, 1
	v_bfe_u32 v118, v92, 16, 1
	;; [unrolled: 1-line block ×3, first 2 shown]
	v_add3_u32 v134, v101, v94, 0x7fff
	v_cmp_u_f32_e64 s26, v94, v94
	v_bfe_u32 v101, v99, 16, 1
	v_add3_u32 v136, v103, v95, 0x7fff
	v_bfe_u32 v96, v100, 16, 1
	v_add3_u32 v94, v6, v98, 0x7fff
	v_bfe_u32 v6, v107, 16, 1
	v_bfe_u32 v103, v112, 16, 1
	v_mul_f32_e32 v68, s28, v68
	v_bfe_u32 v84, v85, 16, 1
	v_or_b32_e32 v123, 0x400000, v86
	v_bfe_u32 v88, v93, 16, 1
	v_or_b32_e32 v127, 0x400000, v95
	v_or_b32_e32 v110, 0x400000, v92
	;; [unrolled: 1-line block ×3, first 2 shown]
	v_add3_u32 v132, v87, v86, 0x7fff
	v_cmp_u_f32_e64 s24, v86, v86
	v_add3_u32 v135, v102, v91, 0x7fff
	v_cmp_u_f32_e64 s27, v91, v91
	v_or_b32_e32 v86, 0x400000, v99
	v_cmp_u_f32_e64 s21, v95, v95
	v_bfe_u32 v91, v105, 16, 1
	v_add3_u32 v122, v118, v92, 0x7fff
	v_cmp_u_f32_e64 s20, v92, v92
	v_add3_u32 v92, v128, v97, 0x7fff
	v_bfe_u32 v102, v106, 16, 1
	v_add3_u32 v95, v81, v104, 0x7fff
	v_add3_u32 v97, v101, v99, 0x7fff
	v_cmp_u_f32_e64 s9, v99, v99
	v_bfe_u32 v81, v111, 16, 1
	v_add3_u32 v99, v96, v100, 0x7fff
	v_or_b32_e32 v96, 0x400000, v112
	v_add3_u32 v101, v6, v107, 0x7fff
	v_bfe_u32 v6, v113, 16, 1
	v_add3_u32 v103, v103, v112, 0x7fff
	v_cmp_u_f32_e64 s15, v112, v112
	v_bfe_u32 v112, v68, 16, 1
	v_or_b32_e32 v117, 0x400000, v85
	v_or_b32_e32 v124, 0x400000, v93
	;; [unrolled: 1-line block ×3, first 2 shown]
	v_add3_u32 v131, v84, v85, 0x7fff
	v_cmp_u_f32_e64 s23, v85, v85
	v_or_b32_e32 v84, 0x400000, v98
	v_add3_u32 v133, v88, v93, 0x7fff
	v_cmp_u_f32_e64 s25, v93, v93
	v_or_b32_e32 v85, 0x400000, v104
	v_or_b32_e32 v88, 0x400000, v100
	v_add3_u32 v93, v129, v89, 0x7fff
	v_or_b32_e32 v89, 0x400000, v106
	v_cmp_u_f32_e64 s7, v98, v98
	v_cmp_u_f32_e64 s8, v104, v104
	v_add3_u32 v98, v91, v105, 0x7fff
	v_or_b32_e32 v91, 0x400000, v111
	v_cmp_u_f32_e64 s11, v100, v100
	v_add3_u32 v100, v102, v106, 0x7fff
	v_cmp_u_f32_e64 s12, v106, v106
	v_add3_u32 v102, v81, v111, 0x7fff
	v_cmp_u_f32_e64 s14, v111, v111
	v_or_b32_e32 v104, 0x400000, v113
	v_add3_u32 v106, v6, v113, 0x7fff
	v_cmp_u_f32_e64 s16, v113, v113
	s_wait_alu 0xf1ff
	v_cndmask_b32_e64 v111, v130, v116, s22
	v_add3_u32 v112, v112, v68, 0x7fff
	v_or_b32_e32 v113, 0x400000, v68
	v_cmp_u_f32_e64 s22, v68, v68
	v_bfe_u32 v120, v90, 16, 1
	v_bfe_u32 v81, v114, 16, 1
	v_or_b32_e32 v108, 0x400000, v90
	v_or_b32_e32 v87, 0x400000, v105
	s_wait_alu 0xf1ff
	v_cndmask_b32_e64 v113, v112, v113, s22
	v_add3_u32 v120, v120, v90, 0x7fff
	v_cmp_u_f32_e64 s18, v90, v90
	v_or_b32_e32 v90, 0x400000, v107
	v_cmp_u_f32_e64 s10, v105, v105
	v_and_b32_e32 v113, 0xffff0000, v113
	v_and_b32_e32 v68, 0xff, v80
	v_cmp_u_f32_e64 s13, v107, v107
	v_or_b32_e32 v105, 0x400000, v114
	v_add3_u32 v107, v81, v114, 0x7fff
	v_cmp_u_f32_e64 s17, v114, v114
	v_and_b32_e32 v68, 0xffff, v68
	v_cndmask_b32_e64 v104, v106, v104, s16
	v_cndmask_b32_e64 v117, v131, v117, s23
	;; [unrolled: 1-line block ×3, first 2 shown]
	s_wait_alu 0xf1ff
	v_cndmask_b32_e64 v105, v107, v105, s17
	v_cvt_f32_fp8_e32 v68, v68
	v_cndmask_b32_e64 v83, v93, v83, s6
	v_cndmask_b32_e64 v84, v94, v84, s7
	v_and_b32_e32 v110, 0xffff0000, v110
	v_cndmask_b32_e64 v85, v95, v85, s8
	v_mul_f32_e32 v68, s28, v68
	v_bfe_u32 v6, v115, 16, 1
	v_and_b32_e32 v84, 0xffff0000, v84
	v_and_b32_e32 v83, 0xffff0000, v83
	;; [unrolled: 1-line block ×3, first 2 shown]
	v_bfe_u32 v112, v68, 16, 1
	v_or_b32_e32 v114, 0x400000, v68
	v_cmp_u_f32_e64 s22, v68, v68
	v_add3_u32 v6, v6, v115, 0x7fff
	v_or_b32_e32 v81, 0x400000, v115
	v_add3_u32 v112, v112, v68, 0x7fff
	v_lshrrev_b16 v68, 8, v80
	v_cmp_u_f32_e64 s4, v115, v115
	v_cndmask_b32_e64 v82, v92, v82, s5
	v_cndmask_b32_e64 v108, v120, v108, s18
	s_wait_alu 0xf1ff
	v_cndmask_b32_e64 v116, v112, v114, s22
	v_and_b32_e32 v68, 0xffff, v68
	v_cndmask_b32_e64 v114, v132, v123, s24
	v_lshrrev_b16 v123, 8, v76
	v_cndmask_b32_e64 v6, v6, v81, s4
	v_and_b32_e32 v106, 0xffff0000, v116
	v_cvt_f32_fp8_e32 v68, v68
	v_and_b32_e32 v111, 0xffff0000, v111
	v_and_b32_e32 v114, 0xffff0000, v114
	s_delay_alu instid0(VALU_DEP_4) | instskip(NEXT) | instid1(VALU_DEP_4)
	v_dual_mul_f32 v106, v14, v106 :: v_dual_and_b32 v117, 0xffff0000, v117
	v_mul_f32_e32 v68, s28, v68
	v_and_b32_e32 v82, 0xffff0000, v82
	v_cndmask_b32_e64 v86, v97, v86, s9
	v_cndmask_b32_e64 v88, v99, v88, s11
	v_fmac_f32_e32 v106, v12, v111
	v_bfe_u32 v80, v68, 16, 1
	v_or_b32_e32 v112, 0x400000, v68
	v_cmp_u_f32_e64 s22, v68, v68
	v_cndmask_b32_e64 v90, v101, v90, s13
	v_fmac_f32_e32 v106, v18, v117
	v_add3_u32 v80, v80, v68, 0x7fff
	v_lshrrev_b16 v68, 8, v69
	v_cndmask_b32_e64 v87, v98, v87, s10
	v_cndmask_b32_e64 v89, v100, v89, s12
	;; [unrolled: 1-line block ×3, first 2 shown]
	s_wait_alu 0xf1ff
	v_cndmask_b32_e64 v118, v80, v112, s22
	v_and_b32_e32 v68, 0xffff, v68
	v_and_b32_e32 v6, 0xffff0000, v6
	v_cndmask_b32_e64 v96, v103, v96, s15
	v_and_b32_e32 v123, 0xffff, v123
	v_and_b32_e32 v107, 0xffff0000, v118
	v_cvt_f32_fp8_e32 v68, v68
	s_delay_alu instid0(VALU_DEP_3) | instskip(NEXT) | instid1(VALU_DEP_2)
	v_cvt_f32_fp8_e32 v123, v123
	v_dual_mul_f32 v107, v17, v107 :: v_dual_mul_f32 v68, s28, v68
	s_delay_alu instid0(VALU_DEP_2) | instskip(NEXT) | instid1(VALU_DEP_2)
	v_mul_f32_e32 v123, s28, v123
	v_fmac_f32_e32 v107, v13, v113
	s_delay_alu instid0(VALU_DEP_3)
	v_bfe_u32 v69, v68, 16, 1
	v_or_b32_e32 v80, 0x400000, v68
	v_cmp_u_f32_e64 s22, v68, v68
	v_bfe_u32 v94, v123, 16, 1
	v_or_b32_e32 v95, 0x400000, v123
	v_add3_u32 v69, v69, v68, 0x7fff
	s_delay_alu instid0(VALU_DEP_3) | instskip(SKIP_1) | instid1(VALU_DEP_2)
	v_add3_u32 v94, v94, v123, 0x7fff
	s_wait_alu 0xf1ff
	v_cndmask_b32_e64 v119, v69, v80, s22
	s_delay_alu instid0(VALU_DEP_1) | instskip(NEXT) | instid1(VALU_DEP_1)
	v_and_b32_e32 v119, 0xffff0000, v119
	v_fmac_f32_e32 v107, v19, v119
	v_and_b32_e32 v68, 0xff, v79
	s_delay_alu instid0(VALU_DEP_1) | instskip(NEXT) | instid1(VALU_DEP_1)
	v_and_b32_e32 v68, 0xffff, v68
	v_cvt_f32_fp8_e32 v68, v68
	s_delay_alu instid0(VALU_DEP_1) | instskip(NEXT) | instid1(VALU_DEP_1)
	v_mul_f32_e32 v68, s28, v68
	v_bfe_u32 v69, v68, 16, 1
	v_or_b32_e32 v80, 0x400000, v68
	v_cmp_u_f32_e64 s22, v68, v68
	s_delay_alu instid0(VALU_DEP_3) | instskip(SKIP_2) | instid1(VALU_DEP_2)
	v_add3_u32 v69, v69, v68, 0x7fff
	v_lshrrev_b16 v68, 8, v79
	s_wait_alu 0xf1ff
	v_cndmask_b32_e64 v80, v69, v80, s22
	s_delay_alu instid0(VALU_DEP_2) | instskip(NEXT) | instid1(VALU_DEP_2)
	v_and_b32_e32 v68, 0xffff, v68
	v_and_b32_e32 v80, 0xffff0000, v80
	s_delay_alu instid0(VALU_DEP_2) | instskip(NEXT) | instid1(VALU_DEP_2)
	v_cvt_f32_fp8_e32 v68, v68
	v_fmac_f32_e32 v106, v20, v80
	s_delay_alu instid0(VALU_DEP_2) | instskip(NEXT) | instid1(VALU_DEP_2)
	v_mul_f32_e32 v68, s28, v68
	v_fmac_f32_e32 v106, v22, v114
	s_delay_alu instid0(VALU_DEP_2) | instskip(SKIP_3) | instid1(VALU_DEP_4)
	v_bfe_u32 v69, v68, 16, 1
	v_or_b32_e32 v79, 0x400000, v68
	v_cmp_u_f32_e64 s22, v68, v68
	v_bfe_u32 v114, v121, 16, 1
	v_add3_u32 v69, v69, v68, 0x7fff
	v_lshrrev_b16 v68, 8, v70
	s_delay_alu instid0(VALU_DEP_3) | instskip(SKIP_1) | instid1(VALU_DEP_3)
	v_add3_u32 v114, v114, v121, 0x7fff
	s_wait_alu 0xf1ff
	v_cndmask_b32_e64 v112, v69, v79, s22
	s_delay_alu instid0(VALU_DEP_3) | instskip(NEXT) | instid1(VALU_DEP_2)
	v_and_b32_e32 v68, 0xffff, v68
	v_and_b32_e32 v112, 0xffff0000, v112
	s_delay_alu instid0(VALU_DEP_2) | instskip(NEXT) | instid1(VALU_DEP_2)
	v_cvt_f32_fp8_e32 v68, v68
	v_fmac_f32_e32 v107, v21, v112
	s_delay_alu instid0(VALU_DEP_2) | instskip(NEXT) | instid1(VALU_DEP_1)
	v_mul_f32_e32 v68, s28, v68
	v_bfe_u32 v69, v68, 16, 1
	v_or_b32_e32 v70, 0x400000, v68
	v_cmp_u_f32_e64 s22, v68, v68
	s_delay_alu instid0(VALU_DEP_3) | instskip(SKIP_2) | instid1(VALU_DEP_2)
	v_add3_u32 v69, v69, v68, 0x7fff
	v_and_b32_e32 v68, 0xff, v78
	s_wait_alu 0xf1ff
	v_cndmask_b32_e64 v115, v69, v70, s22
	s_delay_alu instid0(VALU_DEP_2) | instskip(NEXT) | instid1(VALU_DEP_1)
	v_and_b32_e32 v68, 0xffff, v68
	v_cvt_f32_fp8_e32 v68, v68
	s_delay_alu instid0(VALU_DEP_1) | instskip(NEXT) | instid1(VALU_DEP_1)
	v_mul_f32_e32 v68, s28, v68
	v_bfe_u32 v69, v68, 16, 1
	v_or_b32_e32 v70, 0x400000, v68
	v_cmp_u_f32_e64 s22, v68, v68
	s_delay_alu instid0(VALU_DEP_3) | instskip(SKIP_2) | instid1(VALU_DEP_2)
	v_add3_u32 v69, v69, v68, 0x7fff
	v_lshrrev_b16 v68, 8, v78
	s_wait_alu 0xf1ff
	v_cndmask_b32_e64 v79, v69, v70, s22
	s_delay_alu instid0(VALU_DEP_2) | instskip(NEXT) | instid1(VALU_DEP_1)
	v_and_b32_e32 v68, 0xffff, v68
	v_cvt_f32_fp8_e32 v68, v68
	s_delay_alu instid0(VALU_DEP_1) | instskip(NEXT) | instid1(VALU_DEP_1)
	v_mul_f32_e32 v68, s28, v68
	v_bfe_u32 v69, v68, 16, 1
	v_or_b32_e32 v70, 0x400000, v68
	v_cmp_u_f32_e64 s22, v68, v68
	s_delay_alu instid0(VALU_DEP_3) | instskip(SKIP_3) | instid1(VALU_DEP_3)
	v_add3_u32 v69, v69, v68, 0x7fff
	v_lshrrev_b16 v68, 8, v77
	v_cndmask_b32_e64 v77, v133, v124, s25
	s_wait_alu 0xf1ff
	v_cndmask_b32_e64 v69, v69, v70, s22
	s_delay_alu instid0(VALU_DEP_3) | instskip(NEXT) | instid1(VALU_DEP_1)
	v_and_b32_e32 v68, 0xffff, v68
	v_cvt_f32_fp8_e32 v68, v68
	s_delay_alu instid0(VALU_DEP_1) | instskip(NEXT) | instid1(VALU_DEP_1)
	v_mul_f32_e32 v68, s28, v68
	v_bfe_u32 v70, v68, 16, 1
	v_or_b32_e32 v78, 0x400000, v68
	v_cmp_u_f32_e64 s22, v68, v68
	s_delay_alu instid0(VALU_DEP_3) | instskip(SKIP_1) | instid1(VALU_DEP_1)
	v_add3_u32 v70, v70, v68, 0x7fff
	s_wait_alu 0xf1ff
	v_cndmask_b32_e64 v68, v70, v78, s22
	v_and_b32_e32 v78, 0xff, v76
	v_cndmask_b32_e64 v70, v134, v125, s26
	s_wait_loadcnt 0x0
	v_lshrrev_b16 v125, 8, v5
	v_cndmask_b32_e64 v76, v135, v126, s27
	v_and_b32_e32 v68, 0xffff0000, v68
	v_and_b32_e32 v78, 0xffff, v78
	;; [unrolled: 1-line block ×6, first 2 shown]
	v_cvt_f32_fp8_e32 v78, v78
	s_delay_alu instid0(VALU_DEP_4) | instskip(SKIP_1) | instid1(VALU_DEP_3)
	v_dual_fmac_f32 v106, v24, v79 :: v_dual_and_b32 v125, 0xffff, v125
	v_or_b32_e32 v79, 0x400000, v121
	v_mul_f32_e32 v78, s28, v78
	s_delay_alu instid0(VALU_DEP_3) | instskip(NEXT) | instid1(VALU_DEP_2)
	v_cvt_f32_fp8_e32 v125, v125
	v_bfe_u32 v92, v78, 16, 1
	v_or_b32_e32 v93, 0x400000, v78
	v_cmp_u_f32_e64 s4, v78, v78
	s_delay_alu instid0(VALU_DEP_4) | instskip(NEXT) | instid1(VALU_DEP_4)
	v_mul_f32_e32 v125, s28, v125
	v_add3_u32 v92, v92, v78, 0x7fff
	s_delay_alu instid0(VALU_DEP_2) | instskip(SKIP_2) | instid1(VALU_DEP_3)
	v_bfe_u32 v99, v125, 16, 1
	v_or_b32_e32 v100, 0x400000, v125
	s_wait_alu 0xf1ff
	v_cndmask_b32_e64 v78, v92, v93, s4
	v_and_b32_e32 v92, 0xffff0000, v109
	v_and_b32_e32 v77, 0xffff0000, v77
	;; [unrolled: 1-line block ×3, first 2 shown]
	v_cmp_u_f32_e64 s4, v123, v123
	v_add3_u32 v99, v99, v125, 0x7fff
	v_and_b32_e32 v78, 0xffff0000, v78
	s_delay_alu instid0(VALU_DEP_4) | instskip(NEXT) | instid1(VALU_DEP_1)
	v_dual_fmac_f32 v106, v26, v77 :: v_dual_fmac_f32 v107, v23, v115
	v_dual_fmac_f32 v106, v28, v70 :: v_dual_fmac_f32 v107, v25, v69
	v_and_b32_e32 v124, 0xff, v5
	v_cndmask_b32_e64 v5, v136, v127, s21
	v_and_b32_e32 v127, 0xff, v71
	v_lshrrev_b16 v71, 8, v71
	v_fmac_f32_e32 v107, v27, v68
	v_and_b32_e32 v124, 0xffff, v124
	v_and_b32_e32 v5, 0xffff0000, v5
	;; [unrolled: 1-line block ×3, first 2 shown]
	v_bfe_u32 v69, v73, 16, 1
	v_fmac_f32_e32 v107, v29, v76
	v_cvt_f32_fp8_e32 v124, v124
	v_fmac_f32_e32 v106, v30, v5
	s_wait_alu 0xf1ff
	v_cndmask_b32_e64 v5, v94, v95, s4
	v_or_b32_e32 v68, 0x400000, v73
	v_dual_fmac_f32 v107, v31, v110 :: v_dual_mul_f32 v124, s28, v124
	v_fmac_f32_e32 v106, v32, v92
	v_add3_u32 v69, v69, v73, 0x7fff
	s_delay_alu instid0(VALU_DEP_3) | instskip(NEXT) | instid1(VALU_DEP_4)
	v_fmac_f32_e32 v107, v33, v93
	v_bfe_u32 v97, v124, 16, 1
	s_delay_alu instid0(VALU_DEP_4) | instskip(SKIP_2) | instid1(VALU_DEP_4)
	v_fmac_f32_e32 v106, v34, v82
	v_or_b32_e32 v98, 0x400000, v124
	v_cmp_u_f32_e64 s4, v124, v124
	v_add3_u32 v97, v97, v124, 0x7fff
	s_delay_alu instid0(VALU_DEP_4)
	v_dual_fmac_f32 v106, v36, v84 :: v_dual_fmac_f32 v107, v35, v83
	v_and_b32_e32 v83, 0xffff0000, v86
	v_and_b32_e32 v86, 0xffff0000, v87
	s_wait_alu 0xf1ff
	v_cndmask_b32_e64 v92, v97, v98, s4
	v_cmp_u_f32_e64 s4, v125, v125
	v_dual_fmac_f32 v106, v38, v83 :: v_dual_fmac_f32 v107, v37, v85
	v_and_b32_e32 v83, 0xffff0000, v90
	v_and_b32_e32 v85, 0xffff0000, v88
	;; [unrolled: 1-line block ×3, first 2 shown]
	s_wait_alu 0xf1ff
	v_cndmask_b32_e64 v82, v99, v100, s4
	v_dual_fmac_f32 v107, v39, v86 :: v_dual_and_b32 v86, 0xffff0000, v91
	v_fmac_f32_e32 v106, v40, v85
	s_delay_alu instid0(VALU_DEP_1) | instskip(SKIP_1) | instid1(VALU_DEP_1)
	v_dual_fmac_f32 v106, v42, v83 :: v_dual_and_b32 v83, 0xffff0000, v105
	v_and_b32_e32 v87, 0xffff0000, v89
	v_fmac_f32_e32 v107, v41, v87
	v_and_b32_e32 v87, 0xffff0000, v96
	s_delay_alu instid0(VALU_DEP_2) | instskip(SKIP_1) | instid1(VALU_DEP_2)
	v_dual_fmac_f32 v107, v43, v86 :: v_dual_and_b32 v126, 0xff, v75
	v_lshrrev_b16 v75, 8, v75
	v_dual_fmac_f32 v106, v44, v87 :: v_dual_fmac_f32 v107, v45, v88
	s_delay_alu instid0(VALU_DEP_3) | instskip(NEXT) | instid1(VALU_DEP_3)
	v_and_b32_e32 v126, 0xffff, v126
	v_and_b32_e32 v75, 0xffff, v75
	;; [unrolled: 1-line block ×3, first 2 shown]
	v_lshrrev_b16 v72, 8, v72
	v_fmac_f32_e32 v107, v47, v6
	v_cvt_f32_fp8_e32 v126, v126
	v_and_b32_e32 v127, 0xffff, v127
	v_and_b32_e32 v122, 0xffff, v122
	v_cvt_f32_fp8_e32 v75, v75
	v_and_b32_e32 v72, 0xffff, v72
	v_mul_f32_e32 v126, s28, v126
	v_cvt_f32_fp8_e32 v127, v127
	v_cvt_f32_fp8_e32 v122, v122
	v_and_b32_e32 v71, 0xffff, v71
	v_mul_f32_e32 v75, s28, v75
	v_bfe_u32 v101, v126, 16, 1
	s_delay_alu instid0(VALU_DEP_4) | instskip(NEXT) | instid1(VALU_DEP_4)
	v_dual_mul_f32 v127, s28, v127 :: v_dual_mul_f32 v122, s28, v122
	v_cvt_f32_fp8_e32 v71, v71
	v_or_b32_e32 v102, 0x400000, v126
	v_bfe_u32 v103, v75, 16, 1
	v_add3_u32 v101, v101, v126, 0x7fff
	v_cmp_u_f32_e64 s4, v126, v126
	v_mul_f32_e32 v71, s28, v71
	v_or_b32_e32 v116, 0x400000, v75
	v_bfe_u32 v118, v127, 16, 1
	v_add3_u32 v103, v103, v75, 0x7fff
	s_wait_alu 0xf1ff
	v_cndmask_b32_e64 v84, v101, v102, s4
	v_cmp_u_f32_e64 s4, v75, v75
	v_cvt_f32_fp8_e32 v72, v72
	v_bfe_u32 v111, v71, 16, 1
	v_or_b32_e32 v113, 0x400000, v127
	v_add3_u32 v118, v118, v127, 0x7fff
	s_wait_alu 0xf1ff
	v_cndmask_b32_e64 v75, v103, v116, s4
	v_cmp_u_f32_e64 s4, v127, v127
	v_mul_f32_e32 v72, s28, v72
	v_or_b32_e32 v117, 0x400000, v71
	v_bfe_u32 v119, v122, 16, 1
	v_add3_u32 v111, v111, v71, 0x7fff
	s_wait_alu 0xf1ff
	v_cndmask_b32_e64 v85, v118, v113, s4
	v_cmp_u_f32_e64 s4, v71, v71
	v_bfe_u32 v80, v72, 16, 1
	v_or_b32_e32 v112, 0x400000, v122
	v_add3_u32 v119, v119, v122, 0x7fff
	v_fmac_f32_e32 v106, v46, v83
	s_wait_alu 0xf1ff
	v_cndmask_b32_e64 v71, v111, v117, s4
	v_cmp_u_f32_e64 s4, v122, v122
	v_or_b32_e32 v115, 0x400000, v72
	v_add3_u32 v80, v80, v72, 0x7fff
	v_fmac_f32_e32 v106, v48, v78
	v_and_b32_e32 v78, 0xffff0000, v84
	s_wait_alu 0xf1ff
	v_cndmask_b32_e64 v86, v119, v112, s4
	v_cmp_u_f32_e64 s4, v72, v72
	v_and_b32_e32 v72, 0xffff0000, v92
	s_wait_alu 0xf1ff
	s_delay_alu instid0(VALU_DEP_2) | instskip(SKIP_1) | instid1(VALU_DEP_3)
	v_cndmask_b32_e64 v6, v80, v115, s4
	v_cmp_u_f32_e64 s4, v121, v121
	v_dual_fmac_f32 v106, v50, v72 :: v_dual_and_b32 v5, 0xffff0000, v5
	v_and_b32_e32 v80, 0xffff0000, v82
	v_and_b32_e32 v72, 0xffff0000, v86
	;; [unrolled: 1-line block ×3, first 2 shown]
	s_delay_alu instid0(VALU_DEP_4)
	v_fmac_f32_e32 v106, v52, v78
	v_dual_fmac_f32 v107, v49, v5 :: v_dual_and_b32 v120, 0xff, v74
	s_wait_alu 0xf1ff
	v_cndmask_b32_e64 v5, v114, v79, s4
	v_cmp_u_f32_e64 s4, v73, v73
	v_lshrrev_b16 v74, 8, v74
	v_fmac_f32_e32 v107, v51, v80
	s_delay_alu instid0(VALU_DEP_4) | instskip(SKIP_4) | instid1(VALU_DEP_3)
	v_and_b32_e32 v5, 0xffff0000, v5
	s_wait_alu 0xf1ff
	v_cndmask_b32_e64 v68, v69, v68, s4
	v_and_b32_e32 v69, 0xffff0000, v85
	v_and_b32_e32 v75, 0xffff0000, v75
	;; [unrolled: 1-line block ×3, first 2 shown]
	s_delay_alu instid0(VALU_DEP_2) | instskip(NEXT) | instid1(VALU_DEP_1)
	v_dual_fmac_f32 v106, v54, v69 :: v_dual_fmac_f32 v107, v53, v75
	v_dual_fmac_f32 v106, v56, v72 :: v_dual_and_b32 v71, 0xffff0000, v71
	s_delay_alu instid0(VALU_DEP_1) | instskip(NEXT) | instid1(VALU_DEP_1)
	v_dual_fmac_f32 v106, v58, v5 :: v_dual_fmac_f32 v107, v55, v71
	v_fmac_f32_e32 v107, v57, v6
	s_delay_alu instid0(VALU_DEP_1) | instskip(SKIP_1) | instid1(VALU_DEP_1)
	v_fmac_f32_e32 v107, v59, v68
	v_and_b32_e32 v120, 0xffff, v120
	v_cvt_f32_fp8_e32 v120, v120
	s_delay_alu instid0(VALU_DEP_1) | instskip(NEXT) | instid1(VALU_DEP_1)
	v_mul_f32_e32 v120, s28, v120
	v_bfe_u32 v77, v120, 16, 1
	v_or_b32_e32 v70, 0x400000, v120
	v_cmp_u_f32_e64 s4, v120, v120
	s_delay_alu instid0(VALU_DEP_3) | instskip(SKIP_1) | instid1(VALU_DEP_1)
	v_add3_u32 v77, v77, v120, 0x7fff
	s_wait_alu 0xf1ff
	v_cndmask_b32_e64 v70, v77, v70, s4
	s_delay_alu instid0(VALU_DEP_1) | instskip(NEXT) | instid1(VALU_DEP_1)
	v_and_b32_e32 v6, 0xffff0000, v70
	v_fmac_f32_e32 v106, v61, v6
	v_and_b32_e32 v74, 0xffff, v74
	s_delay_alu instid0(VALU_DEP_1) | instskip(NEXT) | instid1(VALU_DEP_1)
	v_cvt_f32_fp8_e32 v74, v74
	v_mul_f32_e32 v74, s28, v74
	s_delay_alu instid0(VALU_DEP_1) | instskip(SKIP_2) | instid1(VALU_DEP_3)
	v_bfe_u32 v81, v74, 16, 1
	v_or_b32_e32 v76, 0x400000, v74
	v_cmp_u_f32_e64 s4, v74, v74
	v_add3_u32 v81, v81, v74, 0x7fff
	s_wait_alu 0xf1ff
	s_delay_alu instid0(VALU_DEP_1) | instskip(NEXT) | instid1(VALU_DEP_1)
	v_cndmask_b32_e64 v69, v81, v76, s4
	v_and_b32_e32 v69, 0xffff0000, v69
	s_delay_alu instid0(VALU_DEP_1) | instskip(NEXT) | instid1(VALU_DEP_1)
	v_fmac_f32_e32 v107, v62, v69
	v_add_f32_e32 v5, v106, v107
	ds_bpermute_b32 v6, v63, v5
	s_wait_dscnt 0x0
	v_add_f32_e32 v5, v5, v6
	ds_bpermute_b32 v6, v64, v5
	s_and_saveexec_b32 s5, vcc_lo
	s_cbranch_execz .LBB329_9
; %bb.11:                               ;   in Loop: Header=BB329_10 Depth=1
	s_wait_dscnt 0x0
	v_dual_add_f32 v5, v5, v6 :: v_dual_add_nc_u32 v68, s53, v65
	v_cmp_gt_i32_e64 s4, s46, v65
	s_delay_alu instid0(VALU_DEP_2) | instskip(NEXT) | instid1(VALU_DEP_1)
	v_cvt_f32_i32_e32 v68, v68
	v_mul_f32_e32 v68, s51, v68
	s_delay_alu instid0(VALU_DEP_1) | instskip(SKIP_1) | instid1(VALU_DEP_2)
	v_cndmask_b32_e64 v6, 0, v68, s3
	v_max_num_f32_e32 v68, v60, v60
	v_fmac_f32_e32 v6, s45, v5
	s_delay_alu instid0(VALU_DEP_1) | instskip(SKIP_2) | instid1(VALU_DEP_2)
	v_max_num_f32_e32 v5, v68, v6
	s_wait_alu 0xf1ff
	v_cndmask_b32_e64 v6, 0, v6, s4
	v_cndmask_b32_e64 v60, v60, v5, s4
	ds_store_b32 v66, v6
	s_branch .LBB329_9
.LBB329_12:
	s_or_b32 exec_lo, exec_lo, s29
.LBB329_13:
	s_delay_alu instid0(SALU_CYCLE_1)
	s_or_b32 exec_lo, exec_lo, s52
	v_xor_b32_e32 v1, 16, v9
	v_xor_b32_e32 v3, 8, v9
	s_clause 0x2
	s_load_b128 s[4:7], s[0:1], 0x0
	s_load_b64 s[8:9], s[0:1], 0x10
	s_load_b64 s[12:13], s[0:1], 0x28
	v_and_b32_e32 v17, 31, v0
	v_max_num_f32_e32 v5, v60, v60
	v_cmp_lt_i32_e32 vcc_lo, v1, v11
	s_wait_alu 0xfffd
	v_cndmask_b32_e32 v1, v9, v1, vcc_lo
	v_cmp_lt_i32_e32 vcc_lo, v3, v11
	s_wait_alu 0xfffd
	v_cndmask_b32_e32 v3, v9, v3, vcc_lo
	s_delay_alu instid0(VALU_DEP_1) | instskip(SKIP_4) | instid1(VALU_DEP_1)
	v_lshlrev_b32_e32 v4, 2, v3
	v_lshlrev_b32_e32 v2, 2, v1
	ds_bpermute_b32 v1, v2, v60
	s_wait_dscnt 0x0
	v_max_num_f32_e32 v1, v1, v1
	v_max_num_f32_e32 v1, v5, v1
	v_xor_b32_e32 v5, 4, v9
	ds_bpermute_b32 v3, v4, v1
	v_cmp_lt_i32_e32 vcc_lo, v5, v11
	s_wait_alu 0xfffd
	v_cndmask_b32_e32 v5, v9, v5, vcc_lo
	v_cmp_eq_u32_e32 vcc_lo, 0, v17
	s_delay_alu instid0(VALU_DEP_2) | instskip(SKIP_3) | instid1(VALU_DEP_1)
	v_lshlrev_b32_e32 v12, 2, v5
	v_lshlrev_b32_e32 v5, 2, v15
	s_wait_dscnt 0x0
	v_max_num_f32_e32 v3, v3, v3
	v_max_num_f32_e32 v1, v1, v3
	ds_bpermute_b32 v3, v12, v1
	s_and_saveexec_b32 s0, vcc_lo
	s_cbranch_execz .LBB329_15
; %bb.14:
	s_wait_dscnt 0x0
	v_max_num_f32_e32 v3, v3, v3
	v_max_num_f32_e32 v1, v1, v1
	s_delay_alu instid0(VALU_DEP_1)
	v_max_num_f32_e32 v1, v1, v3
	ds_store_b32 v5, v1 offset:384
.LBB329_15:
	s_or_b32 exec_lo, exec_lo, s0
	v_cmp_gt_u32_e64 s0, 4, v17
	v_dual_mov_b32 v1, 0xff7fffff :: v_dual_lshlrev_b32 v6, 2, v17
	s_wait_loadcnt_dscnt 0x0
	s_barrier_signal -1
	s_barrier_wait -1
	global_inv scope:SCOPE_SE
	s_and_saveexec_b32 s1, s0
; %bb.16:
	ds_load_b32 v1, v6 offset:384
; %bb.17:
	s_or_b32 exec_lo, exec_lo, s1
	v_xor_b32_e32 v3, 2, v9
	v_xor_b32_e32 v14, 1, v9
	s_delay_alu instid0(VALU_DEP_2) | instskip(NEXT) | instid1(VALU_DEP_1)
	v_cmp_lt_i32_e64 s1, v3, v11
	v_cndmask_b32_e64 v3, v9, v3, s1
	s_delay_alu instid0(VALU_DEP_3) | instskip(NEXT) | instid1(VALU_DEP_2)
	v_cmp_lt_i32_e64 s1, v14, v11
	v_lshlrev_b32_e32 v13, 2, v3
	s_wait_alu 0xf1ff
	s_delay_alu instid0(VALU_DEP_2)
	v_cndmask_b32_e64 v11, v9, v14, s1
	s_sub_co_i32 s1, s36, s50
	s_wait_alu 0xfffe
	s_lshl_b32 s1, s1, 3
	s_wait_dscnt 0x0
	ds_bpermute_b32 v3, v13, v1
	v_max_num_f32_e32 v1, v1, v1
	v_lshlrev_b32_e32 v11, 2, v11
	s_wait_alu 0xfffe
	s_add_co_i32 s1, s1, s47
	s_wait_alu 0xfffe
	s_min_i32 s1, s1, s46
	s_wait_alu 0xfffe
	s_sub_co_i32 s10, s1, s47
	s_wait_alu 0xfffe
	v_cmp_gt_i32_e64 s1, s10, v0
	s_wait_dscnt 0x0
	v_max_num_f32_e32 v3, v3, v3
	s_delay_alu instid0(VALU_DEP_1) | instskip(SKIP_3) | instid1(VALU_DEP_1)
	v_max_num_f32_e32 v1, v1, v3
	ds_bpermute_b32 v3, v11, v1
	s_wait_dscnt 0x0
	v_max_num_f32_e32 v3, v3, v3
	v_max_num_f32_e32 v1, v1, v3
	v_dual_mov_b32 v10, 0 :: v_dual_lshlrev_b32 v3, 2, v10
	ds_bpermute_b32 v1, v3, v1
	v_lshl_add_u32 v3, v0, 2, 0x1a0
	s_and_saveexec_b32 s11, s1
	s_cbranch_execz .LBB329_21
; %bb.18:
	v_lshl_add_u32 v14, v0, 2, 0x1a0
	v_mov_b32_e32 v10, 0
	v_mov_b32_e32 v18, v0
	s_mov_b32 s14, 0
.LBB329_19:                             ; =>This Inner Loop Header: Depth=1
	ds_load_b32 v19, v14
	v_add_nc_u32_e32 v18, 0x80, v18
	s_delay_alu instid0(VALU_DEP_1) | instskip(SKIP_4) | instid1(VALU_DEP_1)
	v_cmp_le_i32_e64 s3, s10, v18
	s_wait_alu 0xfffe
	s_or_b32 s14, s3, s14
	s_wait_dscnt 0x0
	v_sub_f32_e32 v19, v19, v1
	v_mul_f32_e32 v19, 0x3fb8aa3b, v19
	s_delay_alu instid0(VALU_DEP_1)
	v_exp_f32_e32 v19, v19
	ds_store_b32 v14, v19
	v_add_f32_e32 v10, v10, v19
	v_add_nc_u32_e32 v14, 0x200, v14
	s_wait_alu 0xfffe
	s_and_not1_b32 exec_lo, exec_lo, s14
	s_cbranch_execnz .LBB329_19
; %bb.20:
	s_or_b32 exec_lo, exec_lo, s14
.LBB329_21:
	s_wait_alu 0xfffe
	s_or_b32 exec_lo, exec_lo, s11
	ds_bpermute_b32 v2, v2, v10
	s_wait_dscnt 0x0
	v_add_f32_e32 v2, v10, v2
	ds_bpermute_b32 v4, v4, v2
	s_wait_dscnt 0x0
	v_add_f32_e32 v2, v2, v4
	;; [unrolled: 3-line block ×5, first 2 shown]
	s_and_saveexec_b32 s3, vcc_lo
; %bb.22:
	ds_store_b32 v5, v2 offset:400
; %bb.23:
	s_wait_alu 0xfffe
	s_or_b32 exec_lo, exec_lo, s3
	s_wait_loadcnt_dscnt 0x0
	s_barrier_signal -1
	s_barrier_wait -1
	global_inv scope:SCOPE_SE
	s_and_saveexec_b32 s3, s0
; %bb.24:
	ds_load_b32 v2, v6 offset:400
; %bb.25:
	s_wait_alu 0xfffe
	s_or_b32 exec_lo, exec_lo, s3
	s_wait_dscnt 0x0
	ds_bpermute_b32 v4, v13, v2
	s_wait_dscnt 0x0
	v_dual_add_f32 v2, v2, v4 :: v_dual_lshlrev_b32 v5, 2, v9
	ds_bpermute_b32 v4, v11, v2
	s_wait_dscnt 0x0
	v_add_f32_e32 v2, v2, v4
	v_and_b32_e32 v4, 0xffffff80, v5
	ds_bpermute_b32 v2, v4, v2
	s_and_saveexec_b32 s0, s1
	s_cbranch_execz .LBB329_28
; %bb.26:
	s_wait_dscnt 0x0
	v_add_f32_e32 v4, 0x358637bd, v2
	s_mov_b32 s1, 0
	s_delay_alu instid0(VALU_DEP_1) | instskip(SKIP_1) | instid1(VALU_DEP_2)
	v_div_scale_f32 v5, null, v4, v4, 1.0
	v_div_scale_f32 v10, vcc_lo, 1.0, v4, 1.0
	v_rcp_f32_e32 v6, v5
	s_delay_alu instid0(TRANS32_DEP_1) | instskip(NEXT) | instid1(VALU_DEP_1)
	v_fma_f32 v9, -v5, v6, 1.0
	v_fmac_f32_e32 v6, v9, v6
	s_delay_alu instid0(VALU_DEP_1) | instskip(NEXT) | instid1(VALU_DEP_1)
	v_mul_f32_e32 v9, v10, v6
	v_fma_f32 v11, -v5, v9, v10
	s_delay_alu instid0(VALU_DEP_1) | instskip(NEXT) | instid1(VALU_DEP_1)
	v_fmac_f32_e32 v9, v11, v6
	v_fma_f32 v5, -v5, v9, v10
	s_wait_alu 0xfffd
	s_delay_alu instid0(VALU_DEP_1) | instskip(NEXT) | instid1(VALU_DEP_1)
	v_div_fmas_f32 v5, v5, v6, v9
	v_div_fixup_f32 v4, v5, v4, 1.0
	v_mov_b32_e32 v5, v0
.LBB329_27:                             ; =>This Inner Loop Header: Depth=1
	ds_load_b32 v6, v3
	s_wait_dscnt 0x0
	v_dual_mul_f32 v6, v4, v6 :: v_dual_add_nc_u32 v5, 0x80, v5
	s_delay_alu instid0(VALU_DEP_1)
	v_cmp_le_i32_e32 vcc_lo, s10, v5
	ds_store_b32 v3, v6
	v_add_nc_u32_e32 v3, 0x200, v3
	s_wait_alu 0xfffe
	s_or_b32 s1, vcc_lo, s1
	s_wait_alu 0xfffe
	s_and_not1_b32 exec_lo, exec_lo, s1
	s_cbranch_execnz .LBB329_27
.LBB329_28:
	s_wait_alu 0xfffe
	s_or_b32 exec_lo, exec_lo, s0
	s_wait_kmcnt 0x0
	s_mul_i32 s0, s35, s48
	s_wait_loadcnt_dscnt 0x0
	s_wait_alu 0xfffe
	s_mul_i32 s10, s0, s49
	s_mov_b32 s0, exec_lo
	s_barrier_signal -1
	s_barrier_wait -1
	global_inv scope:SCOPE_SE
	v_cmpx_eq_u32_e32 0, v0
	s_cbranch_execz .LBB329_30
; %bb.29:
	s_wait_alu 0xfffe
	s_ashr_i32 s11, s10, 31
	s_mul_i32 s14, s35, ttmp9
	s_lshl_b32 s1, s33, 2
	s_wait_alu 0xfffe
	s_lshl_b64 s[16:17], s[10:11], 2
	s_ashr_i32 s15, s14, 31
	v_mov_b32_e32 v3, s1
	s_wait_alu 0xfffe
	s_add_nc_u64 s[6:7], s[6:7], s[16:17]
	s_lshl_b64 s[14:15], s[14:15], 2
	s_add_nc_u64 s[4:5], s[4:5], s[16:17]
	s_wait_alu 0xfffe
	s_add_nc_u64 s[6:7], s[6:7], s[14:15]
	s_add_nc_u64 s[4:5], s[4:5], s[14:15]
	s_clause 0x1
	global_store_b32 v3, v1, s[6:7]
	global_store_b32 v3, v2, s[4:5]
.LBB329_30:
	s_wait_alu 0xfffe
	s_or_b32 exec_lo, exec_lo, s0
	v_dual_mov_b32 v23, 0 :: v_dual_mov_b32 v22, 0
	v_dual_mov_b32 v21, 0 :: v_dual_mov_b32 v20, 0
	;; [unrolled: 1-line block ×3, first 2 shown]
	s_and_saveexec_b32 s1, s2
	s_cbranch_execz .LBB329_46
; %bb.31:
	s_load_b32 s2, s[30:31], 0x0
	v_dual_mov_b32 v18, 0 :: v_dual_lshlrev_b32 v1, 3, v17
	s_ashr_i32 s39, s38, 31
	v_add3_u32 v24, s47, v8, 7
	s_wait_alu 0xfffe
	s_add_nc_u64 s[4:5], s[12:13], s[38:39]
	v_lshl_add_u32 v25, v15, 5, 0x1a0
	s_wait_alu 0xfffe
	v_add_co_u32 v9, s0, s4, v1
	s_wait_alu 0xf1ff
	v_add_co_ci_u32_e64 v10, null, s5, 0, s0
	s_lshl_b64 s[4:5], s[40:41], 2
	v_dual_mov_b32 v19, 0 :: v_dual_mov_b32 v20, 0
	s_wait_alu 0xfffe
	s_add_nc_u64 s[4:5], s[42:43], s[4:5]
	v_dual_mov_b32 v21, 0 :: v_dual_mov_b32 v22, 0
	s_wait_alu 0xfffe
	v_add_co_u32 v11, s0, s4, v7
	s_wait_alu 0xf1ff
	v_add_co_ci_u32_e64 v12, null, s5, 0, s0
	v_mov_b32_e32 v23, 0
	s_mov_b32 s3, s37
	s_add_co_i32 s44, s44, -1
	s_mov_b32 s4, 0
	s_branch .LBB329_33
.LBB329_32:                             ;   in Loop: Header=BB329_33 Depth=1
	s_wait_alu 0xfffe
	s_or_b32 exec_lo, exec_lo, s0
	s_wait_dscnt 0x1
	v_bfe_u32 v42, v5, 16, 1
	v_bfe_u32 v43, v6, 16, 1
	v_or_b32_e32 v44, 0x400000, v5
	v_cmp_u_f32_e32 vcc_lo, v5, v5
	v_or_b32_e32 v45, 0x400000, v6
	v_add3_u32 v42, v42, v5, 0x7fff
	v_bfe_u32 v46, v7, 16, 1
	v_add3_u32 v43, v43, v6, 0x7fff
	v_bfe_u32 v47, v8, 16, 1
	v_lshlrev_b32_e32 v36, 16, v36
	s_wait_alu 0xfffd
	v_cndmask_b32_e32 v5, v42, v44, vcc_lo
	v_cmp_u_f32_e32 vcc_lo, v6, v6
	v_add3_u32 v42, v46, v7, 0x7fff
	v_add3_u32 v44, v47, v8, 0x7fff
	s_wait_dscnt 0x0
	v_bfe_u32 v46, v1, 16, 1
	v_or_b32_e32 v47, 0x400000, v4
	s_wait_alu 0xfffd
	v_cndmask_b32_e32 v6, v43, v45, vcc_lo
	v_or_b32_e32 v43, 0x400000, v7
	v_cmp_u_f32_e32 vcc_lo, v7, v7
	v_or_b32_e32 v45, 0x400000, v8
	v_lshlrev_b32_e32 v35, 16, v35
	v_lshlrev_b32_e32 v14, 16, v14
	s_wait_alu 0xfffd
	v_dual_cndmask_b32 v7, v42, v43 :: v_dual_add_nc_u32 v16, 4, v16
	v_cmp_u_f32_e32 vcc_lo, v8, v8
	v_bfe_u32 v42, v2, 16, 1
	v_add3_u32 v43, v46, v1, 0x7fff
	v_bfe_u32 v46, v3, 16, 1
	v_add_co_u32 v11, s0, v11, 16
	s_wait_alu 0xfffd
	v_cndmask_b32_e32 v8, v44, v45, vcc_lo
	v_or_b32_e32 v44, 0x400000, v1
	v_cmp_u_f32_e32 vcc_lo, v1, v1
	v_add3_u32 v42, v42, v2, 0x7fff
	v_or_b32_e32 v45, 0x400000, v2
	v_add_nc_u32_e32 v24, 32, v24
	s_wait_alu 0xf1ff
	v_add_co_ci_u32_e64 v12, null, 0, v12, s0
	s_wait_alu 0xfffd
	v_cndmask_b32_e32 v43, v43, v44, vcc_lo
	v_cmp_u_f32_e32 vcc_lo, v2, v2
	v_add3_u32 v2, v46, v3, 0x7fff
	v_bfe_u32 v44, v4, 16, 1
	v_or_b32_e32 v46, 0x400000, v3
	s_wait_alu 0xfffd
	v_dual_cndmask_b32 v42, v42, v45 :: v_dual_lshlrev_b32 v67, 16, v67
	v_cmp_u_f32_e32 vcc_lo, v3, v3
	v_lshlrev_b32_e32 v45, 16, v77
	v_add3_u32 v44, v44, v4, 0x7fff
	v_lshlrev_b32_e32 v65, 16, v65
	s_wait_alu 0xfffd
	v_dual_cndmask_b32 v46, v2, v46 :: v_dual_lshlrev_b32 v53, 16, v53
	v_cmp_u_f32_e32 vcc_lo, v4, v4
	v_and_b32_e32 v1, 0xffff0000, v6
	v_lshlrev_b32_e32 v49, 16, v49
	v_lshlrev_b32_e32 v41, 16, v41
	;; [unrolled: 1-line block ×3, first 2 shown]
	s_wait_alu 0xfffd
	v_dual_cndmask_b32 v4, v44, v47 :: v_dual_and_b32 v5, 0xffff0000, v5
	v_lshlrev_b32_e32 v6, 16, v78
	v_lshlrev_b32_e32 v63, 16, v63
	v_mul_f32_e32 v41, v1, v41
	v_lshlrev_b32_e32 v31, 16, v31
	v_mul_f32_e32 v45, v5, v45
	v_mul_f32_e32 v6, v1, v6
	v_lshlrev_b32_e32 v28, 16, v28
	v_lshlrev_b32_e32 v29, 16, v29
	;; [unrolled: 1-line block ×3, first 2 shown]
	v_bfe_u32 v44, v45, 16, 1
	v_bfe_u32 v3, v6, 16, 1
	v_or_b32_e32 v47, 0x400000, v6
	v_cmp_u_f32_e32 vcc_lo, v6, v6
	v_or_b32_e32 v52, 0x400000, v45
	v_add3_u32 v44, v44, v45, 0x7fff
	v_add3_u32 v3, v3, v6, 0x7fff
	v_and_b32_e32 v2, 0xffff0000, v8
	v_and_b32_e32 v6, 0xffff0000, v43
	v_lshlrev_b32_e32 v13, 16, v13
	v_add_nc_u32_e32 v25, 0x80, v25
	s_wait_alu 0xfffd
	v_cndmask_b32_e32 v47, v3, v47, vcc_lo
	v_cmp_u_f32_e32 vcc_lo, v45, v45
	v_and_b32_e32 v3, 0xffff0000, v42
	v_lshlrev_b32_e32 v43, 16, v73
	v_lshlrev_b32_e32 v8, 16, v76
	v_lshlrev_b32_e32 v42, 16, v74
	s_wait_alu 0xfffd
	v_dual_cndmask_b32 v44, v44, v52 :: v_dual_and_b32 v47, 0xffff0000, v47
	v_mul_f32_e32 v43, v6, v43
	v_mul_f32_e32 v76, v2, v8
	v_and_b32_e32 v8, 0xffff0000, v7
	v_dual_mul_f32 v42, v3, v42 :: v_dual_lshlrev_b32 v7, 16, v75
	s_delay_alu instid0(VALU_DEP_4) | instskip(NEXT) | instid1(VALU_DEP_4)
	v_bfe_u32 v75, v43, 16, 1
	v_bfe_u32 v45, v76, 16, 1
	v_or_b32_e32 v52, 0x400000, v76
	v_cmp_u_f32_e32 vcc_lo, v76, v76
	v_bfe_u32 v74, v42, 16, 1
	v_add3_u32 v75, v75, v43, 0x7fff
	v_add3_u32 v45, v45, v76, 0x7fff
	v_and_b32_e32 v44, 0xffff0000, v44
	v_dual_mul_f32 v39, v2, v39 :: v_dual_lshlrev_b32 v54, 16, v54
	v_mul_f32_e32 v31, v2, v31
	s_wait_alu 0xfffd
	v_cndmask_b32_e32 v45, v45, v52, vcc_lo
	v_mul_f32_e32 v7, v8, v7
	v_dual_add_f32 v44, v44, v47 :: v_dual_lshlrev_b32 v47, 16, v70
	v_dual_mul_f32 v29, v3, v29 :: v_dual_lshlrev_b32 v32, 16, v32
	s_delay_alu instid0(VALU_DEP_3) | instskip(SKIP_1) | instid1(VALU_DEP_3)
	v_bfe_u32 v73, v7, 16, 1
	v_cmp_u_f32_e32 vcc_lo, v7, v7
	v_dual_mul_f32 v32, v5, v32 :: v_dual_and_b32 v45, 0xffff0000, v45
	s_delay_alu instid0(VALU_DEP_3) | instskip(SKIP_2) | instid1(VALU_DEP_1)
	v_add3_u32 v52, v73, v7, 0x7fff
	v_or_b32_e32 v73, 0x400000, v7
	s_wait_alu 0xfffd
	v_dual_cndmask_b32 v52, v52, v73 :: v_dual_and_b32 v7, 0xffff0000, v46
	v_add3_u32 v73, v74, v42, 0x7fff
	v_or_b32_e32 v74, 0x400000, v42
	v_cmp_u_f32_e32 vcc_lo, v42, v42
	s_delay_alu instid0(VALU_DEP_4)
	v_dual_mul_f32 v63, v7, v63 :: v_dual_and_b32 v52, 0xffff0000, v52
	v_lshlrev_b32_e32 v72, 16, v72
	s_wait_alu 0xfffd
	v_cndmask_b32_e32 v42, v73, v74, vcc_lo
	v_cmp_u_f32_e32 vcc_lo, v43, v43
	v_add_f32_e32 v45, v52, v45
	v_lshlrev_b32_e32 v52, 16, v69
	v_lshlrev_b32_e32 v46, 16, v71
	v_or_b32_e32 v71, 0x400000, v43
	v_and_b32_e32 v4, 0xffff0000, v4
	s_wait_alu 0xfffd
	s_delay_alu instid0(VALU_DEP_2) | instskip(NEXT) | instid1(VALU_DEP_2)
	v_dual_cndmask_b32 v43, v75, v71 :: v_dual_and_b32 v42, 0xffff0000, v42
	v_mul_f32_e32 v72, v4, v72
	v_mul_f32_e32 v49, v4, v49
	;; [unrolled: 1-line block ×4, first 2 shown]
	v_and_b32_e32 v43, 0xffff0000, v43
	v_bfe_u32 v76, v72, 16, 1
	v_or_b32_e32 v73, 0x400000, v72
	v_cmp_u_f32_e32 vcc_lo, v72, v72
	s_delay_alu instid0(VALU_DEP_4) | instskip(NEXT) | instid1(VALU_DEP_4)
	v_add_f32_e32 v42, v43, v42
	v_add3_u32 v71, v76, v72, 0x7fff
	v_dual_mul_f32 v43, v5, v52 :: v_dual_mul_f32 v46, v7, v46
	s_wait_alu 0xfffd
	s_delay_alu instid0(VALU_DEP_2) | instskip(SKIP_1) | instid1(VALU_DEP_3)
	v_dual_cndmask_b32 v71, v71, v73 :: v_dual_add_f32 v44, v45, v44
	v_mul_f32_e32 v45, v1, v47
	v_bfe_u32 v74, v46, 16, 1
	v_or_b32_e32 v73, 0x400000, v46
	v_cmp_u_f32_e32 vcc_lo, v46, v46
	v_and_b32_e32 v47, 0xffff0000, v71
	v_bfe_u32 v52, v45, 16, 1
	v_add3_u32 v72, v74, v46, 0x7fff
	v_add_f32_e32 v42, v42, v44
	v_bfe_u32 v44, v43, 16, 1
	v_mul_f32_e32 v65, v6, v65
	v_or_b32_e32 v69, 0x400000, v43
	s_wait_alu 0xfffd
	v_cndmask_b32_e32 v46, v72, v73, vcc_lo
	v_cmp_u_f32_e32 vcc_lo, v45, v45
	v_add3_u32 v44, v44, v43, 0x7fff
	v_dual_mul_f32 v36, v6, v36 :: v_dual_lshlrev_b32 v37, 16, v37
	s_delay_alu instid0(VALU_DEP_1) | instskip(NEXT) | instid1(VALU_DEP_1)
	v_dual_mul_f32 v37, v3, v37 :: v_dual_and_b32 v46, 0xffff0000, v46
	v_add_f32_e32 v46, v46, v47
	v_add3_u32 v47, v52, v45, 0x7fff
	v_or_b32_e32 v52, 0x400000, v45
	s_wait_alu 0xfffd
	s_delay_alu instid0(VALU_DEP_1) | instskip(SKIP_1) | instid1(VALU_DEP_2)
	v_cndmask_b32_e32 v45, v47, v52, vcc_lo
	v_cmp_u_f32_e32 vcc_lo, v43, v43
	v_and_b32_e32 v45, 0xffff0000, v45
	s_wait_alu 0xfffd
	v_cndmask_b32_e32 v43, v44, v69, vcc_lo
	v_mul_f32_e32 v44, v8, v67
	v_bfe_u32 v69, v65, 16, 1
	s_delay_alu instid0(VALU_DEP_3) | instskip(SKIP_1) | instid1(VALU_DEP_4)
	v_and_b32_e32 v43, 0xffff0000, v43
	v_lshlrev_b32_e32 v68, 16, v68
	v_bfe_u32 v67, v44, 16, 1
	s_delay_alu instid0(VALU_DEP_2) | instskip(SKIP_1) | instid1(VALU_DEP_2)
	v_dual_add_f32 v43, v43, v45 :: v_dual_mul_f32 v68, v2, v68
	v_lshlrev_b32_e32 v52, 16, v66
	v_bfe_u32 v47, v68, 16, 1
	v_or_b32_e32 v66, 0x400000, v68
	v_cmp_u_f32_e32 vcc_lo, v68, v68
	s_delay_alu instid0(VALU_DEP_3) | instskip(SKIP_1) | instid1(VALU_DEP_1)
	v_add3_u32 v47, v47, v68, 0x7fff
	s_wait_alu 0xfffd
	v_cndmask_b32_e32 v47, v47, v66, vcc_lo
	v_add3_u32 v66, v67, v44, 0x7fff
	v_or_b32_e32 v67, 0x400000, v44
	v_cmp_u_f32_e32 vcc_lo, v44, v44
	s_delay_alu instid0(VALU_DEP_4) | instskip(SKIP_1) | instid1(VALU_DEP_3)
	v_and_b32_e32 v47, 0xffff0000, v47
	s_wait_alu 0xfffd
	v_cndmask_b32_e32 v44, v66, v67, vcc_lo
	s_delay_alu instid0(VALU_DEP_1) | instskip(NEXT) | instid1(VALU_DEP_1)
	v_and_b32_e32 v44, 0xffff0000, v44
	v_add_f32_e32 v44, v44, v47
	s_delay_alu instid0(VALU_DEP_1) | instskip(NEXT) | instid1(VALU_DEP_1)
	v_dual_add_f32 v43, v44, v43 :: v_dual_mul_f32 v52, v3, v52
	v_bfe_u32 v68, v52, 16, 1
	v_or_b32_e32 v67, 0x400000, v52
	v_cmp_u_f32_e32 vcc_lo, v52, v52
	s_delay_alu instid0(VALU_DEP_3) | instskip(SKIP_3) | instid1(VALU_DEP_3)
	v_add3_u32 v66, v68, v52, 0x7fff
	v_add3_u32 v68, v69, v65, 0x7fff
	v_or_b32_e32 v69, 0x400000, v65
	s_wait_alu 0xfffd
	v_cndmask_b32_e32 v52, v66, v67, vcc_lo
	v_cmp_u_f32_e32 vcc_lo, v65, v65
	s_delay_alu instid0(VALU_DEP_2) | instskip(SKIP_3) | instid1(VALU_DEP_2)
	v_and_b32_e32 v47, 0xffff0000, v52
	s_wait_alu 0xfffd
	v_cndmask_b32_e32 v65, v68, v69, vcc_lo
	v_bfe_u32 v68, v63, 16, 1
	v_dual_add_f32 v42, v46, v42 :: v_dual_and_b32 v45, 0xffff0000, v65
	s_delay_alu instid0(VALU_DEP_1) | instskip(NEXT) | instid1(VALU_DEP_1)
	v_dual_add_f32 v19, v19, v42 :: v_dual_lshlrev_b32 v64, 16, v64
	v_dual_add_f32 v45, v45, v47 :: v_dual_mul_f32 v64, v4, v64
	v_lshlrev_b32_e32 v47, 16, v55
	s_delay_alu instid0(VALU_DEP_2) | instskip(NEXT) | instid1(VALU_DEP_3)
	v_add_f32_e32 v43, v45, v43
	v_bfe_u32 v70, v64, 16, 1
	v_or_b32_e32 v67, 0x400000, v64
	v_cmp_u_f32_e32 vcc_lo, v64, v64
	v_mul_f32_e32 v46, v5, v47
	s_delay_alu instid0(VALU_DEP_4) | instskip(SKIP_1) | instid1(VALU_DEP_1)
	v_add3_u32 v66, v70, v64, 0x7fff
	s_wait_alu 0xfffd
	v_cndmask_b32_e32 v64, v66, v67, vcc_lo
	v_add3_u32 v66, v68, v63, 0x7fff
	v_or_b32_e32 v67, 0x400000, v63
	v_cmp_u_f32_e32 vcc_lo, v63, v63
	s_wait_alu 0xfffd
	s_delay_alu instid0(VALU_DEP_2) | instskip(NEXT) | instid1(VALU_DEP_1)
	v_dual_cndmask_b32 v52, v66, v67 :: v_dual_and_b32 v55, 0xffff0000, v64
	v_and_b32_e32 v52, 0xffff0000, v52
	s_delay_alu instid0(VALU_DEP_1) | instskip(NEXT) | instid1(VALU_DEP_1)
	v_dual_add_f32 v45, v52, v55 :: v_dual_lshlrev_b32 v44, 16, v56
	v_mul_f32_e32 v44, v1, v44
	v_bfe_u32 v52, v46, 16, 1
	v_bfe_u32 v55, v49, 16, 1
	s_delay_alu instid0(VALU_DEP_4) | instskip(NEXT) | instid1(VALU_DEP_4)
	v_add_f32_e32 v42, v45, v43
	v_bfe_u32 v47, v44, 16, 1
	v_or_b32_e32 v45, 0x400000, v44
	v_cmp_u_f32_e32 vcc_lo, v44, v44
	s_delay_alu instid0(VALU_DEP_4) | instskip(NEXT) | instid1(VALU_DEP_4)
	v_add_f32_e32 v20, v20, v42
	v_add3_u32 v43, v47, v44, 0x7fff
	v_add3_u32 v47, v52, v46, 0x7fff
	v_mul_f32_e32 v52, v2, v54
	v_or_b32_e32 v54, 0x400000, v46
	s_wait_alu 0xfffd
	v_cndmask_b32_e32 v43, v43, v45, vcc_lo
	v_cmp_u_f32_e32 vcc_lo, v46, v46
	s_delay_alu instid0(VALU_DEP_2)
	v_dual_mul_f32 v46, v8, v53 :: v_dual_and_b32 v43, 0xffff0000, v43
	s_wait_alu 0xfffd
	v_cndmask_b32_e32 v45, v47, v54, vcc_lo
	v_lshlrev_b32_e32 v47, 16, v51
	v_bfe_u32 v44, v52, 16, 1
	v_or_b32_e32 v51, 0x400000, v52
	v_bfe_u32 v53, v46, 16, 1
	v_cmp_u_f32_e32 vcc_lo, v52, v52
	v_mul_f32_e32 v47, v3, v47
	v_add3_u32 v44, v44, v52, 0x7fff
	v_or_b32_e32 v52, 0x400000, v46
	s_wait_alu 0xfffd
	s_delay_alu instid0(VALU_DEP_2) | instskip(SKIP_3) | instid1(VALU_DEP_4)
	v_dual_cndmask_b32 v44, v44, v51 :: v_dual_and_b32 v45, 0xffff0000, v45
	v_add3_u32 v51, v53, v46, 0x7fff
	v_bfe_u32 v53, v47, 16, 1
	v_cmp_u_f32_e32 vcc_lo, v46, v46
	v_dual_add_f32 v43, v45, v43 :: v_dual_and_b32 v44, 0xffff0000, v44
	s_wait_alu 0xfffd
	v_cndmask_b32_e32 v46, v51, v52, vcc_lo
	v_add3_u32 v51, v53, v47, 0x7fff
	v_or_b32_e32 v52, 0x400000, v47
	v_cmp_u_f32_e32 vcc_lo, v47, v47
	s_wait_alu 0xfffd
	s_delay_alu instid0(VALU_DEP_2) | instskip(SKIP_3) | instid1(VALU_DEP_4)
	v_dual_cndmask_b32 v47, v51, v52 :: v_dual_and_b32 v46, 0xffff0000, v46
	v_add3_u32 v51, v55, v49, 0x7fff
	v_or_b32_e32 v52, 0x400000, v49
	v_lshlrev_b32_e32 v50, 16, v50
	v_add_f32_e32 v44, v46, v44
	v_lshlrev_b32_e32 v48, 16, v48
	v_and_b32_e32 v46, 0xffff0000, v47
	s_delay_alu instid0(VALU_DEP_3) | instskip(NEXT) | instid1(VALU_DEP_1)
	v_dual_mul_f32 v50, v6, v50 :: v_dual_add_f32 v43, v44, v43
	v_bfe_u32 v54, v50, 16, 1
	v_cmp_u_f32_e32 vcc_lo, v50, v50
	s_delay_alu instid0(VALU_DEP_2) | instskip(SKIP_2) | instid1(VALU_DEP_1)
	v_add3_u32 v53, v54, v50, 0x7fff
	v_or_b32_e32 v54, 0x400000, v50
	s_wait_alu 0xfffd
	v_cndmask_b32_e32 v50, v53, v54, vcc_lo
	v_mul_f32_e32 v48, v7, v48
	v_cmp_u_f32_e32 vcc_lo, v49, v49
	s_delay_alu instid0(VALU_DEP_3) | instskip(NEXT) | instid1(VALU_DEP_3)
	v_and_b32_e32 v45, 0xffff0000, v50
	v_bfe_u32 v53, v48, 16, 1
	s_wait_alu 0xfffd
	v_cndmask_b32_e32 v49, v51, v52, vcc_lo
	v_or_b32_e32 v52, 0x400000, v48
	v_cmp_u_f32_e32 vcc_lo, v48, v48
	v_add_f32_e32 v44, v45, v46
	v_add3_u32 v51, v53, v48, 0x7fff
	v_lshlrev_b32_e32 v40, 16, v40
	v_and_b32_e32 v46, 0xffff0000, v49
	v_bfe_u32 v49, v39, 16, 1
	v_add_f32_e32 v43, v44, v43
	s_wait_alu 0xfffd
	v_cndmask_b32_e32 v47, v51, v52, vcc_lo
	v_mul_f32_e32 v40, v5, v40
	v_cmp_u_f32_e32 vcc_lo, v41, v41
	s_delay_alu instid0(VALU_DEP_3) | instskip(SKIP_1) | instid1(VALU_DEP_4)
	v_and_b32_e32 v45, 0xffff0000, v47
	v_bfe_u32 v47, v41, 16, 1
	v_bfe_u32 v44, v40, 16, 1
	v_or_b32_e32 v48, 0x400000, v40
	s_delay_alu instid0(VALU_DEP_2) | instskip(SKIP_4) | instid1(VALU_DEP_1)
	v_add3_u32 v44, v44, v40, 0x7fff
	v_add_f32_e32 v45, v45, v46
	v_add3_u32 v46, v47, v41, 0x7fff
	v_or_b32_e32 v47, 0x400000, v41
	s_wait_alu 0xfffd
	v_dual_cndmask_b32 v41, v46, v47 :: v_dual_lshlrev_b32 v38, 16, v38
	v_cmp_u_f32_e32 vcc_lo, v40, v40
	s_delay_alu instid0(VALU_DEP_2)
	v_mul_f32_e32 v38, v8, v38
	v_or_b32_e32 v46, 0x400000, v39
	s_wait_alu 0xfffd
	v_dual_cndmask_b32 v40, v44, v48 :: v_dual_and_b32 v41, 0xffff0000, v41
	v_add3_u32 v44, v49, v39, 0x7fff
	v_bfe_u32 v47, v38, 16, 1
	v_cmp_u_f32_e32 vcc_lo, v39, v39
	v_bfe_u32 v48, v36, 16, 1
	v_bfe_u32 v49, v35, 16, 1
	s_wait_alu 0xfffd
	v_cndmask_b32_e32 v39, v44, v46, vcc_lo
	v_add3_u32 v44, v47, v38, 0x7fff
	v_or_b32_e32 v46, 0x400000, v38
	v_bfe_u32 v47, v37, 16, 1
	v_cmp_u_f32_e32 vcc_lo, v38, v38
	s_wait_alu 0xfffd
	s_delay_alu instid0(VALU_DEP_3) | instskip(NEXT) | instid1(VALU_DEP_3)
	v_dual_cndmask_b32 v38, v44, v46 :: v_dual_and_b32 v39, 0xffff0000, v39
	v_add3_u32 v44, v47, v37, 0x7fff
	v_or_b32_e32 v46, 0x400000, v37
	v_cmp_u_f32_e32 vcc_lo, v37, v37
	v_add3_u32 v47, v48, v36, 0x7fff
	v_or_b32_e32 v48, 0x400000, v36
	v_and_b32_e32 v38, 0xffff0000, v38
	s_wait_alu 0xfffd
	v_cndmask_b32_e32 v37, v44, v46, vcc_lo
	v_cmp_u_f32_e32 vcc_lo, v36, v36
	v_add3_u32 v44, v49, v35, 0x7fff
	v_or_b32_e32 v46, 0x400000, v35
	s_wait_alu 0xfffd
	v_cndmask_b32_e32 v36, v47, v48, vcc_lo
	v_cmp_u_f32_e32 vcc_lo, v35, v35
	v_and_b32_e32 v40, 0xffff0000, v40
	v_dual_add_f32 v38, v38, v39 :: v_dual_and_b32 v37, 0xffff0000, v37
	s_wait_alu 0xfffd
	v_cndmask_b32_e32 v35, v44, v46, vcc_lo
	s_delay_alu instid0(VALU_DEP_3) | instskip(SKIP_2) | instid1(VALU_DEP_3)
	v_add_f32_e32 v40, v40, v41
	v_lshlrev_b32_e32 v33, 16, v33
	v_lshlrev_b32_e32 v34, 16, v34
	v_dual_add_f32 v38, v38, v40 :: v_dual_and_b32 v35, 0xffff0000, v35
	s_delay_alu instid0(VALU_DEP_2) | instskip(SKIP_1) | instid1(VALU_DEP_2)
	v_dual_mul_f32 v33, v1, v33 :: v_dual_mul_f32 v34, v7, v34
	v_or_b32_e32 v40, 0x400000, v31
	v_bfe_u32 v44, v34, 16, 1
	v_or_b32_e32 v41, 0x400000, v34
	v_cmp_u_f32_e32 vcc_lo, v34, v34
	s_delay_alu instid0(VALU_DEP_3) | instskip(SKIP_1) | instid1(VALU_DEP_1)
	v_add3_u32 v39, v44, v34, 0x7fff
	s_wait_alu 0xfffd
	v_cndmask_b32_e32 v34, v39, v41, vcc_lo
	v_cmp_u_f32_e32 vcc_lo, v33, v33
	v_and_b32_e32 v36, 0xffff0000, v36
	v_bfe_u32 v39, v32, 16, 1
	s_delay_alu instid0(VALU_DEP_2) | instskip(SKIP_1) | instid1(VALU_DEP_2)
	v_add_f32_e32 v36, v36, v37
	v_bfe_u32 v37, v33, 16, 1
	v_add_f32_e32 v36, v36, v38
	s_delay_alu instid0(VALU_DEP_2) | instskip(SKIP_2) | instid1(VALU_DEP_1)
	v_add3_u32 v37, v37, v33, 0x7fff
	v_or_b32_e32 v38, 0x400000, v33
	s_wait_alu 0xfffd
	v_cndmask_b32_e32 v33, v37, v38, vcc_lo
	v_bfe_u32 v37, v31, 16, 1
	v_add3_u32 v38, v39, v32, 0x7fff
	v_or_b32_e32 v39, 0x400000, v32
	v_cmp_u_f32_e32 vcc_lo, v32, v32
	v_and_b32_e32 v33, 0xffff0000, v33
	v_add3_u32 v37, v37, v31, 0x7fff
	s_wait_alu 0xfffd
	v_cndmask_b32_e32 v32, v38, v39, vcc_lo
	v_cmp_u_f32_e32 vcc_lo, v31, v31
	s_wait_alu 0xfffd
	v_cndmask_b32_e32 v31, v37, v40, vcc_lo
	v_bfe_u32 v37, v29, 16, 1
	v_or_b32_e32 v40, 0x400000, v29
	v_mul_f32_e32 v28, v6, v28
	v_and_b32_e32 v34, 0xffff0000, v34
	v_and_b32_e32 v31, 0xffff0000, v31
	v_add3_u32 v37, v37, v29, 0x7fff
	v_lshlrev_b32_e32 v30, 16, v30
	v_mul_f32_e32 v4, v4, v13
	s_delay_alu instid0(VALU_DEP_2) | instskip(NEXT) | instid1(VALU_DEP_1)
	v_mul_f32_e32 v30, v8, v30
	v_bfe_u32 v38, v30, 16, 1
	v_or_b32_e32 v39, 0x400000, v30
	v_cmp_u_f32_e32 vcc_lo, v30, v30
	s_delay_alu instid0(VALU_DEP_3) | instskip(SKIP_1) | instid1(VALU_DEP_1)
	v_add3_u32 v38, v38, v30, 0x7fff
	s_wait_alu 0xfffd
	v_cndmask_b32_e32 v30, v38, v39, vcc_lo
	v_bfe_u32 v38, v28, 16, 1
	v_cmp_u_f32_e32 vcc_lo, v29, v29
	v_bfe_u32 v39, v27, 16, 1
	s_wait_alu 0xfffd
	v_cndmask_b32_e32 v29, v37, v40, vcc_lo
	v_add3_u32 v37, v38, v28, 0x7fff
	v_or_b32_e32 v38, 0x400000, v28
	v_cmp_u_f32_e32 vcc_lo, v28, v28
	v_add3_u32 v39, v39, v27, 0x7fff
	v_or_b32_e32 v40, 0x400000, v27
	s_wait_alu 0xfffd
	v_dual_cndmask_b32 v28, v37, v38 :: v_dual_and_b32 v29, 0xffff0000, v29
	v_cmp_u_f32_e32 vcc_lo, v27, v27
	s_wait_alu 0xfffd
	v_cndmask_b32_e32 v27, v39, v40, vcc_lo
	v_lshlrev_b32_e32 v39, 16, v62
	s_delay_alu instid0(VALU_DEP_1) | instskip(NEXT) | instid1(VALU_DEP_1)
	v_dual_mul_f32 v5, v5, v39 :: v_dual_and_b32 v30, 0xffff0000, v30
	v_dual_add_f32 v30, v30, v31 :: v_dual_lshlrev_b32 v31, 16, v61
	v_lshlrev_b32_e32 v26, 16, v26
	s_delay_alu instid0(VALU_DEP_2) | instskip(NEXT) | instid1(VALU_DEP_2)
	v_dual_mul_f32 v1, v1, v31 :: v_dual_and_b32 v28, 0xffff0000, v28
	v_mul_f32_e32 v26, v7, v26
	s_delay_alu instid0(VALU_DEP_2) | instskip(SKIP_1) | instid1(VALU_DEP_3)
	v_dual_add_f32 v28, v28, v29 :: v_dual_lshlrev_b32 v29, 16, v60
	v_mul_f32_e32 v7, v7, v14
	v_bfe_u32 v37, v26, 16, 1
	v_or_b32_e32 v38, 0x400000, v26
	v_cmp_u_f32_e32 vcc_lo, v26, v26
	v_dual_mul_f32 v8, v8, v29 :: v_dual_lshlrev_b32 v29, 16, v59
	s_delay_alu instid0(VALU_DEP_4) | instskip(NEXT) | instid1(VALU_DEP_2)
	v_add3_u32 v37, v37, v26, 0x7fff
	v_mul_f32_e32 v2, v2, v29
	s_wait_alu 0xfffd
	s_delay_alu instid0(VALU_DEP_2) | instskip(SKIP_2) | instid1(VALU_DEP_2)
	v_cndmask_b32_e32 v26, v37, v38, vcc_lo
	v_lshlrev_b32_e32 v29, 16, v58
	v_cmp_u_f32_e32 vcc_lo, v5, v5
	v_mul_f32_e32 v6, v6, v29
	v_lshlrev_b32_e32 v29, 16, v57
	v_and_b32_e32 v32, 0xffff0000, v32
	s_delay_alu instid0(VALU_DEP_3) | instskip(NEXT) | instid1(VALU_DEP_3)
	v_or_b32_e32 v13, 0x400000, v6
	v_mul_f32_e32 v3, v3, v29
	s_delay_alu instid0(VALU_DEP_3) | instskip(SKIP_1) | instid1(VALU_DEP_3)
	v_add_f32_e32 v32, v32, v33
	v_bfe_u32 v33, v1, 16, 1
	v_bfe_u32 v29, v3, 16, 1
	s_delay_alu instid0(VALU_DEP_3) | instskip(SKIP_1) | instid1(VALU_DEP_3)
	v_add_f32_e32 v30, v30, v32
	v_bfe_u32 v32, v5, 16, 1
	v_add3_u32 v14, v29, v3, 0x7fff
	v_or_b32_e32 v29, 0x400000, v3
	s_delay_alu instid0(VALU_DEP_3) | instskip(SKIP_2) | instid1(VALU_DEP_1)
	v_add3_u32 v31, v32, v5, 0x7fff
	v_or_b32_e32 v32, 0x400000, v5
	s_wait_alu 0xfffd
	v_cndmask_b32_e32 v5, v31, v32, vcc_lo
	v_add3_u32 v31, v33, v1, 0x7fff
	v_or_b32_e32 v32, 0x400000, v1
	v_bfe_u32 v33, v8, 16, 1
	v_cmp_u_f32_e32 vcc_lo, v1, v1
	s_wait_alu 0xfffd
	s_delay_alu instid0(VALU_DEP_3) | instskip(NEXT) | instid1(VALU_DEP_3)
	v_dual_cndmask_b32 v1, v31, v32 :: v_dual_and_b32 v26, 0xffff0000, v26
	v_add3_u32 v31, v33, v8, 0x7fff
	v_or_b32_e32 v32, 0x400000, v8
	v_bfe_u32 v33, v2, 16, 1
	v_cmp_u_f32_e32 vcc_lo, v8, v8
	s_wait_alu 0xfffd
	s_delay_alu instid0(VALU_DEP_3) | instskip(NEXT) | instid1(VALU_DEP_3)
	v_dual_cndmask_b32 v8, v31, v32 :: v_dual_and_b32 v1, 0xffff0000, v1
	v_add3_u32 v31, v33, v2, 0x7fff
	v_or_b32_e32 v32, 0x400000, v2
	v_bfe_u32 v33, v6, 16, 1
	v_cmp_u_f32_e32 vcc_lo, v2, v2
	v_and_b32_e32 v8, 0xffff0000, v8
	s_wait_alu 0xfffd
	v_cndmask_b32_e32 v2, v31, v32, vcc_lo
	v_add3_u32 v31, v33, v6, 0x7fff
	v_cmp_u_f32_e32 vcc_lo, v6, v6
	v_bfe_u32 v32, v7, 16, 1
	s_delay_alu instid0(VALU_DEP_4)
	v_and_b32_e32 v2, 0xffff0000, v2
	v_and_b32_e32 v5, 0xffff0000, v5
	s_wait_alu 0xfffd
	v_cndmask_b32_e32 v6, v31, v13, vcc_lo
	v_cmp_u_f32_e32 vcc_lo, v3, v3
	v_add3_u32 v13, v32, v7, 0x7fff
	v_dual_add_f32 v2, v8, v2 :: v_dual_add_f32 v1, v5, v1
	s_delay_alu instid0(VALU_DEP_4) | instskip(SKIP_4) | instid1(VALU_DEP_3)
	v_and_b32_e32 v5, 0xffff0000, v6
	s_wait_alu 0xfffd
	v_cndmask_b32_e32 v3, v14, v29, vcc_lo
	v_or_b32_e32 v31, 0x400000, v7
	v_add_f32_e32 v1, v2, v1
	v_and_b32_e32 v3, 0xffff0000, v3
	s_delay_alu instid0(VALU_DEP_1)
	v_add_f32_e32 v2, v5, v3
	v_add_f32_e32 v5, v34, v35
	v_bfe_u32 v33, v4, 16, 1
	v_or_b32_e32 v29, 0x400000, v4
	v_cmp_u_f32_e32 vcc_lo, v4, v4
	v_add_f32_e32 v1, v2, v1
	s_delay_alu instid0(VALU_DEP_4) | instskip(SKIP_1) | instid1(VALU_DEP_1)
	v_add3_u32 v14, v33, v4, 0x7fff
	s_wait_alu 0xfffd
	v_cndmask_b32_e32 v4, v14, v29, vcc_lo
	v_cmp_u_f32_e32 vcc_lo, v7, v7
	v_and_b32_e32 v7, 0xffff0000, v27
	s_wait_alu 0xfffd
	s_delay_alu instid0(VALU_DEP_3) | instskip(NEXT) | instid1(VALU_DEP_2)
	v_dual_cndmask_b32 v6, v13, v31 :: v_dual_and_b32 v3, 0xffff0000, v4
	v_add_f32_e32 v7, v26, v7
	v_cmp_le_i32_e32 vcc_lo, s36, v16
	s_delay_alu instid0(VALU_DEP_3) | instskip(SKIP_1) | instid1(VALU_DEP_1)
	v_and_b32_e32 v4, 0xffff0000, v6
	s_or_b32 s4, vcc_lo, s4
	v_add_f32_e32 v2, v4, v3
	v_dual_add_f32 v3, v45, v43 :: v_dual_add_f32 v6, v28, v30
	v_add_f32_e32 v4, v5, v36
	s_delay_alu instid0(VALU_DEP_2) | instskip(NEXT) | instid1(VALU_DEP_2)
	v_add_f32_e32 v21, v21, v3
	v_dual_add_f32 v5, v7, v6 :: v_dual_add_f32 v22, v22, v4
	s_delay_alu instid0(VALU_DEP_1) | instskip(SKIP_1) | instid1(VALU_DEP_1)
	v_add_f32_e32 v23, v23, v5
	v_add_f32_e32 v1, v2, v1
	;; [unrolled: 1-line block ×3, first 2 shown]
	s_wait_alu 0xfffe
	s_and_not1_b32 exec_lo, exec_lo, s4
	s_cbranch_execz .LBB329_45
.LBB329_33:                             ; =>This Inner Loop Header: Depth=1
	global_load_b32 v1, v[11:12], off
	s_wait_alu 0xfffe
	v_cmp_eq_u32_e32 vcc_lo, s44, v16
	v_add_nc_u32_e32 v43, -2, v24
	s_wait_loadcnt 0x0
	v_mad_co_i64_i32 v[13:14], null, v1, s3, v[9:10]
	global_load_b64 v[26:27], v[13:14], off
	ds_load_2addr_b64 v[5:8], v25 offset1:1
	ds_load_2addr_b64 v[1:4], v25 offset0:2 offset1:3
	s_wait_loadcnt 0x0
	v_and_b32_e32 v31, 0xff, v27
	v_bfe_u32 v32, v27, 8, 8
	v_bfe_u32 v33, v27, 16, 8
	v_lshrrev_b32_e32 v27, 24, v27
	v_bfe_u32 v29, v26, 8, 8
	v_bfe_u32 v30, v26, 16, 8
	v_cvt_f32_fp8_e32 v32, v32
	v_cvt_f32_fp8_e32 v33, v33
	;; [unrolled: 1-line block ×3, first 2 shown]
	v_and_b32_e32 v28, 0xff, v26
	v_cvt_f32_fp8_e32 v29, v29
	v_add_nc_u32_e32 v42, -7, v24
	v_lshrrev_b32_e32 v26, 24, v26
	s_wait_kmcnt 0x0
	v_mul_f32_e32 v27, s2, v27
	v_cvt_f32_fp8_e32 v28, v28
	v_cvt_f32_fp8_e32 v30, v30
	v_mul_f32_e32 v29, s2, v29
	v_add_nc_u32_e32 v47, -6, v24
	v_cvt_f32_fp8_e32 v26, v26
	v_mul_f32_e32 v28, s2, v28
	v_mul_f32_e32 v30, s2, v30
	v_bfe_u32 v36, v29, 16, 1
	s_delay_alu instid0(VALU_DEP_4) | instskip(NEXT) | instid1(VALU_DEP_4)
	v_dual_mul_f32 v26, s2, v26 :: v_dual_add_nc_u32 v45, -4, v24
	v_bfe_u32 v34, v28, 16, 1
	v_or_b32_e32 v35, 0x400000, v28
	v_cmp_u_f32_e64 s0, v28, v28
	v_cvt_f32_fp8_e32 v31, v31
	v_or_b32_e32 v37, 0x400000, v29
	v_add3_u32 v34, v34, v28, 0x7fff
	v_bfe_u32 v38, v30, 16, 1
	v_add3_u32 v36, v36, v29, 0x7fff
	v_dual_mul_f32 v31, s2, v31 :: v_dual_add_nc_u32 v46, -5, v24
	s_wait_alu 0xf1ff
	v_cndmask_b32_e64 v28, v34, v35, s0
	v_cmp_u_f32_e64 s0, v29, v29
	v_or_b32_e32 v39, 0x400000, v30
	v_bfe_u32 v40, v26, 16, 1
	v_add3_u32 v38, v38, v30, 0x7fff
	v_mul_f32_e32 v32, s2, v32
	s_wait_alu 0xf1ff
	v_cndmask_b32_e64 v29, v36, v37, s0
	v_cmp_u_f32_e64 s0, v30, v30
	v_or_b32_e32 v41, 0x400000, v26
	v_bfe_u32 v48, v31, 16, 1
	v_add3_u32 v40, v40, v26, 0x7fff
	v_dual_mul_f32 v33, s2, v33 :: v_dual_add_nc_u32 v44, -3, v24
	s_wait_alu 0xf1ff
	v_cndmask_b32_e64 v30, v38, v39, s0
	v_cmp_u_f32_e64 s0, v26, v26
	v_or_b32_e32 v49, 0x400000, v31
	v_bfe_u32 v50, v32, 16, 1
	v_add3_u32 v48, v48, v31, 0x7fff
	v_or_b32_e32 v51, 0x400000, v32
	s_wait_alu 0xf1ff
	v_cndmask_b32_e64 v26, v40, v41, s0
	v_cmp_u_f32_e64 s0, v31, v31
	v_bfe_u32 v52, v33, 16, 1
	v_add3_u32 v50, v50, v32, 0x7fff
	v_or_b32_e32 v53, 0x400000, v33
	v_bfe_u32 v54, v27, 16, 1
	s_wait_alu 0xf1ff
	v_cndmask_b32_e64 v34, v48, v49, s0
	v_cmp_u_f32_e64 s0, v32, v32
	v_add3_u32 v52, v52, v33, 0x7fff
	v_or_b32_e32 v55, 0x400000, v27
	v_add3_u32 v54, v54, v27, 0x7fff
	v_lshrrev_b32_e32 v32, 16, v28
	s_wait_alu 0xf1ff
	v_cndmask_b32_e64 v35, v50, v51, s0
	v_cmp_u_f32_e64 s0, v33, v33
	v_lshrrev_b32_e32 v33, 16, v29
	v_lshrrev_b32_e32 v30, 16, v30
	;; [unrolled: 1-line block ×4, first 2 shown]
	s_wait_alu 0xf1ff
	v_cndmask_b32_e64 v36, v52, v53, s0
	v_cmp_u_f32_e64 s0, v27, v27
	v_lshrrev_b32_e32 v29, 16, v35
	v_add_nc_u32_e32 v52, -1, v24
	s_delay_alu instid0(VALU_DEP_4) | instskip(SKIP_2) | instid1(VALU_DEP_1)
	v_lshrrev_b32_e32 v26, 16, v36
	s_wait_alu 0xf1ff
	v_cndmask_b32_e64 v27, v54, v55, s0
	v_lshrrev_b32_e32 v27, 16, v27
	s_and_saveexec_b32 s5, vcc_lo
	s_cbranch_execz .LBB329_35
; %bb.34:                               ;   in Loop: Header=BB329_33 Depth=1
	v_cmp_gt_i32_e64 s0, s46, v42
	s_wait_alu 0xf1ff
	s_delay_alu instid0(VALU_DEP_1) | instskip(SKIP_2) | instid1(VALU_DEP_1)
	v_cndmask_b32_e64 v32, 0, v32, s0
	v_cmp_gt_i32_e64 s0, s46, v47
	s_wait_alu 0xf1ff
	v_cndmask_b32_e64 v33, 0, v33, s0
	v_cmp_gt_i32_e64 s0, s46, v46
	s_wait_alu 0xf1ff
	s_delay_alu instid0(VALU_DEP_1) | instskip(SKIP_2) | instid1(VALU_DEP_1)
	v_cndmask_b32_e64 v30, 0, v30, s0
	v_cmp_gt_i32_e64 s0, s46, v45
	s_wait_alu 0xf1ff
	v_cndmask_b32_e64 v31, 0, v31, s0
	;; [unrolled: 7-line block ×4, first 2 shown]
.LBB329_35:                             ;   in Loop: Header=BB329_33 Depth=1
	s_wait_alu 0xfffe
	s_or_b32 exec_lo, exec_lo, s5
	global_load_b64 v[34:35], v[13:14], off offset:256
	s_wait_loadcnt 0x0
	v_bfe_u32 v37, v34, 8, 8
	v_bfe_u32 v38, v34, 16, 8
	;; [unrolled: 1-line block ×4, first 2 shown]
	s_delay_alu instid0(VALU_DEP_4)
	v_cvt_f32_fp8_e32 v37, v37
	v_and_b32_e32 v36, 0xff, v34
	v_lshrrev_b32_e32 v34, 24, v34
	v_cvt_f32_fp8_e32 v38, v38
	v_cvt_f32_fp8_e32 v41, v41
	v_mul_f32_e32 v37, s2, v37
	v_cvt_f32_fp8_e32 v36, v36
	v_and_b32_e32 v39, 0xff, v35
	v_cvt_f32_fp8_e32 v34, v34
	v_lshrrev_b32_e32 v35, 24, v35
	v_bfe_u32 v50, v37, 16, 1
	v_mul_f32_e32 v36, s2, v36
	v_cvt_f32_fp8_e32 v39, v39
	v_mul_f32_e32 v38, s2, v38
	v_dual_mul_f32 v34, s2, v34 :: v_dual_mul_f32 v41, s2, v41
	s_delay_alu instid0(VALU_DEP_4)
	v_bfe_u32 v48, v36, 16, 1
	v_or_b32_e32 v49, 0x400000, v36
	v_cmp_u_f32_e64 s0, v36, v36
	v_mul_f32_e32 v39, s2, v39
	v_or_b32_e32 v51, 0x400000, v37
	v_add3_u32 v48, v48, v36, 0x7fff
	v_bfe_u32 v53, v38, 16, 1
	v_add3_u32 v50, v50, v37, 0x7fff
	v_cvt_f32_fp8_e32 v40, v40
	v_or_b32_e32 v54, 0x400000, v38
	s_wait_alu 0xf1ff
	v_cndmask_b32_e64 v36, v48, v49, s0
	v_cmp_u_f32_e64 s0, v37, v37
	v_bfe_u32 v55, v34, 16, 1
	v_add3_u32 v53, v53, v38, 0x7fff
	v_cvt_f32_fp8_e32 v35, v35
	v_mul_f32_e32 v40, s2, v40
	s_wait_alu 0xf1ff
	v_cndmask_b32_e64 v37, v50, v51, s0
	v_cmp_u_f32_e64 s0, v38, v38
	v_or_b32_e32 v56, 0x400000, v34
	v_bfe_u32 v57, v39, 16, 1
	v_add3_u32 v55, v55, v34, 0x7fff
	v_mul_f32_e32 v35, s2, v35
	s_wait_alu 0xf1ff
	v_cndmask_b32_e64 v38, v53, v54, s0
	v_cmp_u_f32_e64 s0, v34, v34
	v_or_b32_e32 v58, 0x400000, v39
	v_bfe_u32 v59, v40, 16, 1
	v_add3_u32 v57, v57, v39, 0x7fff
	v_or_b32_e32 v60, 0x400000, v40
	s_wait_alu 0xf1ff
	v_cndmask_b32_e64 v34, v55, v56, s0
	v_cmp_u_f32_e64 s0, v39, v39
	v_bfe_u32 v61, v41, 16, 1
	v_add3_u32 v59, v59, v40, 0x7fff
	v_or_b32_e32 v62, 0x400000, v41
	v_bfe_u32 v63, v35, 16, 1
	s_wait_alu 0xf1ff
	v_cndmask_b32_e64 v48, v57, v58, s0
	v_cmp_u_f32_e64 s0, v40, v40
	v_add3_u32 v61, v61, v41, 0x7fff
	v_or_b32_e32 v64, 0x400000, v35
	v_add3_u32 v63, v63, v35, 0x7fff
	v_lshrrev_b32_e32 v40, 16, v36
	s_wait_alu 0xf1ff
	v_cndmask_b32_e64 v49, v59, v60, s0
	v_cmp_u_f32_e64 s0, v41, v41
	v_lshrrev_b32_e32 v41, 16, v37
	v_lshrrev_b32_e32 v38, 16, v38
	v_lshrrev_b32_e32 v39, 16, v34
	v_lshrrev_b32_e32 v36, 16, v48
	s_wait_alu 0xf1ff
	v_cndmask_b32_e64 v50, v61, v62, s0
	v_cmp_u_f32_e64 s0, v35, v35
	v_lshrrev_b32_e32 v37, 16, v49
	s_delay_alu instid0(VALU_DEP_3) | instskip(SKIP_1) | instid1(VALU_DEP_3)
	v_lshrrev_b32_e32 v34, 16, v50
	s_wait_alu 0xf1ff
	v_cndmask_b32_e64 v35, v63, v64, s0
	s_delay_alu instid0(VALU_DEP_1)
	v_lshrrev_b32_e32 v35, 16, v35
	s_and_saveexec_b32 s5, vcc_lo
	s_cbranch_execz .LBB329_37
; %bb.36:                               ;   in Loop: Header=BB329_33 Depth=1
	v_cmp_gt_i32_e64 s0, s46, v42
	s_wait_alu 0xf1ff
	s_delay_alu instid0(VALU_DEP_1) | instskip(SKIP_2) | instid1(VALU_DEP_1)
	v_cndmask_b32_e64 v40, 0, v40, s0
	v_cmp_gt_i32_e64 s0, s46, v47
	s_wait_alu 0xf1ff
	v_cndmask_b32_e64 v41, 0, v41, s0
	v_cmp_gt_i32_e64 s0, s46, v46
	s_wait_alu 0xf1ff
	s_delay_alu instid0(VALU_DEP_1) | instskip(SKIP_2) | instid1(VALU_DEP_1)
	v_cndmask_b32_e64 v38, 0, v38, s0
	v_cmp_gt_i32_e64 s0, s46, v45
	s_wait_alu 0xf1ff
	v_cndmask_b32_e64 v39, 0, v39, s0
	v_cmp_gt_i32_e64 s0, s46, v44
	s_wait_alu 0xf1ff
	s_delay_alu instid0(VALU_DEP_1) | instskip(SKIP_2) | instid1(VALU_DEP_1)
	v_cndmask_b32_e64 v36, 0, v36, s0
	v_cmp_gt_i32_e64 s0, s46, v43
	s_wait_alu 0xf1ff
	v_cndmask_b32_e64 v37, 0, v37, s0
	v_cmp_gt_i32_e64 s0, s46, v52
	s_wait_alu 0xf1ff
	s_delay_alu instid0(VALU_DEP_1) | instskip(SKIP_2) | instid1(VALU_DEP_1)
	v_cndmask_b32_e64 v34, 0, v34, s0
	v_cmp_gt_i32_e64 s0, s46, v24
	s_wait_alu 0xf1ff
	v_cndmask_b32_e64 v35, 0, v35, s0
.LBB329_37:                             ;   in Loop: Header=BB329_33 Depth=1
	s_wait_alu 0xfffe
	s_or_b32 exec_lo, exec_lo, s5
	global_load_b64 v[48:49], v[13:14], off offset:512
	s_wait_loadcnt 0x0
	v_bfe_u32 v51, v48, 8, 8
	v_bfe_u32 v53, v48, 16, 8
	;; [unrolled: 1-line block ×4, first 2 shown]
	s_delay_alu instid0(VALU_DEP_4)
	v_cvt_f32_fp8_e32 v51, v51
	v_and_b32_e32 v50, 0xff, v48
	v_cvt_f32_fp8_e32 v53, v53
	v_lshrrev_b32_e32 v48, 24, v48
	v_cvt_f32_fp8_e32 v55, v55
	v_mul_f32_e32 v51, s2, v51
	v_cvt_f32_fp8_e32 v50, v50
	v_and_b32_e32 v54, 0xff, v49
	v_lshrrev_b32_e32 v49, 24, v49
	v_cvt_f32_fp8_e32 v48, v48
	s_delay_alu instid0(VALU_DEP_4) | instskip(SKIP_1) | instid1(VALU_DEP_4)
	v_dual_mul_f32 v53, s2, v53 :: v_dual_mul_f32 v50, s2, v50
	v_bfe_u32 v59, v51, 16, 1
	v_cvt_f32_fp8_e32 v49, v49
	s_delay_alu instid0(VALU_DEP_4) | instskip(NEXT) | instid1(VALU_DEP_4)
	v_dual_mul_f32 v48, s2, v48 :: v_dual_mul_f32 v55, s2, v55
	v_bfe_u32 v57, v50, 16, 1
	v_or_b32_e32 v58, 0x400000, v50
	v_cmp_u_f32_e64 s0, v50, v50
	v_cvt_f32_fp8_e32 v54, v54
	v_or_b32_e32 v60, 0x400000, v51
	v_add3_u32 v57, v57, v50, 0x7fff
	v_bfe_u32 v61, v53, 16, 1
	v_add3_u32 v59, v59, v51, 0x7fff
	v_dual_mul_f32 v54, s2, v54 :: v_dual_mul_f32 v49, s2, v49
	s_wait_alu 0xf1ff
	v_cndmask_b32_e64 v50, v57, v58, s0
	v_cmp_u_f32_e64 s0, v51, v51
	v_or_b32_e32 v62, 0x400000, v53
	v_bfe_u32 v63, v48, 16, 1
	v_add3_u32 v61, v61, v53, 0x7fff
	v_cvt_f32_fp8_e32 v56, v56
	s_wait_alu 0xf1ff
	v_cndmask_b32_e64 v51, v59, v60, s0
	v_cmp_u_f32_e64 s0, v53, v53
	v_or_b32_e32 v64, 0x400000, v48
	v_bfe_u32 v65, v54, 16, 1
	v_add3_u32 v63, v63, v48, 0x7fff
	v_mul_f32_e32 v56, s2, v56
	s_wait_alu 0xf1ff
	v_cndmask_b32_e64 v53, v61, v62, s0
	v_cmp_u_f32_e64 s0, v48, v48
	v_or_b32_e32 v66, 0x400000, v54
	v_bfe_u32 v67, v55, 16, 1
	v_add3_u32 v65, v65, v54, 0x7fff
	v_or_b32_e32 v68, 0x400000, v55
	s_wait_alu 0xf1ff
	v_cndmask_b32_e64 v48, v63, v64, s0
	v_cmp_u_f32_e64 s0, v54, v54
	v_bfe_u32 v69, v56, 16, 1
	v_add3_u32 v67, v67, v55, 0x7fff
	v_or_b32_e32 v70, 0x400000, v56
	v_bfe_u32 v71, v49, 16, 1
	s_wait_alu 0xf1ff
	v_cndmask_b32_e64 v57, v65, v66, s0
	v_cmp_u_f32_e64 s0, v55, v55
	v_add3_u32 v69, v69, v56, 0x7fff
	v_or_b32_e32 v72, 0x400000, v49
	v_add3_u32 v71, v71, v49, 0x7fff
	v_lshrrev_b32_e32 v55, 16, v50
	s_wait_alu 0xf1ff
	v_cndmask_b32_e64 v58, v67, v68, s0
	v_cmp_u_f32_e64 s0, v56, v56
	v_lshrrev_b32_e32 v56, 16, v51
	v_lshrrev_b32_e32 v53, 16, v53
	;; [unrolled: 1-line block ×4, first 2 shown]
	s_wait_alu 0xf1ff
	v_cndmask_b32_e64 v59, v69, v70, s0
	v_cmp_u_f32_e64 s0, v49, v49
	v_lshrrev_b32_e32 v51, 16, v58
	s_delay_alu instid0(VALU_DEP_3) | instskip(SKIP_1) | instid1(VALU_DEP_3)
	v_lshrrev_b32_e32 v48, 16, v59
	s_wait_alu 0xf1ff
	v_cndmask_b32_e64 v49, v71, v72, s0
	s_delay_alu instid0(VALU_DEP_1)
	v_lshrrev_b32_e32 v49, 16, v49
	s_and_saveexec_b32 s5, vcc_lo
	s_cbranch_execz .LBB329_39
; %bb.38:                               ;   in Loop: Header=BB329_33 Depth=1
	v_cmp_gt_i32_e64 s0, s46, v42
	s_wait_alu 0xf1ff
	s_delay_alu instid0(VALU_DEP_1) | instskip(SKIP_2) | instid1(VALU_DEP_1)
	v_cndmask_b32_e64 v55, 0, v55, s0
	v_cmp_gt_i32_e64 s0, s46, v47
	s_wait_alu 0xf1ff
	v_cndmask_b32_e64 v56, 0, v56, s0
	v_cmp_gt_i32_e64 s0, s46, v46
	s_wait_alu 0xf1ff
	s_delay_alu instid0(VALU_DEP_1) | instskip(SKIP_2) | instid1(VALU_DEP_1)
	v_cndmask_b32_e64 v53, 0, v53, s0
	v_cmp_gt_i32_e64 s0, s46, v45
	s_wait_alu 0xf1ff
	v_cndmask_b32_e64 v54, 0, v54, s0
	;; [unrolled: 7-line block ×4, first 2 shown]
.LBB329_39:                             ;   in Loop: Header=BB329_33 Depth=1
	s_wait_alu 0xfffe
	s_or_b32 exec_lo, exec_lo, s5
	global_load_b64 v[57:58], v[13:14], off offset:768
	s_wait_loadcnt 0x0
	v_bfe_u32 v60, v57, 8, 8
	v_bfe_u32 v61, v57, 16, 8
	;; [unrolled: 1-line block ×4, first 2 shown]
	s_delay_alu instid0(VALU_DEP_4)
	v_cvt_f32_fp8_e32 v60, v60
	v_and_b32_e32 v59, 0xff, v57
	v_lshrrev_b32_e32 v57, 24, v57
	v_cvt_f32_fp8_e32 v61, v61
	v_cvt_f32_fp8_e32 v64, v64
	v_mul_f32_e32 v60, s2, v60
	v_cvt_f32_fp8_e32 v59, v59
	v_and_b32_e32 v62, 0xff, v58
	v_cvt_f32_fp8_e32 v57, v57
	v_lshrrev_b32_e32 v58, 24, v58
	v_bfe_u32 v67, v60, 16, 1
	v_mul_f32_e32 v59, s2, v59
	v_cvt_f32_fp8_e32 v62, v62
	v_mul_f32_e32 v61, s2, v61
	v_dual_mul_f32 v57, s2, v57 :: v_dual_mul_f32 v64, s2, v64
	s_delay_alu instid0(VALU_DEP_4)
	v_bfe_u32 v65, v59, 16, 1
	v_or_b32_e32 v66, 0x400000, v59
	v_cmp_u_f32_e64 s0, v59, v59
	v_mul_f32_e32 v62, s2, v62
	v_or_b32_e32 v68, 0x400000, v60
	v_add3_u32 v65, v65, v59, 0x7fff
	v_bfe_u32 v69, v61, 16, 1
	v_add3_u32 v67, v67, v60, 0x7fff
	v_cvt_f32_fp8_e32 v63, v63
	v_or_b32_e32 v70, 0x400000, v61
	s_wait_alu 0xf1ff
	v_cndmask_b32_e64 v59, v65, v66, s0
	v_cmp_u_f32_e64 s0, v60, v60
	v_bfe_u32 v71, v57, 16, 1
	v_add3_u32 v69, v69, v61, 0x7fff
	v_cvt_f32_fp8_e32 v58, v58
	v_mul_f32_e32 v63, s2, v63
	s_wait_alu 0xf1ff
	v_cndmask_b32_e64 v60, v67, v68, s0
	v_cmp_u_f32_e64 s0, v61, v61
	v_or_b32_e32 v72, 0x400000, v57
	v_bfe_u32 v73, v62, 16, 1
	v_add3_u32 v71, v71, v57, 0x7fff
	v_mul_f32_e32 v58, s2, v58
	s_wait_alu 0xf1ff
	v_cndmask_b32_e64 v61, v69, v70, s0
	v_cmp_u_f32_e64 s0, v57, v57
	v_or_b32_e32 v74, 0x400000, v62
	v_bfe_u32 v75, v63, 16, 1
	v_add3_u32 v73, v73, v62, 0x7fff
	v_or_b32_e32 v76, 0x400000, v63
	s_wait_alu 0xf1ff
	v_cndmask_b32_e64 v57, v71, v72, s0
	v_cmp_u_f32_e64 s0, v62, v62
	v_bfe_u32 v77, v64, 16, 1
	v_add3_u32 v75, v75, v63, 0x7fff
	v_or_b32_e32 v78, 0x400000, v64
	v_bfe_u32 v79, v58, 16, 1
	s_wait_alu 0xf1ff
	v_cndmask_b32_e64 v62, v73, v74, s0
	v_cmp_u_f32_e64 s0, v63, v63
	v_add3_u32 v77, v77, v64, 0x7fff
	v_or_b32_e32 v80, 0x400000, v58
	v_add3_u32 v79, v79, v58, 0x7fff
	v_lshrrev_b32_e32 v69, 16, v59
	s_wait_alu 0xf1ff
	v_cndmask_b32_e64 v63, v75, v76, s0
	v_cmp_u_f32_e64 s0, v64, v64
	v_lshrrev_b32_e32 v70, 16, v60
	v_lshrrev_b32_e32 v67, 16, v61
	v_lshrrev_b32_e32 v68, 16, v57
	v_lshrrev_b32_e32 v65, 16, v62
	s_wait_alu 0xf1ff
	v_cndmask_b32_e64 v64, v77, v78, s0
	v_cmp_u_f32_e64 s0, v58, v58
	v_lshrrev_b32_e32 v66, 16, v63
	s_delay_alu instid0(VALU_DEP_3) | instskip(SKIP_1) | instid1(VALU_DEP_3)
	v_lshrrev_b32_e32 v63, 16, v64
	s_wait_alu 0xf1ff
	v_cndmask_b32_e64 v58, v79, v80, s0
	s_delay_alu instid0(VALU_DEP_1)
	v_lshrrev_b32_e32 v64, 16, v58
	s_and_saveexec_b32 s5, vcc_lo
	s_cbranch_execz .LBB329_41
; %bb.40:                               ;   in Loop: Header=BB329_33 Depth=1
	v_cmp_gt_i32_e64 s0, s46, v42
	s_wait_alu 0xf1ff
	s_delay_alu instid0(VALU_DEP_1) | instskip(SKIP_2) | instid1(VALU_DEP_1)
	v_cndmask_b32_e64 v69, 0, v69, s0
	v_cmp_gt_i32_e64 s0, s46, v47
	s_wait_alu 0xf1ff
	v_cndmask_b32_e64 v70, 0, v70, s0
	v_cmp_gt_i32_e64 s0, s46, v46
	s_wait_alu 0xf1ff
	s_delay_alu instid0(VALU_DEP_1) | instskip(SKIP_2) | instid1(VALU_DEP_1)
	v_cndmask_b32_e64 v67, 0, v67, s0
	v_cmp_gt_i32_e64 s0, s46, v45
	s_wait_alu 0xf1ff
	v_cndmask_b32_e64 v68, 0, v68, s0
	;; [unrolled: 7-line block ×4, first 2 shown]
.LBB329_41:                             ;   in Loop: Header=BB329_33 Depth=1
	s_wait_alu 0xfffe
	s_or_b32 exec_lo, exec_lo, s5
	global_load_b64 v[57:58], v[13:14], off offset:1024
	s_wait_loadcnt 0x0
	v_bfe_u32 v60, v57, 8, 8
	v_bfe_u32 v61, v57, 16, 8
	;; [unrolled: 1-line block ×4, first 2 shown]
	s_delay_alu instid0(VALU_DEP_4)
	v_cvt_f32_fp8_e32 v60, v60
	v_and_b32_e32 v59, 0xff, v57
	v_lshrrev_b32_e32 v57, 24, v57
	v_cvt_f32_fp8_e32 v61, v61
	v_cvt_f32_fp8_e32 v72, v72
	v_mul_f32_e32 v60, s2, v60
	v_cvt_f32_fp8_e32 v59, v59
	v_and_b32_e32 v62, 0xff, v58
	v_cvt_f32_fp8_e32 v57, v57
	v_lshrrev_b32_e32 v58, 24, v58
	v_bfe_u32 v75, v60, 16, 1
	v_mul_f32_e32 v59, s2, v59
	v_cvt_f32_fp8_e32 v62, v62
	v_mul_f32_e32 v61, s2, v61
	v_dual_mul_f32 v57, s2, v57 :: v_dual_mul_f32 v72, s2, v72
	s_delay_alu instid0(VALU_DEP_4)
	v_bfe_u32 v73, v59, 16, 1
	v_or_b32_e32 v74, 0x400000, v59
	v_cmp_u_f32_e64 s0, v59, v59
	v_mul_f32_e32 v62, s2, v62
	v_or_b32_e32 v76, 0x400000, v60
	v_add3_u32 v73, v73, v59, 0x7fff
	v_bfe_u32 v77, v61, 16, 1
	v_add3_u32 v75, v75, v60, 0x7fff
	v_cvt_f32_fp8_e32 v71, v71
	v_or_b32_e32 v78, 0x400000, v61
	s_wait_alu 0xf1ff
	v_cndmask_b32_e64 v59, v73, v74, s0
	v_cmp_u_f32_e64 s0, v60, v60
	v_bfe_u32 v79, v57, 16, 1
	v_add3_u32 v77, v77, v61, 0x7fff
	v_cvt_f32_fp8_e32 v58, v58
	v_mul_f32_e32 v71, s2, v71
	s_wait_alu 0xf1ff
	v_cndmask_b32_e64 v60, v75, v76, s0
	v_cmp_u_f32_e64 s0, v61, v61
	v_or_b32_e32 v80, 0x400000, v57
	v_bfe_u32 v81, v62, 16, 1
	v_add3_u32 v79, v79, v57, 0x7fff
	v_mul_f32_e32 v58, s2, v58
	s_wait_alu 0xf1ff
	v_cndmask_b32_e64 v61, v77, v78, s0
	v_cmp_u_f32_e64 s0, v57, v57
	v_or_b32_e32 v82, 0x400000, v62
	v_bfe_u32 v83, v71, 16, 1
	v_add3_u32 v81, v81, v62, 0x7fff
	v_or_b32_e32 v84, 0x400000, v71
	s_wait_alu 0xf1ff
	v_cndmask_b32_e64 v57, v79, v80, s0
	v_cmp_u_f32_e64 s0, v62, v62
	v_bfe_u32 v85, v72, 16, 1
	v_add3_u32 v83, v83, v71, 0x7fff
	v_or_b32_e32 v86, 0x400000, v72
	v_bfe_u32 v87, v58, 16, 1
	s_wait_alu 0xf1ff
	v_cndmask_b32_e64 v62, v81, v82, s0
	v_cmp_u_f32_e64 s0, v71, v71
	v_add3_u32 v85, v85, v72, 0x7fff
	v_or_b32_e32 v88, 0x400000, v58
	v_add3_u32 v87, v87, v58, 0x7fff
	v_lshrrev_b32_e32 v77, 16, v59
	s_wait_alu 0xf1ff
	v_cndmask_b32_e64 v71, v83, v84, s0
	v_cmp_u_f32_e64 s0, v72, v72
	v_lshrrev_b32_e32 v78, 16, v60
	v_lshrrev_b32_e32 v75, 16, v61
	;; [unrolled: 1-line block ×4, first 2 shown]
	s_wait_alu 0xf1ff
	v_cndmask_b32_e64 v72, v85, v86, s0
	v_cmp_u_f32_e64 s0, v58, v58
	v_lshrrev_b32_e32 v74, 16, v71
	s_delay_alu instid0(VALU_DEP_3) | instskip(SKIP_1) | instid1(VALU_DEP_3)
	v_lshrrev_b32_e32 v71, 16, v72
	s_wait_alu 0xf1ff
	v_cndmask_b32_e64 v58, v87, v88, s0
	s_delay_alu instid0(VALU_DEP_1)
	v_lshrrev_b32_e32 v72, 16, v58
	s_and_saveexec_b32 s5, vcc_lo
	s_cbranch_execz .LBB329_43
; %bb.42:                               ;   in Loop: Header=BB329_33 Depth=1
	v_cmp_gt_i32_e64 s0, s46, v42
	s_wait_alu 0xf1ff
	s_delay_alu instid0(VALU_DEP_1) | instskip(SKIP_2) | instid1(VALU_DEP_1)
	v_cndmask_b32_e64 v77, 0, v77, s0
	v_cmp_gt_i32_e64 s0, s46, v47
	s_wait_alu 0xf1ff
	v_cndmask_b32_e64 v78, 0, v78, s0
	v_cmp_gt_i32_e64 s0, s46, v46
	s_wait_alu 0xf1ff
	s_delay_alu instid0(VALU_DEP_1) | instskip(SKIP_2) | instid1(VALU_DEP_1)
	v_cndmask_b32_e64 v75, 0, v75, s0
	v_cmp_gt_i32_e64 s0, s46, v45
	s_wait_alu 0xf1ff
	v_cndmask_b32_e64 v76, 0, v76, s0
	;; [unrolled: 7-line block ×4, first 2 shown]
.LBB329_43:                             ;   in Loop: Header=BB329_33 Depth=1
	s_wait_alu 0xfffe
	s_or_b32 exec_lo, exec_lo, s5
	global_load_b64 v[13:14], v[13:14], off offset:1280
	s_wait_loadcnt 0x0
	v_bfe_u32 v58, v13, 8, 8
	v_bfe_u32 v59, v13, 16, 8
	;; [unrolled: 1-line block ×4, first 2 shown]
	s_delay_alu instid0(VALU_DEP_4)
	v_cvt_f32_fp8_e32 v58, v58
	v_and_b32_e32 v57, 0xff, v13
	v_lshrrev_b32_e32 v13, 24, v13
	v_cvt_f32_fp8_e32 v59, v59
	v_cvt_f32_fp8_e32 v62, v62
	v_mul_f32_e32 v58, s2, v58
	v_cvt_f32_fp8_e32 v57, v57
	v_and_b32_e32 v60, 0xff, v14
	v_cvt_f32_fp8_e32 v13, v13
	v_lshrrev_b32_e32 v14, 24, v14
	v_bfe_u32 v81, v58, 16, 1
	v_mul_f32_e32 v57, s2, v57
	v_cvt_f32_fp8_e32 v60, v60
	v_mul_f32_e32 v59, s2, v59
	v_dual_mul_f32 v13, s2, v13 :: v_dual_mul_f32 v62, s2, v62
	s_delay_alu instid0(VALU_DEP_4)
	v_bfe_u32 v79, v57, 16, 1
	v_or_b32_e32 v80, 0x400000, v57
	v_cmp_u_f32_e64 s0, v57, v57
	v_mul_f32_e32 v60, s2, v60
	v_or_b32_e32 v82, 0x400000, v58
	v_add3_u32 v79, v79, v57, 0x7fff
	v_bfe_u32 v83, v59, 16, 1
	v_add3_u32 v81, v81, v58, 0x7fff
	v_cvt_f32_fp8_e32 v61, v61
	v_or_b32_e32 v84, 0x400000, v59
	s_wait_alu 0xf1ff
	v_cndmask_b32_e64 v57, v79, v80, s0
	v_cmp_u_f32_e64 s0, v58, v58
	v_bfe_u32 v85, v13, 16, 1
	v_add3_u32 v83, v83, v59, 0x7fff
	v_cvt_f32_fp8_e32 v14, v14
	v_mul_f32_e32 v61, s2, v61
	s_wait_alu 0xf1ff
	v_cndmask_b32_e64 v58, v81, v82, s0
	v_cmp_u_f32_e64 s0, v59, v59
	v_or_b32_e32 v86, 0x400000, v13
	v_bfe_u32 v87, v60, 16, 1
	v_add3_u32 v85, v85, v13, 0x7fff
	v_mul_f32_e32 v14, s2, v14
	s_wait_alu 0xf1ff
	v_cndmask_b32_e64 v59, v83, v84, s0
	v_cmp_u_f32_e64 s0, v13, v13
	v_or_b32_e32 v88, 0x400000, v60
	v_bfe_u32 v89, v61, 16, 1
	v_add3_u32 v87, v87, v60, 0x7fff
	v_or_b32_e32 v90, 0x400000, v61
	s_wait_alu 0xf1ff
	v_cndmask_b32_e64 v13, v85, v86, s0
	v_cmp_u_f32_e64 s0, v60, v60
	v_bfe_u32 v91, v62, 16, 1
	v_add3_u32 v89, v89, v61, 0x7fff
	v_or_b32_e32 v92, 0x400000, v62
	v_bfe_u32 v93, v14, 16, 1
	s_wait_alu 0xf1ff
	v_cndmask_b32_e64 v79, v87, v88, s0
	v_cmp_u_f32_e64 s0, v61, v61
	v_add3_u32 v91, v91, v62, 0x7fff
	v_or_b32_e32 v94, 0x400000, v14
	v_add3_u32 v93, v93, v14, 0x7fff
	v_lshrrev_b32_e32 v61, 16, v58
	s_wait_alu 0xf1ff
	v_cndmask_b32_e64 v80, v89, v90, s0
	v_cmp_u_f32_e64 s0, v62, v62
	v_lshrrev_b32_e32 v62, 16, v57
	v_lshrrev_b32_e32 v60, 16, v59
	;; [unrolled: 1-line block ×4, first 2 shown]
	s_wait_alu 0xf1ff
	v_cndmask_b32_e64 v81, v91, v92, s0
	v_cmp_u_f32_e64 s0, v14, v14
	v_lshrrev_b32_e32 v57, 16, v80
	s_delay_alu instid0(VALU_DEP_3) | instskip(SKIP_1) | instid1(VALU_DEP_3)
	v_lshrrev_b32_e32 v14, 16, v81
	s_wait_alu 0xf1ff
	v_cndmask_b32_e64 v82, v93, v94, s0
	s_delay_alu instid0(VALU_DEP_1)
	v_lshrrev_b32_e32 v13, 16, v82
	s_and_saveexec_b32 s0, vcc_lo
	s_cbranch_execz .LBB329_32
; %bb.44:                               ;   in Loop: Header=BB329_33 Depth=1
	v_cmp_gt_i32_e32 vcc_lo, s46, v42
	s_wait_alu 0xfffd
	v_cndmask_b32_e32 v62, 0, v62, vcc_lo
	v_cmp_gt_i32_e32 vcc_lo, s46, v47
	s_wait_alu 0xfffd
	v_cndmask_b32_e32 v61, 0, v61, vcc_lo
	v_cmp_gt_i32_e32 vcc_lo, s46, v46
	s_wait_alu 0xfffd
	v_cndmask_b32_e32 v60, 0, v60, vcc_lo
	v_cmp_gt_i32_e32 vcc_lo, s46, v45
	s_wait_alu 0xfffd
	v_cndmask_b32_e32 v59, 0, v59, vcc_lo
	v_cmp_gt_i32_e32 vcc_lo, s46, v44
	s_wait_alu 0xfffd
	v_cndmask_b32_e32 v58, 0, v58, vcc_lo
	v_cmp_gt_i32_e32 vcc_lo, s46, v43
	s_wait_alu 0xfffd
	v_cndmask_b32_e32 v57, 0, v57, vcc_lo
	v_cmp_gt_i32_e32 vcc_lo, s46, v52
	s_wait_alu 0xfffd
	v_cndmask_b32_e32 v14, 0, v14, vcc_lo
	v_cmp_gt_i32_e32 vcc_lo, s46, v24
	s_wait_alu 0xfffd
	v_cndmask_b32_e32 v13, 0, v13, vcc_lo
	s_branch .LBB329_32
.LBB329_45:
	s_or_b32 exec_lo, exec_lo, s4
.LBB329_46:
	s_wait_alu 0xfffe
	s_or_b32 exec_lo, exec_lo, s1
	v_lshl_add_u32 v2, v17, 2, 0x1a0
	v_and_b32_e32 v3, 0x3c0, v0
	s_mov_b32 s0, exec_lo
	s_wait_loadcnt 0x0
	s_wait_storecnt 0x0
	s_barrier_signal -1
	v_mad_u32_u24 v1, 0x300, v15, v2
	s_barrier_wait -1
	global_inv scope:SCOPE_SE
	v_cmpx_eq_u32_e32 64, v3
	s_cbranch_execz .LBB329_48
; %bb.47:
	v_add_nc_u32_e32 v3, 0xfffffa00, v1
	v_add_nc_u32_e32 v4, 0xfffffa80, v1
	;; [unrolled: 1-line block ×6, first 2 shown]
	ds_store_b32 v3, v23
	ds_store_b32 v4, v22
	;; [unrolled: 1-line block ×6, first 2 shown]
.LBB329_48:
	s_wait_alu 0xfffe
	s_or_b32 exec_lo, exec_lo, s0
	s_delay_alu instid0(SALU_CYCLE_1)
	s_mov_b32 s0, exec_lo
	s_wait_loadcnt_dscnt 0x0
	s_barrier_signal -1
	s_barrier_wait -1
	global_inv scope:SCOPE_SE
	v_cmpx_gt_u32_e32 64, v0
	s_cbranch_execz .LBB329_50
; %bb.49:
	ds_load_2addr_b32 v[3:4], v1 offset1:32
	ds_load_2addr_b32 v[5:6], v1 offset0:64 offset1:96
	ds_load_2addr_b32 v[7:8], v1 offset0:128 offset1:160
	s_wait_dscnt 0x2
	v_dual_add_f32 v23, v23, v3 :: v_dual_add_f32 v22, v22, v4
	s_wait_dscnt 0x1
	v_dual_add_f32 v21, v21, v5 :: v_dual_add_f32 v20, v20, v6
	;; [unrolled: 2-line block ×3, first 2 shown]
.LBB329_50:
	s_wait_alu 0xfffe
	s_or_b32 exec_lo, exec_lo, s0
	v_and_b32_e32 v3, 0x3e0, v0
	s_mov_b32 s0, exec_lo
	s_wait_loadcnt 0x0
	s_barrier_signal -1
	s_barrier_wait -1
	global_inv scope:SCOPE_SE
	v_cmpx_eq_u32_e32 32, v3
	s_cbranch_execz .LBB329_52
; %bb.51:
	ds_store_2addr_b32 v2, v23, v22 offset1:32
	ds_store_2addr_b32 v2, v21, v20 offset0:64 offset1:96
	ds_store_2addr_b32 v2, v19, v18 offset0:128 offset1:160
.LBB329_52:
	s_wait_alu 0xfffe
	s_or_b32 exec_lo, exec_lo, s0
	v_cmp_gt_u32_e32 vcc_lo, 32, v0
	s_wait_loadcnt_dscnt 0x0
	s_barrier_signal -1
	s_barrier_wait -1
	global_inv scope:SCOPE_SE
	s_and_saveexec_b32 s0, vcc_lo
	s_cbranch_execz .LBB329_54
; %bb.53:
	ds_load_2addr_b32 v[2:3], v1 offset1:32
	ds_load_2addr_b32 v[4:5], v1 offset0:64 offset1:96
	ds_load_2addr_b32 v[6:7], v1 offset0:128 offset1:160
	s_wait_dscnt 0x2
	v_dual_add_f32 v23, v23, v2 :: v_dual_add_f32 v22, v22, v3
	s_wait_dscnt 0x1
	v_dual_add_f32 v21, v21, v4 :: v_dual_add_f32 v20, v20, v5
	;; [unrolled: 2-line block ×3, first 2 shown]
.LBB329_54:
	s_wait_alu 0xfffe
	s_or_b32 exec_lo, exec_lo, s0
	s_wait_loadcnt 0x0
	s_barrier_signal -1
	s_barrier_wait -1
	global_inv scope:SCOPE_SE
	s_and_saveexec_b32 s0, vcc_lo
	s_cbranch_execz .LBB329_56
; %bb.55:
	v_bfe_u32 v1, v23, 16, 1
	v_bfe_u32 v2, v22, 16, 1
	v_or_b32_e32 v3, 0x400000, v23
	v_cmp_u_f32_e32 vcc_lo, v23, v23
	v_bfe_u32 v4, v21, 16, 1
	v_add3_u32 v1, v1, v23, 0x7fff
	v_lshlrev_b32_e32 v0, 1, v0
	v_add3_u32 v2, v2, v22, 0x7fff
	v_or_b32_e32 v5, 0x400000, v22
	v_bfe_u32 v6, v19, 16, 1
	s_wait_alu 0xfffd
	v_cndmask_b32_e32 v1, v1, v3, vcc_lo
	v_cmp_u_f32_e32 vcc_lo, v22, v22
	v_add3_u32 v3, v4, v21, 0x7fff
	v_or_b32_e32 v4, 0x400000, v21
	v_or_b32_e32 v7, 0x400000, v20
	s_mul_i32 s0, s10, 0xc0
	s_wait_alu 0xfffd
	v_cndmask_b32_e32 v2, v2, v5, vcc_lo
	v_bfe_u32 v5, v20, 16, 1
	v_cmp_u_f32_e32 vcc_lo, v21, v21
	s_mul_i32 s2, s35, s34
	s_wait_alu 0xfffe
	s_ashr_i32 s1, s0, 31
	v_add3_u32 v6, v6, v19, 0x7fff
	v_add3_u32 v5, v5, v20, 0x7fff
	s_wait_alu 0xfffd
	v_cndmask_b32_e32 v3, v3, v4, vcc_lo
	v_cmp_u_f32_e32 vcc_lo, v20, v20
	v_bfe_u32 v4, v18, 16, 1
	v_or_b32_e32 v8, 0x400000, v19
	s_ashr_i32 s3, s2, 31
	s_wait_alu 0xfffe
	s_lshl_b64 s[0:1], s[0:1], 1
	s_wait_alu 0xfffd
	v_cndmask_b32_e32 v5, v5, v7, vcc_lo
	v_cmp_u_f32_e32 vcc_lo, v19, v19
	s_lshl_b64 s[2:3], s[2:3], 1
	s_wait_alu 0xfffe
	s_add_nc_u64 s[0:1], s[8:9], s[0:1]
	v_add3_u32 v4, v4, v18, 0x7fff
	v_or_b32_e32 v9, 0x400000, v18
	s_wait_alu 0xfffd
	v_cndmask_b32_e32 v6, v6, v8, vcc_lo
	v_cmp_u_f32_e32 vcc_lo, v18, v18
	s_mul_i32 s4, s33, 0x180
	s_wait_alu 0xfffe
	s_add_nc_u64 s[0:1], s[0:1], s[2:3]
	s_mov_b32 s5, 0
	s_wait_alu 0xfffe
	s_add_nc_u64 s[0:1], s[0:1], s[4:5]
	s_wait_alu 0xfffd
	v_cndmask_b32_e32 v4, v4, v9, vcc_lo
	s_clause 0x5
	global_store_d16_hi_b16 v0, v1, s[0:1]
	global_store_d16_hi_b16 v0, v2, s[0:1] offset:64
	global_store_d16_hi_b16 v0, v3, s[0:1] offset:128
	;; [unrolled: 1-line block ×5, first 2 shown]
.LBB329_56:
	s_nop 0
	s_sendmsg sendmsg(MSG_DEALLOC_VGPRS)
	s_endpgm
	.section	.rodata,"a",@progbits
	.p2align	6, 0x0
	.amdhsa_kernel _ZN4vllm25paged_attention_v2_kernelI14__hip_bfloat16hLi192ELi8ELi128ELNS_18Fp8KVCacheDataTypeE1ELb0ELi512EEEvPfS3_PT_PKS4_PKT0_SA_ifPKiSC_iPKfiiiSE_SE_iiiii
		.amdhsa_group_segment_fixed_size 416
		.amdhsa_private_segment_fixed_size 0
		.amdhsa_kernarg_size 400
		.amdhsa_user_sgpr_count 2
		.amdhsa_user_sgpr_dispatch_ptr 0
		.amdhsa_user_sgpr_queue_ptr 0
		.amdhsa_user_sgpr_kernarg_segment_ptr 1
		.amdhsa_user_sgpr_dispatch_id 0
		.amdhsa_user_sgpr_private_segment_size 0
		.amdhsa_wavefront_size32 1
		.amdhsa_uses_dynamic_stack 0
		.amdhsa_enable_private_segment 0
		.amdhsa_system_sgpr_workgroup_id_x 1
		.amdhsa_system_sgpr_workgroup_id_y 1
		.amdhsa_system_sgpr_workgroup_id_z 1
		.amdhsa_system_sgpr_workgroup_info 0
		.amdhsa_system_vgpr_workitem_id 0
		.amdhsa_next_free_vgpr 137
		.amdhsa_next_free_sgpr 54
		.amdhsa_reserve_vcc 1
		.amdhsa_float_round_mode_32 0
		.amdhsa_float_round_mode_16_64 0
		.amdhsa_float_denorm_mode_32 3
		.amdhsa_float_denorm_mode_16_64 3
		.amdhsa_fp16_overflow 0
		.amdhsa_workgroup_processor_mode 1
		.amdhsa_memory_ordered 1
		.amdhsa_forward_progress 1
		.amdhsa_inst_pref_size 129
		.amdhsa_round_robin_scheduling 0
		.amdhsa_exception_fp_ieee_invalid_op 0
		.amdhsa_exception_fp_denorm_src 0
		.amdhsa_exception_fp_ieee_div_zero 0
		.amdhsa_exception_fp_ieee_overflow 0
		.amdhsa_exception_fp_ieee_underflow 0
		.amdhsa_exception_fp_ieee_inexact 0
		.amdhsa_exception_int_div_zero 0
	.end_amdhsa_kernel
	.section	.text._ZN4vllm25paged_attention_v2_kernelI14__hip_bfloat16hLi192ELi8ELi128ELNS_18Fp8KVCacheDataTypeE1ELb0ELi512EEEvPfS3_PT_PKS4_PKT0_SA_ifPKiSC_iPKfiiiSE_SE_iiiii,"axG",@progbits,_ZN4vllm25paged_attention_v2_kernelI14__hip_bfloat16hLi192ELi8ELi128ELNS_18Fp8KVCacheDataTypeE1ELb0ELi512EEEvPfS3_PT_PKS4_PKT0_SA_ifPKiSC_iPKfiiiSE_SE_iiiii,comdat
.Lfunc_end329:
	.size	_ZN4vllm25paged_attention_v2_kernelI14__hip_bfloat16hLi192ELi8ELi128ELNS_18Fp8KVCacheDataTypeE1ELb0ELi512EEEvPfS3_PT_PKS4_PKT0_SA_ifPKiSC_iPKfiiiSE_SE_iiiii, .Lfunc_end329-_ZN4vllm25paged_attention_v2_kernelI14__hip_bfloat16hLi192ELi8ELi128ELNS_18Fp8KVCacheDataTypeE1ELb0ELi512EEEvPfS3_PT_PKS4_PKT0_SA_ifPKiSC_iPKfiiiSE_SE_iiiii
                                        ; -- End function
	.set _ZN4vllm25paged_attention_v2_kernelI14__hip_bfloat16hLi192ELi8ELi128ELNS_18Fp8KVCacheDataTypeE1ELb0ELi512EEEvPfS3_PT_PKS4_PKT0_SA_ifPKiSC_iPKfiiiSE_SE_iiiii.num_vgpr, 137
	.set _ZN4vllm25paged_attention_v2_kernelI14__hip_bfloat16hLi192ELi8ELi128ELNS_18Fp8KVCacheDataTypeE1ELb0ELi512EEEvPfS3_PT_PKS4_PKT0_SA_ifPKiSC_iPKfiiiSE_SE_iiiii.num_agpr, 0
	.set _ZN4vllm25paged_attention_v2_kernelI14__hip_bfloat16hLi192ELi8ELi128ELNS_18Fp8KVCacheDataTypeE1ELb0ELi512EEEvPfS3_PT_PKS4_PKT0_SA_ifPKiSC_iPKfiiiSE_SE_iiiii.numbered_sgpr, 54
	.set _ZN4vllm25paged_attention_v2_kernelI14__hip_bfloat16hLi192ELi8ELi128ELNS_18Fp8KVCacheDataTypeE1ELb0ELi512EEEvPfS3_PT_PKS4_PKT0_SA_ifPKiSC_iPKfiiiSE_SE_iiiii.num_named_barrier, 0
	.set _ZN4vllm25paged_attention_v2_kernelI14__hip_bfloat16hLi192ELi8ELi128ELNS_18Fp8KVCacheDataTypeE1ELb0ELi512EEEvPfS3_PT_PKS4_PKT0_SA_ifPKiSC_iPKfiiiSE_SE_iiiii.private_seg_size, 0
	.set _ZN4vllm25paged_attention_v2_kernelI14__hip_bfloat16hLi192ELi8ELi128ELNS_18Fp8KVCacheDataTypeE1ELb0ELi512EEEvPfS3_PT_PKS4_PKT0_SA_ifPKiSC_iPKfiiiSE_SE_iiiii.uses_vcc, 1
	.set _ZN4vllm25paged_attention_v2_kernelI14__hip_bfloat16hLi192ELi8ELi128ELNS_18Fp8KVCacheDataTypeE1ELb0ELi512EEEvPfS3_PT_PKS4_PKT0_SA_ifPKiSC_iPKfiiiSE_SE_iiiii.uses_flat_scratch, 0
	.set _ZN4vllm25paged_attention_v2_kernelI14__hip_bfloat16hLi192ELi8ELi128ELNS_18Fp8KVCacheDataTypeE1ELb0ELi512EEEvPfS3_PT_PKS4_PKT0_SA_ifPKiSC_iPKfiiiSE_SE_iiiii.has_dyn_sized_stack, 0
	.set _ZN4vllm25paged_attention_v2_kernelI14__hip_bfloat16hLi192ELi8ELi128ELNS_18Fp8KVCacheDataTypeE1ELb0ELi512EEEvPfS3_PT_PKS4_PKT0_SA_ifPKiSC_iPKfiiiSE_SE_iiiii.has_recursion, 0
	.set _ZN4vllm25paged_attention_v2_kernelI14__hip_bfloat16hLi192ELi8ELi128ELNS_18Fp8KVCacheDataTypeE1ELb0ELi512EEEvPfS3_PT_PKS4_PKT0_SA_ifPKiSC_iPKfiiiSE_SE_iiiii.has_indirect_call, 0
	.section	.AMDGPU.csdata,"",@progbits
; Kernel info:
; codeLenInByte = 16492
; TotalNumSgprs: 56
; NumVgprs: 137
; ScratchSize: 0
; MemoryBound: 0
; FloatMode: 240
; IeeeMode: 1
; LDSByteSize: 416 bytes/workgroup (compile time only)
; SGPRBlocks: 0
; VGPRBlocks: 17
; NumSGPRsForWavesPerEU: 56
; NumVGPRsForWavesPerEU: 137
; Occupancy: 10
; WaveLimiterHint : 1
; COMPUTE_PGM_RSRC2:SCRATCH_EN: 0
; COMPUTE_PGM_RSRC2:USER_SGPR: 2
; COMPUTE_PGM_RSRC2:TRAP_HANDLER: 0
; COMPUTE_PGM_RSRC2:TGID_X_EN: 1
; COMPUTE_PGM_RSRC2:TGID_Y_EN: 1
; COMPUTE_PGM_RSRC2:TGID_Z_EN: 1
; COMPUTE_PGM_RSRC2:TIDIG_COMP_CNT: 0
	.section	.text._ZN4vllm25paged_attention_v2_kernelI14__hip_bfloat16hLi256ELi8ELi128ELNS_18Fp8KVCacheDataTypeE1ELb0ELi512EEEvPfS3_PT_PKS4_PKT0_SA_ifPKiSC_iPKfiiiSE_SE_iiiii,"axG",@progbits,_ZN4vllm25paged_attention_v2_kernelI14__hip_bfloat16hLi256ELi8ELi128ELNS_18Fp8KVCacheDataTypeE1ELb0ELi512EEEvPfS3_PT_PKS4_PKT0_SA_ifPKiSC_iPKfiiiSE_SE_iiiii,comdat
	.protected	_ZN4vllm25paged_attention_v2_kernelI14__hip_bfloat16hLi256ELi8ELi128ELNS_18Fp8KVCacheDataTypeE1ELb0ELi512EEEvPfS3_PT_PKS4_PKT0_SA_ifPKiSC_iPKfiiiSE_SE_iiiii ; -- Begin function _ZN4vllm25paged_attention_v2_kernelI14__hip_bfloat16hLi256ELi8ELi128ELNS_18Fp8KVCacheDataTypeE1ELb0ELi512EEEvPfS3_PT_PKS4_PKT0_SA_ifPKiSC_iPKfiiiSE_SE_iiiii
	.globl	_ZN4vllm25paged_attention_v2_kernelI14__hip_bfloat16hLi256ELi8ELi128ELNS_18Fp8KVCacheDataTypeE1ELb0ELi512EEEvPfS3_PT_PKS4_PKT0_SA_ifPKiSC_iPKfiiiSE_SE_iiiii
	.p2align	8
	.type	_ZN4vllm25paged_attention_v2_kernelI14__hip_bfloat16hLi256ELi8ELi128ELNS_18Fp8KVCacheDataTypeE1ELb0ELi512EEEvPfS3_PT_PKS4_PKT0_SA_ifPKiSC_iPKfiiiSE_SE_iiiii,@function
_ZN4vllm25paged_attention_v2_kernelI14__hip_bfloat16hLi256ELi8ELi128ELNS_18Fp8KVCacheDataTypeE1ELb0ELi512EEEvPfS3_PT_PKS4_PKT0_SA_ifPKiSC_iPKfiiiSE_SE_iiiii: ; @_ZN4vllm25paged_attention_v2_kernelI14__hip_bfloat16hLi256ELi8ELi128ELNS_18Fp8KVCacheDataTypeE1ELb0ELi512EEEvPfS3_PT_PKS4_PKT0_SA_ifPKiSC_iPKfiiiSE_SE_iiiii
; %bb.0:
	s_load_b64 s[2:3], s[0:1], 0x40
	s_and_b32 s63, ttmp7, 0xffff
	s_lshr_b32 s62, ttmp7, 16
	s_lshl_b32 s4, s63, 2
	s_lshl_b32 s52, s62, 9
	s_wait_kmcnt 0x0
	s_load_b32 s53, s[2:3], s4 offset:0x0
	s_wait_kmcnt 0x0
	s_cmp_ge_i32 s52, s53
	s_cbranch_scc1 .LBB330_60
; %bb.1:
	s_clause 0x1
	s_load_b32 s64, s[0:1], 0x90
	s_load_b64 s[60:61], s[0:1], 0x30
	s_wait_kmcnt 0x0
	s_abs_i32 s5, s64
	s_abs_i32 s2, s60
	s_delay_alu instid0(SALU_CYCLE_1) | instskip(SKIP_1) | instid1(SALU_CYCLE_2)
	s_cvt_f32_u32 s3, s2
	s_sub_co_i32 s4, 0, s2
	v_rcp_iflag_f32_e32 v1, s3
	s_delay_alu instid0(TRANS32_DEP_1) | instskip(SKIP_2) | instid1(SALU_CYCLE_2)
	v_readfirstlane_b32 s3, v1
	s_mul_f32 s3, s3, 0x4f7ffffe
	s_wait_alu 0xfffe
	s_cvt_u32_f32 s3, s3
	s_wait_alu 0xfffe
	s_delay_alu instid0(SALU_CYCLE_2) | instskip(NEXT) | instid1(SALU_CYCLE_1)
	s_mul_i32 s4, s4, s3
	s_mul_hi_u32 s4, s3, s4
	s_delay_alu instid0(SALU_CYCLE_1)
	s_add_co_i32 s3, s3, s4
	s_xor_b32 s4, s64, s60
	s_wait_alu 0xfffe
	s_mul_hi_u32 s3, s5, s3
	s_ashr_i32 s4, s4, 31
	s_wait_alu 0xfffe
	s_mul_i32 s6, s3, s2
	s_delay_alu instid0(SALU_CYCLE_1)
	s_sub_co_i32 s5, s5, s6
	s_add_co_i32 s6, s3, 1
	s_sub_co_i32 s7, s5, s2
	s_cmp_ge_u32 s5, s2
	s_cselect_b32 s3, s6, s3
	s_cselect_b32 s5, s7, s5
	s_wait_alu 0xfffe
	s_add_co_i32 s6, s3, 1
	s_cmp_ge_u32 s5, s2
	s_cselect_b32 s2, s6, s3
	s_load_b64 s[6:7], s[0:1], 0x50
	s_xor_b32 s2, s2, s4
	s_mov_b32 s3, 0
	s_wait_alu 0xfffe
	s_sub_co_i32 s9, s2, s4
	s_mov_b32 s66, s3
	s_abs_i32 s8, s9
	s_delay_alu instid0(SALU_CYCLE_1) | instskip(SKIP_1) | instid1(SALU_CYCLE_2)
	s_cvt_f32_u32 s2, s8
	s_wait_alu 0xfffe
	v_rcp_iflag_f32_e32 v1, s2
	s_delay_alu instid0(TRANS32_DEP_1) | instskip(SKIP_2) | instid1(SALU_CYCLE_2)
	v_readfirstlane_b32 s2, v1
	s_mul_f32 s2, s2, 0x4f7ffffe
	s_wait_alu 0xfffe
	s_cvt_u32_f32 s4, s2
	s_sub_co_i32 s2, 0, s8
	s_wait_alu 0xfffe
	s_delay_alu instid0(SALU_CYCLE_1)
	s_mul_i32 s2, s2, s4
	s_wait_alu 0xfffe
	s_mul_hi_u32 s5, s4, s2
	s_abs_i32 s2, ttmp9
	s_add_co_i32 s4, s4, s5
	s_mov_b32 s5, s3
	s_wait_kmcnt 0x0
	s_cmp_eq_u64 s[6:7], 0
	s_cbranch_scc1 .LBB330_3
; %bb.2:
	s_mov_b32 s10, ttmp9
	s_ashr_i32 s11, ttmp9, 31
	s_delay_alu instid0(SALU_CYCLE_1) | instskip(NEXT) | instid1(SALU_CYCLE_1)
	s_lshl_b64 s[10:11], s[10:11], 2
	s_add_nc_u64 s[6:7], s[6:7], s[10:11]
	s_load_b32 s66, s[6:7], 0x0
.LBB330_3:
	s_load_b96 s[48:50], s[0:1], 0x58
	v_and_b32_e32 v1, 3, v0
	s_mul_u64 s[4:5], s[2:3], s[4:5]
	s_ashr_i32 s3, ttmp9, 31
	s_ashr_i32 s4, s9, 31
	s_lshl_b32 s54, ttmp9, 8
	s_mov_b32 s6, exec_lo
	v_cmpx_gt_u32_e32 0x80, v0
	s_cbranch_execz .LBB330_5
; %bb.4:
	s_load_b64 s[10:11], s[0:1], 0x18
	s_wait_kmcnt 0x0
	s_mul_i32 s12, s48, s63
	s_ashr_i32 s55, s54, 31
	s_ashr_i32 s13, s12, 31
	v_lshlrev_b32_e32 v2, 2, v0
	s_lshl_b64 s[12:13], s[12:13], 1
	v_and_b32_e32 v3, 0x3fc, v0
	s_delay_alu instid0(VALU_DEP_1) | instskip(SKIP_2) | instid1(SALU_CYCLE_1)
	v_lshl_add_u32 v3, v1, 7, v3
	s_add_nc_u64 s[10:11], s[10:11], s[12:13]
	s_lshl_b64 s[12:13], s[54:55], 1
	s_add_nc_u64 s[10:11], s[10:11], s[12:13]
	global_load_b32 v2, v2, s[10:11]
	s_wait_loadcnt 0x0
	ds_store_b32 v3, v2
.LBB330_5:
	s_or_b32 exec_lo, exec_lo, s6
	s_add_co_i32 s6, s53, 7
	s_wait_alu 0xfffe
	s_xor_b32 s3, s3, s4
	s_ashr_i32 s7, s6, 31
	s_lshl_b32 s65, s62, 6
	s_lshr_b32 s4, s7, 29
	s_mul_i32 s7, s5, s8
	s_add_co_i32 s6, s6, s4
	s_add_co_i32 s4, s65, 64
	s_ashr_i32 s60, s6, 3
	s_load_b32 s6, s[0:1], 0x48
	s_sub_co_i32 s2, s2, s7
	s_min_i32 s55, s4, s60
	s_add_co_i32 s4, s5, 1
	s_wait_alu 0xfffe
	s_sub_co_i32 s7, s2, s8
	s_cmp_ge_u32 s2, s8
	v_lshrrev_b32_e32 v15, 5, v0
	s_cselect_b32 s4, s4, s5
	s_cselect_b32 s2, s7, s2
	s_add_co_i32 s5, s4, 1
	s_wait_alu 0xfffe
	s_cmp_ge_u32 s2, s8
	v_or_b32_e32 v16, s65, v15
	s_cselect_b32 s2, s5, s4
	v_mbcnt_lo_u32_b32 v9, -1, 0
	s_wait_alu 0xfffe
	s_xor_b32 s2, s2, s3
	s_mov_b32 s4, exec_lo
	s_wait_alu 0xfffe
	s_sub_co_i32 s3, s2, s3
	v_cmp_gt_i32_e64 s2, s55, v16
	s_wait_dscnt 0x0
	s_barrier_signal -1
	s_wait_kmcnt 0x0
	s_mul_i32 s56, s6, s63
	s_barrier_wait -1
	s_ashr_i32 s57, s56, 31
	global_inv scope:SCOPE_SE
                                        ; implicit-def: $vgpr10
                                        ; implicit-def: $vgpr11
	v_cmpx_le_i32_e64 s55, v16
	s_xor_b32 s4, exec_lo, s4
; %bb.6:
	v_dual_mov_b32 v10, 0 :: v_dual_mov_b32 v11, 32
	v_mbcnt_lo_u32_b32 v9, -1, 0
                                        ; implicit-def: $vgpr1
; %bb.7:
	s_or_saveexec_b32 s67, s4
	s_clause 0x2
	s_load_b32 s48, s[0:1], 0x98
	s_load_b64 s[58:59], s[0:1], 0x38
	s_load_b128 s[44:47], s[0:1], 0x68
	v_dual_mov_b32 v65, 0xff7fffff :: v_dual_lshlrev_b32 v8, 3, v15
	v_lshlrev_b32_e32 v7, 2, v16
	s_mul_i32 s50, s3, s50
	s_xor_b32 exec_lo, exec_lo, s67
	s_cbranch_execz .LBB330_13
; %bb.8:
	s_load_b64 s[4:5], s[0:1], 0x20
	v_lshlrev_b32_e32 v6, 7, v1
	v_bfe_u32 v65, v0, 2, 3
	v_xor_b32_e32 v63, 1, v9
	s_ashr_i32 s51, s50, 31
	v_dual_mov_b32 v10, 0 :: v_dual_lshlrev_b32 v81, 1, v1
	ds_load_b128 v[2:5], v6
	ds_load_b128 v[26:29], v6 offset:16
	v_lshlrev_b32_e32 v11, 4, v65
	ds_load_b128 v[34:37], v6 offset:32
	ds_load_b128 v[42:45], v6 offset:48
	;; [unrolled: 1-line block ×3, first 2 shown]
	s_cmp_neq_f32 s66, 0
	s_mov_b32 s69, s49
	s_mov_b32 s68, 0
	ds_load_b128 v[58:61], v6 offset:80
	s_wait_kmcnt 0x0
	s_add_nc_u64 s[4:5], s[4:5], s[50:51]
	s_load_b32 s51, s[44:45], 0x0
	v_add_co_u32 v82, s3, s4, v11
	v_xor_b32_e32 v11, 2, v9
	s_wait_alu 0xf1ff
	v_add_co_ci_u32_e64 v83, null, s5, 0, s3
	s_wait_dscnt 0x5
	v_lshlrev_b32_e32 v12, 16, v2
	v_lshlrev_b32_e32 v14, 16, v3
	v_and_b32_e32 v17, 0xffff0000, v3
	v_lshlrev_b32_e32 v18, 16, v4
	v_and_b32_e32 v19, 0xffff0000, v4
	;; [unrolled: 2-line block ×3, first 2 shown]
	v_cmp_gt_i32_e32 vcc_lo, 32, v11
	v_and_b32_e32 v13, 0xffff0000, v2
	ds_load_b128 v[2:5], v6 offset:64
	s_cselect_b32 s3, -1, 0
	s_wait_dscnt 0x5
	v_lshlrev_b32_e32 v22, 16, v26
	v_and_b32_e32 v23, 0xffff0000, v26
	v_lshlrev_b32_e32 v24, 16, v27
	v_and_b32_e32 v25, 0xffff0000, v27
	;; [unrolled: 2-line block ×4, first 2 shown]
	s_wait_dscnt 0x4
	v_lshlrev_b32_e32 v30, 16, v34
	v_and_b32_e32 v31, 0xffff0000, v34
	v_lshlrev_b32_e32 v32, 16, v35
	v_and_b32_e32 v33, 0xffff0000, v35
	;; [unrolled: 2-line block ×4, first 2 shown]
	s_wait_dscnt 0x3
	v_lshlrev_b32_e32 v38, 16, v42
	v_and_b32_e32 v39, 0xffff0000, v42
	s_wait_dscnt 0x0
	v_lshlrev_b32_e32 v46, 16, v2
	v_and_b32_e32 v47, 0xffff0000, v2
	v_lshlrev_b32_e32 v48, 16, v3
	v_and_b32_e32 v49, 0xffff0000, v3
	;; [unrolled: 2-line block ×4, first 2 shown]
	ds_load_b128 v[2:5], v6 offset:112
	v_cndmask_b32_e32 v6, v9, v11, vcc_lo
	v_cmp_gt_i32_e32 vcc_lo, 32, v63
	v_lshlrev_b32_e32 v40, 16, v43
	v_and_b32_e32 v41, 0xffff0000, v43
	v_lshlrev_b32_e32 v42, 16, v44
	s_wait_alu 0xfffd
	v_dual_cndmask_b32 v66, v9, v63 :: v_dual_and_b32 v43, 0xffff0000, v44
	v_cmp_eq_u32_e32 vcc_lo, 0, v1
	v_lshlrev_b32_e32 v1, 2, v65
	v_lshlrev_b32_e32 v44, 16, v45
	v_and_b32_e32 v45, 0xffff0000, v45
	v_lshlrev_b32_e32 v54, 16, v58
	v_and_b32_e32 v55, 0xffff0000, v58
	;; [unrolled: 2-line block ×5, first 2 shown]
	s_wait_dscnt 0x0
	v_lshlrev_b32_e32 v75, 16, v3
	v_and_b32_e32 v76, 0xffff0000, v3
	v_lshl_or_b32 v3, v15, 5, v1
	v_add_co_u32 v1, s4, v82, v81
	v_lshlrev_b32_e32 v73, 16, v2
	v_and_b32_e32 v74, 0xffff0000, v2
	s_wait_alu 0xf1ff
	v_add_co_ci_u32_e64 v2, null, 0, v83, s4
	s_lshl_b64 s[4:5], s[56:57], 2
	v_add_nc_u32_e32 v82, 0x220, v3
	s_wait_alu 0xfffe
	s_add_nc_u64 s[4:5], s[58:59], s[4:5]
	v_lshlrev_b32_e32 v62, 16, v69
	s_wait_alu 0xfffe
	v_add_co_u32 v3, s4, s4, v7
	v_and_b32_e32 v63, 0xffff0000, v69
	v_dual_mov_b32 v11, 32 :: v_dual_lshlrev_b32 v64, 2, v6
	v_lshlrev_b32_e32 v66, 2, v66
	v_lshlrev_b32_e32 v67, 16, v70
	v_and_b32_e32 v68, 0xffff0000, v70
	v_lshlrev_b32_e32 v69, 16, v71
	v_and_b32_e32 v70, 0xffff0000, v71
	;; [unrolled: 2-line block ×5, first 2 shown]
	v_add3_u32 v81, s52, v8, v65
	s_wait_alu 0xf1ff
	v_add_co_ci_u32_e64 v4, null, s5, 0, s4
	v_mov_b32_e32 v65, 0xff7fffff
	v_mov_b32_e32 v83, v16
	s_sub_co_i32 s70, 1, s53
	s_branch .LBB330_10
.LBB330_9:                              ;   in Loop: Header=BB330_10 Depth=1
	s_wait_alu 0xfffe
	s_or_b32 exec_lo, exec_lo, s5
	v_add_nc_u32_e32 v83, 4, v83
	v_add_co_u32 v3, s5, v3, 16
	v_add_nc_u32_e32 v81, 32, v81
	v_add_nc_u32_e32 v82, 0x80, v82
	s_delay_alu instid0(VALU_DEP_4)
	v_cmp_le_i32_e64 s4, s55, v83
	s_wait_alu 0xf1ff
	v_add_co_ci_u32_e64 v4, null, 0, v4, s5
	s_or_b32 s68, s4, s68
	s_wait_alu 0xfffe
	s_and_not1_b32 exec_lo, exec_lo, s68
	s_cbranch_execz .LBB330_12
.LBB330_10:                             ; =>This Inner Loop Header: Depth=1
	global_load_b32 v5, v[3:4], off
	s_wait_loadcnt_dscnt 0x0
	v_mad_co_i64_i32 v[5:6], null, v5, s69, v[1:2]
	s_clause 0x1f
	global_load_u16 v89, v[5:6], off
	global_load_u16 v96, v[5:6], off offset:8
	global_load_u16 v98, v[5:6], off offset:128
	;; [unrolled: 1-line block ×31, first 2 shown]
	s_wait_loadcnt 0x1d
	v_and_b32_e32 v97, 0xff, v98
	v_lshrrev_b16 v98, 8, v98
	s_delay_alu instid0(VALU_DEP_1) | instskip(NEXT) | instid1(VALU_DEP_1)
	v_and_b32_e32 v98, 0xffff, v98
	v_cvt_f32_fp8_e32 v98, v98
	s_wait_loadcnt 0x1c
	v_and_b32_e32 v99, 0xff, v101
	v_lshrrev_b16 v101, 8, v101
	s_wait_kmcnt 0x0
	s_delay_alu instid0(VALU_DEP_2) | instskip(NEXT) | instid1(VALU_DEP_1)
	v_dual_mul_f32 v98, s51, v98 :: v_dual_and_b32 v99, 0xffff, v99
	v_or_b32_e32 v176, 0x400000, v98
	s_delay_alu instid0(VALU_DEP_2) | instskip(SKIP_4) | instid1(VALU_DEP_3)
	v_cvt_f32_fp8_e32 v99, v99
	s_wait_loadcnt 0x19
	v_and_b32_e32 v120, 0xff, v108
	v_lshrrev_b16 v108, 8, v108
	v_cmp_u_f32_e64 s41, v98, v98
	v_dual_mul_f32 v99, s51, v99 :: v_dual_and_b32 v120, 0xffff, v120
	s_delay_alu instid0(VALU_DEP_3) | instskip(NEXT) | instid1(VALU_DEP_2)
	v_and_b32_e32 v108, 0xffff, v108
	v_or_b32_e32 v177, 0x400000, v99
	s_delay_alu instid0(VALU_DEP_3) | instskip(NEXT) | instid1(VALU_DEP_3)
	v_cvt_f32_fp8_e32 v120, v120
	v_cvt_f32_fp8_e32 v108, v108
	s_wait_loadcnt 0xf
	v_and_b32_e32 v130, 0xff, v118
	v_and_b32_e32 v121, 0xff, v109
	v_lshrrev_b16 v109, 8, v109
	v_mul_f32_e32 v144, s51, v120
	s_delay_alu instid0(VALU_DEP_4) | instskip(SKIP_1) | instid1(VALU_DEP_4)
	v_dual_mul_f32 v145, s51, v108 :: v_dual_and_b32 v130, 0xffff, v130
	v_lshrrev_b16 v118, 8, v118
	v_and_b32_e32 v109, 0xffff, v109
	v_cmp_u_f32_e64 s42, v99, v99
	s_delay_alu instid0(VALU_DEP_4)
	v_cmp_u_f32_e64 s6, v145, v145
	v_cvt_f32_fp8_e32 v130, v130
	v_and_b32_e32 v101, 0xffff, v101
	v_cvt_f32_fp8_e32 v109, v109
	v_and_b32_e32 v128, 0xff, v116
	v_lshrrev_b16 v116, 8, v116
	v_mul_f32_e32 v162, s51, v130
	v_cvt_f32_fp8_e32 v101, v101
	v_and_b32_e32 v122, 0xff, v110
	v_lshrrev_b16 v110, 8, v110
	v_dual_mul_f32 v147, s51, v109 :: v_dual_and_b32 v128, 0xffff, v128
	s_delay_alu instid0(VALU_DEP_3) | instskip(SKIP_1) | instid1(VALU_DEP_3)
	v_dual_mul_f32 v139, s51, v101 :: v_dual_and_b32 v122, 0xffff, v122
	v_bfe_u32 v109, v98, 16, 1
	v_cmp_u_f32_e64 s8, v147, v147
	s_delay_alu instid0(VALU_DEP_4) | instskip(NEXT) | instid1(VALU_DEP_4)
	v_cvt_f32_fp8_e32 v128, v128
	v_or_b32_e32 v178, 0x400000, v139
	v_cvt_f32_fp8_e32 v122, v122
	v_and_b32_e32 v125, 0xff, v113
	v_lshrrev_b16 v113, 8, v113
	v_add3_u32 v186, v109, v98, 0x7fff
	v_cmp_u_f32_e64 s43, v139, v139
	s_delay_alu instid0(VALU_DEP_4) | instskip(NEXT) | instid1(VALU_DEP_4)
	v_dual_mul_f32 v148, s51, v122 :: v_dual_and_b32 v125, 0xffff, v125
	v_and_b32_e32 v113, 0xffff, v113
	v_cmp_u_f32_e64 s5, v144, v144
	v_cmp_u_f32_e64 s25, v162, v162
	s_delay_alu instid0(VALU_DEP_4)
	v_cmp_u_f32_e64 s9, v148, v148
	v_cvt_f32_fp8_e32 v125, v125
	v_cvt_f32_fp8_e32 v113, v113
	s_wait_loadcnt 0xc
	v_and_b32_e32 v133, 0xff, v103
	v_lshrrev_b16 v103, 8, v103
	v_mul_f32_e32 v159, s51, v128
	v_mul_f32_e32 v153, s51, v125
	v_mul_f32_e32 v154, s51, v113
	v_and_b32_e32 v133, 0xffff, v133
	v_and_b32_e32 v103, 0xffff, v103
	v_bfe_u32 v125, v148, 16, 1
	v_cmp_u_f32_e64 s15, v153, v153
	v_cmp_u_f32_e64 s16, v154, v154
	v_cvt_f32_fp8_e32 v133, v133
	v_cvt_f32_fp8_e32 v103, v103
	v_and_b32_e32 v110, 0xffff, v110
	v_add3_u32 v125, v125, v148, 0x7fff
	v_cmp_u_f32_e64 s21, v159, v159
	s_delay_alu instid0(VALU_DEP_4) | instskip(NEXT) | instid1(VALU_DEP_4)
	v_dual_mul_f32 v168, s51, v133 :: v_dual_mul_f32 v169, s51, v103
	v_cvt_f32_fp8_e32 v110, v110
	s_wait_loadcnt 0xb
	v_and_b32_e32 v134, 0xff, v100
	v_lshrrev_b16 v100, 8, v100
	v_bfe_u32 v133, v153, 16, 1
	v_cmp_u_f32_e64 s33, v169, v169
	v_mul_f32_e32 v149, s51, v110
	v_and_b32_e32 v134, 0xffff, v134
	v_and_b32_e32 v100, 0xffff, v100
	v_bfe_u32 v110, v99, 16, 1
	v_add3_u32 v133, v133, v153, 0x7fff
	v_or_b32_e32 v101, 0x400000, v149
	v_cvt_f32_fp8_e32 v134, v134
	v_and_b32_e32 v121, 0xffff, v121
	v_cvt_f32_fp8_e32 v100, v100
	v_add3_u32 v187, v110, v99, 0x7fff
	v_cmp_u_f32_e64 s10, v149, v149
	v_mul_f32_e32 v170, s51, v134
	v_cvt_f32_fp8_e32 v121, v121
	v_and_b32_e32 v127, 0xff, v115
	v_mul_f32_e32 v171, s51, v100
	v_bfe_u32 v134, v154, 16, 1
	v_cmp_u_f32_e64 s34, v170, v170
	s_delay_alu instid0(VALU_DEP_4) | instskip(SKIP_1) | instid1(VALU_DEP_4)
	v_dual_mul_f32 v146, s51, v121 :: v_dual_and_b32 v127, 0xffff, v127
	v_lshrrev_b16 v115, 8, v115
	v_add3_u32 v134, v134, v154, 0x7fff
	v_cmp_u_f32_e64 s4, v171, v171
	s_delay_alu instid0(VALU_DEP_4) | instskip(SKIP_4) | instid1(VALU_DEP_4)
	v_cmp_u_f32_e64 s7, v146, v146
	v_cvt_f32_fp8_e32 v127, v127
	v_and_b32_e32 v97, 0xffff, v97
	v_or_b32_e32 v100, 0x400000, v148
	v_cmp_u_f32_e64 s31, v168, v168
	v_mul_f32_e32 v156, s51, v127
	s_delay_alu instid0(VALU_DEP_4)
	v_cvt_f32_fp8_e32 v97, v97
	v_and_b32_e32 v95, 0xff, v96
	v_lshrrev_b16 v96, 8, v96
	v_bfe_u32 v127, v149, 16, 1
	v_or_b32_e32 v110, 0x400000, v156
	v_mul_f32_e32 v138, s51, v97
	v_or_b32_e32 v97, 0x400000, v147
	v_and_b32_e32 v96, 0xffff, v96
	v_add3_u32 v127, v127, v149, 0x7fff
	v_cmp_u_f32_e64 s19, v156, v156
	v_bfe_u32 v108, v138, 16, 1
	v_or_b32_e32 v175, 0x400000, v138
	v_cvt_f32_fp8_e32 v96, v96
	v_and_b32_e32 v6, 0xff, v89
	v_lshrrev_b16 v89, 8, v89
	v_add3_u32 v185, v108, v138, 0x7fff
	v_cmp_u_f32_e64 s40, v138, v138
	s_delay_alu instid0(VALU_DEP_4)
	v_dual_mul_f32 v137, s51, v96 :: v_dual_and_b32 v6, 0xffff, v6
	v_or_b32_e32 v96, 0x400000, v146
	v_and_b32_e32 v89, 0xffff, v89
	s_wait_alu 0xf1ff
	v_cndmask_b32_e64 v101, v127, v101, s10
	v_or_b32_e32 v174, 0x400000, v137
	v_cvt_f32_fp8_e32 v6, v6
	v_and_b32_e32 v102, 0xff, v104
	v_lshrrev_b16 v104, 8, v104
	v_cvt_f32_fp8_e32 v89, v89
	v_cmp_u_f32_e64 s39, v137, v137
	v_mul_f32_e32 v135, s51, v6
	v_and_b32_e32 v102, 0xffff, v102
	s_delay_alu instid0(VALU_DEP_4) | instskip(SKIP_1) | instid1(VALU_DEP_4)
	v_dual_mul_f32 v89, s51, v89 :: v_dual_and_b32 v104, 0xffff, v104
	v_or_b32_e32 v6, 0x400000, v144
	v_or_b32_e32 v172, 0x400000, v135
	s_delay_alu instid0(VALU_DEP_4)
	v_cvt_f32_fp8_e32 v102, v102
	v_and_b32_e32 v105, 0xff, v107
	v_lshrrev_b16 v107, 8, v107
	v_cvt_f32_fp8_e32 v104, v104
	v_and_b32_e32 v126, 0xff, v114
	v_mul_f32_e32 v140, s51, v102
	v_cmp_u_f32_e64 s37, v135, v135
	v_and_b32_e32 v107, 0xffff, v107
	s_delay_alu instid0(VALU_DEP_4) | instskip(SKIP_2) | instid1(VALU_DEP_4)
	v_dual_mul_f32 v141, s51, v104 :: v_dual_and_b32 v126, 0xffff, v126
	v_lshrrev_b16 v114, 8, v114
	v_or_b32_e32 v179, 0x400000, v140
	v_cvt_f32_fp8_e32 v107, v107
	v_and_b32_e32 v124, 0xff, v112
	v_lshrrev_b16 v112, 8, v112
	v_cvt_f32_fp8_e32 v126, v126
	v_and_b32_e32 v95, 0xffff, v95
	v_dual_mul_f32 v143, s51, v107 :: v_dual_and_b32 v114, 0xffff, v114
	s_delay_alu instid0(VALU_DEP_4) | instskip(NEXT) | instid1(VALU_DEP_4)
	v_and_b32_e32 v112, 0xffff, v112
	v_mul_f32_e32 v126, s51, v126
	s_delay_alu instid0(VALU_DEP_4) | instskip(NEXT) | instid1(VALU_DEP_4)
	v_cvt_f32_fp8_e32 v95, v95
	v_cvt_f32_fp8_e32 v114, v114
	v_bfe_u32 v107, v137, 16, 1
	v_cvt_f32_fp8_e32 v112, v112
	v_and_b32_e32 v131, 0xff, v119
	v_lshrrev_b16 v119, 8, v119
	v_bfe_u32 v98, v126, 16, 1
	v_mul_f32_e32 v136, s51, v95
	s_delay_alu instid0(VALU_DEP_4) | instskip(NEXT) | instid1(VALU_DEP_4)
	v_dual_mul_f32 v152, s51, v112 :: v_dual_and_b32 v131, 0xffff, v131
	v_and_b32_e32 v119, 0xffff, v119
	v_mul_f32_e32 v155, s51, v114
	s_delay_alu instid0(VALU_DEP_4)
	v_or_b32_e32 v173, 0x400000, v136
	v_cmp_u_f32_e64 s38, v136, v136
	v_cvt_f32_fp8_e32 v131, v131
	v_and_b32_e32 v105, 0xffff, v105
	v_cvt_f32_fp8_e32 v119, v119
	v_bfe_u32 v99, v155, 16, 1
	v_add3_u32 v184, v107, v137, 0x7fff
	v_mul_f32_e32 v164, s51, v131
	v_cvt_f32_fp8_e32 v105, v105
	v_and_b32_e32 v123, 0xff, v111
	v_mul_f32_e32 v165, s51, v119
	v_bfe_u32 v119, v146, 16, 1
	v_cmp_u_f32_e64 s27, v164, v164
	v_mul_f32_e32 v142, s51, v105
	v_bfe_u32 v105, v135, 16, 1
	v_and_b32_e32 v123, 0xffff, v123
	v_add3_u32 v122, v119, v146, 0x7fff
	v_or_b32_e32 v119, 0x400000, v164
	v_lshrrev_b16 v111, 8, v111
	v_add3_u32 v182, v105, v135, 0x7fff
	v_add3_u32 v135, v98, v126, 0x7fff
	v_bfe_u32 v98, v164, 16, 1
	v_cvt_f32_fp8_e32 v123, v123
	v_and_b32_e32 v132, 0xff, v106
	v_lshrrev_b16 v106, 8, v106
	v_and_b32_e32 v111, 0xffff, v111
	v_add3_u32 v146, v98, v164, 0x7fff
	s_wait_loadcnt 0x8
	v_dual_mul_f32 v123, s51, v123 :: v_dual_and_b32 v164, 0xff, v92
	v_and_b32_e32 v106, 0xffff, v106
	v_and_b32_e32 v132, 0xffff, v132
	v_cvt_f32_fp8_e32 v111, v111
	s_delay_alu instid0(VALU_DEP_4)
	v_and_b32_e32 v164, 0xffff, v164
	v_and_b32_e32 v129, 0xff, v117
	v_cvt_f32_fp8_e32 v106, v106
	v_cvt_f32_fp8_e32 v132, v132
	v_mul_f32_e32 v150, s51, v111
	v_cvt_f32_fp8_e32 v164, v164
	v_and_b32_e32 v118, 0xffff, v118
	v_mul_f32_e32 v167, s51, v106
	v_bfe_u32 v106, v136, 16, 1
	v_mul_f32_e32 v166, s51, v132
	v_bfe_u32 v130, v150, 16, 1
	v_cvt_f32_fp8_e32 v118, v118
	v_and_b32_e32 v124, 0xffff, v124
	v_add3_u32 v183, v106, v136, 0x7fff
	v_add3_u32 v136, v99, v155, 0x7fff
	v_bfe_u32 v99, v165, 16, 1
	v_mul_f32_e32 v163, s51, v118
	v_cvt_f32_fp8_e32 v124, v124
	v_bfe_u32 v132, v152, 16, 1
	v_or_b32_e32 v106, 0x400000, v153
	v_or_b32_e32 v107, 0x400000, v154
	;; [unrolled: 1-line block ×3, first 2 shown]
	v_mul_f32_e32 v151, s51, v124
	v_bfe_u32 v124, v147, 16, 1
	v_cmp_u_f32_e64 s18, v155, v155
	v_bfe_u32 v149, v167, 16, 1
	v_bfe_u32 v98, v169, 16, 1
	v_or_b32_e32 v153, 0x400000, v170
	v_add3_u32 v124, v124, v147, 0x7fff
	v_add3_u32 v147, v99, v165, 0x7fff
	v_bfe_u32 v99, v170, 16, 1
	s_wait_alu 0xf1ff
	v_cndmask_b32_e64 v155, v182, v172, s37
	v_or_b32_e32 v103, 0x400000, v150
	v_or_b32_e32 v105, 0x400000, v152
	v_add3_u32 v130, v130, v150, 0x7fff
	v_add3_u32 v154, v99, v170, 0x7fff
	v_cmp_u_f32_e64 s12, v150, v150
	v_add3_u32 v132, v132, v152, 0x7fff
	v_cmp_u_f32_e64 s14, v152, v152
	v_add3_u32 v150, v149, v167, 0x7fff
	v_or_b32_e32 v149, 0x400000, v169
	v_add3_u32 v152, v98, v169, 0x7fff
	v_cndmask_b32_e64 v153, v154, v153, s34
	v_and_b32_e32 v154, 0xffff0000, v155
	s_wait_loadcnt 0x4
	v_and_b32_e32 v169, 0xff, v88
	v_bfe_u32 v137, v156, 16, 1
	v_bfe_u32 v111, v139, 16, 1
	;; [unrolled: 1-line block ×4, first 2 shown]
	v_and_b32_e32 v169, 0xffff, v169
	v_add3_u32 v137, v137, v156, 0x7fff
	v_bfe_u32 v156, v89, 16, 1
	v_add3_u32 v188, v111, v139, 0x7fff
	v_bfe_u32 v139, v159, 16, 1
	v_cvt_f32_fp8_e32 v169, v169
	v_and_b32_e32 v115, 0xffff, v115
	v_add3_u32 v156, v156, v89, 0x7fff
	v_cmp_u_f32_e64 s37, v89, v89
	v_or_b32_e32 v102, 0x400000, v123
	v_add3_u32 v189, v112, v140, 0x7fff
	v_cvt_f32_fp8_e32 v115, v115
	v_or_b32_e32 v112, 0x400000, v159
	v_add3_u32 v128, v128, v123, 0x7fff
	v_cmp_u_f32_e64 s11, v123, v123
	v_add3_u32 v139, v139, v159, 0x7fff
	v_mul_f32_e32 v157, s51, v115
	v_or_b32_e32 v123, 0x400000, v165
	v_cmp_u_f32_e64 s28, v165, v165
	v_bfe_u32 v98, v171, 16, 1
	v_lshrrev_b16 v159, 8, v86
	v_bfe_u32 v138, v157, 16, 1
	v_or_b32_e32 v111, 0x400000, v157
	v_cmp_u_f32_e64 s20, v157, v157
	v_lshrrev_b16 v165, 8, v92
	v_cndmask_b32_e64 v92, v186, v176, s41
	v_add3_u32 v138, v138, v157, 0x7fff
	v_or_b32_e32 v157, 0x400000, v89
	v_cndmask_b32_e64 v89, v188, v178, s43
	s_wait_alu 0xf1ff
	v_cndmask_b32_e64 v103, v130, v103, s12
	v_add3_u32 v98, v98, v171, 0x7fff
	v_or_b32_e32 v99, 0x400000, v171
	v_cndmask_b32_e64 v156, v156, v157, s37
	v_cndmask_b32_e64 v157, v183, v173, s38
	;; [unrolled: 1-line block ×3, first 2 shown]
	v_and_b32_e32 v92, 0xffff0000, v92
	s_wait_loadcnt 0x0
	v_and_b32_e32 v173, 0xff, v5
	v_lshrrev_b16 v5, 8, v5
	v_and_b32_e32 v156, 0xffff0000, v156
	v_and_b32_e32 v171, 0xff, v87
	;; [unrolled: 1-line block ×8, first 2 shown]
	v_bfe_u32 v113, v141, 16, 1
	v_cvt_f32_fp8_e32 v159, v159
	v_and_b32_e32 v116, 0xffff, v116
	v_cvt_f32_fp8_e32 v171, v171
	v_and_b32_e32 v129, 0xffff, v129
	v_cvt_f32_fp8_e32 v176, v5
	v_mul_f32_e32 v5, s51, v159
	v_cvt_f32_fp8_e32 v116, v116
	v_bfe_u32 v114, v142, 16, 1
	v_cvt_f32_fp8_e32 v129, v129
	v_bfe_u32 v118, v145, 16, 1
	v_bfe_u32 v131, v151, 16, 1
	v_mul_f32_e32 v160, s51, v116
	v_cmp_u_f32_e64 s44, v140, v140
	v_mul_f32_e32 v129, s51, v129
	v_or_b32_e32 v180, 0x400000, v141
	v_or_b32_e32 v181, 0x400000, v142
	v_bfe_u32 v140, v160, 16, 1
	v_or_b32_e32 v95, 0x400000, v145
	v_or_b32_e32 v104, 0x400000, v151
	v_add3_u32 v190, v113, v141, 0x7fff
	v_cmp_u_f32_e64 s45, v141, v141
	v_add3_u32 v191, v114, v142, 0x7fff
	v_cmp_u_f32_e64 s36, v142, v142
	v_add3_u32 v121, v118, v145, 0x7fff
	v_bfe_u32 v142, v129, 16, 1
	v_add3_u32 v131, v131, v151, 0x7fff
	v_cmp_u_f32_e64 s13, v151, v151
	v_bfe_u32 v145, v163, 16, 1
	v_add3_u32 v141, v140, v160, 0x7fff
	v_bfe_u32 v140, v166, 16, 1
	v_bfe_u32 v151, v168, 16, 1
	v_or_b32_e32 v108, 0x400000, v126
	v_or_b32_e32 v114, 0x400000, v129
	v_cmp_u_f32_e64 s17, v126, v126
	v_or_b32_e32 v118, 0x400000, v163
	v_add3_u32 v142, v142, v129, 0x7fff
	v_cmp_u_f32_e64 s23, v129, v129
	v_or_b32_e32 v126, 0x400000, v166
	v_add3_u32 v145, v145, v163, 0x7fff
	v_cmp_u_f32_e64 s26, v163, v163
	v_or_b32_e32 v129, 0x400000, v167
	v_add3_u32 v148, v140, v166, 0x7fff
	v_cmp_u_f32_e64 s29, v166, v166
	v_or_b32_e32 v140, 0x400000, v168
	v_cmp_u_f32_e64 s30, v167, v167
	v_add3_u32 v151, v151, v168, 0x7fff
	v_lshrrev_b16 v163, 8, v93
	v_and_b32_e32 v166, 0xff, v91
	v_lshrrev_b16 v167, 8, v91
	v_and_b32_e32 v168, 0xff, v90
	v_lshrrev_b16 v170, 8, v88
	s_wait_alu 0xf1ff
	v_cndmask_b32_e64 v88, v189, v179, s44
	v_lshrrev_b16 v172, 8, v87
	v_cndmask_b32_e64 v87, v190, v180, s45
	v_and_b32_e32 v86, 0xff, v86
	v_cndmask_b32_e64 v95, v121, v95, s6
	v_lshrrev_b16 v117, 8, v117
	v_and_b32_e32 v166, 0xffff, v166
	v_and_b32_e32 v167, 0xffff, v167
	;; [unrolled: 1-line block ×12, first 2 shown]
	v_cvt_f32_fp8_e32 v163, v163
	v_cvt_f32_fp8_e32 v166, v166
	v_cvt_f32_fp8_e32 v165, v165
	v_cvt_f32_fp8_e32 v167, v167
	v_cvt_f32_fp8_e32 v168, v168
	v_cvt_f32_fp8_e32 v170, v170
	v_cvt_f32_fp8_e32 v172, v172
	v_cvt_f32_fp8_e32 v173, v173
	v_cvt_f32_fp8_e32 v86, v86
	v_and_b32_e32 v117, 0xffff, v117
	v_or_b32_e32 v113, 0x400000, v160
	v_cmp_u_f32_e64 s22, v160, v160
	v_dual_mul_f32 v159, s51, v163 :: v_dual_and_b32 v160, 0xff, v94
	v_dual_mul_f32 v163, s51, v164 :: v_dual_mul_f32 v164, s51, v165
	v_dual_mul_f32 v165, s51, v166 :: v_dual_mul_f32 v166, s51, v167
	;; [unrolled: 1-line block ×6, first 2 shown]
	v_cvt_f32_fp8_e32 v117, v117
	v_bfe_u32 v116, v143, 16, 1
	v_or_b32_e32 v115, 0x400000, v143
	v_cmp_u_f32_e64 s35, v143, v143
	v_cndmask_b32_e64 v149, v152, v149, s33
	v_mul_f32_e32 v161, s51, v117
	v_add3_u32 v158, v116, v143, 0x7fff
	v_bfe_u32 v117, v144, 16, 1
	v_and_b32_e32 v152, 0xffff0000, v157
	v_cndmask_b32_e64 v97, v124, v97, s8
	v_bfe_u32 v143, v161, 16, 1
	v_or_b32_e32 v116, 0x400000, v161
	v_cmp_u_f32_e64 s24, v161, v161
	s_wait_alu 0xf1ff
	v_cndmask_b32_e64 v115, v158, v115, s35
	v_add3_u32 v120, v117, v144, 0x7fff
	v_add3_u32 v143, v143, v161, 0x7fff
	v_lshrrev_b16 v161, 8, v94
	v_cndmask_b32_e64 v94, v184, v174, s39
	v_bfe_u32 v144, v162, 16, 1
	v_and_b32_e32 v115, 0xffff0000, v115
	v_or_b32_e32 v117, 0x400000, v162
	v_cndmask_b32_e64 v102, v128, v102, s11
	v_and_b32_e32 v94, 0xffff0000, v94
	v_add3_u32 v144, v144, v162, 0x7fff
	v_and_b32_e32 v162, 0xff, v93
	v_cndmask_b32_e64 v93, v185, v175, s40
	v_mul_f32_e32 v152, v14, v152
	v_mul_f32_e32 v94, v17, v94
	v_cndmask_b32_e64 v91, v187, v177, s42
	v_and_b32_e32 v158, 0xff, v85
	s_delay_alu instid0(VALU_DEP_4) | instskip(NEXT) | instid1(VALU_DEP_4)
	v_dual_fmac_f32 v152, v12, v154 :: v_dual_and_b32 v97, 0xffff0000, v97
	v_fmac_f32_e32 v94, v13, v156
	v_and_b32_e32 v102, 0xffff0000, v102
	v_and_b32_e32 v93, 0xffff0000, v93
	;; [unrolled: 1-line block ×3, first 2 shown]
	v_lshrrev_b16 v85, 8, v85
	v_fmac_f32_e32 v94, v19, v92
	v_and_b32_e32 v160, 0xffff, v160
	v_and_b32_e32 v158, 0xffff, v158
	v_cndmask_b32_e64 v100, v125, v100, s9
	v_fmac_f32_e32 v152, v18, v93
	v_fmac_f32_e32 v94, v21, v89
	v_and_b32_e32 v101, 0xffff0000, v101
	v_cndmask_b32_e64 v174, v191, v181, s36
	v_cvt_f32_fp8_e32 v160, v160
	v_cvt_f32_fp8_e32 v158, v158
	v_fmac_f32_e32 v94, v23, v87
	v_and_b32_e32 v100, 0xffff0000, v100
	s_delay_alu instid0(VALU_DEP_4) | instskip(SKIP_1) | instid1(VALU_DEP_4)
	v_dual_mul_f32 v160, s51, v160 :: v_dual_and_b32 v85, 0xffff, v85
	v_cndmask_b32_e64 v6, v120, v6, s5
	v_fmac_f32_e32 v94, v25, v115
	v_cndmask_b32_e64 v104, v131, v104, s13
	s_delay_alu instid0(VALU_DEP_4)
	v_cvt_f32_fp8_e32 v177, v85
	v_mul_f32_e32 v85, s51, v158
	v_and_b32_e32 v158, 0xffff0000, v174
	v_fmac_f32_e32 v94, v27, v95
	v_and_b32_e32 v175, 0xffff, v175
	v_bfe_u32 v120, v160, 16, 1
	v_and_b32_e32 v6, 0xffff0000, v6
	v_or_b32_e32 v122, 0x400000, v160
	v_dual_fmac_f32 v94, v29, v97 :: v_dual_and_b32 v91, 0xffff0000, v91
	v_cvt_f32_fp8_e32 v175, v175
	v_cndmask_b32_e64 v105, v132, v105, s14
	v_cndmask_b32_e64 v98, v98, v99, s4
	s_delay_alu instid0(VALU_DEP_4) | instskip(SKIP_3) | instid1(VALU_DEP_3)
	v_fmac_f32_e32 v94, v31, v101
	v_dual_fmac_f32 v152, v20, v91 :: v_dual_and_b32 v161, 0xffff, v161
	v_dual_mul_f32 v175, s51, v175 :: v_dual_and_b32 v162, 0xffff, v162
	v_add3_u32 v120, v120, v160, 0x7fff
	v_cvt_f32_fp8_e32 v161, v161
	s_delay_alu instid0(VALU_DEP_4) | instskip(SKIP_3) | instid1(VALU_DEP_4)
	v_fmac_f32_e32 v152, v22, v88
	v_cmp_u_f32_e64 s4, v160, v160
	v_cvt_f32_fp8_e32 v162, v162
	v_cndmask_b32_e64 v107, v134, v107, s16
	v_dual_mul_f32 v161, s51, v161 :: v_dual_fmac_f32 v152, v24, v158
	s_wait_alu 0xf1ff
	v_cndmask_b32_e64 v120, v120, v122, s4
	v_dual_mul_f32 v162, s51, v162 :: v_dual_and_b32 v101, 0xffff0000, v104
	s_delay_alu instid0(VALU_DEP_3) | instskip(SKIP_2) | instid1(VALU_DEP_4)
	v_bfe_u32 v121, v161, 16, 1
	v_fmac_f32_e32 v152, v26, v6
	v_or_b32_e32 v124, 0x400000, v161
	v_bfe_u32 v125, v162, 16, 1
	v_cmp_u_f32_e64 s4, v161, v161
	v_add3_u32 v121, v121, v161, 0x7fff
	v_fmac_f32_e32 v152, v28, v96
	v_and_b32_e32 v104, 0xffff0000, v105
	v_fmac_f32_e32 v94, v33, v103
	v_or_b32_e32 v127, 0x400000, v162
	v_bfe_u32 v131, v159, 16, 1
	v_cndmask_b32_e64 v106, v133, v106, s15
	v_cndmask_b32_e64 v109, v136, v109, s18
	;; [unrolled: 1-line block ×3, first 2 shown]
	v_add3_u32 v125, v125, v162, 0x7fff
	v_fmac_f32_e32 v152, v30, v100
	s_wait_alu 0xf1ff
	v_cndmask_b32_e64 v100, v121, v124, s4
	v_cmp_u_f32_e64 s4, v162, v162
	v_dual_fmac_f32 v94, v35, v104 :: v_dual_and_b32 v105, 0xffff0000, v107
	v_bfe_u32 v132, v163, 16, 1
	v_or_b32_e32 v133, 0x400000, v159
	v_add3_u32 v131, v131, v159, 0x7fff
	v_fmac_f32_e32 v152, v32, v102
	s_wait_alu 0xf1ff
	v_cndmask_b32_e64 v102, v125, v127, s4
	v_cmp_u_f32_e64 s4, v159, v159
	v_dual_fmac_f32 v94, v37, v105 :: v_dual_and_b32 v107, 0xffff0000, v111
	v_and_b32_e32 v103, 0xffff0000, v106
	v_and_b32_e32 v106, 0xffff0000, v109
	v_lshrrev_b16 v90, 8, v90
	v_bfe_u32 v134, v164, 16, 1
	v_cndmask_b32_e64 v108, v135, v108, s17
	v_or_b32_e32 v135, 0x400000, v163
	v_add3_u32 v132, v132, v163, 0x7fff
	v_fmac_f32_e32 v152, v34, v101
	s_wait_alu 0xf1ff
	v_cndmask_b32_e64 v101, v131, v133, s4
	v_cmp_u_f32_e64 s4, v163, v163
	v_fmac_f32_e32 v94, v39, v106
	v_and_b32_e32 v90, 0xffff, v90
	v_or_b32_e32 v136, 0x400000, v164
	v_cndmask_b32_e64 v110, v137, v110, s19
	v_bfe_u32 v137, v165, 16, 1
	v_cndmask_b32_e64 v113, v141, v113, s22
	v_add3_u32 v134, v134, v164, 0x7fff
	v_and_b32_e32 v104, 0xffff0000, v108
	v_fmac_f32_e32 v94, v41, v107
	v_fmac_f32_e32 v152, v36, v103
	s_wait_alu 0xf1ff
	v_cndmask_b32_e64 v103, v132, v135, s4
	v_cmp_u_f32_e64 s4, v164, v164
	v_cvt_f32_fp8_e32 v90, v90
	v_bfe_u32 v138, v166, 16, 1
	v_cndmask_b32_e64 v112, v139, v112, s21
	v_or_b32_e32 v139, 0x400000, v165
	v_add3_u32 v137, v137, v165, 0x7fff
	v_fmac_f32_e32 v152, v38, v104
	s_wait_alu 0xf1ff
	v_cndmask_b32_e64 v104, v134, v136, s4
	v_and_b32_e32 v108, 0xffff0000, v113
	v_and_b32_e32 v105, 0xffff0000, v110
	v_cmp_u_f32_e64 s4, v165, v165
	v_mul_f32_e32 v90, s51, v90
	v_bfe_u32 v141, v167, 16, 1
	v_cndmask_b32_e64 v114, v142, v114, s23
	v_or_b32_e32 v142, 0x400000, v166
	v_cndmask_b32_e64 v116, v143, v116, s24
	v_cndmask_b32_e64 v117, v144, v117, s25
	v_add3_u32 v138, v138, v166, 0x7fff
	v_and_b32_e32 v106, 0xffff0000, v112
	v_fmac_f32_e32 v94, v43, v108
	v_fmac_f32_e32 v152, v40, v105
	s_wait_alu 0xf1ff
	v_cndmask_b32_e64 v105, v137, v139, s4
	v_cmp_u_f32_e64 s4, v166, v166
	v_or_b32_e32 v143, 0x400000, v167
	v_bfe_u32 v144, v90, 16, 1
	v_cndmask_b32_e64 v118, v145, v118, s26
	v_add3_u32 v141, v141, v167, 0x7fff
	v_fmac_f32_e32 v152, v42, v106
	s_wait_alu 0xf1ff
	v_cndmask_b32_e64 v106, v138, v142, s4
	v_and_b32_e32 v108, 0xffff0000, v117
	v_and_b32_e32 v107, 0xffff0000, v114
	;; [unrolled: 1-line block ×3, first 2 shown]
	v_cmp_u_f32_e64 s4, v167, v167
	v_bfe_u32 v145, v168, 16, 1
	v_cndmask_b32_e64 v119, v146, v119, s27
	v_or_b32_e32 v146, 0x400000, v90
	v_cndmask_b32_e64 v123, v147, v123, s28
	v_add3_u32 v144, v144, v90, 0x7fff
	v_and_b32_e32 v110, 0xffff0000, v118
	v_fmac_f32_e32 v152, v44, v107
	v_fmac_f32_e32 v94, v45, v109
	s_wait_alu 0xf1ff
	v_cndmask_b32_e64 v107, v141, v143, s4
	v_cmp_u_f32_e64 s4, v90, v90
	v_bfe_u32 v147, v169, 16, 1
	v_cndmask_b32_e64 v126, v148, v126, s29
	v_or_b32_e32 v148, 0x400000, v168
	v_cndmask_b32_e64 v129, v150, v129, s30
	v_add3_u32 v145, v145, v168, 0x7fff
	v_dual_fmac_f32 v94, v47, v110 :: v_dual_and_b32 v109, 0xffff0000, v119
	v_dual_fmac_f32 v152, v46, v108 :: v_dual_and_b32 v111, 0xffff0000, v123
	s_wait_alu 0xf1ff
	v_cndmask_b32_e64 v90, v144, v146, s4
	v_cmp_u_f32_e64 s4, v168, v168
	v_or_b32_e32 v150, 0x400000, v169
	v_cndmask_b32_e64 v140, v151, v140, s31
	v_bfe_u32 v151, v170, 16, 1
	v_add3_u32 v147, v147, v169, 0x7fff
	v_and_b32_e32 v108, 0xffff0000, v126
	v_and_b32_e32 v110, 0xffff0000, v129
	v_fmac_f32_e32 v152, v48, v109
	v_dual_fmac_f32 v94, v49, v111 :: v_dual_and_b32 v111, 0xffff0000, v140
	s_wait_alu 0xf1ff
	v_cndmask_b32_e64 v109, v145, v148, s4
	v_cmp_u_f32_e64 s4, v169, v169
	v_bfe_u32 v157, v171, 16, 1
	v_or_b32_e32 v155, 0x400000, v170
	v_add3_u32 v151, v151, v170, 0x7fff
	v_and_b32_e32 v112, 0xffff0000, v149
	v_dual_fmac_f32 v152, v50, v108 :: v_dual_and_b32 v101, 0xffff0000, v101
	v_fmac_f32_e32 v94, v51, v110
	s_wait_alu 0xf1ff
	v_cndmask_b32_e64 v108, v147, v150, s4
	v_cmp_u_f32_e64 s4, v170, v170
	v_bfe_u32 v154, v172, 16, 1
	v_or_b32_e32 v156, 0x400000, v171
	v_add3_u32 v157, v157, v171, 0x7fff
	v_and_b32_e32 v98, 0xffff0000, v98
	v_fmac_f32_e32 v152, v52, v111
	v_fmac_f32_e32 v94, v53, v112
	s_wait_alu 0xf1ff
	v_cndmask_b32_e64 v111, v151, v155, s4
	v_cmp_u_f32_e64 s4, v171, v171
	v_lshrrev_b16 v84, 8, v84
	v_or_b32_e32 v93, 0x400000, v172
	v_bfe_u32 v92, v173, 16, 1
	v_add3_u32 v154, v154, v172, 0x7fff
	v_fmac_f32_e32 v94, v55, v98
	s_wait_alu 0xf1ff
	v_cndmask_b32_e64 v98, v157, v156, s4
	v_cmp_u_f32_e64 s4, v172, v172
	v_and_b32_e32 v84, 0xffff, v84
	v_bfe_u32 v91, v176, 16, 1
	v_or_b32_e32 v89, 0x400000, v173
	v_add3_u32 v92, v92, v173, 0x7fff
	s_wait_alu 0xf1ff
	v_cndmask_b32_e64 v93, v154, v93, s4
	v_cmp_u_f32_e64 s4, v173, v173
	v_cvt_f32_fp8_e32 v84, v84
	v_bfe_u32 v128, v5, 16, 1
	v_or_b32_e32 v87, 0x400000, v176
	v_add3_u32 v91, v91, v176, 0x7fff
	s_wait_alu 0xf1ff
	v_cndmask_b32_e64 v89, v92, v89, s4
	v_cmp_u_f32_e64 s4, v176, v176
	v_mul_f32_e32 v86, s51, v84
	v_or_b32_e32 v130, 0x400000, v5
	v_bfe_u32 v88, v175, 16, 1
	v_add3_u32 v128, v128, v5, 0x7fff
	s_wait_alu 0xf1ff
	v_cndmask_b32_e64 v87, v91, v87, s4
	v_cmp_u_f32_e64 s4, v5, v5
	v_or_b32_e32 v158, 0x400000, v175
	v_bfe_u32 v115, v86, 16, 1
	v_add3_u32 v88, v88, v175, 0x7fff
	v_bfe_u32 v6, v85, 16, 1
	s_wait_alu 0xf1ff
	v_cndmask_b32_e64 v5, v128, v130, s4
	v_cmp_u_f32_e64 s4, v175, v175
	v_or_b32_e32 v95, 0x400000, v86
	v_add3_u32 v115, v115, v86, 0x7fff
	v_and_b32_e32 v100, 0xffff0000, v100
	v_or_b32_e32 v96, 0x400000, v85
	s_wait_alu 0xf1ff
	v_cndmask_b32_e64 v88, v88, v158, s4
	v_cmp_u_f32_e64 s4, v86, v86
	v_add3_u32 v6, v6, v85, 0x7fff
	v_and_b32_e32 v110, 0xffff0000, v153
	v_and_b32_e32 v112, 0xffff0000, v120
	;; [unrolled: 1-line block ×3, first 2 shown]
	s_wait_alu 0xf1ff
	v_cndmask_b32_e64 v86, v115, v95, s4
	v_cmp_u_f32_e64 s4, v85, v85
	v_dual_fmac_f32 v94, v57, v100 :: v_dual_and_b32 v85, 0xffff0000, v87
	v_and_b32_e32 v102, 0xffff0000, v102
	v_and_b32_e32 v89, 0xffff0000, v89
	s_wait_alu 0xf1ff
	v_cndmask_b32_e64 v6, v6, v96, s4
	v_and_b32_e32 v100, 0xffff0000, v103
	v_dual_fmac_f32 v94, v59, v101 :: v_dual_and_b32 v101, 0xffff0000, v106
	v_dual_fmac_f32 v152, v54, v110 :: v_dual_and_b32 v103, 0xffff0000, v104
	v_and_b32_e32 v92, 0xffff0000, v105
	v_and_b32_e32 v87, 0xffff0000, v88
	s_delay_alu instid0(VALU_DEP_3) | instskip(NEXT) | instid1(VALU_DEP_4)
	v_dual_fmac_f32 v152, v56, v112 :: v_dual_and_b32 v91, 0xffff0000, v107
	v_fmac_f32_e32 v94, v61, v103
	v_and_b32_e32 v90, 0xffff0000, v90
	v_mul_f32_e32 v84, s51, v177
	v_and_b32_e32 v86, 0xffff0000, v86
	v_fmac_f32_e32 v152, v58, v102
	v_fmac_f32_e32 v94, v63, v101
	s_delay_alu instid0(VALU_DEP_4) | instskip(SKIP_1) | instid1(VALU_DEP_4)
	v_bfe_u32 v99, v84, 16, 1
	v_or_b32_e32 v97, 0x400000, v84
	v_fmac_f32_e32 v152, v60, v100
	v_and_b32_e32 v100, 0xffff0000, v108
	v_fmac_f32_e32 v94, v68, v90
	v_and_b32_e32 v90, 0xffff0000, v111
	v_add3_u32 v99, v99, v84, 0x7fff
	v_fmac_f32_e32 v152, v62, v92
	v_and_b32_e32 v92, 0xffff0000, v109
	v_fmac_f32_e32 v94, v70, v100
	v_cmp_u_f32_e64 s4, v84, v84
	s_delay_alu instid0(VALU_DEP_4) | instskip(SKIP_1) | instid1(VALU_DEP_2)
	v_dual_fmac_f32 v152, v67, v91 :: v_dual_and_b32 v91, 0xffff0000, v98
	s_wait_alu 0xf1ff
	v_cndmask_b32_e64 v84, v99, v97, s4
	s_delay_alu instid0(VALU_DEP_2) | instskip(SKIP_2) | instid1(VALU_DEP_3)
	v_fmac_f32_e32 v152, v69, v92
	v_and_b32_e32 v92, 0xffff0000, v93
	v_fmac_f32_e32 v94, v72, v91
	v_fmac_f32_e32 v152, v71, v90
	s_delay_alu instid0(VALU_DEP_2) | instskip(NEXT) | instid1(VALU_DEP_2)
	v_fmac_f32_e32 v94, v74, v89
	v_fmac_f32_e32 v152, v73, v92
	s_delay_alu instid0(VALU_DEP_2) | instskip(SKIP_1) | instid1(VALU_DEP_3)
	v_dual_fmac_f32 v94, v76, v5 :: v_dual_and_b32 v5, 0xffff0000, v6
	v_and_b32_e32 v6, 0xffff0000, v84
	v_fmac_f32_e32 v152, v75, v85
	s_delay_alu instid0(VALU_DEP_3) | instskip(NEXT) | instid1(VALU_DEP_2)
	v_fmac_f32_e32 v94, v78, v86
	v_fmac_f32_e32 v152, v77, v87
	s_delay_alu instid0(VALU_DEP_2) | instskip(NEXT) | instid1(VALU_DEP_2)
	v_fmac_f32_e32 v94, v80, v6
	v_fmac_f32_e32 v152, v79, v5
	s_delay_alu instid0(VALU_DEP_1)
	v_add_f32_e32 v5, v152, v94
	ds_bpermute_b32 v6, v64, v5
	s_wait_dscnt 0x0
	v_add_f32_e32 v5, v5, v6
	ds_bpermute_b32 v6, v66, v5
	s_and_saveexec_b32 s5, vcc_lo
	s_cbranch_execz .LBB330_9
; %bb.11:                               ;   in Loop: Header=BB330_10 Depth=1
	s_wait_dscnt 0x0
	v_dual_add_f32 v5, v5, v6 :: v_dual_add_nc_u32 v84, s70, v81
	v_cmp_gt_i32_e64 s4, s53, v81
	s_delay_alu instid0(VALU_DEP_2) | instskip(NEXT) | instid1(VALU_DEP_1)
	v_cvt_f32_i32_e32 v84, v84
	v_mul_f32_e32 v84, s66, v84
	s_delay_alu instid0(VALU_DEP_1) | instskip(SKIP_1) | instid1(VALU_DEP_2)
	v_cndmask_b32_e64 v6, 0, v84, s3
	v_max_num_f32_e32 v84, v65, v65
	v_fmac_f32_e32 v6, s61, v5
	s_delay_alu instid0(VALU_DEP_1) | instskip(SKIP_2) | instid1(VALU_DEP_2)
	v_max_num_f32_e32 v5, v84, v6
	s_wait_alu 0xf1ff
	v_cndmask_b32_e64 v6, 0, v6, s4
	v_cndmask_b32_e64 v65, v65, v5, s4
	ds_store_b32 v82, v6
	s_branch .LBB330_9
.LBB330_12:
	s_or_b32 exec_lo, exec_lo, s68
.LBB330_13:
	s_delay_alu instid0(SALU_CYCLE_1)
	s_or_b32 exec_lo, exec_lo, s67
	v_xor_b32_e32 v1, 16, v9
	v_xor_b32_e32 v3, 8, v9
	v_dual_max_num_f32 v5, v65, v65 :: v_dual_and_b32 v18, 31, v0
	s_clause 0x2
	s_load_b128 s[4:7], s[0:1], 0x0
	s_load_b64 s[8:9], s[0:1], 0x10
	s_load_b64 s[12:13], s[0:1], 0x28
	v_cmp_lt_i32_e32 vcc_lo, v1, v11
	s_wait_alu 0xfffd
	v_cndmask_b32_e32 v1, v9, v1, vcc_lo
	v_cmp_lt_i32_e32 vcc_lo, v3, v11
	s_wait_alu 0xfffd
	v_cndmask_b32_e32 v3, v9, v3, vcc_lo
	s_delay_alu instid0(VALU_DEP_1) | instskip(SKIP_4) | instid1(VALU_DEP_1)
	v_lshlrev_b32_e32 v4, 2, v3
	v_lshlrev_b32_e32 v2, 2, v1
	ds_bpermute_b32 v1, v2, v65
	s_wait_dscnt 0x0
	v_max_num_f32_e32 v1, v1, v1
	v_max_num_f32_e32 v1, v5, v1
	v_xor_b32_e32 v5, 4, v9
	ds_bpermute_b32 v3, v4, v1
	v_cmp_lt_i32_e32 vcc_lo, v5, v11
	s_wait_alu 0xfffd
	v_cndmask_b32_e32 v5, v9, v5, vcc_lo
	v_cmp_eq_u32_e32 vcc_lo, 0, v18
	s_delay_alu instid0(VALU_DEP_2) | instskip(SKIP_3) | instid1(VALU_DEP_1)
	v_lshlrev_b32_e32 v12, 2, v5
	v_lshlrev_b32_e32 v5, 2, v15
	s_wait_dscnt 0x0
	v_max_num_f32_e32 v3, v3, v3
	v_max_num_f32_e32 v1, v1, v3
	ds_bpermute_b32 v3, v12, v1
	s_and_saveexec_b32 s0, vcc_lo
	s_cbranch_execz .LBB330_15
; %bb.14:
	s_wait_dscnt 0x0
	v_max_num_f32_e32 v3, v3, v3
	v_max_num_f32_e32 v1, v1, v1
	s_delay_alu instid0(VALU_DEP_1)
	v_max_num_f32_e32 v1, v1, v3
	ds_store_b32 v5, v1 offset:512
.LBB330_15:
	s_or_b32 exec_lo, exec_lo, s0
	v_cmp_gt_u32_e64 s0, 4, v18
	v_dual_mov_b32 v1, 0xff7fffff :: v_dual_lshlrev_b32 v6, 2, v18
	s_wait_loadcnt_dscnt 0x0
	s_barrier_signal -1
	s_barrier_wait -1
	global_inv scope:SCOPE_SE
	s_and_saveexec_b32 s1, s0
; %bb.16:
	ds_load_b32 v1, v6 offset:512
; %bb.17:
	s_or_b32 exec_lo, exec_lo, s1
	v_xor_b32_e32 v3, 2, v9
	v_xor_b32_e32 v14, 1, v9
	s_delay_alu instid0(VALU_DEP_2) | instskip(NEXT) | instid1(VALU_DEP_1)
	v_cmp_lt_i32_e64 s1, v3, v11
	v_cndmask_b32_e64 v3, v9, v3, s1
	s_delay_alu instid0(VALU_DEP_3) | instskip(NEXT) | instid1(VALU_DEP_2)
	v_cmp_lt_i32_e64 s1, v14, v11
	v_lshlrev_b32_e32 v13, 2, v3
	s_wait_alu 0xf1ff
	s_delay_alu instid0(VALU_DEP_2)
	v_cndmask_b32_e64 v11, v9, v14, s1
	s_sub_co_i32 s1, s55, s65
	s_wait_alu 0xfffe
	s_lshl_b32 s1, s1, 3
	s_wait_dscnt 0x0
	ds_bpermute_b32 v3, v13, v1
	v_max_num_f32_e32 v1, v1, v1
	v_lshlrev_b32_e32 v11, 2, v11
	s_wait_alu 0xfffe
	s_add_co_i32 s1, s1, s52
	s_wait_alu 0xfffe
	s_min_i32 s1, s1, s53
	s_wait_alu 0xfffe
	s_sub_co_i32 s10, s1, s52
	s_wait_alu 0xfffe
	v_cmp_gt_i32_e64 s1, s10, v0
	s_wait_dscnt 0x0
	v_max_num_f32_e32 v3, v3, v3
	s_delay_alu instid0(VALU_DEP_1) | instskip(SKIP_3) | instid1(VALU_DEP_1)
	v_max_num_f32_e32 v1, v1, v3
	ds_bpermute_b32 v3, v11, v1
	s_wait_dscnt 0x0
	v_max_num_f32_e32 v3, v3, v3
	v_max_num_f32_e32 v1, v1, v3
	v_dual_mov_b32 v10, 0 :: v_dual_lshlrev_b32 v3, 2, v10
	ds_bpermute_b32 v1, v3, v1
	v_lshl_add_u32 v3, v0, 2, 0x220
	s_and_saveexec_b32 s11, s1
	s_cbranch_execz .LBB330_21
; %bb.18:
	v_lshl_add_u32 v14, v0, 2, 0x220
	v_dual_mov_b32 v10, 0 :: v_dual_mov_b32 v17, v0
	s_mov_b32 s14, 0
.LBB330_19:                             ; =>This Inner Loop Header: Depth=1
	ds_load_b32 v19, v14
	s_wait_dscnt 0x0
	v_sub_f32_e32 v19, v19, v1
	s_delay_alu instid0(VALU_DEP_1) | instskip(NEXT) | instid1(VALU_DEP_1)
	v_mul_f32_e32 v19, 0x3fb8aa3b, v19
	v_exp_f32_e32 v19, v19
	s_delay_alu instid0(TRANS32_DEP_1) | instskip(NEXT) | instid1(VALU_DEP_1)
	v_dual_add_f32 v10, v10, v19 :: v_dual_add_nc_u32 v17, 0x80, v17
	v_cmp_le_i32_e64 s3, s10, v17
	ds_store_b32 v14, v19
	v_add_nc_u32_e32 v14, 0x200, v14
	s_wait_alu 0xfffe
	s_or_b32 s14, s3, s14
	s_wait_alu 0xfffe
	s_and_not1_b32 exec_lo, exec_lo, s14
	s_cbranch_execnz .LBB330_19
; %bb.20:
	s_or_b32 exec_lo, exec_lo, s14
.LBB330_21:
	s_wait_alu 0xfffe
	s_or_b32 exec_lo, exec_lo, s11
	ds_bpermute_b32 v2, v2, v10
	s_wait_dscnt 0x0
	v_add_f32_e32 v2, v10, v2
	ds_bpermute_b32 v4, v4, v2
	s_wait_dscnt 0x0
	v_add_f32_e32 v2, v2, v4
	;; [unrolled: 3-line block ×5, first 2 shown]
	s_and_saveexec_b32 s3, vcc_lo
; %bb.22:
	ds_store_b32 v5, v2 offset:528
; %bb.23:
	s_wait_alu 0xfffe
	s_or_b32 exec_lo, exec_lo, s3
	s_wait_loadcnt_dscnt 0x0
	s_barrier_signal -1
	s_barrier_wait -1
	global_inv scope:SCOPE_SE
	s_and_saveexec_b32 s3, s0
; %bb.24:
	ds_load_b32 v2, v6 offset:528
; %bb.25:
	s_wait_alu 0xfffe
	s_or_b32 exec_lo, exec_lo, s3
	s_wait_dscnt 0x0
	ds_bpermute_b32 v4, v13, v2
	s_wait_dscnt 0x0
	v_dual_add_f32 v2, v2, v4 :: v_dual_lshlrev_b32 v5, 2, v9
	ds_bpermute_b32 v4, v11, v2
	s_wait_dscnt 0x0
	v_add_f32_e32 v2, v2, v4
	v_and_b32_e32 v4, 0xffffff80, v5
	ds_bpermute_b32 v2, v4, v2
	s_and_saveexec_b32 s0, s1
	s_cbranch_execz .LBB330_28
; %bb.26:
	s_wait_dscnt 0x0
	v_add_f32_e32 v4, 0x358637bd, v2
	s_mov_b32 s1, 0
	s_delay_alu instid0(VALU_DEP_1) | instskip(SKIP_1) | instid1(VALU_DEP_2)
	v_div_scale_f32 v5, null, v4, v4, 1.0
	v_div_scale_f32 v10, vcc_lo, 1.0, v4, 1.0
	v_rcp_f32_e32 v6, v5
	s_delay_alu instid0(TRANS32_DEP_1) | instskip(NEXT) | instid1(VALU_DEP_1)
	v_fma_f32 v9, -v5, v6, 1.0
	v_fmac_f32_e32 v6, v9, v6
	s_delay_alu instid0(VALU_DEP_1) | instskip(NEXT) | instid1(VALU_DEP_1)
	v_mul_f32_e32 v9, v10, v6
	v_fma_f32 v11, -v5, v9, v10
	s_delay_alu instid0(VALU_DEP_1) | instskip(NEXT) | instid1(VALU_DEP_1)
	v_fmac_f32_e32 v9, v11, v6
	v_fma_f32 v5, -v5, v9, v10
	s_wait_alu 0xfffd
	s_delay_alu instid0(VALU_DEP_1) | instskip(NEXT) | instid1(VALU_DEP_1)
	v_div_fmas_f32 v5, v5, v6, v9
	v_div_fixup_f32 v4, v5, v4, 1.0
	v_mov_b32_e32 v5, v0
.LBB330_27:                             ; =>This Inner Loop Header: Depth=1
	ds_load_b32 v6, v3
	s_wait_dscnt 0x0
	v_dual_mul_f32 v6, v4, v6 :: v_dual_add_nc_u32 v5, 0x80, v5
	s_delay_alu instid0(VALU_DEP_1)
	v_cmp_le_i32_e32 vcc_lo, s10, v5
	ds_store_b32 v3, v6
	v_add_nc_u32_e32 v3, 0x200, v3
	s_wait_alu 0xfffe
	s_or_b32 s1, vcc_lo, s1
	s_wait_alu 0xfffe
	s_and_not1_b32 exec_lo, exec_lo, s1
	s_cbranch_execnz .LBB330_27
.LBB330_28:
	s_wait_alu 0xfffe
	s_or_b32 exec_lo, exec_lo, s0
	s_wait_kmcnt 0x0
	s_mul_i32 s0, s48, s63
	s_wait_loadcnt_dscnt 0x0
	s_wait_alu 0xfffe
	s_mul_i32 s10, s0, s64
	s_mov_b32 s0, exec_lo
	s_barrier_signal -1
	s_barrier_wait -1
	global_inv scope:SCOPE_SE
	v_cmpx_eq_u32_e32 0, v0
	s_cbranch_execz .LBB330_30
; %bb.29:
	s_wait_alu 0xfffe
	s_ashr_i32 s11, s10, 31
	s_mul_i32 s14, s48, ttmp9
	s_lshl_b32 s1, s62, 2
	s_wait_alu 0xfffe
	s_lshl_b64 s[16:17], s[10:11], 2
	s_ashr_i32 s15, s14, 31
	v_mov_b32_e32 v3, s1
	s_wait_alu 0xfffe
	s_add_nc_u64 s[6:7], s[6:7], s[16:17]
	s_lshl_b64 s[14:15], s[14:15], 2
	s_add_nc_u64 s[4:5], s[4:5], s[16:17]
	s_wait_alu 0xfffe
	s_add_nc_u64 s[6:7], s[6:7], s[14:15]
	s_add_nc_u64 s[4:5], s[4:5], s[14:15]
	s_clause 0x1
	global_store_b32 v3, v1, s[6:7]
	global_store_b32 v3, v2, s[4:5]
.LBB330_30:
	s_wait_alu 0xfffe
	s_or_b32 exec_lo, exec_lo, s0
	v_dual_mov_b32 v25, 0 :: v_dual_mov_b32 v24, 0
	v_dual_mov_b32 v23, 0 :: v_dual_mov_b32 v22, 0
	;; [unrolled: 1-line block ×3, first 2 shown]
	v_mov_b32_e32 v19, 0
	v_mov_b32_e32 v17, 0
	s_and_saveexec_b32 s1, s2
	s_cbranch_execz .LBB330_50
; %bb.31:
	s_load_b32 s2, s[46:47], 0x0
	v_dual_mov_b32 v20, 0 :: v_dual_lshlrev_b32 v1, 3, v18
	s_ashr_i32 s51, s50, 31
	v_dual_mov_b32 v17, 0 :: v_dual_mov_b32 v22, 0
	s_wait_alu 0xfffe
	s_add_nc_u64 s[4:5], s[12:13], s[50:51]
	v_add3_u32 v26, s52, v8, 7
	s_wait_alu 0xfffe
	v_add_co_u32 v9, s0, s4, v1
	s_wait_alu 0xf1ff
	v_add_co_ci_u32_e64 v10, null, s5, 0, s0
	s_lshl_b64 s[4:5], s[56:57], 2
	v_lshl_add_u32 v27, v15, 5, 0x220
	s_wait_alu 0xfffe
	s_add_nc_u64 s[4:5], s[58:59], s[4:5]
	v_dual_mov_b32 v19, 0 :: v_dual_mov_b32 v24, 0
	s_wait_alu 0xfffe
	v_add_co_u32 v11, s0, s4, v7
	s_wait_alu 0xf1ff
	v_add_co_ci_u32_e64 v12, null, s5, 0, s0
	v_mov_b32_e32 v21, 0
	v_mov_b32_e32 v23, 0
	;; [unrolled: 1-line block ×3, first 2 shown]
	s_mov_b32 s3, s49
	s_add_co_i32 s60, s60, -1
	s_mov_b32 s4, 0
	s_branch .LBB330_33
.LBB330_32:                             ;   in Loop: Header=BB330_33 Depth=1
	s_wait_alu 0xfffe
	s_or_b32 exec_lo, exec_lo, s0
	s_wait_dscnt 0x1
	v_bfe_u32 v52, v5, 16, 1
	v_bfe_u32 v53, v6, 16, 1
	v_or_b32_e32 v54, 0x400000, v5
	v_cmp_u_f32_e32 vcc_lo, v5, v5
	v_or_b32_e32 v55, 0x400000, v6
	v_add3_u32 v52, v52, v5, 0x7fff
	v_bfe_u32 v56, v7, 16, 1
	v_add3_u32 v53, v53, v6, 0x7fff
	v_bfe_u32 v57, v8, 16, 1
	v_lshlrev_b32_e32 v85, 16, v85
	s_wait_alu 0xfffd
	v_cndmask_b32_e32 v5, v52, v54, vcc_lo
	v_cmp_u_f32_e32 vcc_lo, v6, v6
	v_add3_u32 v52, v56, v7, 0x7fff
	s_wait_dscnt 0x0
	v_bfe_u32 v54, v1, 16, 1
	v_or_b32_e32 v56, 0x400000, v8
	v_lshlrev_b32_e32 v84, 16, v84
	s_wait_alu 0xfffd
	v_cndmask_b32_e32 v6, v53, v55, vcc_lo
	v_or_b32_e32 v53, 0x400000, v7
	v_cmp_u_f32_e32 vcc_lo, v7, v7
	v_add3_u32 v55, v57, v8, 0x7fff
	v_lshlrev_b32_e32 v77, 16, v77
	v_lshlrev_b32_e32 v64, 16, v64
	;; [unrolled: 1-line block ×3, first 2 shown]
	s_wait_alu 0xfffd
	v_cndmask_b32_e32 v7, v52, v53, vcc_lo
	v_cmp_u_f32_e32 vcc_lo, v8, v8
	v_add3_u32 v52, v54, v1, 0x7fff
	v_or_b32_e32 v53, 0x400000, v1
	v_bfe_u32 v54, v2, 16, 1
	v_lshlrev_b32_e32 v30, 16, v30
	s_wait_alu 0xfffd
	v_cndmask_b32_e32 v8, v55, v56, vcc_lo
	v_cmp_u_f32_e32 vcc_lo, v1, v1
	v_or_b32_e32 v55, 0x400000, v2
	v_add3_u32 v54, v54, v2, 0x7fff
	v_or_b32_e32 v56, 0x400000, v3
	s_wait_alu 0xfffd
	v_dual_cndmask_b32 v52, v52, v53 :: v_dual_and_b32 v1, 0xffff0000, v6
	v_bfe_u32 v53, v3, 16, 1
	v_cmp_u_f32_e32 vcc_lo, v2, v2
	v_lshlrev_b32_e32 v34, 16, v34
	v_lshlrev_b32_e32 v28, 16, v28
	;; [unrolled: 1-line block ×3, first 2 shown]
	v_add3_u32 v53, v53, v3, 0x7fff
	s_wait_alu 0xfffd
	v_cndmask_b32_e32 v2, v54, v55, vcc_lo
	v_bfe_u32 v54, v4, 16, 1
	v_cmp_u_f32_e32 vcc_lo, v3, v3
	v_lshlrev_b32_e32 v55, 16, v95
	v_add_nc_u32_e32 v16, 4, v16
	v_add_co_u32 v11, s0, v11, 16
	s_wait_alu 0xfffd
	v_cndmask_b32_e32 v53, v53, v56, vcc_lo
	v_add3_u32 v54, v54, v4, 0x7fff
	v_or_b32_e32 v56, 0x400000, v4
	v_cmp_u_f32_e32 vcc_lo, v4, v4
	v_and_b32_e32 v5, 0xffff0000, v5
	v_add_nc_u32_e32 v26, 32, v26
	s_wait_alu 0xf1ff
	v_add_co_ci_u32_e64 v12, null, 0, v12, s0
	s_wait_alu 0xfffd
	v_cndmask_b32_e32 v4, v54, v56, vcc_lo
	v_dual_mul_f32 v55, v5, v55 :: v_dual_lshlrev_b32 v6, 16, v96
	v_mul_f32_e32 v34, v5, v34
	v_and_b32_e32 v2, 0xffff0000, v2
	s_delay_alu instid0(VALU_DEP_4) | instskip(NEXT) | instid1(VALU_DEP_4)
	v_and_b32_e32 v4, 0xffff0000, v4
	v_mul_f32_e32 v6, v1, v6
	v_bfe_u32 v56, v55, 16, 1
	s_delay_alu instid0(VALU_DEP_4) | instskip(SKIP_1) | instid1(VALU_DEP_4)
	v_dual_mul_f32 v84, v2, v84 :: v_dual_lshlrev_b32 v81, 16, v81
	v_lshlrev_b32_e32 v83, 16, v83
	v_bfe_u32 v3, v6, 16, 1
	s_delay_alu instid0(VALU_DEP_4)
	v_add3_u32 v56, v56, v55, 0x7fff
	v_lshlrev_b32_e32 v73, 16, v73
	v_lshlrev_b32_e32 v71, 16, v71
	;; [unrolled: 1-line block ×3, first 2 shown]
	v_add3_u32 v57, v3, v6, 0x7fff
	v_and_b32_e32 v3, 0xffff0000, v8
	v_or_b32_e32 v58, 0x400000, v6
	v_cmp_u_f32_e32 vcc_lo, v6, v6
	v_and_b32_e32 v6, 0xffff0000, v7
	v_lshlrev_b32_e32 v7, 16, v93
	v_lshlrev_b32_e32 v8, 16, v94
	v_lshlrev_b32_e32 v32, 16, v32
	s_wait_alu 0xfffd
	v_cndmask_b32_e32 v54, v57, v58, vcc_lo
	v_or_b32_e32 v58, 0x400000, v55
	v_mul_f32_e32 v7, v6, v7
	v_mul_f32_e32 v57, v3, v8
	v_cmp_u_f32_e32 vcc_lo, v55, v55
	v_lshlrev_b32_e32 v8, 16, v92
	v_lshlrev_b32_e32 v63, 16, v63
	v_lshlrev_b32_e32 v61, 16, v61
	v_bfe_u32 v92, v57, 16, 1
	s_wait_alu 0xfffd
	v_cndmask_b32_e32 v55, v56, v58, vcc_lo
	v_or_b32_e32 v58, 0x400000, v57
	v_cmp_u_f32_e32 vcc_lo, v57, v57
	v_mul_f32_e32 v93, v2, v8
	v_add3_u32 v56, v92, v57, 0x7fff
	v_bfe_u32 v92, v7, 16, 1
	v_and_b32_e32 v55, 0xffff0000, v55
	v_dual_mul_f32 v85, v6, v85 :: v_dual_and_b32 v54, 0xffff0000, v54
	s_wait_alu 0xfffd
	v_cndmask_b32_e32 v56, v56, v58, vcc_lo
	v_add3_u32 v57, v92, v7, 0x7fff
	v_or_b32_e32 v58, 0x400000, v7
	v_cmp_u_f32_e32 vcc_lo, v7, v7
	v_and_b32_e32 v8, 0xffff0000, v52
	v_and_b32_e32 v7, 0xffff0000, v53
	v_lshlrev_b32_e32 v53, 16, v89
	s_wait_alu 0xfffd
	v_dual_cndmask_b32 v57, v57, v58 :: v_dual_lshlrev_b32 v52, 16, v91
	v_bfe_u32 v94, v93, 16, 1
	s_delay_alu instid0(VALU_DEP_3) | instskip(NEXT) | instid1(VALU_DEP_3)
	v_dual_mul_f32 v53, v7, v53 :: v_dual_and_b32 v56, 0xffff0000, v56
	v_dual_mul_f32 v52, v8, v52 :: v_dual_and_b32 v57, 0xffff0000, v57
	v_add_f32_e32 v54, v55, v54
	v_lshlrev_b32_e32 v90, 16, v90
	v_add3_u32 v91, v94, v93, 0x7fff
	v_or_b32_e32 v92, 0x400000, v93
	v_bfe_u32 v94, v52, 16, 1
	v_cmp_u_f32_e32 vcc_lo, v93, v93
	v_add_f32_e32 v55, v57, v56
	v_lshlrev_b32_e32 v56, 16, v88
	v_mul_f32_e32 v58, v4, v90
	s_wait_alu 0xfffd
	v_dual_mul_f32 v83, v8, v83 :: v_dual_cndmask_b32 v90, v91, v92
	v_add3_u32 v91, v94, v52, 0x7fff
	v_or_b32_e32 v92, 0x400000, v52
	v_cmp_u_f32_e32 vcc_lo, v52, v52
	v_dual_add_f32 v54, v55, v54 :: v_dual_mul_f32 v55, v1, v56
	v_bfe_u32 v93, v58, 16, 1
	v_lshlrev_b32_e32 v80, 16, v80
	s_wait_alu 0xfffd
	v_cndmask_b32_e32 v52, v91, v92, vcc_lo
	v_or_b32_e32 v91, 0x400000, v58
	v_cmp_u_f32_e32 vcc_lo, v58, v58
	v_add3_u32 v89, v93, v58, 0x7fff
	v_dual_mul_f32 v81, v7, v81 :: v_dual_lshlrev_b32 v56, 16, v87
	v_and_b32_e32 v52, 0xffff0000, v52
	v_mul_f32_e32 v32, v6, v32
	s_wait_alu 0xfffd
	v_cndmask_b32_e32 v58, v89, v91, vcc_lo
	v_bfe_u32 v89, v53, 16, 1
	v_cmp_u_f32_e32 vcc_lo, v53, v53
	v_mul_f32_e32 v30, v8, v30
	v_mul_f32_e32 v28, v7, v28
	v_and_b32_e32 v58, 0xffff0000, v58
	v_add3_u32 v88, v89, v53, 0x7fff
	v_or_b32_e32 v89, 0x400000, v53
	v_mul_f32_e32 v61, v8, v61
	v_lshlrev_b32_e32 v59, 16, v59
	v_dual_mul_f32 v51, v1, v51 :: v_dual_lshlrev_b32 v50, 16, v50
	s_wait_alu 0xfffd
	v_cndmask_b32_e32 v53, v88, v89, vcc_lo
	v_or_b32_e32 v88, 0x400000, v83
	v_cmp_u_f32_e32 vcc_lo, v55, v55
	v_mul_f32_e32 v71, v4, v71
	v_mul_f32_e32 v59, v7, v59
	v_and_b32_e32 v53, 0xffff0000, v53
	v_and_b32_e32 v57, 0xffff0000, v90
	v_bfe_u32 v90, v81, 16, 1
	v_lshlrev_b32_e32 v47, 16, v47
	s_delay_alu instid0(VALU_DEP_4) | instskip(NEXT) | instid1(VALU_DEP_4)
	v_dual_add_f32 v53, v53, v58 :: v_dual_lshlrev_b32 v48, 16, v48
	v_add_f32_e32 v52, v52, v57
	v_bfe_u32 v57, v55, 16, 1
	v_lshlrev_b32_e32 v58, 16, v79
	v_dual_mul_f32 v47, v2, v47 :: v_dual_lshlrev_b32 v46, 16, v46
	s_delay_alu instid0(VALU_DEP_4)
	v_add_f32_e32 v52, v52, v54
	v_mul_f32_e32 v54, v5, v56
	v_lshlrev_b32_e32 v56, 16, v86
	v_add3_u32 v57, v57, v55, 0x7fff
	v_or_b32_e32 v86, 0x400000, v55
	v_lshlrev_b32_e32 v45, 16, v45
	v_bfe_u32 v87, v54, 16, 1
	v_mul_f32_e32 v56, v3, v56
	s_wait_alu 0xfffd
	v_dual_mul_f32 v48, v6, v48 :: v_dual_cndmask_b32 v55, v57, v86
	v_or_b32_e32 v86, 0x400000, v54
	v_add3_u32 v57, v87, v54, 0x7fff
	v_bfe_u32 v87, v56, 16, 1
	v_cmp_u_f32_e32 vcc_lo, v54, v54
	v_dual_add_f32 v52, v53, v52 :: v_dual_and_b32 v55, 0xffff0000, v55
	v_mul_f32_e32 v53, v5, v58
	s_wait_alu 0xfffd
	v_dual_mul_f32 v45, v4, v45 :: v_dual_cndmask_b32 v54, v57, v86
	v_add3_u32 v57, v87, v56, 0x7fff
	v_or_b32_e32 v86, 0x400000, v56
	v_bfe_u32 v87, v85, 16, 1
	v_cmp_u_f32_e32 vcc_lo, v56, v56
	v_dual_add_f32 v19, v19, v52 :: v_dual_and_b32 v54, 0xffff0000, v54
	v_bfe_u32 v52, v53, 16, 1
	v_or_b32_e32 v58, 0x400000, v53
	s_wait_alu 0xfffd
	v_cndmask_b32_e32 v56, v57, v86, vcc_lo
	v_add3_u32 v57, v87, v85, 0x7fff
	v_or_b32_e32 v86, 0x400000, v85
	v_bfe_u32 v87, v84, 16, 1
	v_cmp_u_f32_e32 vcc_lo, v85, v85
	v_bfe_u32 v85, v83, 16, 1
	v_and_b32_e32 v56, 0xffff0000, v56
	v_add_f32_e32 v54, v54, v55
	v_add3_u32 v52, v52, v53, 0x7fff
	s_wait_alu 0xfffd
	v_cndmask_b32_e32 v57, v57, v86, vcc_lo
	v_add3_u32 v86, v87, v84, 0x7fff
	v_or_b32_e32 v87, 0x400000, v84
	v_cmp_u_f32_e32 vcc_lo, v84, v84
	v_add3_u32 v85, v85, v83, 0x7fff
	v_and_b32_e32 v57, 0xffff0000, v57
	v_lshlrev_b32_e32 v82, 16, v82
	v_lshlrev_b32_e32 v43, 16, v43
	s_wait_alu 0xfffd
	v_cndmask_b32_e32 v84, v86, v87, vcc_lo
	v_cmp_u_f32_e32 vcc_lo, v83, v83
	v_dual_add_f32 v55, v57, v56 :: v_dual_mul_f32 v82, v4, v82
	v_add3_u32 v86, v90, v81, 0x7fff
	s_delay_alu instid0(VALU_DEP_4) | instskip(SKIP_1) | instid1(VALU_DEP_3)
	v_and_b32_e32 v57, 0xffff0000, v84
	s_wait_alu 0xfffd
	v_dual_cndmask_b32 v83, v85, v88 :: v_dual_add_f32 v54, v55, v54
	v_bfe_u32 v89, v82, 16, 1
	v_or_b32_e32 v87, 0x400000, v81
	v_cmp_u_f32_e32 vcc_lo, v81, v81
	s_delay_alu instid0(VALU_DEP_4)
	v_and_b32_e32 v56, 0xffff0000, v83
	v_or_b32_e32 v88, 0x400000, v82
	v_add3_u32 v85, v89, v82, 0x7fff
	v_mul_f32_e32 v43, v1, v43
	s_wait_alu 0xfffd
	v_cndmask_b32_e32 v81, v86, v87, vcc_lo
	v_add_f32_e32 v55, v56, v57
	v_cmp_u_f32_e32 vcc_lo, v82, v82
	v_lshlrev_b32_e32 v41, 16, v41
	v_lshlrev_b32_e32 v35, 16, v35
	v_and_b32_e32 v56, 0xffff0000, v81
	v_add_f32_e32 v54, v55, v54
	s_wait_alu 0xfffd
	v_dual_cndmask_b32 v82, v85, v88 :: v_dual_mul_f32 v41, v3, v41
	v_dual_mul_f32 v35, v1, v35 :: v_dual_lshlrev_b32 v40, 16, v40
	v_lshlrev_b32_e32 v33, 16, v33
	s_delay_alu instid0(VALU_DEP_3) | instskip(SKIP_1) | instid1(VALU_DEP_4)
	v_and_b32_e32 v57, 0xffff0000, v82
	v_lshlrev_b32_e32 v38, 16, v38
	v_dual_mul_f32 v40, v6, v40 :: v_dual_lshlrev_b32 v39, 16, v39
	s_delay_alu instid0(VALU_DEP_4) | instskip(NEXT) | instid1(VALU_DEP_4)
	v_mul_f32_e32 v33, v3, v33
	v_dual_add_f32 v55, v56, v57 :: v_dual_mul_f32 v56, v1, v80
	v_lshlrev_b32_e32 v57, 16, v78
	v_bfe_u32 v78, v71, 16, 1
	v_mul_f32_e32 v38, v8, v38
	s_delay_alu instid0(VALU_DEP_4) | instskip(SKIP_3) | instid1(VALU_DEP_4)
	v_add_f32_e32 v54, v55, v54
	v_bfe_u32 v55, v56, 16, 1
	v_mul_f32_e32 v57, v3, v57
	v_cmp_u_f32_e32 vcc_lo, v56, v56
	v_dual_add_f32 v20, v20, v54 :: v_dual_lshlrev_b32 v37, 16, v37
	s_delay_alu instid0(VALU_DEP_4) | instskip(SKIP_2) | instid1(VALU_DEP_4)
	v_add3_u32 v54, v55, v56, 0x7fff
	v_or_b32_e32 v55, 0x400000, v56
	v_lshlrev_b32_e32 v56, 16, v75
	v_dual_mul_f32 v37, v4, v37 :: v_dual_lshlrev_b32 v42, 16, v42
	v_mul_f32_e32 v39, v2, v39
	s_wait_alu 0xfffd
	v_cndmask_b32_e32 v54, v54, v55, vcc_lo
	v_bfe_u32 v55, v57, 16, 1
	v_cmp_u_f32_e32 vcc_lo, v53, v53
	v_mul_f32_e32 v53, v6, v77
	v_lshlrev_b32_e32 v31, 16, v31
	v_lshlrev_b32_e32 v36, 16, v36
	v_add3_u32 v55, v55, v57, 0x7fff
	s_wait_alu 0xfffd
	v_cndmask_b32_e32 v52, v52, v58, vcc_lo
	v_or_b32_e32 v58, 0x400000, v57
	v_bfe_u32 v75, v53, 16, 1
	v_cmp_u_f32_e32 vcc_lo, v57, v57
	v_mul_f32_e32 v57, v8, v73
	v_or_b32_e32 v73, 0x400000, v53
	v_dual_mul_f32 v31, v2, v31 :: v_dual_mul_f32 v36, v7, v36
	v_lshlrev_b32_e32 v29, 16, v29
	s_wait_alu 0xfffd
	v_cndmask_b32_e32 v55, v55, v58, vcc_lo
	v_add3_u32 v58, v75, v53, 0x7fff
	v_cmp_u_f32_e32 vcc_lo, v53, v53
	v_bfe_u32 v77, v57, 16, 1
	v_mul_f32_e32 v29, v4, v29
	v_and_b32_e32 v55, 0xffff0000, v55
	s_wait_alu 0xfffd
	v_dual_cndmask_b32 v53, v58, v73 :: v_dual_and_b32 v52, 0xffff0000, v52
	v_lshlrev_b32_e32 v13, 16, v13
	v_add_nc_u32_e32 v27, 0x80, v27
	s_delay_alu instid0(VALU_DEP_3) | instskip(NEXT) | instid1(VALU_DEP_1)
	v_dual_mul_f32 v56, v2, v56 :: v_dual_and_b32 v53, 0xffff0000, v53
	v_add_f32_e32 v53, v53, v55
	s_delay_alu instid0(VALU_DEP_2) | instskip(SKIP_2) | instid1(VALU_DEP_3)
	v_bfe_u32 v75, v56, 16, 1
	v_or_b32_e32 v73, 0x400000, v56
	v_cmp_u_f32_e32 vcc_lo, v56, v56
	v_add3_u32 v58, v75, v56, 0x7fff
	v_add3_u32 v75, v77, v57, 0x7fff
	v_or_b32_e32 v77, 0x400000, v57
	s_wait_alu 0xfffd
	s_delay_alu instid0(VALU_DEP_3)
	v_cndmask_b32_e32 v56, v58, v73, vcc_lo
	v_mul_f32_e32 v58, v7, v69
	v_cmp_u_f32_e32 vcc_lo, v57, v57
	v_add3_u32 v69, v78, v71, 0x7fff
	v_or_b32_e32 v73, 0x400000, v71
	v_and_b32_e32 v55, 0xffff0000, v56
	s_wait_alu 0xfffd
	v_dual_cndmask_b32 v57, v75, v77 :: v_dual_lshlrev_b32 v56, 16, v66
	v_bfe_u32 v75, v58, 16, 1
	v_and_b32_e32 v54, 0xffff0000, v54
	v_cmp_u_f32_e32 vcc_lo, v71, v71
	s_delay_alu instid0(VALU_DEP_3) | instskip(SKIP_1) | instid1(VALU_DEP_3)
	v_add3_u32 v71, v75, v58, 0x7fff
	s_wait_alu 0xfffd
	v_dual_add_f32 v52, v52, v54 :: v_dual_cndmask_b32 v69, v69, v73
	v_or_b32_e32 v73, 0x400000, v58
	v_cmp_u_f32_e32 vcc_lo, v58, v58
	v_and_b32_e32 v54, 0xffff0000, v57
	s_delay_alu instid0(VALU_DEP_4) | instskip(SKIP_2) | instid1(VALU_DEP_2)
	v_dual_add_f32 v52, v53, v52 :: v_dual_lshlrev_b32 v57, 16, v65
	s_wait_alu 0xfffd
	v_dual_mul_f32 v53, v1, v56 :: v_dual_cndmask_b32 v58, v71, v73
	v_dual_add_f32 v54, v54, v55 :: v_dual_mul_f32 v55, v5, v57
	v_and_b32_e32 v57, 0xffff0000, v69
	s_delay_alu instid0(VALU_DEP_3) | instskip(NEXT) | instid1(VALU_DEP_4)
	v_cmp_u_f32_e32 vcc_lo, v53, v53
	v_and_b32_e32 v56, 0xffff0000, v58
	v_bfe_u32 v58, v53, 16, 1
	v_add_f32_e32 v52, v54, v52
	v_bfe_u32 v54, v55, 16, 1
	v_or_b32_e32 v65, 0x400000, v55
	v_add_f32_e32 v56, v56, v57
	v_add3_u32 v57, v58, v53, 0x7fff
	v_or_b32_e32 v58, 0x400000, v53
	v_add3_u32 v54, v54, v55, 0x7fff
	s_wait_alu 0xfffd
	s_delay_alu instid0(VALU_DEP_2) | instskip(SKIP_2) | instid1(VALU_DEP_3)
	v_dual_cndmask_b32 v53, v57, v58 :: v_dual_mul_f32 v64, v3, v64
	v_cmp_u_f32_e32 vcc_lo, v55, v55
	v_dual_mul_f32 v55, v6, v63 :: v_dual_lshlrev_b32 v58, 16, v62
	v_and_b32_e32 v53, 0xffff0000, v53
	s_delay_alu instid0(VALU_DEP_4)
	v_bfe_u32 v57, v64, 16, 1
	s_wait_alu 0xfffd
	v_cndmask_b32_e32 v54, v54, v65, vcc_lo
	v_or_b32_e32 v62, 0x400000, v64
	v_cmp_u_f32_e32 vcc_lo, v64, v64
	v_bfe_u32 v63, v55, 16, 1
	v_add3_u32 v57, v57, v64, 0x7fff
	v_bfe_u32 v65, v61, 16, 1
	s_wait_alu 0xfffd
	s_delay_alu instid0(VALU_DEP_2)
	v_cndmask_b32_e32 v57, v57, v62, vcc_lo
	v_mul_f32_e32 v58, v2, v58
	v_add3_u32 v62, v63, v55, 0x7fff
	v_or_b32_e32 v63, 0x400000, v55
	v_cmp_u_f32_e32 vcc_lo, v55, v55
	v_and_b32_e32 v57, 0xffff0000, v57
	v_bfe_u32 v64, v58, 16, 1
	s_wait_alu 0xfffd
	v_cndmask_b32_e32 v55, v62, v63, vcc_lo
	v_or_b32_e32 v63, 0x400000, v58
	s_delay_alu instid0(VALU_DEP_3)
	v_add3_u32 v62, v64, v58, 0x7fff
	v_cmp_u_f32_e32 vcc_lo, v58, v58
	v_add3_u32 v64, v65, v61, 0x7fff
	v_or_b32_e32 v65, 0x400000, v61
	v_and_b32_e32 v55, 0xffff0000, v55
	v_and_b32_e32 v54, 0xffff0000, v54
	v_lshlrev_b32_e32 v60, 16, v60
	s_wait_alu 0xfffd
	v_cndmask_b32_e32 v58, v62, v63, vcc_lo
	v_cmp_u_f32_e32 vcc_lo, v61, v61
	v_add_f32_e32 v53, v54, v53
	s_delay_alu instid0(VALU_DEP_3)
	v_dual_add_f32 v54, v55, v57 :: v_dual_and_b32 v57, 0xffff0000, v58
	s_wait_alu 0xfffd
	v_cndmask_b32_e32 v61, v64, v65, vcc_lo
	v_mul_f32_e32 v60, v4, v60
	v_bfe_u32 v64, v59, 16, 1
	v_add_f32_e32 v53, v54, v53
	v_mul_f32_e32 v4, v4, v13
	v_and_b32_e32 v55, 0xffff0000, v61
	v_bfe_u32 v66, v60, 16, 1
	v_or_b32_e32 v63, 0x400000, v60
	v_cmp_u_f32_e32 vcc_lo, v60, v60
	s_delay_alu instid0(VALU_DEP_4) | instskip(NEXT) | instid1(VALU_DEP_4)
	v_add_f32_e32 v54, v55, v57
	v_add3_u32 v62, v66, v60, 0x7fff
	s_delay_alu instid0(VALU_DEP_2) | instskip(SKIP_1) | instid1(VALU_DEP_2)
	v_dual_add_f32 v52, v56, v52 :: v_dual_add_f32 v53, v54, v53
	s_wait_alu 0xfffd
	v_cndmask_b32_e32 v60, v62, v63, vcc_lo
	v_add3_u32 v62, v64, v59, 0x7fff
	v_or_b32_e32 v63, 0x400000, v59
	v_cmp_u_f32_e32 vcc_lo, v59, v59
	v_add_f32_e32 v21, v21, v52
	s_wait_alu 0xfffd
	s_delay_alu instid0(VALU_DEP_3) | instskip(SKIP_2) | instid1(VALU_DEP_3)
	v_dual_cndmask_b32 v58, v62, v63 :: v_dual_and_b32 v57, 0xffff0000, v60
	v_cmp_u_f32_e32 vcc_lo, v51, v51
	v_lshlrev_b32_e32 v56, 16, v49
	v_and_b32_e32 v55, 0xffff0000, v58
	s_delay_alu instid0(VALU_DEP_1) | instskip(SKIP_3) | instid1(VALU_DEP_4)
	v_add_f32_e32 v54, v55, v57
	v_mul_f32_e32 v50, v5, v50
	v_bfe_u32 v55, v51, 16, 1
	v_bfe_u32 v57, v45, 16, 1
	v_add_f32_e32 v49, v54, v53
	s_delay_alu instid0(VALU_DEP_4) | instskip(NEXT) | instid1(VALU_DEP_4)
	v_bfe_u32 v52, v50, 16, 1
	v_add3_u32 v53, v55, v51, 0x7fff
	v_or_b32_e32 v54, 0x400000, v51
	s_delay_alu instid0(VALU_DEP_4) | instskip(NEXT) | instid1(VALU_DEP_4)
	v_add_f32_e32 v22, v22, v49
	v_add3_u32 v52, v52, v50, 0x7fff
	s_wait_alu 0xfffd
	s_delay_alu instid0(VALU_DEP_3)
	v_cndmask_b32_e32 v51, v53, v54, vcc_lo
	v_mul_f32_e32 v55, v3, v56
	v_or_b32_e32 v56, 0x400000, v50
	v_cmp_u_f32_e32 vcc_lo, v50, v50
	v_bfe_u32 v54, v48, 16, 1
	v_dual_mul_f32 v46, v8, v46 :: v_dual_and_b32 v51, 0xffff0000, v51
	v_bfe_u32 v53, v55, 16, 1
	s_wait_alu 0xfffd
	v_cndmask_b32_e32 v50, v52, v56, vcc_lo
	v_cmp_u_f32_e32 vcc_lo, v55, v55
	v_bfe_u32 v56, v46, 16, 1
	v_add3_u32 v52, v53, v55, 0x7fff
	v_or_b32_e32 v53, 0x400000, v55
	v_bfe_u32 v55, v47, 16, 1
	v_and_b32_e32 v50, 0xffff0000, v50
	s_wait_alu 0xfffd
	s_delay_alu instid0(VALU_DEP_3) | instskip(SKIP_4) | instid1(VALU_DEP_2)
	v_cndmask_b32_e32 v52, v52, v53, vcc_lo
	v_add3_u32 v53, v54, v48, 0x7fff
	v_or_b32_e32 v54, 0x400000, v48
	v_cmp_u_f32_e32 vcc_lo, v48, v48
	s_wait_alu 0xfffd
	v_cndmask_b32_e32 v48, v53, v54, vcc_lo
	v_add3_u32 v53, v55, v47, 0x7fff
	v_or_b32_e32 v54, 0x400000, v47
	v_cmp_u_f32_e32 vcc_lo, v47, v47
	v_add3_u32 v55, v56, v46, 0x7fff
	v_or_b32_e32 v56, 0x400000, v46
	s_wait_alu 0xfffd
	v_cndmask_b32_e32 v47, v53, v54, vcc_lo
	v_cmp_u_f32_e32 vcc_lo, v46, v46
	v_add3_u32 v53, v57, v45, 0x7fff
	v_or_b32_e32 v54, 0x400000, v45
	s_wait_alu 0xfffd
	v_dual_cndmask_b32 v46, v55, v56 :: v_dual_and_b32 v47, 0xffff0000, v47
	v_cmp_u_f32_e32 vcc_lo, v45, v45
	v_lshlrev_b32_e32 v44, 16, v44
	s_delay_alu instid0(VALU_DEP_3) | instskip(SKIP_1) | instid1(VALU_DEP_2)
	v_and_b32_e32 v46, 0xffff0000, v46
	s_wait_alu 0xfffd
	v_dual_cndmask_b32 v45, v53, v54 :: v_dual_mul_f32 v44, v7, v44
	v_add_f32_e32 v50, v50, v51
	v_bfe_u32 v51, v41, 16, 1
	s_delay_alu instid0(VALU_DEP_3) | instskip(NEXT) | instid1(VALU_DEP_4)
	v_dual_add_f32 v46, v46, v47 :: v_dual_and_b32 v45, 0xffff0000, v45
	v_bfe_u32 v55, v44, 16, 1
	v_or_b32_e32 v54, 0x400000, v44
	v_cmp_u_f32_e32 vcc_lo, v44, v44
	v_bfe_u32 v47, v43, 16, 1
	v_mul_f32_e32 v7, v7, v14
	v_add3_u32 v53, v55, v44, 0x7fff
	s_wait_alu 0xfffd
	s_delay_alu instid0(VALU_DEP_1) | instskip(SKIP_1) | instid1(VALU_DEP_2)
	v_cndmask_b32_e32 v44, v53, v54, vcc_lo
	v_cmp_u_f32_e32 vcc_lo, v43, v43
	v_and_b32_e32 v44, 0xffff0000, v44
	s_delay_alu instid0(VALU_DEP_1) | instskip(SKIP_3) | instid1(VALU_DEP_1)
	v_add_f32_e32 v44, v44, v45
	v_add3_u32 v45, v47, v43, 0x7fff
	v_or_b32_e32 v47, 0x400000, v43
	s_wait_alu 0xfffd
	v_dual_cndmask_b32 v43, v45, v47 :: v_dual_and_b32 v48, 0xffff0000, v48
	v_add3_u32 v45, v51, v41, 0x7fff
	v_or_b32_e32 v47, 0x400000, v41
	v_and_b32_e32 v52, 0xffff0000, v52
	s_delay_alu instid0(VALU_DEP_4) | instskip(SKIP_1) | instid1(VALU_DEP_3)
	v_dual_mul_f32 v42, v5, v42 :: v_dual_and_b32 v43, 0xffff0000, v43
	v_bfe_u32 v51, v37, 16, 1
	v_add_f32_e32 v48, v48, v52
	s_delay_alu instid0(VALU_DEP_3) | instskip(NEXT) | instid1(VALU_DEP_2)
	v_cmp_u_f32_e32 vcc_lo, v42, v42
	v_add_f32_e32 v48, v48, v50
	v_or_b32_e32 v50, 0x400000, v42
	s_delay_alu instid0(VALU_DEP_2) | instskip(SKIP_1) | instid1(VALU_DEP_1)
	v_add_f32_e32 v46, v46, v48
	v_bfe_u32 v48, v42, 16, 1
	v_add3_u32 v48, v48, v42, 0x7fff
	s_wait_alu 0xfffd
	s_delay_alu instid0(VALU_DEP_1)
	v_cndmask_b32_e32 v42, v48, v50, vcc_lo
	v_bfe_u32 v48, v40, 16, 1
	v_cmp_u_f32_e32 vcc_lo, v41, v41
	v_bfe_u32 v50, v38, 16, 1
	s_wait_alu 0xfffd
	v_cndmask_b32_e32 v41, v45, v47, vcc_lo
	v_add3_u32 v45, v48, v40, 0x7fff
	v_or_b32_e32 v47, 0x400000, v40
	v_cmp_u_f32_e32 vcc_lo, v40, v40
	v_bfe_u32 v48, v39, 16, 1
	s_wait_alu 0xfffd
	s_delay_alu instid0(VALU_DEP_3) | instskip(NEXT) | instid1(VALU_DEP_2)
	v_dual_cndmask_b32 v40, v45, v47 :: v_dual_and_b32 v41, 0xffff0000, v41
	v_add3_u32 v45, v48, v39, 0x7fff
	v_or_b32_e32 v47, 0x400000, v39
	v_cmp_u_f32_e32 vcc_lo, v39, v39
	v_add3_u32 v48, v50, v38, 0x7fff
	v_and_b32_e32 v40, 0xffff0000, v40
	v_or_b32_e32 v50, 0x400000, v38
	s_wait_alu 0xfffd
	v_cndmask_b32_e32 v39, v45, v47, vcc_lo
	v_cmp_u_f32_e32 vcc_lo, v38, v38
	v_add_f32_e32 v40, v40, v41
	v_add3_u32 v45, v51, v37, 0x7fff
	v_or_b32_e32 v47, 0x400000, v37
	s_wait_alu 0xfffd
	v_dual_cndmask_b32 v38, v48, v50 :: v_dual_and_b32 v39, 0xffff0000, v39
	v_and_b32_e32 v42, 0xffff0000, v42
	v_cmp_u_f32_e32 vcc_lo, v37, v37
	s_delay_alu instid0(VALU_DEP_3) | instskip(NEXT) | instid1(VALU_DEP_3)
	v_and_b32_e32 v38, 0xffff0000, v38
	v_add_f32_e32 v42, v42, v43
	s_wait_alu 0xfffd
	v_cndmask_b32_e32 v37, v45, v47, vcc_lo
	v_bfe_u32 v45, v36, 16, 1
	v_or_b32_e32 v43, 0x400000, v36
	v_add_f32_e32 v38, v38, v39
	v_add_f32_e32 v40, v40, v42
	v_cmp_u_f32_e32 vcc_lo, v36, v36
	v_add3_u32 v41, v45, v36, 0x7fff
	v_bfe_u32 v39, v35, 16, 1
	v_or_b32_e32 v42, 0x400000, v33
	v_add_f32_e32 v38, v38, v40
	v_or_b32_e32 v40, 0x400000, v35
	s_wait_alu 0xfffd
	v_cndmask_b32_e32 v36, v41, v43, vcc_lo
	v_add3_u32 v39, v39, v35, 0x7fff
	v_bfe_u32 v41, v34, 16, 1
	v_cmp_u_f32_e32 vcc_lo, v35, v35
	v_and_b32_e32 v37, 0xffff0000, v37
	s_wait_alu 0xfffd
	v_cndmask_b32_e32 v35, v39, v40, vcc_lo
	v_bfe_u32 v39, v33, 16, 1
	v_add3_u32 v40, v41, v34, 0x7fff
	v_or_b32_e32 v41, 0x400000, v34
	v_cmp_u_f32_e32 vcc_lo, v34, v34
	v_and_b32_e32 v35, 0xffff0000, v35
	v_add3_u32 v39, v39, v33, 0x7fff
	s_wait_alu 0xfffd
	v_cndmask_b32_e32 v34, v40, v41, vcc_lo
	v_bfe_u32 v40, v32, 16, 1
	v_cmp_u_f32_e32 vcc_lo, v33, v33
	v_or_b32_e32 v41, 0x400000, v32
	s_delay_alu instid0(VALU_DEP_3)
	v_add3_u32 v40, v40, v32, 0x7fff
	s_wait_alu 0xfffd
	v_cndmask_b32_e32 v33, v39, v42, vcc_lo
	v_bfe_u32 v39, v31, 16, 1
	v_cmp_u_f32_e32 vcc_lo, v32, v32
	v_or_b32_e32 v42, 0x400000, v31
	s_delay_alu instid0(VALU_DEP_4) | instskip(NEXT) | instid1(VALU_DEP_4)
	v_and_b32_e32 v33, 0xffff0000, v33
	v_add3_u32 v39, v39, v31, 0x7fff
	s_wait_alu 0xfffd
	v_cndmask_b32_e32 v32, v40, v41, vcc_lo
	v_bfe_u32 v40, v30, 16, 1
	v_cmp_u_f32_e32 vcc_lo, v31, v31
	v_bfe_u32 v41, v29, 16, 1
	s_wait_alu 0xfffd
	v_dual_cndmask_b32 v31, v39, v42 :: v_dual_and_b32 v32, 0xffff0000, v32
	v_add3_u32 v39, v40, v30, 0x7fff
	v_or_b32_e32 v40, 0x400000, v30
	v_cmp_u_f32_e32 vcc_lo, v30, v30
	v_add3_u32 v41, v41, v29, 0x7fff
	v_or_b32_e32 v42, 0x400000, v29
	v_dual_add_f32 v32, v32, v33 :: v_dual_and_b32 v31, 0xffff0000, v31
	s_wait_alu 0xfffd
	v_cndmask_b32_e32 v30, v39, v40, vcc_lo
	v_cmp_u_f32_e32 vcc_lo, v29, v29
	v_lshlrev_b32_e32 v33, 16, v74
	s_delay_alu instid0(VALU_DEP_3) | instskip(SKIP_3) | instid1(VALU_DEP_3)
	v_and_b32_e32 v30, 0xffff0000, v30
	s_wait_alu 0xfffd
	v_cndmask_b32_e32 v29, v41, v42, vcc_lo
	v_lshlrev_b32_e32 v41, 16, v76
	v_dual_mul_f32 v1, v1, v33 :: v_dual_add_f32 v30, v30, v31
	v_lshlrev_b32_e32 v31, 16, v72
	s_delay_alu instid0(VALU_DEP_1) | instskip(SKIP_1) | instid1(VALU_DEP_1)
	v_dual_mul_f32 v5, v5, v41 :: v_dual_mul_f32 v6, v6, v31
	v_lshlrev_b32_e32 v31, 16, v70
	v_dual_mul_f32 v3, v3, v31 :: v_dual_and_b32 v34, 0xffff0000, v34
	s_delay_alu instid0(VALU_DEP_1) | instskip(SKIP_1) | instid1(VALU_DEP_2)
	v_dual_add_f32 v34, v34, v35 :: v_dual_lshlrev_b32 v31, 16, v68
	v_bfe_u32 v35, v1, 16, 1
	v_mul_f32_e32 v8, v8, v31
	v_lshlrev_b32_e32 v31, 16, v67
	v_bfe_u32 v39, v28, 16, 1
	v_or_b32_e32 v40, 0x400000, v28
	v_cmp_u_f32_e32 vcc_lo, v28, v28
	v_add_f32_e32 v32, v32, v34
	v_bfe_u32 v34, v5, 16, 1
	v_add3_u32 v39, v39, v28, 0x7fff
	v_mul_f32_e32 v2, v2, v31
	v_or_b32_e32 v13, 0x400000, v8
	s_delay_alu instid0(VALU_DEP_4)
	v_add3_u32 v33, v34, v5, 0x7fff
	s_wait_alu 0xfffd
	v_cndmask_b32_e32 v28, v39, v40, vcc_lo
	v_or_b32_e32 v34, 0x400000, v5
	v_cmp_u_f32_e32 vcc_lo, v5, v5
	v_and_b32_e32 v36, 0xffff0000, v36
	v_bfe_u32 v31, v2, 16, 1
	s_wait_alu 0xfffd
	v_cndmask_b32_e32 v5, v33, v34, vcc_lo
	v_add3_u32 v33, v35, v1, 0x7fff
	v_or_b32_e32 v34, 0x400000, v1
	v_bfe_u32 v35, v6, 16, 1
	v_cmp_u_f32_e32 vcc_lo, v1, v1
	v_and_b32_e32 v5, 0xffff0000, v5
	v_and_b32_e32 v28, 0xffff0000, v28
	v_add3_u32 v14, v31, v2, 0x7fff
	v_or_b32_e32 v31, 0x400000, v2
	s_wait_alu 0xfffd
	v_cndmask_b32_e32 v1, v33, v34, vcc_lo
	v_add3_u32 v33, v35, v6, 0x7fff
	v_or_b32_e32 v34, 0x400000, v6
	v_bfe_u32 v35, v3, 16, 1
	v_cmp_u_f32_e32 vcc_lo, v6, v6
	s_wait_alu 0xfffd
	s_delay_alu instid0(VALU_DEP_3) | instskip(NEXT) | instid1(VALU_DEP_3)
	v_dual_cndmask_b32 v6, v33, v34 :: v_dual_and_b32 v1, 0xffff0000, v1
	v_add3_u32 v33, v35, v3, 0x7fff
	v_or_b32_e32 v34, 0x400000, v3
	v_bfe_u32 v35, v8, 16, 1
	v_cmp_u_f32_e32 vcc_lo, v3, v3
	v_add_f32_e32 v1, v5, v1
	s_wait_alu 0xfffd
	v_cndmask_b32_e32 v3, v33, v34, vcc_lo
	v_add3_u32 v33, v35, v8, 0x7fff
	v_cmp_u_f32_e32 vcc_lo, v8, v8
	v_bfe_u32 v35, v4, 16, 1
	v_bfe_u32 v34, v7, 16, 1
	s_wait_alu 0xfffd
	v_dual_cndmask_b32 v8, v33, v13 :: v_dual_and_b32 v3, 0xffff0000, v3
	v_cmp_u_f32_e32 vcc_lo, v2, v2
	s_delay_alu instid0(VALU_DEP_3)
	v_add3_u32 v13, v34, v7, 0x7fff
	v_or_b32_e32 v33, 0x400000, v7
	s_wait_alu 0xfffd
	v_dual_cndmask_b32 v2, v14, v31 :: v_dual_and_b32 v5, 0xffff0000, v8
	v_add3_u32 v14, v35, v4, 0x7fff
	v_or_b32_e32 v31, 0x400000, v4
	v_cmp_u_f32_e32 vcc_lo, v4, v4
	s_delay_alu instid0(VALU_DEP_4) | instskip(SKIP_1) | instid1(VALU_DEP_3)
	v_and_b32_e32 v2, 0xffff0000, v2
	s_wait_alu 0xfffd
	v_cndmask_b32_e32 v4, v14, v31, vcc_lo
	v_cmp_u_f32_e32 vcc_lo, v7, v7
	s_delay_alu instid0(VALU_DEP_3) | instskip(SKIP_1) | instid1(VALU_DEP_2)
	v_dual_add_f32 v2, v5, v2 :: v_dual_and_b32 v7, 0xffff0000, v29
	v_add_f32_e32 v5, v36, v37
	v_dual_add_f32 v7, v28, v7 :: v_dual_and_b32 v6, 0xffff0000, v6
	s_wait_alu 0xfffd
	s_delay_alu instid0(VALU_DEP_1) | instskip(SKIP_1) | instid1(VALU_DEP_2)
	v_dual_add_f32 v3, v6, v3 :: v_dual_cndmask_b32 v6, v13, v33
	v_cmp_le_i32_e32 vcc_lo, s55, v16
	v_add_f32_e32 v1, v3, v1
	v_and_b32_e32 v3, 0xffff0000, v4
	s_delay_alu instid0(VALU_DEP_4) | instskip(SKIP_2) | instid1(VALU_DEP_2)
	v_and_b32_e32 v4, 0xffff0000, v6
	v_add_f32_e32 v6, v30, v32
	s_or_b32 s4, vcc_lo, s4
	v_dual_add_f32 v1, v2, v1 :: v_dual_add_f32 v2, v4, v3
	v_add_f32_e32 v3, v44, v46
	v_add_f32_e32 v4, v5, v38
	;; [unrolled: 1-line block ×3, first 2 shown]
	s_delay_alu instid0(VALU_DEP_4) | instskip(NEXT) | instid1(VALU_DEP_3)
	v_add_f32_e32 v1, v2, v1
	v_dual_add_f32 v23, v23, v3 :: v_dual_add_f32 v24, v24, v4
	s_delay_alu instid0(VALU_DEP_3) | instskip(NEXT) | instid1(VALU_DEP_3)
	v_add_f32_e32 v25, v25, v5
	v_add_f32_e32 v17, v17, v1
	s_wait_alu 0xfffe
	s_and_not1_b32 exec_lo, exec_lo, s4
	s_cbranch_execz .LBB330_49
.LBB330_33:                             ; =>This Inner Loop Header: Depth=1
	global_load_b32 v1, v[11:12], off
	s_wait_alu 0xfffe
	v_cmp_eq_u32_e32 vcc_lo, s60, v16
	v_add_nc_u32_e32 v53, -2, v26
	v_add_nc_u32_e32 v58, -1, v26
	s_wait_loadcnt 0x0
	v_mad_co_i64_i32 v[13:14], null, v1, s3, v[9:10]
	global_load_b64 v[28:29], v[13:14], off
	ds_load_2addr_b64 v[5:8], v27 offset1:1
	ds_load_2addr_b64 v[1:4], v27 offset0:2 offset1:3
	s_wait_loadcnt 0x0
	v_and_b32_e32 v33, 0xff, v29
	v_bfe_u32 v34, v29, 8, 8
	v_bfe_u32 v35, v29, 16, 8
	v_lshrrev_b32_e32 v29, 24, v29
	v_bfe_u32 v31, v28, 8, 8
	v_bfe_u32 v32, v28, 16, 8
	v_cvt_f32_fp8_e32 v34, v34
	v_cvt_f32_fp8_e32 v35, v35
	;; [unrolled: 1-line block ×3, first 2 shown]
	v_and_b32_e32 v30, 0xff, v28
	v_cvt_f32_fp8_e32 v31, v31
	v_add_nc_u32_e32 v52, -7, v26
	v_lshrrev_b32_e32 v28, 24, v28
	s_wait_kmcnt 0x0
	v_mul_f32_e32 v29, s2, v29
	v_cvt_f32_fp8_e32 v30, v30
	v_cvt_f32_fp8_e32 v32, v32
	v_mul_f32_e32 v31, s2, v31
	v_add_nc_u32_e32 v57, -6, v26
	v_cvt_f32_fp8_e32 v28, v28
	v_mul_f32_e32 v30, s2, v30
	v_mul_f32_e32 v32, s2, v32
	v_bfe_u32 v38, v31, 16, 1
	s_delay_alu instid0(VALU_DEP_4) | instskip(NEXT) | instid1(VALU_DEP_4)
	v_dual_mul_f32 v28, s2, v28 :: v_dual_add_nc_u32 v55, -4, v26
	v_bfe_u32 v36, v30, 16, 1
	v_or_b32_e32 v37, 0x400000, v30
	v_cmp_u_f32_e64 s0, v30, v30
	v_cvt_f32_fp8_e32 v33, v33
	v_or_b32_e32 v39, 0x400000, v31
	v_add3_u32 v36, v36, v30, 0x7fff
	v_bfe_u32 v40, v32, 16, 1
	v_add3_u32 v38, v38, v31, 0x7fff
	v_dual_mul_f32 v33, s2, v33 :: v_dual_add_nc_u32 v56, -5, v26
	s_wait_alu 0xf1ff
	v_cndmask_b32_e64 v30, v36, v37, s0
	v_cmp_u_f32_e64 s0, v31, v31
	v_or_b32_e32 v41, 0x400000, v32
	v_bfe_u32 v42, v28, 16, 1
	v_add3_u32 v40, v40, v32, 0x7fff
	v_mul_f32_e32 v34, s2, v34
	s_wait_alu 0xf1ff
	v_cndmask_b32_e64 v31, v38, v39, s0
	v_cmp_u_f32_e64 s0, v32, v32
	v_or_b32_e32 v43, 0x400000, v28
	v_bfe_u32 v44, v33, 16, 1
	v_add3_u32 v42, v42, v28, 0x7fff
	v_dual_mul_f32 v35, s2, v35 :: v_dual_add_nc_u32 v54, -3, v26
	s_wait_alu 0xf1ff
	v_cndmask_b32_e64 v32, v40, v41, s0
	v_cmp_u_f32_e64 s0, v28, v28
	v_or_b32_e32 v45, 0x400000, v33
	v_bfe_u32 v46, v34, 16, 1
	v_add3_u32 v44, v44, v33, 0x7fff
	v_or_b32_e32 v47, 0x400000, v34
	s_wait_alu 0xf1ff
	v_cndmask_b32_e64 v28, v42, v43, s0
	v_cmp_u_f32_e64 s0, v33, v33
	v_bfe_u32 v48, v35, 16, 1
	v_add3_u32 v46, v46, v34, 0x7fff
	v_or_b32_e32 v49, 0x400000, v35
	v_bfe_u32 v50, v29, 16, 1
	s_wait_alu 0xf1ff
	v_cndmask_b32_e64 v36, v44, v45, s0
	v_cmp_u_f32_e64 s0, v34, v34
	v_add3_u32 v48, v48, v35, 0x7fff
	v_or_b32_e32 v51, 0x400000, v29
	v_add3_u32 v50, v50, v29, 0x7fff
	v_lshrrev_b32_e32 v34, 16, v30
	s_wait_alu 0xf1ff
	v_cndmask_b32_e64 v37, v46, v47, s0
	v_cmp_u_f32_e64 s0, v35, v35
	v_lshrrev_b32_e32 v35, 16, v31
	v_lshrrev_b32_e32 v32, 16, v32
	;; [unrolled: 1-line block ×4, first 2 shown]
	s_wait_alu 0xf1ff
	v_cndmask_b32_e64 v38, v48, v49, s0
	v_cmp_u_f32_e64 s0, v29, v29
	v_lshrrev_b32_e32 v31, 16, v37
	s_delay_alu instid0(VALU_DEP_3) | instskip(SKIP_1) | instid1(VALU_DEP_3)
	v_lshrrev_b32_e32 v28, 16, v38
	s_wait_alu 0xf1ff
	v_cndmask_b32_e64 v29, v50, v51, s0
	s_delay_alu instid0(VALU_DEP_1)
	v_lshrrev_b32_e32 v29, 16, v29
	s_and_saveexec_b32 s5, vcc_lo
	s_cbranch_execz .LBB330_35
; %bb.34:                               ;   in Loop: Header=BB330_33 Depth=1
	v_cmp_gt_i32_e64 s0, s53, v52
	s_wait_alu 0xf1ff
	s_delay_alu instid0(VALU_DEP_1) | instskip(SKIP_2) | instid1(VALU_DEP_1)
	v_cndmask_b32_e64 v34, 0, v34, s0
	v_cmp_gt_i32_e64 s0, s53, v57
	s_wait_alu 0xf1ff
	v_cndmask_b32_e64 v35, 0, v35, s0
	v_cmp_gt_i32_e64 s0, s53, v56
	s_wait_alu 0xf1ff
	s_delay_alu instid0(VALU_DEP_1) | instskip(SKIP_2) | instid1(VALU_DEP_1)
	v_cndmask_b32_e64 v32, 0, v32, s0
	v_cmp_gt_i32_e64 s0, s53, v55
	s_wait_alu 0xf1ff
	v_cndmask_b32_e64 v33, 0, v33, s0
	;; [unrolled: 7-line block ×4, first 2 shown]
.LBB330_35:                             ;   in Loop: Header=BB330_33 Depth=1
	s_wait_alu 0xfffe
	s_or_b32 exec_lo, exec_lo, s5
	global_load_b64 v[36:37], v[13:14], off offset:256
	s_wait_loadcnt 0x0
	v_bfe_u32 v39, v36, 8, 8
	v_bfe_u32 v40, v36, 16, 8
	;; [unrolled: 1-line block ×4, first 2 shown]
	s_delay_alu instid0(VALU_DEP_4)
	v_cvt_f32_fp8_e32 v39, v39
	v_and_b32_e32 v38, 0xff, v36
	v_lshrrev_b32_e32 v36, 24, v36
	v_cvt_f32_fp8_e32 v40, v40
	v_cvt_f32_fp8_e32 v43, v43
	v_mul_f32_e32 v39, s2, v39
	v_cvt_f32_fp8_e32 v38, v38
	v_and_b32_e32 v41, 0xff, v37
	v_cvt_f32_fp8_e32 v36, v36
	v_lshrrev_b32_e32 v37, 24, v37
	v_bfe_u32 v46, v39, 16, 1
	v_mul_f32_e32 v38, s2, v38
	v_cvt_f32_fp8_e32 v41, v41
	v_mul_f32_e32 v40, s2, v40
	v_dual_mul_f32 v36, s2, v36 :: v_dual_mul_f32 v43, s2, v43
	s_delay_alu instid0(VALU_DEP_4)
	v_bfe_u32 v44, v38, 16, 1
	v_or_b32_e32 v45, 0x400000, v38
	v_cmp_u_f32_e64 s0, v38, v38
	v_mul_f32_e32 v41, s2, v41
	v_or_b32_e32 v47, 0x400000, v39
	v_add3_u32 v44, v44, v38, 0x7fff
	v_bfe_u32 v48, v40, 16, 1
	v_add3_u32 v46, v46, v39, 0x7fff
	v_cvt_f32_fp8_e32 v42, v42
	v_or_b32_e32 v49, 0x400000, v40
	s_wait_alu 0xf1ff
	v_cndmask_b32_e64 v38, v44, v45, s0
	v_cmp_u_f32_e64 s0, v39, v39
	v_bfe_u32 v50, v36, 16, 1
	v_add3_u32 v48, v48, v40, 0x7fff
	v_cvt_f32_fp8_e32 v37, v37
	v_mul_f32_e32 v42, s2, v42
	s_wait_alu 0xf1ff
	v_cndmask_b32_e64 v39, v46, v47, s0
	v_cmp_u_f32_e64 s0, v40, v40
	v_or_b32_e32 v51, 0x400000, v36
	v_bfe_u32 v59, v41, 16, 1
	v_add3_u32 v50, v50, v36, 0x7fff
	v_mul_f32_e32 v37, s2, v37
	s_wait_alu 0xf1ff
	v_cndmask_b32_e64 v40, v48, v49, s0
	v_cmp_u_f32_e64 s0, v36, v36
	v_or_b32_e32 v60, 0x400000, v41
	v_bfe_u32 v61, v42, 16, 1
	v_add3_u32 v59, v59, v41, 0x7fff
	v_or_b32_e32 v62, 0x400000, v42
	s_wait_alu 0xf1ff
	v_cndmask_b32_e64 v36, v50, v51, s0
	v_cmp_u_f32_e64 s0, v41, v41
	v_bfe_u32 v63, v43, 16, 1
	v_add3_u32 v61, v61, v42, 0x7fff
	v_or_b32_e32 v64, 0x400000, v43
	v_bfe_u32 v65, v37, 16, 1
	s_wait_alu 0xf1ff
	v_cndmask_b32_e64 v44, v59, v60, s0
	v_cmp_u_f32_e64 s0, v42, v42
	v_add3_u32 v63, v63, v43, 0x7fff
	v_or_b32_e32 v66, 0x400000, v37
	v_add3_u32 v65, v65, v37, 0x7fff
	v_lshrrev_b32_e32 v42, 16, v38
	s_wait_alu 0xf1ff
	v_cndmask_b32_e64 v45, v61, v62, s0
	v_cmp_u_f32_e64 s0, v43, v43
	v_lshrrev_b32_e32 v43, 16, v39
	v_lshrrev_b32_e32 v40, 16, v40
	v_lshrrev_b32_e32 v41, 16, v36
	v_lshrrev_b32_e32 v38, 16, v44
	s_wait_alu 0xf1ff
	v_cndmask_b32_e64 v46, v63, v64, s0
	v_cmp_u_f32_e64 s0, v37, v37
	v_lshrrev_b32_e32 v39, 16, v45
	s_delay_alu instid0(VALU_DEP_3) | instskip(SKIP_1) | instid1(VALU_DEP_3)
	v_lshrrev_b32_e32 v36, 16, v46
	s_wait_alu 0xf1ff
	v_cndmask_b32_e64 v37, v65, v66, s0
	s_delay_alu instid0(VALU_DEP_1)
	v_lshrrev_b32_e32 v37, 16, v37
	s_and_saveexec_b32 s5, vcc_lo
	s_cbranch_execz .LBB330_37
; %bb.36:                               ;   in Loop: Header=BB330_33 Depth=1
	v_cmp_gt_i32_e64 s0, s53, v52
	s_wait_alu 0xf1ff
	s_delay_alu instid0(VALU_DEP_1) | instskip(SKIP_2) | instid1(VALU_DEP_1)
	v_cndmask_b32_e64 v42, 0, v42, s0
	v_cmp_gt_i32_e64 s0, s53, v57
	s_wait_alu 0xf1ff
	v_cndmask_b32_e64 v43, 0, v43, s0
	v_cmp_gt_i32_e64 s0, s53, v56
	s_wait_alu 0xf1ff
	s_delay_alu instid0(VALU_DEP_1) | instskip(SKIP_2) | instid1(VALU_DEP_1)
	v_cndmask_b32_e64 v40, 0, v40, s0
	v_cmp_gt_i32_e64 s0, s53, v55
	s_wait_alu 0xf1ff
	v_cndmask_b32_e64 v41, 0, v41, s0
	;; [unrolled: 7-line block ×4, first 2 shown]
.LBB330_37:                             ;   in Loop: Header=BB330_33 Depth=1
	s_wait_alu 0xfffe
	s_or_b32 exec_lo, exec_lo, s5
	global_load_b64 v[44:45], v[13:14], off offset:512
	s_wait_loadcnt 0x0
	v_bfe_u32 v47, v44, 8, 8
	v_bfe_u32 v48, v44, 16, 8
	;; [unrolled: 1-line block ×4, first 2 shown]
	s_delay_alu instid0(VALU_DEP_4)
	v_cvt_f32_fp8_e32 v47, v47
	v_and_b32_e32 v46, 0xff, v44
	v_lshrrev_b32_e32 v44, 24, v44
	v_cvt_f32_fp8_e32 v48, v48
	v_cvt_f32_fp8_e32 v51, v51
	v_mul_f32_e32 v47, s2, v47
	v_cvt_f32_fp8_e32 v46, v46
	v_and_b32_e32 v49, 0xff, v45
	v_cvt_f32_fp8_e32 v44, v44
	v_lshrrev_b32_e32 v45, 24, v45
	v_bfe_u32 v61, v47, 16, 1
	v_mul_f32_e32 v46, s2, v46
	v_cvt_f32_fp8_e32 v49, v49
	v_mul_f32_e32 v48, s2, v48
	v_dual_mul_f32 v44, s2, v44 :: v_dual_mul_f32 v51, s2, v51
	s_delay_alu instid0(VALU_DEP_4)
	v_bfe_u32 v59, v46, 16, 1
	v_or_b32_e32 v60, 0x400000, v46
	v_cmp_u_f32_e64 s0, v46, v46
	v_mul_f32_e32 v49, s2, v49
	v_or_b32_e32 v62, 0x400000, v47
	v_add3_u32 v59, v59, v46, 0x7fff
	v_bfe_u32 v63, v48, 16, 1
	v_add3_u32 v61, v61, v47, 0x7fff
	v_cvt_f32_fp8_e32 v50, v50
	v_or_b32_e32 v64, 0x400000, v48
	s_wait_alu 0xf1ff
	v_cndmask_b32_e64 v46, v59, v60, s0
	v_cmp_u_f32_e64 s0, v47, v47
	v_bfe_u32 v65, v44, 16, 1
	v_add3_u32 v63, v63, v48, 0x7fff
	v_cvt_f32_fp8_e32 v45, v45
	v_mul_f32_e32 v50, s2, v50
	s_wait_alu 0xf1ff
	v_cndmask_b32_e64 v47, v61, v62, s0
	v_cmp_u_f32_e64 s0, v48, v48
	v_or_b32_e32 v66, 0x400000, v44
	v_bfe_u32 v67, v49, 16, 1
	v_add3_u32 v65, v65, v44, 0x7fff
	v_mul_f32_e32 v45, s2, v45
	s_wait_alu 0xf1ff
	v_cndmask_b32_e64 v48, v63, v64, s0
	v_cmp_u_f32_e64 s0, v44, v44
	v_or_b32_e32 v68, 0x400000, v49
	v_bfe_u32 v69, v50, 16, 1
	v_add3_u32 v67, v67, v49, 0x7fff
	v_or_b32_e32 v70, 0x400000, v50
	s_wait_alu 0xf1ff
	v_cndmask_b32_e64 v44, v65, v66, s0
	v_cmp_u_f32_e64 s0, v49, v49
	v_bfe_u32 v71, v51, 16, 1
	v_add3_u32 v69, v69, v50, 0x7fff
	v_or_b32_e32 v72, 0x400000, v51
	v_bfe_u32 v73, v45, 16, 1
	s_wait_alu 0xf1ff
	v_cndmask_b32_e64 v59, v67, v68, s0
	v_cmp_u_f32_e64 s0, v50, v50
	v_add3_u32 v71, v71, v51, 0x7fff
	v_or_b32_e32 v74, 0x400000, v45
	v_add3_u32 v73, v73, v45, 0x7fff
	v_lshrrev_b32_e32 v50, 16, v46
	s_wait_alu 0xf1ff
	v_cndmask_b32_e64 v60, v69, v70, s0
	v_cmp_u_f32_e64 s0, v51, v51
	v_lshrrev_b32_e32 v51, 16, v47
	v_lshrrev_b32_e32 v48, 16, v48
	;; [unrolled: 1-line block ×4, first 2 shown]
	s_wait_alu 0xf1ff
	v_cndmask_b32_e64 v61, v71, v72, s0
	v_cmp_u_f32_e64 s0, v45, v45
	v_lshrrev_b32_e32 v47, 16, v60
	s_delay_alu instid0(VALU_DEP_3) | instskip(SKIP_1) | instid1(VALU_DEP_3)
	v_lshrrev_b32_e32 v44, 16, v61
	s_wait_alu 0xf1ff
	v_cndmask_b32_e64 v45, v73, v74, s0
	s_delay_alu instid0(VALU_DEP_1)
	v_lshrrev_b32_e32 v45, 16, v45
	s_and_saveexec_b32 s5, vcc_lo
	s_cbranch_execz .LBB330_39
; %bb.38:                               ;   in Loop: Header=BB330_33 Depth=1
	v_cmp_gt_i32_e64 s0, s53, v52
	s_wait_alu 0xf1ff
	s_delay_alu instid0(VALU_DEP_1) | instskip(SKIP_2) | instid1(VALU_DEP_1)
	v_cndmask_b32_e64 v50, 0, v50, s0
	v_cmp_gt_i32_e64 s0, s53, v57
	s_wait_alu 0xf1ff
	v_cndmask_b32_e64 v51, 0, v51, s0
	v_cmp_gt_i32_e64 s0, s53, v56
	s_wait_alu 0xf1ff
	s_delay_alu instid0(VALU_DEP_1) | instskip(SKIP_2) | instid1(VALU_DEP_1)
	v_cndmask_b32_e64 v48, 0, v48, s0
	v_cmp_gt_i32_e64 s0, s53, v55
	s_wait_alu 0xf1ff
	v_cndmask_b32_e64 v49, 0, v49, s0
	;; [unrolled: 7-line block ×4, first 2 shown]
.LBB330_39:                             ;   in Loop: Header=BB330_33 Depth=1
	s_wait_alu 0xfffe
	s_or_b32 exec_lo, exec_lo, s5
	global_load_b64 v[59:60], v[13:14], off offset:768
	s_wait_loadcnt 0x0
	v_bfe_u32 v62, v59, 8, 8
	v_bfe_u32 v63, v59, 16, 8
	;; [unrolled: 1-line block ×4, first 2 shown]
	s_delay_alu instid0(VALU_DEP_4)
	v_cvt_f32_fp8_e32 v62, v62
	v_and_b32_e32 v61, 0xff, v59
	v_lshrrev_b32_e32 v59, 24, v59
	v_cvt_f32_fp8_e32 v63, v63
	v_cvt_f32_fp8_e32 v66, v66
	v_mul_f32_e32 v62, s2, v62
	v_cvt_f32_fp8_e32 v61, v61
	v_and_b32_e32 v64, 0xff, v60
	v_cvt_f32_fp8_e32 v59, v59
	v_lshrrev_b32_e32 v60, 24, v60
	v_bfe_u32 v69, v62, 16, 1
	v_mul_f32_e32 v61, s2, v61
	v_cvt_f32_fp8_e32 v64, v64
	v_mul_f32_e32 v63, s2, v63
	v_dual_mul_f32 v59, s2, v59 :: v_dual_mul_f32 v66, s2, v66
	s_delay_alu instid0(VALU_DEP_4)
	v_bfe_u32 v67, v61, 16, 1
	v_or_b32_e32 v68, 0x400000, v61
	v_cmp_u_f32_e64 s0, v61, v61
	v_mul_f32_e32 v64, s2, v64
	v_or_b32_e32 v70, 0x400000, v62
	v_add3_u32 v67, v67, v61, 0x7fff
	v_bfe_u32 v71, v63, 16, 1
	v_add3_u32 v69, v69, v62, 0x7fff
	v_cvt_f32_fp8_e32 v65, v65
	v_or_b32_e32 v72, 0x400000, v63
	s_wait_alu 0xf1ff
	v_cndmask_b32_e64 v61, v67, v68, s0
	v_cmp_u_f32_e64 s0, v62, v62
	v_bfe_u32 v73, v59, 16, 1
	v_add3_u32 v71, v71, v63, 0x7fff
	v_cvt_f32_fp8_e32 v60, v60
	v_mul_f32_e32 v65, s2, v65
	s_wait_alu 0xf1ff
	v_cndmask_b32_e64 v62, v69, v70, s0
	v_cmp_u_f32_e64 s0, v63, v63
	v_or_b32_e32 v74, 0x400000, v59
	v_bfe_u32 v75, v64, 16, 1
	v_add3_u32 v73, v73, v59, 0x7fff
	v_mul_f32_e32 v60, s2, v60
	s_wait_alu 0xf1ff
	v_cndmask_b32_e64 v63, v71, v72, s0
	v_cmp_u_f32_e64 s0, v59, v59
	v_or_b32_e32 v76, 0x400000, v64
	v_bfe_u32 v77, v65, 16, 1
	v_add3_u32 v75, v75, v64, 0x7fff
	v_or_b32_e32 v78, 0x400000, v65
	s_wait_alu 0xf1ff
	v_cndmask_b32_e64 v59, v73, v74, s0
	v_cmp_u_f32_e64 s0, v64, v64
	v_bfe_u32 v79, v66, 16, 1
	v_add3_u32 v77, v77, v65, 0x7fff
	v_or_b32_e32 v80, 0x400000, v66
	v_bfe_u32 v81, v60, 16, 1
	s_wait_alu 0xf1ff
	v_cndmask_b32_e64 v67, v75, v76, s0
	v_cmp_u_f32_e64 s0, v65, v65
	v_add3_u32 v79, v79, v66, 0x7fff
	v_or_b32_e32 v82, 0x400000, v60
	v_add3_u32 v81, v81, v60, 0x7fff
	v_lshrrev_b32_e32 v65, 16, v61
	s_wait_alu 0xf1ff
	v_cndmask_b32_e64 v68, v77, v78, s0
	v_cmp_u_f32_e64 s0, v66, v66
	v_lshrrev_b32_e32 v66, 16, v62
	v_lshrrev_b32_e32 v63, 16, v63
	;; [unrolled: 1-line block ×4, first 2 shown]
	s_wait_alu 0xf1ff
	v_cndmask_b32_e64 v69, v79, v80, s0
	v_cmp_u_f32_e64 s0, v60, v60
	v_lshrrev_b32_e32 v62, 16, v68
	s_delay_alu instid0(VALU_DEP_3) | instskip(SKIP_1) | instid1(VALU_DEP_3)
	v_lshrrev_b32_e32 v59, 16, v69
	s_wait_alu 0xf1ff
	v_cndmask_b32_e64 v60, v81, v82, s0
	s_delay_alu instid0(VALU_DEP_1)
	v_lshrrev_b32_e32 v60, 16, v60
	s_and_saveexec_b32 s5, vcc_lo
	s_cbranch_execz .LBB330_41
; %bb.40:                               ;   in Loop: Header=BB330_33 Depth=1
	v_cmp_gt_i32_e64 s0, s53, v52
	s_wait_alu 0xf1ff
	s_delay_alu instid0(VALU_DEP_1) | instskip(SKIP_2) | instid1(VALU_DEP_1)
	v_cndmask_b32_e64 v65, 0, v65, s0
	v_cmp_gt_i32_e64 s0, s53, v57
	s_wait_alu 0xf1ff
	v_cndmask_b32_e64 v66, 0, v66, s0
	v_cmp_gt_i32_e64 s0, s53, v56
	s_wait_alu 0xf1ff
	s_delay_alu instid0(VALU_DEP_1) | instskip(SKIP_2) | instid1(VALU_DEP_1)
	v_cndmask_b32_e64 v63, 0, v63, s0
	v_cmp_gt_i32_e64 s0, s53, v55
	s_wait_alu 0xf1ff
	v_cndmask_b32_e64 v64, 0, v64, s0
	;; [unrolled: 7-line block ×4, first 2 shown]
.LBB330_41:                             ;   in Loop: Header=BB330_33 Depth=1
	s_wait_alu 0xfffe
	s_or_b32 exec_lo, exec_lo, s5
	global_load_b64 v[67:68], v[13:14], off offset:1024
	s_wait_loadcnt 0x0
	v_bfe_u32 v70, v67, 8, 8
	v_bfe_u32 v71, v67, 16, 8
	v_bfe_u32 v74, v68, 16, 8
	v_bfe_u32 v73, v68, 8, 8
	s_delay_alu instid0(VALU_DEP_4)
	v_cvt_f32_fp8_e32 v70, v70
	v_and_b32_e32 v69, 0xff, v67
	v_lshrrev_b32_e32 v67, 24, v67
	v_cvt_f32_fp8_e32 v71, v71
	v_cvt_f32_fp8_e32 v74, v74
	v_mul_f32_e32 v70, s2, v70
	v_cvt_f32_fp8_e32 v69, v69
	v_and_b32_e32 v72, 0xff, v68
	v_cvt_f32_fp8_e32 v67, v67
	v_lshrrev_b32_e32 v68, 24, v68
	v_bfe_u32 v77, v70, 16, 1
	v_mul_f32_e32 v69, s2, v69
	v_cvt_f32_fp8_e32 v72, v72
	v_mul_f32_e32 v71, s2, v71
	v_dual_mul_f32 v67, s2, v67 :: v_dual_mul_f32 v74, s2, v74
	s_delay_alu instid0(VALU_DEP_4)
	v_bfe_u32 v75, v69, 16, 1
	v_or_b32_e32 v76, 0x400000, v69
	v_cmp_u_f32_e64 s0, v69, v69
	v_mul_f32_e32 v72, s2, v72
	v_or_b32_e32 v78, 0x400000, v70
	v_add3_u32 v75, v75, v69, 0x7fff
	v_bfe_u32 v79, v71, 16, 1
	v_add3_u32 v77, v77, v70, 0x7fff
	v_cvt_f32_fp8_e32 v73, v73
	v_or_b32_e32 v80, 0x400000, v71
	s_wait_alu 0xf1ff
	v_cndmask_b32_e64 v69, v75, v76, s0
	v_cmp_u_f32_e64 s0, v70, v70
	v_bfe_u32 v81, v67, 16, 1
	v_add3_u32 v79, v79, v71, 0x7fff
	v_cvt_f32_fp8_e32 v68, v68
	v_mul_f32_e32 v73, s2, v73
	s_wait_alu 0xf1ff
	v_cndmask_b32_e64 v70, v77, v78, s0
	v_cmp_u_f32_e64 s0, v71, v71
	v_or_b32_e32 v82, 0x400000, v67
	v_bfe_u32 v83, v72, 16, 1
	v_add3_u32 v81, v81, v67, 0x7fff
	v_mul_f32_e32 v68, s2, v68
	s_wait_alu 0xf1ff
	v_cndmask_b32_e64 v71, v79, v80, s0
	v_cmp_u_f32_e64 s0, v67, v67
	v_or_b32_e32 v84, 0x400000, v72
	v_bfe_u32 v85, v73, 16, 1
	v_add3_u32 v83, v83, v72, 0x7fff
	v_or_b32_e32 v86, 0x400000, v73
	s_wait_alu 0xf1ff
	v_cndmask_b32_e64 v67, v81, v82, s0
	v_cmp_u_f32_e64 s0, v72, v72
	v_bfe_u32 v87, v74, 16, 1
	v_add3_u32 v85, v85, v73, 0x7fff
	v_or_b32_e32 v88, 0x400000, v74
	v_bfe_u32 v89, v68, 16, 1
	s_wait_alu 0xf1ff
	v_cndmask_b32_e64 v72, v83, v84, s0
	v_cmp_u_f32_e64 s0, v73, v73
	v_add3_u32 v87, v87, v74, 0x7fff
	v_or_b32_e32 v90, 0x400000, v68
	v_add3_u32 v89, v89, v68, 0x7fff
	v_lshrrev_b32_e32 v79, 16, v69
	s_wait_alu 0xf1ff
	v_cndmask_b32_e64 v75, v85, v86, s0
	v_cmp_u_f32_e64 s0, v74, v74
	v_lshrrev_b32_e32 v80, 16, v70
	v_lshrrev_b32_e32 v77, 16, v71
	;; [unrolled: 1-line block ×4, first 2 shown]
	s_wait_alu 0xf1ff
	v_cndmask_b32_e64 v74, v87, v88, s0
	v_cmp_u_f32_e64 s0, v68, v68
	v_lshrrev_b32_e32 v75, 16, v75
	s_delay_alu instid0(VALU_DEP_3) | instskip(SKIP_1) | instid1(VALU_DEP_3)
	v_lshrrev_b32_e32 v69, 16, v74
	s_wait_alu 0xf1ff
	v_cndmask_b32_e64 v68, v89, v90, s0
	s_delay_alu instid0(VALU_DEP_1)
	v_lshrrev_b32_e32 v71, 16, v68
	s_and_saveexec_b32 s5, vcc_lo
	s_cbranch_execz .LBB330_43
; %bb.42:                               ;   in Loop: Header=BB330_33 Depth=1
	v_cmp_gt_i32_e64 s0, s53, v52
	s_wait_alu 0xf1ff
	s_delay_alu instid0(VALU_DEP_1) | instskip(SKIP_2) | instid1(VALU_DEP_1)
	v_cndmask_b32_e64 v79, 0, v79, s0
	v_cmp_gt_i32_e64 s0, s53, v57
	s_wait_alu 0xf1ff
	v_cndmask_b32_e64 v80, 0, v80, s0
	v_cmp_gt_i32_e64 s0, s53, v56
	s_wait_alu 0xf1ff
	s_delay_alu instid0(VALU_DEP_1) | instskip(SKIP_2) | instid1(VALU_DEP_1)
	v_cndmask_b32_e64 v77, 0, v77, s0
	v_cmp_gt_i32_e64 s0, s53, v55
	s_wait_alu 0xf1ff
	v_cndmask_b32_e64 v78, 0, v78, s0
	;; [unrolled: 7-line block ×4, first 2 shown]
.LBB330_43:                             ;   in Loop: Header=BB330_33 Depth=1
	s_wait_alu 0xfffe
	s_or_b32 exec_lo, exec_lo, s5
	global_load_b64 v[67:68], v[13:14], off offset:1280
	s_wait_loadcnt 0x0
	v_bfe_u32 v81, v68, 8, 8
	v_bfe_u32 v72, v67, 8, 8
	;; [unrolled: 1-line block ×4, first 2 shown]
	s_delay_alu instid0(VALU_DEP_4)
	v_cvt_f32_fp8_e32 v81, v81
	v_and_b32_e32 v70, 0xff, v67
	v_cvt_f32_fp8_e32 v72, v72
	v_lshrrev_b32_e32 v67, 24, v67
	v_cvt_f32_fp8_e32 v74, v74
	v_mul_f32_e32 v81, s2, v81
	v_cvt_f32_fp8_e32 v70, v70
	v_mul_f32_e32 v72, s2, v72
	v_cvt_f32_fp8_e32 v67, v67
	v_and_b32_e32 v76, 0xff, v68
	v_mul_f32_e32 v74, s2, v74
	v_mul_f32_e32 v70, s2, v70
	v_bfe_u32 v85, v72, 16, 1
	v_mul_f32_e32 v67, s2, v67
	v_cvt_f32_fp8_e32 v76, v76
	v_or_b32_e32 v86, 0x400000, v72
	v_bfe_u32 v83, v70, 16, 1
	v_or_b32_e32 v84, 0x400000, v70
	v_cmp_u_f32_e64 s0, v70, v70
	v_bfe_u32 v87, v74, 16, 1
	v_add3_u32 v85, v85, v72, 0x7fff
	v_add3_u32 v83, v83, v70, 0x7fff
	v_mul_f32_e32 v76, s2, v76
	v_or_b32_e32 v88, 0x400000, v74
	v_bfe_u32 v89, v67, 16, 1
	v_add3_u32 v87, v87, v74, 0x7fff
	s_wait_alu 0xf1ff
	v_cndmask_b32_e64 v70, v83, v84, s0
	v_cmp_u_f32_e64 s0, v72, v72
	v_lshrrev_b32_e32 v68, 24, v68
	v_cvt_f32_fp8_e32 v82, v82
	v_or_b32_e32 v90, 0x400000, v67
	v_bfe_u32 v91, v76, 16, 1
	s_wait_alu 0xf1ff
	v_cndmask_b32_e64 v72, v85, v86, s0
	v_cmp_u_f32_e64 s0, v74, v74
	v_add3_u32 v89, v89, v67, 0x7fff
	v_cvt_f32_fp8_e32 v68, v68
	v_mul_f32_e32 v82, s2, v82
	v_or_b32_e32 v92, 0x400000, v76
	s_wait_alu 0xf1ff
	v_cndmask_b32_e64 v74, v87, v88, s0
	v_cmp_u_f32_e64 s0, v67, v67
	v_bfe_u32 v93, v81, 16, 1
	v_add3_u32 v91, v91, v76, 0x7fff
	v_mul_f32_e32 v68, s2, v68
	v_or_b32_e32 v94, 0x400000, v81
	s_wait_alu 0xf1ff
	v_cndmask_b32_e64 v67, v89, v90, s0
	v_cmp_u_f32_e64 s0, v76, v76
	v_bfe_u32 v95, v82, 16, 1
	v_add3_u32 v93, v93, v81, 0x7fff
	v_or_b32_e32 v96, 0x400000, v82
	v_bfe_u32 v97, v68, 16, 1
	s_wait_alu 0xf1ff
	v_cndmask_b32_e64 v76, v91, v92, s0
	v_cmp_u_f32_e64 s0, v81, v81
	v_add3_u32 v95, v95, v82, 0x7fff
	v_or_b32_e32 v98, 0x400000, v68
	v_add3_u32 v97, v97, v68, 0x7fff
	v_lshrrev_b32_e32 v87, 16, v70
	s_wait_alu 0xf1ff
	v_cndmask_b32_e64 v81, v93, v94, s0
	v_cmp_u_f32_e64 s0, v82, v82
	v_lshrrev_b32_e32 v88, 16, v72
	v_lshrrev_b32_e32 v85, 16, v74
	;; [unrolled: 1-line block ×4, first 2 shown]
	s_wait_alu 0xf1ff
	v_cndmask_b32_e64 v82, v95, v96, s0
	v_cmp_u_f32_e64 s0, v68, v68
	v_lshrrev_b32_e32 v84, 16, v81
	s_delay_alu instid0(VALU_DEP_3) | instskip(SKIP_1) | instid1(VALU_DEP_3)
	v_lshrrev_b32_e32 v81, 16, v82
	s_wait_alu 0xf1ff
	v_cndmask_b32_e64 v68, v97, v98, s0
	s_delay_alu instid0(VALU_DEP_1)
	v_lshrrev_b32_e32 v82, 16, v68
	s_and_saveexec_b32 s5, vcc_lo
	s_cbranch_execz .LBB330_45
; %bb.44:                               ;   in Loop: Header=BB330_33 Depth=1
	v_cmp_gt_i32_e64 s0, s53, v52
	s_wait_alu 0xf1ff
	s_delay_alu instid0(VALU_DEP_1) | instskip(SKIP_2) | instid1(VALU_DEP_1)
	v_cndmask_b32_e64 v87, 0, v87, s0
	v_cmp_gt_i32_e64 s0, s53, v57
	s_wait_alu 0xf1ff
	v_cndmask_b32_e64 v88, 0, v88, s0
	v_cmp_gt_i32_e64 s0, s53, v56
	s_wait_alu 0xf1ff
	s_delay_alu instid0(VALU_DEP_1) | instskip(SKIP_2) | instid1(VALU_DEP_1)
	v_cndmask_b32_e64 v85, 0, v85, s0
	v_cmp_gt_i32_e64 s0, s53, v55
	s_wait_alu 0xf1ff
	v_cndmask_b32_e64 v86, 0, v86, s0
	;; [unrolled: 7-line block ×4, first 2 shown]
.LBB330_45:                             ;   in Loop: Header=BB330_33 Depth=1
	s_wait_alu 0xfffe
	s_or_b32 exec_lo, exec_lo, s5
	global_load_b64 v[67:68], v[13:14], off offset:1536
	s_wait_loadcnt 0x0
	v_bfe_u32 v89, v68, 8, 8
	v_bfe_u32 v72, v67, 8, 8
	;; [unrolled: 1-line block ×4, first 2 shown]
	s_delay_alu instid0(VALU_DEP_4)
	v_cvt_f32_fp8_e32 v89, v89
	v_and_b32_e32 v70, 0xff, v67
	v_cvt_f32_fp8_e32 v72, v72
	v_lshrrev_b32_e32 v67, 24, v67
	v_cvt_f32_fp8_e32 v74, v74
	v_mul_f32_e32 v89, s2, v89
	v_cvt_f32_fp8_e32 v70, v70
	v_mul_f32_e32 v72, s2, v72
	v_cvt_f32_fp8_e32 v67, v67
	v_and_b32_e32 v76, 0xff, v68
	v_mul_f32_e32 v74, s2, v74
	v_mul_f32_e32 v70, s2, v70
	v_bfe_u32 v93, v72, 16, 1
	v_mul_f32_e32 v67, s2, v67
	v_cvt_f32_fp8_e32 v76, v76
	v_or_b32_e32 v94, 0x400000, v72
	v_bfe_u32 v91, v70, 16, 1
	v_or_b32_e32 v92, 0x400000, v70
	v_cmp_u_f32_e64 s0, v70, v70
	v_bfe_u32 v95, v74, 16, 1
	v_add3_u32 v93, v93, v72, 0x7fff
	v_add3_u32 v91, v91, v70, 0x7fff
	v_mul_f32_e32 v76, s2, v76
	v_or_b32_e32 v96, 0x400000, v74
	v_bfe_u32 v97, v67, 16, 1
	v_add3_u32 v95, v95, v74, 0x7fff
	s_wait_alu 0xf1ff
	v_cndmask_b32_e64 v70, v91, v92, s0
	v_cmp_u_f32_e64 s0, v72, v72
	v_lshrrev_b32_e32 v68, 24, v68
	v_cvt_f32_fp8_e32 v90, v90
	v_or_b32_e32 v98, 0x400000, v67
	v_bfe_u32 v99, v76, 16, 1
	s_wait_alu 0xf1ff
	v_cndmask_b32_e64 v72, v93, v94, s0
	v_cmp_u_f32_e64 s0, v74, v74
	v_add3_u32 v97, v97, v67, 0x7fff
	v_cvt_f32_fp8_e32 v68, v68
	v_mul_f32_e32 v90, s2, v90
	v_or_b32_e32 v100, 0x400000, v76
	s_wait_alu 0xf1ff
	v_cndmask_b32_e64 v74, v95, v96, s0
	v_cmp_u_f32_e64 s0, v67, v67
	v_bfe_u32 v101, v89, 16, 1
	v_add3_u32 v99, v99, v76, 0x7fff
	v_mul_f32_e32 v68, s2, v68
	v_or_b32_e32 v102, 0x400000, v89
	s_wait_alu 0xf1ff
	v_cndmask_b32_e64 v67, v97, v98, s0
	v_cmp_u_f32_e64 s0, v76, v76
	v_bfe_u32 v103, v90, 16, 1
	v_add3_u32 v101, v101, v89, 0x7fff
	v_or_b32_e32 v104, 0x400000, v90
	v_bfe_u32 v105, v68, 16, 1
	s_wait_alu 0xf1ff
	v_cndmask_b32_e64 v76, v99, v100, s0
	v_cmp_u_f32_e64 s0, v89, v89
	v_add3_u32 v103, v103, v90, 0x7fff
	v_or_b32_e32 v106, 0x400000, v68
	v_add3_u32 v105, v105, v68, 0x7fff
	v_lshrrev_b32_e32 v95, 16, v70
	s_wait_alu 0xf1ff
	v_cndmask_b32_e64 v89, v101, v102, s0
	v_cmp_u_f32_e64 s0, v90, v90
	v_lshrrev_b32_e32 v96, 16, v72
	v_lshrrev_b32_e32 v93, 16, v74
	;; [unrolled: 1-line block ×4, first 2 shown]
	s_wait_alu 0xf1ff
	v_cndmask_b32_e64 v90, v103, v104, s0
	v_cmp_u_f32_e64 s0, v68, v68
	v_lshrrev_b32_e32 v92, 16, v89
	s_delay_alu instid0(VALU_DEP_3) | instskip(SKIP_1) | instid1(VALU_DEP_3)
	v_lshrrev_b32_e32 v89, 16, v90
	s_wait_alu 0xf1ff
	v_cndmask_b32_e64 v68, v105, v106, s0
	s_delay_alu instid0(VALU_DEP_1)
	v_lshrrev_b32_e32 v90, 16, v68
	s_and_saveexec_b32 s5, vcc_lo
	s_cbranch_execz .LBB330_47
; %bb.46:                               ;   in Loop: Header=BB330_33 Depth=1
	v_cmp_gt_i32_e64 s0, s53, v52
	s_wait_alu 0xf1ff
	s_delay_alu instid0(VALU_DEP_1) | instskip(SKIP_2) | instid1(VALU_DEP_1)
	v_cndmask_b32_e64 v95, 0, v95, s0
	v_cmp_gt_i32_e64 s0, s53, v57
	s_wait_alu 0xf1ff
	v_cndmask_b32_e64 v96, 0, v96, s0
	v_cmp_gt_i32_e64 s0, s53, v56
	s_wait_alu 0xf1ff
	s_delay_alu instid0(VALU_DEP_1) | instskip(SKIP_2) | instid1(VALU_DEP_1)
	v_cndmask_b32_e64 v93, 0, v93, s0
	v_cmp_gt_i32_e64 s0, s53, v55
	s_wait_alu 0xf1ff
	v_cndmask_b32_e64 v94, 0, v94, s0
	v_cmp_gt_i32_e64 s0, s53, v54
	s_wait_alu 0xf1ff
	s_delay_alu instid0(VALU_DEP_1) | instskip(SKIP_2) | instid1(VALU_DEP_1)
	v_cndmask_b32_e64 v91, 0, v91, s0
	v_cmp_gt_i32_e64 s0, s53, v53
	s_wait_alu 0xf1ff
	v_cndmask_b32_e64 v92, 0, v92, s0
	v_cmp_gt_i32_e64 s0, s53, v58
	s_wait_alu 0xf1ff
	s_delay_alu instid0(VALU_DEP_1) | instskip(SKIP_2) | instid1(VALU_DEP_1)
	v_cndmask_b32_e64 v89, 0, v89, s0
	v_cmp_gt_i32_e64 s0, s53, v26
	s_wait_alu 0xf1ff
	v_cndmask_b32_e64 v90, 0, v90, s0
.LBB330_47:                             ;   in Loop: Header=BB330_33 Depth=1
	s_wait_alu 0xfffe
	s_or_b32 exec_lo, exec_lo, s5
	global_load_b64 v[13:14], v[13:14], off offset:1792
	s_wait_loadcnt 0x0
	v_bfe_u32 v68, v13, 8, 8
	v_bfe_u32 v70, v13, 16, 8
	;; [unrolled: 1-line block ×4, first 2 shown]
	s_delay_alu instid0(VALU_DEP_4)
	v_cvt_f32_fp8_e32 v68, v68
	v_and_b32_e32 v67, 0xff, v13
	v_lshrrev_b32_e32 v13, 24, v13
	v_cvt_f32_fp8_e32 v70, v70
	v_cvt_f32_fp8_e32 v74, v74
	v_mul_f32_e32 v68, s2, v68
	v_cvt_f32_fp8_e32 v67, v67
	v_and_b32_e32 v72, 0xff, v14
	v_cvt_f32_fp8_e32 v13, v13
	v_mul_f32_e32 v70, s2, v70
	v_bfe_u32 v99, v68, 16, 1
	v_mul_f32_e32 v67, s2, v67
	v_cvt_f32_fp8_e32 v72, v72
	v_mul_f32_e32 v13, s2, v13
	v_or_b32_e32 v100, 0x400000, v68
	v_bfe_u32 v101, v70, 16, 1
	v_bfe_u32 v97, v67, 16, 1
	v_or_b32_e32 v98, 0x400000, v67
	v_cmp_u_f32_e64 s0, v67, v67
	v_add3_u32 v99, v99, v68, 0x7fff
	v_mul_f32_e32 v72, s2, v72
	v_add3_u32 v97, v97, v67, 0x7fff
	v_or_b32_e32 v102, 0x400000, v70
	v_bfe_u32 v103, v13, 16, 1
	v_add3_u32 v101, v101, v70, 0x7fff
	v_lshrrev_b32_e32 v14, 24, v14
	s_wait_alu 0xf1ff
	v_cndmask_b32_e64 v67, v97, v98, s0
	v_cmp_u_f32_e64 s0, v68, v68
	v_cvt_f32_fp8_e32 v76, v76
	v_mul_f32_e32 v74, s2, v74
	v_or_b32_e32 v104, 0x400000, v13
	v_bfe_u32 v105, v72, 16, 1
	s_wait_alu 0xf1ff
	v_cndmask_b32_e64 v68, v99, v100, s0
	v_cmp_u_f32_e64 s0, v70, v70
	v_add3_u32 v103, v103, v13, 0x7fff
	v_cvt_f32_fp8_e32 v14, v14
	v_mul_f32_e32 v76, s2, v76
	v_or_b32_e32 v106, 0x400000, v72
	s_wait_alu 0xf1ff
	v_cndmask_b32_e64 v70, v101, v102, s0
	v_cmp_u_f32_e64 s0, v13, v13
	v_bfe_u32 v107, v74, 16, 1
	v_add3_u32 v105, v105, v72, 0x7fff
	v_mul_f32_e32 v14, s2, v14
	v_or_b32_e32 v108, 0x400000, v74
	s_wait_alu 0xf1ff
	v_cndmask_b32_e64 v13, v103, v104, s0
	v_cmp_u_f32_e64 s0, v72, v72
	v_bfe_u32 v109, v76, 16, 1
	v_add3_u32 v107, v107, v74, 0x7fff
	v_or_b32_e32 v110, 0x400000, v76
	v_bfe_u32 v111, v14, 16, 1
	s_wait_alu 0xf1ff
	v_cndmask_b32_e64 v97, v105, v106, s0
	v_cmp_u_f32_e64 s0, v74, v74
	v_add3_u32 v109, v109, v76, 0x7fff
	v_or_b32_e32 v112, 0x400000, v14
	v_add3_u32 v111, v111, v14, 0x7fff
	v_lshrrev_b32_e32 v74, 16, v68
	s_wait_alu 0xf1ff
	v_cndmask_b32_e64 v98, v107, v108, s0
	v_cmp_u_f32_e64 s0, v76, v76
	v_lshrrev_b32_e32 v76, 16, v67
	v_lshrrev_b32_e32 v72, 16, v70
	;; [unrolled: 1-line block ×4, first 2 shown]
	s_wait_alu 0xf1ff
	v_cndmask_b32_e64 v99, v109, v110, s0
	v_cmp_u_f32_e64 s0, v14, v14
	v_lshrrev_b32_e32 v67, 16, v98
	s_delay_alu instid0(VALU_DEP_3) | instskip(SKIP_1) | instid1(VALU_DEP_3)
	v_lshrrev_b32_e32 v14, 16, v99
	s_wait_alu 0xf1ff
	v_cndmask_b32_e64 v100, v111, v112, s0
	s_delay_alu instid0(VALU_DEP_1)
	v_lshrrev_b32_e32 v13, 16, v100
	s_and_saveexec_b32 s0, vcc_lo
	s_cbranch_execz .LBB330_32
; %bb.48:                               ;   in Loop: Header=BB330_33 Depth=1
	v_cmp_gt_i32_e32 vcc_lo, s53, v52
	s_wait_alu 0xfffd
	v_cndmask_b32_e32 v76, 0, v76, vcc_lo
	v_cmp_gt_i32_e32 vcc_lo, s53, v57
	s_wait_alu 0xfffd
	v_cndmask_b32_e32 v74, 0, v74, vcc_lo
	;; [unrolled: 3-line block ×8, first 2 shown]
	s_branch .LBB330_32
.LBB330_49:
	s_or_b32 exec_lo, exec_lo, s4
.LBB330_50:
	s_wait_alu 0xfffe
	s_or_b32 exec_lo, exec_lo, s1
	v_lshl_add_u32 v2, v18, 2, 0x220
	v_and_b32_e32 v3, 0x3c0, v0
	s_mov_b32 s0, exec_lo
	s_wait_loadcnt 0x0
	s_wait_storecnt 0x0
	s_barrier_signal -1
	v_lshl_add_u32 v1, v15, 10, v2
	s_barrier_wait -1
	global_inv scope:SCOPE_SE
	v_cmpx_eq_u32_e32 64, v3
	s_cbranch_execz .LBB330_52
; %bb.51:
	v_add_nc_u32_e32 v3, 0xfffff800, v1
	v_add_nc_u32_e32 v4, 0xfffff880, v1
	;; [unrolled: 1-line block ×8, first 2 shown]
	ds_store_b32 v3, v25
	ds_store_b32 v4, v24
	;; [unrolled: 1-line block ×8, first 2 shown]
.LBB330_52:
	s_wait_alu 0xfffe
	s_or_b32 exec_lo, exec_lo, s0
	s_delay_alu instid0(SALU_CYCLE_1)
	s_mov_b32 s0, exec_lo
	s_wait_loadcnt_dscnt 0x0
	s_barrier_signal -1
	s_barrier_wait -1
	global_inv scope:SCOPE_SE
	v_cmpx_gt_u32_e32 64, v0
	s_cbranch_execz .LBB330_54
; %bb.53:
	ds_load_2addr_b32 v[3:4], v1 offset1:32
	ds_load_2addr_b32 v[5:6], v1 offset0:64 offset1:96
	ds_load_2addr_b32 v[7:8], v1 offset0:128 offset1:160
	ds_load_2addr_b32 v[9:10], v1 offset0:192 offset1:224
	s_wait_dscnt 0x3
	v_dual_add_f32 v25, v25, v3 :: v_dual_add_f32 v24, v24, v4
	s_wait_dscnt 0x2
	v_dual_add_f32 v23, v23, v5 :: v_dual_add_f32 v22, v22, v6
	;; [unrolled: 2-line block ×3, first 2 shown]
	s_wait_dscnt 0x0
	v_add_f32_e32 v19, v19, v9
	v_add_f32_e32 v17, v17, v10
.LBB330_54:
	s_wait_alu 0xfffe
	s_or_b32 exec_lo, exec_lo, s0
	v_and_b32_e32 v3, 0x3e0, v0
	s_mov_b32 s0, exec_lo
	s_wait_loadcnt 0x0
	s_barrier_signal -1
	s_barrier_wait -1
	global_inv scope:SCOPE_SE
	v_cmpx_eq_u32_e32 32, v3
	s_cbranch_execz .LBB330_56
; %bb.55:
	ds_store_2addr_b32 v2, v25, v24 offset1:32
	ds_store_2addr_b32 v2, v23, v22 offset0:64 offset1:96
	ds_store_2addr_b32 v2, v21, v20 offset0:128 offset1:160
	;; [unrolled: 1-line block ×3, first 2 shown]
.LBB330_56:
	s_wait_alu 0xfffe
	s_or_b32 exec_lo, exec_lo, s0
	v_cmp_gt_u32_e32 vcc_lo, 32, v0
	s_wait_loadcnt_dscnt 0x0
	s_barrier_signal -1
	s_barrier_wait -1
	global_inv scope:SCOPE_SE
	s_and_saveexec_b32 s0, vcc_lo
	s_cbranch_execz .LBB330_58
; %bb.57:
	ds_load_2addr_b32 v[2:3], v1 offset1:32
	ds_load_2addr_b32 v[4:5], v1 offset0:64 offset1:96
	ds_load_2addr_b32 v[6:7], v1 offset0:128 offset1:160
	ds_load_2addr_b32 v[8:9], v1 offset0:192 offset1:224
	s_wait_dscnt 0x3
	v_dual_add_f32 v25, v25, v2 :: v_dual_add_f32 v24, v24, v3
	s_wait_dscnt 0x2
	v_dual_add_f32 v23, v23, v4 :: v_dual_add_f32 v22, v22, v5
	;; [unrolled: 2-line block ×3, first 2 shown]
	s_wait_dscnt 0x0
	v_add_f32_e32 v19, v19, v8
	v_add_f32_e32 v17, v17, v9
.LBB330_58:
	s_wait_alu 0xfffe
	s_or_b32 exec_lo, exec_lo, s0
	s_wait_loadcnt 0x0
	s_barrier_signal -1
	s_barrier_wait -1
	global_inv scope:SCOPE_SE
	s_and_saveexec_b32 s0, vcc_lo
	s_cbranch_execz .LBB330_60
; %bb.59:
	v_bfe_u32 v1, v25, 16, 1
	v_bfe_u32 v2, v24, 16, 1
	v_or_b32_e32 v3, 0x400000, v25
	v_cmp_u_f32_e32 vcc_lo, v25, v25
	v_or_b32_e32 v4, 0x400000, v24
	v_add3_u32 v1, v1, v25, 0x7fff
	v_lshlrev_b32_e32 v0, 1, v0
	v_add3_u32 v2, v2, v24, 0x7fff
	v_bfe_u32 v5, v23, 16, 1
	v_or_b32_e32 v7, 0x400000, v22
	s_wait_alu 0xfffd
	v_cndmask_b32_e32 v1, v1, v3, vcc_lo
	v_bfe_u32 v3, v22, 16, 1
	v_cmp_u_f32_e32 vcc_lo, v24, v24
	v_bfe_u32 v6, v21, 16, 1
	v_bfe_u32 v8, v19, 16, 1
	v_or_b32_e32 v9, 0x400000, v20
	v_add3_u32 v3, v3, v22, 0x7fff
	s_wait_alu 0xfffd
	v_cndmask_b32_e32 v2, v2, v4, vcc_lo
	v_add3_u32 v4, v5, v23, 0x7fff
	v_or_b32_e32 v5, 0x400000, v23
	v_cmp_u_f32_e32 vcc_lo, v23, v23
	s_lshl_b32 s0, s10, 8
	s_mul_i32 s2, s48, s54
	s_wait_alu 0xfffe
	s_ashr_i32 s1, s0, 31
	v_add3_u32 v8, v8, v19, 0x7fff
	s_wait_alu 0xfffd
	v_cndmask_b32_e32 v4, v4, v5, vcc_lo
	v_cmp_u_f32_e32 vcc_lo, v22, v22
	v_add3_u32 v5, v6, v21, 0x7fff
	v_or_b32_e32 v6, 0x400000, v21
	v_or_b32_e32 v10, 0x400000, v19
	s_ashr_i32 s3, s2, 31
	s_wait_alu 0xfffd
	v_cndmask_b32_e32 v3, v3, v7, vcc_lo
	v_bfe_u32 v7, v20, 16, 1
	v_cmp_u_f32_e32 vcc_lo, v21, v21
	s_wait_alu 0xfffe
	s_lshl_b64 s[0:1], s[0:1], 1
	s_lshl_b64 s[2:3], s[2:3], 1
	s_wait_alu 0xfffe
	s_add_nc_u64 s[0:1], s[8:9], s[0:1]
	v_add3_u32 v7, v7, v20, 0x7fff
	s_wait_alu 0xfffd
	v_cndmask_b32_e32 v5, v5, v6, vcc_lo
	v_cmp_u_f32_e32 vcc_lo, v20, v20
	v_bfe_u32 v6, v17, 16, 1
	v_or_b32_e32 v11, 0x400000, v17
	s_wait_alu 0xfffe
	s_add_nc_u64 s[0:1], s[0:1], s[2:3]
	s_mov_b32 s53, 0
	s_wait_alu 0xfffd
	v_cndmask_b32_e32 v7, v7, v9, vcc_lo
	v_cmp_u_f32_e32 vcc_lo, v19, v19
	v_add3_u32 v6, v6, v17, 0x7fff
	s_wait_alu 0xfffe
	s_add_nc_u64 s[0:1], s[0:1], s[52:53]
	s_wait_alu 0xfffd
	v_cndmask_b32_e32 v8, v8, v10, vcc_lo
	v_cmp_u_f32_e32 vcc_lo, v17, v17
	s_wait_alu 0xfffd
	v_cndmask_b32_e32 v6, v6, v11, vcc_lo
	s_clause 0x7
	global_store_d16_hi_b16 v0, v1, s[0:1]
	global_store_d16_hi_b16 v0, v2, s[0:1] offset:64
	global_store_d16_hi_b16 v0, v4, s[0:1] offset:128
	;; [unrolled: 1-line block ×7, first 2 shown]
.LBB330_60:
	s_nop 0
	s_sendmsg sendmsg(MSG_DEALLOC_VGPRS)
	s_endpgm
	.section	.rodata,"a",@progbits
	.p2align	6, 0x0
	.amdhsa_kernel _ZN4vllm25paged_attention_v2_kernelI14__hip_bfloat16hLi256ELi8ELi128ELNS_18Fp8KVCacheDataTypeE1ELb0ELi512EEEvPfS3_PT_PKS4_PKT0_SA_ifPKiSC_iPKfiiiSE_SE_iiiii
		.amdhsa_group_segment_fixed_size 544
		.amdhsa_private_segment_fixed_size 0
		.amdhsa_kernarg_size 400
		.amdhsa_user_sgpr_count 2
		.amdhsa_user_sgpr_dispatch_ptr 0
		.amdhsa_user_sgpr_queue_ptr 0
		.amdhsa_user_sgpr_kernarg_segment_ptr 1
		.amdhsa_user_sgpr_dispatch_id 0
		.amdhsa_user_sgpr_private_segment_size 0
		.amdhsa_wavefront_size32 1
		.amdhsa_uses_dynamic_stack 0
		.amdhsa_enable_private_segment 0
		.amdhsa_system_sgpr_workgroup_id_x 1
		.amdhsa_system_sgpr_workgroup_id_y 1
		.amdhsa_system_sgpr_workgroup_id_z 1
		.amdhsa_system_sgpr_workgroup_info 0
		.amdhsa_system_vgpr_workitem_id 0
		.amdhsa_next_free_vgpr 192
		.amdhsa_next_free_sgpr 71
		.amdhsa_reserve_vcc 1
		.amdhsa_float_round_mode_32 0
		.amdhsa_float_round_mode_16_64 0
		.amdhsa_float_denorm_mode_32 3
		.amdhsa_float_denorm_mode_16_64 3
		.amdhsa_fp16_overflow 0
		.amdhsa_workgroup_processor_mode 1
		.amdhsa_memory_ordered 1
		.amdhsa_forward_progress 1
		.amdhsa_inst_pref_size 161
		.amdhsa_round_robin_scheduling 0
		.amdhsa_exception_fp_ieee_invalid_op 0
		.amdhsa_exception_fp_denorm_src 0
		.amdhsa_exception_fp_ieee_div_zero 0
		.amdhsa_exception_fp_ieee_overflow 0
		.amdhsa_exception_fp_ieee_underflow 0
		.amdhsa_exception_fp_ieee_inexact 0
		.amdhsa_exception_int_div_zero 0
	.end_amdhsa_kernel
	.section	.text._ZN4vllm25paged_attention_v2_kernelI14__hip_bfloat16hLi256ELi8ELi128ELNS_18Fp8KVCacheDataTypeE1ELb0ELi512EEEvPfS3_PT_PKS4_PKT0_SA_ifPKiSC_iPKfiiiSE_SE_iiiii,"axG",@progbits,_ZN4vllm25paged_attention_v2_kernelI14__hip_bfloat16hLi256ELi8ELi128ELNS_18Fp8KVCacheDataTypeE1ELb0ELi512EEEvPfS3_PT_PKS4_PKT0_SA_ifPKiSC_iPKfiiiSE_SE_iiiii,comdat
.Lfunc_end330:
	.size	_ZN4vllm25paged_attention_v2_kernelI14__hip_bfloat16hLi256ELi8ELi128ELNS_18Fp8KVCacheDataTypeE1ELb0ELi512EEEvPfS3_PT_PKS4_PKT0_SA_ifPKiSC_iPKfiiiSE_SE_iiiii, .Lfunc_end330-_ZN4vllm25paged_attention_v2_kernelI14__hip_bfloat16hLi256ELi8ELi128ELNS_18Fp8KVCacheDataTypeE1ELb0ELi512EEEvPfS3_PT_PKS4_PKT0_SA_ifPKiSC_iPKfiiiSE_SE_iiiii
                                        ; -- End function
	.set _ZN4vllm25paged_attention_v2_kernelI14__hip_bfloat16hLi256ELi8ELi128ELNS_18Fp8KVCacheDataTypeE1ELb0ELi512EEEvPfS3_PT_PKS4_PKT0_SA_ifPKiSC_iPKfiiiSE_SE_iiiii.num_vgpr, 192
	.set _ZN4vllm25paged_attention_v2_kernelI14__hip_bfloat16hLi256ELi8ELi128ELNS_18Fp8KVCacheDataTypeE1ELb0ELi512EEEvPfS3_PT_PKS4_PKT0_SA_ifPKiSC_iPKfiiiSE_SE_iiiii.num_agpr, 0
	.set _ZN4vllm25paged_attention_v2_kernelI14__hip_bfloat16hLi256ELi8ELi128ELNS_18Fp8KVCacheDataTypeE1ELb0ELi512EEEvPfS3_PT_PKS4_PKT0_SA_ifPKiSC_iPKfiiiSE_SE_iiiii.numbered_sgpr, 71
	.set _ZN4vllm25paged_attention_v2_kernelI14__hip_bfloat16hLi256ELi8ELi128ELNS_18Fp8KVCacheDataTypeE1ELb0ELi512EEEvPfS3_PT_PKS4_PKT0_SA_ifPKiSC_iPKfiiiSE_SE_iiiii.num_named_barrier, 0
	.set _ZN4vllm25paged_attention_v2_kernelI14__hip_bfloat16hLi256ELi8ELi128ELNS_18Fp8KVCacheDataTypeE1ELb0ELi512EEEvPfS3_PT_PKS4_PKT0_SA_ifPKiSC_iPKfiiiSE_SE_iiiii.private_seg_size, 0
	.set _ZN4vllm25paged_attention_v2_kernelI14__hip_bfloat16hLi256ELi8ELi128ELNS_18Fp8KVCacheDataTypeE1ELb0ELi512EEEvPfS3_PT_PKS4_PKT0_SA_ifPKiSC_iPKfiiiSE_SE_iiiii.uses_vcc, 1
	.set _ZN4vllm25paged_attention_v2_kernelI14__hip_bfloat16hLi256ELi8ELi128ELNS_18Fp8KVCacheDataTypeE1ELb0ELi512EEEvPfS3_PT_PKS4_PKT0_SA_ifPKiSC_iPKfiiiSE_SE_iiiii.uses_flat_scratch, 0
	.set _ZN4vllm25paged_attention_v2_kernelI14__hip_bfloat16hLi256ELi8ELi128ELNS_18Fp8KVCacheDataTypeE1ELb0ELi512EEEvPfS3_PT_PKS4_PKT0_SA_ifPKiSC_iPKfiiiSE_SE_iiiii.has_dyn_sized_stack, 0
	.set _ZN4vllm25paged_attention_v2_kernelI14__hip_bfloat16hLi256ELi8ELi128ELNS_18Fp8KVCacheDataTypeE1ELb0ELi512EEEvPfS3_PT_PKS4_PKT0_SA_ifPKiSC_iPKfiiiSE_SE_iiiii.has_recursion, 0
	.set _ZN4vllm25paged_attention_v2_kernelI14__hip_bfloat16hLi256ELi8ELi128ELNS_18Fp8KVCacheDataTypeE1ELb0ELi512EEEvPfS3_PT_PKS4_PKT0_SA_ifPKiSC_iPKfiiiSE_SE_iiiii.has_indirect_call, 0
	.section	.AMDGPU.csdata,"",@progbits
; Kernel info:
; codeLenInByte = 20504
; TotalNumSgprs: 73
; NumVgprs: 192
; ScratchSize: 0
; MemoryBound: 0
; FloatMode: 240
; IeeeMode: 1
; LDSByteSize: 544 bytes/workgroup (compile time only)
; SGPRBlocks: 0
; VGPRBlocks: 23
; NumSGPRsForWavesPerEU: 73
; NumVGPRsForWavesPerEU: 192
; Occupancy: 8
; WaveLimiterHint : 1
; COMPUTE_PGM_RSRC2:SCRATCH_EN: 0
; COMPUTE_PGM_RSRC2:USER_SGPR: 2
; COMPUTE_PGM_RSRC2:TRAP_HANDLER: 0
; COMPUTE_PGM_RSRC2:TGID_X_EN: 1
; COMPUTE_PGM_RSRC2:TGID_Y_EN: 1
; COMPUTE_PGM_RSRC2:TGID_Z_EN: 1
; COMPUTE_PGM_RSRC2:TIDIG_COMP_CNT: 0
	.section	.text._ZN4vllm25paged_attention_v2_kernelI14__hip_bfloat16hLi32ELi16ELi128ELNS_18Fp8KVCacheDataTypeE1ELb1ELi512EEEvPfS3_PT_PKS4_PKT0_SA_ifPKiSC_iPKfiiiSE_SE_iiiii,"axG",@progbits,_ZN4vllm25paged_attention_v2_kernelI14__hip_bfloat16hLi32ELi16ELi128ELNS_18Fp8KVCacheDataTypeE1ELb1ELi512EEEvPfS3_PT_PKS4_PKT0_SA_ifPKiSC_iPKfiiiSE_SE_iiiii,comdat
	.protected	_ZN4vllm25paged_attention_v2_kernelI14__hip_bfloat16hLi32ELi16ELi128ELNS_18Fp8KVCacheDataTypeE1ELb1ELi512EEEvPfS3_PT_PKS4_PKT0_SA_ifPKiSC_iPKfiiiSE_SE_iiiii ; -- Begin function _ZN4vllm25paged_attention_v2_kernelI14__hip_bfloat16hLi32ELi16ELi128ELNS_18Fp8KVCacheDataTypeE1ELb1ELi512EEEvPfS3_PT_PKS4_PKT0_SA_ifPKiSC_iPKfiiiSE_SE_iiiii
	.globl	_ZN4vllm25paged_attention_v2_kernelI14__hip_bfloat16hLi32ELi16ELi128ELNS_18Fp8KVCacheDataTypeE1ELb1ELi512EEEvPfS3_PT_PKS4_PKT0_SA_ifPKiSC_iPKfiiiSE_SE_iiiii
	.p2align	8
	.type	_ZN4vllm25paged_attention_v2_kernelI14__hip_bfloat16hLi32ELi16ELi128ELNS_18Fp8KVCacheDataTypeE1ELb1ELi512EEEvPfS3_PT_PKS4_PKT0_SA_ifPKiSC_iPKfiiiSE_SE_iiiii,@function
_ZN4vllm25paged_attention_v2_kernelI14__hip_bfloat16hLi32ELi16ELi128ELNS_18Fp8KVCacheDataTypeE1ELb1ELi512EEEvPfS3_PT_PKS4_PKT0_SA_ifPKiSC_iPKfiiiSE_SE_iiiii: ; @_ZN4vllm25paged_attention_v2_kernelI14__hip_bfloat16hLi32ELi16ELi128ELNS_18Fp8KVCacheDataTypeE1ELb1ELi512EEEvPfS3_PT_PKS4_PKT0_SA_ifPKiSC_iPKfiiiSE_SE_iiiii
; %bb.0:
	s_load_b64 s[2:3], s[0:1], 0x40
	s_and_b32 s19, ttmp7, 0xffff
	s_lshr_b32 s35, ttmp7, 16
	s_lshl_b32 s4, s19, 2
	s_lshl_b32 s37, s35, 9
	s_wait_kmcnt 0x0
	s_load_b32 s33, s[2:3], s4 offset:0x0
	s_wait_kmcnt 0x0
	s_cmp_ge_i32 s37, s33
	s_cbranch_scc1 .LBB331_66
; %bb.1:
	s_clause 0x1
	s_load_b32 s36, s[0:1], 0x90
	s_load_b64 s[6:7], s[0:1], 0x30
	s_wait_kmcnt 0x0
	s_abs_i32 s5, s36
	s_abs_i32 s2, s6
	s_delay_alu instid0(SALU_CYCLE_1) | instskip(SKIP_1) | instid1(SALU_CYCLE_2)
	s_cvt_f32_u32 s3, s2
	s_sub_co_i32 s4, 0, s2
	v_rcp_iflag_f32_e32 v1, s3
	s_delay_alu instid0(TRANS32_DEP_1) | instskip(SKIP_2) | instid1(SALU_CYCLE_2)
	v_readfirstlane_b32 s3, v1
	s_mul_f32 s3, s3, 0x4f7ffffe
	s_wait_alu 0xfffe
	s_cvt_u32_f32 s3, s3
	s_wait_alu 0xfffe
	s_delay_alu instid0(SALU_CYCLE_2) | instskip(NEXT) | instid1(SALU_CYCLE_1)
	s_mul_i32 s4, s4, s3
	s_mul_hi_u32 s4, s3, s4
	s_delay_alu instid0(SALU_CYCLE_1)
	s_add_co_i32 s3, s3, s4
	s_xor_b32 s4, s36, s6
	s_wait_alu 0xfffe
	s_mul_hi_u32 s3, s5, s3
	s_ashr_i32 s4, s4, 31
	s_wait_alu 0xfffe
	s_mul_i32 s8, s3, s2
	s_delay_alu instid0(SALU_CYCLE_1)
	s_sub_co_i32 s5, s5, s8
	s_add_co_i32 s8, s3, 1
	s_sub_co_i32 s9, s5, s2
	s_cmp_ge_u32 s5, s2
	s_cselect_b32 s3, s8, s3
	s_cselect_b32 s5, s9, s5
	s_wait_alu 0xfffe
	s_add_co_i32 s8, s3, 1
	s_cmp_ge_u32 s5, s2
	s_cselect_b32 s2, s8, s3
	s_load_b64 s[8:9], s[0:1], 0x50
	s_xor_b32 s2, s2, s4
	s_mov_b32 s3, 0
	s_wait_alu 0xfffe
	s_sub_co_i32 s11, s2, s4
	s_mov_b32 s30, s3
	s_abs_i32 s10, s11
	s_delay_alu instid0(SALU_CYCLE_1) | instskip(SKIP_1) | instid1(SALU_CYCLE_2)
	s_cvt_f32_u32 s2, s10
	s_wait_alu 0xfffe
	v_rcp_iflag_f32_e32 v1, s2
	s_delay_alu instid0(TRANS32_DEP_1) | instskip(SKIP_2) | instid1(SALU_CYCLE_2)
	v_readfirstlane_b32 s2, v1
	s_mul_f32 s2, s2, 0x4f7ffffe
	s_wait_alu 0xfffe
	s_cvt_u32_f32 s4, s2
	s_sub_co_i32 s2, 0, s10
	s_wait_alu 0xfffe
	s_delay_alu instid0(SALU_CYCLE_1)
	s_mul_i32 s2, s2, s4
	s_wait_alu 0xfffe
	s_mul_hi_u32 s5, s4, s2
	s_abs_i32 s2, ttmp9
	s_add_co_i32 s4, s4, s5
	s_mov_b32 s5, s3
	s_wait_kmcnt 0x0
	s_cmp_eq_u64 s[8:9], 0
	s_cbranch_scc1 .LBB331_3
; %bb.2:
	s_mov_b32 s12, ttmp9
	s_ashr_i32 s13, ttmp9, 31
	s_delay_alu instid0(SALU_CYCLE_1) | instskip(NEXT) | instid1(SALU_CYCLE_1)
	s_lshl_b64 s[12:13], s[12:13], 2
	s_add_nc_u64 s[8:9], s[8:9], s[12:13]
	s_load_b32 s30, s[8:9], 0x0
.LBB331_3:
	s_load_b96 s[16:18], s[0:1], 0x58
	v_lshrrev_b32_e32 v15, 1, v0
	v_and_b32_e32 v16, 1, v0
	v_lshlrev_b32_e32 v5, 3, v0
	s_mul_u64 s[4:5], s[2:3], s[4:5]
	s_ashr_i32 s3, ttmp9, 31
	s_ashr_i32 s4, s11, 31
	s_lshl_b32 s20, ttmp9, 5
	s_mov_b32 s8, exec_lo
	v_cmpx_gt_u32_e32 8, v0
	s_cbranch_execz .LBB331_5
; %bb.4:
	s_load_b64 s[12:13], s[0:1], 0x18
	s_wait_kmcnt 0x0
	s_mul_i32 s14, s16, s19
	s_ashr_i32 s21, s20, 31
	s_ashr_i32 s15, s14, 31
	v_lshlrev_b32_e32 v3, 3, v15
	s_lshl_b64 s[14:15], s[14:15], 1
	s_delay_alu instid0(VALU_DEP_1) | instskip(SKIP_2) | instid1(SALU_CYCLE_1)
	v_lshl_add_u32 v3, v16, 5, v3
	s_add_nc_u64 s[12:13], s[12:13], s[14:15]
	s_lshl_b64 s[14:15], s[20:21], 1
	s_add_nc_u64 s[12:13], s[12:13], s[14:15]
	global_load_b64 v[1:2], v5, s[12:13]
	s_wait_loadcnt 0x0
	ds_store_b64 v3, v[1:2]
.LBB331_5:
	s_or_b32 exec_lo, exec_lo, s8
	s_load_b128 s[12:15], s[0:1], 0x78
	s_mul_i32 s8, s5, s10
	s_xor_b32 s3, s3, s4
	s_sub_co_i32 s2, s2, s8
	s_add_co_i32 s4, s5, 1
	s_wait_alu 0xfffe
	s_sub_co_i32 s8, s2, s10
	s_cmp_ge_u32 s2, s10
                                        ; implicit-def: $sgpr21
	s_cselect_b32 s4, s4, s5
	s_cselect_b32 s2, s8, s2
	s_add_co_i32 s5, s4, 1
	s_wait_alu 0xfffe
	s_cmp_ge_u32 s2, s10
	s_load_b32 s8, s[0:1], 0x88
	s_cselect_b32 s2, s5, s4
	s_add_co_i32 s9, s33, -1
	s_wait_alu 0xfffe
	s_xor_b32 s2, s2, s3
	s_mov_b32 s10, -1
	s_wait_alu 0xfffe
	s_sub_co_i32 s28, s2, s3
	s_wait_dscnt 0x0
	s_barrier_signal -1
	s_wait_kmcnt 0x0
	s_abs_i32 s16, s15
	s_barrier_wait -1
	s_cvt_f32_u32 s4, s16
	global_inv scope:SCOPE_SE
	v_rcp_iflag_f32_e32 v1, s4
	s_delay_alu instid0(TRANS32_DEP_1) | instskip(SKIP_2) | instid1(SALU_CYCLE_2)
	v_readfirstlane_b32 s4, v1
	s_mul_f32 s2, s4, 0x4f7ffffe
	s_wait_alu 0xfffe
	s_cvt_u32_f32 s4, s2
	s_sub_co_i32 s2, 0, s16
	s_wait_alu 0xfffe
	s_delay_alu instid0(SALU_CYCLE_1)
	s_mul_i32 s3, s2, s4
	s_abs_i32 s2, s9
	s_wait_alu 0xfffe
	s_mul_hi_u32 s5, s4, s3
	s_mov_b32 s3, 0
	s_wait_alu 0xfffe
	s_add_co_i32 s22, s4, s5
	s_cmp_lt_i32 s8, 0
	s_mov_b32 s23, s3
	s_cbranch_scc0 .LBB331_7
; %bb.6:
	s_mul_i32 s4, s12, s6
	s_mov_b32 s10, s3
	s_wait_alu 0xfffe
	s_add_co_i32 s4, s28, s4
	s_wait_alu 0xfffe
	s_mul_i32 s4, s4, s8
	s_wait_alu 0xfffe
	s_sub_co_i32 s21, 1, s4
.LBB331_7:
	s_mul_u64 s[4:5], s[2:3], s[22:23]
	s_ashr_i32 s3, s9, 31
	s_and_not1_b32 vcc_lo, exec_lo, s10
	s_ashr_i32 s23, s15, 31
	s_cbranch_vccnz .LBB331_9
; %bb.8:
	s_mul_i32 s4, s36, s12
	s_wait_alu 0xfffe
	s_add_co_i32 s4, s4, ttmp9
	s_wait_alu 0xfffe
	s_mul_i32 s4, s4, s8
	s_wait_alu 0xfffe
	s_add_co_i32 s21, s4, 1
.LBB331_9:
	s_clause 0x3
	s_load_b32 s4, s[0:1], 0x48
	s_load_b64 s[24:25], s[0:1], 0x38
	s_load_b32 s12, s[0:1], 0x98
	s_load_b128 s[8:11], s[0:1], 0x68
	s_mul_i32 s6, s5, s16
	s_xor_b32 s3, s3, s23
	s_sub_co_i32 s2, s2, s6
	s_add_co_i32 s15, s5, 1
	v_lshrrev_b32_e32 v17, 5, v0
	v_mbcnt_lo_u32_b32 v7, -1, 0
	s_mul_i32 s28, s28, s18
	s_delay_alu instid0(VALU_DEP_2)
	v_lshl_add_u32 v18, v17, 4, s37
	s_wait_kmcnt 0x0
	s_mul_i32 s26, s4, s19
	s_wait_alu 0xfffe
	s_sub_co_i32 s4, s2, s16
	s_ashr_i32 s27, s26, 31
	s_cmp_ge_u32 s2, s16
	s_cselect_b32 s5, s15, s5
	s_wait_alu 0xfffe
	s_cselect_b32 s2, s4, s2
	s_add_co_i32 s4, s5, 1
	s_wait_alu 0xfffe
	s_cmp_ge_u32 s2, s16
	s_cselect_b32 s2, s4, s5
	s_add_co_i32 s4, s33, 15
	s_lshl_b32 s15, s35, 5
	s_wait_alu 0xfffe
	s_ashr_i32 s5, s4, 31
	v_or_b32_e32 v19, s15, v17
	s_wait_alu 0xfffe
	s_lshr_b32 s5, s5, 28
	v_mov_b32_e32 v9, 0xff7fffff
	s_wait_alu 0xfffe
	s_add_co_i32 s4, s4, s5
	s_add_co_i32 s5, s15, 32
	s_wait_alu 0xfffe
	s_ashr_i32 s38, s4, 4
	s_xor_b32 s4, s2, s3
	s_min_i32 s34, s5, s38
	v_lshlrev_b32_e32 v6, 2, v19
	v_cmp_gt_i32_e64 s2, s34, v19
	s_wait_alu 0xfffe
	s_sub_co_i32 s39, s4, s3
	s_and_saveexec_b32 s6, s2
	s_cbranch_execz .LBB331_21
; %bb.10:
	s_sub_co_i32 s18, s39, s13
	s_ashr_i32 s29, s28, 31
	s_cmp_neq_f32 s30, 0
	s_load_b64 s[4:5], s[0:1], 0x20
	v_bfe_u32 v8, v0, 1, 4
	v_lshlrev_b32_e32 v2, 2, v16
	s_cselect_b32 vcc_lo, -1, 0
	s_abs_i32 s31, s14
	s_delay_alu instid0(VALU_DEP_2)
	v_dual_mov_b32 v14, 0xff7fffff :: v_dual_lshlrev_b32 v3, 4, v8
	s_cvt_f32_u32 s3, s31
	v_lshlrev_b32_e32 v4, 2, v8
	v_subrev_nc_u32_e32 v9, s33, v8
	s_lshl_b64 s[42:43], s[26:27], 2
	s_wait_alu 0xfffe
	v_rcp_iflag_f32_e32 v1, s3
	s_add_nc_u64 s[42:43], s[24:25], s[42:43]
	v_lshl_or_b32 v13, v17, 6, v4
	v_dual_mov_b32 v9, 0xff7fffff :: v_dual_add_nc_u32 v12, 1, v9
	s_sub_co_i32 s44, 0, s31
	v_cmp_eq_u32_e64 s3, 0, v16
	v_dual_mov_b32 v21, v19 :: v_dual_lshlrev_b32 v10, 5, v16
	s_wait_kmcnt 0x0
	s_add_nc_u64 s[4:5], s[4:5], s[28:29]
	s_delay_alu instid0(TRANS32_DEP_1)
	v_readfirstlane_b32 s41, v1
	s_wait_alu 0xfffe
	v_add_co_u32 v1, s4, s4, v3
	s_wait_alu 0xf1ff
	v_add_co_ci_u32_e64 v3, null, s5, 0, s4
	s_mul_f32 s29, s41, 0x4f7ffffe
	v_add_co_u32 v1, s4, v1, v2
	s_wait_alu 0xf1ff
	v_add_co_ci_u32_e64 v2, null, 0, v3, s4
	s_cvt_u32_f32 s5, s29
	v_add_co_u32 v3, s4, s42, v6
	s_wait_alu 0xf1ff
	v_add_co_ci_u32_e64 v4, null, s43, 0, s4
	s_wait_alu 0xfffe
	s_mul_i32 s44, s44, s5
	v_lshl_add_u32 v11, v17, 4, s37
	v_add_nc_u32_e32 v13, 0x60, v13
	v_xor_b32_e32 v20, 1, v7
	s_mul_hi_u32 s4, s5, s44
	s_mov_b32 s40, 0
	s_mov_b32 s29, s17
	s_wait_alu 0xfffe
	s_add_co_i32 s41, s5, s4
	s_branch .LBB331_13
.LBB331_11:                             ;   in Loop: Header=BB331_13 Depth=1
	s_wait_alu 0xfffe
	s_or_b32 exec_lo, exec_lo, s42
.LBB331_12:                             ;   in Loop: Header=BB331_13 Depth=1
	s_wait_alu 0xfffe
	s_or_b32 exec_lo, exec_lo, s5
	v_add_nc_u32_e32 v21, 4, v21
	v_add_co_u32 v3, s5, v3, 16
	s_wait_alu 0xf1ff
	v_add_co_ci_u32_e64 v4, null, 0, v4, s5
	s_delay_alu instid0(VALU_DEP_3)
	v_cmp_le_i32_e64 s4, s34, v21
	v_add_nc_u32_e32 v11, 64, v11
	v_add_nc_u32_e32 v13, 0x100, v13
	s_or_b32 s40, s4, s40
	s_wait_alu 0xfffe
	s_and_not1_b32 exec_lo, exec_lo, s40
	s_cbranch_execz .LBB331_20
.LBB331_13:                             ; =>This Inner Loop Header: Depth=1
	v_sub_nc_u32_e32 v22, 0, v11
	s_delay_alu instid0(VALU_DEP_1) | instskip(SKIP_1) | instid1(VALU_DEP_1)
	v_max_i32_e32 v22, v11, v22
	s_wait_dscnt 0x0
	v_mul_hi_u32 v23, v22, s22
	s_delay_alu instid0(VALU_DEP_1) | instskip(NEXT) | instid1(VALU_DEP_1)
	v_mul_lo_u32 v24, v23, s16
	v_sub_nc_u32_e32 v22, v22, v24
	v_add_nc_u32_e32 v24, 1, v23
	s_delay_alu instid0(VALU_DEP_2) | instskip(SKIP_2) | instid1(VALU_DEP_1)
	v_subrev_nc_u32_e32 v25, s16, v22
	v_cmp_le_u32_e64 s4, s16, v22
	s_wait_alu 0xf1ff
	v_cndmask_b32_e64 v23, v23, v24, s4
	s_delay_alu instid0(VALU_DEP_3) | instskip(SKIP_1) | instid1(VALU_DEP_3)
	v_cndmask_b32_e64 v22, v22, v25, s4
	v_ashrrev_i32_e32 v24, 31, v11
	v_add_nc_u32_e32 v25, 1, v23
	s_delay_alu instid0(VALU_DEP_3) | instskip(NEXT) | instid1(VALU_DEP_3)
	v_cmp_le_u32_e64 s4, s16, v22
	v_xor_b32_e32 v24, s23, v24
	s_wait_alu 0xf1ff
	s_delay_alu instid0(VALU_DEP_2) | instskip(NEXT) | instid1(VALU_DEP_1)
	v_cndmask_b32_e64 v22, v23, v25, s4
	v_xor_b32_e32 v22, v22, v24
	s_delay_alu instid0(VALU_DEP_1) | instskip(NEXT) | instid1(VALU_DEP_1)
	v_sub_nc_u32_e32 v22, v22, v24
	v_add_nc_u32_e32 v23, s21, v22
	v_cmp_ge_i32_e64 s5, s18, v22
	s_delay_alu instid0(VALU_DEP_2) | instskip(NEXT) | instid1(VALU_DEP_1)
	v_sub_nc_u32_e32 v24, 0, v23
	v_max_i32_e32 v24, v23, v24
	v_ashrrev_i32_e32 v23, 31, v23
	s_delay_alu instid0(VALU_DEP_2) | instskip(NEXT) | instid1(VALU_DEP_1)
	v_mul_hi_u32 v25, v24, s41
	v_mul_lo_u32 v25, v25, s31
	s_delay_alu instid0(VALU_DEP_1) | instskip(NEXT) | instid1(VALU_DEP_1)
	v_sub_nc_u32_e32 v24, v24, v25
	v_subrev_nc_u32_e32 v25, s31, v24
	v_cmp_le_u32_e64 s4, s31, v24
	s_wait_alu 0xf1ff
	s_delay_alu instid0(VALU_DEP_1) | instskip(NEXT) | instid1(VALU_DEP_1)
	v_cndmask_b32_e64 v24, v24, v25, s4
	v_subrev_nc_u32_e32 v25, s31, v24
	v_cmp_le_u32_e64 s4, s31, v24
	s_wait_alu 0xf1ff
	s_delay_alu instid0(VALU_DEP_1) | instskip(NEXT) | instid1(VALU_DEP_1)
	v_cndmask_b32_e64 v24, v24, v25, s4
	v_xor_b32_e32 v24, v24, v23
	s_delay_alu instid0(VALU_DEP_1) | instskip(NEXT) | instid1(VALU_DEP_1)
	v_sub_nc_u32_e32 v23, v24, v23
	v_cmp_ne_u32_e64 s4, 0, v23
	s_and_b32 s4, s4, s5
	s_wait_alu 0xfffe
	s_and_saveexec_b32 s5, s4
	s_wait_alu 0xfffe
	s_xor_b32 s4, exec_lo, s5
	s_cbranch_execz .LBB331_17
; %bb.14:                               ;   in Loop: Header=BB331_13 Depth=1
	s_and_saveexec_b32 s5, s3
; %bb.15:                               ;   in Loop: Header=BB331_13 Depth=1
	ds_store_b32 v13, v14
; %bb.16:                               ;   in Loop: Header=BB331_13 Depth=1
	s_wait_alu 0xfffe
	s_or_b32 exec_lo, exec_lo, s5
.LBB331_17:                             ;   in Loop: Header=BB331_13 Depth=1
	s_wait_alu 0xfffe
	s_and_not1_saveexec_b32 s5, s4
	s_cbranch_execz .LBB331_12
; %bb.18:                               ;   in Loop: Header=BB331_13 Depth=1
	global_load_b32 v22, v[3:4], off
	s_wait_loadcnt 0x0
	v_mad_co_i64_i32 v[22:23], null, v22, s29, v[1:2]
	s_clause 0x3
	global_load_b32 v30, v[22:23], off
	global_load_b32 v31, v[22:23], off offset:8
	global_load_b32 v32, v[22:23], off offset:256
	;; [unrolled: 1-line block ×3, first 2 shown]
	ds_load_b128 v[22:25], v10
	ds_load_b128 v[26:29], v10 offset:16
	s_load_b32 s4, s[8:9], 0x0
	s_wait_loadcnt 0x3
	v_bfe_u32 v44, v30, 16, 8
	v_bfe_u32 v43, v30, 8, 8
	s_wait_loadcnt 0x1
	v_bfe_u32 v50, v32, 16, 8
	s_wait_loadcnt 0x0
	v_bfe_u32 v52, v33, 8, 8
	v_bfe_u32 v46, v31, 8, 8
	v_cvt_f32_fp8_e32 v44, v44
	s_wait_dscnt 0x1
	v_lshlrev_b32_e32 v37, 16, v25
	v_cvt_f32_fp8_e32 v50, v50
	v_and_b32_e32 v25, 0xffff0000, v25
	v_bfe_u32 v47, v31, 16, 8
	s_wait_kmcnt 0x0
	v_mul_f32_e32 v44, s4, v44
	v_and_b32_e32 v42, 0xff, v30
	v_lshrrev_b32_e32 v30, 24, v30
	v_bfe_u32 v49, v32, 8, 8
	v_and_b32_e32 v51, 0xff, v33
	v_bfe_u32 v53, v33, 16, 8
	v_cvt_f32_fp8_e32 v42, v42
	v_lshlrev_b32_e32 v35, 16, v23
	v_lshrrev_b32_e32 v33, 24, v33
	v_cvt_f32_fp8_e32 v43, v43
	v_cvt_f32_fp8_e32 v52, v52
	v_and_b32_e32 v45, 0xff, v31
	v_lshrrev_b32_e32 v31, 24, v31
	v_mul_f32_e32 v42, s4, v42
	v_mul_f32_e32 v50, s4, v50
	v_and_b32_e32 v48, 0xff, v32
	v_lshrrev_b32_e32 v32, 24, v32
	v_dual_mul_f32 v43, s4, v43 :: v_dual_lshlrev_b32 v34, 16, v22
	v_cvt_f32_fp8_e32 v30, v30
	v_cvt_f32_fp8_e32 v46, v46
	v_cvt_f32_fp8_e32 v47, v47
	v_cvt_f32_fp8_e32 v31, v31
	v_cvt_f32_fp8_e32 v48, v48
	v_cvt_f32_fp8_e32 v49, v49
	v_cvt_f32_fp8_e32 v32, v32
	v_cvt_f32_fp8_e32 v51, v51
	v_cvt_f32_fp8_e32 v53, v53
	v_cvt_f32_fp8_e32 v33, v33
	v_mul_f32_e32 v52, s4, v52
	v_cvt_f32_fp8_e32 v45, v45
	v_bfe_u32 v54, v42, 16, 1
	v_lshlrev_b32_e32 v36, 16, v24
	s_wait_dscnt 0x0
	v_dual_mul_f32 v47, s4, v47 :: v_dual_lshlrev_b32 v38, 16, v26
	v_dual_mul_f32 v30, s4, v30 :: v_dual_lshlrev_b32 v39, 16, v27
	;; [unrolled: 1-line block ×4, first 2 shown]
	v_dual_mul_f32 v49, s4, v49 :: v_dual_and_b32 v22, 0xffff0000, v22
	v_dual_mul_f32 v48, s4, v48 :: v_dual_and_b32 v23, 0xffff0000, v23
	;; [unrolled: 1-line block ×6, first 2 shown]
	v_mul_f32_e32 v45, s4, v45
	v_or_b32_e32 v55, 0x400000, v42
	v_bfe_u32 v56, v43, 16, 1
	v_add3_u32 v54, v54, v42, 0x7fff
	v_cmp_u_f32_e64 s4, v42, v42
	v_or_b32_e32 v57, 0x400000, v43
	v_bfe_u32 v58, v44, 16, 1
	v_add3_u32 v56, v56, v43, 0x7fff
	v_or_b32_e32 v59, 0x400000, v44
	s_wait_alu 0xf1ff
	v_cndmask_b32_e64 v42, v54, v55, s4
	v_cmp_u_f32_e64 s4, v43, v43
	v_bfe_u32 v60, v30, 16, 1
	v_add3_u32 v58, v58, v44, 0x7fff
	v_or_b32_e32 v61, 0x400000, v30
	v_bfe_u32 v62, v45, 16, 1
	s_wait_alu 0xf1ff
	v_cndmask_b32_e64 v43, v56, v57, s4
	v_cmp_u_f32_e64 s4, v44, v44
	v_add3_u32 v60, v60, v30, 0x7fff
	v_or_b32_e32 v63, 0x400000, v45
	v_bfe_u32 v64, v46, 16, 1
	v_add3_u32 v62, v62, v45, 0x7fff
	s_wait_alu 0xf1ff
	v_cndmask_b32_e64 v44, v58, v59, s4
	v_cmp_u_f32_e64 s4, v30, v30
	v_or_b32_e32 v65, 0x400000, v46
	v_bfe_u32 v66, v47, 16, 1
	v_add3_u32 v64, v64, v46, 0x7fff
	v_or_b32_e32 v67, 0x400000, v47
	s_wait_alu 0xf1ff
	v_cndmask_b32_e64 v30, v60, v61, s4
	v_cmp_u_f32_e64 s4, v45, v45
	v_bfe_u32 v68, v31, 16, 1
	v_add3_u32 v66, v66, v47, 0x7fff
	v_or_b32_e32 v69, 0x400000, v31
	v_bfe_u32 v70, v48, 16, 1
	s_wait_alu 0xf1ff
	v_cndmask_b32_e64 v45, v62, v63, s4
	v_cmp_u_f32_e64 s4, v46, v46
	v_add3_u32 v68, v68, v31, 0x7fff
	v_or_b32_e32 v71, 0x400000, v48
	v_bfe_u32 v72, v49, 16, 1
	v_add3_u32 v70, v70, v48, 0x7fff
	s_wait_alu 0xf1ff
	v_cndmask_b32_e64 v46, v64, v65, s4
	;; [unrolled: 21-line block ×3, first 2 shown]
	v_cmp_u_f32_e64 s4, v49, v49
	v_or_b32_e32 v81, 0x400000, v52
	v_bfe_u32 v82, v53, 16, 1
	v_add3_u32 v80, v80, v52, 0x7fff
	v_or_b32_e32 v83, 0x400000, v53
	s_wait_alu 0xf1ff
	v_cndmask_b32_e64 v49, v72, v73, s4
	v_cmp_u_f32_e64 s4, v50, v50
	v_bfe_u32 v84, v33, 16, 1
	v_add3_u32 v82, v82, v53, 0x7fff
	v_or_b32_e32 v85, 0x400000, v33
	v_and_b32_e32 v49, 0xffff0000, v49
	s_wait_alu 0xf1ff
	v_cndmask_b32_e64 v50, v74, v75, s4
	v_cmp_u_f32_e64 s4, v32, v32
	v_and_b32_e32 v31, 0xffff0000, v31
	v_add3_u32 v84, v84, v33, 0x7fff
	s_delay_alu instid0(VALU_DEP_4)
	v_and_b32_e32 v50, 0xffff0000, v50
	s_wait_alu 0xf1ff
	v_cndmask_b32_e64 v32, v76, v77, s4
	v_cmp_u_f32_e64 s4, v51, v51
	v_and_b32_e32 v48, 0xffff0000, v48
	v_and_b32_e32 v47, 0xffff0000, v47
	s_delay_alu instid0(VALU_DEP_4)
	v_dual_mul_f32 v25, v25, v31 :: v_dual_and_b32 v32, 0xffff0000, v32
	s_wait_alu 0xf1ff
	v_cndmask_b32_e64 v51, v78, v79, s4
	v_cmp_u_f32_e64 s4, v52, v52
	v_and_b32_e32 v30, 0xffff0000, v30
	v_dual_mul_f32 v37, v37, v47 :: v_dual_and_b32 v44, 0xffff0000, v44
	s_wait_alu 0xf1ff
	s_delay_alu instid0(VALU_DEP_3)
	v_cndmask_b32_e64 v52, v80, v81, s4
	v_cmp_u_f32_e64 s4, v53, v53
	v_fmac_f32_e32 v25, v23, v30
	v_dual_fmac_f32 v37, v35, v44 :: v_dual_and_b32 v42, 0xffff0000, v42
	v_and_b32_e32 v45, 0xffff0000, v45
	s_wait_alu 0xf1ff
	v_cndmask_b32_e64 v53, v82, v83, s4
	v_cmp_u_f32_e64 s4, v33, v33
	v_fmac_f32_e32 v25, v27, v32
	v_dual_mul_f32 v36, v36, v45 :: v_dual_and_b32 v43, 0xffff0000, v43
	v_fmac_f32_e32 v37, v39, v50
	s_wait_alu 0xf1ff
	v_cndmask_b32_e64 v33, v84, v85, s4
	v_cmp_gt_i32_e64 s4, 32, v20
	s_delay_alu instid0(VALU_DEP_2) | instskip(SKIP_1) | instid1(VALU_DEP_2)
	v_dual_fmac_f32 v36, v34, v42 :: v_dual_and_b32 v23, 0xffff0000, v33
	v_and_b32_e32 v46, 0xffff0000, v46
	v_fmac_f32_e32 v36, v38, v48
	s_delay_alu instid0(VALU_DEP_2) | instskip(NEXT) | instid1(VALU_DEP_1)
	v_mul_f32_e32 v24, v24, v46
	v_fmac_f32_e32 v24, v22, v43
	v_and_b32_e32 v22, 0xffff0000, v52
	s_delay_alu instid0(VALU_DEP_2) | instskip(SKIP_1) | instid1(VALU_DEP_2)
	v_dual_fmac_f32 v24, v26, v49 :: v_dual_and_b32 v45, 0xffff0000, v51
	v_and_b32_e32 v26, 0xffff0000, v53
	v_fmac_f32_e32 v24, v28, v22
	s_delay_alu instid0(VALU_DEP_2) | instskip(SKIP_2) | instid1(VALU_DEP_2)
	v_dual_fmac_f32 v37, v41, v26 :: v_dual_and_b32 v22, 0xffff0000, v29
	s_wait_alu 0xf1ff
	v_cndmask_b32_e64 v26, v7, v20, s4
	v_dual_fmac_f32 v36, v40, v45 :: v_dual_fmac_f32 v25, v22, v23
	s_delay_alu instid0(VALU_DEP_1) | instskip(NEXT) | instid1(VALU_DEP_1)
	v_dual_add_f32 v24, v36, v24 :: v_dual_lshlrev_b32 v23, 2, v26
	v_add_f32_e32 v22, v24, v37
	s_delay_alu instid0(VALU_DEP_1)
	v_add_f32_e32 v22, v25, v22
	ds_bpermute_b32 v23, v23, v22
	s_and_saveexec_b32 s42, s3
	s_cbranch_execz .LBB331_11
; %bb.19:                               ;   in Loop: Header=BB331_13 Depth=1
	s_wait_dscnt 0x0
	v_add_f32_e32 v22, v22, v23
	v_add_nc_u32_e32 v24, v12, v11
	s_delay_alu instid0(VALU_DEP_1) | instskip(NEXT) | instid1(VALU_DEP_1)
	v_cvt_f32_i32_e32 v24, v24
	v_mul_f32_e32 v24, s30, v24
	s_delay_alu instid0(VALU_DEP_1) | instskip(NEXT) | instid1(VALU_DEP_1)
	v_dual_cndmask_b32 v23, 0, v24 :: v_dual_max_num_f32 v24, v9, v9
	v_dual_fmac_f32 v23, s7, v22 :: v_dual_add_nc_u32 v22, v8, v11
	s_delay_alu instid0(VALU_DEP_1) | instskip(NEXT) | instid1(VALU_DEP_2)
	v_max_num_f32_e32 v24, v24, v23
	v_cmp_gt_i32_e64 s4, s33, v22
	s_wait_alu 0xf1ff
	s_delay_alu instid0(VALU_DEP_1) | instskip(NEXT) | instid1(VALU_DEP_3)
	v_cndmask_b32_e64 v22, 0, v23, s4
	v_cndmask_b32_e64 v9, v9, v24, s4
	ds_store_b32 v13, v22
	s_branch .LBB331_11
.LBB331_20:
	s_or_b32 exec_lo, exec_lo, s40
.LBB331_21:
	s_delay_alu instid0(SALU_CYCLE_1)
	s_or_b32 exec_lo, exec_lo, s6
	v_xor_b32_e32 v1, 16, v7
	v_xor_b32_e32 v2, 8, v7
	v_max_num_f32_e32 v8, v9, v9
	s_clause 0x2
	s_load_b128 s[4:7], s[0:1], 0x0
	s_load_b64 s[8:9], s[0:1], 0x10
	s_load_b64 s[30:31], s[0:1], 0x28
	v_and_b32_e32 v20, 31, v0
	v_cmp_gt_i32_e32 vcc_lo, 32, v1
	s_wait_alu 0xfffd
	v_cndmask_b32_e32 v1, v7, v1, vcc_lo
	v_cmp_gt_i32_e32 vcc_lo, 32, v2
	s_wait_alu 0xfffd
	v_cndmask_b32_e32 v2, v7, v2, vcc_lo
	s_delay_alu instid0(VALU_DEP_1)
	v_lshlrev_b32_e32 v4, 2, v2
	v_lshlrev_b32_e32 v3, 2, v1
	ds_bpermute_b32 v1, v3, v9
	v_xor_b32_e32 v9, 2, v7
	s_wait_dscnt 0x0
	v_max_num_f32_e32 v1, v1, v1
	s_delay_alu instid0(VALU_DEP_1)
	v_max_num_f32_e32 v1, v8, v1
	v_xor_b32_e32 v8, 4, v7
	ds_bpermute_b32 v2, v4, v1
	v_cmp_gt_i32_e32 vcc_lo, 32, v8
	s_wait_alu 0xfffd
	v_cndmask_b32_e32 v8, v7, v8, vcc_lo
	v_cmp_gt_i32_e32 vcc_lo, 32, v9
	s_wait_alu 0xfffd
	v_cndmask_b32_e32 v9, v7, v9, vcc_lo
	v_cmp_eq_u32_e32 vcc_lo, 0, v20
	s_wait_dscnt 0x0
	v_max_num_f32_e32 v2, v2, v2
	s_delay_alu instid0(VALU_DEP_1) | instskip(SKIP_3) | instid1(VALU_DEP_1)
	v_dual_max_num_f32 v1, v1, v2 :: v_dual_lshlrev_b32 v8, 2, v8
	ds_bpermute_b32 v2, v8, v1
	s_wait_dscnt 0x0
	v_max_num_f32_e32 v2, v2, v2
	v_dual_max_num_f32 v1, v1, v2 :: v_dual_lshlrev_b32 v2, 2, v9
	v_lshlrev_b32_e32 v9, 2, v17
	ds_bpermute_b32 v10, v2, v1
	s_and_saveexec_b32 s0, vcc_lo
	s_cbranch_execz .LBB331_23
; %bb.22:
	s_wait_dscnt 0x0
	v_dual_max_num_f32 v10, v10, v10 :: v_dual_max_num_f32 v1, v1, v1
	s_delay_alu instid0(VALU_DEP_1)
	v_max_num_f32_e32 v1, v1, v10
	ds_store_b32 v9, v1 offset:64
.LBB331_23:
	s_or_b32 exec_lo, exec_lo, s0
	v_cmp_gt_u32_e64 s0, 4, v20
	s_wait_dscnt 0x0
	v_dual_mov_b32 v1, 0xff7fffff :: v_dual_lshlrev_b32 v10, 2, v20
	s_wait_loadcnt 0x0
	s_barrier_signal -1
	s_barrier_wait -1
	global_inv scope:SCOPE_SE
	s_and_saveexec_b32 s1, s0
; %bb.24:
	ds_load_b32 v1, v10 offset:64
; %bb.25:
	s_or_b32 exec_lo, exec_lo, s1
	s_wait_dscnt 0x0
	ds_bpermute_b32 v11, v2, v1
	v_xor_b32_e32 v12, 1, v7
	v_max_num_f32_e32 v1, v1, v1
	s_delay_alu instid0(VALU_DEP_2) | instskip(NEXT) | instid1(VALU_DEP_1)
	v_cmp_gt_i32_e64 s1, 32, v12
	v_cndmask_b32_e64 v7, v7, v12, s1
	s_sub_co_i32 s1, s34, s15
	s_wait_alu 0xfffe
	s_lshl_b32 s1, s1, 4
	s_delay_alu instid0(VALU_DEP_1)
	v_lshlrev_b32_e32 v21, 2, v7
	s_wait_alu 0xfffe
	s_add_co_i32 s1, s1, s37
	s_wait_alu 0xfffe
	s_min_i32 s1, s1, s33
	s_wait_dscnt 0x0
	v_max_num_f32_e32 v11, v11, v11
	s_wait_alu 0xfffe
	s_sub_co_i32 s18, s1, s37
	s_wait_alu 0xfffe
	v_cmp_gt_i32_e64 s1, s18, v0
	v_max_num_f32_e32 v1, v1, v11
	v_mov_b32_e32 v11, 0
	ds_bpermute_b32 v7, v21, v1
	s_wait_dscnt 0x0
	v_max_num_f32_e32 v7, v7, v7
	s_delay_alu instid0(VALU_DEP_1)
	v_max_num_f32_e32 v1, v1, v7
	v_lshl_add_u32 v7, v0, 2, 0x60
	ds_bpermute_b32 v1, v11, v1
	s_and_saveexec_b32 s29, s1
	s_cbranch_execz .LBB331_29
; %bb.26:
	v_lshl_add_u32 v12, v0, 2, 0x60
	v_mov_b32_e32 v11, 0
	v_mov_b32_e32 v13, v0
	s_mov_b32 s37, 0
.LBB331_27:                             ; =>This Inner Loop Header: Depth=1
	ds_load_b32 v14, v12
	v_add_nc_u32_e32 v13, 0x80, v13
	s_delay_alu instid0(VALU_DEP_1) | instskip(SKIP_4) | instid1(VALU_DEP_1)
	v_cmp_le_i32_e64 s3, s18, v13
	s_wait_alu 0xfffe
	s_or_b32 s37, s3, s37
	s_wait_dscnt 0x0
	v_sub_f32_e32 v14, v14, v1
	v_mul_f32_e32 v14, 0x3fb8aa3b, v14
	s_delay_alu instid0(VALU_DEP_1)
	v_exp_f32_e32 v14, v14
	ds_store_b32 v12, v14
	v_dual_add_f32 v11, v11, v14 :: v_dual_add_nc_u32 v12, 0x200, v12
	s_wait_alu 0xfffe
	s_and_not1_b32 exec_lo, exec_lo, s37
	s_cbranch_execnz .LBB331_27
; %bb.28:
	s_or_b32 exec_lo, exec_lo, s37
.LBB331_29:
	s_wait_alu 0xfffe
	s_or_b32 exec_lo, exec_lo, s29
	ds_bpermute_b32 v3, v3, v11
	s_wait_dscnt 0x0
	v_add_f32_e32 v3, v11, v3
	ds_bpermute_b32 v4, v4, v3
	s_wait_dscnt 0x0
	v_add_f32_e32 v3, v3, v4
	;; [unrolled: 3-line block ×5, first 2 shown]
	s_and_saveexec_b32 s3, vcc_lo
; %bb.30:
	ds_store_b32 v9, v3 offset:80
; %bb.31:
	s_wait_alu 0xfffe
	s_or_b32 exec_lo, exec_lo, s3
	s_wait_loadcnt_dscnt 0x0
	s_barrier_signal -1
	s_barrier_wait -1
	global_inv scope:SCOPE_SE
	s_and_saveexec_b32 s3, s0
; %bb.32:
	ds_load_b32 v3, v10 offset:80
; %bb.33:
	s_wait_alu 0xfffe
	s_or_b32 exec_lo, exec_lo, s3
	s_wait_dscnt 0x0
	ds_bpermute_b32 v2, v2, v3
	s_wait_dscnt 0x0
	v_add_f32_e32 v2, v3, v2
	ds_bpermute_b32 v3, v21, v2
	s_wait_dscnt 0x0
	v_dual_add_f32 v2, v2, v3 :: v_dual_mov_b32 v3, 0
	ds_bpermute_b32 v2, v3, v2
	s_and_saveexec_b32 s0, s1
	s_cbranch_execz .LBB331_36
; %bb.34:
	s_wait_dscnt 0x0
	v_add_f32_e32 v3, 0x358637bd, v2
	s_mov_b32 s1, 0
	s_delay_alu instid0(VALU_DEP_1) | instskip(NEXT) | instid1(VALU_DEP_1)
	v_div_scale_f32 v4, null, v3, v3, 1.0
	v_rcp_f32_e32 v8, v4
	s_delay_alu instid0(TRANS32_DEP_1) | instskip(NEXT) | instid1(VALU_DEP_1)
	v_fma_f32 v9, -v4, v8, 1.0
	v_fmac_f32_e32 v8, v9, v8
	v_div_scale_f32 v10, vcc_lo, 1.0, v3, 1.0
	s_delay_alu instid0(VALU_DEP_1) | instskip(NEXT) | instid1(VALU_DEP_1)
	v_mul_f32_e32 v9, v10, v8
	v_fma_f32 v11, -v4, v9, v10
	s_delay_alu instid0(VALU_DEP_1) | instskip(NEXT) | instid1(VALU_DEP_1)
	v_fmac_f32_e32 v9, v11, v8
	v_fma_f32 v4, -v4, v9, v10
	s_wait_alu 0xfffd
	s_delay_alu instid0(VALU_DEP_1) | instskip(NEXT) | instid1(VALU_DEP_1)
	v_div_fmas_f32 v4, v4, v8, v9
	v_div_fixup_f32 v3, v4, v3, 1.0
	v_mov_b32_e32 v4, v0
.LBB331_35:                             ; =>This Inner Loop Header: Depth=1
	ds_load_b32 v8, v7
	v_add_nc_u32_e32 v4, 0x80, v4
	s_delay_alu instid0(VALU_DEP_1)
	v_cmp_le_i32_e32 vcc_lo, s18, v4
	s_wait_alu 0xfffe
	s_or_b32 s1, vcc_lo, s1
	s_wait_dscnt 0x0
	v_mul_f32_e32 v8, v3, v8
	ds_store_b32 v7, v8
	v_add_nc_u32_e32 v7, 0x200, v7
	s_wait_alu 0xfffe
	s_and_not1_b32 exec_lo, exec_lo, s1
	s_cbranch_execnz .LBB331_35
.LBB331_36:
	s_wait_alu 0xfffe
	s_or_b32 exec_lo, exec_lo, s0
	s_mul_i32 s0, s12, s19
	s_wait_loadcnt_dscnt 0x0
	s_wait_alu 0xfffe
	s_mul_i32 s18, s0, s36
	s_mov_b32 s0, exec_lo
	s_barrier_signal -1
	s_barrier_wait -1
	global_inv scope:SCOPE_SE
	v_cmpx_eq_u32_e32 0, v0
	s_cbranch_execz .LBB331_38
; %bb.37:
	s_wait_alu 0xfffe
	s_ashr_i32 s19, s18, 31
	s_mul_i32 s36, s12, ttmp9
	s_lshl_b32 s1, s35, 2
	s_wait_alu 0xfffe
	s_lshl_b64 s[40:41], s[18:19], 2
	s_ashr_i32 s37, s36, 31
	v_mov_b32_e32 v3, s1
	s_wait_kmcnt 0x0
	s_wait_alu 0xfffe
	s_add_nc_u64 s[6:7], s[6:7], s[40:41]
	s_lshl_b64 s[36:37], s[36:37], 2
	s_add_nc_u64 s[4:5], s[4:5], s[40:41]
	s_wait_alu 0xfffe
	s_add_nc_u64 s[6:7], s[6:7], s[36:37]
	s_add_nc_u64 s[4:5], s[4:5], s[36:37]
	s_clause 0x1
	global_store_b32 v3, v1, s[6:7]
	global_store_b32 v3, v2, s[4:5]
.LBB331_38:
	s_wait_alu 0xfffe
	s_or_b32 exec_lo, exec_lo, s0
	v_mov_b32_e32 v24, 0
	v_mov_b32_e32 v22, 0
	s_and_saveexec_b32 s1, s2
	s_cbranch_execz .LBB331_48
; %bb.39:
	s_abs_i32 s2, s14
	s_wait_kmcnt 0x0
	s_lshl_b64 s[6:7], s[26:27], 2
	s_wait_alu 0xfffe
	s_cvt_f32_u32 s0, s2
	v_and_b32_e32 v2, 0xf8, v5
	s_ashr_i32 s29, s28, 31
	s_add_nc_u64 s[6:7], s[24:25], s[6:7]
	s_wait_alu 0xfffe
	v_rcp_iflag_f32_e32 v1, s0
	s_add_nc_u64 s[26:27], s[30:31], s[28:29]
	v_add_co_u32 v9, s6, s6, v6
	s_sub_co_i32 s5, 0, s2
	v_add_co_ci_u32_e64 v10, null, s7, 0, s6
	v_add_co_u32 v11, s6, s26, v2
	v_dual_mov_b32 v22, 0 :: v_dual_and_b32 v23, 8, v5
	s_delay_alu instid0(TRANS32_DEP_1)
	v_readfirstlane_b32 s0, v1
	v_dual_mov_b32 v24, 0 :: v_dual_lshlrev_b32 v1, 5, v16
	s_wait_alu 0xf1ff
	v_add_co_ci_u32_e64 v12, null, s27, 0, s6
	s_mul_f32 s0, s0, 0x4f7ffffe
	v_lshl_or_b32 v1, v17, 6, v1
	s_sub_co_i32 s3, s39, s13
	s_mov_b32 s4, s17
	s_wait_alu 0xfffe
	s_cvt_u32_f32 s0, s0
	s_add_co_i32 s38, s38, -1
	v_add_nc_u32_e32 v25, 0x60, v1
	s_wait_alu 0xfffe
	s_mul_i32 s5, s5, s0
	s_wait_alu 0xfffe
	s_mul_hi_u32 s6, s0, s5
	s_mov_b32 s5, 0
	s_wait_alu 0xfffe
	s_add_co_i32 s6, s0, s6
	s_branch .LBB331_42
.LBB331_40:                             ;   in Loop: Header=BB331_42 Depth=1
	s_wait_alu 0xfffe
	s_or_b32 exec_lo, exec_lo, s0
	s_wait_dscnt 0x1
	v_bfe_u32 v28, v5, 16, 1
	v_or_b32_e32 v36, 0x400000, v5
	v_bfe_u32 v37, v6, 16, 1
	v_cmp_u_f32_e32 vcc_lo, v5, v5
	v_bfe_u32 v38, v7, 16, 1
	v_add3_u32 v28, v28, v5, 0x7fff
	v_or_b32_e32 v39, 0x400000, v6
	v_add3_u32 v37, v37, v6, 0x7fff
	v_or_b32_e32 v40, 0x400000, v7
	v_add3_u32 v38, v38, v7, 0x7fff
	s_wait_alu 0xfffd
	v_cndmask_b32_e32 v5, v28, v36, vcc_lo
	v_cmp_u_f32_e32 vcc_lo, v6, v6
	v_bfe_u32 v28, v8, 16, 1
	s_wait_dscnt 0x0
	v_bfe_u32 v36, v1, 16, 1
	v_lshlrev_b32_e32 v29, 16, v29
	v_lshlrev_b32_e32 v26, 16, v26
	s_wait_alu 0xfffd
	v_cndmask_b32_e32 v6, v37, v39, vcc_lo
	v_cmp_u_f32_e32 vcc_lo, v7, v7
	v_add3_u32 v28, v28, v8, 0x7fff
	v_or_b32_e32 v37, 0x400000, v8
	v_add3_u32 v36, v36, v1, 0x7fff
	v_bfe_u32 v39, v2, 16, 1
	s_wait_alu 0xfffd
	v_cndmask_b32_e32 v7, v38, v40, vcc_lo
	v_cmp_u_f32_e32 vcc_lo, v8, v8
	v_or_b32_e32 v38, 0x400000, v1
	v_lshlrev_b32_e32 v27, 16, v27
	v_lshlrev_b32_e32 v14, 16, v14
	;; [unrolled: 1-line block ×3, first 2 shown]
	s_wait_alu 0xfffd
	v_cndmask_b32_e32 v8, v28, v37, vcc_lo
	v_cmp_u_f32_e32 vcc_lo, v1, v1
	v_add3_u32 v28, v39, v2, 0x7fff
	v_bfe_u32 v37, v3, 16, 1
	v_lshlrev_b32_e32 v33, 16, v33
	s_wait_alu 0xfffd
	v_dual_cndmask_b32 v1, v36, v38 :: v_dual_and_b32 v8, 0xffff0000, v8
	v_or_b32_e32 v36, 0x400000, v2
	v_cmp_u_f32_e32 vcc_lo, v2, v2
	v_and_b32_e32 v5, 0xffff0000, v5
	v_lshlrev_b32_e32 v13, 16, v13
	s_wait_alu 0xfffd
	v_dual_cndmask_b32 v2, v28, v36 :: v_dual_and_b32 v1, 0xffff0000, v1
	v_add3_u32 v28, v37, v3, 0x7fff
	v_or_b32_e32 v36, 0x400000, v3
	v_cmp_u_f32_e32 vcc_lo, v3, v3
	v_lshlrev_b32_e32 v34, 16, v34
	v_bfe_u32 v37, v4, 16, 1
	v_and_b32_e32 v2, 0xffff0000, v2
	s_wait_alu 0xfffd
	v_dual_cndmask_b32 v3, v28, v36 :: v_dual_lshlrev_b32 v30, 16, v30
	v_mul_f32_e32 v34, v5, v34
	v_add3_u32 v28, v37, v4, 0x7fff
	v_or_b32_e32 v36, 0x400000, v4
	v_cmp_u_f32_e32 vcc_lo, v4, v4
	v_mul_f32_e32 v29, v2, v29
	v_bfe_u32 v37, v34, 16, 1
	v_dual_mul_f32 v30, v1, v30 :: v_dual_lshlrev_b32 v31, 16, v31
	v_and_b32_e32 v6, 0xffff0000, v6
	s_wait_alu 0xfffd
	v_cndmask_b32_e32 v4, v28, v36, vcc_lo
	v_add3_u32 v28, v37, v34, 0x7fff
	v_or_b32_e32 v36, 0x400000, v34
	v_cmp_u_f32_e32 vcc_lo, v34, v34
	v_and_b32_e32 v7, 0xffff0000, v7
	v_mul_f32_e32 v31, v8, v31
	v_mul_f32_e32 v33, v6, v33
	s_wait_alu 0xfffd
	v_dual_cndmask_b32 v28, v28, v36 :: v_dual_and_b32 v3, 0xffff0000, v3
	v_mul_f32_e32 v32, v7, v32
	v_bfe_u32 v39, v31, 16, 1
	v_bfe_u32 v37, v33, 16, 1
	v_cmp_u_f32_e32 vcc_lo, v33, v33
	v_and_b32_e32 v4, 0xffff0000, v4
	v_bfe_u32 v36, v32, 16, 1
	v_or_b32_e32 v38, 0x400000, v32
	v_add3_u32 v34, v37, v33, 0x7fff
	v_or_b32_e32 v37, 0x400000, v33
	v_and_b32_e32 v28, 0xffff0000, v28
	v_add3_u32 v36, v36, v32, 0x7fff
	s_wait_alu 0xfffd
	s_delay_alu instid0(VALU_DEP_3)
	v_cndmask_b32_e32 v33, v34, v37, vcc_lo
	v_cmp_u_f32_e32 vcc_lo, v32, v32
	v_add3_u32 v34, v39, v31, 0x7fff
	v_or_b32_e32 v37, 0x400000, v31
	s_wait_alu 0xfffd
	v_cndmask_b32_e32 v32, v36, v38, vcc_lo
	v_bfe_u32 v36, v30, 16, 1
	v_cmp_u_f32_e32 vcc_lo, v31, v31
	v_or_b32_e32 v38, 0x400000, v30
	s_delay_alu instid0(VALU_DEP_3)
	v_add3_u32 v36, v36, v30, 0x7fff
	s_wait_alu 0xfffd
	v_cndmask_b32_e32 v31, v34, v37, vcc_lo
	v_bfe_u32 v34, v29, 16, 1
	v_cmp_u_f32_e32 vcc_lo, v30, v30
	v_or_b32_e32 v37, 0x400000, v29
	s_delay_alu instid0(VALU_DEP_3) | instskip(SKIP_4) | instid1(VALU_DEP_2)
	v_add3_u32 v34, v34, v29, 0x7fff
	s_wait_alu 0xfffd
	v_cndmask_b32_e32 v30, v36, v38, vcc_lo
	v_cmp_u_f32_e32 vcc_lo, v29, v29
	s_wait_alu 0xfffd
	v_dual_cndmask_b32 v29, v34, v37 :: v_dual_and_b32 v30, 0xffff0000, v30
	v_dual_mul_f32 v26, v4, v26 :: v_dual_mul_f32 v27, v3, v27
	v_mul_f32_e32 v3, v3, v14
	s_delay_alu instid0(VALU_DEP_2) | instskip(NEXT) | instid1(VALU_DEP_3)
	v_bfe_u32 v34, v26, 16, 1
	v_bfe_u32 v36, v27, 16, 1
	v_or_b32_e32 v38, 0x400000, v27
	v_cmp_u_f32_e32 vcc_lo, v27, v27
	s_delay_alu instid0(VALU_DEP_4) | instskip(NEXT) | instid1(VALU_DEP_4)
	v_add3_u32 v34, v34, v26, 0x7fff
	v_add3_u32 v36, v36, v27, 0x7fff
	s_wait_alu 0xfffd
	s_delay_alu instid0(VALU_DEP_1) | instskip(SKIP_3) | instid1(VALU_DEP_2)
	v_cndmask_b32_e32 v27, v36, v38, vcc_lo
	v_or_b32_e32 v36, 0x400000, v26
	v_cmp_u_f32_e32 vcc_lo, v26, v26
	s_wait_alu 0xfffd
	v_dual_cndmask_b32 v26, v34, v36 :: v_dual_and_b32 v33, 0xffff0000, v33
	s_delay_alu instid0(VALU_DEP_1) | instskip(SKIP_1) | instid1(VALU_DEP_1)
	v_dual_add_f32 v28, v28, v33 :: v_dual_and_b32 v31, 0xffff0000, v31
	v_lshlrev_b32_e32 v37, 16, v46
	v_dual_mul_f32 v5, v5, v37 :: v_dual_and_b32 v32, 0xffff0000, v32
	s_delay_alu instid0(VALU_DEP_1) | instskip(SKIP_1) | instid1(VALU_DEP_3)
	v_dual_add_f32 v31, v32, v31 :: v_dual_lshlrev_b32 v32, 16, v45
	v_and_b32_e32 v29, 0xffff0000, v29
	v_cmp_u_f32_e32 vcc_lo, v5, v5
	s_delay_alu instid0(VALU_DEP_3) | instskip(SKIP_4) | instid1(VALU_DEP_4)
	v_add_f32_e32 v28, v31, v28
	v_bfe_u32 v31, v5, 16, 1
	v_mul_f32_e32 v6, v6, v32
	v_dual_add_f32 v29, v30, v29 :: v_dual_lshlrev_b32 v30, 16, v44
	v_or_b32_e32 v32, 0x400000, v5
	v_add3_u32 v31, v31, v5, 0x7fff
	s_delay_alu instid0(VALU_DEP_4)
	v_bfe_u32 v33, v6, 16, 1
	v_and_b32_e32 v26, 0xffff0000, v26
	v_mul_f32_e32 v7, v7, v30
	s_wait_alu 0xfffd
	v_cndmask_b32_e32 v5, v31, v32, vcc_lo
	v_add3_u32 v31, v33, v6, 0x7fff
	v_or_b32_e32 v32, 0x400000, v6
	v_bfe_u32 v33, v7, 16, 1
	v_cmp_u_f32_e32 vcc_lo, v6, v6
	s_wait_alu 0xfffd
	s_delay_alu instid0(VALU_DEP_3) | instskip(NEXT) | instid1(VALU_DEP_3)
	v_dual_cndmask_b32 v6, v31, v32 :: v_dual_and_b32 v5, 0xffff0000, v5
	v_add3_u32 v31, v33, v7, 0x7fff
	v_or_b32_e32 v32, 0x400000, v7
	v_cmp_u_f32_e32 vcc_lo, v7, v7
	s_wait_alu 0xfffd
	s_delay_alu instid0(VALU_DEP_2) | instskip(NEXT) | instid1(VALU_DEP_1)
	v_dual_cndmask_b32 v7, v31, v32 :: v_dual_lshlrev_b32 v30, 16, v43
	v_mul_f32_e32 v8, v8, v30
	v_lshlrev_b32_e32 v30, 16, v42
	s_delay_alu instid0(VALU_DEP_3) | instskip(NEXT) | instid1(VALU_DEP_3)
	v_and_b32_e32 v7, 0xffff0000, v7
	v_bfe_u32 v33, v8, 16, 1
	s_delay_alu instid0(VALU_DEP_3) | instskip(SKIP_2) | instid1(VALU_DEP_4)
	v_dual_mul_f32 v1, v1, v30 :: v_dual_lshlrev_b32 v30, 16, v35
	v_or_b32_e32 v32, 0x400000, v8
	v_cmp_u_f32_e32 vcc_lo, v8, v8
	v_add3_u32 v31, v33, v8, 0x7fff
	s_delay_alu instid0(VALU_DEP_4)
	v_bfe_u32 v33, v1, 16, 1
	v_mul_f32_e32 v2, v2, v30
	v_and_b32_e32 v6, 0xffff0000, v6
	v_mul_f32_e32 v4, v4, v13
	s_wait_alu 0xfffd
	v_cndmask_b32_e32 v8, v31, v32, vcc_lo
	v_add3_u32 v31, v33, v1, 0x7fff
	v_bfe_u32 v30, v2, 16, 1
	v_or_b32_e32 v13, 0x400000, v1
	v_cmp_u_f32_e32 vcc_lo, v1, v1
	v_add_f32_e32 v5, v5, v6
	v_bfe_u32 v33, v4, 16, 1
	v_add3_u32 v14, v30, v2, 0x7fff
	v_or_b32_e32 v30, 0x400000, v2
	s_wait_alu 0xfffd
	v_cndmask_b32_e32 v1, v31, v13, vcc_lo
	v_cmp_u_f32_e32 vcc_lo, v2, v2
	v_bfe_u32 v32, v3, 16, 1
	v_and_b32_e32 v8, 0xffff0000, v8
	v_or_b32_e32 v31, 0x400000, v3
	s_wait_alu 0xfffd
	v_dual_cndmask_b32 v2, v14, v30 :: v_dual_and_b32 v1, 0xffff0000, v1
	v_add3_u32 v14, v33, v4, 0x7fff
	v_or_b32_e32 v30, 0x400000, v4
	v_cmp_u_f32_e32 vcc_lo, v4, v4
	v_add3_u32 v13, v32, v3, 0x7fff
	v_and_b32_e32 v2, 0xffff0000, v2
	v_dual_add_f32 v6, v7, v8 :: v_dual_and_b32 v7, 0xffff0000, v27
	s_wait_alu 0xfffd
	v_cndmask_b32_e32 v4, v14, v30, vcc_lo
	v_cmp_u_f32_e32 vcc_lo, v3, v3
	v_add_f32_e32 v1, v1, v2
	s_delay_alu instid0(VALU_DEP_3) | instskip(SKIP_3) | instid1(VALU_DEP_3)
	v_dual_add_f32 v5, v6, v5 :: v_dual_and_b32 v2, 0xffff0000, v4
	s_wait_alu 0xfffd
	v_cndmask_b32_e32 v3, v13, v31, vcc_lo
	v_add_f32_e32 v4, v29, v28
	v_add_f32_e32 v1, v1, v5
	s_delay_alu instid0(VALU_DEP_3) | instskip(NEXT) | instid1(VALU_DEP_1)
	v_and_b32_e32 v3, 0xffff0000, v3
	v_add_f32_e32 v2, v3, v2
	s_delay_alu instid0(VALU_DEP_1) | instskip(NEXT) | instid1(VALU_DEP_1)
	v_dual_add_f32 v6, v7, v26 :: v_dual_add_f32 v1, v2, v1
	v_dual_add_f32 v3, v6, v4 :: v_dual_add_f32 v24, v24, v1
	s_delay_alu instid0(VALU_DEP_1)
	v_add_f32_e32 v22, v22, v3
.LBB331_41:                             ;   in Loop: Header=BB331_42 Depth=1
	s_wait_alu 0xfffe
	s_or_b32 exec_lo, exec_lo, s7
	v_add_nc_u32_e32 v19, 4, v19
	v_add_co_u32 v9, s0, v9, 16
	s_wait_alu 0xf1ff
	v_add_co_ci_u32_e64 v10, null, 0, v10, s0
	s_delay_alu instid0(VALU_DEP_3)
	v_cmp_le_i32_e32 vcc_lo, s34, v19
	v_add_nc_u32_e32 v18, 64, v18
	v_add_nc_u32_e32 v25, 0x100, v25
	s_or_b32 s5, vcc_lo, s5
	s_wait_alu 0xfffe
	s_and_not1_b32 exec_lo, exec_lo, s5
	s_cbranch_execz .LBB331_47
.LBB331_42:                             ; =>This Inner Loop Header: Depth=1
	v_sub_nc_u32_e32 v1, 0, v18
	s_delay_alu instid0(VALU_DEP_1) | instskip(NEXT) | instid1(VALU_DEP_1)
	v_max_i32_e32 v1, v18, v1
	v_mul_hi_u32 v2, v1, s22
	s_delay_alu instid0(VALU_DEP_1) | instskip(NEXT) | instid1(VALU_DEP_1)
	v_mul_lo_u32 v3, v2, s16
	v_sub_nc_u32_e32 v1, v1, v3
	v_add_nc_u32_e32 v3, 1, v2
	s_delay_alu instid0(VALU_DEP_2) | instskip(SKIP_2) | instid1(VALU_DEP_2)
	v_subrev_nc_u32_e32 v4, s16, v1
	v_cmp_le_u32_e32 vcc_lo, s16, v1
	s_wait_alu 0xfffd
	v_dual_cndmask_b32 v2, v2, v3 :: v_dual_cndmask_b32 v1, v1, v4
	v_ashrrev_i32_e32 v3, 31, v18
	s_delay_alu instid0(VALU_DEP_2) | instskip(NEXT) | instid1(VALU_DEP_3)
	v_add_nc_u32_e32 v4, 1, v2
	v_cmp_le_u32_e32 vcc_lo, s16, v1
	s_delay_alu instid0(VALU_DEP_3) | instskip(SKIP_1) | instid1(VALU_DEP_3)
	v_xor_b32_e32 v3, s23, v3
	s_wait_alu 0xfffd
	v_cndmask_b32_e32 v1, v2, v4, vcc_lo
	s_delay_alu instid0(VALU_DEP_1) | instskip(NEXT) | instid1(VALU_DEP_1)
	v_xor_b32_e32 v1, v1, v3
	v_sub_nc_u32_e32 v1, v1, v3
	s_delay_alu instid0(VALU_DEP_1) | instskip(SKIP_1) | instid1(VALU_DEP_2)
	v_add_nc_u32_e32 v2, s21, v1
	v_cmp_lt_i32_e64 s0, s3, v1
	v_sub_nc_u32_e32 v3, 0, v2
	s_delay_alu instid0(VALU_DEP_1) | instskip(SKIP_1) | instid1(VALU_DEP_1)
	v_max_i32_e32 v3, v2, v3
	s_wait_alu 0xfffe
	v_mul_hi_u32 v4, v3, s6
	s_delay_alu instid0(VALU_DEP_1) | instskip(NEXT) | instid1(VALU_DEP_1)
	v_mul_lo_u32 v4, v4, s2
	v_sub_nc_u32_e32 v3, v3, v4
	s_delay_alu instid0(VALU_DEP_1) | instskip(SKIP_2) | instid1(VALU_DEP_2)
	v_subrev_nc_u32_e32 v4, s2, v3
	v_cmp_le_u32_e32 vcc_lo, s2, v3
	s_wait_alu 0xfffd
	v_cndmask_b32_e32 v3, v3, v4, vcc_lo
	v_ashrrev_i32_e32 v2, 31, v2
	s_delay_alu instid0(VALU_DEP_2) | instskip(SKIP_2) | instid1(VALU_DEP_2)
	v_subrev_nc_u32_e32 v4, s2, v3
	v_cmp_le_u32_e32 vcc_lo, s2, v3
	s_wait_alu 0xfffd
	v_cndmask_b32_e32 v3, v3, v4, vcc_lo
	s_delay_alu instid0(VALU_DEP_1) | instskip(NEXT) | instid1(VALU_DEP_1)
	v_xor_b32_e32 v3, v3, v2
	v_sub_nc_u32_e32 v2, v3, v2
	s_delay_alu instid0(VALU_DEP_1)
	v_cmp_eq_u32_e32 vcc_lo, 0, v2
	s_or_b32 s0, vcc_lo, s0
	s_wait_alu 0xfffe
	s_and_saveexec_b32 s7, s0
	s_cbranch_execz .LBB331_41
; %bb.43:                               ;   in Loop: Header=BB331_42 Depth=1
	global_load_b32 v1, v[9:10], off
	v_cmp_eq_u32_e32 vcc_lo, s38, v19
	s_wait_loadcnt 0x0
	v_mad_co_i64_i32 v[13:14], null, v1, s4, v[11:12]
	global_load_b64 v[26:27], v[13:14], off
	ds_load_2addr_b64 v[5:8], v25 offset1:1
	ds_load_2addr_b64 v[1:4], v25 offset0:2 offset1:3
	s_load_b32 s13, s[10:11], 0x0
	s_wait_loadcnt 0x0
	v_and_b32_e32 v32, 0xff, v27
	v_bfe_u32 v30, v26, 8, 8
	v_bfe_u32 v31, v26, 16, 8
	;; [unrolled: 1-line block ×4, first 2 shown]
	v_cvt_f32_fp8_e32 v32, v32
	v_and_b32_e32 v29, 0xff, v26
	v_cvt_f32_fp8_e32 v30, v30
	v_lshrrev_b32_e32 v26, 24, v26
	v_cvt_f32_fp8_e32 v31, v31
	s_wait_kmcnt 0x0
	v_mul_f32_e32 v32, s13, v32
	v_cvt_f32_fp8_e32 v29, v29
	v_add_nc_u32_e32 v28, v23, v18
	v_cvt_f32_fp8_e32 v26, v26
	v_cvt_f32_fp8_e32 v33, v33
	s_delay_alu instid0(VALU_DEP_4) | instskip(NEXT) | instid1(VALU_DEP_4)
	v_dual_mul_f32 v30, s13, v30 :: v_dual_mul_f32 v29, s13, v29
	v_add_nc_u32_e32 v41, 1, v28
	v_dual_mul_f32 v31, s13, v31 :: v_dual_add_nc_u32 v40, 2, v28
	s_delay_alu instid0(VALU_DEP_3) | instskip(NEXT) | instid1(VALU_DEP_4)
	v_bfe_u32 v43, v30, 16, 1
	v_bfe_u32 v35, v29, 16, 1
	v_or_b32_e32 v42, 0x400000, v29
	v_cmp_u_f32_e64 s0, v29, v29
	v_dual_mul_f32 v26, s13, v26 :: v_dual_add_nc_u32 v39, 3, v28
	s_delay_alu instid0(VALU_DEP_4)
	v_add3_u32 v35, v35, v29, 0x7fff
	v_or_b32_e32 v44, 0x400000, v30
	v_bfe_u32 v45, v31, 16, 1
	v_add3_u32 v43, v43, v30, 0x7fff
	v_or_b32_e32 v46, 0x400000, v31
	s_wait_alu 0xf1ff
	v_cndmask_b32_e64 v29, v35, v42, s0
	v_cmp_u_f32_e64 s0, v30, v30
	v_bfe_u32 v47, v26, 16, 1
	v_add3_u32 v45, v45, v31, 0x7fff
	v_dual_mul_f32 v33, s13, v33 :: v_dual_add_nc_u32 v38, 4, v28
	s_wait_alu 0xf1ff
	v_cndmask_b32_e64 v30, v43, v44, s0
	v_cmp_u_f32_e64 s0, v31, v31
	v_lshrrev_b32_e32 v27, 24, v27
	v_cvt_f32_fp8_e32 v34, v34
	v_or_b32_e32 v48, 0x400000, v26
	v_bfe_u32 v49, v32, 16, 1
	v_add3_u32 v47, v47, v26, 0x7fff
	s_wait_alu 0xf1ff
	v_cndmask_b32_e64 v31, v45, v46, s0
	v_cmp_u_f32_e64 s0, v26, v26
	v_dual_mul_f32 v34, s13, v34 :: v_dual_add_nc_u32 v37, 5, v28
	v_cvt_f32_fp8_e32 v27, v27
	v_or_b32_e32 v50, 0x400000, v32
	v_bfe_u32 v51, v33, 16, 1
	v_add3_u32 v49, v49, v32, 0x7fff
	s_wait_alu 0xf1ff
	v_cndmask_b32_e64 v26, v47, v48, s0
	v_cmp_u_f32_e64 s0, v32, v32
	v_dual_mul_f32 v27, s13, v27 :: v_dual_add_nc_u32 v36, 6, v28
	v_or_b32_e32 v52, 0x400000, v33
	v_bfe_u32 v53, v34, 16, 1
	v_add3_u32 v51, v51, v33, 0x7fff
	s_wait_alu 0xf1ff
	v_cndmask_b32_e64 v35, v49, v50, s0
	v_cmp_u_f32_e64 s0, v33, v33
	v_or_b32_e32 v54, 0x400000, v34
	v_bfe_u32 v55, v27, 16, 1
	v_add3_u32 v53, v53, v34, 0x7fff
	v_or_b32_e32 v56, 0x400000, v27
	s_wait_alu 0xf1ff
	v_cndmask_b32_e64 v42, v51, v52, s0
	v_cmp_u_f32_e64 s0, v34, v34
	v_add3_u32 v55, v55, v27, 0x7fff
	v_lshrrev_b32_e32 v34, 16, v29
	v_lshrrev_b32_e32 v33, 16, v30
	;; [unrolled: 1-line block ×3, first 2 shown]
	s_wait_alu 0xf1ff
	v_cndmask_b32_e64 v43, v53, v54, s0
	v_cmp_u_f32_e64 s0, v27, v27
	v_lshrrev_b32_e32 v31, 16, v26
	v_lshrrev_b32_e32 v30, 16, v35
	;; [unrolled: 1-line block ×4, first 2 shown]
	s_wait_alu 0xf1ff
	v_cndmask_b32_e64 v44, v55, v56, s0
	v_add_nc_u32_e32 v47, 7, v28
	s_delay_alu instid0(VALU_DEP_2)
	v_lshrrev_b32_e32 v26, 16, v44
	s_and_saveexec_b32 s14, vcc_lo
	s_cbranch_execz .LBB331_45
; %bb.44:                               ;   in Loop: Header=BB331_42 Depth=1
	v_cmp_gt_i32_e64 s0, s33, v28
	s_wait_alu 0xf1ff
	s_delay_alu instid0(VALU_DEP_1) | instskip(SKIP_2) | instid1(VALU_DEP_1)
	v_cndmask_b32_e64 v34, 0, v34, s0
	v_cmp_gt_i32_e64 s0, s33, v41
	s_wait_alu 0xf1ff
	v_cndmask_b32_e64 v33, 0, v33, s0
	v_cmp_gt_i32_e64 s0, s33, v40
	s_wait_alu 0xf1ff
	s_delay_alu instid0(VALU_DEP_1) | instskip(SKIP_2) | instid1(VALU_DEP_1)
	v_cndmask_b32_e64 v32, 0, v32, s0
	v_cmp_gt_i32_e64 s0, s33, v39
	s_wait_alu 0xf1ff
	v_cndmask_b32_e64 v31, 0, v31, s0
	;; [unrolled: 7-line block ×4, first 2 shown]
.LBB331_45:                             ;   in Loop: Header=BB331_42 Depth=1
	s_wait_alu 0xfffe
	s_or_b32 exec_lo, exec_lo, s14
	global_load_b64 v[13:14], v[13:14], off offset:256
	s_wait_loadcnt 0x0
	v_bfe_u32 v42, v13, 8, 8
	v_bfe_u32 v43, v13, 16, 8
	;; [unrolled: 1-line block ×4, first 2 shown]
	s_delay_alu instid0(VALU_DEP_4)
	v_cvt_f32_fp8_e32 v42, v42
	v_and_b32_e32 v35, 0xff, v13
	v_lshrrev_b32_e32 v13, 24, v13
	v_cvt_f32_fp8_e32 v43, v43
	v_cvt_f32_fp8_e32 v46, v46
	v_mul_f32_e32 v42, s13, v42
	v_cvt_f32_fp8_e32 v35, v35
	v_and_b32_e32 v44, 0xff, v14
	v_cvt_f32_fp8_e32 v13, v13
	v_lshrrev_b32_e32 v14, 24, v14
	v_bfe_u32 v50, v42, 16, 1
	v_mul_f32_e32 v35, s13, v35
	v_cvt_f32_fp8_e32 v44, v44
	v_mul_f32_e32 v43, s13, v43
	v_dual_mul_f32 v13, s13, v13 :: v_dual_mul_f32 v46, s13, v46
	s_delay_alu instid0(VALU_DEP_4)
	v_bfe_u32 v48, v35, 16, 1
	v_or_b32_e32 v49, 0x400000, v35
	v_cmp_u_f32_e64 s0, v35, v35
	v_mul_f32_e32 v44, s13, v44
	v_or_b32_e32 v51, 0x400000, v42
	v_add3_u32 v48, v48, v35, 0x7fff
	v_bfe_u32 v52, v43, 16, 1
	v_add3_u32 v50, v50, v42, 0x7fff
	v_cvt_f32_fp8_e32 v45, v45
	v_or_b32_e32 v53, 0x400000, v43
	s_wait_alu 0xf1ff
	v_cndmask_b32_e64 v35, v48, v49, s0
	v_cmp_u_f32_e64 s0, v42, v42
	v_bfe_u32 v54, v13, 16, 1
	v_add3_u32 v52, v52, v43, 0x7fff
	v_cvt_f32_fp8_e32 v14, v14
	v_mul_f32_e32 v45, s13, v45
	s_wait_alu 0xf1ff
	v_cndmask_b32_e64 v42, v50, v51, s0
	v_cmp_u_f32_e64 s0, v43, v43
	v_or_b32_e32 v55, 0x400000, v13
	v_bfe_u32 v56, v44, 16, 1
	v_add3_u32 v54, v54, v13, 0x7fff
	v_mul_f32_e32 v14, s13, v14
	s_wait_alu 0xf1ff
	v_cndmask_b32_e64 v43, v52, v53, s0
	v_cmp_u_f32_e64 s0, v13, v13
	v_or_b32_e32 v57, 0x400000, v44
	v_bfe_u32 v58, v45, 16, 1
	v_add3_u32 v56, v56, v44, 0x7fff
	v_or_b32_e32 v59, 0x400000, v45
	s_wait_alu 0xf1ff
	v_cndmask_b32_e64 v13, v54, v55, s0
	v_cmp_u_f32_e64 s0, v44, v44
	v_bfe_u32 v60, v46, 16, 1
	v_add3_u32 v58, v58, v45, 0x7fff
	v_or_b32_e32 v61, 0x400000, v46
	v_bfe_u32 v62, v14, 16, 1
	s_wait_alu 0xf1ff
	v_cndmask_b32_e64 v48, v56, v57, s0
	v_cmp_u_f32_e64 s0, v45, v45
	v_add3_u32 v60, v60, v46, 0x7fff
	v_or_b32_e32 v63, 0x400000, v14
	v_add3_u32 v62, v62, v14, 0x7fff
	v_lshrrev_b32_e32 v45, 16, v42
	s_wait_alu 0xf1ff
	v_cndmask_b32_e64 v49, v58, v59, s0
	v_cmp_u_f32_e64 s0, v46, v46
	v_lshrrev_b32_e32 v46, 16, v35
	v_lshrrev_b32_e32 v44, 16, v43
	;; [unrolled: 1-line block ×4, first 2 shown]
	s_wait_alu 0xf1ff
	v_cndmask_b32_e64 v50, v60, v61, s0
	v_cmp_u_f32_e64 s0, v14, v14
	v_lshrrev_b32_e32 v35, 16, v49
	s_delay_alu instid0(VALU_DEP_3) | instskip(SKIP_1) | instid1(VALU_DEP_3)
	v_lshrrev_b32_e32 v14, 16, v50
	s_wait_alu 0xf1ff
	v_cndmask_b32_e64 v51, v62, v63, s0
	s_delay_alu instid0(VALU_DEP_1)
	v_lshrrev_b32_e32 v13, 16, v51
	s_and_saveexec_b32 s0, vcc_lo
	s_cbranch_execz .LBB331_40
; %bb.46:                               ;   in Loop: Header=BB331_42 Depth=1
	v_cmp_gt_i32_e32 vcc_lo, s33, v28
	s_wait_alu 0xfffd
	v_cndmask_b32_e32 v46, 0, v46, vcc_lo
	v_cmp_gt_i32_e32 vcc_lo, s33, v41
	s_wait_alu 0xfffd
	v_cndmask_b32_e32 v45, 0, v45, vcc_lo
	v_cmp_gt_i32_e32 vcc_lo, s33, v40
	s_wait_alu 0xfffd
	v_cndmask_b32_e32 v44, 0, v44, vcc_lo
	v_cmp_gt_i32_e32 vcc_lo, s33, v39
	s_wait_alu 0xfffd
	v_cndmask_b32_e32 v43, 0, v43, vcc_lo
	v_cmp_gt_i32_e32 vcc_lo, s33, v38
	s_wait_alu 0xfffd
	v_cndmask_b32_e32 v42, 0, v42, vcc_lo
	v_cmp_gt_i32_e32 vcc_lo, s33, v37
	s_wait_alu 0xfffd
	v_cndmask_b32_e32 v35, 0, v35, vcc_lo
	v_cmp_gt_i32_e32 vcc_lo, s33, v36
	s_wait_alu 0xfffd
	v_cndmask_b32_e32 v14, 0, v14, vcc_lo
	v_cmp_gt_i32_e32 vcc_lo, s33, v47
	s_wait_alu 0xfffd
	v_cndmask_b32_e32 v13, 0, v13, vcc_lo
	s_branch .LBB331_40
.LBB331_47:
	s_or_b32 exec_lo, exec_lo, s5
.LBB331_48:
	s_wait_alu 0xfffe
	s_or_b32 exec_lo, exec_lo, s1
	ds_bpermute_b32 v1, v21, v22
	ds_bpermute_b32 v5, v21, v24
	v_lshrrev_b32_e32 v3, 1, v20
	v_and_b32_e32 v6, 0x3c1, v0
	s_mov_b32 s0, exec_lo
	s_wait_storecnt 0x0
	s_wait_loadcnt_dscnt 0x0
	s_barrier_signal -1
	v_lshl_add_u32 v4, v3, 2, 0x60
	s_barrier_wait -1
	global_inv scope:SCOPE_SE
	v_add_f32_e32 v2, v22, v1
	v_add_f32_e32 v1, v24, v5
	v_cmpx_eq_u32_e32 64, v6
	s_cbranch_execz .LBB331_50
; %bb.49:
	v_lshl_add_u32 v5, v17, 7, v4
	s_delay_alu instid0(VALU_DEP_1)
	v_add_nc_u32_e32 v6, 0xffffff00, v5
	v_add_nc_u32_e32 v5, 0xffffff40, v5
	ds_store_b32 v6, v2
	ds_store_b32 v5, v1
.LBB331_50:
	s_wait_alu 0xfffe
	s_or_b32 exec_lo, exec_lo, s0
	v_and_b32_e32 v5, 0x3e0, v0
	v_lshlrev_b32_e32 v3, 2, v3
	s_mov_b32 s1, exec_lo
	v_cmp_eq_u32_e32 vcc_lo, 0, v16
	s_wait_loadcnt_dscnt 0x0
	v_lshlrev_b32_e32 v5, 2, v5
	s_barrier_signal -1
	s_barrier_wait -1
	global_inv scope:SCOPE_SE
	v_add3_u32 v3, 0x60, v5, v3
	v_cmpx_gt_u32_e32 64, v0
	s_cbranch_execz .LBB331_56
; %bb.51:
	s_and_saveexec_b32 s0, vcc_lo
	s_cbranch_execz .LBB331_53
; %bb.52:
	ds_load_b32 v5, v3
	s_wait_dscnt 0x0
	v_add_f32_e32 v2, v2, v5
.LBB331_53:
	s_wait_alu 0xfffe
	s_or_b32 exec_lo, exec_lo, s0
	s_and_saveexec_b32 s0, vcc_lo
	s_cbranch_execz .LBB331_55
; %bb.54:
	ds_load_b32 v5, v3 offset:64
	s_wait_dscnt 0x0
	v_add_f32_e32 v1, v1, v5
.LBB331_55:
	s_wait_alu 0xfffe
	s_or_b32 exec_lo, exec_lo, s0
.LBB331_56:
	s_wait_alu 0xfffe
	s_or_b32 exec_lo, exec_lo, s1
	v_and_b32_e32 v5, 0x3e1, v0
	s_mov_b32 s1, exec_lo
	s_wait_loadcnt 0x0
	s_barrier_signal -1
	s_barrier_wait -1
	global_inv scope:SCOPE_SE
	v_cmpx_eq_u32_e32 32, v5
; %bb.57:
	ds_store_2addr_b32 v4, v2, v1 offset1:16
; %bb.58:
	s_wait_alu 0xfffe
	s_or_b32 exec_lo, exec_lo, s1
	s_delay_alu instid0(SALU_CYCLE_1)
	s_mov_b32 s1, exec_lo
	s_wait_loadcnt_dscnt 0x0
	s_barrier_signal -1
	s_barrier_wait -1
	global_inv scope:SCOPE_SE
	v_cmpx_gt_u32_e32 32, v0
	s_cbranch_execz .LBB331_64
; %bb.59:
	s_and_saveexec_b32 s0, vcc_lo
	s_cbranch_execz .LBB331_61
; %bb.60:
	ds_load_b32 v0, v3
	s_wait_dscnt 0x0
	v_add_f32_e32 v2, v2, v0
.LBB331_61:
	s_wait_alu 0xfffe
	s_or_b32 exec_lo, exec_lo, s0
	s_and_saveexec_b32 s0, vcc_lo
	s_cbranch_execz .LBB331_63
; %bb.62:
	ds_load_b32 v0, v3 offset:64
	s_wait_dscnt 0x0
	v_add_f32_e32 v1, v1, v0
.LBB331_63:
	s_wait_alu 0xfffe
	s_or_b32 exec_lo, exec_lo, s0
.LBB331_64:
	s_wait_alu 0xfffe
	s_or_b32 exec_lo, exec_lo, s1
	s_mov_b32 s1, 0
	s_wait_loadcnt 0x0
	s_barrier_signal -1
	s_barrier_wait -1
	global_inv scope:SCOPE_SE
	s_mov_b32 s0, exec_lo
	v_cmpx_eq_u32_e32 0, v5
	s_cbranch_execz .LBB331_66
; %bb.65:
	v_bfe_u32 v0, v2, 16, 1
	v_bfe_u32 v3, v1, 16, 1
	v_or_b32_e32 v4, 0x400000, v2
	v_cmp_u_f32_e32 vcc_lo, v2, v2
	s_lshl_b32 s2, s18, 5
	v_add3_u32 v0, v0, v2, 0x7fff
	s_wait_kmcnt 0x0
	s_mul_i32 s4, s12, s20
	s_wait_alu 0xfffe
	s_ashr_i32 s3, s2, 31
	v_add3_u32 v3, v3, v1, 0x7fff
	v_or_b32_e32 v5, 0x400000, v1
	s_wait_alu 0xfffd
	v_cndmask_b32_e32 v0, v0, v4, vcc_lo
	v_cmp_u_f32_e32 vcc_lo, v1, v1
	s_wait_alu 0xfffe
	s_lshl_b64 s[2:3], s[2:3], 1
	s_ashr_i32 s5, s4, 31
	s_wait_alu 0xfffe
	s_add_nc_u64 s[2:3], s[8:9], s[2:3]
	s_lshl_b64 s[4:5], s[4:5], 1
	v_lshlrev_b32_e32 v2, 1, v15
	s_wait_alu 0xfffe
	s_add_nc_u64 s[2:3], s[2:3], s[4:5]
	s_lshl_b32 s0, s15, 1
	s_wait_alu 0xfffd
	v_cndmask_b32_e32 v1, v3, v5, vcc_lo
	s_wait_alu 0xfffe
	s_add_nc_u64 s[0:1], s[2:3], s[0:1]
	s_clause 0x1
	global_store_d16_hi_b16 v2, v0, s[0:1]
	global_store_d16_hi_b16 v2, v1, s[0:1] offset:32
.LBB331_66:
	s_endpgm
	.section	.rodata,"a",@progbits
	.p2align	6, 0x0
	.amdhsa_kernel _ZN4vllm25paged_attention_v2_kernelI14__hip_bfloat16hLi32ELi16ELi128ELNS_18Fp8KVCacheDataTypeE1ELb1ELi512EEEvPfS3_PT_PKS4_PKT0_SA_ifPKiSC_iPKfiiiSE_SE_iiiii
		.amdhsa_group_segment_fixed_size 96
		.amdhsa_private_segment_fixed_size 0
		.amdhsa_kernarg_size 400
		.amdhsa_user_sgpr_count 2
		.amdhsa_user_sgpr_dispatch_ptr 0
		.amdhsa_user_sgpr_queue_ptr 0
		.amdhsa_user_sgpr_kernarg_segment_ptr 1
		.amdhsa_user_sgpr_dispatch_id 0
		.amdhsa_user_sgpr_private_segment_size 0
		.amdhsa_wavefront_size32 1
		.amdhsa_uses_dynamic_stack 0
		.amdhsa_enable_private_segment 0
		.amdhsa_system_sgpr_workgroup_id_x 1
		.amdhsa_system_sgpr_workgroup_id_y 1
		.amdhsa_system_sgpr_workgroup_id_z 1
		.amdhsa_system_sgpr_workgroup_info 0
		.amdhsa_system_vgpr_workitem_id 0
		.amdhsa_next_free_vgpr 86
		.amdhsa_next_free_sgpr 45
		.amdhsa_reserve_vcc 1
		.amdhsa_float_round_mode_32 0
		.amdhsa_float_round_mode_16_64 0
		.amdhsa_float_denorm_mode_32 3
		.amdhsa_float_denorm_mode_16_64 3
		.amdhsa_fp16_overflow 0
		.amdhsa_workgroup_processor_mode 1
		.amdhsa_memory_ordered 1
		.amdhsa_forward_progress 1
		.amdhsa_inst_pref_size 68
		.amdhsa_round_robin_scheduling 0
		.amdhsa_exception_fp_ieee_invalid_op 0
		.amdhsa_exception_fp_denorm_src 0
		.amdhsa_exception_fp_ieee_div_zero 0
		.amdhsa_exception_fp_ieee_overflow 0
		.amdhsa_exception_fp_ieee_underflow 0
		.amdhsa_exception_fp_ieee_inexact 0
		.amdhsa_exception_int_div_zero 0
	.end_amdhsa_kernel
	.section	.text._ZN4vllm25paged_attention_v2_kernelI14__hip_bfloat16hLi32ELi16ELi128ELNS_18Fp8KVCacheDataTypeE1ELb1ELi512EEEvPfS3_PT_PKS4_PKT0_SA_ifPKiSC_iPKfiiiSE_SE_iiiii,"axG",@progbits,_ZN4vllm25paged_attention_v2_kernelI14__hip_bfloat16hLi32ELi16ELi128ELNS_18Fp8KVCacheDataTypeE1ELb1ELi512EEEvPfS3_PT_PKS4_PKT0_SA_ifPKiSC_iPKfiiiSE_SE_iiiii,comdat
.Lfunc_end331:
	.size	_ZN4vllm25paged_attention_v2_kernelI14__hip_bfloat16hLi32ELi16ELi128ELNS_18Fp8KVCacheDataTypeE1ELb1ELi512EEEvPfS3_PT_PKS4_PKT0_SA_ifPKiSC_iPKfiiiSE_SE_iiiii, .Lfunc_end331-_ZN4vllm25paged_attention_v2_kernelI14__hip_bfloat16hLi32ELi16ELi128ELNS_18Fp8KVCacheDataTypeE1ELb1ELi512EEEvPfS3_PT_PKS4_PKT0_SA_ifPKiSC_iPKfiiiSE_SE_iiiii
                                        ; -- End function
	.set _ZN4vllm25paged_attention_v2_kernelI14__hip_bfloat16hLi32ELi16ELi128ELNS_18Fp8KVCacheDataTypeE1ELb1ELi512EEEvPfS3_PT_PKS4_PKT0_SA_ifPKiSC_iPKfiiiSE_SE_iiiii.num_vgpr, 86
	.set _ZN4vllm25paged_attention_v2_kernelI14__hip_bfloat16hLi32ELi16ELi128ELNS_18Fp8KVCacheDataTypeE1ELb1ELi512EEEvPfS3_PT_PKS4_PKT0_SA_ifPKiSC_iPKfiiiSE_SE_iiiii.num_agpr, 0
	.set _ZN4vllm25paged_attention_v2_kernelI14__hip_bfloat16hLi32ELi16ELi128ELNS_18Fp8KVCacheDataTypeE1ELb1ELi512EEEvPfS3_PT_PKS4_PKT0_SA_ifPKiSC_iPKfiiiSE_SE_iiiii.numbered_sgpr, 45
	.set _ZN4vllm25paged_attention_v2_kernelI14__hip_bfloat16hLi32ELi16ELi128ELNS_18Fp8KVCacheDataTypeE1ELb1ELi512EEEvPfS3_PT_PKS4_PKT0_SA_ifPKiSC_iPKfiiiSE_SE_iiiii.num_named_barrier, 0
	.set _ZN4vllm25paged_attention_v2_kernelI14__hip_bfloat16hLi32ELi16ELi128ELNS_18Fp8KVCacheDataTypeE1ELb1ELi512EEEvPfS3_PT_PKS4_PKT0_SA_ifPKiSC_iPKfiiiSE_SE_iiiii.private_seg_size, 0
	.set _ZN4vllm25paged_attention_v2_kernelI14__hip_bfloat16hLi32ELi16ELi128ELNS_18Fp8KVCacheDataTypeE1ELb1ELi512EEEvPfS3_PT_PKS4_PKT0_SA_ifPKiSC_iPKfiiiSE_SE_iiiii.uses_vcc, 1
	.set _ZN4vllm25paged_attention_v2_kernelI14__hip_bfloat16hLi32ELi16ELi128ELNS_18Fp8KVCacheDataTypeE1ELb1ELi512EEEvPfS3_PT_PKS4_PKT0_SA_ifPKiSC_iPKfiiiSE_SE_iiiii.uses_flat_scratch, 0
	.set _ZN4vllm25paged_attention_v2_kernelI14__hip_bfloat16hLi32ELi16ELi128ELNS_18Fp8KVCacheDataTypeE1ELb1ELi512EEEvPfS3_PT_PKS4_PKT0_SA_ifPKiSC_iPKfiiiSE_SE_iiiii.has_dyn_sized_stack, 0
	.set _ZN4vllm25paged_attention_v2_kernelI14__hip_bfloat16hLi32ELi16ELi128ELNS_18Fp8KVCacheDataTypeE1ELb1ELi512EEEvPfS3_PT_PKS4_PKT0_SA_ifPKiSC_iPKfiiiSE_SE_iiiii.has_recursion, 0
	.set _ZN4vllm25paged_attention_v2_kernelI14__hip_bfloat16hLi32ELi16ELi128ELNS_18Fp8KVCacheDataTypeE1ELb1ELi512EEEvPfS3_PT_PKS4_PKT0_SA_ifPKiSC_iPKfiiiSE_SE_iiiii.has_indirect_call, 0
	.section	.AMDGPU.csdata,"",@progbits
; Kernel info:
; codeLenInByte = 8592
; TotalNumSgprs: 47
; NumVgprs: 86
; ScratchSize: 0
; MemoryBound: 0
; FloatMode: 240
; IeeeMode: 1
; LDSByteSize: 96 bytes/workgroup (compile time only)
; SGPRBlocks: 0
; VGPRBlocks: 10
; NumSGPRsForWavesPerEU: 47
; NumVGPRsForWavesPerEU: 86
; Occupancy: 16
; WaveLimiterHint : 1
; COMPUTE_PGM_RSRC2:SCRATCH_EN: 0
; COMPUTE_PGM_RSRC2:USER_SGPR: 2
; COMPUTE_PGM_RSRC2:TRAP_HANDLER: 0
; COMPUTE_PGM_RSRC2:TGID_X_EN: 1
; COMPUTE_PGM_RSRC2:TGID_Y_EN: 1
; COMPUTE_PGM_RSRC2:TGID_Z_EN: 1
; COMPUTE_PGM_RSRC2:TIDIG_COMP_CNT: 0
	.section	.text._ZN4vllm25paged_attention_v2_kernelI14__hip_bfloat16hLi64ELi16ELi128ELNS_18Fp8KVCacheDataTypeE1ELb1ELi512EEEvPfS3_PT_PKS4_PKT0_SA_ifPKiSC_iPKfiiiSE_SE_iiiii,"axG",@progbits,_ZN4vllm25paged_attention_v2_kernelI14__hip_bfloat16hLi64ELi16ELi128ELNS_18Fp8KVCacheDataTypeE1ELb1ELi512EEEvPfS3_PT_PKS4_PKT0_SA_ifPKiSC_iPKfiiiSE_SE_iiiii,comdat
	.protected	_ZN4vllm25paged_attention_v2_kernelI14__hip_bfloat16hLi64ELi16ELi128ELNS_18Fp8KVCacheDataTypeE1ELb1ELi512EEEvPfS3_PT_PKS4_PKT0_SA_ifPKiSC_iPKfiiiSE_SE_iiiii ; -- Begin function _ZN4vllm25paged_attention_v2_kernelI14__hip_bfloat16hLi64ELi16ELi128ELNS_18Fp8KVCacheDataTypeE1ELb1ELi512EEEvPfS3_PT_PKS4_PKT0_SA_ifPKiSC_iPKfiiiSE_SE_iiiii
	.globl	_ZN4vllm25paged_attention_v2_kernelI14__hip_bfloat16hLi64ELi16ELi128ELNS_18Fp8KVCacheDataTypeE1ELb1ELi512EEEvPfS3_PT_PKS4_PKT0_SA_ifPKiSC_iPKfiiiSE_SE_iiiii
	.p2align	8
	.type	_ZN4vllm25paged_attention_v2_kernelI14__hip_bfloat16hLi64ELi16ELi128ELNS_18Fp8KVCacheDataTypeE1ELb1ELi512EEEvPfS3_PT_PKS4_PKT0_SA_ifPKiSC_iPKfiiiSE_SE_iiiii,@function
_ZN4vllm25paged_attention_v2_kernelI14__hip_bfloat16hLi64ELi16ELi128ELNS_18Fp8KVCacheDataTypeE1ELb1ELi512EEEvPfS3_PT_PKS4_PKT0_SA_ifPKiSC_iPKfiiiSE_SE_iiiii: ; @_ZN4vllm25paged_attention_v2_kernelI14__hip_bfloat16hLi64ELi16ELi128ELNS_18Fp8KVCacheDataTypeE1ELb1ELi512EEEvPfS3_PT_PKS4_PKT0_SA_ifPKiSC_iPKfiiiSE_SE_iiiii
; %bb.0:
	s_load_b64 s[2:3], s[0:1], 0x40
	s_and_b32 s39, ttmp7, 0xffff
	s_lshr_b32 s33, ttmp7, 16
	s_lshl_b32 s4, s39, 2
	s_lshl_b32 s41, s33, 9
	s_wait_kmcnt 0x0
	s_load_b32 s38, s[2:3], s4 offset:0x0
	s_wait_kmcnt 0x0
	s_cmp_ge_i32 s41, s38
	s_cbranch_scc1 .LBB332_72
; %bb.1:
	s_clause 0x1
	s_load_b32 s40, s[0:1], 0x90
	s_load_b64 s[14:15], s[0:1], 0x30
	s_wait_kmcnt 0x0
	s_abs_i32 s5, s40
	s_abs_i32 s2, s14
	s_delay_alu instid0(SALU_CYCLE_1) | instskip(SKIP_1) | instid1(SALU_CYCLE_2)
	s_cvt_f32_u32 s3, s2
	s_sub_co_i32 s4, 0, s2
	v_rcp_iflag_f32_e32 v1, s3
	s_delay_alu instid0(TRANS32_DEP_1) | instskip(SKIP_2) | instid1(SALU_CYCLE_2)
	v_readfirstlane_b32 s3, v1
	s_mul_f32 s3, s3, 0x4f7ffffe
	s_wait_alu 0xfffe
	s_cvt_u32_f32 s3, s3
	s_wait_alu 0xfffe
	s_delay_alu instid0(SALU_CYCLE_2) | instskip(NEXT) | instid1(SALU_CYCLE_1)
	s_mul_i32 s4, s4, s3
	s_mul_hi_u32 s4, s3, s4
	s_delay_alu instid0(SALU_CYCLE_1)
	s_add_co_i32 s3, s3, s4
	s_xor_b32 s4, s40, s14
	s_wait_alu 0xfffe
	s_mul_hi_u32 s3, s5, s3
	s_ashr_i32 s4, s4, 31
	s_wait_alu 0xfffe
	s_mul_i32 s6, s3, s2
	s_delay_alu instid0(SALU_CYCLE_1)
	s_sub_co_i32 s5, s5, s6
	s_add_co_i32 s6, s3, 1
	s_sub_co_i32 s7, s5, s2
	s_cmp_ge_u32 s5, s2
	s_cselect_b32 s3, s6, s3
	s_cselect_b32 s5, s7, s5
	s_wait_alu 0xfffe
	s_add_co_i32 s6, s3, 1
	s_cmp_ge_u32 s5, s2
	s_cselect_b32 s2, s6, s3
	s_load_b64 s[6:7], s[0:1], 0x50
	s_xor_b32 s2, s2, s4
	s_mov_b32 s3, 0
	s_wait_alu 0xfffe
	s_sub_co_i32 s9, s2, s4
	s_mov_b32 s44, s3
	s_abs_i32 s8, s9
	s_delay_alu instid0(SALU_CYCLE_1) | instskip(SKIP_1) | instid1(SALU_CYCLE_2)
	s_cvt_f32_u32 s2, s8
	s_wait_alu 0xfffe
	v_rcp_iflag_f32_e32 v1, s2
	s_delay_alu instid0(TRANS32_DEP_1) | instskip(SKIP_2) | instid1(SALU_CYCLE_2)
	v_readfirstlane_b32 s2, v1
	s_mul_f32 s2, s2, 0x4f7ffffe
	s_wait_alu 0xfffe
	s_cvt_u32_f32 s4, s2
	s_sub_co_i32 s2, 0, s8
	s_wait_alu 0xfffe
	s_delay_alu instid0(SALU_CYCLE_1)
	s_mul_i32 s2, s2, s4
	s_wait_alu 0xfffe
	s_mul_hi_u32 s5, s4, s2
	s_abs_i32 s2, ttmp9
	s_add_co_i32 s4, s4, s5
	s_mov_b32 s5, s3
	s_wait_kmcnt 0x0
	s_cmp_eq_u64 s[6:7], 0
	s_cbranch_scc1 .LBB332_3
; %bb.2:
	s_mov_b32 s10, ttmp9
	s_ashr_i32 s11, ttmp9, 31
	s_delay_alu instid0(SALU_CYCLE_1) | instskip(NEXT) | instid1(SALU_CYCLE_1)
	s_lshl_b64 s[10:11], s[10:11], 2
	s_add_nc_u64 s[6:7], s[6:7], s[10:11]
	s_load_b32 s44, s[6:7], 0x0
.LBB332_3:
	s_load_b96 s[24:26], s[0:1], 0x58
	v_lshrrev_b32_e32 v15, 1, v0
	v_and_b32_e32 v16, 1, v0
	v_lshlrev_b32_e32 v9, 3, v0
	s_mul_u64 s[4:5], s[2:3], s[4:5]
	s_ashr_i32 s3, ttmp9, 31
	s_ashr_i32 s4, s9, 31
	s_lshl_b32 s28, ttmp9, 6
	s_mov_b32 s6, exec_lo
	v_cmpx_gt_u32_e32 16, v0
	s_cbranch_execz .LBB332_5
; %bb.4:
	s_load_b64 s[10:11], s[0:1], 0x18
	s_wait_kmcnt 0x0
	s_mul_i32 s12, s24, s39
	s_ashr_i32 s29, s28, 31
	s_ashr_i32 s13, s12, 31
	v_lshlrev_b32_e32 v3, 3, v15
	s_lshl_b64 s[12:13], s[12:13], 1
	s_delay_alu instid0(VALU_DEP_1) | instskip(SKIP_2) | instid1(SALU_CYCLE_1)
	v_lshl_add_u32 v3, v16, 6, v3
	s_add_nc_u64 s[10:11], s[10:11], s[12:13]
	s_lshl_b64 s[12:13], s[28:29], 1
	s_add_nc_u64 s[10:11], s[10:11], s[12:13]
	global_load_b64 v[1:2], v9, s[10:11]
	s_wait_loadcnt 0x0
	ds_store_b64 v3, v[1:2]
.LBB332_5:
	s_or_b32 exec_lo, exec_lo, s6
	s_clause 0x1
	s_load_b128 s[20:23], s[0:1], 0x78
	s_load_b32 s7, s[0:1], 0x88
	s_mul_i32 s6, s5, s8
	s_xor_b32 s3, s3, s4
	s_sub_co_i32 s2, s2, s6
	s_add_co_i32 s4, s5, 1
	s_wait_alu 0xfffe
	s_sub_co_i32 s6, s2, s8
	s_cmp_ge_u32 s2, s8
	s_mov_b32 s9, -1
	s_cselect_b32 s4, s4, s5
	s_cselect_b32 s2, s6, s2
	s_add_co_i32 s5, s4, 1
	s_wait_alu 0xfffe
	s_cmp_ge_u32 s2, s8
	s_wait_dscnt 0x0
	s_cselect_b32 s2, s5, s4
	s_add_co_i32 s8, s38, -1
	s_wait_alu 0xfffe
	s_xor_b32 s2, s2, s3
	s_barrier_signal -1
	s_wait_alu 0xfffe
	s_sub_co_i32 s6, s2, s3
	s_barrier_wait -1
	s_wait_kmcnt 0x0
	s_abs_i32 s24, s23
	global_inv scope:SCOPE_SE
	s_cvt_f32_u32 s4, s24
                                        ; implicit-def: $sgpr29
	s_delay_alu instid0(SALU_CYCLE_3) | instskip(NEXT) | instid1(TRANS32_DEP_1)
	v_rcp_iflag_f32_e32 v1, s4
	v_readfirstlane_b32 s4, v1
	s_mul_f32 s2, s4, 0x4f7ffffe
	s_wait_alu 0xfffe
	s_delay_alu instid0(SALU_CYCLE_2) | instskip(SKIP_2) | instid1(SALU_CYCLE_1)
	s_cvt_u32_f32 s4, s2
	s_sub_co_i32 s2, 0, s24
	s_wait_alu 0xfffe
	s_mul_i32 s3, s2, s4
	s_abs_i32 s2, s8
	s_wait_alu 0xfffe
	s_mul_hi_u32 s5, s4, s3
	s_mov_b32 s3, 0
	s_wait_alu 0xfffe
	s_add_co_i32 s30, s4, s5
	s_cmp_lt_i32 s7, 0
	s_mov_b32 s31, s3
	s_cbranch_scc0 .LBB332_7
; %bb.6:
	s_mul_i32 s4, s20, s14
	s_mov_b32 s9, s3
	s_wait_alu 0xfffe
	s_add_co_i32 s4, s6, s4
	s_wait_alu 0xfffe
	s_mul_i32 s4, s4, s7
	s_wait_alu 0xfffe
	s_sub_co_i32 s29, 1, s4
.LBB332_7:
	s_mul_u64 s[4:5], s[2:3], s[30:31]
	s_ashr_i32 s3, s8, 31
	s_and_not1_b32 vcc_lo, exec_lo, s9
	s_ashr_i32 s23, s23, 31
	s_cbranch_vccnz .LBB332_9
; %bb.8:
	s_mul_i32 s4, s40, s20
	s_wait_alu 0xfffe
	s_add_co_i32 s4, s4, ttmp9
	s_wait_alu 0xfffe
	s_mul_i32 s4, s4, s7
	s_wait_alu 0xfffe
	s_add_co_i32 s29, s4, 1
.LBB332_9:
	s_clause 0x3
	s_load_b32 s4, s[0:1], 0x48
	s_load_b64 s[34:35], s[0:1], 0x38
	s_load_b32 s20, s[0:1], 0x98
	s_load_b128 s[16:19], s[0:1], 0x68
	s_mul_i32 s7, s5, s24
	s_xor_b32 s3, s3, s23
	s_sub_co_i32 s2, s2, s7
	s_add_co_i32 s8, s5, 1
	v_lshrrev_b32_e32 v17, 5, v0
	v_mbcnt_lo_u32_b32 v11, -1, 0
	s_mul_i32 s26, s6, s26
	s_delay_alu instid0(VALU_DEP_2)
	v_lshl_add_u32 v18, v17, 4, s41
	s_wait_kmcnt 0x0
	s_mul_i32 s36, s4, s39
	s_wait_alu 0xfffe
	s_sub_co_i32 s4, s2, s24
	s_ashr_i32 s37, s36, 31
	s_cmp_ge_u32 s2, s24
	s_cselect_b32 s5, s8, s5
	s_wait_alu 0xfffe
	s_cselect_b32 s2, s4, s2
	s_add_co_i32 s4, s5, 1
	s_wait_alu 0xfffe
	s_cmp_ge_u32 s2, s24
	s_cselect_b32 s2, s4, s5
	s_add_co_i32 s4, s38, 15
	s_lshl_b32 s45, s33, 5
	s_wait_alu 0xfffe
	s_ashr_i32 s5, s4, 31
	v_or_b32_e32 v19, s45, v17
	s_wait_alu 0xfffe
	s_lshr_b32 s5, s5, 28
	v_mov_b32_e32 v13, 0xff7fffff
	s_wait_alu 0xfffe
	s_add_co_i32 s4, s4, s5
	s_add_co_i32 s5, s45, 32
	s_wait_alu 0xfffe
	s_ashr_i32 s42, s4, 4
	s_xor_b32 s4, s2, s3
	s_min_i32 s31, s5, s42
	v_lshlrev_b32_e32 v10, 2, v19
	v_cmp_gt_i32_e64 s2, s31, v19
	s_wait_alu 0xfffe
	s_sub_co_i32 s43, s4, s3
	s_and_saveexec_b32 s46, s2
	s_cbranch_execz .LBB332_21
; %bb.10:
	s_sub_co_i32 s47, s43, s21
	s_ashr_i32 s27, s26, 31
	s_cmp_neq_f32 s44, 0
	s_load_b64 s[4:5], s[0:1], 0x20
	v_bfe_u32 v12, v0, 1, 4
	v_dual_mov_b32 v23, 0xff7fffff :: v_dual_lshlrev_b32 v2, 2, v16
	s_cselect_b32 vcc_lo, -1, 0
	s_abs_i32 s48, s22
	s_delay_alu instid0(VALU_DEP_2)
	v_lshlrev_b32_e32 v3, 4, v12
	s_cvt_f32_u32 s3, s48
	v_dual_mov_b32 v25, v19 :: v_dual_lshlrev_b32 v4, 2, v12
	s_lshl_b64 s[6:7], s[36:37], 2
	s_wait_alu 0xfffe
	v_rcp_iflag_f32_e32 v1, s3
	v_subrev_nc_u32_e32 v13, s38, v12
	s_add_nc_u64 s[6:7], s[34:35], s[6:7]
	s_sub_co_i32 s9, 0, s48
	v_cmp_eq_u32_e64 s3, 0, v16
	v_lshlrev_b32_e32 v14, 6, v16
	v_lshl_add_u32 v20, v17, 4, s41
	v_add_nc_u32_e32 v21, 1, v13
	v_xor_b32_e32 v24, 1, v11
	s_wait_kmcnt 0x0
	s_add_nc_u64 s[4:5], s[4:5], s[26:27]
	v_readfirstlane_b32 s8, v1
	s_wait_alu 0xfffe
	v_add_co_u32 v3, s4, s4, v3
	v_lshl_or_b32 v1, v17, 6, v4
	s_wait_alu 0xf1ff
	v_add_co_ci_u32_e64 v4, null, s5, 0, s4
	s_mul_f32 s8, s8, 0x4f7ffffe
	v_add_co_u32 v5, s4, v3, v2
	s_wait_alu 0xf1ff
	v_add_co_ci_u32_e64 v6, null, 0, v4, s4
	s_cvt_u32_f32 s5, s8
	v_add_co_u32 v7, s4, s6, v10
	s_wait_alu 0xf1ff
	v_add_co_ci_u32_e64 v8, null, s7, 0, s4
	s_wait_alu 0xfffe
	s_mul_i32 s9, s9, s5
	v_add_nc_u32_e32 v22, 0xa0, v1
	v_mov_b32_e32 v13, 0xff7fffff
	s_mul_hi_u32 s4, s5, s9
	s_mov_b32 s49, 0
	s_mov_b32 s27, s25
	s_wait_alu 0xfffe
	s_add_co_i32 s50, s5, s4
	s_branch .LBB332_13
.LBB332_11:                             ;   in Loop: Header=BB332_13 Depth=1
	s_wait_alu 0xfffe
	s_or_b32 exec_lo, exec_lo, s5
.LBB332_12:                             ;   in Loop: Header=BB332_13 Depth=1
	s_wait_alu 0xfffe
	s_or_b32 exec_lo, exec_lo, s51
	v_add_nc_u32_e32 v25, 4, v25
	v_add_co_u32 v7, s5, v7, 16
	s_wait_alu 0xf1ff
	v_add_co_ci_u32_e64 v8, null, 0, v8, s5
	s_delay_alu instid0(VALU_DEP_3)
	v_cmp_le_i32_e64 s4, s31, v25
	v_add_nc_u32_e32 v20, 64, v20
	v_add_nc_u32_e32 v22, 0x100, v22
	s_or_b32 s49, s4, s49
	s_wait_alu 0xfffe
	s_and_not1_b32 exec_lo, exec_lo, s49
	s_cbranch_execz .LBB332_20
.LBB332_13:                             ; =>This Inner Loop Header: Depth=1
	v_sub_nc_u32_e32 v1, 0, v20
	s_delay_alu instid0(VALU_DEP_1) | instskip(SKIP_1) | instid1(VALU_DEP_1)
	v_max_i32_e32 v1, v20, v1
	s_wait_dscnt 0x0
	v_mul_hi_u32 v2, v1, s30
	s_delay_alu instid0(VALU_DEP_1) | instskip(NEXT) | instid1(VALU_DEP_1)
	v_mul_lo_u32 v3, v2, s24
	v_sub_nc_u32_e32 v1, v1, v3
	v_add_nc_u32_e32 v3, 1, v2
	s_delay_alu instid0(VALU_DEP_2) | instskip(SKIP_2) | instid1(VALU_DEP_1)
	v_subrev_nc_u32_e32 v4, s24, v1
	v_cmp_le_u32_e64 s4, s24, v1
	s_wait_alu 0xf1ff
	v_cndmask_b32_e64 v2, v2, v3, s4
	s_delay_alu instid0(VALU_DEP_3) | instskip(SKIP_1) | instid1(VALU_DEP_3)
	v_cndmask_b32_e64 v1, v1, v4, s4
	v_ashrrev_i32_e32 v3, 31, v20
	v_add_nc_u32_e32 v4, 1, v2
	s_delay_alu instid0(VALU_DEP_3) | instskip(NEXT) | instid1(VALU_DEP_3)
	v_cmp_le_u32_e64 s4, s24, v1
	v_xor_b32_e32 v3, s23, v3
	s_wait_alu 0xf1ff
	s_delay_alu instid0(VALU_DEP_2) | instskip(NEXT) | instid1(VALU_DEP_1)
	v_cndmask_b32_e64 v1, v2, v4, s4
	v_xor_b32_e32 v1, v1, v3
	s_delay_alu instid0(VALU_DEP_1) | instskip(NEXT) | instid1(VALU_DEP_1)
	v_sub_nc_u32_e32 v1, v1, v3
	v_add_nc_u32_e32 v2, s29, v1
	v_cmp_ge_i32_e64 s5, s47, v1
	s_delay_alu instid0(VALU_DEP_2) | instskip(NEXT) | instid1(VALU_DEP_1)
	v_sub_nc_u32_e32 v3, 0, v2
	v_max_i32_e32 v3, v2, v3
	v_ashrrev_i32_e32 v2, 31, v2
	s_delay_alu instid0(VALU_DEP_2) | instskip(NEXT) | instid1(VALU_DEP_1)
	v_mul_hi_u32 v4, v3, s50
	v_mul_lo_u32 v4, v4, s48
	s_delay_alu instid0(VALU_DEP_1) | instskip(NEXT) | instid1(VALU_DEP_1)
	v_sub_nc_u32_e32 v3, v3, v4
	v_subrev_nc_u32_e32 v4, s48, v3
	v_cmp_le_u32_e64 s4, s48, v3
	s_wait_alu 0xf1ff
	s_delay_alu instid0(VALU_DEP_1) | instskip(NEXT) | instid1(VALU_DEP_1)
	v_cndmask_b32_e64 v3, v3, v4, s4
	v_subrev_nc_u32_e32 v4, s48, v3
	v_cmp_le_u32_e64 s4, s48, v3
	s_wait_alu 0xf1ff
	s_delay_alu instid0(VALU_DEP_1) | instskip(NEXT) | instid1(VALU_DEP_1)
	v_cndmask_b32_e64 v3, v3, v4, s4
	v_xor_b32_e32 v3, v3, v2
	s_delay_alu instid0(VALU_DEP_1) | instskip(NEXT) | instid1(VALU_DEP_1)
	v_sub_nc_u32_e32 v2, v3, v2
	v_cmp_ne_u32_e64 s4, 0, v2
	s_and_b32 s4, s4, s5
	s_wait_alu 0xfffe
	s_and_saveexec_b32 s5, s4
	s_wait_alu 0xfffe
	s_xor_b32 s4, exec_lo, s5
	s_cbranch_execz .LBB332_17
; %bb.14:                               ;   in Loop: Header=BB332_13 Depth=1
	s_and_saveexec_b32 s5, s3
; %bb.15:                               ;   in Loop: Header=BB332_13 Depth=1
	ds_store_b32 v22, v23
; %bb.16:                               ;   in Loop: Header=BB332_13 Depth=1
	s_wait_alu 0xfffe
	s_or_b32 exec_lo, exec_lo, s5
.LBB332_17:                             ;   in Loop: Header=BB332_13 Depth=1
	s_wait_alu 0xfffe
	s_and_not1_saveexec_b32 s51, s4
	s_cbranch_execz .LBB332_12
; %bb.18:                               ;   in Loop: Header=BB332_13 Depth=1
	global_load_b32 v1, v[7:8], off
	s_wait_loadcnt 0x0
	v_mad_co_i64_i32 v[1:2], null, v1, s27, v[5:6]
	s_clause 0x7
	global_load_b32 v63, v[1:2], off
	global_load_b32 v64, v[1:2], off offset:8
	global_load_b32 v65, v[1:2], off offset:256
	global_load_b32 v66, v[1:2], off offset:264
	global_load_b32 v67, v[1:2], off offset:512
	global_load_b32 v68, v[1:2], off offset:520
	global_load_b32 v69, v[1:2], off offset:768
	global_load_b32 v70, v[1:2], off offset:776
	ds_load_b128 v[42:45], v14
	ds_load_b128 v[55:58], v14 offset:16
	ds_load_b128 v[59:62], v14 offset:32
	;; [unrolled: 1-line block ×3, first 2 shown]
	s_load_b32 s4, s[16:17], 0x0
	s_wait_dscnt 0x2
	v_lshlrev_b32_e32 v36, 16, v57
	s_wait_dscnt 0x1
	v_lshlrev_b32_e32 v29, 16, v62
	;; [unrolled: 2-line block ×3, first 2 shown]
	v_lshlrev_b32_e32 v28, 16, v3
	v_lshlrev_b32_e32 v33, 16, v58
	;; [unrolled: 1-line block ×3, first 2 shown]
	s_wait_loadcnt 0x4
	v_and_b32_e32 v71, 0xff, v66
	v_bfe_u32 v72, v66, 8, 8
	v_bfe_u32 v73, v66, 16, 8
	v_lshrrev_b32_e32 v66, 24, v66
	s_wait_loadcnt 0x1
	v_bfe_u32 v82, v69, 16, 8
	v_bfe_u32 v75, v67, 8, 8
	;; [unrolled: 1-line block ×4, first 2 shown]
	v_cvt_f32_fp8_e32 v66, v66
	v_lshlrev_b32_e32 v35, 16, v56
	v_cvt_f32_fp8_e32 v82, v82
	v_and_b32_e32 v47, 0xffff0000, v56
	v_bfe_u32 v56, v63, 16, 8
	s_wait_loadcnt 0x0
	v_and_b32_e32 v83, 0xff, v70
	v_bfe_u32 v84, v70, 8, 8
	v_cvt_f32_fp8_e32 v73, v73
	v_and_b32_e32 v52, 0xffff0000, v42
	v_cvt_f32_fp8_e32 v56, v56
	v_lshlrev_b32_e32 v39, 16, v42
	v_cvt_f32_fp8_e32 v75, v75
	v_cvt_f32_fp8_e32 v81, v81
	v_and_b32_e32 v42, 0xffff0000, v62
	s_wait_kmcnt 0x0
	v_mul_f32_e32 v56, s4, v56
	v_and_b32_e32 v74, 0xff, v67
	v_lshrrev_b32_e32 v67, 24, v67
	v_and_b32_e32 v62, 0xff, v65
	v_dual_mul_f32 v75, s4, v75 :: v_dual_and_b32 v54, 0xffff0000, v44
	v_bfe_u32 v78, v68, 8, 8
	s_delay_alu instid0(VALU_DEP_4)
	v_cvt_f32_fp8_e32 v67, v67
	v_and_b32_e32 v50, 0xffff0000, v57
	v_lshrrev_b32_e32 v57, 24, v63
	v_bfe_u32 v79, v68, 16, 8
	v_bfe_u32 v85, v70, 16, 8
	v_cvt_f32_fp8_e32 v62, v62
	v_lshlrev_b32_e32 v41, 16, v44
	v_cvt_f32_fp8_e32 v57, v57
	v_lshlrev_b32_e32 v38, 16, v55
	;; [unrolled: 2-line block ×3, first 2 shown]
	v_cvt_f32_fp8_e32 v83, v83
	v_mul_f32_e32 v57, s4, v57
	v_and_b32_e32 v80, 0xff, v69
	v_lshrrev_b32_e32 v69, 24, v69
	s_delay_alu instid0(VALU_DEP_4) | instskip(SKIP_2) | instid1(VALU_DEP_4)
	v_dual_mul_f32 v83, s4, v83 :: v_dual_and_b32 v44, 0xffff0000, v1
	v_cvt_f32_fp8_e32 v84, v84
	v_and_b32_e32 v1, 0xffff0000, v2
	v_cvt_f32_fp8_e32 v69, v69
	v_and_b32_e32 v2, 0xffff0000, v3
	v_and_b32_e32 v3, 0xff, v63
	v_lshrrev_b32_e32 v70, 24, v70
	v_cvt_f32_fp8_e32 v78, v78
	v_and_b32_e32 v53, 0xffff0000, v45
	v_cvt_f32_fp8_e32 v79, v79
	v_and_b32_e32 v46, 0xffff0000, v61
	v_lshrrev_b32_e32 v61, 24, v64
	v_cvt_f32_fp8_e32 v3, v3
	v_lshlrev_b32_e32 v40, 16, v45
	v_cvt_f32_fp8_e32 v80, v80
	v_and_b32_e32 v45, 0xffff0000, v58
	v_cvt_f32_fp8_e32 v85, v85
	v_dual_mul_f32 v73, s4, v73 :: v_dual_and_b32 v58, 0xff, v64
	v_and_b32_e32 v77, 0xff, v68
	v_lshrrev_b32_e32 v68, 24, v68
	v_cvt_f32_fp8_e32 v61, v61
	v_lshlrev_b32_e32 v34, 16, v59
	v_cvt_f32_fp8_e32 v74, v74
	v_lshlrev_b32_e32 v31, 16, v60
	v_cvt_f32_fp8_e32 v76, v76
	v_and_b32_e32 v49, 0xffff0000, v43
	v_cvt_f32_fp8_e32 v77, v77
	v_and_b32_e32 v48, 0xffff0000, v59
	v_bfe_u32 v59, v64, 8, 8
	v_cvt_f32_fp8_e32 v68, v68
	v_and_b32_e32 v51, 0xffff0000, v55
	v_bfe_u32 v55, v63, 8, 8
	v_bfe_u32 v63, v65, 8, 8
	v_cvt_f32_fp8_e32 v70, v70
	v_mul_f32_e32 v85, s4, v85
	v_cvt_f32_fp8_e32 v58, v58
	v_lshlrev_b32_e32 v37, 16, v43
	s_delay_alu instid0(VALU_DEP_4)
	v_dual_mul_f32 v70, s4, v70 :: v_dual_and_b32 v43, 0xffff0000, v60
	v_bfe_u32 v60, v64, 16, 8
	v_bfe_u32 v64, v65, 16, 8
	v_lshrrev_b32_e32 v65, 24, v65
	v_mul_f32_e32 v3, s4, v3
	v_cvt_f32_fp8_e32 v55, v55
	v_cvt_f32_fp8_e32 v59, v59
	;; [unrolled: 1-line block ×7, first 2 shown]
	v_bfe_u32 v86, v3, 16, 1
	v_dual_mul_f32 v65, s4, v65 :: v_dual_lshlrev_b32 v26, 16, v4
	v_dual_mul_f32 v55, s4, v55 :: v_dual_mul_f32 v58, s4, v58
	v_dual_mul_f32 v59, s4, v59 :: v_dual_mul_f32 v60, s4, v60
	;; [unrolled: 1-line block ×5, first 2 shown]
	v_mul_f32_e32 v66, s4, v66
	v_mul_f32_e32 v74, s4, v74
	v_dual_mul_f32 v76, s4, v76 :: v_dual_mul_f32 v67, s4, v67
	v_dual_mul_f32 v77, s4, v77 :: v_dual_mul_f32 v78, s4, v78
	;; [unrolled: 1-line block ×5, first 2 shown]
	v_mul_f32_e32 v84, s4, v84
	v_or_b32_e32 v87, 0x400000, v3
	v_bfe_u32 v107, v65, 16, 1
	v_add3_u32 v86, v86, v3, 0x7fff
	v_cmp_u_f32_e64 s4, v3, v3
	v_bfe_u32 v109, v71, 16, 1
	v_or_b32_e32 v110, 0x400000, v65
	v_add3_u32 v107, v107, v65, 0x7fff
	v_bfe_u32 v111, v72, 16, 1
	s_wait_alu 0xf1ff
	v_cndmask_b32_e64 v86, v86, v87, s4
	v_cmp_u_f32_e64 s4, v65, v65
	v_or_b32_e32 v112, 0x400000, v71
	v_add3_u32 v109, v109, v71, 0x7fff
	v_bfe_u32 v113, v73, 16, 1
	v_or_b32_e32 v114, 0x400000, v72
	s_wait_alu 0xf1ff
	v_cndmask_b32_e64 v65, v107, v110, s4
	v_cmp_u_f32_e64 s4, v71, v71
	v_add3_u32 v111, v111, v72, 0x7fff
	v_bfe_u32 v115, v66, 16, 1
	v_or_b32_e32 v116, 0x400000, v73
	v_add3_u32 v113, v113, v73, 0x7fff
	s_wait_alu 0xf1ff
	v_cndmask_b32_e64 v71, v109, v112, s4
	v_cmp_u_f32_e64 s4, v72, v72
	v_bfe_u32 v117, v74, 16, 1
	v_or_b32_e32 v118, 0x400000, v66
	v_add3_u32 v115, v115, v66, 0x7fff
	v_bfe_u32 v119, v75, 16, 1
	s_wait_alu 0xf1ff
	v_cndmask_b32_e64 v72, v111, v114, s4
	v_cmp_u_f32_e64 s4, v73, v73
	v_or_b32_e32 v120, 0x400000, v74
	v_add3_u32 v117, v117, v74, 0x7fff
	v_bfe_u32 v121, v76, 16, 1
	v_or_b32_e32 v122, 0x400000, v75
	s_wait_alu 0xf1ff
	v_cndmask_b32_e64 v73, v113, v116, s4
	v_cmp_u_f32_e64 s4, v66, v66
	v_add3_u32 v119, v119, v75, 0x7fff
	v_bfe_u32 v123, v67, 16, 1
	v_or_b32_e32 v124, 0x400000, v76
	v_add3_u32 v121, v121, v76, 0x7fff
	s_wait_alu 0xf1ff
	v_cndmask_b32_e64 v66, v115, v118, s4
	v_cmp_u_f32_e64 s4, v74, v74
	v_bfe_u32 v125, v77, 16, 1
	v_or_b32_e32 v126, 0x400000, v67
	v_add3_u32 v123, v123, v67, 0x7fff
	v_bfe_u32 v88, v55, 16, 1
	s_wait_alu 0xf1ff
	v_cndmask_b32_e64 v74, v117, v120, s4
	v_cmp_u_f32_e64 s4, v75, v75
	v_bfe_u32 v90, v56, 16, 1
	v_bfe_u32 v127, v78, 16, 1
	v_or_b32_e32 v3, 0x400000, v77
	v_add3_u32 v125, v125, v77, 0x7fff
	s_wait_alu 0xf1ff
	v_cndmask_b32_e64 v75, v119, v122, s4
	v_cmp_u_f32_e64 s4, v76, v76
	v_or_b32_e32 v89, 0x400000, v55
	v_or_b32_e32 v91, 0x400000, v56
	v_bfe_u32 v92, v57, 16, 1
	v_bfe_u32 v94, v58, 16, 1
	s_wait_alu 0xf1ff
	v_cndmask_b32_e64 v76, v121, v124, s4
	v_cmp_u_f32_e64 s4, v67, v67
	v_add3_u32 v88, v88, v55, 0x7fff
	v_cmp_u_f32_e64 s5, v55, v55
	v_bfe_u32 v55, v79, 16, 1
	v_add3_u32 v90, v90, v56, 0x7fff
	s_wait_alu 0xf1ff
	v_cndmask_b32_e64 v67, v123, v126, s4
	v_cmp_u_f32_e64 s4, v77, v77
	v_cmp_u_f32_e64 s6, v56, v56
	v_or_b32_e32 v56, 0x400000, v78
	v_add3_u32 v127, v127, v78, 0x7fff
	v_or_b32_e32 v93, 0x400000, v57
	s_wait_alu 0xf1ff
	v_cndmask_b32_e64 v3, v125, v3, s4
	v_cmp_u_f32_e64 s4, v78, v78
	v_or_b32_e32 v95, 0x400000, v58
	v_bfe_u32 v96, v59, 16, 1
	v_bfe_u32 v98, v60, 16, 1
	v_add3_u32 v92, v92, v57, 0x7fff
	v_cmp_u_f32_e64 s7, v57, v57
	v_bfe_u32 v57, v68, 16, 1
	v_add3_u32 v94, v94, v58, 0x7fff
	v_cmp_u_f32_e64 s8, v58, v58
	v_or_b32_e32 v58, 0x400000, v79
	v_add3_u32 v55, v55, v79, 0x7fff
	s_wait_alu 0xf1ff
	v_cndmask_b32_e64 v56, v127, v56, s4
	v_cmp_u_f32_e64 s4, v79, v79
	v_or_b32_e32 v97, 0x400000, v59
	v_or_b32_e32 v99, 0x400000, v60
	v_bfe_u32 v100, v61, 16, 1
	v_bfe_u32 v102, v62, 16, 1
	v_add3_u32 v96, v96, v59, 0x7fff
	v_cmp_u_f32_e64 s9, v59, v59
	v_bfe_u32 v59, v80, 16, 1
	v_add3_u32 v98, v98, v60, 0x7fff
	v_cmp_u_f32_e64 s10, v60, v60
	v_or_b32_e32 v60, 0x400000, v68
	v_add3_u32 v57, v57, v68, 0x7fff
	s_wait_alu 0xf1ff
	v_cndmask_b32_e64 v55, v55, v58, s4
	v_cmp_u_f32_e64 s4, v68, v68
	v_or_b32_e32 v101, 0x400000, v61
	v_or_b32_e32 v103, 0x400000, v62
	v_bfe_u32 v104, v63, 16, 1
	v_bfe_u32 v105, v64, 16, 1
	v_add3_u32 v100, v100, v61, 0x7fff
	v_cmp_u_f32_e64 s11, v61, v61
	v_bfe_u32 v61, v81, 16, 1
	v_add3_u32 v102, v102, v62, 0x7fff
	v_cmp_u_f32_e64 s12, v62, v62
	v_or_b32_e32 v62, 0x400000, v80
	v_add3_u32 v59, v59, v80, 0x7fff
	s_wait_alu 0xf1ff
	v_cndmask_b32_e64 v57, v57, v60, s4
	v_cmp_u_f32_e64 s4, v80, v80
	v_or_b32_e32 v106, 0x400000, v63
	v_or_b32_e32 v108, 0x400000, v64
	v_add3_u32 v104, v104, v63, 0x7fff
	v_cmp_u_f32_e64 s13, v63, v63
	v_bfe_u32 v63, v82, 16, 1
	v_add3_u32 v105, v105, v64, 0x7fff
	v_cmp_u_f32_e64 s14, v64, v64
	v_or_b32_e32 v64, 0x400000, v81
	v_add3_u32 v61, v61, v81, 0x7fff
	s_wait_alu 0xf1ff
	v_cndmask_b32_e64 v58, v59, v62, s4
	v_cmp_u_f32_e64 s4, v81, v81
	v_bfe_u32 v87, v69, 16, 1
	v_cndmask_b32_e64 v88, v88, v89, s5
	v_or_b32_e32 v89, 0x400000, v82
	v_add3_u32 v63, v63, v82, 0x7fff
	s_wait_alu 0xf1ff
	v_cndmask_b32_e64 v59, v61, v64, s4
	v_cmp_u_f32_e64 s4, v82, v82
	v_cndmask_b32_e64 v90, v90, v91, s6
	v_bfe_u32 v91, v83, 16, 1
	v_cndmask_b32_e64 v92, v92, v93, s7
	v_or_b32_e32 v93, 0x400000, v69
	v_add3_u32 v87, v87, v69, 0x7fff
	s_wait_alu 0xf1ff
	v_cndmask_b32_e64 v60, v63, v89, s4
	v_cmp_u_f32_e64 s4, v69, v69
	v_cndmask_b32_e64 v94, v94, v95, s8
	v_bfe_u32 v95, v84, 16, 1
	v_cndmask_b32_e64 v96, v96, v97, s9
	v_or_b32_e32 v97, 0x400000, v83
	v_add3_u32 v91, v91, v83, 0x7fff
	s_wait_alu 0xf1ff
	v_cndmask_b32_e64 v61, v87, v93, s4
	v_cmp_u_f32_e64 s4, v83, v83
	v_cndmask_b32_e64 v98, v98, v99, s10
	v_bfe_u32 v99, v85, 16, 1
	v_cndmask_b32_e64 v100, v100, v101, s11
	v_or_b32_e32 v101, 0x400000, v84
	v_add3_u32 v95, v95, v84, 0x7fff
	s_wait_alu 0xf1ff
	v_cndmask_b32_e64 v62, v91, v97, s4
	v_cmp_u_f32_e64 s4, v84, v84
	v_cndmask_b32_e64 v102, v102, v103, s12
	v_bfe_u32 v103, v70, 16, 1
	v_cndmask_b32_e64 v104, v104, v106, s13
	v_or_b32_e32 v106, 0x400000, v85
	v_add3_u32 v99, v99, v85, 0x7fff
	s_wait_alu 0xf1ff
	v_cndmask_b32_e64 v63, v95, v101, s4
	v_cmp_u_f32_e64 s4, v85, v85
	v_and_b32_e32 v57, 0xffff0000, v57
	v_and_b32_e32 v3, 0xffff0000, v3
	;; [unrolled: 1-line block ×3, first 2 shown]
	v_cndmask_b32_e64 v105, v105, v108, s14
	v_or_b32_e32 v108, 0x400000, v70
	v_add3_u32 v103, v103, v70, 0x7fff
	s_wait_alu 0xf1ff
	v_cndmask_b32_e64 v64, v99, v106, s4
	v_cmp_u_f32_e64 s4, v70, v70
	v_and_b32_e32 v66, 0xffff0000, v66
	v_and_b32_e32 v71, 0xffff0000, v71
	;; [unrolled: 1-line block ×3, first 2 shown]
	v_mul_f32_e32 v54, v54, v80
	v_and_b32_e32 v84, 0xffff0000, v104
	v_and_b32_e32 v72, 0xffff0000, v72
	;; [unrolled: 1-line block ×3, first 2 shown]
	s_delay_alu instid0(VALU_DEP_4)
	v_dual_fmac_f32 v54, v52, v70 :: v_dual_and_b32 v75, 0xffff0000, v75
	v_and_b32_e32 v69, 0xffff0000, v86
	v_and_b32_e32 v74, 0xffff0000, v74
	;; [unrolled: 1-line block ×4, first 2 shown]
	v_dual_fmac_f32 v54, v51, v84 :: v_dual_and_b32 v79, 0xffff0000, v94
	s_wait_alu 0xf1ff
	v_cndmask_b32_e64 v68, v103, v108, s4
	v_cmp_gt_i32_e64 s4, 32, v24
	s_delay_alu instid0(VALU_DEP_3) | instskip(NEXT) | instid1(VALU_DEP_1)
	v_dual_fmac_f32 v54, v50, v72 :: v_dual_mul_f32 v41, v41, v79
	v_dual_fmac_f32 v54, v48, v75 :: v_dual_and_b32 v73, 0xffff0000, v73
	v_and_b32_e32 v83, 0xffff0000, v102
	s_delay_alu instid0(VALU_DEP_3) | instskip(NEXT) | instid1(VALU_DEP_3)
	v_fmac_f32_e32 v41, v39, v69
	v_dual_fmac_f32 v54, v46, v56 :: v_dual_and_b32 v67, 0xffff0000, v67
	s_delay_alu instid0(VALU_DEP_2) | instskip(NEXT) | instid1(VALU_DEP_1)
	v_fmac_f32_e32 v41, v38, v83
	v_dual_fmac_f32 v41, v36, v71 :: v_dual_and_b32 v78, 0xffff0000, v92
	s_delay_alu instid0(VALU_DEP_1) | instskip(NEXT) | instid1(VALU_DEP_1)
	v_fmac_f32_e32 v41, v34, v74
	v_dual_fmac_f32 v41, v32, v3 :: v_dual_and_b32 v82, 0xffff0000, v100
	s_delay_alu instid0(VALU_DEP_1) | instskip(NEXT) | instid1(VALU_DEP_2)
	v_fmac_f32_e32 v41, v30, v58
	v_dual_mul_f32 v52, v53, v82 :: v_dual_and_b32 v85, 0xffff0000, v105
	v_and_b32_e32 v65, 0xffff0000, v65
	v_and_b32_e32 v77, 0xffff0000, v90
	s_delay_alu instid0(VALU_DEP_3) | instskip(NEXT) | instid1(VALU_DEP_1)
	v_fmac_f32_e32 v52, v49, v78
	v_dual_fmac_f32 v52, v47, v65 :: v_dual_and_b32 v81, 0xffff0000, v98
	s_delay_alu instid0(VALU_DEP_1) | instskip(NEXT) | instid1(VALU_DEP_2)
	v_mul_f32_e32 v40, v40, v81
	v_fmac_f32_e32 v52, v45, v66
	s_delay_alu instid0(VALU_DEP_2) | instskip(NEXT) | instid1(VALU_DEP_2)
	v_fmac_f32_e32 v40, v37, v77
	v_fmac_f32_e32 v52, v43, v67
	s_delay_alu instid0(VALU_DEP_2) | instskip(NEXT) | instid1(VALU_DEP_2)
	v_fmac_f32_e32 v40, v35, v85
	v_fmac_f32_e32 v52, v42, v57
	s_delay_alu instid0(VALU_DEP_2) | instskip(NEXT) | instid1(VALU_DEP_1)
	v_fmac_f32_e32 v40, v33, v73
	v_fmac_f32_e32 v40, v31, v76
	v_and_b32_e32 v37, 0xffff0000, v60
	v_and_b32_e32 v55, 0xffff0000, v55
	s_delay_alu instid0(VALU_DEP_1) | instskip(NEXT) | instid1(VALU_DEP_1)
	v_dual_fmac_f32 v40, v29, v55 :: v_dual_and_b32 v29, 0xffff0000, v64
	v_dual_fmac_f32 v40, v27, v37 :: v_dual_and_b32 v39, 0xffff0000, v59
	s_delay_alu instid0(VALU_DEP_1) | instskip(NEXT) | instid1(VALU_DEP_2)
	v_fmac_f32_e32 v40, v26, v29
	v_dual_fmac_f32 v54, v44, v39 :: v_dual_and_b32 v35, 0xffff0000, v61
	s_delay_alu instid0(VALU_DEP_1) | instskip(SKIP_1) | instid1(VALU_DEP_1)
	v_dual_fmac_f32 v52, v1, v35 :: v_dual_and_b32 v1, 0xffff0000, v68
	v_and_b32_e32 v3, 0xffff0000, v63
	v_dual_fmac_f32 v54, v2, v3 :: v_dual_and_b32 v33, 0xffff0000, v62
	s_delay_alu instid0(VALU_DEP_1) | instskip(SKIP_2) | instid1(VALU_DEP_2)
	v_dual_fmac_f32 v41, v28, v33 :: v_dual_and_b32 v2, 0xffff0000, v4
	s_wait_alu 0xf1ff
	v_cndmask_b32_e64 v4, v11, v24, s4
	v_dual_add_f32 v3, v41, v54 :: v_dual_fmac_f32 v52, v2, v1
	s_delay_alu instid0(VALU_DEP_2) | instskip(NEXT) | instid1(VALU_DEP_2)
	v_lshlrev_b32_e32 v2, 2, v4
	v_add_f32_e32 v1, v3, v40
	s_delay_alu instid0(VALU_DEP_1)
	v_add_f32_e32 v1, v52, v1
	ds_bpermute_b32 v2, v2, v1
	s_and_saveexec_b32 s5, s3
	s_cbranch_execz .LBB332_11
; %bb.19:                               ;   in Loop: Header=BB332_13 Depth=1
	s_wait_dscnt 0x0
	v_add_f32_e32 v1, v1, v2
	v_add_nc_u32_e32 v3, v21, v20
	s_delay_alu instid0(VALU_DEP_1) | instskip(NEXT) | instid1(VALU_DEP_1)
	v_cvt_f32_i32_e32 v3, v3
	v_mul_f32_e32 v3, s44, v3
	s_delay_alu instid0(VALU_DEP_1) | instskip(NEXT) | instid1(VALU_DEP_1)
	v_dual_cndmask_b32 v2, 0, v3 :: v_dual_max_num_f32 v3, v13, v13
	v_dual_fmac_f32 v2, s15, v1 :: v_dual_add_nc_u32 v1, v12, v20
	s_delay_alu instid0(VALU_DEP_1) | instskip(NEXT) | instid1(VALU_DEP_2)
	v_max_num_f32_e32 v3, v3, v2
	v_cmp_gt_i32_e64 s4, s38, v1
	s_wait_alu 0xf1ff
	s_delay_alu instid0(VALU_DEP_1) | instskip(NEXT) | instid1(VALU_DEP_3)
	v_cndmask_b32_e64 v1, 0, v2, s4
	v_cndmask_b32_e64 v13, v13, v3, s4
	ds_store_b32 v22, v1
	s_branch .LBB332_11
.LBB332_20:
	s_or_b32 exec_lo, exec_lo, s49
.LBB332_21:
	s_delay_alu instid0(SALU_CYCLE_1)
	s_or_b32 exec_lo, exec_lo, s46
	v_xor_b32_e32 v1, 16, v11
	s_wait_dscnt 0x0
	v_xor_b32_e32 v2, 8, v11
	s_clause 0x2
	s_load_b128 s[4:7], s[0:1], 0x0
	s_load_b64 s[8:9], s[0:1], 0x10
	s_load_b64 s[12:13], s[0:1], 0x28
	v_lshlrev_b32_e32 v7, 2, v17
	v_and_b32_e32 v20, 31, v0
	v_cmp_gt_i32_e32 vcc_lo, 32, v1
	s_wait_alu 0xfffd
	v_cndmask_b32_e32 v1, v11, v1, vcc_lo
	v_cmp_gt_i32_e32 vcc_lo, 32, v2
	s_wait_alu 0xfffd
	v_dual_max_num_f32 v5, v13, v13 :: v_dual_cndmask_b32 v2, v11, v2
	s_delay_alu instid0(VALU_DEP_1) | instskip(SKIP_4) | instid1(VALU_DEP_1)
	v_lshlrev_b32_e32 v4, 2, v2
	v_lshlrev_b32_e32 v3, 2, v1
	ds_bpermute_b32 v1, v3, v13
	s_wait_dscnt 0x0
	v_max_num_f32_e32 v1, v1, v1
	v_max_num_f32_e32 v1, v5, v1
	v_xor_b32_e32 v5, 4, v11
	ds_bpermute_b32 v2, v4, v1
	v_cmp_gt_i32_e32 vcc_lo, 32, v5
	s_wait_dscnt 0x0
	s_wait_alu 0xfffd
	v_dual_cndmask_b32 v5, v11, v5 :: v_dual_max_num_f32 v2, v2, v2
	s_delay_alu instid0(VALU_DEP_1) | instskip(SKIP_1) | instid1(VALU_DEP_3)
	v_lshlrev_b32_e32 v6, 2, v5
	v_xor_b32_e32 v5, 2, v11
	v_max_num_f32_e32 v1, v1, v2
	s_delay_alu instid0(VALU_DEP_2)
	v_cmp_gt_i32_e32 vcc_lo, 32, v5
	ds_bpermute_b32 v2, v6, v1
	s_wait_alu 0xfffd
	v_cndmask_b32_e32 v5, v11, v5, vcc_lo
	v_cmp_eq_u32_e32 vcc_lo, 0, v20
	s_wait_dscnt 0x0
	v_max_num_f32_e32 v2, v2, v2
	s_delay_alu instid0(VALU_DEP_1)
	v_dual_max_num_f32 v1, v1, v2 :: v_dual_lshlrev_b32 v2, 2, v5
	ds_bpermute_b32 v5, v2, v1
	s_and_saveexec_b32 s0, vcc_lo
	s_cbranch_execz .LBB332_23
; %bb.22:
	s_wait_dscnt 0x0
	v_max_num_f32_e32 v5, v5, v5
	v_max_num_f32_e32 v1, v1, v1
	s_delay_alu instid0(VALU_DEP_1)
	v_max_num_f32_e32 v1, v1, v5
	ds_store_b32 v7, v1 offset:128
.LBB332_23:
	s_or_b32 exec_lo, exec_lo, s0
	v_cmp_gt_u32_e64 s0, 4, v20
	v_dual_mov_b32 v1, 0xff7fffff :: v_dual_lshlrev_b32 v8, 2, v20
	s_wait_loadcnt_dscnt 0x0
	s_barrier_signal -1
	s_barrier_wait -1
	global_inv scope:SCOPE_SE
	s_and_saveexec_b32 s1, s0
; %bb.24:
	ds_load_b32 v1, v8 offset:128
; %bb.25:
	s_or_b32 exec_lo, exec_lo, s1
	s_wait_dscnt 0x0
	ds_bpermute_b32 v5, v2, v1
	v_xor_b32_e32 v12, 1, v11
	v_max_num_f32_e32 v1, v1, v1
	s_delay_alu instid0(VALU_DEP_2) | instskip(NEXT) | instid1(VALU_DEP_1)
	v_cmp_gt_i32_e64 s1, 32, v12
	v_cndmask_b32_e64 v11, v11, v12, s1
	s_sub_co_i32 s1, s31, s45
	s_wait_alu 0xfffe
	s_lshl_b32 s1, s1, 4
	s_delay_alu instid0(VALU_DEP_1)
	v_lshlrev_b32_e32 v21, 2, v11
	v_mov_b32_e32 v11, 0
	s_wait_alu 0xfffe
	s_add_co_i32 s1, s1, s41
	s_wait_alu 0xfffe
	s_min_i32 s1, s1, s38
	s_wait_dscnt 0x0
	v_max_num_f32_e32 v5, v5, v5
	s_wait_alu 0xfffe
	s_sub_co_i32 s10, s1, s41
	s_wait_alu 0xfffe
	v_cmp_gt_i32_e64 s1, s10, v0
	v_max_num_f32_e32 v1, v1, v5
	ds_bpermute_b32 v5, v21, v1
	s_wait_dscnt 0x0
	v_max_num_f32_e32 v5, v5, v5
	s_delay_alu instid0(VALU_DEP_1)
	v_max_num_f32_e32 v1, v1, v5
	v_lshl_add_u32 v5, v0, 2, 0xa0
	ds_bpermute_b32 v1, v11, v1
	s_and_saveexec_b32 s11, s1
	s_cbranch_execz .LBB332_29
; %bb.26:
	v_lshl_add_u32 v12, v0, 2, 0xa0
	v_mov_b32_e32 v11, 0
	v_mov_b32_e32 v13, v0
	s_mov_b32 s14, 0
.LBB332_27:                             ; =>This Inner Loop Header: Depth=1
	ds_load_b32 v14, v12
	v_add_nc_u32_e32 v13, 0x80, v13
	s_delay_alu instid0(VALU_DEP_1) | instskip(SKIP_4) | instid1(VALU_DEP_1)
	v_cmp_le_i32_e64 s3, s10, v13
	s_wait_alu 0xfffe
	s_or_b32 s14, s3, s14
	s_wait_dscnt 0x0
	v_sub_f32_e32 v14, v14, v1
	v_mul_f32_e32 v14, 0x3fb8aa3b, v14
	s_delay_alu instid0(VALU_DEP_1)
	v_exp_f32_e32 v14, v14
	ds_store_b32 v12, v14
	v_dual_add_f32 v11, v11, v14 :: v_dual_add_nc_u32 v12, 0x200, v12
	s_wait_alu 0xfffe
	s_and_not1_b32 exec_lo, exec_lo, s14
	s_cbranch_execnz .LBB332_27
; %bb.28:
	s_or_b32 exec_lo, exec_lo, s14
.LBB332_29:
	s_wait_alu 0xfffe
	s_or_b32 exec_lo, exec_lo, s11
	ds_bpermute_b32 v3, v3, v11
	s_wait_dscnt 0x0
	v_add_f32_e32 v3, v11, v3
	ds_bpermute_b32 v4, v4, v3
	s_wait_dscnt 0x0
	v_add_f32_e32 v3, v3, v4
	;; [unrolled: 3-line block ×5, first 2 shown]
	s_and_saveexec_b32 s3, vcc_lo
; %bb.30:
	ds_store_b32 v7, v3 offset:144
; %bb.31:
	s_wait_alu 0xfffe
	s_or_b32 exec_lo, exec_lo, s3
	s_wait_loadcnt_dscnt 0x0
	s_barrier_signal -1
	s_barrier_wait -1
	global_inv scope:SCOPE_SE
	s_and_saveexec_b32 s3, s0
; %bb.32:
	ds_load_b32 v3, v8 offset:144
; %bb.33:
	s_wait_alu 0xfffe
	s_or_b32 exec_lo, exec_lo, s3
	s_wait_dscnt 0x0
	ds_bpermute_b32 v2, v2, v3
	s_wait_dscnt 0x0
	v_add_f32_e32 v2, v3, v2
	ds_bpermute_b32 v3, v21, v2
	s_wait_dscnt 0x0
	v_dual_add_f32 v2, v2, v3 :: v_dual_mov_b32 v3, 0
	ds_bpermute_b32 v2, v3, v2
	s_and_saveexec_b32 s0, s1
	s_cbranch_execz .LBB332_36
; %bb.34:
	s_wait_dscnt 0x0
	v_add_f32_e32 v3, 0x358637bd, v2
	s_mov_b32 s1, 0
	s_delay_alu instid0(VALU_DEP_1) | instskip(SKIP_1) | instid1(VALU_DEP_2)
	v_div_scale_f32 v4, null, v3, v3, 1.0
	v_div_scale_f32 v8, vcc_lo, 1.0, v3, 1.0
	v_rcp_f32_e32 v6, v4
	s_delay_alu instid0(TRANS32_DEP_1) | instskip(NEXT) | instid1(VALU_DEP_1)
	v_fma_f32 v7, -v4, v6, 1.0
	v_fmac_f32_e32 v6, v7, v6
	s_delay_alu instid0(VALU_DEP_1) | instskip(NEXT) | instid1(VALU_DEP_1)
	v_mul_f32_e32 v7, v8, v6
	v_fma_f32 v11, -v4, v7, v8
	s_delay_alu instid0(VALU_DEP_1) | instskip(NEXT) | instid1(VALU_DEP_1)
	v_fmac_f32_e32 v7, v11, v6
	v_fma_f32 v4, -v4, v7, v8
	s_wait_alu 0xfffd
	s_delay_alu instid0(VALU_DEP_1) | instskip(NEXT) | instid1(VALU_DEP_1)
	v_div_fmas_f32 v4, v4, v6, v7
	v_div_fixup_f32 v3, v4, v3, 1.0
	v_mov_b32_e32 v4, v0
.LBB332_35:                             ; =>This Inner Loop Header: Depth=1
	ds_load_b32 v6, v5
	v_add_nc_u32_e32 v4, 0x80, v4
	s_delay_alu instid0(VALU_DEP_1)
	v_cmp_le_i32_e32 vcc_lo, s10, v4
	s_wait_alu 0xfffe
	s_or_b32 s1, vcc_lo, s1
	s_wait_dscnt 0x0
	v_mul_f32_e32 v6, v3, v6
	ds_store_b32 v5, v6
	v_add_nc_u32_e32 v5, 0x200, v5
	s_wait_alu 0xfffe
	s_and_not1_b32 exec_lo, exec_lo, s1
	s_cbranch_execnz .LBB332_35
.LBB332_36:
	s_wait_alu 0xfffe
	s_or_b32 exec_lo, exec_lo, s0
	s_mul_i32 s0, s20, s39
	s_wait_loadcnt_dscnt 0x0
	s_wait_alu 0xfffe
	s_mul_i32 s10, s0, s40
	s_mov_b32 s0, exec_lo
	s_barrier_signal -1
	s_barrier_wait -1
	global_inv scope:SCOPE_SE
	v_cmpx_eq_u32_e32 0, v0
	s_cbranch_execz .LBB332_38
; %bb.37:
	s_wait_alu 0xfffe
	s_ashr_i32 s11, s10, 31
	s_mul_i32 s14, s20, ttmp9
	s_lshl_b32 s1, s33, 2
	s_wait_alu 0xfffe
	s_lshl_b64 s[16:17], s[10:11], 2
	s_ashr_i32 s15, s14, 31
	v_mov_b32_e32 v3, s1
	s_wait_kmcnt 0x0
	s_add_nc_u64 s[6:7], s[6:7], s[16:17]
	s_wait_alu 0xfffe
	s_lshl_b64 s[14:15], s[14:15], 2
	s_add_nc_u64 s[4:5], s[4:5], s[16:17]
	s_wait_alu 0xfffe
	s_add_nc_u64 s[6:7], s[6:7], s[14:15]
	s_add_nc_u64 s[4:5], s[4:5], s[14:15]
	s_clause 0x1
	global_store_b32 v3, v1, s[6:7]
	global_store_b32 v3, v2, s[4:5]
.LBB332_38:
	s_wait_alu 0xfffe
	s_or_b32 exec_lo, exec_lo, s0
	v_dual_mov_b32 v26, 0 :: v_dual_mov_b32 v25, 0
	v_dual_mov_b32 v23, 0 :: v_dual_mov_b32 v22, 0
	s_and_saveexec_b32 s1, s2
	s_cbranch_execz .LBB332_52
; %bb.39:
	s_abs_i32 s2, s22
	v_dual_mov_b32 v22, 0 :: v_dual_lshlrev_b32 v3, 5, v16
	s_wait_alu 0xfffe
	s_cvt_f32_u32 s0, s2
	s_wait_kmcnt 0x0
	s_lshl_b64 s[6:7], s[36:37], 2
	v_dual_mov_b32 v25, 0 :: v_dual_and_b32 v2, 0xf8, v9
	s_wait_alu 0xfffe
	v_rcp_iflag_f32_e32 v1, s0
	s_ashr_i32 s27, s26, 31
	s_add_nc_u64 s[6:7], s[34:35], s[6:7]
	v_dual_mov_b32 v23, 0 :: v_dual_and_b32 v24, 8, v9
	s_wait_alu 0xfffe
	s_add_nc_u64 s[12:13], s[12:13], s[26:27]
	v_add_co_u32 v9, s6, s6, v10
	s_sub_co_i32 s5, 0, s2
	v_add_co_ci_u32_e64 v10, null, s7, 0, s6
	s_delay_alu instid0(TRANS32_DEP_1)
	v_readfirstlane_b32 s0, v1
	v_lshl_or_b32 v1, v17, 6, v3
	s_wait_alu 0xfffe
	v_add_co_u32 v11, s6, s12, v2
	s_wait_alu 0xf1ff
	v_add_co_ci_u32_e64 v12, null, s13, 0, s6
	s_mul_f32 s0, s0, 0x4f7ffffe
	v_dual_mov_b32 v26, 0 :: v_dual_add_nc_u32 v27, 0xa0, v1
	s_sub_co_i32 s3, s43, s21
	s_wait_alu 0xfffe
	s_cvt_u32_f32 s0, s0
	s_mov_b32 s4, s25
	s_add_co_i32 s42, s42, -1
	s_wait_alu 0xfffe
	s_mul_i32 s5, s5, s0
	s_wait_alu 0xfffe
	s_mul_hi_u32 s6, s0, s5
	s_mov_b32 s5, 0
	s_wait_alu 0xfffe
	s_add_co_i32 s6, s0, s6
	s_branch .LBB332_42
.LBB332_40:                             ;   in Loop: Header=BB332_42 Depth=1
	s_wait_alu 0xfffe
	s_or_b32 exec_lo, exec_lo, s0
	s_wait_dscnt 0x1
	v_bfe_u32 v36, v5, 16, 1
	v_bfe_u32 v40, v6, 16, 1
	v_or_b32_e32 v41, 0x400000, v5
	v_cmp_u_f32_e32 vcc_lo, v5, v5
	v_or_b32_e32 v42, 0x400000, v6
	v_add3_u32 v36, v36, v5, 0x7fff
	v_bfe_u32 v44, v7, 16, 1
	v_add3_u32 v40, v40, v6, 0x7fff
	v_bfe_u32 v45, v8, 16, 1
	v_lshlrev_b32_e32 v59, 16, v59
	s_wait_alu 0xfffd
	v_cndmask_b32_e32 v5, v36, v41, vcc_lo
	v_cmp_u_f32_e32 vcc_lo, v6, v6
	v_add3_u32 v36, v44, v7, 0x7fff
	v_add3_u32 v41, v45, v8, 0x7fff
	s_wait_dscnt 0x0
	v_bfe_u32 v44, v1, 16, 1
	v_or_b32_e32 v45, 0x400000, v4
	s_wait_alu 0xfffd
	v_cndmask_b32_e32 v6, v40, v42, vcc_lo
	v_or_b32_e32 v40, 0x400000, v7
	v_cmp_u_f32_e32 vcc_lo, v7, v7
	v_or_b32_e32 v42, 0x400000, v8
	v_lshlrev_b32_e32 v38, 16, v38
	v_lshlrev_b32_e32 v35, 16, v35
	;; [unrolled: 1-line block ×3, first 2 shown]
	s_wait_alu 0xfffd
	v_cndmask_b32_e32 v7, v36, v40, vcc_lo
	v_cmp_u_f32_e32 vcc_lo, v8, v8
	v_bfe_u32 v36, v2, 16, 1
	v_add3_u32 v40, v44, v1, 0x7fff
	v_bfe_u32 v44, v3, 16, 1
	s_wait_alu 0xfffd
	v_dual_cndmask_b32 v8, v41, v42 :: v_dual_lshlrev_b32 v39, 16, v39
	v_or_b32_e32 v41, 0x400000, v1
	v_cmp_u_f32_e32 vcc_lo, v1, v1
	v_add3_u32 v36, v36, v2, 0x7fff
	v_or_b32_e32 v42, 0x400000, v2
	v_and_b32_e32 v5, 0xffff0000, v5
	v_lshlrev_b32_e32 v47, 16, v47
	s_wait_alu 0xfffd
	v_cndmask_b32_e32 v1, v40, v41, vcc_lo
	v_cmp_u_f32_e32 vcc_lo, v2, v2
	v_lshlrev_b32_e32 v41, 16, v65
	v_and_b32_e32 v6, 0xffff0000, v6
	v_bfe_u32 v40, v4, 16, 1
	s_wait_alu 0xfffd
	v_dual_cndmask_b32 v2, v36, v42 :: v_dual_and_b32 v7, 0xffff0000, v7
	v_add3_u32 v36, v44, v3, 0x7fff
	v_lshlrev_b32_e32 v42, 16, v64
	v_or_b32_e32 v44, 0x400000, v3
	v_mul_f32_e32 v41, v6, v41
	v_cmp_u_f32_e32 vcc_lo, v3, v3
	v_add3_u32 v40, v40, v4, 0x7fff
	v_dual_mul_f32 v42, v5, v42 :: v_dual_and_b32 v1, 0xffff0000, v1
	s_wait_alu 0xfffd
	v_dual_cndmask_b32 v3, v36, v44 :: v_dual_lshlrev_b32 v58, 16, v58
	v_lshlrev_b32_e32 v44, 16, v63
	v_bfe_u32 v36, v41, 16, 1
	v_cmp_u_f32_e32 vcc_lo, v4, v4
	v_or_b32_e32 v46, 0x400000, v42
	v_mul_f32_e32 v35, v6, v35
	v_lshlrev_b32_e32 v33, 16, v33
	v_add3_u32 v36, v36, v41, 0x7fff
	s_wait_alu 0xfffd
	v_cndmask_b32_e32 v4, v40, v45, vcc_lo
	v_bfe_u32 v40, v42, 16, 1
	v_or_b32_e32 v45, 0x400000, v41
	v_cmp_u_f32_e32 vcc_lo, v41, v41
	v_lshlrev_b32_e32 v29, 16, v29
	v_and_b32_e32 v4, 0xffff0000, v4
	v_add3_u32 v40, v40, v42, 0x7fff
	v_and_b32_e32 v2, 0xffff0000, v2
	s_wait_alu 0xfffd
	v_cndmask_b32_e32 v36, v36, v45, vcc_lo
	v_cmp_u_f32_e32 vcc_lo, v42, v42
	v_lshlrev_b32_e32 v45, 16, v61
	v_dual_mul_f32 v59, v4, v59 :: v_dual_and_b32 v8, 0xffff0000, v8
	v_mul_f32_e32 v42, v7, v51
	s_wait_alu 0xfffd
	s_delay_alu instid0(VALU_DEP_3) | instskip(NEXT) | instid1(VALU_DEP_3)
	v_dual_cndmask_b32 v40, v40, v46 :: v_dual_mul_f32 v45, v2, v45
	v_bfe_u32 v62, v59, 16, 1
	v_dual_mul_f32 v44, v8, v44 :: v_dual_mul_f32 v39, v1, v39
	s_delay_alu instid0(VALU_DEP_3) | instskip(SKIP_2) | instid1(VALU_DEP_4)
	v_and_b32_e32 v40, 0xffff0000, v40
	v_lshlrev_b32_e32 v37, 16, v37
	v_mul_f32_e32 v33, v8, v33
	v_bfe_u32 v41, v44, 16, 1
	v_or_b32_e32 v51, 0x400000, v44
	v_cmp_u_f32_e32 vcc_lo, v44, v44
	v_lshlrev_b32_e32 v31, 16, v31
	v_lshlrev_b32_e32 v32, 16, v32
	v_add3_u32 v41, v41, v44, 0x7fff
	v_lshlrev_b32_e32 v13, 16, v13
	s_delay_alu instid0(VALU_DEP_3) | instskip(SKIP_1) | instid1(VALU_DEP_3)
	v_dual_mul_f32 v31, v2, v31 :: v_dual_mul_f32 v32, v7, v32
	s_wait_alu 0xfffd
	v_dual_cndmask_b32 v41, v41, v51 :: v_dual_and_b32 v36, 0xffff0000, v36
	v_and_b32_e32 v3, 0xffff0000, v3
	v_or_b32_e32 v51, 0x400000, v42
	v_cmp_u_f32_e32 vcc_lo, v42, v42
	s_delay_alu instid0(VALU_DEP_4) | instskip(SKIP_3) | instid1(VALU_DEP_2)
	v_dual_add_f32 v36, v40, v36 :: v_dual_and_b32 v41, 0xffff0000, v41
	v_lshlrev_b32_e32 v46, 16, v60
	v_bfe_u32 v60, v42, 16, 1
	v_mul_f32_e32 v37, v3, v37
	v_add3_u32 v44, v60, v42, 0x7fff
	v_bfe_u32 v60, v45, 16, 1
	s_wait_alu 0xfffd
	s_delay_alu instid0(VALU_DEP_2) | instskip(NEXT) | instid1(VALU_DEP_2)
	v_cndmask_b32_e32 v42, v44, v51, vcc_lo
	v_add3_u32 v44, v60, v45, 0x7fff
	v_or_b32_e32 v51, 0x400000, v45
	v_cmp_u_f32_e32 vcc_lo, v45, v45
	v_mul_f32_e32 v45, v3, v58
	v_mul_f32_e32 v46, v1, v46
	v_or_b32_e32 v58, 0x400000, v59
	v_and_b32_e32 v42, 0xffff0000, v42
	s_wait_alu 0xfffd
	v_cndmask_b32_e32 v44, v44, v51, vcc_lo
	v_add3_u32 v51, v62, v59, 0x7fff
	v_bfe_u32 v61, v46, 16, 1
	v_cmp_u_f32_e32 vcc_lo, v46, v46
	s_delay_alu instid0(VALU_DEP_2) | instskip(SKIP_2) | instid1(VALU_DEP_1)
	v_add3_u32 v60, v61, v46, 0x7fff
	v_or_b32_e32 v61, 0x400000, v46
	s_wait_alu 0xfffd
	v_cndmask_b32_e32 v46, v60, v61, vcc_lo
	v_cmp_u_f32_e32 vcc_lo, v59, v59
	v_bfe_u32 v60, v45, 16, 1
	v_or_b32_e32 v59, 0x400000, v45
	s_wait_alu 0xfffd
	v_dual_cndmask_b32 v51, v51, v58 :: v_dual_add_f32 v40, v42, v41
	v_and_b32_e32 v41, 0xffff0000, v46
	v_dual_mul_f32 v38, v4, v38 :: v_dual_lshlrev_b32 v43, 16, v43
	v_and_b32_e32 v42, 0xffff0000, v44
	v_add3_u32 v58, v60, v45, 0x7fff
	v_lshlrev_b32_e32 v44, 16, v50
	v_cmp_u_f32_e32 vcc_lo, v45, v45
	v_dual_add_f32 v36, v40, v36 :: v_dual_mul_f32 v43, v2, v43
	v_add_f32_e32 v40, v41, v42
	s_wait_alu 0xfffd
	v_dual_cndmask_b32 v45, v58, v59 :: v_dual_lshlrev_b32 v46, 16, v49
	v_dual_mul_f32 v41, v6, v44 :: v_dual_lshlrev_b32 v30, 16, v30
	s_delay_alu instid0(VALU_DEP_2) | instskip(NEXT) | instid1(VALU_DEP_3)
	v_dual_mul_f32 v29, v4, v29 :: v_dual_mul_f32 v44, v5, v46
	v_and_b32_e32 v42, 0xffff0000, v45
	v_and_b32_e32 v45, 0xffff0000, v51
	v_lshlrev_b32_e32 v46, 16, v48
	v_bfe_u32 v48, v41, 16, 1
	v_add_f32_e32 v36, v40, v36
	v_bfe_u32 v40, v44, 16, 1
	s_delay_alu instid0(VALU_DEP_4) | instskip(NEXT) | instid1(VALU_DEP_4)
	v_dual_add_f32 v42, v42, v45 :: v_dual_mul_f32 v45, v8, v46
	v_add3_u32 v46, v48, v41, 0x7fff
	v_or_b32_e32 v48, 0x400000, v41
	v_cmp_u_f32_e32 vcc_lo, v41, v41
	v_add3_u32 v40, v40, v44, 0x7fff
	v_or_b32_e32 v49, 0x400000, v44
	v_bfe_u32 v50, v45, 16, 1
	s_wait_alu 0xfffd
	v_dual_mul_f32 v30, v1, v30 :: v_dual_cndmask_b32 v41, v46, v48
	v_cmp_u_f32_e32 vcc_lo, v44, v44
	v_mul_f32_e32 v44, v7, v47
	v_add3_u32 v46, v50, v45, 0x7fff
	v_or_b32_e32 v47, 0x400000, v45
	v_and_b32_e32 v41, 0xffff0000, v41
	s_wait_alu 0xfffd
	v_cndmask_b32_e32 v40, v40, v49, vcc_lo
	v_bfe_u32 v48, v44, 16, 1
	v_cmp_u_f32_e32 vcc_lo, v45, v45
	v_bfe_u32 v49, v39, 16, 1
	v_bfe_u32 v50, v38, 16, 1
	s_wait_alu 0xfffd
	v_cndmask_b32_e32 v45, v46, v47, vcc_lo
	v_add3_u32 v46, v48, v44, 0x7fff
	v_or_b32_e32 v47, 0x400000, v44
	v_bfe_u32 v48, v43, 16, 1
	v_cmp_u_f32_e32 vcc_lo, v44, v44
	s_wait_alu 0xfffd
	s_delay_alu instid0(VALU_DEP_3) | instskip(NEXT) | instid1(VALU_DEP_3)
	v_dual_cndmask_b32 v44, v46, v47 :: v_dual_and_b32 v45, 0xffff0000, v45
	v_add3_u32 v46, v48, v43, 0x7fff
	v_or_b32_e32 v47, 0x400000, v43
	v_cmp_u_f32_e32 vcc_lo, v43, v43
	v_add3_u32 v48, v49, v39, 0x7fff
	v_or_b32_e32 v49, 0x400000, v39
	s_wait_alu 0xfffd
	v_dual_cndmask_b32 v43, v46, v47 :: v_dual_and_b32 v44, 0xffff0000, v44
	v_cmp_u_f32_e32 vcc_lo, v39, v39
	v_add3_u32 v46, v50, v38, 0x7fff
	v_or_b32_e32 v47, 0x400000, v38
	s_delay_alu instid0(VALU_DEP_4) | instskip(SKIP_3) | instid1(VALU_DEP_2)
	v_and_b32_e32 v43, 0xffff0000, v43
	s_wait_alu 0xfffd
	v_cndmask_b32_e32 v39, v48, v49, vcc_lo
	v_cmp_u_f32_e32 vcc_lo, v38, v38
	v_and_b32_e32 v39, 0xffff0000, v39
	s_delay_alu instid0(VALU_DEP_1) | instskip(NEXT) | instid1(VALU_DEP_1)
	v_dual_add_f32 v39, v39, v43 :: v_dual_and_b32 v40, 0xffff0000, v40
	v_add_f32_e32 v40, v40, v41
	v_add_f32_e32 v41, v44, v45
	v_or_b32_e32 v45, 0x400000, v37
	s_wait_alu 0xfffd
	v_cndmask_b32_e32 v38, v46, v47, vcc_lo
	v_bfe_u32 v46, v37, 16, 1
	v_cmp_u_f32_e32 vcc_lo, v37, v37
	v_add_f32_e32 v40, v41, v40
	v_lshlrev_b32_e32 v34, 16, v34
	v_bfe_u32 v41, v35, 16, 1
	v_add3_u32 v44, v46, v37, 0x7fff
	s_delay_alu instid0(VALU_DEP_3) | instskip(NEXT) | instid1(VALU_DEP_3)
	v_dual_add_f32 v39, v39, v40 :: v_dual_mul_f32 v34, v5, v34
	v_add3_u32 v40, v41, v35, 0x7fff
	s_wait_alu 0xfffd
	s_delay_alu instid0(VALU_DEP_3)
	v_cndmask_b32_e32 v37, v44, v45, vcc_lo
	v_or_b32_e32 v41, 0x400000, v35
	v_cmp_u_f32_e32 vcc_lo, v35, v35
	v_bfe_u32 v43, v34, 16, 1
	v_and_b32_e32 v38, 0xffff0000, v38
	v_and_b32_e32 v37, 0xffff0000, v37
	v_or_b32_e32 v44, 0x400000, v33
	s_wait_alu 0xfffd
	v_cndmask_b32_e32 v35, v40, v41, vcc_lo
	v_bfe_u32 v40, v33, 16, 1
	v_add3_u32 v41, v43, v34, 0x7fff
	v_or_b32_e32 v43, 0x400000, v34
	v_cmp_u_f32_e32 vcc_lo, v34, v34
	v_and_b32_e32 v35, 0xffff0000, v35
	v_add3_u32 v40, v40, v33, 0x7fff
	s_wait_alu 0xfffd
	v_cndmask_b32_e32 v34, v41, v43, vcc_lo
	v_bfe_u32 v41, v32, 16, 1
	v_cmp_u_f32_e32 vcc_lo, v33, v33
	v_or_b32_e32 v43, 0x400000, v32
	s_delay_alu instid0(VALU_DEP_3)
	v_add3_u32 v41, v41, v32, 0x7fff
	s_wait_alu 0xfffd
	v_cndmask_b32_e32 v33, v40, v44, vcc_lo
	v_bfe_u32 v40, v31, 16, 1
	v_cmp_u_f32_e32 vcc_lo, v32, v32
	v_or_b32_e32 v44, 0x400000, v31
	s_delay_alu instid0(VALU_DEP_3)
	v_add3_u32 v40, v40, v31, 0x7fff
	s_wait_alu 0xfffd
	v_cndmask_b32_e32 v32, v41, v43, vcc_lo
	v_bfe_u32 v41, v30, 16, 1
	v_cmp_u_f32_e32 vcc_lo, v31, v31
	v_bfe_u32 v43, v29, 16, 1
	s_wait_alu 0xfffd
	v_cndmask_b32_e32 v31, v40, v44, vcc_lo
	v_add3_u32 v40, v41, v30, 0x7fff
	v_or_b32_e32 v41, 0x400000, v30
	v_cmp_u_f32_e32 vcc_lo, v30, v30
	v_add3_u32 v43, v43, v29, 0x7fff
	v_or_b32_e32 v44, 0x400000, v29
	s_wait_alu 0xfffd
	v_cndmask_b32_e32 v30, v40, v41, vcc_lo
	v_cmp_u_f32_e32 vcc_lo, v29, v29
	s_wait_alu 0xfffd
	v_cndmask_b32_e32 v29, v43, v44, vcc_lo
	v_lshlrev_b32_e32 v43, 16, v57
	v_lshlrev_b32_e32 v28, 16, v28
	s_delay_alu instid0(VALU_DEP_2) | instskip(NEXT) | instid1(VALU_DEP_2)
	v_dual_mul_f32 v5, v5, v43 :: v_dual_and_b32 v30, 0xffff0000, v30
	v_mul_f32_e32 v28, v3, v28
	s_delay_alu instid0(VALU_DEP_1) | instskip(SKIP_2) | instid1(VALU_DEP_3)
	v_bfe_u32 v40, v28, 16, 1
	v_or_b32_e32 v41, 0x400000, v28
	v_cmp_u_f32_e32 vcc_lo, v28, v28
	v_add3_u32 v40, v40, v28, 0x7fff
	s_wait_alu 0xfffd
	s_delay_alu instid0(VALU_DEP_1) | instskip(NEXT) | instid1(VALU_DEP_1)
	v_dual_cndmask_b32 v28, v40, v41 :: v_dual_and_b32 v31, 0xffff0000, v31
	v_add_f32_e32 v30, v30, v31
	v_lshlrev_b32_e32 v31, 16, v55
	v_and_b32_e32 v34, 0xffff0000, v34
	v_cmp_u_f32_e32 vcc_lo, v5, v5
	s_delay_alu instid0(VALU_DEP_3) | instskip(NEXT) | instid1(VALU_DEP_3)
	v_dual_mul_f32 v7, v7, v31 :: v_dual_and_b32 v32, 0xffff0000, v32
	v_dual_add_f32 v34, v34, v35 :: v_dual_and_b32 v33, 0xffff0000, v33
	s_delay_alu instid0(VALU_DEP_1) | instskip(NEXT) | instid1(VALU_DEP_1)
	v_dual_add_f32 v32, v32, v33 :: v_dual_lshlrev_b32 v31, 16, v54
	v_dual_mul_f32 v8, v8, v31 :: v_dual_lshlrev_b32 v33, 16, v56
	s_delay_alu instid0(VALU_DEP_2) | instskip(SKIP_1) | instid1(VALU_DEP_2)
	v_dual_add_f32 v32, v32, v34 :: v_dual_lshlrev_b32 v31, 16, v53
	v_bfe_u32 v34, v5, 16, 1
	v_dual_mul_f32 v6, v6, v33 :: v_dual_mul_f32 v1, v1, v31
	v_lshlrev_b32_e32 v31, 16, v52
	s_delay_alu instid0(VALU_DEP_3) | instskip(SKIP_1) | instid1(VALU_DEP_4)
	v_add3_u32 v33, v34, v5, 0x7fff
	v_or_b32_e32 v34, 0x400000, v5
	v_bfe_u32 v35, v6, 16, 1
	s_wait_alu 0xfffd
	s_delay_alu instid0(VALU_DEP_2) | instskip(NEXT) | instid1(VALU_DEP_2)
	v_dual_mul_f32 v2, v2, v31 :: v_dual_cndmask_b32 v5, v33, v34
	v_add3_u32 v33, v35, v6, 0x7fff
	v_or_b32_e32 v34, 0x400000, v6
	v_bfe_u32 v35, v7, 16, 1
	v_cmp_u_f32_e32 vcc_lo, v6, v6
	v_bfe_u32 v31, v2, 16, 1
	s_wait_alu 0xfffd
	v_dual_cndmask_b32 v6, v33, v34 :: v_dual_and_b32 v5, 0xffff0000, v5
	v_add3_u32 v33, v35, v7, 0x7fff
	v_or_b32_e32 v34, 0x400000, v7
	v_bfe_u32 v35, v8, 16, 1
	v_cmp_u_f32_e32 vcc_lo, v7, v7
	s_wait_alu 0xfffd
	s_delay_alu instid0(VALU_DEP_3) | instskip(NEXT) | instid1(VALU_DEP_3)
	v_dual_cndmask_b32 v7, v33, v34 :: v_dual_and_b32 v28, 0xffff0000, v28
	v_add3_u32 v33, v35, v8, 0x7fff
	v_or_b32_e32 v34, 0x400000, v8
	v_bfe_u32 v35, v1, 16, 1
	v_cmp_u_f32_e32 vcc_lo, v8, v8
	v_dual_mul_f32 v4, v4, v13 :: v_dual_and_b32 v7, 0xffff0000, v7
	v_or_b32_e32 v13, 0x400000, v1
	s_wait_alu 0xfffd
	v_cndmask_b32_e32 v8, v33, v34, vcc_lo
	v_add3_u32 v33, v35, v1, 0x7fff
	v_cmp_u_f32_e32 vcc_lo, v1, v1
	v_lshlrev_b32_e32 v14, 16, v14
	v_bfe_u32 v35, v4, 16, 1
	s_wait_alu 0xfffd
	v_cndmask_b32_e32 v1, v33, v13, vcc_lo
	v_cmp_u_f32_e32 vcc_lo, v2, v2
	v_mul_f32_e32 v3, v3, v14
	v_add3_u32 v14, v31, v2, 0x7fff
	v_or_b32_e32 v31, 0x400000, v2
	s_wait_alu 0xfffd
	s_delay_alu instid0(VALU_DEP_1)
	v_dual_cndmask_b32 v2, v14, v31 :: v_dual_and_b32 v1, 0xffff0000, v1
	v_bfe_u32 v34, v3, 16, 1
	v_add3_u32 v14, v35, v4, 0x7fff
	v_or_b32_e32 v31, 0x400000, v4
	v_cmp_u_f32_e32 vcc_lo, v4, v4
	v_or_b32_e32 v33, 0x400000, v3
	v_add3_u32 v13, v34, v3, 0x7fff
	s_wait_alu 0xfffd
	v_cndmask_b32_e32 v4, v14, v31, vcc_lo
	v_cmp_u_f32_e32 vcc_lo, v3, v3
	s_wait_alu 0xfffd
	v_dual_cndmask_b32 v3, v13, v33 :: v_dual_and_b32 v6, 0xffff0000, v6
	s_delay_alu instid0(VALU_DEP_1) | instskip(NEXT) | instid1(VALU_DEP_1)
	v_dual_add_f32 v5, v5, v6 :: v_dual_and_b32 v8, 0xffff0000, v8
	v_dual_add_f32 v6, v7, v8 :: v_dual_and_b32 v3, 0xffff0000, v3
	v_and_b32_e32 v7, 0xffff0000, v29
	s_delay_alu instid0(VALU_DEP_2) | instskip(NEXT) | instid1(VALU_DEP_2)
	v_dual_add_f32 v5, v6, v5 :: v_dual_and_b32 v2, 0xffff0000, v2
	v_dual_add_f32 v6, v30, v32 :: v_dual_add_f32 v7, v28, v7
	s_delay_alu instid0(VALU_DEP_2) | instskip(SKIP_1) | instid1(VALU_DEP_2)
	v_dual_add_f32 v1, v1, v2 :: v_dual_and_b32 v2, 0xffff0000, v4
	v_add_f32_e32 v4, v37, v38
	v_dual_add_f32 v1, v1, v5 :: v_dual_add_f32 v2, v3, v2
	s_delay_alu instid0(VALU_DEP_2) | instskip(NEXT) | instid1(VALU_DEP_2)
	v_dual_add_f32 v3, v42, v36 :: v_dual_add_f32 v4, v4, v39
	v_add_f32_e32 v1, v2, v1
	v_add_f32_e32 v5, v7, v6
	s_delay_alu instid0(VALU_DEP_2) | instskip(NEXT) | instid1(VALU_DEP_2)
	v_dual_add_f32 v25, v25, v4 :: v_dual_add_f32 v22, v22, v1
	v_dual_add_f32 v23, v23, v3 :: v_dual_add_f32 v26, v26, v5
.LBB332_41:                             ;   in Loop: Header=BB332_42 Depth=1
	s_wait_alu 0xfffe
	s_or_b32 exec_lo, exec_lo, s7
	v_add_nc_u32_e32 v19, 4, v19
	v_add_co_u32 v9, s0, v9, 16
	s_wait_alu 0xf1ff
	v_add_co_ci_u32_e64 v10, null, 0, v10, s0
	s_delay_alu instid0(VALU_DEP_3)
	v_cmp_le_i32_e32 vcc_lo, s31, v19
	v_add_nc_u32_e32 v18, 64, v18
	v_add_nc_u32_e32 v27, 0x100, v27
	s_or_b32 s5, vcc_lo, s5
	s_wait_alu 0xfffe
	s_and_not1_b32 exec_lo, exec_lo, s5
	s_cbranch_execz .LBB332_51
.LBB332_42:                             ; =>This Inner Loop Header: Depth=1
	v_sub_nc_u32_e32 v1, 0, v18
	s_delay_alu instid0(VALU_DEP_1) | instskip(NEXT) | instid1(VALU_DEP_1)
	v_max_i32_e32 v1, v18, v1
	v_mul_hi_u32 v2, v1, s30
	s_delay_alu instid0(VALU_DEP_1) | instskip(NEXT) | instid1(VALU_DEP_1)
	v_mul_lo_u32 v3, v2, s24
	v_sub_nc_u32_e32 v1, v1, v3
	v_add_nc_u32_e32 v3, 1, v2
	s_delay_alu instid0(VALU_DEP_2) | instskip(SKIP_2) | instid1(VALU_DEP_2)
	v_subrev_nc_u32_e32 v4, s24, v1
	v_cmp_le_u32_e32 vcc_lo, s24, v1
	s_wait_alu 0xfffd
	v_dual_cndmask_b32 v2, v2, v3 :: v_dual_cndmask_b32 v1, v1, v4
	v_ashrrev_i32_e32 v3, 31, v18
	s_delay_alu instid0(VALU_DEP_2) | instskip(NEXT) | instid1(VALU_DEP_3)
	v_add_nc_u32_e32 v4, 1, v2
	v_cmp_le_u32_e32 vcc_lo, s24, v1
	s_delay_alu instid0(VALU_DEP_3) | instskip(SKIP_1) | instid1(VALU_DEP_3)
	v_xor_b32_e32 v3, s23, v3
	s_wait_alu 0xfffd
	v_cndmask_b32_e32 v1, v2, v4, vcc_lo
	s_delay_alu instid0(VALU_DEP_1) | instskip(NEXT) | instid1(VALU_DEP_1)
	v_xor_b32_e32 v1, v1, v3
	v_sub_nc_u32_e32 v1, v1, v3
	s_delay_alu instid0(VALU_DEP_1) | instskip(SKIP_1) | instid1(VALU_DEP_2)
	v_add_nc_u32_e32 v2, s29, v1
	v_cmp_lt_i32_e64 s0, s3, v1
	v_sub_nc_u32_e32 v3, 0, v2
	s_delay_alu instid0(VALU_DEP_1) | instskip(SKIP_1) | instid1(VALU_DEP_1)
	v_max_i32_e32 v3, v2, v3
	s_wait_alu 0xfffe
	v_mul_hi_u32 v4, v3, s6
	s_delay_alu instid0(VALU_DEP_1) | instskip(NEXT) | instid1(VALU_DEP_1)
	v_mul_lo_u32 v4, v4, s2
	v_sub_nc_u32_e32 v3, v3, v4
	s_delay_alu instid0(VALU_DEP_1) | instskip(SKIP_2) | instid1(VALU_DEP_2)
	v_subrev_nc_u32_e32 v4, s2, v3
	v_cmp_le_u32_e32 vcc_lo, s2, v3
	s_wait_alu 0xfffd
	v_cndmask_b32_e32 v3, v3, v4, vcc_lo
	v_ashrrev_i32_e32 v2, 31, v2
	s_delay_alu instid0(VALU_DEP_2) | instskip(SKIP_2) | instid1(VALU_DEP_2)
	v_subrev_nc_u32_e32 v4, s2, v3
	v_cmp_le_u32_e32 vcc_lo, s2, v3
	s_wait_alu 0xfffd
	v_cndmask_b32_e32 v3, v3, v4, vcc_lo
	s_delay_alu instid0(VALU_DEP_1) | instskip(NEXT) | instid1(VALU_DEP_1)
	v_xor_b32_e32 v3, v3, v2
	v_sub_nc_u32_e32 v2, v3, v2
	s_delay_alu instid0(VALU_DEP_1)
	v_cmp_eq_u32_e32 vcc_lo, 0, v2
	s_or_b32 s0, vcc_lo, s0
	s_wait_alu 0xfffe
	s_and_saveexec_b32 s7, s0
	s_cbranch_execz .LBB332_41
; %bb.43:                               ;   in Loop: Header=BB332_42 Depth=1
	global_load_b32 v1, v[9:10], off
	v_cmp_eq_u32_e32 vcc_lo, s42, v19
	s_wait_loadcnt 0x0
	v_mad_co_i64_i32 v[13:14], null, v1, s4, v[11:12]
	global_load_b64 v[28:29], v[13:14], off
	ds_load_2addr_b64 v[5:8], v27 offset1:1
	ds_load_2addr_b64 v[1:4], v27 offset0:2 offset1:3
	s_load_b32 s11, s[18:19], 0x0
	s_wait_loadcnt 0x0
	v_and_b32_e32 v30, 0xff, v28
	v_bfe_u32 v31, v28, 8, 8
	v_bfe_u32 v32, v28, 16, 8
	v_lshrrev_b32_e32 v28, 24, v28
	v_bfe_u32 v34, v29, 8, 8
	v_cvt_f32_fp8_e32 v30, v30
	v_cvt_f32_fp8_e32 v31, v31
	v_add_nc_u32_e32 v36, v24, v18
	v_cvt_f32_fp8_e32 v32, v32
	s_wait_kmcnt 0x0
	v_dual_mul_f32 v30, s11, v30 :: v_dual_and_b32 v33, 0xff, v29
	v_mul_f32_e32 v31, s11, v31
	v_add_nc_u32_e32 v45, 2, v36
	v_cvt_f32_fp8_e32 v28, v28
	v_mul_f32_e32 v32, s11, v32
	v_bfe_u32 v37, v30, 16, 1
	v_or_b32_e32 v38, 0x400000, v30
	v_bfe_u32 v39, v31, 16, 1
	v_cmp_u_f32_e64 s0, v30, v30
	v_cvt_f32_fp8_e32 v33, v33
	v_add3_u32 v37, v37, v30, 0x7fff
	v_mul_f32_e32 v28, s11, v28
	v_or_b32_e32 v43, 0x400000, v31
	v_bfe_u32 v47, v32, 16, 1
	v_add3_u32 v39, v39, v31, 0x7fff
	s_wait_alu 0xf1ff
	v_cndmask_b32_e64 v30, v37, v38, s0
	v_cmp_u_f32_e64 s0, v31, v31
	v_dual_mul_f32 v33, s11, v33 :: v_dual_add_nc_u32 v46, 1, v36
	v_bfe_u32 v35, v29, 16, 8
	v_cvt_f32_fp8_e32 v34, v34
	v_or_b32_e32 v48, 0x400000, v32
	v_bfe_u32 v49, v28, 16, 1
	v_add3_u32 v47, v47, v32, 0x7fff
	s_wait_alu 0xf1ff
	v_cndmask_b32_e64 v31, v39, v43, s0
	v_cmp_u_f32_e64 s0, v32, v32
	v_dual_mul_f32 v34, s11, v34 :: v_dual_add_nc_u32 v41, 5, v36
	v_lshrrev_b32_e32 v29, 24, v29
	v_cvt_f32_fp8_e32 v35, v35
	v_or_b32_e32 v50, 0x400000, v28
	v_bfe_u32 v51, v33, 16, 1
	v_add3_u32 v49, v49, v28, 0x7fff
	s_wait_alu 0xf1ff
	v_cndmask_b32_e64 v32, v47, v48, s0
	v_cmp_u_f32_e64 s0, v28, v28
	v_dual_mul_f32 v35, s11, v35 :: v_dual_add_nc_u32 v44, 3, v36
	v_cvt_f32_fp8_e32 v29, v29
	v_or_b32_e32 v52, 0x400000, v33
	v_bfe_u32 v53, v34, 16, 1
	v_add3_u32 v51, v51, v33, 0x7fff
	s_wait_alu 0xf1ff
	v_cndmask_b32_e64 v28, v49, v50, s0
	v_cmp_u_f32_e64 s0, v33, v33
	v_dual_mul_f32 v29, s11, v29 :: v_dual_add_nc_u32 v42, 4, v36
	v_or_b32_e32 v54, 0x400000, v34
	v_bfe_u32 v55, v35, 16, 1
	v_add3_u32 v53, v53, v34, 0x7fff
	s_wait_alu 0xf1ff
	v_cndmask_b32_e64 v37, v51, v52, s0
	v_cmp_u_f32_e64 s0, v34, v34
	v_or_b32_e32 v56, 0x400000, v35
	v_bfe_u32 v57, v29, 16, 1
	v_add3_u32 v55, v55, v35, 0x7fff
	v_or_b32_e32 v58, 0x400000, v29
	s_wait_alu 0xf1ff
	v_cndmask_b32_e64 v38, v53, v54, s0
	v_cmp_u_f32_e64 s0, v35, v35
	v_add3_u32 v57, v57, v29, 0x7fff
	v_add_nc_u32_e32 v40, 6, v36
	v_lshrrev_b32_e32 v34, 16, v30
	v_lshrrev_b32_e32 v35, 16, v31
	s_wait_alu 0xf1ff
	v_cndmask_b32_e64 v39, v55, v56, s0
	v_cmp_u_f32_e64 s0, v29, v29
	v_lshrrev_b32_e32 v32, 16, v32
	v_lshrrev_b32_e32 v33, 16, v28
	;; [unrolled: 1-line block ×4, first 2 shown]
	s_wait_alu 0xf1ff
	v_cndmask_b32_e64 v29, v57, v58, s0
	v_lshrrev_b32_e32 v28, 16, v39
	v_add_nc_u32_e32 v51, 7, v36
	s_delay_alu instid0(VALU_DEP_3)
	v_lshrrev_b32_e32 v29, 16, v29
	s_and_saveexec_b32 s12, vcc_lo
	s_cbranch_execz .LBB332_45
; %bb.44:                               ;   in Loop: Header=BB332_42 Depth=1
	v_cmp_gt_i32_e64 s0, s38, v36
	s_wait_alu 0xf1ff
	s_delay_alu instid0(VALU_DEP_1) | instskip(SKIP_2) | instid1(VALU_DEP_1)
	v_cndmask_b32_e64 v34, 0, v34, s0
	v_cmp_gt_i32_e64 s0, s38, v46
	s_wait_alu 0xf1ff
	v_cndmask_b32_e64 v35, 0, v35, s0
	v_cmp_gt_i32_e64 s0, s38, v45
	s_wait_alu 0xf1ff
	s_delay_alu instid0(VALU_DEP_1) | instskip(SKIP_2) | instid1(VALU_DEP_1)
	v_cndmask_b32_e64 v32, 0, v32, s0
	v_cmp_gt_i32_e64 s0, s38, v44
	s_wait_alu 0xf1ff
	v_cndmask_b32_e64 v33, 0, v33, s0
	;; [unrolled: 7-line block ×4, first 2 shown]
.LBB332_45:                             ;   in Loop: Header=BB332_42 Depth=1
	s_wait_alu 0xfffe
	s_or_b32 exec_lo, exec_lo, s12
	global_load_b64 v[37:38], v[13:14], off offset:256
	s_wait_loadcnt 0x0
	v_and_b32_e32 v48, 0xff, v38
	v_bfe_u32 v43, v37, 8, 8
	v_bfe_u32 v47, v37, 16, 8
	;; [unrolled: 1-line block ×4, first 2 shown]
	v_cvt_f32_fp8_e32 v48, v48
	v_and_b32_e32 v39, 0xff, v37
	v_cvt_f32_fp8_e32 v43, v43
	v_lshrrev_b32_e32 v37, 24, v37
	v_lshrrev_b32_e32 v38, 24, v38
	v_mul_f32_e32 v48, s11, v48
	v_cvt_f32_fp8_e32 v39, v39
	v_cvt_f32_fp8_e32 v47, v47
	;; [unrolled: 1-line block ×3, first 2 shown]
	v_mul_f32_e32 v43, s11, v43
	v_cvt_f32_fp8_e32 v37, v37
	v_mul_f32_e32 v39, s11, v39
	v_cvt_f32_fp8_e32 v38, v38
	v_dual_mul_f32 v47, s11, v47 :: v_dual_mul_f32 v50, s11, v50
	v_bfe_u32 v54, v43, 16, 1
	s_delay_alu instid0(VALU_DEP_4) | instskip(SKIP_3) | instid1(VALU_DEP_4)
	v_bfe_u32 v52, v39, 16, 1
	v_or_b32_e32 v53, 0x400000, v39
	v_cmp_u_f32_e64 s0, v39, v39
	v_dual_mul_f32 v37, s11, v37 :: v_dual_mul_f32 v38, s11, v38
	v_add3_u32 v52, v52, v39, 0x7fff
	v_or_b32_e32 v55, 0x400000, v43
	v_bfe_u32 v56, v47, 16, 1
	v_add3_u32 v54, v54, v43, 0x7fff
	v_cvt_f32_fp8_e32 v49, v49
	s_wait_alu 0xf1ff
	v_cndmask_b32_e64 v39, v52, v53, s0
	v_cmp_u_f32_e64 s0, v43, v43
	v_or_b32_e32 v57, 0x400000, v47
	v_bfe_u32 v58, v37, 16, 1
	v_add3_u32 v56, v56, v47, 0x7fff
	v_mul_f32_e32 v49, s11, v49
	s_wait_alu 0xf1ff
	v_cndmask_b32_e64 v43, v54, v55, s0
	v_cmp_u_f32_e64 s0, v47, v47
	v_or_b32_e32 v59, 0x400000, v37
	v_bfe_u32 v60, v48, 16, 1
	v_add3_u32 v58, v58, v37, 0x7fff
	v_or_b32_e32 v61, 0x400000, v48
	s_wait_alu 0xf1ff
	v_cndmask_b32_e64 v47, v56, v57, s0
	v_cmp_u_f32_e64 s0, v37, v37
	v_bfe_u32 v62, v49, 16, 1
	v_add3_u32 v60, v60, v48, 0x7fff
	v_or_b32_e32 v63, 0x400000, v49
	v_bfe_u32 v64, v50, 16, 1
	s_wait_alu 0xf1ff
	v_cndmask_b32_e64 v37, v58, v59, s0
	v_cmp_u_f32_e64 s0, v48, v48
	v_add3_u32 v62, v62, v49, 0x7fff
	v_or_b32_e32 v65, 0x400000, v50
	v_bfe_u32 v66, v38, 16, 1
	v_add3_u32 v64, v64, v50, 0x7fff
	s_wait_alu 0xf1ff
	v_cndmask_b32_e64 v52, v60, v61, s0
	v_cmp_u_f32_e64 s0, v49, v49
	v_or_b32_e32 v67, 0x400000, v38
	v_add3_u32 v66, v66, v38, 0x7fff
	v_lshrrev_b32_e32 v49, 16, v39
	v_lshrrev_b32_e32 v47, 16, v47
	s_wait_alu 0xf1ff
	v_cndmask_b32_e64 v53, v62, v63, s0
	v_cmp_u_f32_e64 s0, v50, v50
	v_lshrrev_b32_e32 v50, 16, v43
	v_lshrrev_b32_e32 v48, 16, v37
	v_lshrrev_b32_e32 v39, 16, v52
	v_lshrrev_b32_e32 v43, 16, v53
	s_wait_alu 0xf1ff
	v_cndmask_b32_e64 v54, v64, v65, s0
	v_cmp_u_f32_e64 s0, v38, v38
	s_delay_alu instid0(VALU_DEP_2) | instskip(SKIP_1) | instid1(VALU_DEP_2)
	v_lshrrev_b32_e32 v37, 16, v54
	s_wait_alu 0xf1ff
	v_cndmask_b32_e64 v38, v66, v67, s0
	s_delay_alu instid0(VALU_DEP_1)
	v_lshrrev_b32_e32 v38, 16, v38
	s_and_saveexec_b32 s12, vcc_lo
	s_cbranch_execz .LBB332_47
; %bb.46:                               ;   in Loop: Header=BB332_42 Depth=1
	v_cmp_gt_i32_e64 s0, s38, v36
	s_wait_alu 0xf1ff
	s_delay_alu instid0(VALU_DEP_1) | instskip(SKIP_2) | instid1(VALU_DEP_1)
	v_cndmask_b32_e64 v49, 0, v49, s0
	v_cmp_gt_i32_e64 s0, s38, v46
	s_wait_alu 0xf1ff
	v_cndmask_b32_e64 v50, 0, v50, s0
	v_cmp_gt_i32_e64 s0, s38, v45
	s_wait_alu 0xf1ff
	s_delay_alu instid0(VALU_DEP_1) | instskip(SKIP_2) | instid1(VALU_DEP_1)
	v_cndmask_b32_e64 v47, 0, v47, s0
	v_cmp_gt_i32_e64 s0, s38, v44
	s_wait_alu 0xf1ff
	v_cndmask_b32_e64 v48, 0, v48, s0
	;; [unrolled: 7-line block ×4, first 2 shown]
.LBB332_47:                             ;   in Loop: Header=BB332_42 Depth=1
	s_wait_alu 0xfffe
	s_or_b32 exec_lo, exec_lo, s12
	global_load_b64 v[52:53], v[13:14], off offset:512
	s_wait_loadcnt 0x0
	v_bfe_u32 v55, v52, 8, 8
	v_bfe_u32 v56, v52, 16, 8
	v_bfe_u32 v59, v53, 16, 8
	v_bfe_u32 v58, v53, 8, 8
	s_delay_alu instid0(VALU_DEP_4)
	v_cvt_f32_fp8_e32 v55, v55
	v_and_b32_e32 v54, 0xff, v52
	v_lshrrev_b32_e32 v52, 24, v52
	v_cvt_f32_fp8_e32 v56, v56
	v_cvt_f32_fp8_e32 v59, v59
	v_mul_f32_e32 v55, s11, v55
	v_cvt_f32_fp8_e32 v54, v54
	v_and_b32_e32 v57, 0xff, v53
	v_cvt_f32_fp8_e32 v52, v52
	v_lshrrev_b32_e32 v53, 24, v53
	v_bfe_u32 v62, v55, 16, 1
	v_mul_f32_e32 v54, s11, v54
	v_cvt_f32_fp8_e32 v57, v57
	v_mul_f32_e32 v56, s11, v56
	v_dual_mul_f32 v52, s11, v52 :: v_dual_mul_f32 v59, s11, v59
	s_delay_alu instid0(VALU_DEP_4)
	v_bfe_u32 v60, v54, 16, 1
	v_or_b32_e32 v61, 0x400000, v54
	v_cmp_u_f32_e64 s0, v54, v54
	v_mul_f32_e32 v57, s11, v57
	v_or_b32_e32 v63, 0x400000, v55
	v_add3_u32 v60, v60, v54, 0x7fff
	v_bfe_u32 v64, v56, 16, 1
	v_add3_u32 v62, v62, v55, 0x7fff
	v_cvt_f32_fp8_e32 v58, v58
	v_or_b32_e32 v65, 0x400000, v56
	s_wait_alu 0xf1ff
	v_cndmask_b32_e64 v54, v60, v61, s0
	v_cmp_u_f32_e64 s0, v55, v55
	v_bfe_u32 v66, v52, 16, 1
	v_add3_u32 v64, v64, v56, 0x7fff
	v_cvt_f32_fp8_e32 v53, v53
	v_mul_f32_e32 v58, s11, v58
	s_wait_alu 0xf1ff
	v_cndmask_b32_e64 v55, v62, v63, s0
	v_cmp_u_f32_e64 s0, v56, v56
	v_or_b32_e32 v67, 0x400000, v52
	v_bfe_u32 v68, v57, 16, 1
	v_add3_u32 v66, v66, v52, 0x7fff
	v_mul_f32_e32 v53, s11, v53
	s_wait_alu 0xf1ff
	v_cndmask_b32_e64 v56, v64, v65, s0
	v_cmp_u_f32_e64 s0, v52, v52
	v_or_b32_e32 v69, 0x400000, v57
	v_bfe_u32 v70, v58, 16, 1
	v_add3_u32 v68, v68, v57, 0x7fff
	v_or_b32_e32 v71, 0x400000, v58
	s_wait_alu 0xf1ff
	v_cndmask_b32_e64 v52, v66, v67, s0
	v_cmp_u_f32_e64 s0, v57, v57
	v_bfe_u32 v72, v59, 16, 1
	v_add3_u32 v70, v70, v58, 0x7fff
	v_or_b32_e32 v73, 0x400000, v59
	v_bfe_u32 v74, v53, 16, 1
	s_wait_alu 0xf1ff
	v_cndmask_b32_e64 v57, v68, v69, s0
	v_cmp_u_f32_e64 s0, v58, v58
	v_add3_u32 v72, v72, v59, 0x7fff
	v_or_b32_e32 v75, 0x400000, v53
	v_add3_u32 v74, v74, v53, 0x7fff
	v_lshrrev_b32_e32 v64, 16, v54
	s_wait_alu 0xf1ff
	v_cndmask_b32_e64 v58, v70, v71, s0
	v_cmp_u_f32_e64 s0, v59, v59
	v_lshrrev_b32_e32 v65, 16, v55
	v_lshrrev_b32_e32 v62, 16, v56
	;; [unrolled: 1-line block ×4, first 2 shown]
	s_wait_alu 0xf1ff
	v_cndmask_b32_e64 v59, v72, v73, s0
	v_cmp_u_f32_e64 s0, v53, v53
	v_lshrrev_b32_e32 v61, 16, v58
	s_delay_alu instid0(VALU_DEP_3) | instskip(SKIP_1) | instid1(VALU_DEP_3)
	v_lshrrev_b32_e32 v58, 16, v59
	s_wait_alu 0xf1ff
	v_cndmask_b32_e64 v53, v74, v75, s0
	s_delay_alu instid0(VALU_DEP_1)
	v_lshrrev_b32_e32 v59, 16, v53
	s_and_saveexec_b32 s12, vcc_lo
	s_cbranch_execz .LBB332_49
; %bb.48:                               ;   in Loop: Header=BB332_42 Depth=1
	v_cmp_gt_i32_e64 s0, s38, v36
	s_wait_alu 0xf1ff
	s_delay_alu instid0(VALU_DEP_1) | instskip(SKIP_2) | instid1(VALU_DEP_1)
	v_cndmask_b32_e64 v64, 0, v64, s0
	v_cmp_gt_i32_e64 s0, s38, v46
	s_wait_alu 0xf1ff
	v_cndmask_b32_e64 v65, 0, v65, s0
	v_cmp_gt_i32_e64 s0, s38, v45
	s_wait_alu 0xf1ff
	s_delay_alu instid0(VALU_DEP_1) | instskip(SKIP_2) | instid1(VALU_DEP_1)
	v_cndmask_b32_e64 v62, 0, v62, s0
	v_cmp_gt_i32_e64 s0, s38, v44
	s_wait_alu 0xf1ff
	v_cndmask_b32_e64 v63, 0, v63, s0
	;; [unrolled: 7-line block ×4, first 2 shown]
.LBB332_49:                             ;   in Loop: Header=BB332_42 Depth=1
	s_wait_alu 0xfffe
	s_or_b32 exec_lo, exec_lo, s12
	global_load_b64 v[13:14], v[13:14], off offset:768
	s_wait_loadcnt 0x0
	v_and_b32_e32 v55, 0xff, v14
	v_bfe_u32 v53, v13, 8, 8
	v_bfe_u32 v54, v13, 16, 8
	;; [unrolled: 1-line block ×4, first 2 shown]
	v_cvt_f32_fp8_e32 v55, v55
	v_and_b32_e32 v52, 0xff, v13
	v_cvt_f32_fp8_e32 v53, v53
	v_lshrrev_b32_e32 v13, 24, v13
	v_cvt_f32_fp8_e32 v54, v54
	v_mul_f32_e32 v55, s11, v55
	v_cvt_f32_fp8_e32 v52, v52
	v_mul_f32_e32 v53, s11, v53
	;; [unrolled: 2-line block ×4, first 2 shown]
	v_bfe_u32 v68, v53, 16, 1
	v_mul_f32_e32 v13, s11, v13
	v_or_b32_e32 v69, 0x400000, v53
	v_bfe_u32 v70, v54, 16, 1
	v_bfe_u32 v66, v52, 16, 1
	v_or_b32_e32 v67, 0x400000, v52
	v_cmp_u_f32_e64 s0, v52, v52
	v_add3_u32 v68, v68, v53, 0x7fff
	v_mul_f32_e32 v56, s11, v56
	v_add3_u32 v66, v66, v52, 0x7fff
	v_or_b32_e32 v71, 0x400000, v54
	v_bfe_u32 v72, v13, 16, 1
	v_add3_u32 v70, v70, v54, 0x7fff
	v_lshrrev_b32_e32 v14, 24, v14
	s_wait_alu 0xf1ff
	v_cndmask_b32_e64 v52, v66, v67, s0
	v_cmp_u_f32_e64 s0, v53, v53
	v_cvt_f32_fp8_e32 v57, v57
	v_or_b32_e32 v73, 0x400000, v13
	v_bfe_u32 v74, v55, 16, 1
	v_add3_u32 v72, v72, v13, 0x7fff
	s_wait_alu 0xf1ff
	v_cndmask_b32_e64 v53, v68, v69, s0
	v_cmp_u_f32_e64 s0, v54, v54
	v_cvt_f32_fp8_e32 v14, v14
	v_mul_f32_e32 v57, s11, v57
	v_or_b32_e32 v75, 0x400000, v55
	v_bfe_u32 v76, v56, 16, 1
	s_wait_alu 0xf1ff
	v_cndmask_b32_e64 v54, v70, v71, s0
	v_cmp_u_f32_e64 s0, v13, v13
	v_add3_u32 v74, v74, v55, 0x7fff
	v_mul_f32_e32 v14, s11, v14
	v_or_b32_e32 v77, 0x400000, v56
	v_bfe_u32 v78, v57, 16, 1
	s_wait_alu 0xf1ff
	v_cndmask_b32_e64 v13, v72, v73, s0
	v_cmp_u_f32_e64 s0, v55, v55
	v_add3_u32 v76, v76, v56, 0x7fff
	v_or_b32_e32 v79, 0x400000, v57
	v_bfe_u32 v80, v14, 16, 1
	v_add3_u32 v78, v78, v57, 0x7fff
	s_wait_alu 0xf1ff
	v_cndmask_b32_e64 v66, v74, v75, s0
	v_cmp_u_f32_e64 s0, v56, v56
	v_or_b32_e32 v81, 0x400000, v14
	v_add3_u32 v80, v80, v14, 0x7fff
	v_lshrrev_b32_e32 v56, 16, v53
	v_lshrrev_b32_e32 v55, 16, v54
	s_wait_alu 0xf1ff
	v_cndmask_b32_e64 v67, v76, v77, s0
	v_cmp_u_f32_e64 s0, v57, v57
	v_lshrrev_b32_e32 v57, 16, v52
	v_lshrrev_b32_e32 v54, 16, v13
	;; [unrolled: 1-line block ×4, first 2 shown]
	s_wait_alu 0xf1ff
	v_cndmask_b32_e64 v68, v78, v79, s0
	v_cmp_u_f32_e64 s0, v14, v14
	s_delay_alu instid0(VALU_DEP_2) | instskip(SKIP_1) | instid1(VALU_DEP_2)
	v_lshrrev_b32_e32 v14, 16, v68
	s_wait_alu 0xf1ff
	v_cndmask_b32_e64 v69, v80, v81, s0
	s_delay_alu instid0(VALU_DEP_1)
	v_lshrrev_b32_e32 v13, 16, v69
	s_and_saveexec_b32 s0, vcc_lo
	s_cbranch_execz .LBB332_40
; %bb.50:                               ;   in Loop: Header=BB332_42 Depth=1
	v_cmp_gt_i32_e32 vcc_lo, s38, v36
	s_wait_alu 0xfffd
	v_cndmask_b32_e32 v57, 0, v57, vcc_lo
	v_cmp_gt_i32_e32 vcc_lo, s38, v46
	s_wait_alu 0xfffd
	v_cndmask_b32_e32 v56, 0, v56, vcc_lo
	;; [unrolled: 3-line block ×8, first 2 shown]
	s_branch .LBB332_40
.LBB332_51:
	s_or_b32 exec_lo, exec_lo, s5
.LBB332_52:
	s_wait_alu 0xfffe
	s_or_b32 exec_lo, exec_lo, s1
	ds_bpermute_b32 v1, v21, v26
	ds_bpermute_b32 v2, v21, v25
	;; [unrolled: 1-line block ×4, first 2 shown]
	v_lshrrev_b32_e32 v5, 1, v20
	v_lshlrev_b32_e32 v7, 8, v17
	v_and_b32_e32 v10, 0x3c1, v0
	s_mov_b32 s0, exec_lo
	s_wait_storecnt 0x0
	s_wait_loadcnt_dscnt 0x0
	v_lshl_add_u32 v6, v5, 2, 0xa0
	s_barrier_signal -1
	s_barrier_wait -1
	global_inv scope:SCOPE_SE
	v_dual_add_f32 v4, v26, v1 :: v_dual_add_f32 v3, v25, v2
	v_dual_add_f32 v2, v23, v8 :: v_dual_add_f32 v1, v22, v9
	v_cmpx_eq_u32_e32 64, v10
	s_cbranch_execz .LBB332_54
; %bb.53:
	v_add_nc_u32_e32 v8, v6, v7
	s_delay_alu instid0(VALU_DEP_1)
	v_add_nc_u32_e32 v9, 0xfffffe00, v8
	v_add_nc_u32_e32 v10, 0xfffffe40, v8
	;; [unrolled: 1-line block ×4, first 2 shown]
	ds_store_b32 v9, v4
	ds_store_b32 v10, v3
	;; [unrolled: 1-line block ×4, first 2 shown]
.LBB332_54:
	s_wait_alu 0xfffe
	s_or_b32 exec_lo, exec_lo, s0
	v_lshlrev_b32_e32 v5, 2, v5
	s_mov_b32 s1, exec_lo
	v_cmp_eq_u32_e32 vcc_lo, 0, v16
	s_wait_loadcnt_dscnt 0x0
	s_barrier_signal -1
	v_add3_u32 v5, 0xa0, v7, v5
	s_barrier_wait -1
	global_inv scope:SCOPE_SE
	v_cmpx_gt_u32_e32 64, v0
	s_cbranch_execz .LBB332_61
; %bb.55:
	s_and_saveexec_b32 s0, vcc_lo
	s_cbranch_execnz .LBB332_73
; %bb.56:
	s_wait_alu 0xfffe
	s_or_b32 exec_lo, exec_lo, s0
	s_and_saveexec_b32 s0, vcc_lo
	s_cbranch_execnz .LBB332_74
.LBB332_57:
	s_wait_alu 0xfffe
	s_or_b32 exec_lo, exec_lo, s0
	s_and_saveexec_b32 s0, vcc_lo
	s_cbranch_execnz .LBB332_75
.LBB332_58:
	s_wait_alu 0xfffe
	s_or_b32 exec_lo, exec_lo, s0
	s_and_saveexec_b32 s0, vcc_lo
	s_cbranch_execz .LBB332_60
.LBB332_59:
	ds_load_b32 v7, v5 offset:192
	s_wait_dscnt 0x0
	v_add_f32_e32 v1, v1, v7
.LBB332_60:
	s_wait_alu 0xfffe
	s_or_b32 exec_lo, exec_lo, s0
.LBB332_61:
	s_wait_alu 0xfffe
	s_or_b32 exec_lo, exec_lo, s1
	v_and_b32_e32 v7, 0x3e1, v0
	s_mov_b32 s1, exec_lo
	s_wait_loadcnt 0x0
	s_barrier_signal -1
	s_barrier_wait -1
	global_inv scope:SCOPE_SE
	v_cmpx_eq_u32_e32 32, v7
	s_cbranch_execz .LBB332_63
; %bb.62:
	ds_store_2addr_b32 v6, v4, v3 offset1:16
	ds_store_2addr_b32 v6, v2, v1 offset0:32 offset1:48
.LBB332_63:
	s_wait_alu 0xfffe
	s_or_b32 exec_lo, exec_lo, s1
	s_delay_alu instid0(SALU_CYCLE_1)
	s_mov_b32 s1, exec_lo
	s_wait_loadcnt_dscnt 0x0
	s_barrier_signal -1
	s_barrier_wait -1
	global_inv scope:SCOPE_SE
	v_cmpx_gt_u32_e32 32, v0
	s_cbranch_execz .LBB332_70
; %bb.64:
	s_and_saveexec_b32 s0, vcc_lo
	s_cbranch_execnz .LBB332_76
; %bb.65:
	s_wait_alu 0xfffe
	s_or_b32 exec_lo, exec_lo, s0
	s_and_saveexec_b32 s0, vcc_lo
	s_cbranch_execnz .LBB332_77
.LBB332_66:
	s_wait_alu 0xfffe
	s_or_b32 exec_lo, exec_lo, s0
	s_and_saveexec_b32 s0, vcc_lo
	s_cbranch_execnz .LBB332_78
.LBB332_67:
	s_wait_alu 0xfffe
	s_or_b32 exec_lo, exec_lo, s0
	s_and_saveexec_b32 s0, vcc_lo
	s_cbranch_execz .LBB332_69
.LBB332_68:
	ds_load_b32 v0, v5 offset:192
	s_wait_dscnt 0x0
	v_add_f32_e32 v1, v1, v0
.LBB332_69:
	s_wait_alu 0xfffe
	s_or_b32 exec_lo, exec_lo, s0
.LBB332_70:
	s_wait_alu 0xfffe
	s_or_b32 exec_lo, exec_lo, s1
	s_mov_b32 s1, 0
	s_wait_loadcnt 0x0
	s_barrier_signal -1
	s_barrier_wait -1
	global_inv scope:SCOPE_SE
	s_mov_b32 s0, exec_lo
	v_cmpx_eq_u32_e32 0, v7
	s_cbranch_execz .LBB332_72
; %bb.71:
	v_bfe_u32 v0, v4, 16, 1
	v_or_b32_e32 v5, 0x400000, v4
	v_bfe_u32 v7, v3, 16, 1
	v_cmp_u_f32_e32 vcc_lo, v4, v4
	v_bfe_u32 v8, v2, 16, 1
	v_add3_u32 v0, v0, v4, 0x7fff
	s_lshl_b32 s2, s10, 6
	v_bfe_u32 v4, v1, 16, 1
	v_or_b32_e32 v9, 0x400000, v2
	v_add3_u32 v8, v8, v2, 0x7fff
	s_wait_alu 0xfffd
	v_cndmask_b32_e32 v0, v0, v5, vcc_lo
	v_add3_u32 v5, v7, v3, 0x7fff
	v_or_b32_e32 v7, 0x400000, v3
	v_cmp_u_f32_e32 vcc_lo, v3, v3
	s_wait_kmcnt 0x0
	s_mul_i32 s4, s20, s28
	s_wait_alu 0xfffe
	s_ashr_i32 s3, s2, 31
	s_ashr_i32 s5, s4, 31
	s_wait_alu 0xfffe
	s_lshl_b64 s[2:3], s[2:3], 1
	s_wait_alu 0xfffd
	v_cndmask_b32_e32 v3, v5, v7, vcc_lo
	v_cmp_u_f32_e32 vcc_lo, v2, v2
	v_add3_u32 v4, v4, v1, 0x7fff
	v_or_b32_e32 v10, 0x400000, v1
	s_lshl_b64 s[4:5], s[4:5], 1
	s_wait_alu 0xfffe
	s_add_nc_u64 s[2:3], s[8:9], s[2:3]
	s_wait_alu 0xfffd
	v_cndmask_b32_e32 v2, v8, v9, vcc_lo
	v_cmp_u_f32_e32 vcc_lo, v1, v1
	v_lshlrev_b32_e32 v6, 1, v15
	s_lshl_b32 s0, s33, 7
	s_wait_alu 0xfffe
	s_add_nc_u64 s[2:3], s[2:3], s[4:5]
	s_wait_alu 0xfffe
	s_add_nc_u64 s[0:1], s[2:3], s[0:1]
	s_wait_alu 0xfffd
	v_cndmask_b32_e32 v1, v4, v10, vcc_lo
	s_clause 0x3
	global_store_d16_hi_b16 v6, v0, s[0:1]
	global_store_d16_hi_b16 v6, v3, s[0:1] offset:32
	global_store_d16_hi_b16 v6, v2, s[0:1] offset:64
	;; [unrolled: 1-line block ×3, first 2 shown]
.LBB332_72:
	s_nop 0
	s_sendmsg sendmsg(MSG_DEALLOC_VGPRS)
	s_endpgm
.LBB332_73:
	ds_load_b32 v7, v5
	s_wait_dscnt 0x0
	v_add_f32_e32 v4, v4, v7
	s_wait_alu 0xfffe
	s_or_b32 exec_lo, exec_lo, s0
	s_and_saveexec_b32 s0, vcc_lo
	s_cbranch_execz .LBB332_57
.LBB332_74:
	ds_load_b32 v7, v5 offset:64
	s_wait_dscnt 0x0
	v_add_f32_e32 v3, v3, v7
	s_wait_alu 0xfffe
	s_or_b32 exec_lo, exec_lo, s0
	s_and_saveexec_b32 s0, vcc_lo
	s_cbranch_execz .LBB332_58
.LBB332_75:
	ds_load_b32 v7, v5 offset:128
	s_wait_dscnt 0x0
	v_add_f32_e32 v2, v2, v7
	s_wait_alu 0xfffe
	s_or_b32 exec_lo, exec_lo, s0
	s_and_saveexec_b32 s0, vcc_lo
	s_cbranch_execnz .LBB332_59
	s_branch .LBB332_60
.LBB332_76:
	ds_load_b32 v0, v5
	s_wait_dscnt 0x0
	v_add_f32_e32 v4, v4, v0
	s_wait_alu 0xfffe
	s_or_b32 exec_lo, exec_lo, s0
	s_and_saveexec_b32 s0, vcc_lo
	s_cbranch_execz .LBB332_66
.LBB332_77:
	ds_load_b32 v0, v5 offset:64
	s_wait_dscnt 0x0
	v_add_f32_e32 v3, v3, v0
	s_wait_alu 0xfffe
	s_or_b32 exec_lo, exec_lo, s0
	s_and_saveexec_b32 s0, vcc_lo
	s_cbranch_execz .LBB332_67
.LBB332_78:
	ds_load_b32 v0, v5 offset:128
	s_wait_dscnt 0x0
	v_add_f32_e32 v2, v2, v0
	s_wait_alu 0xfffe
	s_or_b32 exec_lo, exec_lo, s0
	s_and_saveexec_b32 s0, vcc_lo
	s_cbranch_execnz .LBB332_68
	s_branch .LBB332_69
	.section	.rodata,"a",@progbits
	.p2align	6, 0x0
	.amdhsa_kernel _ZN4vllm25paged_attention_v2_kernelI14__hip_bfloat16hLi64ELi16ELi128ELNS_18Fp8KVCacheDataTypeE1ELb1ELi512EEEvPfS3_PT_PKS4_PKT0_SA_ifPKiSC_iPKfiiiSE_SE_iiiii
		.amdhsa_group_segment_fixed_size 160
		.amdhsa_private_segment_fixed_size 0
		.amdhsa_kernarg_size 400
		.amdhsa_user_sgpr_count 2
		.amdhsa_user_sgpr_dispatch_ptr 0
		.amdhsa_user_sgpr_queue_ptr 0
		.amdhsa_user_sgpr_kernarg_segment_ptr 1
		.amdhsa_user_sgpr_dispatch_id 0
		.amdhsa_user_sgpr_private_segment_size 0
		.amdhsa_wavefront_size32 1
		.amdhsa_uses_dynamic_stack 0
		.amdhsa_enable_private_segment 0
		.amdhsa_system_sgpr_workgroup_id_x 1
		.amdhsa_system_sgpr_workgroup_id_y 1
		.amdhsa_system_sgpr_workgroup_id_z 1
		.amdhsa_system_sgpr_workgroup_info 0
		.amdhsa_system_vgpr_workitem_id 0
		.amdhsa_next_free_vgpr 128
		.amdhsa_next_free_sgpr 52
		.amdhsa_reserve_vcc 1
		.amdhsa_float_round_mode_32 0
		.amdhsa_float_round_mode_16_64 0
		.amdhsa_float_denorm_mode_32 3
		.amdhsa_float_denorm_mode_16_64 3
		.amdhsa_fp16_overflow 0
		.amdhsa_workgroup_processor_mode 1
		.amdhsa_memory_ordered 1
		.amdhsa_forward_progress 1
		.amdhsa_inst_pref_size 101
		.amdhsa_round_robin_scheduling 0
		.amdhsa_exception_fp_ieee_invalid_op 0
		.amdhsa_exception_fp_denorm_src 0
		.amdhsa_exception_fp_ieee_div_zero 0
		.amdhsa_exception_fp_ieee_overflow 0
		.amdhsa_exception_fp_ieee_underflow 0
		.amdhsa_exception_fp_ieee_inexact 0
		.amdhsa_exception_int_div_zero 0
	.end_amdhsa_kernel
	.section	.text._ZN4vllm25paged_attention_v2_kernelI14__hip_bfloat16hLi64ELi16ELi128ELNS_18Fp8KVCacheDataTypeE1ELb1ELi512EEEvPfS3_PT_PKS4_PKT0_SA_ifPKiSC_iPKfiiiSE_SE_iiiii,"axG",@progbits,_ZN4vllm25paged_attention_v2_kernelI14__hip_bfloat16hLi64ELi16ELi128ELNS_18Fp8KVCacheDataTypeE1ELb1ELi512EEEvPfS3_PT_PKS4_PKT0_SA_ifPKiSC_iPKfiiiSE_SE_iiiii,comdat
.Lfunc_end332:
	.size	_ZN4vllm25paged_attention_v2_kernelI14__hip_bfloat16hLi64ELi16ELi128ELNS_18Fp8KVCacheDataTypeE1ELb1ELi512EEEvPfS3_PT_PKS4_PKT0_SA_ifPKiSC_iPKfiiiSE_SE_iiiii, .Lfunc_end332-_ZN4vllm25paged_attention_v2_kernelI14__hip_bfloat16hLi64ELi16ELi128ELNS_18Fp8KVCacheDataTypeE1ELb1ELi512EEEvPfS3_PT_PKS4_PKT0_SA_ifPKiSC_iPKfiiiSE_SE_iiiii
                                        ; -- End function
	.set _ZN4vllm25paged_attention_v2_kernelI14__hip_bfloat16hLi64ELi16ELi128ELNS_18Fp8KVCacheDataTypeE1ELb1ELi512EEEvPfS3_PT_PKS4_PKT0_SA_ifPKiSC_iPKfiiiSE_SE_iiiii.num_vgpr, 128
	.set _ZN4vllm25paged_attention_v2_kernelI14__hip_bfloat16hLi64ELi16ELi128ELNS_18Fp8KVCacheDataTypeE1ELb1ELi512EEEvPfS3_PT_PKS4_PKT0_SA_ifPKiSC_iPKfiiiSE_SE_iiiii.num_agpr, 0
	.set _ZN4vllm25paged_attention_v2_kernelI14__hip_bfloat16hLi64ELi16ELi128ELNS_18Fp8KVCacheDataTypeE1ELb1ELi512EEEvPfS3_PT_PKS4_PKT0_SA_ifPKiSC_iPKfiiiSE_SE_iiiii.numbered_sgpr, 52
	.set _ZN4vllm25paged_attention_v2_kernelI14__hip_bfloat16hLi64ELi16ELi128ELNS_18Fp8KVCacheDataTypeE1ELb1ELi512EEEvPfS3_PT_PKS4_PKT0_SA_ifPKiSC_iPKfiiiSE_SE_iiiii.num_named_barrier, 0
	.set _ZN4vllm25paged_attention_v2_kernelI14__hip_bfloat16hLi64ELi16ELi128ELNS_18Fp8KVCacheDataTypeE1ELb1ELi512EEEvPfS3_PT_PKS4_PKT0_SA_ifPKiSC_iPKfiiiSE_SE_iiiii.private_seg_size, 0
	.set _ZN4vllm25paged_attention_v2_kernelI14__hip_bfloat16hLi64ELi16ELi128ELNS_18Fp8KVCacheDataTypeE1ELb1ELi512EEEvPfS3_PT_PKS4_PKT0_SA_ifPKiSC_iPKfiiiSE_SE_iiiii.uses_vcc, 1
	.set _ZN4vllm25paged_attention_v2_kernelI14__hip_bfloat16hLi64ELi16ELi128ELNS_18Fp8KVCacheDataTypeE1ELb1ELi512EEEvPfS3_PT_PKS4_PKT0_SA_ifPKiSC_iPKfiiiSE_SE_iiiii.uses_flat_scratch, 0
	.set _ZN4vllm25paged_attention_v2_kernelI14__hip_bfloat16hLi64ELi16ELi128ELNS_18Fp8KVCacheDataTypeE1ELb1ELi512EEEvPfS3_PT_PKS4_PKT0_SA_ifPKiSC_iPKfiiiSE_SE_iiiii.has_dyn_sized_stack, 0
	.set _ZN4vllm25paged_attention_v2_kernelI14__hip_bfloat16hLi64ELi16ELi128ELNS_18Fp8KVCacheDataTypeE1ELb1ELi512EEEvPfS3_PT_PKS4_PKT0_SA_ifPKiSC_iPKfiiiSE_SE_iiiii.has_recursion, 0
	.set _ZN4vllm25paged_attention_v2_kernelI14__hip_bfloat16hLi64ELi16ELi128ELNS_18Fp8KVCacheDataTypeE1ELb1ELi512EEEvPfS3_PT_PKS4_PKT0_SA_ifPKiSC_iPKfiiiSE_SE_iiiii.has_indirect_call, 0
	.section	.AMDGPU.csdata,"",@progbits
; Kernel info:
; codeLenInByte = 12888
; TotalNumSgprs: 54
; NumVgprs: 128
; ScratchSize: 0
; MemoryBound: 0
; FloatMode: 240
; IeeeMode: 1
; LDSByteSize: 160 bytes/workgroup (compile time only)
; SGPRBlocks: 0
; VGPRBlocks: 15
; NumSGPRsForWavesPerEU: 54
; NumVGPRsForWavesPerEU: 128
; Occupancy: 10
; WaveLimiterHint : 1
; COMPUTE_PGM_RSRC2:SCRATCH_EN: 0
; COMPUTE_PGM_RSRC2:USER_SGPR: 2
; COMPUTE_PGM_RSRC2:TRAP_HANDLER: 0
; COMPUTE_PGM_RSRC2:TGID_X_EN: 1
; COMPUTE_PGM_RSRC2:TGID_Y_EN: 1
; COMPUTE_PGM_RSRC2:TGID_Z_EN: 1
; COMPUTE_PGM_RSRC2:TIDIG_COMP_CNT: 0
	.section	.text._ZN4vllm25paged_attention_v2_kernelI14__hip_bfloat16hLi80ELi16ELi128ELNS_18Fp8KVCacheDataTypeE1ELb1ELi512EEEvPfS3_PT_PKS4_PKT0_SA_ifPKiSC_iPKfiiiSE_SE_iiiii,"axG",@progbits,_ZN4vllm25paged_attention_v2_kernelI14__hip_bfloat16hLi80ELi16ELi128ELNS_18Fp8KVCacheDataTypeE1ELb1ELi512EEEvPfS3_PT_PKS4_PKT0_SA_ifPKiSC_iPKfiiiSE_SE_iiiii,comdat
	.protected	_ZN4vllm25paged_attention_v2_kernelI14__hip_bfloat16hLi80ELi16ELi128ELNS_18Fp8KVCacheDataTypeE1ELb1ELi512EEEvPfS3_PT_PKS4_PKT0_SA_ifPKiSC_iPKfiiiSE_SE_iiiii ; -- Begin function _ZN4vllm25paged_attention_v2_kernelI14__hip_bfloat16hLi80ELi16ELi128ELNS_18Fp8KVCacheDataTypeE1ELb1ELi512EEEvPfS3_PT_PKS4_PKT0_SA_ifPKiSC_iPKfiiiSE_SE_iiiii
	.globl	_ZN4vllm25paged_attention_v2_kernelI14__hip_bfloat16hLi80ELi16ELi128ELNS_18Fp8KVCacheDataTypeE1ELb1ELi512EEEvPfS3_PT_PKS4_PKT0_SA_ifPKiSC_iPKfiiiSE_SE_iiiii
	.p2align	8
	.type	_ZN4vllm25paged_attention_v2_kernelI14__hip_bfloat16hLi80ELi16ELi128ELNS_18Fp8KVCacheDataTypeE1ELb1ELi512EEEvPfS3_PT_PKS4_PKT0_SA_ifPKiSC_iPKfiiiSE_SE_iiiii,@function
_ZN4vllm25paged_attention_v2_kernelI14__hip_bfloat16hLi80ELi16ELi128ELNS_18Fp8KVCacheDataTypeE1ELb1ELi512EEEvPfS3_PT_PKS4_PKT0_SA_ifPKiSC_iPKfiiiSE_SE_iiiii: ; @_ZN4vllm25paged_attention_v2_kernelI14__hip_bfloat16hLi80ELi16ELi128ELNS_18Fp8KVCacheDataTypeE1ELb1ELi512EEEvPfS3_PT_PKS4_PKT0_SA_ifPKiSC_iPKfiiiSE_SE_iiiii
; %bb.0:
	s_load_b64 s[2:3], s[0:1], 0x40
	s_and_b32 s56, ttmp7, 0xffff
	s_lshr_b32 s33, ttmp7, 16
	s_lshl_b32 s4, s56, 2
	s_lshl_b32 s58, s33, 9
	s_wait_kmcnt 0x0
	s_load_b32 s54, s[2:3], s4 offset:0x0
	s_wait_kmcnt 0x0
	s_cmp_ge_i32 s58, s54
	s_cbranch_scc1 .LBB333_76
; %bb.1:
	s_clause 0x1
	s_load_b32 s57, s[0:1], 0x90
	s_load_b64 s[30:31], s[0:1], 0x30
	s_wait_kmcnt 0x0
	s_abs_i32 s5, s57
	s_abs_i32 s2, s30
	s_delay_alu instid0(SALU_CYCLE_1) | instskip(SKIP_1) | instid1(SALU_CYCLE_2)
	s_cvt_f32_u32 s3, s2
	s_sub_co_i32 s4, 0, s2
	v_rcp_iflag_f32_e32 v1, s3
	s_delay_alu instid0(TRANS32_DEP_1) | instskip(SKIP_2) | instid1(SALU_CYCLE_2)
	v_readfirstlane_b32 s3, v1
	s_mul_f32 s3, s3, 0x4f7ffffe
	s_wait_alu 0xfffe
	s_cvt_u32_f32 s3, s3
	s_wait_alu 0xfffe
	s_delay_alu instid0(SALU_CYCLE_2) | instskip(NEXT) | instid1(SALU_CYCLE_1)
	s_mul_i32 s4, s4, s3
	s_mul_hi_u32 s4, s3, s4
	s_delay_alu instid0(SALU_CYCLE_1)
	s_add_co_i32 s3, s3, s4
	s_xor_b32 s4, s57, s30
	s_wait_alu 0xfffe
	s_mul_hi_u32 s3, s5, s3
	s_ashr_i32 s4, s4, 31
	s_wait_alu 0xfffe
	s_mul_i32 s6, s3, s2
	s_delay_alu instid0(SALU_CYCLE_1)
	s_sub_co_i32 s5, s5, s6
	s_add_co_i32 s6, s3, 1
	s_sub_co_i32 s7, s5, s2
	s_cmp_ge_u32 s5, s2
	s_cselect_b32 s3, s6, s3
	s_cselect_b32 s5, s7, s5
	s_wait_alu 0xfffe
	s_add_co_i32 s6, s3, 1
	s_cmp_ge_u32 s5, s2
	s_cselect_b32 s2, s6, s3
	s_load_b64 s[6:7], s[0:1], 0x50
	s_xor_b32 s2, s2, s4
	s_mov_b32 s3, 0
	s_wait_alu 0xfffe
	s_sub_co_i32 s9, s2, s4
	s_mov_b32 s60, s3
	s_abs_i32 s8, s9
	s_delay_alu instid0(SALU_CYCLE_1) | instskip(SKIP_1) | instid1(SALU_CYCLE_2)
	s_cvt_f32_u32 s2, s8
	s_wait_alu 0xfffe
	v_rcp_iflag_f32_e32 v1, s2
	s_delay_alu instid0(TRANS32_DEP_1) | instskip(SKIP_2) | instid1(SALU_CYCLE_2)
	v_readfirstlane_b32 s2, v1
	s_mul_f32 s2, s2, 0x4f7ffffe
	s_wait_alu 0xfffe
	s_cvt_u32_f32 s4, s2
	s_sub_co_i32 s2, 0, s8
	s_wait_alu 0xfffe
	s_delay_alu instid0(SALU_CYCLE_1)
	s_mul_i32 s2, s2, s4
	s_wait_alu 0xfffe
	s_mul_hi_u32 s5, s4, s2
	s_abs_i32 s2, ttmp9
	s_add_co_i32 s4, s4, s5
	s_mov_b32 s5, s3
	s_wait_kmcnt 0x0
	s_cmp_eq_u64 s[6:7], 0
	s_cbranch_scc1 .LBB333_3
; %bb.2:
	s_mov_b32 s10, ttmp9
	s_ashr_i32 s11, ttmp9, 31
	s_delay_alu instid0(SALU_CYCLE_1) | instskip(NEXT) | instid1(SALU_CYCLE_1)
	s_lshl_b64 s[10:11], s[10:11], 2
	s_add_nc_u64 s[6:7], s[6:7], s[10:11]
	s_load_b32 s60, s[6:7], 0x0
.LBB333_3:
	s_load_b96 s[44:46], s[0:1], 0x58
	v_lshrrev_b32_e32 v25, 1, v0
	v_and_b32_e32 v26, 1, v0
	v_lshlrev_b32_e32 v30, 3, v0
	s_mul_u64 s[4:5], s[2:3], s[4:5]
	s_ashr_i32 s3, ttmp9, 31
	s_ashr_i32 s4, s9, 31
	s_mul_i32 s34, ttmp9, 0x50
	s_mov_b32 s6, exec_lo
	v_cmpx_gt_u32_e32 20, v0
	s_cbranch_execz .LBB333_5
; %bb.4:
	s_load_b64 s[10:11], s[0:1], 0x18
	s_wait_kmcnt 0x0
	s_mul_i32 s12, s44, s56
	s_ashr_i32 s35, s34, 31
	s_ashr_i32 s13, s12, 31
	v_lshlrev_b32_e32 v3, 3, v25
	s_lshl_b64 s[12:13], s[12:13], 1
	s_delay_alu instid0(VALU_DEP_1) | instskip(SKIP_2) | instid1(SALU_CYCLE_1)
	v_mad_u32_u24 v3, 0x50, v26, v3
	s_add_nc_u64 s[10:11], s[10:11], s[12:13]
	s_lshl_b64 s[12:13], s[34:35], 1
	s_add_nc_u64 s[10:11], s[10:11], s[12:13]
	global_load_b64 v[1:2], v30, s[10:11]
	s_wait_loadcnt 0x0
	ds_store_b64 v3, v[1:2]
.LBB333_5:
	s_or_b32 exec_lo, exec_lo, s6
	s_clause 0x1
	s_load_b128 s[40:43], s[0:1], 0x78
	s_load_b32 s7, s[0:1], 0x88
	s_mul_i32 s6, s5, s8
	s_xor_b32 s3, s3, s4
	s_sub_co_i32 s2, s2, s6
	s_add_co_i32 s4, s5, 1
	s_wait_alu 0xfffe
	s_sub_co_i32 s6, s2, s8
	s_cmp_ge_u32 s2, s8
	s_mov_b32 s9, -1
	s_cselect_b32 s4, s4, s5
	s_cselect_b32 s2, s6, s2
	s_add_co_i32 s5, s4, 1
	s_wait_alu 0xfffe
	s_cmp_ge_u32 s2, s8
	s_wait_dscnt 0x0
	s_cselect_b32 s2, s5, s4
	s_add_co_i32 s8, s54, -1
	s_wait_alu 0xfffe
	s_xor_b32 s2, s2, s3
	s_barrier_signal -1
	s_wait_alu 0xfffe
	s_sub_co_i32 s6, s2, s3
	s_barrier_wait -1
	s_wait_kmcnt 0x0
	s_abs_i32 s44, s43
	global_inv scope:SCOPE_SE
	s_cvt_f32_u32 s4, s44
                                        ; implicit-def: $sgpr55
	s_delay_alu instid0(SALU_CYCLE_3) | instskip(NEXT) | instid1(TRANS32_DEP_1)
	v_rcp_iflag_f32_e32 v1, s4
	v_readfirstlane_b32 s4, v1
	s_mul_f32 s2, s4, 0x4f7ffffe
	s_wait_alu 0xfffe
	s_delay_alu instid0(SALU_CYCLE_2) | instskip(SKIP_2) | instid1(SALU_CYCLE_1)
	s_cvt_u32_f32 s4, s2
	s_sub_co_i32 s2, 0, s44
	s_wait_alu 0xfffe
	s_mul_i32 s3, s2, s4
	s_abs_i32 s2, s8
	s_wait_alu 0xfffe
	s_mul_hi_u32 s5, s4, s3
	s_mov_b32 s3, 0
	s_wait_alu 0xfffe
	s_add_co_i32 s48, s4, s5
	s_cmp_lt_i32 s7, 0
	s_mov_b32 s49, s3
	s_cbranch_scc0 .LBB333_7
; %bb.6:
	s_mul_i32 s4, s40, s30
	s_mov_b32 s9, s3
	s_wait_alu 0xfffe
	s_add_co_i32 s4, s6, s4
	s_wait_alu 0xfffe
	s_mul_i32 s4, s4, s7
	s_wait_alu 0xfffe
	s_sub_co_i32 s55, 1, s4
.LBB333_7:
	s_mul_u64 s[4:5], s[2:3], s[48:49]
	s_ashr_i32 s3, s8, 31
	s_and_not1_b32 vcc_lo, exec_lo, s9
	s_ashr_i32 s43, s43, 31
	s_cbranch_vccnz .LBB333_9
; %bb.8:
	s_mul_i32 s4, s57, s40
	s_wait_alu 0xfffe
	s_add_co_i32 s4, s4, ttmp9
	s_wait_alu 0xfffe
	s_mul_i32 s4, s4, s7
	s_wait_alu 0xfffe
	s_add_co_i32 s55, s4, 1
.LBB333_9:
	s_clause 0x3
	s_load_b32 s4, s[0:1], 0x48
	s_load_b64 s[50:51], s[0:1], 0x38
	s_load_b32 s35, s[0:1], 0x98
	s_load_b128 s[36:39], s[0:1], 0x68
	s_mul_i32 s7, s5, s44
	s_xor_b32 s3, s3, s43
	s_sub_co_i32 s2, s2, s7
	s_add_co_i32 s8, s5, 1
	v_lshrrev_b32_e32 v27, 5, v0
	v_mbcnt_lo_u32_b32 v32, -1, 0
	s_mul_i32 s46, s6, s46
	s_delay_alu instid0(VALU_DEP_2)
	v_lshl_add_u32 v28, v27, 4, s58
	s_wait_kmcnt 0x0
	s_mul_i32 s52, s4, s56
	s_wait_alu 0xfffe
	s_sub_co_i32 s4, s2, s44
	s_ashr_i32 s53, s52, 31
	s_cmp_ge_u32 s2, s44
	s_cselect_b32 s5, s8, s5
	s_wait_alu 0xfffe
	s_cselect_b32 s2, s4, s2
	s_add_co_i32 s4, s5, 1
	s_wait_alu 0xfffe
	s_cmp_ge_u32 s2, s44
	s_cselect_b32 s2, s4, s5
	s_add_co_i32 s4, s54, 15
	s_lshl_b32 s61, s33, 5
	s_wait_alu 0xfffe
	s_ashr_i32 s5, s4, 31
	v_or_b32_e32 v29, s61, v27
	s_wait_alu 0xfffe
	s_lshr_b32 s5, s5, 28
	v_mov_b32_e32 v34, 0xff7fffff
	s_wait_alu 0xfffe
	s_add_co_i32 s4, s4, s5
	s_add_co_i32 s5, s61, 32
	s_wait_alu 0xfffe
	s_ashr_i32 s49, s4, 4
	s_xor_b32 s4, s2, s3
	s_min_i32 s40, s5, s49
	v_lshlrev_b32_e32 v31, 2, v29
	v_cmp_gt_i32_e64 s2, s40, v29
	s_wait_alu 0xfffe
	s_sub_co_i32 s59, s4, s3
	s_and_saveexec_b32 s62, s2
	s_cbranch_execz .LBB333_21
; %bb.10:
	s_wait_alu 0xfffe
	s_sub_co_i32 s63, s59, s41
	s_ashr_i32 s47, s46, 31
	s_cmp_neq_f32 s60, 0
	s_load_b64 s[4:5], s[0:1], 0x20
	v_bfe_u32 v33, v0, 1, 4
	v_dual_mov_b32 v39, 0xff7fffff :: v_dual_lshlrev_b32 v2, 2, v26
	s_cselect_b32 vcc_lo, -1, 0
	s_abs_i32 s64, s42
	s_delay_alu instid0(VALU_DEP_2)
	v_dual_mov_b32 v34, 0xff7fffff :: v_dual_lshlrev_b32 v3, 4, v33
	s_cvt_f32_u32 s3, s64
	v_dual_mov_b32 v41, v29 :: v_dual_lshlrev_b32 v4, 2, v33
	s_lshl_b64 s[6:7], s[52:53], 2
	s_wait_alu 0xfffe
	v_rcp_iflag_f32_e32 v1, s3
	v_subrev_nc_u32_e32 v5, s54, v33
	s_add_nc_u64 s[6:7], s[50:51], s[6:7]
	s_sub_co_i32 s9, 0, s64
	v_cmp_eq_u32_e64 s3, 0, v26
	v_mul_u32_u24_e32 v35, 0x50, v26
	v_lshl_add_u32 v36, v27, 4, s58
	v_add_nc_u32_e32 v37, 1, v5
	s_wait_kmcnt 0x0
	s_add_nc_u64 s[4:5], s[4:5], s[46:47]
	v_xor_b32_e32 v40, 1, v32
	v_readfirstlane_b32 s8, v1
	s_wait_alu 0xfffe
	v_add_co_u32 v3, s4, s4, v3
	v_lshl_or_b32 v1, v27, 6, v4
	s_wait_alu 0xf1ff
	v_add_co_ci_u32_e64 v4, null, s5, 0, s4
	s_mul_f32 s8, s8, 0x4f7ffffe
	v_add_co_u32 v21, s4, v3, v2
	s_wait_alu 0xf1ff
	v_add_co_ci_u32_e64 v22, null, 0, v4, s4
	s_cvt_u32_f32 s5, s8
	v_add_co_u32 v23, s4, s6, v31
	s_wait_alu 0xf1ff
	v_add_co_ci_u32_e64 v24, null, s7, 0, s4
	s_wait_alu 0xfffe
	s_mul_i32 s9, s9, s5
	v_add_nc_u32_e32 v38, 0xc0, v1
	s_mul_hi_u32 s4, s5, s9
	s_mov_b32 s65, 0
	s_mov_b32 s47, s45
	s_wait_alu 0xfffe
	s_add_co_i32 s66, s5, s4
	s_branch .LBB333_13
.LBB333_11:                             ;   in Loop: Header=BB333_13 Depth=1
	s_wait_alu 0xfffe
	s_or_b32 exec_lo, exec_lo, s5
.LBB333_12:                             ;   in Loop: Header=BB333_13 Depth=1
	s_wait_alu 0xfffe
	s_or_b32 exec_lo, exec_lo, s67
	v_add_nc_u32_e32 v41, 4, v41
	v_add_co_u32 v23, s5, v23, 16
	s_wait_alu 0xf1ff
	v_add_co_ci_u32_e64 v24, null, 0, v24, s5
	s_delay_alu instid0(VALU_DEP_3)
	v_cmp_le_i32_e64 s4, s40, v41
	v_add_nc_u32_e32 v36, 64, v36
	v_add_nc_u32_e32 v38, 0x100, v38
	s_or_b32 s65, s4, s65
	s_wait_alu 0xfffe
	s_and_not1_b32 exec_lo, exec_lo, s65
	s_cbranch_execz .LBB333_20
.LBB333_13:                             ; =>This Inner Loop Header: Depth=1
	v_sub_nc_u32_e32 v1, 0, v36
	s_delay_alu instid0(VALU_DEP_1) | instskip(SKIP_1) | instid1(VALU_DEP_1)
	v_max_i32_e32 v1, v36, v1
	s_wait_dscnt 0x0
	v_mul_hi_u32 v2, v1, s48
	s_delay_alu instid0(VALU_DEP_1) | instskip(NEXT) | instid1(VALU_DEP_1)
	v_mul_lo_u32 v3, v2, s44
	v_sub_nc_u32_e32 v1, v1, v3
	v_add_nc_u32_e32 v3, 1, v2
	s_delay_alu instid0(VALU_DEP_2) | instskip(SKIP_2) | instid1(VALU_DEP_1)
	v_subrev_nc_u32_e32 v4, s44, v1
	v_cmp_le_u32_e64 s4, s44, v1
	s_wait_alu 0xf1ff
	v_cndmask_b32_e64 v2, v2, v3, s4
	s_delay_alu instid0(VALU_DEP_3) | instskip(SKIP_1) | instid1(VALU_DEP_3)
	v_cndmask_b32_e64 v1, v1, v4, s4
	v_ashrrev_i32_e32 v3, 31, v36
	v_add_nc_u32_e32 v4, 1, v2
	s_delay_alu instid0(VALU_DEP_3) | instskip(NEXT) | instid1(VALU_DEP_3)
	v_cmp_le_u32_e64 s4, s44, v1
	v_xor_b32_e32 v3, s43, v3
	s_wait_alu 0xf1ff
	s_delay_alu instid0(VALU_DEP_2) | instskip(NEXT) | instid1(VALU_DEP_1)
	v_cndmask_b32_e64 v1, v2, v4, s4
	v_xor_b32_e32 v1, v1, v3
	s_delay_alu instid0(VALU_DEP_1) | instskip(NEXT) | instid1(VALU_DEP_1)
	v_sub_nc_u32_e32 v1, v1, v3
	v_add_nc_u32_e32 v2, s55, v1
	v_cmp_ge_i32_e64 s5, s63, v1
	s_delay_alu instid0(VALU_DEP_2) | instskip(NEXT) | instid1(VALU_DEP_1)
	v_sub_nc_u32_e32 v3, 0, v2
	v_max_i32_e32 v3, v2, v3
	v_ashrrev_i32_e32 v2, 31, v2
	s_delay_alu instid0(VALU_DEP_2) | instskip(NEXT) | instid1(VALU_DEP_1)
	v_mul_hi_u32 v4, v3, s66
	v_mul_lo_u32 v4, v4, s64
	s_delay_alu instid0(VALU_DEP_1) | instskip(NEXT) | instid1(VALU_DEP_1)
	v_sub_nc_u32_e32 v3, v3, v4
	v_subrev_nc_u32_e32 v4, s64, v3
	v_cmp_le_u32_e64 s4, s64, v3
	s_wait_alu 0xf1ff
	s_delay_alu instid0(VALU_DEP_1) | instskip(NEXT) | instid1(VALU_DEP_1)
	v_cndmask_b32_e64 v3, v3, v4, s4
	v_subrev_nc_u32_e32 v4, s64, v3
	v_cmp_le_u32_e64 s4, s64, v3
	s_wait_alu 0xf1ff
	s_delay_alu instid0(VALU_DEP_1) | instskip(NEXT) | instid1(VALU_DEP_1)
	v_cndmask_b32_e64 v3, v3, v4, s4
	v_xor_b32_e32 v3, v3, v2
	s_delay_alu instid0(VALU_DEP_1) | instskip(NEXT) | instid1(VALU_DEP_1)
	v_sub_nc_u32_e32 v2, v3, v2
	v_cmp_ne_u32_e64 s4, 0, v2
	s_and_b32 s4, s4, s5
	s_wait_alu 0xfffe
	s_and_saveexec_b32 s5, s4
	s_wait_alu 0xfffe
	s_xor_b32 s4, exec_lo, s5
	s_cbranch_execz .LBB333_17
; %bb.14:                               ;   in Loop: Header=BB333_13 Depth=1
	s_and_saveexec_b32 s5, s3
; %bb.15:                               ;   in Loop: Header=BB333_13 Depth=1
	ds_store_b32 v38, v39
; %bb.16:                               ;   in Loop: Header=BB333_13 Depth=1
	s_wait_alu 0xfffe
	s_or_b32 exec_lo, exec_lo, s5
.LBB333_17:                             ;   in Loop: Header=BB333_13 Depth=1
	s_wait_alu 0xfffe
	s_and_not1_saveexec_b32 s67, s4
	s_cbranch_execz .LBB333_12
; %bb.18:                               ;   in Loop: Header=BB333_13 Depth=1
	global_load_b32 v1, v[23:24], off
	s_wait_loadcnt 0x0
	v_mad_co_i64_i32 v[1:2], null, v1, s47, v[21:22]
	s_clause 0x9
	global_load_b32 v42, v[1:2], off
	global_load_b32 v43, v[1:2], off offset:8
	global_load_b32 v45, v[1:2], off offset:256
	;; [unrolled: 1-line block ×9, first 2 shown]
	ds_load_b128 v[17:20], v35
	ds_load_b128 v[13:16], v35 offset:16
	ds_load_b128 v[9:12], v35 offset:32
	;; [unrolled: 1-line block ×3, first 2 shown]
	s_load_b32 s68, s[36:37], 0x0
	ds_load_b128 v[1:4], v35 offset:64
	s_wait_dscnt 0x0
	v_and_b32_e32 v72, 0xffff0000, v1
	s_wait_loadcnt 0x9
	v_lshrrev_b32_e32 v73, 24, v42
	s_wait_loadcnt 0x8
	v_bfe_u32 v74, v43, 16, 8
	v_bfe_u32 v93, v43, 8, 8
	s_wait_loadcnt 0x7
	v_lshrrev_b32_e32 v76, 24, v45
	v_bfe_u32 v75, v45, 8, 8
	v_and_b32_e32 v94, 0xff, v45
	v_cvt_f32_fp8_e32 v74, v74
	v_lshlrev_b32_e32 v67, 16, v19
	v_cvt_f32_fp8_e32 v93, v93
	v_bfe_u32 v45, v45, 16, 8
	v_cvt_f32_fp8_e32 v76, v76
	s_wait_kmcnt 0x0
	v_mul_f32_e32 v74, s68, v74
	v_and_b32_e32 v92, 0xff, v43
	v_lshrrev_b32_e32 v43, 24, v43
	v_dual_mul_f32 v76, s68, v76 :: v_dual_lshlrev_b32 v63, 16, v18
	v_dual_mul_f32 v93, s68, v93 :: v_dual_and_b32 v18, 0xffff0000, v18
	s_delay_alu instid0(VALU_DEP_3)
	v_cvt_f32_fp8_e32 v43, v43
	v_and_b32_e32 v68, 0xffff0000, v17
	v_cvt_f32_fp8_e32 v92, v92
	v_lshlrev_b32_e32 v65, 16, v17
	s_wait_loadcnt 0x6
	v_bfe_u32 v77, v46, 16, 8
	v_mul_f32_e32 v43, s68, v43
	v_and_b32_e32 v91, 0xff, v42
	s_wait_loadcnt 0x5
	v_bfe_u32 v78, v48, 8, 8
	v_lshrrev_b32_e32 v79, 24, v48
	s_wait_loadcnt 0x4
	v_bfe_u32 v80, v49, 16, 8
	s_wait_loadcnt 0x3
	v_bfe_u32 v83, v50, 16, 8
	v_cvt_f32_fp8_e32 v91, v91
	v_lshlrev_b32_e32 v66, 16, v20
	s_wait_loadcnt 0x2
	v_bfe_u32 v84, v44, 16, 8
	v_lshrrev_b32_e32 v85, 24, v44
	s_wait_loadcnt 0x1
	v_bfe_u32 v87, v51, 8, 8
	v_mul_f32_e32 v91, s68, v91
	s_wait_loadcnt 0x0
	v_and_b32_e32 v89, 0xff, v47
	v_bfe_u32 v90, v47, 8, 8
	v_and_b32_e32 v95, 0xff, v46
	v_bfe_u32 v96, v46, 8, 8
	v_bfe_u32 v100, v91, 16, 1
	v_or_b32_e32 v101, 0x400000, v91
	v_cmp_u_f32_e64 s4, v91, v91
	v_lshrrev_b32_e32 v46, 24, v46
	v_and_b32_e32 v97, 0xff, v48
	v_add3_u32 v100, v100, v91, 0x7fff
	v_bfe_u32 v48, v48, 16, 8
	v_bfe_u32 v99, v49, 8, 8
	v_cvt_f32_fp8_e32 v45, v45
	v_mul_f32_e32 v92, s68, v92
	s_wait_alu 0xf1ff
	v_cndmask_b32_e64 v100, v100, v101, s4
	v_and_b32_e32 v101, 0xff, v44
	v_and_b32_e32 v98, 0xff, v49
	v_bfe_u32 v44, v44, 8, 8
	v_dual_mul_f32 v45, s68, v45 :: v_dual_and_b32 v70, 0xffff0000, v19
	s_delay_alu instid0(VALU_DEP_4)
	v_cvt_f32_fp8_e32 v101, v101
	v_and_b32_e32 v86, 0xff, v51
	v_cvt_f32_fp8_e32 v73, v73
	v_lshlrev_b32_e32 v62, 16, v15
	v_cvt_f32_fp8_e32 v75, v75
	v_lshlrev_b32_e32 v60, 16, v9
	;; [unrolled: 2-line block ×7, first 2 shown]
	v_cvt_f32_fp8_e32 v94, v94
	v_and_b32_e32 v19, 0xffff0000, v15
	v_cvt_f32_fp8_e32 v46, v46
	v_and_b32_e32 v15, 0xffff0000, v11
	v_cvt_f32_fp8_e32 v97, v97
	v_cvt_f32_fp8_e32 v48, v48
	v_lshlrev_b32_e32 v53, 16, v6
	v_cvt_f32_fp8_e32 v98, v98
	v_and_b32_e32 v11, 0xffff0000, v5
	v_cvt_f32_fp8_e32 v99, v99
	v_cvt_f32_fp8_e32 v84, v84
	v_and_b32_e32 v17, 0xffff0000, v14
	v_dual_mul_f32 v97, s68, v97 :: v_dual_and_b32 v14, 0xffff0000, v16
	s_delay_alu instid0(VALU_DEP_4)
	v_dual_mul_f32 v99, s68, v99 :: v_dual_and_b32 v16, 0xffff0000, v9
	v_cvt_f32_fp8_e32 v85, v85
	v_cvt_f32_fp8_e32 v87, v87
	v_cvt_f32_fp8_e32 v89, v89
	v_cvt_f32_fp8_e32 v90, v90
	v_lshlrev_b32_e32 v71, 16, v3
	v_cvt_f32_fp8_e32 v44, v44
	v_and_b32_e32 v9, 0xffff0000, v6
	v_dual_mul_f32 v85, s68, v85 :: v_dual_lshlrev_b32 v6, 16, v2
	v_mul_f32_e32 v101, s68, v101
	v_cvt_f32_fp8_e32 v86, v86
	v_and_b32_e32 v5, 0xffff0000, v8
	v_dual_mul_f32 v87, s68, v87 :: v_dual_lshlrev_b32 v8, 16, v1
	v_and_b32_e32 v1, 0xffff0000, v2
	v_dual_mul_f32 v89, s68, v89 :: v_dual_and_b32 v2, 0xffff0000, v3
	v_bfe_u32 v3, v42, 8, 8
	v_bfe_u32 v42, v42, 16, 8
	v_and_b32_e32 v81, 0xff, v50
	v_bfe_u32 v82, v50, 8, 8
	v_lshrrev_b32_e32 v50, 24, v50
	v_cvt_f32_fp8_e32 v3, v3
	v_cvt_f32_fp8_e32 v42, v42
	v_lshlrev_b32_e32 v64, 16, v13
	v_and_b32_e32 v69, 0xffff0000, v20
	v_bfe_u32 v102, v92, 16, 1
	s_delay_alu instid0(VALU_DEP_4)
	v_dual_mul_f32 v3, s68, v3 :: v_dual_mul_f32 v42, s68, v42
	v_cvt_f32_fp8_e32 v50, v50
	v_cvt_f32_fp8_e32 v81, v81
	v_lshlrev_b32_e32 v54, 16, v7
	v_and_b32_e32 v7, 0xffff0000, v7
	v_mul_f32_e32 v73, s68, v73
	v_or_b32_e32 v103, 0x400000, v92
	v_bfe_u32 v104, v3, 16, 1
	v_bfe_u32 v106, v42, 16, 1
	v_add3_u32 v102, v102, v92, 0x7fff
	v_cmp_u_f32_e64 s5, v92, v92
	v_mul_f32_e32 v50, s68, v50
	v_or_b32_e32 v105, 0x400000, v3
	v_bfe_u32 v107, v73, 16, 1
	v_or_b32_e32 v108, 0x400000, v42
	v_bfe_u32 v110, v93, 16, 1
	v_add3_u32 v104, v104, v3, 0x7fff
	v_cmp_u_f32_e64 s6, v3, v3
	v_add3_u32 v106, v106, v42, 0x7fff
	v_cmp_u_f32_e64 s8, v42, v42
	s_wait_alu 0xf1ff
	v_cndmask_b32_e64 v102, v102, v103, s5
	v_bfe_u32 v103, v50, 16, 1
	v_dual_mul_f32 v75, s68, v75 :: v_dual_mul_f32 v94, s68, v94
	v_or_b32_e32 v109, 0x400000, v73
	v_bfe_u32 v111, v74, 16, 1
	v_or_b32_e32 v112, 0x400000, v93
	v_bfe_u32 v115, v43, 16, 1
	v_add3_u32 v107, v107, v73, 0x7fff
	v_cmp_u_f32_e64 s7, v73, v73
	v_add3_u32 v110, v110, v93, 0x7fff
	v_cmp_u_f32_e64 s10, v93, v93
	v_mul_f32_e32 v44, s68, v44
	v_cndmask_b32_e64 v104, v104, v105, s6
	v_bfe_u32 v105, v101, 16, 1
	v_cndmask_b32_e64 v106, v106, v108, s8
	v_or_b32_e32 v108, 0x400000, v50
	v_add3_u32 v103, v103, v50, 0x7fff
	v_cmp_u_f32_e64 s4, v50, v50
	v_cvt_f32_fp8_e32 v95, v95
	v_cvt_f32_fp8_e32 v96, v96
	v_or_b32_e32 v113, 0x400000, v74
	v_bfe_u32 v114, v75, 16, 1
	v_bfe_u32 v116, v94, 16, 1
	v_or_b32_e32 v117, 0x400000, v43
	v_add3_u32 v111, v111, v74, 0x7fff
	v_cmp_u_f32_e64 s9, v74, v74
	v_add3_u32 v115, v115, v43, 0x7fff
	v_cmp_u_f32_e64 s12, v43, v43
	v_mul_f32_e32 v84, s68, v84
	s_wait_alu 0xf1ff
	v_cndmask_b32_e64 v107, v107, v109, s7
	v_bfe_u32 v109, v44, 16, 1
	v_cndmask_b32_e64 v110, v110, v112, s10
	v_or_b32_e32 v112, 0x400000, v101
	v_add3_u32 v105, v105, v101, 0x7fff
	v_cndmask_b32_e64 v50, v103, v108, s4
	v_cmp_u_f32_e64 s4, v101, v101
	v_dual_mul_f32 v96, s68, v96 :: v_dual_lshlrev_b32 v57, 16, v10
	v_dual_mul_f32 v95, s68, v95 :: v_dual_and_b32 v20, 0xffff0000, v13
	v_or_b32_e32 v118, 0x400000, v94
	v_or_b32_e32 v119, 0x400000, v75
	v_bfe_u32 v120, v45, 16, 1
	v_bfe_u32 v121, v76, 16, 1
	v_add3_u32 v114, v114, v75, 0x7fff
	v_cmp_u_f32_e64 s11, v75, v75
	v_add3_u32 v116, v116, v94, 0x7fff
	v_cmp_u_f32_e64 s13, v94, v94
	v_cndmask_b32_e64 v111, v111, v113, s9
	v_bfe_u32 v113, v84, 16, 1
	v_cndmask_b32_e64 v115, v115, v117, s12
	v_or_b32_e32 v117, 0x400000, v44
	v_add3_u32 v109, v109, v44, 0x7fff
	s_wait_alu 0xf1ff
	v_cndmask_b32_e64 v101, v105, v112, s4
	v_cmp_u_f32_e64 s4, v44, v44
	v_bfe_u32 v88, v51, 16, 8
	v_lshrrev_b32_e32 v49, 24, v49
	v_dual_mul_f32 v77, s68, v77 :: v_dual_mul_f32 v46, s68, v46
	v_or_b32_e32 v122, 0x400000, v45
	v_or_b32_e32 v123, 0x400000, v76
	v_bfe_u32 v125, v95, 16, 1
	v_bfe_u32 v126, v96, 16, 1
	v_add3_u32 v121, v121, v76, 0x7fff
	v_cmp_u_f32_e64 s14, v76, v76
	v_add3_u32 v120, v120, v45, 0x7fff
	v_cmp_u_f32_e64 s15, v45, v45
	v_mul_f32_e32 v86, s68, v86
	v_cndmask_b32_e64 v116, v116, v118, s13
	v_bfe_u32 v118, v85, 16, 1
	v_cndmask_b32_e64 v114, v114, v119, s11
	v_or_b32_e32 v119, 0x400000, v84
	v_add3_u32 v113, v113, v84, 0x7fff
	s_wait_alu 0xf1ff
	v_cndmask_b32_e64 v44, v109, v117, s4
	v_cmp_u_f32_e64 s4, v84, v84
	v_lshrrev_b32_e32 v51, 24, v51
	v_cvt_f32_fp8_e32 v49, v49
	v_mul_f32_e32 v78, s68, v78
	v_bfe_u32 v124, v77, 16, 1
	v_or_b32_e32 v127, 0x400000, v95
	v_or_b32_e32 v91, 0x400000, v96
	v_bfe_u32 v73, v46, 16, 1
	v_add3_u32 v125, v125, v95, 0x7fff
	v_cmp_u_f32_e64 s17, v95, v95
	v_add3_u32 v126, v126, v96, 0x7fff
	v_cmp_u_f32_e64 s18, v96, v96
	v_cvt_f32_fp8_e32 v88, v88
	v_cndmask_b32_e64 v120, v120, v122, s15
	v_bfe_u32 v122, v86, 16, 1
	v_cndmask_b32_e64 v121, v121, v123, s14
	v_or_b32_e32 v123, 0x400000, v85
	v_add3_u32 v118, v118, v85, 0x7fff
	s_wait_alu 0xf1ff
	v_cndmask_b32_e64 v84, v113, v119, s4
	v_cmp_u_f32_e64 s4, v85, v85
	v_dual_mul_f32 v88, s68, v88 :: v_dual_and_b32 v13, 0xffff0000, v10
	v_dual_mul_f32 v49, s68, v49 :: v_dual_and_b32 v10, 0xffff0000, v12
	v_cvt_f32_fp8_e32 v82, v82
	v_dual_mul_f32 v79, s68, v79 :: v_dual_mul_f32 v80, s68, v80
	v_mul_f32_e32 v48, s68, v48
	v_mul_f32_e32 v98, s68, v98
	v_or_b32_e32 v92, 0x400000, v77
	v_bfe_u32 v3, v78, 16, 1
	v_bfe_u32 v42, v97, 16, 1
	v_or_b32_e32 v74, 0x400000, v46
	v_add3_u32 v124, v124, v77, 0x7fff
	v_cmp_u_f32_e64 s16, v77, v77
	v_add3_u32 v73, v73, v46, 0x7fff
	v_cmp_u_f32_e64 s20, v46, v46
	v_cvt_f32_fp8_e32 v51, v51
	v_cndmask_b32_e64 v125, v125, v127, s17
	v_bfe_u32 v127, v87, 16, 1
	v_cndmask_b32_e64 v91, v126, v91, s18
	v_or_b32_e32 v126, 0x400000, v86
	v_add3_u32 v122, v122, v86, 0x7fff
	s_wait_alu 0xf1ff
	v_cndmask_b32_e64 v85, v118, v123, s4
	v_cmp_u_f32_e64 s4, v86, v86
	v_dual_mul_f32 v82, s68, v82 :: v_dual_lshlrev_b32 v55, 16, v12
	v_dual_mul_f32 v51, s68, v51 :: v_dual_lshlrev_b32 v12, 16, v4
	v_mul_f32_e32 v81, s68, v81
	v_mul_f32_e32 v83, s68, v83
	v_or_b32_e32 v93, 0x400000, v97
	v_or_b32_e32 v75, 0x400000, v78
	v_bfe_u32 v43, v48, 16, 1
	v_bfe_u32 v94, v79, 16, 1
	;; [unrolled: 1-line block ×4, first 2 shown]
	v_add3_u32 v3, v3, v78, 0x7fff
	v_cmp_u_f32_e64 s19, v78, v78
	v_add3_u32 v42, v42, v97, 0x7fff
	v_cmp_u_f32_e64 s21, v97, v97
	v_bfe_u32 v97, v49, 16, 1
	v_cndmask_b32_e64 v92, v124, v92, s16
	v_bfe_u32 v124, v88, 16, 1
	v_cndmask_b32_e64 v73, v73, v74, s20
	v_or_b32_e32 v74, 0x400000, v87
	v_add3_u32 v127, v127, v87, 0x7fff
	s_wait_alu 0xf1ff
	v_cndmask_b32_e64 v86, v122, v126, s4
	v_cmp_u_f32_e64 s4, v87, v87
	v_or_b32_e32 v76, 0x400000, v48
	v_or_b32_e32 v45, 0x400000, v79
	v_bfe_u32 v96, v99, 16, 1
	v_or_b32_e32 v78, 0x400000, v98
	v_add3_u32 v94, v94, v79, 0x7fff
	v_cmp_u_f32_e64 s22, v79, v79
	v_or_b32_e32 v79, 0x400000, v80
	v_add3_u32 v43, v43, v48, 0x7fff
	v_cmp_u_f32_e64 s23, v48, v48
	v_bfe_u32 v48, v81, 16, 1
	v_add3_u32 v77, v77, v98, 0x7fff
	v_cmp_u_f32_e64 s24, v98, v98
	v_or_b32_e32 v98, 0x400000, v49
	v_add3_u32 v95, v95, v80, 0x7fff
	v_cmp_u_f32_e64 s25, v80, v80
	v_bfe_u32 v80, v82, 16, 1
	v_add3_u32 v97, v97, v49, 0x7fff
	v_cmp_u_f32_e64 s27, v49, v49
	v_bfe_u32 v49, v83, 16, 1
	v_cndmask_b32_e64 v42, v42, v93, s21
	v_bfe_u32 v93, v51, 16, 1
	v_cndmask_b32_e64 v3, v3, v75, s19
	v_or_b32_e32 v75, 0x400000, v88
	v_add3_u32 v124, v124, v88, 0x7fff
	s_wait_alu 0xf1ff
	v_cndmask_b32_e64 v74, v127, v74, s4
	v_cmp_u_f32_e64 s4, v88, v88
	v_or_b32_e32 v46, 0x400000, v99
	v_add3_u32 v96, v96, v99, 0x7fff
	v_cmp_u_f32_e64 s26, v99, v99
	v_or_b32_e32 v99, 0x400000, v81
	v_add3_u32 v48, v48, v81, 0x7fff
	;; [unrolled: 3-line block ×4, first 2 shown]
	v_cmp_u_f32_e64 s30, v83, v83
	v_bfe_u32 v83, v47, 16, 8
	v_mul_f32_e32 v90, s68, v90
	v_cndmask_b32_e64 v43, v43, v76, s23
	v_bfe_u32 v76, v89, 16, 1
	v_cndmask_b32_e64 v45, v94, v45, s22
	v_or_b32_e32 v94, 0x400000, v51
	v_add3_u32 v93, v93, v51, 0x7fff
	s_wait_alu 0xf1ff
	v_cndmask_b32_e64 v75, v124, v75, s4
	v_cmp_u_f32_e64 s4, v51, v51
	v_lshrrev_b32_e32 v47, 24, v47
	v_cvt_f32_fp8_e32 v83, v83
	v_cndmask_b32_e64 v77, v77, v78, s24
	v_bfe_u32 v78, v90, 16, 1
	v_cndmask_b32_e64 v46, v96, v46, s26
	v_or_b32_e32 v96, 0x400000, v89
	v_add3_u32 v76, v76, v89, 0x7fff
	s_wait_alu 0xf1ff
	v_cndmask_b32_e64 v51, v93, v94, s4
	v_cmp_u_f32_e64 s4, v89, v89
	v_and_b32_e32 v88, 0xffff0000, v111
	v_cvt_f32_fp8_e32 v47, v47
	v_mul_f32_e32 v83, s68, v83
	v_cndmask_b32_e64 v97, v97, v98, s27
	v_or_b32_e32 v98, 0x400000, v90
	v_add3_u32 v78, v78, v90, 0x7fff
	s_wait_alu 0xf1ff
	v_cndmask_b32_e64 v76, v76, v96, s4
	v_cmp_u_f32_e64 s4, v90, v90
	v_and_b32_e32 v44, 0xffff0000, v44
	v_and_b32_e32 v77, 0xffff0000, v77
	;; [unrolled: 1-line block ×3, first 2 shown]
	v_dual_mul_f32 v66, v66, v88 :: v_dual_mul_f32 v47, s68, v47
	v_cndmask_b32_e64 v79, v95, v79, s25
	v_bfe_u32 v95, v83, 16, 1
	s_wait_alu 0xf1ff
	v_cndmask_b32_e64 v78, v78, v98, s4
	v_and_b32_e32 v101, 0xffff0000, v101
	v_and_b32_e32 v98, 0xffff0000, v120
	v_fmac_f32_e32 v66, v63, v90
	v_cndmask_b32_e64 v48, v48, v99, s28
	v_bfe_u32 v99, v47, 16, 1
	v_cndmask_b32_e64 v80, v80, v81, s29
	v_or_b32_e32 v81, 0x400000, v83
	v_add3_u32 v95, v95, v83, 0x7fff
	v_cmp_u_f32_e64 s4, v83, v83
	v_dual_fmac_f32 v66, v61, v98 :: v_dual_and_b32 v83, 0xffff0000, v100
	v_and_b32_e32 v92, 0xffff0000, v92
	v_cndmask_b32_e64 v49, v49, v82, s30
	v_or_b32_e32 v82, 0x400000, v47
	v_add3_u32 v99, v99, v47, 0x7fff
	s_wait_alu 0xf1ff
	v_cndmask_b32_e64 v81, v95, v81, s4
	v_cmp_u_f32_e64 s4, v47, v47
	v_dual_fmac_f32 v66, v59, v92 :: v_dual_and_b32 v93, 0xffff0000, v107
	v_and_b32_e32 v46, 0xffff0000, v46
	v_and_b32_e32 v73, 0xffff0000, v73
	;; [unrolled: 1-line block ×6, first 2 shown]
	s_wait_alu 0xf1ff
	v_cndmask_b32_e64 v47, v99, v82, s4
	v_dual_mul_f32 v70, v70, v87 :: v_dual_and_b32 v99, 0xffff0000, v121
	v_and_b32_e32 v48, 0xffff0000, v48
	v_dual_fmac_f32 v66, v57, v43 :: v_dual_and_b32 v89, 0xffff0000, v104
	v_and_b32_e32 v96, 0xffff0000, v114
	v_and_b32_e32 v50, 0xffff0000, v50
	v_and_b32_e32 v97, 0xffff0000, v97
	s_delay_alu instid0(VALU_DEP_4) | instskip(SKIP_3) | instid1(VALU_DEP_4)
	v_dual_fmac_f32 v70, v68, v89 :: v_dual_and_b32 v79, 0xffff0000, v79
	v_and_b32_e32 v45, 0xffff0000, v45
	v_and_b32_e32 v42, 0xffff0000, v42
	v_cmp_gt_i32_e64 s4, 32, v40
	v_fmac_f32_e32 v66, v55, v79
	v_dual_fmac_f32 v70, v20, v96 :: v_dual_and_b32 v3, 0xffff0000, v3
	v_and_b32_e32 v20, 0xffff0000, v86
	v_and_b32_e32 v100, 0xffff0000, v125
	s_delay_alu instid0(VALU_DEP_3) | instskip(NEXT) | instid1(VALU_DEP_1)
	v_dual_fmac_f32 v70, v19, v91 :: v_dual_and_b32 v95, 0xffff0000, v116
	v_fmac_f32_e32 v70, v16, v3
	v_and_b32_e32 v82, 0xffff0000, v102
	s_delay_alu instid0(VALU_DEP_2) | instskip(NEXT) | instid1(VALU_DEP_2)
	v_fmac_f32_e32 v70, v15, v46
	v_dual_mul_f32 v67, v67, v82 :: v_dual_and_b32 v82, 0xffff0000, v84
	v_and_b32_e32 v49, 0xffff0000, v49
	s_delay_alu instid0(VALU_DEP_3) | instskip(NEXT) | instid1(VALU_DEP_3)
	v_dual_fmac_f32 v70, v11, v80 :: v_dual_and_b32 v3, 0xffff0000, v75
	v_fmac_f32_e32 v67, v65, v83
	s_delay_alu instid0(VALU_DEP_3) | instskip(NEXT) | instid1(VALU_DEP_2)
	v_fmac_f32_e32 v66, v53, v49
	v_dual_fmac_f32 v70, v7, v44 :: v_dual_fmac_f32 v67, v64, v95
	s_delay_alu instid0(VALU_DEP_2) | instskip(NEXT) | instid1(VALU_DEP_2)
	v_dual_fmac_f32 v66, v52, v82 :: v_dual_and_b32 v65, 0xffff0000, v85
	v_dual_fmac_f32 v67, v62, v100 :: v_dual_and_b32 v94, 0xffff0000, v115
	s_delay_alu instid0(VALU_DEP_1) | instskip(NEXT) | instid1(VALU_DEP_1)
	v_dual_fmac_f32 v66, v6, v3 :: v_dual_fmac_f32 v67, v60, v42
	v_dual_mul_f32 v68, v69, v94 :: v_dual_fmac_f32 v67, v58, v77
	s_delay_alu instid0(VALU_DEP_1) | instskip(NEXT) | instid1(VALU_DEP_2)
	v_fmac_f32_e32 v68, v18, v93
	v_dual_fmac_f32 v67, v56, v48 :: v_dual_and_b32 v18, 0xffff0000, v74
	s_delay_alu instid0(VALU_DEP_2) | instskip(NEXT) | instid1(VALU_DEP_2)
	v_fmac_f32_e32 v68, v17, v99
	v_dual_fmac_f32 v70, v72, v18 :: v_dual_fmac_f32 v67, v54, v101
	s_delay_alu instid0(VALU_DEP_2) | instskip(NEXT) | instid1(VALU_DEP_2)
	v_fmac_f32_e32 v68, v14, v73
	v_dual_fmac_f32 v67, v8, v20 :: v_dual_and_b32 v14, 0xffff0000, v51
	s_delay_alu instid0(VALU_DEP_2) | instskip(SKIP_1) | instid1(VALU_DEP_2)
	v_fmac_f32_e32 v68, v13, v45
	v_and_b32_e32 v8, 0xffff0000, v81
	v_dual_fmac_f32 v68, v10, v97 :: v_dual_and_b32 v7, 0xffff0000, v78
	s_delay_alu instid0(VALU_DEP_2) | instskip(NEXT) | instid1(VALU_DEP_2)
	v_fmac_f32_e32 v66, v12, v8
	v_fmac_f32_e32 v70, v2, v7
	v_and_b32_e32 v2, 0xffff0000, v4
	s_wait_alu 0xf1ff
	v_cndmask_b32_e64 v4, v32, v40, s4
	v_dual_fmac_f32 v68, v9, v50 :: v_dual_and_b32 v11, 0xffff0000, v76
	s_delay_alu instid0(VALU_DEP_1) | instskip(NEXT) | instid1(VALU_DEP_1)
	v_dual_fmac_f32 v68, v5, v65 :: v_dual_fmac_f32 v67, v71, v11
	v_dual_fmac_f32 v68, v1, v14 :: v_dual_and_b32 v1, 0xffff0000, v47
	s_delay_alu instid0(VALU_DEP_1) | instskip(NEXT) | instid1(VALU_DEP_1)
	v_dual_add_f32 v3, v67, v70 :: v_dual_fmac_f32 v68, v2, v1
	v_dual_add_f32 v1, v3, v66 :: v_dual_lshlrev_b32 v2, 2, v4
	s_delay_alu instid0(VALU_DEP_1)
	v_add_f32_e32 v1, v68, v1
	ds_bpermute_b32 v2, v2, v1
	s_and_saveexec_b32 s5, s3
	s_cbranch_execz .LBB333_11
; %bb.19:                               ;   in Loop: Header=BB333_13 Depth=1
	s_wait_dscnt 0x0
	v_add_f32_e32 v1, v1, v2
	v_add_nc_u32_e32 v3, v37, v36
	s_delay_alu instid0(VALU_DEP_1) | instskip(NEXT) | instid1(VALU_DEP_1)
	v_cvt_f32_i32_e32 v3, v3
	v_mul_f32_e32 v3, s60, v3
	s_delay_alu instid0(VALU_DEP_1) | instskip(NEXT) | instid1(VALU_DEP_1)
	v_dual_cndmask_b32 v2, 0, v3 :: v_dual_max_num_f32 v3, v34, v34
	v_dual_fmac_f32 v2, s31, v1 :: v_dual_add_nc_u32 v1, v33, v36
	s_delay_alu instid0(VALU_DEP_1) | instskip(NEXT) | instid1(VALU_DEP_2)
	v_max_num_f32_e32 v3, v3, v2
	v_cmp_gt_i32_e64 s4, s54, v1
	s_wait_alu 0xf1ff
	s_delay_alu instid0(VALU_DEP_1) | instskip(NEXT) | instid1(VALU_DEP_3)
	v_cndmask_b32_e64 v1, 0, v2, s4
	v_cndmask_b32_e64 v34, v34, v3, s4
	ds_store_b32 v38, v1
	s_branch .LBB333_11
.LBB333_20:
	s_or_b32 exec_lo, exec_lo, s65
.LBB333_21:
	s_delay_alu instid0(SALU_CYCLE_1)
	s_or_b32 exec_lo, exec_lo, s62
	v_xor_b32_e32 v1, 16, v32
	s_wait_dscnt 0x0
	v_xor_b32_e32 v2, 8, v32
	v_max_num_f32_e32 v5, v34, v34
	s_clause 0x2
	s_load_b128 s[4:7], s[0:1], 0x0
	s_load_b64 s[8:9], s[0:1], 0x10
	s_load_b64 s[12:13], s[0:1], 0x28
	v_and_b32_e32 v15, 31, v0
	v_cmp_gt_i32_e32 vcc_lo, 32, v1
	v_lshlrev_b32_e32 v7, 2, v27
	s_wait_alu 0xfffd
	v_cndmask_b32_e32 v1, v32, v1, vcc_lo
	v_cmp_gt_i32_e32 vcc_lo, 32, v2
	s_wait_alu 0xfffd
	v_cndmask_b32_e32 v2, v32, v2, vcc_lo
	s_delay_alu instid0(VALU_DEP_1) | instskip(SKIP_4) | instid1(VALU_DEP_1)
	v_lshlrev_b32_e32 v4, 2, v2
	v_lshlrev_b32_e32 v3, 2, v1
	ds_bpermute_b32 v1, v3, v34
	s_wait_dscnt 0x0
	v_max_num_f32_e32 v1, v1, v1
	v_max_num_f32_e32 v1, v5, v1
	v_xor_b32_e32 v5, 4, v32
	ds_bpermute_b32 v2, v4, v1
	v_cmp_gt_i32_e32 vcc_lo, 32, v5
	s_wait_dscnt 0x0
	s_wait_alu 0xfffd
	v_dual_cndmask_b32 v5, v32, v5 :: v_dual_max_num_f32 v2, v2, v2
	s_delay_alu instid0(VALU_DEP_1) | instskip(SKIP_1) | instid1(VALU_DEP_3)
	v_lshlrev_b32_e32 v6, 2, v5
	v_xor_b32_e32 v5, 2, v32
	v_max_num_f32_e32 v1, v1, v2
	s_delay_alu instid0(VALU_DEP_2)
	v_cmp_gt_i32_e32 vcc_lo, 32, v5
	ds_bpermute_b32 v2, v6, v1
	s_wait_alu 0xfffd
	v_cndmask_b32_e32 v5, v32, v5, vcc_lo
	v_cmp_eq_u32_e32 vcc_lo, 0, v15
	s_wait_dscnt 0x0
	v_max_num_f32_e32 v2, v2, v2
	s_delay_alu instid0(VALU_DEP_1)
	v_dual_max_num_f32 v1, v1, v2 :: v_dual_lshlrev_b32 v2, 2, v5
	ds_bpermute_b32 v5, v2, v1
	s_and_saveexec_b32 s0, vcc_lo
	s_cbranch_execz .LBB333_23
; %bb.22:
	s_wait_dscnt 0x0
	v_max_num_f32_e32 v5, v5, v5
	v_max_num_f32_e32 v1, v1, v1
	s_delay_alu instid0(VALU_DEP_1)
	v_max_num_f32_e32 v1, v1, v5
	ds_store_b32 v7, v1 offset:160
.LBB333_23:
	s_or_b32 exec_lo, exec_lo, s0
	v_cmp_gt_u32_e64 s0, 4, v15
	v_dual_mov_b32 v1, 0xff7fffff :: v_dual_lshlrev_b32 v8, 2, v15
	s_wait_loadcnt_dscnt 0x0
	s_barrier_signal -1
	s_barrier_wait -1
	global_inv scope:SCOPE_SE
	s_and_saveexec_b32 s1, s0
; %bb.24:
	ds_load_b32 v1, v8 offset:160
; %bb.25:
	s_or_b32 exec_lo, exec_lo, s1
	s_wait_dscnt 0x0
	ds_bpermute_b32 v5, v2, v1
	v_xor_b32_e32 v9, 1, v32
	v_max_num_f32_e32 v1, v1, v1
	s_delay_alu instid0(VALU_DEP_2) | instskip(NEXT) | instid1(VALU_DEP_1)
	v_cmp_gt_i32_e64 s1, 32, v9
	v_cndmask_b32_e64 v9, v32, v9, s1
	s_sub_co_i32 s1, s40, s61
	s_wait_alu 0xfffe
	s_lshl_b32 s1, s1, 4
	s_delay_alu instid0(VALU_DEP_1)
	v_dual_mov_b32 v9, 0 :: v_dual_lshlrev_b32 v16, 2, v9
	s_wait_alu 0xfffe
	s_add_co_i32 s1, s1, s58
	s_wait_alu 0xfffe
	s_min_i32 s1, s1, s54
	s_wait_dscnt 0x0
	v_max_num_f32_e32 v5, v5, v5
	s_wait_alu 0xfffe
	s_sub_co_i32 s10, s1, s58
	s_wait_alu 0xfffe
	v_cmp_gt_i32_e64 s1, s10, v0
	v_max_num_f32_e32 v1, v1, v5
	ds_bpermute_b32 v5, v16, v1
	s_wait_dscnt 0x0
	v_max_num_f32_e32 v5, v5, v5
	s_delay_alu instid0(VALU_DEP_1)
	v_max_num_f32_e32 v1, v1, v5
	v_lshl_add_u32 v5, v0, 2, 0xc0
	ds_bpermute_b32 v1, v9, v1
	s_and_saveexec_b32 s11, s1
	s_cbranch_execz .LBB333_29
; %bb.26:
	v_lshl_add_u32 v10, v0, 2, 0xc0
	v_mov_b32_e32 v9, 0
	v_mov_b32_e32 v11, v0
	s_mov_b32 s14, 0
.LBB333_27:                             ; =>This Inner Loop Header: Depth=1
	ds_load_b32 v12, v10
	v_add_nc_u32_e32 v11, 0x80, v11
	s_delay_alu instid0(VALU_DEP_1) | instskip(SKIP_4) | instid1(VALU_DEP_1)
	v_cmp_le_i32_e64 s3, s10, v11
	s_wait_alu 0xfffe
	s_or_b32 s14, s3, s14
	s_wait_dscnt 0x0
	v_sub_f32_e32 v12, v12, v1
	v_mul_f32_e32 v12, 0x3fb8aa3b, v12
	s_delay_alu instid0(VALU_DEP_1)
	v_exp_f32_e32 v12, v12
	ds_store_b32 v10, v12
	v_dual_add_f32 v9, v9, v12 :: v_dual_add_nc_u32 v10, 0x200, v10
	s_wait_alu 0xfffe
	s_and_not1_b32 exec_lo, exec_lo, s14
	s_cbranch_execnz .LBB333_27
; %bb.28:
	s_or_b32 exec_lo, exec_lo, s14
.LBB333_29:
	s_wait_alu 0xfffe
	s_or_b32 exec_lo, exec_lo, s11
	ds_bpermute_b32 v3, v3, v9
	s_wait_dscnt 0x0
	v_add_f32_e32 v3, v9, v3
	ds_bpermute_b32 v4, v4, v3
	s_wait_dscnt 0x0
	v_add_f32_e32 v3, v3, v4
	;; [unrolled: 3-line block ×5, first 2 shown]
	s_and_saveexec_b32 s3, vcc_lo
; %bb.30:
	ds_store_b32 v7, v3 offset:176
; %bb.31:
	s_wait_alu 0xfffe
	s_or_b32 exec_lo, exec_lo, s3
	s_wait_loadcnt_dscnt 0x0
	s_barrier_signal -1
	s_barrier_wait -1
	global_inv scope:SCOPE_SE
	s_and_saveexec_b32 s3, s0
; %bb.32:
	ds_load_b32 v3, v8 offset:176
; %bb.33:
	s_wait_alu 0xfffe
	s_or_b32 exec_lo, exec_lo, s3
	s_wait_dscnt 0x0
	ds_bpermute_b32 v2, v2, v3
	s_wait_dscnt 0x0
	v_add_f32_e32 v2, v3, v2
	ds_bpermute_b32 v3, v16, v2
	s_wait_dscnt 0x0
	v_dual_add_f32 v2, v2, v3 :: v_dual_mov_b32 v3, 0
	ds_bpermute_b32 v2, v3, v2
	s_and_saveexec_b32 s0, s1
	s_cbranch_execz .LBB333_36
; %bb.34:
	s_wait_dscnt 0x0
	v_add_f32_e32 v3, 0x358637bd, v2
	s_mov_b32 s1, 0
	s_delay_alu instid0(VALU_DEP_1) | instskip(SKIP_1) | instid1(VALU_DEP_2)
	v_div_scale_f32 v4, null, v3, v3, 1.0
	v_div_scale_f32 v8, vcc_lo, 1.0, v3, 1.0
	v_rcp_f32_e32 v6, v4
	s_delay_alu instid0(TRANS32_DEP_1) | instskip(NEXT) | instid1(VALU_DEP_1)
	v_fma_f32 v7, -v4, v6, 1.0
	v_fmac_f32_e32 v6, v7, v6
	s_delay_alu instid0(VALU_DEP_1) | instskip(NEXT) | instid1(VALU_DEP_1)
	v_mul_f32_e32 v7, v8, v6
	v_fma_f32 v9, -v4, v7, v8
	s_delay_alu instid0(VALU_DEP_1) | instskip(NEXT) | instid1(VALU_DEP_1)
	v_fmac_f32_e32 v7, v9, v6
	v_fma_f32 v4, -v4, v7, v8
	s_wait_alu 0xfffd
	s_delay_alu instid0(VALU_DEP_1) | instskip(NEXT) | instid1(VALU_DEP_1)
	v_div_fmas_f32 v4, v4, v6, v7
	v_div_fixup_f32 v3, v4, v3, 1.0
	v_mov_b32_e32 v4, v0
.LBB333_35:                             ; =>This Inner Loop Header: Depth=1
	ds_load_b32 v6, v5
	v_add_nc_u32_e32 v4, 0x80, v4
	s_delay_alu instid0(VALU_DEP_1)
	v_cmp_le_i32_e32 vcc_lo, s10, v4
	s_wait_alu 0xfffe
	s_or_b32 s1, vcc_lo, s1
	s_wait_dscnt 0x0
	v_mul_f32_e32 v6, v3, v6
	ds_store_b32 v5, v6
	v_add_nc_u32_e32 v5, 0x200, v5
	s_wait_alu 0xfffe
	s_and_not1_b32 exec_lo, exec_lo, s1
	s_cbranch_execnz .LBB333_35
.LBB333_36:
	s_wait_alu 0xfffe
	s_or_b32 exec_lo, exec_lo, s0
	s_mul_i32 s0, s35, s56
	s_wait_loadcnt_dscnt 0x0
	s_wait_alu 0xfffe
	s_mul_i32 s10, s0, s57
	s_mov_b32 s0, exec_lo
	s_barrier_signal -1
	s_barrier_wait -1
	global_inv scope:SCOPE_SE
	v_cmpx_eq_u32_e32 0, v0
	s_cbranch_execz .LBB333_38
; %bb.37:
	s_wait_alu 0xfffe
	s_ashr_i32 s11, s10, 31
	s_mul_i32 s14, s35, ttmp9
	s_lshl_b32 s1, s33, 2
	s_wait_alu 0xfffe
	s_lshl_b64 s[16:17], s[10:11], 2
	s_ashr_i32 s15, s14, 31
	v_mov_b32_e32 v3, s1
	s_wait_kmcnt 0x0
	s_wait_alu 0xfffe
	s_add_nc_u64 s[6:7], s[6:7], s[16:17]
	s_lshl_b64 s[14:15], s[14:15], 2
	s_add_nc_u64 s[4:5], s[4:5], s[16:17]
	s_wait_alu 0xfffe
	s_add_nc_u64 s[6:7], s[6:7], s[14:15]
	s_add_nc_u64 s[4:5], s[4:5], s[14:15]
	s_clause 0x1
	global_store_b32 v3, v1, s[6:7]
	global_store_b32 v3, v2, s[4:5]
.LBB333_38:
	s_wait_alu 0xfffe
	s_or_b32 exec_lo, exec_lo, s0
	v_dual_mov_b32 v21, 0 :: v_dual_mov_b32 v20, 0
	v_dual_mov_b32 v19, 0 :: v_dual_mov_b32 v18, 0
	v_mov_b32_e32 v17, 0
	s_and_saveexec_b32 s1, s2
	s_cbranch_execz .LBB333_54
; %bb.39:
	s_abs_i32 s2, s42
	v_dual_mov_b32 v18, 0 :: v_dual_lshlrev_b32 v3, 5, v26
	s_wait_alu 0xfffe
	s_cvt_f32_u32 s0, s2
	s_wait_kmcnt 0x0
	s_lshl_b64 s[6:7], s[52:53], 2
	v_dual_mov_b32 v19, 0 :: v_dual_and_b32 v2, 0xf8, v30
	s_wait_alu 0xfffe
	v_rcp_iflag_f32_e32 v1, s0
	s_ashr_i32 s47, s46, 31
	s_add_nc_u64 s[6:7], s[50:51], s[6:7]
	s_wait_alu 0xfffe
	s_add_nc_u64 s[12:13], s[12:13], s[46:47]
	v_add_co_u32 v9, s6, s6, v31
	s_sub_co_i32 s5, 0, s2
	v_add_co_ci_u32_e64 v10, null, s7, 0, s6
	s_wait_alu 0xfffe
	v_add_co_u32 v11, s6, s12, v2
	v_readfirstlane_b32 s0, v1
	v_lshl_or_b32 v1, v27, 6, v3
	v_dual_mov_b32 v17, 0 :: v_dual_and_b32 v22, 8, v30
	s_wait_alu 0xf1ff
	v_add_co_ci_u32_e64 v12, null, s13, 0, s6
	s_mul_f32 s0, s0, 0x4f7ffffe
	v_dual_mov_b32 v20, 0 :: v_dual_add_nc_u32 v23, 0xc0, v1
	v_mov_b32_e32 v21, 0
	s_wait_alu 0xfffe
	s_cvt_u32_f32 s0, s0
	s_sub_co_i32 s3, s59, s41
	s_mov_b32 s4, s45
	s_add_co_i32 s49, s49, -1
	s_wait_alu 0xfffe
	s_mul_i32 s5, s5, s0
	s_wait_alu 0xfffe
	s_mul_hi_u32 s6, s0, s5
	s_mov_b32 s5, 0
	s_wait_alu 0xfffe
	s_add_co_i32 s6, s0, s6
	s_branch .LBB333_42
.LBB333_40:                             ;   in Loop: Header=BB333_42 Depth=1
	s_wait_alu 0xfffe
	s_or_b32 exec_lo, exec_lo, s0
	s_wait_dscnt 0x1
	v_bfe_u32 v44, v5, 16, 1
	v_bfe_u32 v46, v6, 16, 1
	v_or_b32_e32 v47, 0x400000, v5
	v_cmp_u_f32_e32 vcc_lo, v5, v5
	v_or_b32_e32 v48, 0x400000, v6
	v_add3_u32 v44, v44, v5, 0x7fff
	v_bfe_u32 v49, v7, 16, 1
	v_add3_u32 v46, v46, v6, 0x7fff
	v_bfe_u32 v50, v8, 16, 1
	v_lshlrev_b32_e32 v53, 16, v53
	s_wait_alu 0xfffd
	v_cndmask_b32_e32 v5, v44, v47, vcc_lo
	v_cmp_u_f32_e32 vcc_lo, v6, v6
	v_add3_u32 v44, v49, v7, 0x7fff
	v_add3_u32 v47, v50, v8, 0x7fff
	s_wait_dscnt 0x0
	v_bfe_u32 v49, v1, 16, 1
	v_or_b32_e32 v50, 0x400000, v4
	s_wait_alu 0xfffd
	v_cndmask_b32_e32 v6, v46, v48, vcc_lo
	v_or_b32_e32 v46, 0x400000, v7
	v_cmp_u_f32_e32 vcc_lo, v7, v7
	v_or_b32_e32 v48, 0x400000, v8
	v_lshlrev_b32_e32 v45, 16, v45
	v_lshlrev_b32_e32 v58, 16, v58
	;; [unrolled: 1-line block ×3, first 2 shown]
	s_wait_alu 0xfffd
	v_cndmask_b32_e32 v7, v44, v46, vcc_lo
	v_cmp_u_f32_e32 vcc_lo, v8, v8
	v_bfe_u32 v44, v2, 16, 1
	v_add3_u32 v46, v49, v1, 0x7fff
	v_bfe_u32 v49, v3, 16, 1
	s_wait_alu 0xfffd
	v_dual_cndmask_b32 v8, v47, v48 :: v_dual_and_b32 v5, 0xffff0000, v5
	v_or_b32_e32 v47, 0x400000, v1
	v_cmp_u_f32_e32 vcc_lo, v1, v1
	v_add3_u32 v44, v44, v2, 0x7fff
	v_or_b32_e32 v48, 0x400000, v2
	v_and_b32_e32 v1, 0xffff0000, v6
	v_lshlrev_b32_e32 v55, 16, v55
	s_wait_alu 0xfffd
	v_cndmask_b32_e32 v46, v46, v47, vcc_lo
	v_cmp_u_f32_e32 vcc_lo, v2, v2
	v_add3_u32 v2, v49, v3, 0x7fff
	v_or_b32_e32 v49, 0x400000, v3
	v_bfe_u32 v47, v4, 16, 1
	s_wait_alu 0xfffd
	v_dual_mul_f32 v45, v1, v45 :: v_dual_cndmask_b32 v44, v44, v48
	v_cmp_u_f32_e32 vcc_lo, v3, v3
	v_lshlrev_b32_e32 v6, 16, v74
	v_lshlrev_b32_e32 v48, 16, v73
	v_add3_u32 v47, v47, v4, 0x7fff
	v_lshlrev_b32_e32 v43, 16, v43
	s_wait_alu 0xfffd
	v_dual_cndmask_b32 v49, v2, v49 :: v_dual_mul_f32 v6, v1, v6
	v_and_b32_e32 v2, 0xffff0000, v8
	v_lshlrev_b32_e32 v8, 16, v72
	v_cmp_u_f32_e32 vcc_lo, v4, v4
	v_mul_f32_e32 v43, v5, v43
	v_lshlrev_b32_e32 v41, 16, v41
	s_delay_alu instid0(VALU_DEP_4)
	v_dual_mul_f32 v52, v2, v8 :: v_dual_lshlrev_b32 v39, 16, v39
	v_and_b32_e32 v8, 0xffff0000, v7
	v_dual_mul_f32 v48, v5, v48 :: v_dual_lshlrev_b32 v7, 16, v71
	v_bfe_u32 v3, v6, 16, 1
	s_wait_alu 0xfffd
	v_cndmask_b32_e32 v4, v47, v50, vcc_lo
	v_or_b32_e32 v50, 0x400000, v6
	v_cmp_u_f32_e32 vcc_lo, v6, v6
	v_mul_f32_e32 v7, v8, v7
	v_bfe_u32 v47, v48, 16, 1
	v_add3_u32 v3, v3, v6, 0x7fff
	v_or_b32_e32 v51, 0x400000, v48
	v_and_b32_e32 v6, 0xffff0000, v46
	v_lshlrev_b32_e32 v46, 16, v69
	v_add3_u32 v47, v47, v48, 0x7fff
	s_wait_alu 0xfffd
	v_cndmask_b32_e32 v50, v3, v50, vcc_lo
	v_cmp_u_f32_e32 vcc_lo, v48, v48
	v_bfe_u32 v48, v52, 16, 1
	v_bfe_u32 v69, v7, 16, 1
	v_and_b32_e32 v3, 0xffff0000, v44
	s_wait_alu 0xfffd
	v_dual_cndmask_b32 v47, v47, v51 :: v_dual_lshlrev_b32 v44, 16, v70
	v_add3_u32 v48, v48, v52, 0x7fff
	v_or_b32_e32 v51, 0x400000, v52
	v_cmp_u_f32_e32 vcc_lo, v52, v52
	v_or_b32_e32 v52, 0x400000, v7
	v_and_b32_e32 v4, 0xffff0000, v4
	v_dual_mul_f32 v44, v3, v44 :: v_dual_and_b32 v47, 0xffff0000, v47
	s_wait_alu 0xfffd
	v_cndmask_b32_e32 v48, v48, v51, vcc_lo
	v_add3_u32 v51, v69, v7, 0x7fff
	v_cmp_u_f32_e32 vcc_lo, v7, v7
	v_and_b32_e32 v7, 0xffff0000, v49
	v_lshlrev_b32_e32 v68, 16, v68
	v_lshlrev_b32_e32 v49, 16, v67
	s_wait_alu 0xfffd
	v_dual_cndmask_b32 v51, v51, v52 :: v_dual_and_b32 v50, 0xffff0000, v50
	v_dual_mul_f32 v53, v7, v53 :: v_dual_and_b32 v48, 0xffff0000, v48
	s_delay_alu instid0(VALU_DEP_2) | instskip(NEXT) | instid1(VALU_DEP_3)
	v_dual_mul_f32 v68, v4, v68 :: v_dual_add_f32 v47, v47, v50
	v_and_b32_e32 v51, 0xffff0000, v51
	v_bfe_u32 v69, v44, 16, 1
	v_cmp_u_f32_e32 vcc_lo, v44, v44
	s_delay_alu instid0(VALU_DEP_4)
	v_bfe_u32 v71, v68, 16, 1
	v_mul_f32_e32 v49, v7, v49
	v_add_f32_e32 v48, v51, v48
	v_add3_u32 v52, v69, v44, 0x7fff
	v_or_b32_e32 v69, 0x400000, v44
	v_lshlrev_b32_e32 v50, 16, v64
	v_lshlrev_b32_e32 v51, 16, v62
	v_dual_add_f32 v47, v48, v47 :: v_dual_mul_f32 v46, v6, v46
	s_wait_alu 0xfffd
	v_cndmask_b32_e32 v44, v52, v69, vcc_lo
	v_add3_u32 v52, v71, v68, 0x7fff
	v_bfe_u32 v69, v49, 16, 1
	v_mul_f32_e32 v48, v1, v50
	v_bfe_u32 v70, v46, 16, 1
	v_or_b32_e32 v67, 0x400000, v46
	v_cmp_u_f32_e32 vcc_lo, v46, v46
	v_and_b32_e32 v44, 0xffff0000, v44
	v_mul_f32_e32 v50, v5, v51
	v_add3_u32 v70, v70, v46, 0x7fff
	v_bfe_u32 v51, v48, 16, 1
	v_mul_f32_e32 v41, v8, v41
	v_mul_f32_e32 v39, v6, v39
	s_wait_alu 0xfffd
	v_dual_cndmask_b32 v46, v70, v67 :: v_dual_lshlrev_b32 v37, 16, v37
	v_or_b32_e32 v67, 0x400000, v68
	v_cmp_u_f32_e32 vcc_lo, v68, v68
	v_or_b32_e32 v68, 0x400000, v49
	s_delay_alu instid0(VALU_DEP_4)
	v_dual_mul_f32 v37, v7, v37 :: v_dual_and_b32 v46, 0xffff0000, v46
	v_lshlrev_b32_e32 v35, 16, v35
	s_wait_alu 0xfffd
	v_cndmask_b32_e32 v52, v52, v67, vcc_lo
	v_add3_u32 v67, v69, v49, 0x7fff
	v_cmp_u_f32_e32 vcc_lo, v49, v49
	v_dual_add_f32 v44, v46, v44 :: v_dual_mul_f32 v35, v5, v35
	v_lshlrev_b32_e32 v33, 16, v33
	v_lshlrev_b32_e32 v36, 16, v36
	s_wait_alu 0xfffd
	s_delay_alu instid0(VALU_DEP_3) | instskip(SKIP_3) | instid1(VALU_DEP_4)
	v_dual_cndmask_b32 v49, v67, v68 :: v_dual_add_f32 v44, v44, v47
	v_bfe_u32 v47, v50, 16, 1
	v_cmp_u_f32_e32 vcc_lo, v48, v48
	v_mul_f32_e32 v33, v8, v33
	v_and_b32_e32 v46, 0xffff0000, v49
	v_and_b32_e32 v49, 0xffff0000, v52
	v_lshlrev_b32_e32 v52, 16, v60
	v_add3_u32 v47, v47, v50, 0x7fff
	v_or_b32_e32 v60, 0x400000, v50
	v_dual_mul_f32 v36, v1, v36 :: v_dual_lshlrev_b32 v31, 16, v31
	v_add_f32_e32 v46, v46, v49
	v_add3_u32 v49, v51, v48, 0x7fff
	v_or_b32_e32 v51, 0x400000, v48
	v_mul_f32_e32 v52, v2, v52
	v_dual_mul_f32 v31, v6, v31 :: v_dual_lshlrev_b32 v34, 16, v34
	s_wait_alu 0xfffd
	s_delay_alu instid0(VALU_DEP_3) | instskip(NEXT) | instid1(VALU_DEP_3)
	v_dual_cndmask_b32 v48, v49, v51 :: v_dual_lshlrev_b32 v13, 16, v13
	v_bfe_u32 v49, v52, 16, 1
	v_cmp_u_f32_e32 vcc_lo, v50, v50
	v_dual_mul_f32 v50, v8, v58 :: v_dual_lshlrev_b32 v51, 16, v56
	v_or_b32_e32 v56, 0x400000, v52
	s_delay_alu instid0(VALU_DEP_4)
	v_add3_u32 v49, v49, v52, 0x7fff
	s_wait_alu 0xfffd
	v_cndmask_b32_e32 v47, v47, v60, vcc_lo
	v_bfe_u32 v58, v50, 16, 1
	v_mul_f32_e32 v51, v3, v51
	v_cmp_u_f32_e32 vcc_lo, v52, v52
	v_mul_f32_e32 v52, v6, v55
	v_and_b32_e32 v47, 0xffff0000, v47
	v_add3_u32 v55, v58, v50, 0x7fff
	v_bfe_u32 v58, v51, 16, 1
	s_wait_alu 0xfffd
	v_cndmask_b32_e32 v49, v49, v56, vcc_lo
	v_or_b32_e32 v56, 0x400000, v50
	v_cmp_u_f32_e32 vcc_lo, v50, v50
	v_bfe_u32 v60, v52, 16, 1
	v_and_b32_e32 v48, 0xffff0000, v48
	v_dual_mul_f32 v34, v2, v34 :: v_dual_and_b32 v49, 0xffff0000, v49
	s_wait_alu 0xfffd
	v_cndmask_b32_e32 v50, v55, v56, vcc_lo
	v_add3_u32 v55, v58, v51, 0x7fff
	v_or_b32_e32 v56, 0x400000, v51
	v_cmp_u_f32_e32 vcc_lo, v51, v51
	v_add3_u32 v58, v60, v52, 0x7fff
	v_or_b32_e32 v60, 0x400000, v52
	v_dual_add_f32 v47, v47, v48 :: v_dual_and_b32 v50, 0xffff0000, v50
	s_wait_alu 0xfffd
	v_cndmask_b32_e32 v51, v55, v56, vcc_lo
	v_cmp_u_f32_e32 vcc_lo, v52, v52
	s_delay_alu instid0(VALU_DEP_3) | instskip(NEXT) | instid1(VALU_DEP_3)
	v_add_f32_e32 v48, v50, v49
	v_and_b32_e32 v50, 0xffff0000, v51
	s_wait_alu 0xfffd
	v_cndmask_b32_e32 v52, v58, v60, vcc_lo
	v_bfe_u32 v58, v53, 16, 1
	v_add_f32_e32 v47, v48, v47
	s_delay_alu instid0(VALU_DEP_3) | instskip(SKIP_1) | instid1(VALU_DEP_2)
	v_and_b32_e32 v49, 0xffff0000, v52
	v_or_b32_e32 v52, 0x400000, v43
	v_add_f32_e32 v48, v49, v50
	s_delay_alu instid0(VALU_DEP_1) | instskip(SKIP_1) | instid1(VALU_DEP_1)
	v_add_f32_e32 v47, v48, v47
	v_bfe_u32 v48, v43, 16, 1
	v_add3_u32 v48, v48, v43, 0x7fff
	v_lshlrev_b32_e32 v54, 16, v54
	s_delay_alu instid0(VALU_DEP_1) | instskip(NEXT) | instid1(VALU_DEP_1)
	v_mul_f32_e32 v54, v4, v54
	v_bfe_u32 v62, v54, 16, 1
	v_or_b32_e32 v56, 0x400000, v54
	v_cmp_u_f32_e32 vcc_lo, v54, v54
	s_delay_alu instid0(VALU_DEP_3) | instskip(SKIP_1) | instid1(VALU_DEP_1)
	v_add3_u32 v55, v62, v54, 0x7fff
	s_wait_alu 0xfffd
	v_cndmask_b32_e32 v54, v55, v56, vcc_lo
	v_add3_u32 v55, v58, v53, 0x7fff
	v_or_b32_e32 v56, 0x400000, v53
	v_cmp_u_f32_e32 vcc_lo, v53, v53
	s_wait_alu 0xfffd
	s_delay_alu instid0(VALU_DEP_2) | instskip(SKIP_1) | instid1(VALU_DEP_2)
	v_dual_cndmask_b32 v51, v55, v56 :: v_dual_and_b32 v50, 0xffff0000, v54
	v_cmp_u_f32_e32 vcc_lo, v45, v45
	v_and_b32_e32 v49, 0xffff0000, v51
	v_bfe_u32 v51, v45, 16, 1
	s_delay_alu instid0(VALU_DEP_2) | instskip(NEXT) | instid1(VALU_DEP_2)
	v_add_f32_e32 v49, v49, v50
	v_add3_u32 v50, v51, v45, 0x7fff
	v_or_b32_e32 v51, 0x400000, v45
	s_wait_alu 0xfffd
	s_delay_alu instid0(VALU_DEP_1) | instskip(SKIP_3) | instid1(VALU_DEP_4)
	v_cndmask_b32_e32 v45, v50, v51, vcc_lo
	v_cmp_u_f32_e32 vcc_lo, v43, v43
	v_mul_f32_e32 v42, v2, v42
	v_bfe_u32 v51, v41, 16, 1
	v_and_b32_e32 v45, 0xffff0000, v45
	s_wait_alu 0xfffd
	v_cndmask_b32_e32 v43, v48, v52, vcc_lo
	v_bfe_u32 v53, v42, 16, 1
	v_or_b32_e32 v50, 0x400000, v42
	v_cmp_u_f32_e32 vcc_lo, v42, v42
	v_bfe_u32 v52, v39, 16, 1
	v_and_b32_e32 v43, 0xffff0000, v43
	v_add3_u32 v48, v53, v42, 0x7fff
	s_delay_alu instid0(VALU_DEP_2)
	v_add_f32_e32 v43, v43, v45
	v_or_b32_e32 v45, 0x400000, v37
	v_lshlrev_b32_e32 v40, 16, v40
	s_wait_alu 0xfffd
	v_cndmask_b32_e32 v42, v48, v50, vcc_lo
	v_add3_u32 v48, v51, v41, 0x7fff
	v_or_b32_e32 v50, 0x400000, v41
	v_cmp_u_f32_e32 vcc_lo, v41, v41
	s_wait_alu 0xfffd
	s_delay_alu instid0(VALU_DEP_2) | instskip(NEXT) | instid1(VALU_DEP_1)
	v_dual_mul_f32 v40, v3, v40 :: v_dual_cndmask_b32 v41, v48, v50
	v_bfe_u32 v51, v40, 16, 1
	v_or_b32_e32 v50, 0x400000, v40
	v_cmp_u_f32_e32 vcc_lo, v40, v40
	s_delay_alu instid0(VALU_DEP_4) | instskip(NEXT) | instid1(VALU_DEP_4)
	v_and_b32_e32 v41, 0xffff0000, v41
	v_add3_u32 v48, v51, v40, 0x7fff
	v_add3_u32 v51, v52, v39, 0x7fff
	v_or_b32_e32 v52, 0x400000, v39
	v_and_b32_e32 v42, 0xffff0000, v42
	s_wait_alu 0xfffd
	v_cndmask_b32_e32 v40, v48, v50, vcc_lo
	v_cmp_u_f32_e32 vcc_lo, v39, v39
	s_delay_alu instid0(VALU_DEP_2) | instskip(SKIP_2) | instid1(VALU_DEP_2)
	v_dual_add_f32 v41, v41, v42 :: v_dual_and_b32 v40, 0xffff0000, v40
	s_wait_alu 0xfffd
	v_cndmask_b32_e32 v39, v51, v52, vcc_lo
	v_add_f32_e32 v41, v41, v43
	v_or_b32_e32 v43, 0x400000, v34
	s_delay_alu instid0(VALU_DEP_3) | instskip(NEXT) | instid1(VALU_DEP_1)
	v_and_b32_e32 v39, 0xffff0000, v39
	v_dual_add_f32 v39, v39, v40 :: v_dual_lshlrev_b32 v38, 16, v38
	v_bfe_u32 v40, v36, 16, 1
	s_delay_alu instid0(VALU_DEP_2) | instskip(NEXT) | instid1(VALU_DEP_2)
	v_dual_add_f32 v39, v39, v41 :: v_dual_mul_f32 v38, v4, v38
	v_add3_u32 v40, v40, v36, 0x7fff
	v_or_b32_e32 v41, 0x400000, v36
	v_lshlrev_b32_e32 v14, 16, v14
	s_delay_alu instid0(VALU_DEP_4) | instskip(SKIP_2) | instid1(VALU_DEP_3)
	v_bfe_u32 v53, v38, 16, 1
	v_or_b32_e32 v50, 0x400000, v38
	v_cmp_u_f32_e32 vcc_lo, v38, v38
	v_add3_u32 v48, v53, v38, 0x7fff
	s_wait_alu 0xfffd
	s_delay_alu instid0(VALU_DEP_1) | instskip(SKIP_2) | instid1(VALU_DEP_2)
	v_cndmask_b32_e32 v38, v48, v50, vcc_lo
	v_bfe_u32 v48, v37, 16, 1
	v_cmp_u_f32_e32 vcc_lo, v37, v37
	v_add3_u32 v42, v48, v37, 0x7fff
	s_wait_alu 0xfffd
	s_delay_alu instid0(VALU_DEP_1) | instskip(SKIP_2) | instid1(VALU_DEP_3)
	v_cndmask_b32_e32 v37, v42, v45, vcc_lo
	v_bfe_u32 v42, v35, 16, 1
	v_cmp_u_f32_e32 vcc_lo, v36, v36
	v_and_b32_e32 v37, 0xffff0000, v37
	s_wait_alu 0xfffd
	v_cndmask_b32_e32 v36, v40, v41, vcc_lo
	v_bfe_u32 v40, v34, 16, 1
	v_add3_u32 v41, v42, v35, 0x7fff
	v_or_b32_e32 v42, 0x400000, v35
	v_cmp_u_f32_e32 vcc_lo, v35, v35
	s_delay_alu instid0(VALU_DEP_4) | instskip(SKIP_1) | instid1(VALU_DEP_3)
	v_add3_u32 v40, v40, v34, 0x7fff
	s_wait_alu 0xfffd
	v_cndmask_b32_e32 v35, v41, v42, vcc_lo
	v_bfe_u32 v41, v33, 16, 1
	v_cmp_u_f32_e32 vcc_lo, v34, v34
	v_or_b32_e32 v42, 0x400000, v33
	s_delay_alu instid0(VALU_DEP_4) | instskip(NEXT) | instid1(VALU_DEP_4)
	v_and_b32_e32 v35, 0xffff0000, v35
	v_add3_u32 v41, v41, v33, 0x7fff
	s_wait_alu 0xfffd
	v_cndmask_b32_e32 v34, v40, v43, vcc_lo
	v_cmp_u_f32_e32 vcc_lo, v33, v33
	s_wait_alu 0xfffd
	v_cndmask_b32_e32 v33, v41, v42, vcc_lo
	v_bfe_u32 v41, v31, 16, 1
	v_and_b32_e32 v36, 0xffff0000, v36
	v_and_b32_e32 v38, 0xffff0000, v38
	s_delay_alu instid0(VALU_DEP_4) | instskip(SKIP_3) | instid1(VALU_DEP_2)
	v_and_b32_e32 v33, 0xffff0000, v33
	v_and_b32_e32 v34, 0xffff0000, v34
	v_lshlrev_b32_e32 v32, 16, v32
	v_add_f32_e32 v35, v35, v36
	v_dual_add_f32 v33, v33, v34 :: v_dual_mul_f32 v32, v3, v32
	v_lshlrev_b32_e32 v30, 16, v30
	v_lshlrev_b32_e32 v34, 16, v65
	s_delay_alu instid0(VALU_DEP_3) | instskip(NEXT) | instid1(VALU_DEP_4)
	v_dual_add_f32 v33, v33, v35 :: v_dual_lshlrev_b32 v24, 16, v24
	v_bfe_u32 v40, v32, 16, 1
	v_or_b32_e32 v43, 0x400000, v32
	v_cmp_u_f32_e32 vcc_lo, v32, v32
	v_mul_f32_e32 v1, v1, v34
	s_delay_alu instid0(VALU_DEP_4) | instskip(NEXT) | instid1(VALU_DEP_2)
	v_add3_u32 v40, v40, v32, 0x7fff
	v_bfe_u32 v36, v1, 16, 1
	s_wait_alu 0xfffd
	s_delay_alu instid0(VALU_DEP_2) | instskip(SKIP_4) | instid1(VALU_DEP_2)
	v_cndmask_b32_e32 v32, v40, v43, vcc_lo
	v_add3_u32 v40, v41, v31, 0x7fff
	v_or_b32_e32 v41, 0x400000, v31
	v_cmp_u_f32_e32 vcc_lo, v31, v31
	s_wait_alu 0xfffd
	v_cndmask_b32_e32 v31, v40, v41, vcc_lo
	v_mul_f32_e32 v30, v4, v30
	s_delay_alu instid0(VALU_DEP_2) | instskip(NEXT) | instid1(VALU_DEP_2)
	v_dual_mul_f32 v4, v4, v13 :: v_dual_and_b32 v31, 0xffff0000, v31
	v_bfe_u32 v42, v30, 16, 1
	v_or_b32_e32 v43, 0x400000, v30
	v_cmp_u_f32_e32 vcc_lo, v30, v30
	s_delay_alu instid0(VALU_DEP_3) | instskip(SKIP_1) | instid1(VALU_DEP_1)
	v_add3_u32 v42, v42, v30, 0x7fff
	s_wait_alu 0xfffd
	v_cndmask_b32_e32 v30, v42, v43, vcc_lo
	v_lshlrev_b32_e32 v42, 16, v66
	s_delay_alu instid0(VALU_DEP_1) | instskip(NEXT) | instid1(VALU_DEP_1)
	v_dual_mul_f32 v5, v5, v42 :: v_dual_and_b32 v32, 0xffff0000, v32
	v_bfe_u32 v35, v5, 16, 1
	s_delay_alu instid0(VALU_DEP_1) | instskip(SKIP_4) | instid1(VALU_DEP_3)
	v_add3_u32 v34, v35, v5, 0x7fff
	v_or_b32_e32 v35, 0x400000, v5
	v_mul_f32_e32 v24, v7, v24
	v_mul_f32_e32 v7, v7, v14
	v_add_f32_e32 v31, v31, v32
	v_bfe_u32 v40, v24, 16, 1
	v_or_b32_e32 v41, 0x400000, v24
	v_cmp_u_f32_e32 vcc_lo, v24, v24
	s_delay_alu instid0(VALU_DEP_3) | instskip(SKIP_1) | instid1(VALU_DEP_1)
	v_add3_u32 v40, v40, v24, 0x7fff
	s_wait_alu 0xfffd
	v_cndmask_b32_e32 v24, v40, v41, vcc_lo
	v_cmp_u_f32_e32 vcc_lo, v5, v5
	s_wait_alu 0xfffd
	v_cndmask_b32_e32 v5, v34, v35, vcc_lo
	v_add3_u32 v34, v36, v1, 0x7fff
	v_or_b32_e32 v35, 0x400000, v1
	v_cmp_u_f32_e32 vcc_lo, v1, v1
	s_delay_alu instid0(VALU_DEP_4) | instskip(SKIP_1) | instid1(VALU_DEP_3)
	v_and_b32_e32 v5, 0xffff0000, v5
	s_wait_alu 0xfffd
	v_cndmask_b32_e32 v1, v34, v35, vcc_lo
	s_delay_alu instid0(VALU_DEP_1) | instskip(NEXT) | instid1(VALU_DEP_1)
	v_and_b32_e32 v1, 0xffff0000, v1
	v_dual_add_f32 v1, v5, v1 :: v_dual_lshlrev_b32 v32, 16, v63
	s_delay_alu instid0(VALU_DEP_1) | instskip(SKIP_1) | instid1(VALU_DEP_2)
	v_mul_f32_e32 v8, v8, v32
	v_lshlrev_b32_e32 v32, 16, v61
	v_bfe_u32 v36, v8, 16, 1
	s_delay_alu instid0(VALU_DEP_2)
	v_mul_f32_e32 v2, v2, v32
	v_lshlrev_b32_e32 v32, 16, v59
	v_or_b32_e32 v35, 0x400000, v8
	v_cmp_u_f32_e32 vcc_lo, v8, v8
	v_add3_u32 v34, v36, v8, 0x7fff
	v_bfe_u32 v36, v2, 16, 1
	v_mul_f32_e32 v6, v6, v32
	v_lshlrev_b32_e32 v32, 16, v57
	s_wait_alu 0xfffd
	v_cndmask_b32_e32 v8, v34, v35, vcc_lo
	v_add3_u32 v34, v36, v2, 0x7fff
	v_or_b32_e32 v35, 0x400000, v2
	v_bfe_u32 v36, v6, 16, 1
	v_mul_f32_e32 v3, v3, v32
	v_cmp_u_f32_e32 vcc_lo, v2, v2
	v_or_b32_e32 v13, 0x400000, v6
	v_and_b32_e32 v8, 0xffff0000, v8
	s_delay_alu instid0(VALU_DEP_4)
	v_bfe_u32 v32, v3, 16, 1
	s_wait_alu 0xfffd
	v_cndmask_b32_e32 v2, v34, v35, vcc_lo
	v_add3_u32 v34, v36, v6, 0x7fff
	v_cmp_u_f32_e32 vcc_lo, v6, v6
	v_bfe_u32 v36, v4, 16, 1
	v_add3_u32 v14, v32, v3, 0x7fff
	v_or_b32_e32 v32, 0x400000, v3
	v_bfe_u32 v35, v7, 16, 1
	s_wait_alu 0xfffd
	v_cndmask_b32_e32 v6, v34, v13, vcc_lo
	v_cmp_u_f32_e32 vcc_lo, v3, v3
	v_and_b32_e32 v2, 0xffff0000, v2
	v_or_b32_e32 v34, 0x400000, v7
	v_add3_u32 v13, v35, v7, 0x7fff
	v_and_b32_e32 v5, 0xffff0000, v6
	s_wait_alu 0xfffd
	v_cndmask_b32_e32 v3, v14, v32, vcc_lo
	v_add3_u32 v14, v36, v4, 0x7fff
	v_or_b32_e32 v32, 0x400000, v4
	v_cmp_u_f32_e32 vcc_lo, v4, v4
	s_delay_alu instid0(VALU_DEP_4)
	v_dual_add_f32 v2, v8, v2 :: v_dual_and_b32 v3, 0xffff0000, v3
	v_and_b32_e32 v24, 0xffff0000, v24
	s_wait_alu 0xfffd
	v_cndmask_b32_e32 v4, v14, v32, vcc_lo
	v_cmp_u_f32_e32 vcc_lo, v7, v7
	v_and_b32_e32 v7, 0xffff0000, v30
	v_dual_add_f32 v1, v2, v1 :: v_dual_add_f32 v2, v5, v3
	s_wait_alu 0xfffd
	v_dual_cndmask_b32 v6, v13, v34 :: v_dual_and_b32 v3, 0xffff0000, v4
	v_add_f32_e32 v5, v37, v38
	v_add_f32_e32 v7, v24, v7
	s_delay_alu instid0(VALU_DEP_3) | instskip(NEXT) | instid1(VALU_DEP_3)
	v_dual_add_f32 v1, v2, v1 :: v_dual_and_b32 v4, 0xffff0000, v6
	v_dual_add_f32 v6, v31, v33 :: v_dual_add_f32 v5, v5, v39
	s_delay_alu instid0(VALU_DEP_2) | instskip(SKIP_1) | instid1(VALU_DEP_3)
	v_dual_add_f32 v2, v4, v3 :: v_dual_add_f32 v3, v46, v44
	v_add_f32_e32 v4, v49, v47
	v_add_f32_e32 v6, v7, v6
	s_delay_alu instid0(VALU_DEP_4) | instskip(NEXT) | instid1(VALU_DEP_4)
	v_add_f32_e32 v20, v20, v5
	v_add_f32_e32 v1, v2, v1
	s_delay_alu instid0(VALU_DEP_4) | instskip(NEXT) | instid1(VALU_DEP_4)
	v_dual_add_f32 v18, v18, v3 :: v_dual_add_f32 v19, v19, v4
	v_add_f32_e32 v21, v21, v6
	s_delay_alu instid0(VALU_DEP_3)
	v_add_f32_e32 v17, v17, v1
.LBB333_41:                             ;   in Loop: Header=BB333_42 Depth=1
	s_wait_alu 0xfffe
	s_or_b32 exec_lo, exec_lo, s7
	v_add_nc_u32_e32 v29, 4, v29
	v_add_co_u32 v9, s0, v9, 16
	s_wait_alu 0xf1ff
	v_add_co_ci_u32_e64 v10, null, 0, v10, s0
	s_delay_alu instid0(VALU_DEP_3)
	v_cmp_le_i32_e32 vcc_lo, s40, v29
	v_add_nc_u32_e32 v28, 64, v28
	v_add_nc_u32_e32 v23, 0x100, v23
	s_or_b32 s5, vcc_lo, s5
	s_wait_alu 0xfffe
	s_and_not1_b32 exec_lo, exec_lo, s5
	s_cbranch_execz .LBB333_53
.LBB333_42:                             ; =>This Inner Loop Header: Depth=1
	v_sub_nc_u32_e32 v1, 0, v28
	s_delay_alu instid0(VALU_DEP_1) | instskip(NEXT) | instid1(VALU_DEP_1)
	v_max_i32_e32 v1, v28, v1
	v_mul_hi_u32 v2, v1, s48
	s_delay_alu instid0(VALU_DEP_1) | instskip(NEXT) | instid1(VALU_DEP_1)
	v_mul_lo_u32 v3, v2, s44
	v_sub_nc_u32_e32 v1, v1, v3
	v_add_nc_u32_e32 v3, 1, v2
	s_delay_alu instid0(VALU_DEP_2) | instskip(SKIP_2) | instid1(VALU_DEP_2)
	v_subrev_nc_u32_e32 v4, s44, v1
	v_cmp_le_u32_e32 vcc_lo, s44, v1
	s_wait_alu 0xfffd
	v_dual_cndmask_b32 v2, v2, v3 :: v_dual_cndmask_b32 v1, v1, v4
	v_ashrrev_i32_e32 v3, 31, v28
	s_delay_alu instid0(VALU_DEP_2) | instskip(NEXT) | instid1(VALU_DEP_3)
	v_add_nc_u32_e32 v4, 1, v2
	v_cmp_le_u32_e32 vcc_lo, s44, v1
	s_delay_alu instid0(VALU_DEP_3) | instskip(SKIP_1) | instid1(VALU_DEP_3)
	v_xor_b32_e32 v3, s43, v3
	s_wait_alu 0xfffd
	v_cndmask_b32_e32 v1, v2, v4, vcc_lo
	s_delay_alu instid0(VALU_DEP_1) | instskip(NEXT) | instid1(VALU_DEP_1)
	v_xor_b32_e32 v1, v1, v3
	v_sub_nc_u32_e32 v1, v1, v3
	s_delay_alu instid0(VALU_DEP_1) | instskip(SKIP_1) | instid1(VALU_DEP_2)
	v_add_nc_u32_e32 v2, s55, v1
	v_cmp_lt_i32_e64 s0, s3, v1
	v_sub_nc_u32_e32 v3, 0, v2
	s_delay_alu instid0(VALU_DEP_1) | instskip(SKIP_1) | instid1(VALU_DEP_1)
	v_max_i32_e32 v3, v2, v3
	s_wait_alu 0xfffe
	v_mul_hi_u32 v4, v3, s6
	s_delay_alu instid0(VALU_DEP_1) | instskip(NEXT) | instid1(VALU_DEP_1)
	v_mul_lo_u32 v4, v4, s2
	v_sub_nc_u32_e32 v3, v3, v4
	s_delay_alu instid0(VALU_DEP_1) | instskip(SKIP_2) | instid1(VALU_DEP_2)
	v_subrev_nc_u32_e32 v4, s2, v3
	v_cmp_le_u32_e32 vcc_lo, s2, v3
	s_wait_alu 0xfffd
	v_cndmask_b32_e32 v3, v3, v4, vcc_lo
	v_ashrrev_i32_e32 v2, 31, v2
	s_delay_alu instid0(VALU_DEP_2) | instskip(SKIP_2) | instid1(VALU_DEP_2)
	v_subrev_nc_u32_e32 v4, s2, v3
	v_cmp_le_u32_e32 vcc_lo, s2, v3
	s_wait_alu 0xfffd
	v_cndmask_b32_e32 v3, v3, v4, vcc_lo
	s_delay_alu instid0(VALU_DEP_1) | instskip(NEXT) | instid1(VALU_DEP_1)
	v_xor_b32_e32 v3, v3, v2
	v_sub_nc_u32_e32 v2, v3, v2
	s_delay_alu instid0(VALU_DEP_1)
	v_cmp_eq_u32_e32 vcc_lo, 0, v2
	s_or_b32 s0, vcc_lo, s0
	s_wait_alu 0xfffe
	s_and_saveexec_b32 s7, s0
	s_cbranch_execz .LBB333_41
; %bb.43:                               ;   in Loop: Header=BB333_42 Depth=1
	global_load_b32 v1, v[9:10], off
	v_cmp_eq_u32_e32 vcc_lo, s49, v29
	s_wait_loadcnt 0x0
	v_mad_co_i64_i32 v[13:14], null, v1, s4, v[11:12]
	global_load_b64 v[30:31], v[13:14], off
	ds_load_2addr_b64 v[5:8], v23 offset1:1
	ds_load_2addr_b64 v[1:4], v23 offset0:2 offset1:3
	s_load_b32 s11, s[38:39], 0x0
	s_wait_loadcnt 0x0
	v_and_b32_e32 v24, 0xff, v30
	v_bfe_u32 v32, v30, 8, 8
	v_bfe_u32 v33, v30, 16, 8
	v_lshrrev_b32_e32 v30, 24, v30
	v_and_b32_e32 v34, 0xff, v31
	v_cvt_f32_fp8_e32 v24, v24
	v_cvt_f32_fp8_e32 v32, v32
	;; [unrolled: 1-line block ×3, first 2 shown]
	v_add_nc_u32_e32 v44, v22, v28
	v_cvt_f32_fp8_e32 v30, v30
	s_wait_kmcnt 0x0
	v_mul_f32_e32 v24, s11, v24
	v_dual_mul_f32 v32, s11, v32 :: v_dual_mul_f32 v33, s11, v33
	s_delay_alu instid0(VALU_DEP_3) | instskip(NEXT) | instid1(VALU_DEP_3)
	v_dual_mul_f32 v30, s11, v30 :: v_dual_add_nc_u32 v51, 1, v44
	v_bfe_u32 v37, v24, 16, 1
	v_or_b32_e32 v38, 0x400000, v24
	s_delay_alu instid0(VALU_DEP_4)
	v_bfe_u32 v39, v32, 16, 1
	v_cmp_u_f32_e64 s0, v24, v24
	v_bfe_u32 v35, v31, 8, 8
	v_add3_u32 v37, v37, v24, 0x7fff
	v_cvt_f32_fp8_e32 v34, v34
	v_or_b32_e32 v40, 0x400000, v32
	v_bfe_u32 v41, v33, 16, 1
	v_add3_u32 v39, v39, v32, 0x7fff
	s_wait_alu 0xf1ff
	v_cndmask_b32_e64 v24, v37, v38, s0
	v_cmp_u_f32_e64 s0, v32, v32
	v_dual_mul_f32 v34, s11, v34 :: v_dual_add_nc_u32 v49, 3, v44
	v_bfe_u32 v36, v31, 16, 8
	v_cvt_f32_fp8_e32 v35, v35
	v_or_b32_e32 v42, 0x400000, v33
	v_bfe_u32 v43, v30, 16, 1
	v_add3_u32 v41, v41, v33, 0x7fff
	s_wait_alu 0xf1ff
	v_cndmask_b32_e64 v32, v39, v40, s0
	v_cmp_u_f32_e64 s0, v33, v33
	v_dual_mul_f32 v35, s11, v35 :: v_dual_add_nc_u32 v50, 2, v44
	v_lshrrev_b32_e32 v31, 24, v31
	v_cvt_f32_fp8_e32 v36, v36
	v_or_b32_e32 v45, 0x400000, v30
	v_bfe_u32 v52, v34, 16, 1
	v_add3_u32 v43, v43, v30, 0x7fff
	s_wait_alu 0xf1ff
	v_cndmask_b32_e64 v33, v41, v42, s0
	v_cmp_u_f32_e64 s0, v30, v30
	v_cvt_f32_fp8_e32 v31, v31
	v_mul_f32_e32 v36, s11, v36
	v_or_b32_e32 v53, 0x400000, v34
	v_bfe_u32 v54, v35, 16, 1
	v_add3_u32 v52, v52, v34, 0x7fff
	s_wait_alu 0xf1ff
	v_cndmask_b32_e64 v30, v43, v45, s0
	v_cmp_u_f32_e64 s0, v34, v34
	v_dual_mul_f32 v31, s11, v31 :: v_dual_add_nc_u32 v48, 4, v44
	v_or_b32_e32 v55, 0x400000, v35
	v_bfe_u32 v56, v36, 16, 1
	v_add3_u32 v54, v54, v35, 0x7fff
	s_wait_alu 0xf1ff
	v_cndmask_b32_e64 v37, v52, v53, s0
	v_cmp_u_f32_e64 s0, v35, v35
	v_or_b32_e32 v57, 0x400000, v36
	v_bfe_u32 v58, v31, 16, 1
	v_add3_u32 v56, v56, v36, 0x7fff
	v_or_b32_e32 v59, 0x400000, v31
	s_wait_alu 0xf1ff
	v_cndmask_b32_e64 v38, v54, v55, s0
	v_cmp_u_f32_e64 s0, v36, v36
	v_add3_u32 v58, v58, v31, 0x7fff
	v_add_nc_u32_e32 v47, 5, v44
	v_add_nc_u32_e32 v46, 6, v44
	v_lshrrev_b32_e32 v35, 16, v24
	s_wait_alu 0xf1ff
	v_cndmask_b32_e64 v39, v56, v57, s0
	v_cmp_u_f32_e64 s0, v31, v31
	v_lshrrev_b32_e32 v36, 16, v32
	v_lshrrev_b32_e32 v33, 16, v33
	;; [unrolled: 1-line block ×4, first 2 shown]
	s_wait_alu 0xf1ff
	v_cndmask_b32_e64 v40, v58, v59, s0
	v_lshrrev_b32_e32 v32, 16, v38
	v_lshrrev_b32_e32 v24, 16, v39
	v_add_nc_u32_e32 v52, 7, v44
	s_delay_alu instid0(VALU_DEP_4)
	v_lshrrev_b32_e32 v30, 16, v40
	s_and_saveexec_b32 s12, vcc_lo
	s_cbranch_execz .LBB333_45
; %bb.44:                               ;   in Loop: Header=BB333_42 Depth=1
	v_cmp_gt_i32_e64 s0, s54, v44
	s_wait_alu 0xf1ff
	s_delay_alu instid0(VALU_DEP_1) | instskip(SKIP_2) | instid1(VALU_DEP_1)
	v_cndmask_b32_e64 v35, 0, v35, s0
	v_cmp_gt_i32_e64 s0, s54, v51
	s_wait_alu 0xf1ff
	v_cndmask_b32_e64 v36, 0, v36, s0
	v_cmp_gt_i32_e64 s0, s54, v50
	s_wait_alu 0xf1ff
	s_delay_alu instid0(VALU_DEP_1) | instskip(SKIP_2) | instid1(VALU_DEP_1)
	v_cndmask_b32_e64 v33, 0, v33, s0
	v_cmp_gt_i32_e64 s0, s54, v49
	s_wait_alu 0xf1ff
	v_cndmask_b32_e64 v34, 0, v34, s0
	;; [unrolled: 7-line block ×4, first 2 shown]
.LBB333_45:                             ;   in Loop: Header=BB333_42 Depth=1
	s_wait_alu 0xfffe
	s_or_b32 exec_lo, exec_lo, s12
	global_load_b64 v[37:38], v[13:14], off offset:256
	s_wait_loadcnt 0x0
	v_bfe_u32 v40, v37, 8, 8
	v_bfe_u32 v41, v37, 16, 8
	;; [unrolled: 1-line block ×4, first 2 shown]
	s_delay_alu instid0(VALU_DEP_4)
	v_cvt_f32_fp8_e32 v40, v40
	v_and_b32_e32 v39, 0xff, v37
	v_lshrrev_b32_e32 v37, 24, v37
	v_cvt_f32_fp8_e32 v41, v41
	v_cvt_f32_fp8_e32 v43, v43
	v_mul_f32_e32 v40, s11, v40
	v_cvt_f32_fp8_e32 v39, v39
	v_and_b32_e32 v42, 0xff, v38
	v_lshrrev_b32_e32 v38, 24, v38
	v_cvt_f32_fp8_e32 v37, v37
	v_bfe_u32 v55, v40, 16, 1
	v_mul_f32_e32 v39, s11, v39
	v_cvt_f32_fp8_e32 v42, v42
	v_mul_f32_e32 v41, s11, v41
	v_cvt_f32_fp8_e32 v38, v38
	v_mul_f32_e32 v37, s11, v37
	v_bfe_u32 v53, v39, 16, 1
	v_or_b32_e32 v54, 0x400000, v39
	v_cmp_u_f32_e64 s0, v39, v39
	v_mul_f32_e32 v42, s11, v42
	v_or_b32_e32 v56, 0x400000, v40
	v_add3_u32 v53, v53, v39, 0x7fff
	v_bfe_u32 v57, v41, 16, 1
	v_add3_u32 v55, v55, v40, 0x7fff
	v_mul_f32_e32 v38, s11, v38
	v_or_b32_e32 v58, 0x400000, v41
	s_wait_alu 0xf1ff
	v_cndmask_b32_e64 v39, v53, v54, s0
	v_cmp_u_f32_e64 s0, v40, v40
	v_bfe_u32 v59, v37, 16, 1
	v_add3_u32 v57, v57, v41, 0x7fff
	v_cvt_f32_fp8_e32 v45, v45
	v_mul_f32_e32 v43, s11, v43
	s_wait_alu 0xf1ff
	v_cndmask_b32_e64 v40, v55, v56, s0
	v_cmp_u_f32_e64 s0, v41, v41
	v_or_b32_e32 v60, 0x400000, v37
	v_bfe_u32 v61, v42, 16, 1
	v_add3_u32 v59, v59, v37, 0x7fff
	v_mul_f32_e32 v45, s11, v45
	s_wait_alu 0xf1ff
	v_cndmask_b32_e64 v41, v57, v58, s0
	v_cmp_u_f32_e64 s0, v37, v37
	v_or_b32_e32 v62, 0x400000, v42
	v_bfe_u32 v63, v43, 16, 1
	v_add3_u32 v61, v61, v42, 0x7fff
	v_or_b32_e32 v64, 0x400000, v43
	s_wait_alu 0xf1ff
	v_cndmask_b32_e64 v37, v59, v60, s0
	v_cmp_u_f32_e64 s0, v42, v42
	v_bfe_u32 v65, v45, 16, 1
	v_add3_u32 v63, v63, v43, 0x7fff
	v_or_b32_e32 v66, 0x400000, v45
	v_bfe_u32 v67, v38, 16, 1
	s_wait_alu 0xf1ff
	v_cndmask_b32_e64 v53, v61, v62, s0
	v_cmp_u_f32_e64 s0, v43, v43
	v_add3_u32 v65, v65, v45, 0x7fff
	v_or_b32_e32 v68, 0x400000, v38
	v_add3_u32 v67, v67, v38, 0x7fff
	v_lshrrev_b32_e32 v43, 16, v39
	s_wait_alu 0xf1ff
	v_cndmask_b32_e64 v54, v63, v64, s0
	v_cmp_u_f32_e64 s0, v45, v45
	v_lshrrev_b32_e32 v45, 16, v40
	v_lshrrev_b32_e32 v41, 16, v41
	v_lshrrev_b32_e32 v42, 16, v37
	v_lshrrev_b32_e32 v39, 16, v53
	s_wait_alu 0xf1ff
	v_cndmask_b32_e64 v55, v65, v66, s0
	v_cmp_u_f32_e64 s0, v38, v38
	v_lshrrev_b32_e32 v40, 16, v54
	s_delay_alu instid0(VALU_DEP_3) | instskip(SKIP_1) | instid1(VALU_DEP_3)
	v_lshrrev_b32_e32 v37, 16, v55
	s_wait_alu 0xf1ff
	v_cndmask_b32_e64 v38, v67, v68, s0
	s_delay_alu instid0(VALU_DEP_1)
	v_lshrrev_b32_e32 v38, 16, v38
	s_and_saveexec_b32 s12, vcc_lo
	s_cbranch_execz .LBB333_47
; %bb.46:                               ;   in Loop: Header=BB333_42 Depth=1
	v_cmp_gt_i32_e64 s0, s54, v44
	s_wait_alu 0xf1ff
	s_delay_alu instid0(VALU_DEP_1) | instskip(SKIP_2) | instid1(VALU_DEP_1)
	v_cndmask_b32_e64 v43, 0, v43, s0
	v_cmp_gt_i32_e64 s0, s54, v51
	s_wait_alu 0xf1ff
	v_cndmask_b32_e64 v45, 0, v45, s0
	v_cmp_gt_i32_e64 s0, s54, v50
	s_wait_alu 0xf1ff
	s_delay_alu instid0(VALU_DEP_1) | instskip(SKIP_2) | instid1(VALU_DEP_1)
	v_cndmask_b32_e64 v41, 0, v41, s0
	v_cmp_gt_i32_e64 s0, s54, v49
	s_wait_alu 0xf1ff
	v_cndmask_b32_e64 v42, 0, v42, s0
	;; [unrolled: 7-line block ×4, first 2 shown]
.LBB333_47:                             ;   in Loop: Header=BB333_42 Depth=1
	s_wait_alu 0xfffe
	s_or_b32 exec_lo, exec_lo, s12
	global_load_b64 v[53:54], v[13:14], off offset:512
	s_wait_loadcnt 0x0
	v_bfe_u32 v56, v53, 8, 8
	v_bfe_u32 v57, v53, 16, 8
	;; [unrolled: 1-line block ×4, first 2 shown]
	s_delay_alu instid0(VALU_DEP_4)
	v_cvt_f32_fp8_e32 v56, v56
	v_and_b32_e32 v55, 0xff, v53
	v_lshrrev_b32_e32 v53, 24, v53
	v_cvt_f32_fp8_e32 v57, v57
	v_cvt_f32_fp8_e32 v60, v60
	v_mul_f32_e32 v56, s11, v56
	v_cvt_f32_fp8_e32 v55, v55
	v_and_b32_e32 v58, 0xff, v54
	v_cvt_f32_fp8_e32 v53, v53
	v_lshrrev_b32_e32 v54, 24, v54
	v_bfe_u32 v63, v56, 16, 1
	v_mul_f32_e32 v55, s11, v55
	v_cvt_f32_fp8_e32 v58, v58
	v_mul_f32_e32 v57, s11, v57
	v_dual_mul_f32 v53, s11, v53 :: v_dual_mul_f32 v60, s11, v60
	s_delay_alu instid0(VALU_DEP_4)
	v_bfe_u32 v61, v55, 16, 1
	v_or_b32_e32 v62, 0x400000, v55
	v_cmp_u_f32_e64 s0, v55, v55
	v_mul_f32_e32 v58, s11, v58
	v_or_b32_e32 v64, 0x400000, v56
	v_add3_u32 v61, v61, v55, 0x7fff
	v_bfe_u32 v65, v57, 16, 1
	v_add3_u32 v63, v63, v56, 0x7fff
	v_cvt_f32_fp8_e32 v59, v59
	v_or_b32_e32 v66, 0x400000, v57
	s_wait_alu 0xf1ff
	v_cndmask_b32_e64 v55, v61, v62, s0
	v_cmp_u_f32_e64 s0, v56, v56
	v_bfe_u32 v67, v53, 16, 1
	v_add3_u32 v65, v65, v57, 0x7fff
	v_cvt_f32_fp8_e32 v54, v54
	v_mul_f32_e32 v59, s11, v59
	s_wait_alu 0xf1ff
	v_cndmask_b32_e64 v56, v63, v64, s0
	v_cmp_u_f32_e64 s0, v57, v57
	v_or_b32_e32 v68, 0x400000, v53
	v_bfe_u32 v69, v58, 16, 1
	v_add3_u32 v67, v67, v53, 0x7fff
	v_mul_f32_e32 v54, s11, v54
	s_wait_alu 0xf1ff
	v_cndmask_b32_e64 v57, v65, v66, s0
	v_cmp_u_f32_e64 s0, v53, v53
	v_or_b32_e32 v70, 0x400000, v58
	v_bfe_u32 v71, v59, 16, 1
	v_add3_u32 v69, v69, v58, 0x7fff
	v_or_b32_e32 v72, 0x400000, v59
	s_wait_alu 0xf1ff
	v_cndmask_b32_e64 v53, v67, v68, s0
	v_cmp_u_f32_e64 s0, v58, v58
	v_bfe_u32 v73, v60, 16, 1
	v_add3_u32 v71, v71, v59, 0x7fff
	v_or_b32_e32 v74, 0x400000, v60
	v_bfe_u32 v75, v54, 16, 1
	s_wait_alu 0xf1ff
	v_cndmask_b32_e64 v61, v69, v70, s0
	v_cmp_u_f32_e64 s0, v59, v59
	v_add3_u32 v73, v73, v60, 0x7fff
	v_or_b32_e32 v76, 0x400000, v54
	v_add3_u32 v75, v75, v54, 0x7fff
	v_lshrrev_b32_e32 v62, 16, v55
	s_wait_alu 0xf1ff
	v_cndmask_b32_e64 v59, v71, v72, s0
	v_cmp_u_f32_e64 s0, v60, v60
	v_lshrrev_b32_e32 v64, 16, v56
	v_lshrrev_b32_e32 v58, 16, v57
	;; [unrolled: 1-line block ×4, first 2 shown]
	s_wait_alu 0xf1ff
	v_cndmask_b32_e64 v63, v73, v74, s0
	v_cmp_u_f32_e64 s0, v54, v54
	v_lshrrev_b32_e32 v56, 16, v59
	s_delay_alu instid0(VALU_DEP_3) | instskip(SKIP_1) | instid1(VALU_DEP_3)
	v_lshrrev_b32_e32 v53, 16, v63
	s_wait_alu 0xf1ff
	v_cndmask_b32_e64 v54, v75, v76, s0
	s_delay_alu instid0(VALU_DEP_1)
	v_lshrrev_b32_e32 v54, 16, v54
	s_and_saveexec_b32 s12, vcc_lo
	s_cbranch_execz .LBB333_49
; %bb.48:                               ;   in Loop: Header=BB333_42 Depth=1
	v_cmp_gt_i32_e64 s0, s54, v44
	s_wait_alu 0xf1ff
	s_delay_alu instid0(VALU_DEP_1) | instskip(SKIP_2) | instid1(VALU_DEP_1)
	v_cndmask_b32_e64 v62, 0, v62, s0
	v_cmp_gt_i32_e64 s0, s54, v51
	s_wait_alu 0xf1ff
	v_cndmask_b32_e64 v64, 0, v64, s0
	v_cmp_gt_i32_e64 s0, s54, v50
	s_wait_alu 0xf1ff
	s_delay_alu instid0(VALU_DEP_1) | instskip(SKIP_2) | instid1(VALU_DEP_1)
	v_cndmask_b32_e64 v58, 0, v58, s0
	v_cmp_gt_i32_e64 s0, s54, v49
	s_wait_alu 0xf1ff
	v_cndmask_b32_e64 v60, 0, v60, s0
	;; [unrolled: 7-line block ×4, first 2 shown]
.LBB333_49:                             ;   in Loop: Header=BB333_42 Depth=1
	s_wait_alu 0xfffe
	s_or_b32 exec_lo, exec_lo, s12
	global_load_b64 v[65:66], v[13:14], off offset:768
	s_wait_loadcnt 0x0
	v_bfe_u32 v68, v66, 16, 8
	v_bfe_u32 v59, v65, 8, 8
	;; [unrolled: 1-line block ×3, first 2 shown]
	v_lshrrev_b32_e32 v63, 24, v65
	v_bfe_u32 v67, v66, 8, 8
	v_cvt_f32_fp8_e32 v68, v68
	v_and_b32_e32 v57, 0xff, v65
	v_and_b32_e32 v65, 0xff, v66
	v_lshrrev_b32_e32 v66, 24, v66
	v_cvt_f32_fp8_e32 v59, v59
	v_mul_f32_e32 v68, s11, v68
	v_cvt_f32_fp8_e32 v57, v57
	v_cvt_f32_fp8_e32 v61, v61
	v_cvt_f32_fp8_e32 v66, v66
	v_mul_f32_e32 v59, s11, v59
	v_cvt_f32_fp8_e32 v63, v63
	v_mul_f32_e32 v57, s11, v57
	s_delay_alu instid0(VALU_DEP_4) | instskip(NEXT) | instid1(VALU_DEP_4)
	v_dual_mul_f32 v61, s11, v61 :: v_dual_mul_f32 v66, s11, v66
	v_bfe_u32 v71, v59, 16, 1
	v_cvt_f32_fp8_e32 v65, v65
	s_delay_alu instid0(VALU_DEP_4)
	v_bfe_u32 v69, v57, 16, 1
	v_or_b32_e32 v70, 0x400000, v57
	v_cmp_u_f32_e64 s0, v57, v57
	v_mul_f32_e32 v63, s11, v63
	v_or_b32_e32 v72, 0x400000, v59
	v_add3_u32 v69, v69, v57, 0x7fff
	v_bfe_u32 v73, v61, 16, 1
	v_add3_u32 v71, v71, v59, 0x7fff
	v_cvt_f32_fp8_e32 v67, v67
	v_mul_f32_e32 v65, s11, v65
	s_wait_alu 0xf1ff
	v_cndmask_b32_e64 v57, v69, v70, s0
	v_cmp_u_f32_e64 s0, v59, v59
	v_or_b32_e32 v74, 0x400000, v61
	v_bfe_u32 v75, v63, 16, 1
	v_add3_u32 v73, v73, v61, 0x7fff
	v_mul_f32_e32 v67, s11, v67
	s_wait_alu 0xf1ff
	v_cndmask_b32_e64 v59, v71, v72, s0
	v_cmp_u_f32_e64 s0, v61, v61
	v_or_b32_e32 v76, 0x400000, v63
	v_bfe_u32 v77, v65, 16, 1
	v_add3_u32 v75, v75, v63, 0x7fff
	v_or_b32_e32 v78, 0x400000, v65
	s_wait_alu 0xf1ff
	v_cndmask_b32_e64 v61, v73, v74, s0
	v_cmp_u_f32_e64 s0, v63, v63
	v_bfe_u32 v79, v67, 16, 1
	v_add3_u32 v77, v77, v65, 0x7fff
	v_or_b32_e32 v80, 0x400000, v67
	v_bfe_u32 v81, v68, 16, 1
	s_wait_alu 0xf1ff
	v_cndmask_b32_e64 v63, v75, v76, s0
	v_cmp_u_f32_e64 s0, v65, v65
	v_add3_u32 v79, v79, v67, 0x7fff
	v_or_b32_e32 v82, 0x400000, v68
	v_bfe_u32 v83, v66, 16, 1
	v_add3_u32 v81, v81, v68, 0x7fff
	s_wait_alu 0xf1ff
	v_cndmask_b32_e64 v65, v77, v78, s0
	v_cmp_u_f32_e64 s0, v67, v67
	v_or_b32_e32 v84, 0x400000, v66
	v_add3_u32 v83, v83, v66, 0x7fff
	v_lshrrev_b32_e32 v73, 16, v57
	v_lshrrev_b32_e32 v74, 16, v59
	s_wait_alu 0xf1ff
	v_cndmask_b32_e64 v67, v79, v80, s0
	v_cmp_u_f32_e64 s0, v68, v68
	v_lshrrev_b32_e32 v71, 16, v61
	v_lshrrev_b32_e32 v72, 16, v63
	;; [unrolled: 1-line block ×4, first 2 shown]
	s_wait_alu 0xf1ff
	v_cndmask_b32_e64 v68, v81, v82, s0
	v_cmp_u_f32_e64 s0, v66, v66
	s_delay_alu instid0(VALU_DEP_2) | instskip(SKIP_1) | instid1(VALU_DEP_2)
	v_lshrrev_b32_e32 v67, 16, v68
	s_wait_alu 0xf1ff
	v_cndmask_b32_e64 v66, v83, v84, s0
	s_delay_alu instid0(VALU_DEP_1)
	v_lshrrev_b32_e32 v68, 16, v66
	s_and_saveexec_b32 s12, vcc_lo
	s_cbranch_execz .LBB333_51
; %bb.50:                               ;   in Loop: Header=BB333_42 Depth=1
	v_cmp_gt_i32_e64 s0, s54, v44
	s_wait_alu 0xf1ff
	s_delay_alu instid0(VALU_DEP_1) | instskip(SKIP_2) | instid1(VALU_DEP_1)
	v_cndmask_b32_e64 v73, 0, v73, s0
	v_cmp_gt_i32_e64 s0, s54, v51
	s_wait_alu 0xf1ff
	v_cndmask_b32_e64 v74, 0, v74, s0
	v_cmp_gt_i32_e64 s0, s54, v50
	s_wait_alu 0xf1ff
	s_delay_alu instid0(VALU_DEP_1) | instskip(SKIP_2) | instid1(VALU_DEP_1)
	v_cndmask_b32_e64 v71, 0, v71, s0
	v_cmp_gt_i32_e64 s0, s54, v49
	s_wait_alu 0xf1ff
	v_cndmask_b32_e64 v72, 0, v72, s0
	;; [unrolled: 7-line block ×4, first 2 shown]
.LBB333_51:                             ;   in Loop: Header=BB333_42 Depth=1
	s_wait_alu 0xfffe
	s_or_b32 exec_lo, exec_lo, s12
	global_load_b64 v[13:14], v[13:14], off offset:1024
	s_wait_loadcnt 0x0
	v_bfe_u32 v66, v14, 16, 8
	v_bfe_u32 v59, v13, 8, 8
	v_and_b32_e32 v63, 0xff, v14
	v_bfe_u32 v65, v14, 8, 8
	v_lshrrev_b32_e32 v14, 24, v14
	v_cvt_f32_fp8_e32 v66, v66
	v_and_b32_e32 v57, 0xff, v13
	v_bfe_u32 v61, v13, 16, 8
	v_cvt_f32_fp8_e32 v59, v59
	v_cvt_f32_fp8_e32 v14, v14
	v_mul_f32_e32 v66, s11, v66
	v_cvt_f32_fp8_e32 v57, v57
	v_lshrrev_b32_e32 v13, 24, v13
	v_cvt_f32_fp8_e32 v61, v61
	v_dual_mul_f32 v59, s11, v59 :: v_dual_mul_f32 v14, s11, v14
	s_delay_alu instid0(VALU_DEP_4) | instskip(NEXT) | instid1(VALU_DEP_4)
	v_mul_f32_e32 v57, s11, v57
	v_cvt_f32_fp8_e32 v13, v13
	s_delay_alu instid0(VALU_DEP_4) | instskip(NEXT) | instid1(VALU_DEP_4)
	v_mul_f32_e32 v61, s11, v61
	v_bfe_u32 v77, v59, 16, 1
	v_cvt_f32_fp8_e32 v63, v63
	v_bfe_u32 v75, v57, 16, 1
	v_or_b32_e32 v76, 0x400000, v57
	v_cmp_u_f32_e64 s0, v57, v57
	v_mul_f32_e32 v13, s11, v13
	v_or_b32_e32 v78, 0x400000, v59
	v_add3_u32 v75, v75, v57, 0x7fff
	v_bfe_u32 v79, v61, 16, 1
	v_add3_u32 v77, v77, v59, 0x7fff
	v_cvt_f32_fp8_e32 v65, v65
	v_mul_f32_e32 v63, s11, v63
	s_wait_alu 0xf1ff
	v_cndmask_b32_e64 v57, v75, v76, s0
	v_cmp_u_f32_e64 s0, v59, v59
	v_or_b32_e32 v80, 0x400000, v61
	v_bfe_u32 v81, v13, 16, 1
	v_add3_u32 v79, v79, v61, 0x7fff
	v_mul_f32_e32 v65, s11, v65
	s_wait_alu 0xf1ff
	v_cndmask_b32_e64 v59, v77, v78, s0
	v_cmp_u_f32_e64 s0, v61, v61
	v_or_b32_e32 v82, 0x400000, v13
	v_bfe_u32 v83, v63, 16, 1
	v_add3_u32 v81, v81, v13, 0x7fff
	v_or_b32_e32 v84, 0x400000, v63
	s_wait_alu 0xf1ff
	v_cndmask_b32_e64 v61, v79, v80, s0
	v_cmp_u_f32_e64 s0, v13, v13
	v_bfe_u32 v85, v65, 16, 1
	v_add3_u32 v83, v83, v63, 0x7fff
	v_or_b32_e32 v86, 0x400000, v65
	v_bfe_u32 v87, v66, 16, 1
	s_wait_alu 0xf1ff
	v_cndmask_b32_e64 v13, v81, v82, s0
	v_cmp_u_f32_e64 s0, v63, v63
	v_add3_u32 v85, v85, v65, 0x7fff
	v_or_b32_e32 v88, 0x400000, v66
	v_bfe_u32 v89, v14, 16, 1
	v_add3_u32 v87, v87, v66, 0x7fff
	s_wait_alu 0xf1ff
	v_cndmask_b32_e64 v75, v83, v84, s0
	v_cmp_u_f32_e64 s0, v65, v65
	v_or_b32_e32 v90, 0x400000, v14
	v_add3_u32 v89, v89, v14, 0x7fff
	v_lshrrev_b32_e32 v65, 16, v59
	v_lshrrev_b32_e32 v63, 16, v61
	s_wait_alu 0xf1ff
	v_cndmask_b32_e64 v76, v85, v86, s0
	v_cmp_u_f32_e64 s0, v66, v66
	v_lshrrev_b32_e32 v66, 16, v57
	v_lshrrev_b32_e32 v61, 16, v13
	;; [unrolled: 1-line block ×4, first 2 shown]
	s_wait_alu 0xf1ff
	v_cndmask_b32_e64 v77, v87, v88, s0
	v_cmp_u_f32_e64 s0, v14, v14
	s_delay_alu instid0(VALU_DEP_2) | instskip(SKIP_1) | instid1(VALU_DEP_2)
	v_lshrrev_b32_e32 v14, 16, v77
	s_wait_alu 0xf1ff
	v_cndmask_b32_e64 v78, v89, v90, s0
	s_delay_alu instid0(VALU_DEP_1)
	v_lshrrev_b32_e32 v13, 16, v78
	s_and_saveexec_b32 s0, vcc_lo
	s_cbranch_execz .LBB333_40
; %bb.52:                               ;   in Loop: Header=BB333_42 Depth=1
	v_cmp_gt_i32_e32 vcc_lo, s54, v44
	s_wait_alu 0xfffd
	v_cndmask_b32_e32 v66, 0, v66, vcc_lo
	v_cmp_gt_i32_e32 vcc_lo, s54, v51
	s_wait_alu 0xfffd
	v_cndmask_b32_e32 v65, 0, v65, vcc_lo
	;; [unrolled: 3-line block ×8, first 2 shown]
	s_branch .LBB333_40
.LBB333_53:
	s_or_b32 exec_lo, exec_lo, s5
.LBB333_54:
	s_wait_alu 0xfffe
	s_or_b32 exec_lo, exec_lo, s1
	ds_bpermute_b32 v1, v16, v21
	ds_bpermute_b32 v2, v16, v20
	ds_bpermute_b32 v3, v16, v19
	ds_bpermute_b32 v9, v16, v18
	ds_bpermute_b32 v10, v16, v17
	v_lshrrev_b32_e32 v6, 1, v15
	v_mul_u32_u24_e32 v8, 0x140, v27
	v_and_b32_e32 v11, 0x3c1, v0
	s_mov_b32 s0, exec_lo
	s_wait_storecnt 0x0
	s_wait_loadcnt_dscnt 0x0
	v_lshl_add_u32 v7, v6, 2, 0xc0
	s_barrier_signal -1
	s_barrier_wait -1
	global_inv scope:SCOPE_SE
	v_dual_add_f32 v5, v21, v1 :: v_dual_add_f32 v4, v20, v2
	v_dual_add_f32 v3, v19, v3 :: v_dual_add_f32 v2, v18, v9
	v_add_f32_e32 v1, v17, v10
	v_cmpx_eq_u32_e32 64, v11
	s_cbranch_execz .LBB333_56
; %bb.55:
	v_add_nc_u32_e32 v9, v7, v8
	s_delay_alu instid0(VALU_DEP_1)
	v_add_nc_u32_e32 v10, 0xfffffd80, v9
	v_add_nc_u32_e32 v11, 0xfffffdc0, v9
	;; [unrolled: 1-line block ×5, first 2 shown]
	ds_store_b32 v10, v5
	ds_store_b32 v11, v4
	ds_store_b32 v12, v3
	ds_store_b32 v13, v2
	ds_store_b32 v9, v1
.LBB333_56:
	s_wait_alu 0xfffe
	s_or_b32 exec_lo, exec_lo, s0
	v_lshlrev_b32_e32 v6, 2, v6
	s_mov_b32 s1, exec_lo
	v_cmp_eq_u32_e32 vcc_lo, 0, v26
	s_wait_loadcnt_dscnt 0x0
	s_barrier_signal -1
	v_add3_u32 v6, 0xc0, v8, v6
	s_barrier_wait -1
	global_inv scope:SCOPE_SE
	v_cmpx_gt_u32_e32 64, v0
	s_cbranch_execz .LBB333_64
; %bb.57:
	s_and_saveexec_b32 s0, vcc_lo
	s_cbranch_execnz .LBB333_77
; %bb.58:
	s_wait_alu 0xfffe
	s_or_b32 exec_lo, exec_lo, s0
	s_and_saveexec_b32 s0, vcc_lo
	s_cbranch_execnz .LBB333_78
.LBB333_59:
	s_wait_alu 0xfffe
	s_or_b32 exec_lo, exec_lo, s0
	s_and_saveexec_b32 s0, vcc_lo
	s_cbranch_execnz .LBB333_79
.LBB333_60:
	s_wait_alu 0xfffe
	s_or_b32 exec_lo, exec_lo, s0
	s_and_saveexec_b32 s0, vcc_lo
	s_cbranch_execnz .LBB333_80
.LBB333_61:
	s_wait_alu 0xfffe
	s_or_b32 exec_lo, exec_lo, s0
	s_and_saveexec_b32 s0, vcc_lo
	s_cbranch_execz .LBB333_63
.LBB333_62:
	ds_load_b32 v8, v6 offset:256
	s_wait_dscnt 0x0
	v_add_f32_e32 v1, v1, v8
.LBB333_63:
	s_wait_alu 0xfffe
	s_or_b32 exec_lo, exec_lo, s0
.LBB333_64:
	s_wait_alu 0xfffe
	s_or_b32 exec_lo, exec_lo, s1
	v_and_b32_e32 v8, 0x3e1, v0
	s_mov_b32 s1, exec_lo
	s_wait_loadcnt 0x0
	s_barrier_signal -1
	s_barrier_wait -1
	global_inv scope:SCOPE_SE
	v_cmpx_eq_u32_e32 32, v8
	s_cbranch_execz .LBB333_66
; %bb.65:
	ds_store_2addr_b32 v7, v5, v4 offset1:16
	ds_store_2addr_b32 v7, v3, v2 offset0:32 offset1:48
	ds_store_b32 v7, v1 offset:256
.LBB333_66:
	s_wait_alu 0xfffe
	s_or_b32 exec_lo, exec_lo, s1
	s_delay_alu instid0(SALU_CYCLE_1)
	s_mov_b32 s1, exec_lo
	s_wait_loadcnt_dscnt 0x0
	s_barrier_signal -1
	s_barrier_wait -1
	global_inv scope:SCOPE_SE
	v_cmpx_gt_u32_e32 32, v0
	s_cbranch_execz .LBB333_74
; %bb.67:
	s_and_saveexec_b32 s0, vcc_lo
	s_cbranch_execnz .LBB333_81
; %bb.68:
	s_wait_alu 0xfffe
	s_or_b32 exec_lo, exec_lo, s0
	s_and_saveexec_b32 s0, vcc_lo
	s_cbranch_execnz .LBB333_82
.LBB333_69:
	s_wait_alu 0xfffe
	s_or_b32 exec_lo, exec_lo, s0
	s_and_saveexec_b32 s0, vcc_lo
	s_cbranch_execnz .LBB333_83
.LBB333_70:
	s_wait_alu 0xfffe
	s_or_b32 exec_lo, exec_lo, s0
	s_and_saveexec_b32 s0, vcc_lo
	s_cbranch_execnz .LBB333_84
.LBB333_71:
	s_wait_alu 0xfffe
	s_or_b32 exec_lo, exec_lo, s0
	s_and_saveexec_b32 s0, vcc_lo
	s_cbranch_execz .LBB333_73
.LBB333_72:
	ds_load_b32 v0, v6 offset:256
	s_wait_dscnt 0x0
	v_add_f32_e32 v1, v1, v0
.LBB333_73:
	s_wait_alu 0xfffe
	s_or_b32 exec_lo, exec_lo, s0
.LBB333_74:
	s_wait_alu 0xfffe
	s_or_b32 exec_lo, exec_lo, s1
	s_mov_b32 s1, 0
	s_wait_loadcnt 0x0
	s_barrier_signal -1
	s_barrier_wait -1
	global_inv scope:SCOPE_SE
	s_mov_b32 s0, exec_lo
	v_cmpx_eq_u32_e32 0, v8
	s_cbranch_execz .LBB333_76
; %bb.75:
	v_bfe_u32 v0, v5, 16, 1
	v_bfe_u32 v6, v4, 16, 1
	v_or_b32_e32 v7, 0x400000, v5
	v_cmp_u_f32_e32 vcc_lo, v5, v5
	v_or_b32_e32 v9, 0x400000, v4
	v_add3_u32 v0, v0, v5, 0x7fff
	v_bfe_u32 v5, v3, 16, 1
	v_add3_u32 v6, v6, v4, 0x7fff
	s_mul_i32 s2, s10, 0x50
	v_or_b32_e32 v10, 0x400000, v2
	s_wait_kmcnt 0x0
	s_mul_i32 s4, s35, s34
	v_add3_u32 v5, v5, v3, 0x7fff
	s_wait_alu 0xfffd
	v_cndmask_b32_e32 v0, v0, v7, vcc_lo
	v_cmp_u_f32_e32 vcc_lo, v4, v4
	v_bfe_u32 v7, v2, 16, 1
	s_wait_alu 0xfffe
	s_ashr_i32 s3, s2, 31
	s_ashr_i32 s5, s4, 31
	s_wait_alu 0xfffe
	s_lshl_b64 s[2:3], s[2:3], 1
	s_wait_alu 0xfffd
	v_cndmask_b32_e32 v4, v6, v9, vcc_lo
	v_or_b32_e32 v9, 0x400000, v3
	v_cmp_u_f32_e32 vcc_lo, v3, v3
	v_bfe_u32 v6, v1, 16, 1
	v_add3_u32 v7, v7, v2, 0x7fff
	s_lshl_b64 s[4:5], s[4:5], 1
	s_wait_alu 0xfffe
	s_add_nc_u64 s[2:3], s[8:9], s[2:3]
	s_wait_alu 0xfffd
	v_cndmask_b32_e32 v3, v5, v9, vcc_lo
	v_cmp_u_f32_e32 vcc_lo, v2, v2
	v_add3_u32 v6, v6, v1, 0x7fff
	v_or_b32_e32 v11, 0x400000, v1
	s_wait_alu 0xfffe
	s_add_nc_u64 s[2:3], s[2:3], s[4:5]
	s_mul_i32 s0, s33, 0xa0
	s_wait_alu 0xfffd
	v_cndmask_b32_e32 v2, v7, v10, vcc_lo
	v_cmp_u_f32_e32 vcc_lo, v1, v1
	v_lshlrev_b32_e32 v8, 1, v25
	s_wait_alu 0xfffe
	s_add_nc_u64 s[0:1], s[2:3], s[0:1]
	s_wait_alu 0xfffd
	v_cndmask_b32_e32 v1, v6, v11, vcc_lo
	s_clause 0x4
	global_store_d16_hi_b16 v8, v0, s[0:1]
	global_store_d16_hi_b16 v8, v4, s[0:1] offset:32
	global_store_d16_hi_b16 v8, v3, s[0:1] offset:64
	;; [unrolled: 1-line block ×4, first 2 shown]
.LBB333_76:
	s_nop 0
	s_sendmsg sendmsg(MSG_DEALLOC_VGPRS)
	s_endpgm
.LBB333_77:
	ds_load_b32 v8, v6
	s_wait_dscnt 0x0
	v_add_f32_e32 v5, v5, v8
	s_wait_alu 0xfffe
	s_or_b32 exec_lo, exec_lo, s0
	s_and_saveexec_b32 s0, vcc_lo
	s_cbranch_execz .LBB333_59
.LBB333_78:
	ds_load_b32 v8, v6 offset:64
	s_wait_dscnt 0x0
	v_add_f32_e32 v4, v4, v8
	s_wait_alu 0xfffe
	s_or_b32 exec_lo, exec_lo, s0
	s_and_saveexec_b32 s0, vcc_lo
	s_cbranch_execz .LBB333_60
.LBB333_79:
	ds_load_b32 v8, v6 offset:128
	s_wait_dscnt 0x0
	v_add_f32_e32 v3, v3, v8
	s_wait_alu 0xfffe
	s_or_b32 exec_lo, exec_lo, s0
	s_and_saveexec_b32 s0, vcc_lo
	s_cbranch_execz .LBB333_61
.LBB333_80:
	ds_load_b32 v8, v6 offset:192
	s_wait_dscnt 0x0
	v_add_f32_e32 v2, v2, v8
	s_wait_alu 0xfffe
	s_or_b32 exec_lo, exec_lo, s0
	s_and_saveexec_b32 s0, vcc_lo
	s_cbranch_execnz .LBB333_62
	s_branch .LBB333_63
.LBB333_81:
	ds_load_b32 v0, v6
	s_wait_dscnt 0x0
	v_add_f32_e32 v5, v5, v0
	s_wait_alu 0xfffe
	s_or_b32 exec_lo, exec_lo, s0
	s_and_saveexec_b32 s0, vcc_lo
	s_cbranch_execz .LBB333_69
.LBB333_82:
	ds_load_b32 v0, v6 offset:64
	s_wait_dscnt 0x0
	v_add_f32_e32 v4, v4, v0
	s_wait_alu 0xfffe
	s_or_b32 exec_lo, exec_lo, s0
	s_and_saveexec_b32 s0, vcc_lo
	s_cbranch_execz .LBB333_70
.LBB333_83:
	ds_load_b32 v0, v6 offset:128
	s_wait_dscnt 0x0
	v_add_f32_e32 v3, v3, v0
	s_wait_alu 0xfffe
	s_or_b32 exec_lo, exec_lo, s0
	s_and_saveexec_b32 s0, vcc_lo
	s_cbranch_execz .LBB333_71
.LBB333_84:
	ds_load_b32 v0, v6 offset:192
	s_wait_dscnt 0x0
	v_add_f32_e32 v2, v2, v0
	s_wait_alu 0xfffe
	s_or_b32 exec_lo, exec_lo, s0
	s_and_saveexec_b32 s0, vcc_lo
	s_cbranch_execnz .LBB333_72
	s_branch .LBB333_73
	.section	.rodata,"a",@progbits
	.p2align	6, 0x0
	.amdhsa_kernel _ZN4vllm25paged_attention_v2_kernelI14__hip_bfloat16hLi80ELi16ELi128ELNS_18Fp8KVCacheDataTypeE1ELb1ELi512EEEvPfS3_PT_PKS4_PKT0_SA_ifPKiSC_iPKfiiiSE_SE_iiiii
		.amdhsa_group_segment_fixed_size 192
		.amdhsa_private_segment_fixed_size 0
		.amdhsa_kernarg_size 400
		.amdhsa_user_sgpr_count 2
		.amdhsa_user_sgpr_dispatch_ptr 0
		.amdhsa_user_sgpr_queue_ptr 0
		.amdhsa_user_sgpr_kernarg_segment_ptr 1
		.amdhsa_user_sgpr_dispatch_id 0
		.amdhsa_user_sgpr_private_segment_size 0
		.amdhsa_wavefront_size32 1
		.amdhsa_uses_dynamic_stack 0
		.amdhsa_enable_private_segment 0
		.amdhsa_system_sgpr_workgroup_id_x 1
		.amdhsa_system_sgpr_workgroup_id_y 1
		.amdhsa_system_sgpr_workgroup_id_z 1
		.amdhsa_system_sgpr_workgroup_info 0
		.amdhsa_system_vgpr_workitem_id 0
		.amdhsa_next_free_vgpr 128
		.amdhsa_next_free_sgpr 69
		.amdhsa_reserve_vcc 1
		.amdhsa_float_round_mode_32 0
		.amdhsa_float_round_mode_16_64 0
		.amdhsa_float_denorm_mode_32 3
		.amdhsa_float_denorm_mode_16_64 3
		.amdhsa_fp16_overflow 0
		.amdhsa_workgroup_processor_mode 1
		.amdhsa_memory_ordered 1
		.amdhsa_forward_progress 1
		.amdhsa_inst_pref_size 118
		.amdhsa_round_robin_scheduling 0
		.amdhsa_exception_fp_ieee_invalid_op 0
		.amdhsa_exception_fp_denorm_src 0
		.amdhsa_exception_fp_ieee_div_zero 0
		.amdhsa_exception_fp_ieee_overflow 0
		.amdhsa_exception_fp_ieee_underflow 0
		.amdhsa_exception_fp_ieee_inexact 0
		.amdhsa_exception_int_div_zero 0
	.end_amdhsa_kernel
	.section	.text._ZN4vllm25paged_attention_v2_kernelI14__hip_bfloat16hLi80ELi16ELi128ELNS_18Fp8KVCacheDataTypeE1ELb1ELi512EEEvPfS3_PT_PKS4_PKT0_SA_ifPKiSC_iPKfiiiSE_SE_iiiii,"axG",@progbits,_ZN4vllm25paged_attention_v2_kernelI14__hip_bfloat16hLi80ELi16ELi128ELNS_18Fp8KVCacheDataTypeE1ELb1ELi512EEEvPfS3_PT_PKS4_PKT0_SA_ifPKiSC_iPKfiiiSE_SE_iiiii,comdat
.Lfunc_end333:
	.size	_ZN4vllm25paged_attention_v2_kernelI14__hip_bfloat16hLi80ELi16ELi128ELNS_18Fp8KVCacheDataTypeE1ELb1ELi512EEEvPfS3_PT_PKS4_PKT0_SA_ifPKiSC_iPKfiiiSE_SE_iiiii, .Lfunc_end333-_ZN4vllm25paged_attention_v2_kernelI14__hip_bfloat16hLi80ELi16ELi128ELNS_18Fp8KVCacheDataTypeE1ELb1ELi512EEEvPfS3_PT_PKS4_PKT0_SA_ifPKiSC_iPKfiiiSE_SE_iiiii
                                        ; -- End function
	.set _ZN4vllm25paged_attention_v2_kernelI14__hip_bfloat16hLi80ELi16ELi128ELNS_18Fp8KVCacheDataTypeE1ELb1ELi512EEEvPfS3_PT_PKS4_PKT0_SA_ifPKiSC_iPKfiiiSE_SE_iiiii.num_vgpr, 128
	.set _ZN4vllm25paged_attention_v2_kernelI14__hip_bfloat16hLi80ELi16ELi128ELNS_18Fp8KVCacheDataTypeE1ELb1ELi512EEEvPfS3_PT_PKS4_PKT0_SA_ifPKiSC_iPKfiiiSE_SE_iiiii.num_agpr, 0
	.set _ZN4vllm25paged_attention_v2_kernelI14__hip_bfloat16hLi80ELi16ELi128ELNS_18Fp8KVCacheDataTypeE1ELb1ELi512EEEvPfS3_PT_PKS4_PKT0_SA_ifPKiSC_iPKfiiiSE_SE_iiiii.numbered_sgpr, 69
	.set _ZN4vllm25paged_attention_v2_kernelI14__hip_bfloat16hLi80ELi16ELi128ELNS_18Fp8KVCacheDataTypeE1ELb1ELi512EEEvPfS3_PT_PKS4_PKT0_SA_ifPKiSC_iPKfiiiSE_SE_iiiii.num_named_barrier, 0
	.set _ZN4vllm25paged_attention_v2_kernelI14__hip_bfloat16hLi80ELi16ELi128ELNS_18Fp8KVCacheDataTypeE1ELb1ELi512EEEvPfS3_PT_PKS4_PKT0_SA_ifPKiSC_iPKfiiiSE_SE_iiiii.private_seg_size, 0
	.set _ZN4vllm25paged_attention_v2_kernelI14__hip_bfloat16hLi80ELi16ELi128ELNS_18Fp8KVCacheDataTypeE1ELb1ELi512EEEvPfS3_PT_PKS4_PKT0_SA_ifPKiSC_iPKfiiiSE_SE_iiiii.uses_vcc, 1
	.set _ZN4vllm25paged_attention_v2_kernelI14__hip_bfloat16hLi80ELi16ELi128ELNS_18Fp8KVCacheDataTypeE1ELb1ELi512EEEvPfS3_PT_PKS4_PKT0_SA_ifPKiSC_iPKfiiiSE_SE_iiiii.uses_flat_scratch, 0
	.set _ZN4vllm25paged_attention_v2_kernelI14__hip_bfloat16hLi80ELi16ELi128ELNS_18Fp8KVCacheDataTypeE1ELb1ELi512EEEvPfS3_PT_PKS4_PKT0_SA_ifPKiSC_iPKfiiiSE_SE_iiiii.has_dyn_sized_stack, 0
	.set _ZN4vllm25paged_attention_v2_kernelI14__hip_bfloat16hLi80ELi16ELi128ELNS_18Fp8KVCacheDataTypeE1ELb1ELi512EEEvPfS3_PT_PKS4_PKT0_SA_ifPKiSC_iPKfiiiSE_SE_iiiii.has_recursion, 0
	.set _ZN4vllm25paged_attention_v2_kernelI14__hip_bfloat16hLi80ELi16ELi128ELNS_18Fp8KVCacheDataTypeE1ELb1ELi512EEEvPfS3_PT_PKS4_PKT0_SA_ifPKiSC_iPKfiiiSE_SE_iiiii.has_indirect_call, 0
	.section	.AMDGPU.csdata,"",@progbits
; Kernel info:
; codeLenInByte = 15060
; TotalNumSgprs: 71
; NumVgprs: 128
; ScratchSize: 0
; MemoryBound: 0
; FloatMode: 240
; IeeeMode: 1
; LDSByteSize: 192 bytes/workgroup (compile time only)
; SGPRBlocks: 0
; VGPRBlocks: 15
; NumSGPRsForWavesPerEU: 71
; NumVGPRsForWavesPerEU: 128
; Occupancy: 10
; WaveLimiterHint : 1
; COMPUTE_PGM_RSRC2:SCRATCH_EN: 0
; COMPUTE_PGM_RSRC2:USER_SGPR: 2
; COMPUTE_PGM_RSRC2:TRAP_HANDLER: 0
; COMPUTE_PGM_RSRC2:TGID_X_EN: 1
; COMPUTE_PGM_RSRC2:TGID_Y_EN: 1
; COMPUTE_PGM_RSRC2:TGID_Z_EN: 1
; COMPUTE_PGM_RSRC2:TIDIG_COMP_CNT: 0
	.section	.text._ZN4vllm25paged_attention_v2_kernelI14__hip_bfloat16hLi96ELi16ELi128ELNS_18Fp8KVCacheDataTypeE1ELb1ELi512EEEvPfS3_PT_PKS4_PKT0_SA_ifPKiSC_iPKfiiiSE_SE_iiiii,"axG",@progbits,_ZN4vllm25paged_attention_v2_kernelI14__hip_bfloat16hLi96ELi16ELi128ELNS_18Fp8KVCacheDataTypeE1ELb1ELi512EEEvPfS3_PT_PKS4_PKT0_SA_ifPKiSC_iPKfiiiSE_SE_iiiii,comdat
	.protected	_ZN4vllm25paged_attention_v2_kernelI14__hip_bfloat16hLi96ELi16ELi128ELNS_18Fp8KVCacheDataTypeE1ELb1ELi512EEEvPfS3_PT_PKS4_PKT0_SA_ifPKiSC_iPKfiiiSE_SE_iiiii ; -- Begin function _ZN4vllm25paged_attention_v2_kernelI14__hip_bfloat16hLi96ELi16ELi128ELNS_18Fp8KVCacheDataTypeE1ELb1ELi512EEEvPfS3_PT_PKS4_PKT0_SA_ifPKiSC_iPKfiiiSE_SE_iiiii
	.globl	_ZN4vllm25paged_attention_v2_kernelI14__hip_bfloat16hLi96ELi16ELi128ELNS_18Fp8KVCacheDataTypeE1ELb1ELi512EEEvPfS3_PT_PKS4_PKT0_SA_ifPKiSC_iPKfiiiSE_SE_iiiii
	.p2align	8
	.type	_ZN4vllm25paged_attention_v2_kernelI14__hip_bfloat16hLi96ELi16ELi128ELNS_18Fp8KVCacheDataTypeE1ELb1ELi512EEEvPfS3_PT_PKS4_PKT0_SA_ifPKiSC_iPKfiiiSE_SE_iiiii,@function
_ZN4vllm25paged_attention_v2_kernelI14__hip_bfloat16hLi96ELi16ELi128ELNS_18Fp8KVCacheDataTypeE1ELb1ELi512EEEvPfS3_PT_PKS4_PKT0_SA_ifPKiSC_iPKfiiiSE_SE_iiiii: ; @_ZN4vllm25paged_attention_v2_kernelI14__hip_bfloat16hLi96ELi16ELi128ELNS_18Fp8KVCacheDataTypeE1ELb1ELi512EEEvPfS3_PT_PKS4_PKT0_SA_ifPKiSC_iPKfiiiSE_SE_iiiii
; %bb.0:
	s_load_b64 s[2:3], s[0:1], 0x40
	s_and_b32 s59, ttmp7, 0xffff
	s_lshr_b32 s56, ttmp7, 16
	s_lshl_b32 s4, s59, 2
	s_lshl_b32 s61, s56, 9
	s_wait_kmcnt 0x0
	s_load_b32 s57, s[2:3], s4 offset:0x0
	s_wait_kmcnt 0x0
	s_cmp_ge_i32 s61, s57
	s_cbranch_scc1 .LBB334_80
; %bb.1:
	s_clause 0x1
	s_load_b32 s60, s[0:1], 0x90
	s_load_b64 s[54:55], s[0:1], 0x30
	s_wait_kmcnt 0x0
	s_abs_i32 s5, s60
	s_abs_i32 s2, s54
	s_delay_alu instid0(SALU_CYCLE_1) | instskip(SKIP_1) | instid1(SALU_CYCLE_2)
	s_cvt_f32_u32 s3, s2
	s_sub_co_i32 s4, 0, s2
	v_rcp_iflag_f32_e32 v1, s3
	s_delay_alu instid0(TRANS32_DEP_1) | instskip(SKIP_2) | instid1(SALU_CYCLE_2)
	v_readfirstlane_b32 s3, v1
	s_mul_f32 s3, s3, 0x4f7ffffe
	s_wait_alu 0xfffe
	s_cvt_u32_f32 s3, s3
	s_wait_alu 0xfffe
	s_delay_alu instid0(SALU_CYCLE_2) | instskip(NEXT) | instid1(SALU_CYCLE_1)
	s_mul_i32 s4, s4, s3
	s_mul_hi_u32 s4, s3, s4
	s_delay_alu instid0(SALU_CYCLE_1)
	s_add_co_i32 s3, s3, s4
	s_xor_b32 s4, s60, s54
	s_wait_alu 0xfffe
	s_mul_hi_u32 s3, s5, s3
	s_ashr_i32 s4, s4, 31
	s_wait_alu 0xfffe
	s_mul_i32 s6, s3, s2
	s_delay_alu instid0(SALU_CYCLE_1)
	s_sub_co_i32 s5, s5, s6
	s_add_co_i32 s6, s3, 1
	s_sub_co_i32 s7, s5, s2
	s_cmp_ge_u32 s5, s2
	s_cselect_b32 s3, s6, s3
	s_cselect_b32 s5, s7, s5
	s_wait_alu 0xfffe
	s_add_co_i32 s6, s3, 1
	s_cmp_ge_u32 s5, s2
	s_cselect_b32 s2, s6, s3
	s_load_b64 s[6:7], s[0:1], 0x50
	s_xor_b32 s2, s2, s4
	s_mov_b32 s3, 0
	s_wait_alu 0xfffe
	s_sub_co_i32 s9, s2, s4
	s_mov_b32 s62, s3
	s_abs_i32 s8, s9
	s_delay_alu instid0(SALU_CYCLE_1) | instskip(SKIP_1) | instid1(SALU_CYCLE_2)
	s_cvt_f32_u32 s2, s8
	s_wait_alu 0xfffe
	v_rcp_iflag_f32_e32 v1, s2
	s_delay_alu instid0(TRANS32_DEP_1) | instskip(SKIP_2) | instid1(SALU_CYCLE_2)
	v_readfirstlane_b32 s2, v1
	s_mul_f32 s2, s2, 0x4f7ffffe
	s_wait_alu 0xfffe
	s_cvt_u32_f32 s4, s2
	s_sub_co_i32 s2, 0, s8
	s_wait_alu 0xfffe
	s_delay_alu instid0(SALU_CYCLE_1)
	s_mul_i32 s2, s2, s4
	s_wait_alu 0xfffe
	s_mul_hi_u32 s5, s4, s2
	s_abs_i32 s2, ttmp9
	s_add_co_i32 s4, s4, s5
	s_mov_b32 s5, s3
	s_wait_kmcnt 0x0
	s_cmp_eq_u64 s[6:7], 0
	s_cbranch_scc1 .LBB334_3
; %bb.2:
	s_mov_b32 s10, ttmp9
	s_ashr_i32 s11, ttmp9, 31
	s_delay_alu instid0(SALU_CYCLE_1) | instskip(NEXT) | instid1(SALU_CYCLE_1)
	s_lshl_b64 s[10:11], s[10:11], 2
	s_add_nc_u64 s[6:7], s[6:7], s[10:11]
	s_load_b32 s62, s[6:7], 0x0
.LBB334_3:
	s_load_b96 s[44:46], s[0:1], 0x58
	v_lshrrev_b32_e32 v15, 1, v0
	v_and_b32_e32 v16, 1, v0
	v_lshlrev_b32_e32 v11, 3, v0
	s_mul_u64 s[4:5], s[2:3], s[4:5]
	s_ashr_i32 s3, ttmp9, 31
	s_ashr_i32 s4, s9, 31
	s_mul_i32 s34, ttmp9, 0x60
	s_mov_b32 s6, exec_lo
	v_cmpx_gt_u32_e32 24, v0
	s_cbranch_execz .LBB334_5
; %bb.4:
	s_load_b64 s[10:11], s[0:1], 0x18
	s_wait_kmcnt 0x0
	s_mul_i32 s12, s44, s59
	s_ashr_i32 s35, s34, 31
	s_ashr_i32 s13, s12, 31
	v_lshlrev_b32_e32 v3, 3, v15
	s_lshl_b64 s[12:13], s[12:13], 1
	s_delay_alu instid0(VALU_DEP_1) | instskip(SKIP_2) | instid1(SALU_CYCLE_1)
	v_mad_u32_u24 v3, 0x60, v16, v3
	s_add_nc_u64 s[10:11], s[10:11], s[12:13]
	s_lshl_b64 s[12:13], s[34:35], 1
	s_add_nc_u64 s[10:11], s[10:11], s[12:13]
	global_load_b64 v[1:2], v11, s[10:11]
	s_wait_loadcnt 0x0
	ds_store_b64 v3, v[1:2]
.LBB334_5:
	s_or_b32 exec_lo, exec_lo, s6
	s_clause 0x1
	s_load_b128 s[40:43], s[0:1], 0x78
	s_load_b32 s7, s[0:1], 0x88
	s_mul_i32 s6, s5, s8
	s_xor_b32 s3, s3, s4
	s_sub_co_i32 s2, s2, s6
	s_add_co_i32 s4, s5, 1
	s_wait_alu 0xfffe
	s_sub_co_i32 s6, s2, s8
	s_cmp_ge_u32 s2, s8
	s_mov_b32 s9, -1
	s_cselect_b32 s4, s4, s5
	s_cselect_b32 s2, s6, s2
	s_add_co_i32 s5, s4, 1
	s_wait_alu 0xfffe
	s_cmp_ge_u32 s2, s8
	s_wait_dscnt 0x0
	s_cselect_b32 s2, s5, s4
	s_add_co_i32 s8, s57, -1
	s_wait_alu 0xfffe
	s_xor_b32 s2, s2, s3
	s_barrier_signal -1
	s_wait_alu 0xfffe
	s_sub_co_i32 s6, s2, s3
	s_barrier_wait -1
	s_wait_kmcnt 0x0
	s_abs_i32 s44, s43
	global_inv scope:SCOPE_SE
	s_cvt_f32_u32 s4, s44
                                        ; implicit-def: $sgpr58
	s_delay_alu instid0(SALU_CYCLE_3) | instskip(NEXT) | instid1(TRANS32_DEP_1)
	v_rcp_iflag_f32_e32 v1, s4
	v_readfirstlane_b32 s4, v1
	s_mul_f32 s2, s4, 0x4f7ffffe
	s_wait_alu 0xfffe
	s_delay_alu instid0(SALU_CYCLE_2) | instskip(SKIP_2) | instid1(SALU_CYCLE_1)
	s_cvt_u32_f32 s4, s2
	s_sub_co_i32 s2, 0, s44
	s_wait_alu 0xfffe
	s_mul_i32 s3, s2, s4
	s_abs_i32 s2, s8
	s_wait_alu 0xfffe
	s_mul_hi_u32 s5, s4, s3
	s_mov_b32 s3, 0
	s_wait_alu 0xfffe
	s_add_co_i32 s48, s4, s5
	s_cmp_lt_i32 s7, 0
	s_mov_b32 s49, s3
	s_cbranch_scc0 .LBB334_7
; %bb.6:
	s_mul_i32 s4, s40, s54
	s_mov_b32 s9, s3
	s_wait_alu 0xfffe
	s_add_co_i32 s4, s6, s4
	s_wait_alu 0xfffe
	s_mul_i32 s4, s4, s7
	s_wait_alu 0xfffe
	s_sub_co_i32 s58, 1, s4
.LBB334_7:
	s_mul_u64 s[4:5], s[2:3], s[48:49]
	s_ashr_i32 s3, s8, 31
	s_and_not1_b32 vcc_lo, exec_lo, s9
	s_ashr_i32 s43, s43, 31
	s_cbranch_vccnz .LBB334_9
; %bb.8:
	s_mul_i32 s4, s60, s40
	s_wait_alu 0xfffe
	s_add_co_i32 s4, s4, ttmp9
	s_wait_alu 0xfffe
	s_mul_i32 s4, s4, s7
	s_wait_alu 0xfffe
	s_add_co_i32 s58, s4, 1
.LBB334_9:
	s_clause 0x3
	s_load_b32 s4, s[0:1], 0x48
	s_load_b64 s[50:51], s[0:1], 0x38
	s_load_b32 s35, s[0:1], 0x98
	s_load_b128 s[36:39], s[0:1], 0x68
	s_mul_i32 s7, s5, s44
	s_xor_b32 s3, s3, s43
	s_sub_co_i32 s2, s2, s7
	s_add_co_i32 s8, s5, 1
	v_lshrrev_b32_e32 v17, 5, v0
	v_mov_b32_e32 v20, 0xff7fffff
	v_mbcnt_lo_u32_b32 v13, -1, 0
	s_mul_i32 s46, s6, s46
	s_delay_alu instid0(VALU_DEP_3)
	v_lshl_add_u32 v18, v17, 4, s61
	s_wait_kmcnt 0x0
	s_mul_i32 s52, s4, s59
	s_wait_alu 0xfffe
	s_sub_co_i32 s4, s2, s44
	s_ashr_i32 s53, s52, 31
	s_cmp_ge_u32 s2, s44
	s_cselect_b32 s5, s8, s5
	s_wait_alu 0xfffe
	s_cselect_b32 s2, s4, s2
	s_add_co_i32 s4, s5, 1
	s_wait_alu 0xfffe
	s_cmp_ge_u32 s2, s44
	s_cselect_b32 s2, s4, s5
	s_add_co_i32 s4, s57, 15
	s_lshl_b32 s63, s56, 5
	s_wait_alu 0xfffe
	s_ashr_i32 s5, s4, 31
	v_or_b32_e32 v19, s63, v17
	s_wait_alu 0xfffe
	s_lshr_b32 s5, s5, 28
	s_wait_alu 0xfffe
	s_add_co_i32 s4, s4, s5
	s_add_co_i32 s5, s63, 32
	s_wait_alu 0xfffe
	s_ashr_i32 s49, s4, 4
	s_xor_b32 s4, s2, s3
	s_min_i32 s40, s5, s49
	v_lshlrev_b32_e32 v12, 2, v19
	v_cmp_gt_i32_e64 s2, s40, v19
	s_wait_alu 0xfffe
	s_sub_co_i32 s54, s4, s3
	s_and_saveexec_b32 s64, s2
	s_cbranch_execz .LBB334_21
; %bb.10:
	s_sub_co_i32 s65, s54, s41
	s_ashr_i32 s47, s46, 31
	s_cmp_neq_f32 s62, 0
	s_load_b64 s[4:5], s[0:1], 0x20
	v_bfe_u32 v14, v0, 1, 4
	v_dual_mov_b32 v25, 0xff7fffff :: v_dual_lshlrev_b32 v2, 2, v16
	s_cselect_b32 vcc_lo, -1, 0
	s_abs_i32 s66, s42
	s_delay_alu instid0(VALU_DEP_2)
	v_dual_mov_b32 v20, 0xff7fffff :: v_dual_lshlrev_b32 v3, 4, v14
	s_cvt_f32_u32 s3, s66
	v_dual_mov_b32 v27, v19 :: v_dual_lshlrev_b32 v4, 2, v14
	s_lshl_b64 s[6:7], s[52:53], 2
	s_wait_alu 0xfffe
	v_rcp_iflag_f32_e32 v1, s3
	v_subrev_nc_u32_e32 v9, s57, v14
	s_add_nc_u64 s[6:7], s[50:51], s[6:7]
	s_sub_co_i32 s9, 0, s66
	v_cmp_eq_u32_e64 s3, 0, v16
	v_mul_u32_u24_e32 v21, 0x60, v16
	v_lshl_add_u32 v22, v17, 4, s61
	v_add_nc_u32_e32 v23, 1, v9
	s_wait_kmcnt 0x0
	s_add_nc_u64 s[4:5], s[4:5], s[46:47]
	v_xor_b32_e32 v26, 1, v13
	v_readfirstlane_b32 s8, v1
	s_wait_alu 0xfffe
	v_add_co_u32 v3, s4, s4, v3
	v_lshl_or_b32 v1, v17, 6, v4
	s_wait_alu 0xf1ff
	v_add_co_ci_u32_e64 v4, null, s5, 0, s4
	s_mul_f32 s8, s8, 0x4f7ffffe
	v_add_co_u32 v5, s4, v3, v2
	s_wait_alu 0xf1ff
	v_add_co_ci_u32_e64 v6, null, 0, v4, s4
	s_cvt_u32_f32 s5, s8
	v_add_co_u32 v7, s4, s6, v12
	s_wait_alu 0xf1ff
	v_add_co_ci_u32_e64 v8, null, s7, 0, s4
	s_wait_alu 0xfffe
	s_mul_i32 s9, s9, s5
	v_add_nc_u32_e32 v24, 0xe0, v1
	s_mul_hi_u32 s4, s5, s9
	s_mov_b32 s67, 0
	s_mov_b32 s47, s45
	s_wait_alu 0xfffe
	s_add_co_i32 s68, s5, s4
	s_branch .LBB334_13
.LBB334_11:                             ;   in Loop: Header=BB334_13 Depth=1
	s_wait_alu 0xfffe
	s_or_b32 exec_lo, exec_lo, s5
.LBB334_12:                             ;   in Loop: Header=BB334_13 Depth=1
	s_wait_alu 0xfffe
	s_or_b32 exec_lo, exec_lo, s69
	v_add_nc_u32_e32 v27, 4, v27
	v_add_co_u32 v7, s5, v7, 16
	s_wait_alu 0xf1ff
	v_add_co_ci_u32_e64 v8, null, 0, v8, s5
	s_delay_alu instid0(VALU_DEP_3)
	v_cmp_le_i32_e64 s4, s40, v27
	v_add_nc_u32_e32 v22, 64, v22
	v_add_nc_u32_e32 v24, 0x100, v24
	s_or_b32 s67, s4, s67
	s_wait_alu 0xfffe
	s_and_not1_b32 exec_lo, exec_lo, s67
	s_cbranch_execz .LBB334_20
.LBB334_13:                             ; =>This Inner Loop Header: Depth=1
	v_sub_nc_u32_e32 v1, 0, v22
	s_delay_alu instid0(VALU_DEP_1) | instskip(SKIP_1) | instid1(VALU_DEP_1)
	v_max_i32_e32 v1, v22, v1
	s_wait_dscnt 0x0
	v_mul_hi_u32 v2, v1, s48
	s_delay_alu instid0(VALU_DEP_1) | instskip(NEXT) | instid1(VALU_DEP_1)
	v_mul_lo_u32 v3, v2, s44
	v_sub_nc_u32_e32 v1, v1, v3
	v_add_nc_u32_e32 v3, 1, v2
	s_delay_alu instid0(VALU_DEP_2) | instskip(SKIP_2) | instid1(VALU_DEP_1)
	v_subrev_nc_u32_e32 v4, s44, v1
	v_cmp_le_u32_e64 s4, s44, v1
	s_wait_alu 0xf1ff
	v_cndmask_b32_e64 v2, v2, v3, s4
	s_delay_alu instid0(VALU_DEP_3) | instskip(SKIP_1) | instid1(VALU_DEP_3)
	v_cndmask_b32_e64 v1, v1, v4, s4
	v_ashrrev_i32_e32 v3, 31, v22
	v_add_nc_u32_e32 v4, 1, v2
	s_delay_alu instid0(VALU_DEP_3) | instskip(NEXT) | instid1(VALU_DEP_3)
	v_cmp_le_u32_e64 s4, s44, v1
	v_xor_b32_e32 v3, s43, v3
	s_wait_alu 0xf1ff
	s_delay_alu instid0(VALU_DEP_2) | instskip(NEXT) | instid1(VALU_DEP_1)
	v_cndmask_b32_e64 v1, v2, v4, s4
	v_xor_b32_e32 v1, v1, v3
	s_delay_alu instid0(VALU_DEP_1) | instskip(NEXT) | instid1(VALU_DEP_1)
	v_sub_nc_u32_e32 v1, v1, v3
	v_add_nc_u32_e32 v2, s58, v1
	v_cmp_ge_i32_e64 s5, s65, v1
	s_delay_alu instid0(VALU_DEP_2) | instskip(NEXT) | instid1(VALU_DEP_1)
	v_sub_nc_u32_e32 v3, 0, v2
	v_max_i32_e32 v3, v2, v3
	v_ashrrev_i32_e32 v2, 31, v2
	s_delay_alu instid0(VALU_DEP_2) | instskip(NEXT) | instid1(VALU_DEP_1)
	v_mul_hi_u32 v4, v3, s68
	v_mul_lo_u32 v4, v4, s66
	s_delay_alu instid0(VALU_DEP_1) | instskip(NEXT) | instid1(VALU_DEP_1)
	v_sub_nc_u32_e32 v3, v3, v4
	v_subrev_nc_u32_e32 v4, s66, v3
	v_cmp_le_u32_e64 s4, s66, v3
	s_wait_alu 0xf1ff
	s_delay_alu instid0(VALU_DEP_1) | instskip(NEXT) | instid1(VALU_DEP_1)
	v_cndmask_b32_e64 v3, v3, v4, s4
	v_subrev_nc_u32_e32 v4, s66, v3
	v_cmp_le_u32_e64 s4, s66, v3
	s_wait_alu 0xf1ff
	s_delay_alu instid0(VALU_DEP_1) | instskip(NEXT) | instid1(VALU_DEP_1)
	v_cndmask_b32_e64 v3, v3, v4, s4
	v_xor_b32_e32 v3, v3, v2
	s_delay_alu instid0(VALU_DEP_1) | instskip(NEXT) | instid1(VALU_DEP_1)
	v_sub_nc_u32_e32 v2, v3, v2
	v_cmp_ne_u32_e64 s4, 0, v2
	s_and_b32 s4, s4, s5
	s_wait_alu 0xfffe
	s_and_saveexec_b32 s5, s4
	s_wait_alu 0xfffe
	s_xor_b32 s4, exec_lo, s5
	s_cbranch_execz .LBB334_17
; %bb.14:                               ;   in Loop: Header=BB334_13 Depth=1
	s_and_saveexec_b32 s5, s3
; %bb.15:                               ;   in Loop: Header=BB334_13 Depth=1
	ds_store_b32 v24, v25
; %bb.16:                               ;   in Loop: Header=BB334_13 Depth=1
	s_wait_alu 0xfffe
	s_or_b32 exec_lo, exec_lo, s5
.LBB334_17:                             ;   in Loop: Header=BB334_13 Depth=1
	s_wait_alu 0xfffe
	s_and_not1_saveexec_b32 s69, s4
	s_cbranch_execz .LBB334_12
; %bb.18:                               ;   in Loop: Header=BB334_13 Depth=1
	global_load_b32 v1, v[7:8], off
	s_wait_loadcnt 0x0
	v_mad_co_i64_i32 v[9:10], null, v1, s47, v[5:6]
	s_clause 0xa
	global_load_b32 v28, v[9:10], off
	global_load_b32 v30, v[9:10], off offset:8
	global_load_b32 v29, v[9:10], off offset:264
	;; [unrolled: 1-line block ×10, first 2 shown]
	ds_load_b128 v[53:56], v21
	ds_load_b128 v[57:60], v21 offset:16
	ds_load_b128 v[79:82], v21 offset:32
	;; [unrolled: 1-line block ×5, first 2 shown]
	global_load_b32 v9, v[9:10], off offset:1288
	s_load_b32 s70, s[36:37], 0x0
	s_wait_dscnt 0x5
	v_and_b32_e32 v71, 0xffff0000, v53
	s_wait_dscnt 0x4
	v_and_b32_e32 v65, 0xffff0000, v58
	;; [unrolled: 2-line block ×3, first 2 shown]
	s_wait_dscnt 0x2
	v_lshlrev_b32_e32 v41, 16, v83
	v_and_b32_e32 v62, 0xffff0000, v83
	v_lshlrev_b32_e32 v44, 16, v60
	v_and_b32_e32 v63, 0xffff0000, v60
	v_and_b32_e32 v60, 0xffff0000, v85
	v_lshlrev_b32_e32 v36, 16, v86
	s_wait_loadcnt 0xb
	v_and_b32_e32 v10, 0xff, v28
	v_lshrrev_b32_e32 v92, 24, v28
	s_wait_loadcnt 0x8
	v_lshrrev_b32_e32 v83, 24, v31
	s_wait_loadcnt 0x6
	v_and_b32_e32 v94, 0xff, v75
	v_cvt_f32_fp8_e32 v10, v10
	s_wait_loadcnt 0x4
	v_and_b32_e32 v97, 0xff, v77
	s_wait_loadcnt 0x3
	v_and_b32_e32 v98, 0xff, v78
	;; [unrolled: 2-line block ×3, first 2 shown]
	s_wait_loadcnt 0x1
	v_bfe_u32 v93, v74, 16, 8
	s_wait_kmcnt 0x0
	v_dual_mul_f32 v10, s70, v10 :: v_dual_lshlrev_b32 v51, 16, v56
	v_cvt_f32_fp8_e32 v98, v98
	v_and_b32_e32 v73, 0xffff0000, v55
	v_cvt_f32_fp8_e32 v93, v93
	v_lshlrev_b32_e32 v48, 16, v54
	v_cvt_f32_fp8_e32 v94, v94
	v_dual_mul_f32 v98, s70, v98 :: v_dual_and_b32 v95, 0xff, v76
	s_wait_dscnt 0x1
	v_lshlrev_b32_e32 v35, 16, v89
	v_cvt_f32_fp8_e32 v97, v97
	v_and_b32_e32 v72, 0xffff0000, v56
	v_and_b32_e32 v56, 0xffff0000, v89
	v_lshrrev_b32_e32 v89, 24, v77
	v_cvt_f32_fp8_e32 v95, v95
	v_lshlrev_b32_e32 v34, 16, v88
	v_cvt_f32_fp8_e32 v100, v100
	v_and_b32_e32 v67, 0xffff0000, v54
	v_and_b32_e32 v54, 0xffff0000, v88
	v_bfe_u32 v88, v77, 8, 8
	v_bfe_u32 v77, v77, 16, 8
	;; [unrolled: 1-line block ×3, first 2 shown]
	v_cvt_f32_fp8_e32 v92, v92
	v_lshlrev_b32_e32 v47, 16, v59
	v_cvt_f32_fp8_e32 v89, v89
	v_lshlrev_b32_e32 v40, 16, v82
	v_cvt_f32_fp8_e32 v77, v77
	v_and_b32_e32 v68, 0xffff0000, v59
	v_and_b32_e32 v59, 0xffff0000, v82
	v_bfe_u32 v82, v31, 8, 8
	v_cvt_f32_fp8_e32 v101, v101
	v_and_b32_e32 v66, 0xffff0000, v79
	v_bfe_u32 v96, v76, 8, 8
	v_cvt_f32_fp8_e32 v83, v83
	v_cvt_f32_fp8_e32 v82, v82
	v_lshlrev_b32_e32 v45, 16, v79
	v_bfe_u32 v79, v30, 16, 8
	v_cvt_f32_fp8_e32 v96, v96
	v_lshlrev_b32_e32 v33, 16, v90
	v_dual_mul_f32 v83, s70, v83 :: v_dual_lshlrev_b32 v46, 16, v58
	s_delay_alu instid0(VALU_DEP_4)
	v_cvt_f32_fp8_e32 v79, v79
	v_lshlrev_b32_e32 v50, 16, v53
	v_and_b32_e32 v58, 0xffff0000, v87
	v_bfe_u32 v91, v70, 8, 8
	v_bfe_u32 v99, v78, 8, 8
	v_mul_f32_e32 v79, s70, v79
	v_and_b32_e32 v53, 0xffff0000, v90
	v_bfe_u32 v90, v78, 16, 8
	v_lshrrev_b32_e32 v78, 24, v78
	v_lshrrev_b32_e32 v70, 24, v70
	v_cvt_f32_fp8_e32 v91, v91
	v_lshlrev_b32_e32 v38, 16, v84
	v_cvt_f32_fp8_e32 v90, v90
	v_lshlrev_b32_e32 v37, 16, v87
	v_bfe_u32 v87, v76, 16, 8
	v_cvt_f32_fp8_e32 v78, v78
	v_and_b32_e32 v69, 0xffff0000, v57
	v_cvt_f32_fp8_e32 v70, v70
	v_cvt_f32_fp8_e32 v99, v99
	;; [unrolled: 1-line block ×3, first 2 shown]
	v_lshlrev_b32_e32 v42, 16, v80
	v_lshrrev_b32_e32 v80, 24, v30
	s_delay_alu instid0(VALU_DEP_4) | instskip(SKIP_2) | instid1(VALU_DEP_4)
	v_dual_mul_f32 v99, s70, v99 :: v_dual_and_b32 v64, 0xffff0000, v81
	v_cvt_f32_fp8_e32 v88, v88
	v_lshlrev_b32_e32 v39, 16, v85
	v_cvt_f32_fp8_e32 v80, v80
	v_lshlrev_b32_e32 v49, 16, v57
	v_dual_mul_f32 v70, s70, v70 :: v_dual_and_b32 v57, 0xffff0000, v84
	v_bfe_u32 v84, v32, 16, 8
	v_bfe_u32 v85, v75, 8, 8
	v_lshrrev_b32_e32 v76, 24, v76
	v_dual_mul_f32 v80, s70, v80 :: v_dual_mul_f32 v93, s70, v93
	s_delay_alu instid0(VALU_DEP_4)
	v_cvt_f32_fp8_e32 v84, v84
	v_lshlrev_b32_e32 v43, 16, v81
	v_bfe_u32 v81, v29, 16, 8
	v_cvt_f32_fp8_e32 v85, v85
	v_cvt_f32_fp8_e32 v76, v76
	v_dual_mul_f32 v87, s70, v87 :: v_dual_mul_f32 v94, s70, v94
	s_delay_alu instid0(VALU_DEP_4) | instskip(NEXT) | instid1(VALU_DEP_4)
	v_cvt_f32_fp8_e32 v81, v81
	v_dual_mul_f32 v85, s70, v85 :: v_dual_lshlrev_b32 v52, 16, v55
	v_mul_f32_e32 v96, s70, v96
	s_delay_alu instid0(VALU_DEP_3)
	v_dual_mul_f32 v92, s70, v92 :: v_dual_mul_f32 v81, s70, v81
	v_and_b32_e32 v55, 0xffff0000, v86
	v_lshrrev_b32_e32 v86, 24, v75
	v_bfe_u32 v75, v75, 16, 8
	v_dual_mul_f32 v82, s70, v82 :: v_dual_mul_f32 v89, s70, v89
	v_mul_f32_e32 v90, s70, v90
	s_delay_alu instid0(VALU_DEP_4) | instskip(NEXT) | instid1(VALU_DEP_4)
	v_cvt_f32_fp8_e32 v86, v86
	v_cvt_f32_fp8_e32 v75, v75
	v_dual_mul_f32 v95, s70, v95 :: v_dual_mul_f32 v76, s70, v76
	s_delay_alu instid0(VALU_DEP_3) | instskip(NEXT) | instid1(VALU_DEP_3)
	v_dual_mul_f32 v97, s70, v97 :: v_dual_mul_f32 v86, s70, v86
	v_mul_f32_e32 v75, s70, v75
	v_mul_f32_e32 v77, s70, v77
	v_bfe_u32 v104, v79, 16, 1
	v_bfe_u32 v106, v80, 16, 1
	;; [unrolled: 1-line block ×8, first 2 shown]
	v_mul_f32_e32 v84, s70, v84
	v_dual_mul_f32 v88, s70, v88 :: v_dual_mul_f32 v91, s70, v91
	v_mul_f32_e32 v78, s70, v78
	v_dual_mul_f32 v100, s70, v100 :: v_dual_mul_f32 v101, s70, v101
	v_bfe_u32 v102, v10, 16, 1
	v_or_b32_e32 v105, 0x400000, v79
	v_or_b32_e32 v107, 0x400000, v80
	v_bfe_u32 v108, v92, 16, 1
	v_or_b32_e32 v111, 0x400000, v93
	v_or_b32_e32 v113, 0x400000, v81
	v_bfe_u32 v114, v82, 16, 1
	v_bfe_u32 v116, v83, 16, 1
	v_or_b32_e32 v122, 0x400000, v94
	v_or_b32_e32 v123, 0x400000, v85
	v_bfe_u32 v124, v75, 16, 1
	v_bfe_u32 v125, v86, 16, 1
	;; [unrolled: 1-line block ×3, first 2 shown]
	v_add3_u32 v104, v104, v79, 0x7fff
	v_cmp_u_f32_e64 s17, v79, v79
	v_or_b32_e32 v79, 0x400000, v96
	v_add3_u32 v106, v106, v80, 0x7fff
	v_cmp_u_f32_e64 s18, v80, v80
	v_or_b32_e32 v80, 0x400000, v87
	v_add3_u32 v110, v110, v93, 0x7fff
	v_cmp_u_f32_e64 s20, v93, v93
	v_bfe_u32 v93, v76, 16, 1
	v_add3_u32 v112, v112, v81, 0x7fff
	v_cmp_u_f32_e64 s21, v81, v81
	v_bfe_u32 v81, v97, 16, 1
	;; [unrolled: 3-line block ×6, first 2 shown]
	v_or_b32_e32 v103, 0x400000, v10
	v_or_b32_e32 v109, 0x400000, v92
	;; [unrolled: 1-line block ×4, first 2 shown]
	v_bfe_u32 v118, v84, 16, 1
	v_or_b32_e32 v126, 0x400000, v75
	v_or_b32_e32 v127, 0x400000, v86
	v_add3_u32 v102, v102, v10, 0x7fff
	v_cmp_u_f32_e64 s16, v10, v10
	v_or_b32_e32 v10, 0x400000, v95
	v_add3_u32 v108, v108, v92, 0x7fff
	v_cmp_u_f32_e64 s19, v92, v92
	v_bfe_u32 v92, v88, 16, 1
	v_add3_u32 v114, v114, v82, 0x7fff
	v_cmp_u_f32_e64 s22, v82, v82
	v_or_b32_e32 v82, 0x400000, v76
	v_add3_u32 v116, v116, v83, 0x7fff
	v_cmp_u_f32_e64 s23, v83, v83
	v_or_b32_e32 v83, 0x400000, v97
	v_add3_u32 v125, v125, v86, 0x7fff
	v_cmp_u_f32_e64 s15, v86, v86
	v_or_b32_e32 v86, 0x400000, v77
	v_add3_u32 v124, v124, v75, 0x7fff
	v_cmp_u_f32_e64 s26, v75, v75
	v_or_b32_e32 v75, 0x400000, v89
	v_add3_u32 v129, v129, v95, 0x7fff
	v_cmp_u_f32_e64 s27, v95, v95
	v_bfe_u32 v95, v98, 16, 1
	v_add3_u32 v93, v93, v76, 0x7fff
	v_cmp_u_f32_e64 s10, v76, v76
	v_or_b32_e32 v76, 0x400000, v99
	v_add3_u32 v81, v81, v97, 0x7fff
	v_cmp_u_f32_e64 s13, v97, v97
	v_or_b32_e32 v97, 0x400000, v90
	v_add3_u32 v94, v94, v89, 0x7fff
	v_cmp_u_f32_e64 s6, v89, v89
	v_bfe_u32 v89, v78, 16, 1
	v_add3_u32 v85, v85, v77, 0x7fff
	v_cmp_u_f32_e64 s9, v77, v77
	v_bfe_u32 v77, v91, 16, 1
	;; [unrolled: 3-line block ×4, first 2 shown]
	v_or_b32_e32 v119, 0x400000, v84
	v_add3_u32 v118, v118, v84, 0x7fff
	v_cmp_u_f32_e64 s24, v84, v84
	v_or_b32_e32 v84, 0x400000, v88
	v_add3_u32 v92, v92, v88, 0x7fff
	v_cmp_u_f32_e64 s4, v88, v88
	;; [unrolled: 3-line block ×7, first 2 shown]
	v_and_b32_e32 v101, 0xff, v30
	v_bfe_u32 v30, v30, 8, 8
	s_wait_alu 0xf1ff
	v_cndmask_b32_e64 v102, v102, v103, s16
	v_cndmask_b32_e64 v125, v125, v127, s15
	;; [unrolled: 1-line block ×3, first 2 shown]
	v_cvt_f32_fp8_e32 v101, v101
	v_cvt_f32_fp8_e32 v30, v30
	s_wait_loadcnt 0x0
	v_bfe_u32 v93, v9, 8, 8
	v_cndmask_b32_e64 v104, v104, v105, s17
	v_cndmask_b32_e64 v81, v81, v83, s13
	v_dual_mul_f32 v101, s70, v101 :: v_dual_mul_f32 v30, s70, v30
	v_and_b32_e32 v127, 0xff, v9
	v_bfe_u32 v83, v9, 16, 8
	v_cvt_f32_fp8_e32 v93, v93
	s_delay_alu instid0(VALU_DEP_4)
	v_bfe_u32 v131, v101, 16, 1
	v_or_b32_e32 v132, 0x400000, v101
	v_cmp_u_f32_e64 s33, v101, v101
	v_bfe_u32 v103, v30, 16, 1
	v_cmp_u_f32_e64 s16, v30, v30
	v_add3_u32 v131, v131, v101, 0x7fff
	v_cvt_f32_fp8_e32 v127, v127
	v_cndmask_b32_e64 v84, v92, v84, s4
	v_add3_u32 v103, v103, v30, 0x7fff
	v_bfe_u32 v92, v70, 16, 1
	s_wait_alu 0xf1ff
	v_cndmask_b32_e64 v101, v131, v132, s33
	v_or_b32_e32 v131, 0x400000, v30
	v_lshrrev_b32_e32 v9, 24, v9
	v_cvt_f32_fp8_e32 v83, v83
	v_mul_f32_e32 v93, s70, v93
	v_cndmask_b32_e64 v85, v85, v86, s9
	v_cndmask_b32_e64 v30, v103, v131, s16
	v_bfe_u32 v103, v28, 8, 8
	v_bfe_u32 v28, v28, 16, 8
	v_mul_f32_e32 v127, s70, v127
	v_cndmask_b32_e64 v75, v94, v75, s6
	v_or_b32_e32 v94, 0x400000, v70
	v_cvt_f32_fp8_e32 v103, v103
	v_cvt_f32_fp8_e32 v28, v28
	v_add3_u32 v92, v92, v70, 0x7fff
	v_cmp_u_f32_e64 s4, v70, v70
	s_delay_alu instid0(VALU_DEP_4) | instskip(NEXT) | instid1(VALU_DEP_4)
	v_dual_mul_f32 v103, s70, v103 :: v_dual_and_b32 v30, 0xffff0000, v30
	v_mul_f32_e32 v28, s70, v28
	v_bfe_u32 v86, v127, 16, 1
	v_cvt_f32_fp8_e32 v9, v9
	v_cndmask_b32_e64 v88, v95, v88, s11
	v_bfe_u32 v131, v103, 16, 1
	v_or_b32_e32 v132, 0x400000, v103
	v_cmp_u_f32_e64 s16, v103, v103
	v_bfe_u32 v105, v28, 16, 1
	v_cndmask_b32_e64 v76, v96, v76, s14
	v_add3_u32 v131, v131, v103, 0x7fff
	v_or_b32_e32 v96, 0x400000, v127
	v_add3_u32 v86, v86, v127, 0x7fff
	v_add3_u32 v105, v105, v28, 0x7fff
	s_wait_alu 0xf1ff
	v_cndmask_b32_e64 v70, v92, v94, s4
	v_cndmask_b32_e64 v103, v131, v132, s16
	v_or_b32_e32 v131, 0x400000, v28
	v_cmp_u_f32_e64 s16, v28, v28
	v_cmp_u_f32_e64 s4, v127, v127
	v_and_b32_e32 v94, 0xffff0000, v104
	v_bfe_u32 v95, v93, 16, 1
	v_cndmask_b32_e64 v108, v108, v109, s19
	s_wait_alu 0xf1ff
	v_cndmask_b32_e64 v28, v105, v131, s16
	v_mul_f32_e32 v83, s70, v83
	v_mul_f32_e32 v9, s70, v9
	v_cndmask_b32_e64 v87, v87, v97, s7
	v_cndmask_b32_e64 v89, v89, v98, s28
	v_or_b32_e32 v98, 0x400000, v93
	v_add3_u32 v95, v95, v93, 0x7fff
	v_cndmask_b32_e64 v86, v86, v96, s4
	v_cmp_u_f32_e64 s4, v93, v93
	v_and_b32_e32 v28, 0xffff0000, v28
	v_bfe_u32 v97, v83, 16, 1
	v_cndmask_b32_e64 v10, v129, v10, s27
	v_cndmask_b32_e64 v90, v90, v91, s30
	;; [unrolled: 1-line block ×3, first 2 shown]
	v_or_b32_e32 v78, 0x400000, v83
	v_add3_u32 v97, v97, v83, 0x7fff
	s_wait_alu 0xf1ff
	v_cndmask_b32_e64 v92, v95, v98, s4
	v_cmp_u_f32_e64 s4, v83, v83
	v_and_b32_e32 v96, 0xffff0000, v108
	v_bfe_u32 v91, v9, 16, 1
	v_cndmask_b32_e64 v79, v130, v79, s8
	v_cndmask_b32_e64 v99, v99, v100, s31
	v_or_b32_e32 v100, 0x400000, v9
	s_wait_alu 0xf1ff
	v_cndmask_b32_e64 v78, v97, v78, s4
	v_add3_u32 v91, v91, v9, 0x7fff
	v_cmp_u_f32_e64 s4, v9, v9
	v_and_b32_e32 v10, 0xffff0000, v10
	v_and_b32_e32 v83, 0xffff0000, v101
	;; [unrolled: 1-line block ×3, first 2 shown]
	v_cndmask_b32_e64 v106, v106, v107, s18
	s_wait_alu 0xf1ff
	v_cndmask_b32_e64 v9, v91, v100, s4
	v_dual_mul_f32 v52, v52, v83 :: v_dual_and_b32 v91, 0xffff0000, v102
	v_and_b32_e32 v81, 0xffff0000, v81
	v_dual_mul_f32 v30, v73, v30 :: v_dual_and_b32 v93, 0xffff0000, v103
	s_delay_alu instid0(VALU_DEP_3) | instskip(SKIP_2) | instid1(VALU_DEP_4)
	v_dual_mul_f32 v51, v51, v94 :: v_dual_fmac_f32 v52, v50, v91
	v_and_b32_e32 v105, 0xff, v74
	v_cndmask_b32_e64 v110, v110, v111, s20
	v_fmac_f32_e32 v30, v71, v93
	v_cndmask_b32_e64 v112, v112, v113, s21
	v_and_b32_e32 v73, 0xffff0000, v75
	v_cvt_f32_fp8_e32 v105, v105
	v_and_b32_e32 v75, 0xffff0000, v88
	v_and_b32_e32 v85, 0xffff0000, v85
	v_and_b32_e32 v50, 0xffff0000, v76
	v_cndmask_b32_e64 v114, v114, v115, s22
	v_mul_f32_e32 v105, s70, v105
	v_cndmask_b32_e64 v116, v116, v117, s23
	v_cndmask_b32_e64 v121, v121, v122, s25
	;; [unrolled: 1-line block ×3, first 2 shown]
	s_wait_dscnt 0x0
	v_lshlrev_b32_e32 v122, 16, v2
	v_bfe_u32 v107, v105, 16, 1
	v_or_b32_e32 v131, 0x400000, v105
	v_cmp_u_f32_e64 s16, v105, v105
	v_cndmask_b32_e64 v120, v120, v123, s12
	v_and_b32_e32 v84, 0xffff0000, v84
	v_add3_u32 v107, v107, v105, 0x7fff
	v_cndmask_b32_e64 v118, v118, v119, s24
	v_dual_fmac_f32 v51, v48, v28 :: v_dual_and_b32 v100, 0xffff0000, v110
	v_cndmask_b32_e64 v80, v128, v80, s5
	s_wait_alu 0xf1ff
	v_cndmask_b32_e64 v105, v107, v131, s16
	v_bfe_u32 v107, v74, 8, 8
	v_lshrrev_b32_e32 v74, 24, v74
	v_fmac_f32_e32 v51, v46, v100
	v_cmp_gt_i32_e64 s4, 32, v26
	v_and_b32_e32 v97, 0xffff0000, v105
	v_cvt_f32_fp8_e32 v107, v107
	v_cvt_f32_fp8_e32 v74, v74
	v_and_b32_e32 v105, 0xffff0000, v114
	v_lshlrev_b32_e32 v126, 16, v4
	s_delay_alu instid0(VALU_DEP_4) | instskip(NEXT) | instid1(VALU_DEP_4)
	v_dual_fmac_f32 v52, v49, v97 :: v_dual_mul_f32 v107, s70, v107
	v_mul_f32_e32 v74, s70, v74
	v_and_b32_e32 v110, 0xffff0000, v121
	s_delay_alu instid0(VALU_DEP_3) | instskip(SKIP_2) | instid1(VALU_DEP_3)
	v_bfe_u32 v109, v107, 16, 1
	v_or_b32_e32 v131, 0x400000, v107
	v_cmp_u_f32_e64 s16, v107, v107
	v_add3_u32 v109, v109, v107, 0x7fff
	s_wait_alu 0xf1ff
	s_delay_alu instid0(VALU_DEP_1) | instskip(NEXT) | instid1(VALU_DEP_1)
	v_cndmask_b32_e64 v107, v109, v131, s16
	v_and_b32_e32 v98, 0xffff0000, v107
	s_delay_alu instid0(VALU_DEP_1) | instskip(NEXT) | instid1(VALU_DEP_1)
	v_dual_fmac_f32 v30, v69, v98 :: v_dual_and_b32 v109, 0xff, v29
	v_cvt_f32_fp8_e32 v109, v109
	s_delay_alu instid0(VALU_DEP_1) | instskip(NEXT) | instid1(VALU_DEP_1)
	v_mul_f32_e32 v109, s70, v109
	v_bfe_u32 v111, v109, 16, 1
	v_or_b32_e32 v131, 0x400000, v109
	v_cmp_u_f32_e64 s16, v109, v109
	s_delay_alu instid0(VALU_DEP_3) | instskip(SKIP_1) | instid1(VALU_DEP_1)
	v_add3_u32 v111, v111, v109, 0x7fff
	s_wait_alu 0xf1ff
	v_cndmask_b32_e64 v109, v111, v131, s16
	v_bfe_u32 v111, v29, 8, 8
	v_lshrrev_b32_e32 v29, 24, v29
	s_delay_alu instid0(VALU_DEP_2) | instskip(NEXT) | instid1(VALU_DEP_2)
	v_cvt_f32_fp8_e32 v111, v111
	v_cvt_f32_fp8_e32 v29, v29
	s_delay_alu instid0(VALU_DEP_2) | instskip(NEXT) | instid1(VALU_DEP_2)
	v_mul_f32_e32 v111, s70, v111
	v_mul_f32_e32 v29, s70, v29
	v_and_b32_e32 v101, 0xffff0000, v109
	v_and_b32_e32 v109, 0xffff0000, v118
	s_delay_alu instid0(VALU_DEP_4)
	v_bfe_u32 v131, v111, 16, 1
	v_or_b32_e32 v132, 0x400000, v111
	v_cmp_u_f32_e64 s16, v111, v111
	v_bfe_u32 v113, v29, 16, 1
	v_fmac_f32_e32 v52, v47, v101
	v_add3_u32 v131, v131, v111, 0x7fff
	s_delay_alu instid0(VALU_DEP_3) | instskip(SKIP_1) | instid1(VALU_DEP_2)
	v_add3_u32 v113, v113, v29, 0x7fff
	s_wait_alu 0xf1ff
	v_cndmask_b32_e64 v111, v131, v132, s16
	v_bfe_u32 v131, v74, 16, 1
	v_or_b32_e32 v132, 0x400000, v74
	v_cmp_u_f32_e64 s16, v74, v74
	s_delay_alu instid0(VALU_DEP_4) | instskip(NEXT) | instid1(VALU_DEP_4)
	v_and_b32_e32 v102, 0xffff0000, v111
	v_add3_u32 v131, v131, v74, 0x7fff
	s_delay_alu instid0(VALU_DEP_2) | instskip(SKIP_1) | instid1(VALU_DEP_2)
	v_dual_fmac_f32 v30, v68, v102 :: v_dual_and_b32 v111, 0xffff0000, v120
	s_wait_alu 0xf1ff
	v_cndmask_b32_e64 v74, v131, v132, s16
	v_or_b32_e32 v131, 0x400000, v29
	v_cmp_u_f32_e64 s16, v29, v29
	v_fmac_f32_e32 v30, v66, v105
	s_delay_alu instid0(VALU_DEP_4) | instskip(SKIP_1) | instid1(VALU_DEP_3)
	v_and_b32_e32 v74, 0xffff0000, v74
	s_wait_alu 0xf1ff
	v_cndmask_b32_e64 v29, v113, v131, s16
	v_and_b32_e32 v113, 0xff, v31
	v_bfe_u32 v31, v31, 16, 8
	s_delay_alu instid0(VALU_DEP_2) | instskip(NEXT) | instid1(VALU_DEP_2)
	v_cvt_f32_fp8_e32 v113, v113
	v_cvt_f32_fp8_e32 v31, v31
	s_delay_alu instid0(VALU_DEP_2) | instskip(NEXT) | instid1(VALU_DEP_2)
	v_mul_f32_e32 v113, s70, v113
	v_mul_f32_e32 v31, s70, v31
	s_delay_alu instid0(VALU_DEP_2) | instskip(SKIP_2) | instid1(VALU_DEP_4)
	v_bfe_u32 v131, v113, 16, 1
	v_or_b32_e32 v132, 0x400000, v113
	v_cmp_u_f32_e64 s16, v113, v113
	v_bfe_u32 v115, v31, 16, 1
	s_delay_alu instid0(VALU_DEP_4) | instskip(NEXT) | instid1(VALU_DEP_2)
	v_add3_u32 v131, v131, v113, 0x7fff
	v_add3_u32 v115, v115, v31, 0x7fff
	s_wait_alu 0xf1ff
	s_delay_alu instid0(VALU_DEP_2) | instskip(SKIP_3) | instid1(VALU_DEP_1)
	v_cndmask_b32_e64 v113, v131, v132, s16
	v_or_b32_e32 v131, 0x400000, v31
	v_cmp_u_f32_e64 s16, v31, v31
	s_wait_alu 0xf1ff
	v_cndmask_b32_e64 v31, v115, v131, s16
	v_and_b32_e32 v115, 0xff, v32
	s_delay_alu instid0(VALU_DEP_1) | instskip(NEXT) | instid1(VALU_DEP_1)
	v_cvt_f32_fp8_e32 v115, v115
	v_mul_f32_e32 v115, s70, v115
	s_delay_alu instid0(VALU_DEP_1) | instskip(SKIP_2) | instid1(VALU_DEP_3)
	v_bfe_u32 v117, v115, 16, 1
	v_or_b32_e32 v131, 0x400000, v115
	v_cmp_u_f32_e64 s16, v115, v115
	v_add3_u32 v117, v117, v115, 0x7fff
	s_wait_alu 0xf1ff
	s_delay_alu instid0(VALU_DEP_1) | instskip(SKIP_2) | instid1(VALU_DEP_3)
	v_cndmask_b32_e64 v115, v117, v131, s16
	v_bfe_u32 v117, v32, 8, 8
	v_lshrrev_b32_e32 v32, 24, v32
	v_and_b32_e32 v107, 0xffff0000, v115
	s_delay_alu instid0(VALU_DEP_3) | instskip(NEXT) | instid1(VALU_DEP_3)
	v_cvt_f32_fp8_e32 v117, v117
	v_cvt_f32_fp8_e32 v32, v32
	s_delay_alu instid0(VALU_DEP_1) | instskip(NEXT) | instid1(VALU_DEP_1)
	v_dual_mul_f32 v117, s70, v117 :: v_dual_mul_f32 v32, s70, v32
	v_bfe_u32 v131, v117, 16, 1
	v_or_b32_e32 v132, 0x400000, v117
	v_cmp_u_f32_e64 s16, v117, v117
	s_delay_alu instid0(VALU_DEP_4) | instskip(NEXT) | instid1(VALU_DEP_4)
	v_bfe_u32 v119, v32, 16, 1
	v_add3_u32 v131, v131, v117, 0x7fff
	s_delay_alu instid0(VALU_DEP_2) | instskip(SKIP_1) | instid1(VALU_DEP_2)
	v_add3_u32 v119, v119, v32, 0x7fff
	s_wait_alu 0xf1ff
	v_cndmask_b32_e64 v117, v131, v132, s16
	v_or_b32_e32 v131, 0x400000, v32
	v_cmp_u_f32_e64 s16, v32, v32
	s_delay_alu instid0(VALU_DEP_3) | instskip(SKIP_2) | instid1(VALU_DEP_3)
	v_and_b32_e32 v108, 0xffff0000, v117
	v_lshlrev_b32_e32 v123, 16, v3
	s_wait_alu 0xf1ff
	v_cndmask_b32_e64 v32, v119, v131, s16
	s_delay_alu instid0(VALU_DEP_3) | instskip(NEXT) | instid1(VALU_DEP_1)
	v_fmac_f32_e32 v30, v64, v108
	v_fmac_f32_e32 v30, v62, v111
	s_delay_alu instid0(VALU_DEP_1) | instskip(NEXT) | instid1(VALU_DEP_1)
	v_dual_fmac_f32 v30, v60, v79 :: v_dual_and_b32 v95, 0xffff0000, v106
	v_fmac_f32_e32 v30, v58, v84
	s_delay_alu instid0(VALU_DEP_2) | instskip(NEXT) | instid1(VALU_DEP_1)
	v_dual_mul_f32 v71, v72, v95 :: v_dual_and_b32 v2, 0xffff0000, v2
	v_dual_fmac_f32 v30, v56, v50 :: v_dual_fmac_f32 v71, v67, v96
	v_and_b32_e32 v104, 0xffff0000, v113
	v_and_b32_e32 v113, 0xffff0000, v125
	s_delay_alu instid0(VALU_DEP_3) | instskip(NEXT) | instid1(VALU_DEP_3)
	v_fmac_f32_e32 v71, v65, v74
	v_dual_fmac_f32 v52, v45, v104 :: v_dual_lshlrev_b32 v119, 16, v1
	s_delay_alu instid0(VALU_DEP_1) | instskip(NEXT) | instid1(VALU_DEP_1)
	v_dual_fmac_f32 v52, v43, v107 :: v_dual_and_b32 v1, 0xffff0000, v1
	v_dual_fmac_f32 v52, v41, v110 :: v_dual_and_b32 v3, 0xffff0000, v3
	s_delay_alu instid0(VALU_DEP_1) | instskip(NEXT) | instid1(VALU_DEP_1)
	v_fmac_f32_e32 v52, v39, v10
	v_fmac_f32_e32 v52, v37, v81
	s_delay_alu instid0(VALU_DEP_1) | instskip(NEXT) | instid1(VALU_DEP_1)
	v_dual_fmac_f32 v52, v35, v75 :: v_dual_and_b32 v29, 0xffff0000, v29
	v_dual_fmac_f32 v71, v63, v29 :: v_dual_and_b32 v32, 0xffff0000, v32
	v_and_b32_e32 v29, 0xffff0000, v77
	s_delay_alu instid0(VALU_DEP_1) | instskip(SKIP_1) | instid1(VALU_DEP_2)
	v_dual_fmac_f32 v30, v1, v29 :: v_dual_and_b32 v103, 0xffff0000, v112
	v_and_b32_e32 v31, 0xffff0000, v31
	v_dual_fmac_f32 v51, v44, v103 :: v_dual_and_b32 v106, 0xffff0000, v116
	v_and_b32_e32 v1, 0xffff0000, v78
	s_delay_alu instid0(VALU_DEP_2) | instskip(NEXT) | instid1(VALU_DEP_3)
	v_fmac_f32_e32 v71, v61, v106
	v_dual_fmac_f32 v51, v42, v31 :: v_dual_and_b32 v112, 0xffff0000, v124
	v_and_b32_e32 v31, 0xffff0000, v99
	s_delay_alu instid0(VALU_DEP_3) | instskip(NEXT) | instid1(VALU_DEP_3)
	v_fmac_f32_e32 v71, v59, v32
	v_dual_fmac_f32 v51, v40, v109 :: v_dual_and_b32 v80, 0xffff0000, v80
	s_delay_alu instid0(VALU_DEP_2) | instskip(NEXT) | instid1(VALU_DEP_2)
	v_dual_fmac_f32 v71, v57, v113 :: v_dual_and_b32 v82, 0xffff0000, v82
	v_dual_fmac_f32 v51, v38, v112 :: v_dual_and_b32 v28, 0xffff0000, v87
	s_delay_alu instid0(VALU_DEP_2) | instskip(NEXT) | instid1(VALU_DEP_2)
	v_fmac_f32_e32 v71, v55, v82
	v_dual_fmac_f32 v51, v36, v80 :: v_dual_and_b32 v44, 0xffff0000, v90
	s_delay_alu instid0(VALU_DEP_2) | instskip(NEXT) | instid1(VALU_DEP_2)
	v_fmac_f32_e32 v71, v54, v73
	v_fmac_f32_e32 v51, v34, v85
	v_and_b32_e32 v46, 0xffff0000, v89
	s_delay_alu instid0(VALU_DEP_4) | instskip(NEXT) | instid1(VALU_DEP_3)
	v_fmac_f32_e32 v52, v119, v44
	v_dual_fmac_f32 v51, v33, v28 :: v_dual_and_b32 v10, 0xffff0000, v70
	s_delay_alu instid0(VALU_DEP_3) | instskip(NEXT) | instid1(VALU_DEP_2)
	v_dual_fmac_f32 v71, v53, v46 :: v_dual_and_b32 v34, 0xffff0000, v92
	v_dual_fmac_f32 v51, v122, v31 :: v_dual_and_b32 v32, 0xffff0000, v86
	s_delay_alu instid0(VALU_DEP_2) | instskip(NEXT) | instid1(VALU_DEP_3)
	v_dual_fmac_f32 v30, v3, v34 :: v_dual_and_b32 v3, 0xffff0000, v4
	v_dual_fmac_f32 v71, v2, v10 :: v_dual_and_b32 v2, 0xffff0000, v9
	s_delay_alu instid0(VALU_DEP_3) | instskip(SKIP_1) | instid1(VALU_DEP_3)
	v_dual_fmac_f32 v51, v126, v1 :: v_dual_fmac_f32 v52, v123, v32
	v_cndmask_b32_e64 v4, v13, v26, s4
	v_fmac_f32_e32 v71, v3, v2
	s_delay_alu instid0(VALU_DEP_2) | instskip(NEXT) | instid1(VALU_DEP_1)
	v_dual_add_f32 v1, v52, v30 :: v_dual_lshlrev_b32 v2, 2, v4
	v_add_f32_e32 v1, v1, v51
	s_delay_alu instid0(VALU_DEP_1)
	v_add_f32_e32 v1, v71, v1
	ds_bpermute_b32 v2, v2, v1
	s_and_saveexec_b32 s5, s3
	s_cbranch_execz .LBB334_11
; %bb.19:                               ;   in Loop: Header=BB334_13 Depth=1
	s_wait_dscnt 0x0
	v_add_f32_e32 v1, v1, v2
	v_add_nc_u32_e32 v3, v23, v22
	s_delay_alu instid0(VALU_DEP_1) | instskip(NEXT) | instid1(VALU_DEP_1)
	v_cvt_f32_i32_e32 v3, v3
	v_mul_f32_e32 v3, s62, v3
	s_delay_alu instid0(VALU_DEP_1) | instskip(NEXT) | instid1(VALU_DEP_1)
	v_dual_cndmask_b32 v2, 0, v3 :: v_dual_max_num_f32 v3, v20, v20
	v_dual_fmac_f32 v2, s55, v1 :: v_dual_add_nc_u32 v1, v14, v22
	s_delay_alu instid0(VALU_DEP_1) | instskip(NEXT) | instid1(VALU_DEP_2)
	v_max_num_f32_e32 v3, v3, v2
	v_cmp_gt_i32_e64 s4, s57, v1
	s_wait_alu 0xf1ff
	s_delay_alu instid0(VALU_DEP_1) | instskip(NEXT) | instid1(VALU_DEP_3)
	v_cndmask_b32_e64 v1, 0, v2, s4
	v_cndmask_b32_e64 v20, v20, v3, s4
	ds_store_b32 v24, v1
	s_branch .LBB334_11
.LBB334_20:
	s_or_b32 exec_lo, exec_lo, s67
.LBB334_21:
	s_delay_alu instid0(SALU_CYCLE_1)
	s_or_b32 exec_lo, exec_lo, s64
	v_xor_b32_e32 v1, 16, v13
	s_wait_dscnt 0x0
	v_xor_b32_e32 v2, 8, v13
	s_clause 0x2
	s_load_b128 s[4:7], s[0:1], 0x0
	s_load_b64 s[8:9], s[0:1], 0x10
	s_load_b64 s[12:13], s[0:1], 0x28
	v_lshlrev_b32_e32 v7, 2, v17
	v_cmp_gt_i32_e32 vcc_lo, 32, v1
	s_wait_alu 0xfffd
	v_cndmask_b32_e32 v1, v13, v1, vcc_lo
	v_cmp_gt_i32_e32 vcc_lo, 32, v2
	s_wait_alu 0xfffd
	v_dual_max_num_f32 v5, v20, v20 :: v_dual_cndmask_b32 v2, v13, v2
	s_delay_alu instid0(VALU_DEP_1) | instskip(SKIP_4) | instid1(VALU_DEP_1)
	v_lshlrev_b32_e32 v4, 2, v2
	v_lshlrev_b32_e32 v3, 2, v1
	ds_bpermute_b32 v1, v3, v20
	s_wait_dscnt 0x0
	v_dual_max_num_f32 v1, v1, v1 :: v_dual_and_b32 v20, 31, v0
	v_max_num_f32_e32 v1, v5, v1
	v_xor_b32_e32 v5, 4, v13
	ds_bpermute_b32 v2, v4, v1
	v_cmp_gt_i32_e32 vcc_lo, 32, v5
	s_wait_dscnt 0x0
	s_wait_alu 0xfffd
	v_dual_cndmask_b32 v5, v13, v5 :: v_dual_max_num_f32 v2, v2, v2
	s_delay_alu instid0(VALU_DEP_1) | instskip(SKIP_1) | instid1(VALU_DEP_3)
	v_lshlrev_b32_e32 v6, 2, v5
	v_xor_b32_e32 v5, 2, v13
	v_max_num_f32_e32 v1, v1, v2
	s_delay_alu instid0(VALU_DEP_2)
	v_cmp_gt_i32_e32 vcc_lo, 32, v5
	ds_bpermute_b32 v2, v6, v1
	s_wait_alu 0xfffd
	v_cndmask_b32_e32 v5, v13, v5, vcc_lo
	v_cmp_eq_u32_e32 vcc_lo, 0, v20
	s_wait_dscnt 0x0
	v_max_num_f32_e32 v2, v2, v2
	s_delay_alu instid0(VALU_DEP_1)
	v_dual_max_num_f32 v1, v1, v2 :: v_dual_lshlrev_b32 v2, 2, v5
	ds_bpermute_b32 v5, v2, v1
	s_and_saveexec_b32 s0, vcc_lo
	s_cbranch_execz .LBB334_23
; %bb.22:
	s_wait_dscnt 0x0
	v_max_num_f32_e32 v5, v5, v5
	v_max_num_f32_e32 v1, v1, v1
	s_delay_alu instid0(VALU_DEP_1)
	v_max_num_f32_e32 v1, v1, v5
	ds_store_b32 v7, v1 offset:192
.LBB334_23:
	s_or_b32 exec_lo, exec_lo, s0
	v_cmp_gt_u32_e64 s0, 4, v20
	v_dual_mov_b32 v1, 0xff7fffff :: v_dual_lshlrev_b32 v8, 2, v20
	s_wait_loadcnt_dscnt 0x0
	s_barrier_signal -1
	s_barrier_wait -1
	global_inv scope:SCOPE_SE
	s_and_saveexec_b32 s1, s0
; %bb.24:
	ds_load_b32 v1, v8 offset:192
; %bb.25:
	s_or_b32 exec_lo, exec_lo, s1
	s_wait_dscnt 0x0
	ds_bpermute_b32 v5, v2, v1
	v_xor_b32_e32 v9, 1, v13
	v_max_num_f32_e32 v1, v1, v1
	s_delay_alu instid0(VALU_DEP_2) | instskip(NEXT) | instid1(VALU_DEP_1)
	v_cmp_gt_i32_e64 s1, 32, v9
	v_cndmask_b32_e64 v9, v13, v9, s1
	s_sub_co_i32 s1, s40, s63
	s_wait_alu 0xfffe
	s_lshl_b32 s1, s1, 4
	s_delay_alu instid0(VALU_DEP_1)
	v_lshlrev_b32_e32 v21, 2, v9
	v_mov_b32_e32 v9, 0
	s_wait_alu 0xfffe
	s_add_co_i32 s1, s1, s61
	s_wait_alu 0xfffe
	s_min_i32 s1, s1, s57
	s_wait_dscnt 0x0
	v_max_num_f32_e32 v5, v5, v5
	s_wait_alu 0xfffe
	s_sub_co_i32 s10, s1, s61
	s_wait_alu 0xfffe
	v_cmp_gt_i32_e64 s1, s10, v0
	v_max_num_f32_e32 v1, v1, v5
	ds_bpermute_b32 v5, v21, v1
	s_wait_dscnt 0x0
	v_max_num_f32_e32 v5, v5, v5
	s_delay_alu instid0(VALU_DEP_1)
	v_max_num_f32_e32 v1, v1, v5
	v_lshl_add_u32 v5, v0, 2, 0xe0
	ds_bpermute_b32 v1, v9, v1
	s_and_saveexec_b32 s11, s1
	s_cbranch_execz .LBB334_29
; %bb.26:
	v_lshl_add_u32 v10, v0, 2, 0xe0
	v_mov_b32_e32 v9, 0
	v_mov_b32_e32 v13, v0
	s_mov_b32 s14, 0
.LBB334_27:                             ; =>This Inner Loop Header: Depth=1
	ds_load_b32 v14, v10
	v_add_nc_u32_e32 v13, 0x80, v13
	s_delay_alu instid0(VALU_DEP_1) | instskip(SKIP_4) | instid1(VALU_DEP_1)
	v_cmp_le_i32_e64 s3, s10, v13
	s_wait_alu 0xfffe
	s_or_b32 s14, s3, s14
	s_wait_dscnt 0x0
	v_sub_f32_e32 v14, v14, v1
	v_mul_f32_e32 v14, 0x3fb8aa3b, v14
	s_delay_alu instid0(VALU_DEP_1)
	v_exp_f32_e32 v14, v14
	ds_store_b32 v10, v14
	v_add_f32_e32 v9, v9, v14
	v_add_nc_u32_e32 v10, 0x200, v10
	s_wait_alu 0xfffe
	s_and_not1_b32 exec_lo, exec_lo, s14
	s_cbranch_execnz .LBB334_27
; %bb.28:
	s_or_b32 exec_lo, exec_lo, s14
.LBB334_29:
	s_wait_alu 0xfffe
	s_or_b32 exec_lo, exec_lo, s11
	ds_bpermute_b32 v3, v3, v9
	s_wait_dscnt 0x0
	v_add_f32_e32 v3, v9, v3
	ds_bpermute_b32 v4, v4, v3
	s_wait_dscnt 0x0
	v_add_f32_e32 v3, v3, v4
	ds_bpermute_b32 v4, v6, v3
	s_wait_dscnt 0x0
	v_add_f32_e32 v3, v3, v4
	ds_bpermute_b32 v4, v2, v3
	s_wait_dscnt 0x0
	v_add_f32_e32 v3, v3, v4
	ds_bpermute_b32 v4, v21, v3
	s_wait_dscnt 0x0
	v_add_f32_e32 v3, v3, v4
	s_and_saveexec_b32 s3, vcc_lo
; %bb.30:
	ds_store_b32 v7, v3 offset:208
; %bb.31:
	s_wait_alu 0xfffe
	s_or_b32 exec_lo, exec_lo, s3
	s_wait_loadcnt_dscnt 0x0
	s_barrier_signal -1
	s_barrier_wait -1
	global_inv scope:SCOPE_SE
	s_and_saveexec_b32 s3, s0
; %bb.32:
	ds_load_b32 v3, v8 offset:208
; %bb.33:
	s_wait_alu 0xfffe
	s_or_b32 exec_lo, exec_lo, s3
	s_wait_dscnt 0x0
	ds_bpermute_b32 v2, v2, v3
	s_wait_dscnt 0x0
	v_add_f32_e32 v2, v3, v2
	ds_bpermute_b32 v3, v21, v2
	s_wait_dscnt 0x0
	v_dual_add_f32 v2, v2, v3 :: v_dual_mov_b32 v3, 0
	ds_bpermute_b32 v2, v3, v2
	s_and_saveexec_b32 s0, s1
	s_cbranch_execz .LBB334_36
; %bb.34:
	s_wait_dscnt 0x0
	v_add_f32_e32 v3, 0x358637bd, v2
	s_mov_b32 s1, 0
	s_delay_alu instid0(VALU_DEP_1) | instskip(SKIP_1) | instid1(VALU_DEP_2)
	v_div_scale_f32 v4, null, v3, v3, 1.0
	v_div_scale_f32 v8, vcc_lo, 1.0, v3, 1.0
	v_rcp_f32_e32 v6, v4
	s_delay_alu instid0(TRANS32_DEP_1) | instskip(NEXT) | instid1(VALU_DEP_1)
	v_fma_f32 v7, -v4, v6, 1.0
	v_fmac_f32_e32 v6, v7, v6
	s_delay_alu instid0(VALU_DEP_1) | instskip(NEXT) | instid1(VALU_DEP_1)
	v_mul_f32_e32 v7, v8, v6
	v_fma_f32 v9, -v4, v7, v8
	s_delay_alu instid0(VALU_DEP_1) | instskip(NEXT) | instid1(VALU_DEP_1)
	v_fmac_f32_e32 v7, v9, v6
	v_fma_f32 v4, -v4, v7, v8
	s_wait_alu 0xfffd
	s_delay_alu instid0(VALU_DEP_1) | instskip(NEXT) | instid1(VALU_DEP_1)
	v_div_fmas_f32 v4, v4, v6, v7
	v_div_fixup_f32 v3, v4, v3, 1.0
	v_mov_b32_e32 v4, v0
.LBB334_35:                             ; =>This Inner Loop Header: Depth=1
	ds_load_b32 v6, v5
	v_add_nc_u32_e32 v4, 0x80, v4
	s_delay_alu instid0(VALU_DEP_1)
	v_cmp_le_i32_e32 vcc_lo, s10, v4
	s_wait_alu 0xfffe
	s_or_b32 s1, vcc_lo, s1
	s_wait_dscnt 0x0
	v_mul_f32_e32 v6, v3, v6
	ds_store_b32 v5, v6
	v_add_nc_u32_e32 v5, 0x200, v5
	s_wait_alu 0xfffe
	s_and_not1_b32 exec_lo, exec_lo, s1
	s_cbranch_execnz .LBB334_35
.LBB334_36:
	s_wait_alu 0xfffe
	s_or_b32 exec_lo, exec_lo, s0
	s_mul_i32 s0, s35, s59
	s_wait_loadcnt_dscnt 0x0
	s_wait_alu 0xfffe
	s_mul_i32 s10, s0, s60
	s_mov_b32 s0, exec_lo
	s_barrier_signal -1
	s_barrier_wait -1
	global_inv scope:SCOPE_SE
	v_cmpx_eq_u32_e32 0, v0
	s_cbranch_execz .LBB334_38
; %bb.37:
	s_wait_alu 0xfffe
	s_ashr_i32 s11, s10, 31
	s_mul_i32 s14, s35, ttmp9
	s_lshl_b32 s1, s56, 2
	s_wait_alu 0xfffe
	s_lshl_b64 s[16:17], s[10:11], 2
	s_ashr_i32 s15, s14, 31
	v_mov_b32_e32 v3, s1
	s_wait_kmcnt 0x0
	s_wait_alu 0xfffe
	s_add_nc_u64 s[6:7], s[6:7], s[16:17]
	s_lshl_b64 s[14:15], s[14:15], 2
	s_add_nc_u64 s[4:5], s[4:5], s[16:17]
	s_wait_alu 0xfffe
	s_add_nc_u64 s[6:7], s[6:7], s[14:15]
	s_add_nc_u64 s[4:5], s[4:5], s[14:15]
	s_clause 0x1
	global_store_b32 v3, v1, s[6:7]
	global_store_b32 v3, v2, s[4:5]
.LBB334_38:
	s_wait_alu 0xfffe
	s_or_b32 exec_lo, exec_lo, s0
	v_dual_mov_b32 v27, 0 :: v_dual_mov_b32 v26, 0
	v_dual_mov_b32 v25, 0 :: v_dual_mov_b32 v24, 0
	;; [unrolled: 1-line block ×3, first 2 shown]
	s_and_saveexec_b32 s1, s2
	s_cbranch_execz .LBB334_56
; %bb.39:
	s_abs_i32 s2, s42
	v_dual_mov_b32 v22, 0 :: v_dual_lshlrev_b32 v3, 5, v16
	s_wait_alu 0xfffe
	s_cvt_f32_u32 s0, s2
	s_wait_kmcnt 0x0
	s_lshl_b64 s[6:7], s[52:53], 2
	v_dual_mov_b32 v25, 0 :: v_dual_and_b32 v2, 0xf8, v11
	s_wait_alu 0xfffe
	v_rcp_iflag_f32_e32 v1, s0
	s_ashr_i32 s47, s46, 31
	s_add_nc_u64 s[6:7], s[50:51], s[6:7]
	s_wait_alu 0xfffe
	s_add_nc_u64 s[12:13], s[12:13], s[46:47]
	v_add_co_u32 v9, s6, s6, v12
	s_sub_co_i32 s5, 0, s2
	v_dual_mov_b32 v23, 0 :: v_dual_and_b32 v28, 8, v11
	v_add_co_ci_u32_e64 v10, null, s7, 0, s6
	s_delay_alu instid0(TRANS32_DEP_1)
	v_readfirstlane_b32 s0, v1
	v_lshl_or_b32 v1, v17, 6, v3
	s_wait_alu 0xfffe
	v_add_co_u32 v11, s6, s12, v2
	s_wait_alu 0xf1ff
	v_add_co_ci_u32_e64 v12, null, s13, 0, s6
	s_mul_f32 s0, s0, 0x4f7ffffe
	v_dual_mov_b32 v24, 0 :: v_dual_add_nc_u32 v29, 0xe0, v1
	v_dual_mov_b32 v26, 0 :: v_dual_mov_b32 v27, 0
	s_wait_alu 0xfffe
	s_cvt_u32_f32 s0, s0
	s_sub_co_i32 s3, s54, s41
	s_mov_b32 s4, s45
	s_add_co_i32 s49, s49, -1
	s_wait_alu 0xfffe
	s_mul_i32 s5, s5, s0
	s_wait_alu 0xfffe
	s_mul_hi_u32 s6, s0, s5
	s_mov_b32 s5, 0
	s_wait_alu 0xfffe
	s_add_co_i32 s6, s0, s6
	s_branch .LBB334_42
.LBB334_40:                             ;   in Loop: Header=BB334_42 Depth=1
	s_wait_alu 0xfffe
	s_or_b32 exec_lo, exec_lo, s0
	s_wait_dscnt 0x1
	v_bfe_u32 v46, v5, 16, 1
	v_or_b32_e32 v47, 0x400000, v5
	v_bfe_u32 v48, v6, 16, 1
	v_cmp_u_f32_e32 vcc_lo, v5, v5
	v_bfe_u32 v49, v7, 16, 1
	v_add3_u32 v46, v46, v5, 0x7fff
	v_or_b32_e32 v50, 0x400000, v6
	v_add3_u32 v48, v48, v6, 0x7fff
	v_or_b32_e32 v51, 0x400000, v7
	v_add3_u32 v49, v49, v7, 0x7fff
	s_wait_alu 0xfffd
	v_cndmask_b32_e32 v5, v46, v47, vcc_lo
	v_cmp_u_f32_e32 vcc_lo, v6, v6
	v_bfe_u32 v46, v8, 16, 1
	s_wait_dscnt 0x0
	v_bfe_u32 v47, v1, 16, 1
	v_lshlrev_b32_e32 v68, 16, v68
	v_lshlrev_b32_e32 v58, 16, v58
	s_wait_alu 0xfffd
	v_cndmask_b32_e32 v6, v48, v50, vcc_lo
	v_cmp_u_f32_e32 vcc_lo, v7, v7
	v_add3_u32 v46, v46, v8, 0x7fff
	v_or_b32_e32 v48, 0x400000, v8
	v_add3_u32 v47, v47, v1, 0x7fff
	v_bfe_u32 v50, v2, 16, 1
	s_wait_alu 0xfffd
	v_cndmask_b32_e32 v7, v49, v51, vcc_lo
	v_cmp_u_f32_e32 vcc_lo, v8, v8
	v_or_b32_e32 v49, 0x400000, v1
	v_lshlrev_b32_e32 v54, 16, v54
	v_lshlrev_b32_e32 v44, 16, v44
	;; [unrolled: 1-line block ×3, first 2 shown]
	s_wait_alu 0xfffd
	v_cndmask_b32_e32 v8, v46, v48, vcc_lo
	v_cmp_u_f32_e32 vcc_lo, v1, v1
	v_or_b32_e32 v48, 0x400000, v2
	v_and_b32_e32 v1, 0xffff0000, v6
	v_lshlrev_b32_e32 v32, 16, v32
	v_lshlrev_b32_e32 v30, 16, v30
	s_wait_alu 0xfffd
	v_cndmask_b32_e32 v46, v47, v49, vcc_lo
	v_add3_u32 v47, v50, v2, 0x7fff
	v_bfe_u32 v49, v3, 16, 1
	v_cmp_u_f32_e32 vcc_lo, v2, v2
	v_lshlrev_b32_e32 v6, 16, v83
	v_lshlrev_b32_e32 v14, 16, v14
	v_and_b32_e32 v7, 0xffff0000, v7
	v_add3_u32 v2, v49, v3, 0x7fff
	s_wait_alu 0xfffd
	v_cndmask_b32_e32 v47, v47, v48, vcc_lo
	v_or_b32_e32 v48, 0x400000, v3
	v_bfe_u32 v49, v4, 16, 1
	v_mul_f32_e32 v50, v1, v6
	v_and_b32_e32 v6, 0xffff0000, v5
	v_cmp_u_f32_e32 vcc_lo, v3, v3
	v_lshlrev_b32_e32 v5, 16, v82
	v_add3_u32 v3, v49, v4, 0x7fff
	v_or_b32_e32 v49, 0x400000, v4
	v_dual_mul_f32 v34, v7, v34 :: v_dual_lshlrev_b32 v33, 16, v33
	s_wait_alu 0xfffd
	v_cndmask_b32_e32 v48, v2, v48, vcc_lo
	v_mul_f32_e32 v5, v6, v5
	v_bfe_u32 v51, v50, 16, 1
	v_cmp_u_f32_e32 vcc_lo, v4, v4
	v_lshlrev_b32_e32 v41, 16, v41
	v_lshlrev_b32_e32 v37, 16, v37
	;; [unrolled: 1-line block ×3, first 2 shown]
	s_wait_alu 0xfffd
	v_dual_cndmask_b32 v4, v3, v49 :: v_dual_lshlrev_b32 v43, 16, v43
	v_add3_u32 v3, v51, v50, 0x7fff
	v_or_b32_e32 v49, 0x400000, v50
	v_cmp_u_f32_e32 vcc_lo, v50, v50
	v_and_b32_e32 v2, 0xffff0000, v8
	v_lshlrev_b32_e32 v8, 16, v81
	v_bfe_u32 v51, v5, 16, 1
	v_lshlrev_b32_e32 v35, 16, v35
	s_wait_alu 0xfffd
	v_cndmask_b32_e32 v49, v3, v49, vcc_lo
	v_dual_mul_f32 v52, v2, v8 :: v_dual_and_b32 v3, 0xffff0000, v47
	v_add3_u32 v50, v51, v5, 0x7fff
	v_or_b32_e32 v51, 0x400000, v5
	v_cmp_u_f32_e32 vcc_lo, v5, v5
	v_and_b32_e32 v49, 0xffff0000, v49
	v_bfe_u32 v56, v52, 16, 1
	v_dual_mul_f32 v33, v3, v33 :: v_dual_lshlrev_b32 v42, 16, v42
	s_wait_alu 0xfffd
	v_cndmask_b32_e32 v47, v50, v51, vcc_lo
	v_or_b32_e32 v50, 0x400000, v52
	v_add3_u32 v5, v56, v52, 0x7fff
	v_cmp_u_f32_e32 vcc_lo, v52, v52
	s_delay_alu instid0(VALU_DEP_4) | instskip(SKIP_3) | instid1(VALU_DEP_3)
	v_dual_mul_f32 v44, v6, v44 :: v_dual_and_b32 v47, 0xffff0000, v47
	v_dual_mul_f32 v42, v7, v42 :: v_dual_lshlrev_b32 v69, 16, v69
	s_wait_alu 0xfffd
	v_dual_cndmask_b32 v50, v5, v50 :: v_dual_and_b32 v5, 0xffff0000, v48
	v_dual_add_f32 v47, v47, v49 :: v_dual_lshlrev_b32 v48, 16, v76
	v_lshlrev_b32_e32 v36, 16, v36
	s_delay_alu instid0(VALU_DEP_3) | instskip(SKIP_4) | instid1(VALU_DEP_3)
	v_and_b32_e32 v50, 0xffff0000, v50
	v_and_b32_e32 v4, 0xffff0000, v4
	v_lshlrev_b32_e32 v8, 16, v80
	v_mul_f32_e32 v48, v5, v48
	v_dual_mul_f32 v30, v5, v30 :: v_dual_lshlrev_b32 v59, 16, v59
	v_dual_mul_f32 v77, v4, v77 :: v_dual_mul_f32 v80, v7, v8
	v_lshlrev_b32_e32 v8, 16, v79
	s_delay_alu instid0(VALU_DEP_4)
	v_bfe_u32 v81, v48, 16, 1
	v_lshlrev_b32_e32 v55, 16, v55
	v_lshlrev_b32_e32 v53, 16, v53
	v_bfe_u32 v51, v80, 16, 1
	v_or_b32_e32 v52, 0x400000, v80
	v_cmp_u_f32_e32 vcc_lo, v80, v80
	v_lshlrev_b32_e32 v45, 16, v45
	v_mul_f32_e32 v53, v5, v53
	v_add3_u32 v51, v51, v80, 0x7fff
	v_bfe_u32 v80, v77, 16, 1
	v_mul_f32_e32 v43, v2, v43
	v_mul_f32_e32 v45, v1, v45
	;; [unrolled: 1-line block ×3, first 2 shown]
	s_wait_alu 0xfffd
	v_cndmask_b32_e32 v51, v51, v52, vcc_lo
	v_mul_f32_e32 v56, v3, v8
	v_and_b32_e32 v8, 0xffff0000, v46
	v_lshlrev_b32_e32 v39, 16, v39
	v_mul_f32_e32 v37, v1, v37
	v_and_b32_e32 v51, 0xffff0000, v51
	v_cmp_u_f32_e32 vcc_lo, v56, v56
	v_mul_f32_e32 v35, v2, v35
	v_lshlrev_b32_e32 v13, 16, v13
	s_delay_alu instid0(VALU_DEP_4) | instskip(SKIP_4) | instid1(VALU_DEP_4)
	v_add_f32_e32 v49, v51, v50
	v_lshlrev_b32_e32 v46, 16, v78
	v_bfe_u32 v78, v56, 16, 1
	v_mul_f32_e32 v54, v4, v54
	v_mul_f32_e32 v39, v4, v39
	v_dual_add_f32 v47, v49, v47 :: v_dual_mul_f32 v46, v8, v46
	s_delay_alu instid0(VALU_DEP_4) | instskip(SKIP_1) | instid1(VALU_DEP_3)
	v_add3_u32 v76, v78, v56, 0x7fff
	v_or_b32_e32 v78, 0x400000, v56
	v_bfe_u32 v52, v46, 16, 1
	v_or_b32_e32 v79, 0x400000, v46
	s_wait_alu 0xfffd
	s_delay_alu instid0(VALU_DEP_3)
	v_cndmask_b32_e32 v56, v76, v78, vcc_lo
	v_cmp_u_f32_e32 vcc_lo, v46, v46
	v_add3_u32 v76, v81, v48, 0x7fff
	v_add3_u32 v52, v52, v46, 0x7fff
	v_or_b32_e32 v78, 0x400000, v48
	v_and_b32_e32 v50, 0xffff0000, v56
	v_lshlrev_b32_e32 v56, 16, v72
	s_wait_alu 0xfffd
	v_cndmask_b32_e32 v46, v52, v79, vcc_lo
	v_cmp_u_f32_e32 vcc_lo, v48, v48
	v_add3_u32 v52, v80, v77, 0x7fff
	v_or_b32_e32 v79, 0x400000, v77
	s_wait_alu 0xfffd
	v_cndmask_b32_e32 v48, v76, v78, vcc_lo
	v_cmp_u_f32_e32 vcc_lo, v77, v77
	s_wait_alu 0xfffd
	s_delay_alu instid0(VALU_DEP_2) | instskip(SKIP_3) | instid1(VALU_DEP_4)
	v_dual_cndmask_b32 v51, v52, v79 :: v_dual_and_b32 v48, 0xffff0000, v48
	v_mul_f32_e32 v55, v8, v55
	v_dual_mul_f32 v32, v8, v32 :: v_dual_lshlrev_b32 v31, 16, v31
	v_lshlrev_b32_e32 v40, 16, v40
	v_and_b32_e32 v49, 0xffff0000, v51
	v_lshlrev_b32_e32 v51, 16, v74
	s_delay_alu instid0(VALU_DEP_4) | instskip(NEXT) | instid1(VALU_DEP_4)
	v_dual_mul_f32 v31, v4, v31 :: v_dual_and_b32 v46, 0xffff0000, v46
	v_mul_f32_e32 v40, v8, v40
	s_delay_alu instid0(VALU_DEP_2) | instskip(SKIP_1) | instid1(VALU_DEP_2)
	v_add_f32_e32 v46, v46, v50
	v_lshlrev_b32_e32 v50, 16, v75
	v_dual_add_f32 v46, v46, v47 :: v_dual_add_f32 v47, v48, v49
	s_delay_alu instid0(VALU_DEP_2) | instskip(NEXT) | instid1(VALU_DEP_2)
	v_dual_mul_f32 v48, v1, v50 :: v_dual_mul_f32 v49, v6, v51
	v_dual_add_f32 v46, v47, v46 :: v_dual_lshlrev_b32 v51, 16, v73
	s_delay_alu instid0(VALU_DEP_2) | instskip(NEXT) | instid1(VALU_DEP_3)
	v_bfe_u32 v47, v48, 16, 1
	v_bfe_u32 v50, v49, 16, 1
	v_cmp_u_f32_e32 vcc_lo, v48, v48
	s_delay_alu instid0(VALU_DEP_4)
	v_mul_f32_e32 v51, v2, v51
	v_add_f32_e32 v23, v23, v46
	v_add3_u32 v46, v47, v48, 0x7fff
	v_or_b32_e32 v47, 0x400000, v48
	v_add3_u32 v50, v50, v49, 0x7fff
	v_or_b32_e32 v52, 0x400000, v49
	s_wait_alu 0xfffd
	s_delay_alu instid0(VALU_DEP_3)
	v_cndmask_b32_e32 v46, v46, v47, vcc_lo
	v_cmp_u_f32_e32 vcc_lo, v49, v49
	v_bfe_u32 v47, v51, 16, 1
	v_dual_mul_f32 v49, v7, v56 :: v_dual_lshlrev_b32 v56, 16, v70
	s_wait_alu 0xfffd
	v_cndmask_b32_e32 v48, v50, v52, vcc_lo
	v_lshlrev_b32_e32 v50, 16, v71
	v_add3_u32 v47, v47, v51, 0x7fff
	v_or_b32_e32 v52, 0x400000, v51
	v_bfe_u32 v70, v49, 16, 1
	v_cmp_u_f32_e32 vcc_lo, v51, v51
	v_dual_mul_f32 v50, v3, v50 :: v_dual_mul_f32 v51, v8, v56
	v_or_b32_e32 v56, 0x400000, v49
	s_wait_alu 0xfffd
	v_cndmask_b32_e32 v47, v47, v52, vcc_lo
	v_add3_u32 v52, v70, v49, 0x7fff
	v_bfe_u32 v70, v50, 16, 1
	v_cmp_u_f32_e32 vcc_lo, v49, v49
	v_bfe_u32 v71, v51, 16, 1
	v_and_b32_e32 v47, 0xffff0000, v47
	v_and_b32_e32 v48, 0xffff0000, v48
	s_wait_alu 0xfffd
	v_cndmask_b32_e32 v49, v52, v56, vcc_lo
	v_add3_u32 v52, v70, v50, 0x7fff
	v_mul_f32_e32 v56, v4, v69
	v_or_b32_e32 v69, 0x400000, v50
	v_cmp_u_f32_e32 vcc_lo, v50, v50
	v_and_b32_e32 v49, 0xffff0000, v49
	v_add3_u32 v70, v71, v51, 0x7fff
	v_or_b32_e32 v71, 0x400000, v51
	v_and_b32_e32 v46, 0xffff0000, v46
	s_wait_alu 0xfffd
	v_cndmask_b32_e32 v50, v52, v69, vcc_lo
	v_mul_f32_e32 v52, v5, v68
	v_cmp_u_f32_e32 vcc_lo, v51, v51
	v_dual_add_f32 v47, v49, v47 :: v_dual_mul_f32 v4, v4, v13
	s_delay_alu instid0(VALU_DEP_4)
	v_and_b32_e32 v49, 0xffff0000, v50
	v_bfe_u32 v72, v56, 16, 1
	s_wait_alu 0xfffd
	v_cndmask_b32_e32 v51, v70, v71, vcc_lo
	v_or_b32_e32 v69, 0x400000, v56
	v_bfe_u32 v70, v52, 16, 1
	v_cmp_u_f32_e32 vcc_lo, v56, v56
	v_add3_u32 v68, v72, v56, 0x7fff
	v_lshlrev_b32_e32 v50, 16, v61
	s_wait_alu 0xfffd
	s_delay_alu instid0(VALU_DEP_2)
	v_cndmask_b32_e32 v56, v68, v69, vcc_lo
	v_add3_u32 v68, v70, v52, 0x7fff
	v_or_b32_e32 v69, 0x400000, v52
	v_cmp_u_f32_e32 vcc_lo, v52, v52
	v_add_f32_e32 v46, v48, v46
	v_and_b32_e32 v48, 0xffff0000, v51
	v_dual_mul_f32 v50, v1, v50 :: v_dual_lshlrev_b32 v51, 16, v60
	s_wait_alu 0xfffd
	v_cndmask_b32_e32 v52, v68, v69, vcc_lo
	s_delay_alu instid0(VALU_DEP_3) | instskip(NEXT) | instid1(VALU_DEP_3)
	v_dual_add_f32 v46, v47, v46 :: v_dual_add_f32 v47, v48, v49
	v_dual_mul_f32 v48, v6, v51 :: v_dual_and_b32 v51, 0xffff0000, v56
	s_delay_alu instid0(VALU_DEP_3) | instskip(SKIP_1) | instid1(VALU_DEP_4)
	v_and_b32_e32 v49, 0xffff0000, v52
	v_bfe_u32 v52, v50, 16, 1
	v_add_f32_e32 v46, v47, v46
	s_delay_alu instid0(VALU_DEP_4)
	v_bfe_u32 v56, v48, 16, 1
	v_cmp_u_f32_e32 vcc_lo, v50, v50
	v_add_f32_e32 v47, v49, v51
	v_add3_u32 v49, v52, v50, 0x7fff
	v_or_b32_e32 v51, 0x400000, v50
	v_add3_u32 v52, v56, v48, 0x7fff
	v_mul_f32_e32 v56, v2, v59
	v_or_b32_e32 v59, 0x400000, v48
	v_bfe_u32 v60, v54, 16, 1
	s_wait_alu 0xfffd
	v_cndmask_b32_e32 v49, v49, v51, vcc_lo
	v_cmp_u_f32_e32 vcc_lo, v48, v48
	v_bfe_u32 v50, v56, 16, 1
	v_mul_f32_e32 v51, v7, v58
	s_wait_alu 0xfffd
	v_dual_cndmask_b32 v48, v52, v59 :: v_dual_and_b32 v49, 0xffff0000, v49
	v_lshlrev_b32_e32 v52, 16, v57
	v_add3_u32 v50, v50, v56, 0x7fff
	v_or_b32_e32 v57, 0x400000, v56
	v_bfe_u32 v58, v51, 16, 1
	v_cmp_u_f32_e32 vcc_lo, v56, v56
	v_mul_f32_e32 v52, v3, v52
	v_bfe_u32 v59, v55, 16, 1
	v_and_b32_e32 v48, 0xffff0000, v48
	v_add3_u32 v56, v58, v51, 0x7fff
	s_wait_alu 0xfffd
	v_cndmask_b32_e32 v50, v50, v57, vcc_lo
	v_or_b32_e32 v57, 0x400000, v51
	v_bfe_u32 v58, v52, 16, 1
	v_cmp_u_f32_e32 vcc_lo, v51, v51
	v_add_f32_e32 v48, v48, v49
	s_wait_alu 0xfffd
	v_dual_cndmask_b32 v51, v56, v57 :: v_dual_and_b32 v50, 0xffff0000, v50
	v_add3_u32 v56, v58, v52, 0x7fff
	v_or_b32_e32 v57, 0x400000, v52
	v_cmp_u_f32_e32 vcc_lo, v52, v52
	v_add3_u32 v58, v59, v55, 0x7fff
	v_or_b32_e32 v59, 0x400000, v55
	s_wait_alu 0xfffd
	v_dual_cndmask_b32 v52, v56, v57 :: v_dual_and_b32 v51, 0xffff0000, v51
	v_cmp_u_f32_e32 vcc_lo, v55, v55
	v_add3_u32 v56, v60, v54, 0x7fff
	v_or_b32_e32 v57, 0x400000, v54
	s_delay_alu instid0(VALU_DEP_4)
	v_add_f32_e32 v49, v51, v50
	v_and_b32_e32 v51, 0xffff0000, v52
	s_wait_alu 0xfffd
	v_cndmask_b32_e32 v55, v58, v59, vcc_lo
	v_bfe_u32 v58, v53, 16, 1
	v_cmp_u_f32_e32 vcc_lo, v54, v54
	v_add_f32_e32 v48, v49, v48
	s_delay_alu instid0(VALU_DEP_4)
	v_and_b32_e32 v50, 0xffff0000, v55
	s_wait_alu 0xfffd
	v_cndmask_b32_e32 v54, v56, v57, vcc_lo
	v_add3_u32 v56, v58, v53, 0x7fff
	v_or_b32_e32 v57, 0x400000, v53
	v_cmp_u_f32_e32 vcc_lo, v53, v53
	v_add_f32_e32 v49, v50, v51
	v_and_b32_e32 v51, 0xffff0000, v54
	v_or_b32_e32 v53, 0x400000, v44
	v_bfe_u32 v54, v43, 16, 1
	s_wait_alu 0xfffd
	v_cndmask_b32_e32 v52, v56, v57, vcc_lo
	v_cmp_u_f32_e32 vcc_lo, v45, v45
	s_delay_alu instid0(VALU_DEP_2) | instskip(SKIP_1) | instid1(VALU_DEP_2)
	v_and_b32_e32 v50, 0xffff0000, v52
	v_bfe_u32 v52, v45, 16, 1
	v_add_f32_e32 v50, v50, v51
	s_delay_alu instid0(VALU_DEP_2) | instskip(SKIP_2) | instid1(VALU_DEP_1)
	v_add3_u32 v51, v52, v45, 0x7fff
	v_or_b32_e32 v52, 0x400000, v45
	s_wait_alu 0xfffd
	v_cndmask_b32_e32 v45, v51, v52, vcc_lo
	v_cmp_u_f32_e32 vcc_lo, v44, v44
	v_or_b32_e32 v51, 0x400000, v43
	v_bfe_u32 v52, v42, 16, 1
	s_delay_alu instid0(VALU_DEP_4) | instskip(SKIP_1) | instid1(VALU_DEP_1)
	v_dual_add_f32 v48, v49, v48 :: v_dual_and_b32 v45, 0xffff0000, v45
	v_bfe_u32 v49, v44, 16, 1
	v_add3_u32 v49, v49, v44, 0x7fff
	s_wait_alu 0xfffd
	s_delay_alu instid0(VALU_DEP_1)
	v_cndmask_b32_e32 v44, v49, v53, vcc_lo
	v_add3_u32 v49, v54, v43, 0x7fff
	v_cmp_u_f32_e32 vcc_lo, v43, v43
	v_bfe_u32 v53, v40, 16, 1
	v_bfe_u32 v54, v39, 16, 1
	s_wait_alu 0xfffd
	v_cndmask_b32_e32 v43, v49, v51, vcc_lo
	v_add3_u32 v49, v52, v42, 0x7fff
	v_or_b32_e32 v51, 0x400000, v42
	v_bfe_u32 v52, v41, 16, 1
	v_cmp_u_f32_e32 vcc_lo, v42, v42
	v_and_b32_e32 v43, 0xffff0000, v43
	s_wait_alu 0xfffd
	v_cndmask_b32_e32 v42, v49, v51, vcc_lo
	v_add3_u32 v49, v52, v41, 0x7fff
	v_or_b32_e32 v51, 0x400000, v41
	v_cmp_u_f32_e32 vcc_lo, v41, v41
	v_add3_u32 v52, v53, v40, 0x7fff
	v_or_b32_e32 v53, 0x400000, v40
	s_wait_alu 0xfffd
	v_dual_cndmask_b32 v41, v49, v51 :: v_dual_and_b32 v42, 0xffff0000, v42
	v_cmp_u_f32_e32 vcc_lo, v40, v40
	v_add3_u32 v49, v54, v39, 0x7fff
	v_or_b32_e32 v51, 0x400000, v39
	s_delay_alu instid0(VALU_DEP_4) | instskip(SKIP_4) | instid1(VALU_DEP_2)
	v_dual_add_f32 v42, v42, v43 :: v_dual_and_b32 v41, 0xffff0000, v41
	s_wait_alu 0xfffd
	v_cndmask_b32_e32 v40, v52, v53, vcc_lo
	v_cmp_u_f32_e32 vcc_lo, v39, v39
	s_wait_alu 0xfffd
	v_dual_cndmask_b32 v39, v49, v51 :: v_dual_and_b32 v40, 0xffff0000, v40
	s_delay_alu instid0(VALU_DEP_1) | instskip(SKIP_2) | instid1(VALU_DEP_2)
	v_dual_add_f32 v40, v40, v41 :: v_dual_and_b32 v39, 0xffff0000, v39
	v_and_b32_e32 v44, 0xffff0000, v44
	v_bfe_u32 v41, v37, 16, 1
	v_add_f32_e32 v44, v44, v45
	s_delay_alu instid0(VALU_DEP_2) | instskip(NEXT) | instid1(VALU_DEP_2)
	v_add3_u32 v41, v41, v37, 0x7fff
	v_add_f32_e32 v42, v42, v44
	v_or_b32_e32 v44, 0x400000, v35
	v_lshlrev_b32_e32 v38, 16, v38
	s_delay_alu instid0(VALU_DEP_3) | instskip(SKIP_1) | instid1(VALU_DEP_3)
	v_add_f32_e32 v40, v40, v42
	v_or_b32_e32 v42, 0x400000, v37
	v_mul_f32_e32 v38, v5, v38
	v_dual_mul_f32 v5, v5, v14 :: v_dual_mul_f32 v36, v6, v36
	s_delay_alu instid0(VALU_DEP_2) | instskip(SKIP_2) | instid1(VALU_DEP_3)
	v_bfe_u32 v49, v38, 16, 1
	v_or_b32_e32 v45, 0x400000, v38
	v_cmp_u_f32_e32 vcc_lo, v38, v38
	v_add3_u32 v43, v49, v38, 0x7fff
	s_wait_alu 0xfffd
	s_delay_alu instid0(VALU_DEP_1)
	v_cndmask_b32_e32 v38, v43, v45, vcc_lo
	v_bfe_u32 v43, v36, 16, 1
	v_cmp_u_f32_e32 vcc_lo, v37, v37
	s_wait_alu 0xfffd
	v_cndmask_b32_e32 v37, v41, v42, vcc_lo
	v_bfe_u32 v41, v35, 16, 1
	v_add3_u32 v42, v43, v36, 0x7fff
	v_or_b32_e32 v43, 0x400000, v36
	v_cmp_u_f32_e32 vcc_lo, v36, v36
	v_and_b32_e32 v37, 0xffff0000, v37
	v_add3_u32 v41, v41, v35, 0x7fff
	s_wait_alu 0xfffd
	v_cndmask_b32_e32 v36, v42, v43, vcc_lo
	v_bfe_u32 v42, v34, 16, 1
	v_cmp_u_f32_e32 vcc_lo, v35, v35
	v_or_b32_e32 v43, 0x400000, v34
	s_delay_alu instid0(VALU_DEP_3)
	v_add3_u32 v42, v42, v34, 0x7fff
	s_wait_alu 0xfffd
	v_cndmask_b32_e32 v35, v41, v44, vcc_lo
	v_bfe_u32 v41, v33, 16, 1
	v_cmp_u_f32_e32 vcc_lo, v34, v34
	v_or_b32_e32 v44, 0x400000, v33
	s_delay_alu instid0(VALU_DEP_4) | instskip(NEXT) | instid1(VALU_DEP_4)
	v_and_b32_e32 v35, 0xffff0000, v35
	v_add3_u32 v41, v41, v33, 0x7fff
	s_wait_alu 0xfffd
	v_cndmask_b32_e32 v34, v42, v43, vcc_lo
	v_bfe_u32 v42, v32, 16, 1
	v_cmp_u_f32_e32 vcc_lo, v33, v33
	v_bfe_u32 v43, v31, 16, 1
	s_wait_alu 0xfffd
	v_dual_cndmask_b32 v33, v41, v44 :: v_dual_and_b32 v34, 0xffff0000, v34
	v_add3_u32 v41, v42, v32, 0x7fff
	v_or_b32_e32 v42, 0x400000, v32
	v_cmp_u_f32_e32 vcc_lo, v32, v32
	v_add3_u32 v43, v43, v31, 0x7fff
	v_and_b32_e32 v33, 0xffff0000, v33
	v_or_b32_e32 v44, 0x400000, v31
	v_add_f32_e32 v34, v34, v35
	s_wait_alu 0xfffd
	v_cndmask_b32_e32 v32, v41, v42, vcc_lo
	v_cmp_u_f32_e32 vcc_lo, v31, v31
	v_bfe_u32 v41, v30, 16, 1
	v_lshlrev_b32_e32 v35, 16, v66
	v_or_b32_e32 v42, 0x400000, v30
	v_and_b32_e32 v32, 0xffff0000, v32
	s_wait_alu 0xfffd
	v_cndmask_b32_e32 v31, v43, v44, vcc_lo
	v_lshlrev_b32_e32 v43, 16, v67
	v_add3_u32 v41, v41, v30, 0x7fff
	v_cmp_u_f32_e32 vcc_lo, v30, v30
	v_add_f32_e32 v32, v32, v33
	s_delay_alu instid0(VALU_DEP_4) | instskip(SKIP_2) | instid1(VALU_DEP_2)
	v_dual_mul_f32 v6, v6, v43 :: v_dual_lshlrev_b32 v33, 16, v65
	v_mul_f32_e32 v1, v1, v35
	s_wait_alu 0xfffd
	v_dual_cndmask_b32 v30, v41, v42 :: v_dual_mul_f32 v7, v7, v33
	v_lshlrev_b32_e32 v33, 16, v64
	v_cmp_u_f32_e32 vcc_lo, v6, v6
	s_delay_alu instid0(VALU_DEP_2) | instskip(NEXT) | instid1(VALU_DEP_1)
	v_dual_mul_f32 v2, v2, v33 :: v_dual_lshlrev_b32 v33, 16, v63
	v_dual_mul_f32 v8, v8, v33 :: v_dual_lshlrev_b32 v33, 16, v62
	v_and_b32_e32 v36, 0xffff0000, v36
	s_delay_alu instid0(VALU_DEP_2) | instskip(NEXT) | instid1(VALU_DEP_3)
	v_or_b32_e32 v13, 0x400000, v8
	v_mul_f32_e32 v3, v3, v33
	s_delay_alu instid0(VALU_DEP_3) | instskip(SKIP_1) | instid1(VALU_DEP_3)
	v_add_f32_e32 v36, v36, v37
	v_bfe_u32 v37, v1, 16, 1
	v_bfe_u32 v33, v3, 16, 1
	s_delay_alu instid0(VALU_DEP_3) | instskip(SKIP_1) | instid1(VALU_DEP_3)
	v_add_f32_e32 v34, v34, v36
	v_bfe_u32 v36, v6, 16, 1
	v_add3_u32 v14, v33, v3, 0x7fff
	v_or_b32_e32 v33, 0x400000, v3
	s_delay_alu instid0(VALU_DEP_3) | instskip(SKIP_2) | instid1(VALU_DEP_1)
	v_add3_u32 v35, v36, v6, 0x7fff
	v_or_b32_e32 v36, 0x400000, v6
	s_wait_alu 0xfffd
	v_cndmask_b32_e32 v6, v35, v36, vcc_lo
	v_add3_u32 v35, v37, v1, 0x7fff
	v_or_b32_e32 v36, 0x400000, v1
	v_bfe_u32 v37, v7, 16, 1
	v_cmp_u_f32_e32 vcc_lo, v1, v1
	v_and_b32_e32 v38, 0xffff0000, v38
	s_wait_alu 0xfffd
	v_dual_cndmask_b32 v1, v35, v36 :: v_dual_and_b32 v6, 0xffff0000, v6
	v_add3_u32 v35, v37, v7, 0x7fff
	v_or_b32_e32 v36, 0x400000, v7
	v_bfe_u32 v37, v2, 16, 1
	v_cmp_u_f32_e32 vcc_lo, v7, v7
	v_and_b32_e32 v1, 0xffff0000, v1
	s_wait_alu 0xfffd
	v_cndmask_b32_e32 v7, v35, v36, vcc_lo
	v_add3_u32 v35, v37, v2, 0x7fff
	v_or_b32_e32 v36, 0x400000, v2
	v_bfe_u32 v37, v8, 16, 1
	v_cmp_u_f32_e32 vcc_lo, v2, v2
	v_and_b32_e32 v7, 0xffff0000, v7
	s_wait_alu 0xfffd
	v_dual_add_f32 v1, v6, v1 :: v_dual_cndmask_b32 v2, v35, v36
	v_add3_u32 v35, v37, v8, 0x7fff
	v_cmp_u_f32_e32 vcc_lo, v8, v8
	v_bfe_u32 v37, v4, 16, 1
	v_bfe_u32 v36, v5, 16, 1
	v_and_b32_e32 v2, 0xffff0000, v2
	s_wait_alu 0xfffd
	v_cndmask_b32_e32 v8, v35, v13, vcc_lo
	v_cmp_u_f32_e32 vcc_lo, v3, v3
	v_add3_u32 v13, v36, v5, 0x7fff
	v_or_b32_e32 v35, 0x400000, v5
	v_add_f32_e32 v2, v7, v2
	s_wait_alu 0xfffd
	v_dual_cndmask_b32 v3, v14, v33 :: v_dual_and_b32 v6, 0xffff0000, v8
	v_add3_u32 v14, v37, v4, 0x7fff
	v_or_b32_e32 v33, 0x400000, v4
	v_cmp_u_f32_e32 vcc_lo, v4, v4
	v_and_b32_e32 v7, 0xffff0000, v31
	v_and_b32_e32 v3, 0xffff0000, v3
	v_add_f32_e32 v1, v2, v1
	s_wait_alu 0xfffd
	v_cndmask_b32_e32 v4, v14, v33, vcc_lo
	v_cmp_u_f32_e32 vcc_lo, v5, v5
	v_add_f32_e32 v2, v6, v3
	v_and_b32_e32 v30, 0xffff0000, v30
	s_delay_alu instid0(VALU_DEP_4) | instskip(SKIP_4) | instid1(VALU_DEP_3)
	v_and_b32_e32 v3, 0xffff0000, v4
	s_wait_alu 0xfffd
	v_cndmask_b32_e32 v5, v13, v35, vcc_lo
	v_add_f32_e32 v1, v2, v1
	v_dual_add_f32 v7, v30, v7 :: v_dual_add_f32 v6, v32, v34
	v_dual_add_f32 v5, v38, v39 :: v_dual_and_b32 v4, 0xffff0000, v5
	s_delay_alu instid0(VALU_DEP_2) | instskip(NEXT) | instid1(VALU_DEP_2)
	v_add_f32_e32 v6, v7, v6
	v_dual_add_f32 v2, v4, v3 :: v_dual_add_f32 v3, v47, v46
	v_add_f32_e32 v4, v50, v48
	s_delay_alu instid0(VALU_DEP_4) | instskip(NEXT) | instid1(VALU_DEP_4)
	v_add_f32_e32 v5, v5, v40
	v_add_f32_e32 v27, v27, v6
	s_delay_alu instid0(VALU_DEP_4) | instskip(NEXT) | instid1(VALU_DEP_3)
	v_dual_add_f32 v1, v2, v1 :: v_dual_add_f32 v24, v24, v3
	v_dual_add_f32 v25, v25, v4 :: v_dual_add_f32 v26, v26, v5
	s_delay_alu instid0(VALU_DEP_2)
	v_add_f32_e32 v22, v22, v1
.LBB334_41:                             ;   in Loop: Header=BB334_42 Depth=1
	s_wait_alu 0xfffe
	s_or_b32 exec_lo, exec_lo, s7
	v_add_nc_u32_e32 v19, 4, v19
	v_add_co_u32 v9, s0, v9, 16
	s_wait_alu 0xf1ff
	v_add_co_ci_u32_e64 v10, null, 0, v10, s0
	s_delay_alu instid0(VALU_DEP_3)
	v_cmp_le_i32_e32 vcc_lo, s40, v19
	v_add_nc_u32_e32 v18, 64, v18
	v_add_nc_u32_e32 v29, 0x100, v29
	s_or_b32 s5, vcc_lo, s5
	s_wait_alu 0xfffe
	s_and_not1_b32 exec_lo, exec_lo, s5
	s_cbranch_execz .LBB334_55
.LBB334_42:                             ; =>This Inner Loop Header: Depth=1
	v_sub_nc_u32_e32 v1, 0, v18
	s_delay_alu instid0(VALU_DEP_1) | instskip(NEXT) | instid1(VALU_DEP_1)
	v_max_i32_e32 v1, v18, v1
	v_mul_hi_u32 v2, v1, s48
	s_delay_alu instid0(VALU_DEP_1) | instskip(NEXT) | instid1(VALU_DEP_1)
	v_mul_lo_u32 v3, v2, s44
	v_sub_nc_u32_e32 v1, v1, v3
	v_add_nc_u32_e32 v3, 1, v2
	s_delay_alu instid0(VALU_DEP_2) | instskip(SKIP_2) | instid1(VALU_DEP_2)
	v_subrev_nc_u32_e32 v4, s44, v1
	v_cmp_le_u32_e32 vcc_lo, s44, v1
	s_wait_alu 0xfffd
	v_dual_cndmask_b32 v2, v2, v3 :: v_dual_cndmask_b32 v1, v1, v4
	v_ashrrev_i32_e32 v3, 31, v18
	s_delay_alu instid0(VALU_DEP_2) | instskip(NEXT) | instid1(VALU_DEP_3)
	v_add_nc_u32_e32 v4, 1, v2
	v_cmp_le_u32_e32 vcc_lo, s44, v1
	s_delay_alu instid0(VALU_DEP_3) | instskip(SKIP_1) | instid1(VALU_DEP_3)
	v_xor_b32_e32 v3, s43, v3
	s_wait_alu 0xfffd
	v_cndmask_b32_e32 v1, v2, v4, vcc_lo
	s_delay_alu instid0(VALU_DEP_1) | instskip(NEXT) | instid1(VALU_DEP_1)
	v_xor_b32_e32 v1, v1, v3
	v_sub_nc_u32_e32 v1, v1, v3
	s_delay_alu instid0(VALU_DEP_1) | instskip(SKIP_1) | instid1(VALU_DEP_2)
	v_add_nc_u32_e32 v2, s58, v1
	v_cmp_lt_i32_e64 s0, s3, v1
	v_sub_nc_u32_e32 v3, 0, v2
	s_delay_alu instid0(VALU_DEP_1) | instskip(SKIP_1) | instid1(VALU_DEP_1)
	v_max_i32_e32 v3, v2, v3
	s_wait_alu 0xfffe
	v_mul_hi_u32 v4, v3, s6
	s_delay_alu instid0(VALU_DEP_1) | instskip(NEXT) | instid1(VALU_DEP_1)
	v_mul_lo_u32 v4, v4, s2
	v_sub_nc_u32_e32 v3, v3, v4
	s_delay_alu instid0(VALU_DEP_1) | instskip(SKIP_2) | instid1(VALU_DEP_2)
	v_subrev_nc_u32_e32 v4, s2, v3
	v_cmp_le_u32_e32 vcc_lo, s2, v3
	s_wait_alu 0xfffd
	v_cndmask_b32_e32 v3, v3, v4, vcc_lo
	v_ashrrev_i32_e32 v2, 31, v2
	s_delay_alu instid0(VALU_DEP_2) | instskip(SKIP_2) | instid1(VALU_DEP_2)
	v_subrev_nc_u32_e32 v4, s2, v3
	v_cmp_le_u32_e32 vcc_lo, s2, v3
	s_wait_alu 0xfffd
	v_cndmask_b32_e32 v3, v3, v4, vcc_lo
	s_delay_alu instid0(VALU_DEP_1) | instskip(NEXT) | instid1(VALU_DEP_1)
	v_xor_b32_e32 v3, v3, v2
	v_sub_nc_u32_e32 v2, v3, v2
	s_delay_alu instid0(VALU_DEP_1)
	v_cmp_eq_u32_e32 vcc_lo, 0, v2
	s_or_b32 s0, vcc_lo, s0
	s_wait_alu 0xfffe
	s_and_saveexec_b32 s7, s0
	s_cbranch_execz .LBB334_41
; %bb.43:                               ;   in Loop: Header=BB334_42 Depth=1
	global_load_b32 v1, v[9:10], off
	v_cmp_eq_u32_e32 vcc_lo, s49, v19
	s_wait_loadcnt 0x0
	v_mad_co_i64_i32 v[13:14], null, v1, s4, v[11:12]
	global_load_b64 v[30:31], v[13:14], off
	ds_load_2addr_b64 v[5:8], v29 offset1:1
	ds_load_2addr_b64 v[1:4], v29 offset0:2 offset1:3
	s_load_b32 s11, s[38:39], 0x0
	s_wait_loadcnt 0x0
	v_and_b32_e32 v32, 0xff, v30
	v_bfe_u32 v33, v30, 8, 8
	v_bfe_u32 v34, v30, 16, 8
	v_lshrrev_b32_e32 v30, 24, v30
	v_bfe_u32 v36, v31, 8, 8
	v_cvt_f32_fp8_e32 v32, v32
	v_cvt_f32_fp8_e32 v33, v33
	v_add_nc_u32_e32 v46, v28, v18
	v_cvt_f32_fp8_e32 v34, v34
	s_wait_kmcnt 0x0
	v_dual_mul_f32 v32, s11, v32 :: v_dual_and_b32 v35, 0xff, v31
	v_mul_f32_e32 v33, s11, v33
	v_add_nc_u32_e32 v51, 2, v46
	v_cvt_f32_fp8_e32 v30, v30
	v_mul_f32_e32 v34, s11, v34
	v_bfe_u32 v38, v32, 16, 1
	v_or_b32_e32 v39, 0x400000, v32
	v_bfe_u32 v40, v33, 16, 1
	v_cmp_u_f32_e64 s0, v32, v32
	v_cvt_f32_fp8_e32 v35, v35
	v_add3_u32 v38, v38, v32, 0x7fff
	v_mul_f32_e32 v30, s11, v30
	v_or_b32_e32 v41, 0x400000, v33
	v_bfe_u32 v42, v34, 16, 1
	v_add3_u32 v40, v40, v33, 0x7fff
	s_wait_alu 0xf1ff
	v_cndmask_b32_e64 v32, v38, v39, s0
	v_cmp_u_f32_e64 s0, v33, v33
	v_dual_mul_f32 v35, s11, v35 :: v_dual_add_nc_u32 v52, 1, v46
	v_bfe_u32 v37, v31, 16, 8
	v_cvt_f32_fp8_e32 v36, v36
	v_or_b32_e32 v43, 0x400000, v34
	v_bfe_u32 v44, v30, 16, 1
	v_add3_u32 v42, v42, v34, 0x7fff
	s_wait_alu 0xf1ff
	v_cndmask_b32_e64 v33, v40, v41, s0
	v_cmp_u_f32_e64 s0, v34, v34
	v_dual_mul_f32 v36, s11, v36 :: v_dual_add_nc_u32 v49, 4, v46
	v_lshrrev_b32_e32 v31, 24, v31
	v_cvt_f32_fp8_e32 v37, v37
	v_or_b32_e32 v45, 0x400000, v30
	v_bfe_u32 v53, v35, 16, 1
	v_add3_u32 v44, v44, v30, 0x7fff
	s_wait_alu 0xf1ff
	v_cndmask_b32_e64 v34, v42, v43, s0
	v_cmp_u_f32_e64 s0, v30, v30
	v_dual_mul_f32 v37, s11, v37 :: v_dual_add_nc_u32 v50, 3, v46
	v_cvt_f32_fp8_e32 v31, v31
	v_or_b32_e32 v54, 0x400000, v35
	v_bfe_u32 v55, v36, 16, 1
	v_add3_u32 v53, v53, v35, 0x7fff
	s_wait_alu 0xf1ff
	v_cndmask_b32_e64 v30, v44, v45, s0
	v_cmp_u_f32_e64 s0, v35, v35
	v_dual_mul_f32 v31, s11, v31 :: v_dual_add_nc_u32 v48, 5, v46
	v_or_b32_e32 v56, 0x400000, v36
	v_bfe_u32 v57, v37, 16, 1
	v_add3_u32 v55, v55, v36, 0x7fff
	s_wait_alu 0xf1ff
	v_cndmask_b32_e64 v38, v53, v54, s0
	v_cmp_u_f32_e64 s0, v36, v36
	v_or_b32_e32 v58, 0x400000, v37
	v_bfe_u32 v59, v31, 16, 1
	v_add3_u32 v57, v57, v37, 0x7fff
	v_or_b32_e32 v60, 0x400000, v31
	s_wait_alu 0xf1ff
	v_cndmask_b32_e64 v39, v55, v56, s0
	v_cmp_u_f32_e64 s0, v37, v37
	v_add3_u32 v59, v59, v31, 0x7fff
	v_add_nc_u32_e32 v47, 6, v46
	v_lshrrev_b32_e32 v36, 16, v32
	v_lshrrev_b32_e32 v37, 16, v33
	s_wait_alu 0xf1ff
	v_cndmask_b32_e64 v40, v57, v58, s0
	v_cmp_u_f32_e64 s0, v31, v31
	v_lshrrev_b32_e32 v34, 16, v34
	v_lshrrev_b32_e32 v35, 16, v30
	;; [unrolled: 1-line block ×4, first 2 shown]
	s_wait_alu 0xf1ff
	v_cndmask_b32_e64 v31, v59, v60, s0
	v_lshrrev_b32_e32 v30, 16, v40
	v_add_nc_u32_e32 v56, 7, v46
	s_delay_alu instid0(VALU_DEP_3)
	v_lshrrev_b32_e32 v31, 16, v31
	s_and_saveexec_b32 s12, vcc_lo
	s_cbranch_execz .LBB334_45
; %bb.44:                               ;   in Loop: Header=BB334_42 Depth=1
	v_cmp_gt_i32_e64 s0, s57, v46
	s_wait_alu 0xf1ff
	s_delay_alu instid0(VALU_DEP_1) | instskip(SKIP_2) | instid1(VALU_DEP_1)
	v_cndmask_b32_e64 v36, 0, v36, s0
	v_cmp_gt_i32_e64 s0, s57, v52
	s_wait_alu 0xf1ff
	v_cndmask_b32_e64 v37, 0, v37, s0
	v_cmp_gt_i32_e64 s0, s57, v51
	s_wait_alu 0xf1ff
	s_delay_alu instid0(VALU_DEP_1) | instskip(SKIP_2) | instid1(VALU_DEP_1)
	v_cndmask_b32_e64 v34, 0, v34, s0
	v_cmp_gt_i32_e64 s0, s57, v50
	s_wait_alu 0xf1ff
	v_cndmask_b32_e64 v35, 0, v35, s0
	;; [unrolled: 7-line block ×4, first 2 shown]
.LBB334_45:                             ;   in Loop: Header=BB334_42 Depth=1
	s_wait_alu 0xfffe
	s_or_b32 exec_lo, exec_lo, s12
	global_load_b64 v[38:39], v[13:14], off offset:256
	s_wait_loadcnt 0x0
	v_bfe_u32 v41, v38, 8, 8
	v_bfe_u32 v42, v38, 16, 8
	;; [unrolled: 1-line block ×4, first 2 shown]
	s_delay_alu instid0(VALU_DEP_4)
	v_cvt_f32_fp8_e32 v41, v41
	v_and_b32_e32 v40, 0xff, v38
	v_lshrrev_b32_e32 v38, 24, v38
	v_cvt_f32_fp8_e32 v42, v42
	v_cvt_f32_fp8_e32 v45, v45
	v_mul_f32_e32 v41, s11, v41
	v_cvt_f32_fp8_e32 v40, v40
	v_and_b32_e32 v43, 0xff, v39
	v_cvt_f32_fp8_e32 v38, v38
	v_lshrrev_b32_e32 v39, 24, v39
	v_bfe_u32 v55, v41, 16, 1
	v_mul_f32_e32 v40, s11, v40
	v_cvt_f32_fp8_e32 v43, v43
	v_mul_f32_e32 v42, s11, v42
	v_dual_mul_f32 v38, s11, v38 :: v_dual_mul_f32 v45, s11, v45
	s_delay_alu instid0(VALU_DEP_4)
	v_bfe_u32 v53, v40, 16, 1
	v_or_b32_e32 v54, 0x400000, v40
	v_cmp_u_f32_e64 s0, v40, v40
	v_mul_f32_e32 v43, s11, v43
	v_or_b32_e32 v57, 0x400000, v41
	v_add3_u32 v53, v53, v40, 0x7fff
	v_bfe_u32 v58, v42, 16, 1
	v_add3_u32 v55, v55, v41, 0x7fff
	v_cvt_f32_fp8_e32 v44, v44
	v_or_b32_e32 v59, 0x400000, v42
	s_wait_alu 0xf1ff
	v_cndmask_b32_e64 v40, v53, v54, s0
	v_cmp_u_f32_e64 s0, v41, v41
	v_bfe_u32 v60, v38, 16, 1
	v_add3_u32 v58, v58, v42, 0x7fff
	v_cvt_f32_fp8_e32 v39, v39
	v_mul_f32_e32 v44, s11, v44
	s_wait_alu 0xf1ff
	v_cndmask_b32_e64 v41, v55, v57, s0
	v_cmp_u_f32_e64 s0, v42, v42
	v_or_b32_e32 v61, 0x400000, v38
	v_bfe_u32 v62, v43, 16, 1
	v_add3_u32 v60, v60, v38, 0x7fff
	v_mul_f32_e32 v39, s11, v39
	s_wait_alu 0xf1ff
	v_cndmask_b32_e64 v42, v58, v59, s0
	v_cmp_u_f32_e64 s0, v38, v38
	v_or_b32_e32 v63, 0x400000, v43
	v_bfe_u32 v64, v44, 16, 1
	v_add3_u32 v62, v62, v43, 0x7fff
	v_or_b32_e32 v65, 0x400000, v44
	s_wait_alu 0xf1ff
	v_cndmask_b32_e64 v38, v60, v61, s0
	v_cmp_u_f32_e64 s0, v43, v43
	v_bfe_u32 v66, v45, 16, 1
	v_add3_u32 v64, v64, v44, 0x7fff
	v_or_b32_e32 v67, 0x400000, v45
	v_bfe_u32 v68, v39, 16, 1
	s_wait_alu 0xf1ff
	v_cndmask_b32_e64 v53, v62, v63, s0
	v_cmp_u_f32_e64 s0, v44, v44
	v_add3_u32 v66, v66, v45, 0x7fff
	v_or_b32_e32 v69, 0x400000, v39
	v_add3_u32 v68, v68, v39, 0x7fff
	v_lshrrev_b32_e32 v44, 16, v40
	s_wait_alu 0xf1ff
	v_cndmask_b32_e64 v54, v64, v65, s0
	v_cmp_u_f32_e64 s0, v45, v45
	v_lshrrev_b32_e32 v45, 16, v41
	v_lshrrev_b32_e32 v42, 16, v42
	;; [unrolled: 1-line block ×4, first 2 shown]
	s_wait_alu 0xf1ff
	v_cndmask_b32_e64 v55, v66, v67, s0
	v_cmp_u_f32_e64 s0, v39, v39
	v_lshrrev_b32_e32 v41, 16, v54
	s_delay_alu instid0(VALU_DEP_3) | instskip(SKIP_1) | instid1(VALU_DEP_3)
	v_lshrrev_b32_e32 v38, 16, v55
	s_wait_alu 0xf1ff
	v_cndmask_b32_e64 v39, v68, v69, s0
	s_delay_alu instid0(VALU_DEP_1)
	v_lshrrev_b32_e32 v39, 16, v39
	s_and_saveexec_b32 s12, vcc_lo
	s_cbranch_execz .LBB334_47
; %bb.46:                               ;   in Loop: Header=BB334_42 Depth=1
	v_cmp_gt_i32_e64 s0, s57, v46
	s_wait_alu 0xf1ff
	s_delay_alu instid0(VALU_DEP_1) | instskip(SKIP_2) | instid1(VALU_DEP_1)
	v_cndmask_b32_e64 v44, 0, v44, s0
	v_cmp_gt_i32_e64 s0, s57, v52
	s_wait_alu 0xf1ff
	v_cndmask_b32_e64 v45, 0, v45, s0
	v_cmp_gt_i32_e64 s0, s57, v51
	s_wait_alu 0xf1ff
	s_delay_alu instid0(VALU_DEP_1) | instskip(SKIP_2) | instid1(VALU_DEP_1)
	v_cndmask_b32_e64 v42, 0, v42, s0
	v_cmp_gt_i32_e64 s0, s57, v50
	s_wait_alu 0xf1ff
	v_cndmask_b32_e64 v43, 0, v43, s0
	;; [unrolled: 7-line block ×4, first 2 shown]
.LBB334_47:                             ;   in Loop: Header=BB334_42 Depth=1
	s_wait_alu 0xfffe
	s_or_b32 exec_lo, exec_lo, s12
	global_load_b64 v[53:54], v[13:14], off offset:512
	s_wait_loadcnt 0x0
	v_bfe_u32 v58, v53, 16, 8
	v_bfe_u32 v60, v54, 8, 8
	;; [unrolled: 1-line block ×4, first 2 shown]
	s_delay_alu instid0(VALU_DEP_4)
	v_cvt_f32_fp8_e32 v58, v58
	v_and_b32_e32 v55, 0xff, v53
	v_cvt_f32_fp8_e32 v60, v60
	v_and_b32_e32 v59, 0xff, v54
	v_lshrrev_b32_e32 v54, 24, v54
	v_mul_f32_e32 v58, s11, v58
	v_cvt_f32_fp8_e32 v55, v55
	v_cvt_f32_fp8_e32 v57, v57
	v_lshrrev_b32_e32 v53, 24, v53
	v_cvt_f32_fp8_e32 v54, v54
	s_delay_alu instid0(VALU_DEP_4) | instskip(NEXT) | instid1(VALU_DEP_4)
	v_dual_mul_f32 v60, s11, v60 :: v_dual_mul_f32 v55, s11, v55
	v_mul_f32_e32 v57, s11, v57
	s_delay_alu instid0(VALU_DEP_4) | instskip(NEXT) | instid1(VALU_DEP_4)
	v_cvt_f32_fp8_e32 v53, v53
	v_mul_f32_e32 v54, s11, v54
	v_cvt_f32_fp8_e32 v59, v59
	v_bfe_u32 v62, v55, 16, 1
	v_or_b32_e32 v63, 0x400000, v55
	v_bfe_u32 v64, v57, 16, 1
	v_cmp_u_f32_e64 s0, v55, v55
	v_mul_f32_e32 v53, s11, v53
	v_add3_u32 v62, v62, v55, 0x7fff
	v_or_b32_e32 v65, 0x400000, v57
	v_bfe_u32 v66, v58, 16, 1
	v_add3_u32 v64, v64, v57, 0x7fff
	v_mul_f32_e32 v59, s11, v59
	s_wait_alu 0xf1ff
	v_cndmask_b32_e64 v55, v62, v63, s0
	v_cmp_u_f32_e64 s0, v57, v57
	v_or_b32_e32 v67, 0x400000, v58
	v_bfe_u32 v68, v53, 16, 1
	v_add3_u32 v66, v66, v58, 0x7fff
	v_cvt_f32_fp8_e32 v61, v61
	s_wait_alu 0xf1ff
	v_cndmask_b32_e64 v57, v64, v65, s0
	v_cmp_u_f32_e64 s0, v58, v58
	v_or_b32_e32 v69, 0x400000, v53
	v_bfe_u32 v70, v59, 16, 1
	v_add3_u32 v68, v68, v53, 0x7fff
	v_mul_f32_e32 v61, s11, v61
	s_wait_alu 0xf1ff
	v_cndmask_b32_e64 v58, v66, v67, s0
	v_cmp_u_f32_e64 s0, v53, v53
	v_or_b32_e32 v71, 0x400000, v59
	v_bfe_u32 v72, v60, 16, 1
	v_add3_u32 v70, v70, v59, 0x7fff
	v_or_b32_e32 v73, 0x400000, v60
	s_wait_alu 0xf1ff
	v_cndmask_b32_e64 v53, v68, v69, s0
	v_cmp_u_f32_e64 s0, v59, v59
	v_bfe_u32 v74, v61, 16, 1
	v_add3_u32 v72, v72, v60, 0x7fff
	v_or_b32_e32 v75, 0x400000, v61
	v_bfe_u32 v76, v54, 16, 1
	s_wait_alu 0xf1ff
	v_cndmask_b32_e64 v62, v70, v71, s0
	v_cmp_u_f32_e64 s0, v60, v60
	v_add3_u32 v74, v74, v61, 0x7fff
	v_or_b32_e32 v77, 0x400000, v54
	v_add3_u32 v76, v76, v54, 0x7fff
	v_lshrrev_b32_e32 v60, 16, v55
	s_wait_alu 0xf1ff
	v_cndmask_b32_e64 v63, v72, v73, s0
	v_cmp_u_f32_e64 s0, v61, v61
	v_lshrrev_b32_e32 v61, 16, v57
	v_lshrrev_b32_e32 v58, 16, v58
	v_lshrrev_b32_e32 v59, 16, v53
	v_lshrrev_b32_e32 v55, 16, v62
	s_wait_alu 0xf1ff
	v_cndmask_b32_e64 v64, v74, v75, s0
	v_cmp_u_f32_e64 s0, v54, v54
	v_lshrrev_b32_e32 v57, 16, v63
	s_delay_alu instid0(VALU_DEP_3) | instskip(SKIP_1) | instid1(VALU_DEP_3)
	v_lshrrev_b32_e32 v53, 16, v64
	s_wait_alu 0xf1ff
	v_cndmask_b32_e64 v54, v76, v77, s0
	s_delay_alu instid0(VALU_DEP_1)
	v_lshrrev_b32_e32 v54, 16, v54
	s_and_saveexec_b32 s12, vcc_lo
	s_cbranch_execz .LBB334_49
; %bb.48:                               ;   in Loop: Header=BB334_42 Depth=1
	v_cmp_gt_i32_e64 s0, s57, v46
	s_wait_alu 0xf1ff
	s_delay_alu instid0(VALU_DEP_1) | instskip(SKIP_2) | instid1(VALU_DEP_1)
	v_cndmask_b32_e64 v60, 0, v60, s0
	v_cmp_gt_i32_e64 s0, s57, v52
	s_wait_alu 0xf1ff
	v_cndmask_b32_e64 v61, 0, v61, s0
	v_cmp_gt_i32_e64 s0, s57, v51
	s_wait_alu 0xf1ff
	s_delay_alu instid0(VALU_DEP_1) | instskip(SKIP_2) | instid1(VALU_DEP_1)
	v_cndmask_b32_e64 v58, 0, v58, s0
	v_cmp_gt_i32_e64 s0, s57, v50
	s_wait_alu 0xf1ff
	v_cndmask_b32_e64 v59, 0, v59, s0
	;; [unrolled: 7-line block ×4, first 2 shown]
.LBB334_49:                             ;   in Loop: Header=BB334_42 Depth=1
	s_wait_alu 0xfffe
	s_or_b32 exec_lo, exec_lo, s12
	global_load_b64 v[62:63], v[13:14], off offset:768
	s_wait_loadcnt 0x0
	v_bfe_u32 v65, v62, 8, 8
	v_bfe_u32 v66, v62, 16, 8
	;; [unrolled: 1-line block ×4, first 2 shown]
	s_delay_alu instid0(VALU_DEP_4)
	v_cvt_f32_fp8_e32 v65, v65
	v_and_b32_e32 v64, 0xff, v62
	v_lshrrev_b32_e32 v62, 24, v62
	v_cvt_f32_fp8_e32 v66, v66
	v_cvt_f32_fp8_e32 v69, v69
	v_mul_f32_e32 v65, s11, v65
	v_cvt_f32_fp8_e32 v64, v64
	v_and_b32_e32 v67, 0xff, v63
	v_cvt_f32_fp8_e32 v62, v62
	v_lshrrev_b32_e32 v63, 24, v63
	v_bfe_u32 v72, v65, 16, 1
	v_mul_f32_e32 v64, s11, v64
	v_cvt_f32_fp8_e32 v67, v67
	v_mul_f32_e32 v66, s11, v66
	v_dual_mul_f32 v62, s11, v62 :: v_dual_mul_f32 v69, s11, v69
	s_delay_alu instid0(VALU_DEP_4)
	v_bfe_u32 v70, v64, 16, 1
	v_or_b32_e32 v71, 0x400000, v64
	v_cmp_u_f32_e64 s0, v64, v64
	v_mul_f32_e32 v67, s11, v67
	v_or_b32_e32 v73, 0x400000, v65
	v_add3_u32 v70, v70, v64, 0x7fff
	v_bfe_u32 v74, v66, 16, 1
	v_add3_u32 v72, v72, v65, 0x7fff
	v_cvt_f32_fp8_e32 v68, v68
	v_or_b32_e32 v75, 0x400000, v66
	s_wait_alu 0xf1ff
	v_cndmask_b32_e64 v64, v70, v71, s0
	v_cmp_u_f32_e64 s0, v65, v65
	v_bfe_u32 v76, v62, 16, 1
	v_add3_u32 v74, v74, v66, 0x7fff
	v_cvt_f32_fp8_e32 v63, v63
	v_mul_f32_e32 v68, s11, v68
	s_wait_alu 0xf1ff
	v_cndmask_b32_e64 v65, v72, v73, s0
	v_cmp_u_f32_e64 s0, v66, v66
	v_or_b32_e32 v77, 0x400000, v62
	v_bfe_u32 v78, v67, 16, 1
	v_add3_u32 v76, v76, v62, 0x7fff
	v_mul_f32_e32 v63, s11, v63
	s_wait_alu 0xf1ff
	v_cndmask_b32_e64 v66, v74, v75, s0
	v_cmp_u_f32_e64 s0, v62, v62
	v_or_b32_e32 v79, 0x400000, v67
	v_bfe_u32 v80, v68, 16, 1
	v_add3_u32 v78, v78, v67, 0x7fff
	v_or_b32_e32 v81, 0x400000, v68
	s_wait_alu 0xf1ff
	v_cndmask_b32_e64 v62, v76, v77, s0
	v_cmp_u_f32_e64 s0, v67, v67
	v_bfe_u32 v82, v69, 16, 1
	v_add3_u32 v80, v80, v68, 0x7fff
	v_or_b32_e32 v83, 0x400000, v69
	v_bfe_u32 v84, v63, 16, 1
	s_wait_alu 0xf1ff
	v_cndmask_b32_e64 v67, v78, v79, s0
	v_cmp_u_f32_e64 s0, v68, v68
	v_add3_u32 v82, v82, v69, 0x7fff
	v_or_b32_e32 v85, 0x400000, v63
	v_add3_u32 v84, v84, v63, 0x7fff
	v_lshrrev_b32_e32 v74, 16, v64
	s_wait_alu 0xf1ff
	v_cndmask_b32_e64 v68, v80, v81, s0
	v_cmp_u_f32_e64 s0, v69, v69
	v_lshrrev_b32_e32 v75, 16, v65
	v_lshrrev_b32_e32 v72, 16, v66
	;; [unrolled: 1-line block ×4, first 2 shown]
	s_wait_alu 0xf1ff
	v_cndmask_b32_e64 v69, v82, v83, s0
	v_cmp_u_f32_e64 s0, v63, v63
	v_lshrrev_b32_e32 v71, 16, v68
	s_delay_alu instid0(VALU_DEP_3) | instskip(SKIP_1) | instid1(VALU_DEP_3)
	v_lshrrev_b32_e32 v68, 16, v69
	s_wait_alu 0xf1ff
	v_cndmask_b32_e64 v63, v84, v85, s0
	s_delay_alu instid0(VALU_DEP_1)
	v_lshrrev_b32_e32 v69, 16, v63
	s_and_saveexec_b32 s12, vcc_lo
	s_cbranch_execz .LBB334_51
; %bb.50:                               ;   in Loop: Header=BB334_42 Depth=1
	v_cmp_gt_i32_e64 s0, s57, v46
	s_wait_alu 0xf1ff
	s_delay_alu instid0(VALU_DEP_1) | instskip(SKIP_2) | instid1(VALU_DEP_1)
	v_cndmask_b32_e64 v74, 0, v74, s0
	v_cmp_gt_i32_e64 s0, s57, v52
	s_wait_alu 0xf1ff
	v_cndmask_b32_e64 v75, 0, v75, s0
	v_cmp_gt_i32_e64 s0, s57, v51
	s_wait_alu 0xf1ff
	s_delay_alu instid0(VALU_DEP_1) | instskip(SKIP_2) | instid1(VALU_DEP_1)
	v_cndmask_b32_e64 v72, 0, v72, s0
	v_cmp_gt_i32_e64 s0, s57, v50
	s_wait_alu 0xf1ff
	v_cndmask_b32_e64 v73, 0, v73, s0
	;; [unrolled: 7-line block ×4, first 2 shown]
.LBB334_51:                             ;   in Loop: Header=BB334_42 Depth=1
	s_wait_alu 0xfffe
	s_or_b32 exec_lo, exec_lo, s12
	global_load_b64 v[62:63], v[13:14], off offset:1024
	s_wait_loadcnt 0x0
	v_bfe_u32 v65, v62, 8, 8
	v_bfe_u32 v66, v62, 16, 8
	;; [unrolled: 1-line block ×4, first 2 shown]
	s_delay_alu instid0(VALU_DEP_4)
	v_cvt_f32_fp8_e32 v65, v65
	v_and_b32_e32 v64, 0xff, v62
	v_lshrrev_b32_e32 v62, 24, v62
	v_cvt_f32_fp8_e32 v66, v66
	v_cvt_f32_fp8_e32 v77, v77
	v_mul_f32_e32 v65, s11, v65
	v_cvt_f32_fp8_e32 v64, v64
	v_and_b32_e32 v67, 0xff, v63
	v_cvt_f32_fp8_e32 v62, v62
	v_lshrrev_b32_e32 v63, 24, v63
	v_bfe_u32 v80, v65, 16, 1
	v_mul_f32_e32 v64, s11, v64
	v_cvt_f32_fp8_e32 v67, v67
	v_mul_f32_e32 v66, s11, v66
	v_dual_mul_f32 v62, s11, v62 :: v_dual_mul_f32 v77, s11, v77
	s_delay_alu instid0(VALU_DEP_4)
	v_bfe_u32 v78, v64, 16, 1
	v_or_b32_e32 v79, 0x400000, v64
	v_cmp_u_f32_e64 s0, v64, v64
	v_mul_f32_e32 v67, s11, v67
	v_or_b32_e32 v81, 0x400000, v65
	v_add3_u32 v78, v78, v64, 0x7fff
	v_bfe_u32 v82, v66, 16, 1
	v_add3_u32 v80, v80, v65, 0x7fff
	v_cvt_f32_fp8_e32 v76, v76
	v_or_b32_e32 v83, 0x400000, v66
	s_wait_alu 0xf1ff
	v_cndmask_b32_e64 v64, v78, v79, s0
	v_cmp_u_f32_e64 s0, v65, v65
	v_bfe_u32 v84, v62, 16, 1
	v_add3_u32 v82, v82, v66, 0x7fff
	v_cvt_f32_fp8_e32 v63, v63
	v_mul_f32_e32 v76, s11, v76
	s_wait_alu 0xf1ff
	v_cndmask_b32_e64 v65, v80, v81, s0
	v_cmp_u_f32_e64 s0, v66, v66
	v_or_b32_e32 v85, 0x400000, v62
	v_bfe_u32 v86, v67, 16, 1
	v_add3_u32 v84, v84, v62, 0x7fff
	v_mul_f32_e32 v63, s11, v63
	s_wait_alu 0xf1ff
	v_cndmask_b32_e64 v66, v82, v83, s0
	v_cmp_u_f32_e64 s0, v62, v62
	v_or_b32_e32 v87, 0x400000, v67
	v_bfe_u32 v88, v76, 16, 1
	v_add3_u32 v86, v86, v67, 0x7fff
	v_or_b32_e32 v89, 0x400000, v76
	s_wait_alu 0xf1ff
	v_cndmask_b32_e64 v62, v84, v85, s0
	v_cmp_u_f32_e64 s0, v67, v67
	v_bfe_u32 v90, v77, 16, 1
	v_add3_u32 v88, v88, v76, 0x7fff
	v_or_b32_e32 v91, 0x400000, v77
	v_bfe_u32 v92, v63, 16, 1
	s_wait_alu 0xf1ff
	v_cndmask_b32_e64 v67, v86, v87, s0
	v_cmp_u_f32_e64 s0, v76, v76
	v_add3_u32 v90, v90, v77, 0x7fff
	v_or_b32_e32 v93, 0x400000, v63
	v_add3_u32 v92, v92, v63, 0x7fff
	v_lshrrev_b32_e32 v82, 16, v64
	s_wait_alu 0xf1ff
	v_cndmask_b32_e64 v76, v88, v89, s0
	v_cmp_u_f32_e64 s0, v77, v77
	v_lshrrev_b32_e32 v83, 16, v65
	v_lshrrev_b32_e32 v80, 16, v66
	;; [unrolled: 1-line block ×4, first 2 shown]
	s_wait_alu 0xf1ff
	v_cndmask_b32_e64 v77, v90, v91, s0
	v_cmp_u_f32_e64 s0, v63, v63
	v_lshrrev_b32_e32 v79, 16, v76
	s_delay_alu instid0(VALU_DEP_3) | instskip(SKIP_1) | instid1(VALU_DEP_3)
	v_lshrrev_b32_e32 v76, 16, v77
	s_wait_alu 0xf1ff
	v_cndmask_b32_e64 v63, v92, v93, s0
	s_delay_alu instid0(VALU_DEP_1)
	v_lshrrev_b32_e32 v77, 16, v63
	s_and_saveexec_b32 s12, vcc_lo
	s_cbranch_execz .LBB334_53
; %bb.52:                               ;   in Loop: Header=BB334_42 Depth=1
	v_cmp_gt_i32_e64 s0, s57, v46
	s_wait_alu 0xf1ff
	s_delay_alu instid0(VALU_DEP_1) | instskip(SKIP_2) | instid1(VALU_DEP_1)
	v_cndmask_b32_e64 v82, 0, v82, s0
	v_cmp_gt_i32_e64 s0, s57, v52
	s_wait_alu 0xf1ff
	v_cndmask_b32_e64 v83, 0, v83, s0
	v_cmp_gt_i32_e64 s0, s57, v51
	s_wait_alu 0xf1ff
	s_delay_alu instid0(VALU_DEP_1) | instskip(SKIP_2) | instid1(VALU_DEP_1)
	v_cndmask_b32_e64 v80, 0, v80, s0
	v_cmp_gt_i32_e64 s0, s57, v50
	s_wait_alu 0xf1ff
	v_cndmask_b32_e64 v81, 0, v81, s0
	;; [unrolled: 7-line block ×4, first 2 shown]
.LBB334_53:                             ;   in Loop: Header=BB334_42 Depth=1
	s_wait_alu 0xfffe
	s_or_b32 exec_lo, exec_lo, s12
	global_load_b64 v[13:14], v[13:14], off offset:1280
	s_wait_loadcnt 0x0
	v_bfe_u32 v63, v13, 8, 8
	v_bfe_u32 v64, v13, 16, 8
	;; [unrolled: 1-line block ×4, first 2 shown]
	s_delay_alu instid0(VALU_DEP_4)
	v_cvt_f32_fp8_e32 v63, v63
	v_and_b32_e32 v62, 0xff, v13
	v_lshrrev_b32_e32 v13, 24, v13
	v_cvt_f32_fp8_e32 v64, v64
	v_and_b32_e32 v65, 0xff, v14
	v_mul_f32_e32 v63, s11, v63
	v_cvt_f32_fp8_e32 v62, v62
	v_cvt_f32_fp8_e32 v13, v13
	v_mul_f32_e32 v64, s11, v64
	v_cvt_f32_fp8_e32 v65, v65
	v_bfe_u32 v86, v63, 16, 1
	s_delay_alu instid0(VALU_DEP_4) | instskip(SKIP_2) | instid1(VALU_DEP_4)
	v_dual_mul_f32 v62, s11, v62 :: v_dual_mul_f32 v13, s11, v13
	v_or_b32_e32 v87, 0x400000, v63
	v_bfe_u32 v88, v64, 16, 1
	v_add3_u32 v86, v86, v63, 0x7fff
	s_delay_alu instid0(VALU_DEP_4)
	v_bfe_u32 v84, v62, 16, 1
	v_or_b32_e32 v85, 0x400000, v62
	v_cmp_u_f32_e64 s0, v62, v62
	v_cvt_f32_fp8_e32 v66, v66
	v_mul_f32_e32 v65, s11, v65
	v_add3_u32 v84, v84, v62, 0x7fff
	v_or_b32_e32 v89, 0x400000, v64
	v_bfe_u32 v90, v13, 16, 1
	v_add3_u32 v88, v88, v64, 0x7fff
	v_lshrrev_b32_e32 v14, 24, v14
	s_wait_alu 0xf1ff
	v_cndmask_b32_e64 v62, v84, v85, s0
	v_cmp_u_f32_e64 s0, v63, v63
	v_cvt_f32_fp8_e32 v67, v67
	v_mul_f32_e32 v66, s11, v66
	v_or_b32_e32 v91, 0x400000, v13
	v_bfe_u32 v92, v65, 16, 1
	s_wait_alu 0xf1ff
	v_cndmask_b32_e64 v63, v86, v87, s0
	v_cmp_u_f32_e64 s0, v64, v64
	v_add3_u32 v90, v90, v13, 0x7fff
	v_cvt_f32_fp8_e32 v14, v14
	v_mul_f32_e32 v67, s11, v67
	v_or_b32_e32 v93, 0x400000, v65
	s_wait_alu 0xf1ff
	v_cndmask_b32_e64 v64, v88, v89, s0
	v_cmp_u_f32_e64 s0, v13, v13
	v_bfe_u32 v94, v66, 16, 1
	v_add3_u32 v92, v92, v65, 0x7fff
	v_mul_f32_e32 v14, s11, v14
	v_or_b32_e32 v95, 0x400000, v66
	s_wait_alu 0xf1ff
	v_cndmask_b32_e64 v13, v90, v91, s0
	v_cmp_u_f32_e64 s0, v65, v65
	v_bfe_u32 v96, v67, 16, 1
	v_add3_u32 v94, v94, v66, 0x7fff
	v_or_b32_e32 v97, 0x400000, v67
	v_bfe_u32 v98, v14, 16, 1
	s_wait_alu 0xf1ff
	v_cndmask_b32_e64 v84, v92, v93, s0
	v_cmp_u_f32_e64 s0, v66, v66
	v_add3_u32 v96, v96, v67, 0x7fff
	v_or_b32_e32 v99, 0x400000, v14
	v_add3_u32 v98, v98, v14, 0x7fff
	v_lshrrev_b32_e32 v66, 16, v63
	s_wait_alu 0xf1ff
	v_cndmask_b32_e64 v85, v94, v95, s0
	v_cmp_u_f32_e64 s0, v67, v67
	v_lshrrev_b32_e32 v67, 16, v62
	v_lshrrev_b32_e32 v65, 16, v64
	;; [unrolled: 1-line block ×4, first 2 shown]
	s_wait_alu 0xf1ff
	v_cndmask_b32_e64 v86, v96, v97, s0
	v_cmp_u_f32_e64 s0, v14, v14
	v_lshrrev_b32_e32 v62, 16, v85
	s_delay_alu instid0(VALU_DEP_3) | instskip(SKIP_1) | instid1(VALU_DEP_3)
	v_lshrrev_b32_e32 v14, 16, v86
	s_wait_alu 0xf1ff
	v_cndmask_b32_e64 v87, v98, v99, s0
	s_delay_alu instid0(VALU_DEP_1)
	v_lshrrev_b32_e32 v13, 16, v87
	s_and_saveexec_b32 s0, vcc_lo
	s_cbranch_execz .LBB334_40
; %bb.54:                               ;   in Loop: Header=BB334_42 Depth=1
	v_cmp_gt_i32_e32 vcc_lo, s57, v46
	s_wait_alu 0xfffd
	v_cndmask_b32_e32 v67, 0, v67, vcc_lo
	v_cmp_gt_i32_e32 vcc_lo, s57, v52
	s_wait_alu 0xfffd
	v_cndmask_b32_e32 v66, 0, v66, vcc_lo
	;; [unrolled: 3-line block ×8, first 2 shown]
	s_branch .LBB334_40
.LBB334_55:
	s_or_b32 exec_lo, exec_lo, s5
.LBB334_56:
	s_wait_alu 0xfffe
	s_or_b32 exec_lo, exec_lo, s1
	ds_bpermute_b32 v1, v21, v27
	ds_bpermute_b32 v2, v21, v26
	;; [unrolled: 1-line block ×6, first 2 shown]
	v_lshrrev_b32_e32 v7, 1, v20
	v_mul_u32_u24_e32 v9, 0x180, v17
	v_and_b32_e32 v13, 0x3c1, v0
	s_mov_b32 s0, exec_lo
	s_wait_storecnt 0x0
	s_wait_loadcnt_dscnt 0x0
	v_lshl_add_u32 v8, v7, 2, 0xe0
	s_barrier_signal -1
	s_barrier_wait -1
	global_inv scope:SCOPE_SE
	v_dual_add_f32 v6, v27, v1 :: v_dual_add_f32 v5, v26, v2
	v_dual_add_f32 v4, v25, v3 :: v_dual_add_f32 v3, v24, v10
	;; [unrolled: 1-line block ×3, first 2 shown]
	v_cmpx_eq_u32_e32 64, v13
	s_cbranch_execz .LBB334_58
; %bb.57:
	v_add_nc_u32_e32 v10, v8, v9
	s_delay_alu instid0(VALU_DEP_1)
	v_add_nc_u32_e32 v11, 0xfffffd00, v10
	v_add_nc_u32_e32 v12, 0xfffffd40, v10
	;; [unrolled: 1-line block ×6, first 2 shown]
	ds_store_b32 v11, v6
	ds_store_b32 v12, v5
	;; [unrolled: 1-line block ×6, first 2 shown]
.LBB334_58:
	s_wait_alu 0xfffe
	s_or_b32 exec_lo, exec_lo, s0
	v_lshlrev_b32_e32 v7, 2, v7
	s_mov_b32 s1, exec_lo
	v_cmp_eq_u32_e32 vcc_lo, 0, v16
	s_wait_loadcnt_dscnt 0x0
	s_barrier_signal -1
	v_add3_u32 v7, 0xe0, v9, v7
	s_barrier_wait -1
	global_inv scope:SCOPE_SE
	v_cmpx_gt_u32_e32 64, v0
	s_cbranch_execz .LBB334_67
; %bb.59:
	s_and_saveexec_b32 s0, vcc_lo
	s_cbranch_execnz .LBB334_81
; %bb.60:
	s_wait_alu 0xfffe
	s_or_b32 exec_lo, exec_lo, s0
	s_and_saveexec_b32 s0, vcc_lo
	s_cbranch_execnz .LBB334_82
.LBB334_61:
	s_wait_alu 0xfffe
	s_or_b32 exec_lo, exec_lo, s0
	s_and_saveexec_b32 s0, vcc_lo
	s_cbranch_execnz .LBB334_83
.LBB334_62:
	s_wait_alu 0xfffe
	s_or_b32 exec_lo, exec_lo, s0
	s_and_saveexec_b32 s0, vcc_lo
	s_cbranch_execnz .LBB334_84
.LBB334_63:
	s_wait_alu 0xfffe
	s_or_b32 exec_lo, exec_lo, s0
	s_and_saveexec_b32 s0, vcc_lo
	s_cbranch_execnz .LBB334_85
.LBB334_64:
	s_wait_alu 0xfffe
	s_or_b32 exec_lo, exec_lo, s0
	s_and_saveexec_b32 s0, vcc_lo
	s_cbranch_execz .LBB334_66
.LBB334_65:
	ds_load_b32 v9, v7 offset:320
	s_wait_dscnt 0x0
	v_add_f32_e32 v1, v1, v9
.LBB334_66:
	s_wait_alu 0xfffe
	s_or_b32 exec_lo, exec_lo, s0
.LBB334_67:
	s_wait_alu 0xfffe
	s_or_b32 exec_lo, exec_lo, s1
	v_and_b32_e32 v9, 0x3e1, v0
	s_mov_b32 s1, exec_lo
	s_wait_loadcnt 0x0
	s_barrier_signal -1
	s_barrier_wait -1
	global_inv scope:SCOPE_SE
	v_cmpx_eq_u32_e32 32, v9
	s_cbranch_execz .LBB334_69
; %bb.68:
	ds_store_2addr_b32 v8, v6, v5 offset1:16
	ds_store_2addr_b32 v8, v4, v3 offset0:32 offset1:48
	ds_store_2addr_b32 v8, v2, v1 offset0:64 offset1:80
.LBB334_69:
	s_wait_alu 0xfffe
	s_or_b32 exec_lo, exec_lo, s1
	s_delay_alu instid0(SALU_CYCLE_1)
	s_mov_b32 s1, exec_lo
	s_wait_loadcnt_dscnt 0x0
	s_barrier_signal -1
	s_barrier_wait -1
	global_inv scope:SCOPE_SE
	v_cmpx_gt_u32_e32 32, v0
	s_cbranch_execz .LBB334_78
; %bb.70:
	s_and_saveexec_b32 s0, vcc_lo
	s_cbranch_execnz .LBB334_86
; %bb.71:
	s_wait_alu 0xfffe
	s_or_b32 exec_lo, exec_lo, s0
	s_and_saveexec_b32 s0, vcc_lo
	s_cbranch_execnz .LBB334_87
.LBB334_72:
	s_wait_alu 0xfffe
	s_or_b32 exec_lo, exec_lo, s0
	s_and_saveexec_b32 s0, vcc_lo
	s_cbranch_execnz .LBB334_88
.LBB334_73:
	s_wait_alu 0xfffe
	s_or_b32 exec_lo, exec_lo, s0
	s_and_saveexec_b32 s0, vcc_lo
	s_cbranch_execnz .LBB334_89
.LBB334_74:
	s_wait_alu 0xfffe
	s_or_b32 exec_lo, exec_lo, s0
	s_and_saveexec_b32 s0, vcc_lo
	s_cbranch_execnz .LBB334_90
.LBB334_75:
	s_wait_alu 0xfffe
	s_or_b32 exec_lo, exec_lo, s0
	s_and_saveexec_b32 s0, vcc_lo
	s_cbranch_execz .LBB334_77
.LBB334_76:
	ds_load_b32 v0, v7 offset:320
	s_wait_dscnt 0x0
	v_add_f32_e32 v1, v1, v0
.LBB334_77:
	s_wait_alu 0xfffe
	s_or_b32 exec_lo, exec_lo, s0
.LBB334_78:
	s_wait_alu 0xfffe
	s_or_b32 exec_lo, exec_lo, s1
	s_mov_b32 s1, 0
	s_wait_loadcnt 0x0
	s_barrier_signal -1
	s_barrier_wait -1
	global_inv scope:SCOPE_SE
	s_mov_b32 s0, exec_lo
	v_cmpx_eq_u32_e32 0, v9
	s_cbranch_execz .LBB334_80
; %bb.79:
	v_bfe_u32 v0, v6, 16, 1
	v_bfe_u32 v7, v5, 16, 1
	v_or_b32_e32 v9, 0x400000, v6
	v_cmp_u_f32_e32 vcc_lo, v6, v6
	v_bfe_u32 v10, v4, 16, 1
	v_add3_u32 v0, v0, v6, 0x7fff
	v_add3_u32 v7, v7, v5, 0x7fff
	v_or_b32_e32 v11, 0x400000, v5
	s_mul_i32 s2, s10, 0x60
	v_add3_u32 v6, v10, v4, 0x7fff
	s_wait_alu 0xfffd
	v_cndmask_b32_e32 v0, v0, v9, vcc_lo
	v_cmp_u_f32_e32 vcc_lo, v5, v5
	v_or_b32_e32 v9, 0x400000, v4
	v_bfe_u32 v10, v2, 16, 1
	s_wait_kmcnt 0x0
	s_mul_i32 s4, s35, s34
	s_wait_alu 0xfffe
	s_ashr_i32 s3, s2, 31
	s_wait_alu 0xfffd
	v_cndmask_b32_e32 v5, v7, v11, vcc_lo
	v_bfe_u32 v7, v3, 16, 1
	v_cmp_u_f32_e32 vcc_lo, v4, v4
	v_add3_u32 v10, v10, v2, 0x7fff
	v_or_b32_e32 v11, 0x400000, v2
	s_ashr_i32 s5, s4, 31
	v_add3_u32 v7, v7, v3, 0x7fff
	s_wait_alu 0xfffd
	v_cndmask_b32_e32 v4, v6, v9, vcc_lo
	v_or_b32_e32 v9, 0x400000, v3
	v_cmp_u_f32_e32 vcc_lo, v3, v3
	v_lshlrev_b32_e32 v8, 1, v15
	v_bfe_u32 v6, v1, 16, 1
	s_wait_alu 0xfffe
	s_lshl_b64 s[2:3], s[2:3], 1
	s_lshl_b64 s[4:5], s[4:5], 1
	s_wait_alu 0xfffd
	v_cndmask_b32_e32 v3, v7, v9, vcc_lo
	v_cmp_u_f32_e32 vcc_lo, v2, v2
	s_wait_alu 0xfffe
	s_add_nc_u64 s[2:3], s[8:9], s[2:3]
	v_add3_u32 v6, v6, v1, 0x7fff
	v_or_b32_e32 v12, 0x400000, v1
	s_mul_i32 s0, s56, 0xc0
	s_wait_alu 0xfffd
	v_cndmask_b32_e32 v2, v10, v11, vcc_lo
	v_cmp_u_f32_e32 vcc_lo, v1, v1
	s_wait_alu 0xfffe
	s_add_nc_u64 s[2:3], s[2:3], s[4:5]
	s_wait_alu 0xfffe
	s_add_nc_u64 s[0:1], s[2:3], s[0:1]
	s_wait_alu 0xfffd
	v_cndmask_b32_e32 v1, v6, v12, vcc_lo
	s_clause 0x5
	global_store_d16_hi_b16 v8, v0, s[0:1]
	global_store_d16_hi_b16 v8, v5, s[0:1] offset:32
	global_store_d16_hi_b16 v8, v4, s[0:1] offset:64
	;; [unrolled: 1-line block ×5, first 2 shown]
.LBB334_80:
	s_nop 0
	s_sendmsg sendmsg(MSG_DEALLOC_VGPRS)
	s_endpgm
.LBB334_81:
	ds_load_b32 v9, v7
	s_wait_dscnt 0x0
	v_add_f32_e32 v6, v6, v9
	s_wait_alu 0xfffe
	s_or_b32 exec_lo, exec_lo, s0
	s_and_saveexec_b32 s0, vcc_lo
	s_cbranch_execz .LBB334_61
.LBB334_82:
	ds_load_b32 v9, v7 offset:64
	s_wait_dscnt 0x0
	v_add_f32_e32 v5, v5, v9
	s_wait_alu 0xfffe
	s_or_b32 exec_lo, exec_lo, s0
	s_and_saveexec_b32 s0, vcc_lo
	s_cbranch_execz .LBB334_62
.LBB334_83:
	ds_load_b32 v9, v7 offset:128
	s_wait_dscnt 0x0
	v_add_f32_e32 v4, v4, v9
	s_wait_alu 0xfffe
	s_or_b32 exec_lo, exec_lo, s0
	s_and_saveexec_b32 s0, vcc_lo
	s_cbranch_execz .LBB334_63
.LBB334_84:
	ds_load_b32 v9, v7 offset:192
	s_wait_dscnt 0x0
	v_add_f32_e32 v3, v3, v9
	s_wait_alu 0xfffe
	s_or_b32 exec_lo, exec_lo, s0
	s_and_saveexec_b32 s0, vcc_lo
	s_cbranch_execz .LBB334_64
.LBB334_85:
	ds_load_b32 v9, v7 offset:256
	s_wait_dscnt 0x0
	v_add_f32_e32 v2, v2, v9
	s_wait_alu 0xfffe
	s_or_b32 exec_lo, exec_lo, s0
	s_and_saveexec_b32 s0, vcc_lo
	s_cbranch_execnz .LBB334_65
	s_branch .LBB334_66
.LBB334_86:
	ds_load_b32 v0, v7
	s_wait_dscnt 0x0
	v_add_f32_e32 v6, v6, v0
	s_wait_alu 0xfffe
	s_or_b32 exec_lo, exec_lo, s0
	s_and_saveexec_b32 s0, vcc_lo
	s_cbranch_execz .LBB334_72
.LBB334_87:
	ds_load_b32 v0, v7 offset:64
	s_wait_dscnt 0x0
	v_add_f32_e32 v5, v5, v0
	s_wait_alu 0xfffe
	s_or_b32 exec_lo, exec_lo, s0
	s_and_saveexec_b32 s0, vcc_lo
	s_cbranch_execz .LBB334_73
.LBB334_88:
	ds_load_b32 v0, v7 offset:128
	s_wait_dscnt 0x0
	v_add_f32_e32 v4, v4, v0
	s_wait_alu 0xfffe
	s_or_b32 exec_lo, exec_lo, s0
	s_and_saveexec_b32 s0, vcc_lo
	s_cbranch_execz .LBB334_74
.LBB334_89:
	ds_load_b32 v0, v7 offset:192
	s_wait_dscnt 0x0
	v_add_f32_e32 v3, v3, v0
	s_wait_alu 0xfffe
	s_or_b32 exec_lo, exec_lo, s0
	s_and_saveexec_b32 s0, vcc_lo
	s_cbranch_execz .LBB334_75
.LBB334_90:
	ds_load_b32 v0, v7 offset:256
	s_wait_dscnt 0x0
	v_add_f32_e32 v2, v2, v0
	s_wait_alu 0xfffe
	s_or_b32 exec_lo, exec_lo, s0
	s_and_saveexec_b32 s0, vcc_lo
	s_cbranch_execnz .LBB334_76
	s_branch .LBB334_77
	.section	.rodata,"a",@progbits
	.p2align	6, 0x0
	.amdhsa_kernel _ZN4vllm25paged_attention_v2_kernelI14__hip_bfloat16hLi96ELi16ELi128ELNS_18Fp8KVCacheDataTypeE1ELb1ELi512EEEvPfS3_PT_PKS4_PKT0_SA_ifPKiSC_iPKfiiiSE_SE_iiiii
		.amdhsa_group_segment_fixed_size 224
		.amdhsa_private_segment_fixed_size 0
		.amdhsa_kernarg_size 400
		.amdhsa_user_sgpr_count 2
		.amdhsa_user_sgpr_dispatch_ptr 0
		.amdhsa_user_sgpr_queue_ptr 0
		.amdhsa_user_sgpr_kernarg_segment_ptr 1
		.amdhsa_user_sgpr_dispatch_id 0
		.amdhsa_user_sgpr_private_segment_size 0
		.amdhsa_wavefront_size32 1
		.amdhsa_uses_dynamic_stack 0
		.amdhsa_enable_private_segment 0
		.amdhsa_system_sgpr_workgroup_id_x 1
		.amdhsa_system_sgpr_workgroup_id_y 1
		.amdhsa_system_sgpr_workgroup_id_z 1
		.amdhsa_system_sgpr_workgroup_info 0
		.amdhsa_system_vgpr_workitem_id 0
		.amdhsa_next_free_vgpr 133
		.amdhsa_next_free_sgpr 71
		.amdhsa_reserve_vcc 1
		.amdhsa_float_round_mode_32 0
		.amdhsa_float_round_mode_16_64 0
		.amdhsa_float_denorm_mode_32 3
		.amdhsa_float_denorm_mode_16_64 3
		.amdhsa_fp16_overflow 0
		.amdhsa_workgroup_processor_mode 1
		.amdhsa_memory_ordered 1
		.amdhsa_forward_progress 1
		.amdhsa_inst_pref_size 136
		.amdhsa_round_robin_scheduling 0
		.amdhsa_exception_fp_ieee_invalid_op 0
		.amdhsa_exception_fp_denorm_src 0
		.amdhsa_exception_fp_ieee_div_zero 0
		.amdhsa_exception_fp_ieee_overflow 0
		.amdhsa_exception_fp_ieee_underflow 0
		.amdhsa_exception_fp_ieee_inexact 0
		.amdhsa_exception_int_div_zero 0
	.end_amdhsa_kernel
	.section	.text._ZN4vllm25paged_attention_v2_kernelI14__hip_bfloat16hLi96ELi16ELi128ELNS_18Fp8KVCacheDataTypeE1ELb1ELi512EEEvPfS3_PT_PKS4_PKT0_SA_ifPKiSC_iPKfiiiSE_SE_iiiii,"axG",@progbits,_ZN4vllm25paged_attention_v2_kernelI14__hip_bfloat16hLi96ELi16ELi128ELNS_18Fp8KVCacheDataTypeE1ELb1ELi512EEEvPfS3_PT_PKS4_PKT0_SA_ifPKiSC_iPKfiiiSE_SE_iiiii,comdat
.Lfunc_end334:
	.size	_ZN4vllm25paged_attention_v2_kernelI14__hip_bfloat16hLi96ELi16ELi128ELNS_18Fp8KVCacheDataTypeE1ELb1ELi512EEEvPfS3_PT_PKS4_PKT0_SA_ifPKiSC_iPKfiiiSE_SE_iiiii, .Lfunc_end334-_ZN4vllm25paged_attention_v2_kernelI14__hip_bfloat16hLi96ELi16ELi128ELNS_18Fp8KVCacheDataTypeE1ELb1ELi512EEEvPfS3_PT_PKS4_PKT0_SA_ifPKiSC_iPKfiiiSE_SE_iiiii
                                        ; -- End function
	.set _ZN4vllm25paged_attention_v2_kernelI14__hip_bfloat16hLi96ELi16ELi128ELNS_18Fp8KVCacheDataTypeE1ELb1ELi512EEEvPfS3_PT_PKS4_PKT0_SA_ifPKiSC_iPKfiiiSE_SE_iiiii.num_vgpr, 133
	.set _ZN4vllm25paged_attention_v2_kernelI14__hip_bfloat16hLi96ELi16ELi128ELNS_18Fp8KVCacheDataTypeE1ELb1ELi512EEEvPfS3_PT_PKS4_PKT0_SA_ifPKiSC_iPKfiiiSE_SE_iiiii.num_agpr, 0
	.set _ZN4vllm25paged_attention_v2_kernelI14__hip_bfloat16hLi96ELi16ELi128ELNS_18Fp8KVCacheDataTypeE1ELb1ELi512EEEvPfS3_PT_PKS4_PKT0_SA_ifPKiSC_iPKfiiiSE_SE_iiiii.numbered_sgpr, 71
	.set _ZN4vllm25paged_attention_v2_kernelI14__hip_bfloat16hLi96ELi16ELi128ELNS_18Fp8KVCacheDataTypeE1ELb1ELi512EEEvPfS3_PT_PKS4_PKT0_SA_ifPKiSC_iPKfiiiSE_SE_iiiii.num_named_barrier, 0
	.set _ZN4vllm25paged_attention_v2_kernelI14__hip_bfloat16hLi96ELi16ELi128ELNS_18Fp8KVCacheDataTypeE1ELb1ELi512EEEvPfS3_PT_PKS4_PKT0_SA_ifPKiSC_iPKfiiiSE_SE_iiiii.private_seg_size, 0
	.set _ZN4vllm25paged_attention_v2_kernelI14__hip_bfloat16hLi96ELi16ELi128ELNS_18Fp8KVCacheDataTypeE1ELb1ELi512EEEvPfS3_PT_PKS4_PKT0_SA_ifPKiSC_iPKfiiiSE_SE_iiiii.uses_vcc, 1
	.set _ZN4vllm25paged_attention_v2_kernelI14__hip_bfloat16hLi96ELi16ELi128ELNS_18Fp8KVCacheDataTypeE1ELb1ELi512EEEvPfS3_PT_PKS4_PKT0_SA_ifPKiSC_iPKfiiiSE_SE_iiiii.uses_flat_scratch, 0
	.set _ZN4vllm25paged_attention_v2_kernelI14__hip_bfloat16hLi96ELi16ELi128ELNS_18Fp8KVCacheDataTypeE1ELb1ELi512EEEvPfS3_PT_PKS4_PKT0_SA_ifPKiSC_iPKfiiiSE_SE_iiiii.has_dyn_sized_stack, 0
	.set _ZN4vllm25paged_attention_v2_kernelI14__hip_bfloat16hLi96ELi16ELi128ELNS_18Fp8KVCacheDataTypeE1ELb1ELi512EEEvPfS3_PT_PKS4_PKT0_SA_ifPKiSC_iPKfiiiSE_SE_iiiii.has_recursion, 0
	.set _ZN4vllm25paged_attention_v2_kernelI14__hip_bfloat16hLi96ELi16ELi128ELNS_18Fp8KVCacheDataTypeE1ELb1ELi512EEEvPfS3_PT_PKS4_PKT0_SA_ifPKiSC_iPKfiiiSE_SE_iiiii.has_indirect_call, 0
	.section	.AMDGPU.csdata,"",@progbits
; Kernel info:
; codeLenInByte = 17288
; TotalNumSgprs: 73
; NumVgprs: 133
; ScratchSize: 0
; MemoryBound: 0
; FloatMode: 240
; IeeeMode: 1
; LDSByteSize: 224 bytes/workgroup (compile time only)
; SGPRBlocks: 0
; VGPRBlocks: 16
; NumSGPRsForWavesPerEU: 73
; NumVGPRsForWavesPerEU: 133
; Occupancy: 10
; WaveLimiterHint : 1
; COMPUTE_PGM_RSRC2:SCRATCH_EN: 0
; COMPUTE_PGM_RSRC2:USER_SGPR: 2
; COMPUTE_PGM_RSRC2:TRAP_HANDLER: 0
; COMPUTE_PGM_RSRC2:TGID_X_EN: 1
; COMPUTE_PGM_RSRC2:TGID_Y_EN: 1
; COMPUTE_PGM_RSRC2:TGID_Z_EN: 1
; COMPUTE_PGM_RSRC2:TIDIG_COMP_CNT: 0
	.section	.text._ZN4vllm25paged_attention_v2_kernelI14__hip_bfloat16hLi112ELi16ELi128ELNS_18Fp8KVCacheDataTypeE1ELb1ELi512EEEvPfS3_PT_PKS4_PKT0_SA_ifPKiSC_iPKfiiiSE_SE_iiiii,"axG",@progbits,_ZN4vllm25paged_attention_v2_kernelI14__hip_bfloat16hLi112ELi16ELi128ELNS_18Fp8KVCacheDataTypeE1ELb1ELi512EEEvPfS3_PT_PKS4_PKT0_SA_ifPKiSC_iPKfiiiSE_SE_iiiii,comdat
	.protected	_ZN4vllm25paged_attention_v2_kernelI14__hip_bfloat16hLi112ELi16ELi128ELNS_18Fp8KVCacheDataTypeE1ELb1ELi512EEEvPfS3_PT_PKS4_PKT0_SA_ifPKiSC_iPKfiiiSE_SE_iiiii ; -- Begin function _ZN4vllm25paged_attention_v2_kernelI14__hip_bfloat16hLi112ELi16ELi128ELNS_18Fp8KVCacheDataTypeE1ELb1ELi512EEEvPfS3_PT_PKS4_PKT0_SA_ifPKiSC_iPKfiiiSE_SE_iiiii
	.globl	_ZN4vllm25paged_attention_v2_kernelI14__hip_bfloat16hLi112ELi16ELi128ELNS_18Fp8KVCacheDataTypeE1ELb1ELi512EEEvPfS3_PT_PKS4_PKT0_SA_ifPKiSC_iPKfiiiSE_SE_iiiii
	.p2align	8
	.type	_ZN4vllm25paged_attention_v2_kernelI14__hip_bfloat16hLi112ELi16ELi128ELNS_18Fp8KVCacheDataTypeE1ELb1ELi512EEEvPfS3_PT_PKS4_PKT0_SA_ifPKiSC_iPKfiiiSE_SE_iiiii,@function
_ZN4vllm25paged_attention_v2_kernelI14__hip_bfloat16hLi112ELi16ELi128ELNS_18Fp8KVCacheDataTypeE1ELb1ELi512EEEvPfS3_PT_PKS4_PKT0_SA_ifPKiSC_iPKfiiiSE_SE_iiiii: ; @_ZN4vllm25paged_attention_v2_kernelI14__hip_bfloat16hLi112ELi16ELi128ELNS_18Fp8KVCacheDataTypeE1ELb1ELi512EEEvPfS3_PT_PKS4_PKT0_SA_ifPKiSC_iPKfiiiSE_SE_iiiii
; %bb.0:
	s_load_b64 s[2:3], s[0:1], 0x40
	s_and_b32 s54, ttmp7, 0xffff
	s_lshr_b32 s33, ttmp7, 16
	s_lshl_b32 s4, s54, 2
	s_lshl_b32 s56, s33, 9
	s_wait_kmcnt 0x0
	s_load_b32 s52, s[2:3], s4 offset:0x0
	s_wait_kmcnt 0x0
	s_cmp_ge_i32 s56, s52
	s_cbranch_scc1 .LBB335_84
; %bb.1:
	s_clause 0x1
	s_load_b32 s55, s[0:1], 0x90
	s_load_b64 s[50:51], s[0:1], 0x30
	s_wait_kmcnt 0x0
	s_abs_i32 s5, s55
	s_abs_i32 s2, s50
	s_delay_alu instid0(SALU_CYCLE_1) | instskip(SKIP_1) | instid1(SALU_CYCLE_2)
	s_cvt_f32_u32 s3, s2
	s_sub_co_i32 s4, 0, s2
	v_rcp_iflag_f32_e32 v1, s3
	s_delay_alu instid0(TRANS32_DEP_1) | instskip(SKIP_2) | instid1(SALU_CYCLE_2)
	v_readfirstlane_b32 s3, v1
	s_mul_f32 s3, s3, 0x4f7ffffe
	s_wait_alu 0xfffe
	s_cvt_u32_f32 s3, s3
	s_wait_alu 0xfffe
	s_delay_alu instid0(SALU_CYCLE_2) | instskip(NEXT) | instid1(SALU_CYCLE_1)
	s_mul_i32 s4, s4, s3
	s_mul_hi_u32 s4, s3, s4
	s_delay_alu instid0(SALU_CYCLE_1)
	s_add_co_i32 s3, s3, s4
	s_xor_b32 s4, s55, s50
	s_wait_alu 0xfffe
	s_mul_hi_u32 s3, s5, s3
	s_ashr_i32 s4, s4, 31
	s_wait_alu 0xfffe
	s_mul_i32 s6, s3, s2
	s_delay_alu instid0(SALU_CYCLE_1)
	s_sub_co_i32 s5, s5, s6
	s_add_co_i32 s6, s3, 1
	s_sub_co_i32 s7, s5, s2
	s_cmp_ge_u32 s5, s2
	s_cselect_b32 s3, s6, s3
	s_cselect_b32 s5, s7, s5
	s_wait_alu 0xfffe
	s_add_co_i32 s6, s3, 1
	s_cmp_ge_u32 s5, s2
	s_cselect_b32 s2, s6, s3
	s_load_b64 s[6:7], s[0:1], 0x50
	s_xor_b32 s2, s2, s4
	s_mov_b32 s3, 0
	s_wait_alu 0xfffe
	s_sub_co_i32 s9, s2, s4
	s_mov_b32 s57, s3
	s_abs_i32 s8, s9
	s_delay_alu instid0(SALU_CYCLE_1) | instskip(SKIP_1) | instid1(SALU_CYCLE_2)
	s_cvt_f32_u32 s2, s8
	s_wait_alu 0xfffe
	v_rcp_iflag_f32_e32 v1, s2
	s_delay_alu instid0(TRANS32_DEP_1) | instskip(SKIP_2) | instid1(SALU_CYCLE_2)
	v_readfirstlane_b32 s2, v1
	s_mul_f32 s2, s2, 0x4f7ffffe
	s_wait_alu 0xfffe
	s_cvt_u32_f32 s4, s2
	s_sub_co_i32 s2, 0, s8
	s_wait_alu 0xfffe
	s_delay_alu instid0(SALU_CYCLE_1)
	s_mul_i32 s2, s2, s4
	s_wait_alu 0xfffe
	s_mul_hi_u32 s5, s4, s2
	s_abs_i32 s2, ttmp9
	s_add_co_i32 s4, s4, s5
	s_mov_b32 s5, s3
	s_wait_kmcnt 0x0
	s_cmp_eq_u64 s[6:7], 0
	s_cbranch_scc1 .LBB335_3
; %bb.2:
	s_mov_b32 s10, ttmp9
	s_ashr_i32 s11, ttmp9, 31
	s_delay_alu instid0(SALU_CYCLE_1) | instskip(NEXT) | instid1(SALU_CYCLE_1)
	s_lshl_b64 s[10:11], s[10:11], 2
	s_add_nc_u64 s[6:7], s[6:7], s[10:11]
	s_load_b32 s57, s[6:7], 0x0
.LBB335_3:
	s_load_b96 s[40:42], s[0:1], 0x58
	v_lshrrev_b32_e32 v29, 1, v0
	v_and_b32_e32 v30, 1, v0
	v_lshlrev_b32_e32 v34, 3, v0
	s_mul_u64 s[4:5], s[2:3], s[4:5]
	s_ashr_i32 s3, ttmp9, 31
	s_ashr_i32 s4, s9, 31
	s_mul_i32 s34, ttmp9, 0x70
	s_mov_b32 s6, exec_lo
	v_cmpx_gt_u32_e32 28, v0
	s_cbranch_execz .LBB335_5
; %bb.4:
	s_load_b64 s[10:11], s[0:1], 0x18
	s_wait_kmcnt 0x0
	s_mul_i32 s12, s40, s54
	s_ashr_i32 s35, s34, 31
	s_ashr_i32 s13, s12, 31
	v_lshlrev_b32_e32 v3, 3, v29
	s_lshl_b64 s[12:13], s[12:13], 1
	s_delay_alu instid0(VALU_DEP_1) | instskip(SKIP_2) | instid1(SALU_CYCLE_1)
	v_mad_u32_u24 v3, 0x70, v30, v3
	s_add_nc_u64 s[10:11], s[10:11], s[12:13]
	s_lshl_b64 s[12:13], s[34:35], 1
	s_add_nc_u64 s[10:11], s[10:11], s[12:13]
	global_load_b64 v[1:2], v34, s[10:11]
	s_wait_loadcnt 0x0
	ds_store_b64 v3, v[1:2]
.LBB335_5:
	s_or_b32 exec_lo, exec_lo, s6
	s_clause 0x1
	s_load_b128 s[36:39], s[0:1], 0x78
	s_load_b32 s7, s[0:1], 0x88
	s_mul_i32 s6, s5, s8
	s_xor_b32 s3, s3, s4
	s_sub_co_i32 s2, s2, s6
	s_add_co_i32 s4, s5, 1
	s_wait_alu 0xfffe
	s_sub_co_i32 s6, s2, s8
	s_cmp_ge_u32 s2, s8
	s_mov_b32 s9, -1
	s_cselect_b32 s4, s4, s5
	s_cselect_b32 s2, s6, s2
	s_add_co_i32 s5, s4, 1
	s_wait_alu 0xfffe
	s_cmp_ge_u32 s2, s8
	s_wait_dscnt 0x0
	s_cselect_b32 s2, s5, s4
	s_add_co_i32 s8, s52, -1
	s_wait_alu 0xfffe
	s_xor_b32 s2, s2, s3
	s_barrier_signal -1
	s_wait_alu 0xfffe
	s_sub_co_i32 s6, s2, s3
	s_barrier_wait -1
	s_wait_kmcnt 0x0
	s_abs_i32 s40, s39
	global_inv scope:SCOPE_SE
	s_cvt_f32_u32 s4, s40
                                        ; implicit-def: $sgpr53
	s_delay_alu instid0(SALU_CYCLE_3) | instskip(NEXT) | instid1(TRANS32_DEP_1)
	v_rcp_iflag_f32_e32 v1, s4
	v_readfirstlane_b32 s4, v1
	s_mul_f32 s2, s4, 0x4f7ffffe
	s_wait_alu 0xfffe
	s_delay_alu instid0(SALU_CYCLE_2) | instskip(SKIP_2) | instid1(SALU_CYCLE_1)
	s_cvt_u32_f32 s4, s2
	s_sub_co_i32 s2, 0, s40
	s_wait_alu 0xfffe
	s_mul_i32 s3, s2, s4
	s_abs_i32 s2, s8
	s_wait_alu 0xfffe
	s_mul_hi_u32 s5, s4, s3
	s_mov_b32 s3, 0
	s_wait_alu 0xfffe
	s_add_co_i32 s44, s4, s5
	s_cmp_lt_i32 s7, 0
	s_mov_b32 s45, s3
	s_cbranch_scc0 .LBB335_7
; %bb.6:
	s_mul_i32 s4, s36, s50
	s_mov_b32 s9, s3
	s_wait_alu 0xfffe
	s_add_co_i32 s4, s6, s4
	s_wait_alu 0xfffe
	s_mul_i32 s4, s4, s7
	s_wait_alu 0xfffe
	s_sub_co_i32 s53, 1, s4
.LBB335_7:
	s_mul_u64 s[4:5], s[2:3], s[44:45]
	s_ashr_i32 s3, s8, 31
	s_and_not1_b32 vcc_lo, exec_lo, s9
	s_ashr_i32 s39, s39, 31
	s_cbranch_vccnz .LBB335_9
; %bb.8:
	s_mul_i32 s4, s55, s36
	s_wait_alu 0xfffe
	s_add_co_i32 s4, s4, ttmp9
	s_wait_alu 0xfffe
	s_mul_i32 s4, s4, s7
	s_wait_alu 0xfffe
	s_add_co_i32 s53, s4, 1
.LBB335_9:
	s_clause 0x3
	s_load_b32 s4, s[0:1], 0x48
	s_load_b64 s[46:47], s[0:1], 0x38
	s_load_b32 s35, s[0:1], 0x98
	s_load_b128 s[28:31], s[0:1], 0x68
	s_mul_i32 s7, s5, s40
	s_xor_b32 s3, s3, s39
	s_sub_co_i32 s2, s2, s7
	s_add_co_i32 s8, s5, 1
	v_lshrrev_b32_e32 v31, 5, v0
	v_mbcnt_lo_u32_b32 v36, -1, 0
	s_mul_i32 s42, s6, s42
	s_delay_alu instid0(VALU_DEP_2)
	v_lshl_add_u32 v32, v31, 4, s56
	s_wait_kmcnt 0x0
	s_mul_i32 s48, s4, s54
	s_wait_alu 0xfffe
	s_sub_co_i32 s4, s2, s40
	s_ashr_i32 s49, s48, 31
	s_cmp_ge_u32 s2, s40
	s_cselect_b32 s5, s8, s5
	s_wait_alu 0xfffe
	s_cselect_b32 s2, s4, s2
	s_add_co_i32 s4, s5, 1
	s_wait_alu 0xfffe
	s_cmp_ge_u32 s2, s40
	s_cselect_b32 s2, s4, s5
	s_add_co_i32 s4, s52, 15
	s_lshl_b32 s58, s33, 5
	s_wait_alu 0xfffe
	s_ashr_i32 s5, s4, 31
	v_or_b32_e32 v33, s58, v31
	s_wait_alu 0xfffe
	s_lshr_b32 s5, s5, 28
	v_mov_b32_e32 v38, 0xff7fffff
	s_wait_alu 0xfffe
	s_add_co_i32 s4, s4, s5
	s_add_co_i32 s5, s58, 32
	s_wait_alu 0xfffe
	s_ashr_i32 s45, s4, 4
	s_xor_b32 s4, s2, s3
	s_min_i32 s36, s5, s45
	v_lshlrev_b32_e32 v35, 2, v33
	v_cmp_gt_i32_e64 s2, s36, v33
	s_wait_alu 0xfffe
	s_sub_co_i32 s50, s4, s3
	s_and_saveexec_b32 s59, s2
	s_cbranch_execz .LBB335_21
; %bb.10:
	s_sub_co_i32 s60, s50, s37
	s_ashr_i32 s43, s42, 31
	s_cmp_neq_f32 s57, 0
	s_load_b64 s[4:5], s[0:1], 0x20
	v_bfe_u32 v37, v0, 1, 4
	v_dual_mov_b32 v43, 0xff7fffff :: v_dual_lshlrev_b32 v2, 2, v30
	s_cselect_b32 vcc_lo, -1, 0
	s_abs_i32 s61, s38
	s_delay_alu instid0(VALU_DEP_2)
	v_dual_mov_b32 v38, 0xff7fffff :: v_dual_lshlrev_b32 v3, 4, v37
	s_cvt_f32_u32 s3, s61
	v_dual_mov_b32 v45, v33 :: v_dual_lshlrev_b32 v4, 2, v37
	s_lshl_b64 s[6:7], s[48:49], 2
	s_wait_alu 0xfffe
	v_rcp_iflag_f32_e32 v1, s3
	v_subrev_nc_u32_e32 v5, s52, v37
	s_add_nc_u64 s[6:7], s[46:47], s[6:7]
	s_sub_co_i32 s9, 0, s61
	v_cmp_eq_u32_e64 s3, 0, v30
	v_mul_u32_u24_e32 v39, 0x70, v30
	v_lshl_add_u32 v40, v31, 4, s56
	v_add_nc_u32_e32 v41, 1, v5
	s_wait_kmcnt 0x0
	s_add_nc_u64 s[4:5], s[4:5], s[42:43]
	v_xor_b32_e32 v44, 1, v36
	v_readfirstlane_b32 s8, v1
	s_wait_alu 0xfffe
	v_add_co_u32 v3, s4, s4, v3
	v_lshl_or_b32 v1, v31, 6, v4
	s_wait_alu 0xf1ff
	v_add_co_ci_u32_e64 v4, null, s5, 0, s4
	s_mul_f32 s8, s8, 0x4f7ffffe
	v_add_co_u32 v25, s4, v3, v2
	s_wait_alu 0xf1ff
	v_add_co_ci_u32_e64 v26, null, 0, v4, s4
	s_cvt_u32_f32 s5, s8
	v_add_co_u32 v27, s4, s6, v35
	s_wait_alu 0xf1ff
	v_add_co_ci_u32_e64 v28, null, s7, 0, s4
	s_wait_alu 0xfffe
	s_mul_i32 s9, s9, s5
	v_add_nc_u32_e32 v42, 0x100, v1
	s_mul_hi_u32 s4, s5, s9
	s_mov_b32 s62, 0
	s_mov_b32 s43, s41
	s_wait_alu 0xfffe
	s_add_co_i32 s63, s5, s4
	s_branch .LBB335_13
.LBB335_11:                             ;   in Loop: Header=BB335_13 Depth=1
	s_wait_alu 0xfffe
	s_or_b32 exec_lo, exec_lo, s5
.LBB335_12:                             ;   in Loop: Header=BB335_13 Depth=1
	s_wait_alu 0xfffe
	s_or_b32 exec_lo, exec_lo, s64
	v_add_nc_u32_e32 v45, 4, v45
	v_add_co_u32 v27, s5, v27, 16
	s_wait_alu 0xf1ff
	v_add_co_ci_u32_e64 v28, null, 0, v28, s5
	s_delay_alu instid0(VALU_DEP_3)
	v_cmp_le_i32_e64 s4, s36, v45
	v_add_nc_u32_e32 v40, 64, v40
	v_add_nc_u32_e32 v42, 0x100, v42
	s_or_b32 s62, s4, s62
	s_wait_alu 0xfffe
	s_and_not1_b32 exec_lo, exec_lo, s62
	s_cbranch_execz .LBB335_20
.LBB335_13:                             ; =>This Inner Loop Header: Depth=1
	v_sub_nc_u32_e32 v1, 0, v40
	s_delay_alu instid0(VALU_DEP_1) | instskip(SKIP_1) | instid1(VALU_DEP_1)
	v_max_i32_e32 v1, v40, v1
	s_wait_dscnt 0x0
	v_mul_hi_u32 v2, v1, s44
	s_delay_alu instid0(VALU_DEP_1) | instskip(NEXT) | instid1(VALU_DEP_1)
	v_mul_lo_u32 v3, v2, s40
	v_sub_nc_u32_e32 v1, v1, v3
	v_add_nc_u32_e32 v3, 1, v2
	s_delay_alu instid0(VALU_DEP_2) | instskip(SKIP_2) | instid1(VALU_DEP_1)
	v_subrev_nc_u32_e32 v4, s40, v1
	v_cmp_le_u32_e64 s4, s40, v1
	s_wait_alu 0xf1ff
	v_cndmask_b32_e64 v2, v2, v3, s4
	s_delay_alu instid0(VALU_DEP_3) | instskip(SKIP_1) | instid1(VALU_DEP_3)
	v_cndmask_b32_e64 v1, v1, v4, s4
	v_ashrrev_i32_e32 v3, 31, v40
	v_add_nc_u32_e32 v4, 1, v2
	s_delay_alu instid0(VALU_DEP_3) | instskip(NEXT) | instid1(VALU_DEP_3)
	v_cmp_le_u32_e64 s4, s40, v1
	v_xor_b32_e32 v3, s39, v3
	s_wait_alu 0xf1ff
	s_delay_alu instid0(VALU_DEP_2) | instskip(NEXT) | instid1(VALU_DEP_1)
	v_cndmask_b32_e64 v1, v2, v4, s4
	v_xor_b32_e32 v1, v1, v3
	s_delay_alu instid0(VALU_DEP_1) | instskip(NEXT) | instid1(VALU_DEP_1)
	v_sub_nc_u32_e32 v1, v1, v3
	v_add_nc_u32_e32 v2, s53, v1
	v_cmp_ge_i32_e64 s5, s60, v1
	s_delay_alu instid0(VALU_DEP_2) | instskip(NEXT) | instid1(VALU_DEP_1)
	v_sub_nc_u32_e32 v3, 0, v2
	v_max_i32_e32 v3, v2, v3
	v_ashrrev_i32_e32 v2, 31, v2
	s_delay_alu instid0(VALU_DEP_2) | instskip(NEXT) | instid1(VALU_DEP_1)
	v_mul_hi_u32 v4, v3, s63
	v_mul_lo_u32 v4, v4, s61
	s_delay_alu instid0(VALU_DEP_1) | instskip(NEXT) | instid1(VALU_DEP_1)
	v_sub_nc_u32_e32 v3, v3, v4
	v_subrev_nc_u32_e32 v4, s61, v3
	v_cmp_le_u32_e64 s4, s61, v3
	s_wait_alu 0xf1ff
	s_delay_alu instid0(VALU_DEP_1) | instskip(NEXT) | instid1(VALU_DEP_1)
	v_cndmask_b32_e64 v3, v3, v4, s4
	v_subrev_nc_u32_e32 v4, s61, v3
	v_cmp_le_u32_e64 s4, s61, v3
	s_wait_alu 0xf1ff
	s_delay_alu instid0(VALU_DEP_1) | instskip(NEXT) | instid1(VALU_DEP_1)
	v_cndmask_b32_e64 v3, v3, v4, s4
	v_xor_b32_e32 v3, v3, v2
	s_delay_alu instid0(VALU_DEP_1) | instskip(NEXT) | instid1(VALU_DEP_1)
	v_sub_nc_u32_e32 v2, v3, v2
	v_cmp_ne_u32_e64 s4, 0, v2
	s_and_b32 s4, s4, s5
	s_wait_alu 0xfffe
	s_and_saveexec_b32 s5, s4
	s_wait_alu 0xfffe
	s_xor_b32 s4, exec_lo, s5
	s_cbranch_execz .LBB335_17
; %bb.14:                               ;   in Loop: Header=BB335_13 Depth=1
	s_and_saveexec_b32 s5, s3
; %bb.15:                               ;   in Loop: Header=BB335_13 Depth=1
	ds_store_b32 v42, v43
; %bb.16:                               ;   in Loop: Header=BB335_13 Depth=1
	s_wait_alu 0xfffe
	s_or_b32 exec_lo, exec_lo, s5
.LBB335_17:                             ;   in Loop: Header=BB335_13 Depth=1
	s_wait_alu 0xfffe
	s_and_not1_saveexec_b32 s64, s4
	s_cbranch_execz .LBB335_12
; %bb.18:                               ;   in Loop: Header=BB335_13 Depth=1
	global_load_b32 v1, v[27:28], off
	s_wait_loadcnt 0x0
	v_mad_co_i64_i32 v[1:2], null, v1, s43, v[25:26]
	s_clause 0xc
	global_load_b32 v46, v[1:2], off offset:8
	global_load_b32 v47, v[1:2], off offset:256
	;; [unrolled: 1-line block ×7, first 2 shown]
	global_load_b32 v58, v[1:2], off
	global_load_b32 v53, v[1:2], off offset:1024
	global_load_b32 v54, v[1:2], off offset:1032
	;; [unrolled: 1-line block ×5, first 2 shown]
	ds_load_b128 v[21:24], v39
	ds_load_b128 v[17:20], v39 offset:16
	ds_load_b128 v[13:16], v39 offset:32
	;; [unrolled: 1-line block ×4, first 2 shown]
	global_load_b32 v57, v[1:2], off offset:1288
	ds_load_b128 v[1:4], v39 offset:80
	s_load_b32 s65, s[28:29], 0x0
	s_wait_dscnt 0x4
	v_lshlrev_b32_e32 v79, 16, v17
	v_lshlrev_b32_e32 v77, 16, v19
	s_wait_loadcnt 0xc
	v_bfe_u32 v88, v47, 16, 8
	s_wait_loadcnt 0xb
	v_and_b32_e32 v89, 0xff, v48
	s_wait_loadcnt 0xa
	v_lshrrev_b32_e32 v106, 24, v49
	v_bfe_u32 v90, v49, 16, 8
	s_wait_loadcnt 0x9
	v_lshrrev_b32_e32 v91, 24, v50
	s_wait_loadcnt 0x8
	v_bfe_u32 v92, v51, 16, 8
	s_wait_loadcnt 0x6
	v_lshrrev_b32_e32 v87, 24, v58
	v_cvt_f32_fp8_e32 v106, v106
	s_wait_loadcnt 0x4
	v_lshrrev_b32_e32 v97, 24, v54
	s_wait_loadcnt 0x3
	v_bfe_u32 v98, v55, 16, 8
	s_wait_loadcnt 0x2
	v_bfe_u32 v100, v56, 16, 8
	s_wait_loadcnt 0x1
	v_and_b32_e32 v102, 0xff, v86
	v_bfe_u32 v104, v86, 8, 8
	v_bfe_u32 v105, v86, 16, 8
	v_lshrrev_b32_e32 v86, 24, v86
	s_wait_kmcnt 0x0
	v_dual_mul_f32 v106, s65, v106 :: v_dual_and_b32 v81, 0xffff0000, v24
	v_and_b32_e32 v84, 0xffff0000, v21
	v_cvt_f32_fp8_e32 v87, v87
	v_lshlrev_b32_e32 v82, 16, v21
	v_and_b32_e32 v21, 0xffff0000, v18
	v_cvt_f32_fp8_e32 v90, v90
	s_wait_dscnt 0x3
	v_lshlrev_b32_e32 v73, 16, v15
	v_cvt_f32_fp8_e32 v91, v91
	v_lshlrev_b32_e32 v76, 16, v18
	v_and_b32_e32 v18, 0xffff0000, v15
	v_and_b32_e32 v15, 0xffff0000, v16
	v_cvt_f32_fp8_e32 v92, v92
	s_wait_dscnt 0x2
	v_lshlrev_b32_e32 v71, 16, v9
	v_cvt_f32_fp8_e32 v97, v97
	v_lshlrev_b32_e32 v70, 16, v16
	v_and_b32_e32 v16, 0xffff0000, v9
	s_wait_dscnt 0x1
	v_and_b32_e32 v9, 0xffff0000, v7
	v_cvt_f32_fp8_e32 v98, v98
	v_lshlrev_b32_e32 v65, 16, v7
	s_wait_dscnt 0x0
	v_and_b32_e32 v7, 0xffff0000, v1
	v_cvt_f32_fp8_e32 v100, v100
	v_lshlrev_b32_e32 v63, 16, v1
	v_and_b32_e32 v1, 0xffff0000, v4
	v_cvt_f32_fp8_e32 v86, v86
	v_lshlrev_b32_e32 v59, 16, v4
	v_and_b32_e32 v4, 0xff, v46
	v_lshrrev_b32_e32 v94, 24, v52
	v_bfe_u32 v95, v53, 16, 8
	v_bfe_u32 v96, v54, 8, 8
	v_and_b32_e32 v103, 0xff, v49
	v_cvt_f32_fp8_e32 v4, v4
	v_cvt_f32_fp8_e32 v104, v104
	v_lshlrev_b32_e32 v83, 16, v23
	v_and_b32_e32 v85, 0xffff0000, v23
	v_and_b32_e32 v23, 0xffff0000, v19
	;; [unrolled: 1-line block ×3, first 2 shown]
	v_bfe_u32 v93, v52, 8, 8
	v_bfe_u32 v99, v56, 8, 8
	v_lshrrev_b32_e32 v101, 24, v56
	v_cvt_f32_fp8_e32 v89, v89
	v_cvt_f32_fp8_e32 v103, v103
	v_lshlrev_b32_e32 v80, 16, v24
	v_and_b32_e32 v24, 0xffff0000, v17
	v_cvt_f32_fp8_e32 v94, v94
	v_lshlrev_b32_e32 v69, 16, v11
	v_cvt_f32_fp8_e32 v95, v95
	v_lshlrev_b32_e32 v72, 16, v14
	v_cvt_f32_fp8_e32 v96, v96
	v_dual_mul_f32 v4, s65, v4 :: v_dual_lshlrev_b32 v67, 16, v5
	v_and_b32_e32 v17, 0xffff0000, v14
	v_and_b32_e32 v14, 0xffff0000, v11
	;; [unrolled: 1-line block ×4, first 2 shown]
	v_mul_f32_e32 v104, s65, v104
	v_lshlrev_b32_e32 v62, 16, v8
	v_bfe_u32 v8, v46, 8, 8
	v_dual_mul_f32 v89, s65, v89 :: v_dual_lshlrev_b32 v78, 16, v22
	v_cvt_f32_fp8_e32 v88, v88
	v_lshlrev_b32_e32 v75, 16, v13
	s_delay_alu instid0(VALU_DEP_4)
	v_cvt_f32_fp8_e32 v8, v8
	v_cvt_f32_fp8_e32 v93, v93
	v_lshlrev_b32_e32 v74, 16, v20
	v_and_b32_e32 v20, 0xffff0000, v13
	v_and_b32_e32 v13, 0xffff0000, v10
	v_cvt_f32_fp8_e32 v99, v99
	v_lshlrev_b32_e32 v68, 16, v10
	v_and_b32_e32 v10, 0xffff0000, v12
	v_cvt_f32_fp8_e32 v101, v101
	v_lshlrev_b32_e32 v66, 16, v12
	v_bfe_u32 v12, v58, 16, 8
	v_mul_f32_e32 v87, s65, v87
	v_cvt_f32_fp8_e32 v102, v102
	v_mul_f32_e32 v8, s65, v8
	v_mul_f32_e32 v88, s65, v88
	v_cvt_f32_fp8_e32 v12, v12
	v_mul_f32_e32 v90, s65, v90
	v_mul_f32_e32 v92, s65, v92
	v_mul_f32_e32 v96, s65, v96
	v_bfe_u32 v111, v87, 16, 1
	v_dual_mul_f32 v102, s65, v102 :: v_dual_lshlrev_b32 v61, 16, v3
	v_cvt_f32_fp8_e32 v105, v105
	v_dual_mul_f32 v12, s65, v12 :: v_dual_mul_f32 v91, s65, v91
	v_dual_mul_f32 v93, s65, v93 :: v_dual_mul_f32 v94, s65, v94
	v_dual_mul_f32 v95, s65, v95 :: v_dual_mul_f32 v98, s65, v98
	v_dual_mul_f32 v99, s65, v99 :: v_dual_mul_f32 v100, s65, v100
	v_bfe_u32 v107, v8, 16, 1
	v_or_b32_e32 v112, 0x400000, v87
	v_bfe_u32 v113, v88, 16, 1
	v_bfe_u32 v119, v90, 16, 1
	;; [unrolled: 1-line block ×4, first 2 shown]
	v_add3_u32 v111, v111, v87, 0x7fff
	v_cmp_u_f32_e64 s23, v87, v87
	v_bfe_u32 v87, v96, 16, 1
	v_dual_mul_f32 v105, s65, v105 :: v_dual_lshlrev_b32 v64, 16, v6
	v_mul_f32_e32 v103, s65, v103
	v_mul_f32_e32 v97, s65, v97
	v_dual_mul_f32 v101, s65, v101 :: v_dual_mul_f32 v86, s65, v86
	v_or_b32_e32 v108, 0x400000, v8
	v_bfe_u32 v109, v12, 16, 1
	v_or_b32_e32 v114, 0x400000, v88
	v_bfe_u32 v115, v89, 16, 1
	;; [unrolled: 2-line block ×3, first 2 shown]
	v_or_b32_e32 v123, 0x400000, v106
	v_or_b32_e32 v126, 0x400000, v92
	v_bfe_u32 v127, v93, 16, 1
	v_bfe_u32 v129, v94, 16, 1
	v_add3_u32 v107, v107, v8, 0x7fff
	v_cmp_u_f32_e64 s21, v8, v8
	v_bfe_u32 v8, v95, 16, 1
	v_add3_u32 v113, v113, v88, 0x7fff
	v_cmp_u_f32_e64 s24, v88, v88
	v_or_b32_e32 v88, 0x400000, v96
	v_add3_u32 v119, v119, v90, 0x7fff
	v_cmp_u_f32_e64 s18, v90, v90
	v_bfe_u32 v90, v98, 16, 1
	v_add3_u32 v121, v121, v106, 0x7fff
	v_cmp_u_f32_e64 s20, v106, v106
	v_bfe_u32 v106, v99, 16, 1
	;; [unrolled: 3-line block ×4, first 2 shown]
	v_or_b32_e32 v110, 0x400000, v12
	v_or_b32_e32 v116, 0x400000, v89
	v_bfe_u32 v117, v103, 16, 1
	v_or_b32_e32 v124, 0x400000, v91
	v_or_b32_e32 v128, 0x400000, v93
	;; [unrolled: 1-line block ×3, first 2 shown]
	v_add3_u32 v109, v109, v12, 0x7fff
	v_cmp_u_f32_e64 s22, v12, v12
	v_or_b32_e32 v12, 0x400000, v95
	v_add3_u32 v115, v115, v89, 0x7fff
	v_cmp_u_f32_e64 s25, v89, v89
	v_bfe_u32 v89, v97, 16, 1
	v_add3_u32 v122, v122, v91, 0x7fff
	v_cmp_u_f32_e64 s14, v91, v91
	v_or_b32_e32 v91, 0x400000, v98
	v_add3_u32 v127, v127, v93, 0x7fff
	v_cmp_u_f32_e64 s17, v93, v93
	v_or_b32_e32 v93, 0x400000, v99
	v_add3_u32 v129, v129, v94, 0x7fff
	v_cmp_u_f32_e64 s16, v94, v94
	v_bfe_u32 v94, v101, 16, 1
	v_add3_u32 v8, v8, v95, 0x7fff
	v_cmp_u_f32_e64 s15, v95, v95
	v_or_b32_e32 v95, 0x400000, v100
	v_add3_u32 v90, v90, v98, 0x7fff
	v_cmp_u_f32_e64 s11, v98, v98
	v_bfe_u32 v98, v104, 16, 1
	v_add3_u32 v106, v106, v99, 0x7fff
	v_cmp_u_f32_e64 s4, v99, v99
	v_or_b32_e32 v99, 0x400000, v102
	v_add3_u32 v92, v92, v100, 0x7fff
	v_cmp_u_f32_e64 s5, v100, v100
	v_bfe_u32 v100, v105, 16, 1
	v_add3_u32 v96, v96, v102, 0x7fff
	v_cmp_u_f32_e64 s7, v102, v102
	v_bfe_u32 v102, v86, 16, 1
	v_or_b32_e32 v118, 0x400000, v103
	v_add3_u32 v117, v117, v103, 0x7fff
	v_cmp_u_f32_e64 s19, v103, v103
	v_or_b32_e32 v103, 0x400000, v97
	v_add3_u32 v89, v89, v97, 0x7fff
	v_cmp_u_f32_e64 s12, v97, v97
	;; [unrolled: 3-line block ×6, first 2 shown]
	v_bfe_u32 v86, v4, 16, 1
	v_or_b32_e32 v131, 0x400000, v4
	v_cmp_u_f32_e64 s27, v4, v4
	s_wait_alu 0xf1ff
	v_cndmask_b32_e64 v107, v107, v108, s21
	v_cndmask_b32_e64 v109, v109, v110, s22
	v_add3_u32 v86, v86, v4, 0x7fff
	v_cndmask_b32_e64 v111, v111, v112, s23
	v_cndmask_b32_e64 v113, v113, v114, s24
	;; [unrolled: 1-line block ×5, first 2 shown]
	v_and_b32_e32 v86, 0xff, v58
	v_bfe_u32 v58, v58, 8, 8
	v_cndmask_b32_e64 v119, v119, v120, s18
	v_cndmask_b32_e64 v122, v122, v124, s14
	v_and_b32_e32 v4, 0xffff0000, v4
	v_cvt_f32_fp8_e32 v86, v86
	v_cvt_f32_fp8_e32 v58, v58
	v_cndmask_b32_e64 v8, v8, v12, s15
	s_delay_alu instid0(VALU_DEP_4) | instskip(NEXT) | instid1(VALU_DEP_4)
	v_mul_f32_e32 v4, v83, v4
	v_mul_f32_e32 v86, s65, v86
	s_delay_alu instid0(VALU_DEP_4) | instskip(NEXT) | instid1(VALU_DEP_4)
	v_mul_f32_e32 v58, s65, v58
	v_and_b32_e32 v8, 0xffff0000, v8
	s_delay_alu instid0(VALU_DEP_3)
	v_bfe_u32 v131, v86, 16, 1
	v_or_b32_e32 v132, 0x400000, v86
	v_cmp_u_f32_e64 s27, v86, v86
	v_bfe_u32 v108, v58, 16, 1
	v_cmp_u_f32_e64 s21, v58, v58
	v_add3_u32 v131, v131, v86, 0x7fff
	s_delay_alu instid0(VALU_DEP_3) | instskip(SKIP_1) | instid1(VALU_DEP_2)
	v_add3_u32 v108, v108, v58, 0x7fff
	s_wait_alu 0xf1ff
	v_cndmask_b32_e64 v86, v131, v132, s27
	v_or_b32_e32 v131, 0x400000, v58
	s_delay_alu instid0(VALU_DEP_1) | instskip(SKIP_2) | instid1(VALU_DEP_2)
	v_cndmask_b32_e64 v58, v108, v131, s21
	v_bfe_u32 v108, v46, 16, 8
	v_lshrrev_b32_e32 v46, 24, v46
	v_cvt_f32_fp8_e32 v108, v108
	s_delay_alu instid0(VALU_DEP_2) | instskip(NEXT) | instid1(VALU_DEP_2)
	v_cvt_f32_fp8_e32 v46, v46
	v_mul_f32_e32 v108, s65, v108
	s_delay_alu instid0(VALU_DEP_2) | instskip(NEXT) | instid1(VALU_DEP_2)
	v_mul_f32_e32 v46, s65, v46
	v_bfe_u32 v131, v108, 16, 1
	v_or_b32_e32 v132, 0x400000, v108
	v_cmp_u_f32_e64 s21, v108, v108
	s_delay_alu instid0(VALU_DEP_4) | instskip(NEXT) | instid1(VALU_DEP_4)
	v_bfe_u32 v110, v46, 16, 1
	v_add3_u32 v131, v131, v108, 0x7fff
	s_delay_alu instid0(VALU_DEP_2) | instskip(SKIP_1) | instid1(VALU_DEP_2)
	v_add3_u32 v110, v110, v46, 0x7fff
	s_wait_alu 0xf1ff
	v_cndmask_b32_e64 v108, v131, v132, s21
	v_or_b32_e32 v131, 0x400000, v46
	v_cmp_u_f32_e64 s21, v46, v46
	v_and_b32_e32 v46, 0xff, v47
	s_wait_alu 0xf1ff
	s_delay_alu instid0(VALU_DEP_2) | instskip(NEXT) | instid1(VALU_DEP_2)
	v_cndmask_b32_e64 v110, v110, v131, s21
	v_cvt_f32_fp8_e32 v46, v46
	s_delay_alu instid0(VALU_DEP_1) | instskip(NEXT) | instid1(VALU_DEP_1)
	v_mul_f32_e32 v46, s65, v46
	v_bfe_u32 v112, v46, 16, 1
	v_or_b32_e32 v131, 0x400000, v46
	v_cmp_u_f32_e64 s21, v46, v46
	s_delay_alu instid0(VALU_DEP_3) | instskip(SKIP_2) | instid1(VALU_DEP_2)
	v_add3_u32 v112, v112, v46, 0x7fff
	v_bfe_u32 v46, v47, 8, 8
	s_wait_alu 0xf1ff
	v_cndmask_b32_e64 v112, v112, v131, s21
	s_delay_alu instid0(VALU_DEP_2) | instskip(NEXT) | instid1(VALU_DEP_1)
	v_cvt_f32_fp8_e32 v46, v46
	v_mul_f32_e32 v46, s65, v46
	s_delay_alu instid0(VALU_DEP_1) | instskip(SKIP_2) | instid1(VALU_DEP_3)
	v_bfe_u32 v131, v46, 16, 1
	v_or_b32_e32 v132, 0x400000, v46
	v_cmp_u_f32_e64 s21, v46, v46
	v_add3_u32 v131, v131, v46, 0x7fff
	v_lshrrev_b32_e32 v46, 24, v47
	s_wait_alu 0xf1ff
	s_delay_alu instid0(VALU_DEP_2) | instskip(NEXT) | instid1(VALU_DEP_2)
	v_cndmask_b32_e64 v131, v131, v132, s21
	v_cvt_f32_fp8_e32 v46, v46
	s_delay_alu instid0(VALU_DEP_1) | instskip(NEXT) | instid1(VALU_DEP_1)
	v_mul_f32_e32 v46, s65, v46
	v_bfe_u32 v47, v46, 16, 1
	v_or_b32_e32 v114, 0x400000, v46
	v_cmp_u_f32_e64 s21, v46, v46
	s_delay_alu instid0(VALU_DEP_3) | instskip(SKIP_2) | instid1(VALU_DEP_2)
	v_add3_u32 v47, v47, v46, 0x7fff
	v_bfe_u32 v46, v48, 8, 8
	s_wait_alu 0xf1ff
	v_cndmask_b32_e64 v114, v47, v114, s21
	s_delay_alu instid0(VALU_DEP_2) | instskip(NEXT) | instid1(VALU_DEP_1)
	v_cvt_f32_fp8_e32 v46, v46
	v_mul_f32_e32 v46, s65, v46
	s_delay_alu instid0(VALU_DEP_1) | instskip(SKIP_2) | instid1(VALU_DEP_3)
	v_bfe_u32 v47, v46, 16, 1
	v_or_b32_e32 v116, 0x400000, v46
	v_cmp_u_f32_e64 s21, v46, v46
	v_add3_u32 v47, v47, v46, 0x7fff
	v_bfe_u32 v46, v48, 16, 8
	s_wait_alu 0xf1ff
	s_delay_alu instid0(VALU_DEP_2) | instskip(NEXT) | instid1(VALU_DEP_2)
	v_cndmask_b32_e64 v116, v47, v116, s21
	v_cvt_f32_fp8_e32 v46, v46
	s_delay_alu instid0(VALU_DEP_1) | instskip(NEXT) | instid1(VALU_DEP_1)
	v_dual_mul_f32 v46, s65, v46 :: v_dual_and_b32 v3, 0xffff0000, v3
	v_bfe_u32 v47, v46, 16, 1
	v_or_b32_e32 v132, 0x400000, v46
	v_cmp_u_f32_e64 s21, v46, v46
	s_delay_alu instid0(VALU_DEP_3) | instskip(SKIP_2) | instid1(VALU_DEP_2)
	v_add3_u32 v47, v47, v46, 0x7fff
	v_lshrrev_b32_e32 v46, 24, v48
	s_wait_alu 0xf1ff
	v_cndmask_b32_e64 v132, v47, v132, s21
	s_delay_alu instid0(VALU_DEP_2) | instskip(NEXT) | instid1(VALU_DEP_1)
	v_cvt_f32_fp8_e32 v46, v46
	v_mul_f32_e32 v46, s65, v46
	s_delay_alu instid0(VALU_DEP_1) | instskip(SKIP_2) | instid1(VALU_DEP_3)
	v_bfe_u32 v47, v46, 16, 1
	v_or_b32_e32 v48, 0x400000, v46
	v_cmp_u_f32_e64 s21, v46, v46
	v_add3_u32 v47, v47, v46, 0x7fff
	v_bfe_u32 v46, v49, 8, 8
	s_wait_alu 0xf1ff
	s_delay_alu instid0(VALU_DEP_2) | instskip(NEXT) | instid1(VALU_DEP_2)
	v_cndmask_b32_e64 v133, v47, v48, s21
	v_cvt_f32_fp8_e32 v46, v46
	s_delay_alu instid0(VALU_DEP_1) | instskip(NEXT) | instid1(VALU_DEP_1)
	v_mul_f32_e32 v46, s65, v46
	v_bfe_u32 v47, v46, 16, 1
	v_or_b32_e32 v48, 0x400000, v46
	v_cmp_u_f32_e64 s19, v46, v46
	s_delay_alu instid0(VALU_DEP_3) | instskip(SKIP_2) | instid1(VALU_DEP_2)
	v_add3_u32 v47, v47, v46, 0x7fff
	v_and_b32_e32 v46, 0xff, v50
	s_wait_alu 0xf1ff
	v_cndmask_b32_e64 v118, v47, v48, s19
	s_delay_alu instid0(VALU_DEP_2) | instskip(NEXT) | instid1(VALU_DEP_1)
	v_cvt_f32_fp8_e32 v46, v46
	v_mul_f32_e32 v46, s65, v46
	s_delay_alu instid0(VALU_DEP_1) | instskip(SKIP_2) | instid1(VALU_DEP_3)
	v_bfe_u32 v47, v46, 16, 1
	v_or_b32_e32 v48, 0x400000, v46
	v_cmp_u_f32_e64 s18, v46, v46
	v_add3_u32 v47, v47, v46, 0x7fff
	v_bfe_u32 v46, v50, 8, 8
	s_wait_alu 0xf1ff
	s_delay_alu instid0(VALU_DEP_2) | instskip(NEXT) | instid1(VALU_DEP_2)
	v_cndmask_b32_e64 v120, v47, v48, s18
	v_cvt_f32_fp8_e32 v46, v46
	s_delay_alu instid0(VALU_DEP_1) | instskip(NEXT) | instid1(VALU_DEP_1)
	v_mul_f32_e32 v46, s65, v46
	v_bfe_u32 v47, v46, 16, 1
	v_or_b32_e32 v48, 0x400000, v46
	v_cmp_u_f32_e64 s18, v46, v46
	s_delay_alu instid0(VALU_DEP_3) | instskip(SKIP_3) | instid1(VALU_DEP_3)
	v_add3_u32 v47, v47, v46, 0x7fff
	v_bfe_u32 v46, v50, 16, 8
	v_cndmask_b32_e64 v50, v121, v123, s20
	s_wait_alu 0xf1ff
	v_cndmask_b32_e64 v134, v47, v48, s18
	s_delay_alu instid0(VALU_DEP_3) | instskip(NEXT) | instid1(VALU_DEP_3)
	v_cvt_f32_fp8_e32 v46, v46
	v_and_b32_e32 v50, 0xffff0000, v50
	s_delay_alu instid0(VALU_DEP_2) | instskip(NEXT) | instid1(VALU_DEP_1)
	v_mul_f32_e32 v46, s65, v46
	v_bfe_u32 v47, v46, 16, 1
	v_or_b32_e32 v48, 0x400000, v46
	v_cmp_u_f32_e64 s18, v46, v46
	s_delay_alu instid0(VALU_DEP_3) | instskip(SKIP_2) | instid1(VALU_DEP_2)
	v_add3_u32 v47, v47, v46, 0x7fff
	v_and_b32_e32 v46, 0xff, v51
	s_wait_alu 0xf1ff
	v_cndmask_b32_e64 v121, v47, v48, s18
	s_delay_alu instid0(VALU_DEP_2) | instskip(NEXT) | instid1(VALU_DEP_1)
	v_cvt_f32_fp8_e32 v46, v46
	v_mul_f32_e32 v46, s65, v46
	s_delay_alu instid0(VALU_DEP_1) | instskip(SKIP_2) | instid1(VALU_DEP_3)
	v_bfe_u32 v47, v46, 16, 1
	v_or_b32_e32 v48, 0x400000, v46
	v_cmp_u_f32_e64 s14, v46, v46
	v_add3_u32 v47, v47, v46, 0x7fff
	v_bfe_u32 v46, v51, 8, 8
	s_wait_alu 0xf1ff
	s_delay_alu instid0(VALU_DEP_2) | instskip(NEXT) | instid1(VALU_DEP_2)
	v_cndmask_b32_e64 v123, v47, v48, s14
	v_cvt_f32_fp8_e32 v46, v46
	s_delay_alu instid0(VALU_DEP_1) | instskip(NEXT) | instid1(VALU_DEP_1)
	v_mul_f32_e32 v46, s65, v46
	v_bfe_u32 v47, v46, 16, 1
	v_or_b32_e32 v48, 0x400000, v46
	v_cmp_u_f32_e64 s14, v46, v46
	s_delay_alu instid0(VALU_DEP_3) | instskip(SKIP_3) | instid1(VALU_DEP_3)
	v_add3_u32 v47, v47, v46, 0x7fff
	v_lshrrev_b32_e32 v46, 24, v51
	v_cndmask_b32_e64 v51, v125, v126, s26
	s_wait_alu 0xf1ff
	v_cndmask_b32_e64 v124, v47, v48, s14
	s_delay_alu instid0(VALU_DEP_3) | instskip(NEXT) | instid1(VALU_DEP_1)
	v_cvt_f32_fp8_e32 v46, v46
	v_dual_mul_f32 v46, s65, v46 :: v_dual_and_b32 v51, 0xffff0000, v51
	s_delay_alu instid0(VALU_DEP_1) | instskip(SKIP_2) | instid1(VALU_DEP_3)
	v_bfe_u32 v47, v46, 16, 1
	v_or_b32_e32 v48, 0x400000, v46
	v_cmp_u_f32_e64 s14, v46, v46
	v_add3_u32 v47, v47, v46, 0x7fff
	v_and_b32_e32 v46, 0xff, v52
	s_wait_alu 0xf1ff
	s_delay_alu instid0(VALU_DEP_2) | instskip(NEXT) | instid1(VALU_DEP_2)
	v_cndmask_b32_e64 v125, v47, v48, s14
	v_cvt_f32_fp8_e32 v46, v46
	s_delay_alu instid0(VALU_DEP_1) | instskip(NEXT) | instid1(VALU_DEP_1)
	v_mul_f32_e32 v46, s65, v46
	v_bfe_u32 v47, v46, 16, 1
	v_or_b32_e32 v48, 0x400000, v46
	v_cmp_u_f32_e64 s14, v46, v46
	s_delay_alu instid0(VALU_DEP_3)
	v_add3_u32 v47, v47, v46, 0x7fff
	v_bfe_u32 v46, v52, 16, 8
	v_cndmask_b32_e64 v52, v127, v128, s17
	v_cndmask_b32_e64 v128, v129, v130, s16
	s_wait_alu 0xf1ff
	v_cndmask_b32_e64 v126, v47, v48, s14
	v_cvt_f32_fp8_e32 v46, v46
	v_and_b32_e32 v52, 0xffff0000, v52
	s_delay_alu instid0(VALU_DEP_2) | instskip(NEXT) | instid1(VALU_DEP_1)
	v_mul_f32_e32 v46, s65, v46
	v_bfe_u32 v47, v46, 16, 1
	v_or_b32_e32 v48, 0x400000, v46
	v_cmp_u_f32_e64 s14, v46, v46
	s_delay_alu instid0(VALU_DEP_3) | instskip(SKIP_2) | instid1(VALU_DEP_2)
	v_add3_u32 v47, v47, v46, 0x7fff
	v_and_b32_e32 v46, 0xff, v53
	s_wait_alu 0xf1ff
	v_cndmask_b32_e64 v127, v47, v48, s14
	s_delay_alu instid0(VALU_DEP_2) | instskip(NEXT) | instid1(VALU_DEP_1)
	v_cvt_f32_fp8_e32 v46, v46
	v_mul_f32_e32 v46, s65, v46
	s_delay_alu instid0(VALU_DEP_1) | instskip(SKIP_2) | instid1(VALU_DEP_3)
	v_bfe_u32 v47, v46, 16, 1
	v_or_b32_e32 v48, 0x400000, v46
	v_cmp_u_f32_e64 s14, v46, v46
	v_add3_u32 v47, v47, v46, 0x7fff
	v_bfe_u32 v46, v53, 8, 8
	s_wait_alu 0xf1ff
	s_delay_alu instid0(VALU_DEP_2) | instskip(NEXT) | instid1(VALU_DEP_2)
	v_cndmask_b32_e64 v129, v47, v48, s14
	v_cvt_f32_fp8_e32 v46, v46
	s_delay_alu instid0(VALU_DEP_1) | instskip(NEXT) | instid1(VALU_DEP_1)
	v_mul_f32_e32 v46, s65, v46
	v_bfe_u32 v47, v46, 16, 1
	v_or_b32_e32 v48, 0x400000, v46
	v_cmp_u_f32_e64 s14, v46, v46
	s_delay_alu instid0(VALU_DEP_3) | instskip(SKIP_2) | instid1(VALU_DEP_2)
	v_add3_u32 v47, v47, v46, 0x7fff
	v_lshrrev_b32_e32 v46, 24, v53
	s_wait_alu 0xf1ff
	v_cndmask_b32_e64 v130, v47, v48, s14
	s_delay_alu instid0(VALU_DEP_2) | instskip(NEXT) | instid1(VALU_DEP_1)
	v_cvt_f32_fp8_e32 v46, v46
	v_mul_f32_e32 v46, s65, v46
	s_delay_alu instid0(VALU_DEP_1) | instskip(SKIP_2) | instid1(VALU_DEP_3)
	v_bfe_u32 v12, v46, 16, 1
	v_or_b32_e32 v47, 0x400000, v46
	v_cmp_u_f32_e64 s14, v46, v46
	v_add3_u32 v12, v12, v46, 0x7fff
	v_and_b32_e32 v46, 0xff, v54
	s_wait_alu 0xf1ff
	s_delay_alu instid0(VALU_DEP_2) | instskip(NEXT) | instid1(VALU_DEP_2)
	v_cndmask_b32_e64 v12, v12, v47, s14
	v_cvt_f32_fp8_e32 v46, v46
	s_delay_alu instid0(VALU_DEP_2) | instskip(NEXT) | instid1(VALU_DEP_2)
	v_and_b32_e32 v12, 0xffff0000, v12
	v_mul_f32_e32 v46, s65, v46
	s_delay_alu instid0(VALU_DEP_1) | instskip(SKIP_2) | instid1(VALU_DEP_3)
	v_bfe_u32 v47, v46, 16, 1
	v_or_b32_e32 v48, 0x400000, v46
	v_cmp_u_f32_e64 s14, v46, v46
	v_add3_u32 v47, v47, v46, 0x7fff
	v_bfe_u32 v46, v54, 16, 8
	v_cndmask_b32_e64 v54, v87, v88, s13
	v_cndmask_b32_e64 v88, v89, v103, s12
	s_wait_alu 0xf1ff
	v_cndmask_b32_e64 v53, v47, v48, s14
	v_cvt_f32_fp8_e32 v46, v46
	v_and_b32_e32 v54, 0xffff0000, v54
	v_and_b32_e32 v88, 0xffff0000, v88
	s_delay_alu instid0(VALU_DEP_3) | instskip(NEXT) | instid1(VALU_DEP_1)
	v_dual_mul_f32 v46, s65, v46 :: v_dual_and_b32 v53, 0xffff0000, v53
	v_bfe_u32 v47, v46, 16, 1
	v_or_b32_e32 v48, 0x400000, v46
	v_cmp_u_f32_e64 s13, v46, v46
	s_delay_alu instid0(VALU_DEP_3) | instskip(SKIP_2) | instid1(VALU_DEP_2)
	v_add3_u32 v47, v47, v46, 0x7fff
	v_and_b32_e32 v46, 0xff, v55
	s_wait_alu 0xf1ff
	v_cndmask_b32_e64 v87, v47, v48, s13
	s_delay_alu instid0(VALU_DEP_2) | instskip(NEXT) | instid1(VALU_DEP_1)
	v_cvt_f32_fp8_e32 v46, v46
	v_dual_mul_f32 v46, s65, v46 :: v_dual_and_b32 v87, 0xffff0000, v87
	s_delay_alu instid0(VALU_DEP_1) | instskip(SKIP_2) | instid1(VALU_DEP_3)
	v_bfe_u32 v47, v46, 16, 1
	v_or_b32_e32 v48, 0x400000, v46
	v_cmp_u_f32_e64 s12, v46, v46
	v_add3_u32 v47, v47, v46, 0x7fff
	v_bfe_u32 v46, v55, 8, 8
	s_wait_alu 0xf1ff
	s_delay_alu instid0(VALU_DEP_2) | instskip(NEXT) | instid1(VALU_DEP_2)
	v_cndmask_b32_e64 v89, v47, v48, s12
	v_cvt_f32_fp8_e32 v46, v46
	s_delay_alu instid0(VALU_DEP_1) | instskip(NEXT) | instid1(VALU_DEP_1)
	v_dual_mul_f32 v46, s65, v46 :: v_dual_and_b32 v89, 0xffff0000, v89
	v_bfe_u32 v47, v46, 16, 1
	v_or_b32_e32 v48, 0x400000, v46
	v_cmp_u_f32_e64 s12, v46, v46
	s_delay_alu instid0(VALU_DEP_3) | instskip(SKIP_3) | instid1(VALU_DEP_3)
	v_add3_u32 v47, v47, v46, 0x7fff
	v_lshrrev_b32_e32 v46, 24, v55
	v_cndmask_b32_e64 v55, v90, v91, s11
	s_wait_alu 0xf1ff
	v_cndmask_b32_e64 v103, v47, v48, s12
	s_delay_alu instid0(VALU_DEP_3) | instskip(NEXT) | instid1(VALU_DEP_1)
	v_cvt_f32_fp8_e32 v46, v46
	v_dual_mul_f32 v46, s65, v46 :: v_dual_and_b32 v55, 0xffff0000, v55
	s_delay_alu instid0(VALU_DEP_1) | instskip(SKIP_2) | instid1(VALU_DEP_3)
	v_bfe_u32 v47, v46, 16, 1
	v_or_b32_e32 v48, 0x400000, v46
	v_cmp_u_f32_e64 s11, v46, v46
	v_add3_u32 v47, v47, v46, 0x7fff
	s_wait_alu 0xf1ff
	s_delay_alu instid0(VALU_DEP_1) | instskip(NEXT) | instid1(VALU_DEP_1)
	v_cndmask_b32_e64 v90, v47, v48, s11
	v_and_b32_e32 v90, 0xffff0000, v90
	s_wait_loadcnt 0x0
	v_and_b32_e32 v46, 0xff, v57
	s_delay_alu instid0(VALU_DEP_1) | instskip(NEXT) | instid1(VALU_DEP_1)
	v_cvt_f32_fp8_e32 v46, v46
	v_mul_f32_e32 v46, s65, v46
	s_delay_alu instid0(VALU_DEP_1) | instskip(SKIP_2) | instid1(VALU_DEP_3)
	v_bfe_u32 v47, v46, 16, 1
	v_or_b32_e32 v48, 0x400000, v46
	v_cmp_u_f32_e64 s11, v46, v46
	v_add3_u32 v47, v47, v46, 0x7fff
	v_bfe_u32 v46, v57, 8, 8
	s_wait_alu 0xf1ff
	s_delay_alu instid0(VALU_DEP_2) | instskip(NEXT) | instid1(VALU_DEP_2)
	v_cndmask_b32_e64 v91, v47, v48, s11
	v_cvt_f32_fp8_e32 v46, v46
	s_delay_alu instid0(VALU_DEP_1) | instskip(NEXT) | instid1(VALU_DEP_1)
	v_mul_f32_e32 v46, s65, v46
	v_bfe_u32 v47, v46, 16, 1
	v_or_b32_e32 v48, 0x400000, v46
	v_cmp_u_f32_e64 s11, v46, v46
	s_delay_alu instid0(VALU_DEP_3) | instskip(SKIP_2) | instid1(VALU_DEP_2)
	v_add3_u32 v47, v47, v46, 0x7fff
	v_bfe_u32 v46, v57, 16, 8
	s_wait_alu 0xf1ff
	v_cndmask_b32_e64 v135, v47, v48, s11
	s_delay_alu instid0(VALU_DEP_2) | instskip(NEXT) | instid1(VALU_DEP_1)
	v_cvt_f32_fp8_e32 v46, v46
	v_mul_f32_e32 v46, s65, v46
	s_delay_alu instid0(VALU_DEP_1) | instskip(SKIP_2) | instid1(VALU_DEP_3)
	v_bfe_u32 v47, v46, 16, 1
	v_or_b32_e32 v48, 0x400000, v46
	v_cmp_u_f32_e64 s11, v46, v46
	v_add3_u32 v47, v47, v46, 0x7fff
	v_lshrrev_b32_e32 v46, 24, v57
	s_wait_alu 0xf1ff
	s_delay_alu instid0(VALU_DEP_2) | instskip(NEXT) | instid1(VALU_DEP_2)
	v_cndmask_b32_e64 v136, v47, v48, s11
	v_cvt_f32_fp8_e32 v46, v46
	s_delay_alu instid0(VALU_DEP_1) | instskip(NEXT) | instid1(VALU_DEP_1)
	v_mul_f32_e32 v46, s65, v46
	v_bfe_u32 v47, v46, 16, 1
	v_or_b32_e32 v48, 0x400000, v46
	v_cmp_u_f32_e64 s11, v46, v46
	s_delay_alu instid0(VALU_DEP_3) | instskip(SKIP_2) | instid1(VALU_DEP_2)
	v_add3_u32 v47, v47, v46, 0x7fff
	v_and_b32_e32 v46, 0xff, v56
	s_wait_alu 0xf1ff
	v_cndmask_b32_e64 v57, v47, v48, s11
	s_delay_alu instid0(VALU_DEP_2) | instskip(NEXT) | instid1(VALU_DEP_1)
	v_cvt_f32_fp8_e32 v46, v46
	v_mul_f32_e32 v46, s65, v46
	s_delay_alu instid0(VALU_DEP_1) | instskip(SKIP_2) | instid1(VALU_DEP_3)
	v_bfe_u32 v47, v46, 16, 1
	v_or_b32_e32 v48, 0x400000, v46
	v_cmp_u_f32_e64 s11, v46, v46
	v_add3_u32 v47, v47, v46, 0x7fff
	v_and_b32_e32 v46, 0xffff0000, v107
	v_and_b32_e32 v107, 0xffff0000, v115
	;; [unrolled: 1-line block ×3, first 2 shown]
	s_wait_alu 0xf1ff
	v_cndmask_b32_e64 v56, v47, v48, s11
	v_mul_f32_e32 v83, v85, v46
	v_and_b32_e32 v47, 0xffff0000, v58
	v_lshlrev_b32_e32 v60, 16, v2
	v_cndmask_b32_e64 v58, v106, v93, s4
	v_cndmask_b32_e64 v93, v98, v101, s8
	v_and_b32_e32 v101, 0xffff0000, v111
	v_fmac_f32_e32 v83, v84, v47
	v_cndmask_b32_e64 v84, v92, v95, s5
	v_cndmask_b32_e64 v95, v100, v104, s9
	v_and_b32_e32 v100, 0xffff0000, v110
	v_and_b32_e32 v104, 0xffff0000, v131
	;; [unrolled: 1-line block ×4, first 2 shown]
	s_delay_alu instid0(VALU_DEP_4) | instskip(NEXT) | instid1(VALU_DEP_4)
	v_dual_mul_f32 v81, v81, v100 :: v_dual_and_b32 v106, 0xffff0000, v114
	v_fmac_f32_e32 v83, v24, v104
	v_cndmask_b32_e64 v92, v96, v99, s7
	v_and_b32_e32 v99, 0xffff0000, v109
	v_and_b32_e32 v110, 0xffff0000, v133
	v_dual_fmac_f32 v81, v22, v101 :: v_dual_mul_f32 v80, v80, v98
	v_cndmask_b32_e64 v96, v102, v105, s10
	v_and_b32_e32 v105, 0xffff0000, v113
	s_delay_alu instid0(VALU_DEP_3) | instskip(NEXT) | instid1(VALU_DEP_4)
	v_dual_fmac_f32 v81, v21, v106 :: v_dual_and_b32 v108, 0xffff0000, v116
	v_dual_fmac_f32 v80, v78, v99 :: v_dual_and_b32 v109, 0xffff0000, v132
	v_and_b32_e32 v111, 0xffff0000, v117
	s_delay_alu instid0(VALU_DEP_3) | instskip(NEXT) | instid1(VALU_DEP_3)
	v_dual_fmac_f32 v81, v19, v110 :: v_dual_and_b32 v102, 0xffff0000, v112
	v_dual_fmac_f32 v80, v76, v105 :: v_dual_and_b32 v117, 0xffff0000, v122
	v_and_b32_e32 v112, 0xffff0000, v118
	s_delay_alu instid0(VALU_DEP_3) | instskip(SKIP_1) | instid1(VALU_DEP_4)
	v_dual_fmac_f32 v81, v17, v50 :: v_dual_and_b32 v114, 0xffff0000, v120
	v_dual_fmac_f32 v83, v23, v108 :: v_dual_and_b32 v120, 0xffff0000, v125
	v_fmac_f32_e32 v80, v74, v109
	s_delay_alu instid0(VALU_DEP_3)
	v_dual_fmac_f32 v81, v15, v117 :: v_dual_and_b32 v2, 0xffff0000, v2
	v_and_b32_e32 v118, 0xffff0000, v123
	v_and_b32_e32 v123, 0xffff0000, v128
	v_fmac_f32_e32 v83, v20, v112
	v_and_b32_e32 v113, 0xffff0000, v119
	v_fmac_f32_e32 v81, v13, v120
	v_and_b32_e32 v119, 0xffff0000, v124
	v_cndmask_b32_e64 v85, v94, v97, s6
	v_dual_fmac_f32 v83, v18, v115 :: v_dual_and_b32 v6, 0xffff0000, v6
	s_delay_alu instid0(VALU_DEP_4) | instskip(SKIP_1) | instid1(VALU_DEP_3)
	v_fmac_f32_e32 v81, v10, v123
	v_dual_fmac_f32 v80, v72, v113 :: v_dual_and_b32 v125, 0xffff0000, v130
	v_fmac_f32_e32 v83, v16, v119
	v_and_b32_e32 v17, 0xffff0000, v57
	s_delay_alu instid0(VALU_DEP_4) | instskip(NEXT) | instid1(VALU_DEP_3)
	v_dual_fmac_f32 v81, v6, v12 :: v_dual_and_b32 v6, 0xffff0000, v85
	v_dual_fmac_f32 v83, v14, v52 :: v_dual_and_b32 v98, 0xffff0000, v103
	s_delay_alu instid0(VALU_DEP_2) | instskip(SKIP_2) | instid1(VALU_DEP_3)
	v_dual_fmac_f32 v81, v5, v88 :: v_dual_and_b32 v116, 0xffff0000, v121
	v_and_b32_e32 v21, 0xffff0000, v135
	v_and_b32_e32 v5, 0xffff0000, v92
	v_dual_fmac_f32 v83, v11, v125 :: v_dual_fmac_f32 v80, v70, v116
	v_and_b32_e32 v13, 0xffff0000, v58
	v_dual_fmac_f32 v81, v2, v90 :: v_dual_and_b32 v122, 0xffff0000, v127
	s_delay_alu instid0(VALU_DEP_3) | instskip(SKIP_1) | instid1(VALU_DEP_3)
	v_dual_fmac_f32 v83, v9, v54 :: v_dual_fmac_f32 v80, v68, v51
	v_and_b32_e32 v124, 0xffff0000, v129
	v_dual_fmac_f32 v81, v1, v17 :: v_dual_and_b32 v46, 0xffff0000, v86
	s_delay_alu instid0(VALU_DEP_3) | instskip(NEXT) | instid1(VALU_DEP_4)
	v_fmac_f32_e32 v83, v7, v98
	v_fmac_f32_e32 v80, v66, v122
	v_and_b32_e32 v2, 0xffff0000, v93
	s_delay_alu instid0(VALU_DEP_4)
	v_dual_fmac_f32 v4, v82, v46 :: v_dual_and_b32 v19, 0xffff0000, v136
	ds_load_b128 v[46:49], v39 offset:96
	v_fmac_f32_e32 v83, v3, v21
	v_and_b32_e32 v3, 0xffff0000, v96
	v_fmac_f32_e32 v80, v64, v8
	v_fmac_f32_e32 v4, v79, v102
	v_and_b32_e32 v10, 0xffff0000, v84
	v_and_b32_e32 v22, 0xffff0000, v91
	;; [unrolled: 1-line block ×3, first 2 shown]
	v_fmac_f32_e32 v80, v62, v87
	v_dual_fmac_f32 v4, v77, v107 :: v_dual_and_b32 v121, 0xffff0000, v126
	v_and_b32_e32 v15, 0xffff0000, v56
	v_cmp_gt_i32_e64 s4, 32, v44
	s_delay_alu instid0(VALU_DEP_4) | instskip(NEXT) | instid1(VALU_DEP_4)
	v_fmac_f32_e32 v80, v60, v55
	v_fmac_f32_e32 v4, v75, v111
	s_delay_alu instid0(VALU_DEP_2) | instskip(NEXT) | instid1(VALU_DEP_2)
	v_fmac_f32_e32 v80, v59, v19
	v_fmac_f32_e32 v4, v73, v114
	s_wait_dscnt 0x0
	v_and_b32_e32 v82, 0xffff0000, v46
	v_lshlrev_b32_e32 v94, 16, v48
	v_and_b32_e32 v48, 0xffff0000, v48
	v_dual_fmac_f32 v4, v71, v118 :: v_dual_lshlrev_b32 v97, 16, v49
	s_delay_alu instid0(VALU_DEP_4) | instskip(NEXT) | instid1(VALU_DEP_1)
	v_fmac_f32_e32 v83, v82, v13
	v_dual_fmac_f32 v4, v69, v121 :: v_dual_fmac_f32 v83, v2, v48
	v_and_b32_e32 v2, 0xffff0000, v49
	v_lshlrev_b32_e32 v86, 16, v47
	s_delay_alu instid0(VALU_DEP_3) | instskip(NEXT) | instid1(VALU_DEP_1)
	v_dual_fmac_f32 v4, v67, v124 :: v_dual_and_b32 v47, 0xffff0000, v47
	v_dual_fmac_f32 v81, v6, v47 :: v_dual_fmac_f32 v4, v65, v53
	s_delay_alu instid0(VALU_DEP_1) | instskip(NEXT) | instid1(VALU_DEP_2)
	v_fmac_f32_e32 v81, v3, v2
	v_fmac_f32_e32 v4, v63, v89
	;; [unrolled: 1-line block ×3, first 2 shown]
	s_delay_alu instid0(VALU_DEP_2) | instskip(NEXT) | instid1(VALU_DEP_2)
	v_fmac_f32_e32 v4, v61, v22
	v_fmac_f32_e32 v80, v1, v97
	v_lshlrev_b32_e32 v46, 16, v46
	s_delay_alu instid0(VALU_DEP_1) | instskip(NEXT) | instid1(VALU_DEP_1)
	v_fmac_f32_e32 v4, v46, v15
	v_fmac_f32_e32 v4, v5, v94
	s_delay_alu instid0(VALU_DEP_1) | instskip(SKIP_2) | instid1(VALU_DEP_2)
	v_add_f32_e32 v1, v4, v83
	s_wait_alu 0xf1ff
	v_cndmask_b32_e64 v4, v36, v44, s4
	v_add_f32_e32 v1, v1, v80
	s_delay_alu instid0(VALU_DEP_1)
	v_dual_add_f32 v1, v81, v1 :: v_dual_lshlrev_b32 v2, 2, v4
	ds_bpermute_b32 v2, v2, v1
	s_and_saveexec_b32 s5, s3
	s_cbranch_execz .LBB335_11
; %bb.19:                               ;   in Loop: Header=BB335_13 Depth=1
	s_wait_dscnt 0x0
	v_add_f32_e32 v1, v1, v2
	v_add_nc_u32_e32 v3, v41, v40
	s_delay_alu instid0(VALU_DEP_1) | instskip(NEXT) | instid1(VALU_DEP_1)
	v_cvt_f32_i32_e32 v3, v3
	v_mul_f32_e32 v3, s57, v3
	s_delay_alu instid0(VALU_DEP_1) | instskip(NEXT) | instid1(VALU_DEP_1)
	v_dual_cndmask_b32 v2, 0, v3 :: v_dual_max_num_f32 v3, v38, v38
	v_dual_fmac_f32 v2, s51, v1 :: v_dual_add_nc_u32 v1, v37, v40
	s_delay_alu instid0(VALU_DEP_1) | instskip(NEXT) | instid1(VALU_DEP_2)
	v_max_num_f32_e32 v3, v3, v2
	v_cmp_gt_i32_e64 s4, s52, v1
	s_wait_alu 0xf1ff
	s_delay_alu instid0(VALU_DEP_1) | instskip(NEXT) | instid1(VALU_DEP_3)
	v_cndmask_b32_e64 v1, 0, v2, s4
	v_cndmask_b32_e64 v38, v38, v3, s4
	ds_store_b32 v42, v1
	s_branch .LBB335_11
.LBB335_20:
	s_or_b32 exec_lo, exec_lo, s62
.LBB335_21:
	s_wait_alu 0xfffe
	s_or_b32 exec_lo, exec_lo, s59
	v_xor_b32_e32 v1, 16, v36
	s_wait_dscnt 0x0
	v_xor_b32_e32 v2, 8, v36
	v_max_num_f32_e32 v5, v38, v38
	s_clause 0x2
	s_load_b128 s[4:7], s[0:1], 0x0
	s_load_b64 s[8:9], s[0:1], 0x10
	s_load_b64 s[12:13], s[0:1], 0x28
	v_and_b32_e32 v15, 31, v0
	v_cmp_gt_i32_e32 vcc_lo, 32, v1
	v_lshlrev_b32_e32 v7, 2, v31
	s_wait_alu 0xfffd
	v_cndmask_b32_e32 v1, v36, v1, vcc_lo
	v_cmp_gt_i32_e32 vcc_lo, 32, v2
	s_wait_alu 0xfffd
	v_cndmask_b32_e32 v2, v36, v2, vcc_lo
	s_delay_alu instid0(VALU_DEP_1) | instskip(SKIP_4) | instid1(VALU_DEP_1)
	v_lshlrev_b32_e32 v4, 2, v2
	v_lshlrev_b32_e32 v3, 2, v1
	ds_bpermute_b32 v1, v3, v38
	s_wait_dscnt 0x0
	v_max_num_f32_e32 v1, v1, v1
	v_max_num_f32_e32 v1, v5, v1
	v_xor_b32_e32 v5, 4, v36
	ds_bpermute_b32 v2, v4, v1
	v_cmp_gt_i32_e32 vcc_lo, 32, v5
	s_wait_dscnt 0x0
	s_wait_alu 0xfffd
	v_dual_cndmask_b32 v5, v36, v5 :: v_dual_max_num_f32 v2, v2, v2
	s_delay_alu instid0(VALU_DEP_1) | instskip(SKIP_1) | instid1(VALU_DEP_3)
	v_lshlrev_b32_e32 v6, 2, v5
	v_xor_b32_e32 v5, 2, v36
	v_max_num_f32_e32 v1, v1, v2
	s_delay_alu instid0(VALU_DEP_2)
	v_cmp_gt_i32_e32 vcc_lo, 32, v5
	ds_bpermute_b32 v2, v6, v1
	s_wait_alu 0xfffd
	v_cndmask_b32_e32 v5, v36, v5, vcc_lo
	v_cmp_eq_u32_e32 vcc_lo, 0, v15
	s_wait_dscnt 0x0
	v_max_num_f32_e32 v2, v2, v2
	s_delay_alu instid0(VALU_DEP_1)
	v_dual_max_num_f32 v1, v1, v2 :: v_dual_lshlrev_b32 v2, 2, v5
	ds_bpermute_b32 v5, v2, v1
	s_and_saveexec_b32 s0, vcc_lo
	s_cbranch_execz .LBB335_23
; %bb.22:
	s_wait_dscnt 0x0
	v_max_num_f32_e32 v5, v5, v5
	v_max_num_f32_e32 v1, v1, v1
	s_delay_alu instid0(VALU_DEP_1)
	v_max_num_f32_e32 v1, v1, v5
	ds_store_b32 v7, v1 offset:224
.LBB335_23:
	s_or_b32 exec_lo, exec_lo, s0
	v_cmp_gt_u32_e64 s0, 4, v15
	v_dual_mov_b32 v1, 0xff7fffff :: v_dual_lshlrev_b32 v8, 2, v15
	s_wait_loadcnt_dscnt 0x0
	s_barrier_signal -1
	s_barrier_wait -1
	global_inv scope:SCOPE_SE
	s_and_saveexec_b32 s1, s0
; %bb.24:
	ds_load_b32 v1, v8 offset:224
; %bb.25:
	s_or_b32 exec_lo, exec_lo, s1
	s_wait_dscnt 0x0
	ds_bpermute_b32 v5, v2, v1
	v_xor_b32_e32 v9, 1, v36
	v_max_num_f32_e32 v1, v1, v1
	s_delay_alu instid0(VALU_DEP_2) | instskip(NEXT) | instid1(VALU_DEP_1)
	v_cmp_gt_i32_e64 s1, 32, v9
	v_cndmask_b32_e64 v9, v36, v9, s1
	s_sub_co_i32 s1, s36, s58
	s_wait_alu 0xfffe
	s_lshl_b32 s1, s1, 4
	s_delay_alu instid0(VALU_DEP_1)
	v_dual_mov_b32 v9, 0 :: v_dual_lshlrev_b32 v16, 2, v9
	s_wait_alu 0xfffe
	s_add_co_i32 s1, s1, s56
	s_wait_alu 0xfffe
	s_min_i32 s1, s1, s52
	s_wait_dscnt 0x0
	v_max_num_f32_e32 v5, v5, v5
	s_wait_alu 0xfffe
	s_sub_co_i32 s10, s1, s56
	s_wait_alu 0xfffe
	v_cmp_gt_i32_e64 s1, s10, v0
	v_max_num_f32_e32 v1, v1, v5
	ds_bpermute_b32 v5, v16, v1
	s_wait_dscnt 0x0
	v_max_num_f32_e32 v5, v5, v5
	s_delay_alu instid0(VALU_DEP_1)
	v_max_num_f32_e32 v1, v1, v5
	v_lshl_add_u32 v5, v0, 2, 0x100
	ds_bpermute_b32 v1, v9, v1
	s_and_saveexec_b32 s11, s1
	s_cbranch_execz .LBB335_29
; %bb.26:
	v_lshl_add_u32 v10, v0, 2, 0x100
	v_mov_b32_e32 v9, 0
	v_mov_b32_e32 v11, v0
	s_mov_b32 s14, 0
.LBB335_27:                             ; =>This Inner Loop Header: Depth=1
	ds_load_b32 v12, v10
	v_add_nc_u32_e32 v11, 0x80, v11
	s_delay_alu instid0(VALU_DEP_1) | instskip(SKIP_4) | instid1(VALU_DEP_1)
	v_cmp_le_i32_e64 s3, s10, v11
	s_wait_alu 0xfffe
	s_or_b32 s14, s3, s14
	s_wait_dscnt 0x0
	v_sub_f32_e32 v12, v12, v1
	v_mul_f32_e32 v12, 0x3fb8aa3b, v12
	s_delay_alu instid0(VALU_DEP_1)
	v_exp_f32_e32 v12, v12
	ds_store_b32 v10, v12
	v_dual_add_f32 v9, v9, v12 :: v_dual_add_nc_u32 v10, 0x200, v10
	s_wait_alu 0xfffe
	s_and_not1_b32 exec_lo, exec_lo, s14
	s_cbranch_execnz .LBB335_27
; %bb.28:
	s_or_b32 exec_lo, exec_lo, s14
.LBB335_29:
	s_wait_alu 0xfffe
	s_or_b32 exec_lo, exec_lo, s11
	ds_bpermute_b32 v3, v3, v9
	s_wait_dscnt 0x0
	v_add_f32_e32 v3, v9, v3
	ds_bpermute_b32 v4, v4, v3
	s_wait_dscnt 0x0
	v_add_f32_e32 v3, v3, v4
	;; [unrolled: 3-line block ×5, first 2 shown]
	s_and_saveexec_b32 s3, vcc_lo
; %bb.30:
	ds_store_b32 v7, v3 offset:240
; %bb.31:
	s_wait_alu 0xfffe
	s_or_b32 exec_lo, exec_lo, s3
	s_wait_loadcnt_dscnt 0x0
	s_barrier_signal -1
	s_barrier_wait -1
	global_inv scope:SCOPE_SE
	s_and_saveexec_b32 s3, s0
; %bb.32:
	ds_load_b32 v3, v8 offset:240
; %bb.33:
	s_wait_alu 0xfffe
	s_or_b32 exec_lo, exec_lo, s3
	s_wait_dscnt 0x0
	ds_bpermute_b32 v2, v2, v3
	s_wait_dscnt 0x0
	v_add_f32_e32 v2, v3, v2
	ds_bpermute_b32 v3, v16, v2
	s_wait_dscnt 0x0
	v_dual_add_f32 v2, v2, v3 :: v_dual_mov_b32 v3, 0
	ds_bpermute_b32 v2, v3, v2
	s_and_saveexec_b32 s0, s1
	s_cbranch_execz .LBB335_36
; %bb.34:
	s_wait_dscnt 0x0
	v_add_f32_e32 v3, 0x358637bd, v2
	s_mov_b32 s1, 0
	s_delay_alu instid0(VALU_DEP_1) | instskip(SKIP_1) | instid1(VALU_DEP_2)
	v_div_scale_f32 v4, null, v3, v3, 1.0
	v_div_scale_f32 v8, vcc_lo, 1.0, v3, 1.0
	v_rcp_f32_e32 v6, v4
	s_delay_alu instid0(TRANS32_DEP_1) | instskip(NEXT) | instid1(VALU_DEP_1)
	v_fma_f32 v7, -v4, v6, 1.0
	v_fmac_f32_e32 v6, v7, v6
	s_delay_alu instid0(VALU_DEP_1) | instskip(NEXT) | instid1(VALU_DEP_1)
	v_mul_f32_e32 v7, v8, v6
	v_fma_f32 v9, -v4, v7, v8
	s_delay_alu instid0(VALU_DEP_1) | instskip(NEXT) | instid1(VALU_DEP_1)
	v_fmac_f32_e32 v7, v9, v6
	v_fma_f32 v4, -v4, v7, v8
	s_wait_alu 0xfffd
	s_delay_alu instid0(VALU_DEP_1) | instskip(NEXT) | instid1(VALU_DEP_1)
	v_div_fmas_f32 v4, v4, v6, v7
	v_div_fixup_f32 v3, v4, v3, 1.0
	v_mov_b32_e32 v4, v0
.LBB335_35:                             ; =>This Inner Loop Header: Depth=1
	ds_load_b32 v6, v5
	v_add_nc_u32_e32 v4, 0x80, v4
	s_delay_alu instid0(VALU_DEP_1)
	v_cmp_le_i32_e32 vcc_lo, s10, v4
	s_wait_alu 0xfffe
	s_or_b32 s1, vcc_lo, s1
	s_wait_dscnt 0x0
	v_mul_f32_e32 v6, v3, v6
	ds_store_b32 v5, v6
	v_add_nc_u32_e32 v5, 0x200, v5
	s_wait_alu 0xfffe
	s_and_not1_b32 exec_lo, exec_lo, s1
	s_cbranch_execnz .LBB335_35
.LBB335_36:
	s_wait_alu 0xfffe
	s_or_b32 exec_lo, exec_lo, s0
	s_mul_i32 s0, s35, s54
	s_wait_loadcnt_dscnt 0x0
	s_wait_alu 0xfffe
	s_mul_i32 s10, s0, s55
	s_mov_b32 s0, exec_lo
	s_barrier_signal -1
	s_barrier_wait -1
	global_inv scope:SCOPE_SE
	v_cmpx_eq_u32_e32 0, v0
	s_cbranch_execz .LBB335_38
; %bb.37:
	s_wait_alu 0xfffe
	s_ashr_i32 s11, s10, 31
	s_mul_i32 s14, s35, ttmp9
	s_lshl_b32 s1, s33, 2
	s_wait_alu 0xfffe
	s_lshl_b64 s[16:17], s[10:11], 2
	s_ashr_i32 s15, s14, 31
	v_mov_b32_e32 v3, s1
	s_wait_kmcnt 0x0
	s_wait_alu 0xfffe
	s_add_nc_u64 s[6:7], s[6:7], s[16:17]
	s_lshl_b64 s[14:15], s[14:15], 2
	s_add_nc_u64 s[4:5], s[4:5], s[16:17]
	s_wait_alu 0xfffe
	s_add_nc_u64 s[6:7], s[6:7], s[14:15]
	s_add_nc_u64 s[4:5], s[4:5], s[14:15]
	s_clause 0x1
	global_store_b32 v3, v1, s[6:7]
	global_store_b32 v3, v2, s[4:5]
.LBB335_38:
	s_wait_alu 0xfffe
	s_or_b32 exec_lo, exec_lo, s0
	v_dual_mov_b32 v23, 0 :: v_dual_mov_b32 v22, 0
	v_dual_mov_b32 v21, 0 :: v_dual_mov_b32 v20, 0
	;; [unrolled: 1-line block ×3, first 2 shown]
	v_mov_b32_e32 v17, 0
	s_and_saveexec_b32 s1, s2
	s_cbranch_execz .LBB335_58
; %bb.39:
	s_abs_i32 s2, s38
	v_dual_mov_b32 v18, 0 :: v_dual_lshlrev_b32 v3, 5, v30
	s_wait_alu 0xfffe
	s_cvt_f32_u32 s0, s2
	s_wait_kmcnt 0x0
	s_lshl_b64 s[6:7], s[48:49], 2
	v_dual_mov_b32 v19, 0 :: v_dual_and_b32 v2, 0xf8, v34
	s_wait_alu 0xfffe
	v_rcp_iflag_f32_e32 v1, s0
	s_ashr_i32 s43, s42, 31
	s_add_nc_u64 s[6:7], s[46:47], s[6:7]
	s_wait_alu 0xfffe
	s_add_nc_u64 s[12:13], s[12:13], s[42:43]
	v_add_co_u32 v9, s6, s6, v35
	s_sub_co_i32 s5, 0, s2
	v_add_co_ci_u32_e64 v10, null, s7, 0, s6
	s_wait_alu 0xfffe
	v_add_co_u32 v11, s6, s12, v2
	v_readfirstlane_b32 s0, v1
	v_lshl_or_b32 v1, v31, 6, v3
	v_dual_mov_b32 v17, 0 :: v_dual_and_b32 v24, 8, v34
	s_wait_alu 0xf1ff
	v_add_co_ci_u32_e64 v12, null, s13, 0, s6
	s_mul_f32 s0, s0, 0x4f7ffffe
	v_dual_mov_b32 v20, 0 :: v_dual_add_nc_u32 v25, 0x100, v1
	v_dual_mov_b32 v21, 0 :: v_dual_mov_b32 v22, 0
	s_wait_alu 0xfffe
	s_cvt_u32_f32 s0, s0
	v_mov_b32_e32 v23, 0
	s_sub_co_i32 s3, s50, s37
	s_mov_b32 s4, s41
	s_wait_alu 0xfffe
	s_mul_i32 s5, s5, s0
	s_add_co_i32 s45, s45, -1
	s_wait_alu 0xfffe
	s_mul_hi_u32 s6, s0, s5
	s_mov_b32 s5, 0
	s_wait_alu 0xfffe
	s_add_co_i32 s6, s0, s6
	s_branch .LBB335_42
.LBB335_40:                             ;   in Loop: Header=BB335_42 Depth=1
	s_wait_alu 0xfffe
	s_or_b32 exec_lo, exec_lo, s0
	s_wait_dscnt 0x1
	v_bfe_u32 v48, v5, 16, 1
	v_bfe_u32 v56, v6, 16, 1
	v_or_b32_e32 v57, 0x400000, v5
	v_cmp_u_f32_e32 vcc_lo, v5, v5
	v_or_b32_e32 v58, 0x400000, v6
	v_add3_u32 v48, v48, v5, 0x7fff
	v_bfe_u32 v59, v7, 16, 1
	v_add3_u32 v56, v56, v6, 0x7fff
	v_bfe_u32 v60, v8, 16, 1
	s_wait_alu 0xfffd
	v_dual_cndmask_b32 v5, v48, v57 :: v_dual_lshlrev_b32 v86, 16, v86
	v_cmp_u_f32_e32 vcc_lo, v6, v6
	v_add3_u32 v48, v59, v7, 0x7fff
	s_wait_dscnt 0x0
	v_bfe_u32 v57, v1, 16, 1
	v_or_b32_e32 v59, 0x400000, v8
	s_wait_alu 0xfffd
	v_dual_cndmask_b32 v6, v56, v58 :: v_dual_lshlrev_b32 v55, 16, v55
	v_or_b32_e32 v56, 0x400000, v7
	v_cmp_u_f32_e32 vcc_lo, v7, v7
	v_add3_u32 v58, v60, v8, 0x7fff
	v_lshlrev_b32_e32 v64, 16, v64
	v_lshlrev_b32_e32 v52, 16, v52
	s_wait_alu 0xfffd
	v_dual_cndmask_b32 v7, v48, v56 :: v_dual_lshlrev_b32 v50, 16, v50
	v_cmp_u_f32_e32 vcc_lo, v8, v8
	v_add3_u32 v48, v57, v1, 0x7fff
	v_or_b32_e32 v56, 0x400000, v1
	v_bfe_u32 v57, v2, 16, 1
	v_lshlrev_b32_e32 v46, 16, v46
	s_wait_alu 0xfffd
	v_cndmask_b32_e32 v8, v58, v59, vcc_lo
	v_cmp_u_f32_e32 vcc_lo, v1, v1
	v_or_b32_e32 v58, 0x400000, v2
	v_add3_u32 v57, v57, v2, 0x7fff
	v_and_b32_e32 v5, 0xffff0000, v5
	s_wait_alu 0xfffd
	v_dual_cndmask_b32 v48, v48, v56 :: v_dual_and_b32 v1, 0xffff0000, v6
	v_bfe_u32 v56, v3, 16, 1
	v_lshlrev_b32_e32 v6, 16, v92
	v_cmp_u_f32_e32 vcc_lo, v2, v2
	v_or_b32_e32 v59, 0x400000, v3
	v_lshlrev_b32_e32 v80, 16, v80
	v_add3_u32 v56, v56, v3, 0x7fff
	v_mul_f32_e32 v6, v1, v6
	s_wait_alu 0xfffd
	v_cndmask_b32_e32 v2, v57, v58, vcc_lo
	v_bfe_u32 v57, v4, 16, 1
	v_cmp_u_f32_e32 vcc_lo, v3, v3
	v_lshlrev_b32_e32 v58, 16, v91
	v_bfe_u32 v3, v6, 16, 1
	v_or_b32_e32 v61, 0x400000, v6
	v_add3_u32 v57, v57, v4, 0x7fff
	s_wait_alu 0xfffd
	v_cndmask_b32_e32 v56, v56, v59, vcc_lo
	v_or_b32_e32 v59, 0x400000, v4
	v_cmp_u_f32_e32 vcc_lo, v4, v4
	v_add3_u32 v60, v3, v6, 0x7fff
	v_dual_mul_f32 v46, v1, v46 :: v_dual_and_b32 v3, 0xffff0000, v8
	v_lshlrev_b32_e32 v35, 16, v35
	s_wait_alu 0xfffd
	v_cndmask_b32_e32 v4, v57, v59, vcc_lo
	v_cmp_u_f32_e32 vcc_lo, v6, v6
	v_and_b32_e32 v6, 0xffff0000, v7
	v_dual_mul_f32 v58, v5, v58 :: v_dual_lshlrev_b32 v7, 16, v89
	s_wait_alu 0xfffd
	v_dual_cndmask_b32 v57, v60, v61 :: v_dual_lshlrev_b32 v44, 16, v44
	s_delay_alu instid0(VALU_DEP_2) | instskip(NEXT) | instid1(VALU_DEP_3)
	v_dual_mul_f32 v7, v6, v7 :: v_dual_lshlrev_b32 v42, 16, v42
	v_bfe_u32 v59, v58, 16, 1
	v_or_b32_e32 v61, 0x400000, v58
	v_cmp_u_f32_e32 vcc_lo, v58, v58
	v_dual_mul_f32 v44, v3, v44 :: v_dual_and_b32 v57, 0xffff0000, v57
	s_delay_alu instid0(VALU_DEP_4)
	v_add3_u32 v59, v59, v58, 0x7fff
	v_lshlrev_b32_e32 v40, 16, v40
	v_lshlrev_b32_e32 v38, 16, v38
	;; [unrolled: 1-line block ×4, first 2 shown]
	s_wait_alu 0xfffd
	v_cndmask_b32_e32 v58, v59, v61, vcc_lo
	v_lshlrev_b32_e32 v36, 16, v36
	v_mul_f32_e32 v38, v1, v38
	v_lshlrev_b32_e32 v28, 16, v28
	v_lshlrev_b32_e32 v81, 16, v81
	v_and_b32_e32 v58, 0xffff0000, v58
	v_lshlrev_b32_e32 v8, 16, v90
	v_dual_mul_f32 v36, v3, v36 :: v_dual_lshlrev_b32 v79, 16, v79
	v_lshlrev_b32_e32 v77, 16, v77
	s_delay_alu instid0(VALU_DEP_3)
	v_dual_add_f32 v57, v58, v57 :: v_dual_mul_f32 v60, v3, v8
	v_lshlrev_b32_e32 v37, 16, v37
	v_lshlrev_b32_e32 v13, 16, v13
	;; [unrolled: 1-line block ×3, first 2 shown]
	v_mul_f32_e32 v55, v1, v55
	v_bfe_u32 v62, v60, 16, 1
	v_or_b32_e32 v61, 0x400000, v60
	v_cmp_u_f32_e32 vcc_lo, v60, v60
	v_lshlrev_b32_e32 v51, 16, v51
	v_lshlrev_b32_e32 v49, 16, v49
	v_add3_u32 v59, v62, v60, 0x7fff
	v_bfe_u32 v62, v7, 16, 1
	v_lshlrev_b32_e32 v47, 16, v47
	v_lshlrev_b32_e32 v45, 16, v45
	;; [unrolled: 1-line block ×3, first 2 shown]
	s_wait_alu 0xfffd
	v_cndmask_b32_e32 v59, v59, v61, vcc_lo
	v_add3_u32 v60, v62, v7, 0x7fff
	v_or_b32_e32 v61, 0x400000, v7
	v_cmp_u_f32_e32 vcc_lo, v7, v7
	v_and_b32_e32 v7, 0xffff0000, v56
	v_and_b32_e32 v59, 0xffff0000, v59
	v_lshlrev_b32_e32 v56, 16, v85
	v_and_b32_e32 v4, 0xffff0000, v4
	s_wait_alu 0xfffd
	v_cndmask_b32_e32 v60, v60, v61, vcc_lo
	v_mul_f32_e32 v77, v7, v77
	v_mul_f32_e32 v47, v7, v47
	v_dual_mul_f32 v56, v7, v56 :: v_dual_mul_f32 v61, v4, v86
	s_delay_alu instid0(VALU_DEP_4) | instskip(SKIP_2) | instid1(VALU_DEP_3)
	v_dual_mul_f32 v45, v5, v45 :: v_dual_and_b32 v60, 0xffff0000, v60
	v_dual_mul_f32 v26, v7, v26 :: v_dual_lshlrev_b32 v41, 16, v41
	v_lshlrev_b32_e32 v39, 16, v39
	v_dual_add_f32 v58, v60, v59 :: v_dual_lshlrev_b32 v59, 16, v84
	v_dual_mul_f32 v37, v5, v37 :: v_dual_and_b32 v2, 0xffff0000, v2
	s_delay_alu instid0(VALU_DEP_3) | instskip(NEXT) | instid1(VALU_DEP_3)
	v_mul_f32_e32 v39, v7, v39
	v_dual_add_f32 v57, v58, v57 :: v_dual_mul_f32 v58, v1, v59
	v_lshlrev_b32_e32 v59, 16, v83
	v_lshlrev_b32_e32 v8, 16, v88
	v_or_b32_e32 v84, 0x400000, v56
	v_mul_f32_e32 v80, v2, v80
	v_mul_f32_e32 v51, v2, v51
	;; [unrolled: 1-line block ×4, first 2 shown]
	v_and_b32_e32 v8, 0xffff0000, v48
	v_lshlrev_b32_e32 v48, 16, v87
	v_lshlrev_b32_e32 v27, 16, v27
	s_delay_alu instid0(VALU_DEP_4) | instskip(SKIP_1) | instid1(VALU_DEP_4)
	v_bfe_u32 v89, v88, 16, 1
	v_or_b32_e32 v87, 0x400000, v88
	v_mul_f32_e32 v48, v8, v48
	v_cmp_u_f32_e32 vcc_lo, v88, v88
	s_delay_alu instid0(VALU_DEP_4) | instskip(SKIP_1) | instid1(VALU_DEP_4)
	v_add3_u32 v62, v89, v88, 0x7fff
	v_bfe_u32 v88, v61, 16, 1
	v_bfe_u32 v89, v48, 16, 1
	s_wait_alu 0xfffd
	s_delay_alu instid0(VALU_DEP_3) | instskip(SKIP_1) | instid1(VALU_DEP_3)
	v_cndmask_b32_e32 v62, v62, v87, vcc_lo
	v_or_b32_e32 v87, 0x400000, v48
	v_add3_u32 v86, v89, v48, 0x7fff
	v_cmp_u_f32_e32 vcc_lo, v48, v48
	v_add3_u32 v85, v88, v61, 0x7fff
	v_and_b32_e32 v60, 0xffff0000, v62
	s_wait_alu 0xfffd
	v_cndmask_b32_e32 v48, v86, v87, vcc_lo
	v_or_b32_e32 v86, 0x400000, v61
	v_cmp_u_f32_e32 vcc_lo, v61, v61
	s_wait_alu 0xfffd
	s_delay_alu instid0(VALU_DEP_2) | instskip(SKIP_2) | instid1(VALU_DEP_3)
	v_dual_cndmask_b32 v61, v85, v86 :: v_dual_and_b32 v48, 0xffff0000, v48
	v_bfe_u32 v85, v56, 16, 1
	v_cmp_u_f32_e32 vcc_lo, v56, v56
	v_add_f32_e32 v48, v48, v60
	v_bfe_u32 v60, v58, 16, 1
	v_mul_f32_e32 v81, v6, v81
	v_add3_u32 v62, v85, v56, 0x7fff
	v_and_b32_e32 v61, 0xffff0000, v61
	v_dual_add_f32 v48, v48, v57 :: v_dual_mul_f32 v57, v5, v59
	s_wait_alu 0xfffd
	s_delay_alu instid0(VALU_DEP_3) | instskip(SKIP_3) | instid1(VALU_DEP_4)
	v_dual_cndmask_b32 v56, v62, v84 :: v_dual_lshlrev_b32 v59, 16, v82
	v_add3_u32 v60, v60, v58, 0x7fff
	v_or_b32_e32 v62, 0x400000, v58
	v_bfe_u32 v82, v57, 16, 1
	v_mul_f32_e32 v59, v3, v59
	v_cmp_u_f32_e32 vcc_lo, v58, v58
	v_mul_f32_e32 v79, v8, v79
	v_bfe_u32 v85, v77, 16, 1
	v_dual_mul_f32 v41, v8, v41 :: v_dual_lshlrev_b32 v54, 16, v54
	s_wait_alu 0xfffd
	v_cndmask_b32_e32 v58, v60, v62, vcc_lo
	v_add3_u32 v60, v82, v57, 0x7fff
	v_or_b32_e32 v62, 0x400000, v57
	v_bfe_u32 v82, v59, 16, 1
	v_cmp_u_f32_e32 vcc_lo, v57, v57
	v_or_b32_e32 v83, 0x400000, v79
	v_dual_mul_f32 v43, v6, v43 :: v_dual_and_b32 v58, 0xffff0000, v58
	v_mul_f32_e32 v54, v5, v54
	s_wait_alu 0xfffd
	v_cndmask_b32_e32 v57, v60, v62, vcc_lo
	v_add3_u32 v60, v82, v59, 0x7fff
	v_or_b32_e32 v62, 0x400000, v59
	v_bfe_u32 v82, v81, 16, 1
	v_cmp_u_f32_e32 vcc_lo, v59, v59
	v_and_b32_e32 v57, 0xffff0000, v57
	v_dual_mul_f32 v49, v4, v49 :: v_dual_mul_f32 v52, v6, v52
	v_mul_f32_e32 v50, v8, v50
	s_wait_alu 0xfffd
	v_cndmask_b32_e32 v59, v60, v62, vcc_lo
	v_add3_u32 v60, v82, v81, 0x7fff
	v_or_b32_e32 v62, 0x400000, v81
	v_bfe_u32 v82, v80, 16, 1
	v_cmp_u_f32_e32 vcc_lo, v81, v81
	v_and_b32_e32 v59, 0xffff0000, v59
	v_add_f32_e32 v57, v57, v58
	v_mul_f32_e32 v35, v6, v35
	v_add3_u32 v81, v82, v80, 0x7fff
	s_wait_alu 0xfffd
	v_cndmask_b32_e32 v60, v60, v62, vcc_lo
	v_bfe_u32 v62, v79, 16, 1
	v_or_b32_e32 v82, 0x400000, v80
	v_cmp_u_f32_e32 vcc_lo, v80, v80
	v_mul_f32_e32 v40, v4, v40
	v_and_b32_e32 v60, 0xffff0000, v60
	v_add3_u32 v62, v62, v79, 0x7fff
	s_wait_alu 0xfffd
	v_dual_mul_f32 v27, v4, v27 :: v_dual_cndmask_b32 v80, v81, v82
	v_cmp_u_f32_e32 vcc_lo, v79, v79
	v_add_f32_e32 v58, v60, v59
	v_add3_u32 v81, v85, v77, 0x7fff
	v_or_b32_e32 v82, 0x400000, v77
	v_and_b32_e32 v60, 0xffff0000, v80
	s_wait_alu 0xfffd
	v_cndmask_b32_e32 v62, v62, v83, vcc_lo
	v_add_f32_e32 v57, v58, v57
	v_cmp_u_f32_e32 vcc_lo, v77, v77
	s_delay_alu instid0(VALU_DEP_3) | instskip(SKIP_1) | instid1(VALU_DEP_1)
	v_and_b32_e32 v59, 0xffff0000, v62
	s_wait_alu 0xfffd
	v_dual_cndmask_b32 v77, v81, v82 :: v_dual_add_f32 v58, v59, v60
	v_and_b32_e32 v56, 0xffff0000, v56
	s_delay_alu instid0(VALU_DEP_2) | instskip(NEXT) | instid1(VALU_DEP_3)
	v_and_b32_e32 v59, 0xffff0000, v77
	v_dual_add_f32 v57, v58, v57 :: v_dual_lshlrev_b32 v78, 16, v78
	s_delay_alu instid0(VALU_DEP_3) | instskip(NEXT) | instid1(VALU_DEP_2)
	v_add_f32_e32 v56, v56, v61
	v_dual_mul_f32 v78, v4, v78 :: v_dual_lshlrev_b32 v61, 16, v69
	s_delay_alu instid0(VALU_DEP_2) | instskip(NEXT) | instid1(VALU_DEP_2)
	v_add_f32_e32 v48, v56, v48
	v_mul_f32_e32 v56, v5, v61
	s_delay_alu instid0(VALU_DEP_3)
	v_bfe_u32 v84, v78, 16, 1
	v_or_b32_e32 v83, 0x400000, v78
	v_cmp_u_f32_e32 vcc_lo, v78, v78
	v_add_f32_e32 v18, v18, v48
	v_bfe_u32 v48, v56, 16, 1
	v_add3_u32 v79, v84, v78, 0x7fff
	v_or_b32_e32 v61, 0x400000, v56
	s_delay_alu instid0(VALU_DEP_3) | instskip(SKIP_1) | instid1(VALU_DEP_3)
	v_add3_u32 v48, v48, v56, 0x7fff
	s_wait_alu 0xfffd
	v_cndmask_b32_e32 v62, v79, v83, vcc_lo
	s_delay_alu instid0(VALU_DEP_1) | instskip(SKIP_1) | instid1(VALU_DEP_1)
	v_and_b32_e32 v60, 0xffff0000, v62
	v_lshlrev_b32_e32 v62, 16, v70
	v_dual_add_f32 v58, v59, v60 :: v_dual_mul_f32 v59, v1, v62
	v_lshlrev_b32_e32 v62, 16, v67
	s_delay_alu instid0(VALU_DEP_2) | instskip(NEXT) | instid1(VALU_DEP_3)
	v_dual_add_f32 v57, v58, v57 :: v_dual_lshlrev_b32 v60, 16, v68
	v_bfe_u32 v58, v59, 16, 1
	v_cmp_u_f32_e32 vcc_lo, v59, v59
	s_delay_alu instid0(VALU_DEP_3) | instskip(NEXT) | instid1(VALU_DEP_4)
	v_mul_f32_e32 v60, v3, v60
	v_add_f32_e32 v19, v19, v57
	s_delay_alu instid0(VALU_DEP_4) | instskip(SKIP_3) | instid1(VALU_DEP_2)
	v_add3_u32 v57, v58, v59, 0x7fff
	v_or_b32_e32 v58, 0x400000, v59
	v_lshlrev_b32_e32 v59, 16, v66
	s_wait_alu 0xfffd
	v_cndmask_b32_e32 v57, v57, v58, vcc_lo
	v_cmp_u_f32_e32 vcc_lo, v56, v56
	v_mul_f32_e32 v56, v6, v62
	v_bfe_u32 v58, v60, 16, 1
	v_dual_mul_f32 v59, v2, v59 :: v_dual_lshlrev_b32 v62, 16, v65
	s_wait_alu 0xfffd
	v_cndmask_b32_e32 v48, v48, v61, vcc_lo
	v_or_b32_e32 v61, 0x400000, v60
	v_add3_u32 v58, v58, v60, 0x7fff
	v_bfe_u32 v65, v56, 16, 1
	v_cmp_u_f32_e32 vcc_lo, v60, v60
	v_mul_f32_e32 v60, v8, v62
	v_or_b32_e32 v62, 0x400000, v56
	v_and_b32_e32 v48, 0xffff0000, v48
	v_and_b32_e32 v57, 0xffff0000, v57
	s_wait_alu 0xfffd
	v_cndmask_b32_e32 v58, v58, v61, vcc_lo
	v_add3_u32 v61, v65, v56, 0x7fff
	v_bfe_u32 v65, v59, 16, 1
	v_cmp_u_f32_e32 vcc_lo, v56, v56
	v_bfe_u32 v66, v60, 16, 1
	v_and_b32_e32 v58, 0xffff0000, v58
	v_add_f32_e32 v48, v48, v57
	s_wait_alu 0xfffd
	v_cndmask_b32_e32 v56, v61, v62, vcc_lo
	v_add3_u32 v61, v65, v59, 0x7fff
	v_mul_f32_e32 v62, v4, v64
	v_or_b32_e32 v64, 0x400000, v59
	v_cmp_u_f32_e32 vcc_lo, v59, v59
	v_add3_u32 v65, v66, v60, 0x7fff
	v_or_b32_e32 v66, 0x400000, v60
	v_bfe_u32 v67, v62, 16, 1
	v_and_b32_e32 v56, 0xffff0000, v56
	s_wait_alu 0xfffd
	v_cndmask_b32_e32 v59, v61, v64, vcc_lo
	v_mul_f32_e32 v61, v7, v63
	v_cmp_u_f32_e32 vcc_lo, v60, v60
	v_add3_u32 v63, v67, v62, 0x7fff
	v_or_b32_e32 v64, 0x400000, v62
	v_add_f32_e32 v56, v56, v58
	v_and_b32_e32 v58, 0xffff0000, v59
	s_wait_alu 0xfffd
	v_cndmask_b32_e32 v60, v65, v66, vcc_lo
	v_bfe_u32 v65, v61, 16, 1
	v_cmp_u_f32_e32 vcc_lo, v62, v62
	v_add_f32_e32 v48, v56, v48
	s_delay_alu instid0(VALU_DEP_4)
	v_dual_mul_f32 v4, v4, v13 :: v_dual_and_b32 v57, 0xffff0000, v60
	v_lshlrev_b32_e32 v60, 16, v53
	s_wait_alu 0xfffd
	v_cndmask_b32_e32 v62, v63, v64, vcc_lo
	v_add3_u32 v63, v65, v61, 0x7fff
	v_or_b32_e32 v64, 0x400000, v61
	v_cmp_u_f32_e32 vcc_lo, v61, v61
	v_add_f32_e32 v56, v57, v58
	v_and_b32_e32 v58, 0xffff0000, v62
	v_bfe_u32 v61, v49, 16, 1
	v_mul_f32_e32 v7, v7, v14
	s_wait_alu 0xfffd
	v_cndmask_b32_e32 v59, v63, v64, vcc_lo
	v_add_f32_e32 v48, v56, v48
	v_bfe_u32 v56, v54, 16, 1
	v_cmp_u_f32_e32 vcc_lo, v55, v55
	s_delay_alu instid0(VALU_DEP_4) | instskip(SKIP_1) | instid1(VALU_DEP_4)
	v_and_b32_e32 v57, 0xffff0000, v59
	v_bfe_u32 v59, v55, 16, 1
	v_add3_u32 v56, v56, v54, 0x7fff
	s_delay_alu instid0(VALU_DEP_3) | instskip(NEXT) | instid1(VALU_DEP_3)
	v_add_f32_e32 v53, v57, v58
	v_add3_u32 v57, v59, v55, 0x7fff
	v_or_b32_e32 v58, 0x400000, v55
	v_mul_f32_e32 v59, v3, v60
	v_or_b32_e32 v60, 0x400000, v54
	s_wait_alu 0xfffd
	s_delay_alu instid0(VALU_DEP_3) | instskip(NEXT) | instid1(VALU_DEP_3)
	v_cndmask_b32_e32 v55, v57, v58, vcc_lo
	v_bfe_u32 v57, v59, 16, 1
	v_cmp_u_f32_e32 vcc_lo, v54, v54
	v_bfe_u32 v58, v52, 16, 1
	s_wait_alu 0xfffd
	v_dual_cndmask_b32 v54, v56, v60 :: v_dual_and_b32 v55, 0xffff0000, v55
	v_add3_u32 v56, v57, v59, 0x7fff
	v_or_b32_e32 v57, 0x400000, v59
	v_cmp_u_f32_e32 vcc_lo, v59, v59
	v_bfe_u32 v59, v51, 16, 1
	v_bfe_u32 v60, v50, 16, 1
	v_and_b32_e32 v54, 0xffff0000, v54
	s_wait_alu 0xfffd
	v_cndmask_b32_e32 v56, v56, v57, vcc_lo
	v_add3_u32 v57, v58, v52, 0x7fff
	v_or_b32_e32 v58, 0x400000, v52
	v_cmp_u_f32_e32 vcc_lo, v52, v52
	v_add_f32_e32 v54, v54, v55
	v_and_b32_e32 v56, 0xffff0000, v56
	v_bfe_u32 v55, v44, 16, 1
	s_wait_alu 0xfffd
	v_cndmask_b32_e32 v52, v57, v58, vcc_lo
	v_add3_u32 v57, v59, v51, 0x7fff
	v_or_b32_e32 v58, 0x400000, v51
	v_cmp_u_f32_e32 vcc_lo, v51, v51
	v_add3_u32 v59, v60, v50, 0x7fff
	v_or_b32_e32 v60, 0x400000, v50
	s_wait_alu 0xfffd
	v_dual_cndmask_b32 v51, v57, v58 :: v_dual_and_b32 v52, 0xffff0000, v52
	v_cmp_u_f32_e32 vcc_lo, v50, v50
	v_add3_u32 v57, v61, v49, 0x7fff
	v_or_b32_e32 v58, 0x400000, v49
	s_delay_alu instid0(VALU_DEP_4)
	v_dual_add_f32 v52, v52, v56 :: v_dual_and_b32 v51, 0xffff0000, v51
	s_wait_alu 0xfffd
	v_cndmask_b32_e32 v50, v59, v60, vcc_lo
	v_bfe_u32 v59, v47, 16, 1
	v_cmp_u_f32_e32 vcc_lo, v49, v49
	v_add_f32_e32 v52, v52, v54
	v_or_b32_e32 v54, 0x400000, v45
	v_and_b32_e32 v50, 0xffff0000, v50
	s_wait_alu 0xfffd
	v_cndmask_b32_e32 v49, v57, v58, vcc_lo
	v_add3_u32 v57, v59, v47, 0x7fff
	v_or_b32_e32 v58, 0x400000, v47
	v_cmp_u_f32_e32 vcc_lo, v47, v47
	s_delay_alu instid0(VALU_DEP_4) | instskip(SKIP_2) | instid1(VALU_DEP_2)
	v_dual_add_f32 v50, v50, v51 :: v_dual_and_b32 v49, 0xffff0000, v49
	v_bfe_u32 v51, v46, 16, 1
	s_wait_alu 0xfffd
	v_dual_cndmask_b32 v47, v57, v58 :: v_dual_add_f32 v50, v50, v52
	v_bfe_u32 v52, v45, 16, 1
	v_cmp_u_f32_e32 vcc_lo, v46, v46
	s_delay_alu instid0(VALU_DEP_3) | instskip(NEXT) | instid1(VALU_DEP_3)
	v_and_b32_e32 v47, 0xffff0000, v47
	v_add3_u32 v52, v52, v45, 0x7fff
	s_delay_alu instid0(VALU_DEP_2) | instskip(SKIP_3) | instid1(VALU_DEP_1)
	v_add_f32_e32 v47, v47, v49
	v_add3_u32 v49, v51, v46, 0x7fff
	v_or_b32_e32 v51, 0x400000, v46
	s_wait_alu 0xfffd
	v_cndmask_b32_e32 v46, v49, v51, vcc_lo
	v_cmp_u_f32_e32 vcc_lo, v45, v45
	v_add3_u32 v49, v55, v44, 0x7fff
	v_or_b32_e32 v51, 0x400000, v44
	v_bfe_u32 v55, v40, 16, 1
	v_and_b32_e32 v46, 0xffff0000, v46
	s_wait_alu 0xfffd
	v_cndmask_b32_e32 v45, v52, v54, vcc_lo
	v_bfe_u32 v52, v43, 16, 1
	v_cmp_u_f32_e32 vcc_lo, v44, v44
	v_bfe_u32 v54, v41, 16, 1
	s_wait_alu 0xfffd
	v_dual_cndmask_b32 v44, v49, v51 :: v_dual_and_b32 v45, 0xffff0000, v45
	v_add3_u32 v49, v52, v43, 0x7fff
	v_or_b32_e32 v51, 0x400000, v43
	v_bfe_u32 v52, v42, 16, 1
	v_cmp_u_f32_e32 vcc_lo, v43, v43
	v_dual_add_f32 v45, v45, v46 :: v_dual_and_b32 v44, 0xffff0000, v44
	v_or_b32_e32 v46, 0x400000, v39
	s_wait_alu 0xfffd
	v_cndmask_b32_e32 v43, v49, v51, vcc_lo
	v_add3_u32 v49, v52, v42, 0x7fff
	v_or_b32_e32 v51, 0x400000, v42
	v_cmp_u_f32_e32 vcc_lo, v42, v42
	v_add3_u32 v52, v54, v41, 0x7fff
	v_or_b32_e32 v54, 0x400000, v41
	v_and_b32_e32 v43, 0xffff0000, v43
	s_wait_alu 0xfffd
	v_cndmask_b32_e32 v42, v49, v51, vcc_lo
	v_cmp_u_f32_e32 vcc_lo, v41, v41
	v_add3_u32 v49, v55, v40, 0x7fff
	v_or_b32_e32 v51, 0x400000, v40
	s_delay_alu instid0(VALU_DEP_4) | instskip(SKIP_3) | instid1(VALU_DEP_3)
	v_dual_add_f32 v43, v43, v44 :: v_dual_and_b32 v42, 0xffff0000, v42
	s_wait_alu 0xfffd
	v_cndmask_b32_e32 v41, v52, v54, vcc_lo
	v_cmp_u_f32_e32 vcc_lo, v40, v40
	v_add_f32_e32 v43, v43, v45
	v_or_b32_e32 v45, 0x400000, v36
	s_wait_alu 0xfffd
	v_dual_cndmask_b32 v40, v49, v51 :: v_dual_and_b32 v41, 0xffff0000, v41
	v_bfe_u32 v49, v39, 16, 1
	v_cmp_u_f32_e32 vcc_lo, v39, v39
	s_delay_alu instid0(VALU_DEP_3) | instskip(SKIP_1) | instid1(VALU_DEP_4)
	v_add_f32_e32 v41, v41, v42
	v_bfe_u32 v42, v38, 16, 1
	v_add3_u32 v44, v49, v39, 0x7fff
	s_delay_alu instid0(VALU_DEP_3) | instskip(NEXT) | instid1(VALU_DEP_3)
	v_add_f32_e32 v41, v41, v43
	v_add3_u32 v42, v42, v38, 0x7fff
	s_wait_alu 0xfffd
	s_delay_alu instid0(VALU_DEP_3) | instskip(SKIP_3) | instid1(VALU_DEP_4)
	v_cndmask_b32_e32 v39, v44, v46, vcc_lo
	v_or_b32_e32 v43, 0x400000, v38
	v_bfe_u32 v44, v37, 16, 1
	v_cmp_u_f32_e32 vcc_lo, v38, v38
	v_dual_mul_f32 v28, v8, v28 :: v_dual_and_b32 v39, 0xffff0000, v39
	v_lshlrev_b32_e32 v34, 16, v34
	s_wait_alu 0xfffd
	v_cndmask_b32_e32 v38, v42, v43, vcc_lo
	v_bfe_u32 v42, v36, 16, 1
	v_add3_u32 v43, v44, v37, 0x7fff
	v_or_b32_e32 v44, 0x400000, v37
	v_cmp_u_f32_e32 vcc_lo, v37, v37
	v_mul_f32_e32 v34, v2, v34
	v_add3_u32 v42, v42, v36, 0x7fff
	s_wait_alu 0xfffd
	v_dual_cndmask_b32 v37, v43, v44 :: v_dual_and_b32 v38, 0xffff0000, v38
	v_bfe_u32 v43, v35, 16, 1
	v_cmp_u_f32_e32 vcc_lo, v36, v36
	v_or_b32_e32 v44, 0x400000, v35
	s_delay_alu instid0(VALU_DEP_4) | instskip(NEXT) | instid1(VALU_DEP_4)
	v_and_b32_e32 v37, 0xffff0000, v37
	v_add3_u32 v43, v43, v35, 0x7fff
	s_wait_alu 0xfffd
	v_cndmask_b32_e32 v36, v42, v45, vcc_lo
	v_bfe_u32 v42, v34, 16, 1
	v_cmp_u_f32_e32 vcc_lo, v35, v35
	v_or_b32_e32 v45, 0x400000, v34
	s_delay_alu instid0(VALU_DEP_4) | instskip(NEXT) | instid1(VALU_DEP_4)
	v_dual_add_f32 v37, v37, v38 :: v_dual_and_b32 v36, 0xffff0000, v36
	v_add3_u32 v42, v42, v34, 0x7fff
	s_wait_alu 0xfffd
	v_cndmask_b32_e32 v35, v43, v44, vcc_lo
	v_bfe_u32 v43, v28, 16, 1
	v_cmp_u_f32_e32 vcc_lo, v34, v34
	v_bfe_u32 v44, v27, 16, 1
	s_wait_alu 0xfffd
	v_dual_cndmask_b32 v34, v42, v45 :: v_dual_and_b32 v35, 0xffff0000, v35
	v_add3_u32 v42, v43, v28, 0x7fff
	v_or_b32_e32 v43, 0x400000, v28
	v_cmp_u_f32_e32 vcc_lo, v28, v28
	v_add3_u32 v44, v44, v27, 0x7fff
	v_or_b32_e32 v45, 0x400000, v27
	v_dual_add_f32 v35, v35, v36 :: v_dual_and_b32 v34, 0xffff0000, v34
	s_wait_alu 0xfffd
	v_cndmask_b32_e32 v28, v42, v43, vcc_lo
	v_cmp_u_f32_e32 vcc_lo, v27, v27
	v_bfe_u32 v42, v26, 16, 1
	v_lshlrev_b32_e32 v36, 16, v75
	v_or_b32_e32 v43, 0x400000, v26
	s_wait_alu 0xfffd
	v_dual_cndmask_b32 v27, v44, v45 :: v_dual_and_b32 v28, 0xffff0000, v28
	v_lshlrev_b32_e32 v44, 16, v76
	v_add3_u32 v42, v42, v26, 0x7fff
	v_cmp_u_f32_e32 vcc_lo, v26, v26
	s_delay_alu instid0(VALU_DEP_4) | instskip(NEXT) | instid1(VALU_DEP_4)
	v_dual_add_f32 v35, v35, v37 :: v_dual_add_f32 v28, v28, v34
	v_mul_f32_e32 v5, v5, v44
	v_dual_mul_f32 v1, v1, v36 :: v_dual_lshlrev_b32 v34, 16, v74
	s_wait_alu 0xfffd
	v_cndmask_b32_e32 v26, v42, v43, vcc_lo
	s_delay_alu instid0(VALU_DEP_3) | instskip(NEXT) | instid1(VALU_DEP_3)
	v_bfe_u32 v37, v5, 16, 1
	v_bfe_u32 v38, v1, 16, 1
	v_mul_f32_e32 v6, v6, v34
	v_lshlrev_b32_e32 v34, 16, v73
	v_cmp_u_f32_e32 vcc_lo, v5, v5
	v_add3_u32 v36, v37, v5, 0x7fff
	v_or_b32_e32 v37, 0x400000, v5
	v_and_b32_e32 v26, 0xffff0000, v26
	v_dual_mul_f32 v3, v3, v34 :: v_dual_lshlrev_b32 v34, 16, v72
	s_wait_alu 0xfffd
	s_delay_alu instid0(VALU_DEP_3)
	v_cndmask_b32_e32 v5, v36, v37, vcc_lo
	v_add3_u32 v36, v38, v1, 0x7fff
	v_or_b32_e32 v37, 0x400000, v1
	v_bfe_u32 v38, v6, 16, 1
	v_cmp_u_f32_e32 vcc_lo, v1, v1
	v_mul_f32_e32 v8, v8, v34
	v_lshlrev_b32_e32 v34, 16, v71
	v_and_b32_e32 v5, 0xffff0000, v5
	s_wait_alu 0xfffd
	v_cndmask_b32_e32 v1, v36, v37, vcc_lo
	v_add3_u32 v36, v38, v6, 0x7fff
	v_or_b32_e32 v37, 0x400000, v6
	v_bfe_u32 v38, v3, 16, 1
	v_cmp_u_f32_e32 vcc_lo, v6, v6
	v_mul_f32_e32 v2, v2, v34
	v_or_b32_e32 v13, 0x400000, v8
	v_and_b32_e32 v1, 0xffff0000, v1
	s_wait_alu 0xfffd
	v_cndmask_b32_e32 v6, v36, v37, vcc_lo
	v_add3_u32 v36, v38, v3, 0x7fff
	v_or_b32_e32 v37, 0x400000, v3
	v_bfe_u32 v38, v8, 16, 1
	v_cmp_u_f32_e32 vcc_lo, v3, v3
	v_bfe_u32 v34, v2, 16, 1
	v_dual_add_f32 v1, v5, v1 :: v_dual_and_b32 v6, 0xffff0000, v6
	s_wait_alu 0xfffd
	v_cndmask_b32_e32 v3, v36, v37, vcc_lo
	v_add3_u32 v36, v38, v8, 0x7fff
	v_cmp_u_f32_e32 vcc_lo, v8, v8
	v_add3_u32 v14, v34, v2, 0x7fff
	v_or_b32_e32 v34, 0x400000, v2
	v_bfe_u32 v38, v4, 16, 1
	v_bfe_u32 v37, v7, 16, 1
	s_wait_alu 0xfffd
	v_cndmask_b32_e32 v8, v36, v13, vcc_lo
	v_cmp_u_f32_e32 vcc_lo, v2, v2
	v_and_b32_e32 v3, 0xffff0000, v3
	v_or_b32_e32 v36, 0x400000, v7
	v_add3_u32 v13, v37, v7, 0x7fff
	s_wait_alu 0xfffd
	v_dual_cndmask_b32 v2, v14, v34 :: v_dual_and_b32 v5, 0xffff0000, v8
	v_add3_u32 v14, v38, v4, 0x7fff
	v_or_b32_e32 v34, 0x400000, v4
	v_cmp_u_f32_e32 vcc_lo, v4, v4
	s_delay_alu instid0(VALU_DEP_4) | instskip(SKIP_1) | instid1(VALU_DEP_3)
	v_dual_add_f32 v3, v6, v3 :: v_dual_and_b32 v2, 0xffff0000, v2
	s_wait_alu 0xfffd
	v_cndmask_b32_e32 v4, v14, v34, vcc_lo
	v_cmp_u_f32_e32 vcc_lo, v7, v7
	v_and_b32_e32 v7, 0xffff0000, v27
	v_dual_add_f32 v1, v3, v1 :: v_dual_and_b32 v40, 0xffff0000, v40
	v_add_f32_e32 v2, v5, v2
	s_wait_alu 0xfffd
	v_cndmask_b32_e32 v6, v13, v36, vcc_lo
	v_and_b32_e32 v3, 0xffff0000, v4
	v_add_f32_e32 v7, v26, v7
	v_add_f32_e32 v5, v39, v40
	s_delay_alu instid0(VALU_DEP_4) | instskip(NEXT) | instid1(VALU_DEP_2)
	v_dual_add_f32 v1, v2, v1 :: v_dual_and_b32 v4, 0xffff0000, v6
	v_dual_add_f32 v6, v28, v35 :: v_dual_add_f32 v5, v5, v41
	s_delay_alu instid0(VALU_DEP_2) | instskip(SKIP_1) | instid1(VALU_DEP_3)
	v_dual_add_f32 v2, v4, v3 :: v_dual_add_f32 v3, v53, v48
	v_add_f32_e32 v4, v47, v50
	v_add_f32_e32 v6, v7, v6
	s_delay_alu instid0(VALU_DEP_4) | instskip(NEXT) | instid1(VALU_DEP_4)
	v_add_f32_e32 v22, v22, v5
	v_dual_add_f32 v1, v2, v1 :: v_dual_add_f32 v20, v20, v3
	s_delay_alu instid0(VALU_DEP_4) | instskip(NEXT) | instid1(VALU_DEP_4)
	v_add_f32_e32 v21, v21, v4
	v_add_f32_e32 v23, v23, v6
	s_delay_alu instid0(VALU_DEP_3)
	v_add_f32_e32 v17, v17, v1
.LBB335_41:                             ;   in Loop: Header=BB335_42 Depth=1
	s_wait_alu 0xfffe
	s_or_b32 exec_lo, exec_lo, s7
	v_add_nc_u32_e32 v33, 4, v33
	v_add_co_u32 v9, s0, v9, 16
	s_wait_alu 0xf1ff
	v_add_co_ci_u32_e64 v10, null, 0, v10, s0
	s_delay_alu instid0(VALU_DEP_3)
	v_cmp_le_i32_e32 vcc_lo, s36, v33
	v_add_nc_u32_e32 v32, 64, v32
	v_add_nc_u32_e32 v25, 0x100, v25
	s_or_b32 s5, vcc_lo, s5
	s_wait_alu 0xfffe
	s_and_not1_b32 exec_lo, exec_lo, s5
	s_cbranch_execz .LBB335_57
.LBB335_42:                             ; =>This Inner Loop Header: Depth=1
	v_sub_nc_u32_e32 v1, 0, v32
	s_delay_alu instid0(VALU_DEP_1) | instskip(NEXT) | instid1(VALU_DEP_1)
	v_max_i32_e32 v1, v32, v1
	v_mul_hi_u32 v2, v1, s44
	s_delay_alu instid0(VALU_DEP_1) | instskip(NEXT) | instid1(VALU_DEP_1)
	v_mul_lo_u32 v3, v2, s40
	v_sub_nc_u32_e32 v1, v1, v3
	v_add_nc_u32_e32 v3, 1, v2
	s_delay_alu instid0(VALU_DEP_2) | instskip(SKIP_2) | instid1(VALU_DEP_2)
	v_subrev_nc_u32_e32 v4, s40, v1
	v_cmp_le_u32_e32 vcc_lo, s40, v1
	s_wait_alu 0xfffd
	v_dual_cndmask_b32 v2, v2, v3 :: v_dual_cndmask_b32 v1, v1, v4
	v_ashrrev_i32_e32 v3, 31, v32
	s_delay_alu instid0(VALU_DEP_2) | instskip(NEXT) | instid1(VALU_DEP_3)
	v_add_nc_u32_e32 v4, 1, v2
	v_cmp_le_u32_e32 vcc_lo, s40, v1
	s_delay_alu instid0(VALU_DEP_3) | instskip(SKIP_1) | instid1(VALU_DEP_3)
	v_xor_b32_e32 v3, s39, v3
	s_wait_alu 0xfffd
	v_cndmask_b32_e32 v1, v2, v4, vcc_lo
	s_delay_alu instid0(VALU_DEP_1) | instskip(NEXT) | instid1(VALU_DEP_1)
	v_xor_b32_e32 v1, v1, v3
	v_sub_nc_u32_e32 v1, v1, v3
	s_delay_alu instid0(VALU_DEP_1) | instskip(SKIP_1) | instid1(VALU_DEP_2)
	v_add_nc_u32_e32 v2, s53, v1
	v_cmp_lt_i32_e64 s0, s3, v1
	v_sub_nc_u32_e32 v3, 0, v2
	s_delay_alu instid0(VALU_DEP_1) | instskip(SKIP_1) | instid1(VALU_DEP_1)
	v_max_i32_e32 v3, v2, v3
	s_wait_alu 0xfffe
	v_mul_hi_u32 v4, v3, s6
	s_delay_alu instid0(VALU_DEP_1) | instskip(NEXT) | instid1(VALU_DEP_1)
	v_mul_lo_u32 v4, v4, s2
	v_sub_nc_u32_e32 v3, v3, v4
	s_delay_alu instid0(VALU_DEP_1) | instskip(SKIP_2) | instid1(VALU_DEP_2)
	v_subrev_nc_u32_e32 v4, s2, v3
	v_cmp_le_u32_e32 vcc_lo, s2, v3
	s_wait_alu 0xfffd
	v_cndmask_b32_e32 v3, v3, v4, vcc_lo
	v_ashrrev_i32_e32 v2, 31, v2
	s_delay_alu instid0(VALU_DEP_2) | instskip(SKIP_2) | instid1(VALU_DEP_2)
	v_subrev_nc_u32_e32 v4, s2, v3
	v_cmp_le_u32_e32 vcc_lo, s2, v3
	s_wait_alu 0xfffd
	v_cndmask_b32_e32 v3, v3, v4, vcc_lo
	s_delay_alu instid0(VALU_DEP_1) | instskip(NEXT) | instid1(VALU_DEP_1)
	v_xor_b32_e32 v3, v3, v2
	v_sub_nc_u32_e32 v2, v3, v2
	s_delay_alu instid0(VALU_DEP_1)
	v_cmp_eq_u32_e32 vcc_lo, 0, v2
	s_or_b32 s0, vcc_lo, s0
	s_wait_alu 0xfffe
	s_and_saveexec_b32 s7, s0
	s_cbranch_execz .LBB335_41
; %bb.43:                               ;   in Loop: Header=BB335_42 Depth=1
	global_load_b32 v1, v[9:10], off
	v_cmp_eq_u32_e32 vcc_lo, s45, v33
	s_wait_loadcnt 0x0
	v_mad_co_i64_i32 v[13:14], null, v1, s4, v[11:12]
	global_load_b64 v[26:27], v[13:14], off
	ds_load_2addr_b64 v[5:8], v25 offset1:1
	ds_load_2addr_b64 v[1:4], v25 offset0:2 offset1:3
	s_load_b32 s11, s[30:31], 0x0
	s_wait_loadcnt 0x0
	v_and_b32_e32 v28, 0xff, v26
	v_bfe_u32 v34, v26, 8, 8
	v_bfe_u32 v35, v26, 16, 8
	v_lshrrev_b32_e32 v26, 24, v26
	v_and_b32_e32 v36, 0xff, v27
	v_cvt_f32_fp8_e32 v28, v28
	v_cvt_f32_fp8_e32 v34, v34
	;; [unrolled: 1-line block ×3, first 2 shown]
	v_add_nc_u32_e32 v48, v24, v32
	v_cvt_f32_fp8_e32 v26, v26
	s_wait_kmcnt 0x0
	v_mul_f32_e32 v28, s11, v28
	v_dual_mul_f32 v34, s11, v34 :: v_dual_mul_f32 v35, s11, v35
	v_add_nc_u32_e32 v61, 1, v48
	v_dual_mul_f32 v26, s11, v26 :: v_dual_add_nc_u32 v59, 3, v48
	s_delay_alu instid0(VALU_DEP_4)
	v_bfe_u32 v39, v28, 16, 1
	v_or_b32_e32 v40, 0x400000, v28
	v_bfe_u32 v41, v34, 16, 1
	v_cmp_u_f32_e64 s0, v28, v28
	v_bfe_u32 v37, v27, 8, 8
	v_add3_u32 v39, v39, v28, 0x7fff
	v_cvt_f32_fp8_e32 v36, v36
	v_or_b32_e32 v42, 0x400000, v34
	v_bfe_u32 v43, v35, 16, 1
	v_add3_u32 v41, v41, v34, 0x7fff
	s_wait_alu 0xf1ff
	v_cndmask_b32_e64 v28, v39, v40, s0
	v_cmp_u_f32_e64 s0, v34, v34
	v_bfe_u32 v38, v27, 16, 8
	v_cvt_f32_fp8_e32 v37, v37
	v_mul_f32_e32 v36, s11, v36
	v_or_b32_e32 v44, 0x400000, v35
	v_bfe_u32 v45, v26, 16, 1
	v_add3_u32 v43, v43, v35, 0x7fff
	s_wait_alu 0xf1ff
	v_cndmask_b32_e64 v34, v41, v42, s0
	v_cmp_u_f32_e64 s0, v35, v35
	v_dual_mul_f32 v37, s11, v37 :: v_dual_add_nc_u32 v60, 2, v48
	v_lshrrev_b32_e32 v27, 24, v27
	v_cvt_f32_fp8_e32 v38, v38
	v_or_b32_e32 v46, 0x400000, v26
	v_bfe_u32 v47, v36, 16, 1
	v_add3_u32 v45, v45, v26, 0x7fff
	s_wait_alu 0xf1ff
	v_cndmask_b32_e64 v35, v43, v44, s0
	v_cmp_u_f32_e64 s0, v26, v26
	v_dual_mul_f32 v38, s11, v38 :: v_dual_add_nc_u32 v57, 5, v48
	v_cvt_f32_fp8_e32 v27, v27
	v_or_b32_e32 v49, 0x400000, v36
	v_bfe_u32 v50, v37, 16, 1
	v_add3_u32 v47, v47, v36, 0x7fff
	s_wait_alu 0xf1ff
	v_cndmask_b32_e64 v26, v45, v46, s0
	v_cmp_u_f32_e64 s0, v36, v36
	v_dual_mul_f32 v27, s11, v27 :: v_dual_add_nc_u32 v58, 4, v48
	v_or_b32_e32 v51, 0x400000, v37
	v_bfe_u32 v52, v38, 16, 1
	v_add3_u32 v50, v50, v37, 0x7fff
	s_wait_alu 0xf1ff
	v_cndmask_b32_e64 v39, v47, v49, s0
	v_cmp_u_f32_e64 s0, v37, v37
	v_or_b32_e32 v53, 0x400000, v38
	v_bfe_u32 v54, v27, 16, 1
	v_add3_u32 v52, v52, v38, 0x7fff
	v_or_b32_e32 v55, 0x400000, v27
	s_wait_alu 0xf1ff
	v_cndmask_b32_e64 v40, v50, v51, s0
	v_cmp_u_f32_e64 s0, v38, v38
	v_add3_u32 v54, v54, v27, 0x7fff
	v_add_nc_u32_e32 v56, 6, v48
	v_lshrrev_b32_e32 v37, 16, v28
	v_lshrrev_b32_e32 v38, 16, v34
	s_wait_alu 0xf1ff
	v_cndmask_b32_e64 v41, v52, v53, s0
	v_cmp_u_f32_e64 s0, v27, v27
	v_lshrrev_b32_e32 v35, 16, v35
	v_lshrrev_b32_e32 v36, 16, v26
	;; [unrolled: 1-line block ×4, first 2 shown]
	s_wait_alu 0xf1ff
	v_cndmask_b32_e64 v27, v54, v55, s0
	v_lshrrev_b32_e32 v26, 16, v41
	v_add_nc_u32_e32 v62, 7, v48
	s_delay_alu instid0(VALU_DEP_3)
	v_lshrrev_b32_e32 v27, 16, v27
	s_and_saveexec_b32 s12, vcc_lo
	s_cbranch_execz .LBB335_45
; %bb.44:                               ;   in Loop: Header=BB335_42 Depth=1
	v_cmp_gt_i32_e64 s0, s52, v48
	s_wait_alu 0xf1ff
	s_delay_alu instid0(VALU_DEP_1) | instskip(SKIP_2) | instid1(VALU_DEP_1)
	v_cndmask_b32_e64 v37, 0, v37, s0
	v_cmp_gt_i32_e64 s0, s52, v61
	s_wait_alu 0xf1ff
	v_cndmask_b32_e64 v38, 0, v38, s0
	v_cmp_gt_i32_e64 s0, s52, v60
	s_wait_alu 0xf1ff
	s_delay_alu instid0(VALU_DEP_1) | instskip(SKIP_2) | instid1(VALU_DEP_1)
	v_cndmask_b32_e64 v35, 0, v35, s0
	v_cmp_gt_i32_e64 s0, s52, v59
	s_wait_alu 0xf1ff
	v_cndmask_b32_e64 v36, 0, v36, s0
	;; [unrolled: 7-line block ×4, first 2 shown]
.LBB335_45:                             ;   in Loop: Header=BB335_42 Depth=1
	s_wait_alu 0xfffe
	s_or_b32 exec_lo, exec_lo, s12
	global_load_b64 v[39:40], v[13:14], off offset:256
	s_wait_loadcnt 0x0
	v_bfe_u32 v42, v39, 8, 8
	v_bfe_u32 v43, v39, 16, 8
	;; [unrolled: 1-line block ×4, first 2 shown]
	s_delay_alu instid0(VALU_DEP_4)
	v_cvt_f32_fp8_e32 v42, v42
	v_and_b32_e32 v41, 0xff, v39
	v_lshrrev_b32_e32 v39, 24, v39
	v_cvt_f32_fp8_e32 v43, v43
	v_cvt_f32_fp8_e32 v46, v46
	v_mul_f32_e32 v42, s11, v42
	v_cvt_f32_fp8_e32 v41, v41
	v_and_b32_e32 v44, 0xff, v40
	v_cvt_f32_fp8_e32 v39, v39
	v_lshrrev_b32_e32 v40, 24, v40
	v_bfe_u32 v50, v42, 16, 1
	v_mul_f32_e32 v41, s11, v41
	v_cvt_f32_fp8_e32 v44, v44
	v_mul_f32_e32 v43, s11, v43
	v_dual_mul_f32 v39, s11, v39 :: v_dual_mul_f32 v46, s11, v46
	s_delay_alu instid0(VALU_DEP_4)
	v_bfe_u32 v47, v41, 16, 1
	v_or_b32_e32 v49, 0x400000, v41
	v_cmp_u_f32_e64 s0, v41, v41
	v_mul_f32_e32 v44, s11, v44
	v_or_b32_e32 v51, 0x400000, v42
	v_add3_u32 v47, v47, v41, 0x7fff
	v_bfe_u32 v52, v43, 16, 1
	v_add3_u32 v50, v50, v42, 0x7fff
	v_cvt_f32_fp8_e32 v45, v45
	v_or_b32_e32 v53, 0x400000, v43
	s_wait_alu 0xf1ff
	v_cndmask_b32_e64 v41, v47, v49, s0
	v_cmp_u_f32_e64 s0, v42, v42
	v_bfe_u32 v54, v39, 16, 1
	v_add3_u32 v52, v52, v43, 0x7fff
	v_cvt_f32_fp8_e32 v40, v40
	v_mul_f32_e32 v45, s11, v45
	s_wait_alu 0xf1ff
	v_cndmask_b32_e64 v42, v50, v51, s0
	v_cmp_u_f32_e64 s0, v43, v43
	v_or_b32_e32 v55, 0x400000, v39
	v_bfe_u32 v63, v44, 16, 1
	v_add3_u32 v54, v54, v39, 0x7fff
	v_mul_f32_e32 v40, s11, v40
	s_wait_alu 0xf1ff
	v_cndmask_b32_e64 v43, v52, v53, s0
	v_cmp_u_f32_e64 s0, v39, v39
	v_or_b32_e32 v64, 0x400000, v44
	v_bfe_u32 v65, v45, 16, 1
	v_add3_u32 v63, v63, v44, 0x7fff
	v_or_b32_e32 v66, 0x400000, v45
	s_wait_alu 0xf1ff
	v_cndmask_b32_e64 v39, v54, v55, s0
	v_cmp_u_f32_e64 s0, v44, v44
	v_bfe_u32 v67, v46, 16, 1
	v_add3_u32 v65, v65, v45, 0x7fff
	v_or_b32_e32 v68, 0x400000, v46
	v_bfe_u32 v69, v40, 16, 1
	s_wait_alu 0xf1ff
	v_cndmask_b32_e64 v47, v63, v64, s0
	v_cmp_u_f32_e64 s0, v45, v45
	v_add3_u32 v67, v67, v46, 0x7fff
	v_or_b32_e32 v70, 0x400000, v40
	v_add3_u32 v69, v69, v40, 0x7fff
	v_lshrrev_b32_e32 v45, 16, v41
	s_wait_alu 0xf1ff
	v_cndmask_b32_e64 v49, v65, v66, s0
	v_cmp_u_f32_e64 s0, v46, v46
	v_lshrrev_b32_e32 v46, 16, v42
	v_lshrrev_b32_e32 v43, 16, v43
	;; [unrolled: 1-line block ×4, first 2 shown]
	s_wait_alu 0xf1ff
	v_cndmask_b32_e64 v50, v67, v68, s0
	v_cmp_u_f32_e64 s0, v40, v40
	v_lshrrev_b32_e32 v42, 16, v49
	s_delay_alu instid0(VALU_DEP_3) | instskip(SKIP_1) | instid1(VALU_DEP_3)
	v_lshrrev_b32_e32 v39, 16, v50
	s_wait_alu 0xf1ff
	v_cndmask_b32_e64 v40, v69, v70, s0
	s_delay_alu instid0(VALU_DEP_1)
	v_lshrrev_b32_e32 v40, 16, v40
	s_and_saveexec_b32 s12, vcc_lo
	s_cbranch_execz .LBB335_47
; %bb.46:                               ;   in Loop: Header=BB335_42 Depth=1
	v_cmp_gt_i32_e64 s0, s52, v48
	s_wait_alu 0xf1ff
	s_delay_alu instid0(VALU_DEP_1) | instskip(SKIP_2) | instid1(VALU_DEP_1)
	v_cndmask_b32_e64 v45, 0, v45, s0
	v_cmp_gt_i32_e64 s0, s52, v61
	s_wait_alu 0xf1ff
	v_cndmask_b32_e64 v46, 0, v46, s0
	v_cmp_gt_i32_e64 s0, s52, v60
	s_wait_alu 0xf1ff
	s_delay_alu instid0(VALU_DEP_1) | instskip(SKIP_2) | instid1(VALU_DEP_1)
	v_cndmask_b32_e64 v43, 0, v43, s0
	v_cmp_gt_i32_e64 s0, s52, v59
	s_wait_alu 0xf1ff
	v_cndmask_b32_e64 v44, 0, v44, s0
	;; [unrolled: 7-line block ×4, first 2 shown]
.LBB335_47:                             ;   in Loop: Header=BB335_42 Depth=1
	s_wait_alu 0xfffe
	s_or_b32 exec_lo, exec_lo, s12
	global_load_b64 v[49:50], v[13:14], off offset:512
	s_wait_loadcnt 0x0
	v_bfe_u32 v52, v49, 16, 8
	v_bfe_u32 v51, v49, 8, 8
	;; [unrolled: 1-line block ×3, first 2 shown]
	v_and_b32_e32 v53, 0xff, v50
	v_bfe_u32 v55, v50, 16, 8
	v_cvt_f32_fp8_e32 v52, v52
	v_and_b32_e32 v47, 0xff, v49
	v_lshrrev_b32_e32 v50, 24, v50
	v_cvt_f32_fp8_e32 v51, v51
	v_cvt_f32_fp8_e32 v54, v54
	v_mul_f32_e32 v52, s11, v52
	v_cvt_f32_fp8_e32 v47, v47
	v_lshrrev_b32_e32 v49, 24, v49
	v_cvt_f32_fp8_e32 v50, v50
	v_dual_mul_f32 v51, s11, v51 :: v_dual_mul_f32 v54, s11, v54
	s_delay_alu instid0(VALU_DEP_4) | instskip(NEXT) | instid1(VALU_DEP_4)
	v_mul_f32_e32 v47, s11, v47
	v_cvt_f32_fp8_e32 v49, v49
	s_delay_alu instid0(VALU_DEP_4) | instskip(NEXT) | instid1(VALU_DEP_4)
	v_mul_f32_e32 v50, s11, v50
	v_bfe_u32 v65, v51, 16, 1
	v_cvt_f32_fp8_e32 v53, v53
	v_bfe_u32 v63, v47, 16, 1
	v_or_b32_e32 v64, 0x400000, v47
	v_cmp_u_f32_e64 s0, v47, v47
	v_mul_f32_e32 v49, s11, v49
	v_or_b32_e32 v66, 0x400000, v51
	v_add3_u32 v63, v63, v47, 0x7fff
	v_bfe_u32 v67, v52, 16, 1
	v_add3_u32 v65, v65, v51, 0x7fff
	v_mul_f32_e32 v53, s11, v53
	v_or_b32_e32 v68, 0x400000, v52
	s_wait_alu 0xf1ff
	v_cndmask_b32_e64 v47, v63, v64, s0
	v_cmp_u_f32_e64 s0, v51, v51
	v_bfe_u32 v69, v49, 16, 1
	v_add3_u32 v67, v67, v52, 0x7fff
	v_cvt_f32_fp8_e32 v55, v55
	v_or_b32_e32 v70, 0x400000, v49
	s_wait_alu 0xf1ff
	v_cndmask_b32_e64 v51, v65, v66, s0
	v_cmp_u_f32_e64 s0, v52, v52
	v_bfe_u32 v71, v53, 16, 1
	v_add3_u32 v69, v69, v49, 0x7fff
	v_mul_f32_e32 v55, s11, v55
	v_or_b32_e32 v72, 0x400000, v53
	s_wait_alu 0xf1ff
	v_cndmask_b32_e64 v52, v67, v68, s0
	v_cmp_u_f32_e64 s0, v49, v49
	v_bfe_u32 v73, v54, 16, 1
	v_add3_u32 v71, v71, v53, 0x7fff
	v_or_b32_e32 v74, 0x400000, v54
	v_bfe_u32 v75, v55, 16, 1
	s_wait_alu 0xf1ff
	v_cndmask_b32_e64 v49, v69, v70, s0
	v_cmp_u_f32_e64 s0, v53, v53
	v_add3_u32 v73, v73, v54, 0x7fff
	v_or_b32_e32 v76, 0x400000, v55
	v_bfe_u32 v77, v50, 16, 1
	v_add3_u32 v75, v75, v55, 0x7fff
	s_wait_alu 0xf1ff
	v_cndmask_b32_e64 v63, v71, v72, s0
	v_cmp_u_f32_e64 s0, v54, v54
	v_or_b32_e32 v78, 0x400000, v50
	v_add3_u32 v77, v77, v50, 0x7fff
	v_lshrrev_b32_e32 v54, 16, v47
	v_lshrrev_b32_e32 v52, 16, v52
	s_wait_alu 0xf1ff
	v_cndmask_b32_e64 v64, v73, v74, s0
	v_cmp_u_f32_e64 s0, v55, v55
	v_lshrrev_b32_e32 v55, 16, v51
	v_lshrrev_b32_e32 v53, 16, v49
	s_delay_alu instid0(VALU_DEP_4) | instskip(SKIP_4) | instid1(VALU_DEP_3)
	v_lshrrev_b32_e32 v51, 16, v64
	s_wait_alu 0xf1ff
	v_cndmask_b32_e64 v65, v75, v76, s0
	v_cmp_u_f32_e64 s0, v50, v50
	v_lshrrev_b32_e32 v50, 16, v63
	v_lshrrev_b32_e32 v47, 16, v65
	s_wait_alu 0xf1ff
	s_delay_alu instid0(VALU_DEP_3) | instskip(NEXT) | instid1(VALU_DEP_1)
	v_cndmask_b32_e64 v66, v77, v78, s0
	v_lshrrev_b32_e32 v49, 16, v66
	s_and_saveexec_b32 s12, vcc_lo
	s_cbranch_execz .LBB335_49
; %bb.48:                               ;   in Loop: Header=BB335_42 Depth=1
	v_cmp_gt_i32_e64 s0, s52, v48
	s_wait_alu 0xf1ff
	s_delay_alu instid0(VALU_DEP_1) | instskip(SKIP_2) | instid1(VALU_DEP_1)
	v_cndmask_b32_e64 v54, 0, v54, s0
	v_cmp_gt_i32_e64 s0, s52, v61
	s_wait_alu 0xf1ff
	v_cndmask_b32_e64 v55, 0, v55, s0
	v_cmp_gt_i32_e64 s0, s52, v60
	s_wait_alu 0xf1ff
	s_delay_alu instid0(VALU_DEP_1) | instskip(SKIP_2) | instid1(VALU_DEP_1)
	v_cndmask_b32_e64 v52, 0, v52, s0
	v_cmp_gt_i32_e64 s0, s52, v59
	s_wait_alu 0xf1ff
	v_cndmask_b32_e64 v53, 0, v53, s0
	;; [unrolled: 7-line block ×4, first 2 shown]
.LBB335_49:                             ;   in Loop: Header=BB335_42 Depth=1
	s_wait_alu 0xfffe
	s_or_b32 exec_lo, exec_lo, s12
	global_load_b64 v[63:64], v[13:14], off offset:768
	s_wait_loadcnt 0x0
	v_bfe_u32 v66, v63, 8, 8
	v_bfe_u32 v67, v63, 16, 8
	;; [unrolled: 1-line block ×4, first 2 shown]
	s_delay_alu instid0(VALU_DEP_4)
	v_cvt_f32_fp8_e32 v66, v66
	v_and_b32_e32 v65, 0xff, v63
	v_lshrrev_b32_e32 v63, 24, v63
	v_cvt_f32_fp8_e32 v67, v67
	v_cvt_f32_fp8_e32 v70, v70
	v_mul_f32_e32 v66, s11, v66
	v_cvt_f32_fp8_e32 v65, v65
	v_and_b32_e32 v68, 0xff, v64
	v_cvt_f32_fp8_e32 v63, v63
	v_lshrrev_b32_e32 v64, 24, v64
	v_bfe_u32 v73, v66, 16, 1
	v_mul_f32_e32 v65, s11, v65
	v_cvt_f32_fp8_e32 v68, v68
	v_mul_f32_e32 v67, s11, v67
	v_dual_mul_f32 v63, s11, v63 :: v_dual_mul_f32 v70, s11, v70
	s_delay_alu instid0(VALU_DEP_4)
	v_bfe_u32 v71, v65, 16, 1
	v_or_b32_e32 v72, 0x400000, v65
	v_cmp_u_f32_e64 s0, v65, v65
	v_mul_f32_e32 v68, s11, v68
	v_or_b32_e32 v74, 0x400000, v66
	v_add3_u32 v71, v71, v65, 0x7fff
	v_bfe_u32 v75, v67, 16, 1
	v_add3_u32 v73, v73, v66, 0x7fff
	v_cvt_f32_fp8_e32 v69, v69
	v_or_b32_e32 v76, 0x400000, v67
	s_wait_alu 0xf1ff
	v_cndmask_b32_e64 v65, v71, v72, s0
	v_cmp_u_f32_e64 s0, v66, v66
	v_bfe_u32 v77, v63, 16, 1
	v_add3_u32 v75, v75, v67, 0x7fff
	v_cvt_f32_fp8_e32 v64, v64
	v_mul_f32_e32 v69, s11, v69
	s_wait_alu 0xf1ff
	v_cndmask_b32_e64 v66, v73, v74, s0
	v_cmp_u_f32_e64 s0, v67, v67
	v_or_b32_e32 v78, 0x400000, v63
	v_bfe_u32 v79, v68, 16, 1
	v_add3_u32 v77, v77, v63, 0x7fff
	v_mul_f32_e32 v64, s11, v64
	s_wait_alu 0xf1ff
	v_cndmask_b32_e64 v67, v75, v76, s0
	v_cmp_u_f32_e64 s0, v63, v63
	v_or_b32_e32 v80, 0x400000, v68
	v_bfe_u32 v81, v69, 16, 1
	v_add3_u32 v79, v79, v68, 0x7fff
	v_or_b32_e32 v82, 0x400000, v69
	s_wait_alu 0xf1ff
	v_cndmask_b32_e64 v63, v77, v78, s0
	v_cmp_u_f32_e64 s0, v68, v68
	v_bfe_u32 v83, v70, 16, 1
	v_add3_u32 v81, v81, v69, 0x7fff
	v_or_b32_e32 v84, 0x400000, v70
	v_bfe_u32 v85, v64, 16, 1
	s_wait_alu 0xf1ff
	v_cndmask_b32_e64 v71, v79, v80, s0
	v_cmp_u_f32_e64 s0, v69, v69
	v_add3_u32 v83, v83, v70, 0x7fff
	v_or_b32_e32 v86, 0x400000, v64
	v_add3_u32 v85, v85, v64, 0x7fff
	v_lshrrev_b32_e32 v69, 16, v65
	s_wait_alu 0xf1ff
	v_cndmask_b32_e64 v72, v81, v82, s0
	v_cmp_u_f32_e64 s0, v70, v70
	v_lshrrev_b32_e32 v70, 16, v66
	v_lshrrev_b32_e32 v67, 16, v67
	;; [unrolled: 1-line block ×4, first 2 shown]
	s_wait_alu 0xf1ff
	v_cndmask_b32_e64 v73, v83, v84, s0
	v_cmp_u_f32_e64 s0, v64, v64
	v_lshrrev_b32_e32 v66, 16, v72
	s_delay_alu instid0(VALU_DEP_3) | instskip(SKIP_1) | instid1(VALU_DEP_3)
	v_lshrrev_b32_e32 v63, 16, v73
	s_wait_alu 0xf1ff
	v_cndmask_b32_e64 v64, v85, v86, s0
	s_delay_alu instid0(VALU_DEP_1)
	v_lshrrev_b32_e32 v64, 16, v64
	s_and_saveexec_b32 s12, vcc_lo
	s_cbranch_execz .LBB335_51
; %bb.50:                               ;   in Loop: Header=BB335_42 Depth=1
	v_cmp_gt_i32_e64 s0, s52, v48
	s_wait_alu 0xf1ff
	s_delay_alu instid0(VALU_DEP_1) | instskip(SKIP_2) | instid1(VALU_DEP_1)
	v_cndmask_b32_e64 v69, 0, v69, s0
	v_cmp_gt_i32_e64 s0, s52, v61
	s_wait_alu 0xf1ff
	v_cndmask_b32_e64 v70, 0, v70, s0
	v_cmp_gt_i32_e64 s0, s52, v60
	s_wait_alu 0xf1ff
	s_delay_alu instid0(VALU_DEP_1) | instskip(SKIP_2) | instid1(VALU_DEP_1)
	v_cndmask_b32_e64 v67, 0, v67, s0
	v_cmp_gt_i32_e64 s0, s52, v59
	s_wait_alu 0xf1ff
	v_cndmask_b32_e64 v68, 0, v68, s0
	;; [unrolled: 7-line block ×4, first 2 shown]
.LBB335_51:                             ;   in Loop: Header=BB335_42 Depth=1
	s_wait_alu 0xfffe
	s_or_b32 exec_lo, exec_lo, s12
	global_load_b64 v[71:72], v[13:14], off offset:1024
	s_wait_loadcnt 0x0
	v_bfe_u32 v74, v71, 8, 8
	v_bfe_u32 v75, v71, 16, 8
	;; [unrolled: 1-line block ×4, first 2 shown]
	s_delay_alu instid0(VALU_DEP_4)
	v_cvt_f32_fp8_e32 v74, v74
	v_and_b32_e32 v73, 0xff, v71
	v_lshrrev_b32_e32 v71, 24, v71
	v_cvt_f32_fp8_e32 v75, v75
	v_cvt_f32_fp8_e32 v78, v78
	v_mul_f32_e32 v74, s11, v74
	v_cvt_f32_fp8_e32 v73, v73
	v_and_b32_e32 v76, 0xff, v72
	v_cvt_f32_fp8_e32 v71, v71
	v_lshrrev_b32_e32 v72, 24, v72
	v_bfe_u32 v81, v74, 16, 1
	v_mul_f32_e32 v73, s11, v73
	v_cvt_f32_fp8_e32 v76, v76
	v_mul_f32_e32 v75, s11, v75
	v_dual_mul_f32 v71, s11, v71 :: v_dual_mul_f32 v78, s11, v78
	s_delay_alu instid0(VALU_DEP_4)
	v_bfe_u32 v79, v73, 16, 1
	v_or_b32_e32 v80, 0x400000, v73
	v_cmp_u_f32_e64 s0, v73, v73
	v_mul_f32_e32 v76, s11, v76
	v_or_b32_e32 v82, 0x400000, v74
	v_add3_u32 v79, v79, v73, 0x7fff
	v_bfe_u32 v83, v75, 16, 1
	v_add3_u32 v81, v81, v74, 0x7fff
	v_cvt_f32_fp8_e32 v77, v77
	v_or_b32_e32 v84, 0x400000, v75
	s_wait_alu 0xf1ff
	v_cndmask_b32_e64 v73, v79, v80, s0
	v_cmp_u_f32_e64 s0, v74, v74
	v_bfe_u32 v85, v71, 16, 1
	v_add3_u32 v83, v83, v75, 0x7fff
	v_cvt_f32_fp8_e32 v72, v72
	v_mul_f32_e32 v77, s11, v77
	s_wait_alu 0xf1ff
	v_cndmask_b32_e64 v74, v81, v82, s0
	v_cmp_u_f32_e64 s0, v75, v75
	v_or_b32_e32 v86, 0x400000, v71
	v_bfe_u32 v87, v76, 16, 1
	v_add3_u32 v85, v85, v71, 0x7fff
	v_mul_f32_e32 v72, s11, v72
	s_wait_alu 0xf1ff
	v_cndmask_b32_e64 v75, v83, v84, s0
	v_cmp_u_f32_e64 s0, v71, v71
	v_or_b32_e32 v88, 0x400000, v76
	v_bfe_u32 v89, v77, 16, 1
	v_add3_u32 v87, v87, v76, 0x7fff
	v_or_b32_e32 v90, 0x400000, v77
	s_wait_alu 0xf1ff
	v_cndmask_b32_e64 v71, v85, v86, s0
	v_cmp_u_f32_e64 s0, v76, v76
	v_bfe_u32 v91, v78, 16, 1
	v_add3_u32 v89, v89, v77, 0x7fff
	v_or_b32_e32 v92, 0x400000, v78
	v_bfe_u32 v93, v72, 16, 1
	s_wait_alu 0xf1ff
	v_cndmask_b32_e64 v76, v87, v88, s0
	v_cmp_u_f32_e64 s0, v77, v77
	v_add3_u32 v91, v91, v78, 0x7fff
	v_or_b32_e32 v94, 0x400000, v72
	v_add3_u32 v93, v93, v72, 0x7fff
	v_lshrrev_b32_e32 v83, 16, v73
	s_wait_alu 0xf1ff
	v_cndmask_b32_e64 v77, v89, v90, s0
	v_cmp_u_f32_e64 s0, v78, v78
	v_lshrrev_b32_e32 v84, 16, v74
	v_lshrrev_b32_e32 v81, 16, v75
	;; [unrolled: 1-line block ×4, first 2 shown]
	s_wait_alu 0xf1ff
	v_cndmask_b32_e64 v78, v91, v92, s0
	v_cmp_u_f32_e64 s0, v72, v72
	v_lshrrev_b32_e32 v80, 16, v77
	s_delay_alu instid0(VALU_DEP_3) | instskip(SKIP_1) | instid1(VALU_DEP_3)
	v_lshrrev_b32_e32 v77, 16, v78
	s_wait_alu 0xf1ff
	v_cndmask_b32_e64 v72, v93, v94, s0
	s_delay_alu instid0(VALU_DEP_1)
	v_lshrrev_b32_e32 v78, 16, v72
	s_and_saveexec_b32 s12, vcc_lo
	s_cbranch_execz .LBB335_53
; %bb.52:                               ;   in Loop: Header=BB335_42 Depth=1
	v_cmp_gt_i32_e64 s0, s52, v48
	s_wait_alu 0xf1ff
	s_delay_alu instid0(VALU_DEP_1) | instskip(SKIP_2) | instid1(VALU_DEP_1)
	v_cndmask_b32_e64 v83, 0, v83, s0
	v_cmp_gt_i32_e64 s0, s52, v61
	s_wait_alu 0xf1ff
	v_cndmask_b32_e64 v84, 0, v84, s0
	v_cmp_gt_i32_e64 s0, s52, v60
	s_wait_alu 0xf1ff
	s_delay_alu instid0(VALU_DEP_1) | instskip(SKIP_2) | instid1(VALU_DEP_1)
	v_cndmask_b32_e64 v81, 0, v81, s0
	v_cmp_gt_i32_e64 s0, s52, v59
	s_wait_alu 0xf1ff
	v_cndmask_b32_e64 v82, 0, v82, s0
	;; [unrolled: 7-line block ×4, first 2 shown]
.LBB335_53:                             ;   in Loop: Header=BB335_42 Depth=1
	s_wait_alu 0xfffe
	s_or_b32 exec_lo, exec_lo, s12
	global_load_b64 v[71:72], v[13:14], off offset:1280
	s_wait_loadcnt 0x0
	v_bfe_u32 v74, v71, 8, 8
	v_bfe_u32 v75, v71, 16, 8
	;; [unrolled: 1-line block ×4, first 2 shown]
	s_delay_alu instid0(VALU_DEP_4)
	v_cvt_f32_fp8_e32 v74, v74
	v_and_b32_e32 v73, 0xff, v71
	v_lshrrev_b32_e32 v71, 24, v71
	v_cvt_f32_fp8_e32 v75, v75
	v_cvt_f32_fp8_e32 v86, v86
	v_mul_f32_e32 v74, s11, v74
	v_cvt_f32_fp8_e32 v73, v73
	v_and_b32_e32 v76, 0xff, v72
	v_cvt_f32_fp8_e32 v71, v71
	v_lshrrev_b32_e32 v72, 24, v72
	v_bfe_u32 v89, v74, 16, 1
	v_mul_f32_e32 v73, s11, v73
	v_cvt_f32_fp8_e32 v76, v76
	v_mul_f32_e32 v75, s11, v75
	v_dual_mul_f32 v71, s11, v71 :: v_dual_mul_f32 v86, s11, v86
	s_delay_alu instid0(VALU_DEP_4)
	v_bfe_u32 v87, v73, 16, 1
	v_or_b32_e32 v88, 0x400000, v73
	v_cmp_u_f32_e64 s0, v73, v73
	v_mul_f32_e32 v76, s11, v76
	v_or_b32_e32 v90, 0x400000, v74
	v_add3_u32 v87, v87, v73, 0x7fff
	v_bfe_u32 v91, v75, 16, 1
	v_add3_u32 v89, v89, v74, 0x7fff
	v_cvt_f32_fp8_e32 v85, v85
	v_or_b32_e32 v92, 0x400000, v75
	s_wait_alu 0xf1ff
	v_cndmask_b32_e64 v73, v87, v88, s0
	v_cmp_u_f32_e64 s0, v74, v74
	v_bfe_u32 v93, v71, 16, 1
	v_add3_u32 v91, v91, v75, 0x7fff
	v_cvt_f32_fp8_e32 v72, v72
	v_mul_f32_e32 v85, s11, v85
	s_wait_alu 0xf1ff
	v_cndmask_b32_e64 v74, v89, v90, s0
	v_cmp_u_f32_e64 s0, v75, v75
	v_or_b32_e32 v94, 0x400000, v71
	v_bfe_u32 v95, v76, 16, 1
	v_add3_u32 v93, v93, v71, 0x7fff
	v_mul_f32_e32 v72, s11, v72
	s_wait_alu 0xf1ff
	v_cndmask_b32_e64 v75, v91, v92, s0
	v_cmp_u_f32_e64 s0, v71, v71
	v_or_b32_e32 v96, 0x400000, v76
	v_bfe_u32 v97, v85, 16, 1
	v_add3_u32 v95, v95, v76, 0x7fff
	v_or_b32_e32 v98, 0x400000, v85
	s_wait_alu 0xf1ff
	v_cndmask_b32_e64 v71, v93, v94, s0
	v_cmp_u_f32_e64 s0, v76, v76
	v_bfe_u32 v99, v86, 16, 1
	v_add3_u32 v97, v97, v85, 0x7fff
	v_or_b32_e32 v100, 0x400000, v86
	v_bfe_u32 v101, v72, 16, 1
	s_wait_alu 0xf1ff
	v_cndmask_b32_e64 v76, v95, v96, s0
	v_cmp_u_f32_e64 s0, v85, v85
	v_add3_u32 v99, v99, v86, 0x7fff
	v_or_b32_e32 v102, 0x400000, v72
	v_add3_u32 v101, v101, v72, 0x7fff
	v_lshrrev_b32_e32 v91, 16, v73
	s_wait_alu 0xf1ff
	v_cndmask_b32_e64 v85, v97, v98, s0
	v_cmp_u_f32_e64 s0, v86, v86
	v_lshrrev_b32_e32 v92, 16, v74
	v_lshrrev_b32_e32 v89, 16, v75
	v_lshrrev_b32_e32 v90, 16, v71
	v_lshrrev_b32_e32 v87, 16, v76
	s_wait_alu 0xf1ff
	v_cndmask_b32_e64 v86, v99, v100, s0
	v_cmp_u_f32_e64 s0, v72, v72
	v_lshrrev_b32_e32 v88, 16, v85
	s_delay_alu instid0(VALU_DEP_3) | instskip(SKIP_1) | instid1(VALU_DEP_3)
	v_lshrrev_b32_e32 v85, 16, v86
	s_wait_alu 0xf1ff
	v_cndmask_b32_e64 v72, v101, v102, s0
	s_delay_alu instid0(VALU_DEP_1)
	v_lshrrev_b32_e32 v86, 16, v72
	s_and_saveexec_b32 s12, vcc_lo
	s_cbranch_execz .LBB335_55
; %bb.54:                               ;   in Loop: Header=BB335_42 Depth=1
	v_cmp_gt_i32_e64 s0, s52, v48
	s_wait_alu 0xf1ff
	s_delay_alu instid0(VALU_DEP_1) | instskip(SKIP_2) | instid1(VALU_DEP_1)
	v_cndmask_b32_e64 v91, 0, v91, s0
	v_cmp_gt_i32_e64 s0, s52, v61
	s_wait_alu 0xf1ff
	v_cndmask_b32_e64 v92, 0, v92, s0
	v_cmp_gt_i32_e64 s0, s52, v60
	s_wait_alu 0xf1ff
	s_delay_alu instid0(VALU_DEP_1) | instskip(SKIP_2) | instid1(VALU_DEP_1)
	v_cndmask_b32_e64 v89, 0, v89, s0
	v_cmp_gt_i32_e64 s0, s52, v59
	s_wait_alu 0xf1ff
	v_cndmask_b32_e64 v90, 0, v90, s0
	;; [unrolled: 7-line block ×4, first 2 shown]
.LBB335_55:                             ;   in Loop: Header=BB335_42 Depth=1
	s_wait_alu 0xfffe
	s_or_b32 exec_lo, exec_lo, s12
	global_load_b64 v[13:14], v[13:14], off offset:1536
	s_wait_loadcnt 0x0
	v_bfe_u32 v72, v13, 8, 8
	v_bfe_u32 v73, v13, 16, 8
	;; [unrolled: 1-line block ×4, first 2 shown]
	s_delay_alu instid0(VALU_DEP_4)
	v_cvt_f32_fp8_e32 v72, v72
	v_and_b32_e32 v71, 0xff, v13
	v_lshrrev_b32_e32 v13, 24, v13
	v_cvt_f32_fp8_e32 v73, v73
	v_cvt_f32_fp8_e32 v76, v76
	v_mul_f32_e32 v72, s11, v72
	v_cvt_f32_fp8_e32 v71, v71
	v_and_b32_e32 v74, 0xff, v14
	v_cvt_f32_fp8_e32 v13, v13
	v_lshrrev_b32_e32 v14, 24, v14
	v_bfe_u32 v95, v72, 16, 1
	v_mul_f32_e32 v71, s11, v71
	v_cvt_f32_fp8_e32 v74, v74
	v_mul_f32_e32 v73, s11, v73
	v_dual_mul_f32 v13, s11, v13 :: v_dual_mul_f32 v76, s11, v76
	s_delay_alu instid0(VALU_DEP_4)
	v_bfe_u32 v93, v71, 16, 1
	v_or_b32_e32 v94, 0x400000, v71
	v_cmp_u_f32_e64 s0, v71, v71
	v_mul_f32_e32 v74, s11, v74
	v_or_b32_e32 v96, 0x400000, v72
	v_add3_u32 v93, v93, v71, 0x7fff
	v_bfe_u32 v97, v73, 16, 1
	v_add3_u32 v95, v95, v72, 0x7fff
	v_cvt_f32_fp8_e32 v75, v75
	v_or_b32_e32 v98, 0x400000, v73
	s_wait_alu 0xf1ff
	v_cndmask_b32_e64 v71, v93, v94, s0
	v_cmp_u_f32_e64 s0, v72, v72
	v_bfe_u32 v99, v13, 16, 1
	v_add3_u32 v97, v97, v73, 0x7fff
	v_cvt_f32_fp8_e32 v14, v14
	v_mul_f32_e32 v75, s11, v75
	s_wait_alu 0xf1ff
	v_cndmask_b32_e64 v72, v95, v96, s0
	v_cmp_u_f32_e64 s0, v73, v73
	v_or_b32_e32 v100, 0x400000, v13
	v_bfe_u32 v101, v74, 16, 1
	v_add3_u32 v99, v99, v13, 0x7fff
	v_mul_f32_e32 v14, s11, v14
	s_wait_alu 0xf1ff
	v_cndmask_b32_e64 v73, v97, v98, s0
	v_cmp_u_f32_e64 s0, v13, v13
	v_or_b32_e32 v102, 0x400000, v74
	v_bfe_u32 v103, v75, 16, 1
	v_add3_u32 v101, v101, v74, 0x7fff
	v_or_b32_e32 v104, 0x400000, v75
	s_wait_alu 0xf1ff
	v_cndmask_b32_e64 v13, v99, v100, s0
	v_cmp_u_f32_e64 s0, v74, v74
	v_bfe_u32 v105, v76, 16, 1
	v_add3_u32 v103, v103, v75, 0x7fff
	v_or_b32_e32 v106, 0x400000, v76
	v_bfe_u32 v107, v14, 16, 1
	s_wait_alu 0xf1ff
	v_cndmask_b32_e64 v93, v101, v102, s0
	v_cmp_u_f32_e64 s0, v75, v75
	v_add3_u32 v105, v105, v76, 0x7fff
	v_or_b32_e32 v108, 0x400000, v14
	v_add3_u32 v107, v107, v14, 0x7fff
	v_lshrrev_b32_e32 v75, 16, v72
	s_wait_alu 0xf1ff
	v_cndmask_b32_e64 v94, v103, v104, s0
	v_cmp_u_f32_e64 s0, v76, v76
	v_lshrrev_b32_e32 v76, 16, v71
	v_lshrrev_b32_e32 v74, 16, v73
	;; [unrolled: 1-line block ×4, first 2 shown]
	s_wait_alu 0xf1ff
	v_cndmask_b32_e64 v95, v105, v106, s0
	v_cmp_u_f32_e64 s0, v14, v14
	v_lshrrev_b32_e32 v71, 16, v94
	s_delay_alu instid0(VALU_DEP_3) | instskip(SKIP_1) | instid1(VALU_DEP_3)
	v_lshrrev_b32_e32 v14, 16, v95
	s_wait_alu 0xf1ff
	v_cndmask_b32_e64 v96, v107, v108, s0
	s_delay_alu instid0(VALU_DEP_1)
	v_lshrrev_b32_e32 v13, 16, v96
	s_and_saveexec_b32 s0, vcc_lo
	s_cbranch_execz .LBB335_40
; %bb.56:                               ;   in Loop: Header=BB335_42 Depth=1
	v_cmp_gt_i32_e32 vcc_lo, s52, v48
	s_wait_alu 0xfffd
	v_cndmask_b32_e32 v76, 0, v76, vcc_lo
	v_cmp_gt_i32_e32 vcc_lo, s52, v61
	s_wait_alu 0xfffd
	v_cndmask_b32_e32 v75, 0, v75, vcc_lo
	;; [unrolled: 3-line block ×8, first 2 shown]
	s_branch .LBB335_40
.LBB335_57:
	s_or_b32 exec_lo, exec_lo, s5
.LBB335_58:
	s_wait_alu 0xfffe
	s_or_b32 exec_lo, exec_lo, s1
	ds_bpermute_b32 v1, v16, v23
	ds_bpermute_b32 v2, v16, v22
	;; [unrolled: 1-line block ×7, first 2 shown]
	v_lshrrev_b32_e32 v8, 1, v15
	v_mul_u32_u24_e32 v10, 0x1c0, v31
	v_and_b32_e32 v14, 0x3c1, v0
	s_mov_b32 s0, exec_lo
	s_wait_storecnt 0x0
	s_wait_loadcnt_dscnt 0x0
	v_lshl_add_u32 v9, v8, 2, 0x100
	s_barrier_signal -1
	s_barrier_wait -1
	global_inv scope:SCOPE_SE
	v_dual_add_f32 v7, v23, v1 :: v_dual_add_f32 v6, v22, v2
	v_dual_add_f32 v5, v21, v3 :: v_dual_add_f32 v4, v20, v4
	;; [unrolled: 1-line block ×3, first 2 shown]
	v_add_f32_e32 v1, v17, v13
	v_cmpx_eq_u32_e32 64, v14
	s_cbranch_execz .LBB335_60
; %bb.59:
	v_add_nc_u32_e32 v11, v9, v10
	s_delay_alu instid0(VALU_DEP_1)
	v_add_nc_u32_e32 v12, 0xfffffc80, v11
	v_add_nc_u32_e32 v13, 0xfffffcc0, v11
	;; [unrolled: 1-line block ×7, first 2 shown]
	ds_store_b32 v12, v7
	ds_store_b32 v13, v6
	;; [unrolled: 1-line block ×7, first 2 shown]
.LBB335_60:
	s_wait_alu 0xfffe
	s_or_b32 exec_lo, exec_lo, s0
	v_lshlrev_b32_e32 v8, 2, v8
	s_mov_b32 s1, exec_lo
	v_cmp_eq_u32_e32 vcc_lo, 0, v30
	s_wait_loadcnt_dscnt 0x0
	s_barrier_signal -1
	v_add3_u32 v8, 0x100, v10, v8
	s_barrier_wait -1
	global_inv scope:SCOPE_SE
	v_cmpx_gt_u32_e32 64, v0
	s_cbranch_execz .LBB335_70
; %bb.61:
	s_and_saveexec_b32 s0, vcc_lo
	s_cbranch_execnz .LBB335_85
; %bb.62:
	s_wait_alu 0xfffe
	s_or_b32 exec_lo, exec_lo, s0
	s_and_saveexec_b32 s0, vcc_lo
	s_cbranch_execnz .LBB335_86
.LBB335_63:
	s_wait_alu 0xfffe
	s_or_b32 exec_lo, exec_lo, s0
	s_and_saveexec_b32 s0, vcc_lo
	s_cbranch_execnz .LBB335_87
.LBB335_64:
	s_wait_alu 0xfffe
	s_or_b32 exec_lo, exec_lo, s0
	s_and_saveexec_b32 s0, vcc_lo
	s_cbranch_execnz .LBB335_88
.LBB335_65:
	s_wait_alu 0xfffe
	s_or_b32 exec_lo, exec_lo, s0
	s_and_saveexec_b32 s0, vcc_lo
	s_cbranch_execnz .LBB335_89
.LBB335_66:
	s_wait_alu 0xfffe
	s_or_b32 exec_lo, exec_lo, s0
	s_and_saveexec_b32 s0, vcc_lo
	s_cbranch_execnz .LBB335_90
.LBB335_67:
	s_wait_alu 0xfffe
	s_or_b32 exec_lo, exec_lo, s0
	s_and_saveexec_b32 s0, vcc_lo
	s_cbranch_execz .LBB335_69
.LBB335_68:
	ds_load_b32 v10, v8 offset:384
	s_wait_dscnt 0x0
	v_add_f32_e32 v1, v1, v10
.LBB335_69:
	s_wait_alu 0xfffe
	s_or_b32 exec_lo, exec_lo, s0
.LBB335_70:
	s_wait_alu 0xfffe
	s_or_b32 exec_lo, exec_lo, s1
	v_and_b32_e32 v10, 0x3e1, v0
	s_mov_b32 s1, exec_lo
	s_wait_loadcnt 0x0
	s_barrier_signal -1
	s_barrier_wait -1
	global_inv scope:SCOPE_SE
	v_cmpx_eq_u32_e32 32, v10
	s_cbranch_execz .LBB335_72
; %bb.71:
	ds_store_2addr_b32 v9, v7, v6 offset1:16
	ds_store_2addr_b32 v9, v5, v4 offset0:32 offset1:48
	ds_store_2addr_b32 v9, v3, v2 offset0:64 offset1:80
	ds_store_b32 v9, v1 offset:384
.LBB335_72:
	s_wait_alu 0xfffe
	s_or_b32 exec_lo, exec_lo, s1
	s_delay_alu instid0(SALU_CYCLE_1)
	s_mov_b32 s1, exec_lo
	s_wait_loadcnt_dscnt 0x0
	s_barrier_signal -1
	s_barrier_wait -1
	global_inv scope:SCOPE_SE
	v_cmpx_gt_u32_e32 32, v0
	s_cbranch_execz .LBB335_82
; %bb.73:
	s_and_saveexec_b32 s0, vcc_lo
	s_cbranch_execnz .LBB335_91
; %bb.74:
	s_wait_alu 0xfffe
	s_or_b32 exec_lo, exec_lo, s0
	s_and_saveexec_b32 s0, vcc_lo
	s_cbranch_execnz .LBB335_92
.LBB335_75:
	s_wait_alu 0xfffe
	s_or_b32 exec_lo, exec_lo, s0
	s_and_saveexec_b32 s0, vcc_lo
	s_cbranch_execnz .LBB335_93
.LBB335_76:
	s_wait_alu 0xfffe
	s_or_b32 exec_lo, exec_lo, s0
	s_and_saveexec_b32 s0, vcc_lo
	s_cbranch_execnz .LBB335_94
.LBB335_77:
	s_wait_alu 0xfffe
	s_or_b32 exec_lo, exec_lo, s0
	s_and_saveexec_b32 s0, vcc_lo
	s_cbranch_execnz .LBB335_95
.LBB335_78:
	s_wait_alu 0xfffe
	s_or_b32 exec_lo, exec_lo, s0
	s_and_saveexec_b32 s0, vcc_lo
	s_cbranch_execnz .LBB335_96
.LBB335_79:
	s_wait_alu 0xfffe
	s_or_b32 exec_lo, exec_lo, s0
	s_and_saveexec_b32 s0, vcc_lo
	s_cbranch_execz .LBB335_81
.LBB335_80:
	ds_load_b32 v0, v8 offset:384
	s_wait_dscnt 0x0
	v_add_f32_e32 v1, v1, v0
.LBB335_81:
	s_wait_alu 0xfffe
	s_or_b32 exec_lo, exec_lo, s0
.LBB335_82:
	s_wait_alu 0xfffe
	s_or_b32 exec_lo, exec_lo, s1
	s_mov_b32 s1, 0
	s_wait_loadcnt 0x0
	s_barrier_signal -1
	s_barrier_wait -1
	global_inv scope:SCOPE_SE
	s_mov_b32 s0, exec_lo
	v_cmpx_eq_u32_e32 0, v10
	s_cbranch_execz .LBB335_84
; %bb.83:
	v_bfe_u32 v0, v7, 16, 1
	v_or_b32_e32 v8, 0x400000, v7
	v_bfe_u32 v9, v6, 16, 1
	v_cmp_u_f32_e32 vcc_lo, v7, v7
	v_bfe_u32 v11, v5, 16, 1
	v_add3_u32 v0, v0, v7, 0x7fff
	v_or_b32_e32 v13, 0x400000, v1
	v_add3_u32 v7, v9, v6, 0x7fff
	v_bfe_u32 v9, v4, 16, 1
	v_add3_u32 v11, v11, v5, 0x7fff
	s_wait_alu 0xfffd
	v_cndmask_b32_e32 v0, v0, v8, vcc_lo
	v_or_b32_e32 v8, 0x400000, v6
	v_cmp_u_f32_e32 vcc_lo, v6, v6
	v_or_b32_e32 v12, 0x400000, v5
	s_mul_i32 s2, s10, 0x70
	s_wait_kmcnt 0x0
	s_mul_i32 s4, s35, s34
	s_wait_alu 0xfffe
	s_ashr_i32 s3, s2, 31
	s_wait_alu 0xfffd
	v_cndmask_b32_e32 v6, v7, v8, vcc_lo
	v_cmp_u_f32_e32 vcc_lo, v5, v5
	v_lshlrev_b32_e32 v10, 1, v29
	v_add3_u32 v7, v9, v4, 0x7fff
	v_or_b32_e32 v8, 0x400000, v4
	v_bfe_u32 v9, v3, 16, 1
	s_wait_alu 0xfffd
	v_cndmask_b32_e32 v5, v11, v12, vcc_lo
	v_cmp_u_f32_e32 vcc_lo, v4, v4
	v_bfe_u32 v11, v2, 16, 1
	v_or_b32_e32 v12, 0x400000, v2
	s_ashr_i32 s5, s4, 31
	s_wait_alu 0xfffe
	s_lshl_b64 s[2:3], s[2:3], 1
	s_wait_alu 0xfffd
	v_cndmask_b32_e32 v4, v7, v8, vcc_lo
	v_add3_u32 v8, v9, v3, 0x7fff
	v_or_b32_e32 v9, 0x400000, v3
	v_cmp_u_f32_e32 vcc_lo, v3, v3
	v_bfe_u32 v7, v1, 16, 1
	v_add3_u32 v11, v11, v2, 0x7fff
	s_lshl_b64 s[4:5], s[4:5], 1
	s_wait_alu 0xfffe
	s_add_nc_u64 s[2:3], s[8:9], s[2:3]
	s_wait_alu 0xfffd
	v_cndmask_b32_e32 v3, v8, v9, vcc_lo
	v_cmp_u_f32_e32 vcc_lo, v2, v2
	v_add3_u32 v7, v7, v1, 0x7fff
	s_mul_i32 s0, s33, 0xe0
	s_wait_alu 0xfffe
	s_add_nc_u64 s[2:3], s[2:3], s[4:5]
	s_wait_alu 0xfffd
	v_cndmask_b32_e32 v2, v11, v12, vcc_lo
	v_cmp_u_f32_e32 vcc_lo, v1, v1
	s_wait_alu 0xfffe
	s_add_nc_u64 s[0:1], s[2:3], s[0:1]
	s_wait_alu 0xfffd
	v_cndmask_b32_e32 v1, v7, v13, vcc_lo
	s_clause 0x6
	global_store_d16_hi_b16 v10, v0, s[0:1]
	global_store_d16_hi_b16 v10, v6, s[0:1] offset:32
	global_store_d16_hi_b16 v10, v5, s[0:1] offset:64
	;; [unrolled: 1-line block ×6, first 2 shown]
.LBB335_84:
	s_nop 0
	s_sendmsg sendmsg(MSG_DEALLOC_VGPRS)
	s_endpgm
.LBB335_85:
	ds_load_b32 v10, v8
	s_wait_dscnt 0x0
	v_add_f32_e32 v7, v7, v10
	s_wait_alu 0xfffe
	s_or_b32 exec_lo, exec_lo, s0
	s_and_saveexec_b32 s0, vcc_lo
	s_cbranch_execz .LBB335_63
.LBB335_86:
	ds_load_b32 v10, v8 offset:64
	s_wait_dscnt 0x0
	v_add_f32_e32 v6, v6, v10
	s_wait_alu 0xfffe
	s_or_b32 exec_lo, exec_lo, s0
	s_and_saveexec_b32 s0, vcc_lo
	s_cbranch_execz .LBB335_64
.LBB335_87:
	ds_load_b32 v10, v8 offset:128
	s_wait_dscnt 0x0
	v_add_f32_e32 v5, v5, v10
	s_wait_alu 0xfffe
	s_or_b32 exec_lo, exec_lo, s0
	s_and_saveexec_b32 s0, vcc_lo
	s_cbranch_execz .LBB335_65
.LBB335_88:
	ds_load_b32 v10, v8 offset:192
	s_wait_dscnt 0x0
	v_add_f32_e32 v4, v4, v10
	s_wait_alu 0xfffe
	s_or_b32 exec_lo, exec_lo, s0
	s_and_saveexec_b32 s0, vcc_lo
	s_cbranch_execz .LBB335_66
.LBB335_89:
	ds_load_b32 v10, v8 offset:256
	s_wait_dscnt 0x0
	v_add_f32_e32 v3, v3, v10
	s_wait_alu 0xfffe
	s_or_b32 exec_lo, exec_lo, s0
	s_and_saveexec_b32 s0, vcc_lo
	s_cbranch_execz .LBB335_67
.LBB335_90:
	ds_load_b32 v10, v8 offset:320
	s_wait_dscnt 0x0
	v_add_f32_e32 v2, v2, v10
	s_wait_alu 0xfffe
	s_or_b32 exec_lo, exec_lo, s0
	s_and_saveexec_b32 s0, vcc_lo
	s_cbranch_execnz .LBB335_68
	s_branch .LBB335_69
.LBB335_91:
	ds_load_b32 v0, v8
	s_wait_dscnt 0x0
	v_add_f32_e32 v7, v7, v0
	s_wait_alu 0xfffe
	s_or_b32 exec_lo, exec_lo, s0
	s_and_saveexec_b32 s0, vcc_lo
	s_cbranch_execz .LBB335_75
.LBB335_92:
	ds_load_b32 v0, v8 offset:64
	s_wait_dscnt 0x0
	v_add_f32_e32 v6, v6, v0
	s_wait_alu 0xfffe
	s_or_b32 exec_lo, exec_lo, s0
	s_and_saveexec_b32 s0, vcc_lo
	s_cbranch_execz .LBB335_76
.LBB335_93:
	ds_load_b32 v0, v8 offset:128
	s_wait_dscnt 0x0
	v_add_f32_e32 v5, v5, v0
	s_wait_alu 0xfffe
	s_or_b32 exec_lo, exec_lo, s0
	s_and_saveexec_b32 s0, vcc_lo
	s_cbranch_execz .LBB335_77
.LBB335_94:
	ds_load_b32 v0, v8 offset:192
	s_wait_dscnt 0x0
	v_add_f32_e32 v4, v4, v0
	s_wait_alu 0xfffe
	s_or_b32 exec_lo, exec_lo, s0
	s_and_saveexec_b32 s0, vcc_lo
	s_cbranch_execz .LBB335_78
.LBB335_95:
	ds_load_b32 v0, v8 offset:256
	s_wait_dscnt 0x0
	v_add_f32_e32 v3, v3, v0
	s_wait_alu 0xfffe
	s_or_b32 exec_lo, exec_lo, s0
	s_and_saveexec_b32 s0, vcc_lo
	s_cbranch_execz .LBB335_79
.LBB335_96:
	ds_load_b32 v0, v8 offset:320
	s_wait_dscnt 0x0
	v_add_f32_e32 v2, v2, v0
	s_wait_alu 0xfffe
	s_or_b32 exec_lo, exec_lo, s0
	s_and_saveexec_b32 s0, vcc_lo
	s_cbranch_execnz .LBB335_80
	s_branch .LBB335_81
	.section	.rodata,"a",@progbits
	.p2align	6, 0x0
	.amdhsa_kernel _ZN4vllm25paged_attention_v2_kernelI14__hip_bfloat16hLi112ELi16ELi128ELNS_18Fp8KVCacheDataTypeE1ELb1ELi512EEEvPfS3_PT_PKS4_PKT0_SA_ifPKiSC_iPKfiiiSE_SE_iiiii
		.amdhsa_group_segment_fixed_size 256
		.amdhsa_private_segment_fixed_size 0
		.amdhsa_kernarg_size 400
		.amdhsa_user_sgpr_count 2
		.amdhsa_user_sgpr_dispatch_ptr 0
		.amdhsa_user_sgpr_queue_ptr 0
		.amdhsa_user_sgpr_kernarg_segment_ptr 1
		.amdhsa_user_sgpr_dispatch_id 0
		.amdhsa_user_sgpr_private_segment_size 0
		.amdhsa_wavefront_size32 1
		.amdhsa_uses_dynamic_stack 0
		.amdhsa_enable_private_segment 0
		.amdhsa_system_sgpr_workgroup_id_x 1
		.amdhsa_system_sgpr_workgroup_id_y 1
		.amdhsa_system_sgpr_workgroup_id_z 1
		.amdhsa_system_sgpr_workgroup_info 0
		.amdhsa_system_vgpr_workitem_id 0
		.amdhsa_next_free_vgpr 137
		.amdhsa_next_free_sgpr 66
		.amdhsa_reserve_vcc 1
		.amdhsa_float_round_mode_32 0
		.amdhsa_float_round_mode_16_64 0
		.amdhsa_float_denorm_mode_32 3
		.amdhsa_float_denorm_mode_16_64 3
		.amdhsa_fp16_overflow 0
		.amdhsa_workgroup_processor_mode 1
		.amdhsa_memory_ordered 1
		.amdhsa_forward_progress 1
		.amdhsa_inst_pref_size 154
		.amdhsa_round_robin_scheduling 0
		.amdhsa_exception_fp_ieee_invalid_op 0
		.amdhsa_exception_fp_denorm_src 0
		.amdhsa_exception_fp_ieee_div_zero 0
		.amdhsa_exception_fp_ieee_overflow 0
		.amdhsa_exception_fp_ieee_underflow 0
		.amdhsa_exception_fp_ieee_inexact 0
		.amdhsa_exception_int_div_zero 0
	.end_amdhsa_kernel
	.section	.text._ZN4vllm25paged_attention_v2_kernelI14__hip_bfloat16hLi112ELi16ELi128ELNS_18Fp8KVCacheDataTypeE1ELb1ELi512EEEvPfS3_PT_PKS4_PKT0_SA_ifPKiSC_iPKfiiiSE_SE_iiiii,"axG",@progbits,_ZN4vllm25paged_attention_v2_kernelI14__hip_bfloat16hLi112ELi16ELi128ELNS_18Fp8KVCacheDataTypeE1ELb1ELi512EEEvPfS3_PT_PKS4_PKT0_SA_ifPKiSC_iPKfiiiSE_SE_iiiii,comdat
.Lfunc_end335:
	.size	_ZN4vllm25paged_attention_v2_kernelI14__hip_bfloat16hLi112ELi16ELi128ELNS_18Fp8KVCacheDataTypeE1ELb1ELi512EEEvPfS3_PT_PKS4_PKT0_SA_ifPKiSC_iPKfiiiSE_SE_iiiii, .Lfunc_end335-_ZN4vllm25paged_attention_v2_kernelI14__hip_bfloat16hLi112ELi16ELi128ELNS_18Fp8KVCacheDataTypeE1ELb1ELi512EEEvPfS3_PT_PKS4_PKT0_SA_ifPKiSC_iPKfiiiSE_SE_iiiii
                                        ; -- End function
	.set _ZN4vllm25paged_attention_v2_kernelI14__hip_bfloat16hLi112ELi16ELi128ELNS_18Fp8KVCacheDataTypeE1ELb1ELi512EEEvPfS3_PT_PKS4_PKT0_SA_ifPKiSC_iPKfiiiSE_SE_iiiii.num_vgpr, 137
	.set _ZN4vllm25paged_attention_v2_kernelI14__hip_bfloat16hLi112ELi16ELi128ELNS_18Fp8KVCacheDataTypeE1ELb1ELi512EEEvPfS3_PT_PKS4_PKT0_SA_ifPKiSC_iPKfiiiSE_SE_iiiii.num_agpr, 0
	.set _ZN4vllm25paged_attention_v2_kernelI14__hip_bfloat16hLi112ELi16ELi128ELNS_18Fp8KVCacheDataTypeE1ELb1ELi512EEEvPfS3_PT_PKS4_PKT0_SA_ifPKiSC_iPKfiiiSE_SE_iiiii.numbered_sgpr, 66
	.set _ZN4vllm25paged_attention_v2_kernelI14__hip_bfloat16hLi112ELi16ELi128ELNS_18Fp8KVCacheDataTypeE1ELb1ELi512EEEvPfS3_PT_PKS4_PKT0_SA_ifPKiSC_iPKfiiiSE_SE_iiiii.num_named_barrier, 0
	.set _ZN4vllm25paged_attention_v2_kernelI14__hip_bfloat16hLi112ELi16ELi128ELNS_18Fp8KVCacheDataTypeE1ELb1ELi512EEEvPfS3_PT_PKS4_PKT0_SA_ifPKiSC_iPKfiiiSE_SE_iiiii.private_seg_size, 0
	.set _ZN4vllm25paged_attention_v2_kernelI14__hip_bfloat16hLi112ELi16ELi128ELNS_18Fp8KVCacheDataTypeE1ELb1ELi512EEEvPfS3_PT_PKS4_PKT0_SA_ifPKiSC_iPKfiiiSE_SE_iiiii.uses_vcc, 1
	.set _ZN4vllm25paged_attention_v2_kernelI14__hip_bfloat16hLi112ELi16ELi128ELNS_18Fp8KVCacheDataTypeE1ELb1ELi512EEEvPfS3_PT_PKS4_PKT0_SA_ifPKiSC_iPKfiiiSE_SE_iiiii.uses_flat_scratch, 0
	.set _ZN4vllm25paged_attention_v2_kernelI14__hip_bfloat16hLi112ELi16ELi128ELNS_18Fp8KVCacheDataTypeE1ELb1ELi512EEEvPfS3_PT_PKS4_PKT0_SA_ifPKiSC_iPKfiiiSE_SE_iiiii.has_dyn_sized_stack, 0
	.set _ZN4vllm25paged_attention_v2_kernelI14__hip_bfloat16hLi112ELi16ELi128ELNS_18Fp8KVCacheDataTypeE1ELb1ELi512EEEvPfS3_PT_PKS4_PKT0_SA_ifPKiSC_iPKfiiiSE_SE_iiiii.has_recursion, 0
	.set _ZN4vllm25paged_attention_v2_kernelI14__hip_bfloat16hLi112ELi16ELi128ELNS_18Fp8KVCacheDataTypeE1ELb1ELi512EEEvPfS3_PT_PKS4_PKT0_SA_ifPKiSC_iPKfiiiSE_SE_iiiii.has_indirect_call, 0
	.section	.AMDGPU.csdata,"",@progbits
; Kernel info:
; codeLenInByte = 19612
; TotalNumSgprs: 68
; NumVgprs: 137
; ScratchSize: 0
; MemoryBound: 0
; FloatMode: 240
; IeeeMode: 1
; LDSByteSize: 256 bytes/workgroup (compile time only)
; SGPRBlocks: 0
; VGPRBlocks: 17
; NumSGPRsForWavesPerEU: 68
; NumVGPRsForWavesPerEU: 137
; Occupancy: 10
; WaveLimiterHint : 1
; COMPUTE_PGM_RSRC2:SCRATCH_EN: 0
; COMPUTE_PGM_RSRC2:USER_SGPR: 2
; COMPUTE_PGM_RSRC2:TRAP_HANDLER: 0
; COMPUTE_PGM_RSRC2:TGID_X_EN: 1
; COMPUTE_PGM_RSRC2:TGID_Y_EN: 1
; COMPUTE_PGM_RSRC2:TGID_Z_EN: 1
; COMPUTE_PGM_RSRC2:TIDIG_COMP_CNT: 0
	.section	.text._ZN4vllm25paged_attention_v2_kernelI14__hip_bfloat16hLi120ELi16ELi128ELNS_18Fp8KVCacheDataTypeE1ELb1ELi512EEEvPfS3_PT_PKS4_PKT0_SA_ifPKiSC_iPKfiiiSE_SE_iiiii,"axG",@progbits,_ZN4vllm25paged_attention_v2_kernelI14__hip_bfloat16hLi120ELi16ELi128ELNS_18Fp8KVCacheDataTypeE1ELb1ELi512EEEvPfS3_PT_PKS4_PKT0_SA_ifPKiSC_iPKfiiiSE_SE_iiiii,comdat
	.protected	_ZN4vllm25paged_attention_v2_kernelI14__hip_bfloat16hLi120ELi16ELi128ELNS_18Fp8KVCacheDataTypeE1ELb1ELi512EEEvPfS3_PT_PKS4_PKT0_SA_ifPKiSC_iPKfiiiSE_SE_iiiii ; -- Begin function _ZN4vllm25paged_attention_v2_kernelI14__hip_bfloat16hLi120ELi16ELi128ELNS_18Fp8KVCacheDataTypeE1ELb1ELi512EEEvPfS3_PT_PKS4_PKT0_SA_ifPKiSC_iPKfiiiSE_SE_iiiii
	.globl	_ZN4vllm25paged_attention_v2_kernelI14__hip_bfloat16hLi120ELi16ELi128ELNS_18Fp8KVCacheDataTypeE1ELb1ELi512EEEvPfS3_PT_PKS4_PKT0_SA_ifPKiSC_iPKfiiiSE_SE_iiiii
	.p2align	8
	.type	_ZN4vllm25paged_attention_v2_kernelI14__hip_bfloat16hLi120ELi16ELi128ELNS_18Fp8KVCacheDataTypeE1ELb1ELi512EEEvPfS3_PT_PKS4_PKT0_SA_ifPKiSC_iPKfiiiSE_SE_iiiii,@function
_ZN4vllm25paged_attention_v2_kernelI14__hip_bfloat16hLi120ELi16ELi128ELNS_18Fp8KVCacheDataTypeE1ELb1ELi512EEEvPfS3_PT_PKS4_PKT0_SA_ifPKiSC_iPKfiiiSE_SE_iiiii: ; @_ZN4vllm25paged_attention_v2_kernelI14__hip_bfloat16hLi120ELi16ELi128ELNS_18Fp8KVCacheDataTypeE1ELb1ELi512EEEvPfS3_PT_PKS4_PKT0_SA_ifPKiSC_iPKfiiiSE_SE_iiiii
; %bb.0:
	s_load_b64 s[2:3], s[0:1], 0x40
	s_and_b32 s49, ttmp7, 0xffff
	s_lshr_b32 s33, ttmp7, 16
	s_lshl_b32 s4, s49, 2
	s_lshl_b32 s51, s33, 9
	s_wait_kmcnt 0x0
	s_load_b32 s48, s[2:3], s4 offset:0x0
	s_wait_kmcnt 0x0
	s_cmp_ge_i32 s51, s48
	s_cbranch_scc1 .LBB336_115
; %bb.1:
	s_clause 0x1
	s_load_b32 s50, s[0:1], 0x90
	s_load_b64 s[46:47], s[0:1], 0x30
	s_wait_kmcnt 0x0
	s_abs_i32 s5, s50
	s_abs_i32 s2, s46
	s_delay_alu instid0(SALU_CYCLE_1) | instskip(SKIP_1) | instid1(SALU_CYCLE_2)
	s_cvt_f32_u32 s3, s2
	s_sub_co_i32 s4, 0, s2
	v_rcp_iflag_f32_e32 v1, s3
	s_delay_alu instid0(TRANS32_DEP_1) | instskip(SKIP_2) | instid1(SALU_CYCLE_2)
	v_readfirstlane_b32 s3, v1
	s_mul_f32 s3, s3, 0x4f7ffffe
	s_wait_alu 0xfffe
	s_cvt_u32_f32 s3, s3
	s_wait_alu 0xfffe
	s_delay_alu instid0(SALU_CYCLE_2) | instskip(NEXT) | instid1(SALU_CYCLE_1)
	s_mul_i32 s4, s4, s3
	s_mul_hi_u32 s4, s3, s4
	s_delay_alu instid0(SALU_CYCLE_1)
	s_add_co_i32 s3, s3, s4
	s_xor_b32 s4, s50, s46
	s_wait_alu 0xfffe
	s_mul_hi_u32 s3, s5, s3
	s_ashr_i32 s4, s4, 31
	s_wait_alu 0xfffe
	s_mul_i32 s6, s3, s2
	s_delay_alu instid0(SALU_CYCLE_1)
	s_sub_co_i32 s5, s5, s6
	s_add_co_i32 s6, s3, 1
	s_sub_co_i32 s7, s5, s2
	s_cmp_ge_u32 s5, s2
	s_cselect_b32 s3, s6, s3
	s_cselect_b32 s5, s7, s5
	s_wait_alu 0xfffe
	s_add_co_i32 s6, s3, 1
	s_cmp_ge_u32 s5, s2
	s_cselect_b32 s2, s6, s3
	s_load_b64 s[6:7], s[0:1], 0x50
	s_xor_b32 s2, s2, s4
	s_mov_b32 s3, 0
	s_wait_alu 0xfffe
	s_sub_co_i32 s9, s2, s4
	s_mov_b32 s54, s3
	s_abs_i32 s8, s9
	s_delay_alu instid0(SALU_CYCLE_1) | instskip(SKIP_1) | instid1(SALU_CYCLE_2)
	s_cvt_f32_u32 s2, s8
	s_wait_alu 0xfffe
	v_rcp_iflag_f32_e32 v1, s2
	s_delay_alu instid0(TRANS32_DEP_1) | instskip(SKIP_2) | instid1(SALU_CYCLE_2)
	v_readfirstlane_b32 s2, v1
	s_mul_f32 s2, s2, 0x4f7ffffe
	s_wait_alu 0xfffe
	s_cvt_u32_f32 s4, s2
	s_sub_co_i32 s2, 0, s8
	s_wait_alu 0xfffe
	s_delay_alu instid0(SALU_CYCLE_1)
	s_mul_i32 s2, s2, s4
	s_wait_alu 0xfffe
	s_mul_hi_u32 s5, s4, s2
	s_abs_i32 s2, ttmp9
	s_add_co_i32 s4, s4, s5
	s_mov_b32 s5, s3
	s_wait_kmcnt 0x0
	s_cmp_eq_u64 s[6:7], 0
	s_cbranch_scc1 .LBB336_3
; %bb.2:
	s_mov_b32 s10, ttmp9
	s_ashr_i32 s11, ttmp9, 31
	s_delay_alu instid0(SALU_CYCLE_1) | instskip(NEXT) | instid1(SALU_CYCLE_1)
	s_lshl_b64 s[10:11], s[10:11], 2
	s_add_nc_u64 s[6:7], s[6:7], s[10:11]
	s_load_b32 s54, s[6:7], 0x0
.LBB336_3:
	s_load_b96 s[36:38], s[0:1], 0x58
	v_lshrrev_b32_e32 v15, 1, v0
	v_and_b32_e32 v16, 1, v0
	v_lshlrev_b32_e32 v7, 3, v0
	s_mul_u64 s[4:5], s[2:3], s[4:5]
	s_ashr_i32 s3, ttmp9, 31
	s_ashr_i32 s4, s9, 31
	s_mul_i32 s34, ttmp9, 0x78
	s_mov_b32 s6, exec_lo
	v_cmpx_gt_u32_e32 30, v0
	s_cbranch_execz .LBB336_5
; %bb.4:
	s_load_b64 s[10:11], s[0:1], 0x18
	s_wait_kmcnt 0x0
	s_mul_i32 s12, s36, s49
	s_ashr_i32 s35, s34, 31
	s_ashr_i32 s13, s12, 31
	v_lshlrev_b32_e32 v3, 3, v15
	s_lshl_b64 s[12:13], s[12:13], 1
	s_delay_alu instid0(VALU_DEP_1) | instskip(SKIP_2) | instid1(SALU_CYCLE_1)
	v_mad_u32_u24 v3, 0x78, v16, v3
	s_add_nc_u64 s[10:11], s[10:11], s[12:13]
	s_lshl_b64 s[12:13], s[34:35], 1
	s_add_nc_u64 s[10:11], s[10:11], s[12:13]
	global_load_b64 v[1:2], v7, s[10:11]
	s_wait_loadcnt 0x0
	ds_store_b64 v3, v[1:2]
.LBB336_5:
	s_or_b32 exec_lo, exec_lo, s6
	s_clause 0x1
	s_load_b128 s[24:27], s[0:1], 0x78
	s_load_b32 s7, s[0:1], 0x88
	s_mul_i32 s6, s5, s8
	s_xor_b32 s3, s3, s4
	s_sub_co_i32 s2, s2, s6
	s_add_co_i32 s4, s5, 1
	s_wait_alu 0xfffe
	s_sub_co_i32 s6, s2, s8
	s_cmp_ge_u32 s2, s8
	s_mov_b32 s9, -1
	s_cselect_b32 s4, s4, s5
	s_cselect_b32 s2, s6, s2
	s_add_co_i32 s5, s4, 1
	s_wait_alu 0xfffe
	s_cmp_ge_u32 s2, s8
	s_wait_dscnt 0x0
	s_cselect_b32 s2, s5, s4
	s_add_co_i32 s8, s48, -1
	s_wait_alu 0xfffe
	s_xor_b32 s2, s2, s3
	s_barrier_signal -1
	s_wait_alu 0xfffe
	s_sub_co_i32 s6, s2, s3
	s_barrier_wait -1
	s_wait_kmcnt 0x0
	s_abs_i32 s35, s27
	global_inv scope:SCOPE_SE
	s_cvt_f32_u32 s4, s35
                                        ; implicit-def: $sgpr36
	s_delay_alu instid0(SALU_CYCLE_3) | instskip(NEXT) | instid1(TRANS32_DEP_1)
	v_rcp_iflag_f32_e32 v1, s4
	v_readfirstlane_b32 s4, v1
	s_mul_f32 s2, s4, 0x4f7ffffe
	s_wait_alu 0xfffe
	s_delay_alu instid0(SALU_CYCLE_2) | instskip(SKIP_2) | instid1(SALU_CYCLE_1)
	s_cvt_u32_f32 s4, s2
	s_sub_co_i32 s2, 0, s35
	s_wait_alu 0xfffe
	s_mul_i32 s3, s2, s4
	s_abs_i32 s2, s8
	s_wait_alu 0xfffe
	s_mul_hi_u32 s5, s4, s3
	s_mov_b32 s3, 0
	s_wait_alu 0xfffe
	s_add_co_i32 s40, s4, s5
	s_cmp_lt_i32 s7, 0
	s_mov_b32 s41, s3
	s_cbranch_scc0 .LBB336_7
; %bb.6:
	s_mul_i32 s4, s24, s46
	s_mov_b32 s9, s3
	s_wait_alu 0xfffe
	s_add_co_i32 s4, s6, s4
	s_wait_alu 0xfffe
	s_mul_i32 s4, s4, s7
	s_wait_alu 0xfffe
	s_sub_co_i32 s36, 1, s4
.LBB336_7:
	s_mul_u64 s[4:5], s[2:3], s[40:41]
	s_ashr_i32 s3, s8, 31
	s_and_not1_b32 vcc_lo, exec_lo, s9
	s_ashr_i32 s41, s27, 31
	s_cbranch_vccnz .LBB336_9
; %bb.8:
	s_mul_i32 s4, s50, s24
	s_wait_alu 0xfffe
	s_add_co_i32 s4, s4, ttmp9
	s_wait_alu 0xfffe
	s_mul_i32 s4, s4, s7
	s_wait_alu 0xfffe
	s_add_co_i32 s36, s4, 1
.LBB336_9:
	s_clause 0x3
	s_load_b32 s4, s[0:1], 0x48
	s_load_b64 s[42:43], s[0:1], 0x38
	s_load_b32 s27, s[0:1], 0x98
	s_load_b128 s[28:31], s[0:1], 0x68
	s_mul_i32 s7, s5, s35
	s_xor_b32 s3, s3, s41
	s_sub_co_i32 s2, s2, s7
	s_add_co_i32 s8, s5, 1
	v_lshrrev_b32_e32 v17, 5, v0
	v_mbcnt_lo_u32_b32 v9, -1, 0
	s_mul_i32 s38, s6, s38
	s_mov_b32 s56, exec_lo
	s_delay_alu instid0(VALU_DEP_2)
	v_lshl_add_u32 v18, v17, 4, s51
	s_wait_kmcnt 0x0
	s_mul_i32 s44, s4, s49
	s_wait_alu 0xfffe
	s_sub_co_i32 s4, s2, s35
	s_ashr_i32 s45, s44, 31
	s_cmp_ge_u32 s2, s35
	s_cselect_b32 s5, s8, s5
	s_wait_alu 0xfffe
	s_cselect_b32 s2, s4, s2
	s_add_co_i32 s4, s5, 1
	s_wait_alu 0xfffe
	s_cmp_ge_u32 s2, s35
	s_cselect_b32 s2, s4, s5
	s_add_co_i32 s4, s48, 15
	s_lshl_b32 s55, s33, 5
	s_wait_alu 0xfffe
	s_ashr_i32 s5, s4, 31
	v_or_b32_e32 v19, s55, v17
	s_wait_alu 0xfffe
	s_lshr_b32 s5, s5, 28
	v_mov_b32_e32 v11, 0xff7fffff
	s_wait_alu 0xfffe
	s_add_co_i32 s4, s4, s5
	s_add_co_i32 s5, s55, 32
	s_wait_alu 0xfffe
	s_ashr_i32 s52, s4, 4
	s_xor_b32 s4, s2, s3
	s_min_i32 s46, s5, s52
	v_lshlrev_b32_e32 v8, 2, v19
	v_cmp_le_i32_e64 s2, s46, v19
	s_wait_alu 0xfffe
	s_sub_co_i32 s53, s4, s3
	v_cmpx_gt_i32_e64 s46, v19
	s_cbranch_execz .LBB336_21
; %bb.10:
	s_sub_co_i32 s57, s53, s25
	s_ashr_i32 s39, s38, 31
	s_cmp_neq_f32 s54, 0
	s_load_b64 s[4:5], s[0:1], 0x20
	v_bfe_u32 v10, v0, 1, 4
	v_dual_mov_b32 v21, 0xff7fffff :: v_dual_lshlrev_b32 v2, 2, v16
	s_cselect_b32 vcc_lo, -1, 0
	s_abs_i32 s58, s26
	s_delay_alu instid0(VALU_DEP_2)
	v_lshlrev_b32_e32 v3, 4, v10
	s_cvt_f32_u32 s3, s58
	v_dual_mov_b32 v11, 0xff7fffff :: v_dual_lshlrev_b32 v4, 2, v10
	s_lshl_b64 s[6:7], s[44:45], 2
	s_wait_alu 0xfffe
	v_rcp_iflag_f32_e32 v1, s3
	v_subrev_nc_u32_e32 v5, s48, v10
	v_lshl_or_b32 v6, v17, 6, v4
	s_add_nc_u64 s[6:7], s[42:43], s[6:7]
	s_sub_co_i32 s9, 0, s58
	v_cmp_eq_u32_e64 s3, 0, v16
	v_mul_u32_u24_e32 v12, 0x78, v16
	v_lshl_add_u32 v13, v17, 4, s51
	v_dual_mov_b32 v23, v19 :: v_dual_add_nc_u32 v14, 1, v5
	s_delay_alu instid0(TRANS32_DEP_1)
	v_readfirstlane_b32 s8, v1
	s_wait_kmcnt 0x0
	s_add_nc_u64 s[4:5], s[4:5], s[38:39]
	v_add_nc_u32_e32 v20, 0x110, v6
	s_wait_alu 0xfffe
	v_add_co_u32 v1, s4, s4, v3
	s_mul_f32 s8, s8, 0x4f7ffffe
	s_wait_alu 0xf1ff
	v_add_co_ci_u32_e64 v3, null, s5, 0, s4
	v_add_co_u32 v1, s4, v1, v2
	s_cvt_u32_f32 s5, s8
	s_wait_alu 0xf1ff
	v_add_co_ci_u32_e64 v2, null, 0, v3, s4
	v_add_co_u32 v3, s4, s6, v8
	s_wait_alu 0xfffe
	s_mul_i32 s9, s9, s5
	v_add_co_ci_u32_e64 v4, null, s7, 0, s4
	v_xor_b32_e32 v22, 1, v9
	s_mul_hi_u32 s4, s5, s9
	s_mov_b32 s59, 0
	s_mov_b32 s39, s37
	s_wait_alu 0xfffe
	s_add_co_i32 s60, s5, s4
	s_branch .LBB336_13
.LBB336_11:                             ;   in Loop: Header=BB336_13 Depth=1
	s_wait_alu 0xfffe
	s_or_b32 exec_lo, exec_lo, s5
.LBB336_12:                             ;   in Loop: Header=BB336_13 Depth=1
	s_wait_alu 0xfffe
	s_or_b32 exec_lo, exec_lo, s61
	v_add_nc_u32_e32 v23, 4, v23
	v_add_co_u32 v3, s5, v3, 16
	s_wait_alu 0xf1ff
	v_add_co_ci_u32_e64 v4, null, 0, v4, s5
	s_delay_alu instid0(VALU_DEP_3)
	v_cmp_le_i32_e64 s4, s46, v23
	v_add_nc_u32_e32 v13, 64, v13
	v_add_nc_u32_e32 v20, 0x100, v20
	s_or_b32 s59, s4, s59
	s_wait_alu 0xfffe
	s_and_not1_b32 exec_lo, exec_lo, s59
	s_cbranch_execz .LBB336_20
.LBB336_13:                             ; =>This Inner Loop Header: Depth=1
	v_sub_nc_u32_e32 v5, 0, v13
	s_delay_alu instid0(VALU_DEP_1) | instskip(SKIP_1) | instid1(VALU_DEP_1)
	v_max_i32_e32 v5, v13, v5
	s_wait_dscnt 0x0
	v_mul_hi_u32 v6, v5, s40
	s_delay_alu instid0(VALU_DEP_1) | instskip(NEXT) | instid1(VALU_DEP_1)
	v_mul_lo_u32 v24, v6, s35
	v_sub_nc_u32_e32 v5, v5, v24
	v_add_nc_u32_e32 v24, 1, v6
	s_delay_alu instid0(VALU_DEP_2) | instskip(SKIP_2) | instid1(VALU_DEP_1)
	v_subrev_nc_u32_e32 v25, s35, v5
	v_cmp_le_u32_e64 s4, s35, v5
	s_wait_alu 0xf1ff
	v_cndmask_b32_e64 v6, v6, v24, s4
	s_delay_alu instid0(VALU_DEP_3) | instskip(SKIP_1) | instid1(VALU_DEP_3)
	v_cndmask_b32_e64 v5, v5, v25, s4
	v_ashrrev_i32_e32 v24, 31, v13
	v_add_nc_u32_e32 v25, 1, v6
	s_delay_alu instid0(VALU_DEP_3) | instskip(NEXT) | instid1(VALU_DEP_3)
	v_cmp_le_u32_e64 s4, s35, v5
	v_xor_b32_e32 v24, s41, v24
	s_wait_alu 0xf1ff
	s_delay_alu instid0(VALU_DEP_2) | instskip(NEXT) | instid1(VALU_DEP_1)
	v_cndmask_b32_e64 v5, v6, v25, s4
	v_xor_b32_e32 v5, v5, v24
	s_delay_alu instid0(VALU_DEP_1) | instskip(NEXT) | instid1(VALU_DEP_1)
	v_sub_nc_u32_e32 v5, v5, v24
	v_add_nc_u32_e32 v6, s36, v5
	v_cmp_ge_i32_e64 s5, s57, v5
	s_delay_alu instid0(VALU_DEP_2) | instskip(NEXT) | instid1(VALU_DEP_1)
	v_sub_nc_u32_e32 v24, 0, v6
	v_max_i32_e32 v24, v6, v24
	v_ashrrev_i32_e32 v6, 31, v6
	s_delay_alu instid0(VALU_DEP_2) | instskip(NEXT) | instid1(VALU_DEP_1)
	v_mul_hi_u32 v25, v24, s60
	v_mul_lo_u32 v25, v25, s58
	s_delay_alu instid0(VALU_DEP_1) | instskip(NEXT) | instid1(VALU_DEP_1)
	v_sub_nc_u32_e32 v24, v24, v25
	v_subrev_nc_u32_e32 v25, s58, v24
	v_cmp_le_u32_e64 s4, s58, v24
	s_wait_alu 0xf1ff
	s_delay_alu instid0(VALU_DEP_1) | instskip(NEXT) | instid1(VALU_DEP_1)
	v_cndmask_b32_e64 v24, v24, v25, s4
	v_subrev_nc_u32_e32 v25, s58, v24
	v_cmp_le_u32_e64 s4, s58, v24
	s_wait_alu 0xf1ff
	s_delay_alu instid0(VALU_DEP_1) | instskip(NEXT) | instid1(VALU_DEP_1)
	v_cndmask_b32_e64 v24, v24, v25, s4
	v_xor_b32_e32 v24, v24, v6
	s_delay_alu instid0(VALU_DEP_1) | instskip(NEXT) | instid1(VALU_DEP_1)
	v_sub_nc_u32_e32 v6, v24, v6
	v_cmp_ne_u32_e64 s4, 0, v6
	s_and_b32 s4, s4, s5
	s_wait_alu 0xfffe
	s_and_saveexec_b32 s5, s4
	s_wait_alu 0xfffe
	s_xor_b32 s4, exec_lo, s5
	s_cbranch_execz .LBB336_17
; %bb.14:                               ;   in Loop: Header=BB336_13 Depth=1
	s_and_saveexec_b32 s5, s3
; %bb.15:                               ;   in Loop: Header=BB336_13 Depth=1
	ds_store_b32 v20, v21
; %bb.16:                               ;   in Loop: Header=BB336_13 Depth=1
	s_wait_alu 0xfffe
	s_or_b32 exec_lo, exec_lo, s5
.LBB336_17:                             ;   in Loop: Header=BB336_13 Depth=1
	s_wait_alu 0xfffe
	s_and_not1_saveexec_b32 s61, s4
	s_cbranch_execz .LBB336_12
; %bb.18:                               ;   in Loop: Header=BB336_13 Depth=1
	global_load_b32 v5, v[3:4], off
	s_wait_loadcnt 0x0
	v_mad_co_i64_i32 v[5:6], null, v5, s39, v[1:2]
	s_clause 0xe
	global_load_b32 v24, v[5:6], off offset:8
	global_load_b32 v25, v[5:6], off offset:256
	;; [unrolled: 1-line block ×7, first 2 shown]
	global_load_b32 v33, v[5:6], off
	global_load_b32 v31, v[5:6], off offset:1792
	global_load_b32 v38, v[5:6], off offset:1024
	;; [unrolled: 1-line block ×7, first 2 shown]
	ds_load_2addr_b64 v[58:61], v12 offset1:1
	ds_load_2addr_b64 v[68:71], v12 offset0:2 offset1:3
	ds_load_2addr_b64 v[72:75], v12 offset0:4 offset1:5
	;; [unrolled: 1-line block ×5, first 2 shown]
	s_load_b32 s62, s[28:29], 0x0
	ds_load_2addr_b64 v[107:110], v12 offset0:12 offset1:13
	ds_load_b64 v[5:6], v12 offset:112
	s_wait_dscnt 0x6
	v_and_b32_e32 v81, 0xffff0000, v71
	s_wait_dscnt 0x5
	v_lshlrev_b32_e32 v63, 16, v72
	s_wait_dscnt 0x4
	v_and_b32_e32 v76, 0xffff0000, v97
	s_wait_dscnt 0x3
	v_lshlrev_b32_e32 v48, 16, v99
	;; [unrolled: 4-line block ×3, first 2 shown]
	v_and_b32_e32 v82, 0xffff0000, v72
	v_and_b32_e32 v80, 0xffff0000, v74
	;; [unrolled: 1-line block ×4, first 2 shown]
	v_lshlrev_b32_e32 v55, 16, v110
	v_and_b32_e32 v53, 0xffff0000, v110
	v_lshlrev_b32_e32 v49, 16, v96
	v_and_b32_e32 v78, 0xffff0000, v95
	s_wait_loadcnt 0x9
	v_lshrrev_b32_e32 v111, 24, v29
	s_wait_loadcnt 0x8
	v_bfe_u32 v112, v30, 16, 8
	v_bfe_u32 v110, v29, 8, 8
	s_wait_loadcnt 0x5
	v_lshrrev_b32_e32 v114, 24, v38
	s_wait_loadcnt 0x4
	v_bfe_u32 v115, v37, 16, 8
	v_cvt_f32_fp8_e32 v111, v111
	s_wait_loadcnt 0x2
	v_bfe_u32 v118, v35, 16, 8
	s_wait_loadcnt 0x1
	v_lshrrev_b32_e32 v120, 24, v34
	v_lshlrev_b32_e32 v50, 16, v97
	v_bfe_u32 v97, v24, 8, 8
	s_wait_loadcnt 0x0
	v_bfe_u32 v121, v32, 16, 8
	v_cvt_f32_fp8_e32 v118, v118
	v_and_b32_e32 v39, 0xffff0000, v107
	v_bfe_u32 v107, v31, 16, 8
	v_cvt_f32_fp8_e32 v120, v120
	v_and_b32_e32 v91, 0xffff0000, v58
	v_cvt_f32_fp8_e32 v112, v112
	v_lshlrev_b32_e32 v47, 16, v98
	v_cvt_f32_fp8_e32 v107, v107
	v_lshlrev_b32_e32 v56, 16, v73
	;; [unrolled: 2-line block ×3, first 2 shown]
	v_bfe_u32 v104, v26, 16, 8
	s_wait_kmcnt 0x0
	v_dual_mul_f32 v120, s62, v120 :: v_dual_and_b32 v79, 0xffff0000, v73
	v_and_b32_e32 v73, 0xffff0000, v98
	v_bfe_u32 v98, v33, 8, 8
	v_cvt_f32_fp8_e32 v97, v97
	v_cvt_f32_fp8_e32 v104, v104
	v_lshlrev_b32_e32 v57, 16, v74
	v_and_b32_e32 v74, 0xffff0000, v99
	v_bfe_u32 v99, v24, 16, 8
	v_cvt_f32_fp8_e32 v98, v98
	v_lshlrev_b32_e32 v89, 16, v59
	v_cvt_f32_fp8_e32 v115, v115
	v_lshlrev_b32_e32 v46, 16, v101
	v_and_b32_e32 v101, 0xff, v25
	v_cvt_f32_fp8_e32 v121, v121
	v_and_b32_e32 v84, 0xffff0000, v59
	v_lshlrev_b32_e32 v59, 16, v108
	v_lshrrev_b32_e32 v108, 24, v28
	v_dual_mul_f32 v97, s62, v97 :: v_dual_lshlrev_b32 v88, 16, v68
	v_bfe_u32 v113, v38, 8, 8
	v_cvt_f32_fp8_e32 v99, v99
	v_cvt_f32_fp8_e32 v101, v101
	v_lshlrev_b32_e32 v62, 16, v71
	v_and_b32_e32 v71, 0xffff0000, v100
	v_cvt_f32_fp8_e32 v108, v108
	v_lshlrev_b32_e32 v51, 16, v75
	v_cvt_f32_fp8_e32 v110, v110
	v_lshlrev_b32_e32 v45, 16, v100
	v_bfe_u32 v100, v33, 16, 8
	v_dual_mul_f32 v98, s62, v98 :: v_dual_and_b32 v77, 0xffff0000, v75
	v_and_b32_e32 v75, 0xffff0000, v96
	v_and_b32_e32 v96, 0xff, v24
	v_dual_mul_f32 v99, s62, v99 :: v_dual_lshlrev_b32 v90, 16, v61
	v_and_b32_e32 v85, 0xffff0000, v70
	v_bfe_u32 v116, v36, 8, 8
	s_delay_alu instid0(VALU_DEP_4)
	v_cvt_f32_fp8_e32 v96, v96
	v_cvt_f32_fp8_e32 v100, v100
	v_lshlrev_b32_e32 v67, 16, v70
	v_and_b32_e32 v70, 0xffff0000, v103
	v_cvt_f32_fp8_e32 v113, v113
	v_lshlrev_b32_e32 v44, 16, v103
	v_lshrrev_b32_e32 v103, 24, v25
	v_dual_mul_f32 v96, s62, v96 :: v_dual_lshlrev_b32 v93, 16, v58
	v_and_b32_e32 v83, 0xffff0000, v69
	v_bfe_u32 v119, v34, 8, 8
	s_delay_alu instid0(VALU_DEP_4)
	v_cvt_f32_fp8_e32 v103, v103
	v_lshlrev_b32_e32 v66, 16, v69
	v_and_b32_e32 v69, 0xffff0000, v102
	v_cvt_f32_fp8_e32 v116, v116
	v_lshlrev_b32_e32 v43, 16, v102
	v_bfe_u32 v102, v25, 8, 8
	v_bfe_u32 v25, v25, 16, 8
	v_cvt_f32_fp8_e32 v119, v119
	v_lshlrev_b32_e32 v42, 16, v105
	v_bfe_u32 v122, v96, 16, 1
	v_or_b32_e32 v124, 0x400000, v96
	v_cvt_f32_fp8_e32 v25, v25
	v_and_b32_e32 v86, 0xffff0000, v68
	v_and_b32_e32 v68, 0xffff0000, v105
	v_bfe_u32 v105, v28, 8, 8
	v_add3_u32 v122, v122, v96, 0x7fff
	v_cmp_u_f32_e64 s4, v96, v96
	v_mul_f32_e32 v100, s62, v100
	v_bfe_u32 v126, v97, 16, 1
	v_cvt_f32_fp8_e32 v105, v105
	v_lshlrev_b32_e32 v52, 16, v95
	v_and_b32_e32 v95, 0xff, v33
	s_wait_alu 0xf1ff
	v_cndmask_b32_e64 v96, v122, v124, s4
	v_mul_f32_e32 v101, s62, v101
	v_or_b32_e32 v122, 0x400000, v97
	v_bfe_u32 v124, v98, 16, 1
	v_cvt_f32_fp8_e32 v95, v95
	v_lshlrev_b32_e32 v94, 16, v60
	v_and_b32_e32 v96, 0xffff0000, v96
	v_or_b32_e32 v127, 0x400000, v99
	v_add3_u32 v126, v126, v97, 0x7fff
	v_mul_f32_e32 v95, s62, v95
	s_delay_alu instid0(VALU_DEP_4) | instskip(SKIP_2) | instid1(VALU_DEP_4)
	v_dual_mul_f32 v94, v94, v96 :: v_dual_and_b32 v87, 0xffff0000, v61
	v_bfe_u32 v96, v100, 16, 1
	v_cmp_u_f32_e64 s6, v99, v99
	v_bfe_u32 v123, v95, 16, 1
	v_or_b32_e32 v125, 0x400000, v95
	v_cmp_u_f32_e64 s4, v95, v95
	v_lshrrev_b32_e32 v117, 24, v36
	v_cvt_f32_fp8_e32 v102, v102
	v_add3_u32 v123, v123, v95, 0x7fff
	v_or_b32_e32 v128, 0x400000, v100
	v_bfe_u32 v129, v101, 16, 1
	v_add3_u32 v124, v124, v98, 0x7fff
	v_cmp_u_f32_e64 s5, v98, v98
	s_wait_alu 0xf1ff
	v_cndmask_b32_e64 v95, v123, v125, s4
	v_bfe_u32 v125, v99, 16, 1
	v_cmp_u_f32_e64 s4, v97, v97
	v_or_b32_e32 v123, 0x400000, v98
	v_add3_u32 v96, v96, v100, 0x7fff
	v_cmp_u_f32_e64 s7, v100, v100
	v_add3_u32 v125, v125, v99, 0x7fff
	s_wait_alu 0xf1ff
	v_cndmask_b32_e64 v122, v126, v122, s4
	v_lshrrev_b32_e32 v33, 24, v33
	v_and_b32_e32 v58, 0xffff0000, v106
	v_cvt_f32_fp8_e32 v117, v117
	v_cndmask_b32_e64 v125, v125, v127, s6
	v_lshlrev_b32_e32 v40, 16, v106
	v_bfe_u32 v106, v27, 8, 8
	v_dual_mul_f32 v102, s62, v102 :: v_dual_and_b32 v95, 0xffff0000, v95
	v_or_b32_e32 v130, 0x400000, v101
	v_add3_u32 v129, v129, v101, 0x7fff
	v_cmp_u_f32_e64 s8, v101, v101
	v_cndmask_b32_e64 v123, v124, v123, s5
	v_cndmask_b32_e64 v96, v96, v128, s7
	v_and_b32_e32 v122, 0xffff0000, v122
	v_and_b32_e32 v125, 0xffff0000, v125
	v_cvt_f32_fp8_e32 v33, v33
	v_and_b32_e32 v92, 0xffff0000, v60
	v_cvt_f32_fp8_e32 v106, v106
	v_dual_mul_f32 v103, s62, v103 :: v_dual_mul_f32 v104, s62, v104
	v_mul_f32_e32 v108, s62, v108
	v_mul_f32_e32 v112, s62, v112
	v_mul_f32_e32 v114, s62, v114
	v_fmac_f32_e32 v94, v93, v95
	v_bfe_u32 v93, v102, 16, 1
	s_wait_alu 0xf1ff
	v_cndmask_b32_e64 v129, v129, v130, s8
	v_dual_mul_f32 v90, v90, v125 :: v_dual_and_b32 v123, 0xffff0000, v123
	v_dual_mul_f32 v33, s62, v33 :: v_dual_and_b32 v96, 0xffff0000, v96
	v_mul_f32_e32 v92, v92, v122
	v_lshlrev_b32_e32 v60, 16, v109
	v_and_b32_e32 v61, 0xffff0000, v109
	v_lshrrev_b32_e32 v109, 24, v31
	v_dual_mul_f32 v105, s62, v105 :: v_dual_mul_f32 v106, s62, v106
	v_dual_mul_f32 v110, s62, v110 :: v_dual_mul_f32 v113, s62, v113
	;; [unrolled: 1-line block ×4, first 2 shown]
	v_or_b32_e32 v95, 0x400000, v102
	v_bfe_u32 v97, v103, 16, 1
	v_bfe_u32 v99, v104, 16, 1
	;; [unrolled: 1-line block ×3, first 2 shown]
	v_dual_fmac_f32 v92, v91, v123 :: v_dual_and_b32 v123, 0xffff0000, v129
	v_fmac_f32_e32 v90, v89, v96
	v_bfe_u32 v89, v112, 16, 1
	v_add3_u32 v93, v93, v102, 0x7fff
	v_cmp_u_f32_e64 s18, v102, v102
	v_bfe_u32 v102, v114, 16, 1
	v_cvt_f32_fp8_e32 v109, v109
	v_mul_f32_e32 v107, s62, v107
	v_mul_f32_e32 v111, s62, v111
	;; [unrolled: 1-line block ×4, first 2 shown]
	v_or_b32_e32 v98, 0x400000, v103
	v_or_b32_e32 v100, 0x400000, v104
	v_bfe_u32 v101, v105, 16, 1
	v_or_b32_e32 v127, 0x400000, v108
	v_bfe_u32 v128, v106, 16, 1
	v_bfe_u32 v122, v110, 16, 1
	v_or_b32_e32 v96, 0x400000, v112
	v_fmac_f32_e32 v94, v88, v123
	v_bfe_u32 v88, v113, 16, 1
	v_add3_u32 v97, v97, v103, 0x7fff
	v_cmp_u_f32_e64 s19, v103, v103
	v_or_b32_e32 v103, 0x400000, v114
	v_add3_u32 v99, v99, v104, 0x7fff
	v_cmp_u_f32_e64 s20, v104, v104
	v_bfe_u32 v104, v115, 16, 1
	v_add3_u32 v124, v124, v108, 0x7fff
	v_cmp_u_f32_e64 s22, v108, v108
	v_bfe_u32 v108, v116, 16, 1
	;; [unrolled: 3-line block ×4, first 2 shown]
	v_lshrrev_b32_e32 v24, 24, v24
	v_mul_f32_e32 v109, s62, v109
	v_or_b32_e32 v126, 0x400000, v105
	v_or_b32_e32 v130, 0x400000, v106
	;; [unrolled: 1-line block ×3, first 2 shown]
	v_bfe_u32 v91, v111, 16, 1
	v_or_b32_e32 v123, 0x400000, v113
	v_add3_u32 v101, v101, v105, 0x7fff
	v_cmp_u_f32_e64 s21, v105, v105
	v_or_b32_e32 v105, 0x400000, v115
	v_add3_u32 v128, v128, v106, 0x7fff
	v_cmp_u_f32_e64 s23, v106, v106
	;; [unrolled: 3-line block ×3, first 2 shown]
	v_bfe_u32 v110, v117, 16, 1
	v_add3_u32 v88, v88, v113, 0x7fff
	v_cmp_u_f32_e64 s14, v113, v113
	v_or_b32_e32 v113, 0x400000, v118
	v_add3_u32 v104, v104, v115, 0x7fff
	v_cmp_u_f32_e64 s12, v115, v115
	v_or_b32_e32 v115, 0x400000, v119
	v_add3_u32 v108, v108, v116, 0x7fff
	v_cmp_u_f32_e64 s11, v116, v116
	v_bfe_u32 v116, v120, 16, 1
	v_add3_u32 v112, v112, v118, 0x7fff
	v_cmp_u_f32_e64 s8, v118, v118
	v_bfe_u32 v118, v121, 16, 1
	;; [unrolled: 3-line block ×3, first 2 shown]
	v_cvt_f32_fp8_e32 v24, v24
	v_or_b32_e32 v129, 0x400000, v111
	v_add3_u32 v91, v91, v111, 0x7fff
	v_cmp_u_f32_e64 s16, v111, v111
	v_or_b32_e32 v111, 0x400000, v117
	v_add3_u32 v110, v110, v117, 0x7fff
	v_cmp_u_f32_e64 s10, v117, v117
	;; [unrolled: 3-line block ×5, first 2 shown]
	v_bfe_u32 v107, v109, 16, 1
	v_mul_f32_e32 v24, s62, v24
	v_or_b32_e32 v131, 0x400000, v109
	v_cmp_u_f32_e64 s5, v109, v109
	v_mul_f32_e32 v25, s62, v25
	v_add3_u32 v107, v107, v109, 0x7fff
	v_bfe_u32 v109, v24, 16, 1
	v_or_b32_e32 v132, 0x400000, v24
	v_cmp_u_f32_e64 s24, v24, v24
	s_wait_alu 0xf1ff
	v_cndmask_b32_e64 v93, v93, v95, s18
	v_bfe_u32 v95, v25, 16, 1
	v_add3_u32 v109, v109, v24, 0x7fff
	v_cmp_u_f32_e64 s18, v25, v25
	v_cndmask_b32_e64 v97, v97, v98, s19
	v_cndmask_b32_e64 v99, v99, v100, s20
	v_add3_u32 v95, v95, v25, 0x7fff
	v_cndmask_b32_e64 v24, v109, v132, s24
	v_bfe_u32 v109, v33, 16, 1
	v_or_b32_e32 v132, 0x400000, v33
	v_cmp_u_f32_e64 s24, v33, v33
	v_cndmask_b32_e64 v101, v101, v126, s21
	v_and_b32_e32 v24, 0xffff0000, v24
	v_add3_u32 v109, v109, v33, 0x7fff
	v_cndmask_b32_e64 v124, v124, v127, s22
	v_cndmask_b32_e64 v122, v122, v125, s17
	;; [unrolled: 1-line block ×3, first 2 shown]
	v_mul_f32_e32 v24, v87, v24
	s_wait_alu 0xf1ff
	v_cndmask_b32_e64 v33, v109, v132, s24
	v_or_b32_e32 v109, 0x400000, v25
	v_cndmask_b32_e64 v89, v89, v96, s15
	v_cndmask_b32_e64 v88, v88, v123, s14
	;; [unrolled: 1-line block ×5, first 2 shown]
	v_and_b32_e32 v95, 0xff, v26
	v_cndmask_b32_e64 v106, v108, v106, s11
	v_cndmask_b32_e64 v110, v110, v111, s10
	;; [unrolled: 1-line block ×3, first 2 shown]
	v_and_b32_e32 v122, 0xffff0000, v122
	v_cvt_f32_fp8_e32 v95, v95
	v_cndmask_b32_e64 v114, v114, v115, s7
	v_cndmask_b32_e64 v116, v116, v117, s9
	;; [unrolled: 1-line block ×3, first 2 shown]
	s_delay_alu instid0(VALU_DEP_4)
	v_dual_mul_f32 v95, s62, v95 :: v_dual_and_b32 v124, 0xffff0000, v124
	v_and_b32_e32 v97, 0xffff0000, v97
	v_cndmask_b32_e64 v118, v118, v120, s6
	v_and_b32_e32 v88, 0xffff0000, v88
	v_and_b32_e32 v106, 0xffff0000, v106
	v_bfe_u32 v98, v95, 16, 1
	v_or_b32_e32 v109, 0x400000, v95
	v_cmp_u_f32_e64 s18, v95, v95
	v_and_b32_e32 v102, 0xffff0000, v102
	v_and_b32_e32 v104, 0xffff0000, v104
	v_add3_u32 v98, v98, v95, 0x7fff
	v_and_b32_e32 v110, 0xffff0000, v110
	v_and_b32_e32 v112, 0xffff0000, v112
	v_cndmask_b32_e64 v107, v107, v131, s5
	v_cmp_gt_i32_e64 s4, 32, v22
	s_wait_alu 0xf1ff
	v_cndmask_b32_e64 v95, v98, v109, s18
	v_bfe_u32 v98, v26, 8, 8
	v_lshrrev_b32_e32 v26, 24, v26
	s_delay_alu instid0(VALU_DEP_2) | instskip(NEXT) | instid1(VALU_DEP_2)
	v_cvt_f32_fp8_e32 v98, v98
	v_cvt_f32_fp8_e32 v26, v26
	s_delay_alu instid0(VALU_DEP_2) | instskip(NEXT) | instid1(VALU_DEP_2)
	v_mul_f32_e32 v98, s62, v98
	v_mul_f32_e32 v26, s62, v26
	s_delay_alu instid0(VALU_DEP_2) | instskip(SKIP_2) | instid1(VALU_DEP_4)
	v_bfe_u32 v109, v98, 16, 1
	v_or_b32_e32 v132, 0x400000, v98
	v_cmp_u_f32_e64 s18, v98, v98
	v_bfe_u32 v100, v26, 16, 1
	s_delay_alu instid0(VALU_DEP_4) | instskip(NEXT) | instid1(VALU_DEP_2)
	v_add3_u32 v109, v109, v98, 0x7fff
	v_add3_u32 v100, v100, v26, 0x7fff
	s_wait_alu 0xf1ff
	s_delay_alu instid0(VALU_DEP_2) | instskip(SKIP_2) | instid1(VALU_DEP_3)
	v_cndmask_b32_e64 v98, v109, v132, s18
	v_or_b32_e32 v109, 0x400000, v26
	v_cmp_u_f32_e64 s18, v26, v26
	v_and_b32_e32 v98, 0xffff0000, v98
	s_wait_alu 0xf1ff
	s_delay_alu instid0(VALU_DEP_2) | instskip(SKIP_2) | instid1(VALU_DEP_3)
	v_cndmask_b32_e64 v26, v100, v109, s18
	v_and_b32_e32 v100, 0xff, v28
	v_bfe_u32 v28, v28, 16, 8
	v_and_b32_e32 v26, 0xffff0000, v26
	s_delay_alu instid0(VALU_DEP_3) | instskip(NEXT) | instid1(VALU_DEP_3)
	v_cvt_f32_fp8_e32 v100, v100
	v_cvt_f32_fp8_e32 v28, v28
	s_delay_alu instid0(VALU_DEP_2) | instskip(NEXT) | instid1(VALU_DEP_2)
	v_dual_mul_f32 v100, s62, v100 :: v_dual_and_b32 v33, 0xffff0000, v33
	v_mul_f32_e32 v28, s62, v28
	s_wait_dscnt 0x0
	s_delay_alu instid0(VALU_DEP_2) | instskip(NEXT) | instid1(VALU_DEP_3)
	v_dual_fmac_f32 v24, v84, v33 :: v_dual_lshlrev_b32 v87, 16, v6
	v_bfe_u32 v109, v100, 16, 1
	v_or_b32_e32 v132, 0x400000, v100
	v_cmp_u_f32_e64 s18, v100, v100
	v_or_b32_e32 v126, 0x400000, v28
	v_fmac_f32_e32 v24, v83, v97
	v_add3_u32 v109, v109, v100, 0x7fff
	s_delay_alu instid0(VALU_DEP_2) | instskip(SKIP_1) | instid1(VALU_DEP_2)
	v_fmac_f32_e32 v24, v81, v26
	s_wait_alu 0xf1ff
	v_cndmask_b32_e64 v100, v109, v132, s18
	v_bfe_u32 v109, v28, 16, 1
	v_cmp_u_f32_e64 s18, v28, v28
	v_and_b32_e32 v26, 0xffff0000, v114
	v_fmac_f32_e32 v24, v79, v124
	v_and_b32_e32 v100, 0xffff0000, v100
	v_add3_u32 v109, v109, v28, 0x7fff
	s_wait_alu 0xf1ff
	s_delay_alu instid0(VALU_DEP_1) | instskip(SKIP_1) | instid1(VALU_DEP_2)
	v_cndmask_b32_e64 v28, v109, v126, s18
	v_and_b32_e32 v109, 0xff, v27
	v_and_b32_e32 v28, 0xffff0000, v28
	s_delay_alu instid0(VALU_DEP_2) | instskip(SKIP_1) | instid1(VALU_DEP_2)
	v_cvt_f32_fp8_e32 v109, v109
	v_and_b32_e32 v93, 0xffff0000, v93
	v_mul_f32_e32 v109, s62, v109
	s_delay_alu instid0(VALU_DEP_2) | instskip(NEXT) | instid1(VALU_DEP_2)
	v_fmac_f32_e32 v92, v86, v93
	v_bfe_u32 v126, v109, 16, 1
	v_or_b32_e32 v127, 0x400000, v109
	v_cmp_u_f32_e64 s18, v109, v109
	s_delay_alu instid0(VALU_DEP_4) | instskip(NEXT) | instid1(VALU_DEP_4)
	v_fmac_f32_e32 v92, v85, v98
	v_add3_u32 v126, v126, v109, 0x7fff
	s_wait_alu 0xf1ff
	s_delay_alu instid0(VALU_DEP_1) | instskip(SKIP_3) | instid1(VALU_DEP_3)
	v_cndmask_b32_e64 v109, v126, v127, s18
	v_bfe_u32 v126, v27, 16, 8
	v_cndmask_b32_e64 v127, v128, v130, s23
	v_lshrrev_b32_e32 v27, 24, v27
	v_cvt_f32_fp8_e32 v126, v126
	s_delay_alu instid0(VALU_DEP_2) | instskip(NEXT) | instid1(VALU_DEP_1)
	v_cvt_f32_fp8_e32 v27, v27
	v_dual_mul_f32 v126, s62, v126 :: v_dual_mul_f32 v27, s62, v27
	s_delay_alu instid0(VALU_DEP_1) | instskip(SKIP_2) | instid1(VALU_DEP_3)
	v_bfe_u32 v128, v126, 16, 1
	v_or_b32_e32 v130, 0x400000, v126
	v_cmp_u_f32_e64 s18, v126, v126
	v_add3_u32 v128, v128, v126, 0x7fff
	s_wait_alu 0xf1ff
	s_delay_alu instid0(VALU_DEP_1) | instskip(SKIP_2) | instid1(VALU_DEP_3)
	v_cndmask_b32_e64 v126, v128, v130, s18
	v_and_b32_e32 v128, 0xff, v29
	v_bfe_u32 v29, v29, 16, 8
	v_and_b32_e32 v126, 0xffff0000, v126
	s_delay_alu instid0(VALU_DEP_3) | instskip(NEXT) | instid1(VALU_DEP_3)
	v_cvt_f32_fp8_e32 v128, v128
	v_cvt_f32_fp8_e32 v29, v29
	v_and_b32_e32 v101, 0xffff0000, v101
	s_delay_alu instid0(VALU_DEP_3) | instskip(NEXT) | instid1(VALU_DEP_3)
	v_dual_mul_f32 v128, s62, v128 :: v_dual_and_b32 v95, 0xffff0000, v95
	v_mul_f32_e32 v29, s62, v29
	v_and_b32_e32 v127, 0xffff0000, v127
	s_delay_alu instid0(VALU_DEP_3) | instskip(NEXT) | instid1(VALU_DEP_4)
	v_dual_fmac_f32 v94, v67, v95 :: v_dual_and_b32 v25, 0xffff0000, v25
	v_bfe_u32 v130, v128, 16, 1
	v_or_b32_e32 v132, 0x400000, v128
	v_cmp_u_f32_e64 s18, v128, v128
	v_bfe_u32 v125, v29, 16, 1
	v_cmp_u_f32_e64 s17, v29, v29
	v_add3_u32 v130, v130, v128, 0x7fff
	v_fmac_f32_e32 v90, v66, v25
	v_fmac_f32_e32 v94, v63, v100
	v_add3_u32 v125, v125, v29, 0x7fff
	s_wait_alu 0xf1ff
	v_cndmask_b32_e64 v128, v130, v132, s18
	v_bfe_u32 v130, v27, 16, 1
	v_or_b32_e32 v132, 0x400000, v27
	v_cmp_u_f32_e64 s18, v27, v27
	s_delay_alu instid0(VALU_DEP_4) | instskip(NEXT) | instid1(VALU_DEP_4)
	v_and_b32_e32 v128, 0xffff0000, v128
	v_add3_u32 v130, v130, v27, 0x7fff
	v_and_b32_e32 v109, 0xffff0000, v109
	v_and_b32_e32 v99, 0xffff0000, v99
	v_lshlrev_b32_e32 v121, 16, v5
	v_and_b32_e32 v5, 0xffff0000, v5
	s_wait_alu 0xf1ff
	v_cndmask_b32_e64 v27, v130, v132, s18
	v_or_b32_e32 v130, 0x400000, v29
	v_fmac_f32_e32 v94, v57, v109
	v_fmac_f32_e32 v90, v62, v99
	s_delay_alu instid0(VALU_DEP_3) | instskip(NEXT) | instid1(VALU_DEP_2)
	v_cndmask_b32_e64 v29, v125, v130, s17
	v_dual_fmac_f32 v90, v56, v28 :: v_dual_and_b32 v125, 0xff, v30
	s_delay_alu instid0(VALU_DEP_2) | instskip(NEXT) | instid1(VALU_DEP_2)
	v_dual_fmac_f32 v94, v52, v128 :: v_dual_and_b32 v29, 0xffff0000, v29
	v_cvt_f32_fp8_e32 v125, v125
	s_delay_alu instid0(VALU_DEP_3) | instskip(SKIP_1) | instid1(VALU_DEP_3)
	v_dual_fmac_f32 v90, v51, v126 :: v_dual_and_b32 v27, 0xffff0000, v27
	v_fmac_f32_e32 v92, v82, v101
	v_mul_f32_e32 v125, s62, v125
	s_delay_alu instid0(VALU_DEP_3) | instskip(NEXT) | instid1(VALU_DEP_4)
	v_fmac_f32_e32 v90, v49, v29
	v_fmac_f32_e32 v24, v77, v27
	s_delay_alu instid0(VALU_DEP_4) | instskip(NEXT) | instid1(VALU_DEP_4)
	v_fmac_f32_e32 v92, v80, v127
	v_bfe_u32 v129, v125, 16, 1
	v_or_b32_e32 v130, 0x400000, v125
	v_cmp_u_f32_e64 s16, v125, v125
	s_delay_alu instid0(VALU_DEP_4) | instskip(NEXT) | instid1(VALU_DEP_4)
	v_fmac_f32_e32 v92, v78, v122
	v_add3_u32 v129, v129, v125, 0x7fff
	s_wait_alu 0xf1ff
	s_delay_alu instid0(VALU_DEP_1) | instskip(SKIP_2) | instid1(VALU_DEP_3)
	v_cndmask_b32_e64 v125, v129, v130, s16
	v_bfe_u32 v129, v30, 8, 8
	v_lshrrev_b32_e32 v30, 24, v30
	v_and_b32_e32 v125, 0xffff0000, v125
	s_delay_alu instid0(VALU_DEP_3) | instskip(NEXT) | instid1(VALU_DEP_3)
	v_cvt_f32_fp8_e32 v129, v129
	v_cvt_f32_fp8_e32 v30, v30
	s_delay_alu instid0(VALU_DEP_3) | instskip(NEXT) | instid1(VALU_DEP_2)
	v_dual_fmac_f32 v94, v50, v125 :: v_dual_and_b32 v91, 0xffff0000, v91
	v_dual_mul_f32 v129, s62, v129 :: v_dual_mul_f32 v30, s62, v30
	s_delay_alu instid0(VALU_DEP_2) | instskip(NEXT) | instid1(VALU_DEP_2)
	v_fmac_f32_e32 v24, v75, v91
	v_bfe_u32 v130, v129, 16, 1
	v_or_b32_e32 v132, 0x400000, v129
	v_cmp_u_f32_e64 s16, v129, v129
	v_bfe_u32 v96, v30, 16, 1
	v_cmp_u_f32_e64 s15, v30, v30
	v_add3_u32 v130, v130, v129, 0x7fff
	s_delay_alu instid0(VALU_DEP_3) | instskip(SKIP_1) | instid1(VALU_DEP_2)
	v_add3_u32 v96, v96, v30, 0x7fff
	s_wait_alu 0xf1ff
	v_cndmask_b32_e64 v129, v130, v132, s16
	v_or_b32_e32 v130, 0x400000, v30
	s_delay_alu instid0(VALU_DEP_1) | instskip(SKIP_2) | instid1(VALU_DEP_3)
	v_cndmask_b32_e64 v30, v96, v130, s15
	v_and_b32_e32 v96, 0xff, v38
	v_bfe_u32 v38, v38, 16, 8
	v_and_b32_e32 v30, 0xffff0000, v30
	s_delay_alu instid0(VALU_DEP_3) | instskip(NEXT) | instid1(VALU_DEP_3)
	v_cvt_f32_fp8_e32 v96, v96
	v_cvt_f32_fp8_e32 v38, v38
	s_delay_alu instid0(VALU_DEP_3) | instskip(NEXT) | instid1(VALU_DEP_3)
	v_fmac_f32_e32 v24, v73, v30
	v_mul_f32_e32 v96, s62, v96
	s_delay_alu instid0(VALU_DEP_3) | instskip(NEXT) | instid1(VALU_DEP_3)
	v_mul_f32_e32 v38, s62, v38
	v_fmac_f32_e32 v24, v71, v102
	s_delay_alu instid0(VALU_DEP_3)
	v_bfe_u32 v130, v96, 16, 1
	v_or_b32_e32 v132, 0x400000, v96
	v_cmp_u_f32_e64 s15, v96, v96
	v_bfe_u32 v123, v38, 16, 1
	v_cmp_u_f32_e64 s14, v38, v38
	v_add3_u32 v130, v130, v96, 0x7fff
	s_delay_alu instid0(VALU_DEP_3) | instskip(SKIP_1) | instid1(VALU_DEP_2)
	v_add3_u32 v123, v123, v38, 0x7fff
	s_wait_alu 0xf1ff
	v_cndmask_b32_e64 v96, v130, v132, s15
	v_or_b32_e32 v130, 0x400000, v38
	s_delay_alu instid0(VALU_DEP_2) | instskip(NEXT) | instid1(VALU_DEP_2)
	v_and_b32_e32 v96, 0xffff0000, v96
	v_cndmask_b32_e64 v38, v123, v130, s14
	v_and_b32_e32 v123, 0xff, v37
	s_delay_alu instid0(VALU_DEP_3) | instskip(NEXT) | instid1(VALU_DEP_3)
	v_dual_fmac_f32 v94, v48, v96 :: v_dual_and_b32 v129, 0xffff0000, v129
	v_and_b32_e32 v38, 0xffff0000, v38
	s_delay_alu instid0(VALU_DEP_3) | instskip(NEXT) | instid1(VALU_DEP_3)
	v_cvt_f32_fp8_e32 v123, v123
	v_fmac_f32_e32 v92, v76, v129
	v_and_b32_e32 v89, 0xffff0000, v89
	s_delay_alu instid0(VALU_DEP_2) | instskip(NEXT) | instid1(VALU_DEP_2)
	v_dual_mul_f32 v123, s62, v123 :: v_dual_fmac_f32 v92, v74, v88
	v_fmac_f32_e32 v90, v47, v89
	s_delay_alu instid0(VALU_DEP_2) | instskip(SKIP_2) | instid1(VALU_DEP_4)
	v_bfe_u32 v103, v123, 16, 1
	v_or_b32_e32 v130, 0x400000, v123
	v_cmp_u_f32_e64 s13, v123, v123
	v_fmac_f32_e32 v90, v45, v38
	s_delay_alu instid0(VALU_DEP_4) | instskip(SKIP_2) | instid1(VALU_DEP_4)
	v_add3_u32 v103, v103, v123, 0x7fff
	v_bfe_u32 v123, v37, 8, 8
	v_lshrrev_b32_e32 v37, 24, v37
	v_fmac_f32_e32 v90, v43, v104
	s_wait_alu 0xf1ff
	v_cndmask_b32_e64 v103, v103, v130, s13
	v_cvt_f32_fp8_e32 v123, v123
	v_cvt_f32_fp8_e32 v37, v37
	s_delay_alu instid0(VALU_DEP_3) | instskip(NEXT) | instid1(VALU_DEP_3)
	v_and_b32_e32 v103, 0xffff0000, v103
	v_mul_f32_e32 v123, s62, v123
	s_delay_alu instid0(VALU_DEP_2) | instskip(NEXT) | instid1(VALU_DEP_2)
	v_dual_mul_f32 v37, s62, v37 :: v_dual_fmac_f32 v94, v46, v103
	v_bfe_u32 v130, v123, 16, 1
	v_or_b32_e32 v132, 0x400000, v123
	v_cmp_u_f32_e64 s13, v123, v123
	s_delay_alu instid0(VALU_DEP_4) | instskip(SKIP_2) | instid1(VALU_DEP_3)
	v_bfe_u32 v105, v37, 16, 1
	v_cmp_u_f32_e64 s12, v37, v37
	v_add3_u32 v130, v130, v123, 0x7fff
	v_add3_u32 v105, v105, v37, 0x7fff
	s_wait_alu 0xf1ff
	s_delay_alu instid0(VALU_DEP_2) | instskip(SKIP_1) | instid1(VALU_DEP_2)
	v_cndmask_b32_e64 v123, v130, v132, s13
	v_or_b32_e32 v130, 0x400000, v37
	v_and_b32_e32 v123, 0xffff0000, v123
	s_delay_alu instid0(VALU_DEP_2) | instskip(SKIP_2) | instid1(VALU_DEP_4)
	v_cndmask_b32_e64 v37, v105, v130, s12
	v_and_b32_e32 v105, 0xff, v36
	v_bfe_u32 v36, v36, 16, 8
	v_dual_fmac_f32 v92, v72, v123 :: v_dual_and_b32 v27, 0xffff0000, v116
	s_delay_alu instid0(VALU_DEP_4) | instskip(NEXT) | instid1(VALU_DEP_4)
	v_and_b32_e32 v37, 0xffff0000, v37
	v_cvt_f32_fp8_e32 v105, v105
	s_delay_alu instid0(VALU_DEP_4) | instskip(NEXT) | instid1(VALU_DEP_1)
	v_cvt_f32_fp8_e32 v36, v36
	v_dual_mul_f32 v105, s62, v105 :: v_dual_mul_f32 v36, s62, v36
	s_delay_alu instid0(VALU_DEP_1) | instskip(SKIP_2) | instid1(VALU_DEP_4)
	v_bfe_u32 v130, v105, 16, 1
	v_or_b32_e32 v132, 0x400000, v105
	v_cmp_u_f32_e64 s12, v105, v105
	v_bfe_u32 v108, v36, 16, 1
	v_cmp_u_f32_e64 s11, v36, v36
	v_add3_u32 v130, v130, v105, 0x7fff
	s_delay_alu instid0(VALU_DEP_3) | instskip(SKIP_1) | instid1(VALU_DEP_2)
	v_add3_u32 v108, v108, v36, 0x7fff
	s_wait_alu 0xf1ff
	v_cndmask_b32_e64 v105, v130, v132, s12
	v_or_b32_e32 v130, 0x400000, v36
	s_delay_alu instid0(VALU_DEP_2) | instskip(NEXT) | instid1(VALU_DEP_2)
	v_and_b32_e32 v105, 0xffff0000, v105
	v_cndmask_b32_e64 v36, v108, v130, s11
	v_and_b32_e32 v108, 0xff, v35
	s_delay_alu instid0(VALU_DEP_3) | instskip(NEXT) | instid1(VALU_DEP_3)
	v_fmac_f32_e32 v94, v44, v105
	v_and_b32_e32 v36, 0xffff0000, v36
	s_delay_alu instid0(VALU_DEP_3) | instskip(NEXT) | instid1(VALU_DEP_2)
	v_cvt_f32_fp8_e32 v108, v108
	v_fmac_f32_e32 v90, v41, v36
	s_delay_alu instid0(VALU_DEP_2) | instskip(NEXT) | instid1(VALU_DEP_1)
	v_mul_f32_e32 v108, s62, v108
	v_bfe_u32 v111, v108, 16, 1
	v_or_b32_e32 v130, 0x400000, v108
	v_cmp_u_f32_e64 s10, v108, v108
	s_delay_alu instid0(VALU_DEP_3) | instskip(SKIP_1) | instid1(VALU_DEP_1)
	v_add3_u32 v111, v111, v108, 0x7fff
	s_wait_alu 0xf1ff
	v_cndmask_b32_e64 v108, v111, v130, s10
	v_bfe_u32 v111, v35, 8, 8
	v_lshrrev_b32_e32 v35, 24, v35
	s_delay_alu instid0(VALU_DEP_3) | instskip(NEXT) | instid1(VALU_DEP_3)
	v_and_b32_e32 v108, 0xffff0000, v108
	v_cvt_f32_fp8_e32 v111, v111
	s_delay_alu instid0(VALU_DEP_3) | instskip(NEXT) | instid1(VALU_DEP_2)
	v_cvt_f32_fp8_e32 v35, v35
	v_dual_fmac_f32 v94, v42, v108 :: v_dual_mul_f32 v111, s62, v111
	s_delay_alu instid0(VALU_DEP_2) | instskip(NEXT) | instid1(VALU_DEP_2)
	v_mul_f32_e32 v35, s62, v35
	v_bfe_u32 v130, v111, 16, 1
	v_or_b32_e32 v132, 0x400000, v111
	v_cmp_u_f32_e64 s10, v111, v111
	s_delay_alu instid0(VALU_DEP_4) | instskip(SKIP_2) | instid1(VALU_DEP_3)
	v_bfe_u32 v113, v35, 16, 1
	v_cmp_u_f32_e64 s8, v35, v35
	v_add3_u32 v130, v130, v111, 0x7fff
	v_add3_u32 v113, v113, v35, 0x7fff
	s_wait_alu 0xf1ff
	s_delay_alu instid0(VALU_DEP_2) | instskip(SKIP_1) | instid1(VALU_DEP_2)
	v_cndmask_b32_e64 v111, v130, v132, s10
	v_or_b32_e32 v130, 0x400000, v35
	v_and_b32_e32 v111, 0xffff0000, v111
	s_delay_alu instid0(VALU_DEP_2) | instskip(SKIP_2) | instid1(VALU_DEP_3)
	v_cndmask_b32_e64 v35, v113, v130, s8
	v_and_b32_e32 v113, 0xff, v34
	v_bfe_u32 v34, v34, 16, 8
	v_and_b32_e32 v33, 0xffff0000, v35
	s_delay_alu instid0(VALU_DEP_3) | instskip(NEXT) | instid1(VALU_DEP_3)
	v_cvt_f32_fp8_e32 v113, v113
	v_cvt_f32_fp8_e32 v34, v34
	s_delay_alu instid0(VALU_DEP_1) | instskip(NEXT) | instid1(VALU_DEP_1)
	v_dual_mul_f32 v113, s62, v113 :: v_dual_mul_f32 v34, s62, v34
	v_bfe_u32 v130, v113, 16, 1
	v_or_b32_e32 v132, 0x400000, v113
	v_cmp_u_f32_e64 s8, v113, v113
	s_delay_alu instid0(VALU_DEP_4) | instskip(SKIP_2) | instid1(VALU_DEP_3)
	v_bfe_u32 v115, v34, 16, 1
	v_cmp_u_f32_e64 s7, v34, v34
	v_add3_u32 v130, v130, v113, 0x7fff
	v_add3_u32 v115, v115, v34, 0x7fff
	s_wait_alu 0xf1ff
	s_delay_alu instid0(VALU_DEP_2) | instskip(SKIP_1) | instid1(VALU_DEP_2)
	v_cndmask_b32_e64 v113, v130, v132, s8
	v_or_b32_e32 v130, 0x400000, v34
	v_and_b32_e32 v25, 0xffff0000, v113
	s_delay_alu instid0(VALU_DEP_2) | instskip(NEXT) | instid1(VALU_DEP_2)
	v_cndmask_b32_e64 v34, v115, v130, s7
	v_dual_fmac_f32 v94, v65, v25 :: v_dual_and_b32 v115, 0xff, v32
	s_delay_alu instid0(VALU_DEP_2) | instskip(NEXT) | instid1(VALU_DEP_2)
	v_and_b32_e32 v28, 0xffff0000, v34
	v_cvt_f32_fp8_e32 v115, v115
	s_delay_alu instid0(VALU_DEP_1) | instskip(NEXT) | instid1(VALU_DEP_1)
	v_dual_mul_f32 v115, s62, v115 :: v_dual_and_b32 v34, 0xffff0000, v118
	v_bfe_u32 v117, v115, 16, 1
	v_or_b32_e32 v130, 0x400000, v115
	v_cmp_u_f32_e64 s7, v115, v115
	s_delay_alu instid0(VALU_DEP_3) | instskip(SKIP_1) | instid1(VALU_DEP_1)
	v_add3_u32 v117, v117, v115, 0x7fff
	s_wait_alu 0xf1ff
	v_cndmask_b32_e64 v115, v117, v130, s7
	v_bfe_u32 v117, v32, 8, 8
	v_lshrrev_b32_e32 v32, 24, v32
	s_delay_alu instid0(VALU_DEP_3) | instskip(NEXT) | instid1(VALU_DEP_3)
	v_and_b32_e32 v29, 0xffff0000, v115
	v_cvt_f32_fp8_e32 v117, v117
	s_delay_alu instid0(VALU_DEP_3) | instskip(NEXT) | instid1(VALU_DEP_2)
	v_cvt_f32_fp8_e32 v32, v32
	v_dual_fmac_f32 v94, v29, v60 :: v_dual_mul_f32 v117, s62, v117
	s_delay_alu instid0(VALU_DEP_2) | instskip(NEXT) | instid1(VALU_DEP_2)
	v_mul_f32_e32 v32, s62, v32
	v_bfe_u32 v130, v117, 16, 1
	v_or_b32_e32 v132, 0x400000, v117
	v_cmp_u_f32_e64 s7, v117, v117
	s_delay_alu instid0(VALU_DEP_4) | instskip(SKIP_2) | instid1(VALU_DEP_3)
	v_bfe_u32 v120, v32, 16, 1
	v_cmp_u_f32_e64 s6, v32, v32
	v_add3_u32 v130, v130, v117, 0x7fff
	v_add3_u32 v120, v120, v32, 0x7fff
	s_wait_alu 0xf1ff
	s_delay_alu instid0(VALU_DEP_2) | instskip(SKIP_1) | instid1(VALU_DEP_2)
	v_cndmask_b32_e64 v117, v130, v132, s7
	v_or_b32_e32 v130, 0x400000, v32
	v_and_b32_e32 v30, 0xffff0000, v117
	s_delay_alu instid0(VALU_DEP_2) | instskip(SKIP_2) | instid1(VALU_DEP_3)
	v_cndmask_b32_e64 v32, v120, v130, s6
	v_and_b32_e32 v120, 0xff, v31
	v_bfe_u32 v31, v31, 8, 8
	v_and_b32_e32 v32, 0xffff0000, v32
	s_delay_alu instid0(VALU_DEP_3) | instskip(NEXT) | instid1(VALU_DEP_3)
	v_cvt_f32_fp8_e32 v120, v120
	v_cvt_f32_fp8_e32 v31, v31
	s_delay_alu instid0(VALU_DEP_1) | instskip(NEXT) | instid1(VALU_DEP_1)
	v_dual_mul_f32 v120, s62, v120 :: v_dual_mul_f32 v31, s62, v31
	v_bfe_u32 v130, v120, 16, 1
	v_or_b32_e32 v132, 0x400000, v120
	v_cmp_u_f32_e64 s6, v120, v120
	s_delay_alu instid0(VALU_DEP_3) | instskip(SKIP_1) | instid1(VALU_DEP_1)
	v_add3_u32 v130, v130, v120, 0x7fff
	s_wait_alu 0xf1ff
	v_cndmask_b32_e64 v120, v130, v132, s6
	v_bfe_u32 v130, v31, 16, 1
	v_fmac_f32_e32 v92, v70, v106
	v_or_b32_e32 v132, 0x400000, v31
	v_cmp_u_f32_e64 s6, v31, v31
	v_and_b32_e32 v35, 0xffff0000, v120
	v_add3_u32 v130, v130, v31, 0x7fff
	v_fmac_f32_e32 v92, v68, v111
	s_delay_alu instid0(VALU_DEP_3) | instskip(SKIP_1) | instid1(VALU_DEP_3)
	v_fmac_f32_e32 v94, v35, v121
	s_wait_alu 0xf1ff
	v_cndmask_b32_e64 v31, v130, v132, s6
	s_delay_alu instid0(VALU_DEP_3) | instskip(SKIP_2) | instid1(VALU_DEP_3)
	v_fmac_f32_e32 v92, v39, v26
	v_fmac_f32_e32 v24, v69, v37
	v_and_b32_e32 v26, 0xffff0000, v119
	v_dual_fmac_f32 v92, v30, v61 :: v_dual_and_b32 v25, 0xffff0000, v31
	s_delay_alu instid0(VALU_DEP_3) | instskip(NEXT) | instid1(VALU_DEP_2)
	v_fmac_f32_e32 v24, v64, v110
	v_dual_fmac_f32 v92, v25, v5 :: v_dual_and_b32 v5, 0xffff0000, v6
	v_fmac_f32_e32 v90, v40, v112
	s_delay_alu instid0(VALU_DEP_3) | instskip(NEXT) | instid1(VALU_DEP_3)
	v_fmac_f32_e32 v24, v58, v33
	v_dual_add_f32 v25, v94, v92 :: v_dual_and_b32 v6, 0xffff0000, v107
	s_delay_alu instid0(VALU_DEP_3) | instskip(NEXT) | instid1(VALU_DEP_3)
	v_fmac_f32_e32 v90, v59, v28
	v_fmac_f32_e32 v24, v27, v54
	s_delay_alu instid0(VALU_DEP_2) | instskip(NEXT) | instid1(VALU_DEP_2)
	v_fmac_f32_e32 v90, v34, v55
	v_fmac_f32_e32 v24, v32, v53
	s_delay_alu instid0(VALU_DEP_2) | instskip(SKIP_1) | instid1(VALU_DEP_2)
	v_fmac_f32_e32 v90, v26, v87
	v_cndmask_b32_e64 v26, v9, v22, s4
	v_dual_fmac_f32 v24, v6, v5 :: v_dual_add_f32 v5, v25, v90
	s_delay_alu instid0(VALU_DEP_1)
	v_dual_add_f32 v5, v24, v5 :: v_dual_lshlrev_b32 v6, 2, v26
	ds_bpermute_b32 v6, v6, v5
	s_and_saveexec_b32 s5, s3
	s_cbranch_execz .LBB336_11
; %bb.19:                               ;   in Loop: Header=BB336_13 Depth=1
	s_wait_dscnt 0x0
	v_dual_add_f32 v5, v5, v6 :: v_dual_add_nc_u32 v24, v14, v13
	s_delay_alu instid0(VALU_DEP_1) | instskip(NEXT) | instid1(VALU_DEP_1)
	v_cvt_f32_i32_e32 v24, v24
	v_mul_f32_e32 v24, s54, v24
	s_delay_alu instid0(VALU_DEP_1) | instskip(SKIP_1) | instid1(VALU_DEP_2)
	v_cndmask_b32_e32 v6, 0, v24, vcc_lo
	v_max_num_f32_e32 v24, v11, v11
	v_fmac_f32_e32 v6, s47, v5
	s_delay_alu instid0(VALU_DEP_1) | instskip(NEXT) | instid1(VALU_DEP_1)
	v_dual_max_num_f32 v24, v24, v6 :: v_dual_add_nc_u32 v5, v10, v13
	v_cmp_gt_i32_e64 s4, s48, v5
	s_wait_alu 0xf1ff
	s_delay_alu instid0(VALU_DEP_1) | instskip(NEXT) | instid1(VALU_DEP_3)
	v_cndmask_b32_e64 v5, 0, v6, s4
	v_cndmask_b32_e64 v11, v11, v24, s4
	ds_store_b32 v20, v5
	s_branch .LBB336_11
.LBB336_20:
	s_or_b32 exec_lo, exec_lo, s59
.LBB336_21:
	s_delay_alu instid0(SALU_CYCLE_1)
	s_or_b32 exec_lo, exec_lo, s56
	v_xor_b32_e32 v1, 16, v9
	v_xor_b32_e32 v2, 8, v9
	s_clause 0x2
	s_load_b128 s[4:7], s[0:1], 0x0
	s_load_b64 s[8:9], s[0:1], 0x10
	s_load_b64 s[12:13], s[0:1], 0x28
	v_max_num_f32_e32 v3, v11, v11
	v_cmp_gt_i32_e32 vcc_lo, 32, v1
	s_wait_alu 0xfffd
	v_cndmask_b32_e32 v1, v9, v1, vcc_lo
	v_cmp_gt_i32_e32 vcc_lo, 32, v2
	s_delay_alu instid0(VALU_DEP_2)
	v_lshlrev_b32_e32 v4, 2, v1
	ds_bpermute_b32 v1, v4, v11
	v_lshlrev_b32_e32 v11, 2, v17
	s_wait_dscnt 0x0
	v_max_num_f32_e32 v1, v1, v1
	s_wait_alu 0xfffd
	s_delay_alu instid0(VALU_DEP_1) | instskip(NEXT) | instid1(VALU_DEP_1)
	v_dual_cndmask_b32 v2, v9, v2 :: v_dual_max_num_f32 v1, v3, v1
	v_lshlrev_b32_e32 v5, 2, v2
	v_xor_b32_e32 v3, 4, v9
	ds_bpermute_b32 v2, v5, v1
	v_cmp_gt_i32_e32 vcc_lo, 32, v3
	s_wait_alu 0xfffd
	v_cndmask_b32_e32 v3, v9, v3, vcc_lo
	s_delay_alu instid0(VALU_DEP_1) | instskip(SKIP_1) | instid1(VALU_DEP_1)
	v_lshlrev_b32_e32 v10, 2, v3
	v_xor_b32_e32 v3, 2, v9
	v_cmp_gt_i32_e32 vcc_lo, 32, v3
	s_wait_dscnt 0x0
	s_wait_alu 0xfffd
	v_dual_max_num_f32 v2, v2, v2 :: v_dual_cndmask_b32 v3, v9, v3
	s_delay_alu instid0(VALU_DEP_1) | instskip(NEXT) | instid1(VALU_DEP_2)
	v_max_num_f32_e32 v1, v1, v2
	v_lshlrev_b32_e32 v3, 2, v3
	ds_bpermute_b32 v2, v10, v1
	s_wait_dscnt 0x0
	v_max_num_f32_e32 v2, v2, v2
	s_delay_alu instid0(VALU_DEP_1)
	v_dual_max_num_f32 v2, v1, v2 :: v_dual_and_b32 v1, 31, v0
	ds_bpermute_b32 v6, v3, v2
	v_cmp_eq_u32_e32 vcc_lo, 0, v1
	s_and_saveexec_b32 s0, vcc_lo
	s_cbranch_execz .LBB336_23
; %bb.22:
	s_wait_dscnt 0x0
	v_max_num_f32_e32 v6, v6, v6
	v_max_num_f32_e32 v2, v2, v2
	s_delay_alu instid0(VALU_DEP_1)
	v_max_num_f32_e32 v2, v2, v6
	ds_store_b32 v11, v2 offset:240
.LBB336_23:
	s_or_b32 exec_lo, exec_lo, s0
	v_cmp_gt_u32_e64 s0, 4, v1
	v_mov_b32_e32 v2, 0xff7fffff
	v_lshlrev_b32_e32 v12, 2, v1
	s_wait_loadcnt_dscnt 0x0
	s_barrier_signal -1
	s_barrier_wait -1
	global_inv scope:SCOPE_SE
	s_and_saveexec_b32 s1, s0
; %bb.24:
	ds_load_b32 v2, v12 offset:240
; %bb.25:
	s_or_b32 exec_lo, exec_lo, s1
	s_wait_dscnt 0x0
	ds_bpermute_b32 v6, v3, v2
	v_xor_b32_e32 v13, 1, v9
	s_delay_alu instid0(VALU_DEP_1) | instskip(NEXT) | instid1(VALU_DEP_1)
	v_cmp_gt_i32_e64 s1, 32, v13
	v_cndmask_b32_e64 v9, v9, v13, s1
	v_max_num_f32_e32 v2, v2, v2
	s_sub_co_i32 s1, s46, s55
	s_wait_alu 0xfffe
	s_lshl_b32 s1, s1, 4
	v_lshlrev_b32_e32 v21, 2, v9
	s_wait_alu 0xfffe
	s_add_co_i32 s1, s1, s51
	v_mov_b32_e32 v9, 0
	s_wait_alu 0xfffe
	s_min_i32 s1, s1, s48
	s_wait_dscnt 0x0
	v_max_num_f32_e32 v6, v6, v6
	s_wait_alu 0xfffe
	s_sub_co_i32 s10, s1, s51
	s_wait_alu 0xfffe
	v_cmp_gt_i32_e64 s1, s10, v0
	v_max_num_f32_e32 v2, v2, v6
	ds_bpermute_b32 v6, v21, v2
	s_wait_dscnt 0x0
	v_max_num_f32_e32 v6, v6, v6
	s_delay_alu instid0(VALU_DEP_1)
	v_max_num_f32_e32 v2, v2, v6
	v_lshl_add_u32 v6, v0, 2, 0x110
	ds_bpermute_b32 v2, v9, v2
	s_and_saveexec_b32 s11, s1
	s_cbranch_execz .LBB336_29
; %bb.26:
	v_lshl_add_u32 v13, v0, 2, 0x110
	v_dual_mov_b32 v9, 0 :: v_dual_mov_b32 v14, v0
	s_mov_b32 s14, 0
.LBB336_27:                             ; =>This Inner Loop Header: Depth=1
	ds_load_b32 v20, v13
	s_wait_dscnt 0x0
	v_sub_f32_e32 v20, v20, v2
	s_delay_alu instid0(VALU_DEP_1) | instskip(NEXT) | instid1(VALU_DEP_1)
	v_mul_f32_e32 v20, 0x3fb8aa3b, v20
	v_exp_f32_e32 v20, v20
	s_delay_alu instid0(TRANS32_DEP_1) | instskip(NEXT) | instid1(VALU_DEP_1)
	v_dual_add_f32 v9, v9, v20 :: v_dual_add_nc_u32 v14, 0x80, v14
	v_cmp_le_i32_e64 s3, s10, v14
	ds_store_b32 v13, v20
	v_add_nc_u32_e32 v13, 0x200, v13
	s_wait_alu 0xfffe
	s_or_b32 s14, s3, s14
	s_wait_alu 0xfffe
	s_and_not1_b32 exec_lo, exec_lo, s14
	s_cbranch_execnz .LBB336_27
; %bb.28:
	s_or_b32 exec_lo, exec_lo, s14
.LBB336_29:
	s_wait_alu 0xfffe
	s_or_b32 exec_lo, exec_lo, s11
	ds_bpermute_b32 v4, v4, v9
	s_wait_dscnt 0x0
	v_add_f32_e32 v4, v9, v4
	ds_bpermute_b32 v5, v5, v4
	s_wait_dscnt 0x0
	v_add_f32_e32 v4, v4, v5
	;; [unrolled: 3-line block ×5, first 2 shown]
	s_and_saveexec_b32 s3, vcc_lo
; %bb.30:
	ds_store_b32 v11, v4 offset:256
; %bb.31:
	s_wait_alu 0xfffe
	s_or_b32 exec_lo, exec_lo, s3
	s_wait_loadcnt_dscnt 0x0
	s_barrier_signal -1
	s_barrier_wait -1
	global_inv scope:SCOPE_SE
	s_and_saveexec_b32 s3, s0
; %bb.32:
	ds_load_b32 v4, v12 offset:256
; %bb.33:
	s_wait_alu 0xfffe
	s_or_b32 exec_lo, exec_lo, s3
	s_wait_dscnt 0x0
	ds_bpermute_b32 v3, v3, v4
	s_wait_dscnt 0x0
	v_add_f32_e32 v3, v4, v3
	ds_bpermute_b32 v4, v21, v3
	s_wait_dscnt 0x0
	v_dual_add_f32 v3, v3, v4 :: v_dual_mov_b32 v4, 0
	ds_bpermute_b32 v3, v4, v3
	s_and_saveexec_b32 s0, s1
	s_cbranch_execz .LBB336_36
; %bb.34:
	s_wait_dscnt 0x0
	v_add_f32_e32 v4, 0x358637bd, v3
	s_mov_b32 s1, 0
	s_delay_alu instid0(VALU_DEP_1) | instskip(NEXT) | instid1(VALU_DEP_1)
	v_div_scale_f32 v5, null, v4, v4, 1.0
	v_rcp_f32_e32 v9, v5
	s_delay_alu instid0(TRANS32_DEP_1) | instskip(NEXT) | instid1(VALU_DEP_1)
	v_fma_f32 v10, -v5, v9, 1.0
	v_fmac_f32_e32 v9, v10, v9
	v_div_scale_f32 v11, vcc_lo, 1.0, v4, 1.0
	s_delay_alu instid0(VALU_DEP_1) | instskip(NEXT) | instid1(VALU_DEP_1)
	v_mul_f32_e32 v10, v11, v9
	v_fma_f32 v12, -v5, v10, v11
	s_delay_alu instid0(VALU_DEP_1) | instskip(NEXT) | instid1(VALU_DEP_1)
	v_fmac_f32_e32 v10, v12, v9
	v_fma_f32 v5, -v5, v10, v11
	s_wait_alu 0xfffd
	s_delay_alu instid0(VALU_DEP_1) | instskip(NEXT) | instid1(VALU_DEP_1)
	v_div_fmas_f32 v5, v5, v9, v10
	v_div_fixup_f32 v4, v5, v4, 1.0
	v_mov_b32_e32 v5, v0
.LBB336_35:                             ; =>This Inner Loop Header: Depth=1
	ds_load_b32 v9, v6
	v_add_nc_u32_e32 v5, 0x80, v5
	s_delay_alu instid0(VALU_DEP_1)
	v_cmp_le_i32_e32 vcc_lo, s10, v5
	s_wait_alu 0xfffe
	s_or_b32 s1, vcc_lo, s1
	s_wait_dscnt 0x0
	v_mul_f32_e32 v9, v4, v9
	ds_store_b32 v6, v9
	v_add_nc_u32_e32 v6, 0x200, v6
	s_wait_alu 0xfffe
	s_and_not1_b32 exec_lo, exec_lo, s1
	s_cbranch_execnz .LBB336_35
.LBB336_36:
	s_wait_alu 0xfffe
	s_or_b32 exec_lo, exec_lo, s0
	s_mul_i32 s0, s27, s49
	s_wait_loadcnt_dscnt 0x0
	s_wait_alu 0xfffe
	s_mul_i32 s10, s0, s50
	s_mov_b32 s0, exec_lo
	s_barrier_signal -1
	s_barrier_wait -1
	global_inv scope:SCOPE_SE
	v_cmpx_eq_u32_e32 0, v0
	s_cbranch_execz .LBB336_38
; %bb.37:
	s_wait_alu 0xfffe
	s_ashr_i32 s11, s10, 31
	s_mul_i32 s14, s27, ttmp9
	s_lshl_b32 s1, s33, 2
	s_wait_alu 0xfffe
	s_lshl_b64 s[16:17], s[10:11], 2
	s_ashr_i32 s15, s14, 31
	v_mov_b32_e32 v4, s1
	s_wait_kmcnt 0x0
	s_wait_alu 0xfffe
	s_add_nc_u64 s[6:7], s[6:7], s[16:17]
	s_lshl_b64 s[14:15], s[14:15], 2
	s_add_nc_u64 s[4:5], s[4:5], s[16:17]
	s_wait_alu 0xfffe
	s_add_nc_u64 s[6:7], s[6:7], s[14:15]
	s_add_nc_u64 s[4:5], s[4:5], s[14:15]
	s_clause 0x1
	global_store_b32 v4, v2, s[6:7]
	global_store_b32 v4, v3, s[4:5]
.LBB336_38:
	s_wait_alu 0xfffe
	s_or_b32 exec_lo, exec_lo, s0
	v_lshrrev_b32_e32 v20, 1, v1
	s_and_saveexec_b32 s0, s2
	s_wait_alu 0xfffe
	s_xor_b32 s0, exec_lo, s0
; %bb.39:
	v_lshrrev_b32_e32 v20, 1, v1
                                        ; implicit-def: $vgpr18
                                        ; implicit-def: $vgpr19
                                        ; implicit-def: $vgpr7
                                        ; implicit-def: $vgpr8
; %bb.40:
	s_wait_kmcnt 0x0
	s_wait_alu 0xfffe
	s_or_saveexec_b32 s4, s0
	v_dual_mov_b32 v29, 0 :: v_dual_mov_b32 v28, 0
	v_dual_mov_b32 v27, 0 :: v_dual_mov_b32 v26, 0
	;; [unrolled: 1-line block ×4, first 2 shown]
	s_wait_alu 0xfffe
	s_xor_b32 exec_lo, exec_lo, s4
	s_cbranch_execz .LBB336_64
; %bb.41:
	s_abs_i32 s5, s26
	v_dual_mov_b32 v22, 0 :: v_dual_lshlrev_b32 v3, 5, v16
	s_wait_alu 0xfffe
	s_cvt_f32_u32 s0, s5
	v_dual_mov_b32 v23, 0 :: v_dual_and_b32 v30, 8, v7
	s_ashr_i32 s39, s38, 31
	s_wait_alu 0xfffe
	v_rcp_iflag_f32_e32 v1, s0
	s_lshl_b64 s[0:1], s[44:45], 2
	v_or_b32_e32 v2, 0x70, v20
	s_wait_alu 0xfffe
	s_add_nc_u64 s[0:1], s[42:43], s[0:1]
	s_add_nc_u64 s[2:3], s[12:13], s[38:39]
	s_wait_alu 0xfffe
	v_add_co_u32 v9, s0, s0, v8
	s_wait_alu 0xf1ff
	v_add_co_ci_u32_e64 v10, null, s1, 0, s0
	s_sub_co_i32 s12, 0, s5
	v_readfirstlane_b32 s11, v1
	v_lshl_or_b32 v1, v17, 6, v3
	v_mov_b32_e32 v24, 0
	v_lshl_or_b32 v31, v20, 4, v30
	v_lshl_or_b32 v32, v2, 4, v30
	s_mul_f32 s11, s11, 0x4f7ffffe
	v_add_nc_u32_e32 v33, 0x110, v1
	v_dual_mov_b32 v25, 0 :: v_dual_mov_b32 v26, 0
	s_wait_alu 0xfffe
	s_cvt_u32_f32 s0, s11
	v_dual_mov_b32 v27, 0 :: v_dual_mov_b32 v28, 0
	v_mov_b32_e32 v29, 0
	s_wait_alu 0xfffe
	s_mul_i32 s12, s12, s0
	s_sub_co_i32 s6, s53, s25
	s_wait_alu 0xfffe
	s_mul_hi_u32 s1, s0, s12
	s_mov_b32 s7, s37
	s_add_co_i32 s52, s52, -1
	s_mov_b32 s11, 0
	s_wait_alu 0xfffe
	s_add_co_i32 s12, s0, s1
	v_cmp_gt_u32_e32 vcc_lo, 0x78, v2
	s_branch .LBB336_45
.LBB336_42:                             ;   in Loop: Header=BB336_45 Depth=1
	s_wait_alu 0xfffe
	s_or_b32 exec_lo, exec_lo, s1
	v_lshlrev_b32_e32 v6, 16, v6
	v_lshlrev_b32_e32 v11, 16, v11
	;; [unrolled: 1-line block ×5, first 2 shown]
	v_and_b32_e32 v91, 0xffff0000, v2
	v_lshlrev_b32_e32 v7, 16, v7
	v_lshlrev_b32_e32 v90, 16, v90
	s_delay_alu instid0(VALU_DEP_4) | instskip(SKIP_2) | instid1(VALU_DEP_3)
	v_dual_mul_f32 v12, v92, v12 :: v_dual_lshlrev_b32 v89, 16, v89
	v_lshlrev_b32_e32 v58, 16, v2
	v_lshlrev_b32_e32 v3, 16, v3
	v_mul_f32_e32 v89, v91, v89
	s_delay_alu instid0(VALU_DEP_4) | instskip(NEXT) | instid1(VALU_DEP_4)
	v_bfe_u32 v94, v12, 16, 1
	v_mul_f32_e32 v58, v58, v90
	v_and_b32_e32 v90, 0xffff0000, v1
	s_delay_alu instid0(VALU_DEP_4) | instskip(NEXT) | instid1(VALU_DEP_3)
	v_or_b32_e32 v93, 0x400000, v89
	v_bfe_u32 v91, v58, 16, 1
	v_or_b32_e32 v92, 0x400000, v58
	v_cmp_u_f32_e64 s0, v58, v58
	s_delay_alu instid0(VALU_DEP_3) | instskip(SKIP_1) | instid1(VALU_DEP_1)
	v_add3_u32 v91, v91, v58, 0x7fff
	s_wait_alu 0xf1ff
	v_cndmask_b32_e64 v58, v91, v92, s0
	v_cmp_u_f32_e64 s0, v89, v89
	v_or_b32_e32 v92, 0x400000, v12
	s_delay_alu instid0(VALU_DEP_3) | instskip(SKIP_1) | instid1(VALU_DEP_1)
	v_and_b32_e32 v58, 0xffff0000, v58
	v_lshlrev_b32_e32 v91, 16, v4
	v_mul_f32_e32 v7, v91, v7
	v_and_b32_e32 v91, 0xffff0000, v4
	s_delay_alu instid0(VALU_DEP_1) | instskip(SKIP_1) | instid1(VALU_DEP_1)
	v_dual_mul_f32 v6, v91, v6 :: v_dual_mul_f32 v11, v90, v11
	v_bfe_u32 v90, v89, 16, 1
	v_add3_u32 v90, v90, v89, 0x7fff
	s_wait_alu 0xf1ff
	s_delay_alu instid0(VALU_DEP_1) | instskip(SKIP_3) | instid1(VALU_DEP_4)
	v_cndmask_b32_e64 v89, v90, v93, s0
	v_add3_u32 v90, v94, v12, 0x7fff
	v_bfe_u32 v93, v11, 16, 1
	v_cmp_u_f32_e64 s0, v12, v12
	v_and_b32_e32 v89, 0xffff0000, v89
	s_wait_alu 0xf1ff
	s_delay_alu instid0(VALU_DEP_2)
	v_cndmask_b32_e64 v12, v90, v92, s0
	v_add3_u32 v90, v93, v11, 0x7fff
	v_or_b32_e32 v92, 0x400000, v11
	v_cmp_u_f32_e64 s0, v11, v11
	v_add_f32_e32 v58, v58, v89
	v_and_b32_e32 v12, 0xffff0000, v12
	v_bfe_u32 v93, v7, 16, 1
	s_wait_alu 0xf1ff
	v_cndmask_b32_e64 v11, v90, v92, s0
	v_bfe_u32 v90, v6, 16, 1
	v_cmp_u_f32_e64 s0, v7, v7
	v_add3_u32 v92, v93, v7, 0x7fff
	v_or_b32_e32 v93, 0x400000, v6
	v_and_b32_e32 v11, 0xffff0000, v11
	v_add3_u32 v90, v90, v6, 0x7fff
	s_delay_alu instid0(VALU_DEP_2) | instskip(NEXT) | instid1(VALU_DEP_1)
	v_dual_add_f32 v11, v12, v11 :: v_dual_and_b32 v94, 0xffff0000, v8
	v_add_f32_e32 v11, v11, v58
	v_lshlrev_b32_e32 v91, 16, v8
	s_delay_alu instid0(VALU_DEP_3) | instskip(NEXT) | instid1(VALU_DEP_2)
	v_mul_f32_e32 v3, v94, v3
	v_mul_f32_e32 v5, v91, v5
	v_or_b32_e32 v91, 0x400000, v7
	s_delay_alu instid0(VALU_DEP_3) | instskip(NEXT) | instid1(VALU_DEP_3)
	v_bfe_u32 v95, v3, 16, 1
	v_bfe_u32 v94, v5, 16, 1
	s_wait_alu 0xf1ff
	s_delay_alu instid0(VALU_DEP_3) | instskip(SKIP_3) | instid1(VALU_DEP_4)
	v_cndmask_b32_e64 v7, v92, v91, s0
	v_cmp_u_f32_e64 s0, v6, v6
	v_add3_u32 v91, v95, v3, 0x7fff
	v_or_b32_e32 v92, 0x400000, v3
	v_and_b32_e32 v7, 0xffff0000, v7
	s_wait_alu 0xf1ff
	v_cndmask_b32_e64 v6, v90, v93, s0
	v_cmp_u_f32_e64 s0, v3, v3
	v_add3_u32 v90, v94, v5, 0x7fff
	v_or_b32_e32 v93, 0x400000, v5
	s_delay_alu instid0(VALU_DEP_4) | instskip(SKIP_3) | instid1(VALU_DEP_2)
	v_and_b32_e32 v6, 0xffff0000, v6
	s_wait_alu 0xf1ff
	v_cndmask_b32_e64 v3, v91, v92, s0
	v_cmp_u_f32_e64 s0, v5, v5
	v_dual_add_f32 v6, v7, v6 :: v_dual_and_b32 v3, 0xffff0000, v3
	s_wait_alu 0xf1ff
	s_delay_alu instid0(VALU_DEP_2) | instskip(NEXT) | instid1(VALU_DEP_1)
	v_cndmask_b32_e64 v5, v90, v93, s0
	v_dual_add_f32 v6, v6, v11 :: v_dual_and_b32 v5, 0xffff0000, v5
	s_delay_alu instid0(VALU_DEP_1) | instskip(NEXT) | instid1(VALU_DEP_1)
	v_add_f32_e32 v3, v5, v3
	v_add_f32_e32 v3, v3, v6
	s_delay_alu instid0(VALU_DEP_1)
	v_add_f32_e32 v22, v22, v3
.LBB336_43:                             ;   in Loop: Header=BB336_45 Depth=1
	s_wait_alu 0xfffe
	s_or_b32 exec_lo, exec_lo, s15
	v_lshlrev_b32_e32 v12, 16, v86
	v_lshlrev_b32_e32 v13, 16, v13
	v_lshlrev_b32_e32 v84, 16, v84
	v_lshlrev_b32_e32 v5, 16, v2
	v_lshlrev_b32_e32 v76, 16, v76
	v_lshlrev_b32_e32 v79, 16, v79
	v_lshlrev_b32_e32 v58, 16, v85
	v_and_b32_e32 v3, 0xffff0000, v1
	v_and_b32_e32 v7, 0xffff0000, v2
	v_lshlrev_b32_e32 v2, 16, v1
	v_lshlrev_b32_e32 v75, 16, v75
	;; [unrolled: 1-line block ×3, first 2 shown]
	v_and_b32_e32 v1, 0xffff0000, v4
	v_lshlrev_b32_e32 v82, 16, v82
	v_mul_f32_e32 v58, v2, v58
	v_dual_mul_f32 v12, v3, v12 :: v_dual_lshlrev_b32 v11, 16, v87
	s_delay_alu instid0(VALU_DEP_4) | instskip(SKIP_2) | instid1(VALU_DEP_4)
	v_mul_f32_e32 v84, v1, v84
	v_lshlrev_b32_e32 v6, 16, v88
	v_lshlrev_b32_e32 v77, 16, v77
	v_dual_mul_f32 v11, v5, v11 :: v_dual_lshlrev_b32 v74, 16, v74
	s_delay_alu instid0(VALU_DEP_4) | instskip(NEXT) | instid1(VALU_DEP_4)
	v_bfe_u32 v89, v84, 16, 1
	v_mul_f32_e32 v6, v7, v6
	v_lshlrev_b32_e32 v56, 16, v56
	v_lshlrev_b32_e32 v57, 16, v57
	v_bfe_u32 v86, v11, 16, 1
	v_or_b32_e32 v88, 0x400000, v11
	v_bfe_u32 v85, v6, 16, 1
	v_or_b32_e32 v87, 0x400000, v6
	v_cmp_u_f32_e64 s0, v6, v6
	v_add3_u32 v86, v86, v11, 0x7fff
	v_mul_f32_e32 v56, v5, v56
	v_add3_u32 v85, v85, v6, 0x7fff
	v_bfe_u32 v6, v12, 16, 1
	v_dual_mul_f32 v57, v7, v57 :: v_dual_lshlrev_b32 v70, 16, v70
	v_lshlrev_b32_e32 v71, 16, v71
	s_wait_alu 0xf1ff
	v_cndmask_b32_e64 v85, v85, v87, s0
	v_cmp_u_f32_e64 s0, v11, v11
	v_or_b32_e32 v87, 0x400000, v12
	v_lshlrev_b32_e32 v68, 16, v68
	v_lshlrev_b32_e32 v41, 16, v41
	v_and_b32_e32 v85, 0xffff0000, v85
	s_wait_alu 0xf1ff
	v_cndmask_b32_e64 v11, v86, v88, s0
	v_add3_u32 v86, v6, v12, 0x7fff
	v_bfe_u32 v88, v58, 16, 1
	v_cmp_u_f32_e64 s0, v12, v12
	v_lshlrev_b32_e32 v62, 16, v62
	v_and_b32_e32 v11, 0xffff0000, v11
	v_lshlrev_b32_e32 v6, 16, v4
	v_lshlrev_b32_e32 v65, 16, v65
	s_wait_alu 0xf1ff
	v_cndmask_b32_e64 v12, v86, v87, s0
	v_or_b32_e32 v86, 0x400000, v58
	v_cmp_u_f32_e64 s0, v58, v58
	v_dual_add_f32 v11, v11, v85 :: v_dual_lshlrev_b32 v4, 16, v83
	v_mul_f32_e32 v77, v6, v77
	v_add3_u32 v83, v88, v58, 0x7fff
	v_add3_u32 v88, v89, v84, 0x7fff
	v_or_b32_e32 v89, 0x400000, v84
	v_mul_f32_e32 v87, v6, v4
	v_and_b32_e32 v12, 0xffff0000, v12
	s_wait_alu 0xf1ff
	v_cndmask_b32_e64 v58, v83, v86, s0
	v_cmp_u_f32_e64 s0, v84, v84
	v_lshlrev_b32_e32 v44, 16, v44
	v_bfe_u32 v90, v87, 16, 1
	v_or_b32_e32 v86, 0x400000, v87
	v_and_b32_e32 v58, 0xffff0000, v58
	s_wait_alu 0xf1ff
	v_cndmask_b32_e64 v83, v88, v89, s0
	v_cmp_u_f32_e64 s0, v87, v87
	v_add3_u32 v84, v90, v87, 0x7fff
	v_dual_mul_f32 v44, v6, v44 :: v_dual_lshlrev_b32 v43, 16, v43
	v_dual_add_f32 v12, v58, v12 :: v_dual_lshlrev_b32 v67, 16, v67
	s_wait_alu 0xf1ff
	s_delay_alu instid0(VALU_DEP_3) | instskip(SKIP_1) | instid1(VALU_DEP_3)
	v_cndmask_b32_e64 v84, v84, v86, s0
	v_lshlrev_b32_e32 v59, 16, v59
	v_dual_add_f32 v11, v12, v11 :: v_dual_lshlrev_b32 v54, 16, v54
	v_lshlrev_b32_e32 v80, 16, v80
	s_delay_alu instid0(VALU_DEP_4)
	v_and_b32_e32 v58, 0xffff0000, v84
	v_lshlrev_b32_e32 v81, 16, v81
	v_lshlrev_b32_e32 v63, 16, v63
	v_dual_mul_f32 v54, v2, v54 :: v_dual_lshlrev_b32 v55, 16, v55
	v_dual_mul_f32 v80, v3, v80 :: v_dual_and_b32 v83, 0xffff0000, v83
	v_lshlrev_b32_e32 v52, 16, v52
	v_lshlrev_b32_e32 v50, 16, v50
	v_lshlrev_b32_e32 v53, 16, v53
	s_delay_alu instid0(VALU_DEP_4) | instskip(SKIP_4) | instid1(VALU_DEP_4)
	v_dual_add_f32 v58, v58, v83 :: v_dual_lshlrev_b32 v49, 16, v49
	v_and_b32_e32 v4, 0xffff0000, v8
	v_lshlrev_b32_e32 v8, 16, v8
	v_lshlrev_b32_e32 v78, 16, v78
	v_mul_f32_e32 v52, v6, v52
	v_dual_add_f32 v11, v58, v11 :: v_dual_mul_f32 v68, v4, v68
	s_delay_alu instid0(VALU_DEP_4)
	v_mul_f32_e32 v75, v8, v75
	v_mul_f32_e32 v14, v4, v14
	;; [unrolled: 1-line block ×3, first 2 shown]
	v_lshlrev_b32_e32 v61, 16, v61
	v_mul_f32_e32 v58, v5, v81
	v_mul_f32_e32 v76, v4, v76
	v_bfe_u32 v88, v14, 16, 1
	v_or_b32_e32 v87, 0x400000, v14
	v_cmp_u_f32_e64 s0, v14, v14
	v_or_b32_e32 v85, 0x400000, v13
	v_mul_f32_e32 v78, v1, v78
	v_add3_u32 v86, v88, v14, 0x7fff
	v_mul_f32_e32 v61, v6, v61
	v_bfe_u32 v83, v58, 16, 1
	v_dual_mul_f32 v79, v2, v79 :: v_dual_lshlrev_b32 v64, 16, v64
	v_mul_f32_e32 v43, v4, v43
	s_wait_alu 0xf1ff
	v_cndmask_b32_e64 v14, v86, v87, s0
	v_bfe_u32 v86, v13, 16, 1
	v_cmp_u_f32_e64 s0, v13, v13
	v_mul_f32_e32 v64, v3, v64
	s_delay_alu instid0(VALU_DEP_4) | instskip(NEXT) | instid1(VALU_DEP_4)
	v_dual_mul_f32 v55, v3, v55 :: v_dual_and_b32 v14, 0xffff0000, v14
	v_add3_u32 v84, v86, v13, 0x7fff
	v_bfe_u32 v86, v75, 16, 1
	v_mul_f32_e32 v70, v1, v70
	v_lshlrev_b32_e32 v48, 16, v48
	v_lshlrev_b32_e32 v47, 16, v47
	s_wait_alu 0xf1ff
	v_cndmask_b32_e64 v13, v84, v85, s0
	v_or_b32_e32 v84, 0x400000, v77
	v_bfe_u32 v85, v76, 16, 1
	v_mul_f32_e32 v48, v5, v48
	v_lshlrev_b32_e32 v46, 16, v46
	v_and_b32_e32 v13, 0xffff0000, v13
	v_lshlrev_b32_e32 v45, 16, v45
	v_lshlrev_b32_e32 v38, 16, v38
	s_delay_alu instid0(VALU_DEP_4) | instskip(NEXT) | instid1(VALU_DEP_4)
	v_dual_mul_f32 v46, v2, v46 :: v_dual_lshlrev_b32 v39, 16, v39
	v_dual_add_f32 v13, v13, v14 :: v_dual_lshlrev_b32 v14, 16, v73
	v_mul_f32_e32 v73, v7, v74
	v_bfe_u32 v74, v68, 16, 1
	v_mul_f32_e32 v67, v8, v67
	s_delay_alu instid0(VALU_DEP_4) | instskip(SKIP_3) | instid1(VALU_DEP_4)
	v_add_f32_e32 v11, v13, v11
	v_mul_f32_e32 v13, v5, v14
	v_bfe_u32 v14, v73, 16, 1
	v_dual_mul_f32 v50, v8, v50 :: v_dual_lshlrev_b32 v51, 16, v51
	v_add_f32_e32 v23, v23, v11
	v_mul_f32_e32 v12, v7, v82
	v_bfe_u32 v11, v13, 16, 1
	v_lshlrev_b32_e32 v36, 16, v36
	v_lshlrev_b32_e32 v40, 16, v40
	;; [unrolled: 1-line block ×3, first 2 shown]
	v_bfe_u32 v82, v12, 16, 1
	v_cmp_u_f32_e64 s0, v12, v12
	v_add3_u32 v11, v11, v13, 0x7fff
	v_lshlrev_b32_e32 v42, 16, v42
	v_lshlrev_b32_e32 v34, 16, v34
	v_add3_u32 v81, v82, v12, 0x7fff
	v_or_b32_e32 v82, 0x400000, v12
	v_mul_f32_e32 v63, v2, v63
	v_mul_f32_e32 v59, v8, v59
	v_lshlrev_b32_e32 v69, 16, v69
	v_mul_f32_e32 v53, v1, v53
	s_wait_alu 0xf1ff
	v_cndmask_b32_e64 v12, v81, v82, s0
	v_add3_u32 v81, v83, v58, 0x7fff
	v_or_b32_e32 v82, 0x400000, v58
	v_bfe_u32 v83, v80, 16, 1
	v_cmp_u_f32_e64 s0, v58, v58
	v_dual_mul_f32 v51, v4, v51 :: v_dual_and_b32 v12, 0xffff0000, v12
	v_mul_f32_e32 v47, v3, v47
	v_mul_f32_e32 v49, v7, v49
	s_wait_alu 0xf1ff
	v_cndmask_b32_e64 v58, v81, v82, s0
	v_add3_u32 v81, v83, v80, 0x7fff
	v_or_b32_e32 v82, 0x400000, v80
	v_bfe_u32 v83, v79, 16, 1
	v_cmp_u_f32_e64 s0, v80, v80
	v_dual_mul_f32 v45, v1, v45 :: v_dual_and_b32 v58, 0xffff0000, v58
	v_lshlrev_b32_e32 v35, 16, v35
	s_wait_alu 0xf1ff
	s_delay_alu instid0(VALU_DEP_3)
	v_cndmask_b32_e64 v80, v81, v82, s0
	v_add3_u32 v81, v83, v79, 0x7fff
	v_or_b32_e32 v82, 0x400000, v79
	v_bfe_u32 v83, v78, 16, 1
	v_cmp_u_f32_e64 s0, v79, v79
	v_and_b32_e32 v80, 0xffff0000, v80
	v_add_f32_e32 v12, v58, v12
	s_wait_alu 0xf1ff
	s_delay_alu instid0(VALU_DEP_3)
	v_cndmask_b32_e64 v79, v81, v82, s0
	v_bfe_u32 v81, v77, 16, 1
	v_add3_u32 v82, v83, v78, 0x7fff
	v_or_b32_e32 v83, 0x400000, v78
	v_cmp_u_f32_e64 s0, v78, v78
	v_and_b32_e32 v79, 0xffff0000, v79
	v_add3_u32 v81, v81, v77, 0x7fff
	s_wait_alu 0xf1ff
	s_delay_alu instid0(VALU_DEP_3)
	v_cndmask_b32_e64 v78, v82, v83, s0
	v_cmp_u_f32_e64 s0, v77, v77
	v_add3_u32 v82, v86, v75, 0x7fff
	v_or_b32_e32 v83, 0x400000, v75
	v_add_f32_e32 v58, v79, v80
	v_and_b32_e32 v78, 0xffff0000, v78
	s_wait_alu 0xf1ff
	v_cndmask_b32_e64 v77, v81, v84, s0
	v_cmp_u_f32_e64 s0, v75, v75
	v_add3_u32 v81, v85, v76, 0x7fff
	v_or_b32_e32 v84, 0x400000, v76
	s_delay_alu instid0(VALU_DEP_4) | instskip(SKIP_3) | instid1(VALU_DEP_2)
	v_dual_add_f32 v12, v58, v12 :: v_dual_and_b32 v77, 0xffff0000, v77
	s_wait_alu 0xf1ff
	v_cndmask_b32_e64 v75, v82, v83, s0
	v_cmp_u_f32_e64 s0, v76, v76
	v_dual_add_f32 v58, v77, v78 :: v_dual_and_b32 v75, 0xffff0000, v75
	s_wait_alu 0xf1ff
	s_delay_alu instid0(VALU_DEP_2) | instskip(SKIP_1) | instid1(VALU_DEP_3)
	v_cndmask_b32_e64 v76, v81, v84, s0
	v_cmp_u_f32_e64 s0, v73, v73
	v_add_f32_e32 v12, v58, v12
	s_delay_alu instid0(VALU_DEP_3) | instskip(NEXT) | instid1(VALU_DEP_1)
	v_and_b32_e32 v76, 0xffff0000, v76
	v_add_f32_e32 v58, v75, v76
	s_delay_alu instid0(VALU_DEP_1) | instskip(SKIP_2) | instid1(VALU_DEP_3)
	v_add_f32_e32 v12, v58, v12
	v_lshlrev_b32_e32 v58, 16, v72
	v_or_b32_e32 v72, 0x400000, v13
	v_add_f32_e32 v24, v24, v12
	v_add3_u32 v12, v14, v73, 0x7fff
	v_or_b32_e32 v14, 0x400000, v73
	v_mul_f32_e32 v58, v3, v58
	s_wait_alu 0xf1ff
	s_delay_alu instid0(VALU_DEP_2) | instskip(NEXT) | instid1(VALU_DEP_2)
	v_cndmask_b32_e64 v12, v12, v14, s0
	v_bfe_u32 v14, v58, 16, 1
	v_cmp_u_f32_e64 s0, v13, v13
	v_mul_f32_e32 v13, v2, v71
	v_or_b32_e32 v71, 0x400000, v58
	v_and_b32_e32 v12, 0xffff0000, v12
	v_add3_u32 v14, v14, v58, 0x7fff
	s_wait_alu 0xf1ff
	v_cndmask_b32_e64 v11, v11, v72, s0
	v_bfe_u32 v72, v13, 16, 1
	v_cmp_u_f32_e64 s0, v58, v58
	v_mul_f32_e32 v58, v6, v69
	s_delay_alu instid0(VALU_DEP_4) | instskip(NEXT) | instid1(VALU_DEP_4)
	v_dual_mul_f32 v2, v2, v38 :: v_dual_and_b32 v11, 0xffff0000, v11
	v_add3_u32 v69, v72, v13, 0x7fff
	s_wait_alu 0xf1ff
	v_cndmask_b32_e64 v14, v14, v71, s0
	v_or_b32_e32 v71, 0x400000, v13
	v_bfe_u32 v72, v70, 16, 1
	v_cmp_u_f32_e64 s0, v13, v13
	v_bfe_u32 v73, v58, 16, 1
	v_dual_add_f32 v11, v11, v12 :: v_dual_and_b32 v14, 0xffff0000, v14
	v_dual_mul_f32 v3, v3, v39 :: v_dual_lshlrev_b32 v60, 16, v60
	s_wait_alu 0xf1ff
	v_cndmask_b32_e64 v13, v69, v71, s0
	v_add3_u32 v69, v72, v70, 0x7fff
	v_or_b32_e32 v71, 0x400000, v70
	v_cmp_u_f32_e64 s0, v70, v70
	v_add3_u32 v72, v73, v58, 0x7fff
	v_or_b32_e32 v73, 0x400000, v58
	v_add3_u32 v70, v74, v68, 0x7fff
	v_and_b32_e32 v13, 0xffff0000, v13
	s_wait_alu 0xf1ff
	v_cndmask_b32_e64 v69, v69, v71, s0
	v_cmp_u_f32_e64 s0, v58, v58
	v_or_b32_e32 v71, 0x400000, v68
	v_mul_f32_e32 v6, v6, v36
	v_add_f32_e32 v12, v13, v14
	v_and_b32_e32 v14, 0xffff0000, v69
	s_wait_alu 0xf1ff
	v_cndmask_b32_e64 v58, v72, v73, s0
	v_bfe_u32 v72, v67, 16, 1
	v_cmp_u_f32_e64 s0, v68, v68
	v_add_f32_e32 v11, v12, v11
	v_bfe_u32 v36, v6, 16, 1
	v_and_b32_e32 v13, 0xffff0000, v58
	v_lshlrev_b32_e32 v58, 16, v66
	s_wait_alu 0xf1ff
	v_cndmask_b32_e64 v68, v70, v71, s0
	v_add3_u32 v70, v72, v67, 0x7fff
	v_or_b32_e32 v71, 0x400000, v67
	v_cmp_u_f32_e64 s0, v67, v67
	v_mul_f32_e32 v58, v7, v58
	v_add_f32_e32 v12, v13, v14
	v_mul_f32_e32 v13, v5, v65
	v_and_b32_e32 v65, 0xffff0000, v68
	s_wait_alu 0xf1ff
	v_cndmask_b32_e64 v66, v70, v71, s0
	v_cmp_u_f32_e64 s0, v58, v58
	v_add_f32_e32 v11, v12, v11
	v_bfe_u32 v67, v13, 16, 1
	s_delay_alu instid0(VALU_DEP_4)
	v_dual_mul_f32 v7, v7, v41 :: v_dual_and_b32 v14, 0xffff0000, v66
	v_bfe_u32 v66, v58, 16, 1
	v_mul_f32_e32 v62, v1, v62
	v_mul_f32_e32 v5, v5, v40
	;; [unrolled: 1-line block ×3, first 2 shown]
	v_add_f32_e32 v12, v14, v65
	v_add3_u32 v14, v66, v58, 0x7fff
	v_or_b32_e32 v65, 0x400000, v58
	v_add3_u32 v66, v67, v13, 0x7fff
	v_or_b32_e32 v67, 0x400000, v13
	v_bfe_u32 v58, v64, 16, 1
	s_wait_alu 0xf1ff
	v_cndmask_b32_e64 v14, v14, v65, s0
	v_cmp_u_f32_e64 s0, v13, v13
	v_or_b32_e32 v65, 0x400000, v64
	v_add3_u32 v58, v58, v64, 0x7fff
	s_delay_alu instid0(VALU_DEP_4)
	v_and_b32_e32 v14, 0xffff0000, v14
	s_wait_alu 0xf1ff
	v_cndmask_b32_e64 v13, v66, v67, s0
	v_bfe_u32 v66, v63, 16, 1
	v_cmp_u_f32_e64 s0, v64, v64
	v_bfe_u32 v67, v61, 16, 1
	s_delay_alu instid0(VALU_DEP_4) | instskip(NEXT) | instid1(VALU_DEP_4)
	v_and_b32_e32 v13, 0xffff0000, v13
	v_add3_u32 v64, v66, v63, 0x7fff
	s_wait_alu 0xf1ff
	v_cndmask_b32_e64 v58, v58, v65, s0
	v_or_b32_e32 v65, 0x400000, v63
	v_bfe_u32 v66, v62, 16, 1
	v_cmp_u_f32_e64 s0, v63, v63
	v_add_f32_e32 v13, v13, v14
	v_and_b32_e32 v58, 0xffff0000, v58
	s_wait_alu 0xf1ff
	s_delay_alu instid0(VALU_DEP_3)
	v_cndmask_b32_e64 v63, v64, v65, s0
	v_add3_u32 v64, v66, v62, 0x7fff
	v_or_b32_e32 v65, 0x400000, v62
	v_cmp_u_f32_e64 s0, v62, v62
	v_add3_u32 v66, v67, v61, 0x7fff
	v_or_b32_e32 v67, 0x400000, v61
	v_and_b32_e32 v63, 0xffff0000, v63
	s_wait_alu 0xf1ff
	v_cndmask_b32_e64 v62, v64, v65, s0
	v_cmp_u_f32_e64 s0, v61, v61
	v_mul_f32_e32 v60, v4, v60
	v_add_f32_e32 v14, v63, v58
	v_mul_f32_e32 v4, v4, v35
	v_add3_u32 v35, v36, v6, 0x7fff
	s_wait_alu 0xf1ff
	v_cndmask_b32_e64 v61, v66, v67, s0
	v_bfe_u32 v66, v59, 16, 1
	v_add_f32_e32 v13, v14, v13
	v_or_b32_e32 v36, 0x400000, v6
	s_delay_alu instid0(VALU_DEP_4)
	v_and_b32_e32 v58, 0xffff0000, v61
	v_and_b32_e32 v61, 0xffff0000, v62
	v_bfe_u32 v68, v60, 16, 1
	v_or_b32_e32 v65, 0x400000, v60
	v_cmp_u_f32_e64 s0, v60, v60
	v_bfe_u32 v62, v55, 16, 1
	v_add_f32_e32 v14, v58, v61
	v_add3_u32 v64, v68, v60, 0x7fff
	v_or_b32_e32 v61, 0x400000, v56
	s_delay_alu instid0(VALU_DEP_3) | instskip(SKIP_1) | instid1(VALU_DEP_3)
	v_add_f32_e32 v13, v14, v13
	s_wait_alu 0xf1ff
	v_cndmask_b32_e64 v60, v64, v65, s0
	v_add3_u32 v64, v66, v59, 0x7fff
	v_or_b32_e32 v65, 0x400000, v59
	v_cmp_u_f32_e64 s0, v59, v59
	v_bfe_u32 v14, v56, 16, 1
	s_wait_alu 0xf1ff
	s_delay_alu instid0(VALU_DEP_2) | instskip(SKIP_1) | instid1(VALU_DEP_3)
	v_cndmask_b32_e64 v59, v64, v65, s0
	v_cmp_u_f32_e64 s0, v57, v57
	v_add3_u32 v14, v14, v56, 0x7fff
	s_delay_alu instid0(VALU_DEP_3) | instskip(SKIP_2) | instid1(VALU_DEP_2)
	v_and_b32_e32 v58, 0xffff0000, v59
	v_and_b32_e32 v59, 0xffff0000, v60
	v_bfe_u32 v60, v57, 16, 1
	v_add_f32_e32 v58, v58, v59
	s_delay_alu instid0(VALU_DEP_2) | instskip(SKIP_2) | instid1(VALU_DEP_1)
	v_add3_u32 v59, v60, v57, 0x7fff
	v_or_b32_e32 v60, 0x400000, v57
	s_wait_alu 0xf1ff
	v_cndmask_b32_e64 v57, v59, v60, s0
	v_cmp_u_f32_e64 s0, v56, v56
	v_add3_u32 v56, v62, v55, 0x7fff
	v_or_b32_e32 v59, 0x400000, v55
	v_bfe_u32 v60, v54, 16, 1
	v_bfe_u32 v62, v51, 16, 1
	s_wait_alu 0xf1ff
	v_cndmask_b32_e64 v14, v14, v61, s0
	v_cmp_u_f32_e64 s0, v55, v55
	v_bfe_u32 v61, v52, 16, 1
	v_and_b32_e32 v57, 0xffff0000, v57
	s_delay_alu instid0(VALU_DEP_4)
	v_and_b32_e32 v14, 0xffff0000, v14
	s_wait_alu 0xf1ff
	v_cndmask_b32_e64 v55, v56, v59, s0
	v_add3_u32 v56, v60, v54, 0x7fff
	v_or_b32_e32 v59, 0x400000, v54
	v_bfe_u32 v60, v53, 16, 1
	v_cmp_u_f32_e64 s0, v54, v54
	v_and_b32_e32 v55, 0xffff0000, v55
	s_wait_alu 0xf1ff
	s_delay_alu instid0(VALU_DEP_2)
	v_cndmask_b32_e64 v54, v56, v59, s0
	v_add3_u32 v56, v60, v53, 0x7fff
	v_or_b32_e32 v59, 0x400000, v53
	v_cmp_u_f32_e64 s0, v53, v53
	v_add3_u32 v60, v61, v52, 0x7fff
	v_or_b32_e32 v61, 0x400000, v52
	v_and_b32_e32 v54, 0xffff0000, v54
	s_wait_alu 0xf1ff
	v_cndmask_b32_e64 v53, v56, v59, s0
	v_cmp_u_f32_e64 s0, v52, v52
	v_add3_u32 v56, v62, v51, 0x7fff
	v_or_b32_e32 v59, 0x400000, v51
	s_delay_alu instid0(VALU_DEP_4) | instskip(SKIP_3) | instid1(VALU_DEP_2)
	v_dual_add_f32 v54, v54, v55 :: v_dual_and_b32 v53, 0xffff0000, v53
	s_wait_alu 0xf1ff
	v_cndmask_b32_e64 v52, v60, v61, s0
	v_cmp_u_f32_e64 s0, v51, v51
	v_and_b32_e32 v52, 0xffff0000, v52
	s_wait_alu 0xf1ff
	s_delay_alu instid0(VALU_DEP_2)
	v_cndmask_b32_e64 v51, v56, v59, s0
	v_bfe_u32 v56, v50, 16, 1
	v_add_f32_e32 v14, v14, v57
	v_cmp_u_f32_e64 s0, v50, v50
	v_add_f32_e32 v52, v52, v53
	v_bfe_u32 v53, v49, 16, 1
	v_add3_u32 v55, v56, v50, 0x7fff
	v_or_b32_e32 v56, 0x400000, v50
	v_dual_add_f32 v14, v54, v14 :: v_dual_and_b32 v51, 0xffff0000, v51
	v_bfe_u32 v54, v48, 16, 1
	s_wait_alu 0xf1ff
	s_delay_alu instid0(VALU_DEP_3)
	v_cndmask_b32_e64 v50, v55, v56, s0
	v_cmp_u_f32_e64 s0, v49, v49
	v_add_f32_e32 v14, v52, v14
	v_add3_u32 v52, v53, v49, 0x7fff
	v_or_b32_e32 v53, 0x400000, v49
	v_or_b32_e32 v55, 0x400000, v47
	s_wait_alu 0xf1ff
	s_delay_alu instid0(VALU_DEP_2)
	v_cndmask_b32_e64 v49, v52, v53, s0
	v_bfe_u32 v52, v47, 16, 1
	v_add3_u32 v53, v54, v48, 0x7fff
	v_or_b32_e32 v54, 0x400000, v48
	v_cmp_u_f32_e64 s0, v48, v48
	v_and_b32_e32 v49, 0xffff0000, v49
	v_add3_u32 v52, v52, v47, 0x7fff
	s_wait_alu 0xf1ff
	s_delay_alu instid0(VALU_DEP_3) | instskip(SKIP_3) | instid1(VALU_DEP_4)
	v_cndmask_b32_e64 v48, v53, v54, s0
	v_bfe_u32 v53, v46, 16, 1
	v_cmp_u_f32_e64 s0, v47, v47
	v_or_b32_e32 v54, 0x400000, v46
	v_and_b32_e32 v48, 0xffff0000, v48
	s_delay_alu instid0(VALU_DEP_4)
	v_add3_u32 v53, v53, v46, 0x7fff
	s_wait_alu 0xf1ff
	v_cndmask_b32_e64 v47, v52, v55, s0
	v_bfe_u32 v52, v45, 16, 1
	v_cmp_u_f32_e64 s0, v46, v46
	v_or_b32_e32 v55, 0x400000, v45
	s_delay_alu instid0(VALU_DEP_4) | instskip(NEXT) | instid1(VALU_DEP_4)
	v_dual_add_f32 v48, v48, v49 :: v_dual_and_b32 v47, 0xffff0000, v47
	v_add3_u32 v52, v52, v45, 0x7fff
	s_wait_alu 0xf1ff
	v_cndmask_b32_e64 v46, v53, v54, s0
	v_bfe_u32 v53, v44, 16, 1
	v_cmp_u_f32_e64 s0, v45, v45
	v_bfe_u32 v54, v43, 16, 1
	s_delay_alu instid0(VALU_DEP_4) | instskip(SKIP_1) | instid1(VALU_DEP_3)
	v_and_b32_e32 v46, 0xffff0000, v46
	s_wait_alu 0xf1ff
	v_cndmask_b32_e64 v45, v52, v55, s0
	v_add3_u32 v52, v53, v44, 0x7fff
	v_or_b32_e32 v53, 0x400000, v44
	v_mul_f32_e32 v42, v8, v42
	v_cmp_u_f32_e64 s0, v44, v44
	v_add3_u32 v54, v54, v43, 0x7fff
	v_or_b32_e32 v55, 0x400000, v43
	v_dual_add_f32 v46, v46, v47 :: v_dual_and_b32 v45, 0xffff0000, v45
	s_wait_alu 0xf1ff
	v_cndmask_b32_e64 v44, v52, v53, s0
	v_cmp_u_f32_e64 s0, v43, v43
	v_bfe_u32 v52, v42, 16, 1
	v_or_b32_e32 v53, 0x400000, v42
	s_delay_alu instid0(VALU_DEP_4)
	v_and_b32_e32 v44, 0xffff0000, v44
	s_wait_alu 0xf1ff
	v_cndmask_b32_e64 v43, v54, v55, s0
	v_add3_u32 v52, v52, v42, 0x7fff
	v_cmp_u_f32_e64 s0, v42, v42
	v_add_f32_e32 v42, v46, v48
	v_bfe_u32 v46, v7, 16, 1
	v_add_f32_e32 v44, v44, v45
	v_or_b32_e32 v45, 0x400000, v7
	s_wait_alu 0xf1ff
	v_cndmask_b32_e64 v41, v52, v53, s0
	v_cmp_u_f32_e64 s0, v7, v7
	s_delay_alu instid0(VALU_DEP_2) | instskip(SKIP_3) | instid1(VALU_DEP_2)
	v_and_b32_e32 v40, 0xffff0000, v41
	v_add3_u32 v41, v46, v7, 0x7fff
	v_bfe_u32 v46, v5, 16, 1
	s_wait_alu 0xf1ff
	v_cndmask_b32_e64 v7, v41, v45, s0
	s_delay_alu instid0(VALU_DEP_2) | instskip(SKIP_4) | instid1(VALU_DEP_3)
	v_add3_u32 v39, v46, v5, 0x7fff
	v_or_b32_e32 v41, 0x400000, v5
	v_bfe_u32 v45, v3, 16, 1
	v_cmp_u_f32_e64 s0, v5, v5
	v_and_b32_e32 v7, 0xffff0000, v7
	v_add3_u32 v38, v45, v3, 0x7fff
	s_wait_alu 0xf1ff
	s_delay_alu instid0(VALU_DEP_3) | instskip(SKIP_3) | instid1(VALU_DEP_4)
	v_cndmask_b32_e64 v5, v39, v41, s0
	v_or_b32_e32 v39, 0x400000, v3
	v_bfe_u32 v41, v2, 16, 1
	v_cmp_u_f32_e64 s0, v3, v3
	v_and_b32_e32 v5, 0xffff0000, v5
	s_delay_alu instid0(VALU_DEP_3) | instskip(SKIP_1) | instid1(VALU_DEP_3)
	v_add3_u32 v37, v41, v2, 0x7fff
	s_wait_alu 0xf1ff
	v_cndmask_b32_e64 v3, v38, v39, s0
	v_or_b32_e32 v38, 0x400000, v2
	v_bfe_u32 v39, v1, 16, 1
	v_cmp_u_f32_e64 s0, v2, v2
	s_delay_alu instid0(VALU_DEP_4)
	v_dual_mul_f32 v8, v8, v34 :: v_dual_and_b32 v3, 0xffff0000, v3
	v_or_b32_e32 v34, 0x400000, v1
	v_add_f32_e32 v5, v5, v7
	s_wait_alu 0xf1ff
	v_cndmask_b32_e64 v2, v37, v38, s0
	v_add3_u32 v37, v39, v1, 0x7fff
	v_cmp_u_f32_e64 s0, v1, v1
	v_bfe_u32 v39, v8, 16, 1
	v_add_f32_e32 v7, v44, v42
	v_and_b32_e32 v2, 0xffff0000, v2
	s_wait_alu 0xf1ff
	v_cndmask_b32_e64 v1, v37, v34, s0
	v_cmp_u_f32_e64 s0, v6, v6
	s_delay_alu instid0(VALU_DEP_2) | instskip(SKIP_1) | instid1(VALU_DEP_2)
	v_dual_add_f32 v2, v2, v3 :: v_dual_and_b32 v1, 0xffff0000, v1
	s_wait_alu 0xf1ff
	v_cndmask_b32_e64 v6, v35, v36, s0
	v_add3_u32 v35, v39, v8, 0x7fff
	v_or_b32_e32 v36, 0x400000, v8
	v_cmp_u_f32_e64 s0, v8, v8
	s_delay_alu instid0(VALU_DEP_4)
	v_and_b32_e32 v3, 0xffff0000, v6
	v_bfe_u32 v38, v4, 16, 1
	v_or_b32_e32 v37, 0x400000, v4
	s_wait_alu 0xf1ff
	v_cndmask_b32_e64 v8, v35, v36, s0
	v_cmp_u_f32_e64 s0, v4, v4
	v_add_f32_e32 v2, v2, v5
	v_add3_u32 v34, v38, v4, 0x7fff
	v_add_f32_e32 v1, v3, v1
	v_and_b32_e32 v3, 0xffff0000, v8
	v_and_b32_e32 v6, 0xffff0000, v43
	s_wait_alu 0xf1ff
	v_cndmask_b32_e64 v4, v34, v37, s0
	v_add_f32_e32 v1, v1, v2
	s_delay_alu instid0(VALU_DEP_3) | instskip(NEXT) | instid1(VALU_DEP_3)
	v_add_f32_e32 v6, v40, v6
	v_and_b32_e32 v4, 0xffff0000, v4
	s_delay_alu instid0(VALU_DEP_2) | instskip(NEXT) | instid1(VALU_DEP_2)
	v_add_f32_e32 v6, v6, v7
	v_dual_add_f32 v2, v3, v4 :: v_dual_add_f32 v3, v12, v11
	v_add_f32_e32 v4, v58, v13
	s_delay_alu instid0(VALU_DEP_2) | instskip(NEXT) | instid1(VALU_DEP_3)
	v_dual_add_f32 v28, v28, v6 :: v_dual_add_f32 v1, v2, v1
	v_dual_add_f32 v25, v25, v3 :: v_dual_and_b32 v50, 0xffff0000, v50
	s_delay_alu instid0(VALU_DEP_2) | instskip(NEXT) | instid1(VALU_DEP_2)
	v_dual_add_f32 v26, v26, v4 :: v_dual_add_f32 v29, v29, v1
	v_add_f32_e32 v5, v50, v51
	s_delay_alu instid0(VALU_DEP_1) | instskip(NEXT) | instid1(VALU_DEP_1)
	v_add_f32_e32 v5, v5, v14
	v_add_f32_e32 v27, v27, v5
.LBB336_44:                             ;   in Loop: Header=BB336_45 Depth=1
	s_wait_alu 0xfffe
	s_or_b32 exec_lo, exec_lo, s13
	v_add_nc_u32_e32 v19, 4, v19
	v_add_co_u32 v9, s1, v9, 16
	s_wait_alu 0xf1ff
	v_add_co_ci_u32_e64 v10, null, 0, v10, s1
	s_delay_alu instid0(VALU_DEP_3)
	v_cmp_le_i32_e64 s0, s46, v19
	v_add_nc_u32_e32 v18, 64, v18
	v_add_nc_u32_e32 v33, 0x100, v33
	s_or_b32 s11, s0, s11
	s_wait_alu 0xfffe
	s_and_not1_b32 exec_lo, exec_lo, s11
	s_cbranch_execz .LBB336_63
.LBB336_45:                             ; =>This Inner Loop Header: Depth=1
	v_sub_nc_u32_e32 v1, 0, v18
	s_delay_alu instid0(VALU_DEP_1) | instskip(NEXT) | instid1(VALU_DEP_1)
	v_max_i32_e32 v1, v18, v1
	v_mul_hi_u32 v2, v1, s40
	s_delay_alu instid0(VALU_DEP_1) | instskip(NEXT) | instid1(VALU_DEP_1)
	v_mul_lo_u32 v3, v2, s35
	v_sub_nc_u32_e32 v1, v1, v3
	v_add_nc_u32_e32 v3, 1, v2
	s_delay_alu instid0(VALU_DEP_2) | instskip(SKIP_2) | instid1(VALU_DEP_1)
	v_subrev_nc_u32_e32 v4, s35, v1
	v_cmp_le_u32_e64 s0, s35, v1
	s_wait_alu 0xf1ff
	v_cndmask_b32_e64 v2, v2, v3, s0
	s_delay_alu instid0(VALU_DEP_3) | instskip(SKIP_1) | instid1(VALU_DEP_3)
	v_cndmask_b32_e64 v1, v1, v4, s0
	v_ashrrev_i32_e32 v3, 31, v18
	v_add_nc_u32_e32 v4, 1, v2
	s_delay_alu instid0(VALU_DEP_3) | instskip(NEXT) | instid1(VALU_DEP_3)
	v_cmp_le_u32_e64 s0, s35, v1
	v_xor_b32_e32 v3, s41, v3
	s_wait_alu 0xf1ff
	s_delay_alu instid0(VALU_DEP_2) | instskip(NEXT) | instid1(VALU_DEP_1)
	v_cndmask_b32_e64 v1, v2, v4, s0
	v_xor_b32_e32 v1, v1, v3
	s_delay_alu instid0(VALU_DEP_1) | instskip(NEXT) | instid1(VALU_DEP_1)
	v_sub_nc_u32_e32 v1, v1, v3
	v_add_nc_u32_e32 v2, s36, v1
	v_cmp_lt_i32_e64 s1, s6, v1
	s_delay_alu instid0(VALU_DEP_2) | instskip(NEXT) | instid1(VALU_DEP_1)
	v_sub_nc_u32_e32 v3, 0, v2
	v_max_i32_e32 v3, v2, v3
	v_ashrrev_i32_e32 v2, 31, v2
	s_wait_alu 0xfffe
	s_delay_alu instid0(VALU_DEP_2) | instskip(NEXT) | instid1(VALU_DEP_1)
	v_mul_hi_u32 v4, v3, s12
	v_mul_lo_u32 v4, v4, s5
	s_delay_alu instid0(VALU_DEP_1) | instskip(NEXT) | instid1(VALU_DEP_1)
	v_sub_nc_u32_e32 v3, v3, v4
	v_subrev_nc_u32_e32 v4, s5, v3
	v_cmp_le_u32_e64 s0, s5, v3
	s_wait_alu 0xf1ff
	s_delay_alu instid0(VALU_DEP_1) | instskip(NEXT) | instid1(VALU_DEP_1)
	v_cndmask_b32_e64 v3, v3, v4, s0
	v_subrev_nc_u32_e32 v4, s5, v3
	v_cmp_le_u32_e64 s0, s5, v3
	s_wait_alu 0xf1ff
	s_delay_alu instid0(VALU_DEP_1) | instskip(NEXT) | instid1(VALU_DEP_1)
	v_cndmask_b32_e64 v3, v3, v4, s0
	v_xor_b32_e32 v3, v3, v2
	s_delay_alu instid0(VALU_DEP_1) | instskip(NEXT) | instid1(VALU_DEP_1)
	v_sub_nc_u32_e32 v2, v3, v2
	v_cmp_eq_u32_e64 s0, 0, v2
	s_or_b32 s0, s0, s1
	s_wait_alu 0xfffe
	s_and_saveexec_b32 s13, s0
	s_cbranch_execz .LBB336_44
; %bb.46:                               ;   in Loop: Header=BB336_45 Depth=1
	global_load_b32 v1, v[9:10], off
	s_load_b32 s14, s[30:31], 0x0
	s_wait_loadcnt 0x0
	v_mad_co_i64_i32 v[11:12], null, v1, s7, s[2:3]
	s_delay_alu instid0(VALU_DEP_1) | instskip(SKIP_1) | instid1(VALU_DEP_2)
	v_add_co_u32 v13, s0, v11, v31
	s_wait_alu 0xf1ff
	v_add_co_ci_u32_e64 v14, null, 0, v12, s0
	v_cmp_eq_u32_e64 s0, s52, v19
	global_load_b64 v[34:35], v[13:14], off
	ds_load_2addr_b64 v[5:8], v33 offset1:1
	ds_load_2addr_b64 v[1:4], v33 offset0:2 offset1:3
	s_wait_loadcnt 0x0
	v_and_b32_e32 v39, 0xff, v35
	v_bfe_u32 v37, v34, 8, 8
	v_bfe_u32 v38, v34, 16, 8
	;; [unrolled: 1-line block ×4, first 2 shown]
	v_cvt_f32_fp8_e32 v39, v39
	v_and_b32_e32 v36, 0xff, v34
	v_cvt_f32_fp8_e32 v37, v37
	v_add_nc_u32_e32 v58, v30, v18
	v_lshrrev_b32_e32 v34, 24, v34
	s_wait_kmcnt 0x0
	v_mul_f32_e32 v39, s14, v39
	v_cvt_f32_fp8_e32 v36, v36
	v_cvt_f32_fp8_e32 v38, v38
	v_mul_f32_e32 v37, s14, v37
	v_lshrrev_b32_e32 v35, 24, v35
	v_cvt_f32_fp8_e32 v34, v34
	v_mul_f32_e32 v36, s14, v36
	v_cvt_f32_fp8_e32 v41, v41
	v_mul_f32_e32 v38, s14, v38
	v_bfe_u32 v44, v37, 16, 1
	v_cvt_f32_fp8_e32 v35, v35
	v_bfe_u32 v42, v36, 16, 1
	v_or_b32_e32 v43, 0x400000, v36
	v_cmp_u_f32_e64 s1, v36, v36
	s_delay_alu instid0(VALU_DEP_4) | instskip(NEXT) | instid1(VALU_DEP_4)
	v_dual_mul_f32 v34, s14, v34 :: v_dual_mul_f32 v35, s14, v35
	v_add3_u32 v42, v42, v36, 0x7fff
	v_mul_f32_e32 v41, s14, v41
	v_or_b32_e32 v45, 0x400000, v37
	v_bfe_u32 v46, v38, 16, 1
	v_add3_u32 v44, v44, v37, 0x7fff
	s_wait_alu 0xf1ff
	v_cndmask_b32_e64 v36, v42, v43, s1
	v_cmp_u_f32_e64 s1, v37, v37
	v_cvt_f32_fp8_e32 v40, v40
	v_or_b32_e32 v47, 0x400000, v38
	v_bfe_u32 v48, v34, 16, 1
	v_add3_u32 v46, v46, v38, 0x7fff
	s_wait_alu 0xf1ff
	v_cndmask_b32_e64 v37, v44, v45, s1
	v_cmp_u_f32_e64 s1, v38, v38
	v_mul_f32_e32 v40, s14, v40
	v_or_b32_e32 v49, 0x400000, v34
	v_bfe_u32 v50, v39, 16, 1
	v_add3_u32 v48, v48, v34, 0x7fff
	s_wait_alu 0xf1ff
	v_cndmask_b32_e64 v38, v46, v47, s1
	v_cmp_u_f32_e64 s1, v34, v34
	v_or_b32_e32 v51, 0x400000, v39
	v_bfe_u32 v52, v40, 16, 1
	v_add3_u32 v50, v50, v39, 0x7fff
	v_or_b32_e32 v53, 0x400000, v40
	s_wait_alu 0xf1ff
	v_cndmask_b32_e64 v34, v48, v49, s1
	v_cmp_u_f32_e64 s1, v39, v39
	v_bfe_u32 v54, v41, 16, 1
	v_add3_u32 v52, v52, v40, 0x7fff
	v_or_b32_e32 v55, 0x400000, v41
	v_bfe_u32 v56, v35, 16, 1
	s_wait_alu 0xf1ff
	v_cndmask_b32_e64 v42, v50, v51, s1
	v_cmp_u_f32_e64 s1, v40, v40
	v_add3_u32 v54, v54, v41, 0x7fff
	v_or_b32_e32 v57, 0x400000, v35
	v_add3_u32 v56, v56, v35, 0x7fff
	v_lshrrev_b32_e32 v40, 16, v36
	s_wait_alu 0xf1ff
	v_cndmask_b32_e64 v43, v52, v53, s1
	v_cmp_u_f32_e64 s1, v41, v41
	v_lshrrev_b32_e32 v41, 16, v37
	v_lshrrev_b32_e32 v38, 16, v38
	;; [unrolled: 1-line block ×4, first 2 shown]
	s_wait_alu 0xf1ff
	v_cndmask_b32_e64 v44, v54, v55, s1
	v_cmp_u_f32_e64 s1, v35, v35
	v_lshrrev_b32_e32 v37, 16, v43
	s_delay_alu instid0(VALU_DEP_3) | instskip(SKIP_1) | instid1(VALU_DEP_3)
	v_lshrrev_b32_e32 v34, 16, v44
	s_wait_alu 0xf1ff
	v_cndmask_b32_e64 v35, v56, v57, s1
	s_delay_alu instid0(VALU_DEP_1)
	v_lshrrev_b32_e32 v35, 16, v35
	s_and_saveexec_b32 s15, s0
	s_cbranch_execz .LBB336_48
; %bb.47:                               ;   in Loop: Header=BB336_45 Depth=1
	v_add_nc_u32_e32 v42, 1, v58
	v_cmp_gt_i32_e64 s1, s48, v58
	v_add_nc_u32_e32 v43, 2, v58
	v_add_nc_u32_e32 v44, 3, v58
	s_wait_alu 0xf1ff
	s_delay_alu instid0(VALU_DEP_3) | instskip(SKIP_3) | instid1(VALU_DEP_2)
	v_cndmask_b32_e64 v40, 0, v40, s1
	v_cmp_gt_i32_e64 s1, s48, v42
	v_add_nc_u32_e32 v42, 4, v58
	s_wait_alu 0xf1ff
	v_cndmask_b32_e64 v41, 0, v41, s1
	v_cmp_gt_i32_e64 s1, s48, v43
	v_add_nc_u32_e32 v43, 5, v58
	s_wait_alu 0xf1ff
	s_delay_alu instid0(VALU_DEP_2) | instskip(SKIP_3) | instid1(VALU_DEP_2)
	v_cndmask_b32_e64 v38, 0, v38, s1
	v_cmp_gt_i32_e64 s1, s48, v44
	v_add_nc_u32_e32 v44, 6, v58
	s_wait_alu 0xf1ff
	v_cndmask_b32_e64 v39, 0, v39, s1
	v_cmp_gt_i32_e64 s1, s48, v42
	v_add_nc_u32_e32 v42, 7, v58
	s_wait_alu 0xf1ff
	s_delay_alu instid0(VALU_DEP_2) | instskip(SKIP_2) | instid1(VALU_DEP_1)
	v_cndmask_b32_e64 v36, 0, v36, s1
	v_cmp_gt_i32_e64 s1, s48, v43
	s_wait_alu 0xf1ff
	v_cndmask_b32_e64 v37, 0, v37, s1
	v_cmp_gt_i32_e64 s1, s48, v44
	s_wait_alu 0xf1ff
	s_delay_alu instid0(VALU_DEP_1) | instskip(SKIP_2) | instid1(VALU_DEP_1)
	v_cndmask_b32_e64 v34, 0, v34, s1
	v_cmp_gt_i32_e64 s1, s48, v42
	s_wait_alu 0xf1ff
	v_cndmask_b32_e64 v35, 0, v35, s1
.LBB336_48:                             ;   in Loop: Header=BB336_45 Depth=1
	s_wait_alu 0xfffe
	s_or_b32 exec_lo, exec_lo, s15
	global_load_b64 v[42:43], v[13:14], off offset:256
	s_wait_loadcnt 0x0
	v_bfe_u32 v45, v42, 8, 8
	v_bfe_u32 v46, v42, 16, 8
	;; [unrolled: 1-line block ×4, first 2 shown]
	s_delay_alu instid0(VALU_DEP_4)
	v_cvt_f32_fp8_e32 v45, v45
	v_and_b32_e32 v44, 0xff, v42
	v_lshrrev_b32_e32 v42, 24, v42
	v_cvt_f32_fp8_e32 v46, v46
	v_cvt_f32_fp8_e32 v49, v49
	v_mul_f32_e32 v45, s14, v45
	v_cvt_f32_fp8_e32 v44, v44
	v_and_b32_e32 v47, 0xff, v43
	v_cvt_f32_fp8_e32 v42, v42
	v_lshrrev_b32_e32 v43, 24, v43
	v_bfe_u32 v52, v45, 16, 1
	v_mul_f32_e32 v44, s14, v44
	v_cvt_f32_fp8_e32 v47, v47
	v_mul_f32_e32 v46, s14, v46
	v_dual_mul_f32 v42, s14, v42 :: v_dual_mul_f32 v49, s14, v49
	s_delay_alu instid0(VALU_DEP_4)
	v_bfe_u32 v50, v44, 16, 1
	v_or_b32_e32 v51, 0x400000, v44
	v_cmp_u_f32_e64 s1, v44, v44
	v_mul_f32_e32 v47, s14, v47
	v_or_b32_e32 v53, 0x400000, v45
	v_add3_u32 v50, v50, v44, 0x7fff
	v_bfe_u32 v54, v46, 16, 1
	v_add3_u32 v52, v52, v45, 0x7fff
	v_cvt_f32_fp8_e32 v48, v48
	v_or_b32_e32 v55, 0x400000, v46
	s_wait_alu 0xf1ff
	v_cndmask_b32_e64 v44, v50, v51, s1
	v_cmp_u_f32_e64 s1, v45, v45
	v_bfe_u32 v56, v42, 16, 1
	v_add3_u32 v54, v54, v46, 0x7fff
	v_cvt_f32_fp8_e32 v43, v43
	v_mul_f32_e32 v48, s14, v48
	s_wait_alu 0xf1ff
	v_cndmask_b32_e64 v45, v52, v53, s1
	v_cmp_u_f32_e64 s1, v46, v46
	v_or_b32_e32 v57, 0x400000, v42
	v_bfe_u32 v59, v47, 16, 1
	v_add3_u32 v56, v56, v42, 0x7fff
	v_mul_f32_e32 v43, s14, v43
	s_wait_alu 0xf1ff
	v_cndmask_b32_e64 v46, v54, v55, s1
	v_cmp_u_f32_e64 s1, v42, v42
	v_or_b32_e32 v60, 0x400000, v47
	v_bfe_u32 v61, v48, 16, 1
	v_add3_u32 v59, v59, v47, 0x7fff
	v_or_b32_e32 v62, 0x400000, v48
	s_wait_alu 0xf1ff
	v_cndmask_b32_e64 v42, v56, v57, s1
	v_cmp_u_f32_e64 s1, v47, v47
	v_bfe_u32 v63, v49, 16, 1
	v_add3_u32 v61, v61, v48, 0x7fff
	v_or_b32_e32 v64, 0x400000, v49
	v_bfe_u32 v65, v43, 16, 1
	s_wait_alu 0xf1ff
	v_cndmask_b32_e64 v50, v59, v60, s1
	v_cmp_u_f32_e64 s1, v48, v48
	v_add3_u32 v63, v63, v49, 0x7fff
	v_or_b32_e32 v66, 0x400000, v43
	v_add3_u32 v65, v65, v43, 0x7fff
	v_lshrrev_b32_e32 v48, 16, v44
	s_wait_alu 0xf1ff
	v_cndmask_b32_e64 v51, v61, v62, s1
	v_cmp_u_f32_e64 s1, v49, v49
	v_lshrrev_b32_e32 v49, 16, v45
	v_lshrrev_b32_e32 v46, 16, v46
	v_lshrrev_b32_e32 v47, 16, v42
	v_lshrrev_b32_e32 v44, 16, v50
	s_wait_alu 0xf1ff
	v_cndmask_b32_e64 v52, v63, v64, s1
	v_cmp_u_f32_e64 s1, v43, v43
	v_lshrrev_b32_e32 v45, 16, v51
	s_delay_alu instid0(VALU_DEP_3) | instskip(SKIP_1) | instid1(VALU_DEP_3)
	v_lshrrev_b32_e32 v42, 16, v52
	s_wait_alu 0xf1ff
	v_cndmask_b32_e64 v43, v65, v66, s1
	s_delay_alu instid0(VALU_DEP_1)
	v_lshrrev_b32_e32 v43, 16, v43
	s_and_saveexec_b32 s15, s0
	s_cbranch_execz .LBB336_50
; %bb.49:                               ;   in Loop: Header=BB336_45 Depth=1
	v_add_nc_u32_e32 v50, 1, v58
	v_cmp_gt_i32_e64 s1, s48, v58
	v_add_nc_u32_e32 v51, 2, v58
	v_add_nc_u32_e32 v52, 3, v58
	s_wait_alu 0xf1ff
	s_delay_alu instid0(VALU_DEP_3) | instskip(SKIP_3) | instid1(VALU_DEP_2)
	v_cndmask_b32_e64 v48, 0, v48, s1
	v_cmp_gt_i32_e64 s1, s48, v50
	v_add_nc_u32_e32 v50, 4, v58
	s_wait_alu 0xf1ff
	v_cndmask_b32_e64 v49, 0, v49, s1
	v_cmp_gt_i32_e64 s1, s48, v51
	v_add_nc_u32_e32 v51, 5, v58
	s_wait_alu 0xf1ff
	s_delay_alu instid0(VALU_DEP_2) | instskip(SKIP_3) | instid1(VALU_DEP_2)
	v_cndmask_b32_e64 v46, 0, v46, s1
	v_cmp_gt_i32_e64 s1, s48, v52
	v_add_nc_u32_e32 v52, 6, v58
	s_wait_alu 0xf1ff
	v_cndmask_b32_e64 v47, 0, v47, s1
	v_cmp_gt_i32_e64 s1, s48, v50
	v_add_nc_u32_e32 v50, 7, v58
	s_wait_alu 0xf1ff
	s_delay_alu instid0(VALU_DEP_2) | instskip(SKIP_2) | instid1(VALU_DEP_1)
	v_cndmask_b32_e64 v44, 0, v44, s1
	v_cmp_gt_i32_e64 s1, s48, v51
	s_wait_alu 0xf1ff
	v_cndmask_b32_e64 v45, 0, v45, s1
	v_cmp_gt_i32_e64 s1, s48, v52
	s_wait_alu 0xf1ff
	s_delay_alu instid0(VALU_DEP_1) | instskip(SKIP_2) | instid1(VALU_DEP_1)
	v_cndmask_b32_e64 v42, 0, v42, s1
	v_cmp_gt_i32_e64 s1, s48, v50
	s_wait_alu 0xf1ff
	v_cndmask_b32_e64 v43, 0, v43, s1
.LBB336_50:                             ;   in Loop: Header=BB336_45 Depth=1
	s_wait_alu 0xfffe
	s_or_b32 exec_lo, exec_lo, s15
	global_load_b64 v[50:51], v[13:14], off offset:512
	s_wait_loadcnt 0x0
	v_bfe_u32 v53, v50, 8, 8
	v_bfe_u32 v54, v50, 16, 8
	;; [unrolled: 1-line block ×4, first 2 shown]
	s_delay_alu instid0(VALU_DEP_4)
	v_cvt_f32_fp8_e32 v53, v53
	v_and_b32_e32 v52, 0xff, v50
	v_lshrrev_b32_e32 v50, 24, v50
	v_cvt_f32_fp8_e32 v54, v54
	v_cvt_f32_fp8_e32 v57, v57
	v_mul_f32_e32 v53, s14, v53
	v_cvt_f32_fp8_e32 v52, v52
	v_and_b32_e32 v55, 0xff, v51
	v_cvt_f32_fp8_e32 v50, v50
	v_lshrrev_b32_e32 v51, 24, v51
	v_bfe_u32 v61, v53, 16, 1
	v_mul_f32_e32 v52, s14, v52
	v_cvt_f32_fp8_e32 v55, v55
	v_mul_f32_e32 v54, s14, v54
	v_dual_mul_f32 v50, s14, v50 :: v_dual_mul_f32 v57, s14, v57
	s_delay_alu instid0(VALU_DEP_4)
	v_bfe_u32 v59, v52, 16, 1
	v_or_b32_e32 v60, 0x400000, v52
	v_cmp_u_f32_e64 s1, v52, v52
	v_mul_f32_e32 v55, s14, v55
	v_or_b32_e32 v62, 0x400000, v53
	v_add3_u32 v59, v59, v52, 0x7fff
	v_bfe_u32 v63, v54, 16, 1
	v_add3_u32 v61, v61, v53, 0x7fff
	v_cvt_f32_fp8_e32 v56, v56
	v_or_b32_e32 v64, 0x400000, v54
	s_wait_alu 0xf1ff
	v_cndmask_b32_e64 v52, v59, v60, s1
	v_cmp_u_f32_e64 s1, v53, v53
	v_bfe_u32 v65, v50, 16, 1
	v_add3_u32 v63, v63, v54, 0x7fff
	v_cvt_f32_fp8_e32 v51, v51
	v_mul_f32_e32 v56, s14, v56
	s_wait_alu 0xf1ff
	v_cndmask_b32_e64 v53, v61, v62, s1
	v_cmp_u_f32_e64 s1, v54, v54
	v_or_b32_e32 v66, 0x400000, v50
	v_bfe_u32 v67, v55, 16, 1
	v_add3_u32 v65, v65, v50, 0x7fff
	v_mul_f32_e32 v51, s14, v51
	s_wait_alu 0xf1ff
	v_cndmask_b32_e64 v54, v63, v64, s1
	v_cmp_u_f32_e64 s1, v50, v50
	v_or_b32_e32 v68, 0x400000, v55
	v_bfe_u32 v69, v56, 16, 1
	v_add3_u32 v67, v67, v55, 0x7fff
	v_or_b32_e32 v70, 0x400000, v56
	s_wait_alu 0xf1ff
	v_cndmask_b32_e64 v50, v65, v66, s1
	v_cmp_u_f32_e64 s1, v55, v55
	v_bfe_u32 v71, v57, 16, 1
	v_add3_u32 v69, v69, v56, 0x7fff
	v_or_b32_e32 v72, 0x400000, v57
	v_bfe_u32 v73, v51, 16, 1
	s_wait_alu 0xf1ff
	v_cndmask_b32_e64 v59, v67, v68, s1
	v_cmp_u_f32_e64 s1, v56, v56
	v_add3_u32 v71, v71, v57, 0x7fff
	v_or_b32_e32 v74, 0x400000, v51
	v_add3_u32 v73, v73, v51, 0x7fff
	v_lshrrev_b32_e32 v56, 16, v52
	s_wait_alu 0xf1ff
	v_cndmask_b32_e64 v60, v69, v70, s1
	v_cmp_u_f32_e64 s1, v57, v57
	v_lshrrev_b32_e32 v57, 16, v53
	v_lshrrev_b32_e32 v54, 16, v54
	;; [unrolled: 1-line block ×4, first 2 shown]
	s_wait_alu 0xf1ff
	v_cndmask_b32_e64 v61, v71, v72, s1
	v_cmp_u_f32_e64 s1, v51, v51
	v_lshrrev_b32_e32 v53, 16, v60
	s_delay_alu instid0(VALU_DEP_3) | instskip(SKIP_1) | instid1(VALU_DEP_3)
	v_lshrrev_b32_e32 v50, 16, v61
	s_wait_alu 0xf1ff
	v_cndmask_b32_e64 v51, v73, v74, s1
	s_delay_alu instid0(VALU_DEP_1)
	v_lshrrev_b32_e32 v51, 16, v51
	s_and_saveexec_b32 s15, s0
	s_cbranch_execz .LBB336_52
; %bb.51:                               ;   in Loop: Header=BB336_45 Depth=1
	v_add_nc_u32_e32 v59, 1, v58
	v_cmp_gt_i32_e64 s1, s48, v58
	v_add_nc_u32_e32 v60, 2, v58
	v_add_nc_u32_e32 v61, 3, v58
	s_wait_alu 0xf1ff
	s_delay_alu instid0(VALU_DEP_3) | instskip(SKIP_3) | instid1(VALU_DEP_2)
	v_cndmask_b32_e64 v56, 0, v56, s1
	v_cmp_gt_i32_e64 s1, s48, v59
	v_add_nc_u32_e32 v59, 4, v58
	s_wait_alu 0xf1ff
	v_cndmask_b32_e64 v57, 0, v57, s1
	v_cmp_gt_i32_e64 s1, s48, v60
	v_add_nc_u32_e32 v60, 5, v58
	s_wait_alu 0xf1ff
	s_delay_alu instid0(VALU_DEP_2) | instskip(SKIP_3) | instid1(VALU_DEP_2)
	v_cndmask_b32_e64 v54, 0, v54, s1
	v_cmp_gt_i32_e64 s1, s48, v61
	v_add_nc_u32_e32 v61, 6, v58
	s_wait_alu 0xf1ff
	v_cndmask_b32_e64 v55, 0, v55, s1
	v_cmp_gt_i32_e64 s1, s48, v59
	v_add_nc_u32_e32 v59, 7, v58
	s_wait_alu 0xf1ff
	s_delay_alu instid0(VALU_DEP_2) | instskip(SKIP_2) | instid1(VALU_DEP_1)
	v_cndmask_b32_e64 v52, 0, v52, s1
	v_cmp_gt_i32_e64 s1, s48, v60
	s_wait_alu 0xf1ff
	v_cndmask_b32_e64 v53, 0, v53, s1
	v_cmp_gt_i32_e64 s1, s48, v61
	s_wait_alu 0xf1ff
	s_delay_alu instid0(VALU_DEP_1) | instskip(SKIP_2) | instid1(VALU_DEP_1)
	v_cndmask_b32_e64 v50, 0, v50, s1
	v_cmp_gt_i32_e64 s1, s48, v59
	s_wait_alu 0xf1ff
	v_cndmask_b32_e64 v51, 0, v51, s1
.LBB336_52:                             ;   in Loop: Header=BB336_45 Depth=1
	s_wait_alu 0xfffe
	s_or_b32 exec_lo, exec_lo, s15
	global_load_b64 v[59:60], v[13:14], off offset:768
	s_wait_loadcnt 0x0
	v_bfe_u32 v62, v59, 8, 8
	v_bfe_u32 v63, v59, 16, 8
	;; [unrolled: 1-line block ×4, first 2 shown]
	s_delay_alu instid0(VALU_DEP_4)
	v_cvt_f32_fp8_e32 v62, v62
	v_and_b32_e32 v61, 0xff, v59
	v_lshrrev_b32_e32 v59, 24, v59
	v_cvt_f32_fp8_e32 v63, v63
	v_cvt_f32_fp8_e32 v66, v66
	v_mul_f32_e32 v62, s14, v62
	v_cvt_f32_fp8_e32 v61, v61
	v_and_b32_e32 v64, 0xff, v60
	v_cvt_f32_fp8_e32 v59, v59
	v_lshrrev_b32_e32 v60, 24, v60
	v_bfe_u32 v69, v62, 16, 1
	v_mul_f32_e32 v61, s14, v61
	v_cvt_f32_fp8_e32 v64, v64
	v_mul_f32_e32 v63, s14, v63
	v_dual_mul_f32 v59, s14, v59 :: v_dual_mul_f32 v66, s14, v66
	s_delay_alu instid0(VALU_DEP_4)
	v_bfe_u32 v67, v61, 16, 1
	v_or_b32_e32 v68, 0x400000, v61
	v_cmp_u_f32_e64 s1, v61, v61
	v_mul_f32_e32 v64, s14, v64
	v_or_b32_e32 v70, 0x400000, v62
	v_add3_u32 v67, v67, v61, 0x7fff
	v_bfe_u32 v71, v63, 16, 1
	v_add3_u32 v69, v69, v62, 0x7fff
	v_cvt_f32_fp8_e32 v65, v65
	v_or_b32_e32 v72, 0x400000, v63
	s_wait_alu 0xf1ff
	v_cndmask_b32_e64 v61, v67, v68, s1
	v_cmp_u_f32_e64 s1, v62, v62
	v_bfe_u32 v73, v59, 16, 1
	v_add3_u32 v71, v71, v63, 0x7fff
	v_cvt_f32_fp8_e32 v60, v60
	v_mul_f32_e32 v65, s14, v65
	s_wait_alu 0xf1ff
	v_cndmask_b32_e64 v62, v69, v70, s1
	v_cmp_u_f32_e64 s1, v63, v63
	v_or_b32_e32 v74, 0x400000, v59
	v_bfe_u32 v75, v64, 16, 1
	v_add3_u32 v73, v73, v59, 0x7fff
	v_mul_f32_e32 v60, s14, v60
	s_wait_alu 0xf1ff
	v_cndmask_b32_e64 v63, v71, v72, s1
	v_cmp_u_f32_e64 s1, v59, v59
	v_or_b32_e32 v76, 0x400000, v64
	v_bfe_u32 v77, v65, 16, 1
	v_add3_u32 v75, v75, v64, 0x7fff
	v_or_b32_e32 v78, 0x400000, v65
	s_wait_alu 0xf1ff
	v_cndmask_b32_e64 v59, v73, v74, s1
	v_cmp_u_f32_e64 s1, v64, v64
	v_bfe_u32 v79, v66, 16, 1
	v_add3_u32 v77, v77, v65, 0x7fff
	v_or_b32_e32 v80, 0x400000, v66
	v_bfe_u32 v81, v60, 16, 1
	s_wait_alu 0xf1ff
	v_cndmask_b32_e64 v67, v75, v76, s1
	v_cmp_u_f32_e64 s1, v65, v65
	v_add3_u32 v79, v79, v66, 0x7fff
	v_or_b32_e32 v82, 0x400000, v60
	v_add3_u32 v81, v81, v60, 0x7fff
	v_lshrrev_b32_e32 v65, 16, v61
	s_wait_alu 0xf1ff
	v_cndmask_b32_e64 v68, v77, v78, s1
	v_cmp_u_f32_e64 s1, v66, v66
	v_lshrrev_b32_e32 v66, 16, v62
	v_lshrrev_b32_e32 v63, 16, v63
	;; [unrolled: 1-line block ×4, first 2 shown]
	s_wait_alu 0xf1ff
	v_cndmask_b32_e64 v69, v79, v80, s1
	v_cmp_u_f32_e64 s1, v60, v60
	v_lshrrev_b32_e32 v62, 16, v68
	s_delay_alu instid0(VALU_DEP_3) | instskip(SKIP_1) | instid1(VALU_DEP_3)
	v_lshrrev_b32_e32 v59, 16, v69
	s_wait_alu 0xf1ff
	v_cndmask_b32_e64 v60, v81, v82, s1
	s_delay_alu instid0(VALU_DEP_1)
	v_lshrrev_b32_e32 v60, 16, v60
	s_and_saveexec_b32 s15, s0
	s_cbranch_execz .LBB336_54
; %bb.53:                               ;   in Loop: Header=BB336_45 Depth=1
	v_add_nc_u32_e32 v67, 1, v58
	v_cmp_gt_i32_e64 s1, s48, v58
	v_add_nc_u32_e32 v68, 2, v58
	v_add_nc_u32_e32 v69, 3, v58
	s_wait_alu 0xf1ff
	s_delay_alu instid0(VALU_DEP_3) | instskip(SKIP_3) | instid1(VALU_DEP_2)
	v_cndmask_b32_e64 v65, 0, v65, s1
	v_cmp_gt_i32_e64 s1, s48, v67
	v_add_nc_u32_e32 v67, 4, v58
	s_wait_alu 0xf1ff
	v_cndmask_b32_e64 v66, 0, v66, s1
	v_cmp_gt_i32_e64 s1, s48, v68
	v_add_nc_u32_e32 v68, 5, v58
	s_wait_alu 0xf1ff
	s_delay_alu instid0(VALU_DEP_2) | instskip(SKIP_3) | instid1(VALU_DEP_2)
	v_cndmask_b32_e64 v63, 0, v63, s1
	v_cmp_gt_i32_e64 s1, s48, v69
	v_add_nc_u32_e32 v69, 6, v58
	s_wait_alu 0xf1ff
	v_cndmask_b32_e64 v64, 0, v64, s1
	v_cmp_gt_i32_e64 s1, s48, v67
	v_add_nc_u32_e32 v67, 7, v58
	s_wait_alu 0xf1ff
	s_delay_alu instid0(VALU_DEP_2) | instskip(SKIP_2) | instid1(VALU_DEP_1)
	v_cndmask_b32_e64 v61, 0, v61, s1
	v_cmp_gt_i32_e64 s1, s48, v68
	s_wait_alu 0xf1ff
	v_cndmask_b32_e64 v62, 0, v62, s1
	v_cmp_gt_i32_e64 s1, s48, v69
	s_wait_alu 0xf1ff
	s_delay_alu instid0(VALU_DEP_1) | instskip(SKIP_2) | instid1(VALU_DEP_1)
	v_cndmask_b32_e64 v59, 0, v59, s1
	v_cmp_gt_i32_e64 s1, s48, v67
	s_wait_alu 0xf1ff
	v_cndmask_b32_e64 v60, 0, v60, s1
.LBB336_54:                             ;   in Loop: Header=BB336_45 Depth=1
	s_wait_alu 0xfffe
	s_or_b32 exec_lo, exec_lo, s15
	global_load_b64 v[67:68], v[13:14], off offset:1024
	s_wait_loadcnt 0x0
	v_bfe_u32 v70, v67, 8, 8
	v_bfe_u32 v71, v67, 16, 8
	;; [unrolled: 1-line block ×4, first 2 shown]
	s_delay_alu instid0(VALU_DEP_4)
	v_cvt_f32_fp8_e32 v70, v70
	v_and_b32_e32 v69, 0xff, v67
	v_lshrrev_b32_e32 v67, 24, v67
	v_cvt_f32_fp8_e32 v71, v71
	v_cvt_f32_fp8_e32 v74, v74
	v_mul_f32_e32 v70, s14, v70
	v_cvt_f32_fp8_e32 v69, v69
	v_and_b32_e32 v72, 0xff, v68
	v_cvt_f32_fp8_e32 v67, v67
	v_lshrrev_b32_e32 v68, 24, v68
	v_bfe_u32 v77, v70, 16, 1
	v_mul_f32_e32 v69, s14, v69
	v_cvt_f32_fp8_e32 v72, v72
	v_mul_f32_e32 v71, s14, v71
	v_dual_mul_f32 v67, s14, v67 :: v_dual_mul_f32 v74, s14, v74
	s_delay_alu instid0(VALU_DEP_4)
	v_bfe_u32 v75, v69, 16, 1
	v_or_b32_e32 v76, 0x400000, v69
	v_cmp_u_f32_e64 s1, v69, v69
	v_mul_f32_e32 v72, s14, v72
	v_or_b32_e32 v78, 0x400000, v70
	v_add3_u32 v75, v75, v69, 0x7fff
	v_bfe_u32 v79, v71, 16, 1
	v_add3_u32 v77, v77, v70, 0x7fff
	v_cvt_f32_fp8_e32 v73, v73
	v_or_b32_e32 v80, 0x400000, v71
	s_wait_alu 0xf1ff
	v_cndmask_b32_e64 v69, v75, v76, s1
	v_cmp_u_f32_e64 s1, v70, v70
	v_bfe_u32 v81, v67, 16, 1
	v_add3_u32 v79, v79, v71, 0x7fff
	v_cvt_f32_fp8_e32 v68, v68
	v_mul_f32_e32 v73, s14, v73
	s_wait_alu 0xf1ff
	v_cndmask_b32_e64 v70, v77, v78, s1
	v_cmp_u_f32_e64 s1, v71, v71
	v_or_b32_e32 v82, 0x400000, v67
	v_bfe_u32 v83, v72, 16, 1
	v_add3_u32 v81, v81, v67, 0x7fff
	v_mul_f32_e32 v68, s14, v68
	s_wait_alu 0xf1ff
	v_cndmask_b32_e64 v71, v79, v80, s1
	v_cmp_u_f32_e64 s1, v67, v67
	v_or_b32_e32 v84, 0x400000, v72
	v_bfe_u32 v85, v73, 16, 1
	v_add3_u32 v83, v83, v72, 0x7fff
	v_or_b32_e32 v86, 0x400000, v73
	s_wait_alu 0xf1ff
	v_cndmask_b32_e64 v67, v81, v82, s1
	v_cmp_u_f32_e64 s1, v72, v72
	v_bfe_u32 v87, v74, 16, 1
	v_add3_u32 v85, v85, v73, 0x7fff
	v_or_b32_e32 v88, 0x400000, v74
	v_bfe_u32 v89, v68, 16, 1
	s_wait_alu 0xf1ff
	v_cndmask_b32_e64 v75, v83, v84, s1
	v_cmp_u_f32_e64 s1, v73, v73
	v_add3_u32 v87, v87, v74, 0x7fff
	v_or_b32_e32 v90, 0x400000, v68
	v_add3_u32 v89, v89, v68, 0x7fff
	v_lshrrev_b32_e32 v73, 16, v69
	s_wait_alu 0xf1ff
	v_cndmask_b32_e64 v76, v85, v86, s1
	v_cmp_u_f32_e64 s1, v74, v74
	v_lshrrev_b32_e32 v74, 16, v70
	v_lshrrev_b32_e32 v71, 16, v71
	v_lshrrev_b32_e32 v72, 16, v67
	v_lshrrev_b32_e32 v69, 16, v75
	s_wait_alu 0xf1ff
	v_cndmask_b32_e64 v77, v87, v88, s1
	v_cmp_u_f32_e64 s1, v68, v68
	v_lshrrev_b32_e32 v70, 16, v76
	s_delay_alu instid0(VALU_DEP_3) | instskip(SKIP_1) | instid1(VALU_DEP_3)
	v_lshrrev_b32_e32 v67, 16, v77
	s_wait_alu 0xf1ff
	v_cndmask_b32_e64 v68, v89, v90, s1
	s_delay_alu instid0(VALU_DEP_1)
	v_lshrrev_b32_e32 v68, 16, v68
	s_and_saveexec_b32 s15, s0
	s_cbranch_execz .LBB336_56
; %bb.55:                               ;   in Loop: Header=BB336_45 Depth=1
	v_add_nc_u32_e32 v75, 1, v58
	v_cmp_gt_i32_e64 s1, s48, v58
	v_add_nc_u32_e32 v76, 2, v58
	v_add_nc_u32_e32 v77, 3, v58
	s_wait_alu 0xf1ff
	s_delay_alu instid0(VALU_DEP_3) | instskip(SKIP_3) | instid1(VALU_DEP_2)
	v_cndmask_b32_e64 v73, 0, v73, s1
	v_cmp_gt_i32_e64 s1, s48, v75
	v_add_nc_u32_e32 v75, 4, v58
	s_wait_alu 0xf1ff
	v_cndmask_b32_e64 v74, 0, v74, s1
	v_cmp_gt_i32_e64 s1, s48, v76
	v_add_nc_u32_e32 v76, 5, v58
	s_wait_alu 0xf1ff
	s_delay_alu instid0(VALU_DEP_2) | instskip(SKIP_3) | instid1(VALU_DEP_2)
	v_cndmask_b32_e64 v71, 0, v71, s1
	v_cmp_gt_i32_e64 s1, s48, v77
	v_add_nc_u32_e32 v77, 6, v58
	s_wait_alu 0xf1ff
	v_cndmask_b32_e64 v72, 0, v72, s1
	v_cmp_gt_i32_e64 s1, s48, v75
	v_add_nc_u32_e32 v75, 7, v58
	s_wait_alu 0xf1ff
	s_delay_alu instid0(VALU_DEP_2) | instskip(SKIP_2) | instid1(VALU_DEP_1)
	v_cndmask_b32_e64 v69, 0, v69, s1
	v_cmp_gt_i32_e64 s1, s48, v76
	s_wait_alu 0xf1ff
	v_cndmask_b32_e64 v70, 0, v70, s1
	v_cmp_gt_i32_e64 s1, s48, v77
	s_wait_alu 0xf1ff
	s_delay_alu instid0(VALU_DEP_1) | instskip(SKIP_2) | instid1(VALU_DEP_1)
	v_cndmask_b32_e64 v67, 0, v67, s1
	v_cmp_gt_i32_e64 s1, s48, v75
	s_wait_alu 0xf1ff
	v_cndmask_b32_e64 v68, 0, v68, s1
.LBB336_56:                             ;   in Loop: Header=BB336_45 Depth=1
	s_wait_alu 0xfffe
	s_or_b32 exec_lo, exec_lo, s15
	global_load_b64 v[75:76], v[13:14], off offset:1280
	s_wait_loadcnt 0x0
	v_bfe_u32 v78, v75, 8, 8
	v_bfe_u32 v79, v75, 16, 8
	v_bfe_u32 v82, v76, 16, 8
	v_bfe_u32 v81, v76, 8, 8
	s_delay_alu instid0(VALU_DEP_4)
	v_cvt_f32_fp8_e32 v78, v78
	v_and_b32_e32 v77, 0xff, v75
	v_lshrrev_b32_e32 v75, 24, v75
	v_cvt_f32_fp8_e32 v79, v79
	v_cvt_f32_fp8_e32 v82, v82
	v_mul_f32_e32 v78, s14, v78
	v_cvt_f32_fp8_e32 v77, v77
	v_and_b32_e32 v80, 0xff, v76
	v_cvt_f32_fp8_e32 v75, v75
	v_lshrrev_b32_e32 v76, 24, v76
	v_bfe_u32 v85, v78, 16, 1
	v_mul_f32_e32 v77, s14, v77
	v_cvt_f32_fp8_e32 v80, v80
	v_mul_f32_e32 v79, s14, v79
	v_dual_mul_f32 v75, s14, v75 :: v_dual_mul_f32 v82, s14, v82
	s_delay_alu instid0(VALU_DEP_4)
	v_bfe_u32 v83, v77, 16, 1
	v_or_b32_e32 v84, 0x400000, v77
	v_cmp_u_f32_e64 s1, v77, v77
	v_mul_f32_e32 v80, s14, v80
	v_or_b32_e32 v86, 0x400000, v78
	v_add3_u32 v83, v83, v77, 0x7fff
	v_bfe_u32 v87, v79, 16, 1
	v_add3_u32 v85, v85, v78, 0x7fff
	v_cvt_f32_fp8_e32 v81, v81
	v_or_b32_e32 v88, 0x400000, v79
	s_wait_alu 0xf1ff
	v_cndmask_b32_e64 v77, v83, v84, s1
	v_cmp_u_f32_e64 s1, v78, v78
	v_bfe_u32 v89, v75, 16, 1
	v_add3_u32 v87, v87, v79, 0x7fff
	v_cvt_f32_fp8_e32 v76, v76
	v_mul_f32_e32 v81, s14, v81
	s_wait_alu 0xf1ff
	v_cndmask_b32_e64 v78, v85, v86, s1
	v_cmp_u_f32_e64 s1, v79, v79
	v_or_b32_e32 v90, 0x400000, v75
	v_bfe_u32 v91, v80, 16, 1
	v_add3_u32 v89, v89, v75, 0x7fff
	v_mul_f32_e32 v76, s14, v76
	s_wait_alu 0xf1ff
	v_cndmask_b32_e64 v79, v87, v88, s1
	v_cmp_u_f32_e64 s1, v75, v75
	v_or_b32_e32 v92, 0x400000, v80
	v_bfe_u32 v93, v81, 16, 1
	v_add3_u32 v91, v91, v80, 0x7fff
	v_or_b32_e32 v94, 0x400000, v81
	s_wait_alu 0xf1ff
	v_cndmask_b32_e64 v75, v89, v90, s1
	v_cmp_u_f32_e64 s1, v80, v80
	v_bfe_u32 v95, v82, 16, 1
	v_add3_u32 v93, v93, v81, 0x7fff
	v_or_b32_e32 v96, 0x400000, v82
	v_bfe_u32 v97, v76, 16, 1
	s_wait_alu 0xf1ff
	v_cndmask_b32_e64 v83, v91, v92, s1
	v_cmp_u_f32_e64 s1, v81, v81
	v_add3_u32 v95, v95, v82, 0x7fff
	v_or_b32_e32 v98, 0x400000, v76
	v_add3_u32 v97, v97, v76, 0x7fff
	v_lshrrev_b32_e32 v81, 16, v77
	s_wait_alu 0xf1ff
	v_cndmask_b32_e64 v84, v93, v94, s1
	v_cmp_u_f32_e64 s1, v82, v82
	v_lshrrev_b32_e32 v82, 16, v78
	v_lshrrev_b32_e32 v79, 16, v79
	;; [unrolled: 1-line block ×4, first 2 shown]
	s_wait_alu 0xf1ff
	v_cndmask_b32_e64 v85, v95, v96, s1
	v_cmp_u_f32_e64 s1, v76, v76
	v_lshrrev_b32_e32 v78, 16, v84
	s_delay_alu instid0(VALU_DEP_3) | instskip(SKIP_1) | instid1(VALU_DEP_3)
	v_lshrrev_b32_e32 v75, 16, v85
	s_wait_alu 0xf1ff
	v_cndmask_b32_e64 v76, v97, v98, s1
	s_delay_alu instid0(VALU_DEP_1)
	v_lshrrev_b32_e32 v76, 16, v76
	s_and_saveexec_b32 s15, s0
	s_cbranch_execz .LBB336_58
; %bb.57:                               ;   in Loop: Header=BB336_45 Depth=1
	v_add_nc_u32_e32 v83, 1, v58
	v_cmp_gt_i32_e64 s1, s48, v58
	v_add_nc_u32_e32 v84, 2, v58
	v_add_nc_u32_e32 v85, 3, v58
	s_wait_alu 0xf1ff
	s_delay_alu instid0(VALU_DEP_3) | instskip(SKIP_3) | instid1(VALU_DEP_2)
	v_cndmask_b32_e64 v81, 0, v81, s1
	v_cmp_gt_i32_e64 s1, s48, v83
	v_add_nc_u32_e32 v83, 4, v58
	s_wait_alu 0xf1ff
	v_cndmask_b32_e64 v82, 0, v82, s1
	v_cmp_gt_i32_e64 s1, s48, v84
	v_add_nc_u32_e32 v84, 5, v58
	s_wait_alu 0xf1ff
	s_delay_alu instid0(VALU_DEP_2) | instskip(SKIP_3) | instid1(VALU_DEP_2)
	v_cndmask_b32_e64 v79, 0, v79, s1
	v_cmp_gt_i32_e64 s1, s48, v85
	v_add_nc_u32_e32 v85, 6, v58
	s_wait_alu 0xf1ff
	v_cndmask_b32_e64 v80, 0, v80, s1
	v_cmp_gt_i32_e64 s1, s48, v83
	v_add_nc_u32_e32 v83, 7, v58
	s_wait_alu 0xf1ff
	s_delay_alu instid0(VALU_DEP_2) | instskip(SKIP_2) | instid1(VALU_DEP_1)
	v_cndmask_b32_e64 v77, 0, v77, s1
	v_cmp_gt_i32_e64 s1, s48, v84
	s_wait_alu 0xf1ff
	v_cndmask_b32_e64 v78, 0, v78, s1
	v_cmp_gt_i32_e64 s1, s48, v85
	s_wait_alu 0xf1ff
	s_delay_alu instid0(VALU_DEP_1) | instskip(SKIP_2) | instid1(VALU_DEP_1)
	v_cndmask_b32_e64 v75, 0, v75, s1
	v_cmp_gt_i32_e64 s1, s48, v83
	s_wait_alu 0xf1ff
	v_cndmask_b32_e64 v76, 0, v76, s1
.LBB336_58:                             ;   in Loop: Header=BB336_45 Depth=1
	s_wait_alu 0xfffe
	s_or_b32 exec_lo, exec_lo, s15
	global_load_b64 v[13:14], v[13:14], off offset:1536
	s_wait_loadcnt 0x0
	v_bfe_u32 v84, v13, 8, 8
	v_bfe_u32 v85, v13, 16, 8
	;; [unrolled: 1-line block ×4, first 2 shown]
	s_delay_alu instid0(VALU_DEP_4)
	v_cvt_f32_fp8_e32 v84, v84
	v_and_b32_e32 v83, 0xff, v13
	v_lshrrev_b32_e32 v13, 24, v13
	v_cvt_f32_fp8_e32 v85, v85
	v_cvt_f32_fp8_e32 v88, v88
	v_mul_f32_e32 v84, s14, v84
	v_cvt_f32_fp8_e32 v83, v83
	v_and_b32_e32 v86, 0xff, v14
	v_cvt_f32_fp8_e32 v13, v13
	v_lshrrev_b32_e32 v14, 24, v14
	v_bfe_u32 v91, v84, 16, 1
	v_mul_f32_e32 v83, s14, v83
	v_cvt_f32_fp8_e32 v86, v86
	v_mul_f32_e32 v85, s14, v85
	v_dual_mul_f32 v13, s14, v13 :: v_dual_mul_f32 v88, s14, v88
	s_delay_alu instid0(VALU_DEP_4)
	v_bfe_u32 v89, v83, 16, 1
	v_or_b32_e32 v90, 0x400000, v83
	v_cmp_u_f32_e64 s1, v83, v83
	v_mul_f32_e32 v86, s14, v86
	v_or_b32_e32 v92, 0x400000, v84
	v_add3_u32 v89, v89, v83, 0x7fff
	v_bfe_u32 v93, v85, 16, 1
	v_add3_u32 v91, v91, v84, 0x7fff
	v_cvt_f32_fp8_e32 v87, v87
	v_or_b32_e32 v94, 0x400000, v85
	s_wait_alu 0xf1ff
	v_cndmask_b32_e64 v83, v89, v90, s1
	v_cmp_u_f32_e64 s1, v84, v84
	v_bfe_u32 v95, v13, 16, 1
	v_add3_u32 v93, v93, v85, 0x7fff
	v_cvt_f32_fp8_e32 v14, v14
	v_mul_f32_e32 v87, s14, v87
	s_wait_alu 0xf1ff
	v_cndmask_b32_e64 v84, v91, v92, s1
	v_cmp_u_f32_e64 s1, v85, v85
	v_or_b32_e32 v96, 0x400000, v13
	v_bfe_u32 v97, v86, 16, 1
	v_add3_u32 v95, v95, v13, 0x7fff
	v_mul_f32_e32 v14, s14, v14
	s_wait_alu 0xf1ff
	v_cndmask_b32_e64 v85, v93, v94, s1
	v_cmp_u_f32_e64 s1, v13, v13
	v_or_b32_e32 v98, 0x400000, v86
	v_bfe_u32 v99, v87, 16, 1
	v_add3_u32 v97, v97, v86, 0x7fff
	v_or_b32_e32 v100, 0x400000, v87
	s_wait_alu 0xf1ff
	v_cndmask_b32_e64 v13, v95, v96, s1
	v_cmp_u_f32_e64 s1, v86, v86
	v_bfe_u32 v101, v88, 16, 1
	v_add3_u32 v99, v99, v87, 0x7fff
	v_or_b32_e32 v102, 0x400000, v88
	v_bfe_u32 v103, v14, 16, 1
	s_wait_alu 0xf1ff
	v_cndmask_b32_e64 v89, v97, v98, s1
	v_cmp_u_f32_e64 s1, v87, v87
	v_add3_u32 v101, v101, v88, 0x7fff
	v_or_b32_e32 v104, 0x400000, v14
	v_add3_u32 v103, v103, v14, 0x7fff
	v_lshrrev_b32_e32 v87, 16, v83
	s_wait_alu 0xf1ff
	v_cndmask_b32_e64 v90, v99, v100, s1
	v_cmp_u_f32_e64 s1, v88, v88
	v_lshrrev_b32_e32 v88, 16, v84
	v_lshrrev_b32_e32 v85, 16, v85
	;; [unrolled: 1-line block ×4, first 2 shown]
	s_wait_alu 0xf1ff
	v_cndmask_b32_e64 v91, v101, v102, s1
	v_cmp_u_f32_e64 s1, v14, v14
	v_lshrrev_b32_e32 v84, 16, v90
	s_delay_alu instid0(VALU_DEP_3) | instskip(SKIP_1) | instid1(VALU_DEP_3)
	v_lshrrev_b32_e32 v13, 16, v91
	s_wait_alu 0xf1ff
	v_cndmask_b32_e64 v14, v103, v104, s1
	s_delay_alu instid0(VALU_DEP_1)
	v_lshrrev_b32_e32 v14, 16, v14
	s_and_saveexec_b32 s15, s0
	s_cbranch_execz .LBB336_60
; %bb.59:                               ;   in Loop: Header=BB336_45 Depth=1
	v_add_nc_u32_e32 v89, 1, v58
	v_cmp_gt_i32_e64 s1, s48, v58
	v_add_nc_u32_e32 v90, 2, v58
	v_add_nc_u32_e32 v91, 3, v58
	s_wait_alu 0xf1ff
	s_delay_alu instid0(VALU_DEP_3) | instskip(SKIP_3) | instid1(VALU_DEP_2)
	v_cndmask_b32_e64 v87, 0, v87, s1
	v_cmp_gt_i32_e64 s1, s48, v89
	v_add_nc_u32_e32 v89, 4, v58
	s_wait_alu 0xf1ff
	v_cndmask_b32_e64 v88, 0, v88, s1
	v_cmp_gt_i32_e64 s1, s48, v90
	v_add_nc_u32_e32 v90, 5, v58
	s_wait_alu 0xf1ff
	s_delay_alu instid0(VALU_DEP_2) | instskip(SKIP_3) | instid1(VALU_DEP_2)
	v_cndmask_b32_e64 v85, 0, v85, s1
	v_cmp_gt_i32_e64 s1, s48, v91
	v_add_nc_u32_e32 v91, 6, v58
	s_wait_alu 0xf1ff
	v_cndmask_b32_e64 v86, 0, v86, s1
	v_cmp_gt_i32_e64 s1, s48, v89
	v_add_nc_u32_e32 v89, 7, v58
	s_wait_alu 0xf1ff
	s_delay_alu instid0(VALU_DEP_2) | instskip(SKIP_2) | instid1(VALU_DEP_1)
	v_cndmask_b32_e64 v83, 0, v83, s1
	v_cmp_gt_i32_e64 s1, s48, v90
	s_wait_alu 0xf1ff
	v_cndmask_b32_e64 v84, 0, v84, s1
	v_cmp_gt_i32_e64 s1, s48, v91
	s_wait_alu 0xf1ff
	s_delay_alu instid0(VALU_DEP_1) | instskip(SKIP_2) | instid1(VALU_DEP_1)
	v_cndmask_b32_e64 v13, 0, v13, s1
	v_cmp_gt_i32_e64 s1, s48, v89
	s_wait_alu 0xf1ff
	v_cndmask_b32_e64 v14, 0, v14, s1
.LBB336_60:                             ;   in Loop: Header=BB336_45 Depth=1
	s_wait_alu 0xfffe
	s_or_b32 exec_lo, exec_lo, s15
	s_wait_dscnt 0x1
	v_bfe_u32 v89, v5, 16, 1
	v_bfe_u32 v90, v6, 16, 1
	v_or_b32_e32 v91, 0x400000, v5
	v_cmp_u_f32_e64 s1, v5, v5
	v_or_b32_e32 v92, 0x400000, v6
	v_add3_u32 v89, v89, v5, 0x7fff
	v_bfe_u32 v93, v7, 16, 1
	v_add3_u32 v90, v90, v6, 0x7fff
	v_bfe_u32 v94, v8, 16, 1
	s_wait_alu 0xf1ff
	v_cndmask_b32_e64 v5, v89, v91, s1
	v_cmp_u_f32_e64 s1, v6, v6
	v_add3_u32 v89, v93, v7, 0x7fff
	s_wait_dscnt 0x0
	v_bfe_u32 v91, v1, 16, 1
	v_or_b32_e32 v93, 0x400000, v8
	s_wait_alu 0xf1ff
	v_cndmask_b32_e64 v6, v90, v92, s1
	v_or_b32_e32 v90, 0x400000, v7
	v_cmp_u_f32_e64 s1, v7, v7
	v_add3_u32 v92, v94, v8, 0x7fff
	v_or_b32_e32 v94, 0x400000, v4
	s_wait_alu 0xf1ff
	s_delay_alu instid0(VALU_DEP_3)
	v_cndmask_b32_e64 v7, v89, v90, s1
	v_cmp_u_f32_e64 s1, v8, v8
	v_add3_u32 v89, v91, v1, 0x7fff
	v_or_b32_e32 v90, 0x400000, v1
	v_bfe_u32 v91, v2, 16, 1
	s_wait_alu 0xf1ff
	v_cndmask_b32_e64 v8, v92, v93, s1
	v_cmp_u_f32_e64 s1, v1, v1
	v_bfe_u32 v92, v3, 16, 1
	v_bfe_u32 v1, v4, 16, 1
	v_or_b32_e32 v93, 0x400000, v3
	s_wait_alu 0xf1ff
	v_cndmask_b32_e64 v89, v89, v90, s1
	v_add3_u32 v90, v91, v2, 0x7fff
	v_or_b32_e32 v91, 0x400000, v2
	v_cmp_u_f32_e64 s1, v2, v2
	v_add3_u32 v92, v92, v3, 0x7fff
	v_add3_u32 v1, v1, v4, 0x7fff
	v_perm_b32 v2, v6, v5, 0x7060302
	s_wait_alu 0xf1ff
	v_cndmask_b32_e64 v90, v90, v91, s1
	v_cmp_u_f32_e64 s1, v3, v3
	s_wait_alu 0xf1ff
	s_delay_alu instid0(VALU_DEP_1) | instskip(SKIP_3) | instid1(VALU_DEP_2)
	v_cndmask_b32_e64 v3, v92, v93, s1
	v_cmp_u_f32_e64 s1, v4, v4
	v_perm_b32 v4, v90, v89, 0x7060302
	s_wait_alu 0xf1ff
	v_cndmask_b32_e64 v91, v1, v94, s1
	v_perm_b32 v1, v8, v7, 0x7060302
	s_delay_alu instid0(VALU_DEP_2)
	v_perm_b32 v8, v91, v3, 0x7060302
	s_and_saveexec_b32 s15, vcc_lo
	s_cbranch_execz .LBB336_43
; %bb.61:                               ;   in Loop: Header=BB336_45 Depth=1
	v_add_co_u32 v5, s1, v11, v32
	s_wait_alu 0xf1ff
	v_add_co_ci_u32_e64 v6, null, 0, v12, s1
	global_load_b64 v[5:6], v[5:6], off
	s_wait_loadcnt 0x0
	v_and_b32_e32 v12, 0xff, v6
	v_bfe_u32 v7, v5, 8, 8
	v_bfe_u32 v11, v5, 16, 8
	;; [unrolled: 1-line block ×4, first 2 shown]
	v_cvt_f32_fp8_e32 v12, v12
	v_and_b32_e32 v3, 0xff, v5
	v_cvt_f32_fp8_e32 v7, v7
	v_lshrrev_b32_e32 v5, 24, v5
	v_lshrrev_b32_e32 v6, 24, v6
	v_mul_f32_e32 v12, s14, v12
	v_cvt_f32_fp8_e32 v3, v3
	v_cvt_f32_fp8_e32 v11, v11
	;; [unrolled: 1-line block ×3, first 2 shown]
	v_mul_f32_e32 v7, s14, v7
	v_cvt_f32_fp8_e32 v5, v5
	v_mul_f32_e32 v3, s14, v3
	v_cvt_f32_fp8_e32 v6, v6
	v_dual_mul_f32 v11, s14, v11 :: v_dual_mul_f32 v90, s14, v90
	v_bfe_u32 v93, v7, 16, 1
	s_delay_alu instid0(VALU_DEP_4) | instskip(SKIP_3) | instid1(VALU_DEP_4)
	v_bfe_u32 v91, v3, 16, 1
	v_or_b32_e32 v92, 0x400000, v3
	v_cmp_u_f32_e64 s1, v3, v3
	v_dual_mul_f32 v5, s14, v5 :: v_dual_mul_f32 v6, s14, v6
	v_add3_u32 v91, v91, v3, 0x7fff
	v_or_b32_e32 v94, 0x400000, v7
	v_bfe_u32 v95, v11, 16, 1
	v_add3_u32 v93, v93, v7, 0x7fff
	v_cvt_f32_fp8_e32 v89, v89
	s_wait_alu 0xf1ff
	v_cndmask_b32_e64 v3, v91, v92, s1
	v_cmp_u_f32_e64 s1, v7, v7
	v_or_b32_e32 v96, 0x400000, v11
	v_bfe_u32 v97, v5, 16, 1
	v_add3_u32 v95, v95, v11, 0x7fff
	v_mul_f32_e32 v89, s14, v89
	s_wait_alu 0xf1ff
	v_cndmask_b32_e64 v7, v93, v94, s1
	v_cmp_u_f32_e64 s1, v11, v11
	v_or_b32_e32 v98, 0x400000, v5
	v_bfe_u32 v99, v12, 16, 1
	v_add3_u32 v97, v97, v5, 0x7fff
	v_or_b32_e32 v100, 0x400000, v12
	s_wait_alu 0xf1ff
	v_cndmask_b32_e64 v11, v95, v96, s1
	v_cmp_u_f32_e64 s1, v5, v5
	v_bfe_u32 v101, v89, 16, 1
	v_add3_u32 v99, v99, v12, 0x7fff
	v_or_b32_e32 v102, 0x400000, v89
	v_bfe_u32 v103, v90, 16, 1
	s_wait_alu 0xf1ff
	v_cndmask_b32_e64 v5, v97, v98, s1
	v_cmp_u_f32_e64 s1, v12, v12
	v_add3_u32 v101, v101, v89, 0x7fff
	v_or_b32_e32 v104, 0x400000, v90
	v_bfe_u32 v105, v6, 16, 1
	v_add3_u32 v103, v103, v90, 0x7fff
	s_wait_alu 0xf1ff
	v_cndmask_b32_e64 v91, v99, v100, s1
	v_cmp_u_f32_e64 s1, v89, v89
	v_or_b32_e32 v106, 0x400000, v6
	v_add3_u32 v105, v105, v6, 0x7fff
	v_lshrrev_b32_e32 v89, 16, v7
	v_lshrrev_b32_e32 v12, 16, v11
	s_wait_alu 0xf1ff
	v_cndmask_b32_e64 v92, v101, v102, s1
	v_cmp_u_f32_e64 s1, v90, v90
	v_lshrrev_b32_e32 v90, 16, v3
	v_lshrrev_b32_e32 v11, 16, v5
	;; [unrolled: 1-line block ×3, first 2 shown]
	s_wait_alu 0xf1ff
	v_cndmask_b32_e64 v93, v103, v104, s1
	v_cmp_u_f32_e64 s1, v6, v6
	v_lshrrev_b32_e32 v6, 16, v92
	s_delay_alu instid0(VALU_DEP_3) | instskip(SKIP_1) | instid1(VALU_DEP_3)
	v_lshrrev_b32_e32 v5, 16, v93
	s_wait_alu 0xf1ff
	v_cndmask_b32_e64 v94, v105, v106, s1
	s_delay_alu instid0(VALU_DEP_1)
	v_lshrrev_b32_e32 v3, 16, v94
	s_and_saveexec_b32 s1, s0
	s_cbranch_execz .LBB336_42
; %bb.62:                               ;   in Loop: Header=BB336_45 Depth=1
	v_add_nc_u32_e32 v91, 1, v58
	v_cmp_gt_i32_e64 s0, s48, v58
	v_add_nc_u32_e32 v92, 2, v58
	v_add_nc_u32_e32 v93, 3, v58
	s_wait_alu 0xf1ff
	s_delay_alu instid0(VALU_DEP_3) | instskip(SKIP_3) | instid1(VALU_DEP_2)
	v_cndmask_b32_e64 v90, 0, v90, s0
	v_cmp_gt_i32_e64 s0, s48, v91
	v_add_nc_u32_e32 v91, 4, v58
	s_wait_alu 0xf1ff
	v_cndmask_b32_e64 v89, 0, v89, s0
	v_cmp_gt_i32_e64 s0, s48, v92
	v_add_nc_u32_e32 v92, 5, v58
	s_wait_alu 0xf1ff
	s_delay_alu instid0(VALU_DEP_2) | instskip(SKIP_4) | instid1(VALU_DEP_3)
	v_cndmask_b32_e64 v12, 0, v12, s0
	v_cmp_gt_i32_e64 s0, s48, v93
	v_add_nc_u32_e32 v93, 6, v58
	v_add_nc_u32_e32 v58, 7, v58
	s_wait_alu 0xf1ff
	v_cndmask_b32_e64 v11, 0, v11, s0
	v_cmp_gt_i32_e64 s0, s48, v91
	s_wait_alu 0xf1ff
	s_delay_alu instid0(VALU_DEP_1) | instskip(SKIP_2) | instid1(VALU_DEP_1)
	v_cndmask_b32_e64 v7, 0, v7, s0
	v_cmp_gt_i32_e64 s0, s48, v92
	s_wait_alu 0xf1ff
	v_cndmask_b32_e64 v6, 0, v6, s0
	v_cmp_gt_i32_e64 s0, s48, v93
	s_wait_alu 0xf1ff
	s_delay_alu instid0(VALU_DEP_1) | instskip(SKIP_2) | instid1(VALU_DEP_1)
	v_cndmask_b32_e64 v5, 0, v5, s0
	v_cmp_gt_i32_e64 s0, s48, v58
	s_wait_alu 0xf1ff
	v_cndmask_b32_e64 v3, 0, v3, s0
	s_branch .LBB336_42
.LBB336_63:
	s_or_b32 exec_lo, exec_lo, s11
.LBB336_64:
	s_delay_alu instid0(SALU_CYCLE_1)
	s_or_b32 exec_lo, exec_lo, s4
	ds_bpermute_b32 v1, v21, v29
	ds_bpermute_b32 v2, v21, v28
	;; [unrolled: 1-line block ×8, first 2 shown]
	s_movk_i32 s0, 0x1e0
	v_and_b32_e32 v14, 0x3c0, v0
	s_wait_alu 0xfffe
	v_mad_u32_u24 v9, v17, s0, 0x110
	s_mov_b32 s1, exec_lo
	v_cmp_eq_u32_e32 vcc_lo, 0, v16
	s_wait_storecnt 0x0
	s_wait_loadcnt_dscnt 0x0
	s_barrier_signal -1
	s_barrier_wait -1
	global_inv scope:SCOPE_SE
	v_dual_add_f32 v8, v29, v1 :: v_dual_add_f32 v7, v28, v2
	v_dual_add_f32 v6, v27, v3 :: v_dual_add_f32 v5, v26, v4
	;; [unrolled: 1-line block ×4, first 2 shown]
	v_cmpx_eq_u32_e32 64, v14
	s_cbranch_execz .LBB336_69
; %bb.65:
	v_add_nc_u32_e32 v10, 0xfffffc40, v9
	s_and_saveexec_b32 s0, vcc_lo
	s_cbranch_execz .LBB336_67
; %bb.66:
	s_delay_alu instid0(VALU_DEP_1)
	v_lshl_add_u32 v11, v20, 2, v10
	ds_store_2addr_b32 v11, v8, v7 offset1:16
	ds_store_2addr_b32 v11, v6, v5 offset0:32 offset1:48
	ds_store_2addr_b32 v11, v4, v3 offset0:64 offset1:80
	ds_store_b32 v11, v2 offset:384
.LBB336_67:
	s_wait_alu 0xfffe
	s_or_b32 exec_lo, exec_lo, s0
	v_or_b32_e32 v11, 0x70, v20
	s_delay_alu instid0(VALU_DEP_1)
	v_cmp_gt_u32_e64 s0, 0x78, v11
	s_and_b32 s0, vcc_lo, s0
	s_wait_alu 0xfffe
	s_and_b32 exec_lo, exec_lo, s0
; %bb.68:
	v_lshl_add_u32 v10, v11, 2, v10
	ds_store_b32 v10, v1
.LBB336_69:
	s_wait_alu 0xfffe
	s_or_b32 exec_lo, exec_lo, s1
	s_delay_alu instid0(SALU_CYCLE_1)
	s_mov_b32 s1, exec_lo
	s_wait_loadcnt_dscnt 0x0
	s_barrier_signal -1
	s_barrier_wait -1
	global_inv scope:SCOPE_SE
	v_cmpx_gt_u32_e32 64, v0
	s_cbranch_execz .LBB336_81
; %bb.70:
	s_and_saveexec_b32 s0, vcc_lo
	s_cbranch_execnz .LBB336_116
; %bb.71:
	s_wait_alu 0xfffe
	s_or_b32 exec_lo, exec_lo, s0
	s_and_saveexec_b32 s0, vcc_lo
	s_cbranch_execnz .LBB336_117
.LBB336_72:
	s_wait_alu 0xfffe
	s_or_b32 exec_lo, exec_lo, s0
	s_and_saveexec_b32 s0, vcc_lo
	s_cbranch_execnz .LBB336_118
.LBB336_73:
	s_wait_alu 0xfffe
	s_or_b32 exec_lo, exec_lo, s0
	s_and_saveexec_b32 s0, vcc_lo
	s_cbranch_execnz .LBB336_119
.LBB336_74:
	s_wait_alu 0xfffe
	s_or_b32 exec_lo, exec_lo, s0
	s_and_saveexec_b32 s0, vcc_lo
	s_cbranch_execnz .LBB336_120
.LBB336_75:
	s_wait_alu 0xfffe
	s_or_b32 exec_lo, exec_lo, s0
	s_and_saveexec_b32 s0, vcc_lo
	s_cbranch_execnz .LBB336_121
.LBB336_76:
	s_wait_alu 0xfffe
	s_or_b32 exec_lo, exec_lo, s0
	s_and_saveexec_b32 s0, vcc_lo
	s_cbranch_execz .LBB336_78
.LBB336_77:
	v_lshl_add_u32 v10, v20, 2, v9
	ds_load_b32 v10, v10 offset:384
	s_wait_dscnt 0x0
	v_add_f32_e32 v2, v2, v10
.LBB336_78:
	s_wait_alu 0xfffe
	s_or_b32 exec_lo, exec_lo, s0
	v_or_b32_e32 v10, 0x70, v20
	s_delay_alu instid0(VALU_DEP_1)
	v_cmp_gt_u32_e64 s0, 0x78, v10
	s_and_b32 s2, vcc_lo, s0
	s_wait_alu 0xfffe
	s_and_saveexec_b32 s0, s2
	s_cbranch_execz .LBB336_80
; %bb.79:
	v_lshl_add_u32 v10, v20, 2, v9
	ds_load_b32 v10, v10 offset:448
	s_wait_dscnt 0x0
	v_add_f32_e32 v1, v1, v10
.LBB336_80:
	s_wait_alu 0xfffe
	s_or_b32 exec_lo, exec_lo, s0
.LBB336_81:
	s_wait_alu 0xfffe
	s_or_b32 exec_lo, exec_lo, s1
	v_and_b32_e32 v10, 0x3e0, v0
	s_mov_b32 s1, exec_lo
	s_wait_loadcnt 0x0
	s_barrier_signal -1
	s_barrier_wait -1
	global_inv scope:SCOPE_SE
	v_cmpx_eq_u32_e32 32, v10
	s_cbranch_execz .LBB336_86
; %bb.82:
	v_lshl_add_u32 v10, v20, 2, 0x110
	s_and_saveexec_b32 s0, vcc_lo
	s_cbranch_execz .LBB336_84
; %bb.83:
	ds_store_2addr_b32 v10, v8, v7 offset1:16
	ds_store_2addr_b32 v10, v6, v5 offset0:32 offset1:48
	ds_store_2addr_b32 v10, v4, v3 offset0:64 offset1:80
	ds_store_b32 v10, v2 offset:384
.LBB336_84:
	s_wait_alu 0xfffe
	s_or_b32 exec_lo, exec_lo, s0
	v_or_b32_e32 v11, 0x70, v20
	s_delay_alu instid0(VALU_DEP_1)
	v_cmp_gt_u32_e64 s0, 0x78, v11
	s_and_b32 s0, vcc_lo, s0
	s_wait_alu 0xfffe
	s_and_b32 exec_lo, exec_lo, s0
; %bb.85:
	ds_store_b32 v10, v1 offset:448
.LBB336_86:
	s_wait_alu 0xfffe
	s_or_b32 exec_lo, exec_lo, s1
	v_cmp_gt_u32_e64 s0, 32, v0
	s_wait_loadcnt_dscnt 0x0
	s_barrier_signal -1
	s_barrier_wait -1
	global_inv scope:SCOPE_SE
	s_and_saveexec_b32 s2, s0
	s_cbranch_execz .LBB336_98
; %bb.87:
	v_lshl_add_u32 v0, v20, 2, v9
	s_and_saveexec_b32 s1, vcc_lo
	s_cbranch_execnz .LBB336_122
; %bb.88:
	s_wait_alu 0xfffe
	s_or_b32 exec_lo, exec_lo, s1
	s_and_saveexec_b32 s1, vcc_lo
	s_cbranch_execnz .LBB336_123
.LBB336_89:
	s_wait_alu 0xfffe
	s_or_b32 exec_lo, exec_lo, s1
	s_and_saveexec_b32 s1, vcc_lo
	s_cbranch_execnz .LBB336_124
.LBB336_90:
	s_wait_alu 0xfffe
	s_or_b32 exec_lo, exec_lo, s1
	s_and_saveexec_b32 s1, vcc_lo
	s_cbranch_execnz .LBB336_125
.LBB336_91:
	s_wait_alu 0xfffe
	s_or_b32 exec_lo, exec_lo, s1
	s_and_saveexec_b32 s1, vcc_lo
	s_cbranch_execnz .LBB336_126
.LBB336_92:
	s_wait_alu 0xfffe
	s_or_b32 exec_lo, exec_lo, s1
	s_and_saveexec_b32 s1, vcc_lo
	s_cbranch_execnz .LBB336_127
.LBB336_93:
	s_wait_alu 0xfffe
	s_or_b32 exec_lo, exec_lo, s1
	s_and_saveexec_b32 s1, vcc_lo
	s_cbranch_execz .LBB336_95
.LBB336_94:
	ds_load_b32 v9, v0 offset:384
	s_wait_dscnt 0x0
	v_add_f32_e32 v2, v2, v9
.LBB336_95:
	s_wait_alu 0xfffe
	s_or_b32 exec_lo, exec_lo, s1
	v_or_b32_e32 v9, 0x70, v20
	s_delay_alu instid0(VALU_DEP_1)
	v_cmp_gt_u32_e64 s1, 0x78, v9
	s_and_b32 s3, vcc_lo, s1
	s_wait_alu 0xfffe
	s_and_saveexec_b32 s1, s3
	s_cbranch_execz .LBB336_97
; %bb.96:
	ds_load_b32 v0, v0 offset:448
	s_wait_dscnt 0x0
	v_add_f32_e32 v1, v1, v0
.LBB336_97:
	s_wait_alu 0xfffe
	s_or_b32 exec_lo, exec_lo, s1
.LBB336_98:
	s_wait_alu 0xfffe
	s_or_b32 exec_lo, exec_lo, s2
	s_wait_loadcnt 0x0
	s_barrier_signal -1
	s_barrier_wait -1
	global_inv scope:SCOPE_SE
	s_and_saveexec_b32 s1, s0
	s_cbranch_execz .LBB336_115
; %bb.99:
	s_mul_i32 s0, s10, 0x78
	s_mul_i32 s2, s27, s34
	s_wait_alu 0xfffe
	s_ashr_i32 s1, s0, 31
	s_ashr_i32 s3, s2, 31
	s_wait_alu 0xfffe
	s_lshl_b64 s[0:1], s[0:1], 1
	s_lshl_b64 s[2:3], s[2:3], 1
	s_wait_alu 0xfffe
	s_add_nc_u64 s[0:1], s[8:9], s[0:1]
	v_lshlrev_b32_e32 v0, 1, v15
	s_mul_i32 s4, s33, 0xf0
	s_wait_alu 0xfffe
	s_add_nc_u64 s[0:1], s[0:1], s[2:3]
	s_mov_b32 s5, 0
	s_wait_alu 0xfffe
	s_add_nc_u64 s[2:3], s[0:1], s[4:5]
	s_and_saveexec_b32 s1, vcc_lo
	s_cbranch_execz .LBB336_101
; %bb.100:
	v_bfe_u32 v9, v8, 16, 1
	v_or_b32_e32 v10, 0x400000, v8
	v_cmp_u_f32_e64 s0, v8, v8
	s_delay_alu instid0(VALU_DEP_3) | instskip(SKIP_1) | instid1(VALU_DEP_1)
	v_add3_u32 v9, v9, v8, 0x7fff
	s_wait_alu 0xf1ff
	v_cndmask_b32_e64 v8, v9, v10, s0
	global_store_d16_hi_b16 v0, v8, s[2:3]
.LBB336_101:
	s_wait_alu 0xfffe
	s_or_b32 exec_lo, exec_lo, s1
	v_or_b32_e32 v8, 16, v15
	s_delay_alu instid0(VALU_DEP_1)
	v_cmp_gt_u32_e64 s0, 0x78, v8
	s_and_b32 s0, vcc_lo, s0
	s_wait_alu 0xfffe
	s_and_saveexec_b32 s1, s0
	s_cbranch_execz .LBB336_103
; %bb.102:
	v_bfe_u32 v8, v7, 16, 1
	v_or_b32_e32 v9, 0x400000, v7
	v_cmp_u_f32_e64 s0, v7, v7
	s_delay_alu instid0(VALU_DEP_3) | instskip(SKIP_1) | instid1(VALU_DEP_1)
	v_add3_u32 v8, v8, v7, 0x7fff
	s_wait_alu 0xf1ff
	v_cndmask_b32_e64 v7, v8, v9, s0
	global_store_d16_hi_b16 v0, v7, s[2:3] offset:32
.LBB336_103:
	s_wait_alu 0xfffe
	s_or_b32 exec_lo, exec_lo, s1
	v_or_b32_e32 v7, 32, v15
	s_delay_alu instid0(VALU_DEP_1)
	v_cmp_gt_u32_e64 s0, 0x78, v7
	s_and_b32 s0, vcc_lo, s0
	s_wait_alu 0xfffe
	s_and_saveexec_b32 s1, s0
	s_cbranch_execz .LBB336_105
; %bb.104:
	v_bfe_u32 v7, v6, 16, 1
	v_or_b32_e32 v8, 0x400000, v6
	v_cmp_u_f32_e64 s0, v6, v6
	s_delay_alu instid0(VALU_DEP_3) | instskip(SKIP_1) | instid1(VALU_DEP_1)
	v_add3_u32 v7, v7, v6, 0x7fff
	s_wait_alu 0xf1ff
	v_cndmask_b32_e64 v6, v7, v8, s0
	global_store_d16_hi_b16 v0, v6, s[2:3] offset:64
.LBB336_105:
	s_wait_alu 0xfffe
	s_or_b32 exec_lo, exec_lo, s1
	v_or_b32_e32 v6, 48, v15
	s_delay_alu instid0(VALU_DEP_1)
	v_cmp_gt_u32_e64 s0, 0x78, v6
	s_and_b32 s0, vcc_lo, s0
	s_wait_alu 0xfffe
	s_and_saveexec_b32 s1, s0
	s_cbranch_execz .LBB336_107
; %bb.106:
	v_bfe_u32 v6, v5, 16, 1
	v_or_b32_e32 v7, 0x400000, v5
	v_cmp_u_f32_e64 s0, v5, v5
	s_delay_alu instid0(VALU_DEP_3) | instskip(SKIP_1) | instid1(VALU_DEP_1)
	v_add3_u32 v6, v6, v5, 0x7fff
	s_wait_alu 0xf1ff
	v_cndmask_b32_e64 v5, v6, v7, s0
	global_store_d16_hi_b16 v0, v5, s[2:3] offset:96
.LBB336_107:
	s_wait_alu 0xfffe
	s_or_b32 exec_lo, exec_lo, s1
	v_or_b32_e32 v5, 64, v15
	s_delay_alu instid0(VALU_DEP_1)
	v_cmp_gt_u32_e64 s0, 0x78, v5
	s_and_b32 s0, vcc_lo, s0
	s_wait_alu 0xfffe
	s_and_saveexec_b32 s1, s0
	s_cbranch_execz .LBB336_109
; %bb.108:
	v_bfe_u32 v5, v4, 16, 1
	v_or_b32_e32 v6, 0x400000, v4
	v_cmp_u_f32_e64 s0, v4, v4
	s_delay_alu instid0(VALU_DEP_3) | instskip(SKIP_1) | instid1(VALU_DEP_1)
	v_add3_u32 v5, v5, v4, 0x7fff
	s_wait_alu 0xf1ff
	v_cndmask_b32_e64 v4, v5, v6, s0
	global_store_d16_hi_b16 v0, v4, s[2:3] offset:128
.LBB336_109:
	s_wait_alu 0xfffe
	s_or_b32 exec_lo, exec_lo, s1
	v_or_b32_e32 v4, 0x50, v15
	s_delay_alu instid0(VALU_DEP_1)
	v_cmp_gt_u32_e64 s0, 0x78, v4
	s_and_b32 s0, vcc_lo, s0
	s_wait_alu 0xfffe
	s_and_saveexec_b32 s1, s0
	s_cbranch_execz .LBB336_111
; %bb.110:
	v_bfe_u32 v4, v3, 16, 1
	v_or_b32_e32 v5, 0x400000, v3
	v_cmp_u_f32_e64 s0, v3, v3
	s_delay_alu instid0(VALU_DEP_3) | instskip(SKIP_1) | instid1(VALU_DEP_1)
	v_add3_u32 v4, v4, v3, 0x7fff
	s_wait_alu 0xf1ff
	v_cndmask_b32_e64 v3, v4, v5, s0
	global_store_d16_hi_b16 v0, v3, s[2:3] offset:160
.LBB336_111:
	s_wait_alu 0xfffe
	s_or_b32 exec_lo, exec_lo, s1
	v_or_b32_e32 v3, 0x60, v15
	s_delay_alu instid0(VALU_DEP_1)
	v_cmp_gt_u32_e64 s0, 0x78, v3
	s_and_b32 s0, vcc_lo, s0
	s_wait_alu 0xfffe
	s_and_saveexec_b32 s1, s0
	s_cbranch_execz .LBB336_113
; %bb.112:
	v_bfe_u32 v3, v2, 16, 1
	v_or_b32_e32 v4, 0x400000, v2
	v_cmp_u_f32_e64 s0, v2, v2
	s_delay_alu instid0(VALU_DEP_3) | instskip(SKIP_1) | instid1(VALU_DEP_1)
	v_add3_u32 v3, v3, v2, 0x7fff
	s_wait_alu 0xf1ff
	v_cndmask_b32_e64 v2, v3, v4, s0
	global_store_d16_hi_b16 v0, v2, s[2:3] offset:192
.LBB336_113:
	s_wait_alu 0xfffe
	s_or_b32 exec_lo, exec_lo, s1
	v_or_b32_e32 v2, 0x70, v15
	s_delay_alu instid0(VALU_DEP_1)
	v_cmp_gt_u32_e64 s0, 0x78, v2
	s_and_b32 s0, vcc_lo, s0
	s_wait_alu 0xfffe
	s_and_b32 exec_lo, exec_lo, s0
	s_cbranch_execz .LBB336_115
; %bb.114:
	v_bfe_u32 v2, v1, 16, 1
	v_or_b32_e32 v3, 0x400000, v1
	v_cmp_u_f32_e32 vcc_lo, v1, v1
	s_delay_alu instid0(VALU_DEP_3) | instskip(SKIP_1) | instid1(VALU_DEP_1)
	v_add3_u32 v2, v2, v1, 0x7fff
	s_wait_alu 0xfffd
	v_cndmask_b32_e32 v1, v2, v3, vcc_lo
	global_store_d16_hi_b16 v0, v1, s[2:3] offset:224
.LBB336_115:
	s_nop 0
	s_sendmsg sendmsg(MSG_DEALLOC_VGPRS)
	s_endpgm
.LBB336_116:
	v_lshl_add_u32 v10, v20, 2, v9
	ds_load_b32 v10, v10
	s_wait_dscnt 0x0
	v_add_f32_e32 v8, v8, v10
	s_wait_alu 0xfffe
	s_or_b32 exec_lo, exec_lo, s0
	s_and_saveexec_b32 s0, vcc_lo
	s_cbranch_execz .LBB336_72
.LBB336_117:
	v_lshl_add_u32 v10, v20, 2, v9
	ds_load_b32 v10, v10 offset:64
	s_wait_dscnt 0x0
	v_add_f32_e32 v7, v7, v10
	s_wait_alu 0xfffe
	s_or_b32 exec_lo, exec_lo, s0
	s_and_saveexec_b32 s0, vcc_lo
	s_cbranch_execz .LBB336_73
.LBB336_118:
	v_lshl_add_u32 v10, v20, 2, v9
	ds_load_b32 v10, v10 offset:128
	s_wait_dscnt 0x0
	v_add_f32_e32 v6, v6, v10
	s_wait_alu 0xfffe
	s_or_b32 exec_lo, exec_lo, s0
	s_and_saveexec_b32 s0, vcc_lo
	s_cbranch_execz .LBB336_74
.LBB336_119:
	v_lshl_add_u32 v10, v20, 2, v9
	ds_load_b32 v10, v10 offset:192
	s_wait_dscnt 0x0
	v_add_f32_e32 v5, v5, v10
	s_wait_alu 0xfffe
	s_or_b32 exec_lo, exec_lo, s0
	s_and_saveexec_b32 s0, vcc_lo
	s_cbranch_execz .LBB336_75
.LBB336_120:
	v_lshl_add_u32 v10, v20, 2, v9
	ds_load_b32 v10, v10 offset:256
	s_wait_dscnt 0x0
	v_add_f32_e32 v4, v4, v10
	s_wait_alu 0xfffe
	s_or_b32 exec_lo, exec_lo, s0
	s_and_saveexec_b32 s0, vcc_lo
	s_cbranch_execz .LBB336_76
.LBB336_121:
	v_lshl_add_u32 v10, v20, 2, v9
	ds_load_b32 v10, v10 offset:320
	s_wait_dscnt 0x0
	v_add_f32_e32 v3, v3, v10
	s_wait_alu 0xfffe
	s_or_b32 exec_lo, exec_lo, s0
	s_and_saveexec_b32 s0, vcc_lo
	s_cbranch_execnz .LBB336_77
	s_branch .LBB336_78
.LBB336_122:
	ds_load_b32 v9, v0
	s_wait_dscnt 0x0
	v_add_f32_e32 v8, v8, v9
	s_wait_alu 0xfffe
	s_or_b32 exec_lo, exec_lo, s1
	s_and_saveexec_b32 s1, vcc_lo
	s_cbranch_execz .LBB336_89
.LBB336_123:
	ds_load_b32 v9, v0 offset:64
	s_wait_dscnt 0x0
	v_add_f32_e32 v7, v7, v9
	s_wait_alu 0xfffe
	s_or_b32 exec_lo, exec_lo, s1
	s_and_saveexec_b32 s1, vcc_lo
	s_cbranch_execz .LBB336_90
.LBB336_124:
	ds_load_b32 v9, v0 offset:128
	s_wait_dscnt 0x0
	v_add_f32_e32 v6, v6, v9
	s_wait_alu 0xfffe
	s_or_b32 exec_lo, exec_lo, s1
	s_and_saveexec_b32 s1, vcc_lo
	s_cbranch_execz .LBB336_91
.LBB336_125:
	ds_load_b32 v9, v0 offset:192
	s_wait_dscnt 0x0
	v_add_f32_e32 v5, v5, v9
	s_wait_alu 0xfffe
	s_or_b32 exec_lo, exec_lo, s1
	s_and_saveexec_b32 s1, vcc_lo
	s_cbranch_execz .LBB336_92
.LBB336_126:
	ds_load_b32 v9, v0 offset:256
	s_wait_dscnt 0x0
	v_add_f32_e32 v4, v4, v9
	s_wait_alu 0xfffe
	s_or_b32 exec_lo, exec_lo, s1
	s_and_saveexec_b32 s1, vcc_lo
	s_cbranch_execz .LBB336_93
.LBB336_127:
	ds_load_b32 v9, v0 offset:320
	s_wait_dscnt 0x0
	v_add_f32_e32 v3, v3, v9
	s_wait_alu 0xfffe
	s_or_b32 exec_lo, exec_lo, s1
	s_and_saveexec_b32 s1, vcc_lo
	s_cbranch_execnz .LBB336_94
	s_branch .LBB336_95
	.section	.rodata,"a",@progbits
	.p2align	6, 0x0
	.amdhsa_kernel _ZN4vllm25paged_attention_v2_kernelI14__hip_bfloat16hLi120ELi16ELi128ELNS_18Fp8KVCacheDataTypeE1ELb1ELi512EEEvPfS3_PT_PKS4_PKT0_SA_ifPKiSC_iPKfiiiSE_SE_iiiii
		.amdhsa_group_segment_fixed_size 272
		.amdhsa_private_segment_fixed_size 0
		.amdhsa_kernarg_size 400
		.amdhsa_user_sgpr_count 2
		.amdhsa_user_sgpr_dispatch_ptr 0
		.amdhsa_user_sgpr_queue_ptr 0
		.amdhsa_user_sgpr_kernarg_segment_ptr 1
		.amdhsa_user_sgpr_dispatch_id 0
		.amdhsa_user_sgpr_private_segment_size 0
		.amdhsa_wavefront_size32 1
		.amdhsa_uses_dynamic_stack 0
		.amdhsa_enable_private_segment 0
		.amdhsa_system_sgpr_workgroup_id_x 1
		.amdhsa_system_sgpr_workgroup_id_y 1
		.amdhsa_system_sgpr_workgroup_id_z 1
		.amdhsa_system_sgpr_workgroup_info 0
		.amdhsa_system_vgpr_workitem_id 0
		.amdhsa_next_free_vgpr 133
		.amdhsa_next_free_sgpr 63
		.amdhsa_reserve_vcc 1
		.amdhsa_float_round_mode_32 0
		.amdhsa_float_round_mode_16_64 0
		.amdhsa_float_denorm_mode_32 3
		.amdhsa_float_denorm_mode_16_64 3
		.amdhsa_fp16_overflow 0
		.amdhsa_workgroup_processor_mode 1
		.amdhsa_memory_ordered 1
		.amdhsa_forward_progress 1
		.amdhsa_inst_pref_size 181
		.amdhsa_round_robin_scheduling 0
		.amdhsa_exception_fp_ieee_invalid_op 0
		.amdhsa_exception_fp_denorm_src 0
		.amdhsa_exception_fp_ieee_div_zero 0
		.amdhsa_exception_fp_ieee_overflow 0
		.amdhsa_exception_fp_ieee_underflow 0
		.amdhsa_exception_fp_ieee_inexact 0
		.amdhsa_exception_int_div_zero 0
	.end_amdhsa_kernel
	.section	.text._ZN4vllm25paged_attention_v2_kernelI14__hip_bfloat16hLi120ELi16ELi128ELNS_18Fp8KVCacheDataTypeE1ELb1ELi512EEEvPfS3_PT_PKS4_PKT0_SA_ifPKiSC_iPKfiiiSE_SE_iiiii,"axG",@progbits,_ZN4vllm25paged_attention_v2_kernelI14__hip_bfloat16hLi120ELi16ELi128ELNS_18Fp8KVCacheDataTypeE1ELb1ELi512EEEvPfS3_PT_PKS4_PKT0_SA_ifPKiSC_iPKfiiiSE_SE_iiiii,comdat
.Lfunc_end336:
	.size	_ZN4vllm25paged_attention_v2_kernelI14__hip_bfloat16hLi120ELi16ELi128ELNS_18Fp8KVCacheDataTypeE1ELb1ELi512EEEvPfS3_PT_PKS4_PKT0_SA_ifPKiSC_iPKfiiiSE_SE_iiiii, .Lfunc_end336-_ZN4vllm25paged_attention_v2_kernelI14__hip_bfloat16hLi120ELi16ELi128ELNS_18Fp8KVCacheDataTypeE1ELb1ELi512EEEvPfS3_PT_PKS4_PKT0_SA_ifPKiSC_iPKfiiiSE_SE_iiiii
                                        ; -- End function
	.set _ZN4vllm25paged_attention_v2_kernelI14__hip_bfloat16hLi120ELi16ELi128ELNS_18Fp8KVCacheDataTypeE1ELb1ELi512EEEvPfS3_PT_PKS4_PKT0_SA_ifPKiSC_iPKfiiiSE_SE_iiiii.num_vgpr, 133
	.set _ZN4vllm25paged_attention_v2_kernelI14__hip_bfloat16hLi120ELi16ELi128ELNS_18Fp8KVCacheDataTypeE1ELb1ELi512EEEvPfS3_PT_PKS4_PKT0_SA_ifPKiSC_iPKfiiiSE_SE_iiiii.num_agpr, 0
	.set _ZN4vllm25paged_attention_v2_kernelI14__hip_bfloat16hLi120ELi16ELi128ELNS_18Fp8KVCacheDataTypeE1ELb1ELi512EEEvPfS3_PT_PKS4_PKT0_SA_ifPKiSC_iPKfiiiSE_SE_iiiii.numbered_sgpr, 63
	.set _ZN4vllm25paged_attention_v2_kernelI14__hip_bfloat16hLi120ELi16ELi128ELNS_18Fp8KVCacheDataTypeE1ELb1ELi512EEEvPfS3_PT_PKS4_PKT0_SA_ifPKiSC_iPKfiiiSE_SE_iiiii.num_named_barrier, 0
	.set _ZN4vllm25paged_attention_v2_kernelI14__hip_bfloat16hLi120ELi16ELi128ELNS_18Fp8KVCacheDataTypeE1ELb1ELi512EEEvPfS3_PT_PKS4_PKT0_SA_ifPKiSC_iPKfiiiSE_SE_iiiii.private_seg_size, 0
	.set _ZN4vllm25paged_attention_v2_kernelI14__hip_bfloat16hLi120ELi16ELi128ELNS_18Fp8KVCacheDataTypeE1ELb1ELi512EEEvPfS3_PT_PKS4_PKT0_SA_ifPKiSC_iPKfiiiSE_SE_iiiii.uses_vcc, 1
	.set _ZN4vllm25paged_attention_v2_kernelI14__hip_bfloat16hLi120ELi16ELi128ELNS_18Fp8KVCacheDataTypeE1ELb1ELi512EEEvPfS3_PT_PKS4_PKT0_SA_ifPKiSC_iPKfiiiSE_SE_iiiii.uses_flat_scratch, 0
	.set _ZN4vllm25paged_attention_v2_kernelI14__hip_bfloat16hLi120ELi16ELi128ELNS_18Fp8KVCacheDataTypeE1ELb1ELi512EEEvPfS3_PT_PKS4_PKT0_SA_ifPKiSC_iPKfiiiSE_SE_iiiii.has_dyn_sized_stack, 0
	.set _ZN4vllm25paged_attention_v2_kernelI14__hip_bfloat16hLi120ELi16ELi128ELNS_18Fp8KVCacheDataTypeE1ELb1ELi512EEEvPfS3_PT_PKS4_PKT0_SA_ifPKiSC_iPKfiiiSE_SE_iiiii.has_recursion, 0
	.set _ZN4vllm25paged_attention_v2_kernelI14__hip_bfloat16hLi120ELi16ELi128ELNS_18Fp8KVCacheDataTypeE1ELb1ELi512EEEvPfS3_PT_PKS4_PKT0_SA_ifPKiSC_iPKfiiiSE_SE_iiiii.has_indirect_call, 0
	.section	.AMDGPU.csdata,"",@progbits
; Kernel info:
; codeLenInByte = 23044
; TotalNumSgprs: 65
; NumVgprs: 133
; ScratchSize: 0
; MemoryBound: 0
; FloatMode: 240
; IeeeMode: 1
; LDSByteSize: 272 bytes/workgroup (compile time only)
; SGPRBlocks: 0
; VGPRBlocks: 16
; NumSGPRsForWavesPerEU: 65
; NumVGPRsForWavesPerEU: 133
; Occupancy: 10
; WaveLimiterHint : 1
; COMPUTE_PGM_RSRC2:SCRATCH_EN: 0
; COMPUTE_PGM_RSRC2:USER_SGPR: 2
; COMPUTE_PGM_RSRC2:TRAP_HANDLER: 0
; COMPUTE_PGM_RSRC2:TGID_X_EN: 1
; COMPUTE_PGM_RSRC2:TGID_Y_EN: 1
; COMPUTE_PGM_RSRC2:TGID_Z_EN: 1
; COMPUTE_PGM_RSRC2:TIDIG_COMP_CNT: 0
	.section	.text._ZN4vllm25paged_attention_v2_kernelI14__hip_bfloat16hLi128ELi16ELi128ELNS_18Fp8KVCacheDataTypeE1ELb1ELi512EEEvPfS3_PT_PKS4_PKT0_SA_ifPKiSC_iPKfiiiSE_SE_iiiii,"axG",@progbits,_ZN4vllm25paged_attention_v2_kernelI14__hip_bfloat16hLi128ELi16ELi128ELNS_18Fp8KVCacheDataTypeE1ELb1ELi512EEEvPfS3_PT_PKS4_PKT0_SA_ifPKiSC_iPKfiiiSE_SE_iiiii,comdat
	.protected	_ZN4vllm25paged_attention_v2_kernelI14__hip_bfloat16hLi128ELi16ELi128ELNS_18Fp8KVCacheDataTypeE1ELb1ELi512EEEvPfS3_PT_PKS4_PKT0_SA_ifPKiSC_iPKfiiiSE_SE_iiiii ; -- Begin function _ZN4vllm25paged_attention_v2_kernelI14__hip_bfloat16hLi128ELi16ELi128ELNS_18Fp8KVCacheDataTypeE1ELb1ELi512EEEvPfS3_PT_PKS4_PKT0_SA_ifPKiSC_iPKfiiiSE_SE_iiiii
	.globl	_ZN4vllm25paged_attention_v2_kernelI14__hip_bfloat16hLi128ELi16ELi128ELNS_18Fp8KVCacheDataTypeE1ELb1ELi512EEEvPfS3_PT_PKS4_PKT0_SA_ifPKiSC_iPKfiiiSE_SE_iiiii
	.p2align	8
	.type	_ZN4vllm25paged_attention_v2_kernelI14__hip_bfloat16hLi128ELi16ELi128ELNS_18Fp8KVCacheDataTypeE1ELb1ELi512EEEvPfS3_PT_PKS4_PKT0_SA_ifPKiSC_iPKfiiiSE_SE_iiiii,@function
_ZN4vllm25paged_attention_v2_kernelI14__hip_bfloat16hLi128ELi16ELi128ELNS_18Fp8KVCacheDataTypeE1ELb1ELi512EEEvPfS3_PT_PKS4_PKT0_SA_ifPKiSC_iPKfiiiSE_SE_iiiii: ; @_ZN4vllm25paged_attention_v2_kernelI14__hip_bfloat16hLi128ELi16ELi128ELNS_18Fp8KVCacheDataTypeE1ELb1ELi512EEEvPfS3_PT_PKS4_PKT0_SA_ifPKiSC_iPKfiiiSE_SE_iiiii
; %bb.0:
	s_load_b64 s[2:3], s[0:1], 0x40
	s_and_b32 s54, ttmp7, 0xffff
	s_lshr_b32 s33, ttmp7, 16
	s_lshl_b32 s4, s54, 2
	s_lshl_b32 s56, s33, 9
	s_wait_kmcnt 0x0
	s_load_b32 s52, s[2:3], s4 offset:0x0
	s_wait_kmcnt 0x0
	s_cmp_ge_i32 s56, s52
	s_cbranch_scc1 .LBB337_88
; %bb.1:
	s_clause 0x1
	s_load_b32 s55, s[0:1], 0x90
	s_load_b64 s[50:51], s[0:1], 0x30
	s_wait_kmcnt 0x0
	s_abs_i32 s5, s55
	s_abs_i32 s2, s50
	s_delay_alu instid0(SALU_CYCLE_1) | instskip(SKIP_1) | instid1(SALU_CYCLE_2)
	s_cvt_f32_u32 s3, s2
	s_sub_co_i32 s4, 0, s2
	v_rcp_iflag_f32_e32 v1, s3
	s_delay_alu instid0(TRANS32_DEP_1) | instskip(SKIP_2) | instid1(SALU_CYCLE_2)
	v_readfirstlane_b32 s3, v1
	s_mul_f32 s3, s3, 0x4f7ffffe
	s_wait_alu 0xfffe
	s_cvt_u32_f32 s3, s3
	s_wait_alu 0xfffe
	s_delay_alu instid0(SALU_CYCLE_2) | instskip(NEXT) | instid1(SALU_CYCLE_1)
	s_mul_i32 s4, s4, s3
	s_mul_hi_u32 s4, s3, s4
	s_delay_alu instid0(SALU_CYCLE_1)
	s_add_co_i32 s3, s3, s4
	s_xor_b32 s4, s55, s50
	s_wait_alu 0xfffe
	s_mul_hi_u32 s3, s5, s3
	s_ashr_i32 s4, s4, 31
	s_wait_alu 0xfffe
	s_mul_i32 s6, s3, s2
	s_delay_alu instid0(SALU_CYCLE_1)
	s_sub_co_i32 s5, s5, s6
	s_add_co_i32 s6, s3, 1
	s_sub_co_i32 s7, s5, s2
	s_cmp_ge_u32 s5, s2
	s_cselect_b32 s3, s6, s3
	s_cselect_b32 s5, s7, s5
	s_wait_alu 0xfffe
	s_add_co_i32 s6, s3, 1
	s_cmp_ge_u32 s5, s2
	s_mov_b32 s5, 0
	s_cselect_b32 s2, s6, s3
	s_load_b64 s[6:7], s[0:1], 0x50
	s_xor_b32 s2, s2, s4
	s_mov_b32 s57, s5
	s_wait_alu 0xfffe
	s_sub_co_i32 s9, s2, s4
	s_abs_i32 s4, ttmp9
	s_abs_i32 s8, s9
	s_delay_alu instid0(SALU_CYCLE_1) | instskip(SKIP_2) | instid1(SALU_CYCLE_1)
	s_cvt_f32_u32 s2, s8
	s_sub_co_i32 s3, 0, s8
	s_wait_alu 0xfffe
	v_rcp_iflag_f32_e32 v1, s2
	s_delay_alu instid0(TRANS32_DEP_1) | instskip(SKIP_2) | instid1(SALU_CYCLE_2)
	v_readfirstlane_b32 s2, v1
	s_mul_f32 s2, s2, 0x4f7ffffe
	s_wait_alu 0xfffe
	s_cvt_u32_f32 s2, s2
	s_wait_alu 0xfffe
	s_delay_alu instid0(SALU_CYCLE_2)
	s_mul_i32 s3, s3, s2
	s_wait_alu 0xfffe
	s_mul_hi_u32 s3, s2, s3
	s_wait_alu 0xfffe
	s_add_co_i32 s2, s2, s3
	s_mov_b32 s3, s5
	s_wait_kmcnt 0x0
	s_cmp_eq_u64 s[6:7], 0
	s_cbranch_scc1 .LBB337_3
; %bb.2:
	s_mov_b32 s10, ttmp9
	s_ashr_i32 s11, ttmp9, 31
	s_delay_alu instid0(SALU_CYCLE_1) | instskip(NEXT) | instid1(SALU_CYCLE_1)
	s_lshl_b64 s[10:11], s[10:11], 2
	s_add_nc_u64 s[6:7], s[6:7], s[10:11]
	s_load_b32 s57, s[6:7], 0x0
.LBB337_3:
	s_load_b96 s[40:42], s[0:1], 0x58
	s_mul_u64 s[2:3], s[4:5], s[2:3]
	v_lshrrev_b32_e32 v37, 1, v0
	v_and_b32_e32 v38, 1, v0
	v_cmp_gt_u32_e64 s2, 32, v0
	v_lshlrev_b32_e32 v42, 3, v0
	s_ashr_i32 s5, ttmp9, 31
	s_ashr_i32 s6, s9, 31
	s_lshl_b32 s34, ttmp9, 7
	s_wait_alu 0xfffe
	s_and_saveexec_b32 s7, s2
	s_cbranch_execz .LBB337_5
; %bb.4:
	s_load_b64 s[10:11], s[0:1], 0x18
	s_wait_kmcnt 0x0
	s_mul_i32 s12, s40, s54
	s_ashr_i32 s35, s34, 31
	s_ashr_i32 s13, s12, 31
	v_lshlrev_b32_e32 v3, 3, v37
	s_lshl_b64 s[12:13], s[12:13], 1
	s_delay_alu instid0(VALU_DEP_1) | instskip(SKIP_2) | instid1(SALU_CYCLE_1)
	v_lshl_add_u32 v3, v38, 7, v3
	s_add_nc_u64 s[10:11], s[10:11], s[12:13]
	s_lshl_b64 s[12:13], s[34:35], 1
	s_add_nc_u64 s[10:11], s[10:11], s[12:13]
	global_load_b64 v[1:2], v42, s[10:11]
	s_wait_loadcnt 0x0
	ds_store_b64 v3, v[1:2]
.LBB337_5:
	s_or_b32 exec_lo, exec_lo, s7
	s_load_b128 s[36:39], s[0:1], 0x78
	s_mul_i32 s7, s3, s8
	s_xor_b32 s5, s5, s6
	s_sub_co_i32 s4, s4, s7
	s_add_co_i32 s6, s3, 1
	s_sub_co_i32 s7, s4, s8
	s_cmp_ge_u32 s4, s8
	s_mov_b32 s10, -1
	s_cselect_b32 s3, s6, s3
	s_cselect_b32 s4, s7, s4
	s_wait_alu 0xfffe
	s_add_co_i32 s6, s3, 1
	s_cmp_ge_u32 s4, s8
                                        ; implicit-def: $sgpr53
	s_cselect_b32 s4, s6, s3
	s_load_b32 s3, s[0:1], 0x88
	s_xor_b32 s4, s4, s5
	s_add_co_i32 s9, s52, -1
	s_sub_co_i32 s8, s4, s5
	s_wait_dscnt 0x0
	s_barrier_signal -1
	s_wait_kmcnt 0x0
	s_abs_i32 s40, s39
	s_barrier_wait -1
	s_cvt_f32_u32 s6, s40
	global_inv scope:SCOPE_SE
	v_rcp_iflag_f32_e32 v1, s6
	s_delay_alu instid0(TRANS32_DEP_1) | instskip(SKIP_1) | instid1(SALU_CYCLE_3)
	v_readfirstlane_b32 s6, v1
	s_mul_f32 s4, s6, 0x4f7ffffe
	s_cvt_u32_f32 s6, s4
	s_sub_co_i32 s4, 0, s40
	s_wait_alu 0xfffe
	s_delay_alu instid0(SALU_CYCLE_1)
	s_mul_i32 s5, s4, s6
	s_abs_i32 s4, s9
	s_mul_hi_u32 s7, s6, s5
	s_mov_b32 s5, 0
	s_wait_alu 0xfffe
	s_add_co_i32 s44, s6, s7
	s_cmp_lt_i32 s3, 0
	s_mov_b32 s45, s5
	s_cbranch_scc0 .LBB337_7
; %bb.6:
	s_mul_i32 s6, s36, s50
	s_mov_b32 s10, s5
	s_wait_alu 0xfffe
	s_add_co_i32 s6, s8, s6
	s_wait_alu 0xfffe
	s_mul_i32 s6, s6, s3
	s_wait_alu 0xfffe
	s_sub_co_i32 s53, 1, s6
.LBB337_7:
	s_mul_u64 s[6:7], s[4:5], s[44:45]
	s_ashr_i32 s5, s9, 31
	s_and_not1_b32 vcc_lo, exec_lo, s10
	s_ashr_i32 s39, s39, 31
	s_cbranch_vccnz .LBB337_9
; %bb.8:
	s_mul_i32 s6, s55, s36
	s_wait_alu 0xfffe
	s_add_co_i32 s6, s6, ttmp9
	s_wait_alu 0xfffe
	s_mul_i32 s3, s6, s3
	s_wait_alu 0xfffe
	s_add_co_i32 s53, s3, 1
.LBB337_9:
	s_clause 0x3
	s_load_b32 s3, s[0:1], 0x48
	s_load_b64 s[46:47], s[0:1], 0x38
	s_load_b32 s35, s[0:1], 0x98
	s_load_b128 s[28:31], s[0:1], 0x68
	s_mul_i32 s6, s7, s40
	s_xor_b32 s5, s5, s39
	s_wait_alu 0xfffe
	s_sub_co_i32 s4, s4, s6
	s_add_co_i32 s9, s7, 1
	v_lshrrev_b32_e32 v39, 5, v0
	v_mbcnt_lo_u32_b32 v44, -1, 0
	s_mul_i32 s42, s8, s42
	s_delay_alu instid0(VALU_DEP_2)
	v_lshl_add_u32 v40, v39, 4, s56
	s_wait_kmcnt 0x0
	s_mul_i32 s48, s3, s54
	s_sub_co_i32 s3, s4, s40
	s_ashr_i32 s49, s48, 31
	s_cmp_ge_u32 s4, s40
	s_cselect_b32 s6, s9, s7
	s_wait_alu 0xfffe
	s_cselect_b32 s3, s3, s4
	s_add_co_i32 s4, s6, 1
	s_wait_alu 0xfffe
	s_cmp_ge_u32 s3, s40
	s_cselect_b32 s3, s4, s6
	s_add_co_i32 s4, s52, 15
	s_lshl_b32 s58, s33, 5
	s_ashr_i32 s6, s4, 31
	v_or_b32_e32 v41, s58, v39
	s_wait_alu 0xfffe
	s_lshr_b32 s6, s6, 28
	v_mov_b32_e32 v46, 0xff7fffff
	s_wait_alu 0xfffe
	s_add_co_i32 s4, s4, s6
	s_add_co_i32 s6, s58, 32
	s_ashr_i32 s45, s4, 4
	s_xor_b32 s4, s3, s5
	s_wait_alu 0xfffe
	s_min_i32 s36, s6, s45
	v_lshlrev_b32_e32 v43, 2, v41
	v_cmp_gt_i32_e64 s3, s36, v41
	s_sub_co_i32 s50, s4, s5
	s_and_saveexec_b32 s59, s3
	s_cbranch_execz .LBB337_21
; %bb.10:
	s_sub_co_i32 s60, s50, s37
	s_ashr_i32 s43, s42, 31
	s_cmp_neq_f32 s57, 0
	s_load_b64 s[6:7], s[0:1], 0x20
	v_bfe_u32 v45, v0, 1, 4
	v_dual_mov_b32 v51, 0xff7fffff :: v_dual_lshlrev_b32 v2, 2, v38
	s_cselect_b32 vcc_lo, -1, 0
	s_abs_i32 s61, s38
	s_delay_alu instid0(VALU_DEP_2) | instskip(SKIP_3) | instid1(SALU_CYCLE_1)
	v_lshlrev_b32_e32 v3, 4, v45
	s_cvt_f32_u32 s4, s61
	v_dual_mov_b32 v53, v41 :: v_dual_lshlrev_b32 v4, 2, v45
	s_lshl_b64 s[8:9], s[48:49], 2
	v_rcp_iflag_f32_e32 v1, s4
	v_subrev_nc_u32_e32 v5, s52, v45
	s_add_nc_u64 s[8:9], s[46:47], s[8:9]
	s_sub_co_i32 s10, 0, s61
	v_cmp_eq_u32_e64 s4, 0, v38
	v_dual_mov_b32 v46, 0xff7fffff :: v_dual_lshlrev_b32 v47, 7, v38
	v_lshl_add_u32 v48, v39, 4, s56
	v_add_nc_u32_e32 v49, 1, v5
	s_wait_kmcnt 0x0
	s_add_nc_u64 s[6:7], s[6:7], s[42:43]
	v_readfirstlane_b32 s5, v1
	s_wait_alu 0xfffe
	v_add_co_u32 v3, s6, s6, v3
	v_lshl_or_b32 v1, v39, 6, v4
	s_wait_alu 0xf1ff
	v_add_co_ci_u32_e64 v4, null, s7, 0, s6
	s_mul_f32 s5, s5, 0x4f7ffffe
	v_xor_b32_e32 v52, 1, v44
	v_add_nc_u32_e32 v50, 0x120, v1
	s_mov_b32 s62, 0
	s_wait_alu 0xfffe
	s_cvt_u32_f32 s6, s5
	v_add_co_u32 v33, s5, v3, v2
	s_wait_alu 0xf1ff
	v_add_co_ci_u32_e64 v34, null, 0, v4, s5
	v_add_co_u32 v35, s5, s8, v43
	s_wait_alu 0xfffe
	s_mul_i32 s10, s10, s6
	v_add_co_ci_u32_e64 v36, null, s9, 0, s5
	s_mul_hi_u32 s5, s6, s10
	s_mov_b32 s43, s41
	s_wait_alu 0xfffe
	s_add_co_i32 s63, s6, s5
	s_branch .LBB337_13
.LBB337_11:                             ;   in Loop: Header=BB337_13 Depth=1
	s_wait_alu 0xfffe
	s_or_b32 exec_lo, exec_lo, s6
.LBB337_12:                             ;   in Loop: Header=BB337_13 Depth=1
	s_wait_alu 0xfffe
	s_or_b32 exec_lo, exec_lo, s64
	v_add_nc_u32_e32 v53, 4, v53
	v_add_co_u32 v35, s6, v35, 16
	s_wait_alu 0xf1ff
	v_add_co_ci_u32_e64 v36, null, 0, v36, s6
	s_delay_alu instid0(VALU_DEP_3)
	v_cmp_le_i32_e64 s5, s36, v53
	v_add_nc_u32_e32 v48, 64, v48
	v_add_nc_u32_e32 v50, 0x100, v50
	s_or_b32 s62, s5, s62
	s_wait_alu 0xfffe
	s_and_not1_b32 exec_lo, exec_lo, s62
	s_cbranch_execz .LBB337_20
.LBB337_13:                             ; =>This Inner Loop Header: Depth=1
	v_sub_nc_u32_e32 v1, 0, v48
	s_delay_alu instid0(VALU_DEP_1) | instskip(SKIP_1) | instid1(VALU_DEP_1)
	v_max_i32_e32 v1, v48, v1
	s_wait_dscnt 0x0
	v_mul_hi_u32 v2, v1, s44
	s_delay_alu instid0(VALU_DEP_1) | instskip(NEXT) | instid1(VALU_DEP_1)
	v_mul_lo_u32 v3, v2, s40
	v_sub_nc_u32_e32 v1, v1, v3
	v_add_nc_u32_e32 v3, 1, v2
	s_delay_alu instid0(VALU_DEP_2) | instskip(SKIP_2) | instid1(VALU_DEP_1)
	v_subrev_nc_u32_e32 v4, s40, v1
	v_cmp_le_u32_e64 s5, s40, v1
	s_wait_alu 0xf1ff
	v_cndmask_b32_e64 v2, v2, v3, s5
	s_delay_alu instid0(VALU_DEP_3) | instskip(SKIP_1) | instid1(VALU_DEP_3)
	v_cndmask_b32_e64 v1, v1, v4, s5
	v_ashrrev_i32_e32 v3, 31, v48
	v_add_nc_u32_e32 v4, 1, v2
	s_delay_alu instid0(VALU_DEP_3) | instskip(NEXT) | instid1(VALU_DEP_3)
	v_cmp_le_u32_e64 s5, s40, v1
	v_xor_b32_e32 v3, s39, v3
	s_wait_alu 0xf1ff
	s_delay_alu instid0(VALU_DEP_2) | instskip(NEXT) | instid1(VALU_DEP_1)
	v_cndmask_b32_e64 v1, v2, v4, s5
	v_xor_b32_e32 v1, v1, v3
	s_delay_alu instid0(VALU_DEP_1) | instskip(NEXT) | instid1(VALU_DEP_1)
	v_sub_nc_u32_e32 v1, v1, v3
	v_add_nc_u32_e32 v2, s53, v1
	v_cmp_ge_i32_e64 s6, s60, v1
	s_delay_alu instid0(VALU_DEP_2) | instskip(NEXT) | instid1(VALU_DEP_1)
	v_sub_nc_u32_e32 v3, 0, v2
	v_max_i32_e32 v3, v2, v3
	v_ashrrev_i32_e32 v2, 31, v2
	s_delay_alu instid0(VALU_DEP_2) | instskip(NEXT) | instid1(VALU_DEP_1)
	v_mul_hi_u32 v4, v3, s63
	v_mul_lo_u32 v4, v4, s61
	s_delay_alu instid0(VALU_DEP_1) | instskip(NEXT) | instid1(VALU_DEP_1)
	v_sub_nc_u32_e32 v3, v3, v4
	v_subrev_nc_u32_e32 v4, s61, v3
	v_cmp_le_u32_e64 s5, s61, v3
	s_wait_alu 0xf1ff
	s_delay_alu instid0(VALU_DEP_1) | instskip(NEXT) | instid1(VALU_DEP_1)
	v_cndmask_b32_e64 v3, v3, v4, s5
	v_subrev_nc_u32_e32 v4, s61, v3
	v_cmp_le_u32_e64 s5, s61, v3
	s_wait_alu 0xf1ff
	s_delay_alu instid0(VALU_DEP_1) | instskip(NEXT) | instid1(VALU_DEP_1)
	v_cndmask_b32_e64 v3, v3, v4, s5
	v_xor_b32_e32 v3, v3, v2
	s_delay_alu instid0(VALU_DEP_1) | instskip(NEXT) | instid1(VALU_DEP_1)
	v_sub_nc_u32_e32 v2, v3, v2
	v_cmp_ne_u32_e64 s5, 0, v2
	s_and_b32 s5, s5, s6
	s_wait_alu 0xfffe
	s_and_saveexec_b32 s6, s5
	s_wait_alu 0xfffe
	s_xor_b32 s5, exec_lo, s6
	s_cbranch_execz .LBB337_17
; %bb.14:                               ;   in Loop: Header=BB337_13 Depth=1
	s_and_saveexec_b32 s6, s4
; %bb.15:                               ;   in Loop: Header=BB337_13 Depth=1
	ds_store_b32 v50, v51
; %bb.16:                               ;   in Loop: Header=BB337_13 Depth=1
	s_wait_alu 0xfffe
	s_or_b32 exec_lo, exec_lo, s6
.LBB337_17:                             ;   in Loop: Header=BB337_13 Depth=1
	s_wait_alu 0xfffe
	s_and_not1_saveexec_b32 s64, s5
	s_cbranch_execz .LBB337_12
; %bb.18:                               ;   in Loop: Header=BB337_13 Depth=1
	global_load_b32 v1, v[35:36], off
	s_wait_loadcnt 0x0
	v_mad_co_i64_i32 v[1:2], null, v1, s43, v[33:34]
	s_clause 0xf
	global_load_b32 v95, v[1:2], off offset:8
	global_load_b32 v84, v[1:2], off offset:256
	global_load_b32 v54, v[1:2], off offset:264
	global_load_b32 v55, v[1:2], off offset:512
	global_load_b32 v56, v[1:2], off offset:520
	global_load_b32 v57, v[1:2], off offset:768
	global_load_b32 v58, v[1:2], off offset:776
	global_load_b32 v98, v[1:2], off
	global_load_b32 v59, v[1:2], off offset:1024
	global_load_b32 v60, v[1:2], off offset:1032
	;; [unrolled: 1-line block ×8, first 2 shown]
	ds_load_b128 v[29:32], v47
	ds_load_b128 v[25:28], v47 offset:16
	ds_load_b128 v[21:24], v47 offset:32
	;; [unrolled: 1-line block ×5, first 2 shown]
	s_load_b32 s65, s[28:29], 0x0
	ds_load_b128 v[5:8], v47 offset:96
	ds_load_b128 v[1:4], v47 offset:112
	s_wait_dscnt 0x6
	v_lshlrev_b32_e32 v88, 16, v25
	s_wait_loadcnt 0xf
	v_and_b32_e32 v105, 0xff, v95
	v_bfe_u32 v99, v95, 8, 8
	v_bfe_u32 v100, v95, 16, 8
	s_wait_loadcnt 0xe
	v_and_b32_e32 v102, 0xff, v84
	v_bfe_u32 v104, v84, 8, 8
	v_cvt_f32_fp8_e32 v105, v105
	v_lshlrev_b32_e32 v90, 16, v30
	s_wait_loadcnt 0x8
	v_and_b32_e32 v103, 0xff, v98
	v_bfe_u32 v101, v98, 8, 8
	v_bfe_u32 v106, v84, 16, 8
	s_wait_kmcnt 0x0
	v_mul_f32_e32 v105, s65, v105
	s_wait_loadcnt 0x5
	v_bfe_u32 v118, v61, 16, 8
	v_cvt_f32_fp8_e32 v103, v103
	v_lshlrev_b32_e32 v96, 16, v29
	s_wait_loadcnt 0x3
	v_bfe_u32 v121, v63, 16, 8
	v_bfe_u32 v127, v105, 16, 1
	s_wait_loadcnt 0x1
	v_and_b32_e32 v123, 0xff, v65
	v_mul_f32_e32 v103, s65, v103
	v_or_b32_e32 v130, 0x400000, v105
	v_cmp_u_f32_e64 s5, v105, v105
	v_add3_u32 v127, v127, v105, 0x7fff
	v_lshrrev_b32_e32 v84, 24, v84
	v_and_b32_e32 v107, 0xff, v54
	v_bfe_u32 v108, v54, 8, 8
	v_lshrrev_b32_e32 v109, 24, v54
	v_bfe_u32 v110, v55, 16, 8
	v_and_b32_e32 v112, 0xff, v57
	v_bfe_u32 v113, v57, 16, 8
	v_lshrrev_b32_e32 v114, 24, v58
	v_bfe_u32 v119, v62, 8, 8
	v_lshrrev_b32_e32 v120, 24, v62
	v_and_b32_e32 v122, 0xff, v64
	v_lshrrev_b32_e32 v125, 24, v65
	s_wait_loadcnt 0x0
	v_and_b32_e32 v126, 0xff, v85
	v_bfe_u32 v128, v85, 8, 8
	v_bfe_u32 v129, v85, 16, 8
	;; [unrolled: 1-line block ×3, first 2 shown]
	v_lshrrev_b32_e32 v85, 24, v85
	v_cvt_f32_fp8_e32 v101, v101
	s_wait_alu 0xf1ff
	v_cndmask_b32_e64 v127, v127, v130, s5
	v_cvt_f32_fp8_e32 v99, v99
	v_cvt_f32_fp8_e32 v100, v100
	;; [unrolled: 1-line block ×5, first 2 shown]
	v_bfe_u32 v54, v54, 16, 8
	v_dual_mul_f32 v100, s65, v100 :: v_dual_lshlrev_b32 v97, 16, v31
	v_dual_mul_f32 v99, s65, v99 :: v_dual_lshlrev_b32 v92, 16, v32
	;; [unrolled: 1-line block ×3, first 2 shown]
	s_wait_dscnt 0x5
	v_lshlrev_b32_e32 v81, 16, v23
	v_dual_mul_f32 v121, s65, v121 :: v_dual_and_b32 v94, 0xffff0000, v31
	v_dual_mul_f32 v118, s65, v118 :: v_dual_and_b32 v91, 0xffff0000, v32
	;; [unrolled: 1-line block ×3, first 2 shown]
	v_or_b32_e32 v130, 0x400000, v103
	v_add3_u32 v105, v105, v103, 0x7fff
	v_cmp_u_f32_e64 s5, v103, v103
	v_and_b32_e32 v103, 0xffff0000, v127
	v_lshlrev_b32_e32 v87, 16, v26
	v_cvt_f32_fp8_e32 v102, v102
	s_wait_dscnt 0x4
	v_lshlrev_b32_e32 v79, 16, v17
	v_cvt_f32_fp8_e32 v104, v104
	v_lshlrev_b32_e32 v77, 16, v19
	v_cvt_f32_fp8_e32 v84, v84
	;; [unrolled: 2-line block ×3, first 2 shown]
	s_wait_dscnt 0x3
	v_lshlrev_b32_e32 v73, 16, v15
	v_cvt_f32_fp8_e32 v109, v109
	v_lshlrev_b32_e32 v76, 16, v18
	v_cvt_f32_fp8_e32 v110, v110
	s_wait_dscnt 0x2
	v_lshlrev_b32_e32 v71, 16, v9
	v_cvt_f32_fp8_e32 v112, v112
	v_lshlrev_b32_e32 v69, 16, v11
	v_cvt_f32_fp8_e32 v113, v113
	;; [unrolled: 2-line block ×4, first 2 shown]
	s_wait_dscnt 0x1
	v_and_b32_e32 v66, 0xffff0000, v5
	v_cvt_f32_fp8_e32 v120, v120
	v_and_b32_e32 v89, 0xffff0000, v30
	v_cvt_f32_fp8_e32 v122, v122
	;; [unrolled: 2-line block ×3, first 2 shown]
	v_and_b32_e32 v30, 0xffff0000, v26
	v_and_b32_e32 v26, 0xffff0000, v22
	;; [unrolled: 1-line block ×4, first 2 shown]
	v_lshlrev_b32_e32 v14, 16, v5
	v_and_b32_e32 v5, 0xffff0000, v8
	v_cvt_f32_fp8_e32 v126, v126
	v_and_b32_e32 v27, 0xffff0000, v23
	v_cvt_f32_fp8_e32 v128, v128
	v_and_b32_e32 v25, 0xffff0000, v17
	v_and_b32_e32 v17, 0xffff0000, v9
	;; [unrolled: 1-line block ×4, first 2 shown]
	v_cvt_f32_fp8_e32 v85, v85
	v_and_b32_e32 v23, 0xffff0000, v19
	v_and_b32_e32 v19, 0xffff0000, v15
	;; [unrolled: 1-line block ×3, first 2 shown]
	v_lshlrev_b32_e32 v11, 16, v7
	v_cvt_f32_fp8_e32 v54, v54
	v_lshlrev_b32_e32 v7, 16, v8
	v_bfe_u32 v8, v98, 16, 8
	v_lshrrev_b32_e32 v95, 24, v95
	v_or_b32_e32 v127, 0x400000, v99
	v_cmp_u_f32_e64 s6, v101, v101
	v_cmp_u_f32_e64 s7, v100, v100
	v_cvt_f32_fp8_e32 v131, v8
	s_wait_alu 0xf1ff
	v_cndmask_b32_e64 v8, v105, v130, s5
	v_bfe_u32 v130, v101, 16, 1
	v_cmp_u_f32_e64 s5, v99, v99
	v_cvt_f32_fp8_e32 v95, v95
	v_lshlrev_b32_e32 v82, 16, v28
	v_dual_mul_f32 v8, v97, v103 :: v_dual_and_b32 v105, 0xffff0000, v8
	v_mul_f32_e32 v97, s65, v131
	v_bfe_u32 v103, v99, 16, 1
	v_add3_u32 v130, v130, v101, 0x7fff
	s_delay_alu instid0(VALU_DEP_4)
	v_dual_mul_f32 v131, s65, v84 :: v_dual_fmac_f32 v8, v96, v105
	v_bfe_u32 v105, v100, 16, 1
	v_or_b32_e32 v96, 0x400000, v101
	v_add3_u32 v103, v103, v99, 0x7fff
	v_bfe_u32 v99, v97, 16, 1
	v_or_b32_e32 v101, 0x400000, v100
	v_add3_u32 v105, v105, v100, 0x7fff
	v_or_b32_e32 v100, 0x400000, v97
	v_cmp_u_f32_e64 s8, v97, v97
	v_add3_u32 v99, v99, v97, 0x7fff
	s_wait_alu 0xf1ff
	v_cndmask_b32_e64 v84, v103, v127, s5
	v_cndmask_b32_e64 v101, v105, v101, s7
	v_lshrrev_b32_e32 v98, 24, v98
	v_dual_mul_f32 v95, s65, v95 :: v_dual_mul_f32 v132, s65, v85
	v_cndmask_b32_e64 v85, v130, v96, s6
	v_and_b32_e32 v84, 0xffff0000, v84
	v_cndmask_b32_e64 v99, v99, v100, s8
	v_and_b32_e32 v101, 0xffff0000, v101
	v_bfe_u32 v116, v60, 8, 8
	v_bfe_u32 v124, v65, 16, 8
	v_cvt_f32_fp8_e32 v98, v98
	v_cvt_f32_fp8_e32 v106, v106
	v_mul_f32_e32 v104, s65, v104
	v_bfe_u32 v103, v95, 16, 1
	v_and_b32_e32 v127, 0xffff0000, v85
	v_mul_f32_e32 v85, v94, v84
	v_dual_mul_f32 v84, v92, v101 :: v_dual_and_b32 v99, 0xffff0000, v99
	v_dual_mul_f32 v98, s65, v98 :: v_dual_lshlrev_b32 v83, 16, v21
	v_dual_mul_f32 v106, s65, v106 :: v_dual_lshlrev_b32 v75, 16, v13
	v_cvt_f32_fp8_e32 v116, v116
	v_and_b32_e32 v93, 0xffff0000, v29
	v_cvt_f32_fp8_e32 v124, v124
	v_and_b32_e32 v29, 0xffff0000, v21
	v_dual_fmac_f32 v84, v90, v99 :: v_dual_and_b32 v21, 0xffff0000, v13
	v_or_b32_e32 v105, 0x400000, v95
	v_bfe_u32 v92, v104, 16, 1
	v_add3_u32 v90, v103, v95, 0x7fff
	v_cmp_u_f32_e64 s5, v95, v95
	v_mul_f32_e32 v108, s65, v108
	v_bfe_u32 v96, v98, 16, 1
	v_or_b32_e32 v101, 0x400000, v104
	v_bfe_u32 v99, v106, 16, 1
	s_wait_alu 0xf1ff
	v_cndmask_b32_e64 v90, v90, v105, s5
	v_add3_u32 v92, v92, v104, 0x7fff
	v_cmp_u_f32_e64 s5, v104, v104
	v_cvt_f32_fp8_e32 v107, v107
	v_lshlrev_b32_e32 v78, 16, v24
	v_mul_f32_e32 v102, s65, v102
	v_mul_f32_e32 v116, s65, v116
	v_dual_fmac_f32 v85, v93, v127 :: v_dual_and_b32 v24, 0xffff0000, v24
	v_or_b32_e32 v100, 0x400000, v98
	v_bfe_u32 v127, v131, 16, 1
	v_or_b32_e32 v95, 0x400000, v106
	v_add3_u32 v96, v96, v98, 0x7fff
	v_cmp_u_f32_e64 s6, v98, v98
	v_bfe_u32 v103, v108, 16, 1
	s_wait_alu 0xf1ff
	v_cndmask_b32_e64 v92, v92, v101, s5
	v_add3_u32 v99, v99, v106, 0x7fff
	v_cmp_u_f32_e64 s5, v106, v106
	v_bfe_u32 v94, v102, 16, 1
	v_or_b32_e32 v98, 0x400000, v131
	v_cndmask_b32_e64 v96, v96, v100, s6
	v_or_b32_e32 v100, 0x400000, v108
	s_wait_alu 0xf1ff
	v_cndmask_b32_e64 v95, v99, v95, s5
	v_add3_u32 v103, v103, v108, 0x7fff
	v_cmp_u_f32_e64 s5, v108, v108
	v_add3_u32 v108, v127, v131, 0x7fff
	v_cmp_u_f32_e64 s17, v131, v131
	v_dual_mul_f32 v54, s65, v54 :: v_dual_mul_f32 v109, s65, v109
	v_or_b32_e32 v93, 0x400000, v102
	v_add3_u32 v94, v94, v102, 0x7fff
	v_cmp_u_f32_e64 s7, v102, v102
	s_wait_alu 0xf1ff
	v_cndmask_b32_e64 v98, v108, v98, s17
	v_bfe_u32 v108, v54, 16, 1
	v_dual_mul_f32 v110, s65, v110 :: v_dual_mul_f32 v119, s65, v119
	v_and_b32_e32 v90, 0xffff0000, v90
	v_cndmask_b32_e64 v93, v94, v93, s7
	v_bfe_u32 v94, v109, 16, 1
	v_add3_u32 v108, v108, v54, 0x7fff
	v_or_b32_e32 v131, 0x400000, v54
	v_cmp_u_f32_e64 s17, v54, v54
	v_bfe_u32 v65, v65, 8, 8
	v_dual_mul_f32 v107, s65, v107 :: v_dual_and_b32 v96, 0xffff0000, v96
	v_mul_f32_e32 v90, v91, v90
	v_or_b32_e32 v91, 0x400000, v109
	v_bfe_u32 v101, v110, 16, 1
	v_add3_u32 v94, v94, v109, 0x7fff
	v_cmp_u_f32_e64 s18, v109, v109
	v_bfe_u32 v109, v119, 16, 1
	s_wait_alu 0xf1ff
	v_cndmask_b32_e64 v54, v108, v131, s17
	v_cvt_f32_fp8_e32 v65, v65
	v_and_b32_e32 v108, 0xff, v55
	v_lshrrev_b32_e32 v97, 24, v57
	v_dual_mul_f32 v120, s65, v120 :: v_dual_and_b32 v13, 0xffff0000, v10
	v_fmac_f32_e32 v90, v89, v96
	v_bfe_u32 v102, v107, 16, 1
	v_or_b32_e32 v89, 0x400000, v110
	v_add3_u32 v101, v101, v110, 0x7fff
	v_cmp_u_f32_e64 s19, v110, v110
	v_or_b32_e32 v110, 0x400000, v119
	v_add3_u32 v109, v109, v119, 0x7fff
	v_cmp_u_f32_e64 s15, v119, v119
	v_mul_f32_e32 v65, s65, v65
	v_cvt_f32_fp8_e32 v108, v108
	v_and_b32_e32 v111, 0xff, v56
	v_bfe_u32 v115, v59, 16, 8
	v_lshrrev_b32_e32 v117, 24, v60
	v_cvt_f32_fp8_e32 v97, v97
	v_or_b32_e32 v104, 0x400000, v107
	v_and_b32_e32 v93, 0xffff0000, v93
	v_and_b32_e32 v92, 0xffff0000, v92
	v_add3_u32 v102, v102, v107, 0x7fff
	v_cmp_u_f32_e64 s6, v107, v107
	v_mul_f32_e32 v108, s65, v108
	s_wait_alu 0xf1ff
	v_cndmask_b32_e64 v109, v109, v110, s15
	v_cvt_f32_fp8_e32 v111, v111
	v_cvt_f32_fp8_e32 v115, v115
	;; [unrolled: 1-line block ×3, first 2 shown]
	v_mul_f32_e32 v113, s65, v113
	v_mul_f32_e32 v125, s65, v125
	;; [unrolled: 1-line block ×3, first 2 shown]
	v_fmac_f32_e32 v8, v88, v93
	v_fmac_f32_e32 v85, v32, v92
	v_cndmask_b32_e64 v102, v102, v104, s6
	v_cndmask_b32_e64 v100, v103, v100, s5
	;; [unrolled: 1-line block ×3, first 2 shown]
	v_bfe_u32 v94, v108, 16, 1
	v_and_b32_e32 v109, 0xffff0000, v109
	v_and_b32_e32 v98, 0xffff0000, v98
	;; [unrolled: 1-line block ×3, first 2 shown]
	v_dual_mul_f32 v111, s65, v111 :: v_dual_lshlrev_b32 v74, 16, v20
	v_dual_mul_f32 v115, s65, v115 :: v_dual_lshlrev_b32 v70, 16, v16
	;; [unrolled: 1-line block ×3, first 2 shown]
	v_cvt_f32_fp8_e32 v129, v129
	v_mul_f32_e32 v114, s65, v114
	v_mul_f32_e32 v122, s65, v122
	v_bfe_u32 v92, v113, 16, 1
	v_bfe_u32 v106, v97, 16, 1
	v_and_b32_e32 v102, 0xffff0000, v102
	v_add3_u32 v94, v94, v108, 0x7fff
	v_or_b32_e32 v131, 0x400000, v108
	v_cmp_u_f32_e64 s17, v108, v108
	v_bfe_u32 v108, v55, 8, 8
	v_and_b32_e32 v54, 0xffff0000, v54
	v_fmac_f32_e32 v90, v30, v98
	v_dual_fmac_f32 v84, v87, v95 :: v_dual_and_b32 v95, 0xffff0000, v100
	v_bfe_u32 v100, v116, 16, 1
	v_dual_mul_f32 v129, s65, v129 :: v_dual_and_b32 v28, 0xffff0000, v28
	v_mul_f32_e32 v112, s65, v112
	v_mul_f32_e32 v124, s65, v124
	;; [unrolled: 1-line block ×4, first 2 shown]
	v_bfe_u32 v96, v111, 16, 1
	v_or_b32_e32 v105, 0x400000, v113
	v_bfe_u32 v99, v114, 16, 1
	v_or_b32_e32 v107, 0x400000, v97
	v_bfe_u32 v103, v115, 16, 1
	v_fmac_f32_e32 v8, v86, v102
	v_or_b32_e32 v86, 0x400000, v116
	v_bfe_u32 v102, v117, 16, 1
	v_add3_u32 v92, v92, v113, 0x7fff
	v_cmp_u_f32_e64 s22, v113, v113
	v_bfe_u32 v113, v121, 16, 1
	v_add3_u32 v106, v106, v97, 0x7fff
	v_cmp_u_f32_e64 s24, v97, v97
	v_bfe_u32 v97, v122, 16, 1
	v_add3_u32 v100, v100, v116, 0x7fff
	v_cmp_u_f32_e64 s26, v116, v116
	v_bfe_u32 v116, v123, 16, 1
	v_bfe_u32 v119, v125, 16, 1
	v_cvt_f32_fp8_e32 v108, v108
	v_lshrrev_b32_e32 v55, 24, v55
	v_fmac_f32_e32 v84, v82, v54
	v_dual_fmac_f32 v85, v31, v95 :: v_dual_and_b32 v20, 0xffff0000, v20
	v_bfe_u32 v95, v118, 16, 1
	v_or_b32_e32 v88, 0x400000, v111
	v_bfe_u32 v93, v112, 16, 1
	v_or_b32_e32 v104, 0x400000, v114
	v_or_b32_e32 v87, 0x400000, v115
	v_or_b32_e32 v31, 0x400000, v117
	v_or_b32_e32 v127, 0x400000, v118
	v_add3_u32 v96, v96, v111, 0x7fff
	v_cmp_u_f32_e64 s20, v111, v111
	v_bfe_u32 v111, v120, 16, 1
	v_add3_u32 v99, v99, v114, 0x7fff
	v_cmp_u_f32_e64 s23, v114, v114
	v_or_b32_e32 v114, 0x400000, v121
	v_add3_u32 v103, v103, v115, 0x7fff
	v_cmp_u_f32_e64 s25, v115, v115
	v_or_b32_e32 v115, 0x400000, v122
	;; [unrolled: 3-line block ×3, first 2 shown]
	v_add3_u32 v95, v95, v118, 0x7fff
	v_cmp_u_f32_e64 s16, v118, v118
	v_bfe_u32 v118, v124, 16, 1
	v_add3_u32 v113, v113, v121, 0x7fff
	v_cmp_u_f32_e64 s13, v121, v121
	v_bfe_u32 v121, v126, 16, 1
	v_add3_u32 v97, v97, v122, 0x7fff
	v_cmp_u_f32_e64 s12, v122, v122
	v_or_b32_e32 v122, 0x400000, v125
	v_add3_u32 v116, v116, v123, 0x7fff
	v_cmp_u_f32_e64 s6, v123, v123
	v_bfe_u32 v123, v128, 16, 1
	v_add3_u32 v119, v119, v125, 0x7fff
	v_cmp_u_f32_e64 s7, v125, v125
	v_bfe_u32 v125, v129, 16, 1
	v_mul_f32_e32 v108, s65, v108
	v_cvt_f32_fp8_e32 v55, v55
	v_and_b32_e32 v16, 0xffff0000, v16
	v_or_b32_e32 v32, 0x400000, v112
	v_add3_u32 v93, v93, v112, 0x7fff
	v_cmp_u_f32_e64 s21, v112, v112
	v_or_b32_e32 v112, 0x400000, v120
	v_add3_u32 v111, v111, v120, 0x7fff
	v_cmp_u_f32_e64 s14, v120, v120
	;; [unrolled: 3-line block ×6, first 2 shown]
	v_bfe_u32 v129, v132, 16, 1
	s_wait_alu 0xf1ff
	v_cndmask_b32_e64 v94, v94, v131, s17
	v_bfe_u32 v131, v108, 16, 1
	v_mul_f32_e32 v55, s65, v55
	v_or_b32_e32 v130, 0x400000, v132
	v_add3_u32 v129, v129, v132, 0x7fff
	v_cmp_u_f32_e64 s11, v132, v132
	v_add3_u32 v131, v131, v108, 0x7fff
	v_or_b32_e32 v132, 0x400000, v108
	v_cmp_u_f32_e64 s17, v108, v108
	v_cndmask_b32_e64 v89, v101, v89, s19
	v_bfe_u32 v101, v55, 16, 1
	v_cndmask_b32_e64 v88, v96, v88, s20
	v_bfe_u32 v57, v57, 8, 8
	s_wait_alu 0xf1ff
	v_cndmask_b32_e64 v108, v131, v132, s17
	v_or_b32_e32 v131, 0x400000, v55
	v_add3_u32 v101, v101, v55, 0x7fff
	v_cmp_u_f32_e64 s17, v55, v55
	v_cvt_f32_fp8_e32 v57, v57
	v_cndmask_b32_e64 v32, v93, v32, s21
	v_cndmask_b32_e64 v92, v92, v105, s22
	v_cndmask_b32_e64 v106, v106, v107, s24
	s_wait_alu 0xf1ff
	v_cndmask_b32_e64 v55, v101, v131, s17
	v_bfe_u32 v101, v56, 8, 8
	v_dual_mul_f32 v57, s65, v57 :: v_dual_and_b32 v92, 0xffff0000, v92
	v_and_b32_e32 v91, 0xffff0000, v91
	v_and_b32_e32 v94, 0xffff0000, v94
	s_delay_alu instid0(VALU_DEP_4) | instskip(SKIP_3) | instid1(VALU_DEP_4)
	v_cvt_f32_fp8_e32 v101, v101
	v_lshlrev_b32_e32 v10, 16, v6
	v_bfe_u32 v93, v57, 16, 1
	v_fmac_f32_e32 v90, v28, v91
	v_dual_fmac_f32 v8, v83, v94 :: v_dual_mul_f32 v101, s65, v101
	v_cndmask_b32_e64 v99, v99, v104, s23
	s_delay_alu instid0(VALU_DEP_4)
	v_add3_u32 v93, v93, v57, 0x7fff
	v_cndmask_b32_e64 v87, v103, v87, s25
	v_and_b32_e32 v106, 0xffff0000, v106
	v_bfe_u32 v96, v101, 16, 1
	v_or_b32_e32 v131, 0x400000, v101
	v_cmp_u_f32_e64 s17, v101, v101
	v_and_b32_e32 v89, 0xffff0000, v89
	v_cndmask_b32_e64 v86, v100, v86, s26
	v_add3_u32 v96, v96, v101, 0x7fff
	v_bfe_u32 v101, v56, 16, 8
	v_lshrrev_b32_e32 v56, 24, v56
	v_fmac_f32_e32 v84, v80, v89
	v_and_b32_e32 v86, 0xffff0000, v86
	s_wait_alu 0xf1ff
	v_cndmask_b32_e64 v96, v96, v131, s17
	v_cvt_f32_fp8_e32 v101, v101
	v_and_b32_e32 v6, 0xffff0000, v6
	v_cvt_f32_fp8_e32 v56, v56
	v_and_b32_e32 v108, 0xffff0000, v108
	v_cndmask_b32_e64 v31, v102, v31, s27
	v_mul_f32_e32 v101, s65, v101
	v_cndmask_b32_e64 v95, v95, v127, s16
	v_mul_f32_e32 v56, s65, v56
	v_fmac_f32_e32 v85, v29, v108
	v_and_b32_e32 v96, 0xffff0000, v96
	v_bfe_u32 v131, v101, 16, 1
	v_or_b32_e32 v132, 0x400000, v101
	v_cmp_u_f32_e64 s17, v101, v101
	v_cndmask_b32_e64 v111, v111, v112, s14
	v_fmac_f32_e32 v85, v27, v96
	v_add3_u32 v131, v131, v101, 0x7fff
	v_cndmask_b32_e64 v113, v113, v114, s13
	v_cndmask_b32_e64 v97, v97, v115, s12
	;; [unrolled: 1-line block ×4, first 2 shown]
	s_wait_alu 0xf1ff
	v_cndmask_b32_e64 v101, v131, v132, s17
	v_bfe_u32 v131, v56, 16, 1
	v_or_b32_e32 v132, 0x400000, v56
	v_cmp_u_f32_e64 s17, v56, v56
	v_cndmask_b32_e64 v116, v116, v117, s6
	v_bfe_u32 v117, v65, 16, 1
	v_add3_u32 v131, v131, v56, 0x7fff
	v_cmp_u_f32_e64 s6, v65, v65
	v_and_b32_e32 v32, 0xffff0000, v32
	v_cndmask_b32_e64 v118, v118, v120, s5
	v_add3_u32 v117, v117, v65, 0x7fff
	s_wait_alu 0xf1ff
	v_cndmask_b32_e64 v56, v131, v132, s17
	v_or_b32_e32 v131, 0x400000, v57
	v_cmp_u_f32_e64 s17, v57, v57
	v_cndmask_b32_e64 v121, v121, v124, s8
	v_cndmask_b32_e64 v124, v125, v128, s10
	v_and_b32_e32 v56, 0xffff0000, v56
	v_and_b32_e32 v28, 0xffff0000, v97
	s_wait_alu 0xf1ff
	v_cndmask_b32_e64 v57, v93, v131, s17
	v_and_b32_e32 v93, 0xff, v58
	v_cndmask_b32_e64 v125, v129, v130, s11
	v_cmp_gt_i32_e64 s5, 32, v52
	s_delay_alu instid0(VALU_DEP_3) | instskip(NEXT) | instid1(VALU_DEP_1)
	v_cvt_f32_fp8_e32 v93, v93
	v_mul_f32_e32 v93, s65, v93
	s_delay_alu instid0(VALU_DEP_1) | instskip(SKIP_2) | instid1(VALU_DEP_3)
	v_bfe_u32 v105, v93, 16, 1
	v_or_b32_e32 v131, 0x400000, v93
	v_cmp_u_f32_e64 s17, v93, v93
	v_add3_u32 v105, v105, v93, 0x7fff
	s_wait_alu 0xf1ff
	s_delay_alu instid0(VALU_DEP_1) | instskip(SKIP_2) | instid1(VALU_DEP_2)
	v_cndmask_b32_e64 v93, v105, v131, s17
	v_bfe_u32 v105, v58, 8, 8
	v_bfe_u32 v58, v58, 16, 8
	v_cvt_f32_fp8_e32 v105, v105
	s_delay_alu instid0(VALU_DEP_2) | instskip(NEXT) | instid1(VALU_DEP_1)
	v_cvt_f32_fp8_e32 v58, v58
	v_dual_mul_f32 v105, s65, v105 :: v_dual_mul_f32 v58, s65, v58
	s_delay_alu instid0(VALU_DEP_1) | instskip(SKIP_2) | instid1(VALU_DEP_4)
	v_bfe_u32 v131, v105, 16, 1
	v_or_b32_e32 v132, 0x400000, v105
	v_cmp_u_f32_e64 s17, v105, v105
	v_bfe_u32 v107, v58, 16, 1
	s_delay_alu instid0(VALU_DEP_4) | instskip(NEXT) | instid1(VALU_DEP_2)
	v_add3_u32 v131, v131, v105, 0x7fff
	v_add3_u32 v107, v107, v58, 0x7fff
	s_wait_alu 0xf1ff
	s_delay_alu instid0(VALU_DEP_2) | instskip(SKIP_3) | instid1(VALU_DEP_1)
	v_cndmask_b32_e64 v105, v131, v132, s17
	v_or_b32_e32 v131, 0x400000, v58
	v_cmp_u_f32_e64 s17, v58, v58
	s_wait_alu 0xf1ff
	v_cndmask_b32_e64 v58, v107, v131, s17
	v_and_b32_e32 v107, 0xff, v59
	s_delay_alu instid0(VALU_DEP_2) | instskip(NEXT) | instid1(VALU_DEP_2)
	v_and_b32_e32 v58, 0xffff0000, v58
	v_cvt_f32_fp8_e32 v107, v107
	v_and_b32_e32 v101, 0xffff0000, v101
	s_wait_dscnt 0x0
	v_lshlrev_b32_e32 v123, 16, v3
	s_delay_alu instid0(VALU_DEP_2) | instskip(NEXT) | instid1(VALU_DEP_1)
	v_dual_mul_f32 v107, s65, v107 :: v_dual_fmac_f32 v84, v78, v101
	v_bfe_u32 v104, v107, 16, 1
	v_or_b32_e32 v131, 0x400000, v107
	v_cmp_u_f32_e64 s17, v107, v107
	s_delay_alu instid0(VALU_DEP_4) | instskip(NEXT) | instid1(VALU_DEP_4)
	v_fmac_f32_e32 v84, v76, v92
	v_add3_u32 v104, v104, v107, 0x7fff
	v_bfe_u32 v107, v59, 8, 8
	v_lshrrev_b32_e32 v59, 24, v59
	s_delay_alu instid0(VALU_DEP_4) | instskip(SKIP_4) | instid1(VALU_DEP_2)
	v_fmac_f32_e32 v84, v74, v58
	s_wait_alu 0xf1ff
	v_cndmask_b32_e64 v104, v104, v131, s17
	v_cvt_f32_fp8_e32 v107, v107
	v_cvt_f32_fp8_e32 v59, v59
	v_dual_mul_f32 v107, s65, v107 :: v_dual_and_b32 v104, 0xffff0000, v104
	s_delay_alu instid0(VALU_DEP_2) | instskip(NEXT) | instid1(VALU_DEP_2)
	v_mul_f32_e32 v59, s65, v59
	v_bfe_u32 v131, v107, 16, 1
	v_or_b32_e32 v132, 0x400000, v107
	v_cmp_u_f32_e64 s17, v107, v107
	s_delay_alu instid0(VALU_DEP_4) | instskip(NEXT) | instid1(VALU_DEP_4)
	v_bfe_u32 v103, v59, 16, 1
	v_add3_u32 v131, v131, v107, 0x7fff
	s_delay_alu instid0(VALU_DEP_2) | instskip(SKIP_1) | instid1(VALU_DEP_2)
	v_add3_u32 v103, v103, v59, 0x7fff
	s_wait_alu 0xf1ff
	v_cndmask_b32_e64 v107, v131, v132, s17
	v_or_b32_e32 v131, 0x400000, v59
	v_cmp_u_f32_e64 s17, v59, v59
	s_wait_alu 0xf1ff
	s_delay_alu instid0(VALU_DEP_1) | instskip(SKIP_2) | instid1(VALU_DEP_2)
	v_cndmask_b32_e64 v59, v103, v131, s17
	v_and_b32_e32 v103, 0xff, v60
	v_bfe_u32 v60, v60, 16, 8
	v_cvt_f32_fp8_e32 v103, v103
	s_delay_alu instid0(VALU_DEP_2) | instskip(NEXT) | instid1(VALU_DEP_1)
	v_cvt_f32_fp8_e32 v60, v60
	v_dual_mul_f32 v103, s65, v103 :: v_dual_mul_f32 v60, s65, v60
	s_delay_alu instid0(VALU_DEP_1) | instskip(SKIP_2) | instid1(VALU_DEP_4)
	v_bfe_u32 v131, v103, 16, 1
	v_or_b32_e32 v132, 0x400000, v103
	v_cmp_u_f32_e64 s17, v103, v103
	v_bfe_u32 v100, v60, 16, 1
	s_delay_alu instid0(VALU_DEP_4) | instskip(NEXT) | instid1(VALU_DEP_2)
	v_add3_u32 v131, v131, v103, 0x7fff
	v_add3_u32 v100, v100, v60, 0x7fff
	s_wait_alu 0xf1ff
	s_delay_alu instid0(VALU_DEP_2) | instskip(SKIP_3) | instid1(VALU_DEP_1)
	v_cndmask_b32_e64 v103, v131, v132, s17
	v_or_b32_e32 v131, 0x400000, v60
	v_cmp_u_f32_e64 s17, v60, v60
	s_wait_alu 0xf1ff
	v_cndmask_b32_e64 v60, v100, v131, s17
	v_and_b32_e32 v100, 0xff, v61
	s_delay_alu instid0(VALU_DEP_2) | instskip(NEXT) | instid1(VALU_DEP_2)
	v_and_b32_e32 v60, 0xffff0000, v60
	v_cvt_f32_fp8_e32 v100, v100
	s_delay_alu instid0(VALU_DEP_1) | instskip(NEXT) | instid1(VALU_DEP_1)
	v_mul_f32_e32 v100, s65, v100
	v_bfe_u32 v102, v100, 16, 1
	v_or_b32_e32 v131, 0x400000, v100
	v_cmp_u_f32_e64 s17, v100, v100
	s_delay_alu instid0(VALU_DEP_3) | instskip(SKIP_1) | instid1(VALU_DEP_1)
	v_add3_u32 v102, v102, v100, 0x7fff
	s_wait_alu 0xf1ff
	v_cndmask_b32_e64 v100, v102, v131, s17
	v_bfe_u32 v102, v61, 8, 8
	v_lshrrev_b32_e32 v61, 24, v61
	s_delay_alu instid0(VALU_DEP_3) | instskip(NEXT) | instid1(VALU_DEP_3)
	v_and_b32_e32 v100, 0xffff0000, v100
	v_cvt_f32_fp8_e32 v102, v102
	s_delay_alu instid0(VALU_DEP_3) | instskip(NEXT) | instid1(VALU_DEP_1)
	v_cvt_f32_fp8_e32 v61, v61
	v_dual_mul_f32 v102, s65, v102 :: v_dual_mul_f32 v61, s65, v61
	s_delay_alu instid0(VALU_DEP_1) | instskip(SKIP_2) | instid1(VALU_DEP_4)
	v_bfe_u32 v131, v102, 16, 1
	v_or_b32_e32 v132, 0x400000, v102
	v_cmp_u_f32_e64 s17, v102, v102
	v_bfe_u32 v127, v61, 16, 1
	v_cmp_u_f32_e64 s16, v61, v61
	v_add3_u32 v131, v131, v102, 0x7fff
	s_delay_alu instid0(VALU_DEP_3) | instskip(SKIP_1) | instid1(VALU_DEP_2)
	v_add3_u32 v127, v127, v61, 0x7fff
	s_wait_alu 0xf1ff
	v_cndmask_b32_e64 v102, v131, v132, s17
	v_or_b32_e32 v131, 0x400000, v61
	s_delay_alu instid0(VALU_DEP_2) | instskip(NEXT) | instid1(VALU_DEP_2)
	v_and_b32_e32 v102, 0xffff0000, v102
	v_cndmask_b32_e64 v61, v127, v131, s16
	v_and_b32_e32 v88, 0xffff0000, v88
	v_and_b32_e32 v127, 0xff, v62
	v_bfe_u32 v62, v62, 16, 8
	s_delay_alu instid0(VALU_DEP_3) | instskip(NEXT) | instid1(VALU_DEP_3)
	v_fmac_f32_e32 v8, v81, v88
	v_cvt_f32_fp8_e32 v127, v127
	s_delay_alu instid0(VALU_DEP_3) | instskip(NEXT) | instid1(VALU_DEP_2)
	v_cvt_f32_fp8_e32 v62, v62
	v_dual_fmac_f32 v8, v79, v32 :: v_dual_mul_f32 v127, s65, v127
	s_delay_alu instid0(VALU_DEP_2) | instskip(NEXT) | instid1(VALU_DEP_2)
	v_mul_f32_e32 v62, s65, v62
	v_bfe_u32 v131, v127, 16, 1
	v_or_b32_e32 v132, 0x400000, v127
	v_cmp_u_f32_e64 s16, v127, v127
	s_delay_alu instid0(VALU_DEP_4) | instskip(SKIP_2) | instid1(VALU_DEP_3)
	v_bfe_u32 v110, v62, 16, 1
	v_cmp_u_f32_e64 s15, v62, v62
	v_add3_u32 v131, v131, v127, 0x7fff
	v_add3_u32 v110, v110, v62, 0x7fff
	s_wait_alu 0xf1ff
	s_delay_alu instid0(VALU_DEP_2) | instskip(SKIP_1) | instid1(VALU_DEP_1)
	v_cndmask_b32_e64 v127, v131, v132, s16
	v_or_b32_e32 v131, 0x400000, v62
	v_cndmask_b32_e64 v62, v110, v131, s15
	v_and_b32_e32 v110, 0xff, v63
	s_delay_alu instid0(VALU_DEP_2) | instskip(NEXT) | instid1(VALU_DEP_2)
	v_and_b32_e32 v62, 0xffff0000, v62
	v_cvt_f32_fp8_e32 v110, v110
	s_delay_alu instid0(VALU_DEP_1) | instskip(NEXT) | instid1(VALU_DEP_1)
	v_mul_f32_e32 v110, s65, v110
	v_bfe_u32 v112, v110, 16, 1
	v_or_b32_e32 v131, 0x400000, v110
	v_cmp_u_f32_e64 s14, v110, v110
	s_delay_alu instid0(VALU_DEP_3) | instskip(SKIP_1) | instid1(VALU_DEP_1)
	v_add3_u32 v112, v112, v110, 0x7fff
	s_wait_alu 0xf1ff
	v_cndmask_b32_e64 v110, v112, v131, s14
	v_bfe_u32 v112, v63, 8, 8
	v_lshrrev_b32_e32 v63, 24, v63
	s_delay_alu instid0(VALU_DEP_3) | instskip(NEXT) | instid1(VALU_DEP_3)
	v_and_b32_e32 v110, 0xffff0000, v110
	v_cvt_f32_fp8_e32 v112, v112
	s_delay_alu instid0(VALU_DEP_3) | instskip(SKIP_2) | instid1(VALU_DEP_4)
	v_cvt_f32_fp8_e32 v63, v63
	v_and_b32_e32 v103, 0xffff0000, v103
	v_and_b32_e32 v61, 0xffff0000, v61
	v_dual_mul_f32 v112, s65, v112 :: v_dual_and_b32 v87, 0xffff0000, v87
	s_delay_alu instid0(VALU_DEP_4) | instskip(NEXT) | instid1(VALU_DEP_2)
	v_mul_f32_e32 v63, s65, v63
	v_dual_fmac_f32 v84, v72, v87 :: v_dual_and_b32 v105, 0xffff0000, v105
	s_delay_alu instid0(VALU_DEP_3)
	v_bfe_u32 v131, v112, 16, 1
	v_or_b32_e32 v132, 0x400000, v112
	v_cmp_u_f32_e64 s14, v112, v112
	v_bfe_u32 v114, v63, 16, 1
	v_cmp_u_f32_e64 s13, v63, v63
	v_add3_u32 v131, v131, v112, 0x7fff
	v_dual_fmac_f32 v84, v70, v60 :: v_dual_and_b32 v99, 0xffff0000, v99
	s_delay_alu instid0(VALU_DEP_4) | instskip(SKIP_4) | instid1(VALU_DEP_3)
	v_add3_u32 v114, v114, v63, 0x7fff
	v_and_b32_e32 v93, 0xffff0000, v93
	s_wait_alu 0xf1ff
	v_cndmask_b32_e64 v112, v131, v132, s14
	v_or_b32_e32 v131, 0x400000, v63
	v_dual_fmac_f32 v8, v77, v93 :: v_dual_and_b32 v55, 0xffff0000, v55
	v_and_b32_e32 v57, 0xffff0000, v57
	s_delay_alu instid0(VALU_DEP_3) | instskip(SKIP_1) | instid1(VALU_DEP_4)
	v_cndmask_b32_e64 v63, v114, v131, s13
	v_bfe_u32 v114, v64, 8, 8
	v_fmac_f32_e32 v90, v26, v55
	v_fmac_f32_e32 v8, v75, v104
	v_dual_fmac_f32 v85, v25, v57 :: v_dual_lshlrev_b32 v120, 16, v2
	s_delay_alu instid0(VALU_DEP_4) | instskip(SKIP_1) | instid1(VALU_DEP_4)
	v_cvt_f32_fp8_e32 v114, v114
	v_and_b32_e32 v2, 0xffff0000, v2
	v_fmac_f32_e32 v8, v73, v103
	v_and_b32_e32 v107, 0xffff0000, v107
	s_delay_alu instid0(VALU_DEP_4) | instskip(SKIP_1) | instid1(VALU_DEP_4)
	v_dual_fmac_f32 v85, v23, v105 :: v_dual_mul_f32 v114, s65, v114
	v_dual_fmac_f32 v90, v24, v56 :: v_dual_and_b32 v3, 0xffff0000, v3
	v_fmac_f32_e32 v8, v71, v100
	s_delay_alu instid0(VALU_DEP_3) | instskip(NEXT) | instid1(VALU_DEP_4)
	v_dual_fmac_f32 v85, v21, v107 :: v_dual_lshlrev_b32 v126, 16, v4
	v_bfe_u32 v115, v114, 16, 1
	v_or_b32_e32 v131, 0x400000, v114
	v_cmp_u_f32_e64 s12, v114, v114
	v_and_b32_e32 v30, 0xffff0000, v63
	v_and_b32_e32 v95, 0xffff0000, v95
	v_add3_u32 v115, v115, v114, 0x7fff
	v_fmac_f32_e32 v90, v22, v106
	v_dual_fmac_f32 v85, v19, v86 :: v_dual_and_b32 v112, 0xffff0000, v112
	s_delay_alu instid0(VALU_DEP_4)
	v_fmac_f32_e32 v84, v68, v95
	s_wait_alu 0xf1ff
	v_cndmask_b32_e64 v114, v115, v131, s12
	v_bfe_u32 v115, v64, 16, 8
	v_lshrrev_b32_e32 v64, 24, v64
	v_dual_fmac_f32 v84, v67, v62 :: v_dual_and_b32 v59, 0xffff0000, v59
	v_fmac_f32_e32 v90, v20, v99
	s_delay_alu instid0(VALU_DEP_4) | instskip(NEXT) | instid1(VALU_DEP_4)
	v_cvt_f32_fp8_e32 v115, v115
	v_cvt_f32_fp8_e32 v64, v64
	v_fmac_f32_e32 v85, v17, v102
	v_and_b32_e32 v26, 0xffff0000, v114
	v_fmac_f32_e32 v90, v18, v59
	s_delay_alu instid0(VALU_DEP_4) | instskip(NEXT) | instid1(VALU_DEP_4)
	v_dual_mul_f32 v115, s65, v115 :: v_dual_mul_f32 v64, s65, v64
	v_fmac_f32_e32 v85, v15, v109
	v_and_b32_e32 v113, 0xffff0000, v113
	v_and_b32_e32 v31, 0xffff0000, v31
	s_delay_alu instid0(VALU_DEP_4)
	v_bfe_u32 v131, v115, 16, 1
	v_or_b32_e32 v132, 0x400000, v115
	v_cmp_u_f32_e64 s12, v115, v115
	v_and_b32_e32 v20, 0xffff0000, v116
	v_fmac_f32_e32 v85, v66, v112
	v_add3_u32 v131, v131, v115, 0x7fff
	v_fmac_f32_e32 v84, v10, v113
	v_fmac_f32_e32 v90, v16, v31
	s_delay_alu instid0(VALU_DEP_4)
	v_dual_fmac_f32 v85, v26, v12 :: v_dual_and_b32 v16, 0xffff0000, v118
	s_wait_alu 0xf1ff
	v_cndmask_b32_e64 v115, v131, v132, s12
	v_bfe_u32 v131, v64, 16, 1
	v_or_b32_e32 v132, 0x400000, v64
	v_cmp_u_f32_e64 s12, v64, v64
	v_fmac_f32_e32 v90, v13, v61
	v_and_b32_e32 v24, 0xffff0000, v115
	v_add3_u32 v131, v131, v64, 0x7fff
	s_delay_alu instid0(VALU_DEP_2) | instskip(SKIP_1) | instid1(VALU_DEP_2)
	v_fmac_f32_e32 v84, v24, v7
	s_wait_alu 0xf1ff
	v_cndmask_b32_e64 v64, v131, v132, s12
	v_or_b32_e32 v131, 0x400000, v65
	s_delay_alu instid0(VALU_DEP_3) | instskip(NEXT) | instid1(VALU_DEP_3)
	v_dual_fmac_f32 v84, v16, v120 :: v_dual_and_b32 v13, 0xffff0000, v119
	v_and_b32_e32 v22, 0xffff0000, v64
	s_delay_alu instid0(VALU_DEP_3)
	v_cndmask_b32_e64 v65, v117, v131, s6
	v_lshlrev_b32_e32 v117, 16, v1
	v_and_b32_e32 v1, 0xffff0000, v1
	v_and_b32_e32 v127, 0xffff0000, v127
	v_and_b32_e32 v111, 0xffff0000, v111
	v_and_b32_e32 v18, 0xffff0000, v65
	s_delay_alu instid0(VALU_DEP_3) | instskip(NEXT) | instid1(VALU_DEP_2)
	v_fmac_f32_e32 v8, v69, v127
	v_dual_fmac_f32 v90, v9, v111 :: v_dual_fmac_f32 v85, v18, v1
	v_and_b32_e32 v1, 0xffff0000, v124
	s_delay_alu instid0(VALU_DEP_3) | instskip(NEXT) | instid1(VALU_DEP_3)
	v_dual_fmac_f32 v8, v14, v110 :: v_dual_and_b32 v9, 0xffff0000, v121
	v_fmac_f32_e32 v90, v30, v6
	v_and_b32_e32 v6, 0xffff0000, v122
	s_delay_alu instid0(VALU_DEP_4) | instskip(NEXT) | instid1(VALU_DEP_4)
	v_fmac_f32_e32 v84, v1, v126
	v_fmac_f32_e32 v8, v28, v11
	s_delay_alu instid0(VALU_DEP_4) | instskip(NEXT) | instid1(VALU_DEP_4)
	v_fmac_f32_e32 v90, v22, v5
	v_fmac_f32_e32 v85, v6, v3
	v_and_b32_e32 v3, 0xffff0000, v125
	s_delay_alu instid0(VALU_DEP_4) | instskip(NEXT) | instid1(VALU_DEP_4)
	v_fmac_f32_e32 v8, v20, v117
	v_fmac_f32_e32 v90, v13, v2
	v_and_b32_e32 v2, 0xffff0000, v4
	v_cndmask_b32_e64 v4, v44, v52, s5
	s_delay_alu instid0(VALU_DEP_4) | instskip(NEXT) | instid1(VALU_DEP_3)
	v_fmac_f32_e32 v8, v9, v123
	v_fmac_f32_e32 v90, v3, v2
	s_delay_alu instid0(VALU_DEP_2) | instskip(NEXT) | instid1(VALU_DEP_1)
	v_dual_add_f32 v1, v8, v85 :: v_dual_lshlrev_b32 v2, 2, v4
	v_add_f32_e32 v1, v1, v84
	s_delay_alu instid0(VALU_DEP_1)
	v_add_f32_e32 v1, v90, v1
	ds_bpermute_b32 v2, v2, v1
	s_and_saveexec_b32 s6, s4
	s_cbranch_execz .LBB337_11
; %bb.19:                               ;   in Loop: Header=BB337_13 Depth=1
	s_wait_dscnt 0x0
	v_add_f32_e32 v1, v1, v2
	v_add_nc_u32_e32 v3, v49, v48
	s_delay_alu instid0(VALU_DEP_1) | instskip(NEXT) | instid1(VALU_DEP_1)
	v_cvt_f32_i32_e32 v3, v3
	v_mul_f32_e32 v3, s57, v3
	s_delay_alu instid0(VALU_DEP_1) | instskip(NEXT) | instid1(VALU_DEP_1)
	v_dual_cndmask_b32 v2, 0, v3 :: v_dual_max_num_f32 v3, v46, v46
	v_dual_fmac_f32 v2, s51, v1 :: v_dual_add_nc_u32 v1, v45, v48
	s_delay_alu instid0(VALU_DEP_1) | instskip(NEXT) | instid1(VALU_DEP_2)
	v_max_num_f32_e32 v3, v3, v2
	v_cmp_gt_i32_e64 s5, s52, v1
	s_wait_alu 0xf1ff
	s_delay_alu instid0(VALU_DEP_1) | instskip(NEXT) | instid1(VALU_DEP_3)
	v_cndmask_b32_e64 v1, 0, v2, s5
	v_cndmask_b32_e64 v46, v46, v3, s5
	ds_store_b32 v50, v1
	s_branch .LBB337_11
.LBB337_20:
	s_or_b32 exec_lo, exec_lo, s62
.LBB337_21:
	s_wait_alu 0xfffe
	s_or_b32 exec_lo, exec_lo, s59
	v_xor_b32_e32 v1, 16, v44
	s_wait_dscnt 0x0
	v_xor_b32_e32 v2, 8, v44
	v_max_num_f32_e32 v5, v46, v46
	s_clause 0x2
	s_load_b128 s[8:11], s[0:1], 0x0
	s_load_b64 s[6:7], s[0:1], 0x10
	s_load_b64 s[12:13], s[0:1], 0x28
	v_and_b32_e32 v15, 31, v0
	v_cmp_gt_i32_e32 vcc_lo, 32, v1
	v_lshlrev_b32_e32 v7, 2, v39
	s_wait_alu 0xfffd
	v_cndmask_b32_e32 v1, v44, v1, vcc_lo
	v_cmp_gt_i32_e32 vcc_lo, 32, v2
	s_wait_alu 0xfffd
	v_cndmask_b32_e32 v2, v44, v2, vcc_lo
	s_delay_alu instid0(VALU_DEP_1) | instskip(SKIP_4) | instid1(VALU_DEP_1)
	v_lshlrev_b32_e32 v4, 2, v2
	v_lshlrev_b32_e32 v3, 2, v1
	ds_bpermute_b32 v1, v3, v46
	s_wait_dscnt 0x0
	v_max_num_f32_e32 v1, v1, v1
	v_max_num_f32_e32 v1, v5, v1
	v_xor_b32_e32 v5, 4, v44
	ds_bpermute_b32 v2, v4, v1
	v_cmp_gt_i32_e32 vcc_lo, 32, v5
	s_wait_dscnt 0x0
	s_wait_alu 0xfffd
	v_dual_cndmask_b32 v5, v44, v5 :: v_dual_max_num_f32 v2, v2, v2
	s_delay_alu instid0(VALU_DEP_1) | instskip(SKIP_1) | instid1(VALU_DEP_3)
	v_lshlrev_b32_e32 v6, 2, v5
	v_xor_b32_e32 v5, 2, v44
	v_max_num_f32_e32 v1, v1, v2
	s_delay_alu instid0(VALU_DEP_2)
	v_cmp_gt_i32_e32 vcc_lo, 32, v5
	ds_bpermute_b32 v2, v6, v1
	s_wait_alu 0xfffd
	v_cndmask_b32_e32 v5, v44, v5, vcc_lo
	v_cmp_eq_u32_e32 vcc_lo, 0, v15
	s_wait_dscnt 0x0
	v_max_num_f32_e32 v2, v2, v2
	s_delay_alu instid0(VALU_DEP_1)
	v_dual_max_num_f32 v1, v1, v2 :: v_dual_lshlrev_b32 v2, 2, v5
	ds_bpermute_b32 v5, v2, v1
	s_and_saveexec_b32 s0, vcc_lo
	s_cbranch_execz .LBB337_23
; %bb.22:
	s_wait_dscnt 0x0
	v_max_num_f32_e32 v5, v5, v5
	v_max_num_f32_e32 v1, v1, v1
	s_delay_alu instid0(VALU_DEP_1)
	v_max_num_f32_e32 v1, v1, v5
	ds_store_b32 v7, v1 offset:256
.LBB337_23:
	s_or_b32 exec_lo, exec_lo, s0
	v_cmp_gt_u32_e64 s0, 4, v15
	v_dual_mov_b32 v1, 0xff7fffff :: v_dual_lshlrev_b32 v8, 2, v15
	s_wait_loadcnt_dscnt 0x0
	s_barrier_signal -1
	s_barrier_wait -1
	global_inv scope:SCOPE_SE
	s_and_saveexec_b32 s1, s0
; %bb.24:
	ds_load_b32 v1, v8 offset:256
; %bb.25:
	s_or_b32 exec_lo, exec_lo, s1
	s_wait_dscnt 0x0
	ds_bpermute_b32 v5, v2, v1
	v_xor_b32_e32 v9, 1, v44
	v_max_num_f32_e32 v1, v1, v1
	s_delay_alu instid0(VALU_DEP_2) | instskip(NEXT) | instid1(VALU_DEP_1)
	v_cmp_gt_i32_e64 s1, 32, v9
	v_cndmask_b32_e64 v9, v44, v9, s1
	s_sub_co_i32 s1, s36, s58
	s_wait_alu 0xfffe
	s_lshl_b32 s1, s1, 4
	s_delay_alu instid0(VALU_DEP_1)
	v_dual_mov_b32 v9, 0 :: v_dual_lshlrev_b32 v16, 2, v9
	s_wait_alu 0xfffe
	s_add_co_i32 s1, s1, s56
	s_wait_alu 0xfffe
	s_min_i32 s1, s1, s52
	s_wait_dscnt 0x0
	v_max_num_f32_e32 v5, v5, v5
	s_wait_alu 0xfffe
	s_sub_co_i32 s5, s1, s56
	s_wait_alu 0xfffe
	v_cmp_gt_i32_e64 s1, s5, v0
	v_max_num_f32_e32 v1, v1, v5
	ds_bpermute_b32 v5, v16, v1
	s_wait_dscnt 0x0
	v_max_num_f32_e32 v5, v5, v5
	s_delay_alu instid0(VALU_DEP_1)
	v_max_num_f32_e32 v1, v1, v5
	v_lshl_add_u32 v5, v0, 2, 0x120
	ds_bpermute_b32 v1, v9, v1
	s_and_saveexec_b32 s14, s1
	s_cbranch_execz .LBB337_29
; %bb.26:
	v_lshl_add_u32 v10, v0, 2, 0x120
	v_mov_b32_e32 v9, 0
	v_mov_b32_e32 v11, v0
	s_mov_b32 s15, 0
.LBB337_27:                             ; =>This Inner Loop Header: Depth=1
	ds_load_b32 v12, v10
	v_add_nc_u32_e32 v11, 0x80, v11
	s_delay_alu instid0(VALU_DEP_1) | instskip(SKIP_4) | instid1(VALU_DEP_1)
	v_cmp_le_i32_e64 s4, s5, v11
	s_wait_alu 0xfffe
	s_or_b32 s15, s4, s15
	s_wait_dscnt 0x0
	v_sub_f32_e32 v12, v12, v1
	v_mul_f32_e32 v12, 0x3fb8aa3b, v12
	s_delay_alu instid0(VALU_DEP_1)
	v_exp_f32_e32 v12, v12
	ds_store_b32 v10, v12
	v_dual_add_f32 v9, v9, v12 :: v_dual_add_nc_u32 v10, 0x200, v10
	s_wait_alu 0xfffe
	s_and_not1_b32 exec_lo, exec_lo, s15
	s_cbranch_execnz .LBB337_27
; %bb.28:
	s_or_b32 exec_lo, exec_lo, s15
.LBB337_29:
	s_wait_alu 0xfffe
	s_or_b32 exec_lo, exec_lo, s14
	ds_bpermute_b32 v3, v3, v9
	s_wait_dscnt 0x0
	v_add_f32_e32 v3, v9, v3
	ds_bpermute_b32 v4, v4, v3
	s_wait_dscnt 0x0
	v_add_f32_e32 v3, v3, v4
	;; [unrolled: 3-line block ×5, first 2 shown]
	s_and_saveexec_b32 s4, vcc_lo
; %bb.30:
	ds_store_b32 v7, v3 offset:272
; %bb.31:
	s_wait_alu 0xfffe
	s_or_b32 exec_lo, exec_lo, s4
	s_wait_loadcnt_dscnt 0x0
	s_barrier_signal -1
	s_barrier_wait -1
	global_inv scope:SCOPE_SE
	s_and_saveexec_b32 s4, s0
; %bb.32:
	ds_load_b32 v3, v8 offset:272
; %bb.33:
	s_wait_alu 0xfffe
	s_or_b32 exec_lo, exec_lo, s4
	s_wait_dscnt 0x0
	ds_bpermute_b32 v2, v2, v3
	s_wait_dscnt 0x0
	v_add_f32_e32 v2, v3, v2
	ds_bpermute_b32 v3, v16, v2
	s_wait_dscnt 0x0
	v_dual_add_f32 v2, v2, v3 :: v_dual_mov_b32 v3, 0
	ds_bpermute_b32 v2, v3, v2
	s_and_saveexec_b32 s0, s1
	s_cbranch_execz .LBB337_36
; %bb.34:
	s_wait_dscnt 0x0
	v_add_f32_e32 v3, 0x358637bd, v2
	s_mov_b32 s1, 0
	s_delay_alu instid0(VALU_DEP_1) | instskip(SKIP_1) | instid1(VALU_DEP_2)
	v_div_scale_f32 v4, null, v3, v3, 1.0
	v_div_scale_f32 v8, vcc_lo, 1.0, v3, 1.0
	v_rcp_f32_e32 v6, v4
	s_delay_alu instid0(TRANS32_DEP_1) | instskip(NEXT) | instid1(VALU_DEP_1)
	v_fma_f32 v7, -v4, v6, 1.0
	v_fmac_f32_e32 v6, v7, v6
	s_delay_alu instid0(VALU_DEP_1) | instskip(NEXT) | instid1(VALU_DEP_1)
	v_mul_f32_e32 v7, v8, v6
	v_fma_f32 v9, -v4, v7, v8
	s_delay_alu instid0(VALU_DEP_1) | instskip(NEXT) | instid1(VALU_DEP_1)
	v_fmac_f32_e32 v7, v9, v6
	v_fma_f32 v4, -v4, v7, v8
	s_wait_alu 0xfffd
	s_delay_alu instid0(VALU_DEP_1) | instskip(NEXT) | instid1(VALU_DEP_1)
	v_div_fmas_f32 v4, v4, v6, v7
	v_div_fixup_f32 v3, v4, v3, 1.0
	v_mov_b32_e32 v4, v0
.LBB337_35:                             ; =>This Inner Loop Header: Depth=1
	ds_load_b32 v6, v5
	v_add_nc_u32_e32 v4, 0x80, v4
	s_delay_alu instid0(VALU_DEP_1)
	v_cmp_le_i32_e32 vcc_lo, s5, v4
	s_wait_alu 0xfffe
	s_or_b32 s1, vcc_lo, s1
	s_wait_dscnt 0x0
	v_mul_f32_e32 v6, v3, v6
	ds_store_b32 v5, v6
	v_add_nc_u32_e32 v5, 0x200, v5
	s_wait_alu 0xfffe
	s_and_not1_b32 exec_lo, exec_lo, s1
	s_cbranch_execnz .LBB337_35
.LBB337_36:
	s_wait_alu 0xfffe
	s_or_b32 exec_lo, exec_lo, s0
	s_mul_i32 s0, s35, s54
	s_wait_loadcnt_dscnt 0x0
	s_wait_alu 0xfffe
	s_mul_i32 s4, s0, s55
	s_mov_b32 s0, exec_lo
	s_barrier_signal -1
	s_barrier_wait -1
	global_inv scope:SCOPE_SE
	v_cmpx_eq_u32_e32 0, v0
	s_cbranch_execz .LBB337_38
; %bb.37:
	s_wait_alu 0xfffe
	s_ashr_i32 s5, s4, 31
	s_mul_i32 s14, s35, ttmp9
	s_lshl_b32 s1, s33, 2
	s_wait_alu 0xfffe
	s_lshl_b64 s[16:17], s[4:5], 2
	s_ashr_i32 s15, s14, 31
	v_mov_b32_e32 v3, s1
	s_wait_kmcnt 0x0
	s_wait_alu 0xfffe
	s_add_nc_u64 s[10:11], s[10:11], s[16:17]
	s_lshl_b64 s[14:15], s[14:15], 2
	s_add_nc_u64 s[8:9], s[8:9], s[16:17]
	s_wait_alu 0xfffe
	s_add_nc_u64 s[10:11], s[10:11], s[14:15]
	s_add_nc_u64 s[8:9], s[8:9], s[14:15]
	s_clause 0x1
	global_store_b32 v3, v1, s[10:11]
	global_store_b32 v3, v2, s[8:9]
.LBB337_38:
	s_wait_alu 0xfffe
	s_or_b32 exec_lo, exec_lo, s0
	v_dual_mov_b32 v24, 0 :: v_dual_mov_b32 v23, 0
	v_dual_mov_b32 v22, 0 :: v_dual_mov_b32 v21, 0
	;; [unrolled: 1-line block ×4, first 2 shown]
	s_and_saveexec_b32 s1, s3
	s_cbranch_execz .LBB337_60
; %bb.39:
	s_abs_i32 s3, s38
	v_dual_mov_b32 v20, 0 :: v_dual_lshlrev_b32 v3, 5, v38
	s_wait_alu 0xfffe
	s_cvt_f32_u32 s0, s3
	s_wait_kmcnt 0x0
	s_lshl_b64 s[10:11], s[48:49], 2
	v_dual_mov_b32 v17, 0 :: v_dual_and_b32 v2, 0xf8, v42
	s_wait_alu 0xfffe
	v_rcp_iflag_f32_e32 v1, s0
	s_ashr_i32 s43, s42, 31
	s_add_nc_u64 s[10:11], s[46:47], s[10:11]
	s_wait_alu 0xfffe
	s_add_nc_u64 s[12:13], s[12:13], s[42:43]
	v_add_co_u32 v9, s10, s10, v43
	s_sub_co_i32 s9, 0, s3
	v_add_co_ci_u32_e64 v10, null, s11, 0, s10
	s_wait_alu 0xfffe
	v_add_co_u32 v11, s10, s12, v2
	v_readfirstlane_b32 s0, v1
	v_lshl_or_b32 v1, v39, 6, v3
	v_dual_mov_b32 v18, 0 :: v_dual_and_b32 v25, 8, v42
	s_wait_alu 0xf1ff
	v_add_co_ci_u32_e64 v12, null, s13, 0, s10
	s_mul_f32 s0, s0, 0x4f7ffffe
	v_dual_mov_b32 v19, 0 :: v_dual_add_nc_u32 v26, 0x120, v1
	v_dual_mov_b32 v21, 0 :: v_dual_mov_b32 v22, 0
	s_wait_alu 0xfffe
	s_cvt_u32_f32 s0, s0
	v_dual_mov_b32 v23, 0 :: v_dual_mov_b32 v24, 0
	s_sub_co_i32 s5, s50, s37
	s_wait_alu 0xfffe
	s_mul_i32 s9, s9, s0
	s_mov_b32 s8, s41
	s_wait_alu 0xfffe
	s_mul_hi_u32 s10, s0, s9
	s_add_co_i32 s45, s45, -1
	s_mov_b32 s9, 0
	s_wait_alu 0xfffe
	s_add_co_i32 s10, s0, s10
	s_branch .LBB337_42
.LBB337_40:                             ;   in Loop: Header=BB337_42 Depth=1
	s_wait_alu 0xfffe
	s_or_b32 exec_lo, exec_lo, s0
	s_wait_dscnt 0x1
	v_bfe_u32 v56, v5, 16, 1
	v_or_b32_e32 v57, 0x400000, v5
	v_bfe_u32 v58, v6, 16, 1
	v_cmp_u_f32_e32 vcc_lo, v5, v5
	v_bfe_u32 v59, v7, 16, 1
	v_add3_u32 v56, v56, v5, 0x7fff
	v_or_b32_e32 v60, 0x400000, v6
	v_add3_u32 v58, v58, v6, 0x7fff
	v_or_b32_e32 v61, 0x400000, v7
	v_add3_u32 v59, v59, v7, 0x7fff
	s_wait_alu 0xfffd
	v_cndmask_b32_e32 v5, v56, v57, vcc_lo
	v_cmp_u_f32_e32 vcc_lo, v6, v6
	v_bfe_u32 v56, v8, 16, 1
	s_wait_dscnt 0x0
	v_bfe_u32 v57, v1, 16, 1
	v_lshlrev_b32_e32 v90, 16, v90
	v_lshlrev_b32_e32 v88, 16, v88
	s_wait_alu 0xfffd
	v_cndmask_b32_e32 v6, v58, v60, vcc_lo
	v_cmp_u_f32_e32 vcc_lo, v7, v7
	v_add3_u32 v56, v56, v8, 0x7fff
	v_or_b32_e32 v58, 0x400000, v8
	v_add3_u32 v57, v57, v1, 0x7fff
	v_bfe_u32 v60, v2, 16, 1
	s_wait_alu 0xfffd
	v_cndmask_b32_e32 v7, v59, v61, vcc_lo
	v_cmp_u_f32_e32 vcc_lo, v8, v8
	v_or_b32_e32 v59, 0x400000, v1
	v_lshlrev_b32_e32 v64, 16, v64
	v_lshlrev_b32_e32 v52, 16, v52
	;; [unrolled: 1-line block ×3, first 2 shown]
	s_wait_alu 0xfffd
	v_cndmask_b32_e32 v8, v56, v58, vcc_lo
	v_cmp_u_f32_e32 vcc_lo, v1, v1
	v_or_b32_e32 v58, 0x400000, v2
	v_and_b32_e32 v1, 0xffff0000, v6
	v_lshlrev_b32_e32 v54, 16, v54
	v_lshlrev_b32_e32 v50, 16, v50
	s_wait_alu 0xfffd
	v_cndmask_b32_e32 v56, v57, v59, vcc_lo
	v_add3_u32 v57, v60, v2, 0x7fff
	v_bfe_u32 v59, v3, 16, 1
	v_cmp_u_f32_e32 vcc_lo, v2, v2
	v_lshlrev_b32_e32 v6, 16, v101
	v_and_b32_e32 v5, 0xffff0000, v5
	v_and_b32_e32 v7, 0xffff0000, v7
	v_add3_u32 v2, v59, v3, 0x7fff
	s_wait_alu 0xfffd
	v_cndmask_b32_e32 v57, v57, v58, vcc_lo
	v_or_b32_e32 v58, 0x400000, v3
	v_bfe_u32 v59, v4, 16, 1
	v_mul_f32_e32 v6, v1, v6
	v_cmp_u_f32_e32 vcc_lo, v3, v3
	v_dual_mul_f32 v52, v7, v52 :: v_dual_lshlrev_b32 v47, 16, v47
	s_delay_alu instid0(VALU_DEP_4)
	v_add3_u32 v3, v59, v4, 0x7fff
	v_or_b32_e32 v59, 0x400000, v4
	s_wait_alu 0xfffd
	v_cndmask_b32_e32 v58, v2, v58, vcc_lo
	v_bfe_u32 v61, v6, 16, 1
	v_cmp_u_f32_e32 vcc_lo, v4, v4
	v_dual_mul_f32 v46, v5, v46 :: v_dual_lshlrev_b32 v33, 16, v33
	v_lshlrev_b32_e32 v44, 16, v44
	v_lshlrev_b32_e32 v42, 16, v42
	s_wait_alu 0xfffd
	v_cndmask_b32_e32 v4, v3, v59, vcc_lo
	v_add3_u32 v3, v61, v6, 0x7fff
	v_or_b32_e32 v59, 0x400000, v6
	v_cmp_u_f32_e32 vcc_lo, v6, v6
	v_lshlrev_b32_e32 v60, 16, v100
	v_mul_f32_e32 v44, v7, v44
	v_lshlrev_b32_e32 v36, 16, v36
	v_lshlrev_b32_e32 v95, 16, v95
	s_wait_alu 0xfffd
	v_dual_cndmask_b32 v59, v3, v59 :: v_dual_mul_f32 v60, v5, v60
	v_and_b32_e32 v3, 0xffff0000, v57
	v_lshlrev_b32_e32 v78, 16, v78
	v_lshlrev_b32_e32 v34, 16, v34
	;; [unrolled: 1-line block ×3, first 2 shown]
	v_bfe_u32 v61, v60, 16, 1
	v_cmp_u_f32_e32 vcc_lo, v60, v60
	v_lshlrev_b32_e32 v14, 16, v14
	v_dual_mul_f32 v34, v1, v34 :: v_dual_and_b32 v59, 0xffff0000, v59
	s_delay_alu instid0(VALU_DEP_4)
	v_add3_u32 v6, v61, v60, 0x7fff
	v_or_b32_e32 v61, 0x400000, v60
	v_and_b32_e32 v2, 0xffff0000, v8
	v_lshlrev_b32_e32 v8, 16, v99
	v_lshlrev_b32_e32 v65, 16, v65
	;; [unrolled: 1-line block ×3, first 2 shown]
	s_wait_alu 0xfffd
	v_dual_cndmask_b32 v57, v6, v61 :: v_dual_lshlrev_b32 v82, 16, v82
	v_mul_f32_e32 v62, v2, v8
	v_dual_mul_f32 v32, v2, v32 :: v_dual_lshlrev_b32 v51, 16, v51
	s_delay_alu instid0(VALU_DEP_3)
	v_and_b32_e32 v57, 0xffff0000, v57
	v_and_b32_e32 v4, 0xffff0000, v4
	v_lshlrev_b32_e32 v8, 16, v98
	v_bfe_u32 v63, v62, 16, 1
	v_or_b32_e32 v60, 0x400000, v62
	v_cmp_u_f32_e32 vcc_lo, v62, v62
	s_delay_alu instid0(VALU_DEP_4) | instskip(NEXT) | instid1(VALU_DEP_4)
	v_dual_mul_f32 v95, v4, v95 :: v_dual_mul_f32 v98, v7, v8
	v_add3_u32 v6, v63, v62, 0x7fff
	v_dual_add_f32 v57, v57, v59 :: v_dual_lshlrev_b32 v8, 16, v97
	v_mul_f32_e32 v82, v7, v82
	s_delay_alu instid0(VALU_DEP_4)
	v_bfe_u32 v61, v98, 16, 1
	s_wait_alu 0xfffd
	v_cndmask_b32_e32 v60, v6, v60, vcc_lo
	v_cmp_u_f32_e32 vcc_lo, v98, v98
	v_mul_f32_e32 v63, v3, v8
	v_lshlrev_b32_e32 v71, 16, v71
	v_add3_u32 v6, v61, v98, 0x7fff
	v_or_b32_e32 v61, 0x400000, v98
	v_bfe_u32 v98, v95, 16, 1
	v_lshlrev_b32_e32 v55, 16, v55
	v_mul_f32_e32 v51, v3, v51
	v_lshlrev_b32_e32 v49, 16, v49
	s_wait_alu 0xfffd
	v_dual_cndmask_b32 v61, v6, v61 :: v_dual_and_b32 v6, 0xffff0000, v58
	v_bfe_u32 v62, v63, 16, 1
	v_cmp_u_f32_e32 vcc_lo, v63, v63
	v_mul_f32_e32 v55, v1, v55
	s_delay_alu instid0(VALU_DEP_4)
	v_and_b32_e32 v61, 0xffff0000, v61
	v_and_b32_e32 v60, 0xffff0000, v60
	v_add3_u32 v62, v62, v63, 0x7fff
	v_lshlrev_b32_e32 v58, 16, v94
	v_or_b32_e32 v94, 0x400000, v63
	v_add3_u32 v63, v98, v95, 0x7fff
	v_add_f32_e32 v59, v61, v60
	v_dual_mul_f32 v47, v1, v47 :: v_dual_and_b32 v8, 0xffff0000, v56
	s_wait_alu 0xfffd
	v_dual_cndmask_b32 v62, v62, v94 :: v_dual_lshlrev_b32 v45, 16, v45
	s_delay_alu instid0(VALU_DEP_3) | instskip(SKIP_2) | instid1(VALU_DEP_4)
	v_add_f32_e32 v57, v59, v57
	v_lshlrev_b32_e32 v59, 16, v93
	v_lshlrev_b32_e32 v56, 16, v96
	v_and_b32_e32 v60, 0xffff0000, v62
	v_mul_f32_e32 v78, v8, v78
	s_delay_alu instid0(VALU_DEP_4) | instskip(NEXT) | instid1(VALU_DEP_4)
	v_dual_mul_f32 v59, v1, v59 :: v_dual_lshlrev_b32 v76, 16, v76
	v_mul_f32_e32 v56, v8, v56
	v_mul_f32_e32 v50, v8, v50
	v_dual_mul_f32 v42, v8, v42 :: v_dual_mul_f32 v45, v2, v45
	v_mul_f32_e32 v33, v5, v33
	s_delay_alu instid0(VALU_DEP_4)
	v_bfe_u32 v96, v56, 16, 1
	v_or_b32_e32 v97, 0x400000, v56
	v_cmp_u_f32_e32 vcc_lo, v56, v56
	v_lshlrev_b32_e32 v43, 16, v43
	v_lshlrev_b32_e32 v35, 16, v35
	v_add3_u32 v96, v96, v56, 0x7fff
	v_lshlrev_b32_e32 v29, 16, v29
	v_lshlrev_b32_e32 v31, 16, v31
	v_dual_mul_f32 v43, v3, v43 :: v_dual_lshlrev_b32 v48, 16, v48
	s_wait_alu 0xfffd
	v_cndmask_b32_e32 v56, v96, v97, vcc_lo
	v_or_b32_e32 v96, 0x400000, v95
	v_mul_f32_e32 v58, v6, v58
	v_mul_f32_e32 v35, v6, v35
	s_delay_alu instid0(VALU_DEP_4) | instskip(SKIP_1) | instid1(VALU_DEP_4)
	v_dual_mul_f32 v31, v7, v31 :: v_dual_and_b32 v56, 0xffff0000, v56
	v_mul_f32_e32 v48, v6, v48
	v_bfe_u32 v94, v58, 16, 1
	v_or_b32_e32 v97, 0x400000, v58
	v_cmp_u_f32_e32 vcc_lo, v58, v58
	v_add_f32_e32 v56, v56, v60
	v_lshlrev_b32_e32 v60, 16, v92
	v_add3_u32 v94, v94, v58, 0x7fff
	v_lshlrev_b32_e32 v27, 16, v27
	v_mul_f32_e32 v29, v8, v29
	s_delay_alu instid0(VALU_DEP_4)
	v_dual_add_f32 v56, v56, v57 :: v_dual_mul_f32 v57, v5, v60
	s_wait_alu 0xfffd
	v_cndmask_b32_e32 v58, v94, v97, vcc_lo
	v_cmp_u_f32_e32 vcc_lo, v95, v95
	v_lshlrev_b32_e32 v60, 16, v91
	v_mul_f32_e32 v27, v6, v27
	v_bfe_u32 v62, v57, 16, 1
	s_wait_alu 0xfffd
	v_dual_cndmask_b32 v61, v63, v96 :: v_dual_and_b32 v58, 0xffff0000, v58
	v_cmp_u_f32_e32 vcc_lo, v59, v59
	v_or_b32_e32 v63, 0x400000, v57
	v_add3_u32 v62, v62, v57, 0x7fff
	v_lshlrev_b32_e32 v13, 16, v13
	v_and_b32_e32 v61, 0xffff0000, v61
	s_delay_alu instid0(VALU_DEP_1) | instskip(SKIP_1) | instid1(VALU_DEP_2)
	v_add_f32_e32 v58, v58, v61
	v_bfe_u32 v61, v59, 16, 1
	v_add_f32_e32 v56, v58, v56
	v_mul_f32_e32 v58, v2, v60
	s_delay_alu instid0(VALU_DEP_3) | instskip(SKIP_1) | instid1(VALU_DEP_3)
	v_add3_u32 v60, v61, v59, 0x7fff
	v_or_b32_e32 v61, 0x400000, v59
	v_bfe_u32 v91, v58, 16, 1
	s_wait_alu 0xfffd
	s_delay_alu instid0(VALU_DEP_2)
	v_cndmask_b32_e32 v59, v60, v61, vcc_lo
	v_cmp_u_f32_e32 vcc_lo, v57, v57
	v_mul_f32_e32 v60, v7, v90
	v_add3_u32 v61, v91, v58, 0x7fff
	v_lshlrev_b32_e32 v74, 16, v74
	v_and_b32_e32 v59, 0xffff0000, v59
	s_wait_alu 0xfffd
	v_cndmask_b32_e32 v57, v62, v63, vcc_lo
	v_or_b32_e32 v62, 0x400000, v58
	v_lshlrev_b32_e32 v63, 16, v89
	v_cmp_u_f32_e32 vcc_lo, v58, v58
	v_bfe_u32 v89, v60, 16, 1
	v_dual_mul_f32 v74, v6, v74 :: v_dual_and_b32 v57, 0xffff0000, v57
	v_mul_f32_e32 v76, v4, v76
	s_wait_alu 0xfffd
	v_dual_cndmask_b32 v58, v61, v62 :: v_dual_mul_f32 v61, v3, v63
	v_mul_f32_e32 v62, v8, v88
	v_add3_u32 v63, v89, v60, 0x7fff
	v_or_b32_e32 v88, 0x400000, v60
	v_cmp_u_f32_e32 vcc_lo, v60, v60
	v_bfe_u32 v89, v61, 16, 1
	v_bfe_u32 v90, v62, 16, 1
	v_dual_add_f32 v57, v57, v59 :: v_dual_and_b32 v58, 0xffff0000, v58
	s_wait_alu 0xfffd
	v_dual_cndmask_b32 v60, v63, v88 :: v_dual_mul_f32 v63, v4, v87
	v_add3_u32 v87, v89, v61, 0x7fff
	v_or_b32_e32 v88, 0x400000, v61
	v_cmp_u_f32_e32 vcc_lo, v61, v61
	v_add3_u32 v89, v90, v62, 0x7fff
	v_or_b32_e32 v90, 0x400000, v62
	v_and_b32_e32 v60, 0xffff0000, v60
	v_bfe_u32 v91, v63, 16, 1
	s_wait_alu 0xfffd
	v_cndmask_b32_e32 v61, v87, v88, vcc_lo
	v_cmp_u_f32_e32 vcc_lo, v62, v62
	v_or_b32_e32 v88, 0x400000, v63
	v_add_f32_e32 v58, v60, v58
	v_lshlrev_b32_e32 v60, 16, v85
	s_wait_alu 0xfffd
	v_dual_cndmask_b32 v62, v89, v90 :: v_dual_and_b32 v61, 0xffff0000, v61
	v_add3_u32 v87, v91, v63, 0x7fff
	v_add_f32_e32 v57, v58, v57
	v_cmp_u_f32_e32 vcc_lo, v63, v63
	s_delay_alu instid0(VALU_DEP_4) | instskip(SKIP_3) | instid1(VALU_DEP_3)
	v_dual_mul_f32 v58, v1, v60 :: v_dual_and_b32 v59, 0xffff0000, v62
	v_dual_add_f32 v18, v18, v56 :: v_dual_mul_f32 v49, v4, v49
	s_wait_alu 0xfffd
	v_cndmask_b32_e32 v63, v87, v88, vcc_lo
	v_dual_mul_f32 v36, v4, v36 :: v_dual_add_f32 v59, v59, v61
	s_delay_alu instid0(VALU_DEP_2) | instskip(NEXT) | instid1(VALU_DEP_2)
	v_and_b32_e32 v63, 0xffff0000, v63
	v_dual_add_f32 v57, v59, v57 :: v_dual_lshlrev_b32 v60, 16, v84
	s_delay_alu instid0(VALU_DEP_1) | instskip(NEXT) | instid1(VALU_DEP_1)
	v_dual_mul_f32 v59, v5, v60 :: v_dual_lshlrev_b32 v86, 16, v86
	v_mul_f32_e32 v86, v6, v86
	s_delay_alu instid0(VALU_DEP_2) | instskip(NEXT) | instid1(VALU_DEP_2)
	v_bfe_u32 v84, v59, 16, 1
	v_bfe_u32 v87, v86, 16, 1
	v_or_b32_e32 v85, 0x400000, v86
	v_cmp_u_f32_e32 vcc_lo, v86, v86
	s_delay_alu instid0(VALU_DEP_3) | instskip(SKIP_3) | instid1(VALU_DEP_3)
	v_add3_u32 v62, v87, v86, 0x7fff
	v_bfe_u32 v87, v74, 16, 1
	v_bfe_u32 v86, v76, 16, 1
	s_wait_alu 0xfffd
	v_cndmask_b32_e32 v61, v62, v85, vcc_lo
	v_bfe_u32 v62, v58, 16, 1
	v_cmp_u_f32_e32 vcc_lo, v58, v58
	v_or_b32_e32 v85, 0x400000, v78
	s_delay_alu instid0(VALU_DEP_4) | instskip(NEXT) | instid1(VALU_DEP_4)
	v_and_b32_e32 v61, 0xffff0000, v61
	v_add3_u32 v62, v62, v58, 0x7fff
	s_delay_alu instid0(VALU_DEP_2) | instskip(SKIP_1) | instid1(VALU_DEP_2)
	v_add_f32_e32 v61, v61, v63
	v_lshlrev_b32_e32 v63, 16, v70
	v_dual_add_f32 v57, v61, v57 :: v_dual_lshlrev_b32 v60, 16, v83
	s_delay_alu instid0(VALU_DEP_2) | instskip(SKIP_2) | instid1(VALU_DEP_4)
	v_mul_f32_e32 v61, v5, v63
	v_or_b32_e32 v83, 0x400000, v58
	v_lshlrev_b32_e32 v63, 16, v68
	v_dual_add_f32 v19, v19, v57 :: v_dual_mul_f32 v60, v2, v60
	s_delay_alu instid0(VALU_DEP_4)
	v_bfe_u32 v57, v61, 16, 1
	s_wait_alu 0xfffd
	v_cndmask_b32_e32 v58, v62, v83, vcc_lo
	v_add3_u32 v62, v84, v59, 0x7fff
	v_or_b32_e32 v83, 0x400000, v59
	v_bfe_u32 v84, v60, 16, 1
	v_cmp_u_f32_e32 vcc_lo, v59, v59
	v_add3_u32 v57, v57, v61, 0x7fff
	v_lshlrev_b32_e32 v80, 16, v80
	s_wait_alu 0xfffd
	v_dual_cndmask_b32 v59, v62, v83 :: v_dual_and_b32 v58, 0xffff0000, v58
	v_add3_u32 v62, v84, v60, 0x7fff
	v_or_b32_e32 v83, 0x400000, v60
	v_bfe_u32 v84, v82, 16, 1
	v_mul_f32_e32 v80, v3, v80
	v_cmp_u_f32_e32 vcc_lo, v60, v60
	v_and_b32_e32 v59, 0xffff0000, v59
	s_wait_alu 0xfffd
	v_cndmask_b32_e32 v60, v62, v83, vcc_lo
	v_add3_u32 v62, v84, v82, 0x7fff
	v_or_b32_e32 v83, 0x400000, v82
	v_bfe_u32 v84, v80, 16, 1
	v_cmp_u_f32_e32 vcc_lo, v82, v82
	v_bfe_u32 v82, v78, 16, 1
	v_and_b32_e32 v60, 0xffff0000, v60
	v_add_f32_e32 v58, v59, v58
	s_wait_alu 0xfffd
	v_cndmask_b32_e32 v62, v62, v83, vcc_lo
	v_add3_u32 v83, v84, v80, 0x7fff
	v_or_b32_e32 v84, 0x400000, v80
	v_cmp_u_f32_e32 vcc_lo, v80, v80
	v_add3_u32 v82, v82, v78, 0x7fff
	v_and_b32_e32 v62, 0xffff0000, v62
	s_wait_alu 0xfffd
	v_cndmask_b32_e32 v80, v83, v84, vcc_lo
	v_cmp_u_f32_e32 vcc_lo, v78, v78
	v_add3_u32 v83, v87, v74, 0x7fff
	v_or_b32_e32 v84, 0x400000, v74
	v_add_f32_e32 v59, v62, v60
	v_and_b32_e32 v62, 0xffff0000, v80
	s_wait_alu 0xfffd
	v_cndmask_b32_e32 v78, v82, v85, vcc_lo
	v_cmp_u_f32_e32 vcc_lo, v74, v74
	v_add3_u32 v82, v86, v76, 0x7fff
	v_or_b32_e32 v85, 0x400000, v76
	v_add_f32_e32 v58, v59, v58
	v_and_b32_e32 v60, 0xffff0000, v78
	s_wait_alu 0xfffd
	v_cndmask_b32_e32 v74, v83, v84, vcc_lo
	v_cmp_u_f32_e32 vcc_lo, v76, v76
	s_delay_alu instid0(VALU_DEP_3) | instskip(NEXT) | instid1(VALU_DEP_3)
	v_add_f32_e32 v59, v60, v62
	v_and_b32_e32 v60, 0xffff0000, v74
	s_wait_alu 0xfffd
	v_cndmask_b32_e32 v76, v82, v85, vcc_lo
	s_delay_alu instid0(VALU_DEP_3) | instskip(NEXT) | instid1(VALU_DEP_2)
	v_add_f32_e32 v58, v59, v58
	v_and_b32_e32 v62, 0xffff0000, v76
	s_delay_alu instid0(VALU_DEP_1) | instskip(SKIP_1) | instid1(VALU_DEP_2)
	v_dual_add_f32 v59, v60, v62 :: v_dual_mul_f32 v60, v1, v71
	v_or_b32_e32 v62, 0x400000, v61
	v_add_f32_e32 v56, v59, v58
	s_delay_alu instid0(VALU_DEP_3) | instskip(SKIP_2) | instid1(VALU_DEP_4)
	v_bfe_u32 v58, v60, 16, 1
	v_lshlrev_b32_e32 v59, 16, v69
	v_cmp_u_f32_e32 vcc_lo, v60, v60
	v_add_f32_e32 v20, v20, v56
	s_delay_alu instid0(VALU_DEP_4) | instskip(SKIP_4) | instid1(VALU_DEP_3)
	v_add3_u32 v56, v58, v60, 0x7fff
	v_or_b32_e32 v58, 0x400000, v60
	v_mul_f32_e32 v59, v2, v59
	v_dual_mul_f32 v60, v7, v63 :: v_dual_lshlrev_b32 v63, 16, v66
	s_wait_alu 0xfffd
	v_cndmask_b32_e32 v56, v56, v58, vcc_lo
	s_delay_alu instid0(VALU_DEP_3)
	v_bfe_u32 v58, v59, 16, 1
	v_cmp_u_f32_e32 vcc_lo, v61, v61
	v_lshlrev_b32_e32 v61, 16, v67
	v_bfe_u32 v66, v60, 16, 1
	v_and_b32_e32 v56, 0xffff0000, v56
	v_add3_u32 v58, v58, v59, 0x7fff
	s_wait_alu 0xfffd
	v_cndmask_b32_e32 v57, v57, v62, vcc_lo
	v_or_b32_e32 v62, 0x400000, v59
	v_mul_f32_e32 v61, v3, v61
	v_cmp_u_f32_e32 vcc_lo, v59, v59
	v_mul_f32_e32 v59, v8, v63
	v_or_b32_e32 v63, 0x400000, v60
	s_wait_alu 0xfffd
	v_dual_cndmask_b32 v58, v58, v62 :: v_dual_and_b32 v57, 0xffff0000, v57
	v_add3_u32 v62, v66, v60, 0x7fff
	v_bfe_u32 v66, v61, 16, 1
	v_cmp_u_f32_e32 vcc_lo, v60, v60
	v_bfe_u32 v67, v59, 16, 1
	v_and_b32_e32 v58, 0xffff0000, v58
	v_add_f32_e32 v56, v57, v56
	s_wait_alu 0xfffd
	v_cndmask_b32_e32 v60, v62, v63, vcc_lo
	v_add3_u32 v62, v66, v61, 0x7fff
	v_mul_f32_e32 v63, v4, v65
	v_or_b32_e32 v65, 0x400000, v61
	v_cmp_u_f32_e32 vcc_lo, v61, v61
	v_add3_u32 v66, v67, v59, 0x7fff
	v_or_b32_e32 v67, 0x400000, v59
	v_bfe_u32 v68, v63, 16, 1
	s_wait_alu 0xfffd
	v_dual_cndmask_b32 v61, v62, v65 :: v_dual_and_b32 v60, 0xffff0000, v60
	v_mul_f32_e32 v62, v6, v64
	v_cmp_u_f32_e32 vcc_lo, v59, v59
	v_add3_u32 v64, v68, v63, 0x7fff
	v_or_b32_e32 v65, 0x400000, v63
	v_add_f32_e32 v57, v60, v58
	v_mul_f32_e32 v6, v6, v14
	s_wait_alu 0xfffd
	v_cndmask_b32_e32 v59, v66, v67, vcc_lo
	v_bfe_u32 v66, v62, 16, 1
	v_cmp_u_f32_e32 vcc_lo, v63, v63
	v_add_f32_e32 v56, v57, v56
	s_delay_alu instid0(VALU_DEP_4)
	v_and_b32_e32 v58, 0xffff0000, v59
	v_and_b32_e32 v59, 0xffff0000, v61
	s_wait_alu 0xfffd
	v_cndmask_b32_e32 v63, v64, v65, vcc_lo
	v_add3_u32 v64, v66, v62, 0x7fff
	v_or_b32_e32 v65, 0x400000, v62
	v_cmp_u_f32_e32 vcc_lo, v62, v62
	v_dual_add_f32 v57, v58, v59 :: v_dual_mul_f32 v58, v5, v54
	v_bfe_u32 v61, v55, 16, 1
	v_bfe_u32 v62, v49, 16, 1
	s_wait_alu 0xfffd
	v_cndmask_b32_e32 v60, v64, v65, vcc_lo
	v_dual_add_f32 v54, v57, v56 :: v_dual_lshlrev_b32 v57, 16, v53
	v_bfe_u32 v56, v58, 16, 1
	v_cmp_u_f32_e32 vcc_lo, v55, v55
	s_delay_alu instid0(VALU_DEP_4) | instskip(NEXT) | instid1(VALU_DEP_4)
	v_and_b32_e32 v59, 0xffff0000, v60
	v_dual_mul_f32 v57, v2, v57 :: v_dual_and_b32 v60, 0xffff0000, v63
	s_delay_alu instid0(VALU_DEP_4) | instskip(NEXT) | instid1(VALU_DEP_2)
	v_add3_u32 v56, v56, v58, 0x7fff
	v_add_f32_e32 v53, v59, v60
	v_add3_u32 v59, v61, v55, 0x7fff
	v_or_b32_e32 v60, 0x400000, v55
	v_or_b32_e32 v61, 0x400000, v58
	s_wait_alu 0xfffd
	s_delay_alu instid0(VALU_DEP_2) | instskip(SKIP_3) | instid1(VALU_DEP_4)
	v_cndmask_b32_e32 v55, v59, v60, vcc_lo
	v_bfe_u32 v59, v57, 16, 1
	v_cmp_u_f32_e32 vcc_lo, v58, v58
	v_bfe_u32 v60, v52, 16, 1
	v_and_b32_e32 v55, 0xffff0000, v55
	s_delay_alu instid0(VALU_DEP_4)
	v_add3_u32 v58, v59, v57, 0x7fff
	s_wait_alu 0xfffd
	v_cndmask_b32_e32 v56, v56, v61, vcc_lo
	v_or_b32_e32 v59, 0x400000, v57
	v_cmp_u_f32_e32 vcc_lo, v57, v57
	v_bfe_u32 v61, v50, 16, 1
	s_wait_alu 0xfffd
	s_delay_alu instid0(VALU_DEP_3)
	v_cndmask_b32_e32 v57, v58, v59, vcc_lo
	v_add3_u32 v58, v60, v52, 0x7fff
	v_or_b32_e32 v59, 0x400000, v52
	v_cmp_u_f32_e32 vcc_lo, v52, v52
	v_bfe_u32 v60, v51, 16, 1
	s_wait_alu 0xfffd
	s_delay_alu instid0(VALU_DEP_3) | instskip(NEXT) | instid1(VALU_DEP_2)
	v_dual_cndmask_b32 v52, v58, v59 :: v_dual_and_b32 v57, 0xffff0000, v57
	v_add3_u32 v58, v60, v51, 0x7fff
	v_or_b32_e32 v59, 0x400000, v51
	v_cmp_u_f32_e32 vcc_lo, v51, v51
	v_add3_u32 v60, v61, v50, 0x7fff
	v_and_b32_e32 v52, 0xffff0000, v52
	v_or_b32_e32 v61, 0x400000, v50
	s_wait_alu 0xfffd
	v_cndmask_b32_e32 v51, v58, v59, vcc_lo
	v_cmp_u_f32_e32 vcc_lo, v50, v50
	v_add_f32_e32 v52, v52, v57
	v_add3_u32 v58, v62, v49, 0x7fff
	v_or_b32_e32 v59, 0x400000, v49
	s_wait_alu 0xfffd
	v_dual_cndmask_b32 v50, v60, v61 :: v_dual_and_b32 v51, 0xffff0000, v51
	v_bfe_u32 v60, v48, 16, 1
	v_cmp_u_f32_e32 vcc_lo, v49, v49
	s_wait_alu 0xfffd
	s_delay_alu instid0(VALU_DEP_3) | instskip(NEXT) | instid1(VALU_DEP_3)
	v_dual_cndmask_b32 v49, v58, v59 :: v_dual_and_b32 v50, 0xffff0000, v50
	v_add3_u32 v58, v60, v48, 0x7fff
	v_or_b32_e32 v59, 0x400000, v48
	v_cmp_u_f32_e32 vcc_lo, v48, v48
	s_delay_alu instid0(VALU_DEP_4) | instskip(SKIP_4) | instid1(VALU_DEP_2)
	v_dual_add_f32 v50, v50, v51 :: v_dual_and_b32 v49, 0xffff0000, v49
	v_bfe_u32 v51, v47, 16, 1
	s_wait_alu 0xfffd
	v_cndmask_b32_e32 v48, v58, v59, vcc_lo
	v_cmp_u_f32_e32 vcc_lo, v47, v47
	v_and_b32_e32 v48, 0xffff0000, v48
	s_delay_alu instid0(VALU_DEP_1) | instskip(SKIP_3) | instid1(VALU_DEP_1)
	v_add_f32_e32 v48, v48, v49
	v_add3_u32 v49, v51, v47, 0x7fff
	v_or_b32_e32 v51, 0x400000, v47
	s_wait_alu 0xfffd
	v_cndmask_b32_e32 v47, v49, v51, vcc_lo
	v_cmp_u_f32_e32 vcc_lo, v46, v46
	v_or_b32_e32 v51, 0x400000, v45
	s_delay_alu instid0(VALU_DEP_3) | instskip(SKIP_1) | instid1(VALU_DEP_1)
	v_and_b32_e32 v47, 0xffff0000, v47
	v_and_b32_e32 v56, 0xffff0000, v56
	v_add_f32_e32 v55, v56, v55
	v_bfe_u32 v56, v45, 16, 1
	s_delay_alu instid0(VALU_DEP_2) | instskip(SKIP_1) | instid1(VALU_DEP_3)
	v_add_f32_e32 v52, v52, v55
	v_or_b32_e32 v55, 0x400000, v46
	v_add3_u32 v49, v56, v45, 0x7fff
	v_bfe_u32 v56, v36, 16, 1
	s_delay_alu instid0(VALU_DEP_4) | instskip(SKIP_1) | instid1(VALU_DEP_1)
	v_add_f32_e32 v50, v50, v52
	v_bfe_u32 v52, v46, 16, 1
	v_add3_u32 v52, v52, v46, 0x7fff
	s_wait_alu 0xfffd
	s_delay_alu instid0(VALU_DEP_1)
	v_cndmask_b32_e32 v46, v52, v55, vcc_lo
	v_bfe_u32 v52, v44, 16, 1
	v_cmp_u_f32_e32 vcc_lo, v45, v45
	v_bfe_u32 v55, v42, 16, 1
	s_wait_alu 0xfffd
	v_dual_cndmask_b32 v45, v49, v51 :: v_dual_and_b32 v46, 0xffff0000, v46
	v_add3_u32 v49, v52, v44, 0x7fff
	v_or_b32_e32 v51, 0x400000, v44
	v_bfe_u32 v52, v43, 16, 1
	v_cmp_u_f32_e32 vcc_lo, v44, v44
	v_dual_add_f32 v46, v46, v47 :: v_dual_and_b32 v45, 0xffff0000, v45
	v_or_b32_e32 v47, 0x400000, v35
	s_wait_alu 0xfffd
	v_cndmask_b32_e32 v44, v49, v51, vcc_lo
	v_add3_u32 v49, v52, v43, 0x7fff
	v_or_b32_e32 v51, 0x400000, v43
	v_cmp_u_f32_e32 vcc_lo, v43, v43
	v_add3_u32 v52, v55, v42, 0x7fff
	v_or_b32_e32 v55, 0x400000, v42
	s_wait_alu 0xfffd
	v_dual_cndmask_b32 v43, v49, v51 :: v_dual_and_b32 v44, 0xffff0000, v44
	v_cmp_u_f32_e32 vcc_lo, v42, v42
	v_add3_u32 v49, v56, v36, 0x7fff
	v_or_b32_e32 v51, 0x400000, v36
	s_delay_alu instid0(VALU_DEP_4) | instskip(SKIP_3) | instid1(VALU_DEP_3)
	v_dual_add_f32 v44, v44, v45 :: v_dual_and_b32 v43, 0xffff0000, v43
	s_wait_alu 0xfffd
	v_cndmask_b32_e32 v42, v52, v55, vcc_lo
	v_cmp_u_f32_e32 vcc_lo, v36, v36
	v_add_f32_e32 v44, v44, v46
	v_or_b32_e32 v46, 0x400000, v32
	s_delay_alu instid0(VALU_DEP_4)
	v_and_b32_e32 v42, 0xffff0000, v42
	s_wait_alu 0xfffd
	v_cndmask_b32_e32 v36, v49, v51, vcc_lo
	v_bfe_u32 v49, v35, 16, 1
	v_cmp_u_f32_e32 vcc_lo, v35, v35
	v_add_f32_e32 v42, v42, v43
	v_bfe_u32 v43, v34, 16, 1
	s_delay_alu instid0(VALU_DEP_4) | instskip(NEXT) | instid1(VALU_DEP_3)
	v_add3_u32 v45, v49, v35, 0x7fff
	v_add_f32_e32 v42, v42, v44
	s_delay_alu instid0(VALU_DEP_3) | instskip(SKIP_1) | instid1(VALU_DEP_3)
	v_add3_u32 v43, v43, v34, 0x7fff
	s_wait_alu 0xfffd
	v_cndmask_b32_e32 v35, v45, v47, vcc_lo
	v_or_b32_e32 v44, 0x400000, v34
	v_bfe_u32 v45, v33, 16, 1
	v_cmp_u_f32_e32 vcc_lo, v34, v34
	v_lshlrev_b32_e32 v28, 16, v28
	v_and_b32_e32 v35, 0xffff0000, v35
	v_lshlrev_b32_e32 v30, 16, v30
	s_wait_alu 0xfffd
	v_cndmask_b32_e32 v34, v43, v44, vcc_lo
	v_bfe_u32 v43, v32, 16, 1
	v_add3_u32 v44, v45, v33, 0x7fff
	v_or_b32_e32 v45, 0x400000, v33
	v_cmp_u_f32_e32 vcc_lo, v33, v33
	v_mul_f32_e32 v30, v3, v30
	v_add3_u32 v43, v43, v32, 0x7fff
	v_mul_f32_e32 v28, v4, v28
	s_wait_alu 0xfffd
	v_dual_cndmask_b32 v33, v44, v45 :: v_dual_and_b32 v34, 0xffff0000, v34
	v_bfe_u32 v44, v31, 16, 1
	v_cmp_u_f32_e32 vcc_lo, v32, v32
	v_or_b32_e32 v45, 0x400000, v31
	v_mul_f32_e32 v4, v4, v13
	v_and_b32_e32 v33, 0xffff0000, v33
	v_add3_u32 v44, v44, v31, 0x7fff
	s_wait_alu 0xfffd
	v_cndmask_b32_e32 v32, v43, v46, vcc_lo
	v_bfe_u32 v43, v30, 16, 1
	v_cmp_u_f32_e32 vcc_lo, v31, v31
	v_or_b32_e32 v46, 0x400000, v30
	s_delay_alu instid0(VALU_DEP_4) | instskip(NEXT) | instid1(VALU_DEP_4)
	v_dual_add_f32 v33, v33, v34 :: v_dual_and_b32 v32, 0xffff0000, v32
	v_add3_u32 v43, v43, v30, 0x7fff
	s_wait_alu 0xfffd
	v_cndmask_b32_e32 v31, v44, v45, vcc_lo
	v_bfe_u32 v44, v29, 16, 1
	v_cmp_u_f32_e32 vcc_lo, v30, v30
	v_bfe_u32 v45, v28, 16, 1
	s_wait_alu 0xfffd
	v_dual_cndmask_b32 v30, v43, v46 :: v_dual_and_b32 v31, 0xffff0000, v31
	v_add3_u32 v43, v44, v29, 0x7fff
	v_or_b32_e32 v44, 0x400000, v29
	v_cmp_u_f32_e32 vcc_lo, v29, v29
	v_add3_u32 v45, v45, v28, 0x7fff
	v_or_b32_e32 v46, 0x400000, v28
	v_dual_add_f32 v31, v31, v32 :: v_dual_and_b32 v30, 0xffff0000, v30
	s_wait_alu 0xfffd
	v_cndmask_b32_e32 v29, v43, v44, vcc_lo
	v_cmp_u_f32_e32 vcc_lo, v28, v28
	v_bfe_u32 v43, v27, 16, 1
	v_lshlrev_b32_e32 v32, 16, v79
	v_or_b32_e32 v44, 0x400000, v27
	s_wait_alu 0xfffd
	v_dual_cndmask_b32 v28, v45, v46 :: v_dual_and_b32 v29, 0xffff0000, v29
	v_lshlrev_b32_e32 v45, 16, v81
	v_add3_u32 v43, v43, v27, 0x7fff
	v_cmp_u_f32_e32 vcc_lo, v27, v27
	v_add_f32_e32 v31, v31, v33
	v_add_f32_e32 v29, v29, v30
	v_mul_f32_e32 v5, v5, v45
	v_dual_mul_f32 v1, v1, v32 :: v_dual_lshlrev_b32 v30, 16, v77
	s_wait_alu 0xfffd
	v_cndmask_b32_e32 v27, v43, v44, vcc_lo
	s_delay_alu instid0(VALU_DEP_3) | instskip(NEXT) | instid1(VALU_DEP_3)
	v_bfe_u32 v33, v5, 16, 1
	v_bfe_u32 v34, v1, 16, 1
	v_dual_mul_f32 v7, v7, v30 :: v_dual_lshlrev_b32 v30, 16, v75
	v_cmp_u_f32_e32 vcc_lo, v5, v5
	s_delay_alu instid0(VALU_DEP_4) | instskip(SKIP_1) | instid1(VALU_DEP_4)
	v_add3_u32 v32, v33, v5, 0x7fff
	v_or_b32_e32 v33, 0x400000, v5
	v_dual_mul_f32 v2, v2, v30 :: v_dual_and_b32 v27, 0xffff0000, v27
	v_lshlrev_b32_e32 v30, 16, v73
	s_wait_alu 0xfffd
	s_delay_alu instid0(VALU_DEP_3)
	v_cndmask_b32_e32 v5, v32, v33, vcc_lo
	v_add3_u32 v32, v34, v1, 0x7fff
	v_or_b32_e32 v33, 0x400000, v1
	v_bfe_u32 v34, v7, 16, 1
	v_cmp_u_f32_e32 vcc_lo, v1, v1
	v_mul_f32_e32 v8, v8, v30
	v_lshlrev_b32_e32 v30, 16, v72
	v_and_b32_e32 v5, 0xffff0000, v5
	s_wait_alu 0xfffd
	v_cndmask_b32_e32 v1, v32, v33, vcc_lo
	v_add3_u32 v32, v34, v7, 0x7fff
	v_or_b32_e32 v33, 0x400000, v7
	v_bfe_u32 v34, v2, 16, 1
	v_cmp_u_f32_e32 vcc_lo, v7, v7
	v_mul_f32_e32 v3, v3, v30
	v_or_b32_e32 v13, 0x400000, v8
	v_and_b32_e32 v1, 0xffff0000, v1
	s_wait_alu 0xfffd
	v_cndmask_b32_e32 v7, v32, v33, vcc_lo
	v_add3_u32 v32, v34, v2, 0x7fff
	v_or_b32_e32 v33, 0x400000, v2
	v_bfe_u32 v34, v8, 16, 1
	v_cmp_u_f32_e32 vcc_lo, v2, v2
	v_bfe_u32 v30, v3, 16, 1
	v_and_b32_e32 v7, 0xffff0000, v7
	v_add_f32_e32 v1, v5, v1
	s_wait_alu 0xfffd
	v_cndmask_b32_e32 v2, v32, v33, vcc_lo
	v_add3_u32 v32, v34, v8, 0x7fff
	v_cmp_u_f32_e32 vcc_lo, v8, v8
	v_add3_u32 v14, v30, v3, 0x7fff
	v_or_b32_e32 v30, 0x400000, v3
	v_and_b32_e32 v2, 0xffff0000, v2
	v_bfe_u32 v34, v4, 16, 1
	s_wait_alu 0xfffd
	v_cndmask_b32_e32 v8, v32, v13, vcc_lo
	v_cmp_u_f32_e32 vcc_lo, v3, v3
	v_bfe_u32 v33, v6, 16, 1
	v_add_f32_e32 v2, v7, v2
	v_or_b32_e32 v32, 0x400000, v6
	v_and_b32_e32 v5, 0xffff0000, v8
	s_wait_alu 0xfffd
	v_cndmask_b32_e32 v3, v14, v30, vcc_lo
	v_add3_u32 v14, v34, v4, 0x7fff
	v_or_b32_e32 v30, 0x400000, v4
	v_cmp_u_f32_e32 vcc_lo, v4, v4
	v_add_f32_e32 v1, v2, v1
	v_and_b32_e32 v3, 0xffff0000, v3
	v_add3_u32 v13, v33, v6, 0x7fff
	s_wait_alu 0xfffd
	v_cndmask_b32_e32 v4, v14, v30, vcc_lo
	v_cmp_u_f32_e32 vcc_lo, v6, v6
	v_add_f32_e32 v2, v5, v3
	v_and_b32_e32 v36, 0xffff0000, v36
	s_delay_alu instid0(VALU_DEP_4) | instskip(SKIP_1) | instid1(VALU_DEP_3)
	v_and_b32_e32 v3, 0xffff0000, v4
	s_wait_alu 0xfffd
	v_dual_cndmask_b32 v6, v13, v32 :: v_dual_add_f32 v1, v2, v1
	s_delay_alu instid0(VALU_DEP_1) | instskip(SKIP_1) | instid1(VALU_DEP_2)
	v_dual_add_f32 v5, v35, v36 :: v_dual_and_b32 v4, 0xffff0000, v6
	v_add_f32_e32 v6, v29, v31
	v_dual_add_f32 v5, v5, v42 :: v_dual_add_f32 v2, v4, v3
	v_add_f32_e32 v3, v53, v54
	s_delay_alu instid0(VALU_DEP_2) | instskip(SKIP_1) | instid1(VALU_DEP_4)
	v_add_f32_e32 v23, v23, v5
	v_dual_add_f32 v4, v48, v50 :: v_dual_and_b32 v7, 0xffff0000, v28
	v_add_f32_e32 v1, v2, v1
	s_delay_alu instid0(VALU_DEP_4) | instskip(NEXT) | instid1(VALU_DEP_3)
	v_add_f32_e32 v21, v21, v3
	v_dual_add_f32 v7, v27, v7 :: v_dual_add_f32 v22, v22, v4
	s_delay_alu instid0(VALU_DEP_1) | instskip(NEXT) | instid1(VALU_DEP_1)
	v_dual_add_f32 v17, v17, v1 :: v_dual_add_f32 v6, v7, v6
	v_add_f32_e32 v24, v24, v6
.LBB337_41:                             ;   in Loop: Header=BB337_42 Depth=1
	s_wait_alu 0xfffe
	s_or_b32 exec_lo, exec_lo, s11
	v_add_nc_u32_e32 v41, 4, v41
	v_add_co_u32 v9, s0, v9, 16
	s_wait_alu 0xf1ff
	v_add_co_ci_u32_e64 v10, null, 0, v10, s0
	s_delay_alu instid0(VALU_DEP_3)
	v_cmp_le_i32_e32 vcc_lo, s36, v41
	v_add_nc_u32_e32 v40, 64, v40
	v_add_nc_u32_e32 v26, 0x100, v26
	s_or_b32 s9, vcc_lo, s9
	s_wait_alu 0xfffe
	s_and_not1_b32 exec_lo, exec_lo, s9
	s_cbranch_execz .LBB337_59
.LBB337_42:                             ; =>This Inner Loop Header: Depth=1
	v_sub_nc_u32_e32 v1, 0, v40
	s_delay_alu instid0(VALU_DEP_1) | instskip(NEXT) | instid1(VALU_DEP_1)
	v_max_i32_e32 v1, v40, v1
	v_mul_hi_u32 v2, v1, s44
	s_delay_alu instid0(VALU_DEP_1) | instskip(NEXT) | instid1(VALU_DEP_1)
	v_mul_lo_u32 v3, v2, s40
	v_sub_nc_u32_e32 v1, v1, v3
	v_add_nc_u32_e32 v3, 1, v2
	s_delay_alu instid0(VALU_DEP_2) | instskip(SKIP_2) | instid1(VALU_DEP_2)
	v_subrev_nc_u32_e32 v4, s40, v1
	v_cmp_le_u32_e32 vcc_lo, s40, v1
	s_wait_alu 0xfffd
	v_dual_cndmask_b32 v2, v2, v3 :: v_dual_cndmask_b32 v1, v1, v4
	v_ashrrev_i32_e32 v3, 31, v40
	s_delay_alu instid0(VALU_DEP_2) | instskip(NEXT) | instid1(VALU_DEP_3)
	v_add_nc_u32_e32 v4, 1, v2
	v_cmp_le_u32_e32 vcc_lo, s40, v1
	s_delay_alu instid0(VALU_DEP_3) | instskip(SKIP_1) | instid1(VALU_DEP_3)
	v_xor_b32_e32 v3, s39, v3
	s_wait_alu 0xfffd
	v_cndmask_b32_e32 v1, v2, v4, vcc_lo
	s_delay_alu instid0(VALU_DEP_1) | instskip(NEXT) | instid1(VALU_DEP_1)
	v_xor_b32_e32 v1, v1, v3
	v_sub_nc_u32_e32 v1, v1, v3
	s_delay_alu instid0(VALU_DEP_1) | instskip(SKIP_1) | instid1(VALU_DEP_2)
	v_add_nc_u32_e32 v2, s53, v1
	v_cmp_lt_i32_e64 s0, s5, v1
	v_sub_nc_u32_e32 v3, 0, v2
	s_delay_alu instid0(VALU_DEP_1) | instskip(SKIP_1) | instid1(VALU_DEP_1)
	v_max_i32_e32 v3, v2, v3
	s_wait_alu 0xfffe
	v_mul_hi_u32 v4, v3, s10
	s_delay_alu instid0(VALU_DEP_1) | instskip(NEXT) | instid1(VALU_DEP_1)
	v_mul_lo_u32 v4, v4, s3
	v_sub_nc_u32_e32 v3, v3, v4
	s_delay_alu instid0(VALU_DEP_1) | instskip(SKIP_2) | instid1(VALU_DEP_2)
	v_subrev_nc_u32_e32 v4, s3, v3
	v_cmp_le_u32_e32 vcc_lo, s3, v3
	s_wait_alu 0xfffd
	v_cndmask_b32_e32 v3, v3, v4, vcc_lo
	v_ashrrev_i32_e32 v2, 31, v2
	s_delay_alu instid0(VALU_DEP_2) | instskip(SKIP_2) | instid1(VALU_DEP_2)
	v_subrev_nc_u32_e32 v4, s3, v3
	v_cmp_le_u32_e32 vcc_lo, s3, v3
	s_wait_alu 0xfffd
	v_cndmask_b32_e32 v3, v3, v4, vcc_lo
	s_delay_alu instid0(VALU_DEP_1) | instskip(NEXT) | instid1(VALU_DEP_1)
	v_xor_b32_e32 v3, v3, v2
	v_sub_nc_u32_e32 v2, v3, v2
	s_delay_alu instid0(VALU_DEP_1)
	v_cmp_eq_u32_e32 vcc_lo, 0, v2
	s_or_b32 s0, vcc_lo, s0
	s_wait_alu 0xfffe
	s_and_saveexec_b32 s11, s0
	s_cbranch_execz .LBB337_41
; %bb.43:                               ;   in Loop: Header=BB337_42 Depth=1
	global_load_b32 v1, v[9:10], off
	v_cmp_eq_u32_e32 vcc_lo, s45, v41
	s_wait_loadcnt 0x0
	v_mad_co_i64_i32 v[13:14], null, v1, s8, v[11:12]
	global_load_b64 v[27:28], v[13:14], off
	ds_load_2addr_b64 v[5:8], v26 offset1:1
	ds_load_2addr_b64 v[1:4], v26 offset0:2 offset1:3
	s_load_b32 s12, s[30:31], 0x0
	s_wait_loadcnt 0x0
	v_and_b32_e32 v32, 0xff, v28
	v_bfe_u32 v30, v27, 8, 8
	v_bfe_u32 v31, v27, 16, 8
	;; [unrolled: 1-line block ×4, first 2 shown]
	v_cvt_f32_fp8_e32 v32, v32
	v_and_b32_e32 v29, 0xff, v27
	v_cvt_f32_fp8_e32 v30, v30
	v_lshrrev_b32_e32 v27, 24, v27
	v_cvt_f32_fp8_e32 v31, v31
	s_wait_kmcnt 0x0
	v_mul_f32_e32 v32, s12, v32
	v_cvt_f32_fp8_e32 v29, v29
	v_add_nc_u32_e32 v56, v25, v40
	v_cvt_f32_fp8_e32 v27, v27
	v_cvt_f32_fp8_e32 v33, v33
	s_delay_alu instid0(VALU_DEP_4) | instskip(NEXT) | instid1(VALU_DEP_4)
	v_dual_mul_f32 v30, s12, v30 :: v_dual_mul_f32 v29, s12, v29
	v_add_nc_u32_e32 v61, 2, v56
	v_dual_mul_f32 v31, s12, v31 :: v_dual_add_nc_u32 v62, 1, v56
	s_delay_alu instid0(VALU_DEP_3) | instskip(NEXT) | instid1(VALU_DEP_4)
	v_bfe_u32 v42, v30, 16, 1
	v_bfe_u32 v35, v29, 16, 1
	v_or_b32_e32 v36, 0x400000, v29
	v_cmp_u_f32_e64 s0, v29, v29
	v_dual_mul_f32 v27, s12, v27 :: v_dual_add_nc_u32 v60, 3, v56
	s_delay_alu instid0(VALU_DEP_4)
	v_add3_u32 v35, v35, v29, 0x7fff
	v_or_b32_e32 v43, 0x400000, v30
	v_bfe_u32 v44, v31, 16, 1
	v_add3_u32 v42, v42, v30, 0x7fff
	v_or_b32_e32 v45, 0x400000, v31
	s_wait_alu 0xf1ff
	v_cndmask_b32_e64 v29, v35, v36, s0
	v_cmp_u_f32_e64 s0, v30, v30
	v_bfe_u32 v46, v27, 16, 1
	v_add3_u32 v44, v44, v31, 0x7fff
	v_dual_mul_f32 v33, s12, v33 :: v_dual_add_nc_u32 v58, 5, v56
	s_wait_alu 0xf1ff
	v_cndmask_b32_e64 v30, v42, v43, s0
	v_cmp_u_f32_e64 s0, v31, v31
	v_lshrrev_b32_e32 v28, 24, v28
	v_cvt_f32_fp8_e32 v34, v34
	v_or_b32_e32 v47, 0x400000, v27
	v_bfe_u32 v48, v32, 16, 1
	v_add3_u32 v46, v46, v27, 0x7fff
	s_wait_alu 0xf1ff
	v_cndmask_b32_e64 v31, v44, v45, s0
	v_cmp_u_f32_e64 s0, v27, v27
	v_dual_mul_f32 v34, s12, v34 :: v_dual_add_nc_u32 v59, 4, v56
	v_cvt_f32_fp8_e32 v28, v28
	v_or_b32_e32 v49, 0x400000, v32
	v_bfe_u32 v50, v33, 16, 1
	v_add3_u32 v48, v48, v32, 0x7fff
	s_wait_alu 0xf1ff
	v_cndmask_b32_e64 v27, v46, v47, s0
	v_cmp_u_f32_e64 s0, v32, v32
	v_mul_f32_e32 v28, s12, v28
	v_or_b32_e32 v51, 0x400000, v33
	v_bfe_u32 v52, v34, 16, 1
	v_add3_u32 v50, v50, v33, 0x7fff
	s_wait_alu 0xf1ff
	v_cndmask_b32_e64 v35, v48, v49, s0
	v_cmp_u_f32_e64 s0, v33, v33
	v_or_b32_e32 v53, 0x400000, v34
	v_bfe_u32 v54, v28, 16, 1
	v_add3_u32 v52, v52, v34, 0x7fff
	v_or_b32_e32 v55, 0x400000, v28
	s_wait_alu 0xf1ff
	v_cndmask_b32_e64 v36, v50, v51, s0
	v_cmp_u_f32_e64 s0, v34, v34
	v_add3_u32 v54, v54, v28, 0x7fff
	v_add_nc_u32_e32 v57, 6, v56
	v_lshrrev_b32_e32 v33, 16, v29
	v_lshrrev_b32_e32 v34, 16, v30
	s_wait_alu 0xf1ff
	v_cndmask_b32_e64 v42, v52, v53, s0
	v_cmp_u_f32_e64 s0, v28, v28
	v_lshrrev_b32_e32 v31, 16, v31
	v_lshrrev_b32_e32 v32, 16, v27
	;; [unrolled: 1-line block ×4, first 2 shown]
	s_wait_alu 0xf1ff
	v_cndmask_b32_e64 v28, v54, v55, s0
	v_lshrrev_b32_e32 v27, 16, v42
	v_add_nc_u32_e32 v63, 7, v56
	s_delay_alu instid0(VALU_DEP_3)
	v_lshrrev_b32_e32 v28, 16, v28
	s_and_saveexec_b32 s13, vcc_lo
	s_cbranch_execz .LBB337_45
; %bb.44:                               ;   in Loop: Header=BB337_42 Depth=1
	v_cmp_gt_i32_e64 s0, s52, v56
	s_wait_alu 0xf1ff
	s_delay_alu instid0(VALU_DEP_1) | instskip(SKIP_2) | instid1(VALU_DEP_1)
	v_cndmask_b32_e64 v33, 0, v33, s0
	v_cmp_gt_i32_e64 s0, s52, v62
	s_wait_alu 0xf1ff
	v_cndmask_b32_e64 v34, 0, v34, s0
	v_cmp_gt_i32_e64 s0, s52, v61
	s_wait_alu 0xf1ff
	s_delay_alu instid0(VALU_DEP_1) | instskip(SKIP_2) | instid1(VALU_DEP_1)
	v_cndmask_b32_e64 v31, 0, v31, s0
	v_cmp_gt_i32_e64 s0, s52, v60
	s_wait_alu 0xf1ff
	v_cndmask_b32_e64 v32, 0, v32, s0
	;; [unrolled: 7-line block ×4, first 2 shown]
.LBB337_45:                             ;   in Loop: Header=BB337_42 Depth=1
	s_wait_alu 0xfffe
	s_or_b32 exec_lo, exec_lo, s13
	global_load_b64 v[35:36], v[13:14], off offset:256
	s_wait_loadcnt 0x0
	v_and_b32_e32 v45, 0xff, v36
	v_bfe_u32 v43, v35, 8, 8
	v_bfe_u32 v44, v35, 16, 8
	;; [unrolled: 1-line block ×4, first 2 shown]
	v_cvt_f32_fp8_e32 v45, v45
	v_and_b32_e32 v42, 0xff, v35
	v_cvt_f32_fp8_e32 v43, v43
	v_lshrrev_b32_e32 v35, 24, v35
	v_cvt_f32_fp8_e32 v44, v44
	v_mul_f32_e32 v45, s12, v45
	v_cvt_f32_fp8_e32 v42, v42
	v_mul_f32_e32 v43, s12, v43
	;; [unrolled: 2-line block ×4, first 2 shown]
	v_bfe_u32 v50, v43, 16, 1
	v_mul_f32_e32 v35, s12, v35
	v_or_b32_e32 v51, 0x400000, v43
	v_bfe_u32 v52, v44, 16, 1
	v_bfe_u32 v48, v42, 16, 1
	v_or_b32_e32 v49, 0x400000, v42
	v_cmp_u_f32_e64 s0, v42, v42
	v_add3_u32 v50, v50, v43, 0x7fff
	v_mul_f32_e32 v46, s12, v46
	v_add3_u32 v48, v48, v42, 0x7fff
	v_or_b32_e32 v53, 0x400000, v44
	v_bfe_u32 v54, v35, 16, 1
	v_add3_u32 v52, v52, v44, 0x7fff
	v_lshrrev_b32_e32 v36, 24, v36
	s_wait_alu 0xf1ff
	v_cndmask_b32_e64 v42, v48, v49, s0
	v_cmp_u_f32_e64 s0, v43, v43
	v_cvt_f32_fp8_e32 v47, v47
	v_or_b32_e32 v55, 0x400000, v35
	v_bfe_u32 v64, v45, 16, 1
	v_add3_u32 v54, v54, v35, 0x7fff
	s_wait_alu 0xf1ff
	v_cndmask_b32_e64 v43, v50, v51, s0
	v_cmp_u_f32_e64 s0, v44, v44
	v_cvt_f32_fp8_e32 v36, v36
	v_mul_f32_e32 v47, s12, v47
	v_or_b32_e32 v65, 0x400000, v45
	v_bfe_u32 v66, v46, 16, 1
	s_wait_alu 0xf1ff
	v_cndmask_b32_e64 v44, v52, v53, s0
	v_cmp_u_f32_e64 s0, v35, v35
	v_add3_u32 v64, v64, v45, 0x7fff
	v_mul_f32_e32 v36, s12, v36
	v_or_b32_e32 v67, 0x400000, v46
	v_bfe_u32 v68, v47, 16, 1
	s_wait_alu 0xf1ff
	v_cndmask_b32_e64 v35, v54, v55, s0
	v_cmp_u_f32_e64 s0, v45, v45
	v_add3_u32 v66, v66, v46, 0x7fff
	v_or_b32_e32 v69, 0x400000, v47
	v_bfe_u32 v70, v36, 16, 1
	v_add3_u32 v68, v68, v47, 0x7fff
	s_wait_alu 0xf1ff
	v_cndmask_b32_e64 v48, v64, v65, s0
	v_cmp_u_f32_e64 s0, v46, v46
	v_or_b32_e32 v71, 0x400000, v36
	v_add3_u32 v70, v70, v36, 0x7fff
	v_lshrrev_b32_e32 v46, 16, v42
	v_lshrrev_b32_e32 v44, 16, v44
	s_wait_alu 0xf1ff
	v_cndmask_b32_e64 v49, v66, v67, s0
	v_cmp_u_f32_e64 s0, v47, v47
	v_lshrrev_b32_e32 v47, 16, v43
	v_lshrrev_b32_e32 v45, 16, v35
	;; [unrolled: 1-line block ×4, first 2 shown]
	s_wait_alu 0xf1ff
	v_cndmask_b32_e64 v50, v68, v69, s0
	v_cmp_u_f32_e64 s0, v36, v36
	s_delay_alu instid0(VALU_DEP_2) | instskip(SKIP_1) | instid1(VALU_DEP_2)
	v_lshrrev_b32_e32 v35, 16, v50
	s_wait_alu 0xf1ff
	v_cndmask_b32_e64 v36, v70, v71, s0
	s_delay_alu instid0(VALU_DEP_1)
	v_lshrrev_b32_e32 v36, 16, v36
	s_and_saveexec_b32 s13, vcc_lo
	s_cbranch_execz .LBB337_47
; %bb.46:                               ;   in Loop: Header=BB337_42 Depth=1
	v_cmp_gt_i32_e64 s0, s52, v56
	s_wait_alu 0xf1ff
	s_delay_alu instid0(VALU_DEP_1) | instskip(SKIP_2) | instid1(VALU_DEP_1)
	v_cndmask_b32_e64 v46, 0, v46, s0
	v_cmp_gt_i32_e64 s0, s52, v62
	s_wait_alu 0xf1ff
	v_cndmask_b32_e64 v47, 0, v47, s0
	v_cmp_gt_i32_e64 s0, s52, v61
	s_wait_alu 0xf1ff
	s_delay_alu instid0(VALU_DEP_1) | instskip(SKIP_2) | instid1(VALU_DEP_1)
	v_cndmask_b32_e64 v44, 0, v44, s0
	v_cmp_gt_i32_e64 s0, s52, v60
	s_wait_alu 0xf1ff
	v_cndmask_b32_e64 v45, 0, v45, s0
	;; [unrolled: 7-line block ×4, first 2 shown]
.LBB337_47:                             ;   in Loop: Header=BB337_42 Depth=1
	s_wait_alu 0xfffe
	s_or_b32 exec_lo, exec_lo, s13
	global_load_b64 v[48:49], v[13:14], off offset:512
	s_wait_loadcnt 0x0
	v_bfe_u32 v51, v48, 8, 8
	v_bfe_u32 v52, v48, 16, 8
	;; [unrolled: 1-line block ×4, first 2 shown]
	s_delay_alu instid0(VALU_DEP_4)
	v_cvt_f32_fp8_e32 v51, v51
	v_and_b32_e32 v50, 0xff, v48
	v_lshrrev_b32_e32 v48, 24, v48
	v_cvt_f32_fp8_e32 v52, v52
	v_cvt_f32_fp8_e32 v55, v55
	v_mul_f32_e32 v51, s12, v51
	v_cvt_f32_fp8_e32 v50, v50
	v_and_b32_e32 v53, 0xff, v49
	v_cvt_f32_fp8_e32 v48, v48
	v_lshrrev_b32_e32 v49, 24, v49
	v_bfe_u32 v66, v51, 16, 1
	v_mul_f32_e32 v50, s12, v50
	v_cvt_f32_fp8_e32 v53, v53
	v_mul_f32_e32 v52, s12, v52
	v_dual_mul_f32 v48, s12, v48 :: v_dual_mul_f32 v55, s12, v55
	s_delay_alu instid0(VALU_DEP_4)
	v_bfe_u32 v64, v50, 16, 1
	v_or_b32_e32 v65, 0x400000, v50
	v_cmp_u_f32_e64 s0, v50, v50
	v_mul_f32_e32 v53, s12, v53
	v_or_b32_e32 v67, 0x400000, v51
	v_add3_u32 v64, v64, v50, 0x7fff
	v_bfe_u32 v68, v52, 16, 1
	v_add3_u32 v66, v66, v51, 0x7fff
	v_cvt_f32_fp8_e32 v54, v54
	v_or_b32_e32 v69, 0x400000, v52
	s_wait_alu 0xf1ff
	v_cndmask_b32_e64 v50, v64, v65, s0
	v_cmp_u_f32_e64 s0, v51, v51
	v_bfe_u32 v70, v48, 16, 1
	v_add3_u32 v68, v68, v52, 0x7fff
	v_cvt_f32_fp8_e32 v49, v49
	v_mul_f32_e32 v54, s12, v54
	s_wait_alu 0xf1ff
	v_cndmask_b32_e64 v51, v66, v67, s0
	v_cmp_u_f32_e64 s0, v52, v52
	v_or_b32_e32 v71, 0x400000, v48
	v_bfe_u32 v72, v53, 16, 1
	v_add3_u32 v70, v70, v48, 0x7fff
	v_mul_f32_e32 v49, s12, v49
	s_wait_alu 0xf1ff
	v_cndmask_b32_e64 v52, v68, v69, s0
	v_cmp_u_f32_e64 s0, v48, v48
	v_or_b32_e32 v73, 0x400000, v53
	v_bfe_u32 v74, v54, 16, 1
	v_add3_u32 v72, v72, v53, 0x7fff
	v_or_b32_e32 v75, 0x400000, v54
	s_wait_alu 0xf1ff
	v_cndmask_b32_e64 v48, v70, v71, s0
	v_cmp_u_f32_e64 s0, v53, v53
	v_bfe_u32 v76, v55, 16, 1
	v_add3_u32 v74, v74, v54, 0x7fff
	v_or_b32_e32 v77, 0x400000, v55
	v_bfe_u32 v78, v49, 16, 1
	s_wait_alu 0xf1ff
	v_cndmask_b32_e64 v64, v72, v73, s0
	v_cmp_u_f32_e64 s0, v54, v54
	v_add3_u32 v76, v76, v55, 0x7fff
	v_or_b32_e32 v79, 0x400000, v49
	v_add3_u32 v78, v78, v49, 0x7fff
	v_lshrrev_b32_e32 v54, 16, v50
	s_wait_alu 0xf1ff
	v_cndmask_b32_e64 v65, v74, v75, s0
	v_cmp_u_f32_e64 s0, v55, v55
	v_lshrrev_b32_e32 v55, 16, v51
	v_lshrrev_b32_e32 v52, 16, v52
	v_lshrrev_b32_e32 v53, 16, v48
	v_lshrrev_b32_e32 v50, 16, v64
	s_wait_alu 0xf1ff
	v_cndmask_b32_e64 v66, v76, v77, s0
	v_cmp_u_f32_e64 s0, v49, v49
	v_lshrrev_b32_e32 v51, 16, v65
	s_delay_alu instid0(VALU_DEP_3) | instskip(SKIP_1) | instid1(VALU_DEP_3)
	v_lshrrev_b32_e32 v48, 16, v66
	s_wait_alu 0xf1ff
	v_cndmask_b32_e64 v49, v78, v79, s0
	s_delay_alu instid0(VALU_DEP_1)
	v_lshrrev_b32_e32 v49, 16, v49
	s_and_saveexec_b32 s13, vcc_lo
	s_cbranch_execz .LBB337_49
; %bb.48:                               ;   in Loop: Header=BB337_42 Depth=1
	v_cmp_gt_i32_e64 s0, s52, v56
	s_wait_alu 0xf1ff
	s_delay_alu instid0(VALU_DEP_1) | instskip(SKIP_2) | instid1(VALU_DEP_1)
	v_cndmask_b32_e64 v54, 0, v54, s0
	v_cmp_gt_i32_e64 s0, s52, v62
	s_wait_alu 0xf1ff
	v_cndmask_b32_e64 v55, 0, v55, s0
	v_cmp_gt_i32_e64 s0, s52, v61
	s_wait_alu 0xf1ff
	s_delay_alu instid0(VALU_DEP_1) | instskip(SKIP_2) | instid1(VALU_DEP_1)
	v_cndmask_b32_e64 v52, 0, v52, s0
	v_cmp_gt_i32_e64 s0, s52, v60
	s_wait_alu 0xf1ff
	v_cndmask_b32_e64 v53, 0, v53, s0
	;; [unrolled: 7-line block ×4, first 2 shown]
.LBB337_49:                             ;   in Loop: Header=BB337_42 Depth=1
	s_wait_alu 0xfffe
	s_or_b32 exec_lo, exec_lo, s13
	global_load_b64 v[64:65], v[13:14], off offset:768
	s_wait_loadcnt 0x0
	v_bfe_u32 v67, v64, 8, 8
	v_bfe_u32 v68, v64, 16, 8
	;; [unrolled: 1-line block ×4, first 2 shown]
	s_delay_alu instid0(VALU_DEP_4)
	v_cvt_f32_fp8_e32 v67, v67
	v_and_b32_e32 v66, 0xff, v64
	v_lshrrev_b32_e32 v64, 24, v64
	v_cvt_f32_fp8_e32 v68, v68
	v_cvt_f32_fp8_e32 v71, v71
	v_mul_f32_e32 v67, s12, v67
	v_cvt_f32_fp8_e32 v66, v66
	v_and_b32_e32 v69, 0xff, v65
	v_cvt_f32_fp8_e32 v64, v64
	v_lshrrev_b32_e32 v65, 24, v65
	v_bfe_u32 v74, v67, 16, 1
	v_mul_f32_e32 v66, s12, v66
	v_cvt_f32_fp8_e32 v69, v69
	v_mul_f32_e32 v68, s12, v68
	v_dual_mul_f32 v64, s12, v64 :: v_dual_mul_f32 v71, s12, v71
	s_delay_alu instid0(VALU_DEP_4)
	v_bfe_u32 v72, v66, 16, 1
	v_or_b32_e32 v73, 0x400000, v66
	v_cmp_u_f32_e64 s0, v66, v66
	v_mul_f32_e32 v69, s12, v69
	v_or_b32_e32 v75, 0x400000, v67
	v_add3_u32 v72, v72, v66, 0x7fff
	v_bfe_u32 v76, v68, 16, 1
	v_add3_u32 v74, v74, v67, 0x7fff
	v_cvt_f32_fp8_e32 v70, v70
	v_or_b32_e32 v77, 0x400000, v68
	s_wait_alu 0xf1ff
	v_cndmask_b32_e64 v66, v72, v73, s0
	v_cmp_u_f32_e64 s0, v67, v67
	v_bfe_u32 v78, v64, 16, 1
	v_add3_u32 v76, v76, v68, 0x7fff
	v_cvt_f32_fp8_e32 v65, v65
	v_mul_f32_e32 v70, s12, v70
	s_wait_alu 0xf1ff
	v_cndmask_b32_e64 v67, v74, v75, s0
	v_cmp_u_f32_e64 s0, v68, v68
	v_or_b32_e32 v79, 0x400000, v64
	v_bfe_u32 v80, v69, 16, 1
	v_add3_u32 v78, v78, v64, 0x7fff
	v_mul_f32_e32 v65, s12, v65
	s_wait_alu 0xf1ff
	v_cndmask_b32_e64 v68, v76, v77, s0
	v_cmp_u_f32_e64 s0, v64, v64
	v_or_b32_e32 v81, 0x400000, v69
	v_bfe_u32 v82, v70, 16, 1
	v_add3_u32 v80, v80, v69, 0x7fff
	v_or_b32_e32 v83, 0x400000, v70
	s_wait_alu 0xf1ff
	v_cndmask_b32_e64 v64, v78, v79, s0
	v_cmp_u_f32_e64 s0, v69, v69
	v_bfe_u32 v84, v71, 16, 1
	v_add3_u32 v82, v82, v70, 0x7fff
	v_or_b32_e32 v85, 0x400000, v71
	v_bfe_u32 v86, v65, 16, 1
	s_wait_alu 0xf1ff
	v_cndmask_b32_e64 v72, v80, v81, s0
	v_cmp_u_f32_e64 s0, v70, v70
	v_add3_u32 v84, v84, v71, 0x7fff
	v_or_b32_e32 v87, 0x400000, v65
	v_add3_u32 v86, v86, v65, 0x7fff
	v_lshrrev_b32_e32 v70, 16, v66
	s_wait_alu 0xf1ff
	v_cndmask_b32_e64 v73, v82, v83, s0
	v_cmp_u_f32_e64 s0, v71, v71
	v_lshrrev_b32_e32 v71, 16, v67
	v_lshrrev_b32_e32 v68, 16, v68
	;; [unrolled: 1-line block ×4, first 2 shown]
	s_wait_alu 0xf1ff
	v_cndmask_b32_e64 v74, v84, v85, s0
	v_cmp_u_f32_e64 s0, v65, v65
	v_lshrrev_b32_e32 v67, 16, v73
	s_delay_alu instid0(VALU_DEP_3) | instskip(SKIP_1) | instid1(VALU_DEP_3)
	v_lshrrev_b32_e32 v64, 16, v74
	s_wait_alu 0xf1ff
	v_cndmask_b32_e64 v65, v86, v87, s0
	s_delay_alu instid0(VALU_DEP_1)
	v_lshrrev_b32_e32 v65, 16, v65
	s_and_saveexec_b32 s13, vcc_lo
	s_cbranch_execz .LBB337_51
; %bb.50:                               ;   in Loop: Header=BB337_42 Depth=1
	v_cmp_gt_i32_e64 s0, s52, v56
	s_wait_alu 0xf1ff
	s_delay_alu instid0(VALU_DEP_1) | instskip(SKIP_2) | instid1(VALU_DEP_1)
	v_cndmask_b32_e64 v70, 0, v70, s0
	v_cmp_gt_i32_e64 s0, s52, v62
	s_wait_alu 0xf1ff
	v_cndmask_b32_e64 v71, 0, v71, s0
	v_cmp_gt_i32_e64 s0, s52, v61
	s_wait_alu 0xf1ff
	s_delay_alu instid0(VALU_DEP_1) | instskip(SKIP_2) | instid1(VALU_DEP_1)
	v_cndmask_b32_e64 v68, 0, v68, s0
	v_cmp_gt_i32_e64 s0, s52, v60
	s_wait_alu 0xf1ff
	v_cndmask_b32_e64 v69, 0, v69, s0
	;; [unrolled: 7-line block ×4, first 2 shown]
.LBB337_51:                             ;   in Loop: Header=BB337_42 Depth=1
	s_wait_alu 0xfffe
	s_or_b32 exec_lo, exec_lo, s13
	global_load_b64 v[72:73], v[13:14], off offset:1024
	s_wait_loadcnt 0x0
	v_bfe_u32 v75, v72, 8, 8
	v_bfe_u32 v76, v72, 16, 8
	;; [unrolled: 1-line block ×4, first 2 shown]
	s_delay_alu instid0(VALU_DEP_4)
	v_cvt_f32_fp8_e32 v75, v75
	v_and_b32_e32 v74, 0xff, v72
	v_lshrrev_b32_e32 v72, 24, v72
	v_cvt_f32_fp8_e32 v76, v76
	v_cvt_f32_fp8_e32 v79, v79
	v_mul_f32_e32 v75, s12, v75
	v_cvt_f32_fp8_e32 v74, v74
	v_and_b32_e32 v77, 0xff, v73
	v_cvt_f32_fp8_e32 v72, v72
	v_lshrrev_b32_e32 v73, 24, v73
	v_bfe_u32 v82, v75, 16, 1
	v_mul_f32_e32 v74, s12, v74
	v_cvt_f32_fp8_e32 v77, v77
	v_mul_f32_e32 v76, s12, v76
	v_dual_mul_f32 v72, s12, v72 :: v_dual_mul_f32 v79, s12, v79
	s_delay_alu instid0(VALU_DEP_4)
	v_bfe_u32 v80, v74, 16, 1
	v_or_b32_e32 v81, 0x400000, v74
	v_cmp_u_f32_e64 s0, v74, v74
	v_mul_f32_e32 v77, s12, v77
	v_or_b32_e32 v83, 0x400000, v75
	v_add3_u32 v80, v80, v74, 0x7fff
	v_bfe_u32 v84, v76, 16, 1
	v_add3_u32 v82, v82, v75, 0x7fff
	v_cvt_f32_fp8_e32 v78, v78
	v_or_b32_e32 v85, 0x400000, v76
	s_wait_alu 0xf1ff
	v_cndmask_b32_e64 v74, v80, v81, s0
	v_cmp_u_f32_e64 s0, v75, v75
	v_bfe_u32 v86, v72, 16, 1
	v_add3_u32 v84, v84, v76, 0x7fff
	v_cvt_f32_fp8_e32 v73, v73
	v_mul_f32_e32 v78, s12, v78
	s_wait_alu 0xf1ff
	v_cndmask_b32_e64 v75, v82, v83, s0
	v_cmp_u_f32_e64 s0, v76, v76
	v_or_b32_e32 v87, 0x400000, v72
	v_bfe_u32 v88, v77, 16, 1
	v_add3_u32 v86, v86, v72, 0x7fff
	v_mul_f32_e32 v73, s12, v73
	s_wait_alu 0xf1ff
	v_cndmask_b32_e64 v76, v84, v85, s0
	v_cmp_u_f32_e64 s0, v72, v72
	v_or_b32_e32 v89, 0x400000, v77
	v_bfe_u32 v90, v78, 16, 1
	v_add3_u32 v88, v88, v77, 0x7fff
	v_or_b32_e32 v91, 0x400000, v78
	s_wait_alu 0xf1ff
	v_cndmask_b32_e64 v72, v86, v87, s0
	v_cmp_u_f32_e64 s0, v77, v77
	v_bfe_u32 v92, v79, 16, 1
	v_add3_u32 v90, v90, v78, 0x7fff
	v_or_b32_e32 v93, 0x400000, v79
	v_bfe_u32 v94, v73, 16, 1
	s_wait_alu 0xf1ff
	v_cndmask_b32_e64 v77, v88, v89, s0
	v_cmp_u_f32_e64 s0, v78, v78
	v_add3_u32 v92, v92, v79, 0x7fff
	v_or_b32_e32 v95, 0x400000, v73
	v_add3_u32 v94, v94, v73, 0x7fff
	v_lshrrev_b32_e32 v84, 16, v74
	s_wait_alu 0xf1ff
	v_cndmask_b32_e64 v80, v90, v91, s0
	v_cmp_u_f32_e64 s0, v79, v79
	v_lshrrev_b32_e32 v85, 16, v75
	v_lshrrev_b32_e32 v82, 16, v76
	;; [unrolled: 1-line block ×4, first 2 shown]
	s_wait_alu 0xf1ff
	v_cndmask_b32_e64 v79, v92, v93, s0
	v_cmp_u_f32_e64 s0, v73, v73
	v_lshrrev_b32_e32 v80, 16, v80
	s_delay_alu instid0(VALU_DEP_3) | instskip(SKIP_1) | instid1(VALU_DEP_3)
	v_lshrrev_b32_e32 v74, 16, v79
	s_wait_alu 0xf1ff
	v_cndmask_b32_e64 v73, v94, v95, s0
	s_delay_alu instid0(VALU_DEP_1)
	v_lshrrev_b32_e32 v76, 16, v73
	s_and_saveexec_b32 s13, vcc_lo
	s_cbranch_execz .LBB337_53
; %bb.52:                               ;   in Loop: Header=BB337_42 Depth=1
	v_cmp_gt_i32_e64 s0, s52, v56
	s_wait_alu 0xf1ff
	s_delay_alu instid0(VALU_DEP_1) | instskip(SKIP_2) | instid1(VALU_DEP_1)
	v_cndmask_b32_e64 v84, 0, v84, s0
	v_cmp_gt_i32_e64 s0, s52, v62
	s_wait_alu 0xf1ff
	v_cndmask_b32_e64 v85, 0, v85, s0
	v_cmp_gt_i32_e64 s0, s52, v61
	s_wait_alu 0xf1ff
	s_delay_alu instid0(VALU_DEP_1) | instskip(SKIP_2) | instid1(VALU_DEP_1)
	v_cndmask_b32_e64 v82, 0, v82, s0
	v_cmp_gt_i32_e64 s0, s52, v60
	s_wait_alu 0xf1ff
	v_cndmask_b32_e64 v83, 0, v83, s0
	;; [unrolled: 7-line block ×4, first 2 shown]
.LBB337_53:                             ;   in Loop: Header=BB337_42 Depth=1
	s_wait_alu 0xfffe
	s_or_b32 exec_lo, exec_lo, s13
	global_load_b64 v[72:73], v[13:14], off offset:1280
	s_wait_loadcnt 0x0
	v_bfe_u32 v86, v73, 8, 8
	v_bfe_u32 v77, v72, 8, 8
	;; [unrolled: 1-line block ×4, first 2 shown]
	s_delay_alu instid0(VALU_DEP_4)
	v_cvt_f32_fp8_e32 v86, v86
	v_and_b32_e32 v75, 0xff, v72
	v_cvt_f32_fp8_e32 v77, v77
	v_lshrrev_b32_e32 v72, 24, v72
	v_cvt_f32_fp8_e32 v79, v79
	v_mul_f32_e32 v86, s12, v86
	v_cvt_f32_fp8_e32 v75, v75
	v_mul_f32_e32 v77, s12, v77
	v_cvt_f32_fp8_e32 v72, v72
	v_and_b32_e32 v81, 0xff, v73
	v_mul_f32_e32 v79, s12, v79
	v_mul_f32_e32 v75, s12, v75
	v_bfe_u32 v90, v77, 16, 1
	v_mul_f32_e32 v72, s12, v72
	v_cvt_f32_fp8_e32 v81, v81
	v_or_b32_e32 v91, 0x400000, v77
	v_bfe_u32 v88, v75, 16, 1
	v_or_b32_e32 v89, 0x400000, v75
	v_cmp_u_f32_e64 s0, v75, v75
	v_bfe_u32 v92, v79, 16, 1
	v_add3_u32 v90, v90, v77, 0x7fff
	v_add3_u32 v88, v88, v75, 0x7fff
	v_mul_f32_e32 v81, s12, v81
	v_or_b32_e32 v93, 0x400000, v79
	v_bfe_u32 v94, v72, 16, 1
	v_add3_u32 v92, v92, v79, 0x7fff
	s_wait_alu 0xf1ff
	v_cndmask_b32_e64 v75, v88, v89, s0
	v_cmp_u_f32_e64 s0, v77, v77
	v_lshrrev_b32_e32 v73, 24, v73
	v_cvt_f32_fp8_e32 v87, v87
	v_or_b32_e32 v95, 0x400000, v72
	v_bfe_u32 v96, v81, 16, 1
	s_wait_alu 0xf1ff
	v_cndmask_b32_e64 v77, v90, v91, s0
	v_cmp_u_f32_e64 s0, v79, v79
	v_add3_u32 v94, v94, v72, 0x7fff
	v_cvt_f32_fp8_e32 v73, v73
	v_mul_f32_e32 v87, s12, v87
	v_or_b32_e32 v97, 0x400000, v81
	s_wait_alu 0xf1ff
	v_cndmask_b32_e64 v79, v92, v93, s0
	v_cmp_u_f32_e64 s0, v72, v72
	v_bfe_u32 v98, v86, 16, 1
	v_add3_u32 v96, v96, v81, 0x7fff
	v_mul_f32_e32 v73, s12, v73
	v_or_b32_e32 v99, 0x400000, v86
	s_wait_alu 0xf1ff
	v_cndmask_b32_e64 v72, v94, v95, s0
	v_cmp_u_f32_e64 s0, v81, v81
	v_bfe_u32 v100, v87, 16, 1
	v_add3_u32 v98, v98, v86, 0x7fff
	v_or_b32_e32 v101, 0x400000, v87
	v_bfe_u32 v102, v73, 16, 1
	s_wait_alu 0xf1ff
	v_cndmask_b32_e64 v81, v96, v97, s0
	v_cmp_u_f32_e64 s0, v86, v86
	v_add3_u32 v100, v100, v87, 0x7fff
	v_or_b32_e32 v103, 0x400000, v73
	v_add3_u32 v102, v102, v73, 0x7fff
	v_lshrrev_b32_e32 v92, 16, v75
	s_wait_alu 0xf1ff
	v_cndmask_b32_e64 v86, v98, v99, s0
	v_cmp_u_f32_e64 s0, v87, v87
	v_lshrrev_b32_e32 v93, 16, v77
	v_lshrrev_b32_e32 v90, 16, v79
	;; [unrolled: 1-line block ×4, first 2 shown]
	s_wait_alu 0xf1ff
	v_cndmask_b32_e64 v87, v100, v101, s0
	v_cmp_u_f32_e64 s0, v73, v73
	v_lshrrev_b32_e32 v89, 16, v86
	s_delay_alu instid0(VALU_DEP_3) | instskip(SKIP_1) | instid1(VALU_DEP_3)
	v_lshrrev_b32_e32 v86, 16, v87
	s_wait_alu 0xf1ff
	v_cndmask_b32_e64 v73, v102, v103, s0
	s_delay_alu instid0(VALU_DEP_1)
	v_lshrrev_b32_e32 v87, 16, v73
	s_and_saveexec_b32 s13, vcc_lo
	s_cbranch_execz .LBB337_55
; %bb.54:                               ;   in Loop: Header=BB337_42 Depth=1
	v_cmp_gt_i32_e64 s0, s52, v56
	s_wait_alu 0xf1ff
	s_delay_alu instid0(VALU_DEP_1) | instskip(SKIP_2) | instid1(VALU_DEP_1)
	v_cndmask_b32_e64 v92, 0, v92, s0
	v_cmp_gt_i32_e64 s0, s52, v62
	s_wait_alu 0xf1ff
	v_cndmask_b32_e64 v93, 0, v93, s0
	v_cmp_gt_i32_e64 s0, s52, v61
	s_wait_alu 0xf1ff
	s_delay_alu instid0(VALU_DEP_1) | instskip(SKIP_2) | instid1(VALU_DEP_1)
	v_cndmask_b32_e64 v90, 0, v90, s0
	v_cmp_gt_i32_e64 s0, s52, v60
	s_wait_alu 0xf1ff
	v_cndmask_b32_e64 v91, 0, v91, s0
	;; [unrolled: 7-line block ×4, first 2 shown]
.LBB337_55:                             ;   in Loop: Header=BB337_42 Depth=1
	s_wait_alu 0xfffe
	s_or_b32 exec_lo, exec_lo, s13
	global_load_b64 v[72:73], v[13:14], off offset:1536
	s_wait_loadcnt 0x0
	v_bfe_u32 v94, v73, 8, 8
	v_bfe_u32 v77, v72, 8, 8
	;; [unrolled: 1-line block ×4, first 2 shown]
	s_delay_alu instid0(VALU_DEP_4)
	v_cvt_f32_fp8_e32 v94, v94
	v_and_b32_e32 v75, 0xff, v72
	v_cvt_f32_fp8_e32 v77, v77
	v_lshrrev_b32_e32 v72, 24, v72
	v_cvt_f32_fp8_e32 v79, v79
	v_mul_f32_e32 v94, s12, v94
	v_cvt_f32_fp8_e32 v75, v75
	v_mul_f32_e32 v77, s12, v77
	v_cvt_f32_fp8_e32 v72, v72
	v_and_b32_e32 v81, 0xff, v73
	v_mul_f32_e32 v79, s12, v79
	v_mul_f32_e32 v75, s12, v75
	v_bfe_u32 v98, v77, 16, 1
	v_mul_f32_e32 v72, s12, v72
	v_cvt_f32_fp8_e32 v81, v81
	v_or_b32_e32 v99, 0x400000, v77
	v_bfe_u32 v96, v75, 16, 1
	v_or_b32_e32 v97, 0x400000, v75
	v_cmp_u_f32_e64 s0, v75, v75
	v_bfe_u32 v100, v79, 16, 1
	v_add3_u32 v98, v98, v77, 0x7fff
	v_add3_u32 v96, v96, v75, 0x7fff
	v_mul_f32_e32 v81, s12, v81
	v_or_b32_e32 v101, 0x400000, v79
	v_bfe_u32 v102, v72, 16, 1
	v_add3_u32 v100, v100, v79, 0x7fff
	s_wait_alu 0xf1ff
	v_cndmask_b32_e64 v75, v96, v97, s0
	v_cmp_u_f32_e64 s0, v77, v77
	v_lshrrev_b32_e32 v73, 24, v73
	v_cvt_f32_fp8_e32 v95, v95
	v_or_b32_e32 v103, 0x400000, v72
	v_bfe_u32 v104, v81, 16, 1
	s_wait_alu 0xf1ff
	v_cndmask_b32_e64 v77, v98, v99, s0
	v_cmp_u_f32_e64 s0, v79, v79
	v_add3_u32 v102, v102, v72, 0x7fff
	v_cvt_f32_fp8_e32 v73, v73
	v_mul_f32_e32 v95, s12, v95
	v_or_b32_e32 v105, 0x400000, v81
	s_wait_alu 0xf1ff
	v_cndmask_b32_e64 v79, v100, v101, s0
	v_cmp_u_f32_e64 s0, v72, v72
	v_bfe_u32 v106, v94, 16, 1
	v_add3_u32 v104, v104, v81, 0x7fff
	v_mul_f32_e32 v73, s12, v73
	v_or_b32_e32 v107, 0x400000, v94
	s_wait_alu 0xf1ff
	v_cndmask_b32_e64 v72, v102, v103, s0
	v_cmp_u_f32_e64 s0, v81, v81
	v_bfe_u32 v108, v95, 16, 1
	v_add3_u32 v106, v106, v94, 0x7fff
	v_or_b32_e32 v109, 0x400000, v95
	v_bfe_u32 v110, v73, 16, 1
	s_wait_alu 0xf1ff
	v_cndmask_b32_e64 v81, v104, v105, s0
	v_cmp_u_f32_e64 s0, v94, v94
	v_add3_u32 v108, v108, v95, 0x7fff
	v_or_b32_e32 v111, 0x400000, v73
	v_add3_u32 v110, v110, v73, 0x7fff
	v_lshrrev_b32_e32 v100, 16, v75
	s_wait_alu 0xf1ff
	v_cndmask_b32_e64 v94, v106, v107, s0
	v_cmp_u_f32_e64 s0, v95, v95
	v_lshrrev_b32_e32 v101, 16, v77
	v_lshrrev_b32_e32 v98, 16, v79
	;; [unrolled: 1-line block ×4, first 2 shown]
	s_wait_alu 0xf1ff
	v_cndmask_b32_e64 v95, v108, v109, s0
	v_cmp_u_f32_e64 s0, v73, v73
	v_lshrrev_b32_e32 v97, 16, v94
	s_delay_alu instid0(VALU_DEP_3) | instskip(SKIP_1) | instid1(VALU_DEP_3)
	v_lshrrev_b32_e32 v94, 16, v95
	s_wait_alu 0xf1ff
	v_cndmask_b32_e64 v73, v110, v111, s0
	s_delay_alu instid0(VALU_DEP_1)
	v_lshrrev_b32_e32 v95, 16, v73
	s_and_saveexec_b32 s13, vcc_lo
	s_cbranch_execz .LBB337_57
; %bb.56:                               ;   in Loop: Header=BB337_42 Depth=1
	v_cmp_gt_i32_e64 s0, s52, v56
	s_wait_alu 0xf1ff
	s_delay_alu instid0(VALU_DEP_1) | instskip(SKIP_2) | instid1(VALU_DEP_1)
	v_cndmask_b32_e64 v100, 0, v100, s0
	v_cmp_gt_i32_e64 s0, s52, v62
	s_wait_alu 0xf1ff
	v_cndmask_b32_e64 v101, 0, v101, s0
	v_cmp_gt_i32_e64 s0, s52, v61
	s_wait_alu 0xf1ff
	s_delay_alu instid0(VALU_DEP_1) | instskip(SKIP_2) | instid1(VALU_DEP_1)
	v_cndmask_b32_e64 v98, 0, v98, s0
	v_cmp_gt_i32_e64 s0, s52, v60
	s_wait_alu 0xf1ff
	v_cndmask_b32_e64 v99, 0, v99, s0
	v_cmp_gt_i32_e64 s0, s52, v59
	s_wait_alu 0xf1ff
	s_delay_alu instid0(VALU_DEP_1) | instskip(SKIP_2) | instid1(VALU_DEP_1)
	v_cndmask_b32_e64 v96, 0, v96, s0
	v_cmp_gt_i32_e64 s0, s52, v58
	s_wait_alu 0xf1ff
	v_cndmask_b32_e64 v97, 0, v97, s0
	v_cmp_gt_i32_e64 s0, s52, v57
	s_wait_alu 0xf1ff
	s_delay_alu instid0(VALU_DEP_1) | instskip(SKIP_2) | instid1(VALU_DEP_1)
	v_cndmask_b32_e64 v94, 0, v94, s0
	v_cmp_gt_i32_e64 s0, s52, v63
	s_wait_alu 0xf1ff
	v_cndmask_b32_e64 v95, 0, v95, s0
.LBB337_57:                             ;   in Loop: Header=BB337_42 Depth=1
	s_wait_alu 0xfffe
	s_or_b32 exec_lo, exec_lo, s13
	global_load_b64 v[13:14], v[13:14], off offset:1792
	s_wait_loadcnt 0x0
	v_bfe_u32 v75, v13, 16, 8
	v_bfe_u32 v73, v13, 8, 8
	;; [unrolled: 1-line block ×4, first 2 shown]
	s_delay_alu instid0(VALU_DEP_4)
	v_cvt_f32_fp8_e32 v75, v75
	v_and_b32_e32 v72, 0xff, v13
	v_cvt_f32_fp8_e32 v73, v73
	v_lshrrev_b32_e32 v13, 24, v13
	v_cvt_f32_fp8_e32 v79, v79
	v_mul_f32_e32 v75, s12, v75
	v_cvt_f32_fp8_e32 v72, v72
	v_and_b32_e32 v77, 0xff, v14
	v_lshrrev_b32_e32 v14, 24, v14
	v_cvt_f32_fp8_e32 v13, v13
	v_bfe_u32 v106, v75, 16, 1
	v_mul_f32_e32 v72, s12, v72
	v_cvt_f32_fp8_e32 v77, v77
	v_cvt_f32_fp8_e32 v14, v14
	v_mul_f32_e32 v73, s12, v73
	v_mul_f32_e32 v13, s12, v13
	v_bfe_u32 v102, v72, 16, 1
	v_or_b32_e32 v103, 0x400000, v72
	v_mul_f32_e32 v14, s12, v14
	v_bfe_u32 v104, v73, 16, 1
	v_cmp_u_f32_e64 s0, v72, v72
	v_add3_u32 v102, v102, v72, 0x7fff
	v_or_b32_e32 v105, 0x400000, v73
	v_mul_f32_e32 v77, s12, v77
	v_add3_u32 v104, v104, v73, 0x7fff
	v_or_b32_e32 v107, 0x400000, v75
	s_wait_alu 0xf1ff
	v_cndmask_b32_e64 v72, v102, v103, s0
	v_cmp_u_f32_e64 s0, v73, v73
	v_bfe_u32 v108, v13, 16, 1
	v_add3_u32 v106, v106, v75, 0x7fff
	v_cvt_f32_fp8_e32 v81, v81
	v_mul_f32_e32 v79, s12, v79
	s_wait_alu 0xf1ff
	v_cndmask_b32_e64 v73, v104, v105, s0
	v_cmp_u_f32_e64 s0, v75, v75
	v_or_b32_e32 v109, 0x400000, v13
	v_bfe_u32 v110, v77, 16, 1
	v_add3_u32 v108, v108, v13, 0x7fff
	v_mul_f32_e32 v81, s12, v81
	s_wait_alu 0xf1ff
	v_cndmask_b32_e64 v75, v106, v107, s0
	v_cmp_u_f32_e64 s0, v13, v13
	v_or_b32_e32 v111, 0x400000, v77
	v_bfe_u32 v112, v79, 16, 1
	v_add3_u32 v110, v110, v77, 0x7fff
	v_or_b32_e32 v113, 0x400000, v79
	s_wait_alu 0xf1ff
	v_cndmask_b32_e64 v13, v108, v109, s0
	v_cmp_u_f32_e64 s0, v77, v77
	v_bfe_u32 v114, v81, 16, 1
	v_add3_u32 v112, v112, v79, 0x7fff
	v_or_b32_e32 v115, 0x400000, v81
	v_bfe_u32 v116, v14, 16, 1
	s_wait_alu 0xf1ff
	v_cndmask_b32_e64 v102, v110, v111, s0
	v_cmp_u_f32_e64 s0, v79, v79
	v_add3_u32 v114, v114, v81, 0x7fff
	v_or_b32_e32 v117, 0x400000, v14
	v_add3_u32 v116, v116, v14, 0x7fff
	v_lshrrev_b32_e32 v79, 16, v73
	s_wait_alu 0xf1ff
	v_cndmask_b32_e64 v103, v112, v113, s0
	v_cmp_u_f32_e64 s0, v81, v81
	v_lshrrev_b32_e32 v81, 16, v72
	v_lshrrev_b32_e32 v77, 16, v75
	;; [unrolled: 1-line block ×4, first 2 shown]
	s_wait_alu 0xf1ff
	v_cndmask_b32_e64 v104, v114, v115, s0
	v_cmp_u_f32_e64 s0, v14, v14
	v_lshrrev_b32_e32 v72, 16, v103
	s_delay_alu instid0(VALU_DEP_3) | instskip(SKIP_1) | instid1(VALU_DEP_3)
	v_lshrrev_b32_e32 v14, 16, v104
	s_wait_alu 0xf1ff
	v_cndmask_b32_e64 v105, v116, v117, s0
	s_delay_alu instid0(VALU_DEP_1)
	v_lshrrev_b32_e32 v13, 16, v105
	s_and_saveexec_b32 s0, vcc_lo
	s_cbranch_execz .LBB337_40
; %bb.58:                               ;   in Loop: Header=BB337_42 Depth=1
	v_cmp_gt_i32_e32 vcc_lo, s52, v56
	s_wait_alu 0xfffd
	v_cndmask_b32_e32 v81, 0, v81, vcc_lo
	v_cmp_gt_i32_e32 vcc_lo, s52, v62
	s_wait_alu 0xfffd
	v_cndmask_b32_e32 v79, 0, v79, vcc_lo
	;; [unrolled: 3-line block ×8, first 2 shown]
	s_branch .LBB337_40
.LBB337_59:
	s_or_b32 exec_lo, exec_lo, s9
.LBB337_60:
	s_wait_alu 0xfffe
	s_or_b32 exec_lo, exec_lo, s1
	ds_bpermute_b32 v1, v16, v24
	ds_bpermute_b32 v2, v16, v23
	;; [unrolled: 1-line block ×8, first 2 shown]
	v_lshrrev_b32_e32 v9, 1, v15
	v_lshlrev_b32_e32 v11, 9, v39
	v_and_b32_e32 v15, 0x3c1, v0
	s_mov_b32 s0, exec_lo
	s_wait_storecnt 0x0
	s_wait_loadcnt_dscnt 0x0
	v_lshl_add_u32 v10, v9, 2, 0x120
	s_barrier_signal -1
	s_barrier_wait -1
	global_inv scope:SCOPE_SE
	v_dual_add_f32 v8, v24, v1 :: v_dual_add_f32 v7, v23, v2
	v_dual_add_f32 v6, v22, v3 :: v_dual_add_f32 v5, v21, v4
	;; [unrolled: 1-line block ×4, first 2 shown]
	v_cmpx_eq_u32_e32 64, v15
	s_cbranch_execz .LBB337_62
; %bb.61:
	v_add_nc_u32_e32 v12, v10, v11
	s_delay_alu instid0(VALU_DEP_1)
	v_add_nc_u32_e32 v13, 0xfffffc00, v12
	v_add_nc_u32_e32 v14, 0xfffffc40, v12
	;; [unrolled: 1-line block ×8, first 2 shown]
	ds_store_b32 v13, v8
	ds_store_b32 v14, v7
	ds_store_b32 v15, v6
	ds_store_b32 v16, v5
	ds_store_b32 v17, v4
	ds_store_b32 v18, v3
	ds_store_b32 v19, v2
	ds_store_b32 v12, v1
.LBB337_62:
	s_wait_alu 0xfffe
	s_or_b32 exec_lo, exec_lo, s0
	v_lshlrev_b32_e32 v9, 2, v9
	s_mov_b32 s1, exec_lo
	v_cmp_eq_u32_e32 vcc_lo, 0, v38
	s_wait_loadcnt_dscnt 0x0
	s_barrier_signal -1
	v_add3_u32 v9, 0x120, v11, v9
	s_barrier_wait -1
	global_inv scope:SCOPE_SE
	v_cmpx_gt_u32_e32 64, v0
	s_cbranch_execz .LBB337_73
; %bb.63:
	s_and_saveexec_b32 s0, vcc_lo
	s_cbranch_execnz .LBB337_89
; %bb.64:
	s_wait_alu 0xfffe
	s_or_b32 exec_lo, exec_lo, s0
	s_and_saveexec_b32 s0, vcc_lo
	s_cbranch_execnz .LBB337_90
.LBB337_65:
	s_wait_alu 0xfffe
	s_or_b32 exec_lo, exec_lo, s0
	s_and_saveexec_b32 s0, vcc_lo
	s_cbranch_execnz .LBB337_91
.LBB337_66:
	s_wait_alu 0xfffe
	s_or_b32 exec_lo, exec_lo, s0
	s_and_saveexec_b32 s0, vcc_lo
	s_cbranch_execnz .LBB337_92
.LBB337_67:
	s_wait_alu 0xfffe
	s_or_b32 exec_lo, exec_lo, s0
	s_and_saveexec_b32 s0, vcc_lo
	s_cbranch_execnz .LBB337_93
.LBB337_68:
	s_wait_alu 0xfffe
	s_or_b32 exec_lo, exec_lo, s0
	s_and_saveexec_b32 s0, vcc_lo
	s_cbranch_execnz .LBB337_94
.LBB337_69:
	s_wait_alu 0xfffe
	s_or_b32 exec_lo, exec_lo, s0
	s_and_saveexec_b32 s0, vcc_lo
	s_cbranch_execnz .LBB337_95
.LBB337_70:
	s_wait_alu 0xfffe
	s_or_b32 exec_lo, exec_lo, s0
	s_and_saveexec_b32 s0, vcc_lo
	s_cbranch_execz .LBB337_72
.LBB337_71:
	ds_load_b32 v11, v9 offset:448
	s_wait_dscnt 0x0
	v_add_f32_e32 v1, v1, v11
.LBB337_72:
	s_wait_alu 0xfffe
	s_or_b32 exec_lo, exec_lo, s0
.LBB337_73:
	s_wait_alu 0xfffe
	s_or_b32 exec_lo, exec_lo, s1
	v_and_b32_e32 v0, 0x3e1, v0
	s_mov_b32 s1, exec_lo
	s_wait_loadcnt 0x0
	s_barrier_signal -1
	s_barrier_wait -1
	global_inv scope:SCOPE_SE
	v_cmpx_eq_u32_e32 32, v0
	s_cbranch_execz .LBB337_75
; %bb.74:
	ds_store_2addr_b32 v10, v8, v7 offset1:16
	ds_store_2addr_b32 v10, v6, v5 offset0:32 offset1:48
	ds_store_2addr_b32 v10, v4, v3 offset0:64 offset1:80
	;; [unrolled: 1-line block ×3, first 2 shown]
.LBB337_75:
	s_wait_alu 0xfffe
	s_or_b32 exec_lo, exec_lo, s1
	s_wait_loadcnt_dscnt 0x0
	s_barrier_signal -1
	s_barrier_wait -1
	global_inv scope:SCOPE_SE
	s_and_saveexec_b32 s0, s2
	s_cbranch_execz .LBB337_86
; %bb.76:
	s_and_saveexec_b32 s1, vcc_lo
	s_cbranch_execnz .LBB337_96
; %bb.77:
	s_wait_alu 0xfffe
	s_or_b32 exec_lo, exec_lo, s1
	s_and_saveexec_b32 s1, vcc_lo
	s_cbranch_execnz .LBB337_97
.LBB337_78:
	s_wait_alu 0xfffe
	s_or_b32 exec_lo, exec_lo, s1
	s_and_saveexec_b32 s1, vcc_lo
	s_cbranch_execnz .LBB337_98
.LBB337_79:
	s_wait_alu 0xfffe
	s_or_b32 exec_lo, exec_lo, s1
	s_and_saveexec_b32 s1, vcc_lo
	s_cbranch_execnz .LBB337_99
.LBB337_80:
	s_wait_alu 0xfffe
	s_or_b32 exec_lo, exec_lo, s1
	s_and_saveexec_b32 s1, vcc_lo
	s_cbranch_execnz .LBB337_100
.LBB337_81:
	s_wait_alu 0xfffe
	s_or_b32 exec_lo, exec_lo, s1
	s_and_saveexec_b32 s1, vcc_lo
	s_cbranch_execnz .LBB337_101
.LBB337_82:
	s_wait_alu 0xfffe
	s_or_b32 exec_lo, exec_lo, s1
	s_and_saveexec_b32 s1, vcc_lo
	s_cbranch_execnz .LBB337_102
.LBB337_83:
	s_wait_alu 0xfffe
	s_or_b32 exec_lo, exec_lo, s1
	s_and_saveexec_b32 s1, vcc_lo
	s_cbranch_execz .LBB337_85
.LBB337_84:
	ds_load_b32 v9, v9 offset:448
	s_wait_dscnt 0x0
	v_add_f32_e32 v1, v1, v9
.LBB337_85:
	s_wait_alu 0xfffe
	s_or_b32 exec_lo, exec_lo, s1
.LBB337_86:
	s_wait_alu 0xfffe
	s_or_b32 exec_lo, exec_lo, s0
	s_mov_b32 s1, 0
	s_wait_loadcnt 0x0
	s_barrier_signal -1
	s_barrier_wait -1
	global_inv scope:SCOPE_SE
	s_mov_b32 s0, exec_lo
	v_cmpx_eq_u32_e32 0, v0
	s_cbranch_execz .LBB337_88
; %bb.87:
	v_bfe_u32 v0, v8, 16, 1
	v_bfe_u32 v9, v7, 16, 1
	v_or_b32_e32 v11, 0x400000, v8
	v_cmp_u_f32_e32 vcc_lo, v8, v8
	v_or_b32_e32 v12, 0x400000, v7
	v_add3_u32 v0, v0, v8, 0x7fff
	v_add3_u32 v9, v9, v7, 0x7fff
	v_bfe_u32 v13, v6, 16, 1
	v_or_b32_e32 v14, 0x400000, v1
	v_bfe_u32 v8, v5, 16, 1
	s_wait_alu 0xfffd
	v_cndmask_b32_e32 v0, v0, v11, vcc_lo
	v_cmp_u_f32_e32 vcc_lo, v7, v7
	v_lshlrev_b32_e32 v10, 1, v37
	v_or_b32_e32 v11, 0x400000, v6
	v_add3_u32 v8, v8, v5, 0x7fff
	s_lshl_b32 s2, s4, 7
	s_wait_alu 0xfffd
	v_cndmask_b32_e32 v7, v9, v12, vcc_lo
	v_add3_u32 v9, v13, v6, 0x7fff
	v_cmp_u_f32_e32 vcc_lo, v6, v6
	v_bfe_u32 v12, v4, 16, 1
	v_or_b32_e32 v13, 0x400000, v5
	s_mul_i32 s4, s35, s34
	s_wait_alu 0xfffe
	s_ashr_i32 s3, s2, 31
	s_wait_alu 0xfffd
	v_cndmask_b32_e32 v6, v9, v11, vcc_lo
	v_cmp_u_f32_e32 vcc_lo, v5, v5
	v_add3_u32 v9, v12, v4, 0x7fff
	v_or_b32_e32 v11, 0x400000, v4
	v_bfe_u32 v12, v2, 16, 1
	s_ashr_i32 s5, s4, 31
	s_wait_alu 0xfffd
	v_cndmask_b32_e32 v5, v8, v13, vcc_lo
	v_bfe_u32 v8, v3, 16, 1
	v_cmp_u_f32_e32 vcc_lo, v4, v4
	v_add3_u32 v12, v12, v2, 0x7fff
	v_or_b32_e32 v13, 0x400000, v2
	s_wait_alu 0xfffe
	s_lshl_b64 s[2:3], s[2:3], 1
	v_add3_u32 v8, v8, v3, 0x7fff
	s_wait_alu 0xfffd
	v_cndmask_b32_e32 v4, v9, v11, vcc_lo
	v_or_b32_e32 v11, 0x400000, v3
	v_cmp_u_f32_e32 vcc_lo, v3, v3
	v_bfe_u32 v9, v1, 16, 1
	s_lshl_b64 s[4:5], s[4:5], 1
	s_wait_kmcnt 0x0
	s_wait_alu 0xfffe
	s_add_nc_u64 s[2:3], s[6:7], s[2:3]
	s_lshl_b32 s0, s33, 8
	s_wait_alu 0xfffd
	v_cndmask_b32_e32 v3, v8, v11, vcc_lo
	v_cmp_u_f32_e32 vcc_lo, v2, v2
	v_add3_u32 v9, v9, v1, 0x7fff
	s_wait_alu 0xfffe
	s_add_nc_u64 s[2:3], s[2:3], s[4:5]
	s_wait_alu 0xfffe
	s_add_nc_u64 s[0:1], s[2:3], s[0:1]
	s_wait_alu 0xfffd
	v_cndmask_b32_e32 v2, v12, v13, vcc_lo
	v_cmp_u_f32_e32 vcc_lo, v1, v1
	s_wait_alu 0xfffd
	v_cndmask_b32_e32 v1, v9, v14, vcc_lo
	s_clause 0x7
	global_store_d16_hi_b16 v10, v0, s[0:1]
	global_store_d16_hi_b16 v10, v7, s[0:1] offset:32
	global_store_d16_hi_b16 v10, v6, s[0:1] offset:64
	;; [unrolled: 1-line block ×7, first 2 shown]
.LBB337_88:
	s_nop 0
	s_sendmsg sendmsg(MSG_DEALLOC_VGPRS)
	s_endpgm
.LBB337_89:
	ds_load_b32 v11, v9
	s_wait_dscnt 0x0
	v_add_f32_e32 v8, v8, v11
	s_wait_alu 0xfffe
	s_or_b32 exec_lo, exec_lo, s0
	s_and_saveexec_b32 s0, vcc_lo
	s_cbranch_execz .LBB337_65
.LBB337_90:
	ds_load_b32 v11, v9 offset:64
	s_wait_dscnt 0x0
	v_add_f32_e32 v7, v7, v11
	s_wait_alu 0xfffe
	s_or_b32 exec_lo, exec_lo, s0
	s_and_saveexec_b32 s0, vcc_lo
	s_cbranch_execz .LBB337_66
.LBB337_91:
	ds_load_b32 v11, v9 offset:128
	s_wait_dscnt 0x0
	v_add_f32_e32 v6, v6, v11
	s_wait_alu 0xfffe
	s_or_b32 exec_lo, exec_lo, s0
	s_and_saveexec_b32 s0, vcc_lo
	s_cbranch_execz .LBB337_67
.LBB337_92:
	ds_load_b32 v11, v9 offset:192
	s_wait_dscnt 0x0
	v_add_f32_e32 v5, v5, v11
	s_wait_alu 0xfffe
	s_or_b32 exec_lo, exec_lo, s0
	s_and_saveexec_b32 s0, vcc_lo
	s_cbranch_execz .LBB337_68
.LBB337_93:
	ds_load_b32 v11, v9 offset:256
	s_wait_dscnt 0x0
	v_add_f32_e32 v4, v4, v11
	s_wait_alu 0xfffe
	s_or_b32 exec_lo, exec_lo, s0
	s_and_saveexec_b32 s0, vcc_lo
	s_cbranch_execz .LBB337_69
.LBB337_94:
	ds_load_b32 v11, v9 offset:320
	s_wait_dscnt 0x0
	v_add_f32_e32 v3, v3, v11
	s_wait_alu 0xfffe
	s_or_b32 exec_lo, exec_lo, s0
	s_and_saveexec_b32 s0, vcc_lo
	s_cbranch_execz .LBB337_70
.LBB337_95:
	ds_load_b32 v11, v9 offset:384
	s_wait_dscnt 0x0
	v_add_f32_e32 v2, v2, v11
	s_wait_alu 0xfffe
	s_or_b32 exec_lo, exec_lo, s0
	s_and_saveexec_b32 s0, vcc_lo
	s_cbranch_execnz .LBB337_71
	s_branch .LBB337_72
.LBB337_96:
	ds_load_b32 v10, v9
	s_wait_dscnt 0x0
	v_add_f32_e32 v8, v8, v10
	s_wait_alu 0xfffe
	s_or_b32 exec_lo, exec_lo, s1
	s_and_saveexec_b32 s1, vcc_lo
	s_cbranch_execz .LBB337_78
.LBB337_97:
	ds_load_b32 v10, v9 offset:64
	s_wait_dscnt 0x0
	v_add_f32_e32 v7, v7, v10
	s_wait_alu 0xfffe
	s_or_b32 exec_lo, exec_lo, s1
	s_and_saveexec_b32 s1, vcc_lo
	s_cbranch_execz .LBB337_79
.LBB337_98:
	ds_load_b32 v10, v9 offset:128
	s_wait_dscnt 0x0
	v_add_f32_e32 v6, v6, v10
	s_wait_alu 0xfffe
	s_or_b32 exec_lo, exec_lo, s1
	s_and_saveexec_b32 s1, vcc_lo
	s_cbranch_execz .LBB337_80
.LBB337_99:
	ds_load_b32 v10, v9 offset:192
	s_wait_dscnt 0x0
	v_add_f32_e32 v5, v5, v10
	s_wait_alu 0xfffe
	s_or_b32 exec_lo, exec_lo, s1
	s_and_saveexec_b32 s1, vcc_lo
	s_cbranch_execz .LBB337_81
.LBB337_100:
	ds_load_b32 v10, v9 offset:256
	s_wait_dscnt 0x0
	v_add_f32_e32 v4, v4, v10
	s_wait_alu 0xfffe
	s_or_b32 exec_lo, exec_lo, s1
	s_and_saveexec_b32 s1, vcc_lo
	s_cbranch_execz .LBB337_82
.LBB337_101:
	ds_load_b32 v10, v9 offset:320
	s_wait_dscnt 0x0
	v_add_f32_e32 v3, v3, v10
	s_wait_alu 0xfffe
	s_or_b32 exec_lo, exec_lo, s1
	s_and_saveexec_b32 s1, vcc_lo
	s_cbranch_execz .LBB337_83
.LBB337_102:
	ds_load_b32 v10, v9 offset:384
	s_wait_dscnt 0x0
	v_add_f32_e32 v2, v2, v10
	s_wait_alu 0xfffe
	s_or_b32 exec_lo, exec_lo, s1
	s_and_saveexec_b32 s1, vcc_lo
	s_cbranch_execnz .LBB337_84
	s_branch .LBB337_85
	.section	.rodata,"a",@progbits
	.p2align	6, 0x0
	.amdhsa_kernel _ZN4vllm25paged_attention_v2_kernelI14__hip_bfloat16hLi128ELi16ELi128ELNS_18Fp8KVCacheDataTypeE1ELb1ELi512EEEvPfS3_PT_PKS4_PKT0_SA_ifPKiSC_iPKfiiiSE_SE_iiiii
		.amdhsa_group_segment_fixed_size 288
		.amdhsa_private_segment_fixed_size 0
		.amdhsa_kernarg_size 400
		.amdhsa_user_sgpr_count 2
		.amdhsa_user_sgpr_dispatch_ptr 0
		.amdhsa_user_sgpr_queue_ptr 0
		.amdhsa_user_sgpr_kernarg_segment_ptr 1
		.amdhsa_user_sgpr_dispatch_id 0
		.amdhsa_user_sgpr_private_segment_size 0
		.amdhsa_wavefront_size32 1
		.amdhsa_uses_dynamic_stack 0
		.amdhsa_enable_private_segment 0
		.amdhsa_system_sgpr_workgroup_id_x 1
		.amdhsa_system_sgpr_workgroup_id_y 1
		.amdhsa_system_sgpr_workgroup_id_z 1
		.amdhsa_system_sgpr_workgroup_info 0
		.amdhsa_system_vgpr_workitem_id 0
		.amdhsa_next_free_vgpr 133
		.amdhsa_next_free_sgpr 66
		.amdhsa_reserve_vcc 1
		.amdhsa_float_round_mode_32 0
		.amdhsa_float_round_mode_16_64 0
		.amdhsa_float_denorm_mode_32 3
		.amdhsa_float_denorm_mode_16_64 3
		.amdhsa_fp16_overflow 0
		.amdhsa_workgroup_processor_mode 1
		.amdhsa_memory_ordered 1
		.amdhsa_forward_progress 1
		.amdhsa_inst_pref_size 168
		.amdhsa_round_robin_scheduling 0
		.amdhsa_exception_fp_ieee_invalid_op 0
		.amdhsa_exception_fp_denorm_src 0
		.amdhsa_exception_fp_ieee_div_zero 0
		.amdhsa_exception_fp_ieee_overflow 0
		.amdhsa_exception_fp_ieee_underflow 0
		.amdhsa_exception_fp_ieee_inexact 0
		.amdhsa_exception_int_div_zero 0
	.end_amdhsa_kernel
	.section	.text._ZN4vllm25paged_attention_v2_kernelI14__hip_bfloat16hLi128ELi16ELi128ELNS_18Fp8KVCacheDataTypeE1ELb1ELi512EEEvPfS3_PT_PKS4_PKT0_SA_ifPKiSC_iPKfiiiSE_SE_iiiii,"axG",@progbits,_ZN4vllm25paged_attention_v2_kernelI14__hip_bfloat16hLi128ELi16ELi128ELNS_18Fp8KVCacheDataTypeE1ELb1ELi512EEEvPfS3_PT_PKS4_PKT0_SA_ifPKiSC_iPKfiiiSE_SE_iiiii,comdat
.Lfunc_end337:
	.size	_ZN4vllm25paged_attention_v2_kernelI14__hip_bfloat16hLi128ELi16ELi128ELNS_18Fp8KVCacheDataTypeE1ELb1ELi512EEEvPfS3_PT_PKS4_PKT0_SA_ifPKiSC_iPKfiiiSE_SE_iiiii, .Lfunc_end337-_ZN4vllm25paged_attention_v2_kernelI14__hip_bfloat16hLi128ELi16ELi128ELNS_18Fp8KVCacheDataTypeE1ELb1ELi512EEEvPfS3_PT_PKS4_PKT0_SA_ifPKiSC_iPKfiiiSE_SE_iiiii
                                        ; -- End function
	.set _ZN4vllm25paged_attention_v2_kernelI14__hip_bfloat16hLi128ELi16ELi128ELNS_18Fp8KVCacheDataTypeE1ELb1ELi512EEEvPfS3_PT_PKS4_PKT0_SA_ifPKiSC_iPKfiiiSE_SE_iiiii.num_vgpr, 133
	.set _ZN4vllm25paged_attention_v2_kernelI14__hip_bfloat16hLi128ELi16ELi128ELNS_18Fp8KVCacheDataTypeE1ELb1ELi512EEEvPfS3_PT_PKS4_PKT0_SA_ifPKiSC_iPKfiiiSE_SE_iiiii.num_agpr, 0
	.set _ZN4vllm25paged_attention_v2_kernelI14__hip_bfloat16hLi128ELi16ELi128ELNS_18Fp8KVCacheDataTypeE1ELb1ELi512EEEvPfS3_PT_PKS4_PKT0_SA_ifPKiSC_iPKfiiiSE_SE_iiiii.numbered_sgpr, 66
	.set _ZN4vllm25paged_attention_v2_kernelI14__hip_bfloat16hLi128ELi16ELi128ELNS_18Fp8KVCacheDataTypeE1ELb1ELi512EEEvPfS3_PT_PKS4_PKT0_SA_ifPKiSC_iPKfiiiSE_SE_iiiii.num_named_barrier, 0
	.set _ZN4vllm25paged_attention_v2_kernelI14__hip_bfloat16hLi128ELi16ELi128ELNS_18Fp8KVCacheDataTypeE1ELb1ELi512EEEvPfS3_PT_PKS4_PKT0_SA_ifPKiSC_iPKfiiiSE_SE_iiiii.private_seg_size, 0
	.set _ZN4vllm25paged_attention_v2_kernelI14__hip_bfloat16hLi128ELi16ELi128ELNS_18Fp8KVCacheDataTypeE1ELb1ELi512EEEvPfS3_PT_PKS4_PKT0_SA_ifPKiSC_iPKfiiiSE_SE_iiiii.uses_vcc, 1
	.set _ZN4vllm25paged_attention_v2_kernelI14__hip_bfloat16hLi128ELi16ELi128ELNS_18Fp8KVCacheDataTypeE1ELb1ELi512EEEvPfS3_PT_PKS4_PKT0_SA_ifPKiSC_iPKfiiiSE_SE_iiiii.uses_flat_scratch, 0
	.set _ZN4vllm25paged_attention_v2_kernelI14__hip_bfloat16hLi128ELi16ELi128ELNS_18Fp8KVCacheDataTypeE1ELb1ELi512EEEvPfS3_PT_PKS4_PKT0_SA_ifPKiSC_iPKfiiiSE_SE_iiiii.has_dyn_sized_stack, 0
	.set _ZN4vllm25paged_attention_v2_kernelI14__hip_bfloat16hLi128ELi16ELi128ELNS_18Fp8KVCacheDataTypeE1ELb1ELi512EEEvPfS3_PT_PKS4_PKT0_SA_ifPKiSC_iPKfiiiSE_SE_iiiii.has_recursion, 0
	.set _ZN4vllm25paged_attention_v2_kernelI14__hip_bfloat16hLi128ELi16ELi128ELNS_18Fp8KVCacheDataTypeE1ELb1ELi512EEEvPfS3_PT_PKS4_PKT0_SA_ifPKiSC_iPKfiiiSE_SE_iiiii.has_indirect_call, 0
	.section	.AMDGPU.csdata,"",@progbits
; Kernel info:
; codeLenInByte = 21504
; TotalNumSgprs: 68
; NumVgprs: 133
; ScratchSize: 0
; MemoryBound: 0
; FloatMode: 240
; IeeeMode: 1
; LDSByteSize: 288 bytes/workgroup (compile time only)
; SGPRBlocks: 0
; VGPRBlocks: 16
; NumSGPRsForWavesPerEU: 68
; NumVGPRsForWavesPerEU: 133
; Occupancy: 10
; WaveLimiterHint : 1
; COMPUTE_PGM_RSRC2:SCRATCH_EN: 0
; COMPUTE_PGM_RSRC2:USER_SGPR: 2
; COMPUTE_PGM_RSRC2:TRAP_HANDLER: 0
; COMPUTE_PGM_RSRC2:TGID_X_EN: 1
; COMPUTE_PGM_RSRC2:TGID_Y_EN: 1
; COMPUTE_PGM_RSRC2:TGID_Z_EN: 1
; COMPUTE_PGM_RSRC2:TIDIG_COMP_CNT: 0
	.section	.text._ZN4vllm25paged_attention_v2_kernelI14__hip_bfloat16hLi192ELi16ELi128ELNS_18Fp8KVCacheDataTypeE1ELb1ELi512EEEvPfS3_PT_PKS4_PKT0_SA_ifPKiSC_iPKfiiiSE_SE_iiiii,"axG",@progbits,_ZN4vllm25paged_attention_v2_kernelI14__hip_bfloat16hLi192ELi16ELi128ELNS_18Fp8KVCacheDataTypeE1ELb1ELi512EEEvPfS3_PT_PKS4_PKT0_SA_ifPKiSC_iPKfiiiSE_SE_iiiii,comdat
	.protected	_ZN4vllm25paged_attention_v2_kernelI14__hip_bfloat16hLi192ELi16ELi128ELNS_18Fp8KVCacheDataTypeE1ELb1ELi512EEEvPfS3_PT_PKS4_PKT0_SA_ifPKiSC_iPKfiiiSE_SE_iiiii ; -- Begin function _ZN4vllm25paged_attention_v2_kernelI14__hip_bfloat16hLi192ELi16ELi128ELNS_18Fp8KVCacheDataTypeE1ELb1ELi512EEEvPfS3_PT_PKS4_PKT0_SA_ifPKiSC_iPKfiiiSE_SE_iiiii
	.globl	_ZN4vllm25paged_attention_v2_kernelI14__hip_bfloat16hLi192ELi16ELi128ELNS_18Fp8KVCacheDataTypeE1ELb1ELi512EEEvPfS3_PT_PKS4_PKT0_SA_ifPKiSC_iPKfiiiSE_SE_iiiii
	.p2align	8
	.type	_ZN4vllm25paged_attention_v2_kernelI14__hip_bfloat16hLi192ELi16ELi128ELNS_18Fp8KVCacheDataTypeE1ELb1ELi512EEEvPfS3_PT_PKS4_PKT0_SA_ifPKiSC_iPKfiiiSE_SE_iiiii,@function
_ZN4vllm25paged_attention_v2_kernelI14__hip_bfloat16hLi192ELi16ELi128ELNS_18Fp8KVCacheDataTypeE1ELb1ELi512EEEvPfS3_PT_PKS4_PKT0_SA_ifPKiSC_iPKfiiiSE_SE_iiiii: ; @_ZN4vllm25paged_attention_v2_kernelI14__hip_bfloat16hLi192ELi16ELi128ELNS_18Fp8KVCacheDataTypeE1ELb1ELi512EEEvPfS3_PT_PKS4_PKT0_SA_ifPKiSC_iPKfiiiSE_SE_iiiii
; %bb.0:
	s_load_b64 s[2:3], s[0:1], 0x40
	s_and_b32 s76, ttmp7, 0xffff
	s_lshr_b32 s74, ttmp7, 16
	s_lshl_b32 s4, s76, 2
	s_lshl_b32 s78, s74, 9
	s_wait_kmcnt 0x0
	s_load_b32 s75, s[2:3], s4 offset:0x0
	s_wait_kmcnt 0x0
	s_cmp_ge_i32 s78, s75
	s_cbranch_scc1 .LBB338_104
; %bb.1:
	s_clause 0x1
	s_load_b32 s77, s[0:1], 0x90
	s_load_b64 s[72:73], s[0:1], 0x30
	s_wait_kmcnt 0x0
	s_abs_i32 s5, s77
	s_abs_i32 s2, s72
	s_delay_alu instid0(SALU_CYCLE_1) | instskip(SKIP_1) | instid1(SALU_CYCLE_2)
	s_cvt_f32_u32 s3, s2
	s_sub_co_i32 s4, 0, s2
	v_rcp_iflag_f32_e32 v1, s3
	s_delay_alu instid0(TRANS32_DEP_1) | instskip(SKIP_2) | instid1(SALU_CYCLE_2)
	v_readfirstlane_b32 s3, v1
	s_mul_f32 s3, s3, 0x4f7ffffe
	s_wait_alu 0xfffe
	s_cvt_u32_f32 s3, s3
	s_wait_alu 0xfffe
	s_delay_alu instid0(SALU_CYCLE_2) | instskip(NEXT) | instid1(SALU_CYCLE_1)
	s_mul_i32 s4, s4, s3
	s_mul_hi_u32 s4, s3, s4
	s_delay_alu instid0(SALU_CYCLE_1)
	s_add_co_i32 s3, s3, s4
	s_xor_b32 s4, s77, s72
	s_wait_alu 0xfffe
	s_mul_hi_u32 s3, s5, s3
	s_ashr_i32 s4, s4, 31
	s_wait_alu 0xfffe
	s_mul_i32 s6, s3, s2
	s_delay_alu instid0(SALU_CYCLE_1)
	s_sub_co_i32 s5, s5, s6
	s_add_co_i32 s6, s3, 1
	s_sub_co_i32 s7, s5, s2
	s_cmp_ge_u32 s5, s2
	s_cselect_b32 s3, s6, s3
	s_cselect_b32 s5, s7, s5
	s_wait_alu 0xfffe
	s_add_co_i32 s6, s3, 1
	s_cmp_ge_u32 s5, s2
	s_cselect_b32 s2, s6, s3
	s_load_b64 s[6:7], s[0:1], 0x50
	s_xor_b32 s2, s2, s4
	s_mov_b32 s3, 0
	s_wait_alu 0xfffe
	s_sub_co_i32 s9, s2, s4
	s_mov_b32 s80, s3
	s_abs_i32 s8, s9
	s_delay_alu instid0(SALU_CYCLE_1) | instskip(SKIP_1) | instid1(SALU_CYCLE_2)
	s_cvt_f32_u32 s2, s8
	s_wait_alu 0xfffe
	v_rcp_iflag_f32_e32 v1, s2
	s_delay_alu instid0(TRANS32_DEP_1) | instskip(SKIP_2) | instid1(SALU_CYCLE_2)
	v_readfirstlane_b32 s2, v1
	s_mul_f32 s2, s2, 0x4f7ffffe
	s_wait_alu 0xfffe
	s_cvt_u32_f32 s4, s2
	s_sub_co_i32 s2, 0, s8
	s_wait_alu 0xfffe
	s_delay_alu instid0(SALU_CYCLE_1)
	s_mul_i32 s2, s2, s4
	s_wait_alu 0xfffe
	s_mul_hi_u32 s5, s4, s2
	s_abs_i32 s2, ttmp9
	s_add_co_i32 s4, s4, s5
	s_mov_b32 s5, s3
	s_wait_kmcnt 0x0
	s_cmp_eq_u64 s[6:7], 0
	s_cbranch_scc1 .LBB338_3
; %bb.2:
	s_mov_b32 s10, ttmp9
	s_ashr_i32 s11, ttmp9, 31
	s_delay_alu instid0(SALU_CYCLE_1) | instskip(NEXT) | instid1(SALU_CYCLE_1)
	s_lshl_b64 s[10:11], s[10:11], 2
	s_add_nc_u64 s[6:7], s[6:7], s[10:11]
	s_load_b32 s80, s[6:7], 0x0
.LBB338_3:
	s_load_b96 s[60:62], s[0:1], 0x58
	v_lshrrev_b32_e32 v4, 1, v0
	v_lshlrev_b32_e32 v14, 3, v0
	s_mul_u64 s[4:5], s[2:3], s[4:5]
	s_ashr_i32 s3, ttmp9, 31
	s_ashr_i32 s4, s9, 31
	s_mul_i32 s64, ttmp9, 0xc0
	s_mov_b32 s6, exec_lo
	v_cmpx_gt_u32_e32 48, v0
	s_cbranch_execz .LBB338_5
; %bb.4:
	s_load_b64 s[10:11], s[0:1], 0x18
	s_wait_kmcnt 0x0
	s_mul_i32 s12, s60, s76
	s_ashr_i32 s65, s64, 31
	s_ashr_i32 s13, s12, 31
	v_lshlrev_b32_e32 v3, 3, v4
	s_lshl_b64 s[12:13], s[12:13], 1
	v_and_b32_e32 v5, 1, v0
	s_delay_alu instid0(VALU_DEP_1) | instskip(SKIP_2) | instid1(SALU_CYCLE_1)
	v_mad_u32_u24 v3, 0xc0, v5, v3
	s_add_nc_u64 s[10:11], s[10:11], s[12:13]
	s_lshl_b64 s[12:13], s[64:65], 1
	s_add_nc_u64 s[10:11], s[10:11], s[12:13]
	global_load_b64 v[1:2], v14, s[10:11]
	s_wait_loadcnt 0x0
	ds_store_b64 v3, v[1:2]
.LBB338_5:
	s_or_b32 exec_lo, exec_lo, s6
	s_clause 0x1
	s_load_b128 s[56:59], s[0:1], 0x78
	s_load_b32 s7, s[0:1], 0x88
	s_mul_i32 s6, s5, s8
	s_xor_b32 s3, s3, s4
	s_sub_co_i32 s2, s2, s6
	s_add_co_i32 s4, s5, 1
	s_wait_alu 0xfffe
	s_sub_co_i32 s6, s2, s8
	s_cmp_ge_u32 s2, s8
	s_mov_b32 s9, -1
	s_cselect_b32 s4, s4, s5
	s_cselect_b32 s2, s6, s2
	s_add_co_i32 s5, s4, 1
	s_wait_alu 0xfffe
	s_cmp_ge_u32 s2, s8
	s_wait_dscnt 0x0
	s_cselect_b32 s2, s5, s4
	s_add_co_i32 s8, s75, -1
	s_wait_alu 0xfffe
	s_xor_b32 s2, s2, s3
	s_barrier_signal -1
	s_wait_alu 0xfffe
	s_sub_co_i32 s6, s2, s3
	s_barrier_wait -1
	s_wait_kmcnt 0x0
	s_abs_i32 s60, s59
	global_inv scope:SCOPE_SE
	s_cvt_f32_u32 s4, s60
                                        ; implicit-def: $sgpr65
	s_delay_alu instid0(SALU_CYCLE_3) | instskip(NEXT) | instid1(TRANS32_DEP_1)
	v_rcp_iflag_f32_e32 v1, s4
	v_readfirstlane_b32 s4, v1
	s_mul_f32 s2, s4, 0x4f7ffffe
	s_wait_alu 0xfffe
	s_delay_alu instid0(SALU_CYCLE_2) | instskip(SKIP_2) | instid1(SALU_CYCLE_1)
	s_cvt_u32_f32 s4, s2
	s_sub_co_i32 s2, 0, s60
	s_wait_alu 0xfffe
	s_mul_i32 s3, s2, s4
	s_abs_i32 s2, s8
	s_wait_alu 0xfffe
	s_mul_hi_u32 s5, s4, s3
	s_mov_b32 s3, 0
	s_wait_alu 0xfffe
	s_add_co_i32 s66, s4, s5
	s_cmp_lt_i32 s7, 0
	s_mov_b32 s67, s3
	s_cbranch_scc0 .LBB338_7
; %bb.6:
	s_mul_i32 s4, s56, s72
	s_mov_b32 s9, s3
	s_wait_alu 0xfffe
	s_add_co_i32 s4, s6, s4
	s_wait_alu 0xfffe
	s_mul_i32 s4, s4, s7
	s_wait_alu 0xfffe
	s_sub_co_i32 s65, 1, s4
.LBB338_7:
	s_mul_u64 s[4:5], s[2:3], s[66:67]
	s_ashr_i32 s3, s8, 31
	s_and_not1_b32 vcc_lo, exec_lo, s9
	s_ashr_i32 s59, s59, 31
	s_cbranch_vccnz .LBB338_9
; %bb.8:
	s_mul_i32 s4, s77, s56
	s_wait_alu 0xfffe
	s_add_co_i32 s4, s4, ttmp9
	s_wait_alu 0xfffe
	s_mul_i32 s4, s4, s7
	s_wait_alu 0xfffe
	s_add_co_i32 s65, s4, 1
.LBB338_9:
	scratch_store_b32 off, v4, off          ; 4-byte Folded Spill
	s_clause 0x3
	s_load_b32 s4, s[0:1], 0x48
	s_load_b64 s[68:69], s[0:1], 0x38
	s_load_b32 s56, s[0:1], 0x98
	s_load_b128 s[52:55], s[0:1], 0x68
	s_mul_i32 s7, s5, s60
	s_xor_b32 s3, s3, s59
	s_sub_co_i32 s2, s2, s7
	s_add_co_i32 s8, s5, 1
	v_lshrrev_b32_e32 v1, 5, v0
	v_mov_b32_e32 v11, 0xff7fffff
	v_mbcnt_lo_u32_b32 v9, -1, 0
	s_mul_i32 s62, s6, s62
	s_delay_alu instid0(VALU_DEP_3)
	v_lshl_add_u32 v18, v1, 4, s78
	s_wait_kmcnt 0x0
	s_mul_i32 s70, s4, s76
	s_wait_alu 0xfffe
	s_sub_co_i32 s4, s2, s60
	s_ashr_i32 s71, s70, 31
	s_cmp_ge_u32 s2, s60
	s_cselect_b32 s5, s8, s5
	s_wait_alu 0xfffe
	s_cselect_b32 s2, s4, s2
	s_add_co_i32 s4, s5, 1
	s_wait_alu 0xfffe
	s_cmp_ge_u32 s2, s60
	s_cselect_b32 s2, s4, s5
	s_add_co_i32 s4, s75, 15
	s_lshl_b32 s81, s74, 5
	s_wait_alu 0xfffe
	s_ashr_i32 s5, s4, 31
	v_or_b32_e32 v19, s81, v1
	s_wait_alu 0xfffe
	s_lshr_b32 s5, s5, 28
	s_wait_alu 0xfffe
	s_add_co_i32 s4, s4, s5
	s_add_co_i32 s5, s81, 32
	s_wait_alu 0xfffe
	s_ashr_i32 s72, s4, 4
	s_xor_b32 s4, s2, s3
	s_min_i32 s67, s5, s72
	s_wait_alu 0xfffe
	s_sub_co_i32 s79, s4, s3
	v_cmp_gt_i32_e64 s2, s67, v19
	s_and_saveexec_b32 s82, s2
	s_cbranch_execz .LBB338_21
; %bb.10:
	s_load_b64 s[4:5], s[0:1], 0x20
	s_sub_co_i32 s83, s79, s57
	s_ashr_i32 s63, s62, 31
	s_cmp_neq_f32 s80, 0
	v_bfe_u32 v10, v0, 1, 4
	v_and_b32_e32 v3, 1, v0
	v_lshrrev_b32_e32 v7, 5, v0
	s_cselect_b32 vcc_lo, -1, 0
	s_abs_i32 s84, s58
	v_dual_mov_b32 v11, 0xff7fffff :: v_dual_lshlrev_b32 v4, 2, v10
	s_cvt_f32_u32 s3, s84
	v_dual_mov_b32 v21, 0xff7fffff :: v_dual_lshlrev_b32 v2, 2, v3
	v_mul_u32_u24_e32 v12, 0xc0, v3
	s_wait_alu 0xfffe
	v_rcp_iflag_f32_e32 v1, s3
	v_cmp_eq_u32_e64 s3, 0, v3
	v_lshlrev_b32_e32 v3, 4, v10
	s_lshl_b64 s[6:7], s[70:71], 2
	v_subrev_nc_u32_e32 v5, s75, v10
	s_wait_kmcnt 0x0
	s_add_nc_u64 s[4:5], s[4:5], s[62:63]
	v_lshl_or_b32 v6, v7, 6, v4
	s_add_nc_u64 s[6:7], s[68:69], s[6:7]
	s_sub_co_i32 s9, 0, s84
	v_lshl_add_u32 v13, v7, 4, s78
	v_readfirstlane_b32 s8, v1
	s_wait_alu 0xfffe
	v_add_co_u32 v1, s4, s4, v3
	s_wait_alu 0xf1ff
	v_add_co_ci_u32_e64 v3, null, s5, 0, s4
	s_mul_f32 s8, s8, 0x4f7ffffe
	v_add_co_u32 v1, s4, v1, v2
	s_wait_alu 0xf1ff
	v_add_co_ci_u32_e64 v2, null, 0, v3, s4
	v_lshlrev_b32_e32 v3, 2, v19
	s_cvt_u32_f32 s5, s8
	v_dual_mov_b32 v23, v19 :: v_dual_add_nc_u32 v14, 1, v5
	v_add_nc_u32_e32 v20, 0x1a0, v6
	s_delay_alu instid0(VALU_DEP_3)
	v_add_co_u32 v3, s4, s6, v3
	s_wait_alu 0xfffe
	s_mul_i32 s9, s9, s5
	v_add_co_ci_u32_e64 v4, null, s7, 0, s4
	v_xor_b32_e32 v22, 1, v9
	s_mul_hi_u32 s4, s5, s9
	s_mov_b32 s85, 0
	s_mov_b32 s63, s61
	s_wait_alu 0xfffe
	s_add_co_i32 s86, s5, s4
	s_branch .LBB338_13
.LBB338_11:                             ;   in Loop: Header=BB338_13 Depth=1
	s_wait_alu 0xfffe
	s_or_b32 exec_lo, exec_lo, s5
.LBB338_12:                             ;   in Loop: Header=BB338_13 Depth=1
	s_wait_alu 0xfffe
	s_or_b32 exec_lo, exec_lo, s87
	v_add_nc_u32_e32 v23, 4, v23
	v_add_co_u32 v3, s5, v3, 16
	s_wait_alu 0xf1ff
	v_add_co_ci_u32_e64 v4, null, 0, v4, s5
	s_delay_alu instid0(VALU_DEP_3)
	v_cmp_le_i32_e64 s4, s67, v23
	v_add_nc_u32_e32 v13, 64, v13
	v_add_nc_u32_e32 v20, 0x100, v20
	s_or_b32 s85, s4, s85
	s_wait_alu 0xfffe
	s_and_not1_b32 exec_lo, exec_lo, s85
	s_cbranch_execz .LBB338_20
.LBB338_13:                             ; =>This Inner Loop Header: Depth=1
	v_sub_nc_u32_e32 v5, 0, v13
	s_delay_alu instid0(VALU_DEP_1) | instskip(SKIP_1) | instid1(VALU_DEP_1)
	v_max_i32_e32 v5, v13, v5
	s_wait_dscnt 0x0
	v_mul_hi_u32 v6, v5, s66
	s_delay_alu instid0(VALU_DEP_1) | instskip(NEXT) | instid1(VALU_DEP_1)
	v_mul_lo_u32 v24, v6, s60
	v_sub_nc_u32_e32 v5, v5, v24
	v_add_nc_u32_e32 v24, 1, v6
	s_delay_alu instid0(VALU_DEP_2) | instskip(SKIP_2) | instid1(VALU_DEP_1)
	v_subrev_nc_u32_e32 v25, s60, v5
	v_cmp_le_u32_e64 s4, s60, v5
	s_wait_alu 0xf1ff
	v_cndmask_b32_e64 v6, v6, v24, s4
	s_delay_alu instid0(VALU_DEP_3) | instskip(SKIP_1) | instid1(VALU_DEP_3)
	v_cndmask_b32_e64 v5, v5, v25, s4
	v_ashrrev_i32_e32 v24, 31, v13
	v_add_nc_u32_e32 v25, 1, v6
	s_delay_alu instid0(VALU_DEP_3) | instskip(NEXT) | instid1(VALU_DEP_3)
	v_cmp_le_u32_e64 s4, s60, v5
	v_xor_b32_e32 v24, s59, v24
	s_wait_alu 0xf1ff
	s_delay_alu instid0(VALU_DEP_2) | instskip(NEXT) | instid1(VALU_DEP_1)
	v_cndmask_b32_e64 v5, v6, v25, s4
	v_xor_b32_e32 v5, v5, v24
	s_delay_alu instid0(VALU_DEP_1) | instskip(NEXT) | instid1(VALU_DEP_1)
	v_sub_nc_u32_e32 v5, v5, v24
	v_add_nc_u32_e32 v6, s65, v5
	v_cmp_ge_i32_e64 s5, s83, v5
	s_delay_alu instid0(VALU_DEP_2) | instskip(NEXT) | instid1(VALU_DEP_1)
	v_sub_nc_u32_e32 v24, 0, v6
	v_max_i32_e32 v24, v6, v24
	v_ashrrev_i32_e32 v6, 31, v6
	s_delay_alu instid0(VALU_DEP_2) | instskip(NEXT) | instid1(VALU_DEP_1)
	v_mul_hi_u32 v25, v24, s86
	v_mul_lo_u32 v25, v25, s84
	s_delay_alu instid0(VALU_DEP_1) | instskip(NEXT) | instid1(VALU_DEP_1)
	v_sub_nc_u32_e32 v24, v24, v25
	v_subrev_nc_u32_e32 v25, s84, v24
	v_cmp_le_u32_e64 s4, s84, v24
	s_wait_alu 0xf1ff
	s_delay_alu instid0(VALU_DEP_1) | instskip(NEXT) | instid1(VALU_DEP_1)
	v_cndmask_b32_e64 v24, v24, v25, s4
	v_subrev_nc_u32_e32 v25, s84, v24
	v_cmp_le_u32_e64 s4, s84, v24
	s_wait_alu 0xf1ff
	s_delay_alu instid0(VALU_DEP_1) | instskip(NEXT) | instid1(VALU_DEP_1)
	v_cndmask_b32_e64 v24, v24, v25, s4
	v_xor_b32_e32 v24, v24, v6
	s_delay_alu instid0(VALU_DEP_1) | instskip(NEXT) | instid1(VALU_DEP_1)
	v_sub_nc_u32_e32 v6, v24, v6
	v_cmp_ne_u32_e64 s4, 0, v6
	s_and_b32 s4, s4, s5
	s_wait_alu 0xfffe
	s_and_saveexec_b32 s5, s4
	s_wait_alu 0xfffe
	s_xor_b32 s4, exec_lo, s5
	s_cbranch_execz .LBB338_17
; %bb.14:                               ;   in Loop: Header=BB338_13 Depth=1
	s_and_saveexec_b32 s5, s3
; %bb.15:                               ;   in Loop: Header=BB338_13 Depth=1
	ds_store_b32 v20, v21
; %bb.16:                               ;   in Loop: Header=BB338_13 Depth=1
	s_wait_alu 0xfffe
	s_or_b32 exec_lo, exec_lo, s5
.LBB338_17:                             ;   in Loop: Header=BB338_13 Depth=1
	s_wait_alu 0xfffe
	s_and_not1_saveexec_b32 s87, s4
	s_cbranch_execz .LBB338_12
; %bb.18:                               ;   in Loop: Header=BB338_13 Depth=1
	global_load_b32 v5, v[3:4], off
	s_wait_loadcnt 0x0
	v_mad_co_i64_i32 v[5:6], null, v5, s63, v[1:2]
	s_clause 0xd
	global_load_b32 v93, v[5:6], off
	global_load_b32 v33, v[5:6], off offset:256
	global_load_b32 v34, v[5:6], off offset:264
	global_load_b32 v35, v[5:6], off offset:512
	global_load_b32 v94, v[5:6], off offset:520
	global_load_b32 v82, v[5:6], off offset:768
	global_load_b32 v83, v[5:6], off offset:776
	global_load_b32 v84, v[5:6], off offset:1024
	global_load_b32 v85, v[5:6], off offset:1032
	global_load_b32 v88, v[5:6], off offset:1280
	global_load_b32 v89, v[5:6], off offset:1288
	global_load_b32 v91, v[5:6], off offset:1536
	global_load_b32 v92, v[5:6], off offset:1544
	global_load_b32 v64, v[5:6], off offset:1792
	ds_load_b128 v[37:40], v12
	ds_load_b128 v[60:63], v12 offset:16
	ds_load_b128 v[65:68], v12 offset:32
	;; [unrolled: 1-line block ×5, first 2 shown]
	s_load_b32 s88, s[52:53], 0x0
	global_load_b32 v81, v[5:6], off offset:8
	s_wait_dscnt 0x5
	v_and_b32_e32 v78, 0xffff0000, v37
	s_wait_dscnt 0x4
	v_lshlrev_b32_e32 v56, 16, v60
	s_wait_dscnt 0x2
	v_lshlrev_b32_e32 v32, 16, v98
	v_lshlrev_b32_e32 v47, 16, v95
	s_wait_loadcnt 0x9
	v_and_b32_e32 v118, 0xff, v82
	s_wait_loadcnt 0x8
	v_bfe_u32 v107, v83, 16, 8
	s_wait_loadcnt 0x7
	v_and_b32_e32 v121, 0xff, v84
	s_wait_loadcnt 0x6
	v_bfe_u32 v123, v85, 8, 8
	s_wait_loadcnt 0x5
	v_bfe_u32 v111, v88, 8, 8
	;; [unrolled: 2-line block ×3, first 2 shown]
	v_lshrrev_b32_e32 v112, 24, v88
	v_and_b32_e32 v124, 0xff, v88
	s_wait_loadcnt 0x1
	v_and_b32_e32 v130, 0xff, v64
	v_cvt_f32_fp8_e32 v123, v123
	v_and_b32_e32 v46, 0xffff0000, v98
	v_and_b32_e32 v98, 0xff, v34
	v_bfe_u32 v88, v88, 16, 8
	v_cvt_f32_fp8_e32 v113, v113
	s_wait_dscnt 0x0
	v_lshlrev_b32_e32 v26, 16, v104
	v_cvt_f32_fp8_e32 v121, v121
	v_and_b32_e32 v80, 0xffff0000, v39
	v_cvt_f32_fp8_e32 v98, v98
	v_lshlrev_b32_e32 v59, 16, v39
	v_cvt_f32_fp8_e32 v130, v130
	v_and_b32_e32 v39, 0xffff0000, v104
	v_bfe_u32 v104, v94, 16, 8
	v_lshrrev_b32_e32 v109, 24, v84
	v_bfe_u32 v110, v85, 16, 8
	v_bfe_u32 v116, v92, 16, 8
	v_and_b32_e32 v125, 0xff, v89
	v_and_b32_e32 v127, 0xff, v91
	;; [unrolled: 1-line block ×3, first 2 shown]
	v_bfe_u32 v129, v92, 8, 8
	v_lshrrev_b32_e32 v92, 24, v92
	v_cvt_f32_fp8_e32 v104, v104
	v_lshlrev_b32_e32 v49, 16, v67
	v_cvt_f32_fp8_e32 v124, v124
	v_cvt_f32_fp8_e32 v88, v88
	v_and_b32_e32 v70, 0xffff0000, v67
	v_and_b32_e32 v67, 0xffff0000, v95
	v_bfe_u32 v95, v93, 8, 8
	v_bfe_u32 v108, v84, 8, 8
	v_and_b32_e32 v119, 0xff, v83
	v_bfe_u32 v120, v83, 8, 8
	v_lshrrev_b32_e32 v83, 24, v83
	v_bfe_u32 v84, v84, 16, 8
	v_and_b32_e32 v122, 0xff, v85
	v_lshrrev_b32_e32 v85, 24, v85
	v_cvt_f32_fp8_e32 v95, v95
	v_lshlrev_b32_e32 v58, 16, v40
	v_cvt_f32_fp8_e32 v109, v109
	v_lshlrev_b32_e32 v30, 16, v100
	;; [unrolled: 2-line block ×5, first 2 shown]
	v_cvt_f32_fp8_e32 v118, v118
	v_and_b32_e32 v79, 0xffff0000, v40
	v_cvt_f32_fp8_e32 v125, v125
	v_and_b32_e32 v44, 0xffff0000, v100
	v_bfe_u32 v100, v35, 16, 8
	v_cvt_f32_fp8_e32 v127, v127
	v_and_b32_e32 v42, 0xffff0000, v101
	v_lshrrev_b32_e32 v101, 24, v35
	v_cvt_f32_fp8_e32 v129, v129
	v_and_b32_e32 v40, 0xffff0000, v103
	v_bfe_u32 v103, v94, 8, 8
	v_cvt_f32_fp8_e32 v92, v92
	v_and_b32_e32 v41, 0xffff0000, v102
	v_and_b32_e32 v102, 0xff, v94
	v_cvt_f32_fp8_e32 v100, v100
	v_lshlrev_b32_e32 v53, 16, v62
	v_cvt_f32_fp8_e32 v101, v101
	v_lshlrev_b32_e32 v50, 16, v66
	;; [unrolled: 2-line block ×4, first 2 shown]
	v_cvt_f32_fp8_e32 v119, v119
	v_and_b32_e32 v74, 0xffff0000, v62
	v_cvt_f32_fp8_e32 v83, v83
	v_and_b32_e32 v77, 0xffff0000, v60
	;; [unrolled: 2-line block ×5, first 2 shown]
	s_clause 0x8
	global_load_b32 v90, v[5:6], off offset:1800
	global_load_b32 v87, v[5:6], off offset:2048
	;; [unrolled: 1-line block ×9, first 2 shown]
	v_bfe_u32 v126, v89, 8, 8
	v_lshrrev_b32_e32 v89, 24, v89
	v_cvt_f32_fp8_e32 v108, v108
	v_lshlrev_b32_e32 v31, 16, v99
	v_lshrrev_b32_e32 v115, 24, v91
	v_cvt_f32_fp8_e32 v107, v107
	v_cvt_f32_fp8_e32 v89, v89
	v_and_b32_e32 v45, 0xffff0000, v99
	v_and_b32_e32 v99, 0xff, v35
	v_bfe_u32 v35, v35, 8, 8
	s_wait_kmcnt 0x0
	v_dual_mul_f32 v107, s88, v107 :: v_dual_lshlrev_b32 v36, 16, v97
	v_cvt_f32_fp8_e32 v115, v115
	v_lshlrev_b32_e32 v24, 16, v106
	v_cvt_f32_fp8_e32 v35, v35
	v_and_b32_e32 v6, 0xff, v93
	v_cvt_f32_fp8_e32 v99, v99
	v_lshlrev_b32_e32 v54, 16, v61
	v_cvt_f32_fp8_e32 v116, v116
	v_and_b32_e32 v75, 0xffff0000, v61
	v_cvt_f32_fp8_e32 v128, v128
	v_and_b32_e32 v61, 0xffff0000, v97
	v_bfe_u32 v97, v33, 16, 8
	v_mul_f32_e32 v35, s88, v35
	v_cvt_f32_fp8_e32 v6, v6
	v_lshlrev_b32_e32 v57, 16, v37
	v_and_b32_e32 v37, 0xffff0000, v106
	v_lshrrev_b32_e32 v106, 24, v82
	v_lshrrev_b32_e32 v94, 24, v94
	v_bfe_u32 v114, v91, 8, 8
	v_bfe_u32 v117, v64, 8, 8
	;; [unrolled: 1-line block ×3, first 2 shown]
	v_cvt_f32_fp8_e32 v97, v97
	v_lshlrev_b32_e32 v52, 16, v63
	v_cvt_f32_fp8_e32 v106, v106
	v_lshlrev_b32_e32 v43, 16, v96
	v_cvt_f32_fp8_e32 v120, v120
	v_and_b32_e32 v73, 0xffff0000, v63
	v_cvt_f32_fp8_e32 v126, v126
	v_and_b32_e32 v63, 0xffff0000, v96
	v_bfe_u32 v96, v93, 16, 8
	v_lshrrev_b32_e32 v93, 24, v93
	v_cvt_f32_fp8_e32 v94, v94
	v_cvt_f32_fp8_e32 v114, v114
	v_lshlrev_b32_e32 v25, 16, v105
	v_cvt_f32_fp8_e32 v96, v96
	v_lshlrev_b32_e32 v55, 16, v38
	v_cvt_f32_fp8_e32 v93, v93
	v_cvt_f32_fp8_e32 v117, v117
	v_and_b32_e32 v76, 0xffff0000, v38
	v_cvt_f32_fp8_e32 v91, v91
	v_and_b32_e32 v38, 0xffff0000, v105
	v_bfe_u32 v105, v82, 8, 8
	v_dual_mul_f32 v95, s88, v95 :: v_dual_mul_f32 v96, s88, v96
	v_mul_f32_e32 v93, s88, v93
	v_mul_f32_e32 v97, s88, v97
	s_delay_alu instid0(VALU_DEP_4)
	v_cvt_f32_fp8_e32 v105, v105
	v_mul_f32_e32 v99, s88, v99
	v_mul_f32_e32 v101, s88, v101
	v_dual_mul_f32 v103, s88, v103 :: v_dual_mul_f32 v94, s88, v94
	v_mul_f32_e32 v106, s88, v106
	v_mul_f32_e32 v108, s88, v108
	;; [unrolled: 1-line block ×8, first 2 shown]
	v_dual_mul_f32 v104, s88, v104 :: v_dual_mul_f32 v105, s88, v105
	v_dual_mul_f32 v118, s88, v118 :: v_dual_mul_f32 v119, s88, v119
	v_mul_f32_e32 v132, s88, v83
	v_mul_f32_e32 v134, s88, v85
	v_bfe_u32 v139, v95, 16, 1
	v_bfe_u32 v141, v96, 16, 1
	;; [unrolled: 1-line block ×13, first 2 shown]
	v_mul_f32_e32 v109, s88, v109
	v_mul_f32_e32 v111, s88, v111
	v_dual_mul_f32 v133, s88, v84 :: v_dual_mul_f32 v122, s88, v122
	v_dual_mul_f32 v136, s88, v89 :: v_dual_mul_f32 v137, s88, v91
	v_or_b32_e32 v140, 0x400000, v95
	v_or_b32_e32 v144, 0x400000, v93
	;; [unrolled: 1-line block ×3, first 2 shown]
	v_bfe_u32 v147, v98, 16, 1
	v_bfe_u32 v151, v100, 16, 1
	v_or_b32_e32 v154, 0x400000, v101
	v_bfe_u32 v155, v102, 16, 1
	v_bfe_u32 v159, v104, 16, 1
	v_or_b32_e32 v162, 0x400000, v94
	v_bfe_u32 v163, v105, 16, 1
	v_or_b32_e32 v84, 0x400000, v114
	v_add3_u32 v139, v139, v95, 0x7fff
	v_cmp_u_f32_e64 s41, v95, v95
	v_add3_u32 v95, v141, v96, 0x7fff
	v_add3_u32 v141, v143, v93, 0x7fff
	v_cmp_u_f32_e64 s43, v93, v93
	v_add3_u32 v93, v145, v97, 0x7fff
	v_cmp_u_f32_e64 s44, v97, v97
	v_bfe_u32 v97, v118, 16, 1
	v_add3_u32 v145, v149, v99, 0x7fff
	v_add3_u32 v149, v153, v101, 0x7fff
	v_cmp_u_f32_e64 s38, v101, v101
	v_bfe_u32 v101, v119, 16, 1
	v_add3_u32 v153, v157, v103, 0x7fff
	;; [unrolled: 4-line block ×3, first 2 shown]
	v_add3_u32 v165, v169, v108, 0x7fff
	v_add3_u32 v169, v173, v110, 0x7fff
	;; [unrolled: 1-line block ×4, first 2 shown]
	v_cmp_u_f32_e64 s7, v114, v114
	v_bfe_u32 v114, v134, 16, 1
	v_bfe_u32 v82, v82, 16, 8
	v_mul_f32_e32 v113, s88, v113
	v_dual_mul_f32 v115, s88, v115 :: v_dual_mul_f32 v92, s88, v92
	v_or_b32_e32 v148, 0x400000, v98
	v_or_b32_e32 v156, 0x400000, v102
	;; [unrolled: 1-line block ×3, first 2 shown]
	v_bfe_u32 v167, v107, 16, 1
	v_bfe_u32 v171, v109, 16, 1
	v_or_b32_e32 v91, 0x400000, v110
	v_bfe_u32 v174, v111, 16, 1
	v_add3_u32 v143, v147, v98, 0x7fff
	v_cmp_u_f32_e64 s45, v98, v98
	v_or_b32_e32 v98, 0x400000, v118
	v_add3_u32 v147, v151, v100, 0x7fff
	v_add3_u32 v151, v155, v102, 0x7fff
	v_cmp_u_f32_e64 s39, v102, v102
	v_or_b32_e32 v102, 0x400000, v119
	v_add3_u32 v155, v159, v104, 0x7fff
	v_add3_u32 v159, v163, v105, 0x7fff
	v_cmp_u_f32_e64 s36, v105, v105
	v_or_b32_e32 v105, 0x400000, v132
	v_cmp_u_f32_e64 s11, v110, v110
	v_bfe_u32 v110, v122, 16, 1
	v_add3_u32 v97, v97, v118, 0x7fff
	v_cmp_u_f32_e64 s50, v118, v118
	v_add3_u32 v101, v101, v119, 0x7fff
	v_cmp_u_f32_e64 s35, v119, v119
	;; [unrolled: 2-line block ×3, first 2 shown]
	v_bfe_u32 v119, v136, 16, 1
	v_add3_u32 v132, v114, v134, 0x7fff
	v_bfe_u32 v114, v137, 16, 1
	v_cvt_f32_fp8_e32 v82, v82
	v_mul_f32_e32 v6, s88, v6
	v_mul_f32_e32 v116, s88, v116
	v_mul_f32_e32 v124, s88, v124
	v_or_b32_e32 v89, 0x400000, v111
	v_bfe_u32 v176, v113, 16, 1
	v_bfe_u32 v178, v115, 16, 1
	v_add3_u32 v163, v167, v107, 0x7fff
	v_add3_u32 v167, v171, v109, 0x7fff
	;; [unrolled: 1-line block ×3, first 2 shown]
	v_cmp_u_f32_e64 s10, v111, v111
	v_or_b32_e32 v111, 0x400000, v122
	v_add3_u32 v110, v110, v122, 0x7fff
	v_cmp_u_f32_e64 s21, v122, v122
	v_or_b32_e32 v122, 0x400000, v136
	v_add3_u32 v182, v119, v136, 0x7fff
	v_cmp_u_f32_e64 s18, v136, v136
	v_add3_u32 v136, v114, v137, 0x7fff
	v_bfe_u32 v114, v92, 16, 1
	s_wait_alu 0xf1ff
	v_cndmask_b32_e64 v149, v149, v154, s38
	v_cndmask_b32_e64 v154, v97, v98, s50
	v_mul_f32_e32 v117, s88, v117
	v_mul_f32_e32 v131, s88, v82
	;; [unrolled: 1-line block ×4, first 2 shown]
	v_bfe_u32 v83, v6, 16, 1
	v_or_b32_e32 v82, 0x400000, v115
	v_bfe_u32 v180, v116, 16, 1
	v_add3_u32 v174, v176, v113, 0x7fff
	v_add3_u32 v176, v178, v115, 0x7fff
	v_cmp_u_f32_e64 s6, v115, v115
	v_bfe_u32 v115, v124, 16, 1
	v_add3_u32 v183, v114, v92, 0x7fff
	v_dual_mul_f32 v123, s88, v123 :: v_dual_mul_f32 v130, s88, v130
	v_or_b32_e32 v142, 0x400000, v96
	v_or_b32_e32 v150, 0x400000, v99
	v_add3_u32 v179, v83, v6, 0x7fff
	v_or_b32_e32 v83, 0x400000, v116
	v_cmp_u_f32_e64 s42, v96, v96
	v_bfe_u32 v96, v117, 16, 1
	v_cmp_u_f32_e64 s46, v99, v99
	v_bfe_u32 v99, v131, 16, 1
	v_or_b32_e32 v177, 0x400000, v134
	v_add3_u32 v178, v180, v116, 0x7fff
	v_cmp_u_f32_e64 s5, v116, v116
	v_bfe_u32 v116, v135, 16, 1
	v_cmp_u_f32_e64 s22, v134, v134
	v_add3_u32 v134, v115, v124, 0x7fff
	v_bfe_u32 v115, v128, 16, 1
	v_dual_mul_f32 v120, s88, v120 :: v_dual_mul_f32 v121, s88, v121
	v_dual_mul_f32 v125, s88, v125 :: v_dual_mul_f32 v126, s88, v126
	v_mul_f32_e32 v127, s88, v127
	v_mul_f32_e32 v129, s88, v129
	v_or_b32_e32 v152, 0x400000, v100
	v_or_b32_e32 v88, 0x400000, v112
	v_cmp_u_f32_e64 s37, v100, v100
	v_or_b32_e32 v100, 0x400000, v131
	v_cmp_u_f32_e64 s9, v112, v112
	v_bfe_u32 v112, v123, 16, 1
	v_add3_u32 v180, v96, v117, 0x7fff
	v_or_b32_e32 v96, 0x400000, v124
	v_add3_u32 v99, v99, v131, 0x7fff
	v_cmp_u_f32_e64 s51, v131, v131
	v_or_b32_e32 v131, 0x400000, v135
	v_cmp_u_f32_e64 s31, v124, v124
	v_add3_u32 v124, v116, v135, 0x7fff
	v_cmp_u_f32_e64 s23, v135, v135
	v_or_b32_e32 v135, 0x400000, v137
	v_cmp_u_f32_e64 s19, v137, v137
	v_add3_u32 v137, v115, v128, 0x7fff
	v_bfe_u32 v115, v130, 16, 1
	v_or_b32_e32 v138, 0x400000, v6
	v_or_b32_e32 v158, 0x400000, v103
	;; [unrolled: 1-line block ×5, first 2 shown]
	v_cmp_u_f32_e64 s40, v6, v6
	v_or_b32_e32 v6, 0x400000, v117
	v_cmp_u_f32_e64 s47, v103, v103
	v_bfe_u32 v103, v120, 16, 1
	v_cmp_u_f32_e64 s27, v106, v106
	v_bfe_u32 v106, v121, 16, 1
	;; [unrolled: 2-line block ×3, first 2 shown]
	v_cmp_u_f32_e64 s8, v113, v113
	v_or_b32_e32 v113, 0x400000, v123
	v_cmp_u_f32_e64 s4, v117, v117
	v_bfe_u32 v117, v125, 16, 1
	v_bfe_u32 v118, v126, 16, 1
	v_add3_u32 v112, v112, v123, 0x7fff
	v_cmp_u_f32_e64 s30, v123, v123
	v_bfe_u32 v123, v127, 16, 1
	v_bfe_u32 v116, v129, 16, 1
	v_add3_u32 v184, v115, v130, 0x7fff
	v_or_b32_e32 v160, 0x400000, v104
	v_or_b32_e32 v168, 0x400000, v107
	v_or_b32_e32 v172, 0x400000, v109
	v_cmp_u_f32_e64 s48, v104, v104
	v_or_b32_e32 v104, 0x400000, v120
	v_cmp_u_f32_e64 s14, v107, v107
	v_or_b32_e32 v107, 0x400000, v121
	;; [unrolled: 2-line block ×3, first 2 shown]
	v_add3_u32 v103, v103, v120, 0x7fff
	v_cmp_u_f32_e64 s33, v120, v120
	v_or_b32_e32 v120, 0x400000, v125
	v_add3_u32 v106, v106, v121, 0x7fff
	v_cmp_u_f32_e64 s34, v121, v121
	v_or_b32_e32 v121, 0x400000, v126
	v_add3_u32 v108, v108, v133, 0x7fff
	v_cmp_u_f32_e64 s29, v133, v133
	v_or_b32_e32 v133, 0x400000, v127
	v_add3_u32 v181, v117, v125, 0x7fff
	v_cmp_u_f32_e64 s17, v125, v125
	v_add3_u32 v125, v118, v126, 0x7fff
	v_cmp_u_f32_e64 s24, v126, v126
	v_or_b32_e32 v126, 0x400000, v128
	v_add3_u32 v123, v123, v127, 0x7fff
	v_cmp_u_f32_e64 s25, v127, v127
	v_or_b32_e32 v127, 0x400000, v129
	v_cmp_u_f32_e64 s15, v128, v128
	v_add3_u32 v128, v116, v129, 0x7fff
	v_cmp_u_f32_e64 s20, v129, v129
	v_or_b32_e32 v129, 0x400000, v92
	v_cmp_u_f32_e64 s16, v92, v92
	v_or_b32_e32 v92, 0x400000, v130
	v_cmp_u_f32_e64 s26, v130, v130
	s_wait_alu 0xf1ff
	v_cndmask_b32_e64 v130, v179, v138, s40
	v_cndmask_b32_e64 v139, v139, v140, s41
	v_cndmask_b32_e64 v142, v95, v142, s42
	v_cndmask_b32_e64 v145, v145, v150, s46
	v_cndmask_b32_e64 v150, v151, v156, s39
	v_cndmask_b32_e64 v151, v153, v158, s47
	v_cndmask_b32_e64 v158, v101, v102, s35
	v_cndmask_b32_e64 v147, v147, v152, s37
	v_cndmask_b32_e64 v152, v155, v160, s48
	v_cndmask_b32_e64 v155, v159, v164, s36
	v_cndmask_b32_e64 v141, v141, v144, s43
	v_cndmask_b32_e64 v146, v93, v146, s44
	v_cndmask_b32_e64 v143, v143, v148, s45
	v_cndmask_b32_e64 v153, v157, v162, s49
	v_cndmask_b32_e64 v156, v99, v100, s51
	v_cndmask_b32_e64 v157, v161, v166, s27
	v_cndmask_b32_e64 v113, v112, v113, s30
	v_cndmask_b32_e64 v17, v103, v104, s33
	v_cndmask_b32_e64 v103, v169, v91, s11
	s_wait_loadcnt 0x8
	v_bfe_u32 v97, v90, 8, 8
	s_wait_loadcnt 0x7
	v_bfe_u32 v98, v87, 8, 8
	v_bfe_u32 v99, v87, 16, 8
	v_cndmask_b32_e64 v104, v173, v88, s9
	v_cndmask_b32_e64 v119, v94, v105, s28
	v_cvt_f32_fp8_e32 v97, v97
	v_cvt_f32_fp8_e32 v98, v98
	v_and_b32_e32 v114, 0xff, v81
	s_wait_loadcnt 0x5
	v_and_b32_e32 v100, 0xff, v68
	v_cvt_f32_fp8_e32 v99, v99
	v_mul_f32_e32 v189, s88, v97
	v_mul_f32_e32 v191, s88, v98
	v_cvt_f32_fp8_e32 v114, v114
	v_cvt_f32_fp8_e32 v100, v100
	v_cndmask_b32_e64 v97, v137, v126, s15
	v_cndmask_b32_e64 v94, v184, v92, s26
	;; [unrolled: 1-line block ×3, first 2 shown]
	v_mul_f32_e32 v114, s88, v114
	v_cndmask_b32_e64 v118, v165, v170, s13
	v_cndmask_b32_e64 v105, v123, v133, s25
	;; [unrolled: 1-line block ×3, first 2 shown]
	v_bfe_u32 v159, v68, 8, 8
	v_bfe_u32 v115, v114, 16, 1
	v_or_b32_e32 v116, 0x400000, v114
	v_cmp_u_f32_e64 s40, v114, v114
	v_mul_f32_e32 v7, s88, v100
	v_cndmask_b32_e64 v100, v174, v85, s8
	v_add3_u32 v115, v115, v114, 0x7fff
	v_bfe_u32 v114, v81, 8, 8
	v_or_b32_e32 v85, 0x400000, v189
	v_mul_f32_e32 v15, s88, v99
	v_cndmask_b32_e64 v99, v128, v127, s20
	s_wait_alu 0xf1ff
	v_cndmask_b32_e64 v138, v115, v116, s40
	v_cvt_f32_fp8_e32 v114, v114
	v_and_b32_e32 v17, 0xffff0000, v17
	v_bfe_u32 v82, v15, 16, 1
	v_or_b32_e32 v126, 0x400000, v15
	s_delay_alu instid0(VALU_DEP_4) | instskip(NEXT) | instid1(VALU_DEP_3)
	v_mul_f32_e32 v114, s88, v114
	v_add3_u32 v82, v82, v15, 0x7fff
	s_delay_alu instid0(VALU_DEP_2) | instskip(SKIP_2) | instid1(VALU_DEP_3)
	v_bfe_u32 v115, v114, 16, 1
	v_or_b32_e32 v116, 0x400000, v114
	v_cmp_u_f32_e64 s40, v114, v114
	v_add3_u32 v115, v115, v114, 0x7fff
	v_bfe_u32 v114, v81, 16, 8
	v_lshrrev_b32_e32 v81, 24, v81
	s_wait_alu 0xf1ff
	s_delay_alu instid0(VALU_DEP_3) | instskip(NEXT) | instid1(VALU_DEP_3)
	v_cndmask_b32_e64 v140, v115, v116, s40
	v_cvt_f32_fp8_e32 v114, v114
	s_delay_alu instid0(VALU_DEP_3) | instskip(NEXT) | instid1(VALU_DEP_1)
	v_cvt_f32_fp8_e32 v81, v81
	v_dual_mul_f32 v114, s88, v114 :: v_dual_mul_f32 v81, s88, v81
	s_delay_alu instid0(VALU_DEP_1) | instskip(SKIP_2) | instid1(VALU_DEP_4)
	v_bfe_u32 v115, v114, 16, 1
	v_or_b32_e32 v116, 0x400000, v114
	v_cmp_u_f32_e64 s40, v114, v114
	v_bfe_u32 v95, v81, 16, 1
	s_delay_alu instid0(VALU_DEP_4) | instskip(SKIP_1) | instid1(VALU_DEP_3)
	v_add3_u32 v115, v115, v114, 0x7fff
	v_or_b32_e32 v114, 0x400000, v81
	v_add3_u32 v95, v95, v81, 0x7fff
	s_wait_alu 0xf1ff
	s_delay_alu instid0(VALU_DEP_3) | instskip(SKIP_3) | instid1(VALU_DEP_3)
	v_cndmask_b32_e64 v179, v115, v116, s40
	v_bfe_u32 v115, v86, 16, 8
	v_cmp_u_f32_e64 s40, v81, v81
	v_lshrrev_b32_e32 v116, 24, v86
	v_cvt_f32_fp8_e32 v102, v115
	v_and_b32_e32 v81, 0xff, v33
	s_wait_alu 0xf1ff
	v_cndmask_b32_e64 v185, v95, v114, s40
	s_delay_alu instid0(VALU_DEP_3) | instskip(NEXT) | instid1(VALU_DEP_3)
	v_mul_f32_e32 v164, s88, v102
	v_cvt_f32_fp8_e32 v81, v81
	v_cndmask_b32_e64 v102, v182, v122, s18
	s_delay_alu instid0(VALU_DEP_3) | instskip(NEXT) | instid1(VALU_DEP_3)
	v_bfe_u32 v112, v164, 16, 1
	v_mul_f32_e32 v81, s88, v81
	s_delay_alu instid0(VALU_DEP_1) | instskip(SKIP_2) | instid1(VALU_DEP_3)
	v_bfe_u32 v95, v81, 16, 1
	v_or_b32_e32 v114, 0x400000, v81
	v_cmp_u_f32_e64 s40, v81, v81
	v_add3_u32 v95, v95, v81, 0x7fff
	v_bfe_u32 v81, v33, 8, 8
	v_lshrrev_b32_e32 v33, 24, v33
	s_wait_alu 0xf1ff
	s_delay_alu instid0(VALU_DEP_3) | instskip(NEXT) | instid1(VALU_DEP_3)
	v_cndmask_b32_e64 v144, v95, v114, s40
	v_cvt_f32_fp8_e32 v81, v81
	s_delay_alu instid0(VALU_DEP_3) | instskip(NEXT) | instid1(VALU_DEP_2)
	v_cvt_f32_fp8_e32 v33, v33
	v_mul_f32_e32 v81, s88, v81
	s_delay_alu instid0(VALU_DEP_2) | instskip(NEXT) | instid1(VALU_DEP_2)
	v_mul_f32_e32 v33, s88, v33
	v_bfe_u32 v95, v81, 16, 1
	v_or_b32_e32 v114, 0x400000, v81
	v_cmp_u_f32_e64 s40, v81, v81
	s_delay_alu instid0(VALU_DEP_4) | instskip(NEXT) | instid1(VALU_DEP_4)
	v_or_b32_e32 v93, 0x400000, v33
	v_add3_u32 v95, v95, v81, 0x7fff
	v_bfe_u32 v81, v33, 16, 1
	s_wait_alu 0xf1ff
	s_delay_alu instid0(VALU_DEP_2) | instskip(NEXT) | instid1(VALU_DEP_2)
	v_cndmask_b32_e64 v186, v95, v114, s40
	v_add3_u32 v81, v81, v33, 0x7fff
	v_cmp_u_f32_e64 s40, v33, v33
	s_wait_alu 0xf1ff
	s_delay_alu instid0(VALU_DEP_1) | instskip(SKIP_1) | instid1(VALU_DEP_1)
	v_cndmask_b32_e64 v33, v81, v93, s40
	v_bfe_u32 v81, v34, 8, 8
	v_cvt_f32_fp8_e32 v81, v81
	s_delay_alu instid0(VALU_DEP_1) | instskip(NEXT) | instid1(VALU_DEP_1)
	v_mul_f32_e32 v81, s88, v81
	v_bfe_u32 v93, v81, 16, 1
	v_or_b32_e32 v95, 0x400000, v81
	v_cmp_u_f32_e64 s40, v81, v81
	s_delay_alu instid0(VALU_DEP_3) | instskip(SKIP_3) | instid1(VALU_DEP_3)
	v_add3_u32 v93, v93, v81, 0x7fff
	v_bfe_u32 v81, v34, 16, 8
	v_lshrrev_b32_e32 v34, 24, v34
	s_wait_alu 0xf1ff
	v_cndmask_b32_e64 v148, v93, v95, s40
	s_delay_alu instid0(VALU_DEP_3) | instskip(NEXT) | instid1(VALU_DEP_3)
	v_cvt_f32_fp8_e32 v81, v81
	v_cvt_f32_fp8_e32 v34, v34
	s_delay_alu instid0(VALU_DEP_1) | instskip(NEXT) | instid1(VALU_DEP_1)
	v_dual_mul_f32 v81, s88, v81 :: v_dual_mul_f32 v34, s88, v34
	v_bfe_u32 v93, v81, 16, 1
	v_or_b32_e32 v95, 0x400000, v81
	v_cmp_u_f32_e64 s40, v81, v81
	s_delay_alu instid0(VALU_DEP_3) | instskip(SKIP_2) | instid1(VALU_DEP_2)
	v_add3_u32 v93, v93, v81, 0x7fff
	v_bfe_u32 v81, v34, 16, 1
	s_wait_alu 0xf1ff
	v_cndmask_b32_e64 v187, v93, v95, s40
	s_delay_alu instid0(VALU_DEP_2) | instskip(SKIP_3) | instid1(VALU_DEP_1)
	v_add3_u32 v81, v81, v34, 0x7fff
	v_or_b32_e32 v93, 0x400000, v34
	v_cmp_u_f32_e64 s40, v34, v34
	s_wait_alu 0xf1ff
	v_cndmask_b32_e64 v34, v81, v93, s40
	v_bfe_u32 v81, v35, 16, 1
	v_or_b32_e32 v93, 0x400000, v35
	v_cmp_u_f32_e64 s40, v35, v35
	s_delay_alu instid0(VALU_DEP_3) | instskip(SKIP_1) | instid1(VALU_DEP_1)
	v_add3_u32 v81, v81, v35, 0x7fff
	s_wait_alu 0xf1ff
	v_cndmask_b32_e64 v35, v81, v93, s40
	v_lshrrev_b32_e32 v81, 24, v64
	v_bfe_u32 v64, v64, 16, 8
	v_bfe_u32 v93, v90, 16, 8
	s_delay_alu instid0(VALU_DEP_3) | instskip(SKIP_1) | instid1(VALU_DEP_4)
	v_cvt_f32_fp8_e32 v81, v81
	v_and_b32_e32 v114, 0xff, v86
	v_cvt_f32_fp8_e32 v64, v64
	v_and_b32_e32 v117, 0xff, v90
	v_bfe_u32 v86, v86, 8, 8
	v_mul_f32_e32 v81, s88, v81
	v_cvt_f32_fp8_e32 v101, v114
	v_cvt_f32_fp8_e32 v114, v116
	v_dual_mul_f32 v64, s88, v64 :: v_dual_and_b32 v95, 0xff, v87
	v_lshrrev_b32_e32 v87, 24, v87
	v_cvt_f32_fp8_e32 v115, v117
	v_cvt_f32_fp8_e32 v86, v86
	v_mul_f32_e32 v166, s88, v114
	v_cndmask_b32_e64 v114, v110, v111, s21
	v_cndmask_b32_e64 v111, v171, v89, s10
	v_bfe_u32 v89, v64, 16, 1
	v_lshrrev_b32_e32 v90, 24, v90
	v_cvt_f32_fp8_e32 v93, v93
	v_cvt_f32_fp8_e32 v87, v87
	v_mul_f32_e32 v162, s88, v101
	v_mul_f32_e32 v188, s88, v115
	v_mul_f32_e32 v16, s88, v86
	v_bfe_u32 v86, v81, 16, 1
	v_cndmask_b32_e64 v115, v108, v109, s29
	v_cndmask_b32_e64 v109, v134, v96, s31
	;; [unrolled: 1-line block ×3, first 2 shown]
	v_or_b32_e32 v124, 0x400000, v64
	v_cndmask_b32_e64 v96, v136, v135, s19
	v_add3_u32 v136, v112, v164, 0x7fff
	v_add3_u32 v89, v89, v64, 0x7fff
	v_cndmask_b32_e64 v112, v180, v6, s4
	v_cmp_u_f32_e64 s4, v64, v64
	v_cvt_f32_fp8_e32 v90, v90
	v_mul_f32_e32 v160, s88, v93
	v_mul_f32_e32 v8, s88, v87
	v_or_b32_e32 v87, 0x400000, v81
	v_bfe_u32 v91, v166, 16, 1
	v_bfe_u32 v88, v188, 16, 1
	v_add3_u32 v86, v86, v81, 0x7fff
	s_wait_alu 0xf1ff
	v_cndmask_b32_e64 v89, v89, v124, s4
	v_cmp_u_f32_e64 s4, v81, v81
	v_mul_f32_e32 v190, s88, v90
	v_bfe_u32 v90, v160, 16, 1
	v_cndmask_b32_e64 v117, v106, v107, s34
	v_cndmask_b32_e64 v107, v181, v120, s17
	v_or_b32_e32 v120, 0x400000, v188
	v_cndmask_b32_e64 v110, v125, v121, s24
	v_bfe_u32 v121, v189, 16, 1
	v_add3_u32 v137, v91, v166, 0x7fff
	v_add3_u32 v88, v88, v188, 0x7fff
	s_wait_alu 0xf1ff
	v_cndmask_b32_e64 v91, v86, v87, s4
	v_cmp_u_f32_e64 s4, v188, v188
	v_cvt_f32_fp8_e32 v95, v95
	v_add3_u32 v131, v90, v160, 0x7fff
	v_add3_u32 v92, v121, v189, 0x7fff
	v_or_b32_e32 v168, 0x400000, v160
	s_wait_alu 0xf1ff
	v_cndmask_b32_e64 v90, v88, v120, s4
	v_cmp_u_f32_e64 s4, v189, v189
	v_mul_f32_e32 v161, s88, v95
	v_bfe_u32 v122, v190, 16, 1
	v_or_b32_e32 v123, 0x400000, v190
	v_cndmask_b32_e64 v108, v175, v84, s7
	s_wait_alu 0xf1ff
	v_cndmask_b32_e64 v92, v92, v85, s4
	v_cmp_u_f32_e64 s4, v160, v160
	v_bfe_u32 v165, v161, 16, 1
	v_add3_u32 v121, v122, v190, 0x7fff
	v_or_b32_e32 v170, 0x400000, v161
	v_bfe_u32 v84, v191, 16, 1
	s_wait_alu 0xf1ff
	v_cndmask_b32_e64 v87, v131, v168, s4
	v_cmp_u_f32_e64 s4, v190, v190
	v_add3_u32 v133, v165, v161, 0x7fff
	v_or_b32_e32 v125, 0x400000, v191
	v_add3_u32 v84, v84, v191, 0x7fff
	v_cndmask_b32_e64 v116, v167, v172, s12
	s_wait_alu 0xf1ff
	v_cndmask_b32_e64 v88, v121, v123, s4
	v_cmp_u_f32_e64 s4, v161, v161
	v_bfe_u32 v167, v162, 16, 1
	v_cndmask_b32_e64 v93, v178, v83, s5
	v_or_b32_e32 v172, 0x400000, v162
	v_and_b32_e32 v121, 0xffff0000, v185
	s_wait_alu 0xf1ff
	v_cndmask_b32_e64 v85, v133, v170, s4
	v_cmp_u_f32_e64 s4, v191, v191
	v_bfe_u32 v128, v16, 16, 1
	v_add3_u32 v135, v167, v162, 0x7fff
	v_cndmask_b32_e64 v95, v183, v129, s16
	v_or_b32_e32 v129, 0x400000, v16
	s_wait_alu 0xf1ff
	v_cndmask_b32_e64 v86, v84, v125, s4
	v_cmp_u_f32_e64 s4, v15, v15
	v_and_b32_e32 v15, 0xffff0000, v130
	v_bfe_u32 v127, v8, 16, 1
	v_or_b32_e32 v83, 0x400000, v8
	v_and_b32_e32 v120, 0xffff0000, v179
	s_wait_alu 0xf1ff
	v_cndmask_b32_e64 v81, v82, v126, s4
	v_cmp_u_f32_e64 s4, v8, v8
	v_add3_u32 v122, v127, v8, 0x7fff
	v_add3_u32 v127, v128, v16, 0x7fff
	v_and_b32_e32 v125, 0xffff0000, v186
	v_and_b32_e32 v133, 0xffff0000, v35
	;; [unrolled: 1-line block ×3, first 2 shown]
	s_wait_alu 0xf1ff
	v_cndmask_b32_e64 v83, v122, v83, s4
	v_cmp_u_f32_e64 s4, v162, v162
	v_and_b32_e32 v122, 0xffff0000, v142
	v_cndmask_b32_e64 v106, v132, v177, s22
	v_or_b32_e32 v132, 0x400000, v164
	v_or_b32_e32 v134, 0x400000, v166
	s_wait_alu 0xf1ff
	v_cndmask_b32_e64 v82, v135, v172, s4
	v_cmp_u_f32_e64 s4, v16, v16
	v_and_b32_e32 v16, 0xffff0000, v139
	s_wait_alu 0xf1ff
	s_delay_alu instid0(VALU_DEP_2)
	v_cndmask_b32_e64 v84, v127, v129, s4
	v_and_b32_e32 v127, 0xffff0000, v33
	v_mul_f32_e32 v33, v58, v120
	v_and_b32_e32 v8, 0xffff0000, v140
	v_cmp_u_f32_e64 s4, v164, v164
	s_wait_loadcnt 0x3
	v_bfe_u32 v58, v65, 16, 8
	v_fmac_f32_e32 v33, v55, v122
	v_dual_mul_f32 v35, v80, v8 :: v_dual_and_b32 v6, 0xffff0000, v138
	v_and_b32_e32 v123, 0xffff0000, v141
	s_wait_alu 0xf1ff
	v_cndmask_b32_e64 v64, v136, v132, s4
	v_cmp_u_f32_e64 s4, v166, v166
	v_dual_mul_f32 v34, v59, v6 :: v_dual_fmac_f32 v35, v78, v16
	v_dual_mul_f32 v6, v79, v121 :: v_dual_and_b32 v129, 0xffff0000, v148
	v_and_b32_e32 v16, 0xffff0000, v152
	s_delay_alu instid0(VALU_DEP_3) | instskip(NEXT) | instid1(VALU_DEP_3)
	v_fmac_f32_e32 v34, v57, v15
	v_dual_fmac_f32 v35, v77, v125 :: v_dual_fmac_f32 v6, v76, v123
	v_and_b32_e32 v126, 0xffff0000, v146
	s_wait_loadcnt 0x2
	v_and_b32_e32 v59, 0xff, v62
	s_delay_alu instid0(VALU_DEP_3) | instskip(NEXT) | instid1(VALU_DEP_3)
	v_dual_fmac_f32 v35, v74, v129 :: v_dual_and_b32 v124, 0xffff0000, v144
	v_dual_fmac_f32 v33, v54, v126 :: v_dual_and_b32 v130, 0xffff0000, v187
	s_delay_alu instid0(VALU_DEP_2) | instskip(SKIP_1) | instid1(VALU_DEP_4)
	v_dual_fmac_f32 v6, v75, v127 :: v_dual_fmac_f32 v35, v72, v133
	v_and_b32_e32 v128, 0xffff0000, v143
	v_fmac_f32_e32 v34, v56, v124
	s_delay_alu instid0(VALU_DEP_3) | instskip(SKIP_2) | instid1(VALU_DEP_4)
	v_dual_fmac_f32 v33, v52, v130 :: v_dual_fmac_f32 v6, v73, v131
	v_and_b32_e32 v15, 0xffff0000, v151
	v_and_b32_e32 v136, 0xffff0000, v149
	v_dual_fmac_f32 v34, v53, v128 :: v_dual_and_b32 v135, 0xffff0000, v147
	s_delay_alu instid0(VALU_DEP_3) | instskip(SKIP_1) | instid1(VALU_DEP_3)
	v_dual_fmac_f32 v35, v70, v15 :: v_dual_and_b32 v132, 0xffff0000, v145
	v_bfe_u32 v15, v7, 16, 1
	v_dual_fmac_f32 v6, v71, v136 :: v_dual_fmac_f32 v33, v50, v135
	v_and_b32_e32 v8, 0xffff0000, v150
	s_delay_alu instid0(VALU_DEP_4) | instskip(NEXT) | instid1(VALU_DEP_4)
	v_fmac_f32_e32 v34, v51, v132
	v_add3_u32 v15, v15, v7, 0x7fff
	v_lshrrev_b32_e32 v51, 24, v68
	v_dual_fmac_f32 v33, v48, v16 :: v_dual_and_b32 v50, 0xffff0000, v154
	s_delay_alu instid0(VALU_DEP_4)
	v_fmac_f32_e32 v34, v49, v8
	v_cvt_f32_fp8_e32 v8, v159
	s_wait_alu 0xf1ff
	v_cndmask_b32_e64 v48, v137, v134, s4
	v_cmp_u_f32_e64 s4, v7, v7
	v_bfe_u32 v16, v68, 16, 8
	v_fmac_f32_e32 v34, v47, v50
	v_mul_f32_e32 v8, s88, v8
	v_or_b32_e32 v47, 0x400000, v7
	s_delay_alu instid0(VALU_DEP_4) | instskip(NEXT) | instid1(VALU_DEP_3)
	v_cvt_f32_fp8_e32 v16, v16
	v_bfe_u32 v50, v8, 16, 1
	s_wait_alu 0xf1ff
	s_delay_alu instid0(VALU_DEP_3)
	v_cndmask_b32_e64 v49, v15, v47, s4
	v_or_b32_e32 v15, 0x400000, v8
	v_cmp_u_f32_e64 s4, v8, v8
	v_mul_f32_e32 v16, s88, v16
	v_add3_u32 v7, v50, v8, 0x7fff
	v_cvt_f32_fp8_e32 v47, v51
	s_delay_alu instid0(VALU_DEP_3) | instskip(SKIP_1) | instid1(VALU_DEP_3)
	v_bfe_u32 v51, v16, 16, 1
	s_wait_alu 0xf1ff
	v_cndmask_b32_e64 v50, v7, v15, s4
	v_bfe_u32 v15, v66, 8, 8
	v_dual_mul_f32 v8, s88, v47 :: v_dual_and_b32 v7, 0xff, v66
	v_add3_u32 v47, v51, v16, 0x7fff
	v_or_b32_e32 v51, 0x400000, v16
	s_delay_alu instid0(VALU_DEP_4) | instskip(SKIP_4) | instid1(VALU_DEP_4)
	v_cvt_f32_fp8_e32 v15, v15
	v_and_b32_e32 v52, 0xffff0000, v153
	v_cvt_f32_fp8_e32 v7, v7
	v_cmp_u_f32_e64 s4, v16, v16
	v_bfe_u32 v16, v66, 16, 8
	v_dual_mul_f32 v15, s88, v15 :: v_dual_fmac_f32 v6, v69, v52
	v_and_b32_e32 v52, 0xffff0000, v155
	v_mul_f32_e32 v7, s88, v7
	s_wait_alu 0xf1ff
	v_cndmask_b32_e64 v47, v47, v51, s4
	v_cvt_f32_fp8_e32 v16, v16
	v_cmp_u_f32_e64 s4, v8, v8
	v_fmac_f32_e32 v35, v67, v52
	v_bfe_u32 v52, v8, 16, 1
	v_bfe_u32 v53, v7, 16, 1
	;; [unrolled: 1-line block ×3, first 2 shown]
	v_mul_f32_e32 v16, s88, v16
	v_or_b32_e32 v55, 0x400000, v15
	v_add3_u32 v51, v52, v8, 0x7fff
	v_or_b32_e32 v52, 0x400000, v8
	v_add3_u32 v8, v53, v7, 0x7fff
	v_add3_u32 v53, v54, v15, 0x7fff
	v_lshrrev_b32_e32 v54, 24, v66
	v_fmac_f32_e32 v35, v61, v17
	s_wait_alu 0xf1ff
	v_cndmask_b32_e64 v51, v51, v52, s4
	v_or_b32_e32 v52, 0x400000, v7
	v_cmp_u_f32_e64 s4, v7, v7
	v_bfe_u32 v7, v16, 16, 1
	s_wait_loadcnt 0x0
	v_bfe_u32 v67, v5, 8, 8
	v_bfe_u32 v69, v5, 16, 8
	s_wait_alu 0xf1ff
	v_cndmask_b32_e64 v52, v8, v52, s4
	v_cmp_u_f32_e64 s4, v15, v15
	v_cvt_f32_fp8_e32 v8, v54
	v_and_b32_e32 v15, 0xffff0000, v156
	v_and_b32_e32 v54, 0xff, v65
	v_add3_u32 v7, v7, v16, 0x7fff
	s_wait_alu 0xf1ff
	v_cndmask_b32_e64 v53, v53, v55, s4
	v_or_b32_e32 v55, 0x400000, v16
	v_cmp_u_f32_e64 s4, v16, v16
	v_dual_mul_f32 v8, s88, v8 :: v_dual_fmac_f32 v33, v43, v15
	v_cvt_f32_fp8_e32 v15, v54
	s_wait_alu 0xf1ff
	s_delay_alu instid0(VALU_DEP_3)
	v_cndmask_b32_e64 v54, v7, v55, s4
	v_bfe_u32 v7, v65, 8, 8
	v_bfe_u32 v43, v8, 16, 1
	v_mul_f32_e32 v15, s88, v15
	v_and_b32_e32 v55, 0xffff0000, v157
	v_cmp_u_f32_e64 s4, v8, v8
	v_cvt_f32_fp8_e32 v7, v7
	v_add3_u32 v16, v43, v8, 0x7fff
	v_or_b32_e32 v43, 0x400000, v8
	v_bfe_u32 v57, v15, 16, 1
	v_fmac_f32_e32 v6, v63, v55
	v_mul_f32_e32 v7, s88, v7
	v_cvt_f32_fp8_e32 v8, v58
	s_wait_alu 0xf1ff
	v_cndmask_b32_e64 v56, v16, v43, s4
	v_add3_u32 v16, v57, v15, 0x7fff
	v_or_b32_e32 v43, 0x400000, v15
	v_bfe_u32 v55, v7, 16, 1
	v_lshrrev_b32_e32 v57, 24, v65
	v_cmp_u_f32_e64 s4, v15, v15
	v_dual_mul_f32 v8, s88, v8 :: v_dual_and_b32 v63, 0xffff0000, v158
	s_delay_alu instid0(VALU_DEP_4) | instskip(NEXT) | instid1(VALU_DEP_4)
	v_add3_u32 v15, v55, v7, 0x7fff
	v_cvt_f32_fp8_e32 v57, v57
	s_wait_alu 0xf1ff
	v_cndmask_b32_e64 v43, v16, v43, s4
	v_or_b32_e32 v16, 0x400000, v7
	v_cmp_u_f32_e64 s4, v7, v7
	v_bfe_u32 v58, v8, 16, 1
	v_mul_f32_e32 v7, s88, v57
	v_bfe_u32 v57, v62, 8, 8
	v_fmac_f32_e32 v34, v36, v63
	s_wait_alu 0xf1ff
	v_cndmask_b32_e64 v55, v15, v16, s4
	v_cvt_f32_fp8_e32 v15, v59
	v_add3_u32 v16, v58, v8, 0x7fff
	v_or_b32_e32 v36, 0x400000, v8
	v_bfe_u32 v58, v7, 16, 1
	v_cvt_f32_fp8_e32 v57, v57
	v_mul_f32_e32 v15, s88, v15
	v_cmp_u_f32_e64 s4, v8, v8
	v_bfe_u32 v63, v62, 16, 8
	s_delay_alu instid0(VALU_DEP_4) | instskip(NEXT) | instid1(VALU_DEP_4)
	v_mul_f32_e32 v59, s88, v57
	v_bfe_u32 v8, v15, 16, 1
	s_wait_alu 0xf1ff
	v_cndmask_b32_e64 v36, v16, v36, s4
	v_add3_u32 v16, v58, v7, 0x7fff
	v_or_b32_e32 v58, 0x400000, v7
	v_cmp_u_f32_e64 s4, v7, v7
	v_add3_u32 v8, v8, v15, 0x7fff
	v_or_b32_e32 v65, 0x400000, v15
	v_cvt_f32_fp8_e32 v7, v63
	v_and_b32_e32 v63, 0xffff0000, v163
	s_wait_alu 0xf1ff
	v_cndmask_b32_e64 v57, v16, v58, s4
	v_bfe_u32 v16, v59, 16, 1
	v_cmp_u_f32_e64 s4, v15, v15
	v_mul_f32_e32 v7, s88, v7
	v_fmac_f32_e32 v33, v32, v63
	v_lshrrev_b32_e32 v63, 24, v60
	v_add3_u32 v15, v16, v59, 0x7fff
	s_wait_alu 0xf1ff
	v_cndmask_b32_e64 v58, v8, v65, s4
	v_lshrrev_b32_e32 v8, 24, v62
	v_or_b32_e32 v16, 0x400000, v59
	v_cmp_u_f32_e64 s4, v59, v59
	v_bfe_u32 v62, v7, 16, 1
	v_or_b32_e32 v17, 0x400000, v7
	v_cvt_f32_fp8_e32 v8, v8
	v_bfe_u32 v65, v60, 8, 8
	s_wait_alu 0xf1ff
	v_cndmask_b32_e64 v59, v15, v16, s4
	v_and_b32_e32 v15, 0xff, v60
	v_add3_u32 v16, v62, v7, 0x7fff
	v_mul_f32_e32 v8, s88, v8
	v_cmp_u_f32_e64 s4, v7, v7
	s_delay_alu instid0(VALU_DEP_4) | instskip(NEXT) | instid1(VALU_DEP_3)
	v_cvt_f32_fp8_e32 v15, v15
	v_bfe_u32 v62, v8, 16, 1
	s_wait_alu 0xf1ff
	s_delay_alu instid0(VALU_DEP_3)
	v_cndmask_b32_e64 v61, v16, v17, s4
	v_cvt_f32_fp8_e32 v16, v65
	v_mul_f32_e32 v7, s88, v15
	v_bfe_u32 v17, v60, 16, 8
	v_add3_u32 v15, v62, v8, 0x7fff
	v_or_b32_e32 v32, 0x400000, v8
	v_mul_f32_e32 v16, s88, v16
	v_bfe_u32 v62, v7, 16, 1
	v_cvt_f32_fp8_e32 v17, v17
	v_cmp_u_f32_e64 s4, v8, v8
	s_delay_alu instid0(VALU_DEP_3) | instskip(SKIP_2) | instid1(VALU_DEP_3)
	v_add3_u32 v8, v62, v7, 0x7fff
	v_bfe_u32 v62, v16, 16, 1
	s_wait_alu 0xf1ff
	v_cndmask_b32_e64 v32, v15, v32, s4
	v_or_b32_e32 v15, 0x400000, v7
	v_mul_f32_e32 v17, s88, v17
	v_cmp_u_f32_e64 s4, v7, v7
	v_add3_u32 v7, v62, v16, 0x7fff
	s_delay_alu instid0(VALU_DEP_3) | instskip(SKIP_1) | instid1(VALU_DEP_3)
	v_bfe_u32 v65, v17, 16, 1
	s_wait_alu 0xf1ff
	v_cndmask_b32_e64 v60, v8, v15, s4
	v_or_b32_e32 v8, 0x400000, v16
	v_cvt_f32_fp8_e32 v15, v63
	v_cmp_u_f32_e64 s4, v16, v16
	v_and_b32_e32 v63, 0xff, v5
	v_or_b32_e32 v16, 0x400000, v17
	v_lshrrev_b32_e32 v5, 24, v5
	s_wait_alu 0xf1ff
	v_cndmask_b32_e64 v62, v7, v8, s4
	v_mul_f32_e32 v7, s88, v15
	v_add3_u32 v15, v65, v17, 0x7fff
	v_and_b32_e32 v65, 0xffff0000, v119
	v_cvt_f32_fp8_e32 v8, v63
	v_cmp_u_f32_e64 s4, v17, v17
	v_cvt_f32_fp8_e32 v5, v5
	s_delay_alu instid0(VALU_DEP_4)
	v_fmac_f32_e32 v6, v46, v65
	v_bfe_u32 v66, v7, 16, 1
	v_mul_f32_e32 v8, s88, v8
	s_wait_alu 0xf1ff
	v_cndmask_b32_e64 v63, v15, v16, s4
	v_or_b32_e32 v16, 0x400000, v7
	v_cmp_u_f32_e64 s4, v7, v7
	v_add3_u32 v15, v66, v7, 0x7fff
	v_cvt_f32_fp8_e32 v66, v67
	v_bfe_u32 v17, v8, 16, 1
	v_or_b32_e32 v70, 0x400000, v8
	v_mul_f32_e32 v5, s88, v5
	s_wait_alu 0xf1ff
	v_cndmask_b32_e64 v46, v15, v16, s4
	v_dual_mul_f32 v15, s88, v66 :: v_dual_and_b32 v16, 0xffff0000, v117
	v_add3_u32 v7, v17, v8, 0x7fff
	ds_load_b128 v[65:68], v12 offset:96
	v_cmp_u_f32_e64 s4, v8, v8
	v_bfe_u32 v71, v15, 16, 1
	v_fmac_f32_e32 v34, v31, v16
	v_and_b32_e32 v31, 0xffff0000, v116
	v_and_b32_e32 v17, 0xffff0000, v118
	v_cvt_f32_fp8_e32 v16, v69
	s_wait_alu 0xf1ff
	v_cndmask_b32_e64 v7, v7, v70, s4
	v_add3_u32 v8, v71, v15, 0x7fff
	v_dual_fmac_f32 v6, v44, v31 :: v_dual_fmac_f32 v35, v45, v17
	v_and_b32_e32 v17, 0xffff0000, v115
	v_and_b32_e32 v31, 0xffff0000, v109
	v_dual_mul_f32 v16, s88, v16 :: v_dual_and_b32 v69, 0xffff0000, v114
	v_or_b32_e32 v45, 0x400000, v15
	s_delay_alu instid0(VALU_DEP_4) | instskip(SKIP_1) | instid1(VALU_DEP_4)
	v_fmac_f32_e32 v33, v30, v17
	v_and_b32_e32 v30, 0xffff0000, v113
	v_fmac_f32_e32 v34, v29, v69
	v_bfe_u32 v17, v16, 16, 1
	v_cmp_u_f32_e64 s4, v15, v15
	ds_load_b128 v[69:72], v12 offset:112
	v_fmac_f32_e32 v35, v42, v30
	v_and_b32_e32 v30, 0xffff0000, v106
	v_dual_fmac_f32 v34, v27, v31 :: v_dual_and_b32 v27, 0xffff0000, v104
	v_add3_u32 v15, v17, v16, 0x7fff
	v_and_b32_e32 v42, 0xffff0000, v111
	s_delay_alu instid0(VALU_DEP_4)
	v_fmac_f32_e32 v6, v41, v30
	v_and_b32_e32 v30, 0xffff0000, v110
	s_wait_alu 0xf1ff
	v_cndmask_b32_e64 v8, v8, v45, s4
	v_or_b32_e32 v44, 0x400000, v16
	v_cmp_u_f32_e64 s4, v16, v16
	v_fmac_f32_e32 v6, v39, v27
	v_and_b32_e32 v17, 0xffff0000, v103
	v_and_b32_e32 v27, 0xffff0000, v108
	s_wait_dscnt 0x1
	v_lshlrev_b32_e32 v16, 16, v68
	v_and_b32_e32 v41, 0xffff0000, v86
	v_and_b32_e32 v7, 0xffff0000, v7
	v_dual_fmac_f32 v33, v28, v17 :: v_dual_and_b32 v28, 0xffff0000, v107
	v_fmac_f32_e32 v35, v40, v42
	v_and_b32_e32 v29, 0xffff0000, v65
	v_and_b32_e32 v40, 0xffff0000, v85
	s_wait_alu 0xf1ff
	v_cndmask_b32_e64 v15, v15, v44, s4
	v_dual_fmac_f32 v34, v25, v28 :: v_dual_fmac_f32 v35, v38, v30
	v_and_b32_e32 v30, 0xffff0000, v99
	v_lshlrev_b32_e32 v28, 16, v66
	v_and_b32_e32 v25, 0xffff0000, v102
	s_delay_alu instid0(VALU_DEP_4) | instskip(SKIP_2) | instid1(VALU_DEP_4)
	v_dual_fmac_f32 v35, v29, v27 :: v_dual_and_b32 v38, 0xffff0000, v92
	v_and_b32_e32 v27, 0xffff0000, v67
	v_and_b32_e32 v29, 0xffff0000, v97
	v_dual_fmac_f32 v6, v37, v25 :: v_dual_and_b32 v37, 0xffff0000, v90
	s_delay_alu instid0(VALU_DEP_3)
	v_dual_fmac_f32 v35, v30, v27 :: v_dual_and_b32 v8, 0xffff0000, v8
	v_and_b32_e32 v27, 0xffff0000, v94
	v_lshlrev_b32_e32 v31, 16, v65
	v_and_b32_e32 v17, 0xffff0000, v101
	s_wait_dscnt 0x0
	v_lshlrev_b32_e32 v30, 16, v71
	v_and_b32_e32 v15, 0xffff0000, v15
	v_and_b32_e32 v42, 0xffff0000, v55
	v_cmp_u_f32_e64 s4, v5, v5
	v_fmac_f32_e32 v33, v26, v17
	v_and_b32_e32 v26, 0xffff0000, v105
	s_delay_alu instid0(VALU_DEP_1) | instskip(SKIP_1) | instid1(VALU_DEP_1)
	v_fmac_f32_e32 v34, v31, v26
	v_lshlrev_b32_e32 v26, 16, v67
	v_dual_fmac_f32 v34, v29, v26 :: v_dual_and_b32 v31, 0xffff0000, v71
	v_and_b32_e32 v29, 0xffff0000, v112
	v_lshlrev_b32_e32 v26, 16, v69
	s_delay_alu instid0(VALU_DEP_1) | instskip(NEXT) | instid1(VALU_DEP_1)
	v_dual_fmac_f32 v34, v27, v26 :: v_dual_and_b32 v17, 0xffff0000, v100
	v_dual_fmac_f32 v34, v37, v30 :: v_dual_fmac_f32 v33, v24, v17
	v_and_b32_e32 v24, 0xffff0000, v96
	v_and_b32_e32 v17, 0xffff0000, v66
	;; [unrolled: 1-line block ×3, first 2 shown]
	s_delay_alu instid0(VALU_DEP_3) | instskip(NEXT) | instid1(VALU_DEP_1)
	v_dual_fmac_f32 v33, v28, v24 :: v_dual_and_b32 v28, 0xffff0000, v69
	v_dual_fmac_f32 v35, v29, v28 :: v_dual_and_b32 v24, 0xffff0000, v93
	s_delay_alu instid0(VALU_DEP_1) | instskip(SKIP_1) | instid1(VALU_DEP_3)
	v_dual_fmac_f32 v33, v24, v16 :: v_dual_and_b32 v28, 0xffff0000, v89
	v_and_b32_e32 v29, 0xffff0000, v91
	v_dual_fmac_f32 v35, v38, v31 :: v_dual_and_b32 v38, 0xffff0000, v88
	v_and_b32_e32 v25, 0xffff0000, v98
	v_lshlrev_b32_e32 v16, 16, v70
	s_delay_alu instid0(VALU_DEP_2) | instskip(SKIP_1) | instid1(VALU_DEP_1)
	v_dual_fmac_f32 v6, v25, v17 :: v_dual_and_b32 v17, 0xffff0000, v68
	v_and_b32_e32 v25, 0xffff0000, v95
	v_dual_fmac_f32 v33, v28, v16 :: v_dual_fmac_f32 v6, v25, v17
	ds_load_b128 v[24:27], v12 offset:128
	v_and_b32_e32 v17, 0xffff0000, v70
	s_delay_alu instid0(VALU_DEP_1) | instskip(SKIP_2) | instid1(VALU_DEP_1)
	v_fmac_f32_e32 v6, v29, v17
	ds_load_b128 v[28:31], v12 offset:144
	v_and_b32_e32 v17, 0xffff0000, v72
	v_fmac_f32_e32 v6, v38, v17
	v_and_b32_e32 v38, 0xffff0000, v82
	s_wait_dscnt 0x1
	v_lshlrev_b32_e32 v39, 16, v24
	v_and_b32_e32 v24, 0xffff0000, v24
	s_delay_alu instid0(VALU_DEP_2) | instskip(NEXT) | instid1(VALU_DEP_2)
	v_dual_fmac_f32 v34, v40, v39 :: v_dual_and_b32 v17, 0xffff0000, v25
	v_fmac_f32_e32 v35, v41, v24
	v_and_b32_e32 v39, 0xffff0000, v84
	v_lshlrev_b32_e32 v16, 16, v72
	v_and_b32_e32 v41, 0xffff0000, v43
	v_bfe_u32 v40, v5, 16, 1
	s_delay_alu instid0(VALU_DEP_3) | instskip(SKIP_2) | instid1(VALU_DEP_4)
	v_fmac_f32_e32 v33, v37, v16
	v_lshlrev_b32_e32 v37, 16, v26
	v_and_b32_e32 v26, 0xffff0000, v26
	v_add3_u32 v40, v40, v5, 0x7fff
	s_delay_alu instid0(VALU_DEP_2)
	v_dual_fmac_f32 v34, v38, v37 :: v_dual_fmac_f32 v35, v39, v26
	s_wait_dscnt 0x0
	v_lshlrev_b32_e32 v26, 16, v28
	v_and_b32_e32 v28, 0xffff0000, v28
	v_and_b32_e32 v37, 0xffff0000, v50
	v_lshlrev_b32_e32 v16, 16, v25
	v_and_b32_e32 v25, 0xffff0000, v83
	v_and_b32_e32 v39, 0xffff0000, v53
	;; [unrolled: 1-line block ×3, first 2 shown]
	v_dual_fmac_f32 v35, v37, v28 :: v_dual_and_b32 v28, 0xffff0000, v47
	v_and_b32_e32 v24, 0xffff0000, v81
	v_lshlrev_b32_e32 v37, 16, v30
	v_and_b32_e32 v30, 0xffff0000, v30
	v_dual_fmac_f32 v6, v25, v17 :: v_dual_and_b32 v17, 0xffff0000, v27
	s_delay_alu instid0(VALU_DEP_4) | instskip(SKIP_4) | instid1(VALU_DEP_3)
	v_fmac_f32_e32 v33, v24, v16
	v_and_b32_e32 v24, 0xffff0000, v64
	v_and_b32_e32 v25, 0xffff0000, v48
	v_dual_fmac_f32 v35, v39, v30 :: v_dual_lshlrev_b32 v16, 16, v27
	v_and_b32_e32 v27, 0xffff0000, v49
	v_fmac_f32_e32 v6, v25, v17
	v_and_b32_e32 v17, 0xffff0000, v29
	s_delay_alu instid0(VALU_DEP_3) | instskip(SKIP_4) | instid1(VALU_DEP_2)
	v_dual_fmac_f32 v33, v24, v16 :: v_dual_fmac_f32 v34, v27, v26
	ds_load_b128 v[24:27], v12 offset:160
	v_lshlrev_b32_e32 v16, 16, v29
	v_dual_fmac_f32 v34, v38, v37 :: v_dual_and_b32 v29, 0xffff0000, v51
	v_and_b32_e32 v37, 0xffff0000, v54
	v_dual_fmac_f32 v33, v28, v16 :: v_dual_fmac_f32 v6, v29, v17
	v_lshlrev_b32_e32 v16, 16, v31
	v_and_b32_e32 v17, 0xffff0000, v31
	ds_load_b128 v[28:31], v12 offset:176
	v_and_b32_e32 v38, 0xffff0000, v56
	v_fmac_f32_e32 v33, v37, v16
	s_delay_alu instid0(VALU_DEP_2)
	v_dual_fmac_f32 v6, v38, v17 :: v_dual_and_b32 v37, 0xffff0000, v58
	v_and_b32_e32 v38, 0xffff0000, v59
	s_wait_dscnt 0x1
	v_lshlrev_b32_e32 v39, 16, v24
	v_and_b32_e32 v24, 0xffff0000, v24
	v_lshlrev_b32_e32 v16, 16, v25
	v_and_b32_e32 v17, 0xffff0000, v25
	s_delay_alu instid0(VALU_DEP_4) | instskip(NEXT) | instid1(VALU_DEP_4)
	v_dual_fmac_f32 v34, v41, v39 :: v_dual_and_b32 v25, 0xffff0000, v57
	v_fmac_f32_e32 v35, v42, v24
	v_and_b32_e32 v24, 0xffff0000, v36
	v_lshlrev_b32_e32 v36, 16, v26
	v_and_b32_e32 v26, 0xffff0000, v26
	v_dual_fmac_f32 v6, v25, v17 :: v_dual_and_b32 v17, 0xffff0000, v27
	s_delay_alu instid0(VALU_DEP_4) | instskip(NEXT) | instid1(VALU_DEP_3)
	v_fmac_f32_e32 v33, v24, v16
	v_dual_fmac_f32 v34, v37, v36 :: v_dual_fmac_f32 v35, v38, v26
	v_lshlrev_b32_e32 v16, 16, v27
	v_and_b32_e32 v24, 0xffff0000, v61
	v_and_b32_e32 v25, 0xffff0000, v32
	s_wait_dscnt 0x0
	v_lshlrev_b32_e32 v26, 16, v28
	v_and_b32_e32 v27, 0xffff0000, v28
	v_and_b32_e32 v28, 0xffff0000, v60
	v_and_b32_e32 v32, 0xffff0000, v62
	v_or_b32_e32 v39, 0x400000, v5
	v_dual_fmac_f32 v33, v24, v16 :: v_dual_fmac_f32 v6, v25, v17
	s_delay_alu instid0(VALU_DEP_4) | instskip(NEXT) | instid1(VALU_DEP_4)
	v_fmac_f32_e32 v34, v28, v26
	v_dual_fmac_f32 v35, v32, v27 :: v_dual_lshlrev_b32 v16, 16, v29
	v_and_b32_e32 v24, 0xffff0000, v63
	v_lshlrev_b32_e32 v25, 16, v30
	v_and_b32_e32 v27, 0xffff0000, v30
	s_wait_alu 0xf1ff
	v_cndmask_b32_e64 v5, v40, v39, s4
	v_and_b32_e32 v17, 0xffff0000, v29
	v_dual_fmac_f32 v33, v24, v16 :: v_dual_and_b32 v26, 0xffff0000, v46
	v_dual_fmac_f32 v34, v7, v25 :: v_dual_lshlrev_b32 v7, 16, v31
	s_delay_alu instid0(VALU_DEP_2) | instskip(SKIP_2) | instid1(VALU_DEP_4)
	v_dual_fmac_f32 v35, v8, v27 :: v_dual_fmac_f32 v6, v26, v17
	v_and_b32_e32 v8, 0xffff0000, v31
	v_and_b32_e32 v5, 0xffff0000, v5
	v_fmac_f32_e32 v33, v15, v7
	s_delay_alu instid0(VALU_DEP_4) | instskip(SKIP_1) | instid1(VALU_DEP_2)
	v_add_f32_e32 v7, v34, v35
	v_cmp_gt_i32_e64 s4, 32, v22
	v_dual_fmac_f32 v6, v5, v8 :: v_dual_add_f32 v5, v7, v33
	s_wait_alu 0xf1ff
	s_delay_alu instid0(VALU_DEP_2) | instskip(NEXT) | instid1(VALU_DEP_2)
	v_cndmask_b32_e64 v15, v9, v22, s4
	v_add_f32_e32 v5, v6, v5
	s_delay_alu instid0(VALU_DEP_2)
	v_lshlrev_b32_e32 v7, 2, v15
	ds_bpermute_b32 v6, v7, v5
	s_and_saveexec_b32 s5, s3
	s_cbranch_execz .LBB338_11
; %bb.19:                               ;   in Loop: Header=BB338_13 Depth=1
	v_add_nc_u32_e32 v7, v14, v13
	s_wait_dscnt 0x0
	v_add_f32_e32 v5, v5, v6
	s_delay_alu instid0(VALU_DEP_2) | instskip(NEXT) | instid1(VALU_DEP_1)
	v_cvt_f32_i32_e32 v7, v7
	v_mul_f32_e32 v7, s80, v7
	s_delay_alu instid0(VALU_DEP_1) | instskip(NEXT) | instid1(VALU_DEP_1)
	v_cndmask_b32_e32 v6, 0, v7, vcc_lo
	v_dual_max_num_f32 v7, v11, v11 :: v_dual_fmac_f32 v6, s73, v5
	v_add_nc_u32_e32 v5, v10, v13
	s_delay_alu instid0(VALU_DEP_2) | instskip(NEXT) | instid1(VALU_DEP_2)
	v_max_num_f32_e32 v7, v7, v6
	v_cmp_gt_i32_e64 s4, s75, v5
	s_wait_alu 0xf1ff
	s_delay_alu instid0(VALU_DEP_1) | instskip(NEXT) | instid1(VALU_DEP_3)
	v_cndmask_b32_e64 v5, 0, v6, s4
	v_cndmask_b32_e64 v11, v11, v7, s4
	ds_store_b32 v20, v5
	s_branch .LBB338_11
.LBB338_20:
	s_or_b32 exec_lo, exec_lo, s85
	v_lshlrev_b32_e32 v14, 3, v0
.LBB338_21:
	s_or_b32 exec_lo, exec_lo, s82
	v_xor_b32_e32 v1, 16, v9
	v_xor_b32_e32 v2, 8, v9
	v_lshrrev_b32_e32 v7, 5, v0
	s_clause 0x2
	s_load_b128 s[4:7], s[0:1], 0x0
	s_load_b64 s[8:9], s[0:1], 0x10
	s_load_b64 s[12:13], s[0:1], 0x28
	v_and_b32_e32 v20, 31, v0
	v_cmp_gt_i32_e32 vcc_lo, 32, v1
	s_wait_alu 0xfffd
	v_dual_cndmask_b32 v1, v9, v1 :: v_dual_lshlrev_b32 v10, 2, v7
	v_cmp_gt_i32_e32 vcc_lo, 32, v2
	s_wait_alu 0xfffd
	v_dual_max_num_f32 v5, v11, v11 :: v_dual_cndmask_b32 v2, v9, v2
	s_delay_alu instid0(VALU_DEP_1) | instskip(SKIP_4) | instid1(VALU_DEP_1)
	v_lshlrev_b32_e32 v4, 2, v2
	v_lshlrev_b32_e32 v3, 2, v1
	ds_bpermute_b32 v1, v3, v11
	s_wait_dscnt 0x0
	v_max_num_f32_e32 v1, v1, v1
	v_max_num_f32_e32 v1, v5, v1
	v_xor_b32_e32 v5, 4, v9
	ds_bpermute_b32 v2, v4, v1
	v_cmp_gt_i32_e32 vcc_lo, 32, v5
	s_wait_dscnt 0x0
	s_wait_alu 0xfffd
	v_dual_cndmask_b32 v5, v9, v5 :: v_dual_max_num_f32 v2, v2, v2
	s_delay_alu instid0(VALU_DEP_1) | instskip(SKIP_1) | instid1(VALU_DEP_3)
	v_lshlrev_b32_e32 v6, 2, v5
	v_xor_b32_e32 v5, 2, v9
	v_max_num_f32_e32 v1, v1, v2
	s_delay_alu instid0(VALU_DEP_2)
	v_cmp_gt_i32_e32 vcc_lo, 32, v5
	ds_bpermute_b32 v2, v6, v1
	s_wait_alu 0xfffd
	v_cndmask_b32_e32 v5, v9, v5, vcc_lo
	v_cmp_eq_u32_e32 vcc_lo, 0, v20
	s_wait_dscnt 0x0
	v_max_num_f32_e32 v2, v2, v2
	s_delay_alu instid0(VALU_DEP_1)
	v_dual_max_num_f32 v1, v1, v2 :: v_dual_lshlrev_b32 v2, 2, v5
	ds_bpermute_b32 v5, v2, v1
	s_and_saveexec_b32 s0, vcc_lo
	s_cbranch_execz .LBB338_23
; %bb.22:
	s_wait_dscnt 0x0
	v_max_num_f32_e32 v5, v5, v5
	v_max_num_f32_e32 v1, v1, v1
	s_delay_alu instid0(VALU_DEP_1)
	v_max_num_f32_e32 v1, v1, v5
	ds_store_b32 v10, v1 offset:384
.LBB338_23:
	s_or_b32 exec_lo, exec_lo, s0
	v_cmp_gt_u32_e64 s0, 4, v20
	v_mov_b32_e32 v1, 0xff7fffff
	v_lshlrev_b32_e32 v11, 2, v20
	s_wait_storecnt 0x0
	s_wait_loadcnt_dscnt 0x0
	s_barrier_signal -1
	s_barrier_wait -1
	global_inv scope:SCOPE_SE
	s_and_saveexec_b32 s1, s0
; %bb.24:
	ds_load_b32 v1, v11 offset:384
; %bb.25:
	s_or_b32 exec_lo, exec_lo, s1
	s_wait_dscnt 0x0
	ds_bpermute_b32 v5, v2, v1
	v_xor_b32_e32 v7, 1, v9
	v_max_num_f32_e32 v1, v1, v1
	s_delay_alu instid0(VALU_DEP_2) | instskip(NEXT) | instid1(VALU_DEP_1)
	v_cmp_gt_i32_e64 s1, 32, v7
	v_cndmask_b32_e64 v7, v9, v7, s1
	v_mov_b32_e32 v9, 0
	s_sub_co_i32 s1, s67, s81
	s_wait_alu 0xfffe
	s_lshl_b32 s1, s1, 4
	v_lshlrev_b32_e32 v21, 2, v7
	s_wait_alu 0xfffe
	s_add_co_i32 s1, s1, s78
	s_wait_alu 0xfffe
	s_min_i32 s1, s1, s75
	s_wait_dscnt 0x0
	v_max_num_f32_e32 v5, v5, v5
	s_wait_alu 0xfffe
	s_sub_co_i32 s10, s1, s78
	s_wait_alu 0xfffe
	v_cmp_gt_i32_e64 s1, s10, v0
	v_max_num_f32_e32 v1, v1, v5
	ds_bpermute_b32 v5, v21, v1
	s_wait_dscnt 0x0
	v_max_num_f32_e32 v5, v5, v5
	s_delay_alu instid0(VALU_DEP_1)
	v_max_num_f32_e32 v1, v1, v5
	v_lshl_add_u32 v5, v0, 2, 0x1a0
	ds_bpermute_b32 v1, v9, v1
	s_and_saveexec_b32 s11, s1
	s_cbranch_execz .LBB338_29
; %bb.26:
	v_lshl_add_u32 v12, v0, 2, 0x1a0
	v_mov_b32_e32 v9, 0
	v_mov_b32_e32 v13, v0
	s_mov_b32 s14, 0
.LBB338_27:                             ; =>This Inner Loop Header: Depth=1
	ds_load_b32 v7, v12
	v_add_nc_u32_e32 v13, 0x80, v13
	s_delay_alu instid0(VALU_DEP_1) | instskip(SKIP_4) | instid1(VALU_DEP_1)
	v_cmp_le_i32_e64 s3, s10, v13
	s_wait_alu 0xfffe
	s_or_b32 s14, s3, s14
	s_wait_dscnt 0x0
	v_sub_f32_e32 v7, v7, v1
	v_mul_f32_e32 v7, 0x3fb8aa3b, v7
	s_delay_alu instid0(VALU_DEP_1)
	v_exp_f32_e32 v7, v7
	ds_store_b32 v12, v7
	v_dual_add_f32 v9, v9, v7 :: v_dual_add_nc_u32 v12, 0x200, v12
	s_wait_alu 0xfffe
	s_and_not1_b32 exec_lo, exec_lo, s14
	s_cbranch_execnz .LBB338_27
; %bb.28:
	s_or_b32 exec_lo, exec_lo, s14
.LBB338_29:
	s_wait_alu 0xfffe
	s_or_b32 exec_lo, exec_lo, s11
	ds_bpermute_b32 v3, v3, v9
	s_wait_dscnt 0x0
	v_add_f32_e32 v3, v9, v3
	ds_bpermute_b32 v4, v4, v3
	s_wait_dscnt 0x0
	v_add_f32_e32 v3, v3, v4
	;; [unrolled: 3-line block ×5, first 2 shown]
	s_and_saveexec_b32 s3, vcc_lo
; %bb.30:
	ds_store_b32 v10, v3 offset:400
; %bb.31:
	s_wait_alu 0xfffe
	s_or_b32 exec_lo, exec_lo, s3
	s_wait_loadcnt_dscnt 0x0
	s_barrier_signal -1
	s_barrier_wait -1
	global_inv scope:SCOPE_SE
	s_and_saveexec_b32 s3, s0
; %bb.32:
	ds_load_b32 v3, v11 offset:400
; %bb.33:
	s_wait_alu 0xfffe
	s_or_b32 exec_lo, exec_lo, s3
	s_wait_dscnt 0x0
	ds_bpermute_b32 v2, v2, v3
	s_wait_dscnt 0x0
	v_add_f32_e32 v2, v3, v2
	ds_bpermute_b32 v3, v21, v2
	s_wait_dscnt 0x0
	v_dual_add_f32 v2, v2, v3 :: v_dual_mov_b32 v3, 0
	ds_bpermute_b32 v2, v3, v2
	s_and_saveexec_b32 s0, s1
	s_cbranch_execz .LBB338_36
; %bb.34:
	s_wait_dscnt 0x0
	v_add_f32_e32 v3, 0x358637bd, v2
	s_mov_b32 s1, 0
	s_delay_alu instid0(VALU_DEP_1) | instskip(SKIP_1) | instid1(VALU_DEP_2)
	v_div_scale_f32 v4, null, v3, v3, 1.0
	v_div_scale_f32 v8, vcc_lo, 1.0, v3, 1.0
	v_rcp_f32_e32 v6, v4
	s_delay_alu instid0(TRANS32_DEP_1) | instskip(NEXT) | instid1(VALU_DEP_1)
	v_fma_f32 v7, -v4, v6, 1.0
	v_fmac_f32_e32 v6, v7, v6
	s_delay_alu instid0(VALU_DEP_1) | instskip(NEXT) | instid1(VALU_DEP_1)
	v_mul_f32_e32 v7, v8, v6
	v_fma_f32 v9, -v4, v7, v8
	s_delay_alu instid0(VALU_DEP_1) | instskip(NEXT) | instid1(VALU_DEP_1)
	v_fmac_f32_e32 v7, v9, v6
	v_fma_f32 v4, -v4, v7, v8
	s_wait_alu 0xfffd
	s_delay_alu instid0(VALU_DEP_1) | instskip(NEXT) | instid1(VALU_DEP_1)
	v_div_fmas_f32 v4, v4, v6, v7
	v_div_fixup_f32 v3, v4, v3, 1.0
	v_mov_b32_e32 v4, v0
.LBB338_35:                             ; =>This Inner Loop Header: Depth=1
	ds_load_b32 v6, v5
	v_add_nc_u32_e32 v4, 0x80, v4
	s_delay_alu instid0(VALU_DEP_1)
	v_cmp_le_i32_e32 vcc_lo, s10, v4
	s_wait_alu 0xfffe
	s_or_b32 s1, vcc_lo, s1
	s_wait_dscnt 0x0
	v_mul_f32_e32 v6, v3, v6
	ds_store_b32 v5, v6
	v_add_nc_u32_e32 v5, 0x200, v5
	s_wait_alu 0xfffe
	s_and_not1_b32 exec_lo, exec_lo, s1
	s_cbranch_execnz .LBB338_35
.LBB338_36:
	s_wait_alu 0xfffe
	s_or_b32 exec_lo, exec_lo, s0
	s_mul_i32 s0, s56, s76
	s_wait_loadcnt_dscnt 0x0
	s_wait_alu 0xfffe
	s_mul_i32 s10, s0, s77
	s_mov_b32 s0, exec_lo
	s_barrier_signal -1
	s_barrier_wait -1
	global_inv scope:SCOPE_SE
	v_cmpx_eq_u32_e32 0, v0
	s_cbranch_execz .LBB338_38
; %bb.37:
	s_wait_alu 0xfffe
	s_ashr_i32 s11, s10, 31
	s_mul_i32 s14, s56, ttmp9
	s_lshl_b32 s1, s74, 2
	s_wait_alu 0xfffe
	s_lshl_b64 s[16:17], s[10:11], 2
	s_ashr_i32 s15, s14, 31
	v_mov_b32_e32 v3, s1
	s_wait_kmcnt 0x0
	s_wait_alu 0xfffe
	s_add_nc_u64 s[6:7], s[6:7], s[16:17]
	s_lshl_b64 s[14:15], s[14:15], 2
	s_add_nc_u64 s[4:5], s[4:5], s[16:17]
	s_wait_alu 0xfffe
	s_add_nc_u64 s[6:7], s[6:7], s[14:15]
	s_add_nc_u64 s[4:5], s[4:5], s[14:15]
	s_clause 0x1
	global_store_b32 v3, v1, s[6:7]
	global_store_b32 v3, v2, s[4:5]
.LBB338_38:
	s_wait_alu 0xfffe
	s_or_b32 exec_lo, exec_lo, s0
	v_dual_mov_b32 v33, 0 :: v_dual_mov_b32 v32, 0
	v_dual_mov_b32 v31, 0 :: v_dual_mov_b32 v30, 0
	;; [unrolled: 1-line block ×6, first 2 shown]
	s_and_saveexec_b32 s11, s2
	s_cbranch_execz .LBB338_68
; %bb.39:
	s_abs_i32 s14, s58
	v_dual_mov_b32 v22, 0 :: v_dual_and_b32 v3, 1, v0
	s_wait_alu 0xfffe
	s_cvt_f32_u32 s0, s14
	v_dual_mov_b32 v25, 0 :: v_dual_and_b32 v2, 0xf8, v14
	s_ashr_i32 s63, s62, 31
	s_wait_alu 0xfffe
	v_rcp_iflag_f32_e32 v1, s0
	s_lshl_b64 s[0:1], s[70:71], 2
	v_dual_mov_b32 v24, 0 :: v_dual_lshlrev_b32 v3, 5, v3
	s_wait_alu 0xfffe
	s_add_nc_u64 s[0:1], s[68:69], s[0:1]
	s_wait_kmcnt 0x0
	s_add_nc_u64 s[2:3], s[12:13], s[62:63]
	s_sub_co_i32 s5, 0, s14
	v_dual_mov_b32 v23, 0 :: v_dual_and_b32 v34, 8, v14
	v_mov_b32_e32 v26, 0
	v_readfirstlane_b32 s4, v1
	v_lshlrev_b32_e32 v1, 2, v19
	v_dual_mov_b32 v27, 0 :: v_dual_mov_b32 v30, 0
	v_dual_mov_b32 v29, 0 :: v_dual_mov_b32 v32, 0
	s_wait_alu 0xfffe
	s_delay_alu instid0(VALU_DEP_3) | instskip(SKIP_4) | instid1(VALU_DEP_3)
	v_add_co_u32 v9, s0, s0, v1
	v_lshrrev_b32_e32 v1, 5, v0
	s_mul_f32 s4, s4, 0x4f7ffffe
	v_add_co_ci_u32_e64 v10, null, s1, 0, s0
	v_add_co_u32 v11, s1, s2, v2
	v_lshl_or_b32 v1, v1, 6, v3
	s_wait_alu 0xfffe
	s_cvt_u32_f32 s0, s4
	v_add_co_ci_u32_e64 v12, null, s3, 0, s1
	s_delay_alu instid0(VALU_DEP_2)
	v_dual_mov_b32 v28, 0 :: v_dual_add_nc_u32 v35, 0x1a0, v1
	s_wait_alu 0xfffe
	s_mul_i32 s5, s5, s0
	v_mov_b32_e32 v31, 0
	v_mov_b32_e32 v33, 0
	s_wait_alu 0xfffe
	s_mul_hi_u32 s1, s0, s5
	s_sub_co_i32 s15, s79, s57
	s_mov_b32 s16, s61
	s_add_co_i32 s17, s72, -1
	s_mov_b32 s12, 0
	s_wait_alu 0xfffe
	s_add_co_i32 s13, s0, s1
	s_branch .LBB338_42
.LBB338_40:                             ;   in Loop: Header=BB338_42 Depth=1
	s_wait_alu 0xfffe
	s_or_b32 exec_lo, exec_lo, s0
	s_wait_dscnt 0x1
	v_bfe_u32 v15, v5, 16, 1
	v_or_b32_e32 v16, 0x400000, v5
	v_bfe_u32 v17, v6, 16, 1
	v_cmp_u_f32_e32 vcc_lo, v5, v5
	v_bfe_u32 v68, v7, 16, 1
	v_add3_u32 v15, v15, v5, 0x7fff
	v_or_b32_e32 v76, 0x400000, v6
	v_add3_u32 v17, v17, v6, 0x7fff
	v_or_b32_e32 v77, 0x400000, v7
	v_add3_u32 v68, v68, v7, 0x7fff
	s_wait_alu 0xfffd
	v_cndmask_b32_e32 v5, v15, v16, vcc_lo
	v_cmp_u_f32_e32 vcc_lo, v6, v6
	v_bfe_u32 v15, v8, 16, 1
	s_wait_dscnt 0x0
	v_bfe_u32 v16, v1, 16, 1
	v_lshlrev_b32_e32 v117, 16, v117
	v_lshlrev_b32_e32 v66, 16, v66
	s_wait_alu 0xfffd
	v_cndmask_b32_e32 v6, v17, v76, vcc_lo
	v_cmp_u_f32_e32 vcc_lo, v7, v7
	v_add3_u32 v15, v15, v8, 0x7fff
	v_or_b32_e32 v17, 0x400000, v8
	v_add3_u32 v16, v16, v1, 0x7fff
	v_bfe_u32 v76, v2, 16, 1
	s_wait_alu 0xfffd
	v_cndmask_b32_e32 v7, v68, v77, vcc_lo
	v_cmp_u_f32_e32 vcc_lo, v8, v8
	v_or_b32_e32 v68, 0x400000, v1
	v_lshlrev_b32_e32 v64, 16, v64
	v_lshlrev_b32_e32 v54, 16, v54
	s_wait_alu 0xfffd
	v_dual_cndmask_b32 v8, v15, v17 :: v_dual_lshlrev_b32 v43, 16, v43
	v_cmp_u_f32_e32 vcc_lo, v1, v1
	v_or_b32_e32 v17, 0x400000, v2
	v_lshlrev_b32_e32 v45, 16, v45
	v_lshlrev_b32_e32 v13, 16, v13
	v_and_b32_e32 v7, 0xffff0000, v7
	s_wait_alu 0xfffd
	v_cndmask_b32_e32 v15, v16, v68, vcc_lo
	v_add3_u32 v16, v76, v2, 0x7fff
	v_bfe_u32 v68, v3, 16, 1
	v_cmp_u_f32_e32 vcc_lo, v2, v2
	v_and_b32_e32 v1, 0xffff0000, v6
	v_lshlrev_b32_e32 v6, 16, v137
	v_and_b32_e32 v5, 0xffff0000, v5
	v_add3_u32 v2, v68, v3, 0x7fff
	s_wait_alu 0xfffd
	v_cndmask_b32_e32 v16, v16, v17, vcc_lo
	v_or_b32_e32 v17, 0x400000, v3
	v_bfe_u32 v68, v4, 16, 1
	v_cmp_u_f32_e32 vcc_lo, v3, v3
	v_mul_f32_e32 v6, v1, v6
	v_lshlrev_b32_e32 v76, 16, v136
	v_lshlrev_b32_e32 v81, 16, v131
	v_add3_u32 v3, v68, v4, 0x7fff
	s_wait_alu 0xfffd
	v_cndmask_b32_e32 v17, v2, v17, vcc_lo
	v_or_b32_e32 v68, 0x400000, v4
	v_cmp_u_f32_e32 vcc_lo, v4, v4
	v_bfe_u32 v77, v6, 16, 1
	v_mul_f32_e32 v76, v5, v76
	v_and_b32_e32 v2, 0xffff0000, v8
	v_lshlrev_b32_e32 v8, 16, v135
	s_wait_alu 0xfffd
	v_cndmask_b32_e32 v4, v3, v68, vcc_lo
	v_add3_u32 v3, v77, v6, 0x7fff
	v_or_b32_e32 v68, 0x400000, v6
	v_bfe_u32 v77, v76, 16, 1
	v_cmp_u_f32_e32 vcc_lo, v6, v6
	v_and_b32_e32 v4, 0xffff0000, v4
	v_mul_f32_e32 v78, v2, v8
	v_lshlrev_b32_e32 v8, 16, v134
	v_add3_u32 v6, v77, v76, 0x7fff
	s_wait_alu 0xfffd
	v_cndmask_b32_e32 v68, v3, v68, vcc_lo
	v_or_b32_e32 v77, 0x400000, v76
	v_cmp_u_f32_e32 vcc_lo, v76, v76
	v_mul_f32_e32 v80, v7, v8
	v_and_b32_e32 v3, 0xffff0000, v16
	v_lshlrev_b32_e32 v8, 16, v133
	v_mul_f32_e32 v81, v4, v81
	v_bfe_u32 v79, v78, 16, 1
	s_wait_alu 0xfffd
	v_cndmask_b32_e32 v16, v6, v77, vcc_lo
	v_or_b32_e32 v76, 0x400000, v78
	v_bfe_u32 v77, v80, 16, 1
	v_cmp_u_f32_e32 vcc_lo, v78, v78
	v_add3_u32 v6, v79, v78, 0x7fff
	v_dual_mul_f32 v79, v3, v8 :: v_dual_and_b32 v8, 0xffff0000, v15
	v_bfe_u32 v131, v81, 16, 1
	v_lshlrev_b32_e32 v92, 16, v92
	s_wait_alu 0xfffd
	v_cndmask_b32_e32 v76, v6, v76, vcc_lo
	v_add3_u32 v6, v77, v80, 0x7fff
	v_or_b32_e32 v77, 0x400000, v80
	v_bfe_u32 v78, v79, 16, 1
	v_cmp_u_f32_e32 vcc_lo, v80, v80
	v_or_b32_e32 v83, 0x400000, v79
	v_dual_mul_f32 v66, v5, v66 :: v_dual_lshlrev_b32 v65, 16, v65
	s_delay_alu instid0(VALU_DEP_4)
	v_add3_u32 v78, v78, v79, 0x7fff
	s_wait_alu 0xfffd
	v_cndmask_b32_e32 v77, v6, v77, vcc_lo
	v_cmp_u_f32_e32 vcc_lo, v79, v79
	v_lshlrev_b32_e32 v15, 16, v132
	v_add3_u32 v79, v131, v81, 0x7fff
	s_delay_alu instid0(VALU_DEP_4)
	v_dual_mul_f32 v64, v7, v64 :: v_dual_and_b32 v77, 0xffff0000, v77
	s_wait_alu 0xfffd
	v_cndmask_b32_e32 v78, v78, v83, vcc_lo
	v_mul_f32_e32 v15, v8, v15
	v_or_b32_e32 v83, 0x400000, v81
	v_and_b32_e32 v6, 0xffff0000, v17
	v_lshlrev_b32_e32 v17, 16, v130
	v_and_b32_e32 v68, 0xffff0000, v68
	v_bfe_u32 v80, v15, 16, 1
	v_or_b32_e32 v130, 0x400000, v15
	v_cmp_u_f32_e32 vcc_lo, v15, v15
	v_mul_f32_e32 v17, v6, v17
	v_dual_mul_f32 v54, v8, v54 :: v_dual_lshlrev_b32 v55, 16, v55
	v_add3_u32 v80, v80, v15, 0x7fff
	v_lshlrev_b32_e32 v58, 16, v58
	v_lshlrev_b32_e32 v41, 16, v41
	s_delay_alu instid0(VALU_DEP_4)
	v_mul_f32_e32 v55, v3, v55
	v_lshlrev_b32_e32 v39, 16, v39
	s_wait_alu 0xfffd
	v_cndmask_b32_e32 v15, v80, v130, vcc_lo
	v_bfe_u32 v80, v17, 16, 1
	v_or_b32_e32 v130, 0x400000, v17
	v_cmp_u_f32_e32 vcc_lo, v17, v17
	v_mul_f32_e32 v117, v3, v117
	v_and_b32_e32 v15, 0xffff0000, v15
	v_add3_u32 v80, v80, v17, 0x7fff
	v_and_b32_e32 v76, 0xffff0000, v76
	v_lshlrev_b32_e32 v115, 16, v115
	v_lshlrev_b32_e32 v93, 16, v93
	;; [unrolled: 1-line block ×3, first 2 shown]
	s_wait_alu 0xfffd
	v_cndmask_b32_e32 v17, v80, v130, vcc_lo
	v_cmp_u_f32_e32 vcc_lo, v81, v81
	v_lshlrev_b32_e32 v81, 16, v126
	v_dual_mul_f32 v45, v4, v45 :: v_dual_lshlrev_b32 v48, 16, v48
	s_delay_alu instid0(VALU_DEP_4) | instskip(SKIP_4) | instid1(VALU_DEP_4)
	v_and_b32_e32 v17, 0xffff0000, v17
	v_and_b32_e32 v16, 0xffff0000, v16
	v_lshlrev_b32_e32 v73, 16, v73
	v_lshlrev_b32_e32 v71, 16, v71
	;; [unrolled: 1-line block ×3, first 2 shown]
	v_dual_mul_f32 v65, v2, v65 :: v_dual_add_f32 v16, v16, v68
	s_wait_alu 0xfffd
	v_dual_add_f32 v68, v77, v76 :: v_dual_cndmask_b32 v77, v79, v83
	v_dual_mul_f32 v92, v6, v92 :: v_dual_mul_f32 v73, v7, v73
	v_mul_f32_e32 v71, v8, v71
	v_mul_f32_e32 v69, v6, v69
	s_delay_alu instid0(VALU_DEP_4)
	v_dual_add_f32 v16, v68, v16 :: v_dual_and_b32 v77, 0xffff0000, v77
	v_and_b32_e32 v76, 0xffff0000, v78
	v_lshlrev_b32_e32 v68, 16, v129
	v_lshlrev_b32_e32 v67, 16, v67
	v_lshlrev_b32_e32 v63, 16, v63
	v_lshlrev_b32_e32 v61, 16, v61
	v_add_f32_e32 v15, v15, v76
	v_lshlrev_b32_e32 v76, 16, v128
	v_mul_f32_e32 v68, v1, v68
	v_add_f32_e32 v17, v17, v77
	v_mul_f32_e32 v63, v3, v63
	v_add_f32_e32 v15, v15, v16
	v_mul_f32_e32 v16, v5, v76
	v_lshlrev_b32_e32 v76, 16, v127
	v_bfe_u32 v77, v68, 16, 1
	v_cmp_u_f32_e32 vcc_lo, v68, v68
	v_add_f32_e32 v15, v17, v15
	v_bfe_u32 v78, v16, 16, 1
	v_mul_f32_e32 v17, v2, v76
	v_add3_u32 v76, v77, v68, 0x7fff
	v_or_b32_e32 v77, 0x400000, v68
	v_or_b32_e32 v79, 0x400000, v16
	v_add3_u32 v78, v78, v16, 0x7fff
	v_add_f32_e32 v23, v23, v15
	s_wait_alu 0xfffd
	v_dual_mul_f32 v67, v1, v67 :: v_dual_cndmask_b32 v68, v76, v77
	v_bfe_u32 v80, v17, 16, 1
	v_cmp_u_f32_e32 vcc_lo, v16, v16
	v_mul_f32_e32 v76, v7, v81
	s_delay_alu instid0(VALU_DEP_4) | instskip(NEXT) | instid1(VALU_DEP_4)
	v_dual_mul_f32 v61, v4, v61 :: v_dual_and_b32 v68, 0xffff0000, v68
	v_add3_u32 v77, v80, v17, 0x7fff
	s_wait_alu 0xfffd
	v_cndmask_b32_e32 v16, v78, v79, vcc_lo
	v_or_b32_e32 v78, 0x400000, v17
	v_cmp_u_f32_e32 vcc_lo, v17, v17
	v_lshlrev_b32_e32 v79, 16, v125
	v_bfe_u32 v81, v76, 16, 1
	v_lshlrev_b32_e32 v59, 16, v59
	v_lshlrev_b32_e32 v53, 16, v53
	s_wait_alu 0xfffd
	v_cndmask_b32_e32 v17, v77, v78, vcc_lo
	v_mul_f32_e32 v77, v3, v79
	v_add3_u32 v79, v81, v76, 0x7fff
	v_lshlrev_b32_e32 v81, 16, v123
	v_cmp_u_f32_e32 vcc_lo, v76, v76
	v_and_b32_e32 v17, 0xffff0000, v17
	v_lshlrev_b32_e32 v80, 16, v124
	v_bfe_u32 v83, v77, 16, 1
	v_mul_f32_e32 v53, v4, v53
	v_lshlrev_b32_e32 v51, 16, v51
	v_lshlrev_b32_e32 v52, 16, v52
	v_mul_f32_e32 v78, v8, v80
	v_or_b32_e32 v80, 0x400000, v76
	v_lshlrev_b32_e32 v49, 16, v49
	v_lshlrev_b32_e32 v47, 16, v47
	v_mul_f32_e32 v41, v2, v41
	v_mul_f32_e32 v39, v3, v39
	s_wait_alu 0xfffd
	v_dual_cndmask_b32 v76, v79, v80 :: v_dual_mul_f32 v79, v4, v81
	v_add3_u32 v80, v83, v77, 0x7fff
	v_or_b32_e32 v81, 0x400000, v77
	v_cmp_u_f32_e32 vcc_lo, v77, v77
	v_mul_f32_e32 v49, v2, v49
	v_bfe_u32 v124, v79, 16, 1
	v_dual_mul_f32 v47, v3, v47 :: v_dual_lshlrev_b32 v40, 16, v40
	s_wait_alu 0xfffd
	v_dual_cndmask_b32 v77, v80, v81 :: v_dual_lshlrev_b32 v80, 16, v122
	s_delay_alu instid0(VALU_DEP_3) | instskip(NEXT) | instid1(VALU_DEP_3)
	v_add3_u32 v81, v124, v79, 0x7fff
	v_dual_mul_f32 v40, v7, v40 :: v_dual_lshlrev_b32 v37, 16, v37
	s_delay_alu instid0(VALU_DEP_3) | instskip(SKIP_4) | instid1(VALU_DEP_4)
	v_and_b32_e32 v77, 0xffff0000, v77
	v_bfe_u32 v123, v78, 16, 1
	v_cmp_u_f32_e32 vcc_lo, v78, v78
	v_mul_f32_e32 v80, v6, v80
	v_dual_mul_f32 v37, v4, v37 :: v_dual_lshlrev_b32 v38, 16, v38
	v_add3_u32 v83, v123, v78, 0x7fff
	v_or_b32_e32 v123, 0x400000, v78
	v_lshlrev_b32_e32 v14, 16, v14
	s_wait_alu 0xfffd
	s_delay_alu instid0(VALU_DEP_2) | instskip(SKIP_3) | instid1(VALU_DEP_2)
	v_cndmask_b32_e32 v78, v83, v123, vcc_lo
	v_or_b32_e32 v83, 0x400000, v79
	v_cmp_u_f32_e32 vcc_lo, v79, v79
	s_wait_alu 0xfffd
	v_cndmask_b32_e32 v79, v81, v83, vcc_lo
	v_lshlrev_b32_e32 v83, 16, v118
	v_and_b32_e32 v16, 0xffff0000, v16
	v_bfe_u32 v81, v80, 16, 1
	v_cmp_u_f32_e32 vcc_lo, v80, v80
	v_and_b32_e32 v79, 0xffff0000, v79
	s_delay_alu instid0(VALU_DEP_4) | instskip(SKIP_3) | instid1(VALU_DEP_3)
	v_dual_mul_f32 v83, v7, v83 :: v_dual_add_f32 v16, v16, v68
	v_and_b32_e32 v68, 0xffff0000, v78
	v_add3_u32 v78, v81, v80, 0x7fff
	v_or_b32_e32 v81, 0x400000, v80
	v_add_f32_e32 v68, v68, v77
	s_wait_alu 0xfffd
	s_delay_alu instid0(VALU_DEP_2) | instskip(NEXT) | instid1(VALU_DEP_1)
	v_dual_cndmask_b32 v77, v78, v81 :: v_dual_and_b32 v76, 0xffff0000, v76
	v_and_b32_e32 v77, 0xffff0000, v77
	s_delay_alu instid0(VALU_DEP_2) | instskip(NEXT) | instid1(VALU_DEP_2)
	v_add_f32_e32 v17, v76, v17
	v_dual_add_f32 v77, v77, v79 :: v_dual_lshlrev_b32 v76, 16, v121
	s_delay_alu instid0(VALU_DEP_2) | instskip(NEXT) | instid1(VALU_DEP_2)
	v_add_f32_e32 v16, v17, v16
	v_mul_f32_e32 v17, v1, v76
	v_lshlrev_b32_e32 v79, 16, v112
	s_delay_alu instid0(VALU_DEP_2) | instskip(SKIP_2) | instid1(VALU_DEP_3)
	v_bfe_u32 v78, v17, 16, 1
	v_or_b32_e32 v80, 0x400000, v17
	v_cmp_u_f32_e32 vcc_lo, v17, v17
	v_add3_u32 v78, v78, v17, 0x7fff
	s_wait_alu 0xfffd
	s_delay_alu instid0(VALU_DEP_1) | instskip(NEXT) | instid1(VALU_DEP_1)
	v_cndmask_b32_e32 v17, v78, v80, vcc_lo
	v_and_b32_e32 v17, 0xffff0000, v17
	v_lshlrev_b32_e32 v76, 16, v120
	v_add_f32_e32 v16, v68, v16
	s_delay_alu instid0(VALU_DEP_2) | instskip(NEXT) | instid1(VALU_DEP_2)
	v_mul_f32_e32 v68, v5, v76
	v_add_f32_e32 v16, v77, v16
	v_mul_f32_e32 v77, v5, v79
	v_lshlrev_b32_e32 v79, 16, v110
	s_delay_alu instid0(VALU_DEP_4)
	v_bfe_u32 v81, v68, 16, 1
	v_or_b32_e32 v80, 0x400000, v68
	v_cmp_u_f32_e32 vcc_lo, v68, v68
	v_add_f32_e32 v24, v24, v16
	v_bfe_u32 v16, v77, 16, 1
	v_add3_u32 v78, v81, v68, 0x7fff
	s_delay_alu instid0(VALU_DEP_2) | instskip(SKIP_1) | instid1(VALU_DEP_2)
	v_add3_u32 v16, v16, v77, 0x7fff
	s_wait_alu 0xfffd
	v_cndmask_b32_e32 v68, v78, v80, vcc_lo
	s_delay_alu instid0(VALU_DEP_1) | instskip(NEXT) | instid1(VALU_DEP_1)
	v_and_b32_e32 v68, 0xffff0000, v68
	v_dual_add_f32 v17, v68, v17 :: v_dual_lshlrev_b32 v76, 16, v119
	s_delay_alu instid0(VALU_DEP_1) | instskip(NEXT) | instid1(VALU_DEP_1)
	v_mul_f32_e32 v76, v2, v76
	v_bfe_u32 v81, v76, 16, 1
	v_or_b32_e32 v80, 0x400000, v76
	v_cmp_u_f32_e32 vcc_lo, v76, v76
	s_delay_alu instid0(VALU_DEP_3) | instskip(SKIP_2) | instid1(VALU_DEP_2)
	v_add3_u32 v78, v81, v76, 0x7fff
	v_bfe_u32 v81, v83, 16, 1
	s_wait_alu 0xfffd
	v_cndmask_b32_e32 v76, v78, v80, vcc_lo
	s_delay_alu instid0(VALU_DEP_2)
	v_add3_u32 v78, v81, v83, 0x7fff
	v_or_b32_e32 v80, 0x400000, v83
	v_cmp_u_f32_e32 vcc_lo, v83, v83
	v_bfe_u32 v81, v117, 16, 1
	v_mul_f32_e32 v83, v4, v115
	v_or_b32_e32 v115, 0x400000, v117
	v_and_b32_e32 v76, 0xffff0000, v76
	s_wait_alu 0xfffd
	v_cndmask_b32_e32 v78, v78, v80, vcc_lo
	v_add3_u32 v81, v81, v117, 0x7fff
	v_cmp_u_f32_e32 vcc_lo, v117, v117
	v_bfe_u32 v119, v83, 16, 1
	s_wait_alu 0xfffd
	s_delay_alu instid0(VALU_DEP_3) | instskip(NEXT) | instid1(VALU_DEP_2)
	v_dual_cndmask_b32 v81, v81, v115 :: v_dual_and_b32 v78, 0xffff0000, v78
	v_add3_u32 v115, v119, v83, 0x7fff
	s_delay_alu instid0(VALU_DEP_2) | instskip(NEXT) | instid1(VALU_DEP_3)
	v_add_f32_e32 v68, v78, v76
	v_and_b32_e32 v78, 0xffff0000, v81
	v_lshlrev_b32_e32 v81, 16, v107
	s_delay_alu instid0(VALU_DEP_3) | instskip(NEXT) | instid1(VALU_DEP_1)
	v_dual_add_f32 v17, v68, v17 :: v_dual_lshlrev_b32 v116, 16, v116
	v_mul_f32_e32 v116, v8, v116
	s_delay_alu instid0(VALU_DEP_1) | instskip(SKIP_2) | instid1(VALU_DEP_3)
	v_bfe_u32 v80, v116, 16, 1
	v_or_b32_e32 v118, 0x400000, v116
	v_cmp_u_f32_e32 vcc_lo, v116, v116
	v_add3_u32 v80, v80, v116, 0x7fff
	s_wait_alu 0xfffd
	s_delay_alu instid0(VALU_DEP_1) | instskip(SKIP_1) | instid1(VALU_DEP_2)
	v_cndmask_b32_e32 v80, v80, v118, vcc_lo
	v_or_b32_e32 v118, 0x400000, v83
	v_and_b32_e32 v76, 0xffff0000, v80
	s_delay_alu instid0(VALU_DEP_1) | instskip(NEXT) | instid1(VALU_DEP_1)
	v_add_f32_e32 v68, v76, v78
	v_dual_add_f32 v17, v68, v17 :: v_dual_lshlrev_b32 v114, 16, v114
	s_delay_alu instid0(VALU_DEP_1) | instskip(NEXT) | instid1(VALU_DEP_1)
	v_mul_f32_e32 v114, v6, v114
	v_bfe_u32 v120, v114, 16, 1
	v_or_b32_e32 v117, 0x400000, v114
	v_cmp_u_f32_e32 vcc_lo, v114, v114
	s_delay_alu instid0(VALU_DEP_3) | instskip(SKIP_1) | instid1(VALU_DEP_1)
	v_add3_u32 v116, v120, v114, 0x7fff
	s_wait_alu 0xfffd
	v_cndmask_b32_e32 v114, v116, v117, vcc_lo
	v_cmp_u_f32_e32 vcc_lo, v83, v83
	s_delay_alu instid0(VALU_DEP_2) | instskip(SKIP_2) | instid1(VALU_DEP_1)
	v_and_b32_e32 v76, 0xffff0000, v114
	s_wait_alu 0xfffd
	v_cndmask_b32_e32 v80, v115, v118, vcc_lo
	v_and_b32_e32 v78, 0xffff0000, v80
	v_lshlrev_b32_e32 v80, 16, v113
	s_delay_alu instid0(VALU_DEP_2) | instskip(NEXT) | instid1(VALU_DEP_2)
	v_add_f32_e32 v68, v76, v78
	v_mul_f32_e32 v76, v1, v80
	v_or_b32_e32 v78, 0x400000, v77
	s_delay_alu instid0(VALU_DEP_3) | instskip(NEXT) | instid1(VALU_DEP_3)
	v_add_f32_e32 v15, v68, v17
	v_bfe_u32 v17, v76, 16, 1
	v_lshlrev_b32_e32 v68, 16, v111
	v_cmp_u_f32_e32 vcc_lo, v76, v76
	s_delay_alu instid0(VALU_DEP_4) | instskip(NEXT) | instid1(VALU_DEP_4)
	v_add_f32_e32 v25, v25, v15
	v_add3_u32 v15, v17, v76, 0x7fff
	v_or_b32_e32 v17, 0x400000, v76
	v_mul_f32_e32 v68, v2, v68
	v_dual_mul_f32 v76, v7, v79 :: v_dual_lshlrev_b32 v79, 16, v108
	s_wait_alu 0xfffd
	s_delay_alu instid0(VALU_DEP_3) | instskip(NEXT) | instid1(VALU_DEP_3)
	v_cndmask_b32_e32 v15, v15, v17, vcc_lo
	v_bfe_u32 v17, v68, 16, 1
	v_cmp_u_f32_e32 vcc_lo, v77, v77
	v_lshlrev_b32_e32 v77, 16, v109
	v_bfe_u32 v80, v76, 16, 1
	v_and_b32_e32 v15, 0xffff0000, v15
	v_add3_u32 v17, v17, v68, 0x7fff
	s_wait_alu 0xfffd
	v_cndmask_b32_e32 v16, v16, v78, vcc_lo
	v_or_b32_e32 v78, 0x400000, v68
	v_mul_f32_e32 v77, v3, v77
	v_cmp_u_f32_e32 vcc_lo, v68, v68
	v_mul_f32_e32 v68, v8, v79
	v_or_b32_e32 v79, 0x400000, v76
	s_wait_alu 0xfffd
	v_cndmask_b32_e32 v17, v17, v78, vcc_lo
	v_add3_u32 v78, v80, v76, 0x7fff
	v_bfe_u32 v80, v77, 16, 1
	v_bfe_u32 v83, v68, 16, 1
	v_cmp_u_f32_e32 vcc_lo, v76, v76
	s_wait_alu 0xfffd
	v_dual_cndmask_b32 v76, v78, v79 :: v_dual_and_b32 v17, 0xffff0000, v17
	v_add3_u32 v78, v80, v77, 0x7fff
	v_mul_f32_e32 v79, v4, v81
	v_or_b32_e32 v80, 0x400000, v77
	v_add3_u32 v81, v83, v68, 0x7fff
	v_lshlrev_b32_e32 v83, 16, v106
	v_cmp_u_f32_e32 vcc_lo, v77, v77
	v_or_b32_e32 v106, 0x400000, v68
	v_bfe_u32 v107, v79, 16, 1
	s_wait_alu 0xfffd
	v_cndmask_b32_e32 v77, v78, v80, vcc_lo
	v_mul_f32_e32 v78, v6, v83
	v_cmp_u_f32_e32 vcc_lo, v68, v68
	v_add3_u32 v80, v107, v79, 0x7fff
	s_delay_alu instid0(VALU_DEP_3)
	v_bfe_u32 v83, v78, 16, 1
	s_wait_alu 0xfffd
	v_cndmask_b32_e32 v68, v81, v106, vcc_lo
	v_or_b32_e32 v81, 0x400000, v79
	v_cmp_u_f32_e32 vcc_lo, v79, v79
	s_wait_alu 0xfffd
	s_delay_alu instid0(VALU_DEP_2)
	v_cndmask_b32_e32 v79, v80, v81, vcc_lo
	v_add3_u32 v80, v83, v78, 0x7fff
	v_or_b32_e32 v81, 0x400000, v78
	v_cmp_u_f32_e32 vcc_lo, v78, v78
	v_lshlrev_b32_e32 v83, 16, v94
	v_and_b32_e32 v16, 0xffff0000, v16
	s_delay_alu instid0(VALU_DEP_1) | instskip(NEXT) | instid1(VALU_DEP_1)
	v_dual_add_f32 v15, v16, v15 :: v_dual_and_b32 v76, 0xffff0000, v76
	v_add_f32_e32 v16, v76, v17
	v_and_b32_e32 v76, 0xffff0000, v77
	s_wait_alu 0xfffd
	v_cndmask_b32_e32 v77, v80, v81, vcc_lo
	v_lshlrev_b32_e32 v81, 16, v95
	v_and_b32_e32 v17, 0xffff0000, v68
	v_lshlrev_b32_e32 v68, 16, v99
	v_dual_add_f32 v15, v16, v15 :: v_dual_lshlrev_b32 v80, 16, v96
	s_delay_alu instid0(VALU_DEP_4) | instskip(NEXT) | instid1(VALU_DEP_4)
	v_mul_f32_e32 v81, v3, v81
	v_add_f32_e32 v17, v17, v76
	s_delay_alu instid0(VALU_DEP_4)
	v_mul_f32_e32 v16, v1, v68
	v_lshlrev_b32_e32 v68, 16, v98
	v_and_b32_e32 v76, 0xffff0000, v77
	v_and_b32_e32 v77, 0xffff0000, v79
	v_add_f32_e32 v15, v17, v15
	v_bfe_u32 v78, v16, 16, 1
	v_mul_f32_e32 v17, v5, v68
	v_cmp_u_f32_e32 vcc_lo, v16, v16
	v_add_f32_e32 v76, v76, v77
	v_lshlrev_b32_e32 v68, 16, v97
	v_add3_u32 v77, v78, v16, 0x7fff
	v_or_b32_e32 v78, 0x400000, v16
	v_bfe_u32 v79, v17, 16, 1
	s_delay_alu instid0(VALU_DEP_4)
	v_dual_add_f32 v15, v76, v15 :: v_dual_mul_f32 v68, v2, v68
	v_mul_f32_e32 v80, v7, v80
	s_wait_alu 0xfffd
	v_cndmask_b32_e32 v16, v77, v78, vcc_lo
	v_add3_u32 v77, v79, v17, 0x7fff
	v_or_b32_e32 v78, 0x400000, v17
	v_bfe_u32 v79, v68, 16, 1
	v_cmp_u_f32_e32 vcc_lo, v17, v17
	v_and_b32_e32 v16, 0xffff0000, v16
	s_wait_alu 0xfffd
	v_dual_add_f32 v26, v26, v15 :: v_dual_cndmask_b32 v17, v77, v78
	v_add3_u32 v77, v79, v68, 0x7fff
	v_or_b32_e32 v78, 0x400000, v68
	v_bfe_u32 v79, v80, 16, 1
	v_cmp_u_f32_e32 vcc_lo, v68, v68
	s_wait_alu 0xfffd
	s_delay_alu instid0(VALU_DEP_3) | instskip(NEXT) | instid1(VALU_DEP_3)
	v_dual_cndmask_b32 v68, v77, v78 :: v_dual_and_b32 v17, 0xffff0000, v17
	v_add3_u32 v77, v79, v80, 0x7fff
	v_or_b32_e32 v78, 0x400000, v80
	v_mul_f32_e32 v79, v8, v83
	v_bfe_u32 v83, v81, 16, 1
	v_cmp_u_f32_e32 vcc_lo, v80, v80
	v_and_b32_e32 v68, 0xffff0000, v68
	v_add_f32_e32 v16, v17, v16
	v_or_b32_e32 v94, 0x400000, v79
	v_add3_u32 v80, v83, v81, 0x7fff
	s_wait_alu 0xfffd
	v_cndmask_b32_e32 v77, v77, v78, vcc_lo
	v_bfe_u32 v78, v79, 16, 1
	v_mul_f32_e32 v83, v4, v93
	v_or_b32_e32 v93, 0x400000, v81
	v_cmp_u_f32_e32 vcc_lo, v81, v81
	v_bfe_u32 v81, v92, 16, 1
	v_add3_u32 v78, v78, v79, 0x7fff
	v_bfe_u32 v95, v83, 16, 1
	v_and_b32_e32 v77, 0xffff0000, v77
	s_wait_alu 0xfffd
	v_cndmask_b32_e32 v80, v80, v93, vcc_lo
	v_cmp_u_f32_e32 vcc_lo, v79, v79
	v_add3_u32 v81, v81, v92, 0x7fff
	v_add3_u32 v79, v95, v83, 0x7fff
	v_or_b32_e32 v93, 0x400000, v83
	s_wait_alu 0xfffd
	v_dual_add_f32 v17, v77, v68 :: v_dual_cndmask_b32 v78, v78, v94
	v_or_b32_e32 v94, 0x400000, v92
	v_cmp_u_f32_e32 vcc_lo, v92, v92
	s_delay_alu instid0(VALU_DEP_3) | instskip(NEXT) | instid1(VALU_DEP_4)
	v_add_f32_e32 v16, v17, v16
	v_and_b32_e32 v68, 0xffff0000, v78
	s_wait_alu 0xfffd
	v_cndmask_b32_e32 v78, v81, v94, vcc_lo
	v_cmp_u_f32_e32 vcc_lo, v83, v83
	v_lshlrev_b32_e32 v81, 16, v88
	v_and_b32_e32 v77, 0xffff0000, v80
	s_wait_alu 0xfffd
	v_cndmask_b32_e32 v79, v79, v93, vcc_lo
	s_delay_alu instid0(VALU_DEP_2) | instskip(SKIP_2) | instid1(VALU_DEP_3)
	v_dual_add_f32 v17, v68, v77 :: v_dual_lshlrev_b32 v68, 16, v91
	v_and_b32_e32 v77, 0xffff0000, v78
	v_lshlrev_b32_e32 v78, 16, v90
	v_dual_add_f32 v16, v17, v16 :: v_dual_and_b32 v79, 0xffff0000, v79
	s_delay_alu instid0(VALU_DEP_4) | instskip(NEXT) | instid1(VALU_DEP_3)
	v_mul_f32_e32 v68, v1, v68
	v_mul_f32_e32 v17, v5, v78
	s_delay_alu instid0(VALU_DEP_3) | instskip(NEXT) | instid1(VALU_DEP_3)
	v_dual_add_f32 v76, v77, v79 :: v_dual_lshlrev_b32 v77, 16, v89
	v_bfe_u32 v78, v68, 16, 1
	v_cmp_u_f32_e32 vcc_lo, v68, v68
	s_delay_alu instid0(VALU_DEP_4) | instskip(NEXT) | instid1(VALU_DEP_4)
	v_bfe_u32 v15, v17, 16, 1
	v_add_f32_e32 v16, v76, v16
	v_mul_f32_e32 v76, v2, v77
	v_add3_u32 v77, v78, v68, 0x7fff
	v_or_b32_e32 v78, 0x400000, v68
	v_add3_u32 v15, v15, v17, 0x7fff
	v_or_b32_e32 v79, 0x400000, v17
	v_bfe_u32 v80, v76, 16, 1
	s_wait_alu 0xfffd
	v_cndmask_b32_e32 v68, v77, v78, vcc_lo
	v_cmp_u_f32_e32 vcc_lo, v17, v17
	v_mul_f32_e32 v17, v7, v81
	v_add3_u32 v77, v80, v76, 0x7fff
	v_or_b32_e32 v78, 0x400000, v76
	s_wait_alu 0xfffd
	v_dual_cndmask_b32 v15, v15, v79 :: v_dual_lshlrev_b32 v80, 16, v86
	v_lshlrev_b32_e32 v79, 16, v87
	v_cmp_u_f32_e32 vcc_lo, v76, v76
	v_bfe_u32 v81, v17, 16, 1
	v_and_b32_e32 v68, 0xffff0000, v68
	s_wait_alu 0xfffd
	v_dual_cndmask_b32 v76, v77, v78 :: v_dual_and_b32 v15, 0xffff0000, v15
	v_dual_mul_f32 v77, v3, v79 :: v_dual_mul_f32 v78, v8, v80
	v_add3_u32 v79, v81, v17, 0x7fff
	v_or_b32_e32 v80, 0x400000, v17
	v_lshlrev_b32_e32 v81, 16, v85
	s_delay_alu instid0(VALU_DEP_4)
	v_bfe_u32 v83, v77, 16, 1
	v_cmp_u_f32_e32 vcc_lo, v17, v17
	v_bfe_u32 v85, v78, 16, 1
	v_and_b32_e32 v76, 0xffff0000, v76
	v_add_f32_e32 v15, v15, v68
	s_wait_alu 0xfffd
	v_cndmask_b32_e32 v17, v79, v80, vcc_lo
	v_mul_f32_e32 v79, v4, v81
	v_add3_u32 v80, v83, v77, 0x7fff
	v_or_b32_e32 v81, 0x400000, v77
	v_cmp_u_f32_e32 vcc_lo, v77, v77
	v_add3_u32 v83, v85, v78, 0x7fff
	v_or_b32_e32 v85, 0x400000, v78
	v_bfe_u32 v86, v79, 16, 1
	v_and_b32_e32 v17, 0xffff0000, v17
	s_wait_alu 0xfffd
	v_cndmask_b32_e32 v77, v80, v81, vcc_lo
	v_cmp_u_f32_e32 vcc_lo, v78, v78
	v_lshlrev_b32_e32 v80, 16, v84
	v_add3_u32 v81, v86, v79, 0x7fff
	v_dual_add_f32 v17, v17, v76 :: v_dual_lshlrev_b32 v76, 16, v82
	s_wait_alu 0xfffd
	v_cndmask_b32_e32 v78, v83, v85, vcc_lo
	v_or_b32_e32 v83, 0x400000, v79
	v_mul_f32_e32 v80, v6, v80
	v_cmp_u_f32_e32 vcc_lo, v79, v79
	v_and_b32_e32 v77, 0xffff0000, v77
	v_dual_add_f32 v15, v17, v15 :: v_dual_and_b32 v68, 0xffff0000, v78
	v_mul_f32_e32 v17, v1, v76
	s_wait_alu 0xfffd
	v_cndmask_b32_e32 v79, v81, v83, vcc_lo
	v_bfe_u32 v81, v80, 16, 1
	v_cmp_u_f32_e32 vcc_lo, v80, v80
	v_add_f32_e32 v68, v68, v77
	v_bfe_u32 v77, v17, 16, 1
	v_add_f32_e32 v27, v27, v16
	v_add3_u32 v78, v81, v80, 0x7fff
	v_or_b32_e32 v81, 0x400000, v80
	v_add_f32_e32 v15, v68, v15
	v_mul_f32_e32 v68, v5, v75
	v_or_b32_e32 v80, 0x400000, v71
	v_bfe_u32 v82, v69, 16, 1
	s_wait_alu 0xfffd
	v_cndmask_b32_e32 v76, v78, v81, vcc_lo
	v_cmp_u_f32_e32 vcc_lo, v17, v17
	s_delay_alu instid0(VALU_DEP_2) | instskip(SKIP_3) | instid1(VALU_DEP_1)
	v_and_b32_e32 v75, 0xffff0000, v76
	v_add3_u32 v76, v77, v17, 0x7fff
	v_or_b32_e32 v77, 0x400000, v17
	s_wait_alu 0xfffd
	v_cndmask_b32_e32 v17, v76, v77, vcc_lo
	s_delay_alu instid0(VALU_DEP_1) | instskip(SKIP_3) | instid1(VALU_DEP_3)
	v_and_b32_e32 v17, 0xffff0000, v17
	v_bfe_u32 v78, v68, 16, 1
	v_or_b32_e32 v77, 0x400000, v68
	v_cmp_u_f32_e32 vcc_lo, v68, v68
	v_add3_u32 v76, v78, v68, 0x7fff
	s_wait_alu 0xfffd
	s_delay_alu instid0(VALU_DEP_1) | instskip(NEXT) | instid1(VALU_DEP_1)
	v_cndmask_b32_e32 v68, v76, v77, vcc_lo
	v_and_b32_e32 v68, 0xffff0000, v68
	s_delay_alu instid0(VALU_DEP_1) | instskip(NEXT) | instid1(VALU_DEP_1)
	v_dual_add_f32 v17, v68, v17 :: v_dual_lshlrev_b32 v74, 16, v74
	v_mul_f32_e32 v74, v2, v74
	s_delay_alu instid0(VALU_DEP_1) | instskip(SKIP_2) | instid1(VALU_DEP_3)
	v_bfe_u32 v78, v74, 16, 1
	v_or_b32_e32 v77, 0x400000, v74
	v_cmp_u_f32_e32 vcc_lo, v74, v74
	v_add3_u32 v76, v78, v74, 0x7fff
	v_bfe_u32 v78, v73, 16, 1
	s_wait_alu 0xfffd
	s_delay_alu instid0(VALU_DEP_2) | instskip(NEXT) | instid1(VALU_DEP_2)
	v_cndmask_b32_e32 v74, v76, v77, vcc_lo
	v_add3_u32 v76, v78, v73, 0x7fff
	v_or_b32_e32 v77, 0x400000, v73
	v_cmp_u_f32_e32 vcc_lo, v73, v73
	s_wait_alu 0xfffd
	s_delay_alu instid0(VALU_DEP_2) | instskip(SKIP_1) | instid1(VALU_DEP_2)
	v_dual_cndmask_b32 v73, v76, v77 :: v_dual_and_b32 v74, 0xffff0000, v74
	v_bfe_u32 v76, v71, 16, 1
	v_and_b32_e32 v73, 0xffff0000, v73
	s_delay_alu instid0(VALU_DEP_2) | instskip(NEXT) | instid1(VALU_DEP_2)
	v_add3_u32 v76, v76, v71, 0x7fff
	v_dual_add_f32 v68, v73, v74 :: v_dual_and_b32 v73, 0xffff0000, v79
	s_delay_alu instid0(VALU_DEP_1) | instskip(NEXT) | instid1(VALU_DEP_1)
	v_dual_add_f32 v17, v68, v17 :: v_dual_lshlrev_b32 v72, 16, v72
	v_mul_f32_e32 v72, v3, v72
	s_delay_alu instid0(VALU_DEP_1) | instskip(SKIP_1) | instid1(VALU_DEP_2)
	v_bfe_u32 v78, v72, 16, 1
	v_cmp_u_f32_e32 vcc_lo, v72, v72
	v_add3_u32 v77, v78, v72, 0x7fff
	v_or_b32_e32 v78, 0x400000, v72
	s_wait_alu 0xfffd
	s_delay_alu instid0(VALU_DEP_1) | instskip(SKIP_3) | instid1(VALU_DEP_4)
	v_cndmask_b32_e32 v72, v77, v78, vcc_lo
	v_cmp_u_f32_e32 vcc_lo, v71, v71
	v_add3_u32 v77, v82, v69, 0x7fff
	v_or_b32_e32 v78, 0x400000, v69
	v_and_b32_e32 v72, 0xffff0000, v72
	s_wait_alu 0xfffd
	v_cndmask_b32_e32 v71, v76, v80, vcc_lo
	v_cmp_u_f32_e32 vcc_lo, v69, v69
	s_delay_alu instid0(VALU_DEP_2) | instskip(SKIP_1) | instid1(VALU_DEP_1)
	v_and_b32_e32 v71, 0xffff0000, v71
	s_wait_alu 0xfffd
	v_dual_cndmask_b32 v69, v77, v78 :: v_dual_add_f32 v68, v71, v72
	v_lshlrev_b32_e32 v70, 16, v70
	s_delay_alu instid0(VALU_DEP_2) | instskip(SKIP_1) | instid1(VALU_DEP_4)
	v_and_b32_e32 v69, 0xffff0000, v69
	v_add_f32_e32 v71, v75, v73
	v_add_f32_e32 v17, v68, v17
	s_delay_alu instid0(VALU_DEP_4) | instskip(NEXT) | instid1(VALU_DEP_3)
	v_mul_f32_e32 v70, v4, v70
	v_dual_mul_f32 v4, v4, v13 :: v_dual_add_f32 v15, v71, v15
	s_delay_alu instid0(VALU_DEP_2) | instskip(SKIP_2) | instid1(VALU_DEP_4)
	v_bfe_u32 v81, v70, 16, 1
	v_or_b32_e32 v80, 0x400000, v70
	v_cmp_u_f32_e32 vcc_lo, v70, v70
	v_add_f32_e32 v28, v28, v15
	v_bfe_u32 v15, v66, 16, 1
	v_add3_u32 v76, v81, v70, 0x7fff
	s_delay_alu instid0(VALU_DEP_2) | instskip(SKIP_1) | instid1(VALU_DEP_2)
	v_add3_u32 v15, v15, v66, 0x7fff
	s_wait_alu 0xfffd
	v_cndmask_b32_e32 v70, v76, v80, vcc_lo
	v_cmp_u_f32_e32 vcc_lo, v67, v67
	s_delay_alu instid0(VALU_DEP_2) | instskip(NEXT) | instid1(VALU_DEP_1)
	v_and_b32_e32 v70, 0xffff0000, v70
	v_add_f32_e32 v68, v69, v70
	v_bfe_u32 v69, v61, 16, 1
	s_delay_alu instid0(VALU_DEP_2) | instskip(SKIP_2) | instid1(VALU_DEP_3)
	v_add_f32_e32 v16, v68, v17
	v_bfe_u32 v17, v67, 16, 1
	v_or_b32_e32 v68, 0x400000, v66
	v_add_f32_e32 v29, v29, v16
	s_delay_alu instid0(VALU_DEP_3) | instskip(SKIP_3) | instid1(VALU_DEP_2)
	v_add3_u32 v16, v17, v67, 0x7fff
	v_or_b32_e32 v17, 0x400000, v67
	v_bfe_u32 v67, v64, 16, 1
	s_wait_alu 0xfffd
	v_cndmask_b32_e32 v16, v16, v17, vcc_lo
	v_cmp_u_f32_e32 vcc_lo, v66, v66
	v_bfe_u32 v17, v65, 16, 1
	v_or_b32_e32 v66, 0x400000, v65
	s_wait_alu 0xfffd
	v_cndmask_b32_e32 v15, v15, v68, vcc_lo
	s_delay_alu instid0(VALU_DEP_3)
	v_add3_u32 v17, v17, v65, 0x7fff
	v_cmp_u_f32_e32 vcc_lo, v65, v65
	v_add3_u32 v65, v67, v64, 0x7fff
	v_bfe_u32 v67, v63, 16, 1
	v_and_b32_e32 v15, 0xffff0000, v15
	v_and_b32_e32 v16, 0xffff0000, v16
	v_lshlrev_b32_e32 v62, 16, v62
	s_wait_alu 0xfffd
	v_cndmask_b32_e32 v17, v17, v66, vcc_lo
	v_or_b32_e32 v66, 0x400000, v64
	v_cmp_u_f32_e32 vcc_lo, v64, v64
	v_dual_add_f32 v15, v15, v16 :: v_dual_mul_f32 v62, v8, v62
	s_wait_alu 0xfffd
	s_delay_alu instid0(VALU_DEP_3) | instskip(SKIP_1) | instid1(VALU_DEP_3)
	v_dual_cndmask_b32 v64, v65, v66 :: v_dual_and_b32 v17, 0xffff0000, v17
	v_add3_u32 v65, v67, v63, 0x7fff
	v_bfe_u32 v68, v62, 16, 1
	v_or_b32_e32 v66, 0x400000, v63
	v_cmp_u_f32_e32 vcc_lo, v63, v63
	v_and_b32_e32 v64, 0xffff0000, v64
	s_delay_alu instid0(VALU_DEP_4)
	v_add3_u32 v67, v68, v62, 0x7fff
	v_or_b32_e32 v68, 0x400000, v62
	s_wait_alu 0xfffd
	v_cndmask_b32_e32 v63, v65, v66, vcc_lo
	v_cmp_u_f32_e32 vcc_lo, v62, v62
	v_add3_u32 v65, v69, v61, 0x7fff
	v_or_b32_e32 v66, 0x400000, v61
	v_add_f32_e32 v16, v64, v17
	s_wait_alu 0xfffd
	v_cndmask_b32_e32 v62, v67, v68, vcc_lo
	v_cmp_u_f32_e32 vcc_lo, v61, v61
	s_delay_alu instid0(VALU_DEP_3) | instskip(SKIP_4) | instid1(VALU_DEP_1)
	v_add_f32_e32 v15, v16, v15
	v_mul_f32_e32 v16, v1, v59
	v_mul_f32_e32 v59, v5, v58
	s_wait_alu 0xfffd
	v_cndmask_b32_e32 v61, v65, v66, vcc_lo
	v_and_b32_e32 v61, 0xffff0000, v61
	v_and_b32_e32 v17, 0xffff0000, v62
	v_and_b32_e32 v62, 0xffff0000, v63
	v_lshlrev_b32_e32 v60, 16, v60
	v_bfe_u32 v63, v53, 16, 1
	s_delay_alu instid0(VALU_DEP_2) | instskip(SKIP_1) | instid1(VALU_DEP_2)
	v_dual_add_f32 v17, v17, v62 :: v_dual_mul_f32 v60, v6, v60
	v_bfe_u32 v62, v16, 16, 1
	v_add_f32_e32 v58, v17, v15
	s_delay_alu instid0(VALU_DEP_3)
	v_bfe_u32 v67, v60, 16, 1
	v_or_b32_e32 v66, 0x400000, v60
	v_cmp_u_f32_e32 vcc_lo, v60, v60
	v_lshlrev_b32_e32 v17, 16, v57
	v_bfe_u32 v15, v59, 16, 1
	v_add3_u32 v65, v67, v60, 0x7fff
	s_delay_alu instid0(VALU_DEP_3) | instskip(NEXT) | instid1(VALU_DEP_3)
	v_mul_f32_e32 v17, v2, v17
	v_add3_u32 v15, v15, v59, 0x7fff
	s_wait_alu 0xfffd
	s_delay_alu instid0(VALU_DEP_3) | instskip(SKIP_1) | instid1(VALU_DEP_2)
	v_cndmask_b32_e32 v60, v65, v66, vcc_lo
	v_cmp_u_f32_e32 vcc_lo, v16, v16
	v_and_b32_e32 v60, 0xffff0000, v60
	s_delay_alu instid0(VALU_DEP_1) | instskip(SKIP_4) | instid1(VALU_DEP_2)
	v_add_f32_e32 v57, v60, v61
	v_add3_u32 v60, v62, v16, 0x7fff
	v_or_b32_e32 v61, 0x400000, v16
	v_or_b32_e32 v62, 0x400000, v59
	s_wait_alu 0xfffd
	v_cndmask_b32_e32 v16, v60, v61, vcc_lo
	v_cmp_u_f32_e32 vcc_lo, v59, v59
	v_bfe_u32 v60, v17, 16, 1
	s_wait_alu 0xfffd
	v_cndmask_b32_e32 v15, v15, v62, vcc_lo
	s_delay_alu instid0(VALU_DEP_2)
	v_add3_u32 v59, v60, v17, 0x7fff
	v_or_b32_e32 v60, 0x400000, v17
	v_cmp_u_f32_e32 vcc_lo, v17, v17
	v_bfe_u32 v62, v54, 16, 1
	v_and_b32_e32 v15, 0xffff0000, v15
	v_and_b32_e32 v16, 0xffff0000, v16
	s_wait_alu 0xfffd
	v_cndmask_b32_e32 v17, v59, v60, vcc_lo
	s_delay_alu instid0(VALU_DEP_2) | instskip(SKIP_1) | instid1(VALU_DEP_1)
	v_add_f32_e32 v15, v15, v16
	v_lshlrev_b32_e32 v56, 16, v56
	v_dual_mul_f32 v56, v7, v56 :: v_dual_and_b32 v17, 0xffff0000, v17
	s_delay_alu instid0(VALU_DEP_1) | instskip(SKIP_2) | instid1(VALU_DEP_3)
	v_bfe_u32 v61, v56, 16, 1
	v_or_b32_e32 v60, 0x400000, v56
	v_cmp_u_f32_e32 vcc_lo, v56, v56
	v_add3_u32 v59, v61, v56, 0x7fff
	v_bfe_u32 v61, v55, 16, 1
	s_wait_alu 0xfffd
	s_delay_alu instid0(VALU_DEP_2) | instskip(NEXT) | instid1(VALU_DEP_2)
	v_cndmask_b32_e32 v56, v59, v60, vcc_lo
	v_add3_u32 v59, v61, v55, 0x7fff
	v_or_b32_e32 v60, 0x400000, v55
	v_cmp_u_f32_e32 vcc_lo, v55, v55
	v_add3_u32 v61, v62, v54, 0x7fff
	v_or_b32_e32 v62, 0x400000, v54
	v_and_b32_e32 v56, 0xffff0000, v56
	s_wait_alu 0xfffd
	v_cndmask_b32_e32 v55, v59, v60, vcc_lo
	v_cmp_u_f32_e32 vcc_lo, v54, v54
	v_add3_u32 v59, v63, v53, 0x7fff
	v_add_f32_e32 v16, v56, v17
	v_or_b32_e32 v60, 0x400000, v53
	s_wait_alu 0xfffd
	v_cndmask_b32_e32 v54, v61, v62, vcc_lo
	v_cmp_u_f32_e32 vcc_lo, v53, v53
	v_add_f32_e32 v15, v16, v15
	s_delay_alu instid0(VALU_DEP_3) | instskip(SKIP_3) | instid1(VALU_DEP_2)
	v_and_b32_e32 v17, 0xffff0000, v54
	s_wait_alu 0xfffd
	v_dual_cndmask_b32 v53, v59, v60 :: v_dual_and_b32 v54, 0xffff0000, v55
	v_bfe_u32 v55, v49, 16, 1
	v_add_f32_e32 v16, v17, v54
	v_dual_mul_f32 v17, v1, v51 :: v_dual_mul_f32 v52, v6, v52
	s_delay_alu instid0(VALU_DEP_1) | instskip(SKIP_2) | instid1(VALU_DEP_3)
	v_bfe_u32 v61, v52, 16, 1
	v_or_b32_e32 v60, 0x400000, v52
	v_cmp_u_f32_e32 vcc_lo, v52, v52
	v_add3_u32 v59, v61, v52, 0x7fff
	s_wait_alu 0xfffd
	s_delay_alu instid0(VALU_DEP_1) | instskip(SKIP_1) | instid1(VALU_DEP_2)
	v_cndmask_b32_e32 v52, v59, v60, vcc_lo
	v_cmp_u_f32_e32 vcc_lo, v17, v17
	v_and_b32_e32 v51, 0xffff0000, v52
	v_and_b32_e32 v52, 0xffff0000, v53
	v_bfe_u32 v53, v17, 16, 1
	v_add_f32_e32 v15, v16, v15
	s_delay_alu instid0(VALU_DEP_3) | instskip(NEXT) | instid1(VALU_DEP_3)
	v_add_f32_e32 v51, v51, v52
	v_add3_u32 v52, v53, v17, 0x7fff
	v_or_b32_e32 v53, 0x400000, v17
	s_wait_alu 0xfffd
	s_delay_alu instid0(VALU_DEP_1) | instskip(NEXT) | instid1(VALU_DEP_1)
	v_dual_cndmask_b32 v17, v52, v53 :: v_dual_lshlrev_b32 v50, 16, v50
	v_mul_f32_e32 v50, v5, v50
	v_mul_f32_e32 v48, v7, v48
	v_or_b32_e32 v52, 0x400000, v49
	s_delay_alu instid0(VALU_DEP_4) | instskip(NEXT) | instid1(VALU_DEP_4)
	v_and_b32_e32 v17, 0xffff0000, v17
	v_bfe_u32 v16, v50, 16, 1
	v_or_b32_e32 v54, 0x400000, v50
	v_cmp_u_f32_e32 vcc_lo, v50, v50
	v_bfe_u32 v53, v48, 16, 1
	s_delay_alu instid0(VALU_DEP_4) | instskip(SKIP_3) | instid1(VALU_DEP_3)
	v_add3_u32 v16, v16, v50, 0x7fff
	v_add3_u32 v50, v55, v49, 0x7fff
	v_bfe_u32 v55, v45, 16, 1
	s_wait_alu 0xfffd
	v_cndmask_b32_e32 v16, v16, v54, vcc_lo
	v_cmp_u_f32_e32 vcc_lo, v49, v49
	s_wait_alu 0xfffd
	v_cndmask_b32_e32 v49, v50, v52, vcc_lo
	v_add3_u32 v50, v53, v48, 0x7fff
	v_or_b32_e32 v52, 0x400000, v48
	v_bfe_u32 v53, v47, 16, 1
	v_cmp_u_f32_e32 vcc_lo, v48, v48
	s_wait_alu 0xfffd
	s_delay_alu instid0(VALU_DEP_3) | instskip(NEXT) | instid1(VALU_DEP_3)
	v_dual_cndmask_b32 v48, v50, v52 :: v_dual_and_b32 v49, 0xffff0000, v49
	v_add3_u32 v50, v53, v47, 0x7fff
	v_or_b32_e32 v52, 0x400000, v47
	v_cmp_u_f32_e32 vcc_lo, v47, v47
	v_lshlrev_b32_e32 v46, 16, v46
	v_and_b32_e32 v48, 0xffff0000, v48
	v_lshlrev_b32_e32 v44, 16, v44
	s_wait_alu 0xfffd
	s_delay_alu instid0(VALU_DEP_3) | instskip(SKIP_2) | instid1(VALU_DEP_3)
	v_dual_cndmask_b32 v47, v50, v52 :: v_dual_mul_f32 v46, v8, v46
	v_add3_u32 v50, v55, v45, 0x7fff
	v_or_b32_e32 v52, 0x400000, v45
	v_and_b32_e32 v47, 0xffff0000, v47
	s_delay_alu instid0(VALU_DEP_4) | instskip(SKIP_1) | instid1(VALU_DEP_2)
	v_bfe_u32 v54, v46, 16, 1
	v_cmp_u_f32_e32 vcc_lo, v46, v46
	v_add3_u32 v53, v54, v46, 0x7fff
	v_or_b32_e32 v54, 0x400000, v46
	s_wait_alu 0xfffd
	s_delay_alu instid0(VALU_DEP_1) | instskip(SKIP_2) | instid1(VALU_DEP_2)
	v_cndmask_b32_e32 v46, v53, v54, vcc_lo
	v_cmp_u_f32_e32 vcc_lo, v45, v45
	s_wait_alu 0xfffd
	v_dual_cndmask_b32 v45, v50, v52 :: v_dual_and_b32 v46, 0xffff0000, v46
	v_and_b32_e32 v16, 0xffff0000, v16
	s_delay_alu instid0(VALU_DEP_2) | instskip(NEXT) | instid1(VALU_DEP_2)
	v_and_b32_e32 v45, 0xffff0000, v45
	v_add_f32_e32 v16, v16, v17
	v_dual_add_f32 v17, v48, v49 :: v_dual_mul_f32 v44, v6, v44
	s_delay_alu instid0(VALU_DEP_1) | instskip(NEXT) | instid1(VALU_DEP_2)
	v_add_f32_e32 v16, v17, v16
	v_bfe_u32 v50, v44, 16, 1
	v_or_b32_e32 v49, 0x400000, v44
	v_mul_f32_e32 v17, v1, v43
	v_cmp_u_f32_e32 vcc_lo, v44, v44
	v_add_f32_e32 v43, v46, v47
	v_add3_u32 v48, v50, v44, 0x7fff
	s_delay_alu instid0(VALU_DEP_4) | instskip(NEXT) | instid1(VALU_DEP_3)
	v_bfe_u32 v46, v17, 16, 1
	v_add_f32_e32 v16, v43, v16
	s_wait_alu 0xfffd
	s_delay_alu instid0(VALU_DEP_3) | instskip(SKIP_2) | instid1(VALU_DEP_3)
	v_cndmask_b32_e32 v44, v48, v49, vcc_lo
	v_cmp_u_f32_e32 vcc_lo, v17, v17
	v_or_b32_e32 v48, 0x400000, v41
	v_and_b32_e32 v43, 0xffff0000, v44
	v_add3_u32 v44, v46, v17, 0x7fff
	v_or_b32_e32 v46, 0x400000, v17
	s_wait_alu 0xfffd
	s_delay_alu instid0(VALU_DEP_1) | instskip(SKIP_1) | instid1(VALU_DEP_2)
	v_cndmask_b32_e32 v17, v44, v46, vcc_lo
	v_bfe_u32 v44, v41, 16, 1
	v_dual_mul_f32 v38, v8, v38 :: v_dual_and_b32 v17, 0xffff0000, v17
	s_delay_alu instid0(VALU_DEP_2) | instskip(SKIP_1) | instid1(VALU_DEP_1)
	v_add3_u32 v44, v44, v41, 0x7fff
	v_lshlrev_b32_e32 v42, 16, v42
	v_mul_f32_e32 v42, v5, v42
	s_delay_alu instid0(VALU_DEP_1) | instskip(SKIP_1) | instid1(VALU_DEP_2)
	v_bfe_u32 v47, v42, 16, 1
	v_cmp_u_f32_e32 vcc_lo, v42, v42
	v_add3_u32 v46, v47, v42, 0x7fff
	v_or_b32_e32 v47, 0x400000, v42
	s_wait_alu 0xfffd
	s_delay_alu instid0(VALU_DEP_1) | instskip(SKIP_3) | instid1(VALU_DEP_3)
	v_cndmask_b32_e32 v42, v46, v47, vcc_lo
	v_bfe_u32 v46, v40, 16, 1
	v_cmp_u_f32_e32 vcc_lo, v41, v41
	v_or_b32_e32 v47, 0x400000, v40
	v_add3_u32 v46, v46, v40, 0x7fff
	s_wait_alu 0xfffd
	v_cndmask_b32_e32 v41, v44, v48, vcc_lo
	v_bfe_u32 v44, v39, 16, 1
	v_cmp_u_f32_e32 vcc_lo, v40, v40
	v_or_b32_e32 v48, 0x400000, v39
	s_delay_alu instid0(VALU_DEP_4) | instskip(NEXT) | instid1(VALU_DEP_4)
	v_and_b32_e32 v41, 0xffff0000, v41
	v_add3_u32 v44, v44, v39, 0x7fff
	s_wait_alu 0xfffd
	v_cndmask_b32_e32 v40, v46, v47, vcc_lo
	v_bfe_u32 v46, v38, 16, 1
	v_cmp_u_f32_e32 vcc_lo, v39, v39
	v_bfe_u32 v47, v37, 16, 1
	s_wait_alu 0xfffd
	v_cndmask_b32_e32 v39, v44, v48, vcc_lo
	v_add3_u32 v44, v46, v38, 0x7fff
	v_or_b32_e32 v46, 0x400000, v38
	v_cmp_u_f32_e32 vcc_lo, v38, v38
	v_add3_u32 v47, v47, v37, 0x7fff
	v_or_b32_e32 v48, 0x400000, v37
	v_and_b32_e32 v40, 0xffff0000, v40
	s_wait_alu 0xfffd
	v_dual_cndmask_b32 v38, v44, v46 :: v_dual_and_b32 v39, 0xffff0000, v39
	v_cmp_u_f32_e32 vcc_lo, v37, v37
	s_wait_alu 0xfffd
	v_dual_add_f32 v40, v40, v41 :: v_dual_cndmask_b32 v37, v47, v48
	v_lshlrev_b32_e32 v47, 16, v105
	s_delay_alu instid0(VALU_DEP_1) | instskip(NEXT) | instid1(VALU_DEP_1)
	v_dual_mul_f32 v5, v5, v47 :: v_dual_and_b32 v42, 0xffff0000, v42
	v_dual_add_f32 v17, v42, v17 :: v_dual_lshlrev_b32 v36, 16, v36
	v_and_b32_e32 v38, 0xffff0000, v38
	s_delay_alu instid0(VALU_DEP_2) | instskip(NEXT) | instid1(VALU_DEP_4)
	v_dual_mul_f32 v36, v6, v36 :: v_dual_add_f32 v17, v40, v17
	v_bfe_u32 v40, v5, 16, 1
	s_delay_alu instid0(VALU_DEP_3) | instskip(SKIP_1) | instid1(VALU_DEP_4)
	v_add_f32_e32 v38, v38, v39
	v_lshlrev_b32_e32 v39, 16, v103
	v_bfe_u32 v44, v36, 16, 1
	v_or_b32_e32 v46, 0x400000, v36
	v_cmp_u_f32_e32 vcc_lo, v36, v36
	v_add3_u32 v40, v40, v5, 0x7fff
	v_mul_f32_e32 v7, v7, v39
	v_add3_u32 v44, v44, v36, 0x7fff
	v_lshlrev_b32_e32 v41, 16, v104
	v_lshlrev_b32_e32 v39, 16, v102
	v_mul_f32_e32 v6, v6, v14
	s_wait_alu 0xfffd
	s_delay_alu instid0(VALU_DEP_3) | instskip(SKIP_3) | instid1(VALU_DEP_4)
	v_dual_cndmask_b32 v36, v44, v46 :: v_dual_mul_f32 v1, v1, v41
	v_or_b32_e32 v41, 0x400000, v5
	v_cmp_u_f32_e32 vcc_lo, v5, v5
	v_mul_f32_e32 v2, v2, v39
	v_and_b32_e32 v36, 0xffff0000, v36
	v_bfe_u32 v42, v1, 16, 1
	v_lshlrev_b32_e32 v39, 16, v101
	s_wait_alu 0xfffd
	v_cndmask_b32_e32 v5, v40, v41, vcc_lo
	v_or_b32_e32 v41, 0x400000, v1
	v_cmp_u_f32_e32 vcc_lo, v1, v1
	v_add3_u32 v40, v42, v1, 0x7fff
	v_bfe_u32 v42, v7, 16, 1
	v_dual_mul_f32 v8, v8, v39 :: v_dual_lshlrev_b32 v39, 16, v100
	s_wait_alu 0xfffd
	s_delay_alu instid0(VALU_DEP_3) | instskip(NEXT) | instid1(VALU_DEP_3)
	v_cndmask_b32_e32 v1, v40, v41, vcc_lo
	v_add3_u32 v40, v42, v7, 0x7fff
	v_or_b32_e32 v41, 0x400000, v7
	v_bfe_u32 v42, v2, 16, 1
	v_cmp_u_f32_e32 vcc_lo, v7, v7
	v_mul_f32_e32 v3, v3, v39
	v_or_b32_e32 v13, 0x400000, v8
	s_wait_alu 0xfffd
	v_cndmask_b32_e32 v7, v40, v41, vcc_lo
	v_add3_u32 v40, v42, v2, 0x7fff
	v_or_b32_e32 v41, 0x400000, v2
	v_bfe_u32 v42, v8, 16, 1
	v_cmp_u_f32_e32 vcc_lo, v2, v2
	v_bfe_u32 v39, v3, 16, 1
	s_wait_alu 0xfffd
	v_cndmask_b32_e32 v2, v40, v41, vcc_lo
	v_add3_u32 v40, v42, v8, 0x7fff
	v_cmp_u_f32_e32 vcc_lo, v8, v8
	v_add3_u32 v14, v39, v3, 0x7fff
	v_or_b32_e32 v39, 0x400000, v3
	v_bfe_u32 v42, v4, 16, 1
	v_bfe_u32 v41, v6, 16, 1
	s_wait_alu 0xfffd
	v_cndmask_b32_e32 v8, v40, v13, vcc_lo
	v_cmp_u_f32_e32 vcc_lo, v3, v3
	v_and_b32_e32 v2, 0xffff0000, v2
	v_and_b32_e32 v7, 0xffff0000, v7
	v_add3_u32 v13, v41, v6, 0x7fff
	v_and_b32_e32 v1, 0xffff0000, v1
	s_wait_alu 0xfffd
	v_cndmask_b32_e32 v3, v14, v39, vcc_lo
	v_add3_u32 v14, v42, v4, 0x7fff
	v_or_b32_e32 v39, 0x400000, v4
	v_cmp_u_f32_e32 vcc_lo, v4, v4
	v_or_b32_e32 v40, 0x400000, v6
	v_add_f32_e32 v2, v7, v2
	s_wait_alu 0xfffd
	v_cndmask_b32_e32 v4, v14, v39, vcc_lo
	v_cmp_u_f32_e32 vcc_lo, v6, v6
	s_wait_alu 0xfffd
	v_dual_cndmask_b32 v6, v13, v40 :: v_dual_and_b32 v5, 0xffff0000, v5
	s_delay_alu instid0(VALU_DEP_1) | instskip(SKIP_2) | instid1(VALU_DEP_3)
	v_add_f32_e32 v1, v5, v1
	v_and_b32_e32 v5, 0xffff0000, v8
	v_and_b32_e32 v7, 0xffff0000, v37
	v_add_f32_e32 v1, v2, v1
	s_delay_alu instid0(VALU_DEP_2) | instskip(SKIP_1) | instid1(VALU_DEP_1)
	v_add_f32_e32 v7, v36, v7
	v_and_b32_e32 v3, 0xffff0000, v3
	v_dual_add_f32 v2, v5, v3 :: v_dual_add_f32 v5, v43, v45
	s_delay_alu instid0(VALU_DEP_1) | instskip(NEXT) | instid1(VALU_DEP_2)
	v_add_f32_e32 v1, v2, v1
	v_add_f32_e32 v5, v5, v16
	v_and_b32_e32 v3, 0xffff0000, v4
	v_and_b32_e32 v4, 0xffff0000, v6
	v_add_f32_e32 v6, v38, v17
	s_delay_alu instid0(VALU_DEP_4) | instskip(NEXT) | instid1(VALU_DEP_3)
	v_add_f32_e32 v32, v32, v5
	v_dual_add_f32 v2, v4, v3 :: v_dual_add_f32 v3, v57, v58
	s_delay_alu instid0(VALU_DEP_1) | instskip(NEXT) | instid1(VALU_DEP_1)
	v_dual_add_f32 v4, v51, v15 :: v_dual_add_f32 v1, v2, v1
	v_dual_add_f32 v30, v30, v3 :: v_dual_add_f32 v31, v31, v4
	s_delay_alu instid0(VALU_DEP_2) | instskip(SKIP_1) | instid1(VALU_DEP_1)
	v_add_f32_e32 v22, v22, v1
	v_add_f32_e32 v6, v7, v6
	;; [unrolled: 1-line block ×3, first 2 shown]
.LBB338_41:                             ;   in Loop: Header=BB338_42 Depth=1
	s_wait_alu 0xfffe
	s_or_b32 exec_lo, exec_lo, s18
	v_add_nc_u32_e32 v19, 4, v19
	v_add_co_u32 v9, s0, v9, 16
	s_wait_alu 0xf1ff
	v_add_co_ci_u32_e64 v10, null, 0, v10, s0
	s_delay_alu instid0(VALU_DEP_3)
	v_cmp_le_i32_e32 vcc_lo, s67, v19
	v_add_nc_u32_e32 v18, 64, v18
	v_add_nc_u32_e32 v35, 0x100, v35
	s_or_b32 s12, vcc_lo, s12
	s_wait_alu 0xfffe
	s_and_not1_b32 exec_lo, exec_lo, s12
	s_cbranch_execz .LBB338_67
.LBB338_42:                             ; =>This Inner Loop Header: Depth=1
	v_sub_nc_u32_e32 v1, 0, v18
	s_delay_alu instid0(VALU_DEP_1) | instskip(NEXT) | instid1(VALU_DEP_1)
	v_max_i32_e32 v1, v18, v1
	v_mul_hi_u32 v2, v1, s66
	s_delay_alu instid0(VALU_DEP_1) | instskip(NEXT) | instid1(VALU_DEP_1)
	v_mul_lo_u32 v3, v2, s60
	v_sub_nc_u32_e32 v1, v1, v3
	v_add_nc_u32_e32 v3, 1, v2
	s_delay_alu instid0(VALU_DEP_2) | instskip(SKIP_2) | instid1(VALU_DEP_2)
	v_subrev_nc_u32_e32 v4, s60, v1
	v_cmp_le_u32_e32 vcc_lo, s60, v1
	s_wait_alu 0xfffd
	v_dual_cndmask_b32 v2, v2, v3 :: v_dual_cndmask_b32 v1, v1, v4
	v_ashrrev_i32_e32 v3, 31, v18
	s_delay_alu instid0(VALU_DEP_2) | instskip(NEXT) | instid1(VALU_DEP_3)
	v_add_nc_u32_e32 v4, 1, v2
	v_cmp_le_u32_e32 vcc_lo, s60, v1
	s_delay_alu instid0(VALU_DEP_3) | instskip(SKIP_1) | instid1(VALU_DEP_3)
	v_xor_b32_e32 v3, s59, v3
	s_wait_alu 0xfffd
	v_cndmask_b32_e32 v1, v2, v4, vcc_lo
	s_delay_alu instid0(VALU_DEP_1) | instskip(NEXT) | instid1(VALU_DEP_1)
	v_xor_b32_e32 v1, v1, v3
	v_sub_nc_u32_e32 v1, v1, v3
	s_delay_alu instid0(VALU_DEP_1) | instskip(SKIP_1) | instid1(VALU_DEP_2)
	v_add_nc_u32_e32 v2, s65, v1
	v_cmp_lt_i32_e64 s0, s15, v1
	v_sub_nc_u32_e32 v3, 0, v2
	s_delay_alu instid0(VALU_DEP_1) | instskip(SKIP_1) | instid1(VALU_DEP_1)
	v_max_i32_e32 v3, v2, v3
	s_wait_alu 0xfffe
	v_mul_hi_u32 v4, v3, s13
	s_delay_alu instid0(VALU_DEP_1) | instskip(NEXT) | instid1(VALU_DEP_1)
	v_mul_lo_u32 v4, v4, s14
	v_sub_nc_u32_e32 v3, v3, v4
	s_delay_alu instid0(VALU_DEP_1) | instskip(SKIP_2) | instid1(VALU_DEP_2)
	v_subrev_nc_u32_e32 v4, s14, v3
	v_cmp_le_u32_e32 vcc_lo, s14, v3
	s_wait_alu 0xfffd
	v_cndmask_b32_e32 v3, v3, v4, vcc_lo
	v_ashrrev_i32_e32 v2, 31, v2
	s_delay_alu instid0(VALU_DEP_2) | instskip(SKIP_2) | instid1(VALU_DEP_2)
	v_subrev_nc_u32_e32 v4, s14, v3
	v_cmp_le_u32_e32 vcc_lo, s14, v3
	s_wait_alu 0xfffd
	v_cndmask_b32_e32 v3, v3, v4, vcc_lo
	s_delay_alu instid0(VALU_DEP_1) | instskip(NEXT) | instid1(VALU_DEP_1)
	v_xor_b32_e32 v3, v3, v2
	v_sub_nc_u32_e32 v2, v3, v2
	s_delay_alu instid0(VALU_DEP_1)
	v_cmp_eq_u32_e32 vcc_lo, 0, v2
	s_or_b32 s0, vcc_lo, s0
	s_wait_alu 0xfffe
	s_and_saveexec_b32 s18, s0
	s_cbranch_execz .LBB338_41
; %bb.43:                               ;   in Loop: Header=BB338_42 Depth=1
	global_load_b32 v1, v[9:10], off
	v_cmp_eq_u32_e32 vcc_lo, s17, v19
	s_wait_loadcnt 0x0
	v_mad_co_i64_i32 v[13:14], null, v1, s16, v[11:12]
	global_load_b64 v[36:37], v[13:14], off
	ds_load_2addr_b64 v[5:8], v35 offset1:1
	ds_load_2addr_b64 v[1:4], v35 offset0:2 offset1:3
	s_load_b32 s19, s[54:55], 0x0
	s_wait_loadcnt 0x0
	v_and_b32_e32 v15, 0xff, v36
	v_bfe_u32 v16, v36, 8, 8
	v_bfe_u32 v17, v36, 16, 8
	v_lshrrev_b32_e32 v36, 24, v36
	v_and_b32_e32 v38, 0xff, v37
	v_cvt_f32_fp8_e32 v15, v15
	v_add_nc_u32_e32 v68, v34, v18
	v_cvt_f32_fp8_e32 v16, v16
	v_cvt_f32_fp8_e32 v17, v17
	;; [unrolled: 1-line block ×3, first 2 shown]
	s_wait_kmcnt 0x0
	v_dual_mul_f32 v15, s19, v15 :: v_dual_add_nc_u32 v80, 2, v68
	s_delay_alu instid0(VALU_DEP_3) | instskip(SKIP_1) | instid1(VALU_DEP_3)
	v_dual_mul_f32 v16, s19, v16 :: v_dual_mul_f32 v17, s19, v17
	v_bfe_u32 v39, v37, 8, 8
	v_bfe_u32 v41, v15, 16, 1
	v_or_b32_e32 v42, 0x400000, v15
	s_delay_alu instid0(VALU_DEP_4)
	v_bfe_u32 v43, v16, 16, 1
	v_cmp_u_f32_e64 s0, v15, v15
	v_cvt_f32_fp8_e32 v38, v38
	v_add3_u32 v41, v41, v15, 0x7fff
	v_mul_f32_e32 v36, s19, v36
	v_or_b32_e32 v44, 0x400000, v16
	v_bfe_u32 v45, v17, 16, 1
	v_add3_u32 v43, v43, v16, 0x7fff
	s_wait_alu 0xf1ff
	v_cndmask_b32_e64 v15, v41, v42, s0
	v_cmp_u_f32_e64 s0, v16, v16
	v_dual_mul_f32 v38, s19, v38 :: v_dual_add_nc_u32 v81, 1, v68
	v_bfe_u32 v40, v37, 16, 8
	v_cvt_f32_fp8_e32 v39, v39
	v_or_b32_e32 v46, 0x400000, v17
	v_bfe_u32 v47, v36, 16, 1
	v_add3_u32 v45, v45, v17, 0x7fff
	s_wait_alu 0xf1ff
	v_cndmask_b32_e64 v16, v43, v44, s0
	v_cmp_u_f32_e64 s0, v17, v17
	v_dual_mul_f32 v39, s19, v39 :: v_dual_add_nc_u32 v78, 4, v68
	v_lshrrev_b32_e32 v37, 24, v37
	v_cvt_f32_fp8_e32 v40, v40
	v_or_b32_e32 v48, 0x400000, v36
	v_bfe_u32 v49, v38, 16, 1
	v_add3_u32 v47, v47, v36, 0x7fff
	s_wait_alu 0xf1ff
	v_cndmask_b32_e64 v17, v45, v46, s0
	v_cmp_u_f32_e64 s0, v36, v36
	v_cvt_f32_fp8_e32 v37, v37
	v_mul_f32_e32 v40, s19, v40
	v_or_b32_e32 v50, 0x400000, v38
	v_bfe_u32 v51, v39, 16, 1
	v_add3_u32 v49, v49, v38, 0x7fff
	s_wait_alu 0xf1ff
	v_cndmask_b32_e64 v36, v47, v48, s0
	v_cmp_u_f32_e64 s0, v38, v38
	v_dual_mul_f32 v37, s19, v37 :: v_dual_add_nc_u32 v76, 6, v68
	v_or_b32_e32 v52, 0x400000, v39
	v_bfe_u32 v53, v40, 16, 1
	v_add3_u32 v51, v51, v39, 0x7fff
	s_wait_alu 0xf1ff
	v_cndmask_b32_e64 v38, v49, v50, s0
	v_cmp_u_f32_e64 s0, v39, v39
	v_or_b32_e32 v54, 0x400000, v40
	v_bfe_u32 v55, v37, 16, 1
	v_add3_u32 v53, v53, v40, 0x7fff
	v_or_b32_e32 v56, 0x400000, v37
	s_wait_alu 0xf1ff
	v_cndmask_b32_e64 v39, v51, v52, s0
	v_cmp_u_f32_e64 s0, v40, v40
	v_add3_u32 v55, v55, v37, 0x7fff
	v_add_nc_u32_e32 v79, 3, v68
	v_add_nc_u32_e32 v77, 5, v68
	v_lshrrev_b32_e32 v42, 16, v15
	s_wait_alu 0xf1ff
	v_cndmask_b32_e64 v44, v53, v54, s0
	v_cmp_u_f32_e64 s0, v37, v37
	v_lshrrev_b32_e32 v43, 16, v16
	v_lshrrev_b32_e32 v40, 16, v17
	;; [unrolled: 1-line block ×4, first 2 shown]
	s_wait_alu 0xf1ff
	v_cndmask_b32_e64 v37, v55, v56, s0
	v_lshrrev_b32_e32 v39, 16, v39
	v_lshrrev_b32_e32 v36, 16, v44
	v_add_nc_u32_e32 v83, 7, v68
	s_delay_alu instid0(VALU_DEP_4)
	v_lshrrev_b32_e32 v37, 16, v37
	s_and_saveexec_b32 s1, vcc_lo
	s_cbranch_execz .LBB338_45
; %bb.44:                               ;   in Loop: Header=BB338_42 Depth=1
	v_cmp_gt_i32_e64 s0, s75, v68
	s_wait_alu 0xf1ff
	s_delay_alu instid0(VALU_DEP_1) | instskip(SKIP_2) | instid1(VALU_DEP_1)
	v_cndmask_b32_e64 v42, 0, v42, s0
	v_cmp_gt_i32_e64 s0, s75, v81
	s_wait_alu 0xf1ff
	v_cndmask_b32_e64 v43, 0, v43, s0
	v_cmp_gt_i32_e64 s0, s75, v80
	s_wait_alu 0xf1ff
	s_delay_alu instid0(VALU_DEP_1) | instskip(SKIP_2) | instid1(VALU_DEP_1)
	v_cndmask_b32_e64 v40, 0, v40, s0
	v_cmp_gt_i32_e64 s0, s75, v79
	s_wait_alu 0xf1ff
	v_cndmask_b32_e64 v41, 0, v41, s0
	;; [unrolled: 7-line block ×4, first 2 shown]
.LBB338_45:                             ;   in Loop: Header=BB338_42 Depth=1
	s_wait_alu 0xfffe
	s_or_b32 exec_lo, exec_lo, s1
	global_load_b64 v[44:45], v[13:14], off offset:256
	s_wait_loadcnt 0x0
	v_and_b32_e32 v46, 0xff, v45
	v_bfe_u32 v16, v44, 8, 8
	v_bfe_u32 v17, v44, 16, 8
	;; [unrolled: 1-line block ×4, first 2 shown]
	v_cvt_f32_fp8_e32 v46, v46
	v_and_b32_e32 v15, 0xff, v44
	v_cvt_f32_fp8_e32 v16, v16
	v_lshrrev_b32_e32 v44, 24, v44
	v_cvt_f32_fp8_e32 v17, v17
	v_mul_f32_e32 v46, s19, v46
	v_cvt_f32_fp8_e32 v15, v15
	v_mul_f32_e32 v16, s19, v16
	;; [unrolled: 2-line block ×4, first 2 shown]
	v_bfe_u32 v51, v16, 16, 1
	v_mul_f32_e32 v44, s19, v44
	v_or_b32_e32 v52, 0x400000, v16
	v_bfe_u32 v53, v17, 16, 1
	v_bfe_u32 v49, v15, 16, 1
	v_or_b32_e32 v50, 0x400000, v15
	v_cmp_u_f32_e64 s0, v15, v15
	v_add3_u32 v51, v51, v16, 0x7fff
	v_mul_f32_e32 v47, s19, v47
	v_add3_u32 v49, v49, v15, 0x7fff
	v_or_b32_e32 v54, 0x400000, v17
	v_bfe_u32 v55, v44, 16, 1
	v_add3_u32 v53, v53, v17, 0x7fff
	v_lshrrev_b32_e32 v45, 24, v45
	s_wait_alu 0xf1ff
	v_cndmask_b32_e64 v15, v49, v50, s0
	v_cmp_u_f32_e64 s0, v16, v16
	v_cvt_f32_fp8_e32 v48, v48
	v_or_b32_e32 v56, 0x400000, v44
	v_bfe_u32 v57, v46, 16, 1
	v_add3_u32 v55, v55, v44, 0x7fff
	s_wait_alu 0xf1ff
	v_cndmask_b32_e64 v16, v51, v52, s0
	v_cmp_u_f32_e64 s0, v17, v17
	v_cvt_f32_fp8_e32 v45, v45
	v_mul_f32_e32 v48, s19, v48
	v_or_b32_e32 v58, 0x400000, v46
	v_bfe_u32 v59, v47, 16, 1
	s_wait_alu 0xf1ff
	v_cndmask_b32_e64 v17, v53, v54, s0
	v_cmp_u_f32_e64 s0, v44, v44
	v_add3_u32 v57, v57, v46, 0x7fff
	v_mul_f32_e32 v45, s19, v45
	v_or_b32_e32 v60, 0x400000, v47
	v_bfe_u32 v61, v48, 16, 1
	s_wait_alu 0xf1ff
	v_cndmask_b32_e64 v44, v55, v56, s0
	v_cmp_u_f32_e64 s0, v46, v46
	v_add3_u32 v59, v59, v47, 0x7fff
	v_or_b32_e32 v62, 0x400000, v48
	v_bfe_u32 v63, v45, 16, 1
	v_add3_u32 v61, v61, v48, 0x7fff
	s_wait_alu 0xf1ff
	v_cndmask_b32_e64 v46, v57, v58, s0
	v_cmp_u_f32_e64 s0, v47, v47
	v_or_b32_e32 v64, 0x400000, v45
	v_add3_u32 v63, v63, v45, 0x7fff
	v_lshrrev_b32_e32 v50, 16, v15
	v_lshrrev_b32_e32 v51, 16, v16
	s_wait_alu 0xf1ff
	v_cndmask_b32_e64 v47, v59, v60, s0
	v_cmp_u_f32_e64 s0, v48, v48
	v_lshrrev_b32_e32 v48, 16, v17
	v_lshrrev_b32_e32 v49, 16, v44
	;; [unrolled: 1-line block ×4, first 2 shown]
	s_wait_alu 0xf1ff
	v_cndmask_b32_e64 v52, v61, v62, s0
	v_cmp_u_f32_e64 s0, v45, v45
	s_delay_alu instid0(VALU_DEP_2) | instskip(SKIP_1) | instid1(VALU_DEP_2)
	v_lshrrev_b32_e32 v44, 16, v52
	s_wait_alu 0xf1ff
	v_cndmask_b32_e64 v45, v63, v64, s0
	s_delay_alu instid0(VALU_DEP_1)
	v_lshrrev_b32_e32 v45, 16, v45
	s_and_saveexec_b32 s1, vcc_lo
	s_cbranch_execz .LBB338_47
; %bb.46:                               ;   in Loop: Header=BB338_42 Depth=1
	v_cmp_gt_i32_e64 s0, s75, v68
	s_wait_alu 0xf1ff
	s_delay_alu instid0(VALU_DEP_1) | instskip(SKIP_2) | instid1(VALU_DEP_1)
	v_cndmask_b32_e64 v50, 0, v50, s0
	v_cmp_gt_i32_e64 s0, s75, v81
	s_wait_alu 0xf1ff
	v_cndmask_b32_e64 v51, 0, v51, s0
	v_cmp_gt_i32_e64 s0, s75, v80
	s_wait_alu 0xf1ff
	s_delay_alu instid0(VALU_DEP_1) | instskip(SKIP_2) | instid1(VALU_DEP_1)
	v_cndmask_b32_e64 v48, 0, v48, s0
	v_cmp_gt_i32_e64 s0, s75, v79
	s_wait_alu 0xf1ff
	v_cndmask_b32_e64 v49, 0, v49, s0
	;; [unrolled: 7-line block ×4, first 2 shown]
.LBB338_47:                             ;   in Loop: Header=BB338_42 Depth=1
	s_wait_alu 0xfffe
	s_or_b32 exec_lo, exec_lo, s1
	global_load_b64 v[52:53], v[13:14], off offset:512
	s_wait_loadcnt 0x0
	v_and_b32_e32 v54, 0xff, v53
	v_bfe_u32 v16, v52, 8, 8
	v_bfe_u32 v17, v52, 16, 8
	;; [unrolled: 1-line block ×4, first 2 shown]
	v_cvt_f32_fp8_e32 v54, v54
	v_and_b32_e32 v15, 0xff, v52
	v_cvt_f32_fp8_e32 v16, v16
	v_lshrrev_b32_e32 v52, 24, v52
	v_cvt_f32_fp8_e32 v17, v17
	v_mul_f32_e32 v54, s19, v54
	v_cvt_f32_fp8_e32 v15, v15
	v_mul_f32_e32 v16, s19, v16
	;; [unrolled: 2-line block ×4, first 2 shown]
	v_bfe_u32 v59, v16, 16, 1
	v_mul_f32_e32 v52, s19, v52
	v_or_b32_e32 v60, 0x400000, v16
	v_bfe_u32 v61, v17, 16, 1
	v_bfe_u32 v57, v15, 16, 1
	v_or_b32_e32 v58, 0x400000, v15
	v_cmp_u_f32_e64 s0, v15, v15
	v_add3_u32 v59, v59, v16, 0x7fff
	v_mul_f32_e32 v55, s19, v55
	v_add3_u32 v57, v57, v15, 0x7fff
	v_or_b32_e32 v62, 0x400000, v17
	v_bfe_u32 v63, v52, 16, 1
	v_add3_u32 v61, v61, v17, 0x7fff
	v_lshrrev_b32_e32 v53, 24, v53
	s_wait_alu 0xf1ff
	v_cndmask_b32_e64 v15, v57, v58, s0
	v_cmp_u_f32_e64 s0, v16, v16
	v_cvt_f32_fp8_e32 v56, v56
	v_or_b32_e32 v64, 0x400000, v52
	v_bfe_u32 v65, v54, 16, 1
	v_add3_u32 v63, v63, v52, 0x7fff
	s_wait_alu 0xf1ff
	v_cndmask_b32_e64 v16, v59, v60, s0
	v_cmp_u_f32_e64 s0, v17, v17
	v_cvt_f32_fp8_e32 v53, v53
	v_mul_f32_e32 v56, s19, v56
	v_or_b32_e32 v66, 0x400000, v54
	v_bfe_u32 v67, v55, 16, 1
	s_wait_alu 0xf1ff
	v_cndmask_b32_e64 v17, v61, v62, s0
	v_cmp_u_f32_e64 s0, v52, v52
	v_add3_u32 v65, v65, v54, 0x7fff
	v_mul_f32_e32 v53, s19, v53
	v_or_b32_e32 v69, 0x400000, v55
	v_bfe_u32 v70, v56, 16, 1
	s_wait_alu 0xf1ff
	v_cndmask_b32_e64 v52, v63, v64, s0
	v_cmp_u_f32_e64 s0, v54, v54
	v_add3_u32 v67, v67, v55, 0x7fff
	v_or_b32_e32 v71, 0x400000, v56
	v_bfe_u32 v72, v53, 16, 1
	v_add3_u32 v70, v70, v56, 0x7fff
	s_wait_alu 0xf1ff
	v_cndmask_b32_e64 v54, v65, v66, s0
	v_cmp_u_f32_e64 s0, v55, v55
	v_or_b32_e32 v73, 0x400000, v53
	v_add3_u32 v72, v72, v53, 0x7fff
	v_lshrrev_b32_e32 v58, 16, v15
	v_lshrrev_b32_e32 v59, 16, v16
	s_wait_alu 0xf1ff
	v_cndmask_b32_e64 v55, v67, v69, s0
	v_cmp_u_f32_e64 s0, v56, v56
	v_lshrrev_b32_e32 v56, 16, v17
	v_lshrrev_b32_e32 v57, 16, v52
	;; [unrolled: 1-line block ×4, first 2 shown]
	s_wait_alu 0xf1ff
	v_cndmask_b32_e64 v60, v70, v71, s0
	v_cmp_u_f32_e64 s0, v53, v53
	s_delay_alu instid0(VALU_DEP_2) | instskip(SKIP_1) | instid1(VALU_DEP_2)
	v_lshrrev_b32_e32 v52, 16, v60
	s_wait_alu 0xf1ff
	v_cndmask_b32_e64 v53, v72, v73, s0
	s_delay_alu instid0(VALU_DEP_1)
	v_lshrrev_b32_e32 v53, 16, v53
	s_and_saveexec_b32 s1, vcc_lo
	s_cbranch_execz .LBB338_49
; %bb.48:                               ;   in Loop: Header=BB338_42 Depth=1
	v_cmp_gt_i32_e64 s0, s75, v68
	s_wait_alu 0xf1ff
	s_delay_alu instid0(VALU_DEP_1) | instskip(SKIP_2) | instid1(VALU_DEP_1)
	v_cndmask_b32_e64 v58, 0, v58, s0
	v_cmp_gt_i32_e64 s0, s75, v81
	s_wait_alu 0xf1ff
	v_cndmask_b32_e64 v59, 0, v59, s0
	v_cmp_gt_i32_e64 s0, s75, v80
	s_wait_alu 0xf1ff
	s_delay_alu instid0(VALU_DEP_1) | instskip(SKIP_2) | instid1(VALU_DEP_1)
	v_cndmask_b32_e64 v56, 0, v56, s0
	v_cmp_gt_i32_e64 s0, s75, v79
	s_wait_alu 0xf1ff
	v_cndmask_b32_e64 v57, 0, v57, s0
	;; [unrolled: 7-line block ×4, first 2 shown]
.LBB338_49:                             ;   in Loop: Header=BB338_42 Depth=1
	s_wait_alu 0xfffe
	s_or_b32 exec_lo, exec_lo, s1
	global_load_b64 v[60:61], v[13:14], off offset:768
	s_wait_loadcnt 0x0
	v_and_b32_e32 v62, 0xff, v61
	v_bfe_u32 v16, v60, 8, 8
	v_bfe_u32 v17, v60, 16, 8
	v_bfe_u32 v63, v61, 8, 8
	v_bfe_u32 v64, v61, 16, 8
	v_cvt_f32_fp8_e32 v62, v62
	v_and_b32_e32 v15, 0xff, v60
	v_cvt_f32_fp8_e32 v16, v16
	v_lshrrev_b32_e32 v60, 24, v60
	v_cvt_f32_fp8_e32 v17, v17
	v_mul_f32_e32 v62, s19, v62
	v_cvt_f32_fp8_e32 v15, v15
	v_mul_f32_e32 v16, s19, v16
	;; [unrolled: 2-line block ×4, first 2 shown]
	v_bfe_u32 v67, v16, 16, 1
	v_mul_f32_e32 v60, s19, v60
	v_or_b32_e32 v69, 0x400000, v16
	v_bfe_u32 v70, v17, 16, 1
	v_bfe_u32 v65, v15, 16, 1
	v_or_b32_e32 v66, 0x400000, v15
	v_cmp_u_f32_e64 s0, v15, v15
	v_add3_u32 v67, v67, v16, 0x7fff
	v_mul_f32_e32 v63, s19, v63
	v_add3_u32 v65, v65, v15, 0x7fff
	v_or_b32_e32 v71, 0x400000, v17
	v_bfe_u32 v72, v60, 16, 1
	v_add3_u32 v70, v70, v17, 0x7fff
	v_lshrrev_b32_e32 v61, 24, v61
	s_wait_alu 0xf1ff
	v_cndmask_b32_e64 v15, v65, v66, s0
	v_cmp_u_f32_e64 s0, v16, v16
	v_cvt_f32_fp8_e32 v64, v64
	v_or_b32_e32 v73, 0x400000, v60
	v_bfe_u32 v74, v62, 16, 1
	v_add3_u32 v72, v72, v60, 0x7fff
	s_wait_alu 0xf1ff
	v_cndmask_b32_e64 v16, v67, v69, s0
	v_cmp_u_f32_e64 s0, v17, v17
	v_cvt_f32_fp8_e32 v61, v61
	v_mul_f32_e32 v64, s19, v64
	v_or_b32_e32 v75, 0x400000, v62
	v_bfe_u32 v82, v63, 16, 1
	s_wait_alu 0xf1ff
	v_cndmask_b32_e64 v17, v70, v71, s0
	v_cmp_u_f32_e64 s0, v60, v60
	v_add3_u32 v74, v74, v62, 0x7fff
	v_mul_f32_e32 v61, s19, v61
	v_or_b32_e32 v84, 0x400000, v63
	v_bfe_u32 v85, v64, 16, 1
	s_wait_alu 0xf1ff
	v_cndmask_b32_e64 v60, v72, v73, s0
	v_cmp_u_f32_e64 s0, v62, v62
	v_add3_u32 v82, v82, v63, 0x7fff
	v_or_b32_e32 v86, 0x400000, v64
	v_bfe_u32 v87, v61, 16, 1
	v_add3_u32 v85, v85, v64, 0x7fff
	s_wait_alu 0xf1ff
	v_cndmask_b32_e64 v62, v74, v75, s0
	v_cmp_u_f32_e64 s0, v63, v63
	v_or_b32_e32 v88, 0x400000, v61
	v_add3_u32 v87, v87, v61, 0x7fff
	v_lshrrev_b32_e32 v66, 16, v15
	v_lshrrev_b32_e32 v67, 16, v16
	s_wait_alu 0xf1ff
	v_cndmask_b32_e64 v63, v82, v84, s0
	v_cmp_u_f32_e64 s0, v64, v64
	v_lshrrev_b32_e32 v64, 16, v17
	v_lshrrev_b32_e32 v65, 16, v60
	;; [unrolled: 1-line block ×4, first 2 shown]
	s_wait_alu 0xf1ff
	v_cndmask_b32_e64 v69, v85, v86, s0
	v_cmp_u_f32_e64 s0, v61, v61
	s_delay_alu instid0(VALU_DEP_2) | instskip(SKIP_1) | instid1(VALU_DEP_2)
	v_lshrrev_b32_e32 v60, 16, v69
	s_wait_alu 0xf1ff
	v_cndmask_b32_e64 v61, v87, v88, s0
	s_delay_alu instid0(VALU_DEP_1)
	v_lshrrev_b32_e32 v61, 16, v61
	s_and_saveexec_b32 s1, vcc_lo
	s_cbranch_execz .LBB338_51
; %bb.50:                               ;   in Loop: Header=BB338_42 Depth=1
	v_cmp_gt_i32_e64 s0, s75, v68
	s_wait_alu 0xf1ff
	s_delay_alu instid0(VALU_DEP_1) | instskip(SKIP_2) | instid1(VALU_DEP_1)
	v_cndmask_b32_e64 v66, 0, v66, s0
	v_cmp_gt_i32_e64 s0, s75, v81
	s_wait_alu 0xf1ff
	v_cndmask_b32_e64 v67, 0, v67, s0
	v_cmp_gt_i32_e64 s0, s75, v80
	s_wait_alu 0xf1ff
	s_delay_alu instid0(VALU_DEP_1) | instskip(SKIP_2) | instid1(VALU_DEP_1)
	v_cndmask_b32_e64 v64, 0, v64, s0
	v_cmp_gt_i32_e64 s0, s75, v79
	s_wait_alu 0xf1ff
	v_cndmask_b32_e64 v65, 0, v65, s0
	;; [unrolled: 7-line block ×4, first 2 shown]
.LBB338_51:                             ;   in Loop: Header=BB338_42 Depth=1
	s_wait_alu 0xfffe
	s_or_b32 exec_lo, exec_lo, s1
	global_load_b64 v[69:70], v[13:14], off offset:1024
	s_wait_loadcnt 0x0
	v_bfe_u32 v16, v69, 8, 8
	v_bfe_u32 v72, v70, 8, 8
	;; [unrolled: 1-line block ×4, first 2 shown]
	s_delay_alu instid0(VALU_DEP_4)
	v_cvt_f32_fp8_e32 v16, v16
	v_and_b32_e32 v15, 0xff, v69
	v_cvt_f32_fp8_e32 v72, v72
	v_and_b32_e32 v71, 0xff, v70
	v_lshrrev_b32_e32 v70, 24, v70
	v_mul_f32_e32 v16, s19, v16
	v_cvt_f32_fp8_e32 v15, v15
	v_lshrrev_b32_e32 v69, 24, v69
	v_cvt_f32_fp8_e32 v17, v17
	v_cvt_f32_fp8_e32 v70, v70
	v_bfe_u32 v82, v16, 16, 1
	v_mul_f32_e32 v15, s19, v15
	v_cvt_f32_fp8_e32 v69, v69
	s_delay_alu instid0(VALU_DEP_4) | instskip(SKIP_1) | instid1(VALU_DEP_4)
	v_dual_mul_f32 v17, s19, v17 :: v_dual_mul_f32 v70, s19, v70
	v_mul_f32_e32 v72, s19, v72
	v_bfe_u32 v74, v15, 16, 1
	v_or_b32_e32 v75, 0x400000, v15
	v_cmp_u_f32_e64 s0, v15, v15
	v_cvt_f32_fp8_e32 v71, v71
	v_mul_f32_e32 v69, s19, v69
	v_add3_u32 v74, v74, v15, 0x7fff
	v_or_b32_e32 v84, 0x400000, v16
	v_bfe_u32 v85, v17, 16, 1
	v_add3_u32 v82, v82, v16, 0x7fff
	v_mul_f32_e32 v71, s19, v71
	s_wait_alu 0xf1ff
	v_cndmask_b32_e64 v15, v74, v75, s0
	v_cmp_u_f32_e64 s0, v16, v16
	v_or_b32_e32 v86, 0x400000, v17
	v_bfe_u32 v87, v69, 16, 1
	v_add3_u32 v85, v85, v17, 0x7fff
	v_cvt_f32_fp8_e32 v73, v73
	s_wait_alu 0xf1ff
	v_cndmask_b32_e64 v16, v82, v84, s0
	v_cmp_u_f32_e64 s0, v17, v17
	v_or_b32_e32 v88, 0x400000, v69
	v_bfe_u32 v89, v71, 16, 1
	v_add3_u32 v87, v87, v69, 0x7fff
	v_mul_f32_e32 v73, s19, v73
	s_wait_alu 0xf1ff
	v_cndmask_b32_e64 v17, v85, v86, s0
	v_cmp_u_f32_e64 s0, v69, v69
	v_or_b32_e32 v90, 0x400000, v71
	v_bfe_u32 v91, v72, 16, 1
	v_add3_u32 v89, v89, v71, 0x7fff
	v_or_b32_e32 v92, 0x400000, v72
	s_wait_alu 0xf1ff
	v_cndmask_b32_e64 v69, v87, v88, s0
	v_cmp_u_f32_e64 s0, v71, v71
	v_bfe_u32 v93, v73, 16, 1
	v_add3_u32 v91, v91, v72, 0x7fff
	v_or_b32_e32 v94, 0x400000, v73
	v_bfe_u32 v95, v70, 16, 1
	s_wait_alu 0xf1ff
	v_cndmask_b32_e64 v71, v89, v90, s0
	v_cmp_u_f32_e64 s0, v72, v72
	v_add3_u32 v93, v93, v73, 0x7fff
	v_or_b32_e32 v96, 0x400000, v70
	v_add3_u32 v95, v95, v70, 0x7fff
	v_lshrrev_b32_e32 v75, 16, v15
	s_wait_alu 0xf1ff
	v_cndmask_b32_e64 v72, v91, v92, s0
	v_cmp_u_f32_e64 s0, v73, v73
	v_lshrrev_b32_e32 v82, 16, v16
	v_lshrrev_b32_e32 v73, 16, v17
	;; [unrolled: 1-line block ×4, first 2 shown]
	s_wait_alu 0xf1ff
	v_cndmask_b32_e64 v84, v93, v94, s0
	v_cmp_u_f32_e64 s0, v70, v70
	v_lshrrev_b32_e32 v72, 16, v72
	s_delay_alu instid0(VALU_DEP_3) | instskip(SKIP_1) | instid1(VALU_DEP_3)
	v_lshrrev_b32_e32 v69, 16, v84
	s_wait_alu 0xf1ff
	v_cndmask_b32_e64 v70, v95, v96, s0
	s_delay_alu instid0(VALU_DEP_1)
	v_lshrrev_b32_e32 v70, 16, v70
	s_and_saveexec_b32 s1, vcc_lo
	s_cbranch_execz .LBB338_53
; %bb.52:                               ;   in Loop: Header=BB338_42 Depth=1
	v_cmp_gt_i32_e64 s0, s75, v68
	s_wait_alu 0xf1ff
	s_delay_alu instid0(VALU_DEP_1) | instskip(SKIP_2) | instid1(VALU_DEP_1)
	v_cndmask_b32_e64 v75, 0, v75, s0
	v_cmp_gt_i32_e64 s0, s75, v81
	s_wait_alu 0xf1ff
	v_cndmask_b32_e64 v82, 0, v82, s0
	v_cmp_gt_i32_e64 s0, s75, v80
	s_wait_alu 0xf1ff
	s_delay_alu instid0(VALU_DEP_1) | instskip(SKIP_2) | instid1(VALU_DEP_1)
	v_cndmask_b32_e64 v73, 0, v73, s0
	v_cmp_gt_i32_e64 s0, s75, v79
	s_wait_alu 0xf1ff
	v_cndmask_b32_e64 v74, 0, v74, s0
	;; [unrolled: 7-line block ×4, first 2 shown]
.LBB338_53:                             ;   in Loop: Header=BB338_42 Depth=1
	s_wait_alu 0xfffe
	s_or_b32 exec_lo, exec_lo, s1
	global_load_b64 v[84:85], v[13:14], off offset:1280
	s_wait_loadcnt 0x0
	v_and_b32_e32 v86, 0xff, v85
	v_bfe_u32 v16, v84, 8, 8
	v_bfe_u32 v17, v84, 16, 8
	v_bfe_u32 v87, v85, 8, 8
	v_bfe_u32 v88, v85, 16, 8
	v_cvt_f32_fp8_e32 v86, v86
	v_and_b32_e32 v15, 0xff, v84
	v_cvt_f32_fp8_e32 v16, v16
	v_lshrrev_b32_e32 v84, 24, v84
	v_cvt_f32_fp8_e32 v17, v17
	v_mul_f32_e32 v86, s19, v86
	v_cvt_f32_fp8_e32 v15, v15
	v_mul_f32_e32 v16, s19, v16
	;; [unrolled: 2-line block ×4, first 2 shown]
	v_bfe_u32 v91, v16, 16, 1
	v_mul_f32_e32 v84, s19, v84
	v_or_b32_e32 v92, 0x400000, v16
	v_bfe_u32 v93, v17, 16, 1
	v_bfe_u32 v89, v15, 16, 1
	v_or_b32_e32 v90, 0x400000, v15
	v_cmp_u_f32_e64 s0, v15, v15
	v_add3_u32 v91, v91, v16, 0x7fff
	v_mul_f32_e32 v87, s19, v87
	v_add3_u32 v89, v89, v15, 0x7fff
	v_or_b32_e32 v94, 0x400000, v17
	v_bfe_u32 v95, v84, 16, 1
	v_add3_u32 v93, v93, v17, 0x7fff
	v_lshrrev_b32_e32 v85, 24, v85
	s_wait_alu 0xf1ff
	v_cndmask_b32_e64 v15, v89, v90, s0
	v_cmp_u_f32_e64 s0, v16, v16
	v_cvt_f32_fp8_e32 v88, v88
	v_or_b32_e32 v96, 0x400000, v84
	v_bfe_u32 v97, v86, 16, 1
	v_add3_u32 v95, v95, v84, 0x7fff
	s_wait_alu 0xf1ff
	v_cndmask_b32_e64 v16, v91, v92, s0
	v_cmp_u_f32_e64 s0, v17, v17
	v_cvt_f32_fp8_e32 v85, v85
	v_mul_f32_e32 v88, s19, v88
	v_or_b32_e32 v98, 0x400000, v86
	v_bfe_u32 v99, v87, 16, 1
	s_wait_alu 0xf1ff
	v_cndmask_b32_e64 v17, v93, v94, s0
	v_cmp_u_f32_e64 s0, v84, v84
	v_add3_u32 v97, v97, v86, 0x7fff
	v_mul_f32_e32 v85, s19, v85
	v_or_b32_e32 v100, 0x400000, v87
	v_bfe_u32 v101, v88, 16, 1
	s_wait_alu 0xf1ff
	v_cndmask_b32_e64 v84, v95, v96, s0
	v_cmp_u_f32_e64 s0, v86, v86
	v_add3_u32 v99, v99, v87, 0x7fff
	v_or_b32_e32 v102, 0x400000, v88
	v_bfe_u32 v103, v85, 16, 1
	v_add3_u32 v101, v101, v88, 0x7fff
	s_wait_alu 0xf1ff
	v_cndmask_b32_e64 v86, v97, v98, s0
	v_cmp_u_f32_e64 s0, v87, v87
	v_or_b32_e32 v104, 0x400000, v85
	v_add3_u32 v103, v103, v85, 0x7fff
	v_lshrrev_b32_e32 v90, 16, v15
	v_lshrrev_b32_e32 v91, 16, v16
	s_wait_alu 0xf1ff
	v_cndmask_b32_e64 v87, v99, v100, s0
	v_cmp_u_f32_e64 s0, v88, v88
	v_lshrrev_b32_e32 v88, 16, v17
	v_lshrrev_b32_e32 v89, 16, v84
	;; [unrolled: 1-line block ×4, first 2 shown]
	s_wait_alu 0xf1ff
	v_cndmask_b32_e64 v92, v101, v102, s0
	v_cmp_u_f32_e64 s0, v85, v85
	s_delay_alu instid0(VALU_DEP_2) | instskip(SKIP_1) | instid1(VALU_DEP_2)
	v_lshrrev_b32_e32 v84, 16, v92
	s_wait_alu 0xf1ff
	v_cndmask_b32_e64 v85, v103, v104, s0
	s_delay_alu instid0(VALU_DEP_1)
	v_lshrrev_b32_e32 v85, 16, v85
	s_and_saveexec_b32 s1, vcc_lo
	s_cbranch_execz .LBB338_55
; %bb.54:                               ;   in Loop: Header=BB338_42 Depth=1
	v_cmp_gt_i32_e64 s0, s75, v68
	s_wait_alu 0xf1ff
	s_delay_alu instid0(VALU_DEP_1) | instskip(SKIP_2) | instid1(VALU_DEP_1)
	v_cndmask_b32_e64 v90, 0, v90, s0
	v_cmp_gt_i32_e64 s0, s75, v81
	s_wait_alu 0xf1ff
	v_cndmask_b32_e64 v91, 0, v91, s0
	v_cmp_gt_i32_e64 s0, s75, v80
	s_wait_alu 0xf1ff
	s_delay_alu instid0(VALU_DEP_1) | instskip(SKIP_2) | instid1(VALU_DEP_1)
	v_cndmask_b32_e64 v88, 0, v88, s0
	v_cmp_gt_i32_e64 s0, s75, v79
	s_wait_alu 0xf1ff
	v_cndmask_b32_e64 v89, 0, v89, s0
	;; [unrolled: 7-line block ×4, first 2 shown]
.LBB338_55:                             ;   in Loop: Header=BB338_42 Depth=1
	s_wait_alu 0xfffe
	s_or_b32 exec_lo, exec_lo, s1
	global_load_b64 v[92:93], v[13:14], off offset:1536
	s_wait_loadcnt 0x0
	v_and_b32_e32 v94, 0xff, v93
	v_bfe_u32 v16, v92, 8, 8
	v_bfe_u32 v17, v92, 16, 8
	;; [unrolled: 1-line block ×4, first 2 shown]
	v_cvt_f32_fp8_e32 v94, v94
	v_and_b32_e32 v15, 0xff, v92
	v_cvt_f32_fp8_e32 v16, v16
	v_lshrrev_b32_e32 v92, 24, v92
	v_cvt_f32_fp8_e32 v17, v17
	v_mul_f32_e32 v94, s19, v94
	v_cvt_f32_fp8_e32 v15, v15
	v_mul_f32_e32 v16, s19, v16
	;; [unrolled: 2-line block ×4, first 2 shown]
	v_bfe_u32 v99, v16, 16, 1
	v_mul_f32_e32 v92, s19, v92
	v_or_b32_e32 v100, 0x400000, v16
	v_bfe_u32 v101, v17, 16, 1
	v_bfe_u32 v97, v15, 16, 1
	v_or_b32_e32 v98, 0x400000, v15
	v_cmp_u_f32_e64 s0, v15, v15
	v_add3_u32 v99, v99, v16, 0x7fff
	v_mul_f32_e32 v95, s19, v95
	v_add3_u32 v97, v97, v15, 0x7fff
	v_or_b32_e32 v102, 0x400000, v17
	v_bfe_u32 v103, v92, 16, 1
	v_add3_u32 v101, v101, v17, 0x7fff
	v_lshrrev_b32_e32 v93, 24, v93
	s_wait_alu 0xf1ff
	v_cndmask_b32_e64 v15, v97, v98, s0
	v_cmp_u_f32_e64 s0, v16, v16
	v_cvt_f32_fp8_e32 v96, v96
	v_or_b32_e32 v104, 0x400000, v92
	v_bfe_u32 v105, v94, 16, 1
	v_add3_u32 v103, v103, v92, 0x7fff
	s_wait_alu 0xf1ff
	v_cndmask_b32_e64 v16, v99, v100, s0
	v_cmp_u_f32_e64 s0, v17, v17
	v_cvt_f32_fp8_e32 v93, v93
	v_mul_f32_e32 v96, s19, v96
	v_or_b32_e32 v106, 0x400000, v94
	v_bfe_u32 v107, v95, 16, 1
	s_wait_alu 0xf1ff
	v_cndmask_b32_e64 v17, v101, v102, s0
	v_cmp_u_f32_e64 s0, v92, v92
	v_add3_u32 v105, v105, v94, 0x7fff
	v_mul_f32_e32 v93, s19, v93
	v_or_b32_e32 v108, 0x400000, v95
	v_bfe_u32 v109, v96, 16, 1
	s_wait_alu 0xf1ff
	v_cndmask_b32_e64 v92, v103, v104, s0
	v_cmp_u_f32_e64 s0, v94, v94
	v_add3_u32 v107, v107, v95, 0x7fff
	v_or_b32_e32 v110, 0x400000, v96
	v_bfe_u32 v111, v93, 16, 1
	v_add3_u32 v109, v109, v96, 0x7fff
	s_wait_alu 0xf1ff
	v_cndmask_b32_e64 v94, v105, v106, s0
	v_cmp_u_f32_e64 s0, v95, v95
	v_or_b32_e32 v112, 0x400000, v93
	v_add3_u32 v111, v111, v93, 0x7fff
	v_lshrrev_b32_e32 v98, 16, v15
	v_lshrrev_b32_e32 v99, 16, v16
	s_wait_alu 0xf1ff
	v_cndmask_b32_e64 v95, v107, v108, s0
	v_cmp_u_f32_e64 s0, v96, v96
	v_lshrrev_b32_e32 v96, 16, v17
	v_lshrrev_b32_e32 v97, 16, v92
	;; [unrolled: 1-line block ×4, first 2 shown]
	s_wait_alu 0xf1ff
	v_cndmask_b32_e64 v100, v109, v110, s0
	v_cmp_u_f32_e64 s0, v93, v93
	s_delay_alu instid0(VALU_DEP_2) | instskip(SKIP_1) | instid1(VALU_DEP_2)
	v_lshrrev_b32_e32 v92, 16, v100
	s_wait_alu 0xf1ff
	v_cndmask_b32_e64 v93, v111, v112, s0
	s_delay_alu instid0(VALU_DEP_1)
	v_lshrrev_b32_e32 v93, 16, v93
	s_and_saveexec_b32 s1, vcc_lo
	s_cbranch_execz .LBB338_57
; %bb.56:                               ;   in Loop: Header=BB338_42 Depth=1
	v_cmp_gt_i32_e64 s0, s75, v68
	s_wait_alu 0xf1ff
	s_delay_alu instid0(VALU_DEP_1) | instskip(SKIP_2) | instid1(VALU_DEP_1)
	v_cndmask_b32_e64 v98, 0, v98, s0
	v_cmp_gt_i32_e64 s0, s75, v81
	s_wait_alu 0xf1ff
	v_cndmask_b32_e64 v99, 0, v99, s0
	v_cmp_gt_i32_e64 s0, s75, v80
	s_wait_alu 0xf1ff
	s_delay_alu instid0(VALU_DEP_1) | instskip(SKIP_2) | instid1(VALU_DEP_1)
	v_cndmask_b32_e64 v96, 0, v96, s0
	v_cmp_gt_i32_e64 s0, s75, v79
	s_wait_alu 0xf1ff
	v_cndmask_b32_e64 v97, 0, v97, s0
	;; [unrolled: 7-line block ×4, first 2 shown]
.LBB338_57:                             ;   in Loop: Header=BB338_42 Depth=1
	s_wait_alu 0xfffe
	s_or_b32 exec_lo, exec_lo, s1
	global_load_b64 v[100:101], v[13:14], off offset:1792
	s_wait_loadcnt 0x0
	v_and_b32_e32 v102, 0xff, v101
	v_bfe_u32 v16, v100, 8, 8
	v_bfe_u32 v17, v100, 16, 8
	;; [unrolled: 1-line block ×4, first 2 shown]
	v_cvt_f32_fp8_e32 v102, v102
	v_and_b32_e32 v15, 0xff, v100
	v_cvt_f32_fp8_e32 v16, v16
	v_lshrrev_b32_e32 v100, 24, v100
	v_cvt_f32_fp8_e32 v17, v17
	v_mul_f32_e32 v102, s19, v102
	v_cvt_f32_fp8_e32 v15, v15
	v_mul_f32_e32 v16, s19, v16
	;; [unrolled: 2-line block ×4, first 2 shown]
	v_bfe_u32 v107, v16, 16, 1
	v_mul_f32_e32 v100, s19, v100
	v_or_b32_e32 v108, 0x400000, v16
	v_bfe_u32 v109, v17, 16, 1
	v_bfe_u32 v105, v15, 16, 1
	v_or_b32_e32 v106, 0x400000, v15
	v_cmp_u_f32_e64 s0, v15, v15
	v_add3_u32 v107, v107, v16, 0x7fff
	v_mul_f32_e32 v103, s19, v103
	v_add3_u32 v105, v105, v15, 0x7fff
	v_or_b32_e32 v110, 0x400000, v17
	v_bfe_u32 v111, v100, 16, 1
	v_add3_u32 v109, v109, v17, 0x7fff
	v_lshrrev_b32_e32 v101, 24, v101
	s_wait_alu 0xf1ff
	v_cndmask_b32_e64 v15, v105, v106, s0
	v_cmp_u_f32_e64 s0, v16, v16
	v_cvt_f32_fp8_e32 v104, v104
	v_or_b32_e32 v112, 0x400000, v100
	v_bfe_u32 v113, v102, 16, 1
	v_add3_u32 v111, v111, v100, 0x7fff
	s_wait_alu 0xf1ff
	v_cndmask_b32_e64 v16, v107, v108, s0
	v_cmp_u_f32_e64 s0, v17, v17
	v_cvt_f32_fp8_e32 v101, v101
	v_mul_f32_e32 v104, s19, v104
	v_or_b32_e32 v114, 0x400000, v102
	v_bfe_u32 v115, v103, 16, 1
	s_wait_alu 0xf1ff
	v_cndmask_b32_e64 v17, v109, v110, s0
	v_cmp_u_f32_e64 s0, v100, v100
	v_add3_u32 v113, v113, v102, 0x7fff
	v_mul_f32_e32 v101, s19, v101
	v_or_b32_e32 v116, 0x400000, v103
	v_bfe_u32 v117, v104, 16, 1
	s_wait_alu 0xf1ff
	v_cndmask_b32_e64 v100, v111, v112, s0
	v_cmp_u_f32_e64 s0, v102, v102
	v_add3_u32 v115, v115, v103, 0x7fff
	v_or_b32_e32 v118, 0x400000, v104
	v_bfe_u32 v119, v101, 16, 1
	v_add3_u32 v117, v117, v104, 0x7fff
	s_wait_alu 0xf1ff
	v_cndmask_b32_e64 v102, v113, v114, s0
	v_cmp_u_f32_e64 s0, v103, v103
	v_or_b32_e32 v120, 0x400000, v101
	v_add3_u32 v119, v119, v101, 0x7fff
	v_lshrrev_b32_e32 v112, 16, v15
	v_lshrrev_b32_e32 v113, 16, v16
	s_wait_alu 0xf1ff
	v_cndmask_b32_e64 v103, v115, v116, s0
	v_cmp_u_f32_e64 s0, v104, v104
	v_lshrrev_b32_e32 v110, 16, v17
	v_lshrrev_b32_e32 v111, 16, v100
	;; [unrolled: 1-line block ×4, first 2 shown]
	s_wait_alu 0xf1ff
	v_cndmask_b32_e64 v104, v117, v118, s0
	v_cmp_u_f32_e64 s0, v101, v101
	s_delay_alu instid0(VALU_DEP_2) | instskip(SKIP_1) | instid1(VALU_DEP_2)
	v_lshrrev_b32_e32 v106, 16, v104
	s_wait_alu 0xf1ff
	v_cndmask_b32_e64 v101, v119, v120, s0
	s_delay_alu instid0(VALU_DEP_1)
	v_lshrrev_b32_e32 v107, 16, v101
	s_and_saveexec_b32 s1, vcc_lo
	s_cbranch_execz .LBB338_59
; %bb.58:                               ;   in Loop: Header=BB338_42 Depth=1
	v_cmp_gt_i32_e64 s0, s75, v68
	s_wait_alu 0xf1ff
	s_delay_alu instid0(VALU_DEP_1) | instskip(SKIP_2) | instid1(VALU_DEP_1)
	v_cndmask_b32_e64 v112, 0, v112, s0
	v_cmp_gt_i32_e64 s0, s75, v81
	s_wait_alu 0xf1ff
	v_cndmask_b32_e64 v113, 0, v113, s0
	v_cmp_gt_i32_e64 s0, s75, v80
	s_wait_alu 0xf1ff
	s_delay_alu instid0(VALU_DEP_1) | instskip(SKIP_2) | instid1(VALU_DEP_1)
	v_cndmask_b32_e64 v110, 0, v110, s0
	v_cmp_gt_i32_e64 s0, s75, v79
	s_wait_alu 0xf1ff
	v_cndmask_b32_e64 v111, 0, v111, s0
	;; [unrolled: 7-line block ×4, first 2 shown]
.LBB338_59:                             ;   in Loop: Header=BB338_42 Depth=1
	s_wait_alu 0xfffe
	s_or_b32 exec_lo, exec_lo, s1
	global_load_b64 v[100:101], v[13:14], off offset:2048
	s_wait_loadcnt 0x0
	v_and_b32_e32 v102, 0xff, v101
	v_bfe_u32 v16, v100, 8, 8
	v_bfe_u32 v17, v100, 16, 8
	;; [unrolled: 1-line block ×4, first 2 shown]
	v_cvt_f32_fp8_e32 v102, v102
	v_and_b32_e32 v15, 0xff, v100
	v_cvt_f32_fp8_e32 v16, v16
	v_lshrrev_b32_e32 v100, 24, v100
	v_cvt_f32_fp8_e32 v17, v17
	v_mul_f32_e32 v102, s19, v102
	v_cvt_f32_fp8_e32 v15, v15
	v_mul_f32_e32 v16, s19, v16
	;; [unrolled: 2-line block ×4, first 2 shown]
	v_bfe_u32 v115, v16, 16, 1
	v_mul_f32_e32 v100, s19, v100
	v_or_b32_e32 v116, 0x400000, v16
	v_bfe_u32 v117, v17, 16, 1
	v_bfe_u32 v105, v15, 16, 1
	v_or_b32_e32 v114, 0x400000, v15
	v_cmp_u_f32_e64 s0, v15, v15
	v_add3_u32 v115, v115, v16, 0x7fff
	v_mul_f32_e32 v103, s19, v103
	v_add3_u32 v105, v105, v15, 0x7fff
	v_or_b32_e32 v118, 0x400000, v17
	v_bfe_u32 v119, v100, 16, 1
	v_add3_u32 v117, v117, v17, 0x7fff
	v_lshrrev_b32_e32 v101, 24, v101
	s_wait_alu 0xf1ff
	v_cndmask_b32_e64 v15, v105, v114, s0
	v_cmp_u_f32_e64 s0, v16, v16
	v_cvt_f32_fp8_e32 v104, v104
	v_or_b32_e32 v120, 0x400000, v100
	v_bfe_u32 v121, v102, 16, 1
	v_add3_u32 v119, v119, v100, 0x7fff
	s_wait_alu 0xf1ff
	v_cndmask_b32_e64 v16, v115, v116, s0
	v_cmp_u_f32_e64 s0, v17, v17
	v_cvt_f32_fp8_e32 v101, v101
	v_mul_f32_e32 v104, s19, v104
	v_or_b32_e32 v122, 0x400000, v102
	v_bfe_u32 v123, v103, 16, 1
	s_wait_alu 0xf1ff
	v_cndmask_b32_e64 v17, v117, v118, s0
	v_cmp_u_f32_e64 s0, v100, v100
	v_add3_u32 v121, v121, v102, 0x7fff
	v_mul_f32_e32 v101, s19, v101
	v_or_b32_e32 v124, 0x400000, v103
	v_bfe_u32 v125, v104, 16, 1
	s_wait_alu 0xf1ff
	v_cndmask_b32_e64 v100, v119, v120, s0
	v_cmp_u_f32_e64 s0, v102, v102
	v_add3_u32 v123, v123, v103, 0x7fff
	v_or_b32_e32 v126, 0x400000, v104
	v_bfe_u32 v127, v101, 16, 1
	v_add3_u32 v125, v125, v104, 0x7fff
	s_wait_alu 0xf1ff
	v_cndmask_b32_e64 v102, v121, v122, s0
	v_cmp_u_f32_e64 s0, v103, v103
	v_or_b32_e32 v128, 0x400000, v101
	v_add3_u32 v127, v127, v101, 0x7fff
	v_lshrrev_b32_e32 v120, 16, v15
	v_lshrrev_b32_e32 v121, 16, v16
	s_wait_alu 0xf1ff
	v_cndmask_b32_e64 v103, v123, v124, s0
	v_cmp_u_f32_e64 s0, v104, v104
	v_lshrrev_b32_e32 v118, 16, v17
	v_lshrrev_b32_e32 v119, 16, v100
	;; [unrolled: 1-line block ×4, first 2 shown]
	s_wait_alu 0xf1ff
	v_cndmask_b32_e64 v104, v125, v126, s0
	v_cmp_u_f32_e64 s0, v101, v101
	s_delay_alu instid0(VALU_DEP_2) | instskip(SKIP_1) | instid1(VALU_DEP_2)
	v_lshrrev_b32_e32 v114, 16, v104
	s_wait_alu 0xf1ff
	v_cndmask_b32_e64 v101, v127, v128, s0
	s_delay_alu instid0(VALU_DEP_1)
	v_lshrrev_b32_e32 v115, 16, v101
	s_and_saveexec_b32 s1, vcc_lo
	s_cbranch_execz .LBB338_61
; %bb.60:                               ;   in Loop: Header=BB338_42 Depth=1
	v_cmp_gt_i32_e64 s0, s75, v68
	s_wait_alu 0xf1ff
	s_delay_alu instid0(VALU_DEP_1) | instskip(SKIP_2) | instid1(VALU_DEP_1)
	v_cndmask_b32_e64 v120, 0, v120, s0
	v_cmp_gt_i32_e64 s0, s75, v81
	s_wait_alu 0xf1ff
	v_cndmask_b32_e64 v121, 0, v121, s0
	v_cmp_gt_i32_e64 s0, s75, v80
	s_wait_alu 0xf1ff
	s_delay_alu instid0(VALU_DEP_1) | instskip(SKIP_2) | instid1(VALU_DEP_1)
	v_cndmask_b32_e64 v118, 0, v118, s0
	v_cmp_gt_i32_e64 s0, s75, v79
	s_wait_alu 0xf1ff
	v_cndmask_b32_e64 v119, 0, v119, s0
	;; [unrolled: 7-line block ×4, first 2 shown]
.LBB338_61:                             ;   in Loop: Header=BB338_42 Depth=1
	s_wait_alu 0xfffe
	s_or_b32 exec_lo, exec_lo, s1
	global_load_b64 v[100:101], v[13:14], off offset:2304
	s_wait_loadcnt 0x0
	v_and_b32_e32 v102, 0xff, v101
	v_bfe_u32 v16, v100, 8, 8
	v_bfe_u32 v17, v100, 16, 8
	;; [unrolled: 1-line block ×4, first 2 shown]
	v_cvt_f32_fp8_e32 v102, v102
	v_and_b32_e32 v15, 0xff, v100
	v_cvt_f32_fp8_e32 v16, v16
	v_lshrrev_b32_e32 v100, 24, v100
	v_cvt_f32_fp8_e32 v17, v17
	v_mul_f32_e32 v102, s19, v102
	v_cvt_f32_fp8_e32 v15, v15
	v_mul_f32_e32 v16, s19, v16
	;; [unrolled: 2-line block ×4, first 2 shown]
	v_bfe_u32 v123, v16, 16, 1
	v_mul_f32_e32 v100, s19, v100
	v_or_b32_e32 v124, 0x400000, v16
	v_bfe_u32 v125, v17, 16, 1
	v_bfe_u32 v105, v15, 16, 1
	v_or_b32_e32 v122, 0x400000, v15
	v_cmp_u_f32_e64 s0, v15, v15
	v_add3_u32 v123, v123, v16, 0x7fff
	v_mul_f32_e32 v103, s19, v103
	v_add3_u32 v105, v105, v15, 0x7fff
	v_or_b32_e32 v126, 0x400000, v17
	v_bfe_u32 v127, v100, 16, 1
	v_add3_u32 v125, v125, v17, 0x7fff
	v_lshrrev_b32_e32 v101, 24, v101
	s_wait_alu 0xf1ff
	v_cndmask_b32_e64 v15, v105, v122, s0
	v_cmp_u_f32_e64 s0, v16, v16
	v_cvt_f32_fp8_e32 v104, v104
	v_or_b32_e32 v128, 0x400000, v100
	v_bfe_u32 v129, v102, 16, 1
	v_add3_u32 v127, v127, v100, 0x7fff
	s_wait_alu 0xf1ff
	v_cndmask_b32_e64 v16, v123, v124, s0
	v_cmp_u_f32_e64 s0, v17, v17
	v_cvt_f32_fp8_e32 v101, v101
	v_mul_f32_e32 v104, s19, v104
	v_or_b32_e32 v130, 0x400000, v102
	v_bfe_u32 v131, v103, 16, 1
	s_wait_alu 0xf1ff
	v_cndmask_b32_e64 v17, v125, v126, s0
	v_cmp_u_f32_e64 s0, v100, v100
	v_add3_u32 v129, v129, v102, 0x7fff
	v_mul_f32_e32 v101, s19, v101
	v_or_b32_e32 v132, 0x400000, v103
	v_bfe_u32 v133, v104, 16, 1
	s_wait_alu 0xf1ff
	v_cndmask_b32_e64 v100, v127, v128, s0
	v_cmp_u_f32_e64 s0, v102, v102
	v_add3_u32 v131, v131, v103, 0x7fff
	v_or_b32_e32 v134, 0x400000, v104
	v_bfe_u32 v135, v101, 16, 1
	v_add3_u32 v133, v133, v104, 0x7fff
	s_wait_alu 0xf1ff
	v_cndmask_b32_e64 v102, v129, v130, s0
	v_cmp_u_f32_e64 s0, v103, v103
	v_or_b32_e32 v136, 0x400000, v101
	v_add3_u32 v135, v135, v101, 0x7fff
	v_lshrrev_b32_e32 v128, 16, v15
	v_lshrrev_b32_e32 v129, 16, v16
	s_wait_alu 0xf1ff
	v_cndmask_b32_e64 v103, v131, v132, s0
	v_cmp_u_f32_e64 s0, v104, v104
	v_lshrrev_b32_e32 v126, 16, v17
	v_lshrrev_b32_e32 v127, 16, v100
	v_lshrrev_b32_e32 v124, 16, v102
	v_lshrrev_b32_e32 v125, 16, v103
	s_wait_alu 0xf1ff
	v_cndmask_b32_e64 v104, v133, v134, s0
	v_cmp_u_f32_e64 s0, v101, v101
	s_delay_alu instid0(VALU_DEP_2) | instskip(SKIP_1) | instid1(VALU_DEP_2)
	v_lshrrev_b32_e32 v122, 16, v104
	s_wait_alu 0xf1ff
	v_cndmask_b32_e64 v101, v135, v136, s0
	s_delay_alu instid0(VALU_DEP_1)
	v_lshrrev_b32_e32 v123, 16, v101
	s_and_saveexec_b32 s1, vcc_lo
	s_cbranch_execz .LBB338_63
; %bb.62:                               ;   in Loop: Header=BB338_42 Depth=1
	v_cmp_gt_i32_e64 s0, s75, v68
	s_wait_alu 0xf1ff
	s_delay_alu instid0(VALU_DEP_1) | instskip(SKIP_2) | instid1(VALU_DEP_1)
	v_cndmask_b32_e64 v128, 0, v128, s0
	v_cmp_gt_i32_e64 s0, s75, v81
	s_wait_alu 0xf1ff
	v_cndmask_b32_e64 v129, 0, v129, s0
	v_cmp_gt_i32_e64 s0, s75, v80
	s_wait_alu 0xf1ff
	s_delay_alu instid0(VALU_DEP_1) | instskip(SKIP_2) | instid1(VALU_DEP_1)
	v_cndmask_b32_e64 v126, 0, v126, s0
	v_cmp_gt_i32_e64 s0, s75, v79
	s_wait_alu 0xf1ff
	v_cndmask_b32_e64 v127, 0, v127, s0
	;; [unrolled: 7-line block ×4, first 2 shown]
.LBB338_63:                             ;   in Loop: Header=BB338_42 Depth=1
	s_wait_alu 0xfffe
	s_or_b32 exec_lo, exec_lo, s1
	global_load_b64 v[100:101], v[13:14], off offset:2560
	s_wait_loadcnt 0x0
	v_and_b32_e32 v102, 0xff, v101
	v_bfe_u32 v16, v100, 8, 8
	v_bfe_u32 v17, v100, 16, 8
	;; [unrolled: 1-line block ×4, first 2 shown]
	v_lshrrev_b32_e32 v101, 24, v101
	v_cvt_f32_fp8_e32 v102, v102
	v_and_b32_e32 v15, 0xff, v100
	v_lshrrev_b32_e32 v100, 24, v100
	v_cvt_f32_fp8_e32 v16, v16
	v_cvt_f32_fp8_e32 v17, v17
	;; [unrolled: 1-line block ×6, first 2 shown]
	v_mul_f32_e32 v102, s19, v102
	v_cvt_f32_fp8_e32 v15, v15
	v_dual_mul_f32 v16, s19, v16 :: v_dual_mul_f32 v17, s19, v17
	v_dual_mul_f32 v100, s19, v100 :: v_dual_mul_f32 v103, s19, v103
	s_delay_alu instid0(VALU_DEP_3) | instskip(SKIP_1) | instid1(VALU_DEP_4)
	v_dual_mul_f32 v15, s19, v15 :: v_dual_mul_f32 v104, s19, v104
	v_mul_f32_e32 v101, s19, v101
	v_bfe_u32 v131, v16, 16, 1
	v_bfe_u32 v133, v17, 16, 1
	s_delay_alu instid0(VALU_DEP_4)
	v_bfe_u32 v105, v15, 16, 1
	v_bfe_u32 v135, v100, 16, 1
	;; [unrolled: 1-line block ×6, first 2 shown]
	v_or_b32_e32 v130, 0x400000, v15
	v_or_b32_e32 v132, 0x400000, v16
	;; [unrolled: 1-line block ×8, first 2 shown]
	v_cmp_u_f32_e64 s0, v15, v15
	v_cmp_u_f32_e64 s1, v16, v16
	v_cmp_u_f32_e64 s2, v17, v17
	v_cmp_u_f32_e64 s3, v100, v100
	v_cmp_u_f32_e64 s4, v102, v102
	v_cmp_u_f32_e64 s5, v103, v103
	v_cmp_u_f32_e64 s6, v104, v104
	v_cmp_u_f32_e64 s7, v101, v101
	v_add3_u32 v15, v105, v15, 0x7fff
	v_add3_u32 v16, v131, v16, 0x7fff
	;; [unrolled: 1-line block ×8, first 2 shown]
	s_wait_alu 0xf1ff
	v_cndmask_b32_e64 v15, v15, v130, s0
	v_cndmask_b32_e64 v16, v16, v132, s1
	;; [unrolled: 1-line block ×8, first 2 shown]
	v_lshrrev_b32_e32 v136, 16, v15
	v_lshrrev_b32_e32 v137, 16, v16
	;; [unrolled: 1-line block ×8, first 2 shown]
	s_and_saveexec_b32 s1, vcc_lo
	s_cbranch_execz .LBB338_65
; %bb.64:                               ;   in Loop: Header=BB338_42 Depth=1
	v_cmp_gt_i32_e64 s0, s75, v68
	s_wait_alu 0xf1ff
	s_delay_alu instid0(VALU_DEP_1) | instskip(SKIP_2) | instid1(VALU_DEP_1)
	v_cndmask_b32_e64 v136, 0, v136, s0
	v_cmp_gt_i32_e64 s0, s75, v81
	s_wait_alu 0xf1ff
	v_cndmask_b32_e64 v137, 0, v137, s0
	v_cmp_gt_i32_e64 s0, s75, v80
	s_wait_alu 0xf1ff
	s_delay_alu instid0(VALU_DEP_1) | instskip(SKIP_2) | instid1(VALU_DEP_1)
	v_cndmask_b32_e64 v134, 0, v134, s0
	v_cmp_gt_i32_e64 s0, s75, v79
	s_wait_alu 0xf1ff
	v_cndmask_b32_e64 v135, 0, v135, s0
	;; [unrolled: 7-line block ×4, first 2 shown]
.LBB338_65:                             ;   in Loop: Header=BB338_42 Depth=1
	s_wait_alu 0xfffe
	s_or_b32 exec_lo, exec_lo, s1
	global_load_b64 v[13:14], v[13:14], off offset:2816
	s_wait_loadcnt 0x0
	v_bfe_u32 v16, v13, 8, 8
	v_bfe_u32 v17, v13, 16, 8
	;; [unrolled: 1-line block ×4, first 2 shown]
	s_delay_alu instid0(VALU_DEP_4)
	v_cvt_f32_fp8_e32 v16, v16
	v_and_b32_e32 v15, 0xff, v13
	v_lshrrev_b32_e32 v13, 24, v13
	v_cvt_f32_fp8_e32 v17, v17
	v_cvt_f32_fp8_e32 v102, v102
	v_mul_f32_e32 v16, s19, v16
	v_cvt_f32_fp8_e32 v15, v15
	v_and_b32_e32 v100, 0xff, v14
	v_cvt_f32_fp8_e32 v13, v13
	v_lshrrev_b32_e32 v14, 24, v14
	v_bfe_u32 v105, v16, 16, 1
	v_mul_f32_e32 v15, s19, v15
	v_cvt_f32_fp8_e32 v100, v100
	v_mul_f32_e32 v17, s19, v17
	v_dual_mul_f32 v13, s19, v13 :: v_dual_mul_f32 v102, s19, v102
	s_delay_alu instid0(VALU_DEP_4)
	v_bfe_u32 v103, v15, 16, 1
	v_or_b32_e32 v104, 0x400000, v15
	v_cmp_u_f32_e64 s0, v15, v15
	v_mul_f32_e32 v100, s19, v100
	v_or_b32_e32 v138, 0x400000, v16
	v_add3_u32 v103, v103, v15, 0x7fff
	v_bfe_u32 v139, v17, 16, 1
	v_add3_u32 v105, v105, v16, 0x7fff
	v_cvt_f32_fp8_e32 v101, v101
	v_or_b32_e32 v140, 0x400000, v17
	s_wait_alu 0xf1ff
	v_cndmask_b32_e64 v15, v103, v104, s0
	v_cmp_u_f32_e64 s0, v16, v16
	v_bfe_u32 v141, v13, 16, 1
	v_add3_u32 v139, v139, v17, 0x7fff
	v_cvt_f32_fp8_e32 v14, v14
	v_mul_f32_e32 v101, s19, v101
	s_wait_alu 0xf1ff
	v_cndmask_b32_e64 v16, v105, v138, s0
	v_cmp_u_f32_e64 s0, v17, v17
	v_or_b32_e32 v142, 0x400000, v13
	v_bfe_u32 v143, v100, 16, 1
	v_add3_u32 v141, v141, v13, 0x7fff
	v_mul_f32_e32 v14, s19, v14
	s_wait_alu 0xf1ff
	v_cndmask_b32_e64 v17, v139, v140, s0
	v_cmp_u_f32_e64 s0, v13, v13
	v_or_b32_e32 v144, 0x400000, v100
	v_bfe_u32 v145, v101, 16, 1
	v_add3_u32 v143, v143, v100, 0x7fff
	v_or_b32_e32 v146, 0x400000, v101
	s_wait_alu 0xf1ff
	v_cndmask_b32_e64 v13, v141, v142, s0
	v_cmp_u_f32_e64 s0, v100, v100
	v_bfe_u32 v147, v102, 16, 1
	v_add3_u32 v145, v145, v101, 0x7fff
	v_or_b32_e32 v148, 0x400000, v102
	v_bfe_u32 v149, v14, 16, 1
	s_wait_alu 0xf1ff
	v_cndmask_b32_e64 v100, v143, v144, s0
	v_cmp_u_f32_e64 s0, v101, v101
	v_add3_u32 v147, v147, v102, 0x7fff
	v_or_b32_e32 v150, 0x400000, v14
	v_add3_u32 v149, v149, v14, 0x7fff
	v_lshrrev_b32_e32 v105, 16, v15
	s_wait_alu 0xf1ff
	v_cndmask_b32_e64 v138, v145, v146, s0
	v_cmp_u_f32_e64 s0, v102, v102
	v_lshrrev_b32_e32 v104, 16, v16
	v_lshrrev_b32_e32 v103, 16, v17
	;; [unrolled: 1-line block ×4, first 2 shown]
	s_wait_alu 0xf1ff
	v_cndmask_b32_e64 v139, v147, v148, s0
	v_cmp_u_f32_e64 s0, v14, v14
	v_lshrrev_b32_e32 v100, 16, v138
	s_delay_alu instid0(VALU_DEP_3) | instskip(SKIP_1) | instid1(VALU_DEP_3)
	v_lshrrev_b32_e32 v14, 16, v139
	s_wait_alu 0xf1ff
	v_cndmask_b32_e64 v140, v149, v150, s0
	s_delay_alu instid0(VALU_DEP_1)
	v_lshrrev_b32_e32 v13, 16, v140
	s_and_saveexec_b32 s0, vcc_lo
	s_cbranch_execz .LBB338_40
; %bb.66:                               ;   in Loop: Header=BB338_42 Depth=1
	v_cmp_gt_i32_e32 vcc_lo, s75, v68
	s_wait_alu 0xfffd
	v_cndmask_b32_e32 v105, 0, v105, vcc_lo
	v_cmp_gt_i32_e32 vcc_lo, s75, v81
	s_wait_alu 0xfffd
	v_cndmask_b32_e32 v104, 0, v104, vcc_lo
	v_cmp_gt_i32_e32 vcc_lo, s75, v80
	s_wait_alu 0xfffd
	v_cndmask_b32_e32 v103, 0, v103, vcc_lo
	v_cmp_gt_i32_e32 vcc_lo, s75, v79
	s_wait_alu 0xfffd
	v_cndmask_b32_e32 v102, 0, v102, vcc_lo
	v_cmp_gt_i32_e32 vcc_lo, s75, v78
	s_wait_alu 0xfffd
	v_cndmask_b32_e32 v101, 0, v101, vcc_lo
	v_cmp_gt_i32_e32 vcc_lo, s75, v77
	s_wait_alu 0xfffd
	v_cndmask_b32_e32 v100, 0, v100, vcc_lo
	v_cmp_gt_i32_e32 vcc_lo, s75, v76
	s_wait_alu 0xfffd
	v_cndmask_b32_e32 v14, 0, v14, vcc_lo
	v_cmp_gt_i32_e32 vcc_lo, s75, v83
	s_wait_alu 0xfffd
	v_cndmask_b32_e32 v13, 0, v13, vcc_lo
	s_branch .LBB338_40
.LBB338_67:
	s_or_b32 exec_lo, exec_lo, s12
.LBB338_68:
	s_wait_alu 0xfffe
	s_or_b32 exec_lo, exec_lo, s11
	ds_bpermute_b32 v1, v21, v33
	ds_bpermute_b32 v3, v21, v31
	;; [unrolled: 1-line block ×12, first 2 shown]
	s_mov_b32 s0, exec_lo
	s_wait_storecnt 0x0
	s_wait_loadcnt_dscnt 0x0
	s_barrier_signal -1
	s_barrier_wait -1
	global_inv scope:SCOPE_SE
	v_add_f32_e32 v12, v33, v1
	v_dual_add_f32 v10, v31, v3 :: v_dual_add_f32 v9, v30, v4
	v_dual_add_f32 v8, v29, v5 :: v_dual_add_f32 v7, v28, v6
	v_add_f32_e32 v6, v27, v13
	v_dual_add_f32 v4, v25, v15 :: v_dual_add_f32 v1, v24, v16
	v_lshrrev_b32_e32 v13, 1, v20
	v_lshrrev_b32_e32 v16, 5, v0
	v_add_f32_e32 v11, v32, v2
	v_add_f32_e32 v5, v26, v14
	v_dual_add_f32 v2, v22, v18 :: v_dual_and_b32 v15, 0x3c1, v0
	v_add_f32_e32 v3, v23, v17
	v_lshl_add_u32 v14, v13, 2, 0x1a0
	v_mul_u32_u24_e32 v17, 0x300, v16
	s_delay_alu instid0(VALU_DEP_4)
	v_cmpx_eq_u32_e32 64, v15
	s_cbranch_execz .LBB338_70
; %bb.69:
	s_delay_alu instid0(VALU_DEP_2) | instskip(NEXT) | instid1(VALU_DEP_1)
	v_add_nc_u32_e32 v15, v14, v17
	v_add_nc_u32_e32 v16, 0xfffffa00, v15
	;; [unrolled: 1-line block ×13, first 2 shown]
	ds_store_b32 v16, v12
	ds_store_b32 v18, v11
	;; [unrolled: 1-line block ×12, first 2 shown]
.LBB338_70:
	s_wait_alu 0xfffe
	s_or_b32 exec_lo, exec_lo, s0
	v_lshlrev_b32_e32 v13, 2, v13
	v_and_b32_e32 v15, 1, v0
	s_mov_b32 s1, exec_lo
	s_wait_loadcnt_dscnt 0x0
	s_barrier_signal -1
	v_add3_u32 v13, 0x1a0, v17, v13
	v_cmp_eq_u32_e32 vcc_lo, 0, v15
	s_barrier_wait -1
	global_inv scope:SCOPE_SE
	v_cmpx_gt_u32_e32 64, v0
	s_cbranch_execz .LBB338_85
; %bb.71:
	s_and_saveexec_b32 s0, vcc_lo
	s_cbranch_execnz .LBB338_105
; %bb.72:
	s_wait_alu 0xfffe
	s_or_b32 exec_lo, exec_lo, s0
	s_and_saveexec_b32 s0, vcc_lo
	s_cbranch_execnz .LBB338_106
.LBB338_73:
	s_wait_alu 0xfffe
	s_or_b32 exec_lo, exec_lo, s0
	s_and_saveexec_b32 s0, vcc_lo
	s_cbranch_execnz .LBB338_107
.LBB338_74:
	s_wait_alu 0xfffe
	s_or_b32 exec_lo, exec_lo, s0
	s_and_saveexec_b32 s0, vcc_lo
	s_cbranch_execnz .LBB338_108
.LBB338_75:
	s_wait_alu 0xfffe
	s_or_b32 exec_lo, exec_lo, s0
	s_and_saveexec_b32 s0, vcc_lo
	s_cbranch_execnz .LBB338_109
.LBB338_76:
	s_wait_alu 0xfffe
	s_or_b32 exec_lo, exec_lo, s0
	s_and_saveexec_b32 s0, vcc_lo
	s_cbranch_execnz .LBB338_110
.LBB338_77:
	s_wait_alu 0xfffe
	s_or_b32 exec_lo, exec_lo, s0
	s_and_saveexec_b32 s0, vcc_lo
	s_cbranch_execnz .LBB338_111
.LBB338_78:
	s_wait_alu 0xfffe
	s_or_b32 exec_lo, exec_lo, s0
	s_and_saveexec_b32 s0, vcc_lo
	s_cbranch_execnz .LBB338_112
.LBB338_79:
	s_wait_alu 0xfffe
	s_or_b32 exec_lo, exec_lo, s0
	s_and_saveexec_b32 s0, vcc_lo
	s_cbranch_execnz .LBB338_113
.LBB338_80:
	s_wait_alu 0xfffe
	s_or_b32 exec_lo, exec_lo, s0
	s_and_saveexec_b32 s0, vcc_lo
	s_cbranch_execnz .LBB338_114
.LBB338_81:
	s_wait_alu 0xfffe
	s_or_b32 exec_lo, exec_lo, s0
	s_and_saveexec_b32 s0, vcc_lo
	s_cbranch_execnz .LBB338_115
.LBB338_82:
	s_wait_alu 0xfffe
	s_or_b32 exec_lo, exec_lo, s0
	s_and_saveexec_b32 s0, vcc_lo
	s_cbranch_execz .LBB338_84
.LBB338_83:
	ds_load_b32 v15, v13 offset:704
	s_wait_dscnt 0x0
	v_add_f32_e32 v2, v2, v15
.LBB338_84:
	s_wait_alu 0xfffe
	s_or_b32 exec_lo, exec_lo, s0
.LBB338_85:
	s_wait_alu 0xfffe
	s_or_b32 exec_lo, exec_lo, s1
	v_and_b32_e32 v16, 0x3e1, v0
	s_mov_b32 s1, exec_lo
	s_wait_loadcnt 0x0
	s_barrier_signal -1
	s_barrier_wait -1
	global_inv scope:SCOPE_SE
	v_cmpx_eq_u32_e32 32, v16
	s_cbranch_execz .LBB338_87
; %bb.86:
	ds_store_2addr_b32 v14, v12, v11 offset1:16
	ds_store_2addr_b32 v14, v10, v9 offset0:32 offset1:48
	ds_store_2addr_b32 v14, v8, v7 offset0:64 offset1:80
	;; [unrolled: 1-line block ×5, first 2 shown]
.LBB338_87:
	s_wait_alu 0xfffe
	s_or_b32 exec_lo, exec_lo, s1
	s_delay_alu instid0(SALU_CYCLE_1)
	s_mov_b32 s1, exec_lo
	s_wait_loadcnt_dscnt 0x0
	s_barrier_signal -1
	s_barrier_wait -1
	global_inv scope:SCOPE_SE
	v_cmpx_gt_u32_e32 32, v0
	s_cbranch_execz .LBB338_102
; %bb.88:
	s_and_saveexec_b32 s0, vcc_lo
	s_cbranch_execnz .LBB338_116
; %bb.89:
	s_wait_alu 0xfffe
	s_or_b32 exec_lo, exec_lo, s0
	s_and_saveexec_b32 s0, vcc_lo
	s_cbranch_execnz .LBB338_117
.LBB338_90:
	s_wait_alu 0xfffe
	s_or_b32 exec_lo, exec_lo, s0
	s_and_saveexec_b32 s0, vcc_lo
	s_cbranch_execnz .LBB338_118
.LBB338_91:
	s_wait_alu 0xfffe
	s_or_b32 exec_lo, exec_lo, s0
	s_and_saveexec_b32 s0, vcc_lo
	s_cbranch_execnz .LBB338_119
.LBB338_92:
	s_wait_alu 0xfffe
	s_or_b32 exec_lo, exec_lo, s0
	s_and_saveexec_b32 s0, vcc_lo
	s_cbranch_execnz .LBB338_120
.LBB338_93:
	s_wait_alu 0xfffe
	s_or_b32 exec_lo, exec_lo, s0
	s_and_saveexec_b32 s0, vcc_lo
	s_cbranch_execnz .LBB338_121
.LBB338_94:
	s_wait_alu 0xfffe
	s_or_b32 exec_lo, exec_lo, s0
	s_and_saveexec_b32 s0, vcc_lo
	s_cbranch_execnz .LBB338_122
.LBB338_95:
	s_wait_alu 0xfffe
	s_or_b32 exec_lo, exec_lo, s0
	s_and_saveexec_b32 s0, vcc_lo
	s_cbranch_execnz .LBB338_123
.LBB338_96:
	s_wait_alu 0xfffe
	s_or_b32 exec_lo, exec_lo, s0
	s_and_saveexec_b32 s0, vcc_lo
	s_cbranch_execnz .LBB338_124
.LBB338_97:
	s_wait_alu 0xfffe
	s_or_b32 exec_lo, exec_lo, s0
	s_and_saveexec_b32 s0, vcc_lo
	s_cbranch_execnz .LBB338_125
.LBB338_98:
	s_wait_alu 0xfffe
	s_or_b32 exec_lo, exec_lo, s0
	s_and_saveexec_b32 s0, vcc_lo
	s_cbranch_execnz .LBB338_126
.LBB338_99:
	s_wait_alu 0xfffe
	s_or_b32 exec_lo, exec_lo, s0
	s_and_saveexec_b32 s0, vcc_lo
	s_cbranch_execz .LBB338_101
.LBB338_100:
	ds_load_b32 v0, v13 offset:704
	s_wait_dscnt 0x0
	v_add_f32_e32 v2, v2, v0
.LBB338_101:
	s_wait_alu 0xfffe
	s_or_b32 exec_lo, exec_lo, s0
.LBB338_102:
	s_wait_alu 0xfffe
	s_or_b32 exec_lo, exec_lo, s1
	s_mov_b32 s1, 0
	s_wait_loadcnt 0x0
	s_barrier_signal -1
	s_barrier_wait -1
	global_inv scope:SCOPE_SE
	s_mov_b32 s0, exec_lo
	v_cmpx_eq_u32_e32 0, v16
	s_cbranch_execz .LBB338_104
; %bb.103:
	scratch_load_b32 v14, off, off th:TH_LOAD_LU ; 4-byte Folded Reload
	v_bfe_u32 v0, v12, 16, 1
	v_bfe_u32 v13, v11, 16, 1
	v_or_b32_e32 v15, 0x400000, v12
	v_cmp_u_f32_e32 vcc_lo, v12, v12
	v_or_b32_e32 v16, 0x400000, v11
	v_add3_u32 v0, v0, v12, 0x7fff
	v_add3_u32 v13, v13, v11, 0x7fff
	v_bfe_u32 v17, v10, 16, 1
	v_bfe_u32 v12, v9, 16, 1
	s_mul_i32 s2, s10, 0xc0
	s_wait_alu 0xfffd
	v_cndmask_b32_e32 v0, v0, v15, vcc_lo
	v_cmp_u_f32_e32 vcc_lo, v11, v11
	v_or_b32_e32 v15, 0x400000, v10
	v_add3_u32 v12, v12, v9, 0x7fff
	s_wait_kmcnt 0x0
	s_mul_i32 s4, s56, s64
	s_wait_alu 0xfffe
	s_ashr_i32 s3, s2, 31
	v_or_b32_e32 v18, 0x400000, v2
	s_ashr_i32 s5, s4, 31
	s_wait_alu 0xfffe
	s_lshl_b64 s[2:3], s[2:3], 1
	s_lshl_b64 s[4:5], s[4:5], 1
	s_wait_alu 0xfffe
	s_add_nc_u64 s[2:3], s[8:9], s[2:3]
	s_mul_i32 s0, s74, 0x180
	s_wait_alu 0xfffe
	s_add_nc_u64 s[2:3], s[2:3], s[4:5]
	s_wait_alu 0xfffd
	v_cndmask_b32_e32 v11, v13, v16, vcc_lo
	v_add3_u32 v13, v17, v10, 0x7fff
	v_cmp_u_f32_e32 vcc_lo, v10, v10
	v_or_b32_e32 v16, 0x400000, v9
	v_bfe_u32 v17, v8, 16, 1
	s_wait_alu 0xfffe
	s_add_nc_u64 s[0:1], s[2:3], s[0:1]
	s_wait_alu 0xfffd
	v_cndmask_b32_e32 v10, v13, v15, vcc_lo
	v_cmp_u_f32_e32 vcc_lo, v9, v9
	v_bfe_u32 v13, v7, 16, 1
	v_or_b32_e32 v15, 0x400000, v8
	s_wait_alu 0xfffd
	v_cndmask_b32_e32 v9, v12, v16, vcc_lo
	v_add3_u32 v12, v17, v8, 0x7fff
	v_cmp_u_f32_e32 vcc_lo, v8, v8
	v_add3_u32 v13, v13, v7, 0x7fff
	v_or_b32_e32 v16, 0x400000, v7
	v_bfe_u32 v17, v6, 16, 1
	s_wait_alu 0xfffd
	v_cndmask_b32_e32 v8, v12, v15, vcc_lo
	v_cmp_u_f32_e32 vcc_lo, v7, v7
	v_bfe_u32 v12, v5, 16, 1
	v_or_b32_e32 v15, 0x400000, v6
	s_wait_alu 0xfffd
	v_cndmask_b32_e32 v7, v13, v16, vcc_lo
	v_add3_u32 v13, v17, v6, 0x7fff
	v_cmp_u_f32_e32 vcc_lo, v6, v6
	v_bfe_u32 v16, v4, 16, 1
	v_add3_u32 v12, v12, v5, 0x7fff
	v_or_b32_e32 v17, 0x400000, v5
	s_wait_alu 0xfffd
	v_cndmask_b32_e32 v6, v13, v15, vcc_lo
	v_cmp_u_f32_e32 vcc_lo, v5, v5
	v_add3_u32 v13, v16, v4, 0x7fff
	v_or_b32_e32 v15, 0x400000, v4
	v_bfe_u32 v16, v3, 16, 1
	s_wait_alu 0xfffd
	v_cndmask_b32_e32 v5, v12, v17, vcc_lo
	v_bfe_u32 v12, v1, 16, 1
	v_cmp_u_f32_e32 vcc_lo, v4, v4
	v_add3_u32 v16, v16, v3, 0x7fff
	v_or_b32_e32 v17, 0x400000, v3
	s_delay_alu instid0(VALU_DEP_4)
	v_add3_u32 v12, v12, v1, 0x7fff
	s_wait_alu 0xfffd
	v_cndmask_b32_e32 v4, v13, v15, vcc_lo
	v_bfe_u32 v13, v2, 16, 1
	v_or_b32_e32 v15, 0x400000, v1
	v_cmp_u_f32_e32 vcc_lo, v1, v1
	s_delay_alu instid0(VALU_DEP_3) | instskip(SKIP_1) | instid1(VALU_DEP_3)
	v_add3_u32 v13, v13, v2, 0x7fff
	s_wait_alu 0xfffd
	v_cndmask_b32_e32 v1, v12, v15, vcc_lo
	v_cmp_u_f32_e32 vcc_lo, v3, v3
	s_wait_alu 0xfffd
	v_cndmask_b32_e32 v3, v16, v17, vcc_lo
	v_cmp_u_f32_e32 vcc_lo, v2, v2
	s_wait_alu 0xfffd
	v_cndmask_b32_e32 v2, v13, v18, vcc_lo
	s_wait_loadcnt 0x0
	v_lshlrev_b32_e32 v14, 1, v14
	s_clause 0xb
	global_store_d16_hi_b16 v14, v0, s[0:1]
	global_store_d16_hi_b16 v14, v11, s[0:1] offset:32
	global_store_d16_hi_b16 v14, v10, s[0:1] offset:64
	;; [unrolled: 1-line block ×11, first 2 shown]
.LBB338_104:
	s_nop 0
	s_sendmsg sendmsg(MSG_DEALLOC_VGPRS)
	s_endpgm
.LBB338_105:
	ds_load_b32 v15, v13
	s_wait_dscnt 0x0
	v_add_f32_e32 v12, v12, v15
	s_wait_alu 0xfffe
	s_or_b32 exec_lo, exec_lo, s0
	s_and_saveexec_b32 s0, vcc_lo
	s_cbranch_execz .LBB338_73
.LBB338_106:
	ds_load_b32 v15, v13 offset:64
	s_wait_dscnt 0x0
	v_add_f32_e32 v11, v11, v15
	s_wait_alu 0xfffe
	s_or_b32 exec_lo, exec_lo, s0
	s_and_saveexec_b32 s0, vcc_lo
	s_cbranch_execz .LBB338_74
.LBB338_107:
	ds_load_b32 v15, v13 offset:128
	s_wait_dscnt 0x0
	v_add_f32_e32 v10, v10, v15
	s_wait_alu 0xfffe
	s_or_b32 exec_lo, exec_lo, s0
	s_and_saveexec_b32 s0, vcc_lo
	s_cbranch_execz .LBB338_75
.LBB338_108:
	ds_load_b32 v15, v13 offset:192
	s_wait_dscnt 0x0
	v_add_f32_e32 v9, v9, v15
	s_wait_alu 0xfffe
	s_or_b32 exec_lo, exec_lo, s0
	s_and_saveexec_b32 s0, vcc_lo
	s_cbranch_execz .LBB338_76
.LBB338_109:
	ds_load_b32 v15, v13 offset:256
	s_wait_dscnt 0x0
	v_add_f32_e32 v8, v8, v15
	s_wait_alu 0xfffe
	s_or_b32 exec_lo, exec_lo, s0
	s_and_saveexec_b32 s0, vcc_lo
	s_cbranch_execz .LBB338_77
.LBB338_110:
	ds_load_b32 v15, v13 offset:320
	s_wait_dscnt 0x0
	v_add_f32_e32 v7, v7, v15
	s_wait_alu 0xfffe
	s_or_b32 exec_lo, exec_lo, s0
	s_and_saveexec_b32 s0, vcc_lo
	s_cbranch_execz .LBB338_78
.LBB338_111:
	ds_load_b32 v15, v13 offset:384
	s_wait_dscnt 0x0
	v_add_f32_e32 v6, v6, v15
	s_wait_alu 0xfffe
	s_or_b32 exec_lo, exec_lo, s0
	s_and_saveexec_b32 s0, vcc_lo
	s_cbranch_execz .LBB338_79
.LBB338_112:
	ds_load_b32 v15, v13 offset:448
	s_wait_dscnt 0x0
	v_add_f32_e32 v5, v5, v15
	s_wait_alu 0xfffe
	s_or_b32 exec_lo, exec_lo, s0
	s_and_saveexec_b32 s0, vcc_lo
	s_cbranch_execz .LBB338_80
.LBB338_113:
	ds_load_b32 v15, v13 offset:512
	s_wait_dscnt 0x0
	v_add_f32_e32 v4, v4, v15
	s_wait_alu 0xfffe
	s_or_b32 exec_lo, exec_lo, s0
	s_and_saveexec_b32 s0, vcc_lo
	s_cbranch_execz .LBB338_81
.LBB338_114:
	ds_load_b32 v15, v13 offset:576
	s_wait_dscnt 0x0
	v_add_f32_e32 v1, v1, v15
	s_wait_alu 0xfffe
	s_or_b32 exec_lo, exec_lo, s0
	s_and_saveexec_b32 s0, vcc_lo
	s_cbranch_execz .LBB338_82
.LBB338_115:
	ds_load_b32 v15, v13 offset:640
	s_wait_dscnt 0x0
	v_add_f32_e32 v3, v3, v15
	s_wait_alu 0xfffe
	s_or_b32 exec_lo, exec_lo, s0
	s_and_saveexec_b32 s0, vcc_lo
	s_cbranch_execnz .LBB338_83
	s_branch .LBB338_84
.LBB338_116:
	ds_load_b32 v0, v13
	s_wait_dscnt 0x0
	v_add_f32_e32 v12, v12, v0
	s_wait_alu 0xfffe
	s_or_b32 exec_lo, exec_lo, s0
	s_and_saveexec_b32 s0, vcc_lo
	s_cbranch_execz .LBB338_90
.LBB338_117:
	ds_load_b32 v0, v13 offset:64
	s_wait_dscnt 0x0
	v_add_f32_e32 v11, v11, v0
	s_wait_alu 0xfffe
	s_or_b32 exec_lo, exec_lo, s0
	s_and_saveexec_b32 s0, vcc_lo
	s_cbranch_execz .LBB338_91
.LBB338_118:
	ds_load_b32 v0, v13 offset:128
	s_wait_dscnt 0x0
	v_add_f32_e32 v10, v10, v0
	s_wait_alu 0xfffe
	s_or_b32 exec_lo, exec_lo, s0
	s_and_saveexec_b32 s0, vcc_lo
	s_cbranch_execz .LBB338_92
.LBB338_119:
	ds_load_b32 v0, v13 offset:192
	s_wait_dscnt 0x0
	v_add_f32_e32 v9, v9, v0
	s_wait_alu 0xfffe
	s_or_b32 exec_lo, exec_lo, s0
	s_and_saveexec_b32 s0, vcc_lo
	s_cbranch_execz .LBB338_93
.LBB338_120:
	ds_load_b32 v0, v13 offset:256
	s_wait_dscnt 0x0
	v_add_f32_e32 v8, v8, v0
	s_wait_alu 0xfffe
	s_or_b32 exec_lo, exec_lo, s0
	s_and_saveexec_b32 s0, vcc_lo
	s_cbranch_execz .LBB338_94
.LBB338_121:
	ds_load_b32 v0, v13 offset:320
	s_wait_dscnt 0x0
	v_add_f32_e32 v7, v7, v0
	s_wait_alu 0xfffe
	s_or_b32 exec_lo, exec_lo, s0
	s_and_saveexec_b32 s0, vcc_lo
	s_cbranch_execz .LBB338_95
.LBB338_122:
	ds_load_b32 v0, v13 offset:384
	s_wait_dscnt 0x0
	v_add_f32_e32 v6, v6, v0
	s_wait_alu 0xfffe
	s_or_b32 exec_lo, exec_lo, s0
	s_and_saveexec_b32 s0, vcc_lo
	s_cbranch_execz .LBB338_96
.LBB338_123:
	ds_load_b32 v0, v13 offset:448
	s_wait_dscnt 0x0
	v_add_f32_e32 v5, v5, v0
	s_wait_alu 0xfffe
	s_or_b32 exec_lo, exec_lo, s0
	s_and_saveexec_b32 s0, vcc_lo
	s_cbranch_execz .LBB338_97
.LBB338_124:
	ds_load_b32 v0, v13 offset:512
	s_wait_dscnt 0x0
	v_add_f32_e32 v4, v4, v0
	s_wait_alu 0xfffe
	s_or_b32 exec_lo, exec_lo, s0
	s_and_saveexec_b32 s0, vcc_lo
	s_cbranch_execz .LBB338_98
.LBB338_125:
	ds_load_b32 v0, v13 offset:576
	s_wait_dscnt 0x0
	v_add_f32_e32 v1, v1, v0
	s_wait_alu 0xfffe
	s_or_b32 exec_lo, exec_lo, s0
	s_and_saveexec_b32 s0, vcc_lo
	s_cbranch_execz .LBB338_99
.LBB338_126:
	ds_load_b32 v0, v13 offset:640
	s_wait_dscnt 0x0
	v_add_f32_e32 v3, v3, v0
	s_wait_alu 0xfffe
	s_or_b32 exec_lo, exec_lo, s0
	s_and_saveexec_b32 s0, vcc_lo
	s_cbranch_execnz .LBB338_100
	s_branch .LBB338_101
	.section	.rodata,"a",@progbits
	.p2align	6, 0x0
	.amdhsa_kernel _ZN4vllm25paged_attention_v2_kernelI14__hip_bfloat16hLi192ELi16ELi128ELNS_18Fp8KVCacheDataTypeE1ELb1ELi512EEEvPfS3_PT_PKS4_PKT0_SA_ifPKiSC_iPKfiiiSE_SE_iiiii
		.amdhsa_group_segment_fixed_size 416
		.amdhsa_private_segment_fixed_size 8
		.amdhsa_kernarg_size 400
		.amdhsa_user_sgpr_count 2
		.amdhsa_user_sgpr_dispatch_ptr 0
		.amdhsa_user_sgpr_queue_ptr 0
		.amdhsa_user_sgpr_kernarg_segment_ptr 1
		.amdhsa_user_sgpr_dispatch_id 0
		.amdhsa_user_sgpr_private_segment_size 0
		.amdhsa_wavefront_size32 1
		.amdhsa_uses_dynamic_stack 0
		.amdhsa_enable_private_segment 1
		.amdhsa_system_sgpr_workgroup_id_x 1
		.amdhsa_system_sgpr_workgroup_id_y 1
		.amdhsa_system_sgpr_workgroup_id_z 1
		.amdhsa_system_sgpr_workgroup_info 0
		.amdhsa_system_vgpr_workitem_id 0
		.amdhsa_next_free_vgpr 192
		.amdhsa_next_free_sgpr 89
		.amdhsa_reserve_vcc 1
		.amdhsa_float_round_mode_32 0
		.amdhsa_float_round_mode_16_64 0
		.amdhsa_float_denorm_mode_32 3
		.amdhsa_float_denorm_mode_16_64 3
		.amdhsa_fp16_overflow 0
		.amdhsa_workgroup_processor_mode 1
		.amdhsa_memory_ordered 1
		.amdhsa_forward_progress 1
		.amdhsa_inst_pref_size 236
		.amdhsa_round_robin_scheduling 0
		.amdhsa_exception_fp_ieee_invalid_op 0
		.amdhsa_exception_fp_denorm_src 0
		.amdhsa_exception_fp_ieee_div_zero 0
		.amdhsa_exception_fp_ieee_overflow 0
		.amdhsa_exception_fp_ieee_underflow 0
		.amdhsa_exception_fp_ieee_inexact 0
		.amdhsa_exception_int_div_zero 0
	.end_amdhsa_kernel
	.section	.text._ZN4vllm25paged_attention_v2_kernelI14__hip_bfloat16hLi192ELi16ELi128ELNS_18Fp8KVCacheDataTypeE1ELb1ELi512EEEvPfS3_PT_PKS4_PKT0_SA_ifPKiSC_iPKfiiiSE_SE_iiiii,"axG",@progbits,_ZN4vllm25paged_attention_v2_kernelI14__hip_bfloat16hLi192ELi16ELi128ELNS_18Fp8KVCacheDataTypeE1ELb1ELi512EEEvPfS3_PT_PKS4_PKT0_SA_ifPKiSC_iPKfiiiSE_SE_iiiii,comdat
.Lfunc_end338:
	.size	_ZN4vllm25paged_attention_v2_kernelI14__hip_bfloat16hLi192ELi16ELi128ELNS_18Fp8KVCacheDataTypeE1ELb1ELi512EEEvPfS3_PT_PKS4_PKT0_SA_ifPKiSC_iPKfiiiSE_SE_iiiii, .Lfunc_end338-_ZN4vllm25paged_attention_v2_kernelI14__hip_bfloat16hLi192ELi16ELi128ELNS_18Fp8KVCacheDataTypeE1ELb1ELi512EEEvPfS3_PT_PKS4_PKT0_SA_ifPKiSC_iPKfiiiSE_SE_iiiii
                                        ; -- End function
	.set _ZN4vllm25paged_attention_v2_kernelI14__hip_bfloat16hLi192ELi16ELi128ELNS_18Fp8KVCacheDataTypeE1ELb1ELi512EEEvPfS3_PT_PKS4_PKT0_SA_ifPKiSC_iPKfiiiSE_SE_iiiii.num_vgpr, 192
	.set _ZN4vllm25paged_attention_v2_kernelI14__hip_bfloat16hLi192ELi16ELi128ELNS_18Fp8KVCacheDataTypeE1ELb1ELi512EEEvPfS3_PT_PKS4_PKT0_SA_ifPKiSC_iPKfiiiSE_SE_iiiii.num_agpr, 0
	.set _ZN4vllm25paged_attention_v2_kernelI14__hip_bfloat16hLi192ELi16ELi128ELNS_18Fp8KVCacheDataTypeE1ELb1ELi512EEEvPfS3_PT_PKS4_PKT0_SA_ifPKiSC_iPKfiiiSE_SE_iiiii.numbered_sgpr, 89
	.set _ZN4vllm25paged_attention_v2_kernelI14__hip_bfloat16hLi192ELi16ELi128ELNS_18Fp8KVCacheDataTypeE1ELb1ELi512EEEvPfS3_PT_PKS4_PKT0_SA_ifPKiSC_iPKfiiiSE_SE_iiiii.num_named_barrier, 0
	.set _ZN4vllm25paged_attention_v2_kernelI14__hip_bfloat16hLi192ELi16ELi128ELNS_18Fp8KVCacheDataTypeE1ELb1ELi512EEEvPfS3_PT_PKS4_PKT0_SA_ifPKiSC_iPKfiiiSE_SE_iiiii.private_seg_size, 8
	.set _ZN4vllm25paged_attention_v2_kernelI14__hip_bfloat16hLi192ELi16ELi128ELNS_18Fp8KVCacheDataTypeE1ELb1ELi512EEEvPfS3_PT_PKS4_PKT0_SA_ifPKiSC_iPKfiiiSE_SE_iiiii.uses_vcc, 1
	.set _ZN4vllm25paged_attention_v2_kernelI14__hip_bfloat16hLi192ELi16ELi128ELNS_18Fp8KVCacheDataTypeE1ELb1ELi512EEEvPfS3_PT_PKS4_PKT0_SA_ifPKiSC_iPKfiiiSE_SE_iiiii.uses_flat_scratch, 0
	.set _ZN4vllm25paged_attention_v2_kernelI14__hip_bfloat16hLi192ELi16ELi128ELNS_18Fp8KVCacheDataTypeE1ELb1ELi512EEEvPfS3_PT_PKS4_PKT0_SA_ifPKiSC_iPKfiiiSE_SE_iiiii.has_dyn_sized_stack, 0
	.set _ZN4vllm25paged_attention_v2_kernelI14__hip_bfloat16hLi192ELi16ELi128ELNS_18Fp8KVCacheDataTypeE1ELb1ELi512EEEvPfS3_PT_PKS4_PKT0_SA_ifPKiSC_iPKfiiiSE_SE_iiiii.has_recursion, 0
	.set _ZN4vllm25paged_attention_v2_kernelI14__hip_bfloat16hLi192ELi16ELi128ELNS_18Fp8KVCacheDataTypeE1ELb1ELi512EEEvPfS3_PT_PKS4_PKT0_SA_ifPKiSC_iPKfiiiSE_SE_iiiii.has_indirect_call, 0
	.section	.AMDGPU.csdata,"",@progbits
; Kernel info:
; codeLenInByte = 30208
; TotalNumSgprs: 91
; NumVgprs: 192
; ScratchSize: 8
; MemoryBound: 0
; FloatMode: 240
; IeeeMode: 1
; LDSByteSize: 416 bytes/workgroup (compile time only)
; SGPRBlocks: 0
; VGPRBlocks: 23
; NumSGPRsForWavesPerEU: 91
; NumVGPRsForWavesPerEU: 192
; Occupancy: 8
; WaveLimiterHint : 1
; COMPUTE_PGM_RSRC2:SCRATCH_EN: 1
; COMPUTE_PGM_RSRC2:USER_SGPR: 2
; COMPUTE_PGM_RSRC2:TRAP_HANDLER: 0
; COMPUTE_PGM_RSRC2:TGID_X_EN: 1
; COMPUTE_PGM_RSRC2:TGID_Y_EN: 1
; COMPUTE_PGM_RSRC2:TGID_Z_EN: 1
; COMPUTE_PGM_RSRC2:TIDIG_COMP_CNT: 0
	.section	.text._ZN4vllm25paged_attention_v2_kernelI14__hip_bfloat16hLi256ELi16ELi128ELNS_18Fp8KVCacheDataTypeE1ELb1ELi512EEEvPfS3_PT_PKS4_PKT0_SA_ifPKiSC_iPKfiiiSE_SE_iiiii,"axG",@progbits,_ZN4vllm25paged_attention_v2_kernelI14__hip_bfloat16hLi256ELi16ELi128ELNS_18Fp8KVCacheDataTypeE1ELb1ELi512EEEvPfS3_PT_PKS4_PKT0_SA_ifPKiSC_iPKfiiiSE_SE_iiiii,comdat
	.protected	_ZN4vllm25paged_attention_v2_kernelI14__hip_bfloat16hLi256ELi16ELi128ELNS_18Fp8KVCacheDataTypeE1ELb1ELi512EEEvPfS3_PT_PKS4_PKT0_SA_ifPKiSC_iPKfiiiSE_SE_iiiii ; -- Begin function _ZN4vllm25paged_attention_v2_kernelI14__hip_bfloat16hLi256ELi16ELi128ELNS_18Fp8KVCacheDataTypeE1ELb1ELi512EEEvPfS3_PT_PKS4_PKT0_SA_ifPKiSC_iPKfiiiSE_SE_iiiii
	.globl	_ZN4vllm25paged_attention_v2_kernelI14__hip_bfloat16hLi256ELi16ELi128ELNS_18Fp8KVCacheDataTypeE1ELb1ELi512EEEvPfS3_PT_PKS4_PKT0_SA_ifPKiSC_iPKfiiiSE_SE_iiiii
	.p2align	8
	.type	_ZN4vllm25paged_attention_v2_kernelI14__hip_bfloat16hLi256ELi16ELi128ELNS_18Fp8KVCacheDataTypeE1ELb1ELi512EEEvPfS3_PT_PKS4_PKT0_SA_ifPKiSC_iPKfiiiSE_SE_iiiii,@function
_ZN4vllm25paged_attention_v2_kernelI14__hip_bfloat16hLi256ELi16ELi128ELNS_18Fp8KVCacheDataTypeE1ELb1ELi512EEEvPfS3_PT_PKS4_PKT0_SA_ifPKiSC_iPKfiiiSE_SE_iiiii: ; @_ZN4vllm25paged_attention_v2_kernelI14__hip_bfloat16hLi256ELi16ELi128ELNS_18Fp8KVCacheDataTypeE1ELb1ELi512EEEvPfS3_PT_PKS4_PKT0_SA_ifPKiSC_iPKfiiiSE_SE_iiiii
; %bb.0:
	s_load_b64 s[2:3], s[0:1], 0x40
	s_and_b32 s49, ttmp7, 0xffff
	s_lshr_b32 s48, ttmp7, 16
	s_lshl_b32 s4, s49, 2
	s_lshl_b32 s22, s48, 9
	s_wait_kmcnt 0x0
	s_load_b32 s23, s[2:3], s4 offset:0x0
	s_wait_kmcnt 0x0
	s_cmp_ge_i32 s22, s23
	s_cbranch_scc1 .LBB339_120
; %bb.1:
	s_clause 0x1
	s_load_b32 s50, s[0:1], 0x90
	s_load_b64 s[46:47], s[0:1], 0x30
	s_wait_kmcnt 0x0
	s_abs_i32 s5, s50
	s_abs_i32 s2, s46
	s_delay_alu instid0(SALU_CYCLE_1) | instskip(SKIP_1) | instid1(SALU_CYCLE_2)
	s_cvt_f32_u32 s3, s2
	s_sub_co_i32 s4, 0, s2
	v_rcp_iflag_f32_e32 v1, s3
	s_delay_alu instid0(TRANS32_DEP_1) | instskip(SKIP_2) | instid1(SALU_CYCLE_2)
	v_readfirstlane_b32 s3, v1
	s_mul_f32 s3, s3, 0x4f7ffffe
	s_wait_alu 0xfffe
	s_cvt_u32_f32 s3, s3
	s_wait_alu 0xfffe
	s_delay_alu instid0(SALU_CYCLE_2) | instskip(NEXT) | instid1(SALU_CYCLE_1)
	s_mul_i32 s4, s4, s3
	s_mul_hi_u32 s4, s3, s4
	s_delay_alu instid0(SALU_CYCLE_1)
	s_add_co_i32 s3, s3, s4
	s_xor_b32 s4, s50, s46
	s_wait_alu 0xfffe
	s_mul_hi_u32 s3, s5, s3
	s_ashr_i32 s4, s4, 31
	s_wait_alu 0xfffe
	s_mul_i32 s6, s3, s2
	s_delay_alu instid0(SALU_CYCLE_1)
	s_sub_co_i32 s5, s5, s6
	s_add_co_i32 s6, s3, 1
	s_sub_co_i32 s7, s5, s2
	s_cmp_ge_u32 s5, s2
	s_cselect_b32 s3, s6, s3
	s_cselect_b32 s5, s7, s5
	s_wait_alu 0xfffe
	s_add_co_i32 s6, s3, 1
	s_cmp_ge_u32 s5, s2
	s_mov_b32 s5, 0
	s_cselect_b32 s2, s6, s3
	s_load_b64 s[6:7], s[0:1], 0x50
	s_xor_b32 s2, s2, s4
	s_mov_b32 s51, s5
	s_wait_alu 0xfffe
	s_sub_co_i32 s9, s2, s4
	s_abs_i32 s4, ttmp9
	s_abs_i32 s8, s9
	s_delay_alu instid0(SALU_CYCLE_1) | instskip(SKIP_2) | instid1(SALU_CYCLE_1)
	s_cvt_f32_u32 s2, s8
	s_sub_co_i32 s3, 0, s8
	s_wait_alu 0xfffe
	v_rcp_iflag_f32_e32 v1, s2
	s_delay_alu instid0(TRANS32_DEP_1) | instskip(SKIP_2) | instid1(SALU_CYCLE_2)
	v_readfirstlane_b32 s2, v1
	s_mul_f32 s2, s2, 0x4f7ffffe
	s_wait_alu 0xfffe
	s_cvt_u32_f32 s2, s2
	s_wait_alu 0xfffe
	s_delay_alu instid0(SALU_CYCLE_2)
	s_mul_i32 s3, s3, s2
	s_wait_alu 0xfffe
	s_mul_hi_u32 s3, s2, s3
	s_wait_alu 0xfffe
	s_add_co_i32 s2, s2, s3
	s_mov_b32 s3, s5
	s_wait_kmcnt 0x0
	s_cmp_eq_u64 s[6:7], 0
	s_cbranch_scc1 .LBB339_3
; %bb.2:
	s_mov_b32 s10, ttmp9
	s_ashr_i32 s11, ttmp9, 31
	s_delay_alu instid0(SALU_CYCLE_1) | instskip(NEXT) | instid1(SALU_CYCLE_1)
	s_lshl_b64 s[10:11], s[10:11], 2
	s_add_nc_u64 s[6:7], s[6:7], s[10:11]
	s_load_b32 s51, s[6:7], 0x0
.LBB339_3:
	s_load_b96 s[36:38], s[0:1], 0x58
	s_mul_u64 s[2:3], s[4:5], s[2:3]
	v_lshrrev_b32_e32 v23, 1, v0
	v_and_b32_e32 v24, 1, v0
	v_cmp_gt_u32_e64 s2, 64, v0
	v_lshlrev_b32_e32 v28, 3, v0
	s_ashr_i32 s5, ttmp9, 31
	s_ashr_i32 s6, s9, 31
	s_lshl_b32 s34, ttmp9, 8
	s_wait_alu 0xfffe
	s_and_saveexec_b32 s7, s2
	s_cbranch_execz .LBB339_5
; %bb.4:
	s_load_b64 s[10:11], s[0:1], 0x18
	s_wait_kmcnt 0x0
	s_mul_i32 s12, s36, s49
	s_ashr_i32 s35, s34, 31
	s_ashr_i32 s13, s12, 31
	v_lshlrev_b32_e32 v3, 3, v23
	s_lshl_b64 s[12:13], s[12:13], 1
	s_delay_alu instid0(VALU_DEP_1) | instskip(SKIP_2) | instid1(SALU_CYCLE_1)
	v_lshl_add_u32 v3, v24, 8, v3
	s_add_nc_u64 s[10:11], s[10:11], s[12:13]
	s_lshl_b64 s[12:13], s[34:35], 1
	s_add_nc_u64 s[10:11], s[10:11], s[12:13]
	global_load_b64 v[1:2], v28, s[10:11]
	s_wait_loadcnt 0x0
	ds_store_b64 v3, v[1:2]
.LBB339_5:
	s_or_b32 exec_lo, exec_lo, s7
	s_load_b128 s[28:31], s[0:1], 0x78
	s_mul_i32 s7, s3, s8
	s_xor_b32 s5, s5, s6
	s_sub_co_i32 s4, s4, s7
	s_add_co_i32 s6, s3, 1
	s_sub_co_i32 s7, s4, s8
	s_cmp_ge_u32 s4, s8
	s_mov_b32 s10, -1
	s_cselect_b32 s3, s6, s3
	s_cselect_b32 s4, s7, s4
	s_wait_alu 0xfffe
	s_add_co_i32 s6, s3, 1
	s_cmp_ge_u32 s4, s8
                                        ; implicit-def: $sgpr35
	s_cselect_b32 s4, s6, s3
	s_load_b32 s3, s[0:1], 0x88
	s_xor_b32 s4, s4, s5
	s_add_co_i32 s9, s23, -1
	s_sub_co_i32 s8, s4, s5
	s_wait_dscnt 0x0
	s_barrier_signal -1
	s_wait_kmcnt 0x0
	s_abs_i32 s33, s31
	s_barrier_wait -1
	s_cvt_f32_u32 s6, s33
	global_inv scope:SCOPE_SE
	v_rcp_iflag_f32_e32 v1, s6
	s_delay_alu instid0(TRANS32_DEP_1) | instskip(SKIP_1) | instid1(SALU_CYCLE_3)
	v_readfirstlane_b32 s6, v1
	s_mul_f32 s4, s6, 0x4f7ffffe
	s_cvt_u32_f32 s6, s4
	s_sub_co_i32 s4, 0, s33
	s_wait_alu 0xfffe
	s_delay_alu instid0(SALU_CYCLE_1)
	s_mul_i32 s5, s4, s6
	s_abs_i32 s4, s9
	s_mul_hi_u32 s7, s6, s5
	s_mov_b32 s5, 0
	s_wait_alu 0xfffe
	s_add_co_i32 s40, s6, s7
	s_cmp_lt_i32 s3, 0
	s_mov_b32 s41, s5
	s_cbranch_scc0 .LBB339_7
; %bb.6:
	s_mul_i32 s6, s28, s46
	s_mov_b32 s10, s5
	s_wait_alu 0xfffe
	s_add_co_i32 s6, s8, s6
	s_wait_alu 0xfffe
	s_mul_i32 s6, s6, s3
	s_wait_alu 0xfffe
	s_sub_co_i32 s35, 1, s6
.LBB339_7:
	s_mul_u64 s[6:7], s[4:5], s[40:41]
	s_ashr_i32 s5, s9, 31
	s_and_not1_b32 vcc_lo, exec_lo, s10
	s_ashr_i32 s31, s31, 31
	s_cbranch_vccnz .LBB339_9
; %bb.8:
	s_mul_i32 s6, s50, s28
	s_wait_alu 0xfffe
	s_add_co_i32 s6, s6, ttmp9
	s_wait_alu 0xfffe
	s_mul_i32 s3, s6, s3
	s_wait_alu 0xfffe
	s_add_co_i32 s35, s3, 1
.LBB339_9:
	s_clause 0x3
	s_load_b32 s3, s[0:1], 0x48
	s_load_b64 s[42:43], s[0:1], 0x38
	s_load_b32 s28, s[0:1], 0x98
	s_load_b128 s[24:27], s[0:1], 0x68
	s_mul_i32 s6, s7, s33
	s_xor_b32 s5, s5, s31
	s_wait_alu 0xfffe
	s_sub_co_i32 s4, s4, s6
	s_add_co_i32 s9, s7, 1
	v_lshrrev_b32_e32 v25, 5, v0
	v_mbcnt_lo_u32_b32 v30, -1, 0
	s_mul_i32 s38, s8, s38
	s_delay_alu instid0(VALU_DEP_2)
	v_lshl_add_u32 v26, v25, 4, s22
	s_wait_kmcnt 0x0
	s_mul_i32 s44, s3, s49
	s_sub_co_i32 s3, s4, s33
	s_ashr_i32 s45, s44, 31
	s_cmp_ge_u32 s4, s33
	s_cselect_b32 s6, s9, s7
	s_wait_alu 0xfffe
	s_cselect_b32 s3, s3, s4
	s_add_co_i32 s4, s6, 1
	s_wait_alu 0xfffe
	s_cmp_ge_u32 s3, s33
	s_cselect_b32 s3, s4, s6
	s_add_co_i32 s4, s23, 15
	s_lshl_b32 s52, s48, 5
	s_ashr_i32 s6, s4, 31
	v_or_b32_e32 v27, s52, v25
	s_wait_alu 0xfffe
	s_lshr_b32 s6, s6, 28
	v_mov_b32_e32 v32, 0xff7fffff
	s_wait_alu 0xfffe
	s_add_co_i32 s4, s4, s6
	s_add_co_i32 s6, s52, 32
	s_ashr_i32 s41, s4, 4
	s_xor_b32 s4, s3, s5
	s_wait_alu 0xfffe
	s_min_i32 s36, s6, s41
	v_lshlrev_b32_e32 v29, 2, v27
	v_cmp_gt_i32_e64 s3, s36, v27
	s_sub_co_i32 s46, s4, s5
	s_and_saveexec_b32 s53, s3
	s_cbranch_execz .LBB339_21
; %bb.10:
	s_sub_co_i32 s54, s46, s29
	s_ashr_i32 s39, s38, 31
	s_cmp_neq_f32 s51, 0
	s_load_b64 s[6:7], s[0:1], 0x20
	v_bfe_u32 v31, v0, 1, 4
	v_dual_mov_b32 v37, 0xff7fffff :: v_dual_lshlrev_b32 v2, 2, v24
	s_cselect_b32 vcc_lo, -1, 0
	s_abs_i32 s55, s30
	s_delay_alu instid0(VALU_DEP_2) | instskip(SKIP_3) | instid1(SALU_CYCLE_1)
	v_lshlrev_b32_e32 v3, 4, v31
	s_cvt_f32_u32 s4, s55
	v_dual_mov_b32 v39, v27 :: v_dual_lshlrev_b32 v4, 2, v31
	s_lshl_b64 s[8:9], s[44:45], 2
	v_rcp_iflag_f32_e32 v1, s4
	v_subrev_nc_u32_e32 v5, s23, v31
	s_add_nc_u64 s[8:9], s[42:43], s[8:9]
	s_sub_co_i32 s10, 0, s55
	v_cmp_eq_u32_e64 s4, 0, v24
	v_dual_mov_b32 v32, 0xff7fffff :: v_dual_lshlrev_b32 v33, 8, v24
	v_lshl_add_u32 v34, v25, 4, s22
	v_add_nc_u32_e32 v35, 1, v5
	s_wait_kmcnt 0x0
	s_add_nc_u64 s[6:7], s[6:7], s[38:39]
	v_readfirstlane_b32 s5, v1
	s_wait_alu 0xfffe
	v_add_co_u32 v3, s6, s6, v3
	v_lshl_or_b32 v1, v25, 6, v4
	s_wait_alu 0xf1ff
	v_add_co_ci_u32_e64 v4, null, s7, 0, s6
	s_mul_f32 s5, s5, 0x4f7ffffe
	v_xor_b32_e32 v38, 1, v30
	v_add_nc_u32_e32 v36, 0x220, v1
	s_mov_b32 s56, 0
	s_wait_alu 0xfffe
	s_cvt_u32_f32 s6, s5
	v_add_co_u32 v17, s5, v3, v2
	s_wait_alu 0xf1ff
	v_add_co_ci_u32_e64 v18, null, 0, v4, s5
	v_add_co_u32 v19, s5, s8, v29
	s_wait_alu 0xfffe
	s_mul_i32 s10, s10, s6
	v_add_co_ci_u32_e64 v20, null, s9, 0, s5
	s_mul_hi_u32 s5, s6, s10
	s_mov_b32 s39, s37
	s_wait_alu 0xfffe
	s_add_co_i32 s57, s6, s5
	s_branch .LBB339_13
.LBB339_11:                             ;   in Loop: Header=BB339_13 Depth=1
	s_wait_alu 0xfffe
	s_or_b32 exec_lo, exec_lo, s6
.LBB339_12:                             ;   in Loop: Header=BB339_13 Depth=1
	s_wait_alu 0xfffe
	s_or_b32 exec_lo, exec_lo, s58
	v_add_nc_u32_e32 v39, 4, v39
	v_add_co_u32 v19, s6, v19, 16
	s_wait_alu 0xf1ff
	v_add_co_ci_u32_e64 v20, null, 0, v20, s6
	s_delay_alu instid0(VALU_DEP_3)
	v_cmp_le_i32_e64 s5, s36, v39
	v_add_nc_u32_e32 v34, 64, v34
	v_add_nc_u32_e32 v36, 0x100, v36
	s_or_b32 s56, s5, s56
	s_wait_alu 0xfffe
	s_and_not1_b32 exec_lo, exec_lo, s56
	s_cbranch_execz .LBB339_20
.LBB339_13:                             ; =>This Inner Loop Header: Depth=1
	v_sub_nc_u32_e32 v1, 0, v34
	s_delay_alu instid0(VALU_DEP_1) | instskip(SKIP_1) | instid1(VALU_DEP_1)
	v_max_i32_e32 v1, v34, v1
	s_wait_dscnt 0x0
	v_mul_hi_u32 v2, v1, s40
	s_delay_alu instid0(VALU_DEP_1) | instskip(NEXT) | instid1(VALU_DEP_1)
	v_mul_lo_u32 v3, v2, s33
	v_sub_nc_u32_e32 v1, v1, v3
	v_add_nc_u32_e32 v3, 1, v2
	s_delay_alu instid0(VALU_DEP_2) | instskip(SKIP_2) | instid1(VALU_DEP_1)
	v_subrev_nc_u32_e32 v4, s33, v1
	v_cmp_le_u32_e64 s5, s33, v1
	s_wait_alu 0xf1ff
	v_cndmask_b32_e64 v2, v2, v3, s5
	s_delay_alu instid0(VALU_DEP_3) | instskip(SKIP_1) | instid1(VALU_DEP_3)
	v_cndmask_b32_e64 v1, v1, v4, s5
	v_ashrrev_i32_e32 v3, 31, v34
	v_add_nc_u32_e32 v4, 1, v2
	s_delay_alu instid0(VALU_DEP_3) | instskip(NEXT) | instid1(VALU_DEP_3)
	v_cmp_le_u32_e64 s5, s33, v1
	v_xor_b32_e32 v3, s31, v3
	s_wait_alu 0xf1ff
	s_delay_alu instid0(VALU_DEP_2) | instskip(NEXT) | instid1(VALU_DEP_1)
	v_cndmask_b32_e64 v1, v2, v4, s5
	v_xor_b32_e32 v1, v1, v3
	s_delay_alu instid0(VALU_DEP_1) | instskip(NEXT) | instid1(VALU_DEP_1)
	v_sub_nc_u32_e32 v1, v1, v3
	v_add_nc_u32_e32 v2, s35, v1
	v_cmp_ge_i32_e64 s6, s54, v1
	s_delay_alu instid0(VALU_DEP_2) | instskip(NEXT) | instid1(VALU_DEP_1)
	v_sub_nc_u32_e32 v3, 0, v2
	v_max_i32_e32 v3, v2, v3
	v_ashrrev_i32_e32 v2, 31, v2
	s_delay_alu instid0(VALU_DEP_2) | instskip(NEXT) | instid1(VALU_DEP_1)
	v_mul_hi_u32 v4, v3, s57
	v_mul_lo_u32 v4, v4, s55
	s_delay_alu instid0(VALU_DEP_1) | instskip(NEXT) | instid1(VALU_DEP_1)
	v_sub_nc_u32_e32 v3, v3, v4
	v_subrev_nc_u32_e32 v4, s55, v3
	v_cmp_le_u32_e64 s5, s55, v3
	s_wait_alu 0xf1ff
	s_delay_alu instid0(VALU_DEP_1) | instskip(NEXT) | instid1(VALU_DEP_1)
	v_cndmask_b32_e64 v3, v3, v4, s5
	v_subrev_nc_u32_e32 v4, s55, v3
	v_cmp_le_u32_e64 s5, s55, v3
	s_wait_alu 0xf1ff
	s_delay_alu instid0(VALU_DEP_1) | instskip(NEXT) | instid1(VALU_DEP_1)
	v_cndmask_b32_e64 v3, v3, v4, s5
	v_xor_b32_e32 v3, v3, v2
	s_delay_alu instid0(VALU_DEP_1) | instskip(NEXT) | instid1(VALU_DEP_1)
	v_sub_nc_u32_e32 v2, v3, v2
	v_cmp_ne_u32_e64 s5, 0, v2
	s_and_b32 s5, s5, s6
	s_wait_alu 0xfffe
	s_and_saveexec_b32 s6, s5
	s_wait_alu 0xfffe
	s_xor_b32 s5, exec_lo, s6
	s_cbranch_execz .LBB339_17
; %bb.14:                               ;   in Loop: Header=BB339_13 Depth=1
	s_and_saveexec_b32 s6, s4
; %bb.15:                               ;   in Loop: Header=BB339_13 Depth=1
	ds_store_b32 v36, v37
; %bb.16:                               ;   in Loop: Header=BB339_13 Depth=1
	s_wait_alu 0xfffe
	s_or_b32 exec_lo, exec_lo, s6
.LBB339_17:                             ;   in Loop: Header=BB339_13 Depth=1
	s_wait_alu 0xfffe
	s_and_not1_saveexec_b32 s58, s5
	s_cbranch_execz .LBB339_12
; %bb.18:                               ;   in Loop: Header=BB339_13 Depth=1
	global_load_b32 v1, v[19:20], off
	s_wait_loadcnt 0x0
	v_mad_co_i64_i32 v[21:22], null, v1, s39, v[17:18]
	s_clause 0x2
	global_load_b32 v84, v[21:22], off
	global_load_b32 v86, v[21:22], off offset:8
	global_load_b32 v73, v[21:22], off offset:256
	ds_load_b128 v[88:91], v33
	ds_load_b128 v[92:95], v33 offset:16
	ds_load_b128 v[96:99], v33 offset:32
	;; [unrolled: 1-line block ×5, first 2 shown]
	s_load_b32 s59, s[24:25], 0x0
	ds_load_b128 v[5:8], v33 offset:96
	ds_load_b128 v[1:4], v33 offset:112
	s_wait_dscnt 0x7
	v_and_b32_e32 v81, 0xffff0000, v91
	s_wait_dscnt 0x6
	v_and_b32_e32 v76, 0xffff0000, v92
	s_wait_dscnt 0x5
	v_lshlrev_b32_e32 v59, 16, v98
	v_and_b32_e32 v60, 0xffff0000, v98
	s_wait_dscnt 0x3
	v_lshlrev_b32_e32 v46, 16, v15
	v_and_b32_e32 v98, 0xffff0000, v15
	s_wait_dscnt 0x1
	v_and_b32_e32 v40, 0xffff0000, v5
	v_lshlrev_b32_e32 v15, 16, v5
	v_lshlrev_b32_e32 v45, 16, v16
	;; [unrolled: 1-line block ×3, first 2 shown]
	v_and_b32_e32 v75, 0xffff0000, v16
	v_and_b32_e32 v47, 0xffff0000, v11
	;; [unrolled: 1-line block ×3, first 2 shown]
	v_lshlrev_b32_e32 v12, 16, v7
	v_and_b32_e32 v71, 0xffff0000, v93
	v_lshlrev_b32_e32 v43, 16, v10
	v_and_b32_e32 v70, 0xffff0000, v9
	v_and_b32_e32 v49, 0xffff0000, v10
	;; [unrolled: 1-line block ×3, first 2 shown]
	v_lshlrev_b32_e32 v87, 16, v90
	v_lshlrev_b32_e32 v79, 16, v13
	v_and_b32_e32 v83, 0xffff0000, v90
	v_and_b32_e32 v62, 0xffff0000, v97
	;; [unrolled: 1-line block ×9, first 2 shown]
	s_wait_loadcnt 0x2
	v_and_b32_e32 v5, 0xff, v84
	s_delay_alu instid0(VALU_DEP_1)
	v_cvt_f32_fp8_e32 v5, v5
	v_lshlrev_b32_e32 v72, 16, v92
	s_wait_loadcnt 0x1
	v_bfe_u32 v92, v86, 16, 8
	s_wait_kmcnt 0x0
	v_dual_mul_f32 v5, s59, v5 :: v_dual_lshlrev_b32 v42, 16, v11
	v_and_b32_e32 v11, 0xffff0000, v7
	v_bfe_u32 v7, v84, 16, 8
	v_cvt_f32_fp8_e32 v92, v92
	v_lshlrev_b32_e32 v67, 16, v94
	v_or_b32_e32 v104, 0x400000, v5
	s_wait_loadcnt 0x0
	v_and_b32_e32 v94, 0xff, v73
	v_cvt_f32_fp8_e32 v7, v7
	v_lshlrev_b32_e32 v74, 16, v89
	v_mul_f32_e32 v92, s59, v92
	v_and_b32_e32 v78, 0xffff0000, v89
	v_lshlrev_b32_e32 v53, 16, v101
	v_dual_mul_f32 v7, s59, v7 :: v_dual_lshlrev_b32 v44, 16, v9
	v_lshlrev_b32_e32 v9, 16, v8
	v_lshrrev_b32_e32 v8, 24, v84
	v_bfe_u32 v89, v86, 8, 8
	v_cvt_f32_fp8_e32 v94, v94
	v_lshlrev_b32_e32 v63, 16, v96
	v_cmp_u_f32_e64 s6, v7, v7
	v_cvt_f32_fp8_e32 v8, v8
	v_lshlrev_b32_e32 v77, 16, v91
	v_and_b32_e32 v91, 0xffff0000, v13
	v_and_b32_e32 v13, 0xffff0000, v6
	v_cvt_f32_fp8_e32 v89, v89
	v_mul_f32_e32 v8, s59, v8
	v_lshlrev_b32_e32 v48, 16, v14
	v_lshlrev_b32_e32 v14, 16, v6
	v_bfe_u32 v6, v84, 8, 8
	v_and_b32_e32 v84, 0xff, v86
	v_dual_mul_f32 v89, s59, v89 :: v_dual_lshlrev_b32 v58, 16, v99
	v_lshrrev_b32_e32 v86, 24, v86
	s_delay_alu instid0(VALU_DEP_4) | instskip(NEXT) | instid1(VALU_DEP_4)
	v_cvt_f32_fp8_e32 v6, v6
	v_cvt_f32_fp8_e32 v84, v84
	v_lshlrev_b32_e32 v85, 16, v88
	v_bfe_u32 v106, v89, 16, 1
	v_cvt_f32_fp8_e32 v86, v86
	v_mul_f32_e32 v6, s59, v6
	v_mul_f32_e32 v84, s59, v84
	v_lshlrev_b32_e32 v50, 16, v103
	s_delay_alu instid0(VALU_DEP_4) | instskip(SKIP_1) | instid1(VALU_DEP_4)
	v_dual_mul_f32 v86, s59, v86 :: v_dual_lshlrev_b32 v65, 16, v95
	v_mul_f32_e32 v94, s59, v94
	v_bfe_u32 v101, v84, 16, 1
	v_or_b32_e32 v103, 0x400000, v84
	v_cmp_u_f32_e64 s5, v84, v84
	v_add3_u32 v107, v106, v89, 0x7fff
	v_cmp_u_f32_e64 s8, v89, v89
	v_add3_u32 v101, v101, v84, 0x7fff
	v_cmp_u_f32_e64 s9, v92, v92
	v_and_b32_e32 v56, 0xffff0000, v100
	v_or_b32_e32 v105, 0x400000, v8
	v_cmp_u_f32_e64 s7, v8, v8
	s_wait_alu 0xf1ff
	v_cndmask_b32_e64 v84, v101, v103, s5
	v_cmp_u_f32_e64 s5, v5, v5
	v_bfe_u32 v101, v6, 16, 1
	v_bfe_u32 v103, v7, 16, 1
	v_cmp_u_f32_e64 s10, v86, v86
	v_and_b32_e32 v84, 0xffff0000, v84
	v_lshlrev_b32_e32 v68, 16, v93
	v_and_b32_e32 v80, 0xffff0000, v88
	v_lshlrev_b32_e32 v51, 16, v102
	v_bfe_u32 v102, v5, 16, 1
	v_add3_u32 v101, v101, v6, 0x7fff
	v_add3_u32 v103, v103, v7, 0x7fff
	v_or_b32_e32 v111, 0x400000, v94
	v_cmp_u_f32_e64 s11, v94, v94
	v_add3_u32 v102, v102, v5, 0x7fff
	global_load_b32 v93, v[21:22], off offset:264
	s_wait_alu 0xf1ff
	v_cndmask_b32_e64 v5, v102, v104, s5
	v_or_b32_e32 v102, 0x400000, v6
	v_cmp_u_f32_e64 s5, v6, v6
	v_or_b32_e32 v6, 0x400000, v92
	s_delay_alu instid0(VALU_DEP_4) | instskip(SKIP_3) | instid1(VALU_DEP_4)
	v_dual_mul_f32 v5, v87, v84 :: v_dual_and_b32 v104, 0xffff0000, v5
	v_or_b32_e32 v84, 0x400000, v7
	v_bfe_u32 v87, v8, 16, 1
	v_bfe_u32 v7, v86, 16, 1
	v_fmac_f32_e32 v5, v85, v104
	v_or_b32_e32 v104, 0x400000, v89
	v_bfe_u32 v85, v92, 16, 1
	v_bfe_u32 v89, v94, 16, 1
	v_add3_u32 v87, v87, v8, 0x7fff
	v_or_b32_e32 v8, 0x400000, v86
	v_add3_u32 v7, v7, v86, 0x7fff
	v_add3_u32 v109, v85, v92, 0x7fff
	v_cndmask_b32_e64 v92, v107, v104, s8
	v_add3_u32 v112, v89, v94, 0x7fff
	s_wait_alu 0xf1ff
	v_cndmask_b32_e64 v89, v101, v102, s5
	v_cndmask_b32_e64 v8, v7, v8, s10
	;; [unrolled: 1-line block ×3, first 2 shown]
	v_and_b32_e32 v6, 0xffff0000, v92
	v_lshlrev_b32_e32 v55, 16, v100
	v_bfe_u32 v100, v73, 8, 8
	v_and_b32_e32 v8, 0xffff0000, v8
	v_and_b32_e32 v7, 0xffff0000, v94
	v_mul_f32_e32 v6, v83, v6
	v_cndmask_b32_e64 v84, v103, v84, s6
	v_cvt_f32_fp8_e32 v100, v100
	v_lshlrev_b32_e32 v61, 16, v97
	v_mul_f32_e32 v7, v77, v7
	v_dual_mul_f32 v8, v81, v8 :: v_dual_and_b32 v77, 0xffff0000, v89
	s_delay_alu instid0(VALU_DEP_4) | instskip(SKIP_1) | instid1(VALU_DEP_3)
	v_mul_f32_e32 v100, s59, v100
	v_bfe_u32 v81, v73, 16, 8
	v_dual_fmac_f32 v6, v80, v77 :: v_dual_and_b32 v83, 0xffff0000, v84
	v_cndmask_b32_e64 v77, v112, v111, s11
	s_delay_alu instid0(VALU_DEP_4)
	v_bfe_u32 v85, v100, 16, 1
	v_or_b32_e32 v113, 0x400000, v100
	v_cmp_u_f32_e64 s12, v100, v100
	v_cvt_f32_fp8_e32 v80, v81
	v_and_b32_e32 v77, 0xffff0000, v77
	v_add3_u32 v114, v85, v100, 0x7fff
	v_fmac_f32_e32 v7, v74, v83
	v_cndmask_b32_e64 v87, v87, v105, s7
	s_delay_alu instid0(VALU_DEP_4)
	v_dual_mul_f32 v80, s59, v80 :: v_dual_fmac_f32 v5, v72, v77
	s_wait_alu 0xf1ff
	v_cndmask_b32_e64 v81, v114, v113, s12
	v_lshrrev_b32_e32 v73, 24, v73
	v_and_b32_e32 v84, 0xffff0000, v87
	v_bfe_u32 v77, v80, 16, 1
	v_cmp_u_f32_e64 s5, v80, v80
	v_and_b32_e32 v81, 0xffff0000, v81
	v_cvt_f32_fp8_e32 v73, v73
	v_fmac_f32_e32 v8, v78, v84
	v_add3_u32 v77, v77, v80, 0x7fff
	s_delay_alu instid0(VALU_DEP_4) | instskip(SKIP_3) | instid1(VALU_DEP_2)
	v_fmac_f32_e32 v6, v76, v81
	v_or_b32_e32 v81, 0x400000, v80
	v_mul_f32_e32 v73, s59, v73
	s_wait_alu 0xf1ff
	v_cndmask_b32_e64 v77, v77, v81, s5
	s_delay_alu instid0(VALU_DEP_2) | instskip(SKIP_2) | instid1(VALU_DEP_4)
	v_bfe_u32 v76, v73, 16, 1
	v_or_b32_e32 v80, 0x400000, v73
	v_cmp_u_f32_e64 s6, v73, v73
	v_and_b32_e32 v77, 0xffff0000, v77
	s_delay_alu instid0(VALU_DEP_4) | instskip(NEXT) | instid1(VALU_DEP_2)
	v_add3_u32 v76, v76, v73, 0x7fff
	v_dual_fmac_f32 v7, v68, v77 :: v_dual_and_b32 v64, 0xffff0000, v96
	s_clause 0xd
	global_load_b32 v95, v[21:22], off offset:512
	global_load_b32 v96, v[21:22], off offset:520
	;; [unrolled: 1-line block ×14, first 2 shown]
	s_wait_alu 0xf1ff
	v_cndmask_b32_e64 v76, v76, v80, s6
	s_clause 0x5
	global_load_b32 v89, v[21:22], off offset:2304
	global_load_b32 v92, v[21:22], off offset:2312
	;; [unrolled: 1-line block ×6, first 2 shown]
	v_and_b32_e32 v76, 0xffff0000, v76
	s_wait_loadcnt 0x14
	v_and_b32_e32 v78, 0xff, v93
	v_bfe_u32 v83, v93, 8, 8
	v_bfe_u32 v72, v93, 16, 8
	v_lshrrev_b32_e32 v93, 24, v93
	s_delay_alu instid0(VALU_DEP_4) | instskip(NEXT) | instid1(VALU_DEP_4)
	v_cvt_f32_fp8_e32 v78, v78
	v_cvt_f32_fp8_e32 v83, v83
	s_delay_alu instid0(VALU_DEP_4) | instskip(NEXT) | instid1(VALU_DEP_2)
	v_cvt_f32_fp8_e32 v72, v72
	v_dual_mul_f32 v78, s59, v78 :: v_dual_mul_f32 v83, s59, v83
	s_delay_alu instid0(VALU_DEP_2) | instskip(NEXT) | instid1(VALU_DEP_2)
	v_mul_f32_e32 v72, s59, v72
	v_bfe_u32 v68, v78, 16, 1
	v_cmp_u_f32_e64 s5, v78, v78
	s_delay_alu instid0(VALU_DEP_4) | instskip(NEXT) | instid1(VALU_DEP_3)
	v_cmp_u_f32_e64 s6, v83, v83
	v_add3_u32 v68, v68, v78, 0x7fff
	s_wait_loadcnt 0x13
	v_bfe_u32 v80, v95, 16, 8
	v_and_b32_e32 v73, 0xff, v95
	v_bfe_u32 v81, v95, 8, 8
	v_lshrrev_b32_e32 v95, 24, v95
	s_delay_alu instid0(VALU_DEP_4) | instskip(NEXT) | instid1(VALU_DEP_4)
	v_cvt_f32_fp8_e32 v80, v80
	v_cvt_f32_fp8_e32 v73, v73
	s_delay_alu instid0(VALU_DEP_4) | instskip(NEXT) | instid1(VALU_DEP_4)
	v_cvt_f32_fp8_e32 v81, v81
	v_cvt_f32_fp8_e32 v95, v95
	s_delay_alu instid0(VALU_DEP_4)
	v_mul_f32_e32 v80, s59, v80
	v_fmac_f32_e32 v8, v71, v76
	v_bfe_u32 v71, v83, 16, 1
	v_or_b32_e32 v76, 0x400000, v78
	v_or_b32_e32 v78, 0x400000, v83
	v_mul_f32_e32 v73, s59, v73
	v_mul_f32_e32 v81, s59, v81
	v_add3_u32 v71, v71, v83, 0x7fff
	s_wait_alu 0xf1ff
	v_cndmask_b32_e64 v68, v68, v76, s5
	v_cmp_u_f32_e64 s5, v72, v72
	s_wait_loadcnt 0x12
	v_bfe_u32 v83, v96, 8, 8
	v_mul_f32_e32 v95, s59, v95
	v_cndmask_b32_e64 v71, v71, v78, s6
	v_cvt_f32_fp8_e32 v78, v93
	v_and_b32_e32 v68, 0xffff0000, v68
	v_cvt_f32_fp8_e32 v83, v83
	v_bfe_u32 v76, v96, 16, 8
	s_delay_alu instid0(VALU_DEP_4) | instskip(NEXT) | instid1(VALU_DEP_4)
	v_dual_mul_f32 v78, s59, v78 :: v_dual_and_b32 v71, 0xffff0000, v71
	v_fmac_f32_e32 v5, v67, v68
	v_bfe_u32 v67, v72, 16, 1
	v_mul_f32_e32 v83, s59, v83
	s_delay_alu instid0(VALU_DEP_4)
	v_fmac_f32_e32 v6, v69, v71
	v_bfe_u32 v69, v78, 16, 1
	v_or_b32_e32 v71, 0x400000, v72
	v_add3_u32 v67, v67, v72, 0x7fff
	v_or_b32_e32 v72, 0x400000, v78
	v_cmp_u_f32_e64 s6, v78, v78
	v_add3_u32 v69, v69, v78, 0x7fff
	v_and_b32_e32 v77, 0xff, v96
	s_wait_alu 0xf1ff
	v_cndmask_b32_e64 v67, v67, v71, s5
	v_cmp_u_f32_e64 s5, v73, v73
	v_cvt_f32_fp8_e32 v76, v76
	v_cndmask_b32_e64 v69, v69, v72, s6
	v_cmp_u_f32_e64 s6, v81, v81
	v_and_b32_e32 v67, 0xffff0000, v67
	v_cvt_f32_fp8_e32 v77, v77
	v_lshrrev_b32_e32 v96, 24, v96
	v_and_b32_e32 v69, 0xffff0000, v69
	s_wait_loadcnt 0x11
	v_and_b32_e32 v93, 0xff, v97
	v_fmac_f32_e32 v7, v65, v67
	v_bfe_u32 v67, v73, 16, 1
	v_mul_f32_e32 v77, s59, v77
	v_fmac_f32_e32 v8, v66, v69
	v_bfe_u32 v66, v81, 16, 1
	v_or_b32_e32 v69, 0x400000, v73
	v_add3_u32 v67, v67, v73, 0x7fff
	v_or_b32_e32 v73, 0x400000, v81
	v_cmp_u_f32_e64 s7, v77, v77
	v_add3_u32 v66, v66, v81, 0x7fff
	v_cvt_f32_fp8_e32 v96, v96
	s_wait_alu 0xf1ff
	v_cndmask_b32_e64 v67, v67, v69, s5
	v_cmp_u_f32_e64 s5, v80, v80
	v_bfe_u32 v68, v97, 8, 8
	v_cndmask_b32_e64 v66, v66, v73, s6
	v_cmp_u_f32_e64 s6, v95, v95
	v_and_b32_e32 v67, 0xffff0000, v67
	v_bfe_u32 v78, v97, 16, 8
	v_lshrrev_b32_e32 v97, 24, v97
	v_and_b32_e32 v66, 0xffff0000, v66
	v_cvt_f32_fp8_e32 v68, v68
	v_fmac_f32_e32 v5, v63, v67
	v_bfe_u32 v63, v80, 16, 1
	v_or_b32_e32 v67, 0x400000, v80
	v_fmac_f32_e32 v6, v64, v66
	v_bfe_u32 v64, v95, 16, 1
	v_bfe_u32 v66, v77, 16, 1
	v_add3_u32 v63, v63, v80, 0x7fff
	v_or_b32_e32 v80, 0x400000, v95
	s_wait_loadcnt 0x10
	v_and_b32_e32 v71, 0xff, v99
	v_add3_u32 v64, v64, v95, 0x7fff
	v_or_b32_e32 v95, 0x400000, v77
	v_add3_u32 v66, v66, v77, 0x7fff
	s_wait_alu 0xf1ff
	v_cndmask_b32_e64 v63, v63, v67, s5
	v_cmp_u_f32_e64 s5, v83, v83
	v_cndmask_b32_e64 v64, v64, v80, s6
	v_bfe_u32 v72, v99, 8, 8
	v_cndmask_b32_e64 v66, v66, v95, s7
	v_and_b32_e32 v63, 0xffff0000, v63
	v_cvt_f32_fp8_e32 v78, v78
	v_cvt_f32_fp8_e32 v97, v97
	v_mul_f32_e32 v68, s59, v68
	s_delay_alu instid0(VALU_DEP_4) | instskip(SKIP_3) | instid1(VALU_DEP_4)
	v_dual_fmac_f32 v7, v61, v63 :: v_dual_and_b32 v66, 0xffff0000, v66
	v_mul_f32_e32 v63, s59, v76
	v_bfe_u32 v76, v83, 16, 1
	v_bfe_u32 v65, v99, 16, 8
	v_dual_fmac_f32 v5, v59, v66 :: v_dual_and_b32 v64, 0xffff0000, v64
	s_delay_alu instid0(VALU_DEP_4) | instskip(NEXT) | instid1(VALU_DEP_4)
	v_bfe_u32 v59, v63, 16, 1
	v_add3_u32 v66, v76, v83, 0x7fff
	v_cvt_f32_fp8_e32 v71, v71
	v_cvt_f32_fp8_e32 v72, v72
	v_fmac_f32_e32 v8, v62, v64
	v_or_b32_e32 v64, 0x400000, v83
	v_or_b32_e32 v83, 0x400000, v63
	v_add3_u32 v59, v59, v63, 0x7fff
	v_dual_mul_f32 v78, s59, v78 :: v_dual_mul_f32 v97, s59, v97
	s_wait_alu 0xf1ff
	v_cndmask_b32_e64 v64, v66, v64, s5
	v_cmp_u_f32_e64 s5, v63, v63
	v_cvt_f32_fp8_e32 v65, v65
	v_dual_mul_f32 v71, s59, v71 :: v_dual_mul_f32 v72, s59, v72
	s_delay_alu instid0(VALU_DEP_4)
	v_and_b32_e32 v64, 0xffff0000, v64
	s_wait_alu 0xf1ff
	v_cndmask_b32_e64 v59, v59, v83, s5
	v_cvt_f32_fp8_e32 v83, v93
	v_mul_f32_e32 v93, s59, v96
	v_dual_mul_f32 v65, s59, v65 :: v_dual_fmac_f32 v6, v60, v64
	s_delay_alu instid0(VALU_DEP_4) | instskip(NEXT) | instid1(VALU_DEP_4)
	v_and_b32_e32 v59, 0xffff0000, v59
	v_mul_f32_e32 v83, s59, v83
	s_delay_alu instid0(VALU_DEP_4)
	v_bfe_u32 v60, v93, 16, 1
	v_cmp_u_f32_e64 s5, v93, v93
	s_wait_loadcnt 0xb
	v_lshrrev_b32_e32 v61, 24, v106
	v_fmac_f32_e32 v7, v58, v59
	v_bfe_u32 v58, v83, 16, 1
	v_or_b32_e32 v59, 0x400000, v93
	v_add3_u32 v60, v60, v93, 0x7fff
	v_or_b32_e32 v93, 0x400000, v83
	v_cmp_u_f32_e64 s6, v83, v83
	v_add3_u32 v58, v58, v83, 0x7fff
	s_wait_loadcnt 0x7
	v_bfe_u32 v96, v105, 8, 8
	s_wait_alu 0xf1ff
	v_cndmask_b32_e64 v59, v60, v59, s5
	v_cmp_u_f32_e64 s5, v68, v68
	v_cvt_f32_fp8_e32 v61, v61
	v_cndmask_b32_e64 v58, v58, v93, s6
	v_bfe_u32 v93, v68, 16, 1
	v_and_b32_e32 v59, 0xffff0000, v59
	v_cmp_u_f32_e64 s6, v78, v78
	s_wait_loadcnt 0x6
	v_bfe_u32 v60, v103, 8, 8
	v_and_b32_e32 v58, 0xffff0000, v58
	v_add3_u32 v93, v93, v68, 0x7fff
	v_fmac_f32_e32 v8, v57, v59
	v_or_b32_e32 v57, 0x400000, v68
	v_bfe_u32 v59, v78, 16, 1
	v_fmac_f32_e32 v5, v55, v58
	v_bfe_u32 v58, v97, 16, 1
	v_or_b32_e32 v55, 0x400000, v78
	v_or_b32_e32 v68, 0x400000, v97
	v_add3_u32 v59, v59, v78, 0x7fff
	v_bfe_u32 v78, v71, 16, 1
	s_wait_alu 0xf1ff
	v_cndmask_b32_e64 v57, v93, v57, s5
	v_add3_u32 v58, v58, v97, 0x7fff
	v_cmp_u_f32_e64 s5, v97, v97
	v_bfe_u32 v97, v72, 16, 1
	v_or_b32_e32 v93, 0x400000, v71
	v_cndmask_b32_e64 v55, v59, v55, s6
	v_and_b32_e32 v57, 0xffff0000, v57
	v_or_b32_e32 v59, 0x400000, v72
	s_wait_alu 0xf1ff
	v_cndmask_b32_e64 v58, v58, v68, s5
	v_bfe_u32 v68, v65, 16, 1
	v_add3_u32 v78, v78, v71, 0x7fff
	v_cmp_u_f32_e64 s5, v71, v71
	v_add3_u32 v97, v97, v72, 0x7fff
	v_cmp_u_f32_e64 s6, v72, v72
	v_fmac_f32_e32 v6, v56, v57
	v_or_b32_e32 v56, 0x400000, v65
	s_wait_alu 0xf1ff
	v_cndmask_b32_e64 v78, v78, v93, s5
	v_add3_u32 v68, v68, v65, 0x7fff
	v_cmp_u_f32_e64 s5, v65, v65
	v_cndmask_b32_e64 v59, v97, v59, s6
	v_cvt_f32_fp8_e32 v96, v96
	v_mul_f32_e32 v61, s59, v61
	v_and_b32_e32 v55, 0xffff0000, v55
	s_wait_alu 0xf1ff
	v_cndmask_b32_e64 v56, v68, v56, s5
	v_and_b32_e32 v59, 0xffff0000, v59
	v_lshrrev_b32_e32 v99, 24, v99
	v_cvt_f32_fp8_e32 v60, v60
	v_dual_mul_f32 v96, s59, v96 :: v_dual_fmac_f32 v7, v53, v55
	v_and_b32_e32 v56, 0xffff0000, v56
	v_fmac_f32_e32 v6, v52, v59
	v_bfe_u32 v59, v61, 16, 1
	v_cvt_f32_fp8_e32 v99, v99
	v_mul_f32_e32 v60, s59, v60
	v_fmac_f32_e32 v7, v50, v56
	v_or_b32_e32 v50, 0x400000, v61
	v_add3_u32 v59, v59, v61, 0x7fff
	v_cmp_u_f32_e64 s12, v61, v61
	v_bfe_u32 v61, v96, 16, 1
	v_mul_f32_e32 v99, s59, v99
	v_lshrrev_b32_e32 v67, 24, v85
	v_bfe_u32 v80, v108, 16, 8
	v_or_b32_e32 v125, 0x400000, v60
	v_add3_u32 v121, v61, v96, 0x7fff
	v_bfe_u32 v61, v60, 16, 1
	v_cmp_u_f32_e64 s20, v60, v60
	v_bfe_u32 v63, v107, 16, 8
	v_cvt_f32_fp8_e32 v67, v67
	v_cvt_f32_fp8_e32 v80, v80
	v_add3_u32 v126, v61, v60, 0x7fff
	v_bfe_u32 v60, v99, 16, 1
	v_or_b32_e32 v61, 0x400000, v99
	v_cmp_u_f32_e64 s21, v99, v99
	v_and_b32_e32 v83, 0xff, v103
	v_cvt_f32_fp8_e32 v63, v63
	v_add3_u32 v60, v60, v99, 0x7fff
	v_dual_mul_f32 v67, s59, v67 :: v_dual_mul_f32 v80, s59, v80
	s_delay_alu instid0(VALU_DEP_4) | instskip(NEXT) | instid1(VALU_DEP_4)
	v_cvt_f32_fp8_e32 v83, v83
	v_mul_f32_e32 v63, s59, v63
	s_wait_alu 0xf1ff
	v_cndmask_b32_e64 v127, v60, v61, s21
	v_and_b32_e32 v60, 0xff, v88
	v_bfe_u32 v65, v67, 16, 1
	v_bfe_u32 v68, v80, 16, 1
	;; [unrolled: 1-line block ×3, first 2 shown]
	v_mul_f32_e32 v83, s59, v83
	v_cvt_f32_fp8_e32 v60, v60
	v_or_b32_e32 v112, 0x400000, v67
	v_add3_u32 v65, v65, v67, 0x7fff
	v_cmp_u_f32_e64 s9, v67, v67
	v_add3_u32 v67, v68, v80, 0x7fff
	v_bfe_u32 v68, v63, 16, 1
	v_mul_f32_e32 v60, s59, v60
	v_cvt_f32_fp8_e32 v81, v81
	v_or_b32_e32 v116, 0x400000, v63
	v_cmp_u_f32_e64 s16, v63, v63
	v_add3_u32 v120, v68, v63, 0x7fff
	v_bfe_u32 v63, v83, 16, 1
	v_bfe_u32 v61, v60, 16, 1
	v_mul_f32_e32 v81, s59, v81
	v_cmp_u_f32_e64 s21, v60, v60
	v_and_b32_e32 v57, 0xffff0000, v58
	v_add3_u32 v124, v63, v83, 0x7fff
	v_add3_u32 v61, v61, v60, 0x7fff
	v_or_b32_e32 v63, 0x400000, v60
	v_bfe_u32 v60, v88, 16, 8
	v_bfe_u32 v58, v81, 16, 1
	v_or_b32_e32 v53, 0x400000, v81
	v_cmp_u_f32_e64 s5, v81, v81
	v_lshrrev_b32_e32 v69, 24, v88
	v_cvt_f32_fp8_e32 v60, v60
	v_add3_u32 v58, v58, v81, 0x7fff
	v_fmac_f32_e32 v8, v54, v57
	v_bfe_u32 v77, v85, 8, 8
	v_cvt_f32_fp8_e32 v69, v69
	v_mul_f32_e32 v60, s59, v60
	s_wait_alu 0xf1ff
	v_cndmask_b32_e64 v101, v58, v53, s5
	v_bfe_u32 v95, v106, 8, 8
	v_cvt_f32_fp8_e32 v77, v77
	v_mul_f32_e32 v69, s59, v69
	v_bfe_u32 v53, v60, 16, 1
	v_or_b32_e32 v58, 0x400000, v60
	v_cmp_u_f32_e64 s5, v60, v60
	v_and_b32_e32 v101, 0xffff0000, v101
	v_bfe_u32 v55, v69, 16, 1
	v_add3_u32 v53, v53, v60, 0x7fff
	v_or_b32_e32 v54, 0x400000, v69
	v_cmp_u_f32_e64 s6, v69, v69
	v_fmac_f32_e32 v6, v91, v101
	v_add3_u32 v55, v55, v69, 0x7fff
	s_wait_alu 0xf1ff
	v_cndmask_b32_e64 v104, v53, v58, s5
	v_and_b32_e32 v53, 0xff, v86
	v_cvt_f32_fp8_e32 v95, v95
	v_mul_f32_e32 v77, s59, v77
	v_cndmask_b32_e64 v93, v55, v54, s6
	v_cmp_u_f32_e64 s10, v80, v80
	v_cvt_f32_fp8_e32 v53, v53
	v_mul_f32_e32 v95, s59, v95
	v_bfe_u32 v72, v77, 16, 1
	v_or_b32_e32 v111, 0x400000, v77
	v_cmp_u_f32_e64 s8, v77, v77
	v_mul_f32_e32 v53, s59, v53
	v_or_b32_e32 v52, 0x400000, v95
	v_add3_u32 v72, v72, v77, 0x7fff
	v_cmp_u_f32_e64 s11, v95, v95
	v_and_b32_e32 v93, 0xffff0000, v93
	v_bfe_u32 v54, v53, 16, 1
	v_or_b32_e32 v55, 0x400000, v53
	v_cmp_u_f32_e64 s5, v53, v53
	v_or_b32_e32 v123, 0x400000, v83
	v_cmp_u_f32_e64 s19, v83, v83
	v_add3_u32 v54, v54, v53, 0x7fff
	v_bfe_u32 v53, v86, 8, 8
	v_bfe_u32 v73, v86, 16, 8
	v_lshrrev_b32_e32 v66, 24, v109
	v_bfe_u32 v62, v110, 16, 8
	s_wait_alu 0xf1ff
	v_cndmask_b32_e64 v102, v54, v55, s5
	v_cvt_f32_fp8_e32 v53, v53
	v_and_b32_e32 v78, 0xffff0000, v78
	v_cvt_f32_fp8_e32 v73, v73
	v_bfe_u32 v76, v109, 8, 8
	v_cvt_f32_fp8_e32 v66, v66
	v_mul_f32_e32 v53, s59, v53
	v_fmac_f32_e32 v5, v51, v78
	v_bfe_u32 v78, v95, 16, 1
	v_or_b32_e32 v51, 0x400000, v80
	v_mul_f32_e32 v73, s59, v73
	v_bfe_u32 v54, v53, 16, 1
	v_or_b32_e32 v55, 0x400000, v53
	v_cmp_u_f32_e64 s5, v53, v53
	v_add3_u32 v77, v78, v95, 0x7fff
	v_cndmask_b32_e64 v81, v67, v51, s10
	v_add3_u32 v54, v54, v53, 0x7fff
	v_lshrrev_b32_e32 v53, 24, v86
	v_cvt_f32_fp8_e32 v62, v62
	v_cndmask_b32_e64 v77, v77, v52, s11
	v_cvt_f32_fp8_e32 v76, v76
	s_wait_alu 0xf1ff
	v_cndmask_b32_e64 v95, v54, v55, s5
	v_cvt_f32_fp8_e32 v53, v53
	v_mul_f32_e32 v66, s59, v66
	v_bfe_u32 v57, v73, 16, 1
	v_mul_f32_e32 v62, s59, v62
	s_delay_alu instid0(VALU_DEP_4) | instskip(SKIP_1) | instid1(VALU_DEP_4)
	v_dual_mul_f32 v76, s59, v76 :: v_dual_mul_f32 v53, s59, v53
	v_or_b32_e32 v71, 0x400000, v73
	v_add3_u32 v57, v57, v73, 0x7fff
	v_cmp_u_f32_e64 s7, v73, v73
	v_bfe_u32 v73, v66, 16, 1
	v_bfe_u32 v54, v53, 16, 1
	v_or_b32_e32 v55, 0x400000, v53
	v_cmp_u_f32_e64 s5, v53, v53
	v_bfe_u32 v56, v62, 16, 1
	v_bfe_u32 v69, v76, 16, 1
	v_add3_u32 v54, v54, v53, 0x7fff
	v_and_b32_e32 v53, 0xff, v85
	v_add3_u32 v118, v73, v66, 0x7fff
	v_cndmask_b32_e64 v73, v59, v50, s12
	v_or_b32_e32 v113, 0x400000, v62
	s_wait_alu 0xf1ff
	v_cndmask_b32_e64 v99, v54, v55, s5
	v_cvt_f32_fp8_e32 v53, v53
	v_or_b32_e32 v114, 0x400000, v76
	v_add3_u32 v56, v56, v62, 0x7fff
	v_cmp_u_f32_e64 s13, v62, v62
	v_add3_u32 v62, v69, v76, 0x7fff
	v_dual_mul_f32 v53, s59, v53 :: v_dual_and_b32 v104, 0xffff0000, v104
	v_cmp_u_f32_e64 s14, v76, v76
	v_or_b32_e32 v117, 0x400000, v96
	v_cmp_u_f32_e64 s17, v96, v96
	s_delay_alu instid0(VALU_DEP_4)
	v_bfe_u32 v54, v53, 16, 1
	v_or_b32_e32 v55, 0x400000, v53
	v_cmp_u_f32_e64 s5, v53, v53
	v_fmac_f32_e32 v7, v48, v104
	v_cndmask_b32_e64 v96, v72, v111, s8
	v_add3_u32 v54, v54, v53, 0x7fff
	v_bfe_u32 v53, v85, 16, 8
	v_cndmask_b32_e64 v100, v57, v71, s7
	v_or_b32_e32 v115, 0x400000, v66
	v_cmp_u_f32_e64 s15, v66, v66
	s_wait_alu 0xf1ff
	v_cndmask_b32_e64 v97, v54, v55, s5
	v_cvt_f32_fp8_e32 v53, v53
	v_lshrrev_b32_e32 v64, 24, v105
	v_cndmask_b32_e64 v128, v61, v63, s21
	v_cndmask_b32_e64 v86, v65, v112, s9
	;; [unrolled: 1-line block ×3, first 2 shown]
	s_wait_loadcnt 0x3
	v_dual_mul_f32 v53, s59, v53 :: v_dual_and_b32 v48, 0xff, v94
	v_cvt_f32_fp8_e32 v64, v64
	v_and_b32_e32 v59, 0xff, v89
	v_and_b32_e32 v99, 0xffff0000, v99
	s_delay_alu instid0(VALU_DEP_4)
	v_bfe_u32 v54, v53, 16, 1
	v_or_b32_e32 v55, 0x400000, v53
	v_cmp_u_f32_e64 s5, v53, v53
	v_cvt_f32_fp8_e32 v48, v48
	v_mul_f32_e32 v64, s59, v64
	v_add3_u32 v54, v54, v53, 0x7fff
	v_and_b32_e32 v53, 0xff, v108
	v_cvt_f32_fp8_e32 v59, v59
	v_and_b32_e32 v97, 0xffff0000, v97
	v_bfe_u32 v69, v64, 16, 1
	s_wait_alu 0xf1ff
	v_cndmask_b32_e64 v88, v54, v55, s5
	v_cvt_f32_fp8_e32 v53, v53
	v_mul_f32_e32 v48, s59, v48
	v_or_b32_e32 v119, 0x400000, v64
	v_add3_u32 v122, v69, v64, 0x7fff
	v_cmp_u_f32_e64 s18, v64, v64
	v_mul_f32_e32 v53, s59, v53
	v_mul_f32_e32 v59, s59, v59
	v_cndmask_b32_e64 v60, v118, v115, s15
	v_and_b32_e32 v73, 0xffff0000, v73
	v_cndmask_b32_e64 v69, v62, v114, s14
	v_bfe_u32 v54, v53, 16, 1
	v_or_b32_e32 v55, 0x400000, v53
	v_cmp_u_f32_e64 s5, v53, v53
	v_and_b32_e32 v65, 0xffff0000, v65
	v_cndmask_b32_e64 v62, v120, v116, s16
	v_add3_u32 v54, v54, v53, 0x7fff
	v_bfe_u32 v53, v108, 8, 8
	v_and_b32_e32 v102, 0xffff0000, v102
	v_and_b32_e32 v100, 0xffff0000, v100
	global_load_b32 v101, v[21:22], off offset:3080
	s_wait_alu 0xf1ff
	v_cndmask_b32_e64 v85, v54, v55, s5
	v_cvt_f32_fp8_e32 v53, v53
	v_and_b32_e32 v60, 0xffff0000, v60
	v_and_b32_e32 v96, 0xffff0000, v96
	;; [unrolled: 1-line block ×4, first 2 shown]
	v_mul_f32_e32 v53, s59, v53
	s_delay_alu instid0(VALU_DEP_1) | instskip(SKIP_2) | instid1(VALU_DEP_3)
	v_bfe_u32 v54, v53, 16, 1
	v_or_b32_e32 v55, 0x400000, v53
	v_cmp_u_f32_e64 s5, v53, v53
	v_add3_u32 v54, v54, v53, 0x7fff
	v_lshrrev_b32_e32 v53, 24, v108
	s_wait_alu 0xf1ff
	s_delay_alu instid0(VALU_DEP_2) | instskip(NEXT) | instid1(VALU_DEP_2)
	v_cndmask_b32_e64 v83, v54, v55, s5
	v_cvt_f32_fp8_e32 v53, v53
	v_cndmask_b32_e64 v55, v126, v125, s20
	s_delay_alu instid0(VALU_DEP_3) | instskip(NEXT) | instid1(VALU_DEP_3)
	v_and_b32_e32 v83, 0xffff0000, v83
	v_mul_f32_e32 v53, s59, v53
	s_delay_alu instid0(VALU_DEP_1) | instskip(SKIP_2) | instid1(VALU_DEP_3)
	v_bfe_u32 v51, v53, 16, 1
	v_or_b32_e32 v54, 0x400000, v53
	v_cmp_u_f32_e64 s5, v53, v53
	v_add3_u32 v51, v51, v53, 0x7fff
	s_wait_alu 0xf1ff
	s_delay_alu instid0(VALU_DEP_1) | instskip(SKIP_1) | instid1(VALU_DEP_1)
	v_cndmask_b32_e64 v80, v51, v54, s5
	v_and_b32_e32 v51, 0xff, v106
	v_cvt_f32_fp8_e32 v51, v51
	s_delay_alu instid0(VALU_DEP_1) | instskip(NEXT) | instid1(VALU_DEP_1)
	v_mul_f32_e32 v51, s59, v51
	v_bfe_u32 v53, v51, 16, 1
	v_or_b32_e32 v54, 0x400000, v51
	v_cmp_u_f32_e64 s5, v51, v51
	s_delay_alu instid0(VALU_DEP_3) | instskip(SKIP_3) | instid1(VALU_DEP_3)
	v_add3_u32 v53, v53, v51, 0x7fff
	v_bfe_u32 v51, v106, 16, 8
	v_and_b32_e32 v106, 0xff, v92
	s_wait_alu 0xf1ff
	v_cndmask_b32_e64 v78, v53, v54, s5
	s_delay_alu instid0(VALU_DEP_3) | instskip(NEXT) | instid1(VALU_DEP_1)
	v_cvt_f32_fp8_e32 v51, v51
	v_dual_mul_f32 v51, s59, v51 :: v_dual_and_b32 v78, 0xffff0000, v78
	s_delay_alu instid0(VALU_DEP_1) | instskip(SKIP_2) | instid1(VALU_DEP_3)
	v_bfe_u32 v52, v51, 16, 1
	v_or_b32_e32 v53, 0x400000, v51
	v_cmp_u_f32_e64 s5, v51, v51
	v_add3_u32 v52, v52, v51, 0x7fff
	v_and_b32_e32 v51, 0xff, v110
	s_wait_alu 0xf1ff
	s_delay_alu instid0(VALU_DEP_2) | instskip(NEXT) | instid1(VALU_DEP_2)
	v_cndmask_b32_e64 v76, v52, v53, s5
	v_cvt_f32_fp8_e32 v51, v51
	s_delay_alu instid0(VALU_DEP_1) | instskip(NEXT) | instid1(VALU_DEP_1)
	v_mul_f32_e32 v51, s59, v51
	v_bfe_u32 v50, v51, 16, 1
	v_or_b32_e32 v52, 0x400000, v51
	v_cmp_u_f32_e64 s5, v51, v51
	s_delay_alu instid0(VALU_DEP_3) | instskip(SKIP_1) | instid1(VALU_DEP_1)
	v_add3_u32 v50, v50, v51, 0x7fff
	s_wait_alu 0xf1ff
	v_cndmask_b32_e64 v72, v50, v52, s5
	v_bfe_u32 v50, v110, 8, 8
	s_delay_alu instid0(VALU_DEP_1) | instskip(NEXT) | instid1(VALU_DEP_1)
	v_cvt_f32_fp8_e32 v50, v50
	v_mul_f32_e32 v50, s59, v50
	s_delay_alu instid0(VALU_DEP_1) | instskip(SKIP_2) | instid1(VALU_DEP_3)
	v_bfe_u32 v51, v50, 16, 1
	v_or_b32_e32 v52, 0x400000, v50
	v_cmp_u_f32_e64 s5, v50, v50
	v_add3_u32 v51, v51, v50, 0x7fff
	v_lshrrev_b32_e32 v50, 24, v110
	s_wait_alu 0xf1ff
	s_delay_alu instid0(VALU_DEP_2) | instskip(NEXT) | instid1(VALU_DEP_2)
	v_cndmask_b32_e64 v71, v51, v52, s5
	v_cvt_f32_fp8_e32 v50, v50
	s_delay_alu instid0(VALU_DEP_1) | instskip(NEXT) | instid1(VALU_DEP_1)
	v_mul_f32_e32 v50, s59, v50
	v_bfe_u32 v51, v50, 16, 1
	v_or_b32_e32 v52, 0x400000, v50
	v_cmp_u_f32_e64 s5, v50, v50
	s_delay_alu instid0(VALU_DEP_3) | instskip(SKIP_2) | instid1(VALU_DEP_2)
	v_add3_u32 v51, v51, v50, 0x7fff
	v_and_b32_e32 v50, 0xff, v109
	s_wait_alu 0xf1ff
	v_cndmask_b32_e64 v66, v51, v52, s5
	s_delay_alu instid0(VALU_DEP_2) | instskip(NEXT) | instid1(VALU_DEP_2)
	v_cvt_f32_fp8_e32 v50, v50
	v_and_b32_e32 v66, 0xffff0000, v66
	s_delay_alu instid0(VALU_DEP_2) | instskip(NEXT) | instid1(VALU_DEP_1)
	v_mul_f32_e32 v50, s59, v50
	v_bfe_u32 v51, v50, 16, 1
	v_or_b32_e32 v52, 0x400000, v50
	v_cmp_u_f32_e64 s5, v50, v50
	s_delay_alu instid0(VALU_DEP_3) | instskip(SKIP_2) | instid1(VALU_DEP_2)
	v_add3_u32 v51, v51, v50, 0x7fff
	v_bfe_u32 v50, v109, 16, 8
	s_wait_alu 0xf1ff
	v_cndmask_b32_e64 v68, v51, v52, s5
	s_delay_alu instid0(VALU_DEP_2) | instskip(NEXT) | instid1(VALU_DEP_2)
	v_cvt_f32_fp8_e32 v50, v50
	v_and_b32_e32 v68, 0xffff0000, v68
	s_delay_alu instid0(VALU_DEP_2) | instskip(NEXT) | instid1(VALU_DEP_1)
	v_mul_f32_e32 v50, s59, v50
	v_bfe_u32 v51, v50, 16, 1
	v_or_b32_e32 v52, 0x400000, v50
	v_cmp_u_f32_e64 s5, v50, v50
	s_delay_alu instid0(VALU_DEP_3) | instskip(SKIP_2) | instid1(VALU_DEP_2)
	v_add3_u32 v51, v51, v50, 0x7fff
	v_and_b32_e32 v50, 0xff, v107
	s_wait_alu 0xf1ff
	v_cndmask_b32_e64 v67, v51, v52, s5
	s_delay_alu instid0(VALU_DEP_2) | instskip(NEXT) | instid1(VALU_DEP_1)
	v_cvt_f32_fp8_e32 v50, v50
	v_mul_f32_e32 v50, s59, v50
	s_delay_alu instid0(VALU_DEP_1) | instskip(SKIP_2) | instid1(VALU_DEP_3)
	v_bfe_u32 v51, v50, 16, 1
	v_or_b32_e32 v52, 0x400000, v50
	v_cmp_u_f32_e64 s5, v50, v50
	v_add3_u32 v51, v51, v50, 0x7fff
	v_bfe_u32 v50, v107, 8, 8
	s_wait_alu 0xf1ff
	s_delay_alu instid0(VALU_DEP_2) | instskip(NEXT) | instid1(VALU_DEP_2)
	v_cndmask_b32_e64 v61, v51, v52, s5
	v_cvt_f32_fp8_e32 v50, v50
	s_delay_alu instid0(VALU_DEP_1) | instskip(NEXT) | instid1(VALU_DEP_1)
	v_dual_mul_f32 v50, s59, v50 :: v_dual_and_b32 v61, 0xffff0000, v61
	v_bfe_u32 v51, v50, 16, 1
	v_or_b32_e32 v52, 0x400000, v50
	v_cmp_u_f32_e64 s5, v50, v50
	s_delay_alu instid0(VALU_DEP_3) | instskip(SKIP_2) | instid1(VALU_DEP_2)
	v_add3_u32 v51, v51, v50, 0x7fff
	v_lshrrev_b32_e32 v50, 24, v107
	s_wait_alu 0xf1ff
	v_cndmask_b32_e64 v64, v51, v52, s5
	s_delay_alu instid0(VALU_DEP_2) | instskip(NEXT) | instid1(VALU_DEP_2)
	v_cvt_f32_fp8_e32 v50, v50
	v_and_b32_e32 v64, 0xffff0000, v64
	s_delay_alu instid0(VALU_DEP_2) | instskip(NEXT) | instid1(VALU_DEP_1)
	v_mul_f32_e32 v50, s59, v50
	v_bfe_u32 v51, v50, 16, 1
	v_or_b32_e32 v52, 0x400000, v50
	v_cmp_u_f32_e64 s5, v50, v50
	s_delay_alu instid0(VALU_DEP_3) | instskip(SKIP_2) | instid1(VALU_DEP_2)
	v_add3_u32 v51, v51, v50, 0x7fff
	v_and_b32_e32 v50, 0xff, v105
	s_wait_alu 0xf1ff
	v_cndmask_b32_e64 v63, v51, v52, s5
	s_delay_alu instid0(VALU_DEP_2) | instskip(NEXT) | instid1(VALU_DEP_1)
	v_cvt_f32_fp8_e32 v50, v50
	v_mul_f32_e32 v50, s59, v50
	s_delay_alu instid0(VALU_DEP_1) | instskip(SKIP_2) | instid1(VALU_DEP_3)
	v_bfe_u32 v51, v50, 16, 1
	v_or_b32_e32 v52, 0x400000, v50
	v_cmp_u_f32_e64 s5, v50, v50
	v_add3_u32 v51, v51, v50, 0x7fff
	s_wait_alu 0xf1ff
	s_delay_alu instid0(VALU_DEP_1) | instskip(SKIP_2) | instid1(VALU_DEP_3)
	v_cndmask_b32_e64 v50, v51, v52, s5
	v_bfe_u32 v51, v105, 16, 8
	v_cndmask_b32_e64 v52, v121, v117, s17
	v_and_b32_e32 v50, 0xffff0000, v50
	s_delay_alu instid0(VALU_DEP_3) | instskip(NEXT) | instid1(VALU_DEP_1)
	v_cvt_f32_fp8_e32 v51, v51
	v_dual_mul_f32 v51, s59, v51 :: v_dual_and_b32 v52, 0xffff0000, v52
	s_delay_alu instid0(VALU_DEP_1) | instskip(SKIP_2) | instid1(VALU_DEP_3)
	v_bfe_u32 v53, v51, 16, 1
	v_or_b32_e32 v54, 0x400000, v51
	v_cmp_u_f32_e64 s5, v51, v51
	v_add3_u32 v53, v53, v51, 0x7fff
	s_wait_alu 0xf1ff
	s_delay_alu instid0(VALU_DEP_1) | instskip(SKIP_2) | instid1(VALU_DEP_2)
	v_cndmask_b32_e64 v51, v53, v54, s5
	v_bfe_u32 v53, v103, 16, 8
	v_lshrrev_b32_e32 v54, 24, v103
	v_cvt_f32_fp8_e32 v53, v53
	s_delay_alu instid0(VALU_DEP_2) | instskip(SKIP_1) | instid1(VALU_DEP_3)
	v_cvt_f32_fp8_e32 v57, v54
	v_cndmask_b32_e64 v54, v122, v119, s18
	v_mul_f32_e32 v56, s59, v53
	s_delay_alu instid0(VALU_DEP_3) | instskip(SKIP_1) | instid1(VALU_DEP_3)
	v_mul_f32_e32 v57, s59, v57
	v_cndmask_b32_e64 v53, v124, v123, s19
	v_bfe_u32 v58, v56, 16, 1
	v_or_b32_e32 v103, 0x400000, v56
	v_cmp_u_f32_e64 s5, v56, v56
	v_bfe_u32 v105, v57, 16, 1
	s_delay_alu instid0(VALU_DEP_4) | instskip(SKIP_1) | instid1(VALU_DEP_1)
	v_add3_u32 v58, v58, v56, 0x7fff
	s_wait_alu 0xf1ff
	v_cndmask_b32_e64 v56, v58, v103, s5
	s_delay_alu instid0(VALU_DEP_3) | instskip(SKIP_4) | instid1(VALU_DEP_2)
	v_add3_u32 v58, v105, v57, 0x7fff
	v_or_b32_e32 v103, 0x400000, v57
	v_cmp_u_f32_e64 s5, v57, v57
	v_bfe_u32 v105, v59, 16, 1
	s_wait_alu 0xf1ff
	v_cndmask_b32_e64 v57, v58, v103, s5
	s_delay_alu instid0(VALU_DEP_2) | instskip(SKIP_4) | instid1(VALU_DEP_2)
	v_add3_u32 v58, v105, v59, 0x7fff
	v_or_b32_e32 v103, 0x400000, v59
	v_cmp_u_f32_e64 s5, v59, v59
	v_bfe_u32 v59, v89, 8, 8
	s_wait_alu 0xf1ff
	v_cndmask_b32_e64 v58, v58, v103, s5
	s_delay_alu instid0(VALU_DEP_2) | instskip(NEXT) | instid1(VALU_DEP_1)
	v_cvt_f32_fp8_e32 v59, v59
	v_mul_f32_e32 v59, s59, v59
	s_delay_alu instid0(VALU_DEP_1) | instskip(SKIP_2) | instid1(VALU_DEP_3)
	v_bfe_u32 v103, v59, 16, 1
	v_or_b32_e32 v105, 0x400000, v59
	v_cmp_u_f32_e64 s5, v59, v59
	v_add3_u32 v103, v103, v59, 0x7fff
	s_wait_alu 0xf1ff
	s_delay_alu instid0(VALU_DEP_1) | instskip(SKIP_3) | instid1(VALU_DEP_3)
	v_cndmask_b32_e64 v59, v103, v105, s5
	v_bfe_u32 v103, v89, 16, 8
	v_lshrrev_b32_e32 v89, 24, v89
	v_and_b32_e32 v105, 0xffff0000, v127
	v_cvt_f32_fp8_e32 v103, v103
	s_delay_alu instid0(VALU_DEP_3) | instskip(NEXT) | instid1(VALU_DEP_2)
	v_cvt_f32_fp8_e32 v89, v89
	v_dual_fmac_f32 v8, v82, v105 :: v_dual_mul_f32 v103, s59, v103
	s_delay_alu instid0(VALU_DEP_2) | instskip(SKIP_1) | instid1(VALU_DEP_3)
	v_mul_f32_e32 v82, s59, v89
	v_cvt_f32_fp8_e32 v89, v106
	v_dual_fmac_f32 v8, v90, v93 :: v_dual_and_b32 v107, 0xffff0000, v128
	s_delay_alu instid0(VALU_DEP_4) | instskip(NEXT) | instid1(VALU_DEP_4)
	v_bfe_u32 v105, v103, 16, 1
	v_bfe_u32 v106, v82, 16, 1
	v_cmp_u_f32_e64 s5, v103, v103
	s_delay_alu instid0(VALU_DEP_4) | instskip(NEXT) | instid1(VALU_DEP_4)
	v_dual_mul_f32 v89, s59, v89 :: v_dual_fmac_f32 v8, v75, v99
	v_add3_u32 v105, v105, v103, 0x7fff
	v_fmac_f32_e32 v5, v79, v107
	v_or_b32_e32 v79, 0x400000, v103
	s_delay_alu instid0(VALU_DEP_4)
	v_bfe_u32 v107, v89, 16, 1
	v_fmac_f32_e32 v8, v49, v86
	global_load_b32 v103, v[21:22], off offset:3072
	v_fmac_f32_e32 v5, v46, v102
	s_wait_alu 0xf1ff
	v_cndmask_b32_e64 v79, v105, v79, s5
	v_add3_u32 v105, v106, v82, 0x7fff
	v_or_b32_e32 v106, 0x400000, v82
	v_cmp_u_f32_e64 s5, v82, v82
	global_load_b32 v102, v[21:22], off offset:3328
	v_fmac_f32_e32 v5, v44, v97
	s_wait_alu 0xf1ff
	v_cndmask_b32_e64 v82, v105, v106, s5
	v_add3_u32 v105, v107, v89, 0x7fff
	v_or_b32_e32 v106, 0x400000, v89
	v_cmp_u_f32_e64 s5, v89, v89
	v_bfe_u32 v89, v92, 8, 8
	v_fmac_f32_e32 v5, v42, v85
	s_delay_alu instid0(VALU_DEP_2) | instskip(NEXT) | instid1(VALU_DEP_2)
	v_cvt_f32_fp8_e32 v89, v89
	v_fmac_f32_e32 v5, v15, v78
	s_delay_alu instid0(VALU_DEP_2)
	v_mul_f32_e32 v107, s59, v89
	s_wait_alu 0xf1ff
	v_cndmask_b32_e64 v89, v105, v106, s5
	v_bfe_u32 v106, v92, 16, 8
	v_lshrrev_b32_e32 v92, 24, v92
	v_bfe_u32 v105, v107, 16, 1
	v_or_b32_e32 v91, 0x400000, v107
	s_delay_alu instid0(VALU_DEP_4)
	v_cvt_f32_fp8_e32 v106, v106
	v_cmp_u_f32_e64 s5, v107, v107
	v_cvt_f32_fp8_e32 v92, v92
	v_add3_u32 v105, v105, v107, 0x7fff
	v_bfe_u32 v107, v48, 16, 1
	v_mul_f32_e32 v106, s59, v106
	s_delay_alu instid0(VALU_DEP_4) | instskip(SKIP_2) | instid1(VALU_DEP_3)
	v_mul_f32_e32 v104, s59, v92
	s_wait_alu 0xf1ff
	v_cndmask_b32_e64 v91, v105, v91, s5
	v_bfe_u32 v105, v106, 16, 1
	v_cmp_u_f32_e64 s5, v106, v106
	v_or_b32_e32 v90, 0x400000, v104
	s_delay_alu instid0(VALU_DEP_3) | instskip(SKIP_3) | instid1(VALU_DEP_2)
	v_add3_u32 v92, v105, v106, 0x7fff
	v_or_b32_e32 v105, 0x400000, v106
	v_bfe_u32 v106, v104, 16, 1
	s_wait_alu 0xf1ff
	v_cndmask_b32_e64 v92, v92, v105, s5
	v_bfe_u32 v105, v94, 8, 8
	s_delay_alu instid0(VALU_DEP_3)
	v_add3_u32 v106, v106, v104, 0x7fff
	v_cmp_u_f32_e64 s5, v104, v104
	v_bfe_u32 v104, v94, 16, 8
	v_lshrrev_b32_e32 v94, 24, v94
	v_cvt_f32_fp8_e32 v105, v105
	s_wait_alu 0xf1ff
	v_cndmask_b32_e64 v93, v106, v90, s5
	v_cvt_f32_fp8_e32 v104, v104
	v_or_b32_e32 v106, 0x400000, v48
	v_mul_f32_e32 v90, s59, v105
	v_add3_u32 v105, v107, v48, 0x7fff
	v_cmp_u_f32_e64 s5, v48, v48
	v_mul_f32_e32 v104, s59, v104
	v_cvt_f32_fp8_e32 v94, v94
	v_bfe_u32 v107, v90, 16, 1
	s_wait_alu 0xf1ff
	v_cndmask_b32_e64 v48, v105, v106, s5
	v_or_b32_e32 v106, 0x400000, v90
	v_cmp_u_f32_e64 s5, v90, v90
	v_add3_u32 v105, v107, v90, 0x7fff
	v_bfe_u32 v107, v104, 16, 1
	v_mul_f32_e32 v94, s59, v94
	v_and_b32_e32 v48, 0xffff0000, v48
	s_wait_alu 0xf1ff
	v_cndmask_b32_e64 v90, v105, v106, s5
	v_add3_u32 v105, v107, v104, 0x7fff
	v_or_b32_e32 v106, 0x400000, v104
	v_cmp_u_f32_e64 s5, v104, v104
	s_wait_loadcnt 0x5
	v_and_b32_e32 v104, 0xff, v87
	v_bfe_u32 v107, v94, 16, 1
	s_wait_alu 0xf1ff
	v_cndmask_b32_e64 v46, v105, v106, s5
	s_delay_alu instid0(VALU_DEP_3) | instskip(NEXT) | instid1(VALU_DEP_3)
	v_cvt_f32_fp8_e32 v104, v104
	v_add3_u32 v105, v107, v94, 0x7fff
	v_or_b32_e32 v106, 0x400000, v94
	v_cmp_u_f32_e64 s5, v94, v94
	s_delay_alu instid0(VALU_DEP_4) | instskip(SKIP_1) | instid1(VALU_DEP_2)
	v_mul_f32_e32 v104, s59, v104
	s_wait_alu 0xf1ff
	v_cndmask_b32_e64 v94, v105, v106, s5
	s_delay_alu instid0(VALU_DEP_2) | instskip(SKIP_1) | instid1(VALU_DEP_2)
	v_bfe_u32 v107, v104, 16, 1
	v_cmp_u_f32_e64 s5, v104, v104
	v_add3_u32 v106, v107, v104, 0x7fff
	v_or_b32_e32 v107, 0x400000, v104
	v_bfe_u32 v104, v87, 8, 8
	s_delay_alu instid0(VALU_DEP_1) | instskip(NEXT) | instid1(VALU_DEP_1)
	v_cvt_f32_fp8_e32 v104, v104
	v_dual_mul_f32 v105, s59, v104 :: v_dual_and_b32 v104, 0xffff0000, v95
	s_wait_alu 0xf1ff
	v_cndmask_b32_e64 v95, v106, v107, s5
	v_lshrrev_b32_e32 v107, 24, v87
	s_delay_alu instid0(VALU_DEP_3)
	v_bfe_u32 v106, v105, 16, 1
	v_fmac_f32_e32 v6, v98, v104
	v_cmp_u_f32_e64 s5, v105, v105
	global_load_b32 v104, v[21:22], off offset:3336
	v_fmac_f32_e32 v7, v45, v100
	v_add3_u32 v98, v106, v105, 0x7fff
	v_or_b32_e32 v106, 0x400000, v105
	v_bfe_u32 v105, v87, 16, 8
	s_wait_loadcnt 0x5
	v_and_b32_e32 v45, 0xff, v84
	v_fmac_f32_e32 v6, v70, v96
	s_wait_alu 0xf1ff
	v_cndmask_b32_e64 v87, v98, v106, s5
	v_cvt_f32_fp8_e32 v105, v105
	v_cvt_f32_fp8_e32 v98, v107
	s_delay_alu instid0(VALU_DEP_2) | instskip(NEXT) | instid1(VALU_DEP_2)
	v_dual_fmac_f32 v6, v47, v83 :: v_dual_mul_f32 v105, s59, v105
	v_mul_f32_e32 v98, s59, v98
	s_delay_alu instid0(VALU_DEP_2) | instskip(SKIP_1) | instid1(VALU_DEP_3)
	v_bfe_u32 v106, v105, 16, 1
	v_cmp_u_f32_e64 s5, v105, v105
	v_bfe_u32 v107, v98, 16, 1
	v_or_b32_e32 v75, 0x400000, v98
	s_delay_alu instid0(VALU_DEP_4) | instskip(SKIP_3) | instid1(VALU_DEP_2)
	v_add3_u32 v100, v106, v105, 0x7fff
	v_or_b32_e32 v106, 0x400000, v105
	v_cvt_f32_fp8_e32 v105, v45
	s_wait_alu 0xf1ff
	v_cndmask_b32_e64 v45, v100, v106, s5
	v_bfe_u32 v100, v84, 8, 8
	s_delay_alu instid0(VALU_DEP_3)
	v_mul_f32_e32 v105, s59, v105
	v_add3_u32 v106, v107, v98, 0x7fff
	v_cmp_u_f32_e64 s5, v98, v98
	v_bfe_u32 v98, v84, 16, 8
	v_cvt_f32_fp8_e32 v99, v100
	v_bfe_u32 v100, v105, 16, 1
	s_wait_alu 0xf1ff
	v_cndmask_b32_e64 v75, v106, v75, s5
	v_or_b32_e32 v106, 0x400000, v105
	v_mul_f32_e32 v99, s59, v99
	v_add3_u32 v100, v100, v105, 0x7fff
	v_cvt_f32_fp8_e32 v98, v98
	v_cmp_u_f32_e64 s5, v105, v105
	s_delay_alu instid0(VALU_DEP_4) | instskip(NEXT) | instid1(VALU_DEP_3)
	v_bfe_u32 v105, v99, 16, 1
	v_mul_f32_e32 v107, s59, v98
	s_wait_alu 0xf1ff
	s_delay_alu instid0(VALU_DEP_3)
	v_cndmask_b32_e64 v98, v100, v106, s5
	v_cmp_u_f32_e64 s5, v99, v99
	v_add3_u32 v100, v105, v99, 0x7fff
	v_or_b32_e32 v105, 0x400000, v99
	v_lshrrev_b32_e32 v106, 24, v84
	v_bfe_u32 v99, v107, 16, 1
	s_wait_alu 0xf1ff
	s_delay_alu instid0(VALU_DEP_3) | instskip(NEXT) | instid1(VALU_DEP_3)
	v_cndmask_b32_e64 v84, v100, v105, s5
	v_cvt_f32_fp8_e32 v100, v106
	global_load_b32 v106, v[21:22], off offset:3584
	v_add3_u32 v99, v99, v107, 0x7fff
	v_or_b32_e32 v105, 0x400000, v107
	v_cmp_u_f32_e64 s5, v107, v107
	s_wait_loadcnt 0x5
	v_dual_mul_f32 v100, s59, v100 :: v_dual_and_b32 v107, 0xff, v74
	s_wait_alu 0xf1ff
	s_delay_alu instid0(VALU_DEP_2) | instskip(NEXT) | instid1(VALU_DEP_2)
	v_cndmask_b32_e64 v44, v99, v105, s5
	v_cvt_f32_fp8_e32 v97, v107
	s_delay_alu instid0(VALU_DEP_3)
	v_bfe_u32 v107, v100, 16, 1
	v_bfe_u32 v99, v74, 8, 8
	v_or_b32_e32 v70, 0x400000, v100
	v_cmp_u_f32_e64 s5, v100, v100
	v_mul_f32_e32 v97, s59, v97
	v_add3_u32 v105, v107, v100, 0x7fff
	v_cvt_f32_fp8_e32 v96, v99
	v_bfe_u32 v100, v74, 16, 8
	s_delay_alu instid0(VALU_DEP_4)
	v_bfe_u32 v99, v97, 16, 1
	s_wait_alu 0xf1ff
	v_cndmask_b32_e64 v70, v105, v70, s5
	v_mul_f32_e32 v105, s59, v96
	v_cvt_f32_fp8_e32 v100, v100
	v_cmp_u_f32_e64 s5, v97, v97
	v_add3_u32 v96, v99, v97, 0x7fff
	v_or_b32_e32 v99, 0x400000, v97
	s_delay_alu instid0(VALU_DEP_4) | instskip(SKIP_1) | instid1(VALU_DEP_2)
	v_mul_f32_e32 v100, s59, v100
	s_wait_alu 0xf1ff
	v_cndmask_b32_e64 v96, v96, v99, s5
	s_delay_alu instid0(VALU_DEP_2) | instskip(SKIP_2) | instid1(VALU_DEP_1)
	v_or_b32_e32 v108, 0x400000, v100
	s_wait_loadcnt 0x3
	v_bfe_u32 v49, v103, 16, 8
	v_cvt_f32_fp8_e32 v49, v49
	s_wait_loadcnt 0x2
	v_and_b32_e32 v83, 0xff, v102
	s_delay_alu instid0(VALU_DEP_1) | instskip(SKIP_1) | instid1(VALU_DEP_1)
	v_cvt_f32_fp8_e32 v83, v83
	s_wait_loadcnt 0x0
	v_dual_mul_f32 v83, s59, v83 :: v_dual_and_b32 v78, 0xff, v106
	v_bfe_u32 v97, v105, 16, 1
	v_or_b32_e32 v99, 0x400000, v105
	v_cmp_u_f32_e64 s5, v105, v105
	s_delay_alu instid0(VALU_DEP_4) | instskip(NEXT) | instid1(VALU_DEP_4)
	v_cvt_f32_fp8_e32 v78, v78
	v_add3_u32 v97, v97, v105, 0x7fff
	v_bfe_u32 v105, v100, 16, 1
	s_delay_alu instid0(VALU_DEP_3) | instskip(SKIP_1) | instid1(VALU_DEP_3)
	v_mul_f32_e32 v78, s59, v78
	s_wait_alu 0xf1ff
	v_cndmask_b32_e64 v97, v97, v99, s5
	s_delay_alu instid0(VALU_DEP_3)
	v_add3_u32 v99, v105, v100, 0x7fff
	s_clause 0x2
	global_load_b32 v107, v[21:22], off offset:3592
	global_load_b32 v105, v[21:22], off offset:3840
	;; [unrolled: 1-line block ×3, first 2 shown]
	v_lshrrev_b32_e32 v22, 24, v74
	v_and_b32_e32 v74, 0xffff0000, v88
	v_cmp_u_f32_e64 s5, v100, v100
	s_delay_alu instid0(VALU_DEP_3) | instskip(NEXT) | instid1(VALU_DEP_3)
	v_cvt_f32_fp8_e32 v22, v22
	v_fmac_f32_e32 v7, v43, v74
	s_delay_alu instid0(VALU_DEP_2) | instskip(SKIP_2) | instid1(VALU_DEP_2)
	v_dual_mul_f32 v88, s59, v22 :: v_dual_and_b32 v43, 0xff, v103
	s_wait_alu 0xf1ff
	v_cndmask_b32_e64 v22, v99, v108, s5
	v_cvt_f32_fp8_e32 v43, v43
	s_delay_alu instid0(VALU_DEP_3) | instskip(SKIP_2) | instid1(VALU_DEP_4)
	v_bfe_u32 v74, v88, 16, 1
	v_or_b32_e32 v99, 0x400000, v88
	v_cmp_u_f32_e64 s5, v88, v88
	v_mul_f32_e32 v43, s59, v43
	s_delay_alu instid0(VALU_DEP_4) | instskip(SKIP_2) | instid1(VALU_DEP_2)
	v_add3_u32 v74, v74, v88, 0x7fff
	v_bfe_u32 v88, v103, 8, 8
	s_wait_alu 0xf1ff
	v_cndmask_b32_e64 v74, v74, v99, s5
	s_delay_alu instid0(VALU_DEP_2) | instskip(SKIP_2) | instid1(VALU_DEP_3)
	v_cvt_f32_fp8_e32 v88, v88
	v_bfe_u32 v99, v43, 16, 1
	v_cmp_u_f32_e64 s5, v43, v43
	v_mul_f32_e32 v86, s59, v88
	s_delay_alu instid0(VALU_DEP_3) | instskip(SKIP_1) | instid1(VALU_DEP_3)
	v_add3_u32 v88, v99, v43, 0x7fff
	v_or_b32_e32 v99, 0x400000, v43
	v_bfe_u32 v100, v86, 16, 1
	s_wait_alu 0xf1ff
	s_delay_alu instid0(VALU_DEP_2)
	v_cndmask_b32_e64 v43, v88, v99, s5
	v_lshrrev_b32_e32 v88, 24, v103
	v_mul_f32_e32 v99, s59, v49
	v_add3_u32 v49, v100, v86, 0x7fff
	v_or_b32_e32 v100, 0x400000, v86
	v_cmp_u_f32_e64 s5, v86, v86
	v_cvt_f32_fp8_e32 v86, v88
	v_bfe_u32 v88, v99, 16, 1
	v_or_b32_e32 v42, 0x400000, v99
	v_and_b32_e32 v43, 0xffff0000, v43
	s_wait_alu 0xf1ff
	v_cndmask_b32_e64 v49, v49, v100, s5
	v_and_b32_e32 v100, 0xff, v101
	v_mul_f32_e32 v86, s59, v86
	v_add3_u32 v88, v88, v99, 0x7fff
	v_cmp_u_f32_e64 s5, v99, v99
	v_bfe_u32 v99, v101, 8, 8
	v_cvt_f32_fp8_e32 v85, v100
	v_bfe_u32 v100, v86, 16, 1
	s_wait_alu 0xf1ff
	v_cndmask_b32_e64 v42, v88, v42, s5
	v_cvt_f32_fp8_e32 v99, v99
	v_mul_f32_e32 v88, s59, v85
	v_add3_u32 v85, v100, v86, 0x7fff
	v_or_b32_e32 v100, 0x400000, v86
	v_cmp_u_f32_e64 s5, v86, v86
	v_mul_f32_e32 v99, s59, v99
	v_bfe_u32 v86, v88, 16, 1
	s_wait_alu 0xf1ff
	s_delay_alu instid0(VALU_DEP_3) | instskip(SKIP_1) | instid1(VALU_DEP_3)
	v_cndmask_b32_e64 v85, v85, v100, s5
	v_or_b32_e32 v100, 0x400000, v88
	v_add3_u32 v86, v86, v88, 0x7fff
	v_cmp_u_f32_e64 s5, v88, v88
	v_bfe_u32 v88, v99, 16, 1
	s_wait_alu 0xf1ff
	s_delay_alu instid0(VALU_DEP_2) | instskip(NEXT) | instid1(VALU_DEP_2)
	v_cndmask_b32_e64 v86, v86, v100, s5
	v_add3_u32 v88, v88, v99, 0x7fff
	v_or_b32_e32 v100, 0x400000, v99
	v_cmp_u_f32_e64 s5, v99, v99
	v_bfe_u32 v99, v101, 16, 8
	s_wait_alu 0xf1ff
	s_delay_alu instid0(VALU_DEP_2) | instskip(NEXT) | instid1(VALU_DEP_2)
	v_cndmask_b32_e64 v88, v88, v100, s5
	v_cvt_f32_fp8_e32 v99, v99
	s_delay_alu instid0(VALU_DEP_1) | instskip(NEXT) | instid1(VALU_DEP_1)
	v_mul_f32_e32 v99, s59, v99
	v_bfe_u32 v100, v99, 16, 1
	v_or_b32_e32 v103, 0x400000, v99
	v_cmp_u_f32_e64 s5, v99, v99
	s_delay_alu instid0(VALU_DEP_3) | instskip(SKIP_2) | instid1(VALU_DEP_2)
	v_add3_u32 v100, v100, v99, 0x7fff
	v_lshrrev_b32_e32 v99, 24, v101
	s_wait_alu 0xf1ff
	v_cndmask_b32_e64 v47, v100, v103, s5
	s_delay_alu instid0(VALU_DEP_2) | instskip(SKIP_1) | instid1(VALU_DEP_2)
	v_cvt_f32_fp8_e32 v99, v99
	v_and_b32_e32 v103, 0xffff0000, v81
	v_mul_f32_e32 v99, s59, v99
	s_delay_alu instid0(VALU_DEP_2) | instskip(SKIP_1) | instid1(VALU_DEP_3)
	v_fmac_f32_e32 v7, v41, v103
	v_bfe_u32 v41, v102, 16, 8
	v_bfe_u32 v101, v99, 16, 1
	v_cmp_u_f32_e64 s5, v99, v99
	s_delay_alu instid0(VALU_DEP_2) | instskip(SKIP_3) | instid1(VALU_DEP_2)
	v_add3_u32 v100, v101, v99, 0x7fff
	v_or_b32_e32 v101, 0x400000, v99
	v_bfe_u32 v99, v102, 8, 8
	s_wait_alu 0xf1ff
	v_cndmask_b32_e64 v81, v100, v101, s5
	s_delay_alu instid0(VALU_DEP_2) | instskip(SKIP_3) | instid1(VALU_DEP_4)
	v_cvt_f32_fp8_e32 v99, v99
	v_bfe_u32 v100, v83, 16, 1
	v_or_b32_e32 v101, 0x400000, v83
	v_cmp_u_f32_e64 s5, v83, v83
	v_mul_f32_e32 v99, s59, v99
	s_delay_alu instid0(VALU_DEP_4) | instskip(SKIP_1) | instid1(VALU_DEP_3)
	v_add3_u32 v100, v100, v83, 0x7fff
	v_cvt_f32_fp8_e32 v83, v41
	v_bfe_u32 v103, v99, 16, 1
	s_wait_alu 0xf1ff
	s_delay_alu instid0(VALU_DEP_3)
	v_cndmask_b32_e64 v41, v100, v101, s5
	v_lshrrev_b32_e32 v100, 24, v102
	v_mul_f32_e32 v83, s59, v83
	v_or_b32_e32 v102, 0x400000, v99
	v_add3_u32 v101, v103, v99, 0x7fff
	v_cmp_u_f32_e64 s5, v99, v99
	v_cvt_f32_fp8_e32 v99, v100
	v_bfe_u32 v100, v83, 16, 1
	v_and_b32_e32 v103, 0xffff0000, v80
	v_and_b32_e32 v41, 0xffff0000, v41
	s_wait_alu 0xf1ff
	v_cndmask_b32_e64 v80, v101, v102, s5
	v_cmp_u_f32_e64 s5, v83, v83
	v_add3_u32 v100, v100, v83, 0x7fff
	v_fmac_f32_e32 v8, v16, v103
	v_or_b32_e32 v16, 0x400000, v83
	v_bfe_u32 v83, v104, 8, 8
	s_delay_alu instid0(VALU_DEP_3) | instskip(SKIP_1) | instid1(VALU_DEP_3)
	v_dual_mul_f32 v99, s59, v99 :: v_dual_fmac_f32 v8, v73, v13
	s_wait_alu 0xf1ff
	v_cndmask_b32_e64 v16, v100, v16, s5
	s_delay_alu instid0(VALU_DEP_3) | instskip(NEXT) | instid1(VALU_DEP_3)
	v_cvt_f32_fp8_e32 v83, v83
	v_fmac_f32_e32 v8, v66, v10
	s_wait_dscnt 0x0
	s_delay_alu instid0(VALU_DEP_2) | instskip(SKIP_4) | instid1(VALU_DEP_4)
	v_dual_mul_f32 v103, s59, v83 :: v_dual_lshlrev_b32 v10, 16, v2
	v_and_b32_e32 v2, 0xffff0000, v2
	v_and_b32_e32 v101, 0xff, v104
	v_bfe_u32 v102, v99, 16, 1
	v_cmp_u_f32_e64 s5, v99, v99
	v_fmac_f32_e32 v8, v60, v2
	s_delay_alu instid0(VALU_DEP_4) | instskip(SKIP_1) | instid1(VALU_DEP_2)
	v_cvt_f32_fp8_e32 v101, v101
	v_lshlrev_b32_e32 v2, 16, v4
	v_mul_f32_e32 v100, s59, v101
	v_add3_u32 v101, v102, v99, 0x7fff
	v_or_b32_e32 v102, 0x400000, v99
	s_delay_alu instid0(VALU_DEP_3) | instskip(SKIP_1) | instid1(VALU_DEP_2)
	v_bfe_u32 v99, v100, 16, 1
	s_wait_alu 0xf1ff
	v_cndmask_b32_e64 v83, v101, v102, s5
	v_bfe_u32 v102, v104, 16, 8
	v_or_b32_e32 v101, 0x400000, v100
	v_add3_u32 v99, v99, v100, 0x7fff
	v_cmp_u_f32_e64 s5, v100, v100
	v_bfe_u32 v100, v103, 16, 1
	v_cvt_f32_fp8_e32 v102, v102
	s_wait_alu 0xf1ff
	s_delay_alu instid0(VALU_DEP_3) | instskip(NEXT) | instid1(VALU_DEP_3)
	v_cndmask_b32_e64 v99, v99, v101, s5
	v_add3_u32 v100, v100, v103, 0x7fff
	v_or_b32_e32 v101, 0x400000, v103
	v_cmp_u_f32_e64 s5, v103, v103
	v_mul_f32_e32 v102, s59, v102
	s_wait_alu 0xf1ff
	s_delay_alu instid0(VALU_DEP_2) | instskip(NEXT) | instid1(VALU_DEP_2)
	v_cndmask_b32_e64 v100, v100, v101, s5
	v_bfe_u32 v101, v102, 16, 1
	v_or_b32_e32 v103, 0x400000, v102
	v_cmp_u_f32_e64 s5, v102, v102
	s_delay_alu instid0(VALU_DEP_3) | instskip(SKIP_2) | instid1(VALU_DEP_2)
	v_add3_u32 v101, v101, v102, 0x7fff
	v_lshrrev_b32_e32 v102, 24, v104
	s_wait_alu 0xf1ff
	v_cndmask_b32_e64 v15, v101, v103, s5
	s_delay_alu instid0(VALU_DEP_2) | instskip(NEXT) | instid1(VALU_DEP_1)
	v_cvt_f32_fp8_e32 v102, v102
	v_mul_f32_e32 v102, s59, v102
	s_delay_alu instid0(VALU_DEP_1) | instskip(SKIP_2) | instid1(VALU_DEP_3)
	v_bfe_u32 v104, v102, 16, 1
	v_or_b32_e32 v103, 0x400000, v102
	v_cmp_u_f32_e64 s5, v102, v102
	v_add3_u32 v101, v104, v102, 0x7fff
	v_bfe_u32 v102, v106, 8, 8
	v_and_b32_e32 v104, 0xffff0000, v77
	s_wait_alu 0xf1ff
	s_delay_alu instid0(VALU_DEP_3) | instskip(NEXT) | instid1(VALU_DEP_3)
	v_cndmask_b32_e64 v77, v101, v103, s5
	v_cvt_f32_fp8_e32 v101, v102
	v_bfe_u32 v102, v78, 16, 1
	v_fmac_f32_e32 v6, v40, v104
	v_bfe_u32 v40, v106, 16, 8
	v_or_b32_e32 v103, 0x400000, v78
	v_cmp_u_f32_e64 s5, v78, v78
	v_add3_u32 v102, v102, v78, 0x7fff
	v_mul_f32_e32 v101, s59, v101
	v_cvt_f32_fp8_e32 v78, v40
	s_wait_alu 0xf1ff
	s_delay_alu instid0(VALU_DEP_3) | instskip(SKIP_3) | instid1(VALU_DEP_2)
	v_cndmask_b32_e64 v40, v102, v103, s5
	v_lshrrev_b32_e32 v102, 24, v106
	v_and_b32_e32 v106, 0xffff0000, v76
	v_mul_f32_e32 v78, s59, v78
	v_fmac_f32_e32 v7, v14, v106
	s_delay_alu instid0(VALU_DEP_2) | instskip(NEXT) | instid1(VALU_DEP_2)
	v_or_b32_e32 v14, 0x400000, v78
	v_fmac_f32_e32 v7, v65, v9
	v_and_b32_e32 v9, 0xffff0000, v69
	v_and_b32_e32 v69, 0xffff0000, v67
	s_delay_alu instid0(VALU_DEP_1) | instskip(SKIP_3) | instid1(VALU_DEP_3)
	v_dual_fmac_f32 v7, v69, v10 :: v_dual_lshlrev_b32 v10, 16, v3
	v_bfe_u32 v104, v101, 16, 1
	v_cmp_u_f32_e64 s5, v101, v101
	v_and_b32_e32 v3, 0xffff0000, v3
	v_add3_u32 v103, v104, v101, 0x7fff
	v_or_b32_e32 v104, 0x400000, v101
	v_cvt_f32_fp8_e32 v101, v102
	v_bfe_u32 v102, v78, 16, 1
	s_wait_alu 0xf1ff
	s_delay_alu instid0(VALU_DEP_3) | instskip(NEXT) | instid1(VALU_DEP_3)
	v_cndmask_b32_e64 v76, v103, v104, s5
	v_mul_f32_e32 v101, s59, v101
	s_delay_alu instid0(VALU_DEP_3) | instskip(SKIP_1) | instid1(VALU_DEP_3)
	v_add3_u32 v102, v102, v78, 0x7fff
	v_cmp_u_f32_e64 s5, v78, v78
	v_bfe_u32 v104, v101, 16, 1
	s_wait_alu 0xf1ff
	s_delay_alu instid0(VALU_DEP_2)
	v_cndmask_b32_e64 v14, v102, v14, s5
	v_cmp_u_f32_e64 s5, v101, v101
	s_wait_loadcnt 0x2
	v_and_b32_e32 v103, 0xff, v107
	v_bfe_u32 v78, v107, 8, 8
	s_wait_loadcnt 0x1
	v_and_b32_e32 v73, 0xff, v105
	s_delay_alu instid0(VALU_DEP_3) | instskip(NEXT) | instid1(VALU_DEP_3)
	v_cvt_f32_fp8_e32 v103, v103
	v_cvt_f32_fp8_e32 v78, v78
	s_delay_alu instid0(VALU_DEP_3) | instskip(NEXT) | instid1(VALU_DEP_3)
	v_cvt_f32_fp8_e32 v73, v73
	v_mul_f32_e32 v102, s59, v103
	v_add3_u32 v103, v104, v101, 0x7fff
	v_or_b32_e32 v104, 0x400000, v101
	s_delay_alu instid0(VALU_DEP_4) | instskip(NEXT) | instid1(VALU_DEP_4)
	v_dual_mul_f32 v106, s59, v78 :: v_dual_mul_f32 v73, s59, v73
	v_bfe_u32 v101, v102, 16, 1
	s_wait_alu 0xf1ff
	s_delay_alu instid0(VALU_DEP_3)
	v_cndmask_b32_e64 v78, v103, v104, s5
	v_bfe_u32 v104, v107, 16, 8
	v_or_b32_e32 v103, 0x400000, v102
	v_add3_u32 v101, v101, v102, 0x7fff
	v_cmp_u_f32_e64 s5, v102, v102
	v_bfe_u32 v102, v106, 16, 1
	v_cvt_f32_fp8_e32 v104, v104
	s_wait_alu 0xf1ff
	s_delay_alu instid0(VALU_DEP_3) | instskip(NEXT) | instid1(VALU_DEP_3)
	v_cndmask_b32_e64 v101, v101, v103, s5
	v_add3_u32 v102, v102, v106, 0x7fff
	v_or_b32_e32 v103, 0x400000, v106
	v_cmp_u_f32_e64 s5, v106, v106
	v_mul_f32_e32 v104, s59, v104
	s_wait_alu 0xf1ff
	s_delay_alu instid0(VALU_DEP_2) | instskip(NEXT) | instid1(VALU_DEP_2)
	v_cndmask_b32_e64 v102, v102, v103, s5
	v_bfe_u32 v103, v104, 16, 1
	v_or_b32_e32 v106, 0x400000, v104
	v_cmp_u_f32_e64 s5, v104, v104
	s_delay_alu instid0(VALU_DEP_3) | instskip(SKIP_2) | instid1(VALU_DEP_2)
	v_add3_u32 v103, v103, v104, 0x7fff
	v_lshrrev_b32_e32 v104, 24, v107
	s_wait_alu 0xf1ff
	v_cndmask_b32_e64 v13, v103, v106, s5
	s_delay_alu instid0(VALU_DEP_2) | instskip(NEXT) | instid1(VALU_DEP_1)
	v_cvt_f32_fp8_e32 v104, v104
	v_mul_f32_e32 v104, s59, v104
	s_delay_alu instid0(VALU_DEP_1) | instskip(SKIP_2) | instid1(VALU_DEP_3)
	v_bfe_u32 v107, v104, 16, 1
	v_or_b32_e32 v106, 0x400000, v104
	v_cmp_u_f32_e64 s5, v104, v104
	v_add3_u32 v103, v107, v104, 0x7fff
	v_bfe_u32 v104, v105, 8, 8
	v_and_b32_e32 v107, 0xffff0000, v72
	s_wait_alu 0xf1ff
	s_delay_alu instid0(VALU_DEP_3) | instskip(NEXT) | instid1(VALU_DEP_3)
	v_cndmask_b32_e64 v72, v103, v106, s5
	v_cvt_f32_fp8_e32 v103, v104
	v_bfe_u32 v104, v73, 16, 1
	v_fmac_f32_e32 v5, v107, v12
	v_bfe_u32 v12, v105, 16, 8
	v_or_b32_e32 v106, 0x400000, v73
	v_mul_f32_e32 v103, s59, v103
	v_add3_u32 v104, v104, v73, 0x7fff
	v_cmp_u_f32_e64 s5, v73, v73
	v_cvt_f32_fp8_e32 v73, v12
	s_delay_alu instid0(VALU_DEP_4) | instskip(SKIP_1) | instid1(VALU_DEP_3)
	v_bfe_u32 v107, v103, 16, 1
	s_wait_alu 0xf1ff
	v_cndmask_b32_e64 v12, v104, v106, s5
	v_lshrrev_b32_e32 v104, 24, v105
	v_mul_f32_e32 v73, s59, v73
	v_add3_u32 v105, v107, v103, 0x7fff
	v_or_b32_e32 v106, 0x400000, v103
	v_cmp_u_f32_e64 s5, v103, v103
	v_cvt_f32_fp8_e32 v103, v104
	v_bfe_u32 v104, v73, 16, 1
	v_and_b32_e32 v107, 0xffff0000, v71
	v_and_b32_e32 v12, 0xffff0000, v12
	s_wait_alu 0xf1ff
	v_cndmask_b32_e64 v71, v105, v106, s5
	s_wait_loadcnt 0x0
	v_and_b32_e32 v105, 0xff, v21
	v_mul_f32_e32 v103, s59, v103
	v_add3_u32 v104, v104, v73, 0x7fff
	v_fmac_f32_e32 v6, v107, v11
	v_or_b32_e32 v11, 0x400000, v73
	v_cvt_f32_fp8_e32 v105, v105
	v_bfe_u32 v106, v103, 16, 1
	v_cmp_u_f32_e64 s5, v73, v73
	v_bfe_u32 v73, v21, 8, 8
	s_wait_alu 0xf1ff
	s_delay_alu instid0(VALU_DEP_2)
	v_cndmask_b32_e64 v11, v104, v11, s5
	v_mul_f32_e32 v104, s59, v105
	v_add3_u32 v105, v106, v103, 0x7fff
	v_or_b32_e32 v106, 0x400000, v103
	v_cvt_f32_fp8_e32 v73, v73
	v_cmp_u_f32_e64 s5, v103, v103
	v_bfe_u32 v103, v104, 16, 1
	s_delay_alu instid0(VALU_DEP_3) | instskip(SKIP_1) | instid1(VALU_DEP_3)
	v_mul_f32_e32 v107, s59, v73
	s_wait_alu 0xf1ff
	v_cndmask_b32_e64 v73, v105, v106, s5
	v_lshlrev_b32_e32 v106, 16, v1
	v_and_b32_e32 v1, 0xffff0000, v1
	v_add3_u32 v103, v103, v104, 0x7fff
	v_or_b32_e32 v105, 0x400000, v104
	v_cmp_u_f32_e64 s5, v104, v104
	s_delay_alu instid0(VALU_DEP_4)
	v_fmac_f32_e32 v6, v9, v1
	v_bfe_u32 v9, v21, 16, 8
	v_lshrrev_b32_e32 v21, 24, v21
	s_wait_alu 0xf1ff
	v_cndmask_b32_e64 v103, v103, v105, s5
	v_dual_fmac_f32 v6, v64, v3 :: v_dual_and_b32 v3, 0xffff0000, v4
	v_and_b32_e32 v4, 0xffff0000, v62
	v_fmac_f32_e32 v5, v68, v106
	ds_load_b128 v[65:68], v33 offset:128
	v_cvt_f32_fp8_e32 v9, v9
	v_cvt_f32_fp8_e32 v21, v21
	v_dual_fmac_f32 v7, v4, v2 :: v_dual_and_b32 v4, 0xffff0000, v51
	v_dual_fmac_f32 v5, v61, v10 :: v_dual_and_b32 v10, 0xffff0000, v63
	ds_load_b128 v[60:63], v33 offset:144
	v_mul_f32_e32 v9, s59, v9
	v_dual_mul_f32 v21, s59, v21 :: v_dual_fmac_f32 v8, v10, v3
	v_and_b32_e32 v10, 0xffff0000, v54
	s_delay_alu instid0(VALU_DEP_3)
	v_bfe_u32 v54, v9, 16, 1
	s_wait_dscnt 0x1
	v_lshlrev_b32_e32 v64, 16, v65
	v_and_b32_e32 v65, 0xffff0000, v65
	v_and_b32_e32 v3, 0xffff0000, v66
	;; [unrolled: 1-line block ×3, first 2 shown]
	v_lshlrev_b32_e32 v2, 16, v66
	v_bfe_u32 v104, v107, 16, 1
	v_fmac_f32_e32 v6, v52, v65
	v_dual_fmac_f32 v5, v50, v64 :: v_dual_and_b32 v52, 0xffff0000, v53
	v_lshlrev_b32_e32 v50, 16, v67
	v_and_b32_e32 v53, 0xffff0000, v55
	v_fmac_f32_e32 v8, v10, v3
	v_dual_fmac_f32 v7, v4, v2 :: v_dual_and_b32 v10, 0xffff0000, v57
	s_delay_alu instid0(VALU_DEP_4)
	v_dual_fmac_f32 v5, v52, v50 :: v_dual_and_b32 v4, 0xffff0000, v56
	s_wait_dscnt 0x0
	v_lshlrev_b32_e32 v50, 16, v60
	v_dual_fmac_f32 v6, v53, v51 :: v_dual_and_b32 v51, 0xffff0000, v58
	v_lshlrev_b32_e32 v2, 16, v68
	v_and_b32_e32 v55, 0xffff0000, v60
	v_and_b32_e32 v56, 0xffff0000, v59
	;; [unrolled: 1-line block ×3, first 2 shown]
	v_fmac_f32_e32 v5, v51, v50
	ds_load_b128 v[50:53], v33 offset:160
	v_fmac_f32_e32 v7, v4, v2
	v_fmac_f32_e32 v6, v56, v55
	v_lshlrev_b32_e32 v2, 16, v61
	v_lshlrev_b32_e32 v55, 16, v62
	v_and_b32_e32 v56, 0xffff0000, v62
	v_and_b32_e32 v58, 0xffff0000, v91
	v_add3_u32 v59, v54, v9, 0x7fff
	s_delay_alu instid0(VALU_DEP_4) | instskip(SKIP_1) | instid1(VALU_DEP_4)
	v_dual_fmac_f32 v5, v57, v55 :: v_dual_and_b32 v60, 0xffff0000, v90
	v_add3_u32 v104, v104, v107, 0x7fff
	v_fmac_f32_e32 v6, v58, v56
	ds_load_b128 v[54:57], v33 offset:176
	v_or_b32_e32 v105, 0x400000, v107
	v_cmp_u_f32_e64 s5, v107, v107
	s_wait_alu 0xf1ff
	s_delay_alu instid0(VALU_DEP_1)
	v_cndmask_b32_e64 v1, v104, v105, s5
	s_wait_dscnt 0x1
	v_lshlrev_b32_e32 v58, 16, v50
	v_and_b32_e32 v4, 0xffff0000, v79
	v_and_b32_e32 v50, 0xffff0000, v50
	v_cmp_u_f32_e64 s5, v9, v9
	v_and_b32_e32 v1, 0xffff0000, v1
	v_fmac_f32_e32 v5, v48, v58
	v_dual_fmac_f32 v7, v4, v2 :: v_dual_and_b32 v4, 0xffff0000, v92
	v_fmac_f32_e32 v6, v60, v50
	v_and_b32_e32 v50, 0xffff0000, v95
	v_lshlrev_b32_e32 v2, 16, v63
	s_delay_alu instid0(VALU_DEP_1) | instskip(SKIP_1) | instid1(VALU_DEP_1)
	v_dual_fmac_f32 v7, v4, v2 :: v_dual_lshlrev_b32 v2, 16, v51
	v_and_b32_e32 v4, 0xffff0000, v46
	v_dual_fmac_f32 v7, v4, v2 :: v_dual_lshlrev_b32 v46, 16, v52
	s_delay_alu instid0(VALU_DEP_1) | instskip(SKIP_4) | instid1(VALU_DEP_3)
	v_dual_fmac_f32 v5, v50, v46 :: v_dual_lshlrev_b32 v2, 16, v53
	v_and_b32_e32 v4, 0xffff0000, v45
	s_wait_dscnt 0x0
	v_lshlrev_b32_e32 v45, 16, v54
	v_and_b32_e32 v46, 0xffff0000, v98
	v_dual_fmac_f32 v7, v4, v2 :: v_dual_and_b32 v48, 0xffff0000, v52
	s_delay_alu instid0(VALU_DEP_2) | instskip(SKIP_4) | instid1(VALU_DEP_3)
	v_dual_fmac_f32 v5, v46, v45 :: v_dual_and_b32 v4, 0xffff0000, v44
	v_lshlrev_b32_e32 v44, 16, v56
	v_and_b32_e32 v46, 0xffff0000, v96
	v_lshlrev_b32_e32 v2, 16, v55
	v_and_b32_e32 v45, 0xffff0000, v56
	v_fmac_f32_e32 v5, v46, v44
	v_and_b32_e32 v46, 0xffff0000, v80
	v_and_b32_e32 v3, 0xffff0000, v68
	v_dual_fmac_f32 v7, v4, v2 :: v_dual_lshlrev_b32 v2, 16, v57
	v_and_b32_e32 v4, 0xffff0000, v22
	s_delay_alu instid0(VALU_DEP_3) | instskip(SKIP_1) | instid1(VALU_DEP_3)
	v_dual_fmac_f32 v8, v10, v3 :: v_dual_and_b32 v3, 0xffff0000, v61
	v_and_b32_e32 v10, 0xffff0000, v82
	v_fmac_f32_e32 v7, v4, v2
	v_and_b32_e32 v4, 0xffff0000, v42
	v_or_b32_e32 v61, 0x400000, v9
	s_delay_alu instid0(VALU_DEP_4)
	v_fmac_f32_e32 v8, v10, v3
	v_and_b32_e32 v3, 0xffff0000, v63
	v_and_b32_e32 v10, 0xffff0000, v93
	s_wait_alu 0xf1ff
	v_cndmask_b32_e64 v9, v59, v61, s5
	v_cmp_u_f32_e64 s5, v21, v21
	s_delay_alu instid0(VALU_DEP_3) | instskip(SKIP_3) | instid1(VALU_DEP_2)
	v_fmac_f32_e32 v8, v10, v3
	v_and_b32_e32 v3, 0xffff0000, v51
	v_and_b32_e32 v10, 0xffff0000, v94
	;; [unrolled: 1-line block ×3, first 2 shown]
	v_fmac_f32_e32 v8, v10, v3
	s_delay_alu instid0(VALU_DEP_2)
	v_dual_fmac_f32 v6, v51, v48 :: v_dual_and_b32 v3, 0xffff0000, v53
	v_and_b32_e32 v10, 0xffff0000, v75
	ds_load_b128 v[50:53], v33 offset:192
	v_and_b32_e32 v48, 0xffff0000, v54
	v_and_b32_e32 v54, 0xffff0000, v84
	v_fmac_f32_e32 v8, v10, v3
	v_and_b32_e32 v3, 0xffff0000, v55
	v_and_b32_e32 v10, 0xffff0000, v70
	s_delay_alu instid0(VALU_DEP_4) | instskip(NEXT) | instid1(VALU_DEP_2)
	v_fmac_f32_e32 v6, v54, v48
	v_dual_fmac_f32 v8, v10, v3 :: v_dual_and_b32 v3, 0xffff0000, v57
	ds_load_b128 v[54:57], v33 offset:208
	v_and_b32_e32 v10, 0xffff0000, v74
	s_delay_alu instid0(VALU_DEP_1)
	v_fmac_f32_e32 v8, v10, v3
	s_wait_dscnt 0x1
	v_lshlrev_b32_e32 v2, 16, v51
	v_and_b32_e32 v3, 0xffff0000, v51
	v_and_b32_e32 v10, 0xffff0000, v85
	v_lshlrev_b32_e32 v22, 16, v50
	v_and_b32_e32 v44, 0xffff0000, v50
	v_dual_fmac_f32 v7, v4, v2 :: v_dual_lshlrev_b32 v2, 16, v53
	v_and_b32_e32 v4, 0xffff0000, v47
	v_dual_fmac_f32 v8, v10, v3 :: v_dual_and_b32 v3, 0xffff0000, v53
	v_dual_fmac_f32 v5, v43, v22 :: v_dual_and_b32 v10, 0xffff0000, v81
	s_wait_dscnt 0x0
	s_delay_alu instid0(VALU_DEP_3) | instskip(SKIP_1) | instid1(VALU_DEP_3)
	v_dual_fmac_f32 v7, v4, v2 :: v_dual_lshlrev_b32 v2, 16, v55
	v_and_b32_e32 v4, 0xffff0000, v16
	v_fmac_f32_e32 v8, v10, v3
	v_and_b32_e32 v3, 0xffff0000, v55
	v_and_b32_e32 v10, 0xffff0000, v83
	s_delay_alu instid0(VALU_DEP_4) | instskip(SKIP_2) | instid1(VALU_DEP_4)
	v_dual_fmac_f32 v7, v4, v2 :: v_dual_lshlrev_b32 v22, 16, v52
	v_lshlrev_b32_e32 v2, 16, v57
	v_and_b32_e32 v4, 0xffff0000, v15
	v_dual_fmac_f32 v8, v10, v3 :: v_dual_and_b32 v3, 0xffff0000, v57
	v_and_b32_e32 v10, 0xffff0000, v77
	v_and_b32_e32 v43, 0xffff0000, v86
	s_delay_alu instid0(VALU_DEP_4)
	v_fmac_f32_e32 v7, v4, v2
	v_and_b32_e32 v4, 0xffff0000, v14
	v_and_b32_e32 v48, 0xffff0000, v97
	v_fmac_f32_e32 v8, v10, v3
	v_and_b32_e32 v10, 0xffff0000, v78
	v_dual_fmac_f32 v5, v43, v22 :: v_dual_and_b32 v42, 0xffff0000, v52
	s_delay_alu instid0(VALU_DEP_4) | instskip(SKIP_4) | instid1(VALU_DEP_4)
	v_fmac_f32_e32 v6, v48, v45
	v_and_b32_e32 v45, 0xffff0000, v49
	v_lshlrev_b32_e32 v22, 16, v54
	v_lshlrev_b32_e32 v16, 16, v56
	v_bfe_u32 v49, v21, 16, 1
	v_fmac_f32_e32 v6, v45, v44
	v_and_b32_e32 v44, 0xffff0000, v88
	v_and_b32_e32 v45, 0xffff0000, v54
	v_dual_fmac_f32 v5, v41, v22 :: v_dual_and_b32 v22, 0xffff0000, v56
	s_delay_alu instid0(VALU_DEP_3) | instskip(SKIP_3) | instid1(VALU_DEP_1)
	v_fmac_f32_e32 v6, v44, v42
	ds_load_b128 v[41:44], v33 offset:224
	v_dual_fmac_f32 v6, v46, v45 :: v_dual_and_b32 v45, 0xffff0000, v99
	v_and_b32_e32 v46, 0xffff0000, v100
	v_dual_fmac_f32 v5, v45, v16 :: v_dual_fmac_f32 v6, v46, v22
	ds_load_b128 v[45:48], v33 offset:240
	v_and_b32_e32 v22, 0xffff0000, v40
	v_and_b32_e32 v40, 0xffff0000, v76
	s_wait_dscnt 0x1
	v_lshlrev_b32_e32 v15, 16, v41
	v_and_b32_e32 v16, 0xffff0000, v41
	v_lshlrev_b32_e32 v2, 16, v42
	v_and_b32_e32 v3, 0xffff0000, v42
	v_lshlrev_b32_e32 v14, 16, v43
	s_delay_alu instid0(VALU_DEP_4) | instskip(SKIP_4) | instid1(VALU_DEP_3)
	v_dual_fmac_f32 v5, v22, v15 :: v_dual_fmac_f32 v6, v40, v16
	v_and_b32_e32 v15, 0xffff0000, v43
	v_and_b32_e32 v16, 0xffff0000, v101
	;; [unrolled: 1-line block ×3, first 2 shown]
	v_dual_fmac_f32 v7, v4, v2 :: v_dual_fmac_f32 v8, v10, v3
	v_dual_fmac_f32 v5, v16, v14 :: v_dual_lshlrev_b32 v2, 16, v44
	s_delay_alu instid0(VALU_DEP_3)
	v_dual_fmac_f32 v6, v22, v15 :: v_dual_and_b32 v3, 0xffff0000, v44
	v_and_b32_e32 v4, 0xffff0000, v13
	v_and_b32_e32 v10, 0xffff0000, v72
	s_wait_dscnt 0x0
	v_lshlrev_b32_e32 v13, 16, v45
	v_and_b32_e32 v14, 0xffff0000, v45
	v_and_b32_e32 v15, 0xffff0000, v71
	v_add3_u32 v41, v49, v21, 0x7fff
	v_or_b32_e32 v40, 0x400000, v21
	v_dual_fmac_f32 v7, v4, v2 :: v_dual_fmac_f32 v8, v10, v3
	s_delay_alu instid0(VALU_DEP_4)
	v_dual_fmac_f32 v5, v12, v13 :: v_dual_fmac_f32 v6, v15, v14
	v_lshlrev_b32_e32 v2, 16, v46
	v_and_b32_e32 v4, 0xffff0000, v11
	v_lshlrev_b32_e32 v10, 16, v47
	v_and_b32_e32 v11, 0xffff0000, v103
	v_and_b32_e32 v13, 0xffff0000, v47
	s_wait_alu 0xf1ff
	v_cndmask_b32_e64 v16, v41, v40, s5
	v_and_b32_e32 v3, 0xffff0000, v46
	v_dual_fmac_f32 v7, v4, v2 :: v_dual_and_b32 v12, 0xffff0000, v73
	v_dual_fmac_f32 v5, v11, v10 :: v_dual_lshlrev_b32 v2, 16, v48
	v_and_b32_e32 v4, 0xffff0000, v9
	v_fmac_f32_e32 v6, v1, v13
	s_delay_alu instid0(VALU_DEP_4) | instskip(SKIP_1) | instid1(VALU_DEP_4)
	v_dual_fmac_f32 v8, v12, v3 :: v_dual_and_b32 v1, 0xffff0000, v48
	v_and_b32_e32 v3, 0xffff0000, v16
	v_fmac_f32_e32 v7, v4, v2
	s_delay_alu instid0(VALU_DEP_4) | instskip(SKIP_1) | instid1(VALU_DEP_2)
	v_add_f32_e32 v2, v5, v6
	v_cmp_gt_i32_e64 s5, 32, v38
	v_dual_fmac_f32 v8, v3, v1 :: v_dual_add_f32 v1, v2, v7
	s_wait_alu 0xf1ff
	s_delay_alu instid0(VALU_DEP_2) | instskip(NEXT) | instid1(VALU_DEP_1)
	v_cndmask_b32_e64 v4, v30, v38, s5
	v_dual_add_f32 v1, v8, v1 :: v_dual_lshlrev_b32 v2, 2, v4
	ds_bpermute_b32 v2, v2, v1
	s_and_saveexec_b32 s6, s4
	s_cbranch_execz .LBB339_11
; %bb.19:                               ;   in Loop: Header=BB339_13 Depth=1
	s_wait_dscnt 0x0
	v_add_f32_e32 v1, v1, v2
	v_add_nc_u32_e32 v3, v35, v34
	s_delay_alu instid0(VALU_DEP_1) | instskip(NEXT) | instid1(VALU_DEP_1)
	v_cvt_f32_i32_e32 v3, v3
	v_mul_f32_e32 v3, s51, v3
	s_delay_alu instid0(VALU_DEP_1) | instskip(NEXT) | instid1(VALU_DEP_1)
	v_dual_cndmask_b32 v2, 0, v3 :: v_dual_max_num_f32 v3, v32, v32
	v_dual_fmac_f32 v2, s47, v1 :: v_dual_add_nc_u32 v1, v31, v34
	s_delay_alu instid0(VALU_DEP_1) | instskip(NEXT) | instid1(VALU_DEP_2)
	v_max_num_f32_e32 v3, v3, v2
	v_cmp_gt_i32_e64 s5, s23, v1
	s_wait_alu 0xf1ff
	s_delay_alu instid0(VALU_DEP_1) | instskip(NEXT) | instid1(VALU_DEP_3)
	v_cndmask_b32_e64 v1, 0, v2, s5
	v_cndmask_b32_e64 v32, v32, v3, s5
	ds_store_b32 v36, v1
	s_branch .LBB339_11
.LBB339_20:
	s_or_b32 exec_lo, exec_lo, s56
.LBB339_21:
	s_wait_alu 0xfffe
	s_or_b32 exec_lo, exec_lo, s53
	v_xor_b32_e32 v1, 16, v30
	s_wait_dscnt 0x0
	v_xor_b32_e32 v2, 8, v30
	s_clause 0x2
	s_load_b128 s[8:11], s[0:1], 0x0
	s_load_b64 s[12:13], s[0:1], 0x10
	s_load_b64 s[6:7], s[0:1], 0x28
	v_and_b32_e32 v15, 31, v0
	v_lshlrev_b32_e32 v7, 2, v25
	v_cmp_gt_i32_e32 vcc_lo, 32, v1
	s_wait_alu 0xfffd
	v_cndmask_b32_e32 v1, v30, v1, vcc_lo
	v_cmp_gt_i32_e32 vcc_lo, 32, v2
	s_wait_alu 0xfffd
	v_dual_max_num_f32 v5, v32, v32 :: v_dual_cndmask_b32 v2, v30, v2
	s_delay_alu instid0(VALU_DEP_1) | instskip(SKIP_4) | instid1(VALU_DEP_1)
	v_lshlrev_b32_e32 v4, 2, v2
	v_lshlrev_b32_e32 v3, 2, v1
	ds_bpermute_b32 v1, v3, v32
	s_wait_dscnt 0x0
	v_max_num_f32_e32 v1, v1, v1
	v_max_num_f32_e32 v1, v5, v1
	v_xor_b32_e32 v5, 4, v30
	ds_bpermute_b32 v2, v4, v1
	v_cmp_gt_i32_e32 vcc_lo, 32, v5
	s_wait_alu 0xfffd
	v_cndmask_b32_e32 v5, v30, v5, vcc_lo
	s_wait_dscnt 0x0
	v_max_num_f32_e32 v2, v2, v2
	s_delay_alu instid0(VALU_DEP_2) | instskip(SKIP_1) | instid1(VALU_DEP_3)
	v_lshlrev_b32_e32 v6, 2, v5
	v_xor_b32_e32 v5, 2, v30
	v_max_num_f32_e32 v1, v1, v2
	s_delay_alu instid0(VALU_DEP_2)
	v_cmp_gt_i32_e32 vcc_lo, 32, v5
	ds_bpermute_b32 v2, v6, v1
	s_wait_alu 0xfffd
	v_cndmask_b32_e32 v5, v30, v5, vcc_lo
	v_cmp_eq_u32_e32 vcc_lo, 0, v15
	s_wait_dscnt 0x0
	v_max_num_f32_e32 v2, v2, v2
	s_delay_alu instid0(VALU_DEP_1)
	v_dual_max_num_f32 v1, v1, v2 :: v_dual_lshlrev_b32 v2, 2, v5
	ds_bpermute_b32 v5, v2, v1
	s_and_saveexec_b32 s0, vcc_lo
	s_cbranch_execz .LBB339_23
; %bb.22:
	s_wait_dscnt 0x0
	v_max_num_f32_e32 v5, v5, v5
	v_max_num_f32_e32 v1, v1, v1
	s_delay_alu instid0(VALU_DEP_1)
	v_max_num_f32_e32 v1, v1, v5
	ds_store_b32 v7, v1 offset:512
.LBB339_23:
	s_or_b32 exec_lo, exec_lo, s0
	v_cmp_gt_u32_e64 s0, 4, v15
	v_dual_mov_b32 v1, 0xff7fffff :: v_dual_lshlrev_b32 v8, 2, v15
	s_wait_loadcnt_dscnt 0x0
	s_barrier_signal -1
	s_barrier_wait -1
	global_inv scope:SCOPE_SE
	s_and_saveexec_b32 s1, s0
; %bb.24:
	ds_load_b32 v1, v8 offset:512
; %bb.25:
	s_or_b32 exec_lo, exec_lo, s1
	s_wait_dscnt 0x0
	ds_bpermute_b32 v5, v2, v1
	v_xor_b32_e32 v9, 1, v30
	v_max_num_f32_e32 v1, v1, v1
	s_delay_alu instid0(VALU_DEP_2) | instskip(NEXT) | instid1(VALU_DEP_1)
	v_cmp_gt_i32_e64 s1, 32, v9
	v_cndmask_b32_e64 v9, v30, v9, s1
	s_sub_co_i32 s1, s36, s52
	s_wait_alu 0xfffe
	s_lshl_b32 s1, s1, 4
	s_delay_alu instid0(VALU_DEP_1)
	v_dual_mov_b32 v9, 0 :: v_dual_lshlrev_b32 v16, 2, v9
	s_wait_alu 0xfffe
	s_add_co_i32 s1, s1, s22
	s_wait_alu 0xfffe
	s_min_i32 s1, s1, s23
	s_wait_dscnt 0x0
	v_max_num_f32_e32 v5, v5, v5
	s_wait_alu 0xfffe
	s_sub_co_i32 s5, s1, s22
	s_wait_alu 0xfffe
	v_cmp_gt_i32_e64 s1, s5, v0
	v_max_num_f32_e32 v1, v1, v5
	ds_bpermute_b32 v5, v16, v1
	s_wait_dscnt 0x0
	v_max_num_f32_e32 v5, v5, v5
	s_delay_alu instid0(VALU_DEP_1)
	v_max_num_f32_e32 v1, v1, v5
	v_lshl_add_u32 v5, v0, 2, 0x220
	ds_bpermute_b32 v1, v9, v1
	s_and_saveexec_b32 s14, s1
	s_cbranch_execz .LBB339_29
; %bb.26:
	v_lshl_add_u32 v10, v0, 2, 0x220
	v_mov_b32_e32 v9, 0
	v_mov_b32_e32 v11, v0
	s_mov_b32 s15, 0
.LBB339_27:                             ; =>This Inner Loop Header: Depth=1
	ds_load_b32 v12, v10
	v_add_nc_u32_e32 v11, 0x80, v11
	s_delay_alu instid0(VALU_DEP_1) | instskip(SKIP_4) | instid1(VALU_DEP_1)
	v_cmp_le_i32_e64 s4, s5, v11
	s_wait_alu 0xfffe
	s_or_b32 s15, s4, s15
	s_wait_dscnt 0x0
	v_sub_f32_e32 v12, v12, v1
	v_mul_f32_e32 v12, 0x3fb8aa3b, v12
	s_delay_alu instid0(VALU_DEP_1)
	v_exp_f32_e32 v12, v12
	ds_store_b32 v10, v12
	v_dual_add_f32 v9, v9, v12 :: v_dual_add_nc_u32 v10, 0x200, v10
	s_wait_alu 0xfffe
	s_and_not1_b32 exec_lo, exec_lo, s15
	s_cbranch_execnz .LBB339_27
; %bb.28:
	s_or_b32 exec_lo, exec_lo, s15
.LBB339_29:
	s_wait_alu 0xfffe
	s_or_b32 exec_lo, exec_lo, s14
	ds_bpermute_b32 v3, v3, v9
	s_wait_dscnt 0x0
	v_add_f32_e32 v3, v9, v3
	ds_bpermute_b32 v4, v4, v3
	s_wait_dscnt 0x0
	v_add_f32_e32 v3, v3, v4
	;; [unrolled: 3-line block ×5, first 2 shown]
	s_and_saveexec_b32 s4, vcc_lo
; %bb.30:
	ds_store_b32 v7, v3 offset:528
; %bb.31:
	s_wait_alu 0xfffe
	s_or_b32 exec_lo, exec_lo, s4
	s_wait_loadcnt_dscnt 0x0
	s_barrier_signal -1
	s_barrier_wait -1
	global_inv scope:SCOPE_SE
	s_and_saveexec_b32 s4, s0
; %bb.32:
	ds_load_b32 v3, v8 offset:528
; %bb.33:
	s_wait_alu 0xfffe
	s_or_b32 exec_lo, exec_lo, s4
	s_wait_dscnt 0x0
	ds_bpermute_b32 v2, v2, v3
	s_wait_dscnt 0x0
	v_add_f32_e32 v2, v3, v2
	ds_bpermute_b32 v3, v16, v2
	s_wait_dscnt 0x0
	v_dual_add_f32 v2, v2, v3 :: v_dual_mov_b32 v3, 0
	ds_bpermute_b32 v2, v3, v2
	s_and_saveexec_b32 s0, s1
	s_cbranch_execz .LBB339_36
; %bb.34:
	s_wait_dscnt 0x0
	v_add_f32_e32 v3, 0x358637bd, v2
	s_mov_b32 s1, 0
	s_delay_alu instid0(VALU_DEP_1) | instskip(SKIP_1) | instid1(VALU_DEP_2)
	v_div_scale_f32 v4, null, v3, v3, 1.0
	v_div_scale_f32 v8, vcc_lo, 1.0, v3, 1.0
	v_rcp_f32_e32 v6, v4
	s_delay_alu instid0(TRANS32_DEP_1) | instskip(NEXT) | instid1(VALU_DEP_1)
	v_fma_f32 v7, -v4, v6, 1.0
	v_fmac_f32_e32 v6, v7, v6
	s_delay_alu instid0(VALU_DEP_1) | instskip(NEXT) | instid1(VALU_DEP_1)
	v_mul_f32_e32 v7, v8, v6
	v_fma_f32 v9, -v4, v7, v8
	s_delay_alu instid0(VALU_DEP_1) | instskip(NEXT) | instid1(VALU_DEP_1)
	v_fmac_f32_e32 v7, v9, v6
	v_fma_f32 v4, -v4, v7, v8
	s_wait_alu 0xfffd
	s_delay_alu instid0(VALU_DEP_1) | instskip(NEXT) | instid1(VALU_DEP_1)
	v_div_fmas_f32 v4, v4, v6, v7
	v_div_fixup_f32 v3, v4, v3, 1.0
	v_mov_b32_e32 v4, v0
.LBB339_35:                             ; =>This Inner Loop Header: Depth=1
	ds_load_b32 v6, v5
	v_add_nc_u32_e32 v4, 0x80, v4
	s_delay_alu instid0(VALU_DEP_1)
	v_cmp_le_i32_e32 vcc_lo, s5, v4
	s_wait_alu 0xfffe
	s_or_b32 s1, vcc_lo, s1
	s_wait_dscnt 0x0
	v_mul_f32_e32 v6, v3, v6
	ds_store_b32 v5, v6
	v_add_nc_u32_e32 v5, 0x200, v5
	s_wait_alu 0xfffe
	s_and_not1_b32 exec_lo, exec_lo, s1
	s_cbranch_execnz .LBB339_35
.LBB339_36:
	s_wait_alu 0xfffe
	s_or_b32 exec_lo, exec_lo, s0
	s_mul_i32 s0, s28, s49
	s_wait_loadcnt_dscnt 0x0
	s_wait_alu 0xfffe
	s_mul_i32 s14, s0, s50
	s_mov_b32 s0, exec_lo
	s_barrier_signal -1
	s_barrier_wait -1
	global_inv scope:SCOPE_SE
	v_cmpx_eq_u32_e32 0, v0
	s_cbranch_execz .LBB339_38
; %bb.37:
	s_wait_alu 0xfffe
	s_ashr_i32 s15, s14, 31
	s_mul_i32 s4, s28, ttmp9
	s_lshl_b32 s1, s48, 2
	s_wait_alu 0xfffe
	s_lshl_b64 s[16:17], s[14:15], 2
	s_ashr_i32 s5, s4, 31
	v_mov_b32_e32 v3, s1
	s_wait_kmcnt 0x0
	s_wait_alu 0xfffe
	s_add_nc_u64 s[10:11], s[10:11], s[16:17]
	s_lshl_b64 s[4:5], s[4:5], 2
	s_add_nc_u64 s[8:9], s[8:9], s[16:17]
	s_wait_alu 0xfffe
	s_add_nc_u64 s[10:11], s[10:11], s[4:5]
	s_add_nc_u64 s[4:5], s[8:9], s[4:5]
	s_clause 0x1
	global_store_b32 v3, v1, s[10:11]
	global_store_b32 v3, v2, s[4:5]
.LBB339_38:
	s_wait_alu 0xfffe
	s_or_b32 exec_lo, exec_lo, s0
	v_dual_mov_b32 v39, 0 :: v_dual_mov_b32 v38, 0
	v_dual_mov_b32 v37, 0 :: v_dual_mov_b32 v36, 0
	;; [unrolled: 1-line block ×8, first 2 shown]
	s_wait_kmcnt 0x0
	s_and_saveexec_b32 s9, s3
	s_cbranch_execz .LBB339_76
; %bb.39:
	s_abs_i32 s10, s30
	v_dual_mov_b32 v18, 0 :: v_dual_lshlrev_b32 v3, 5, v24
	s_wait_alu 0xfffe
	s_cvt_f32_u32 s0, s10
	v_dual_mov_b32 v19, 0 :: v_dual_and_b32 v2, 0xf8, v28
	s_ashr_i32 s39, s38, 31
	s_wait_alu 0xfffe
	v_rcp_iflag_f32_e32 v1, s0
	s_lshl_b64 s[0:1], s[44:45], 2
	s_add_nc_u64 s[4:5], s[6:7], s[38:39]
	s_wait_alu 0xfffe
	s_add_nc_u64 s[0:1], s[42:43], s[0:1]
	s_sub_co_i32 s6, 0, s10
	s_wait_alu 0xfffe
	v_add_co_u32 v9, s0, s0, v29
	s_wait_alu 0xf1ff
	v_add_co_ci_u32_e64 v10, null, s1, 0, s0
	v_add_co_u32 v11, s1, s4, v2
	v_readfirstlane_b32 s3, v1
	v_lshl_or_b32 v1, v25, 6, v3
	v_dual_mov_b32 v17, 0 :: v_dual_and_b32 v40, 8, v28
	s_wait_alu 0xf1ff
	v_add_co_ci_u32_e64 v12, null, s5, 0, s1
	s_mul_f32 s3, s3, 0x4f7ffffe
	v_dual_mov_b32 v21, 0 :: v_dual_add_nc_u32 v28, 0x220, v1
	v_dual_mov_b32 v20, 0 :: v_dual_mov_b32 v31, 0
	s_wait_alu 0xfffe
	s_cvt_u32_f32 s0, s3
	v_dual_mov_b32 v22, 0 :: v_dual_mov_b32 v33, 0
	v_dual_mov_b32 v30, 0 :: v_dual_mov_b32 v35, 0
	s_wait_alu 0xfffe
	s_mul_i32 s6, s6, s0
	v_dual_mov_b32 v32, 0 :: v_dual_mov_b32 v37, 0
	v_dual_mov_b32 v34, 0 :: v_dual_mov_b32 v39, 0
	v_mov_b32_e32 v36, 0
	v_mov_b32_e32 v38, 0
	s_wait_alu 0xfffe
	s_mul_hi_u32 s1, s0, s6
	s_sub_co_i32 s11, s46, s29
	s_mov_b32 s15, s37
	s_add_co_i32 s41, s41, -1
	s_mov_b32 s16, 0
	s_wait_alu 0xfffe
	s_add_co_i32 s17, s0, s1
	s_branch .LBB339_42
.LBB339_40:                             ;   in Loop: Header=BB339_42 Depth=1
	s_wait_alu 0xfffe
	s_or_b32 exec_lo, exec_lo, s0
	s_wait_dscnt 0x1
	v_bfe_u32 v88, v5, 16, 1
	v_or_b32_e32 v89, 0x400000, v5
	v_bfe_u32 v90, v6, 16, 1
	v_cmp_u_f32_e32 vcc_lo, v5, v5
	v_bfe_u32 v91, v7, 16, 1
	v_add3_u32 v88, v88, v5, 0x7fff
	v_or_b32_e32 v92, 0x400000, v6
	v_add3_u32 v90, v90, v6, 0x7fff
	v_or_b32_e32 v93, 0x400000, v7
	v_add3_u32 v91, v91, v7, 0x7fff
	s_wait_alu 0xfffd
	v_cndmask_b32_e32 v5, v88, v89, vcc_lo
	v_cmp_u_f32_e32 vcc_lo, v6, v6
	v_bfe_u32 v88, v8, 16, 1
	s_wait_dscnt 0x0
	v_bfe_u32 v89, v1, 16, 1
	v_lshlrev_b32_e32 v152, 16, v152
	v_lshlrev_b32_e32 v150, 16, v150
	s_wait_alu 0xfffd
	v_cndmask_b32_e32 v6, v90, v92, vcc_lo
	v_cmp_u_f32_e32 vcc_lo, v7, v7
	v_add3_u32 v88, v88, v8, 0x7fff
	v_or_b32_e32 v90, 0x400000, v8
	v_add3_u32 v89, v89, v1, 0x7fff
	v_bfe_u32 v92, v2, 16, 1
	s_wait_alu 0xfffd
	v_cndmask_b32_e32 v7, v91, v93, vcc_lo
	v_cmp_u_f32_e32 vcc_lo, v8, v8
	v_or_b32_e32 v91, 0x400000, v1
	v_lshlrev_b32_e32 v134, 16, v134
	v_lshlrev_b32_e32 v142, 16, v142
	;; [unrolled: 1-line block ×3, first 2 shown]
	s_wait_alu 0xfffd
	v_cndmask_b32_e32 v8, v88, v90, vcc_lo
	v_cmp_u_f32_e32 vcc_lo, v1, v1
	v_or_b32_e32 v90, 0x400000, v2
	v_and_b32_e32 v1, 0xffff0000, v6
	v_lshlrev_b32_e32 v130, 16, v130
	v_lshlrev_b32_e32 v128, 16, v128
	s_wait_alu 0xfffd
	v_cndmask_b32_e32 v88, v89, v91, vcc_lo
	v_add3_u32 v89, v92, v2, 0x7fff
	v_bfe_u32 v91, v3, 16, 1
	v_cmp_u_f32_e32 vcc_lo, v2, v2
	v_lshlrev_b32_e32 v6, 16, v173
	v_and_b32_e32 v5, 0xffff0000, v5
	v_and_b32_e32 v7, 0xffff0000, v7
	v_add3_u32 v2, v91, v3, 0x7fff
	s_wait_alu 0xfffd
	v_cndmask_b32_e32 v89, v89, v90, vcc_lo
	v_or_b32_e32 v90, 0x400000, v3
	v_bfe_u32 v91, v4, 16, 1
	v_mul_f32_e32 v6, v1, v6
	v_cmp_u_f32_e32 vcc_lo, v3, v3
	v_lshlrev_b32_e32 v162, 16, v162
	v_lshlrev_b32_e32 v124, 16, v124
	v_add3_u32 v3, v91, v4, 0x7fff
	v_or_b32_e32 v91, 0x400000, v4
	s_wait_alu 0xfffd
	v_cndmask_b32_e32 v90, v2, v90, vcc_lo
	v_bfe_u32 v93, v6, 16, 1
	v_cmp_u_f32_e32 vcc_lo, v4, v4
	v_lshlrev_b32_e32 v114, 16, v114
	v_lshlrev_b32_e32 v116, 16, v116
	;; [unrolled: 1-line block ×4, first 2 shown]
	s_wait_alu 0xfffd
	v_cndmask_b32_e32 v4, v3, v91, vcc_lo
	v_add3_u32 v3, v93, v6, 0x7fff
	v_or_b32_e32 v91, 0x400000, v6
	v_cmp_u_f32_e32 vcc_lo, v6, v6
	v_lshlrev_b32_e32 v92, 16, v172
	v_mul_f32_e32 v116, v7, v116
	v_lshlrev_b32_e32 v100, 16, v100
	v_lshlrev_b32_e32 v167, 16, v167
	s_wait_alu 0xfffd
	v_dual_cndmask_b32 v91, v3, v91 :: v_dual_mul_f32 v92, v5, v92
	v_and_b32_e32 v3, 0xffff0000, v89
	v_lshlrev_b32_e32 v154, 16, v154
	v_dual_mul_f32 v100, v7, v100 :: v_dual_lshlrev_b32 v67, 16, v67
	s_delay_alu instid0(VALU_DEP_4)
	v_bfe_u32 v93, v92, 16, 1
	v_cmp_u_f32_e32 vcc_lo, v92, v92
	v_lshlrev_b32_e32 v86, 16, v86
	v_and_b32_e32 v91, 0xffff0000, v91
	v_lshlrev_b32_e32 v62, 16, v62
	v_add3_u32 v6, v93, v92, 0x7fff
	v_or_b32_e32 v93, 0x400000, v92
	v_and_b32_e32 v2, 0xffff0000, v8
	v_lshlrev_b32_e32 v8, 16, v171
	v_mul_f32_e32 v86, v5, v86
	s_wait_alu 0xfffd
	v_dual_cndmask_b32 v89, v6, v93 :: v_dual_lshlrev_b32 v82, 16, v82
	v_lshlrev_b32_e32 v126, 16, v126
	v_mul_f32_e32 v94, v2, v8
	v_lshlrev_b32_e32 v80, 16, v80
	v_lshlrev_b32_e32 v78, 16, v78
	v_and_b32_e32 v89, 0xffff0000, v89
	v_and_b32_e32 v4, 0xffff0000, v4
	v_lshlrev_b32_e32 v8, 16, v170
	v_bfe_u32 v96, v94, 16, 1
	v_or_b32_e32 v92, 0x400000, v94
	v_cmp_u_f32_e32 vcc_lo, v94, v94
	s_delay_alu instid0(VALU_DEP_4) | instskip(NEXT) | instid1(VALU_DEP_4)
	v_dual_mul_f32 v167, v4, v167 :: v_dual_mul_f32 v170, v7, v8
	v_add3_u32 v6, v96, v94, 0x7fff
	v_dual_add_f32 v89, v89, v91 :: v_dual_lshlrev_b32 v8, 16, v169
	v_lshlrev_b32_e32 v76, 16, v76
	s_delay_alu instid0(VALU_DEP_4)
	v_bfe_u32 v93, v170, 16, 1
	s_wait_alu 0xfffd
	v_cndmask_b32_e32 v92, v6, v92, vcc_lo
	v_cmp_u_f32_e32 vcc_lo, v170, v170
	v_lshlrev_b32_e32 v113, 16, v113
	v_lshlrev_b32_e32 v99, 16, v99
	v_add3_u32 v6, v93, v170, 0x7fff
	v_or_b32_e32 v93, 0x400000, v170
	v_and_b32_e32 v92, 0xffff0000, v92
	v_bfe_u32 v170, v167, 16, 1
	v_lshlrev_b32_e32 v143, 16, v143
	v_lshlrev_b32_e32 v87, 16, v87
	s_wait_alu 0xfffd
	v_dual_cndmask_b32 v93, v6, v93 :: v_dual_mul_f32 v96, v3, v8
	v_dual_mul_f32 v76, v7, v76 :: v_dual_lshlrev_b32 v85, 16, v85
	v_lshlrev_b32_e32 v70, 16, v70
	s_delay_alu instid0(VALU_DEP_3)
	v_and_b32_e32 v93, 0xffff0000, v93
	v_and_b32_e32 v6, 0xffff0000, v90
	v_bfe_u32 v94, v96, 16, 1
	v_lshlrev_b32_e32 v90, 16, v166
	v_or_b32_e32 v166, 0x400000, v96
	v_add_f32_e32 v91, v93, v92
	v_and_b32_e32 v8, 0xffff0000, v88
	v_add3_u32 v94, v94, v96, 0x7fff
	v_cmp_u_f32_e32 vcc_lo, v96, v96
	v_add3_u32 v96, v170, v167, 0x7fff
	v_add_f32_e32 v89, v91, v89
	v_lshlrev_b32_e32 v91, 16, v165
	v_lshlrev_b32_e32 v88, 16, v168
	s_wait_alu 0xfffd
	v_cndmask_b32_e32 v94, v94, v166, vcc_lo
	v_mul_f32_e32 v154, v7, v154
	v_dual_mul_f32 v152, v8, v152 :: v_dual_mul_f32 v91, v1, v91
	v_mul_f32_e32 v88, v8, v88
	s_delay_alu instid0(VALU_DEP_4)
	v_and_b32_e32 v92, 0xffff0000, v94
	v_mul_f32_e32 v150, v6, v150
	v_mul_f32_e32 v134, v6, v134
	v_mul_f32_e32 v124, v6, v124
	v_bfe_u32 v168, v88, 16, 1
	v_or_b32_e32 v169, 0x400000, v88
	v_cmp_u_f32_e32 vcc_lo, v88, v88
	v_mul_f32_e32 v114, v8, v114
	v_mul_f32_e32 v112, v6, v112
	v_add3_u32 v168, v168, v88, 0x7fff
	v_mul_f32_e32 v82, v8, v82
	v_mul_f32_e32 v80, v6, v80
	;; [unrolled: 1-line block ×3, first 2 shown]
	v_lshlrev_b32_e32 v68, 16, v68
	s_wait_alu 0xfffd
	v_cndmask_b32_e32 v88, v168, v169, vcc_lo
	v_or_b32_e32 v168, 0x400000, v167
	v_lshlrev_b32_e32 v159, 16, v159
	v_lshlrev_b32_e32 v66, 16, v66
	v_mul_f32_e32 v68, v7, v68
	v_and_b32_e32 v88, 0xffff0000, v88
	v_lshlrev_b32_e32 v64, 16, v64
	v_lshlrev_b32_e32 v60, 16, v60
	v_mul_f32_e32 v66, v8, v66
	v_lshlrev_b32_e32 v58, 16, v58
	v_add_f32_e32 v88, v88, v92
	v_lshlrev_b32_e32 v92, 16, v164
	v_mul_f32_e32 v90, v6, v90
	v_mul_f32_e32 v64, v6, v64
	;; [unrolled: 1-line block ×3, first 2 shown]
	s_delay_alu instid0(VALU_DEP_4) | instskip(NEXT) | instid1(VALU_DEP_4)
	v_dual_add_f32 v88, v88, v89 :: v_dual_mul_f32 v89, v5, v92
	v_bfe_u32 v166, v90, 16, 1
	v_or_b32_e32 v169, 0x400000, v90
	v_cmp_u_f32_e32 vcc_lo, v90, v90
	v_lshlrev_b32_e32 v92, 16, v163
	v_bfe_u32 v94, v89, 16, 1
	v_add3_u32 v166, v166, v90, 0x7fff
	v_mul_f32_e32 v58, v8, v58
	v_lshlrev_b32_e32 v56, 16, v56
	v_lshlrev_b32_e32 v54, 16, v54
	v_add3_u32 v94, v94, v89, 0x7fff
	s_wait_alu 0xfffd
	v_cndmask_b32_e32 v90, v166, v169, vcc_lo
	v_cmp_u_f32_e32 vcc_lo, v167, v167
	v_lshlrev_b32_e32 v153, 16, v153
	v_lshlrev_b32_e32 v160, 16, v160
	v_mul_f32_e32 v56, v6, v56
	s_wait_alu 0xfffd
	v_dual_cndmask_b32 v93, v96, v168 :: v_dual_and_b32 v90, 0xffff0000, v90
	v_cmp_u_f32_e32 vcc_lo, v91, v91
	v_or_b32_e32 v96, 0x400000, v89
	v_mul_f32_e32 v153, v3, v153
	v_lshlrev_b32_e32 v151, 16, v151
	v_and_b32_e32 v93, 0xffff0000, v93
	v_dual_mul_f32 v54, v5, v54 :: v_dual_lshlrev_b32 v135, 16, v135
	v_lshlrev_b32_e32 v52, 16, v52
	v_lshlrev_b32_e32 v50, 16, v50
	s_delay_alu instid0(VALU_DEP_4)
	v_add_f32_e32 v90, v90, v93
	v_bfe_u32 v93, v91, 16, 1
	v_lshlrev_b32_e32 v48, 16, v48
	v_mul_f32_e32 v52, v7, v52
	v_mul_f32_e32 v50, v8, v50
	v_add_f32_e32 v88, v90, v88
	v_mul_f32_e32 v90, v2, v92
	v_add3_u32 v92, v93, v91, 0x7fff
	v_or_b32_e32 v93, 0x400000, v91
	v_mul_f32_e32 v48, v6, v48
	v_lshlrev_b32_e32 v46, 16, v46
	v_bfe_u32 v163, v90, 16, 1
	s_wait_alu 0xfffd
	v_dual_cndmask_b32 v91, v92, v93 :: v_dual_lshlrev_b32 v44, 16, v44
	v_cmp_u_f32_e32 vcc_lo, v89, v89
	v_mul_f32_e32 v92, v7, v162
	v_add3_u32 v93, v163, v90, 0x7fff
	v_dual_mul_f32 v151, v4, v151 :: v_dual_lshlrev_b32 v158, 16, v158
	s_wait_alu 0xfffd
	v_cndmask_b32_e32 v89, v94, v96, vcc_lo
	v_or_b32_e32 v94, 0x400000, v90
	v_lshlrev_b32_e32 v96, 16, v161
	v_cmp_u_f32_e32 vcc_lo, v90, v90
	v_bfe_u32 v161, v92, 16, 1
	v_and_b32_e32 v89, 0xffff0000, v89
	v_and_b32_e32 v91, 0xffff0000, v91
	s_wait_alu 0xfffd
	v_dual_cndmask_b32 v90, v93, v94 :: v_dual_lshlrev_b32 v149, 16, v149
	v_mul_f32_e32 v93, v3, v96
	v_mul_f32_e32 v94, v8, v160
	v_add3_u32 v96, v161, v92, 0x7fff
	v_or_b32_e32 v160, 0x400000, v92
	v_cmp_u_f32_e32 vcc_lo, v92, v92
	v_bfe_u32 v161, v93, 16, 1
	v_bfe_u32 v162, v94, 16, 1
	v_dual_add_f32 v89, v89, v91 :: v_dual_and_b32 v90, 0xffff0000, v90
	s_wait_alu 0xfffd
	v_cndmask_b32_e32 v92, v96, v160, vcc_lo
	v_mul_f32_e32 v96, v4, v159
	v_add3_u32 v159, v161, v93, 0x7fff
	v_or_b32_e32 v160, 0x400000, v93
	v_cmp_u_f32_e32 vcc_lo, v93, v93
	v_add3_u32 v161, v162, v94, 0x7fff
	v_or_b32_e32 v162, 0x400000, v94
	v_bfe_u32 v163, v96, 16, 1
	v_and_b32_e32 v92, 0xffff0000, v92
	s_wait_alu 0xfffd
	v_cndmask_b32_e32 v93, v159, v160, vcc_lo
	v_cmp_u_f32_e32 vcc_lo, v94, v94
	v_or_b32_e32 v160, 0x400000, v96
	v_add3_u32 v159, v163, v96, 0x7fff
	v_add_f32_e32 v90, v92, v90
	v_lshlrev_b32_e32 v92, 16, v157
	s_wait_alu 0xfffd
	v_cndmask_b32_e32 v94, v161, v162, vcc_lo
	v_cmp_u_f32_e32 vcc_lo, v96, v96
	v_and_b32_e32 v93, 0xffff0000, v93
	v_dual_add_f32 v89, v90, v89 :: v_dual_mul_f32 v90, v1, v92
	s_wait_alu 0xfffd
	v_dual_cndmask_b32 v96, v159, v160 :: v_dual_and_b32 v91, 0xffff0000, v94
	v_dual_mul_f32 v113, v4, v113 :: v_dual_lshlrev_b32 v138, 16, v138
	v_dual_add_f32 v18, v18, v88 :: v_dual_lshlrev_b32 v137, 16, v137
	s_delay_alu instid0(VALU_DEP_3) | instskip(NEXT) | instid1(VALU_DEP_4)
	v_and_b32_e32 v96, 0xffff0000, v96
	v_dual_mul_f32 v158, v6, v158 :: v_dual_add_f32 v91, v91, v93
	s_delay_alu instid0(VALU_DEP_4) | instskip(SKIP_2) | instid1(VALU_DEP_4)
	v_mul_f32_e32 v138, v7, v138
	v_mul_f32_e32 v46, v5, v46
	v_mul_f32_e32 v44, v7, v44
	v_bfe_u32 v159, v158, 16, 1
	v_or_b32_e32 v157, 0x400000, v158
	v_cmp_u_f32_e32 vcc_lo, v158, v158
	v_dual_add_f32 v89, v91, v89 :: v_dual_lshlrev_b32 v42, 16, v42
	s_delay_alu instid0(VALU_DEP_4)
	v_add3_u32 v94, v159, v158, 0x7fff
	v_bfe_u32 v159, v150, 16, 1
	v_bfe_u32 v158, v151, 16, 1
	v_lshlrev_b32_e32 v14, 16, v14
	s_wait_alu 0xfffd
	v_dual_mul_f32 v42, v8, v42 :: v_dual_cndmask_b32 v93, v94, v157
	v_bfe_u32 v94, v90, 16, 1
	v_cmp_u_f32_e32 vcc_lo, v90, v90
	v_or_b32_e32 v157, 0x400000, v152
	v_mul_f32_e32 v135, v4, v135
	v_and_b32_e32 v93, 0xffff0000, v93
	v_add3_u32 v94, v94, v90, 0x7fff
	v_mul_f32_e32 v137, v3, v137
	v_lshlrev_b32_e32 v115, 16, v115
	v_lshlrev_b32_e32 v111, 16, v111
	v_add_f32_e32 v93, v93, v96
	v_lshlrev_b32_e32 v96, 16, v148
	v_lshlrev_b32_e32 v105, 16, v105
	v_mul_f32_e32 v115, v3, v115
	v_mul_f32_e32 v99, v3, v99
	v_add_f32_e32 v89, v93, v89
	v_mul_f32_e32 v93, v5, v96
	v_lshlrev_b32_e32 v92, 16, v156
	v_lshlrev_b32_e32 v96, 16, v146
	;; [unrolled: 1-line block ×3, first 2 shown]
	v_add_f32_e32 v19, v19, v89
	v_bfe_u32 v89, v93, 16, 1
	v_mul_f32_e32 v91, v5, v92
	v_lshlrev_b32_e32 v95, 16, v95
	v_mul_f32_e32 v97, v4, v97
	v_mul_f32_e32 v87, v1, v87
	v_add3_u32 v89, v89, v93, 0x7fff
	v_lshlrev_b32_e32 v92, 16, v155
	v_or_b32_e32 v155, 0x400000, v90
	v_bfe_u32 v156, v91, 16, 1
	v_mul_f32_e32 v95, v6, v95
	s_delay_alu instid0(VALU_DEP_4)
	v_dual_mul_f32 v92, v2, v92 :: v_dual_lshlrev_b32 v79, 16, v79
	s_wait_alu 0xfffd
	v_cndmask_b32_e32 v90, v94, v155, vcc_lo
	v_add3_u32 v94, v156, v91, 0x7fff
	v_or_b32_e32 v155, 0x400000, v91
	v_cmp_u_f32_e32 vcc_lo, v91, v91
	v_bfe_u32 v156, v92, 16, 1
	v_and_b32_e32 v90, 0xffff0000, v90
	v_lshlrev_b32_e32 v75, 16, v75
	v_mul_f32_e32 v85, v2, v85
	s_wait_alu 0xfffd
	v_cndmask_b32_e32 v91, v94, v155, vcc_lo
	v_add3_u32 v94, v156, v92, 0x7fff
	v_or_b32_e32 v155, 0x400000, v92
	v_bfe_u32 v156, v154, 16, 1
	v_cmp_u_f32_e32 vcc_lo, v92, v92
	v_and_b32_e32 v91, 0xffff0000, v91
	v_lshlrev_b32_e32 v83, 16, v83
	v_lshlrev_b32_e32 v81, 16, v81
	v_mul_f32_e32 v79, v1, v79
	s_wait_alu 0xfffd
	v_cndmask_b32_e32 v92, v94, v155, vcc_lo
	v_add3_u32 v94, v156, v154, 0x7fff
	v_or_b32_e32 v155, 0x400000, v154
	v_bfe_u32 v156, v153, 16, 1
	v_cmp_u_f32_e32 vcc_lo, v154, v154
	v_bfe_u32 v154, v152, 16, 1
	v_and_b32_e32 v92, 0xffff0000, v92
	v_add_f32_e32 v90, v91, v90
	v_mul_f32_e32 v83, v3, v83
	s_wait_alu 0xfffd
	v_cndmask_b32_e32 v94, v94, v155, vcc_lo
	v_add3_u32 v155, v156, v153, 0x7fff
	v_or_b32_e32 v156, 0x400000, v153
	v_cmp_u_f32_e32 vcc_lo, v153, v153
	v_add3_u32 v154, v154, v152, 0x7fff
	v_dual_mul_f32 v81, v4, v81 :: v_dual_and_b32 v94, 0xffff0000, v94
	v_lshlrev_b32_e32 v77, 16, v77
	s_wait_alu 0xfffd
	v_cndmask_b32_e32 v153, v155, v156, vcc_lo
	v_cmp_u_f32_e32 vcc_lo, v152, v152
	v_add3_u32 v155, v159, v150, 0x7fff
	v_or_b32_e32 v156, 0x400000, v150
	s_delay_alu instid0(VALU_DEP_4)
	v_dual_add_f32 v91, v94, v92 :: v_dual_and_b32 v94, 0xffff0000, v153
	s_wait_alu 0xfffd
	v_cndmask_b32_e32 v152, v154, v157, vcc_lo
	v_cmp_u_f32_e32 vcc_lo, v150, v150
	v_add3_u32 v154, v158, v151, 0x7fff
	v_or_b32_e32 v157, 0x400000, v151
	v_add_f32_e32 v90, v91, v90
	v_and_b32_e32 v92, 0xffff0000, v152
	s_wait_alu 0xfffd
	v_cndmask_b32_e32 v150, v155, v156, vcc_lo
	v_cmp_u_f32_e32 vcc_lo, v151, v151
	v_mul_f32_e32 v77, v2, v77
	v_mul_f32_e32 v75, v3, v75
	v_add_f32_e32 v91, v92, v94
	s_wait_alu 0xfffd
	v_dual_cndmask_b32 v151, v154, v157 :: v_dual_and_b32 v92, 0xffff0000, v150
	v_lshlrev_b32_e32 v73, 16, v73
	s_delay_alu instid0(VALU_DEP_3) | instskip(SKIP_1) | instid1(VALU_DEP_3)
	v_dual_add_f32 v90, v91, v90 :: v_dual_lshlrev_b32 v71, 16, v71
	v_mul_f32_e32 v67, v3, v67
	v_dual_mul_f32 v73, v4, v73 :: v_dual_and_b32 v94, 0xffff0000, v151
	s_delay_alu instid0(VALU_DEP_3) | instskip(SKIP_2) | instid1(VALU_DEP_4)
	v_mul_f32_e32 v71, v1, v71
	v_lshlrev_b32_e32 v69, 16, v69
	v_lshlrev_b32_e32 v65, 16, v65
	v_dual_add_f32 v91, v92, v94 :: v_dual_mul_f32 v92, v1, v149
	v_or_b32_e32 v94, 0x400000, v93
	s_delay_alu instid0(VALU_DEP_4) | instskip(NEXT) | instid1(VALU_DEP_3)
	v_dual_mul_f32 v69, v2, v69 :: v_dual_lshlrev_b32 v98, 16, v98
	v_dual_mul_f32 v65, v4, v65 :: v_dual_add_f32 v88, v91, v90
	s_delay_alu instid0(VALU_DEP_4) | instskip(SKIP_2) | instid1(VALU_DEP_4)
	v_bfe_u32 v90, v92, 16, 1
	v_lshlrev_b32_e32 v91, 16, v147
	v_cmp_u_f32_e32 vcc_lo, v92, v92
	v_dual_add_f32 v20, v20, v88 :: v_dual_lshlrev_b32 v63, 16, v63
	s_delay_alu instid0(VALU_DEP_4) | instskip(SKIP_2) | instid1(VALU_DEP_4)
	v_add3_u32 v88, v90, v92, 0x7fff
	v_or_b32_e32 v90, 0x400000, v92
	v_dual_mul_f32 v91, v2, v91 :: v_dual_mul_f32 v92, v7, v96
	v_dual_mul_f32 v63, v1, v63 :: v_dual_lshlrev_b32 v96, 16, v144
	s_wait_alu 0xfffd
	s_delay_alu instid0(VALU_DEP_3) | instskip(NEXT) | instid1(VALU_DEP_3)
	v_cndmask_b32_e32 v88, v88, v90, vcc_lo
	v_bfe_u32 v90, v91, 16, 1
	v_cmp_u_f32_e32 vcc_lo, v93, v93
	v_lshlrev_b32_e32 v93, 16, v145
	v_bfe_u32 v144, v92, 16, 1
	v_and_b32_e32 v88, 0xffff0000, v88
	v_add3_u32 v90, v90, v91, 0x7fff
	s_wait_alu 0xfffd
	v_cndmask_b32_e32 v89, v89, v94, vcc_lo
	v_or_b32_e32 v94, 0x400000, v91
	v_mul_f32_e32 v93, v3, v93
	v_cmp_u_f32_e32 vcc_lo, v91, v91
	v_mul_f32_e32 v91, v8, v96
	v_or_b32_e32 v96, 0x400000, v92
	v_and_b32_e32 v89, 0xffff0000, v89
	s_wait_alu 0xfffd
	v_dual_cndmask_b32 v90, v90, v94 :: v_dual_lshlrev_b32 v59, 16, v59
	v_add3_u32 v94, v144, v92, 0x7fff
	v_bfe_u32 v144, v93, 16, 1
	v_cmp_u_f32_e32 vcc_lo, v92, v92
	v_bfe_u32 v145, v91, 16, 1
	v_and_b32_e32 v90, 0xffff0000, v90
	v_add_f32_e32 v88, v89, v88
	v_dual_mul_f32 v59, v3, v59 :: v_dual_lshlrev_b32 v84, 16, v84
	s_wait_alu 0xfffd
	v_cndmask_b32_e32 v92, v94, v96, vcc_lo
	v_add3_u32 v94, v144, v93, 0x7fff
	v_mul_f32_e32 v96, v4, v143
	v_or_b32_e32 v143, 0x400000, v93
	v_cmp_u_f32_e32 vcc_lo, v93, v93
	v_add3_u32 v144, v145, v91, 0x7fff
	v_or_b32_e32 v145, 0x400000, v91
	v_bfe_u32 v146, v96, 16, 1
	s_wait_alu 0xfffd
	v_dual_cndmask_b32 v93, v94, v143 :: v_dual_and_b32 v92, 0xffff0000, v92
	v_mul_f32_e32 v94, v6, v142
	v_cmp_u_f32_e32 vcc_lo, v91, v91
	v_add3_u32 v142, v146, v96, 0x7fff
	v_or_b32_e32 v143, 0x400000, v96
	v_dual_add_f32 v89, v92, v90 :: v_dual_and_b32 v92, 0xffff0000, v93
	s_wait_alu 0xfffd
	v_cndmask_b32_e32 v91, v144, v145, vcc_lo
	v_bfe_u32 v144, v94, 16, 1
	v_cmp_u_f32_e32 vcc_lo, v96, v96
	v_dual_add_f32 v88, v89, v88 :: v_dual_lshlrev_b32 v57, 16, v57
	s_delay_alu instid0(VALU_DEP_4)
	v_and_b32_e32 v90, 0xffff0000, v91
	s_wait_alu 0xfffd
	v_dual_cndmask_b32 v96, v142, v143 :: v_dual_lshlrev_b32 v91, 16, v141
	v_add3_u32 v142, v144, v94, 0x7fff
	v_or_b32_e32 v143, 0x400000, v94
	v_cmp_u_f32_e32 vcc_lo, v94, v94
	s_delay_alu instid0(VALU_DEP_4)
	v_dual_mul_f32 v89, v1, v91 :: v_dual_add_f32 v90, v90, v92
	v_lshlrev_b32_e32 v91, 16, v140
	v_bfe_u32 v140, v135, 16, 1
	s_wait_alu 0xfffd
	v_cndmask_b32_e32 v93, v142, v143, vcc_lo
	v_bfe_u32 v94, v89, 16, 1
	v_add_f32_e32 v88, v90, v88
	v_mul_f32_e32 v90, v5, v91
	v_lshlrev_b32_e32 v91, 16, v139
	v_and_b32_e32 v92, 0xffff0000, v93
	v_and_b32_e32 v93, 0xffff0000, v96
	v_cmp_u_f32_e32 vcc_lo, v89, v89
	v_bfe_u32 v96, v90, 16, 1
	v_dual_mul_f32 v91, v2, v91 :: v_dual_mul_f32 v84, v7, v84
	v_mul_f32_e32 v57, v4, v57
	v_add_f32_e32 v92, v92, v93
	v_add3_u32 v93, v94, v89, 0x7fff
	v_or_b32_e32 v94, 0x400000, v89
	v_lshlrev_b32_e32 v53, 16, v53
	s_delay_alu instid0(VALU_DEP_4)
	v_dual_add_f32 v88, v92, v88 :: v_dual_lshlrev_b32 v55, 16, v55
	v_lshlrev_b32_e32 v49, 16, v49
	s_wait_alu 0xfffd
	v_cndmask_b32_e32 v89, v93, v94, vcc_lo
	v_add3_u32 v93, v96, v90, 0x7fff
	v_or_b32_e32 v94, 0x400000, v90
	v_bfe_u32 v96, v91, 16, 1
	v_cmp_u_f32_e32 vcc_lo, v90, v90
	v_and_b32_e32 v89, 0xffff0000, v89
	v_add_f32_e32 v21, v21, v88
	v_mul_f32_e32 v53, v2, v53
	v_mul_f32_e32 v55, v1, v55
	s_wait_alu 0xfffd
	v_cndmask_b32_e32 v90, v93, v94, vcc_lo
	v_add3_u32 v93, v96, v91, 0x7fff
	v_or_b32_e32 v94, 0x400000, v91
	v_bfe_u32 v96, v138, 16, 1
	v_cmp_u_f32_e32 vcc_lo, v91, v91
	v_and_b32_e32 v90, 0xffff0000, v90
	v_dual_mul_f32 v78, v5, v78 :: v_dual_mul_f32 v49, v4, v49
	v_lshlrev_b32_e32 v51, 16, v51
	s_wait_alu 0xfffd
	v_cndmask_b32_e32 v91, v93, v94, vcc_lo
	v_add3_u32 v93, v96, v138, 0x7fff
	v_or_b32_e32 v94, 0x400000, v138
	v_mul_f32_e32 v96, v8, v136
	v_bfe_u32 v136, v137, 16, 1
	v_cmp_u_f32_e32 vcc_lo, v138, v138
	v_or_b32_e32 v138, 0x400000, v137
	v_and_b32_e32 v91, 0xffff0000, v91
	v_or_b32_e32 v139, 0x400000, v96
	v_add3_u32 v136, v136, v137, 0x7fff
	s_wait_alu 0xfffd
	v_cndmask_b32_e32 v93, v93, v94, vcc_lo
	v_bfe_u32 v94, v96, 16, 1
	v_cmp_u_f32_e32 vcc_lo, v137, v137
	v_bfe_u32 v137, v134, 16, 1
	v_add_f32_e32 v89, v90, v89
	v_and_b32_e32 v93, 0xffff0000, v93
	v_add3_u32 v94, v94, v96, 0x7fff
	s_wait_alu 0xfffd
	v_cndmask_b32_e32 v136, v136, v138, vcc_lo
	v_cmp_u_f32_e32 vcc_lo, v96, v96
	v_add3_u32 v137, v137, v134, 0x7fff
	v_add3_u32 v96, v140, v135, 0x7fff
	v_or_b32_e32 v138, 0x400000, v135
	v_add_f32_e32 v90, v93, v91
	s_wait_alu 0xfffd
	v_cndmask_b32_e32 v94, v94, v139, vcc_lo
	v_or_b32_e32 v139, 0x400000, v134
	v_cmp_u_f32_e32 vcc_lo, v134, v134
	v_and_b32_e32 v93, 0xffff0000, v136
	v_add_f32_e32 v89, v90, v89
	v_and_b32_e32 v91, 0xffff0000, v94
	v_mul_f32_e32 v51, v3, v51
	s_wait_alu 0xfffd
	v_cndmask_b32_e32 v94, v137, v139, vcc_lo
	v_cmp_u_f32_e32 vcc_lo, v135, v135
	v_dual_add_f32 v90, v91, v93 :: v_dual_lshlrev_b32 v47, 16, v47
	v_lshlrev_b32_e32 v91, 16, v133
	s_delay_alu instid0(VALU_DEP_4) | instskip(SKIP_4) | instid1(VALU_DEP_3)
	v_and_b32_e32 v93, 0xffff0000, v94
	s_wait_alu 0xfffd
	v_cndmask_b32_e32 v96, v96, v138, vcc_lo
	v_dual_add_f32 v89, v90, v89 :: v_dual_lshlrev_b32 v94, 16, v132
	v_dual_mul_f32 v91, v1, v91 :: v_dual_lshlrev_b32 v74, 16, v74
	v_dual_mul_f32 v47, v1, v47 :: v_dual_and_b32 v96, 0xffff0000, v96
	s_delay_alu instid0(VALU_DEP_3) | instskip(NEXT) | instid1(VALU_DEP_3)
	v_mul_f32_e32 v90, v5, v94
	v_bfe_u32 v94, v91, 16, 1
	v_cmp_u_f32_e32 vcc_lo, v91, v91
	v_mul_f32_e32 v74, v8, v74
	v_dual_add_f32 v92, v93, v96 :: v_dual_lshlrev_b32 v93, 16, v131
	v_bfe_u32 v88, v90, 16, 1
	v_or_b32_e32 v96, 0x400000, v90
	v_lshlrev_b32_e32 v45, 16, v45
	s_delay_alu instid0(VALU_DEP_4)
	v_add_f32_e32 v89, v92, v89
	v_mul_f32_e32 v92, v2, v93
	v_add3_u32 v93, v94, v91, 0x7fff
	v_or_b32_e32 v94, 0x400000, v91
	v_add3_u32 v88, v88, v90, 0x7fff
	v_add_f32_e32 v22, v22, v89
	v_bfe_u32 v131, v92, 16, 1
	v_dual_mul_f32 v45, v2, v45 :: v_dual_lshlrev_b32 v72, 16, v72
	s_wait_alu 0xfffd
	v_cndmask_b32_e32 v91, v93, v94, vcc_lo
	v_cmp_u_f32_e32 vcc_lo, v90, v90
	v_mul_f32_e32 v90, v7, v130
	v_add3_u32 v93, v131, v92, 0x7fff
	v_or_b32_e32 v94, 0x400000, v92
	s_wait_alu 0xfffd
	v_dual_cndmask_b32 v88, v88, v96 :: v_dual_and_b32 v91, 0xffff0000, v91
	v_lshlrev_b32_e32 v96, 16, v129
	v_cmp_u_f32_e32 vcc_lo, v92, v92
	v_bfe_u32 v129, v90, 16, 1
	v_mul_f32_e32 v72, v6, v72
	v_and_b32_e32 v88, 0xffff0000, v88
	s_wait_alu 0xfffd
	v_dual_cndmask_b32 v92, v93, v94 :: v_dual_lshlrev_b32 v43, 16, v43
	v_mul_f32_e32 v93, v3, v96
	v_mul_f32_e32 v94, v8, v128
	v_add3_u32 v96, v129, v90, 0x7fff
	v_or_b32_e32 v128, 0x400000, v90
	v_cmp_u_f32_e32 vcc_lo, v90, v90
	v_bfe_u32 v129, v93, 16, 1
	v_bfe_u32 v130, v94, 16, 1
	v_and_b32_e32 v92, 0xffff0000, v92
	v_add_f32_e32 v88, v88, v91
	s_wait_alu 0xfffd
	v_cndmask_b32_e32 v90, v96, v128, vcc_lo
	v_mul_f32_e32 v96, v4, v126
	v_add3_u32 v126, v129, v93, 0x7fff
	v_or_b32_e32 v128, 0x400000, v93
	v_cmp_u_f32_e32 vcc_lo, v93, v93
	v_add3_u32 v129, v130, v94, 0x7fff
	v_or_b32_e32 v130, 0x400000, v94
	v_bfe_u32 v131, v96, 16, 1
	s_wait_alu 0xfffd
	v_dual_cndmask_b32 v93, v126, v128 :: v_dual_and_b32 v90, 0xffff0000, v90
	v_cmp_u_f32_e32 vcc_lo, v94, v94
	v_or_b32_e32 v128, 0x400000, v96
	v_add3_u32 v126, v131, v96, 0x7fff
	s_delay_alu instid0(VALU_DEP_4)
	v_add_f32_e32 v90, v90, v92
	v_lshlrev_b32_e32 v92, 16, v119
	s_wait_alu 0xfffd
	v_cndmask_b32_e32 v94, v129, v130, vcc_lo
	v_cmp_u_f32_e32 vcc_lo, v96, v96
	v_and_b32_e32 v93, 0xffff0000, v93
	v_or_b32_e32 v119, 0x400000, v124
	s_delay_alu instid0(VALU_DEP_4)
	v_dual_add_f32 v88, v90, v88 :: v_dual_and_b32 v91, 0xffff0000, v94
	s_wait_alu 0xfffd
	v_cndmask_b32_e32 v96, v126, v128, vcc_lo
	v_bfe_u32 v126, v124, 16, 1
	v_mul_f32_e32 v90, v1, v92
	v_dual_add_f32 v91, v91, v93 :: v_dual_lshlrev_b32 v92, 16, v118
	v_cmp_u_f32_e32 vcc_lo, v124, v124
	s_delay_alu instid0(VALU_DEP_4)
	v_add3_u32 v94, v126, v124, 0x7fff
	v_bfe_u32 v126, v112, 16, 1
	v_bfe_u32 v124, v113, 16, 1
	v_add_f32_e32 v88, v91, v88
	v_mul_f32_e32 v91, v5, v92
	s_wait_alu 0xfffd
	v_cndmask_b32_e32 v93, v94, v119, vcc_lo
	v_bfe_u32 v94, v90, 16, 1
	v_lshlrev_b32_e32 v92, 16, v117
	v_or_b32_e32 v117, 0x400000, v90
	v_bfe_u32 v118, v91, 16, 1
	v_cmp_u_f32_e32 vcc_lo, v90, v90
	v_add3_u32 v94, v94, v90, 0x7fff
	v_mul_f32_e32 v92, v2, v92
	v_or_b32_e32 v119, 0x400000, v114
	v_and_b32_e32 v93, 0xffff0000, v93
	v_and_b32_e32 v96, 0xffff0000, v96
	s_wait_alu 0xfffd
	v_cndmask_b32_e32 v90, v94, v117, vcc_lo
	v_add3_u32 v94, v118, v91, 0x7fff
	v_or_b32_e32 v117, 0x400000, v91
	v_bfe_u32 v118, v92, 16, 1
	v_cmp_u_f32_e32 vcc_lo, v91, v91
	v_dual_add_f32 v93, v93, v96 :: v_dual_and_b32 v90, 0xffff0000, v90
	v_dual_mul_f32 v43, v3, v43 :: v_dual_lshlrev_b32 v96, 16, v110
	s_wait_alu 0xfffd
	v_cndmask_b32_e32 v91, v94, v117, vcc_lo
	v_add3_u32 v94, v118, v92, 0x7fff
	v_or_b32_e32 v117, 0x400000, v92
	v_bfe_u32 v118, v116, 16, 1
	v_cmp_u_f32_e32 vcc_lo, v92, v92
	v_dual_add_f32 v88, v93, v88 :: v_dual_and_b32 v91, 0xffff0000, v91
	v_mul_f32_e32 v93, v5, v96
	v_lshlrev_b32_e32 v96, 16, v108
	s_wait_alu 0xfffd
	v_cndmask_b32_e32 v92, v94, v117, vcc_lo
	v_add3_u32 v94, v118, v116, 0x7fff
	v_or_b32_e32 v117, 0x400000, v116
	v_bfe_u32 v118, v115, 16, 1
	v_cmp_u_f32_e32 vcc_lo, v116, v116
	v_bfe_u32 v116, v114, 16, 1
	v_and_b32_e32 v92, 0xffff0000, v92
	v_add_f32_e32 v90, v91, v90
	v_add_f32_e32 v30, v30, v88
	s_wait_alu 0xfffd
	v_cndmask_b32_e32 v94, v94, v117, vcc_lo
	v_add3_u32 v117, v118, v115, 0x7fff
	v_or_b32_e32 v118, 0x400000, v115
	v_cmp_u_f32_e32 vcc_lo, v115, v115
	v_add3_u32 v116, v116, v114, 0x7fff
	v_and_b32_e32 v94, 0xffff0000, v94
	v_bfe_u32 v88, v93, 16, 1
	v_lshlrev_b32_e32 v41, 16, v41
	s_wait_alu 0xfffd
	v_cndmask_b32_e32 v115, v117, v118, vcc_lo
	v_cmp_u_f32_e32 vcc_lo, v114, v114
	v_add3_u32 v117, v126, v112, 0x7fff
	v_or_b32_e32 v118, 0x400000, v112
	s_delay_alu instid0(VALU_DEP_4)
	v_dual_add_f32 v91, v94, v92 :: v_dual_and_b32 v94, 0xffff0000, v115
	s_wait_alu 0xfffd
	v_cndmask_b32_e32 v114, v116, v119, vcc_lo
	v_cmp_u_f32_e32 vcc_lo, v112, v112
	v_add3_u32 v116, v124, v113, 0x7fff
	v_or_b32_e32 v119, 0x400000, v113
	v_add_f32_e32 v90, v91, v90
	v_and_b32_e32 v92, 0xffff0000, v114
	s_wait_alu 0xfffd
	v_cndmask_b32_e32 v112, v117, v118, vcc_lo
	v_cmp_u_f32_e32 vcc_lo, v113, v113
	v_add3_u32 v88, v88, v93, 0x7fff
	v_mul_f32_e32 v41, v4, v41
	s_delay_alu instid0(VALU_DEP_4) | instskip(SKIP_3) | instid1(VALU_DEP_3)
	v_dual_add_f32 v91, v92, v94 :: v_dual_and_b32 v92, 0xffff0000, v112
	s_wait_alu 0xfffd
	v_cndmask_b32_e32 v113, v116, v119, vcc_lo
	v_lshlrev_b32_e32 v29, 16, v29
	v_dual_add_f32 v90, v91, v90 :: v_dual_lshlrev_b32 v13, 16, v13
	s_delay_alu instid0(VALU_DEP_3) | instskip(NEXT) | instid1(VALU_DEP_3)
	v_and_b32_e32 v94, 0xffff0000, v113
	v_mul_f32_e32 v29, v6, v29
	s_delay_alu instid0(VALU_DEP_2) | instskip(SKIP_1) | instid1(VALU_DEP_2)
	v_dual_add_f32 v91, v92, v94 :: v_dual_mul_f32 v92, v1, v111
	v_or_b32_e32 v94, 0x400000, v93
	v_add_f32_e32 v89, v91, v90
	s_delay_alu instid0(VALU_DEP_3) | instskip(SKIP_2) | instid1(VALU_DEP_4)
	v_bfe_u32 v90, v92, 16, 1
	v_lshlrev_b32_e32 v91, 16, v109
	v_cmp_u_f32_e32 vcc_lo, v92, v92
	v_add_f32_e32 v31, v31, v89
	s_delay_alu instid0(VALU_DEP_4) | instskip(SKIP_4) | instid1(VALU_DEP_3)
	v_add3_u32 v89, v90, v92, 0x7fff
	v_or_b32_e32 v90, 0x400000, v92
	v_dual_mul_f32 v91, v2, v91 :: v_dual_mul_f32 v92, v7, v96
	v_lshlrev_b32_e32 v96, 16, v106
	s_wait_alu 0xfffd
	v_cndmask_b32_e32 v89, v89, v90, vcc_lo
	s_delay_alu instid0(VALU_DEP_3)
	v_bfe_u32 v90, v91, 16, 1
	v_cmp_u_f32_e32 vcc_lo, v93, v93
	v_lshlrev_b32_e32 v93, 16, v107
	v_bfe_u32 v106, v92, 16, 1
	v_and_b32_e32 v89, 0xffff0000, v89
	v_add3_u32 v90, v90, v91, 0x7fff
	s_wait_alu 0xfffd
	v_cndmask_b32_e32 v88, v88, v94, vcc_lo
	v_or_b32_e32 v94, 0x400000, v91
	v_mul_f32_e32 v93, v3, v93
	v_cmp_u_f32_e32 vcc_lo, v91, v91
	v_mul_f32_e32 v91, v8, v96
	v_or_b32_e32 v96, 0x400000, v92
	v_and_b32_e32 v88, 0xffff0000, v88
	s_wait_alu 0xfffd
	v_cndmask_b32_e32 v90, v90, v94, vcc_lo
	v_add3_u32 v94, v106, v92, 0x7fff
	v_bfe_u32 v106, v93, 16, 1
	v_cmp_u_f32_e32 vcc_lo, v92, v92
	v_bfe_u32 v107, v91, 16, 1
	v_and_b32_e32 v90, 0xffff0000, v90
	v_add_f32_e32 v88, v88, v89
	s_wait_alu 0xfffd
	v_cndmask_b32_e32 v92, v94, v96, vcc_lo
	v_add3_u32 v94, v106, v93, 0x7fff
	v_mul_f32_e32 v96, v4, v105
	v_or_b32_e32 v105, 0x400000, v93
	v_cmp_u_f32_e32 vcc_lo, v93, v93
	v_add3_u32 v106, v107, v91, 0x7fff
	v_or_b32_e32 v107, 0x400000, v91
	v_bfe_u32 v108, v96, 16, 1
	s_wait_alu 0xfffd
	v_dual_cndmask_b32 v93, v94, v105 :: v_dual_and_b32 v92, 0xffff0000, v92
	v_cmp_u_f32_e32 vcc_lo, v91, v91
	v_mul_f32_e32 v94, v6, v104
	v_add3_u32 v104, v108, v96, 0x7fff
	v_or_b32_e32 v105, 0x400000, v96
	v_add_f32_e32 v89, v92, v90
	s_wait_alu 0xfffd
	v_cndmask_b32_e32 v91, v106, v107, vcc_lo
	v_cmp_u_f32_e32 vcc_lo, v96, v96
	v_bfe_u32 v106, v94, 16, 1
	v_and_b32_e32 v92, 0xffff0000, v93
	v_add_f32_e32 v88, v89, v88
	v_and_b32_e32 v90, 0xffff0000, v91
	s_wait_alu 0xfffd
	v_cndmask_b32_e32 v96, v104, v105, vcc_lo
	v_add3_u32 v104, v106, v94, 0x7fff
	v_or_b32_e32 v105, 0x400000, v94
	v_lshlrev_b32_e32 v91, 16, v103
	v_cmp_u_f32_e32 vcc_lo, v94, v94
	v_add_f32_e32 v90, v90, v92
	v_mul_f32_e32 v6, v6, v14
	s_delay_alu instid0(VALU_DEP_4)
	v_dual_mul_f32 v4, v4, v13 :: v_dual_mul_f32 v89, v1, v91
	s_wait_alu 0xfffd
	v_cndmask_b32_e32 v93, v104, v105, vcc_lo
	v_dual_add_f32 v88, v90, v88 :: v_dual_lshlrev_b32 v91, 16, v102
	v_bfe_u32 v102, v97, 16, 1
	v_bfe_u32 v94, v89, 16, 1
	s_delay_alu instid0(VALU_DEP_4) | instskip(NEXT) | instid1(VALU_DEP_4)
	v_and_b32_e32 v92, 0xffff0000, v93
	v_dual_mul_f32 v90, v5, v91 :: v_dual_and_b32 v93, 0xffff0000, v96
	v_lshlrev_b32_e32 v91, 16, v101
	v_cmp_u_f32_e32 vcc_lo, v89, v89
	s_delay_alu instid0(VALU_DEP_3) | instskip(SKIP_3) | instid1(VALU_DEP_4)
	v_add_f32_e32 v92, v92, v93
	v_add3_u32 v93, v94, v89, 0x7fff
	v_or_b32_e32 v94, 0x400000, v89
	v_bfe_u32 v96, v90, 16, 1
	v_dual_mul_f32 v91, v2, v91 :: v_dual_add_f32 v88, v92, v88
	v_or_b32_e32 v92, 0x400000, v86
	s_wait_alu 0xfffd
	v_cndmask_b32_e32 v89, v93, v94, vcc_lo
	v_add3_u32 v93, v96, v90, 0x7fff
	v_or_b32_e32 v94, 0x400000, v90
	v_bfe_u32 v96, v91, 16, 1
	v_cmp_u_f32_e32 vcc_lo, v90, v90
	v_dual_add_f32 v32, v32, v88 :: v_dual_and_b32 v89, 0xffff0000, v89
	v_bfe_u32 v88, v86, 16, 1
	s_wait_alu 0xfffd
	v_cndmask_b32_e32 v90, v93, v94, vcc_lo
	v_add3_u32 v93, v96, v91, 0x7fff
	v_or_b32_e32 v94, 0x400000, v91
	v_bfe_u32 v96, v100, 16, 1
	v_cmp_u_f32_e32 vcc_lo, v91, v91
	v_and_b32_e32 v90, 0xffff0000, v90
	v_add3_u32 v88, v88, v86, 0x7fff
	s_wait_alu 0xfffd
	v_cndmask_b32_e32 v91, v93, v94, vcc_lo
	v_add3_u32 v93, v96, v100, 0x7fff
	v_or_b32_e32 v94, 0x400000, v100
	v_mul_f32_e32 v96, v8, v98
	v_bfe_u32 v98, v99, 16, 1
	v_cmp_u_f32_e32 vcc_lo, v100, v100
	v_or_b32_e32 v100, 0x400000, v99
	v_and_b32_e32 v91, 0xffff0000, v91
	v_or_b32_e32 v101, 0x400000, v96
	v_add3_u32 v98, v98, v99, 0x7fff
	s_wait_alu 0xfffd
	v_cndmask_b32_e32 v93, v93, v94, vcc_lo
	v_bfe_u32 v94, v96, 16, 1
	v_cmp_u_f32_e32 vcc_lo, v99, v99
	v_bfe_u32 v99, v95, 16, 1
	v_add_f32_e32 v89, v90, v89
	v_and_b32_e32 v93, 0xffff0000, v93
	v_add3_u32 v94, v94, v96, 0x7fff
	s_wait_alu 0xfffd
	v_cndmask_b32_e32 v98, v98, v100, vcc_lo
	v_cmp_u_f32_e32 vcc_lo, v96, v96
	v_add3_u32 v99, v99, v95, 0x7fff
	v_add3_u32 v96, v102, v97, 0x7fff
	v_or_b32_e32 v100, 0x400000, v97
	v_add_f32_e32 v90, v93, v91
	s_wait_alu 0xfffd
	v_cndmask_b32_e32 v94, v94, v101, vcc_lo
	v_or_b32_e32 v101, 0x400000, v95
	v_cmp_u_f32_e32 vcc_lo, v95, v95
	v_and_b32_e32 v93, 0xffff0000, v98
	v_add_f32_e32 v89, v90, v89
	s_wait_alu 0xfffd
	v_dual_cndmask_b32 v94, v99, v101 :: v_dual_and_b32 v91, 0xffff0000, v94
	v_cmp_u_f32_e32 vcc_lo, v97, v97
	s_delay_alu instid0(VALU_DEP_2) | instskip(SKIP_3) | instid1(VALU_DEP_3)
	v_dual_add_f32 v90, v91, v93 :: v_dual_and_b32 v91, 0xffff0000, v94
	s_wait_alu 0xfffd
	v_cndmask_b32_e32 v95, v96, v100, vcc_lo
	v_cmp_u_f32_e32 vcc_lo, v87, v87
	v_add_f32_e32 v89, v90, v89
	s_delay_alu instid0(VALU_DEP_3) | instskip(NEXT) | instid1(VALU_DEP_1)
	v_and_b32_e32 v93, 0xffff0000, v95
	v_add_f32_e32 v90, v91, v93
	v_bfe_u32 v91, v87, 16, 1
	v_bfe_u32 v93, v85, 16, 1
	s_delay_alu instid0(VALU_DEP_3) | instskip(NEXT) | instid1(VALU_DEP_3)
	v_add_f32_e32 v89, v90, v89
	v_add3_u32 v90, v91, v87, 0x7fff
	v_or_b32_e32 v91, 0x400000, v87
	s_delay_alu instid0(VALU_DEP_3) | instskip(SKIP_1) | instid1(VALU_DEP_2)
	v_add_f32_e32 v33, v33, v89
	s_wait_alu 0xfffd
	v_cndmask_b32_e32 v87, v90, v91, vcc_lo
	v_cmp_u_f32_e32 vcc_lo, v86, v86
	v_or_b32_e32 v90, 0x400000, v85
	v_bfe_u32 v91, v84, 16, 1
	s_wait_alu 0xfffd
	v_dual_cndmask_b32 v86, v88, v92 :: v_dual_and_b32 v87, 0xffff0000, v87
	v_add3_u32 v88, v93, v85, 0x7fff
	v_cmp_u_f32_e32 vcc_lo, v85, v85
	v_bfe_u32 v92, v82, 16, 1
	v_bfe_u32 v93, v81, 16, 1
	v_and_b32_e32 v86, 0xffff0000, v86
	s_wait_alu 0xfffd
	v_cndmask_b32_e32 v85, v88, v90, vcc_lo
	v_add3_u32 v88, v91, v84, 0x7fff
	v_or_b32_e32 v90, 0x400000, v84
	v_bfe_u32 v91, v83, 16, 1
	v_cmp_u_f32_e32 vcc_lo, v84, v84
	v_dual_add_f32 v86, v86, v87 :: v_dual_and_b32 v85, 0xffff0000, v85
	v_or_b32_e32 v87, 0x400000, v80
	s_wait_alu 0xfffd
	v_cndmask_b32_e32 v84, v88, v90, vcc_lo
	v_add3_u32 v88, v91, v83, 0x7fff
	v_or_b32_e32 v90, 0x400000, v83
	v_cmp_u_f32_e32 vcc_lo, v83, v83
	v_add3_u32 v91, v92, v82, 0x7fff
	v_or_b32_e32 v92, 0x400000, v82
	s_wait_alu 0xfffd
	v_dual_cndmask_b32 v83, v88, v90 :: v_dual_and_b32 v84, 0xffff0000, v84
	v_cmp_u_f32_e32 vcc_lo, v82, v82
	v_add3_u32 v88, v93, v81, 0x7fff
	v_or_b32_e32 v90, 0x400000, v81
	s_delay_alu instid0(VALU_DEP_4) | instskip(SKIP_3) | instid1(VALU_DEP_3)
	v_dual_add_f32 v84, v84, v85 :: v_dual_and_b32 v83, 0xffff0000, v83
	s_wait_alu 0xfffd
	v_cndmask_b32_e32 v82, v91, v92, vcc_lo
	v_cmp_u_f32_e32 vcc_lo, v81, v81
	v_add_f32_e32 v84, v84, v86
	v_or_b32_e32 v86, 0x400000, v74
	s_delay_alu instid0(VALU_DEP_4)
	v_and_b32_e32 v82, 0xffff0000, v82
	s_wait_alu 0xfffd
	v_cndmask_b32_e32 v81, v88, v90, vcc_lo
	v_bfe_u32 v88, v80, 16, 1
	v_cmp_u_f32_e32 vcc_lo, v80, v80
	v_add_f32_e32 v82, v82, v83
	v_bfe_u32 v83, v79, 16, 1
	s_delay_alu instid0(VALU_DEP_4) | instskip(SKIP_1) | instid1(VALU_DEP_4)
	v_add3_u32 v85, v88, v80, 0x7fff
	v_bfe_u32 v88, v72, 16, 1
	v_add_f32_e32 v82, v82, v84
	s_delay_alu instid0(VALU_DEP_4)
	v_add3_u32 v83, v83, v79, 0x7fff
	s_wait_alu 0xfffd
	v_cndmask_b32_e32 v80, v85, v87, vcc_lo
	v_or_b32_e32 v84, 0x400000, v79
	v_bfe_u32 v85, v78, 16, 1
	v_cmp_u_f32_e32 vcc_lo, v79, v79
	v_bfe_u32 v87, v73, 16, 1
	v_and_b32_e32 v80, 0xffff0000, v80
	s_wait_alu 0xfffd
	v_cndmask_b32_e32 v79, v83, v84, vcc_lo
	v_add3_u32 v83, v85, v78, 0x7fff
	v_or_b32_e32 v84, 0x400000, v78
	v_bfe_u32 v85, v77, 16, 1
	v_cmp_u_f32_e32 vcc_lo, v78, v78
	s_wait_alu 0xfffd
	s_delay_alu instid0(VALU_DEP_3) | instskip(NEXT) | instid1(VALU_DEP_3)
	v_dual_cndmask_b32 v78, v83, v84 :: v_dual_and_b32 v79, 0xffff0000, v79
	v_add3_u32 v83, v85, v77, 0x7fff
	v_or_b32_e32 v84, 0x400000, v77
	v_bfe_u32 v85, v76, 16, 1
	v_cmp_u_f32_e32 vcc_lo, v77, v77
	s_wait_alu 0xfffd
	s_delay_alu instid0(VALU_DEP_3) | instskip(NEXT) | instid1(VALU_DEP_3)
	v_dual_cndmask_b32 v77, v83, v84 :: v_dual_and_b32 v78, 0xffff0000, v78
	v_add3_u32 v83, v85, v76, 0x7fff
	v_or_b32_e32 v84, 0x400000, v76
	v_cmp_u_f32_e32 vcc_lo, v76, v76
	v_bfe_u32 v85, v75, 16, 1
	v_dual_add_f32 v78, v78, v79 :: v_dual_and_b32 v77, 0xffff0000, v77
	s_wait_alu 0xfffd
	v_cndmask_b32_e32 v76, v83, v84, vcc_lo
	v_bfe_u32 v83, v74, 16, 1
	v_add3_u32 v84, v85, v75, 0x7fff
	v_or_b32_e32 v85, 0x400000, v75
	v_cmp_u_f32_e32 vcc_lo, v75, v75
	v_and_b32_e32 v76, 0xffff0000, v76
	v_add3_u32 v83, v83, v74, 0x7fff
	s_wait_alu 0xfffd
	v_cndmask_b32_e32 v75, v84, v85, vcc_lo
	v_cmp_u_f32_e32 vcc_lo, v74, v74
	v_add3_u32 v84, v88, v72, 0x7fff
	v_or_b32_e32 v85, 0x400000, v72
	s_delay_alu instid0(VALU_DEP_4)
	v_dual_add_f32 v76, v76, v77 :: v_dual_and_b32 v75, 0xffff0000, v75
	s_wait_alu 0xfffd
	v_cndmask_b32_e32 v74, v83, v86, vcc_lo
	v_cmp_u_f32_e32 vcc_lo, v72, v72
	v_add3_u32 v83, v87, v73, 0x7fff
	v_or_b32_e32 v86, 0x400000, v73
	v_add_f32_e32 v76, v76, v78
	v_and_b32_e32 v74, 0xffff0000, v74
	s_wait_alu 0xfffd
	v_cndmask_b32_e32 v72, v84, v85, vcc_lo
	v_cmp_u_f32_e32 vcc_lo, v73, v73
	s_delay_alu instid0(VALU_DEP_3) | instskip(SKIP_1) | instid1(VALU_DEP_3)
	v_dual_add_f32 v74, v74, v75 :: v_dual_and_b32 v77, 0xffff0000, v81
	s_wait_alu 0xfffd
	v_dual_cndmask_b32 v73, v83, v86 :: v_dual_and_b32 v72, 0xffff0000, v72
	s_delay_alu instid0(VALU_DEP_2) | instskip(SKIP_4) | instid1(VALU_DEP_1)
	v_add_f32_e32 v75, v80, v77
	v_cmp_u_f32_e32 vcc_lo, v71, v71
	v_add_f32_e32 v74, v74, v76
	v_bfe_u32 v76, v65, 16, 1
	v_and_b32_e32 v73, 0xffff0000, v73
	v_dual_add_f32 v72, v72, v73 :: v_dual_add_f32 v73, v75, v82
	v_or_b32_e32 v75, 0x400000, v70
	s_delay_alu instid0(VALU_DEP_2) | instskip(SKIP_1) | instid1(VALU_DEP_4)
	v_add_f32_e32 v72, v72, v74
	v_bfe_u32 v74, v71, 16, 1
	v_add_f32_e32 v34, v34, v73
	v_bfe_u32 v73, v70, 16, 1
	s_delay_alu instid0(VALU_DEP_4) | instskip(NEXT) | instid1(VALU_DEP_4)
	v_add_f32_e32 v35, v35, v72
	v_add3_u32 v72, v74, v71, 0x7fff
	v_or_b32_e32 v74, 0x400000, v71
	s_delay_alu instid0(VALU_DEP_4) | instskip(SKIP_1) | instid1(VALU_DEP_2)
	v_add3_u32 v73, v73, v70, 0x7fff
	s_wait_alu 0xfffd
	v_cndmask_b32_e32 v71, v72, v74, vcc_lo
	v_bfe_u32 v72, v69, 16, 1
	v_cmp_u_f32_e32 vcc_lo, v70, v70
	v_bfe_u32 v74, v68, 16, 1
	s_delay_alu instid0(VALU_DEP_4) | instskip(NEXT) | instid1(VALU_DEP_4)
	v_and_b32_e32 v71, 0xffff0000, v71
	v_add3_u32 v72, v72, v69, 0x7fff
	s_wait_alu 0xfffd
	v_cndmask_b32_e32 v70, v73, v75, vcc_lo
	v_or_b32_e32 v73, 0x400000, v69
	v_cmp_u_f32_e32 vcc_lo, v69, v69
	v_bfe_u32 v75, v66, 16, 1
	s_wait_alu 0xfffd
	s_delay_alu instid0(VALU_DEP_3)
	v_dual_cndmask_b32 v69, v72, v73 :: v_dual_and_b32 v70, 0xffff0000, v70
	v_add3_u32 v72, v74, v68, 0x7fff
	v_or_b32_e32 v73, 0x400000, v68
	v_bfe_u32 v74, v67, 16, 1
	v_cmp_u_f32_e32 vcc_lo, v68, v68
	v_dual_add_f32 v70, v70, v71 :: v_dual_and_b32 v69, 0xffff0000, v69
	s_wait_alu 0xfffd
	v_cndmask_b32_e32 v68, v72, v73, vcc_lo
	v_add3_u32 v72, v74, v67, 0x7fff
	v_or_b32_e32 v73, 0x400000, v67
	v_cmp_u_f32_e32 vcc_lo, v67, v67
	v_add3_u32 v74, v75, v66, 0x7fff
	v_or_b32_e32 v75, 0x400000, v66
	s_wait_alu 0xfffd
	v_dual_cndmask_b32 v67, v72, v73 :: v_dual_and_b32 v68, 0xffff0000, v68
	v_cmp_u_f32_e32 vcc_lo, v66, v66
	v_add3_u32 v72, v76, v65, 0x7fff
	v_or_b32_e32 v73, 0x400000, v65
	s_delay_alu instid0(VALU_DEP_4)
	v_dual_add_f32 v68, v68, v69 :: v_dual_and_b32 v67, 0xffff0000, v67
	s_wait_alu 0xfffd
	v_cndmask_b32_e32 v66, v74, v75, vcc_lo
	v_bfe_u32 v74, v64, 16, 1
	v_cmp_u_f32_e32 vcc_lo, v65, v65
	v_add_f32_e32 v68, v68, v70
	v_bfe_u32 v69, v63, 16, 1
	v_and_b32_e32 v66, 0xffff0000, v66
	v_bfe_u32 v70, v57, 16, 1
	s_wait_alu 0xfffd
	v_cndmask_b32_e32 v65, v72, v73, vcc_lo
	v_add3_u32 v72, v74, v64, 0x7fff
	v_or_b32_e32 v73, 0x400000, v64
	v_cmp_u_f32_e32 vcc_lo, v64, v64
	v_dual_add_f32 v66, v66, v67 :: v_dual_mul_f32 v67, v5, v62
	v_and_b32_e32 v65, 0xffff0000, v65
	s_wait_alu 0xfffd
	v_cndmask_b32_e32 v64, v72, v73, vcc_lo
	s_delay_alu instid0(VALU_DEP_3) | instskip(SKIP_4) | instid1(VALU_DEP_4)
	v_add_f32_e32 v62, v66, v68
	v_lshlrev_b32_e32 v68, 16, v61
	v_bfe_u32 v66, v67, 16, 1
	v_cmp_u_f32_e32 vcc_lo, v63, v63
	v_and_b32_e32 v64, 0xffff0000, v64
	v_mul_f32_e32 v68, v2, v68
	s_delay_alu instid0(VALU_DEP_4) | instskip(NEXT) | instid1(VALU_DEP_3)
	v_add3_u32 v66, v66, v67, 0x7fff
	v_add_f32_e32 v61, v64, v65
	v_add3_u32 v64, v69, v63, 0x7fff
	v_or_b32_e32 v65, 0x400000, v63
	v_or_b32_e32 v69, 0x400000, v67
	s_wait_alu 0xfffd
	s_delay_alu instid0(VALU_DEP_2) | instskip(SKIP_3) | instid1(VALU_DEP_4)
	v_cndmask_b32_e32 v63, v64, v65, vcc_lo
	v_bfe_u32 v64, v68, 16, 1
	v_cmp_u_f32_e32 vcc_lo, v67, v67
	v_bfe_u32 v67, v60, 16, 1
	v_and_b32_e32 v63, 0xffff0000, v63
	s_delay_alu instid0(VALU_DEP_4)
	v_add3_u32 v64, v64, v68, 0x7fff
	s_wait_alu 0xfffd
	v_cndmask_b32_e32 v65, v66, v69, vcc_lo
	v_or_b32_e32 v66, 0x400000, v68
	v_cmp_u_f32_e32 vcc_lo, v68, v68
	v_bfe_u32 v68, v59, 16, 1
	v_bfe_u32 v69, v58, 16, 1
	s_wait_alu 0xfffd
	v_dual_cndmask_b32 v64, v64, v66 :: v_dual_and_b32 v65, 0xffff0000, v65
	v_add3_u32 v66, v67, v60, 0x7fff
	v_or_b32_e32 v67, 0x400000, v60
	v_cmp_u_f32_e32 vcc_lo, v60, v60
	s_delay_alu instid0(VALU_DEP_4) | instskip(SKIP_1) | instid1(VALU_DEP_3)
	v_dual_add_f32 v63, v65, v63 :: v_dual_and_b32 v64, 0xffff0000, v64
	s_wait_alu 0xfffd
	v_cndmask_b32_e32 v60, v66, v67, vcc_lo
	v_add3_u32 v66, v68, v59, 0x7fff
	v_or_b32_e32 v67, 0x400000, v59
	v_cmp_u_f32_e32 vcc_lo, v59, v59
	v_add3_u32 v68, v69, v58, 0x7fff
	v_or_b32_e32 v69, 0x400000, v58
	s_wait_alu 0xfffd
	v_dual_cndmask_b32 v59, v66, v67 :: v_dual_and_b32 v60, 0xffff0000, v60
	v_cmp_u_f32_e32 vcc_lo, v58, v58
	v_add3_u32 v66, v70, v57, 0x7fff
	v_or_b32_e32 v67, 0x400000, v57
	s_delay_alu instid0(VALU_DEP_4)
	v_dual_add_f32 v60, v60, v64 :: v_dual_and_b32 v59, 0xffff0000, v59
	s_wait_alu 0xfffd
	v_cndmask_b32_e32 v58, v68, v69, vcc_lo
	v_bfe_u32 v68, v56, 16, 1
	v_cmp_u_f32_e32 vcc_lo, v57, v57
	v_add_f32_e32 v60, v60, v63
	v_or_b32_e32 v63, 0x400000, v54
	v_and_b32_e32 v58, 0xffff0000, v58
	v_bfe_u32 v64, v53, 16, 1
	s_wait_alu 0xfffd
	v_cndmask_b32_e32 v57, v66, v67, vcc_lo
	v_add3_u32 v66, v68, v56, 0x7fff
	v_or_b32_e32 v67, 0x400000, v56
	v_cmp_u_f32_e32 vcc_lo, v56, v56
	s_delay_alu instid0(VALU_DEP_4) | instskip(SKIP_3) | instid1(VALU_DEP_3)
	v_dual_add_f32 v58, v58, v59 :: v_dual_and_b32 v57, 0xffff0000, v57
	v_bfe_u32 v59, v55, 16, 1
	s_wait_alu 0xfffd
	v_cndmask_b32_e32 v56, v66, v67, vcc_lo
	v_add_f32_e32 v58, v58, v60
	v_bfe_u32 v60, v54, 16, 1
	v_cmp_u_f32_e32 vcc_lo, v55, v55
	s_delay_alu instid0(VALU_DEP_4) | instskip(NEXT) | instid1(VALU_DEP_3)
	v_and_b32_e32 v56, 0xffff0000, v56
	v_add3_u32 v60, v60, v54, 0x7fff
	s_delay_alu instid0(VALU_DEP_2) | instskip(SKIP_3) | instid1(VALU_DEP_1)
	v_add_f32_e32 v56, v56, v57
	v_add3_u32 v57, v59, v55, 0x7fff
	v_or_b32_e32 v59, 0x400000, v55
	s_wait_alu 0xfffd
	v_cndmask_b32_e32 v55, v57, v59, vcc_lo
	v_cmp_u_f32_e32 vcc_lo, v54, v54
	v_add3_u32 v57, v64, v53, 0x7fff
	v_or_b32_e32 v59, 0x400000, v53
	v_bfe_u32 v64, v49, 16, 1
	v_and_b32_e32 v55, 0xffff0000, v55
	s_wait_alu 0xfffd
	v_cndmask_b32_e32 v54, v60, v63, vcc_lo
	v_bfe_u32 v60, v52, 16, 1
	v_cmp_u_f32_e32 vcc_lo, v53, v53
	v_bfe_u32 v63, v50, 16, 1
	s_wait_alu 0xfffd
	v_dual_cndmask_b32 v53, v57, v59 :: v_dual_and_b32 v54, 0xffff0000, v54
	v_add3_u32 v57, v60, v52, 0x7fff
	v_or_b32_e32 v59, 0x400000, v52
	v_bfe_u32 v60, v51, 16, 1
	v_cmp_u_f32_e32 vcc_lo, v52, v52
	v_dual_add_f32 v54, v54, v55 :: v_dual_and_b32 v53, 0xffff0000, v53
	v_or_b32_e32 v55, 0x400000, v48
	s_wait_alu 0xfffd
	v_cndmask_b32_e32 v52, v57, v59, vcc_lo
	v_add3_u32 v57, v60, v51, 0x7fff
	v_or_b32_e32 v59, 0x400000, v51
	v_cmp_u_f32_e32 vcc_lo, v51, v51
	v_add3_u32 v60, v63, v50, 0x7fff
	v_or_b32_e32 v63, 0x400000, v50
	s_wait_alu 0xfffd
	v_dual_cndmask_b32 v51, v57, v59 :: v_dual_and_b32 v52, 0xffff0000, v52
	v_cmp_u_f32_e32 vcc_lo, v50, v50
	v_add3_u32 v57, v64, v49, 0x7fff
	v_or_b32_e32 v59, 0x400000, v49
	s_delay_alu instid0(VALU_DEP_4) | instskip(SKIP_3) | instid1(VALU_DEP_3)
	v_dual_add_f32 v52, v52, v53 :: v_dual_and_b32 v51, 0xffff0000, v51
	s_wait_alu 0xfffd
	v_cndmask_b32_e32 v50, v60, v63, vcc_lo
	v_cmp_u_f32_e32 vcc_lo, v49, v49
	v_add_f32_e32 v52, v52, v54
	v_or_b32_e32 v54, 0x400000, v45
	s_wait_alu 0xfffd
	v_dual_cndmask_b32 v49, v57, v59 :: v_dual_and_b32 v50, 0xffff0000, v50
	v_bfe_u32 v57, v48, 16, 1
	v_cmp_u_f32_e32 vcc_lo, v48, v48
	s_delay_alu instid0(VALU_DEP_3) | instskip(SKIP_1) | instid1(VALU_DEP_4)
	v_add_f32_e32 v50, v50, v51
	v_bfe_u32 v51, v47, 16, 1
	v_add3_u32 v53, v57, v48, 0x7fff
	s_delay_alu instid0(VALU_DEP_3) | instskip(NEXT) | instid1(VALU_DEP_3)
	v_dual_add_f32 v50, v50, v52 :: v_dual_and_b32 v49, 0xffff0000, v49
	v_add3_u32 v51, v51, v47, 0x7fff
	s_wait_alu 0xfffd
	s_delay_alu instid0(VALU_DEP_3) | instskip(SKIP_3) | instid1(VALU_DEP_4)
	v_cndmask_b32_e32 v48, v53, v55, vcc_lo
	v_or_b32_e32 v52, 0x400000, v47
	v_bfe_u32 v53, v46, 16, 1
	v_cmp_u_f32_e32 vcc_lo, v47, v47
	v_and_b32_e32 v48, 0xffff0000, v48
	s_wait_alu 0xfffd
	v_cndmask_b32_e32 v47, v51, v52, vcc_lo
	v_bfe_u32 v51, v45, 16, 1
	v_add3_u32 v52, v53, v46, 0x7fff
	v_or_b32_e32 v53, 0x400000, v46
	v_cmp_u_f32_e32 vcc_lo, v46, v46
	v_and_b32_e32 v47, 0xffff0000, v47
	v_add3_u32 v51, v51, v45, 0x7fff
	s_wait_alu 0xfffd
	v_cndmask_b32_e32 v46, v52, v53, vcc_lo
	v_bfe_u32 v52, v44, 16, 1
	v_cmp_u_f32_e32 vcc_lo, v45, v45
	v_or_b32_e32 v53, 0x400000, v44
	s_delay_alu instid0(VALU_DEP_4) | instskip(NEXT) | instid1(VALU_DEP_4)
	v_and_b32_e32 v46, 0xffff0000, v46
	v_add3_u32 v52, v52, v44, 0x7fff
	s_wait_alu 0xfffd
	v_cndmask_b32_e32 v45, v51, v54, vcc_lo
	v_bfe_u32 v51, v43, 16, 1
	v_cmp_u_f32_e32 vcc_lo, v44, v44
	v_or_b32_e32 v54, 0x400000, v43
	s_delay_alu instid0(VALU_DEP_4) | instskip(NEXT) | instid1(VALU_DEP_4)
	v_dual_add_f32 v46, v46, v47 :: v_dual_and_b32 v45, 0xffff0000, v45
	v_add3_u32 v51, v51, v43, 0x7fff
	s_wait_alu 0xfffd
	v_cndmask_b32_e32 v44, v52, v53, vcc_lo
	v_bfe_u32 v52, v42, 16, 1
	v_cmp_u_f32_e32 vcc_lo, v43, v43
	v_bfe_u32 v53, v41, 16, 1
	s_wait_alu 0xfffd
	v_dual_cndmask_b32 v43, v51, v54 :: v_dual_and_b32 v44, 0xffff0000, v44
	v_add3_u32 v51, v52, v42, 0x7fff
	v_or_b32_e32 v52, 0x400000, v42
	v_cmp_u_f32_e32 vcc_lo, v42, v42
	v_add3_u32 v53, v53, v41, 0x7fff
	v_or_b32_e32 v54, 0x400000, v41
	v_dual_add_f32 v44, v44, v45 :: v_dual_and_b32 v43, 0xffff0000, v43
	s_wait_alu 0xfffd
	v_cndmask_b32_e32 v42, v51, v52, vcc_lo
	v_cmp_u_f32_e32 vcc_lo, v41, v41
	v_bfe_u32 v51, v29, 16, 1
	v_lshlrev_b32_e32 v45, 16, v125
	v_or_b32_e32 v52, 0x400000, v29
	v_and_b32_e32 v42, 0xffff0000, v42
	s_wait_alu 0xfffd
	v_cndmask_b32_e32 v41, v53, v54, vcc_lo
	v_lshlrev_b32_e32 v53, 16, v127
	v_add3_u32 v51, v51, v29, 0x7fff
	v_cmp_u_f32_e32 vcc_lo, v29, v29
	v_add_f32_e32 v44, v44, v46
	s_delay_alu instid0(VALU_DEP_4)
	v_dual_add_f32 v42, v42, v43 :: v_dual_mul_f32 v5, v5, v53
	v_mul_f32_e32 v1, v1, v45
	v_lshlrev_b32_e32 v43, 16, v123
	s_wait_alu 0xfffd
	v_cndmask_b32_e32 v29, v51, v52, vcc_lo
	v_bfe_u32 v46, v5, 16, 1
	v_bfe_u32 v47, v1, 16, 1
	v_mul_f32_e32 v7, v7, v43
	v_lshlrev_b32_e32 v43, 16, v122
	v_cmp_u_f32_e32 vcc_lo, v5, v5
	v_add3_u32 v45, v46, v5, 0x7fff
	v_or_b32_e32 v46, 0x400000, v5
	s_delay_alu instid0(VALU_DEP_4) | instskip(SKIP_2) | instid1(VALU_DEP_3)
	v_dual_mul_f32 v2, v2, v43 :: v_dual_and_b32 v29, 0xffff0000, v29
	v_lshlrev_b32_e32 v43, 16, v121
	s_wait_alu 0xfffd
	v_cndmask_b32_e32 v5, v45, v46, vcc_lo
	v_add3_u32 v45, v47, v1, 0x7fff
	v_or_b32_e32 v46, 0x400000, v1
	v_bfe_u32 v47, v7, 16, 1
	v_cmp_u_f32_e32 vcc_lo, v1, v1
	v_dual_mul_f32 v8, v8, v43 :: v_dual_lshlrev_b32 v43, 16, v120
	v_and_b32_e32 v5, 0xffff0000, v5
	s_wait_alu 0xfffd
	v_cndmask_b32_e32 v1, v45, v46, vcc_lo
	v_add3_u32 v45, v47, v7, 0x7fff
	v_or_b32_e32 v46, 0x400000, v7
	v_bfe_u32 v47, v2, 16, 1
	v_cmp_u_f32_e32 vcc_lo, v7, v7
	v_mul_f32_e32 v3, v3, v43
	v_or_b32_e32 v13, 0x400000, v8
	v_and_b32_e32 v1, 0xffff0000, v1
	s_wait_alu 0xfffd
	v_cndmask_b32_e32 v7, v45, v46, vcc_lo
	v_add3_u32 v45, v47, v2, 0x7fff
	v_or_b32_e32 v46, 0x400000, v2
	v_bfe_u32 v47, v8, 16, 1
	v_cmp_u_f32_e32 vcc_lo, v2, v2
	v_bfe_u32 v43, v3, 16, 1
	v_and_b32_e32 v7, 0xffff0000, v7
	v_add_f32_e32 v1, v5, v1
	s_wait_alu 0xfffd
	v_cndmask_b32_e32 v2, v45, v46, vcc_lo
	v_add3_u32 v45, v47, v8, 0x7fff
	v_cmp_u_f32_e32 vcc_lo, v8, v8
	v_add3_u32 v14, v43, v3, 0x7fff
	v_or_b32_e32 v43, 0x400000, v3
	v_bfe_u32 v47, v4, 16, 1
	v_bfe_u32 v46, v6, 16, 1
	s_wait_alu 0xfffd
	v_cndmask_b32_e32 v8, v45, v13, vcc_lo
	v_cmp_u_f32_e32 vcc_lo, v3, v3
	v_and_b32_e32 v2, 0xffff0000, v2
	v_or_b32_e32 v45, 0x400000, v6
	v_add3_u32 v13, v46, v6, 0x7fff
	v_and_b32_e32 v5, 0xffff0000, v8
	s_wait_alu 0xfffd
	v_cndmask_b32_e32 v3, v14, v43, vcc_lo
	v_add3_u32 v14, v47, v4, 0x7fff
	v_or_b32_e32 v43, 0x400000, v4
	v_cmp_u_f32_e32 vcc_lo, v4, v4
	s_delay_alu instid0(VALU_DEP_4) | instskip(SKIP_1) | instid1(VALU_DEP_3)
	v_dual_add_f32 v2, v7, v2 :: v_dual_and_b32 v3, 0xffff0000, v3
	s_wait_alu 0xfffd
	v_dual_cndmask_b32 v4, v14, v43 :: v_dual_and_b32 v7, 0xffff0000, v41
	v_cmp_u_f32_e32 vcc_lo, v6, v6
	s_delay_alu instid0(VALU_DEP_3)
	v_dual_add_f32 v1, v2, v1 :: v_dual_add_f32 v2, v5, v3
	v_add_f32_e32 v5, v48, v49
	s_wait_alu 0xfffd
	v_dual_cndmask_b32 v6, v13, v45 :: v_dual_and_b32 v3, 0xffff0000, v4
	v_add_f32_e32 v7, v29, v7
	v_add_f32_e32 v1, v2, v1
	v_add_f32_e32 v5, v5, v50
	s_delay_alu instid0(VALU_DEP_4) | instskip(SKIP_1) | instid1(VALU_DEP_3)
	v_and_b32_e32 v4, 0xffff0000, v6
	v_add_f32_e32 v6, v42, v44
	v_add_f32_e32 v38, v38, v5
	s_delay_alu instid0(VALU_DEP_3) | instskip(SKIP_1) | instid1(VALU_DEP_2)
	v_dual_add_f32 v2, v4, v3 :: v_dual_add_f32 v3, v61, v62
	v_add_f32_e32 v4, v56, v58
	v_dual_add_f32 v6, v7, v6 :: v_dual_add_f32 v1, v2, v1
	s_delay_alu instid0(VALU_DEP_2) | instskip(NEXT) | instid1(VALU_DEP_2)
	v_dual_add_f32 v36, v36, v3 :: v_dual_add_f32 v37, v37, v4
	v_add_f32_e32 v39, v39, v6
	s_delay_alu instid0(VALU_DEP_3)
	v_add_f32_e32 v17, v17, v1
.LBB339_41:                             ;   in Loop: Header=BB339_42 Depth=1
	s_wait_alu 0xfffe
	s_or_b32 exec_lo, exec_lo, s18
	v_add_nc_u32_e32 v27, 4, v27
	v_add_co_u32 v9, s0, v9, 16
	s_wait_alu 0xf1ff
	v_add_co_ci_u32_e64 v10, null, 0, v10, s0
	s_delay_alu instid0(VALU_DEP_3)
	v_cmp_le_i32_e32 vcc_lo, s36, v27
	v_add_nc_u32_e32 v26, 64, v26
	v_add_nc_u32_e32 v28, 0x100, v28
	s_or_b32 s16, vcc_lo, s16
	s_wait_alu 0xfffe
	s_and_not1_b32 exec_lo, exec_lo, s16
	s_cbranch_execz .LBB339_75
.LBB339_42:                             ; =>This Inner Loop Header: Depth=1
	v_sub_nc_u32_e32 v1, 0, v26
	s_delay_alu instid0(VALU_DEP_1) | instskip(NEXT) | instid1(VALU_DEP_1)
	v_max_i32_e32 v1, v26, v1
	v_mul_hi_u32 v2, v1, s40
	s_delay_alu instid0(VALU_DEP_1) | instskip(NEXT) | instid1(VALU_DEP_1)
	v_mul_lo_u32 v3, v2, s33
	v_sub_nc_u32_e32 v1, v1, v3
	v_add_nc_u32_e32 v3, 1, v2
	s_delay_alu instid0(VALU_DEP_2) | instskip(SKIP_2) | instid1(VALU_DEP_2)
	v_subrev_nc_u32_e32 v4, s33, v1
	v_cmp_le_u32_e32 vcc_lo, s33, v1
	s_wait_alu 0xfffd
	v_dual_cndmask_b32 v2, v2, v3 :: v_dual_cndmask_b32 v1, v1, v4
	v_ashrrev_i32_e32 v3, 31, v26
	s_delay_alu instid0(VALU_DEP_2) | instskip(NEXT) | instid1(VALU_DEP_3)
	v_add_nc_u32_e32 v4, 1, v2
	v_cmp_le_u32_e32 vcc_lo, s33, v1
	s_delay_alu instid0(VALU_DEP_3) | instskip(SKIP_1) | instid1(VALU_DEP_3)
	v_xor_b32_e32 v3, s31, v3
	s_wait_alu 0xfffd
	v_cndmask_b32_e32 v1, v2, v4, vcc_lo
	s_delay_alu instid0(VALU_DEP_1) | instskip(NEXT) | instid1(VALU_DEP_1)
	v_xor_b32_e32 v1, v1, v3
	v_sub_nc_u32_e32 v1, v1, v3
	s_delay_alu instid0(VALU_DEP_1) | instskip(SKIP_1) | instid1(VALU_DEP_2)
	v_add_nc_u32_e32 v2, s35, v1
	v_cmp_lt_i32_e64 s0, s11, v1
	v_sub_nc_u32_e32 v3, 0, v2
	s_delay_alu instid0(VALU_DEP_1) | instskip(SKIP_1) | instid1(VALU_DEP_1)
	v_max_i32_e32 v3, v2, v3
	s_wait_alu 0xfffe
	v_mul_hi_u32 v4, v3, s17
	s_delay_alu instid0(VALU_DEP_1) | instskip(NEXT) | instid1(VALU_DEP_1)
	v_mul_lo_u32 v4, v4, s10
	v_sub_nc_u32_e32 v3, v3, v4
	s_delay_alu instid0(VALU_DEP_1) | instskip(SKIP_2) | instid1(VALU_DEP_2)
	v_subrev_nc_u32_e32 v4, s10, v3
	v_cmp_le_u32_e32 vcc_lo, s10, v3
	s_wait_alu 0xfffd
	v_cndmask_b32_e32 v3, v3, v4, vcc_lo
	v_ashrrev_i32_e32 v2, 31, v2
	s_delay_alu instid0(VALU_DEP_2) | instskip(SKIP_2) | instid1(VALU_DEP_2)
	v_subrev_nc_u32_e32 v4, s10, v3
	v_cmp_le_u32_e32 vcc_lo, s10, v3
	s_wait_alu 0xfffd
	v_cndmask_b32_e32 v3, v3, v4, vcc_lo
	s_delay_alu instid0(VALU_DEP_1) | instskip(NEXT) | instid1(VALU_DEP_1)
	v_xor_b32_e32 v3, v3, v2
	v_sub_nc_u32_e32 v2, v3, v2
	s_delay_alu instid0(VALU_DEP_1)
	v_cmp_eq_u32_e32 vcc_lo, 0, v2
	s_or_b32 s0, vcc_lo, s0
	s_wait_alu 0xfffe
	s_and_saveexec_b32 s18, s0
	s_cbranch_execz .LBB339_41
; %bb.43:                               ;   in Loop: Header=BB339_42 Depth=1
	global_load_b32 v1, v[9:10], off
	v_cmp_eq_u32_e32 vcc_lo, s41, v27
	s_wait_loadcnt 0x0
	v_mad_co_i64_i32 v[13:14], null, v1, s15, v[11:12]
	global_load_b64 v[41:42], v[13:14], off
	ds_load_2addr_b64 v[5:8], v28 offset1:1
	ds_load_2addr_b64 v[1:4], v28 offset0:2 offset1:3
	s_load_b32 s19, s[26:27], 0x0
	s_wait_loadcnt 0x0
	v_bfe_u32 v44, v41, 16, 8
	v_bfe_u32 v43, v41, 8, 8
	v_and_b32_e32 v45, 0xff, v42
	v_bfe_u32 v46, v42, 8, 8
	v_bfe_u32 v47, v42, 16, 8
	v_cvt_f32_fp8_e32 v44, v44
	v_and_b32_e32 v29, 0xff, v41
	v_cvt_f32_fp8_e32 v43, v43
	v_lshrrev_b32_e32 v41, 24, v41
	v_cvt_f32_fp8_e32 v45, v45
	s_wait_kmcnt 0x0
	v_mul_f32_e32 v44, s19, v44
	v_cvt_f32_fp8_e32 v29, v29
	v_add_nc_u32_e32 v88, v40, v26
	v_cvt_f32_fp8_e32 v41, v41
	v_cvt_f32_fp8_e32 v46, v46
	v_mul_f32_e32 v43, s19, v43
	s_delay_alu instid0(VALU_DEP_4) | instskip(NEXT) | instid1(VALU_DEP_4)
	v_dual_mul_f32 v29, s19, v29 :: v_dual_add_nc_u32 v94, 1, v88
	v_dual_mul_f32 v41, s19, v41 :: v_dual_add_nc_u32 v92, 3, v88
	s_delay_alu instid0(VALU_DEP_3) | instskip(NEXT) | instid1(VALU_DEP_3)
	v_bfe_u32 v50, v43, 16, 1
	v_bfe_u32 v48, v29, 16, 1
	v_or_b32_e32 v49, 0x400000, v29
	v_cmp_u_f32_e64 s0, v29, v29
	v_or_b32_e32 v51, 0x400000, v43
	v_bfe_u32 v52, v44, 16, 1
	v_add3_u32 v48, v48, v29, 0x7fff
	v_add3_u32 v50, v50, v43, 0x7fff
	v_dual_mul_f32 v45, s19, v45 :: v_dual_add_nc_u32 v90, 5, v88
	v_or_b32_e32 v53, 0x400000, v44
	s_wait_alu 0xf1ff
	v_cndmask_b32_e64 v29, v48, v49, s0
	v_cmp_u_f32_e64 s0, v43, v43
	v_bfe_u32 v54, v41, 16, 1
	v_add3_u32 v52, v52, v44, 0x7fff
	v_dual_mul_f32 v46, s19, v46 :: v_dual_add_nc_u32 v93, 2, v88
	s_wait_alu 0xf1ff
	v_cndmask_b32_e64 v43, v50, v51, s0
	v_cmp_u_f32_e64 s0, v44, v44
	v_lshrrev_b32_e32 v42, 24, v42
	v_cvt_f32_fp8_e32 v47, v47
	v_or_b32_e32 v55, 0x400000, v41
	v_bfe_u32 v56, v45, 16, 1
	v_add3_u32 v54, v54, v41, 0x7fff
	s_wait_alu 0xf1ff
	v_cndmask_b32_e64 v44, v52, v53, s0
	v_cmp_u_f32_e64 s0, v41, v41
	v_cvt_f32_fp8_e32 v42, v42
	v_dual_mul_f32 v47, s19, v47 :: v_dual_add_nc_u32 v96, 7, v88
	v_or_b32_e32 v57, 0x400000, v45
	v_bfe_u32 v58, v46, 16, 1
	v_add3_u32 v56, v56, v45, 0x7fff
	s_wait_alu 0xf1ff
	v_cndmask_b32_e64 v41, v54, v55, s0
	v_cmp_u_f32_e64 s0, v45, v45
	v_dual_mul_f32 v42, s19, v42 :: v_dual_add_nc_u32 v91, 4, v88
	v_or_b32_e32 v59, 0x400000, v46
	v_bfe_u32 v60, v47, 16, 1
	v_add3_u32 v58, v58, v46, 0x7fff
	s_wait_alu 0xf1ff
	v_cndmask_b32_e64 v48, v56, v57, s0
	v_cmp_u_f32_e64 s0, v46, v46
	v_or_b32_e32 v61, 0x400000, v47
	v_bfe_u32 v62, v42, 16, 1
	v_add3_u32 v60, v60, v47, 0x7fff
	v_or_b32_e32 v63, 0x400000, v42
	s_wait_alu 0xf1ff
	v_cndmask_b32_e64 v49, v58, v59, s0
	v_cmp_u_f32_e64 s0, v47, v47
	v_add3_u32 v62, v62, v42, 0x7fff
	v_add_nc_u32_e32 v89, 6, v88
	v_lshrrev_b32_e32 v46, 16, v29
	v_lshrrev_b32_e32 v47, 16, v43
	s_wait_alu 0xf1ff
	v_cndmask_b32_e64 v50, v60, v61, s0
	v_cmp_u_f32_e64 s0, v42, v42
	v_lshrrev_b32_e32 v44, 16, v44
	v_lshrrev_b32_e32 v45, 16, v41
	;; [unrolled: 1-line block ×4, first 2 shown]
	s_wait_alu 0xf1ff
	v_cndmask_b32_e64 v51, v62, v63, s0
	v_lshrrev_b32_e32 v29, 16, v50
	s_delay_alu instid0(VALU_DEP_2)
	v_lshrrev_b32_e32 v41, 16, v51
	s_and_saveexec_b32 s1, vcc_lo
	s_cbranch_execz .LBB339_45
; %bb.44:                               ;   in Loop: Header=BB339_42 Depth=1
	v_cmp_gt_i32_e64 s0, s23, v88
	s_wait_alu 0xf1ff
	s_delay_alu instid0(VALU_DEP_1) | instskip(SKIP_2) | instid1(VALU_DEP_1)
	v_cndmask_b32_e64 v46, 0, v46, s0
	v_cmp_gt_i32_e64 s0, s23, v94
	s_wait_alu 0xf1ff
	v_cndmask_b32_e64 v47, 0, v47, s0
	v_cmp_gt_i32_e64 s0, s23, v93
	s_wait_alu 0xf1ff
	s_delay_alu instid0(VALU_DEP_1) | instskip(SKIP_2) | instid1(VALU_DEP_1)
	v_cndmask_b32_e64 v44, 0, v44, s0
	v_cmp_gt_i32_e64 s0, s23, v92
	s_wait_alu 0xf1ff
	v_cndmask_b32_e64 v45, 0, v45, s0
	;; [unrolled: 7-line block ×4, first 2 shown]
.LBB339_45:                             ;   in Loop: Header=BB339_42 Depth=1
	s_wait_alu 0xfffe
	s_or_b32 exec_lo, exec_lo, s1
	global_load_b64 v[48:49], v[13:14], off offset:256
	s_wait_loadcnt 0x0
	v_bfe_u32 v51, v48, 8, 8
	v_bfe_u32 v52, v48, 16, 8
	;; [unrolled: 1-line block ×4, first 2 shown]
	s_delay_alu instid0(VALU_DEP_4)
	v_cvt_f32_fp8_e32 v51, v51
	v_and_b32_e32 v50, 0xff, v48
	v_lshrrev_b32_e32 v48, 24, v48
	v_cvt_f32_fp8_e32 v52, v52
	v_cvt_f32_fp8_e32 v55, v55
	v_mul_f32_e32 v51, s19, v51
	v_cvt_f32_fp8_e32 v50, v50
	v_and_b32_e32 v53, 0xff, v49
	v_cvt_f32_fp8_e32 v48, v48
	v_lshrrev_b32_e32 v49, 24, v49
	v_bfe_u32 v58, v51, 16, 1
	v_mul_f32_e32 v50, s19, v50
	v_cvt_f32_fp8_e32 v53, v53
	v_mul_f32_e32 v52, s19, v52
	v_dual_mul_f32 v48, s19, v48 :: v_dual_mul_f32 v55, s19, v55
	s_delay_alu instid0(VALU_DEP_4)
	v_bfe_u32 v56, v50, 16, 1
	v_or_b32_e32 v57, 0x400000, v50
	v_cmp_u_f32_e64 s0, v50, v50
	v_mul_f32_e32 v53, s19, v53
	v_or_b32_e32 v59, 0x400000, v51
	v_add3_u32 v56, v56, v50, 0x7fff
	v_bfe_u32 v60, v52, 16, 1
	v_add3_u32 v58, v58, v51, 0x7fff
	v_cvt_f32_fp8_e32 v54, v54
	v_or_b32_e32 v61, 0x400000, v52
	s_wait_alu 0xf1ff
	v_cndmask_b32_e64 v50, v56, v57, s0
	v_cmp_u_f32_e64 s0, v51, v51
	v_bfe_u32 v62, v48, 16, 1
	v_add3_u32 v60, v60, v52, 0x7fff
	v_cvt_f32_fp8_e32 v49, v49
	v_mul_f32_e32 v54, s19, v54
	s_wait_alu 0xf1ff
	v_cndmask_b32_e64 v51, v58, v59, s0
	v_cmp_u_f32_e64 s0, v52, v52
	v_or_b32_e32 v63, 0x400000, v48
	v_bfe_u32 v64, v53, 16, 1
	v_add3_u32 v62, v62, v48, 0x7fff
	v_mul_f32_e32 v49, s19, v49
	s_wait_alu 0xf1ff
	v_cndmask_b32_e64 v52, v60, v61, s0
	v_cmp_u_f32_e64 s0, v48, v48
	v_or_b32_e32 v65, 0x400000, v53
	v_bfe_u32 v66, v54, 16, 1
	v_add3_u32 v64, v64, v53, 0x7fff
	v_or_b32_e32 v67, 0x400000, v54
	s_wait_alu 0xf1ff
	v_cndmask_b32_e64 v48, v62, v63, s0
	v_cmp_u_f32_e64 s0, v53, v53
	v_bfe_u32 v68, v55, 16, 1
	v_add3_u32 v66, v66, v54, 0x7fff
	v_or_b32_e32 v69, 0x400000, v55
	v_bfe_u32 v70, v49, 16, 1
	s_wait_alu 0xf1ff
	v_cndmask_b32_e64 v56, v64, v65, s0
	v_cmp_u_f32_e64 s0, v54, v54
	v_add3_u32 v68, v68, v55, 0x7fff
	v_or_b32_e32 v71, 0x400000, v49
	v_add3_u32 v70, v70, v49, 0x7fff
	v_lshrrev_b32_e32 v54, 16, v50
	s_wait_alu 0xf1ff
	v_cndmask_b32_e64 v57, v66, v67, s0
	v_cmp_u_f32_e64 s0, v55, v55
	v_lshrrev_b32_e32 v55, 16, v51
	v_lshrrev_b32_e32 v52, 16, v52
	;; [unrolled: 1-line block ×4, first 2 shown]
	s_wait_alu 0xf1ff
	v_cndmask_b32_e64 v58, v68, v69, s0
	v_cmp_u_f32_e64 s0, v49, v49
	v_lshrrev_b32_e32 v51, 16, v57
	s_delay_alu instid0(VALU_DEP_3) | instskip(SKIP_1) | instid1(VALU_DEP_3)
	v_lshrrev_b32_e32 v48, 16, v58
	s_wait_alu 0xf1ff
	v_cndmask_b32_e64 v49, v70, v71, s0
	s_delay_alu instid0(VALU_DEP_1)
	v_lshrrev_b32_e32 v49, 16, v49
	s_and_saveexec_b32 s1, vcc_lo
	s_cbranch_execz .LBB339_47
; %bb.46:                               ;   in Loop: Header=BB339_42 Depth=1
	v_cmp_gt_i32_e64 s0, s23, v88
	s_wait_alu 0xf1ff
	s_delay_alu instid0(VALU_DEP_1) | instskip(SKIP_2) | instid1(VALU_DEP_1)
	v_cndmask_b32_e64 v54, 0, v54, s0
	v_cmp_gt_i32_e64 s0, s23, v94
	s_wait_alu 0xf1ff
	v_cndmask_b32_e64 v55, 0, v55, s0
	v_cmp_gt_i32_e64 s0, s23, v93
	s_wait_alu 0xf1ff
	s_delay_alu instid0(VALU_DEP_1) | instskip(SKIP_2) | instid1(VALU_DEP_1)
	v_cndmask_b32_e64 v52, 0, v52, s0
	v_cmp_gt_i32_e64 s0, s23, v92
	s_wait_alu 0xf1ff
	v_cndmask_b32_e64 v53, 0, v53, s0
	;; [unrolled: 7-line block ×4, first 2 shown]
.LBB339_47:                             ;   in Loop: Header=BB339_42 Depth=1
	s_wait_alu 0xfffe
	s_or_b32 exec_lo, exec_lo, s1
	global_load_b64 v[56:57], v[13:14], off offset:512
	s_wait_loadcnt 0x0
	v_bfe_u32 v59, v56, 8, 8
	v_bfe_u32 v60, v56, 16, 8
	v_bfe_u32 v63, v57, 16, 8
	v_bfe_u32 v62, v57, 8, 8
	s_delay_alu instid0(VALU_DEP_4)
	v_cvt_f32_fp8_e32 v59, v59
	v_and_b32_e32 v58, 0xff, v56
	v_lshrrev_b32_e32 v56, 24, v56
	v_cvt_f32_fp8_e32 v60, v60
	v_cvt_f32_fp8_e32 v63, v63
	v_mul_f32_e32 v59, s19, v59
	v_cvt_f32_fp8_e32 v58, v58
	v_and_b32_e32 v61, 0xff, v57
	v_cvt_f32_fp8_e32 v56, v56
	v_lshrrev_b32_e32 v57, 24, v57
	v_bfe_u32 v66, v59, 16, 1
	v_mul_f32_e32 v58, s19, v58
	v_cvt_f32_fp8_e32 v61, v61
	v_mul_f32_e32 v60, s19, v60
	v_dual_mul_f32 v56, s19, v56 :: v_dual_mul_f32 v63, s19, v63
	s_delay_alu instid0(VALU_DEP_4)
	v_bfe_u32 v64, v58, 16, 1
	v_or_b32_e32 v65, 0x400000, v58
	v_cmp_u_f32_e64 s0, v58, v58
	v_mul_f32_e32 v61, s19, v61
	v_or_b32_e32 v67, 0x400000, v59
	v_add3_u32 v64, v64, v58, 0x7fff
	v_bfe_u32 v68, v60, 16, 1
	v_add3_u32 v66, v66, v59, 0x7fff
	v_cvt_f32_fp8_e32 v62, v62
	v_or_b32_e32 v69, 0x400000, v60
	s_wait_alu 0xf1ff
	v_cndmask_b32_e64 v58, v64, v65, s0
	v_cmp_u_f32_e64 s0, v59, v59
	v_bfe_u32 v70, v56, 16, 1
	v_add3_u32 v68, v68, v60, 0x7fff
	v_cvt_f32_fp8_e32 v57, v57
	v_mul_f32_e32 v62, s19, v62
	s_wait_alu 0xf1ff
	v_cndmask_b32_e64 v59, v66, v67, s0
	v_cmp_u_f32_e64 s0, v60, v60
	v_or_b32_e32 v71, 0x400000, v56
	v_bfe_u32 v72, v61, 16, 1
	v_add3_u32 v70, v70, v56, 0x7fff
	v_mul_f32_e32 v57, s19, v57
	s_wait_alu 0xf1ff
	v_cndmask_b32_e64 v60, v68, v69, s0
	v_cmp_u_f32_e64 s0, v56, v56
	v_or_b32_e32 v73, 0x400000, v61
	v_bfe_u32 v74, v62, 16, 1
	v_add3_u32 v72, v72, v61, 0x7fff
	v_or_b32_e32 v75, 0x400000, v62
	s_wait_alu 0xf1ff
	v_cndmask_b32_e64 v56, v70, v71, s0
	v_cmp_u_f32_e64 s0, v61, v61
	v_bfe_u32 v76, v63, 16, 1
	v_add3_u32 v74, v74, v62, 0x7fff
	v_or_b32_e32 v77, 0x400000, v63
	v_bfe_u32 v78, v57, 16, 1
	s_wait_alu 0xf1ff
	v_cndmask_b32_e64 v64, v72, v73, s0
	v_cmp_u_f32_e64 s0, v62, v62
	v_add3_u32 v76, v76, v63, 0x7fff
	v_or_b32_e32 v79, 0x400000, v57
	v_add3_u32 v78, v78, v57, 0x7fff
	v_lshrrev_b32_e32 v62, 16, v58
	s_wait_alu 0xf1ff
	v_cndmask_b32_e64 v65, v74, v75, s0
	v_cmp_u_f32_e64 s0, v63, v63
	v_lshrrev_b32_e32 v63, 16, v59
	v_lshrrev_b32_e32 v60, 16, v60
	;; [unrolled: 1-line block ×4, first 2 shown]
	s_wait_alu 0xf1ff
	v_cndmask_b32_e64 v66, v76, v77, s0
	v_cmp_u_f32_e64 s0, v57, v57
	v_lshrrev_b32_e32 v59, 16, v65
	s_delay_alu instid0(VALU_DEP_3) | instskip(SKIP_1) | instid1(VALU_DEP_3)
	v_lshrrev_b32_e32 v56, 16, v66
	s_wait_alu 0xf1ff
	v_cndmask_b32_e64 v57, v78, v79, s0
	s_delay_alu instid0(VALU_DEP_1)
	v_lshrrev_b32_e32 v57, 16, v57
	s_and_saveexec_b32 s1, vcc_lo
	s_cbranch_execz .LBB339_49
; %bb.48:                               ;   in Loop: Header=BB339_42 Depth=1
	v_cmp_gt_i32_e64 s0, s23, v88
	s_wait_alu 0xf1ff
	s_delay_alu instid0(VALU_DEP_1) | instskip(SKIP_2) | instid1(VALU_DEP_1)
	v_cndmask_b32_e64 v62, 0, v62, s0
	v_cmp_gt_i32_e64 s0, s23, v94
	s_wait_alu 0xf1ff
	v_cndmask_b32_e64 v63, 0, v63, s0
	v_cmp_gt_i32_e64 s0, s23, v93
	s_wait_alu 0xf1ff
	s_delay_alu instid0(VALU_DEP_1) | instskip(SKIP_2) | instid1(VALU_DEP_1)
	v_cndmask_b32_e64 v60, 0, v60, s0
	v_cmp_gt_i32_e64 s0, s23, v92
	s_wait_alu 0xf1ff
	v_cndmask_b32_e64 v61, 0, v61, s0
	;; [unrolled: 7-line block ×4, first 2 shown]
.LBB339_49:                             ;   in Loop: Header=BB339_42 Depth=1
	s_wait_alu 0xfffe
	s_or_b32 exec_lo, exec_lo, s1
	global_load_b64 v[64:65], v[13:14], off offset:768
	s_wait_loadcnt 0x0
	v_bfe_u32 v67, v64, 8, 8
	v_bfe_u32 v68, v64, 16, 8
	;; [unrolled: 1-line block ×4, first 2 shown]
	s_delay_alu instid0(VALU_DEP_4)
	v_cvt_f32_fp8_e32 v67, v67
	v_and_b32_e32 v66, 0xff, v64
	v_lshrrev_b32_e32 v64, 24, v64
	v_cvt_f32_fp8_e32 v68, v68
	v_cvt_f32_fp8_e32 v71, v71
	v_mul_f32_e32 v67, s19, v67
	v_cvt_f32_fp8_e32 v66, v66
	v_and_b32_e32 v69, 0xff, v65
	v_cvt_f32_fp8_e32 v64, v64
	v_lshrrev_b32_e32 v65, 24, v65
	v_bfe_u32 v74, v67, 16, 1
	v_mul_f32_e32 v66, s19, v66
	v_cvt_f32_fp8_e32 v69, v69
	v_mul_f32_e32 v68, s19, v68
	v_dual_mul_f32 v64, s19, v64 :: v_dual_mul_f32 v71, s19, v71
	s_delay_alu instid0(VALU_DEP_4)
	v_bfe_u32 v72, v66, 16, 1
	v_or_b32_e32 v73, 0x400000, v66
	v_cmp_u_f32_e64 s0, v66, v66
	v_mul_f32_e32 v69, s19, v69
	v_or_b32_e32 v75, 0x400000, v67
	v_add3_u32 v72, v72, v66, 0x7fff
	v_bfe_u32 v76, v68, 16, 1
	v_add3_u32 v74, v74, v67, 0x7fff
	v_cvt_f32_fp8_e32 v70, v70
	v_or_b32_e32 v77, 0x400000, v68
	s_wait_alu 0xf1ff
	v_cndmask_b32_e64 v66, v72, v73, s0
	v_cmp_u_f32_e64 s0, v67, v67
	v_bfe_u32 v78, v64, 16, 1
	v_add3_u32 v76, v76, v68, 0x7fff
	v_cvt_f32_fp8_e32 v65, v65
	v_mul_f32_e32 v70, s19, v70
	s_wait_alu 0xf1ff
	v_cndmask_b32_e64 v67, v74, v75, s0
	v_cmp_u_f32_e64 s0, v68, v68
	v_or_b32_e32 v79, 0x400000, v64
	v_bfe_u32 v80, v69, 16, 1
	v_add3_u32 v78, v78, v64, 0x7fff
	v_mul_f32_e32 v65, s19, v65
	s_wait_alu 0xf1ff
	v_cndmask_b32_e64 v68, v76, v77, s0
	v_cmp_u_f32_e64 s0, v64, v64
	v_or_b32_e32 v81, 0x400000, v69
	v_bfe_u32 v82, v70, 16, 1
	v_add3_u32 v80, v80, v69, 0x7fff
	v_or_b32_e32 v83, 0x400000, v70
	s_wait_alu 0xf1ff
	v_cndmask_b32_e64 v64, v78, v79, s0
	v_cmp_u_f32_e64 s0, v69, v69
	v_bfe_u32 v84, v71, 16, 1
	v_add3_u32 v82, v82, v70, 0x7fff
	v_or_b32_e32 v85, 0x400000, v71
	v_bfe_u32 v86, v65, 16, 1
	s_wait_alu 0xf1ff
	v_cndmask_b32_e64 v72, v80, v81, s0
	v_cmp_u_f32_e64 s0, v70, v70
	v_add3_u32 v84, v84, v71, 0x7fff
	v_or_b32_e32 v87, 0x400000, v65
	v_add3_u32 v86, v86, v65, 0x7fff
	v_lshrrev_b32_e32 v70, 16, v66
	s_wait_alu 0xf1ff
	v_cndmask_b32_e64 v73, v82, v83, s0
	v_cmp_u_f32_e64 s0, v71, v71
	v_lshrrev_b32_e32 v71, 16, v67
	v_lshrrev_b32_e32 v68, 16, v68
	;; [unrolled: 1-line block ×4, first 2 shown]
	s_wait_alu 0xf1ff
	v_cndmask_b32_e64 v74, v84, v85, s0
	v_cmp_u_f32_e64 s0, v65, v65
	v_lshrrev_b32_e32 v67, 16, v73
	s_delay_alu instid0(VALU_DEP_3) | instskip(SKIP_1) | instid1(VALU_DEP_3)
	v_lshrrev_b32_e32 v64, 16, v74
	s_wait_alu 0xf1ff
	v_cndmask_b32_e64 v65, v86, v87, s0
	s_delay_alu instid0(VALU_DEP_1)
	v_lshrrev_b32_e32 v65, 16, v65
	s_and_saveexec_b32 s1, vcc_lo
	s_cbranch_execz .LBB339_51
; %bb.50:                               ;   in Loop: Header=BB339_42 Depth=1
	v_cmp_gt_i32_e64 s0, s23, v88
	s_wait_alu 0xf1ff
	s_delay_alu instid0(VALU_DEP_1) | instskip(SKIP_2) | instid1(VALU_DEP_1)
	v_cndmask_b32_e64 v70, 0, v70, s0
	v_cmp_gt_i32_e64 s0, s23, v94
	s_wait_alu 0xf1ff
	v_cndmask_b32_e64 v71, 0, v71, s0
	v_cmp_gt_i32_e64 s0, s23, v93
	s_wait_alu 0xf1ff
	s_delay_alu instid0(VALU_DEP_1) | instskip(SKIP_2) | instid1(VALU_DEP_1)
	v_cndmask_b32_e64 v68, 0, v68, s0
	v_cmp_gt_i32_e64 s0, s23, v92
	s_wait_alu 0xf1ff
	v_cndmask_b32_e64 v69, 0, v69, s0
	v_cmp_gt_i32_e64 s0, s23, v91
	s_wait_alu 0xf1ff
	s_delay_alu instid0(VALU_DEP_1) | instskip(SKIP_2) | instid1(VALU_DEP_1)
	v_cndmask_b32_e64 v66, 0, v66, s0
	v_cmp_gt_i32_e64 s0, s23, v90
	s_wait_alu 0xf1ff
	v_cndmask_b32_e64 v67, 0, v67, s0
	v_cmp_gt_i32_e64 s0, s23, v89
	s_wait_alu 0xf1ff
	s_delay_alu instid0(VALU_DEP_1) | instskip(SKIP_2) | instid1(VALU_DEP_1)
	v_cndmask_b32_e64 v64, 0, v64, s0
	v_cmp_gt_i32_e64 s0, s23, v96
	s_wait_alu 0xf1ff
	v_cndmask_b32_e64 v65, 0, v65, s0
.LBB339_51:                             ;   in Loop: Header=BB339_42 Depth=1
	s_wait_alu 0xfffe
	s_or_b32 exec_lo, exec_lo, s1
	global_load_b64 v[72:73], v[13:14], off offset:1024
	s_wait_loadcnt 0x0
	v_bfe_u32 v75, v72, 8, 8
	v_bfe_u32 v76, v72, 16, 8
	;; [unrolled: 1-line block ×4, first 2 shown]
	s_delay_alu instid0(VALU_DEP_4)
	v_cvt_f32_fp8_e32 v75, v75
	v_and_b32_e32 v74, 0xff, v72
	v_lshrrev_b32_e32 v72, 24, v72
	v_cvt_f32_fp8_e32 v76, v76
	v_cvt_f32_fp8_e32 v79, v79
	v_mul_f32_e32 v75, s19, v75
	v_cvt_f32_fp8_e32 v74, v74
	v_and_b32_e32 v77, 0xff, v73
	v_cvt_f32_fp8_e32 v72, v72
	v_lshrrev_b32_e32 v73, 24, v73
	v_bfe_u32 v82, v75, 16, 1
	v_mul_f32_e32 v74, s19, v74
	v_cvt_f32_fp8_e32 v77, v77
	v_mul_f32_e32 v76, s19, v76
	v_dual_mul_f32 v72, s19, v72 :: v_dual_mul_f32 v79, s19, v79
	s_delay_alu instid0(VALU_DEP_4)
	v_bfe_u32 v80, v74, 16, 1
	v_or_b32_e32 v81, 0x400000, v74
	v_cmp_u_f32_e64 s0, v74, v74
	v_mul_f32_e32 v77, s19, v77
	v_or_b32_e32 v83, 0x400000, v75
	v_add3_u32 v80, v80, v74, 0x7fff
	v_bfe_u32 v84, v76, 16, 1
	v_add3_u32 v82, v82, v75, 0x7fff
	v_cvt_f32_fp8_e32 v78, v78
	v_or_b32_e32 v85, 0x400000, v76
	s_wait_alu 0xf1ff
	v_cndmask_b32_e64 v74, v80, v81, s0
	v_cmp_u_f32_e64 s0, v75, v75
	v_bfe_u32 v86, v72, 16, 1
	v_add3_u32 v84, v84, v76, 0x7fff
	v_cvt_f32_fp8_e32 v73, v73
	v_mul_f32_e32 v78, s19, v78
	s_wait_alu 0xf1ff
	v_cndmask_b32_e64 v75, v82, v83, s0
	v_cmp_u_f32_e64 s0, v76, v76
	v_or_b32_e32 v87, 0x400000, v72
	v_bfe_u32 v95, v77, 16, 1
	v_add3_u32 v86, v86, v72, 0x7fff
	v_mul_f32_e32 v73, s19, v73
	s_wait_alu 0xf1ff
	v_cndmask_b32_e64 v76, v84, v85, s0
	v_cmp_u_f32_e64 s0, v72, v72
	v_or_b32_e32 v97, 0x400000, v77
	v_bfe_u32 v98, v78, 16, 1
	v_add3_u32 v95, v95, v77, 0x7fff
	v_or_b32_e32 v99, 0x400000, v78
	s_wait_alu 0xf1ff
	v_cndmask_b32_e64 v72, v86, v87, s0
	v_cmp_u_f32_e64 s0, v77, v77
	v_bfe_u32 v100, v79, 16, 1
	v_add3_u32 v98, v98, v78, 0x7fff
	v_or_b32_e32 v101, 0x400000, v79
	v_bfe_u32 v102, v73, 16, 1
	s_wait_alu 0xf1ff
	v_cndmask_b32_e64 v80, v95, v97, s0
	v_cmp_u_f32_e64 s0, v78, v78
	v_add3_u32 v100, v100, v79, 0x7fff
	v_or_b32_e32 v103, 0x400000, v73
	v_add3_u32 v102, v102, v73, 0x7fff
	v_lshrrev_b32_e32 v78, 16, v74
	s_wait_alu 0xf1ff
	v_cndmask_b32_e64 v81, v98, v99, s0
	v_cmp_u_f32_e64 s0, v79, v79
	v_lshrrev_b32_e32 v79, 16, v75
	v_lshrrev_b32_e32 v76, 16, v76
	;; [unrolled: 1-line block ×4, first 2 shown]
	s_wait_alu 0xf1ff
	v_cndmask_b32_e64 v82, v100, v101, s0
	v_cmp_u_f32_e64 s0, v73, v73
	v_lshrrev_b32_e32 v75, 16, v81
	s_delay_alu instid0(VALU_DEP_3) | instskip(SKIP_1) | instid1(VALU_DEP_3)
	v_lshrrev_b32_e32 v72, 16, v82
	s_wait_alu 0xf1ff
	v_cndmask_b32_e64 v73, v102, v103, s0
	s_delay_alu instid0(VALU_DEP_1)
	v_lshrrev_b32_e32 v73, 16, v73
	s_and_saveexec_b32 s1, vcc_lo
	s_cbranch_execz .LBB339_53
; %bb.52:                               ;   in Loop: Header=BB339_42 Depth=1
	v_cmp_gt_i32_e64 s0, s23, v88
	s_wait_alu 0xf1ff
	s_delay_alu instid0(VALU_DEP_1) | instskip(SKIP_2) | instid1(VALU_DEP_1)
	v_cndmask_b32_e64 v78, 0, v78, s0
	v_cmp_gt_i32_e64 s0, s23, v94
	s_wait_alu 0xf1ff
	v_cndmask_b32_e64 v79, 0, v79, s0
	v_cmp_gt_i32_e64 s0, s23, v93
	s_wait_alu 0xf1ff
	s_delay_alu instid0(VALU_DEP_1) | instskip(SKIP_2) | instid1(VALU_DEP_1)
	v_cndmask_b32_e64 v76, 0, v76, s0
	v_cmp_gt_i32_e64 s0, s23, v92
	s_wait_alu 0xf1ff
	v_cndmask_b32_e64 v77, 0, v77, s0
	;; [unrolled: 7-line block ×4, first 2 shown]
.LBB339_53:                             ;   in Loop: Header=BB339_42 Depth=1
	s_wait_alu 0xfffe
	s_or_b32 exec_lo, exec_lo, s1
	global_load_b64 v[80:81], v[13:14], off offset:1280
	s_wait_loadcnt 0x0
	v_bfe_u32 v83, v80, 8, 8
	v_bfe_u32 v84, v80, 16, 8
	;; [unrolled: 1-line block ×4, first 2 shown]
	s_delay_alu instid0(VALU_DEP_4)
	v_cvt_f32_fp8_e32 v83, v83
	v_and_b32_e32 v82, 0xff, v80
	v_lshrrev_b32_e32 v80, 24, v80
	v_cvt_f32_fp8_e32 v84, v84
	v_cvt_f32_fp8_e32 v87, v87
	v_mul_f32_e32 v83, s19, v83
	v_cvt_f32_fp8_e32 v82, v82
	v_and_b32_e32 v85, 0xff, v81
	v_cvt_f32_fp8_e32 v80, v80
	v_lshrrev_b32_e32 v81, 24, v81
	v_bfe_u32 v98, v83, 16, 1
	v_mul_f32_e32 v82, s19, v82
	v_cvt_f32_fp8_e32 v85, v85
	v_mul_f32_e32 v84, s19, v84
	v_dual_mul_f32 v80, s19, v80 :: v_dual_mul_f32 v87, s19, v87
	s_delay_alu instid0(VALU_DEP_4)
	v_bfe_u32 v95, v82, 16, 1
	v_or_b32_e32 v97, 0x400000, v82
	v_cmp_u_f32_e64 s0, v82, v82
	v_mul_f32_e32 v85, s19, v85
	v_or_b32_e32 v99, 0x400000, v83
	v_add3_u32 v95, v95, v82, 0x7fff
	v_bfe_u32 v100, v84, 16, 1
	v_add3_u32 v98, v98, v83, 0x7fff
	v_cvt_f32_fp8_e32 v86, v86
	v_or_b32_e32 v101, 0x400000, v84
	s_wait_alu 0xf1ff
	v_cndmask_b32_e64 v82, v95, v97, s0
	v_cmp_u_f32_e64 s0, v83, v83
	v_bfe_u32 v102, v80, 16, 1
	v_add3_u32 v100, v100, v84, 0x7fff
	v_cvt_f32_fp8_e32 v81, v81
	v_mul_f32_e32 v86, s19, v86
	s_wait_alu 0xf1ff
	v_cndmask_b32_e64 v83, v98, v99, s0
	v_cmp_u_f32_e64 s0, v84, v84
	v_or_b32_e32 v103, 0x400000, v80
	v_bfe_u32 v104, v85, 16, 1
	v_add3_u32 v102, v102, v80, 0x7fff
	v_mul_f32_e32 v81, s19, v81
	s_wait_alu 0xf1ff
	v_cndmask_b32_e64 v84, v100, v101, s0
	v_cmp_u_f32_e64 s0, v80, v80
	v_or_b32_e32 v105, 0x400000, v85
	v_bfe_u32 v106, v86, 16, 1
	v_add3_u32 v104, v104, v85, 0x7fff
	v_or_b32_e32 v107, 0x400000, v86
	s_wait_alu 0xf1ff
	v_cndmask_b32_e64 v80, v102, v103, s0
	v_cmp_u_f32_e64 s0, v85, v85
	v_bfe_u32 v108, v87, 16, 1
	v_add3_u32 v106, v106, v86, 0x7fff
	v_or_b32_e32 v109, 0x400000, v87
	v_bfe_u32 v110, v81, 16, 1
	s_wait_alu 0xf1ff
	v_cndmask_b32_e64 v95, v104, v105, s0
	v_cmp_u_f32_e64 s0, v86, v86
	v_add3_u32 v108, v108, v87, 0x7fff
	v_or_b32_e32 v111, 0x400000, v81
	v_add3_u32 v110, v110, v81, 0x7fff
	v_lshrrev_b32_e32 v86, 16, v82
	s_wait_alu 0xf1ff
	v_cndmask_b32_e64 v97, v106, v107, s0
	v_cmp_u_f32_e64 s0, v87, v87
	v_lshrrev_b32_e32 v87, 16, v83
	v_lshrrev_b32_e32 v84, 16, v84
	;; [unrolled: 1-line block ×4, first 2 shown]
	s_wait_alu 0xf1ff
	v_cndmask_b32_e64 v98, v108, v109, s0
	v_cmp_u_f32_e64 s0, v81, v81
	v_lshrrev_b32_e32 v83, 16, v97
	s_delay_alu instid0(VALU_DEP_3) | instskip(SKIP_1) | instid1(VALU_DEP_3)
	v_lshrrev_b32_e32 v80, 16, v98
	s_wait_alu 0xf1ff
	v_cndmask_b32_e64 v81, v110, v111, s0
	s_delay_alu instid0(VALU_DEP_1)
	v_lshrrev_b32_e32 v81, 16, v81
	s_and_saveexec_b32 s1, vcc_lo
	s_cbranch_execz .LBB339_55
; %bb.54:                               ;   in Loop: Header=BB339_42 Depth=1
	v_cmp_gt_i32_e64 s0, s23, v88
	s_wait_alu 0xf1ff
	s_delay_alu instid0(VALU_DEP_1) | instskip(SKIP_2) | instid1(VALU_DEP_1)
	v_cndmask_b32_e64 v86, 0, v86, s0
	v_cmp_gt_i32_e64 s0, s23, v94
	s_wait_alu 0xf1ff
	v_cndmask_b32_e64 v87, 0, v87, s0
	v_cmp_gt_i32_e64 s0, s23, v93
	s_wait_alu 0xf1ff
	s_delay_alu instid0(VALU_DEP_1) | instskip(SKIP_2) | instid1(VALU_DEP_1)
	v_cndmask_b32_e64 v84, 0, v84, s0
	v_cmp_gt_i32_e64 s0, s23, v92
	s_wait_alu 0xf1ff
	v_cndmask_b32_e64 v85, 0, v85, s0
	;; [unrolled: 7-line block ×4, first 2 shown]
.LBB339_55:                             ;   in Loop: Header=BB339_42 Depth=1
	s_wait_alu 0xfffe
	s_or_b32 exec_lo, exec_lo, s1
	global_load_b64 v[97:98], v[13:14], off offset:1536
	s_wait_loadcnt 0x0
	v_bfe_u32 v100, v97, 16, 8
	v_bfe_u32 v99, v97, 8, 8
	;; [unrolled: 1-line block ×3, first 2 shown]
	v_and_b32_e32 v101, 0xff, v98
	v_bfe_u32 v103, v98, 16, 8
	v_cvt_f32_fp8_e32 v100, v100
	v_and_b32_e32 v95, 0xff, v97
	v_lshrrev_b32_e32 v98, 24, v98
	v_cvt_f32_fp8_e32 v99, v99
	v_cvt_f32_fp8_e32 v102, v102
	v_mul_f32_e32 v100, s19, v100
	v_cvt_f32_fp8_e32 v95, v95
	v_lshrrev_b32_e32 v97, 24, v97
	v_cvt_f32_fp8_e32 v98, v98
	v_dual_mul_f32 v99, s19, v99 :: v_dual_mul_f32 v102, s19, v102
	s_delay_alu instid0(VALU_DEP_4) | instskip(NEXT) | instid1(VALU_DEP_4)
	v_mul_f32_e32 v95, s19, v95
	v_cvt_f32_fp8_e32 v97, v97
	s_delay_alu instid0(VALU_DEP_4) | instskip(NEXT) | instid1(VALU_DEP_4)
	v_mul_f32_e32 v98, s19, v98
	v_bfe_u32 v106, v99, 16, 1
	v_cvt_f32_fp8_e32 v101, v101
	v_bfe_u32 v104, v95, 16, 1
	v_or_b32_e32 v105, 0x400000, v95
	v_cmp_u_f32_e64 s0, v95, v95
	v_mul_f32_e32 v97, s19, v97
	v_or_b32_e32 v107, 0x400000, v99
	v_add3_u32 v104, v104, v95, 0x7fff
	v_bfe_u32 v108, v100, 16, 1
	v_add3_u32 v106, v106, v99, 0x7fff
	v_mul_f32_e32 v101, s19, v101
	v_or_b32_e32 v109, 0x400000, v100
	s_wait_alu 0xf1ff
	v_cndmask_b32_e64 v95, v104, v105, s0
	v_cmp_u_f32_e64 s0, v99, v99
	v_bfe_u32 v110, v97, 16, 1
	v_add3_u32 v108, v108, v100, 0x7fff
	v_cvt_f32_fp8_e32 v103, v103
	v_or_b32_e32 v111, 0x400000, v97
	s_wait_alu 0xf1ff
	v_cndmask_b32_e64 v99, v106, v107, s0
	v_cmp_u_f32_e64 s0, v100, v100
	v_bfe_u32 v112, v101, 16, 1
	v_add3_u32 v110, v110, v97, 0x7fff
	v_mul_f32_e32 v103, s19, v103
	v_or_b32_e32 v113, 0x400000, v101
	s_wait_alu 0xf1ff
	v_cndmask_b32_e64 v100, v108, v109, s0
	v_cmp_u_f32_e64 s0, v97, v97
	v_bfe_u32 v114, v102, 16, 1
	v_add3_u32 v112, v112, v101, 0x7fff
	v_or_b32_e32 v115, 0x400000, v102
	v_bfe_u32 v116, v103, 16, 1
	s_wait_alu 0xf1ff
	v_cndmask_b32_e64 v97, v110, v111, s0
	v_cmp_u_f32_e64 s0, v101, v101
	v_add3_u32 v114, v114, v102, 0x7fff
	v_or_b32_e32 v117, 0x400000, v103
	v_bfe_u32 v118, v98, 16, 1
	v_add3_u32 v116, v116, v103, 0x7fff
	s_wait_alu 0xf1ff
	v_cndmask_b32_e64 v104, v112, v113, s0
	v_cmp_u_f32_e64 s0, v102, v102
	v_or_b32_e32 v119, 0x400000, v98
	v_add3_u32 v118, v118, v98, 0x7fff
	v_lshrrev_b32_e32 v102, 16, v95
	v_lshrrev_b32_e32 v100, 16, v100
	s_wait_alu 0xf1ff
	v_cndmask_b32_e64 v105, v114, v115, s0
	v_cmp_u_f32_e64 s0, v103, v103
	v_lshrrev_b32_e32 v103, 16, v99
	v_lshrrev_b32_e32 v101, 16, v97
	s_delay_alu instid0(VALU_DEP_4) | instskip(SKIP_4) | instid1(VALU_DEP_3)
	v_lshrrev_b32_e32 v99, 16, v105
	s_wait_alu 0xf1ff
	v_cndmask_b32_e64 v106, v116, v117, s0
	v_cmp_u_f32_e64 s0, v98, v98
	v_lshrrev_b32_e32 v98, 16, v104
	v_lshrrev_b32_e32 v95, 16, v106
	s_wait_alu 0xf1ff
	s_delay_alu instid0(VALU_DEP_3) | instskip(NEXT) | instid1(VALU_DEP_1)
	v_cndmask_b32_e64 v107, v118, v119, s0
	v_lshrrev_b32_e32 v97, 16, v107
	s_and_saveexec_b32 s1, vcc_lo
	s_cbranch_execz .LBB339_57
; %bb.56:                               ;   in Loop: Header=BB339_42 Depth=1
	v_cmp_gt_i32_e64 s0, s23, v88
	s_wait_alu 0xf1ff
	s_delay_alu instid0(VALU_DEP_1) | instskip(SKIP_2) | instid1(VALU_DEP_1)
	v_cndmask_b32_e64 v102, 0, v102, s0
	v_cmp_gt_i32_e64 s0, s23, v94
	s_wait_alu 0xf1ff
	v_cndmask_b32_e64 v103, 0, v103, s0
	v_cmp_gt_i32_e64 s0, s23, v93
	s_wait_alu 0xf1ff
	s_delay_alu instid0(VALU_DEP_1) | instskip(SKIP_2) | instid1(VALU_DEP_1)
	v_cndmask_b32_e64 v100, 0, v100, s0
	v_cmp_gt_i32_e64 s0, s23, v92
	s_wait_alu 0xf1ff
	v_cndmask_b32_e64 v101, 0, v101, s0
	;; [unrolled: 7-line block ×4, first 2 shown]
.LBB339_57:                             ;   in Loop: Header=BB339_42 Depth=1
	s_wait_alu 0xfffe
	s_or_b32 exec_lo, exec_lo, s1
	global_load_b64 v[104:105], v[13:14], off offset:1792
	s_wait_loadcnt 0x0
	v_bfe_u32 v107, v104, 8, 8
	v_bfe_u32 v108, v104, 16, 8
	;; [unrolled: 1-line block ×4, first 2 shown]
	s_delay_alu instid0(VALU_DEP_4)
	v_cvt_f32_fp8_e32 v107, v107
	v_and_b32_e32 v106, 0xff, v104
	v_lshrrev_b32_e32 v104, 24, v104
	v_cvt_f32_fp8_e32 v108, v108
	v_cvt_f32_fp8_e32 v111, v111
	v_mul_f32_e32 v107, s19, v107
	v_cvt_f32_fp8_e32 v106, v106
	v_and_b32_e32 v109, 0xff, v105
	v_cvt_f32_fp8_e32 v104, v104
	v_lshrrev_b32_e32 v105, 24, v105
	v_bfe_u32 v114, v107, 16, 1
	v_mul_f32_e32 v106, s19, v106
	v_cvt_f32_fp8_e32 v109, v109
	v_mul_f32_e32 v108, s19, v108
	v_dual_mul_f32 v104, s19, v104 :: v_dual_mul_f32 v111, s19, v111
	s_delay_alu instid0(VALU_DEP_4)
	v_bfe_u32 v112, v106, 16, 1
	v_or_b32_e32 v113, 0x400000, v106
	v_cmp_u_f32_e64 s0, v106, v106
	v_mul_f32_e32 v109, s19, v109
	v_or_b32_e32 v115, 0x400000, v107
	v_add3_u32 v112, v112, v106, 0x7fff
	v_bfe_u32 v116, v108, 16, 1
	v_add3_u32 v114, v114, v107, 0x7fff
	v_cvt_f32_fp8_e32 v110, v110
	v_or_b32_e32 v117, 0x400000, v108
	s_wait_alu 0xf1ff
	v_cndmask_b32_e64 v106, v112, v113, s0
	v_cmp_u_f32_e64 s0, v107, v107
	v_bfe_u32 v118, v104, 16, 1
	v_add3_u32 v116, v116, v108, 0x7fff
	v_cvt_f32_fp8_e32 v105, v105
	v_mul_f32_e32 v110, s19, v110
	s_wait_alu 0xf1ff
	v_cndmask_b32_e64 v107, v114, v115, s0
	v_cmp_u_f32_e64 s0, v108, v108
	v_or_b32_e32 v119, 0x400000, v104
	v_bfe_u32 v120, v109, 16, 1
	v_add3_u32 v118, v118, v104, 0x7fff
	v_mul_f32_e32 v105, s19, v105
	s_wait_alu 0xf1ff
	v_cndmask_b32_e64 v108, v116, v117, s0
	v_cmp_u_f32_e64 s0, v104, v104
	v_or_b32_e32 v121, 0x400000, v109
	v_bfe_u32 v122, v110, 16, 1
	v_add3_u32 v120, v120, v109, 0x7fff
	v_or_b32_e32 v123, 0x400000, v110
	s_wait_alu 0xf1ff
	v_cndmask_b32_e64 v104, v118, v119, s0
	v_cmp_u_f32_e64 s0, v109, v109
	v_bfe_u32 v124, v111, 16, 1
	v_add3_u32 v122, v122, v110, 0x7fff
	v_or_b32_e32 v125, 0x400000, v111
	v_bfe_u32 v126, v105, 16, 1
	s_wait_alu 0xf1ff
	v_cndmask_b32_e64 v112, v120, v121, s0
	v_cmp_u_f32_e64 s0, v110, v110
	v_add3_u32 v124, v124, v111, 0x7fff
	v_or_b32_e32 v127, 0x400000, v105
	v_add3_u32 v126, v126, v105, 0x7fff
	v_lshrrev_b32_e32 v110, 16, v106
	s_wait_alu 0xf1ff
	v_cndmask_b32_e64 v113, v122, v123, s0
	v_cmp_u_f32_e64 s0, v111, v111
	v_lshrrev_b32_e32 v111, 16, v107
	v_lshrrev_b32_e32 v108, 16, v108
	v_lshrrev_b32_e32 v109, 16, v104
	v_lshrrev_b32_e32 v106, 16, v112
	s_wait_alu 0xf1ff
	v_cndmask_b32_e64 v114, v124, v125, s0
	v_cmp_u_f32_e64 s0, v105, v105
	v_lshrrev_b32_e32 v107, 16, v113
	s_delay_alu instid0(VALU_DEP_3) | instskip(SKIP_1) | instid1(VALU_DEP_3)
	v_lshrrev_b32_e32 v104, 16, v114
	s_wait_alu 0xf1ff
	v_cndmask_b32_e64 v105, v126, v127, s0
	s_delay_alu instid0(VALU_DEP_1)
	v_lshrrev_b32_e32 v105, 16, v105
	s_and_saveexec_b32 s1, vcc_lo
	s_cbranch_execz .LBB339_59
; %bb.58:                               ;   in Loop: Header=BB339_42 Depth=1
	v_cmp_gt_i32_e64 s0, s23, v88
	s_wait_alu 0xf1ff
	s_delay_alu instid0(VALU_DEP_1) | instskip(SKIP_2) | instid1(VALU_DEP_1)
	v_cndmask_b32_e64 v110, 0, v110, s0
	v_cmp_gt_i32_e64 s0, s23, v94
	s_wait_alu 0xf1ff
	v_cndmask_b32_e64 v111, 0, v111, s0
	v_cmp_gt_i32_e64 s0, s23, v93
	s_wait_alu 0xf1ff
	s_delay_alu instid0(VALU_DEP_1) | instskip(SKIP_2) | instid1(VALU_DEP_1)
	v_cndmask_b32_e64 v108, 0, v108, s0
	v_cmp_gt_i32_e64 s0, s23, v92
	s_wait_alu 0xf1ff
	v_cndmask_b32_e64 v109, 0, v109, s0
	;; [unrolled: 7-line block ×4, first 2 shown]
.LBB339_59:                             ;   in Loop: Header=BB339_42 Depth=1
	s_wait_alu 0xfffe
	s_or_b32 exec_lo, exec_lo, s1
	global_load_b64 v[112:113], v[13:14], off offset:2048
	s_wait_loadcnt 0x0
	v_bfe_u32 v115, v112, 8, 8
	v_bfe_u32 v116, v112, 16, 8
	;; [unrolled: 1-line block ×4, first 2 shown]
	s_delay_alu instid0(VALU_DEP_4)
	v_cvt_f32_fp8_e32 v115, v115
	v_and_b32_e32 v114, 0xff, v112
	v_lshrrev_b32_e32 v112, 24, v112
	v_cvt_f32_fp8_e32 v116, v116
	v_cvt_f32_fp8_e32 v119, v119
	v_mul_f32_e32 v115, s19, v115
	v_cvt_f32_fp8_e32 v114, v114
	v_and_b32_e32 v117, 0xff, v113
	v_cvt_f32_fp8_e32 v112, v112
	v_lshrrev_b32_e32 v113, 24, v113
	v_bfe_u32 v122, v115, 16, 1
	v_mul_f32_e32 v114, s19, v114
	v_cvt_f32_fp8_e32 v117, v117
	v_mul_f32_e32 v116, s19, v116
	v_dual_mul_f32 v112, s19, v112 :: v_dual_mul_f32 v119, s19, v119
	s_delay_alu instid0(VALU_DEP_4)
	v_bfe_u32 v120, v114, 16, 1
	v_or_b32_e32 v121, 0x400000, v114
	v_cmp_u_f32_e64 s0, v114, v114
	v_mul_f32_e32 v117, s19, v117
	v_or_b32_e32 v123, 0x400000, v115
	v_add3_u32 v120, v120, v114, 0x7fff
	v_bfe_u32 v124, v116, 16, 1
	v_add3_u32 v122, v122, v115, 0x7fff
	v_cvt_f32_fp8_e32 v118, v118
	v_or_b32_e32 v125, 0x400000, v116
	s_wait_alu 0xf1ff
	v_cndmask_b32_e64 v114, v120, v121, s0
	v_cmp_u_f32_e64 s0, v115, v115
	v_bfe_u32 v126, v112, 16, 1
	v_add3_u32 v124, v124, v116, 0x7fff
	v_cvt_f32_fp8_e32 v113, v113
	v_mul_f32_e32 v118, s19, v118
	s_wait_alu 0xf1ff
	v_cndmask_b32_e64 v115, v122, v123, s0
	v_cmp_u_f32_e64 s0, v116, v116
	v_or_b32_e32 v127, 0x400000, v112
	v_bfe_u32 v128, v117, 16, 1
	v_add3_u32 v126, v126, v112, 0x7fff
	v_mul_f32_e32 v113, s19, v113
	s_wait_alu 0xf1ff
	v_cndmask_b32_e64 v116, v124, v125, s0
	v_cmp_u_f32_e64 s0, v112, v112
	v_or_b32_e32 v129, 0x400000, v117
	v_bfe_u32 v130, v118, 16, 1
	v_add3_u32 v128, v128, v117, 0x7fff
	v_or_b32_e32 v131, 0x400000, v118
	s_wait_alu 0xf1ff
	v_cndmask_b32_e64 v112, v126, v127, s0
	v_cmp_u_f32_e64 s0, v117, v117
	v_bfe_u32 v132, v119, 16, 1
	v_add3_u32 v130, v130, v118, 0x7fff
	v_or_b32_e32 v133, 0x400000, v119
	v_bfe_u32 v134, v113, 16, 1
	s_wait_alu 0xf1ff
	v_cndmask_b32_e64 v120, v128, v129, s0
	v_cmp_u_f32_e64 s0, v118, v118
	v_add3_u32 v132, v132, v119, 0x7fff
	v_or_b32_e32 v135, 0x400000, v113
	v_add3_u32 v134, v134, v113, 0x7fff
	v_lshrrev_b32_e32 v118, 16, v114
	s_wait_alu 0xf1ff
	v_cndmask_b32_e64 v121, v130, v131, s0
	v_cmp_u_f32_e64 s0, v119, v119
	v_lshrrev_b32_e32 v119, 16, v115
	v_lshrrev_b32_e32 v116, 16, v116
	;; [unrolled: 1-line block ×4, first 2 shown]
	s_wait_alu 0xf1ff
	v_cndmask_b32_e64 v122, v132, v133, s0
	v_cmp_u_f32_e64 s0, v113, v113
	v_lshrrev_b32_e32 v115, 16, v121
	s_delay_alu instid0(VALU_DEP_3) | instskip(SKIP_1) | instid1(VALU_DEP_3)
	v_lshrrev_b32_e32 v112, 16, v122
	s_wait_alu 0xf1ff
	v_cndmask_b32_e64 v113, v134, v135, s0
	s_delay_alu instid0(VALU_DEP_1)
	v_lshrrev_b32_e32 v113, 16, v113
	s_and_saveexec_b32 s1, vcc_lo
	s_cbranch_execz .LBB339_61
; %bb.60:                               ;   in Loop: Header=BB339_42 Depth=1
	v_cmp_gt_i32_e64 s0, s23, v88
	s_wait_alu 0xf1ff
	s_delay_alu instid0(VALU_DEP_1) | instskip(SKIP_2) | instid1(VALU_DEP_1)
	v_cndmask_b32_e64 v118, 0, v118, s0
	v_cmp_gt_i32_e64 s0, s23, v94
	s_wait_alu 0xf1ff
	v_cndmask_b32_e64 v119, 0, v119, s0
	v_cmp_gt_i32_e64 s0, s23, v93
	s_wait_alu 0xf1ff
	s_delay_alu instid0(VALU_DEP_1) | instskip(SKIP_2) | instid1(VALU_DEP_1)
	v_cndmask_b32_e64 v116, 0, v116, s0
	v_cmp_gt_i32_e64 s0, s23, v92
	s_wait_alu 0xf1ff
	v_cndmask_b32_e64 v117, 0, v117, s0
	;; [unrolled: 7-line block ×4, first 2 shown]
.LBB339_61:                             ;   in Loop: Header=BB339_42 Depth=1
	s_wait_alu 0xfffe
	s_or_b32 exec_lo, exec_lo, s1
	global_load_b64 v[120:121], v[13:14], off offset:2304
	s_wait_loadcnt 0x0
	v_bfe_u32 v123, v120, 8, 8
	v_bfe_u32 v124, v120, 16, 8
	;; [unrolled: 1-line block ×4, first 2 shown]
	s_delay_alu instid0(VALU_DEP_4)
	v_cvt_f32_fp8_e32 v123, v123
	v_and_b32_e32 v122, 0xff, v120
	v_lshrrev_b32_e32 v120, 24, v120
	v_cvt_f32_fp8_e32 v124, v124
	v_cvt_f32_fp8_e32 v127, v127
	v_mul_f32_e32 v123, s19, v123
	v_cvt_f32_fp8_e32 v122, v122
	v_and_b32_e32 v125, 0xff, v121
	v_cvt_f32_fp8_e32 v120, v120
	v_lshrrev_b32_e32 v121, 24, v121
	v_bfe_u32 v130, v123, 16, 1
	v_mul_f32_e32 v122, s19, v122
	v_cvt_f32_fp8_e32 v125, v125
	v_mul_f32_e32 v124, s19, v124
	v_dual_mul_f32 v120, s19, v120 :: v_dual_mul_f32 v127, s19, v127
	s_delay_alu instid0(VALU_DEP_4)
	v_bfe_u32 v128, v122, 16, 1
	v_or_b32_e32 v129, 0x400000, v122
	v_cmp_u_f32_e64 s0, v122, v122
	v_mul_f32_e32 v125, s19, v125
	v_or_b32_e32 v131, 0x400000, v123
	v_add3_u32 v128, v128, v122, 0x7fff
	v_bfe_u32 v132, v124, 16, 1
	v_add3_u32 v130, v130, v123, 0x7fff
	v_cvt_f32_fp8_e32 v126, v126
	v_or_b32_e32 v133, 0x400000, v124
	s_wait_alu 0xf1ff
	v_cndmask_b32_e64 v122, v128, v129, s0
	v_cmp_u_f32_e64 s0, v123, v123
	v_bfe_u32 v134, v120, 16, 1
	v_add3_u32 v132, v132, v124, 0x7fff
	v_cvt_f32_fp8_e32 v121, v121
	v_mul_f32_e32 v126, s19, v126
	s_wait_alu 0xf1ff
	v_cndmask_b32_e64 v123, v130, v131, s0
	v_cmp_u_f32_e64 s0, v124, v124
	v_or_b32_e32 v135, 0x400000, v120
	v_bfe_u32 v136, v125, 16, 1
	v_add3_u32 v134, v134, v120, 0x7fff
	v_mul_f32_e32 v121, s19, v121
	s_wait_alu 0xf1ff
	v_cndmask_b32_e64 v124, v132, v133, s0
	v_cmp_u_f32_e64 s0, v120, v120
	v_or_b32_e32 v137, 0x400000, v125
	v_bfe_u32 v138, v126, 16, 1
	v_add3_u32 v136, v136, v125, 0x7fff
	v_or_b32_e32 v139, 0x400000, v126
	s_wait_alu 0xf1ff
	v_cndmask_b32_e64 v120, v134, v135, s0
	v_cmp_u_f32_e64 s0, v125, v125
	v_bfe_u32 v140, v127, 16, 1
	v_add3_u32 v138, v138, v126, 0x7fff
	v_or_b32_e32 v141, 0x400000, v127
	v_bfe_u32 v142, v121, 16, 1
	s_wait_alu 0xf1ff
	v_cndmask_b32_e64 v125, v136, v137, s0
	v_cmp_u_f32_e64 s0, v126, v126
	v_add3_u32 v140, v140, v127, 0x7fff
	v_or_b32_e32 v143, 0x400000, v121
	v_add3_u32 v142, v142, v121, 0x7fff
	v_lshrrev_b32_e32 v132, 16, v122
	s_wait_alu 0xf1ff
	v_cndmask_b32_e64 v126, v138, v139, s0
	v_cmp_u_f32_e64 s0, v127, v127
	v_lshrrev_b32_e32 v133, 16, v123
	v_lshrrev_b32_e32 v130, 16, v124
	;; [unrolled: 1-line block ×4, first 2 shown]
	s_wait_alu 0xf1ff
	v_cndmask_b32_e64 v127, v140, v141, s0
	v_cmp_u_f32_e64 s0, v121, v121
	v_lshrrev_b32_e32 v129, 16, v126
	s_delay_alu instid0(VALU_DEP_3) | instskip(SKIP_1) | instid1(VALU_DEP_3)
	v_lshrrev_b32_e32 v124, 16, v127
	s_wait_alu 0xf1ff
	v_cndmask_b32_e64 v121, v142, v143, s0
	s_delay_alu instid0(VALU_DEP_1)
	v_lshrrev_b32_e32 v126, 16, v121
	s_and_saveexec_b32 s1, vcc_lo
	s_cbranch_execz .LBB339_63
; %bb.62:                               ;   in Loop: Header=BB339_42 Depth=1
	v_cmp_gt_i32_e64 s0, s23, v88
	s_wait_alu 0xf1ff
	s_delay_alu instid0(VALU_DEP_1) | instskip(SKIP_2) | instid1(VALU_DEP_1)
	v_cndmask_b32_e64 v132, 0, v132, s0
	v_cmp_gt_i32_e64 s0, s23, v94
	s_wait_alu 0xf1ff
	v_cndmask_b32_e64 v133, 0, v133, s0
	v_cmp_gt_i32_e64 s0, s23, v93
	s_wait_alu 0xf1ff
	s_delay_alu instid0(VALU_DEP_1) | instskip(SKIP_2) | instid1(VALU_DEP_1)
	v_cndmask_b32_e64 v130, 0, v130, s0
	v_cmp_gt_i32_e64 s0, s23, v92
	s_wait_alu 0xf1ff
	v_cndmask_b32_e64 v131, 0, v131, s0
	;; [unrolled: 7-line block ×4, first 2 shown]
.LBB339_63:                             ;   in Loop: Header=BB339_42 Depth=1
	s_wait_alu 0xfffe
	s_or_b32 exec_lo, exec_lo, s1
	global_load_b64 v[120:121], v[13:14], off offset:2560
	s_wait_loadcnt 0x0
	v_bfe_u32 v123, v120, 8, 8
	v_bfe_u32 v125, v120, 16, 8
	;; [unrolled: 1-line block ×4, first 2 shown]
	s_delay_alu instid0(VALU_DEP_4)
	v_cvt_f32_fp8_e32 v123, v123
	v_and_b32_e32 v122, 0xff, v120
	v_lshrrev_b32_e32 v120, 24, v120
	v_cvt_f32_fp8_e32 v125, v125
	v_cvt_f32_fp8_e32 v134, v134
	v_mul_f32_e32 v123, s19, v123
	v_cvt_f32_fp8_e32 v122, v122
	v_and_b32_e32 v127, 0xff, v121
	v_cvt_f32_fp8_e32 v120, v120
	v_mul_f32_e32 v125, s19, v125
	v_bfe_u32 v138, v123, 16, 1
	v_mul_f32_e32 v122, s19, v122
	v_cvt_f32_fp8_e32 v127, v127
	v_mul_f32_e32 v120, s19, v120
	v_or_b32_e32 v139, 0x400000, v123
	v_bfe_u32 v140, v125, 16, 1
	v_bfe_u32 v136, v122, 16, 1
	v_or_b32_e32 v137, 0x400000, v122
	v_cmp_u_f32_e64 s0, v122, v122
	v_add3_u32 v138, v138, v123, 0x7fff
	v_dual_mul_f32 v127, s19, v127 :: v_dual_mul_f32 v134, s19, v134
	v_add3_u32 v136, v136, v122, 0x7fff
	v_or_b32_e32 v141, 0x400000, v125
	v_bfe_u32 v142, v120, 16, 1
	v_add3_u32 v140, v140, v125, 0x7fff
	v_lshrrev_b32_e32 v121, 24, v121
	s_wait_alu 0xf1ff
	v_cndmask_b32_e64 v122, v136, v137, s0
	v_cmp_u_f32_e64 s0, v123, v123
	v_cvt_f32_fp8_e32 v135, v135
	v_or_b32_e32 v143, 0x400000, v120
	v_bfe_u32 v144, v127, 16, 1
	v_add3_u32 v142, v142, v120, 0x7fff
	s_wait_alu 0xf1ff
	v_cndmask_b32_e64 v123, v138, v139, s0
	v_cmp_u_f32_e64 s0, v125, v125
	v_cvt_f32_fp8_e32 v121, v121
	v_mul_f32_e32 v135, s19, v135
	v_or_b32_e32 v145, 0x400000, v127
	v_bfe_u32 v146, v134, 16, 1
	s_wait_alu 0xf1ff
	v_cndmask_b32_e64 v125, v140, v141, s0
	v_cmp_u_f32_e64 s0, v120, v120
	v_add3_u32 v144, v144, v127, 0x7fff
	v_mul_f32_e32 v121, s19, v121
	v_or_b32_e32 v147, 0x400000, v134
	v_bfe_u32 v148, v135, 16, 1
	s_wait_alu 0xf1ff
	v_cndmask_b32_e64 v120, v142, v143, s0
	v_cmp_u_f32_e64 s0, v127, v127
	v_add3_u32 v146, v146, v134, 0x7fff
	v_or_b32_e32 v149, 0x400000, v135
	v_bfe_u32 v150, v121, 16, 1
	v_add3_u32 v148, v148, v135, 0x7fff
	s_wait_alu 0xf1ff
	v_cndmask_b32_e64 v127, v144, v145, s0
	v_cmp_u_f32_e64 s0, v134, v134
	v_or_b32_e32 v151, 0x400000, v121
	v_add3_u32 v150, v150, v121, 0x7fff
	v_lshrrev_b32_e32 v140, 16, v122
	v_lshrrev_b32_e32 v141, 16, v123
	s_wait_alu 0xf1ff
	v_cndmask_b32_e64 v134, v146, v147, s0
	v_cmp_u_f32_e64 s0, v135, v135
	v_lshrrev_b32_e32 v138, 16, v125
	v_lshrrev_b32_e32 v139, 16, v120
	;; [unrolled: 1-line block ×4, first 2 shown]
	s_wait_alu 0xf1ff
	v_cndmask_b32_e64 v135, v148, v149, s0
	v_cmp_u_f32_e64 s0, v121, v121
	s_delay_alu instid0(VALU_DEP_2) | instskip(SKIP_1) | instid1(VALU_DEP_2)
	v_lshrrev_b32_e32 v134, 16, v135
	s_wait_alu 0xf1ff
	v_cndmask_b32_e64 v121, v150, v151, s0
	s_delay_alu instid0(VALU_DEP_1)
	v_lshrrev_b32_e32 v135, 16, v121
	s_and_saveexec_b32 s1, vcc_lo
	s_cbranch_execz .LBB339_65
; %bb.64:                               ;   in Loop: Header=BB339_42 Depth=1
	v_cmp_gt_i32_e64 s0, s23, v88
	s_wait_alu 0xf1ff
	s_delay_alu instid0(VALU_DEP_1) | instskip(SKIP_2) | instid1(VALU_DEP_1)
	v_cndmask_b32_e64 v140, 0, v140, s0
	v_cmp_gt_i32_e64 s0, s23, v94
	s_wait_alu 0xf1ff
	v_cndmask_b32_e64 v141, 0, v141, s0
	v_cmp_gt_i32_e64 s0, s23, v93
	s_wait_alu 0xf1ff
	s_delay_alu instid0(VALU_DEP_1) | instskip(SKIP_2) | instid1(VALU_DEP_1)
	v_cndmask_b32_e64 v138, 0, v138, s0
	v_cmp_gt_i32_e64 s0, s23, v92
	s_wait_alu 0xf1ff
	v_cndmask_b32_e64 v139, 0, v139, s0
	v_cmp_gt_i32_e64 s0, s23, v91
	s_wait_alu 0xf1ff
	s_delay_alu instid0(VALU_DEP_1) | instskip(SKIP_2) | instid1(VALU_DEP_1)
	v_cndmask_b32_e64 v136, 0, v136, s0
	v_cmp_gt_i32_e64 s0, s23, v90
	s_wait_alu 0xf1ff
	v_cndmask_b32_e64 v137, 0, v137, s0
	v_cmp_gt_i32_e64 s0, s23, v89
	s_wait_alu 0xf1ff
	s_delay_alu instid0(VALU_DEP_1) | instskip(SKIP_2) | instid1(VALU_DEP_1)
	v_cndmask_b32_e64 v134, 0, v134, s0
	v_cmp_gt_i32_e64 s0, s23, v96
	s_wait_alu 0xf1ff
	v_cndmask_b32_e64 v135, 0, v135, s0
.LBB339_65:                             ;   in Loop: Header=BB339_42 Depth=1
	s_wait_alu 0xfffe
	s_or_b32 exec_lo, exec_lo, s1
	global_load_b64 v[120:121], v[13:14], off offset:2816
	s_wait_loadcnt 0x0
	v_bfe_u32 v123, v120, 8, 8
	v_bfe_u32 v125, v120, 16, 8
	;; [unrolled: 1-line block ×4, first 2 shown]
	s_delay_alu instid0(VALU_DEP_4)
	v_cvt_f32_fp8_e32 v123, v123
	v_and_b32_e32 v122, 0xff, v120
	v_lshrrev_b32_e32 v120, 24, v120
	v_cvt_f32_fp8_e32 v125, v125
	v_cvt_f32_fp8_e32 v142, v142
	v_mul_f32_e32 v123, s19, v123
	v_cvt_f32_fp8_e32 v122, v122
	v_and_b32_e32 v127, 0xff, v121
	v_cvt_f32_fp8_e32 v120, v120
	v_mul_f32_e32 v125, s19, v125
	v_bfe_u32 v146, v123, 16, 1
	v_mul_f32_e32 v122, s19, v122
	v_cvt_f32_fp8_e32 v127, v127
	v_mul_f32_e32 v120, s19, v120
	v_or_b32_e32 v147, 0x400000, v123
	v_bfe_u32 v148, v125, 16, 1
	v_bfe_u32 v144, v122, 16, 1
	v_or_b32_e32 v145, 0x400000, v122
	v_cmp_u_f32_e64 s0, v122, v122
	v_add3_u32 v146, v146, v123, 0x7fff
	v_dual_mul_f32 v127, s19, v127 :: v_dual_mul_f32 v142, s19, v142
	v_add3_u32 v144, v144, v122, 0x7fff
	v_or_b32_e32 v149, 0x400000, v125
	v_bfe_u32 v150, v120, 16, 1
	v_add3_u32 v148, v148, v125, 0x7fff
	v_lshrrev_b32_e32 v121, 24, v121
	s_wait_alu 0xf1ff
	v_cndmask_b32_e64 v122, v144, v145, s0
	v_cmp_u_f32_e64 s0, v123, v123
	v_cvt_f32_fp8_e32 v143, v143
	v_or_b32_e32 v151, 0x400000, v120
	v_bfe_u32 v152, v127, 16, 1
	v_add3_u32 v150, v150, v120, 0x7fff
	s_wait_alu 0xf1ff
	v_cndmask_b32_e64 v123, v146, v147, s0
	v_cmp_u_f32_e64 s0, v125, v125
	v_cvt_f32_fp8_e32 v121, v121
	v_mul_f32_e32 v143, s19, v143
	v_or_b32_e32 v153, 0x400000, v127
	v_bfe_u32 v154, v142, 16, 1
	s_wait_alu 0xf1ff
	v_cndmask_b32_e64 v125, v148, v149, s0
	v_cmp_u_f32_e64 s0, v120, v120
	v_add3_u32 v152, v152, v127, 0x7fff
	v_mul_f32_e32 v121, s19, v121
	v_or_b32_e32 v155, 0x400000, v142
	v_bfe_u32 v156, v143, 16, 1
	s_wait_alu 0xf1ff
	v_cndmask_b32_e64 v120, v150, v151, s0
	v_cmp_u_f32_e64 s0, v127, v127
	v_add3_u32 v154, v154, v142, 0x7fff
	v_or_b32_e32 v157, 0x400000, v143
	v_bfe_u32 v158, v121, 16, 1
	v_add3_u32 v156, v156, v143, 0x7fff
	s_wait_alu 0xf1ff
	v_cndmask_b32_e64 v127, v152, v153, s0
	v_cmp_u_f32_e64 s0, v142, v142
	v_or_b32_e32 v159, 0x400000, v121
	v_add3_u32 v158, v158, v121, 0x7fff
	v_lshrrev_b32_e32 v148, 16, v122
	v_lshrrev_b32_e32 v149, 16, v123
	s_wait_alu 0xf1ff
	v_cndmask_b32_e64 v142, v154, v155, s0
	v_cmp_u_f32_e64 s0, v143, v143
	v_lshrrev_b32_e32 v146, 16, v125
	v_lshrrev_b32_e32 v147, 16, v120
	;; [unrolled: 1-line block ×4, first 2 shown]
	s_wait_alu 0xf1ff
	v_cndmask_b32_e64 v143, v156, v157, s0
	v_cmp_u_f32_e64 s0, v121, v121
	s_delay_alu instid0(VALU_DEP_2) | instskip(SKIP_1) | instid1(VALU_DEP_2)
	v_lshrrev_b32_e32 v142, 16, v143
	s_wait_alu 0xf1ff
	v_cndmask_b32_e64 v121, v158, v159, s0
	s_delay_alu instid0(VALU_DEP_1)
	v_lshrrev_b32_e32 v143, 16, v121
	s_and_saveexec_b32 s1, vcc_lo
	s_cbranch_execz .LBB339_67
; %bb.66:                               ;   in Loop: Header=BB339_42 Depth=1
	v_cmp_gt_i32_e64 s0, s23, v88
	s_wait_alu 0xf1ff
	s_delay_alu instid0(VALU_DEP_1) | instskip(SKIP_2) | instid1(VALU_DEP_1)
	v_cndmask_b32_e64 v148, 0, v148, s0
	v_cmp_gt_i32_e64 s0, s23, v94
	s_wait_alu 0xf1ff
	v_cndmask_b32_e64 v149, 0, v149, s0
	v_cmp_gt_i32_e64 s0, s23, v93
	s_wait_alu 0xf1ff
	s_delay_alu instid0(VALU_DEP_1) | instskip(SKIP_2) | instid1(VALU_DEP_1)
	v_cndmask_b32_e64 v146, 0, v146, s0
	v_cmp_gt_i32_e64 s0, s23, v92
	s_wait_alu 0xf1ff
	v_cndmask_b32_e64 v147, 0, v147, s0
	;; [unrolled: 7-line block ×4, first 2 shown]
.LBB339_67:                             ;   in Loop: Header=BB339_42 Depth=1
	s_wait_alu 0xfffe
	s_or_b32 exec_lo, exec_lo, s1
	global_load_b64 v[120:121], v[13:14], off offset:3072
	s_wait_loadcnt 0x0
	v_bfe_u32 v123, v120, 8, 8
	v_bfe_u32 v125, v120, 16, 8
	;; [unrolled: 1-line block ×4, first 2 shown]
	s_delay_alu instid0(VALU_DEP_4)
	v_cvt_f32_fp8_e32 v123, v123
	v_and_b32_e32 v122, 0xff, v120
	v_lshrrev_b32_e32 v120, 24, v120
	v_cvt_f32_fp8_e32 v125, v125
	v_cvt_f32_fp8_e32 v150, v150
	v_mul_f32_e32 v123, s19, v123
	v_cvt_f32_fp8_e32 v122, v122
	v_and_b32_e32 v127, 0xff, v121
	v_lshrrev_b32_e32 v121, 24, v121
	v_cvt_f32_fp8_e32 v120, v120
	v_cvt_f32_fp8_e32 v151, v151
	v_mul_f32_e32 v122, s19, v122
	v_cvt_f32_fp8_e32 v127, v127
	v_cvt_f32_fp8_e32 v121, v121
	v_dual_mul_f32 v125, s19, v125 :: v_dual_mul_f32 v120, s19, v120
	s_delay_alu instid0(VALU_DEP_3) | instskip(SKIP_1) | instid1(VALU_DEP_4)
	v_dual_mul_f32 v150, s19, v150 :: v_dual_mul_f32 v127, s19, v127
	v_mul_f32_e32 v151, s19, v151
	v_mul_f32_e32 v121, s19, v121
	v_bfe_u32 v152, v122, 16, 1
	v_bfe_u32 v154, v123, 16, 1
	;; [unrolled: 1-line block ×8, first 2 shown]
	v_or_b32_e32 v153, 0x400000, v122
	v_or_b32_e32 v155, 0x400000, v123
	;; [unrolled: 1-line block ×8, first 2 shown]
	v_cmp_u_f32_e64 s0, v122, v122
	v_cmp_u_f32_e64 s1, v123, v123
	;; [unrolled: 1-line block ×8, first 2 shown]
	v_add3_u32 v122, v152, v122, 0x7fff
	v_add3_u32 v123, v154, v123, 0x7fff
	;; [unrolled: 1-line block ×8, first 2 shown]
	s_wait_alu 0xf1ff
	v_cndmask_b32_e64 v122, v122, v153, s0
	v_cndmask_b32_e64 v123, v123, v155, s1
	;; [unrolled: 1-line block ×8, first 2 shown]
	v_lshrrev_b32_e32 v156, 16, v122
	v_lshrrev_b32_e32 v157, 16, v123
	;; [unrolled: 1-line block ×8, first 2 shown]
	s_and_saveexec_b32 s1, vcc_lo
	s_cbranch_execz .LBB339_69
; %bb.68:                               ;   in Loop: Header=BB339_42 Depth=1
	v_cmp_gt_i32_e64 s0, s23, v88
	s_wait_alu 0xf1ff
	s_delay_alu instid0(VALU_DEP_1) | instskip(SKIP_2) | instid1(VALU_DEP_1)
	v_cndmask_b32_e64 v156, 0, v156, s0
	v_cmp_gt_i32_e64 s0, s23, v94
	s_wait_alu 0xf1ff
	v_cndmask_b32_e64 v157, 0, v157, s0
	v_cmp_gt_i32_e64 s0, s23, v93
	s_wait_alu 0xf1ff
	s_delay_alu instid0(VALU_DEP_1) | instskip(SKIP_2) | instid1(VALU_DEP_1)
	v_cndmask_b32_e64 v154, 0, v154, s0
	v_cmp_gt_i32_e64 s0, s23, v92
	s_wait_alu 0xf1ff
	v_cndmask_b32_e64 v155, 0, v155, s0
	v_cmp_gt_i32_e64 s0, s23, v91
	s_wait_alu 0xf1ff
	s_delay_alu instid0(VALU_DEP_1) | instskip(SKIP_2) | instid1(VALU_DEP_1)
	v_cndmask_b32_e64 v152, 0, v152, s0
	v_cmp_gt_i32_e64 s0, s23, v90
	s_wait_alu 0xf1ff
	v_cndmask_b32_e64 v153, 0, v153, s0
	v_cmp_gt_i32_e64 s0, s23, v89
	s_wait_alu 0xf1ff
	s_delay_alu instid0(VALU_DEP_1) | instskip(SKIP_2) | instid1(VALU_DEP_1)
	v_cndmask_b32_e64 v150, 0, v150, s0
	v_cmp_gt_i32_e64 s0, s23, v96
	s_wait_alu 0xf1ff
	v_cndmask_b32_e64 v151, 0, v151, s0
.LBB339_69:                             ;   in Loop: Header=BB339_42 Depth=1
	s_wait_alu 0xfffe
	s_or_b32 exec_lo, exec_lo, s1
	global_load_b64 v[120:121], v[13:14], off offset:3328
	s_wait_loadcnt 0x0
	v_bfe_u32 v123, v120, 8, 8
	v_bfe_u32 v125, v120, 16, 8
	;; [unrolled: 1-line block ×4, first 2 shown]
	s_delay_alu instid0(VALU_DEP_4)
	v_cvt_f32_fp8_e32 v123, v123
	v_and_b32_e32 v122, 0xff, v120
	v_lshrrev_b32_e32 v120, 24, v120
	v_cvt_f32_fp8_e32 v125, v125
	v_cvt_f32_fp8_e32 v158, v158
	v_mul_f32_e32 v123, s19, v123
	v_cvt_f32_fp8_e32 v122, v122
	v_and_b32_e32 v127, 0xff, v121
	v_cvt_f32_fp8_e32 v120, v120
	v_mul_f32_e32 v125, s19, v125
	v_bfe_u32 v162, v123, 16, 1
	v_mul_f32_e32 v122, s19, v122
	v_cvt_f32_fp8_e32 v127, v127
	v_mul_f32_e32 v120, s19, v120
	v_or_b32_e32 v163, 0x400000, v123
	v_bfe_u32 v164, v125, 16, 1
	v_bfe_u32 v160, v122, 16, 1
	v_or_b32_e32 v161, 0x400000, v122
	v_cmp_u_f32_e64 s0, v122, v122
	v_add3_u32 v162, v162, v123, 0x7fff
	v_dual_mul_f32 v127, s19, v127 :: v_dual_mul_f32 v158, s19, v158
	v_add3_u32 v160, v160, v122, 0x7fff
	v_or_b32_e32 v165, 0x400000, v125
	v_bfe_u32 v166, v120, 16, 1
	v_add3_u32 v164, v164, v125, 0x7fff
	v_lshrrev_b32_e32 v121, 24, v121
	s_wait_alu 0xf1ff
	v_cndmask_b32_e64 v122, v160, v161, s0
	v_cmp_u_f32_e64 s0, v123, v123
	v_cvt_f32_fp8_e32 v159, v159
	v_or_b32_e32 v167, 0x400000, v120
	v_bfe_u32 v168, v127, 16, 1
	v_add3_u32 v166, v166, v120, 0x7fff
	s_wait_alu 0xf1ff
	v_cndmask_b32_e64 v123, v162, v163, s0
	v_cmp_u_f32_e64 s0, v125, v125
	v_cvt_f32_fp8_e32 v121, v121
	v_mul_f32_e32 v159, s19, v159
	v_or_b32_e32 v169, 0x400000, v127
	v_bfe_u32 v170, v158, 16, 1
	s_wait_alu 0xf1ff
	v_cndmask_b32_e64 v125, v164, v165, s0
	v_cmp_u_f32_e64 s0, v120, v120
	v_add3_u32 v168, v168, v127, 0x7fff
	v_mul_f32_e32 v121, s19, v121
	v_or_b32_e32 v171, 0x400000, v158
	v_bfe_u32 v172, v159, 16, 1
	s_wait_alu 0xf1ff
	v_cndmask_b32_e64 v120, v166, v167, s0
	v_cmp_u_f32_e64 s0, v127, v127
	v_add3_u32 v170, v170, v158, 0x7fff
	v_or_b32_e32 v173, 0x400000, v159
	v_bfe_u32 v174, v121, 16, 1
	v_add3_u32 v172, v172, v159, 0x7fff
	s_wait_alu 0xf1ff
	v_cndmask_b32_e64 v127, v168, v169, s0
	v_cmp_u_f32_e64 s0, v158, v158
	v_or_b32_e32 v175, 0x400000, v121
	v_add3_u32 v174, v174, v121, 0x7fff
	v_lshrrev_b32_e32 v164, 16, v122
	v_lshrrev_b32_e32 v165, 16, v123
	s_wait_alu 0xf1ff
	v_cndmask_b32_e64 v158, v170, v171, s0
	v_cmp_u_f32_e64 s0, v159, v159
	v_lshrrev_b32_e32 v162, 16, v125
	v_lshrrev_b32_e32 v163, 16, v120
	;; [unrolled: 1-line block ×4, first 2 shown]
	s_wait_alu 0xf1ff
	v_cndmask_b32_e64 v159, v172, v173, s0
	v_cmp_u_f32_e64 s0, v121, v121
	s_delay_alu instid0(VALU_DEP_2) | instskip(SKIP_1) | instid1(VALU_DEP_2)
	v_lshrrev_b32_e32 v158, 16, v159
	s_wait_alu 0xf1ff
	v_cndmask_b32_e64 v121, v174, v175, s0
	s_delay_alu instid0(VALU_DEP_1)
	v_lshrrev_b32_e32 v159, 16, v121
	s_and_saveexec_b32 s1, vcc_lo
	s_cbranch_execz .LBB339_71
; %bb.70:                               ;   in Loop: Header=BB339_42 Depth=1
	v_cmp_gt_i32_e64 s0, s23, v88
	s_wait_alu 0xf1ff
	s_delay_alu instid0(VALU_DEP_1) | instskip(SKIP_2) | instid1(VALU_DEP_1)
	v_cndmask_b32_e64 v164, 0, v164, s0
	v_cmp_gt_i32_e64 s0, s23, v94
	s_wait_alu 0xf1ff
	v_cndmask_b32_e64 v165, 0, v165, s0
	v_cmp_gt_i32_e64 s0, s23, v93
	s_wait_alu 0xf1ff
	s_delay_alu instid0(VALU_DEP_1) | instskip(SKIP_2) | instid1(VALU_DEP_1)
	v_cndmask_b32_e64 v162, 0, v162, s0
	v_cmp_gt_i32_e64 s0, s23, v92
	s_wait_alu 0xf1ff
	v_cndmask_b32_e64 v163, 0, v163, s0
	;; [unrolled: 7-line block ×4, first 2 shown]
.LBB339_71:                             ;   in Loop: Header=BB339_42 Depth=1
	s_wait_alu 0xfffe
	s_or_b32 exec_lo, exec_lo, s1
	global_load_b64 v[120:121], v[13:14], off offset:3584
	s_wait_loadcnt 0x0
	v_bfe_u32 v123, v120, 8, 8
	v_bfe_u32 v125, v120, 16, 8
	;; [unrolled: 1-line block ×4, first 2 shown]
	s_delay_alu instid0(VALU_DEP_4)
	v_cvt_f32_fp8_e32 v123, v123
	v_and_b32_e32 v122, 0xff, v120
	v_lshrrev_b32_e32 v120, 24, v120
	v_cvt_f32_fp8_e32 v125, v125
	v_cvt_f32_fp8_e32 v166, v166
	v_mul_f32_e32 v123, s19, v123
	v_cvt_f32_fp8_e32 v122, v122
	v_and_b32_e32 v127, 0xff, v121
	v_cvt_f32_fp8_e32 v120, v120
	v_mul_f32_e32 v125, s19, v125
	v_bfe_u32 v170, v123, 16, 1
	v_mul_f32_e32 v122, s19, v122
	v_cvt_f32_fp8_e32 v127, v127
	v_mul_f32_e32 v120, s19, v120
	v_or_b32_e32 v171, 0x400000, v123
	v_bfe_u32 v172, v125, 16, 1
	v_bfe_u32 v168, v122, 16, 1
	v_or_b32_e32 v169, 0x400000, v122
	v_cmp_u_f32_e64 s0, v122, v122
	v_add3_u32 v170, v170, v123, 0x7fff
	v_dual_mul_f32 v127, s19, v127 :: v_dual_mul_f32 v166, s19, v166
	v_add3_u32 v168, v168, v122, 0x7fff
	v_or_b32_e32 v173, 0x400000, v125
	v_bfe_u32 v174, v120, 16, 1
	v_add3_u32 v172, v172, v125, 0x7fff
	v_lshrrev_b32_e32 v121, 24, v121
	s_wait_alu 0xf1ff
	v_cndmask_b32_e64 v122, v168, v169, s0
	v_cmp_u_f32_e64 s0, v123, v123
	v_cvt_f32_fp8_e32 v167, v167
	v_or_b32_e32 v175, 0x400000, v120
	v_bfe_u32 v176, v127, 16, 1
	v_add3_u32 v174, v174, v120, 0x7fff
	s_wait_alu 0xf1ff
	v_cndmask_b32_e64 v123, v170, v171, s0
	v_cmp_u_f32_e64 s0, v125, v125
	v_cvt_f32_fp8_e32 v121, v121
	v_mul_f32_e32 v167, s19, v167
	v_or_b32_e32 v177, 0x400000, v127
	v_bfe_u32 v178, v166, 16, 1
	s_wait_alu 0xf1ff
	v_cndmask_b32_e64 v125, v172, v173, s0
	v_cmp_u_f32_e64 s0, v120, v120
	v_add3_u32 v176, v176, v127, 0x7fff
	v_mul_f32_e32 v121, s19, v121
	v_or_b32_e32 v179, 0x400000, v166
	v_bfe_u32 v180, v167, 16, 1
	s_wait_alu 0xf1ff
	v_cndmask_b32_e64 v120, v174, v175, s0
	v_cmp_u_f32_e64 s0, v127, v127
	v_add3_u32 v178, v178, v166, 0x7fff
	v_or_b32_e32 v181, 0x400000, v167
	v_bfe_u32 v182, v121, 16, 1
	v_add3_u32 v180, v180, v167, 0x7fff
	s_wait_alu 0xf1ff
	v_cndmask_b32_e64 v127, v176, v177, s0
	v_cmp_u_f32_e64 s0, v166, v166
	v_or_b32_e32 v183, 0x400000, v121
	v_add3_u32 v182, v182, v121, 0x7fff
	v_lshrrev_b32_e32 v172, 16, v122
	v_lshrrev_b32_e32 v173, 16, v123
	s_wait_alu 0xf1ff
	v_cndmask_b32_e64 v166, v178, v179, s0
	v_cmp_u_f32_e64 s0, v167, v167
	v_lshrrev_b32_e32 v170, 16, v125
	v_lshrrev_b32_e32 v171, 16, v120
	;; [unrolled: 1-line block ×4, first 2 shown]
	s_wait_alu 0xf1ff
	v_cndmask_b32_e64 v167, v180, v181, s0
	v_cmp_u_f32_e64 s0, v121, v121
	s_delay_alu instid0(VALU_DEP_2) | instskip(SKIP_1) | instid1(VALU_DEP_2)
	v_lshrrev_b32_e32 v166, 16, v167
	s_wait_alu 0xf1ff
	v_cndmask_b32_e64 v121, v182, v183, s0
	s_delay_alu instid0(VALU_DEP_1)
	v_lshrrev_b32_e32 v167, 16, v121
	s_and_saveexec_b32 s1, vcc_lo
	s_cbranch_execz .LBB339_73
; %bb.72:                               ;   in Loop: Header=BB339_42 Depth=1
	v_cmp_gt_i32_e64 s0, s23, v88
	s_wait_alu 0xf1ff
	s_delay_alu instid0(VALU_DEP_1) | instskip(SKIP_2) | instid1(VALU_DEP_1)
	v_cndmask_b32_e64 v172, 0, v172, s0
	v_cmp_gt_i32_e64 s0, s23, v94
	s_wait_alu 0xf1ff
	v_cndmask_b32_e64 v173, 0, v173, s0
	v_cmp_gt_i32_e64 s0, s23, v93
	s_wait_alu 0xf1ff
	s_delay_alu instid0(VALU_DEP_1) | instskip(SKIP_2) | instid1(VALU_DEP_1)
	v_cndmask_b32_e64 v170, 0, v170, s0
	v_cmp_gt_i32_e64 s0, s23, v92
	s_wait_alu 0xf1ff
	v_cndmask_b32_e64 v171, 0, v171, s0
	;; [unrolled: 7-line block ×4, first 2 shown]
.LBB339_73:                             ;   in Loop: Header=BB339_42 Depth=1
	s_wait_alu 0xfffe
	s_or_b32 exec_lo, exec_lo, s1
	global_load_b64 v[13:14], v[13:14], off offset:3840
	s_wait_loadcnt 0x0
	v_and_b32_e32 v123, 0xff, v14
	v_bfe_u32 v121, v13, 8, 8
	v_bfe_u32 v122, v13, 16, 8
	;; [unrolled: 1-line block ×4, first 2 shown]
	v_cvt_f32_fp8_e32 v123, v123
	v_and_b32_e32 v120, 0xff, v13
	v_cvt_f32_fp8_e32 v121, v121
	v_lshrrev_b32_e32 v13, 24, v13
	v_cvt_f32_fp8_e32 v122, v122
	v_mul_f32_e32 v123, s19, v123
	v_cvt_f32_fp8_e32 v120, v120
	v_mul_f32_e32 v121, s19, v121
	v_lshrrev_b32_e32 v14, 24, v14
	v_cvt_f32_fp8_e32 v13, v13
	v_mul_f32_e32 v122, s19, v122
	v_mul_f32_e32 v120, s19, v120
	v_bfe_u32 v176, v121, 16, 1
	v_cvt_f32_fp8_e32 v14, v14
	v_mul_f32_e32 v13, s19, v13
	v_or_b32_e32 v177, 0x400000, v121
	v_bfe_u32 v174, v120, 16, 1
	v_or_b32_e32 v175, 0x400000, v120
	v_cmp_u_f32_e64 s0, v120, v120
	v_bfe_u32 v178, v122, 16, 1
	v_add3_u32 v176, v176, v121, 0x7fff
	v_add3_u32 v174, v174, v120, 0x7fff
	v_cvt_f32_fp8_e32 v125, v125
	v_mul_f32_e32 v14, s19, v14
	v_or_b32_e32 v179, 0x400000, v122
	v_bfe_u32 v180, v13, 16, 1
	s_wait_alu 0xf1ff
	v_cndmask_b32_e64 v120, v174, v175, s0
	v_cmp_u_f32_e64 s0, v121, v121
	v_add3_u32 v178, v178, v122, 0x7fff
	v_cvt_f32_fp8_e32 v127, v127
	v_mul_f32_e32 v125, s19, v125
	v_or_b32_e32 v181, 0x400000, v13
	s_wait_alu 0xf1ff
	v_cndmask_b32_e64 v121, v176, v177, s0
	v_cmp_u_f32_e64 s0, v122, v122
	v_bfe_u32 v182, v123, 16, 1
	v_add3_u32 v180, v180, v13, 0x7fff
	v_mul_f32_e32 v127, s19, v127
	v_or_b32_e32 v183, 0x400000, v123
	s_wait_alu 0xf1ff
	v_cndmask_b32_e64 v122, v178, v179, s0
	v_cmp_u_f32_e64 s0, v13, v13
	v_bfe_u32 v184, v125, 16, 1
	v_add3_u32 v182, v182, v123, 0x7fff
	v_or_b32_e32 v185, 0x400000, v125
	v_bfe_u32 v186, v127, 16, 1
	s_wait_alu 0xf1ff
	v_cndmask_b32_e64 v13, v180, v181, s0
	v_cmp_u_f32_e64 s0, v123, v123
	v_add3_u32 v184, v184, v125, 0x7fff
	v_or_b32_e32 v187, 0x400000, v127
	v_bfe_u32 v188, v14, 16, 1
	v_add3_u32 v186, v186, v127, 0x7fff
	s_wait_alu 0xf1ff
	v_cndmask_b32_e64 v174, v182, v183, s0
	v_cmp_u_f32_e64 s0, v125, v125
	v_or_b32_e32 v189, 0x400000, v14
	v_add3_u32 v188, v188, v14, 0x7fff
	v_lshrrev_b32_e32 v125, 16, v121
	v_lshrrev_b32_e32 v123, 16, v122
	s_wait_alu 0xf1ff
	v_cndmask_b32_e64 v175, v184, v185, s0
	v_cmp_u_f32_e64 s0, v127, v127
	v_lshrrev_b32_e32 v127, 16, v120
	v_lshrrev_b32_e32 v122, 16, v13
	;; [unrolled: 1-line block ×4, first 2 shown]
	s_wait_alu 0xf1ff
	v_cndmask_b32_e64 v176, v186, v187, s0
	v_cmp_u_f32_e64 s0, v14, v14
	s_delay_alu instid0(VALU_DEP_2) | instskip(SKIP_1) | instid1(VALU_DEP_2)
	v_lshrrev_b32_e32 v14, 16, v176
	s_wait_alu 0xf1ff
	v_cndmask_b32_e64 v177, v188, v189, s0
	s_delay_alu instid0(VALU_DEP_1)
	v_lshrrev_b32_e32 v13, 16, v177
	s_and_saveexec_b32 s0, vcc_lo
	s_cbranch_execz .LBB339_40
; %bb.74:                               ;   in Loop: Header=BB339_42 Depth=1
	v_cmp_gt_i32_e32 vcc_lo, s23, v88
	s_wait_alu 0xfffd
	v_cndmask_b32_e32 v127, 0, v127, vcc_lo
	v_cmp_gt_i32_e32 vcc_lo, s23, v94
	s_wait_alu 0xfffd
	v_cndmask_b32_e32 v125, 0, v125, vcc_lo
	;; [unrolled: 3-line block ×8, first 2 shown]
	s_branch .LBB339_40
.LBB339_75:
	s_or_b32 exec_lo, exec_lo, s16
.LBB339_76:
	s_wait_alu 0xfffe
	s_or_b32 exec_lo, exec_lo, s9
	ds_bpermute_b32 v1, v16, v39
	ds_bpermute_b32 v2, v16, v38
	;; [unrolled: 1-line block ×16, first 2 shown]
	v_lshrrev_b32_e32 v15, 1, v15
	s_mov_b32 s0, exec_lo
	s_wait_storecnt 0x0
	s_wait_loadcnt_dscnt 0x0
	s_barrier_signal -1
	v_add_f32_e32 v26, v39, v1
	v_add_f32_e32 v16, v38, v2
	v_dual_add_f32 v14, v37, v3 :: v_dual_add_f32 v13, v36, v4
	v_dual_add_f32 v12, v35, v5 :: v_dual_add_f32 v11, v34, v6
	;; [unrolled: 1-line block ×6, first 2 shown]
	v_and_b32_e32 v19, 0x3c1, v0
	v_dual_add_f32 v3, v18, v43 :: v_dual_add_f32 v2, v17, v44
	v_lshl_add_u32 v17, v15, 2, 0x220
	v_lshlrev_b32_e32 v18, 10, v25
	s_barrier_wait -1
	global_inv scope:SCOPE_SE
	v_cmpx_eq_u32_e32 64, v19
	s_cbranch_execz .LBB339_78
; %bb.77:
	v_add_nc_u32_e32 v19, v17, v18
	s_delay_alu instid0(VALU_DEP_1)
	v_add_nc_u32_e32 v20, 0xfffff800, v19
	v_add_nc_u32_e32 v21, 0xfffff840, v19
	v_add_nc_u32_e32 v22, 0xfffff880, v19
	v_add_nc_u32_e32 v25, 0xfffff8c0, v19
	v_add_nc_u32_e32 v27, 0xfffff900, v19
	v_add_nc_u32_e32 v28, 0xfffff940, v19
	v_add_nc_u32_e32 v29, 0xfffff980, v19
	v_add_nc_u32_e32 v30, 0xfffff9c0, v19
	ds_store_b32 v20, v26
	ds_store_b32 v21, v16
	ds_store_b32 v22, v14
	ds_store_b32 v25, v13
	ds_store_b32 v27, v12
	ds_store_b32 v28, v11
	ds_store_b32 v29, v10
	ds_store_b32 v30, v9
	v_add_nc_u32_e32 v20, 0xfffffa00, v19
	v_add_nc_u32_e32 v21, 0xfffffa40, v19
	;; [unrolled: 1-line block ×8, first 2 shown]
	ds_store_b32 v20, v8
	ds_store_b32 v21, v7
	;; [unrolled: 1-line block ×8, first 2 shown]
.LBB339_78:
	s_wait_alu 0xfffe
	s_or_b32 exec_lo, exec_lo, s0
	v_lshlrev_b32_e32 v15, 2, v15
	v_cmp_eq_u32_e32 vcc_lo, 0, v24
	s_wait_loadcnt_dscnt 0x0
	s_barrier_signal -1
	s_barrier_wait -1
	v_add3_u32 v15, 0x220, v18, v15
	global_inv scope:SCOPE_SE
	s_and_saveexec_b32 s0, s2
	s_cbranch_execz .LBB339_97
; %bb.79:
	s_and_saveexec_b32 s1, vcc_lo
	s_cbranch_execnz .LBB339_121
; %bb.80:
	s_wait_alu 0xfffe
	s_or_b32 exec_lo, exec_lo, s1
	s_and_saveexec_b32 s1, vcc_lo
	s_cbranch_execnz .LBB339_122
.LBB339_81:
	s_wait_alu 0xfffe
	s_or_b32 exec_lo, exec_lo, s1
	s_and_saveexec_b32 s1, vcc_lo
	s_cbranch_execnz .LBB339_123
.LBB339_82:
	s_wait_alu 0xfffe
	s_or_b32 exec_lo, exec_lo, s1
	s_and_saveexec_b32 s1, vcc_lo
	s_cbranch_execnz .LBB339_124
.LBB339_83:
	s_wait_alu 0xfffe
	s_or_b32 exec_lo, exec_lo, s1
	s_and_saveexec_b32 s1, vcc_lo
	s_cbranch_execnz .LBB339_125
.LBB339_84:
	s_wait_alu 0xfffe
	s_or_b32 exec_lo, exec_lo, s1
	s_and_saveexec_b32 s1, vcc_lo
	s_cbranch_execnz .LBB339_126
.LBB339_85:
	s_wait_alu 0xfffe
	s_or_b32 exec_lo, exec_lo, s1
	s_and_saveexec_b32 s1, vcc_lo
	s_cbranch_execnz .LBB339_127
.LBB339_86:
	s_wait_alu 0xfffe
	s_or_b32 exec_lo, exec_lo, s1
	s_and_saveexec_b32 s1, vcc_lo
	s_cbranch_execnz .LBB339_128
.LBB339_87:
	s_wait_alu 0xfffe
	s_or_b32 exec_lo, exec_lo, s1
	s_and_saveexec_b32 s1, vcc_lo
	s_cbranch_execnz .LBB339_129
.LBB339_88:
	s_wait_alu 0xfffe
	s_or_b32 exec_lo, exec_lo, s1
	s_and_saveexec_b32 s1, vcc_lo
	s_cbranch_execnz .LBB339_130
.LBB339_89:
	s_wait_alu 0xfffe
	s_or_b32 exec_lo, exec_lo, s1
	s_and_saveexec_b32 s1, vcc_lo
	s_cbranch_execnz .LBB339_131
.LBB339_90:
	s_wait_alu 0xfffe
	s_or_b32 exec_lo, exec_lo, s1
	s_and_saveexec_b32 s1, vcc_lo
	s_cbranch_execnz .LBB339_132
.LBB339_91:
	s_wait_alu 0xfffe
	s_or_b32 exec_lo, exec_lo, s1
	s_and_saveexec_b32 s1, vcc_lo
	s_cbranch_execnz .LBB339_133
.LBB339_92:
	s_wait_alu 0xfffe
	s_or_b32 exec_lo, exec_lo, s1
	s_and_saveexec_b32 s1, vcc_lo
	s_cbranch_execnz .LBB339_134
.LBB339_93:
	s_wait_alu 0xfffe
	s_or_b32 exec_lo, exec_lo, s1
	s_and_saveexec_b32 s1, vcc_lo
	s_cbranch_execnz .LBB339_135
.LBB339_94:
	s_wait_alu 0xfffe
	s_or_b32 exec_lo, exec_lo, s1
	s_and_saveexec_b32 s1, vcc_lo
	s_cbranch_execz .LBB339_96
.LBB339_95:
	ds_load_b32 v18, v15 offset:960
	s_wait_dscnt 0x0
	v_add_f32_e32 v2, v2, v18
.LBB339_96:
	s_wait_alu 0xfffe
	s_or_b32 exec_lo, exec_lo, s1
.LBB339_97:
	s_wait_alu 0xfffe
	s_or_b32 exec_lo, exec_lo, s0
	v_and_b32_e32 v18, 0x3e1, v0
	s_mov_b32 s1, exec_lo
	s_wait_loadcnt 0x0
	s_barrier_signal -1
	s_barrier_wait -1
	global_inv scope:SCOPE_SE
	v_cmpx_eq_u32_e32 32, v18
	s_cbranch_execz .LBB339_99
; %bb.98:
	ds_store_2addr_b32 v17, v26, v16 offset1:16
	ds_store_2addr_b32 v17, v14, v13 offset0:32 offset1:48
	ds_store_2addr_b32 v17, v12, v11 offset0:64 offset1:80
	;; [unrolled: 1-line block ×7, first 2 shown]
.LBB339_99:
	s_wait_alu 0xfffe
	s_or_b32 exec_lo, exec_lo, s1
	s_delay_alu instid0(SALU_CYCLE_1)
	s_mov_b32 s1, exec_lo
	s_wait_loadcnt_dscnt 0x0
	s_barrier_signal -1
	s_barrier_wait -1
	global_inv scope:SCOPE_SE
	v_cmpx_gt_u32_e32 32, v0
	s_cbranch_execz .LBB339_118
; %bb.100:
	s_and_saveexec_b32 s0, vcc_lo
	s_cbranch_execnz .LBB339_136
; %bb.101:
	s_wait_alu 0xfffe
	s_or_b32 exec_lo, exec_lo, s0
	s_and_saveexec_b32 s0, vcc_lo
	s_cbranch_execnz .LBB339_137
.LBB339_102:
	s_wait_alu 0xfffe
	s_or_b32 exec_lo, exec_lo, s0
	s_and_saveexec_b32 s0, vcc_lo
	s_cbranch_execnz .LBB339_138
.LBB339_103:
	s_wait_alu 0xfffe
	s_or_b32 exec_lo, exec_lo, s0
	s_and_saveexec_b32 s0, vcc_lo
	s_cbranch_execnz .LBB339_139
.LBB339_104:
	s_wait_alu 0xfffe
	s_or_b32 exec_lo, exec_lo, s0
	s_and_saveexec_b32 s0, vcc_lo
	s_cbranch_execnz .LBB339_140
.LBB339_105:
	s_wait_alu 0xfffe
	s_or_b32 exec_lo, exec_lo, s0
	s_and_saveexec_b32 s0, vcc_lo
	s_cbranch_execnz .LBB339_141
.LBB339_106:
	s_wait_alu 0xfffe
	s_or_b32 exec_lo, exec_lo, s0
	s_and_saveexec_b32 s0, vcc_lo
	s_cbranch_execnz .LBB339_142
.LBB339_107:
	s_wait_alu 0xfffe
	s_or_b32 exec_lo, exec_lo, s0
	s_and_saveexec_b32 s0, vcc_lo
	s_cbranch_execnz .LBB339_143
.LBB339_108:
	s_wait_alu 0xfffe
	s_or_b32 exec_lo, exec_lo, s0
	s_and_saveexec_b32 s0, vcc_lo
	s_cbranch_execnz .LBB339_144
.LBB339_109:
	s_wait_alu 0xfffe
	s_or_b32 exec_lo, exec_lo, s0
	s_and_saveexec_b32 s0, vcc_lo
	s_cbranch_execnz .LBB339_145
.LBB339_110:
	s_wait_alu 0xfffe
	s_or_b32 exec_lo, exec_lo, s0
	s_and_saveexec_b32 s0, vcc_lo
	s_cbranch_execnz .LBB339_146
.LBB339_111:
	s_wait_alu 0xfffe
	s_or_b32 exec_lo, exec_lo, s0
	s_and_saveexec_b32 s0, vcc_lo
	s_cbranch_execnz .LBB339_147
.LBB339_112:
	s_wait_alu 0xfffe
	s_or_b32 exec_lo, exec_lo, s0
	s_and_saveexec_b32 s0, vcc_lo
	s_cbranch_execnz .LBB339_148
.LBB339_113:
	s_wait_alu 0xfffe
	s_or_b32 exec_lo, exec_lo, s0
	s_and_saveexec_b32 s0, vcc_lo
	s_cbranch_execnz .LBB339_149
.LBB339_114:
	s_wait_alu 0xfffe
	s_or_b32 exec_lo, exec_lo, s0
	s_and_saveexec_b32 s0, vcc_lo
	s_cbranch_execnz .LBB339_150
.LBB339_115:
	s_wait_alu 0xfffe
	s_or_b32 exec_lo, exec_lo, s0
	s_and_saveexec_b32 s0, vcc_lo
	s_cbranch_execz .LBB339_117
.LBB339_116:
	ds_load_b32 v0, v15 offset:960
	s_wait_dscnt 0x0
	v_add_f32_e32 v2, v2, v0
.LBB339_117:
	s_wait_alu 0xfffe
	s_or_b32 exec_lo, exec_lo, s0
.LBB339_118:
	s_wait_alu 0xfffe
	s_or_b32 exec_lo, exec_lo, s1
	s_mov_b32 s23, 0
	s_wait_loadcnt 0x0
	s_barrier_signal -1
	s_barrier_wait -1
	global_inv scope:SCOPE_SE
	s_mov_b32 s0, exec_lo
	v_cmpx_eq_u32_e32 0, v18
	s_cbranch_execz .LBB339_120
; %bb.119:
	v_bfe_u32 v0, v26, 16, 1
	v_bfe_u32 v15, v16, 16, 1
	v_or_b32_e32 v18, 0x400000, v26
	v_cmp_u_f32_e32 vcc_lo, v26, v26
	v_or_b32_e32 v19, 0x400000, v16
	v_add3_u32 v0, v0, v26, 0x7fff
	v_lshlrev_b32_e32 v17, 1, v23
	v_add3_u32 v15, v15, v16, 0x7fff
	v_bfe_u32 v20, v14, 16, 1
	v_or_b32_e32 v21, 0x400000, v13
	s_wait_alu 0xfffd
	v_cndmask_b32_e32 v0, v0, v18, vcc_lo
	v_cmp_u_f32_e32 vcc_lo, v16, v16
	v_bfe_u32 v18, v13, 16, 1
	v_add3_u32 v16, v20, v14, 0x7fff
	v_bfe_u32 v20, v12, 16, 1
	s_lshl_b32 s0, s14, 8
	s_wait_alu 0xfffd
	v_cndmask_b32_e32 v15, v15, v19, vcc_lo
	v_or_b32_e32 v19, 0x400000, v14
	v_cmp_u_f32_e32 vcc_lo, v14, v14
	v_add3_u32 v18, v18, v13, 0x7fff
	s_mul_i32 s2, s28, s34
	s_wait_alu 0xfffe
	s_ashr_i32 s1, s0, 31
	v_or_b32_e32 v22, 0x400000, v9
	s_wait_alu 0xfffd
	v_cndmask_b32_e32 v14, v16, v19, vcc_lo
	v_cmp_u_f32_e32 vcc_lo, v13, v13
	v_add3_u32 v16, v20, v12, 0x7fff
	v_or_b32_e32 v19, 0x400000, v12
	v_bfe_u32 v20, v10, 16, 1
	s_ashr_i32 s3, s2, 31
	s_wait_alu 0xfffd
	v_cndmask_b32_e32 v13, v18, v21, vcc_lo
	v_bfe_u32 v18, v11, 16, 1
	v_cmp_u_f32_e32 vcc_lo, v12, v12
	v_add3_u32 v20, v20, v10, 0x7fff
	v_or_b32_e32 v21, 0x400000, v10
	s_wait_alu 0xfffe
	s_lshl_b64 s[0:1], s[0:1], 1
	v_add3_u32 v18, v18, v11, 0x7fff
	s_wait_alu 0xfffd
	v_cndmask_b32_e32 v12, v16, v19, vcc_lo
	v_or_b32_e32 v19, 0x400000, v11
	v_cmp_u_f32_e32 vcc_lo, v11, v11
	v_bfe_u32 v16, v9, 16, 1
	s_lshl_b64 s[2:3], s[2:3], 1
	s_wait_alu 0xfffe
	s_add_nc_u64 s[0:1], s[12:13], s[0:1]
	s_wait_alu 0xfffd
	v_cndmask_b32_e32 v11, v18, v19, vcc_lo
	v_cmp_u_f32_e32 vcc_lo, v10, v10
	v_add3_u32 v16, v16, v9, 0x7fff
	s_wait_alu 0xfffe
	s_add_nc_u64 s[0:1], s[0:1], s[2:3]
	v_bfe_u32 v18, v7, 16, 1
	s_wait_alu 0xfffe
	s_add_nc_u64 s[0:1], s[0:1], s[22:23]
	s_wait_alu 0xfffd
	v_cndmask_b32_e32 v10, v20, v21, vcc_lo
	v_cmp_u_f32_e32 vcc_lo, v9, v9
	s_wait_alu 0xfffd
	v_cndmask_b32_e32 v9, v16, v22, vcc_lo
	v_bfe_u32 v16, v8, 16, 1
	s_clause 0x7
	global_store_d16_hi_b16 v17, v0, s[0:1]
	global_store_d16_hi_b16 v17, v15, s[0:1] offset:32
	global_store_d16_hi_b16 v17, v14, s[0:1] offset:64
	global_store_d16_hi_b16 v17, v13, s[0:1] offset:96
	global_store_d16_hi_b16 v17, v12, s[0:1] offset:128
	global_store_d16_hi_b16 v17, v11, s[0:1] offset:160
	global_store_d16_hi_b16 v17, v10, s[0:1] offset:192
	global_store_d16_hi_b16 v17, v9, s[0:1] offset:224
	v_or_b32_e32 v9, 0x400000, v8
	v_cmp_u_f32_e32 vcc_lo, v8, v8
	v_add3_u32 v10, v18, v7, 0x7fff
	v_add3_u32 v0, v16, v8, 0x7fff
	v_or_b32_e32 v11, 0x400000, v7
	v_bfe_u32 v12, v6, 16, 1
	v_bfe_u32 v8, v5, 16, 1
	v_or_b32_e32 v13, 0x400000, v2
	s_wait_alu 0xfffd
	v_cndmask_b32_e32 v0, v0, v9, vcc_lo
	v_cmp_u_f32_e32 vcc_lo, v7, v7
	v_add3_u32 v9, v12, v6, 0x7fff
	v_add3_u32 v8, v8, v5, 0x7fff
	v_or_b32_e32 v12, 0x400000, v5
	s_wait_alu 0xfffd
	v_cndmask_b32_e32 v7, v10, v11, vcc_lo
	v_or_b32_e32 v10, 0x400000, v6
	v_cmp_u_f32_e32 vcc_lo, v6, v6
	v_bfe_u32 v11, v4, 16, 1
	s_wait_alu 0xfffd
	s_delay_alu instid0(VALU_DEP_3) | instskip(SKIP_1) | instid1(VALU_DEP_3)
	v_cndmask_b32_e32 v6, v9, v10, vcc_lo
	v_cmp_u_f32_e32 vcc_lo, v5, v5
	v_add3_u32 v9, v11, v4, 0x7fff
	v_or_b32_e32 v10, 0x400000, v4
	v_bfe_u32 v11, v3, 16, 1
	s_wait_alu 0xfffd
	v_cndmask_b32_e32 v5, v8, v12, vcc_lo
	v_bfe_u32 v8, v1, 16, 1
	v_cmp_u_f32_e32 vcc_lo, v4, v4
	v_add3_u32 v11, v11, v3, 0x7fff
	v_or_b32_e32 v12, 0x400000, v3
	s_delay_alu instid0(VALU_DEP_4)
	v_add3_u32 v8, v8, v1, 0x7fff
	s_wait_alu 0xfffd
	v_cndmask_b32_e32 v4, v9, v10, vcc_lo
	v_bfe_u32 v9, v2, 16, 1
	v_or_b32_e32 v10, 0x400000, v1
	v_cmp_u_f32_e32 vcc_lo, v1, v1
	s_delay_alu instid0(VALU_DEP_3) | instskip(SKIP_1) | instid1(VALU_DEP_3)
	v_add3_u32 v9, v9, v2, 0x7fff
	s_wait_alu 0xfffd
	v_cndmask_b32_e32 v1, v8, v10, vcc_lo
	v_cmp_u_f32_e32 vcc_lo, v3, v3
	s_wait_alu 0xfffd
	v_cndmask_b32_e32 v3, v11, v12, vcc_lo
	v_cmp_u_f32_e32 vcc_lo, v2, v2
	s_wait_alu 0xfffd
	v_cndmask_b32_e32 v2, v9, v13, vcc_lo
	s_clause 0x7
	global_store_d16_hi_b16 v17, v0, s[0:1] offset:256
	global_store_d16_hi_b16 v17, v7, s[0:1] offset:288
	;; [unrolled: 1-line block ×8, first 2 shown]
.LBB339_120:
	s_nop 0
	s_sendmsg sendmsg(MSG_DEALLOC_VGPRS)
	s_endpgm
.LBB339_121:
	ds_load_b32 v18, v15
	s_wait_dscnt 0x0
	v_add_f32_e32 v26, v26, v18
	s_wait_alu 0xfffe
	s_or_b32 exec_lo, exec_lo, s1
	s_and_saveexec_b32 s1, vcc_lo
	s_cbranch_execz .LBB339_81
.LBB339_122:
	ds_load_b32 v18, v15 offset:64
	s_wait_dscnt 0x0
	v_add_f32_e32 v16, v16, v18
	s_wait_alu 0xfffe
	s_or_b32 exec_lo, exec_lo, s1
	s_and_saveexec_b32 s1, vcc_lo
	s_cbranch_execz .LBB339_82
.LBB339_123:
	ds_load_b32 v18, v15 offset:128
	s_wait_dscnt 0x0
	v_add_f32_e32 v14, v14, v18
	s_wait_alu 0xfffe
	s_or_b32 exec_lo, exec_lo, s1
	s_and_saveexec_b32 s1, vcc_lo
	s_cbranch_execz .LBB339_83
.LBB339_124:
	ds_load_b32 v18, v15 offset:192
	s_wait_dscnt 0x0
	v_add_f32_e32 v13, v13, v18
	s_wait_alu 0xfffe
	s_or_b32 exec_lo, exec_lo, s1
	s_and_saveexec_b32 s1, vcc_lo
	s_cbranch_execz .LBB339_84
.LBB339_125:
	ds_load_b32 v18, v15 offset:256
	s_wait_dscnt 0x0
	v_add_f32_e32 v12, v12, v18
	s_wait_alu 0xfffe
	s_or_b32 exec_lo, exec_lo, s1
	s_and_saveexec_b32 s1, vcc_lo
	s_cbranch_execz .LBB339_85
.LBB339_126:
	ds_load_b32 v18, v15 offset:320
	s_wait_dscnt 0x0
	v_add_f32_e32 v11, v11, v18
	s_wait_alu 0xfffe
	s_or_b32 exec_lo, exec_lo, s1
	s_and_saveexec_b32 s1, vcc_lo
	s_cbranch_execz .LBB339_86
.LBB339_127:
	ds_load_b32 v18, v15 offset:384
	s_wait_dscnt 0x0
	v_add_f32_e32 v10, v10, v18
	s_wait_alu 0xfffe
	s_or_b32 exec_lo, exec_lo, s1
	s_and_saveexec_b32 s1, vcc_lo
	s_cbranch_execz .LBB339_87
.LBB339_128:
	ds_load_b32 v18, v15 offset:448
	s_wait_dscnt 0x0
	v_add_f32_e32 v9, v9, v18
	s_wait_alu 0xfffe
	s_or_b32 exec_lo, exec_lo, s1
	s_and_saveexec_b32 s1, vcc_lo
	s_cbranch_execz .LBB339_88
.LBB339_129:
	ds_load_b32 v18, v15 offset:512
	s_wait_dscnt 0x0
	v_add_f32_e32 v8, v8, v18
	s_wait_alu 0xfffe
	s_or_b32 exec_lo, exec_lo, s1
	s_and_saveexec_b32 s1, vcc_lo
	s_cbranch_execz .LBB339_89
.LBB339_130:
	ds_load_b32 v18, v15 offset:576
	s_wait_dscnt 0x0
	v_add_f32_e32 v7, v7, v18
	s_wait_alu 0xfffe
	s_or_b32 exec_lo, exec_lo, s1
	s_and_saveexec_b32 s1, vcc_lo
	s_cbranch_execz .LBB339_90
.LBB339_131:
	ds_load_b32 v18, v15 offset:640
	s_wait_dscnt 0x0
	v_add_f32_e32 v6, v6, v18
	s_wait_alu 0xfffe
	s_or_b32 exec_lo, exec_lo, s1
	s_and_saveexec_b32 s1, vcc_lo
	s_cbranch_execz .LBB339_91
.LBB339_132:
	ds_load_b32 v18, v15 offset:704
	s_wait_dscnt 0x0
	v_add_f32_e32 v5, v5, v18
	s_wait_alu 0xfffe
	s_or_b32 exec_lo, exec_lo, s1
	s_and_saveexec_b32 s1, vcc_lo
	s_cbranch_execz .LBB339_92
.LBB339_133:
	ds_load_b32 v18, v15 offset:768
	s_wait_dscnt 0x0
	v_add_f32_e32 v4, v4, v18
	s_wait_alu 0xfffe
	s_or_b32 exec_lo, exec_lo, s1
	s_and_saveexec_b32 s1, vcc_lo
	s_cbranch_execz .LBB339_93
.LBB339_134:
	ds_load_b32 v18, v15 offset:832
	s_wait_dscnt 0x0
	v_add_f32_e32 v1, v1, v18
	s_wait_alu 0xfffe
	s_or_b32 exec_lo, exec_lo, s1
	s_and_saveexec_b32 s1, vcc_lo
	s_cbranch_execz .LBB339_94
.LBB339_135:
	ds_load_b32 v18, v15 offset:896
	s_wait_dscnt 0x0
	v_add_f32_e32 v3, v3, v18
	s_wait_alu 0xfffe
	s_or_b32 exec_lo, exec_lo, s1
	s_and_saveexec_b32 s1, vcc_lo
	s_cbranch_execnz .LBB339_95
	s_branch .LBB339_96
.LBB339_136:
	ds_load_b32 v0, v15
	s_wait_dscnt 0x0
	v_add_f32_e32 v26, v26, v0
	s_wait_alu 0xfffe
	s_or_b32 exec_lo, exec_lo, s0
	s_and_saveexec_b32 s0, vcc_lo
	s_cbranch_execz .LBB339_102
.LBB339_137:
	ds_load_b32 v0, v15 offset:64
	s_wait_dscnt 0x0
	v_add_f32_e32 v16, v16, v0
	s_wait_alu 0xfffe
	s_or_b32 exec_lo, exec_lo, s0
	s_and_saveexec_b32 s0, vcc_lo
	s_cbranch_execz .LBB339_103
.LBB339_138:
	ds_load_b32 v0, v15 offset:128
	s_wait_dscnt 0x0
	v_add_f32_e32 v14, v14, v0
	s_wait_alu 0xfffe
	s_or_b32 exec_lo, exec_lo, s0
	s_and_saveexec_b32 s0, vcc_lo
	s_cbranch_execz .LBB339_104
.LBB339_139:
	ds_load_b32 v0, v15 offset:192
	s_wait_dscnt 0x0
	v_add_f32_e32 v13, v13, v0
	s_wait_alu 0xfffe
	s_or_b32 exec_lo, exec_lo, s0
	s_and_saveexec_b32 s0, vcc_lo
	s_cbranch_execz .LBB339_105
.LBB339_140:
	ds_load_b32 v0, v15 offset:256
	s_wait_dscnt 0x0
	v_add_f32_e32 v12, v12, v0
	s_wait_alu 0xfffe
	s_or_b32 exec_lo, exec_lo, s0
	s_and_saveexec_b32 s0, vcc_lo
	s_cbranch_execz .LBB339_106
.LBB339_141:
	ds_load_b32 v0, v15 offset:320
	s_wait_dscnt 0x0
	v_add_f32_e32 v11, v11, v0
	s_wait_alu 0xfffe
	s_or_b32 exec_lo, exec_lo, s0
	s_and_saveexec_b32 s0, vcc_lo
	s_cbranch_execz .LBB339_107
.LBB339_142:
	ds_load_b32 v0, v15 offset:384
	s_wait_dscnt 0x0
	v_add_f32_e32 v10, v10, v0
	s_wait_alu 0xfffe
	s_or_b32 exec_lo, exec_lo, s0
	s_and_saveexec_b32 s0, vcc_lo
	s_cbranch_execz .LBB339_108
.LBB339_143:
	ds_load_b32 v0, v15 offset:448
	s_wait_dscnt 0x0
	v_add_f32_e32 v9, v9, v0
	s_wait_alu 0xfffe
	s_or_b32 exec_lo, exec_lo, s0
	s_and_saveexec_b32 s0, vcc_lo
	s_cbranch_execz .LBB339_109
.LBB339_144:
	ds_load_b32 v0, v15 offset:512
	s_wait_dscnt 0x0
	v_add_f32_e32 v8, v8, v0
	s_wait_alu 0xfffe
	s_or_b32 exec_lo, exec_lo, s0
	s_and_saveexec_b32 s0, vcc_lo
	s_cbranch_execz .LBB339_110
.LBB339_145:
	ds_load_b32 v0, v15 offset:576
	s_wait_dscnt 0x0
	v_add_f32_e32 v7, v7, v0
	s_wait_alu 0xfffe
	s_or_b32 exec_lo, exec_lo, s0
	s_and_saveexec_b32 s0, vcc_lo
	s_cbranch_execz .LBB339_111
.LBB339_146:
	ds_load_b32 v0, v15 offset:640
	s_wait_dscnt 0x0
	v_add_f32_e32 v6, v6, v0
	s_wait_alu 0xfffe
	s_or_b32 exec_lo, exec_lo, s0
	s_and_saveexec_b32 s0, vcc_lo
	s_cbranch_execz .LBB339_112
.LBB339_147:
	ds_load_b32 v0, v15 offset:704
	s_wait_dscnt 0x0
	v_add_f32_e32 v5, v5, v0
	s_wait_alu 0xfffe
	s_or_b32 exec_lo, exec_lo, s0
	s_and_saveexec_b32 s0, vcc_lo
	s_cbranch_execz .LBB339_113
.LBB339_148:
	ds_load_b32 v0, v15 offset:768
	s_wait_dscnt 0x0
	v_add_f32_e32 v4, v4, v0
	s_wait_alu 0xfffe
	s_or_b32 exec_lo, exec_lo, s0
	s_and_saveexec_b32 s0, vcc_lo
	s_cbranch_execz .LBB339_114
.LBB339_149:
	ds_load_b32 v0, v15 offset:832
	s_wait_dscnt 0x0
	v_add_f32_e32 v1, v1, v0
	s_wait_alu 0xfffe
	s_or_b32 exec_lo, exec_lo, s0
	s_and_saveexec_b32 s0, vcc_lo
	s_cbranch_execz .LBB339_115
.LBB339_150:
	ds_load_b32 v0, v15 offset:896
	s_wait_dscnt 0x0
	v_add_f32_e32 v3, v3, v0
	s_wait_alu 0xfffe
	s_or_b32 exec_lo, exec_lo, s0
	s_and_saveexec_b32 s0, vcc_lo
	s_cbranch_execnz .LBB339_116
	s_branch .LBB339_117
	.section	.rodata,"a",@progbits
	.p2align	6, 0x0
	.amdhsa_kernel _ZN4vllm25paged_attention_v2_kernelI14__hip_bfloat16hLi256ELi16ELi128ELNS_18Fp8KVCacheDataTypeE1ELb1ELi512EEEvPfS3_PT_PKS4_PKT0_SA_ifPKiSC_iPKfiiiSE_SE_iiiii
		.amdhsa_group_segment_fixed_size 544
		.amdhsa_private_segment_fixed_size 0
		.amdhsa_kernarg_size 400
		.amdhsa_user_sgpr_count 2
		.amdhsa_user_sgpr_dispatch_ptr 0
		.amdhsa_user_sgpr_queue_ptr 0
		.amdhsa_user_sgpr_kernarg_segment_ptr 1
		.amdhsa_user_sgpr_dispatch_id 0
		.amdhsa_user_sgpr_private_segment_size 0
		.amdhsa_wavefront_size32 1
		.amdhsa_uses_dynamic_stack 0
		.amdhsa_enable_private_segment 0
		.amdhsa_system_sgpr_workgroup_id_x 1
		.amdhsa_system_sgpr_workgroup_id_y 1
		.amdhsa_system_sgpr_workgroup_id_z 1
		.amdhsa_system_sgpr_workgroup_info 0
		.amdhsa_system_vgpr_workitem_id 0
		.amdhsa_next_free_vgpr 190
		.amdhsa_next_free_sgpr 60
		.amdhsa_reserve_vcc 1
		.amdhsa_float_round_mode_32 0
		.amdhsa_float_round_mode_16_64 0
		.amdhsa_float_denorm_mode_32 3
		.amdhsa_float_denorm_mode_16_64 3
		.amdhsa_fp16_overflow 0
		.amdhsa_workgroup_processor_mode 1
		.amdhsa_memory_ordered 1
		.amdhsa_forward_progress 1
		.amdhsa_inst_pref_size 255
		.amdhsa_round_robin_scheduling 0
		.amdhsa_exception_fp_ieee_invalid_op 0
		.amdhsa_exception_fp_denorm_src 0
		.amdhsa_exception_fp_ieee_div_zero 0
		.amdhsa_exception_fp_ieee_overflow 0
		.amdhsa_exception_fp_ieee_underflow 0
		.amdhsa_exception_fp_ieee_inexact 0
		.amdhsa_exception_int_div_zero 0
	.end_amdhsa_kernel
	.section	.text._ZN4vllm25paged_attention_v2_kernelI14__hip_bfloat16hLi256ELi16ELi128ELNS_18Fp8KVCacheDataTypeE1ELb1ELi512EEEvPfS3_PT_PKS4_PKT0_SA_ifPKiSC_iPKfiiiSE_SE_iiiii,"axG",@progbits,_ZN4vllm25paged_attention_v2_kernelI14__hip_bfloat16hLi256ELi16ELi128ELNS_18Fp8KVCacheDataTypeE1ELb1ELi512EEEvPfS3_PT_PKS4_PKT0_SA_ifPKiSC_iPKfiiiSE_SE_iiiii,comdat
.Lfunc_end339:
	.size	_ZN4vllm25paged_attention_v2_kernelI14__hip_bfloat16hLi256ELi16ELi128ELNS_18Fp8KVCacheDataTypeE1ELb1ELi512EEEvPfS3_PT_PKS4_PKT0_SA_ifPKiSC_iPKfiiiSE_SE_iiiii, .Lfunc_end339-_ZN4vllm25paged_attention_v2_kernelI14__hip_bfloat16hLi256ELi16ELi128ELNS_18Fp8KVCacheDataTypeE1ELb1ELi512EEEvPfS3_PT_PKS4_PKT0_SA_ifPKiSC_iPKfiiiSE_SE_iiiii
                                        ; -- End function
	.set _ZN4vllm25paged_attention_v2_kernelI14__hip_bfloat16hLi256ELi16ELi128ELNS_18Fp8KVCacheDataTypeE1ELb1ELi512EEEvPfS3_PT_PKS4_PKT0_SA_ifPKiSC_iPKfiiiSE_SE_iiiii.num_vgpr, 190
	.set _ZN4vllm25paged_attention_v2_kernelI14__hip_bfloat16hLi256ELi16ELi128ELNS_18Fp8KVCacheDataTypeE1ELb1ELi512EEEvPfS3_PT_PKS4_PKT0_SA_ifPKiSC_iPKfiiiSE_SE_iiiii.num_agpr, 0
	.set _ZN4vllm25paged_attention_v2_kernelI14__hip_bfloat16hLi256ELi16ELi128ELNS_18Fp8KVCacheDataTypeE1ELb1ELi512EEEvPfS3_PT_PKS4_PKT0_SA_ifPKiSC_iPKfiiiSE_SE_iiiii.numbered_sgpr, 60
	.set _ZN4vllm25paged_attention_v2_kernelI14__hip_bfloat16hLi256ELi16ELi128ELNS_18Fp8KVCacheDataTypeE1ELb1ELi512EEEvPfS3_PT_PKS4_PKT0_SA_ifPKiSC_iPKfiiiSE_SE_iiiii.num_named_barrier, 0
	.set _ZN4vllm25paged_attention_v2_kernelI14__hip_bfloat16hLi256ELi16ELi128ELNS_18Fp8KVCacheDataTypeE1ELb1ELi512EEEvPfS3_PT_PKS4_PKT0_SA_ifPKiSC_iPKfiiiSE_SE_iiiii.private_seg_size, 0
	.set _ZN4vllm25paged_attention_v2_kernelI14__hip_bfloat16hLi256ELi16ELi128ELNS_18Fp8KVCacheDataTypeE1ELb1ELi512EEEvPfS3_PT_PKS4_PKT0_SA_ifPKiSC_iPKfiiiSE_SE_iiiii.uses_vcc, 1
	.set _ZN4vllm25paged_attention_v2_kernelI14__hip_bfloat16hLi256ELi16ELi128ELNS_18Fp8KVCacheDataTypeE1ELb1ELi512EEEvPfS3_PT_PKS4_PKT0_SA_ifPKiSC_iPKfiiiSE_SE_iiiii.uses_flat_scratch, 0
	.set _ZN4vllm25paged_attention_v2_kernelI14__hip_bfloat16hLi256ELi16ELi128ELNS_18Fp8KVCacheDataTypeE1ELb1ELi512EEEvPfS3_PT_PKS4_PKT0_SA_ifPKiSC_iPKfiiiSE_SE_iiiii.has_dyn_sized_stack, 0
	.set _ZN4vllm25paged_attention_v2_kernelI14__hip_bfloat16hLi256ELi16ELi128ELNS_18Fp8KVCacheDataTypeE1ELb1ELi512EEEvPfS3_PT_PKS4_PKT0_SA_ifPKiSC_iPKfiiiSE_SE_iiiii.has_recursion, 0
	.set _ZN4vllm25paged_attention_v2_kernelI14__hip_bfloat16hLi256ELi16ELi128ELNS_18Fp8KVCacheDataTypeE1ELb1ELi512EEEvPfS3_PT_PKS4_PKT0_SA_ifPKiSC_iPKfiiiSE_SE_iiiii.has_indirect_call, 0
	.section	.AMDGPU.csdata,"",@progbits
; Kernel info:
; codeLenInByte = 39000
; TotalNumSgprs: 62
; NumVgprs: 190
; ScratchSize: 0
; MemoryBound: 0
; FloatMode: 240
; IeeeMode: 1
; LDSByteSize: 544 bytes/workgroup (compile time only)
; SGPRBlocks: 0
; VGPRBlocks: 23
; NumSGPRsForWavesPerEU: 62
; NumVGPRsForWavesPerEU: 190
; Occupancy: 8
; WaveLimiterHint : 1
; COMPUTE_PGM_RSRC2:SCRATCH_EN: 0
; COMPUTE_PGM_RSRC2:USER_SGPR: 2
; COMPUTE_PGM_RSRC2:TRAP_HANDLER: 0
; COMPUTE_PGM_RSRC2:TGID_X_EN: 1
; COMPUTE_PGM_RSRC2:TGID_Y_EN: 1
; COMPUTE_PGM_RSRC2:TGID_Z_EN: 1
; COMPUTE_PGM_RSRC2:TIDIG_COMP_CNT: 0
	.section	.text._ZN4vllm25paged_attention_v2_kernelI14__hip_bfloat16hLi32ELi16ELi128ELNS_18Fp8KVCacheDataTypeE1ELb0ELi512EEEvPfS3_PT_PKS4_PKT0_SA_ifPKiSC_iPKfiiiSE_SE_iiiii,"axG",@progbits,_ZN4vllm25paged_attention_v2_kernelI14__hip_bfloat16hLi32ELi16ELi128ELNS_18Fp8KVCacheDataTypeE1ELb0ELi512EEEvPfS3_PT_PKS4_PKT0_SA_ifPKiSC_iPKfiiiSE_SE_iiiii,comdat
	.protected	_ZN4vllm25paged_attention_v2_kernelI14__hip_bfloat16hLi32ELi16ELi128ELNS_18Fp8KVCacheDataTypeE1ELb0ELi512EEEvPfS3_PT_PKS4_PKT0_SA_ifPKiSC_iPKfiiiSE_SE_iiiii ; -- Begin function _ZN4vllm25paged_attention_v2_kernelI14__hip_bfloat16hLi32ELi16ELi128ELNS_18Fp8KVCacheDataTypeE1ELb0ELi512EEEvPfS3_PT_PKS4_PKT0_SA_ifPKiSC_iPKfiiiSE_SE_iiiii
	.globl	_ZN4vllm25paged_attention_v2_kernelI14__hip_bfloat16hLi32ELi16ELi128ELNS_18Fp8KVCacheDataTypeE1ELb0ELi512EEEvPfS3_PT_PKS4_PKT0_SA_ifPKiSC_iPKfiiiSE_SE_iiiii
	.p2align	8
	.type	_ZN4vllm25paged_attention_v2_kernelI14__hip_bfloat16hLi32ELi16ELi128ELNS_18Fp8KVCacheDataTypeE1ELb0ELi512EEEvPfS3_PT_PKS4_PKT0_SA_ifPKiSC_iPKfiiiSE_SE_iiiii,@function
_ZN4vllm25paged_attention_v2_kernelI14__hip_bfloat16hLi32ELi16ELi128ELNS_18Fp8KVCacheDataTypeE1ELb0ELi512EEEvPfS3_PT_PKS4_PKT0_SA_ifPKiSC_iPKfiiiSE_SE_iiiii: ; @_ZN4vllm25paged_attention_v2_kernelI14__hip_bfloat16hLi32ELi16ELi128ELNS_18Fp8KVCacheDataTypeE1ELb0ELi512EEEvPfS3_PT_PKS4_PKT0_SA_ifPKiSC_iPKfiiiSE_SE_iiiii
; %bb.0:
	s_load_b64 s[2:3], s[0:1], 0x40
	s_and_b32 s15, ttmp7, 0xffff
	s_lshr_b32 s29, ttmp7, 16
	s_lshl_b32 s4, s15, 2
	s_lshl_b32 s28, s29, 9
	s_wait_kmcnt 0x0
	s_load_b32 s26, s[2:3], s4 offset:0x0
	s_wait_kmcnt 0x0
	s_cmp_ge_i32 s28, s26
	s_cbranch_scc1 .LBB340_56
; %bb.1:
	s_clause 0x1
	s_load_b32 s30, s[0:1], 0x90
	s_load_b64 s[8:9], s[0:1], 0x30
	s_wait_kmcnt 0x0
	s_abs_i32 s5, s30
	s_abs_i32 s2, s8
	s_delay_alu instid0(SALU_CYCLE_1) | instskip(SKIP_1) | instid1(SALU_CYCLE_2)
	s_cvt_f32_u32 s3, s2
	s_sub_co_i32 s4, 0, s2
	v_rcp_iflag_f32_e32 v1, s3
	s_delay_alu instid0(TRANS32_DEP_1) | instskip(SKIP_2) | instid1(SALU_CYCLE_2)
	v_readfirstlane_b32 s3, v1
	s_mul_f32 s3, s3, 0x4f7ffffe
	s_wait_alu 0xfffe
	s_cvt_u32_f32 s3, s3
	s_wait_alu 0xfffe
	s_delay_alu instid0(SALU_CYCLE_2) | instskip(NEXT) | instid1(SALU_CYCLE_1)
	s_mul_i32 s4, s4, s3
	s_mul_hi_u32 s4, s3, s4
	s_delay_alu instid0(SALU_CYCLE_1)
	s_add_co_i32 s3, s3, s4
	s_xor_b32 s4, s30, s8
	s_wait_alu 0xfffe
	s_mul_hi_u32 s3, s5, s3
	s_ashr_i32 s4, s4, 31
	s_wait_alu 0xfffe
	s_mul_i32 s6, s3, s2
	s_delay_alu instid0(SALU_CYCLE_1)
	s_sub_co_i32 s5, s5, s6
	s_add_co_i32 s6, s3, 1
	s_sub_co_i32 s7, s5, s2
	s_cmp_ge_u32 s5, s2
	s_cselect_b32 s3, s6, s3
	s_cselect_b32 s5, s7, s5
	s_wait_alu 0xfffe
	s_add_co_i32 s6, s3, 1
	s_cmp_ge_u32 s5, s2
	s_cselect_b32 s2, s6, s3
	s_load_b64 s[6:7], s[0:1], 0x50
	s_xor_b32 s2, s2, s4
	s_mov_b32 s3, 0
	s_wait_alu 0xfffe
	s_sub_co_i32 s11, s2, s4
	s_mov_b32 s8, s3
	s_abs_i32 s10, s11
	s_delay_alu instid0(SALU_CYCLE_1) | instskip(SKIP_1) | instid1(SALU_CYCLE_2)
	s_cvt_f32_u32 s2, s10
	s_wait_alu 0xfffe
	v_rcp_iflag_f32_e32 v1, s2
	s_delay_alu instid0(TRANS32_DEP_1) | instskip(SKIP_2) | instid1(SALU_CYCLE_2)
	v_readfirstlane_b32 s2, v1
	s_mul_f32 s2, s2, 0x4f7ffffe
	s_wait_alu 0xfffe
	s_cvt_u32_f32 s4, s2
	s_sub_co_i32 s2, 0, s10
	s_wait_alu 0xfffe
	s_delay_alu instid0(SALU_CYCLE_1)
	s_mul_i32 s2, s2, s4
	s_wait_alu 0xfffe
	s_mul_hi_u32 s5, s4, s2
	s_abs_i32 s2, ttmp9
	s_add_co_i32 s4, s4, s5
	s_mov_b32 s5, s3
	s_wait_kmcnt 0x0
	s_cmp_eq_u64 s[6:7], 0
	s_cbranch_scc1 .LBB340_3
; %bb.2:
	s_mov_b32 s12, ttmp9
	s_ashr_i32 s13, ttmp9, 31
	s_delay_alu instid0(SALU_CYCLE_1) | instskip(NEXT) | instid1(SALU_CYCLE_1)
	s_lshl_b64 s[12:13], s[12:13], 2
	s_add_nc_u64 s[6:7], s[6:7], s[12:13]
	s_load_b32 s8, s[6:7], 0x0
.LBB340_3:
	s_load_b96 s[12:14], s[0:1], 0x58
	v_lshrrev_b32_e32 v15, 1, v0
	v_and_b32_e32 v16, 1, v0
	v_lshlrev_b32_e32 v5, 3, v0
	s_mul_u64 s[4:5], s[2:3], s[4:5]
	s_ashr_i32 s3, ttmp9, 31
	s_ashr_i32 s4, s11, 31
	s_lshl_b32 s16, ttmp9, 5
	s_mov_b32 s6, exec_lo
	v_cmpx_gt_u32_e32 8, v0
	s_cbranch_execz .LBB340_5
; %bb.4:
	s_load_b64 s[18:19], s[0:1], 0x18
	s_wait_kmcnt 0x0
	s_mul_i32 s20, s12, s15
	s_ashr_i32 s17, s16, 31
	s_ashr_i32 s21, s20, 31
	v_lshlrev_b32_e32 v3, 3, v15
	s_lshl_b64 s[20:21], s[20:21], 1
	s_delay_alu instid0(VALU_DEP_1) | instskip(SKIP_2) | instid1(SALU_CYCLE_1)
	v_lshl_add_u32 v3, v16, 5, v3
	s_add_nc_u64 s[18:19], s[18:19], s[20:21]
	s_lshl_b64 s[20:21], s[16:17], 1
	s_add_nc_u64 s[18:19], s[18:19], s[20:21]
	global_load_b64 v[1:2], v5, s[18:19]
	s_wait_loadcnt 0x0
	ds_store_b64 v3, v[1:2]
.LBB340_5:
	s_or_b32 exec_lo, exec_lo, s6
	s_add_co_i32 s6, s26, 15
	s_wait_alu 0xfffe
	s_xor_b32 s3, s3, s4
	s_ashr_i32 s7, s6, 31
	s_wait_kmcnt 0x0
	s_lshl_b32 s12, s29, 5
	s_lshr_b32 s4, s7, 28
	s_mul_i32 s7, s5, s10
	s_add_co_i32 s6, s6, s4
	s_add_co_i32 s4, s12, 32
	s_ashr_i32 s31, s6, 4
	s_load_b32 s6, s[0:1], 0x48
	s_sub_co_i32 s2, s2, s7
	s_min_i32 s27, s4, s31
	s_add_co_i32 s4, s5, 1
	s_wait_alu 0xfffe
	s_sub_co_i32 s7, s2, s10
	s_cmp_ge_u32 s2, s10
	v_lshrrev_b32_e32 v17, 5, v0
	s_cselect_b32 s4, s4, s5
	s_cselect_b32 s2, s7, s2
	s_add_co_i32 s5, s4, 1
	s_wait_alu 0xfffe
	s_cmp_ge_u32 s2, s10
	v_or_b32_e32 v18, s12, v17
	s_cselect_b32 s2, s5, s4
	v_mbcnt_lo_u32_b32 v7, -1, 0
	s_wait_alu 0xfffe
	s_xor_b32 s2, s2, s3
	s_mov_b32 s4, exec_lo
	s_wait_alu 0xfffe
	s_sub_co_i32 s3, s2, s3
	v_cmp_gt_i32_e64 s2, s27, v18
	s_wait_dscnt 0x0
	s_barrier_signal -1
	s_wait_kmcnt 0x0
	s_mul_i32 s18, s6, s15
	s_barrier_wait -1
	s_ashr_i32 s19, s18, 31
	global_inv scope:SCOPE_SE
                                        ; implicit-def: $vgpr8
                                        ; implicit-def: $vgpr9
	v_cmpx_le_i32_e64 s27, v18
	s_xor_b32 s4, exec_lo, s4
; %bb.6:
	v_dual_mov_b32 v8, 0 :: v_dual_mov_b32 v9, 32
	v_mbcnt_lo_u32_b32 v7, -1, 0
; %bb.7:
	s_or_saveexec_b32 s10, s4
	s_clause 0x2
	s_load_b32 s17, s[0:1], 0x98
	s_load_b64 s[20:21], s[0:1], 0x38
	s_load_b128 s[4:7], s[0:1], 0x68
	v_dual_mov_b32 v25, 0xff7fffff :: v_dual_lshlrev_b32 v6, 2, v18
	s_mul_i32 s22, s3, s14
	s_xor_b32 exec_lo, exec_lo, s10
	s_cbranch_execz .LBB340_13
; %bb.8:
	v_xor_b32_e32 v31, 1, v7
	s_load_b64 s[24:25], s[0:1], 0x20
	v_bfe_u32 v25, v0, 1, 4
	s_ashr_i32 s23, s22, 31
	s_wait_kmcnt 0x0
	s_load_b32 s11, s[4:5], 0x0
	v_cmp_gt_i32_e32 vcc_lo, 32, v31
	v_lshlrev_b32_e32 v8, 5, v16
	v_lshlrev_b32_e32 v32, 2, v16
	s_cmp_neq_f32 s8, 0
	s_mov_b32 s14, 0
	v_lshlrev_b32_e32 v9, 4, v25
	ds_load_b128 v[1:4], v8
	ds_load_b128 v[27:30], v8 offset:16
	v_mov_b32_e32 v8, 0
	s_add_nc_u64 s[24:25], s[24:25], s[22:23]
	s_mov_b32 s23, s13
	v_add_co_u32 v33, s3, s24, v9
	s_wait_alu 0xf1ff
	v_add_co_ci_u32_e64 v34, null, s25, 0, s3
	v_mov_b32_e32 v9, 32
	s_cselect_b32 s3, -1, 0
	s_sub_co_i32 s24, 1, s26
	s_wait_dscnt 0x1
	v_lshlrev_b32_e32 v10, 16, v1
	v_and_b32_e32 v11, 0xffff0000, v1
	v_dual_cndmask_b32 v1, v7, v31 :: v_dual_lshlrev_b32 v20, 16, v4
	v_and_b32_e32 v21, 0xffff0000, v4
	v_lshlrev_b32_e32 v14, 16, v3
	v_and_b32_e32 v19, 0xffff0000, v3
	s_delay_alu instid0(VALU_DEP_4)
	v_lshlrev_b32_e32 v31, 2, v1
	v_lshlrev_b32_e32 v1, 2, v25
	;; [unrolled: 1-line block ×4, first 2 shown]
	v_and_b32_e32 v13, 0xffff0000, v2
	s_wait_dscnt 0x0
	v_lshlrev_b32_e32 v22, 16, v27
	v_lshl_or_b32 v4, v17, 6, v1
	v_add_co_u32 v1, s4, v33, v32
	s_delay_alu instid0(VALU_DEP_1)
	v_add_co_ci_u32_e64 v2, null, 0, v34, s4
	s_lshl_b64 s[4:5], s[18:19], 2
	v_add3_u32 v32, s28, v3, v25
	s_wait_alu 0xfffe
	s_add_nc_u64 s[4:5], s[20:21], s[4:5]
	v_and_b32_e32 v23, 0xffff0000, v27
	s_wait_alu 0xfffe
	v_add_co_u32 v3, s4, s4, v6
	v_lshlrev_b32_e32 v24, 16, v28
	v_and_b32_e32 v26, 0xffff0000, v28
	v_lshlrev_b32_e32 v27, 16, v29
	v_and_b32_e32 v28, 0xffff0000, v29
	;; [unrolled: 2-line block ×3, first 2 shown]
	v_add_nc_u32_e32 v33, 0x60, v4
	s_wait_alu 0xf1ff
	v_add_co_ci_u32_e64 v4, null, s5, 0, s4
	v_dual_mov_b32 v25, 0xff7fffff :: v_dual_mov_b32 v34, v18
	v_cmp_eq_u32_e32 vcc_lo, 0, v16
	s_branch .LBB340_10
.LBB340_9:                              ;   in Loop: Header=BB340_10 Depth=1
	s_wait_alu 0xfffe
	s_or_b32 exec_lo, exec_lo, s5
	v_add_nc_u32_e32 v34, 4, v34
	v_add_co_u32 v3, s5, v3, 16
	v_add_nc_u32_e32 v32, 64, v32
	v_add_nc_u32_e32 v33, 0x100, v33
	s_delay_alu instid0(VALU_DEP_4) | instskip(SKIP_3) | instid1(SALU_CYCLE_1)
	v_cmp_le_i32_e64 s4, s27, v34
	s_wait_alu 0xf1ff
	v_add_co_ci_u32_e64 v4, null, 0, v4, s5
	s_or_b32 s14, s4, s14
	s_and_not1_b32 exec_lo, exec_lo, s14
	s_cbranch_execz .LBB340_12
.LBB340_10:                             ; =>This Inner Loop Header: Depth=1
	global_load_b32 v35, v[3:4], off
	s_wait_loadcnt_dscnt 0x0
	v_mad_co_i64_i32 v[35:36], null, v35, s23, v[1:2]
	s_clause 0x3
	global_load_b32 v37, v[35:36], off
	global_load_b32 v38, v[35:36], off offset:8
	global_load_b32 v39, v[35:36], off offset:256
	;; [unrolled: 1-line block ×3, first 2 shown]
	s_wait_loadcnt 0x3
	v_bfe_u32 v40, v37, 8, 8
	s_wait_loadcnt 0x2
	v_bfe_u32 v43, v38, 8, 8
	v_bfe_u32 v41, v37, 16, 8
	s_wait_loadcnt 0x1
	v_bfe_u32 v47, v39, 16, 8
	v_bfe_u32 v44, v38, 16, 8
	v_cvt_f32_fp8_e32 v40, v40
	v_cvt_f32_fp8_e32 v43, v43
	v_and_b32_e32 v36, 0xff, v37
	v_lshrrev_b32_e32 v37, 24, v37
	v_cvt_f32_fp8_e32 v41, v41
	s_wait_kmcnt 0x0
	v_dual_mul_f32 v43, s11, v43 :: v_dual_and_b32 v42, 0xff, v38
	v_cvt_f32_fp8_e32 v36, v36
	v_and_b32_e32 v45, 0xff, v39
	v_cvt_f32_fp8_e32 v37, v37
	s_wait_loadcnt 0x0
	v_dual_mul_f32 v41, s11, v41 :: v_dual_and_b32 v48, 0xff, v35
	v_mul_f32_e32 v36, s11, v36
	v_cvt_f32_fp8_e32 v45, v45
	v_mul_f32_e32 v40, s11, v40
	v_cvt_f32_fp8_e32 v42, v42
	v_mul_f32_e32 v37, s11, v37
	v_bfe_u32 v51, v36, 16, 1
	v_mul_f32_e32 v45, s11, v45
	v_or_b32_e32 v52, 0x400000, v36
	v_bfe_u32 v53, v40, 16, 1
	v_cmp_u_f32_e64 s4, v36, v36
	v_add3_u32 v51, v51, v36, 0x7fff
	v_or_b32_e32 v54, 0x400000, v40
	v_bfe_u32 v55, v41, 16, 1
	v_add3_u32 v53, v53, v40, 0x7fff
	v_cvt_f32_fp8_e32 v47, v47
	s_wait_alu 0xf1ff
	v_cndmask_b32_e64 v36, v51, v52, s4
	v_cmp_u_f32_e64 s4, v40, v40
	v_mul_f32_e32 v42, s11, v42
	v_or_b32_e32 v56, 0x400000, v41
	v_bfe_u32 v57, v37, 16, 1
	v_add3_u32 v55, v55, v41, 0x7fff
	s_wait_alu 0xf1ff
	v_cndmask_b32_e64 v40, v53, v54, s4
	v_cmp_u_f32_e64 s4, v41, v41
	v_lshrrev_b32_e32 v38, 24, v38
	v_bfe_u32 v46, v39, 8, 8
	v_lshrrev_b32_e32 v39, 24, v39
	v_cvt_f32_fp8_e32 v44, v44
	v_mul_f32_e32 v47, s11, v47
	v_or_b32_e32 v58, 0x400000, v37
	v_bfe_u32 v59, v42, 16, 1
	v_add3_u32 v57, v57, v37, 0x7fff
	s_wait_alu 0xf1ff
	v_cndmask_b32_e64 v41, v55, v56, s4
	v_cmp_u_f32_e64 s4, v37, v37
	v_bfe_u32 v49, v35, 8, 8
	v_cvt_f32_fp8_e32 v38, v38
	v_cvt_f32_fp8_e32 v39, v39
	v_mul_f32_e32 v44, s11, v44
	v_or_b32_e32 v60, 0x400000, v42
	v_bfe_u32 v61, v43, 16, 1
	v_add3_u32 v59, v59, v42, 0x7fff
	s_wait_alu 0xf1ff
	v_cndmask_b32_e64 v37, v57, v58, s4
	v_cmp_u_f32_e64 s4, v42, v42
	v_cvt_f32_fp8_e32 v49, v49
	v_dual_mul_f32 v38, s11, v38 :: v_dual_mul_f32 v39, s11, v39
	v_or_b32_e32 v62, 0x400000, v43
	v_bfe_u32 v63, v44, 16, 1
	v_add3_u32 v61, v61, v43, 0x7fff
	s_wait_alu 0xf1ff
	v_cndmask_b32_e64 v42, v59, v60, s4
	v_cmp_u_f32_e64 s4, v43, v43
	v_bfe_u32 v50, v35, 16, 8
	v_lshrrev_b32_e32 v35, 24, v35
	v_cvt_f32_fp8_e32 v46, v46
	v_mul_f32_e32 v49, s11, v49
	v_or_b32_e32 v64, 0x400000, v44
	v_bfe_u32 v65, v38, 16, 1
	v_add3_u32 v63, v63, v44, 0x7fff
	s_wait_alu 0xf1ff
	v_cndmask_b32_e64 v43, v61, v62, s4
	v_cmp_u_f32_e64 s4, v44, v44
	v_cvt_f32_fp8_e32 v35, v35
	v_mul_f32_e32 v46, s11, v46
	v_or_b32_e32 v66, 0x400000, v38
	v_bfe_u32 v67, v45, 16, 1
	v_add3_u32 v65, v65, v38, 0x7fff
	s_wait_alu 0xf1ff
	v_cndmask_b32_e64 v44, v63, v64, s4
	v_cmp_u_f32_e64 s4, v38, v38
	v_mul_f32_e32 v35, s11, v35
	v_or_b32_e32 v68, 0x400000, v45
	v_bfe_u32 v69, v46, 16, 1
	v_add3_u32 v67, v67, v45, 0x7fff
	s_wait_alu 0xf1ff
	v_cndmask_b32_e64 v38, v65, v66, s4
	v_cmp_u_f32_e64 s4, v45, v45
	v_cvt_f32_fp8_e32 v48, v48
	v_or_b32_e32 v70, 0x400000, v46
	v_bfe_u32 v71, v47, 16, 1
	v_add3_u32 v69, v69, v46, 0x7fff
	s_wait_alu 0xf1ff
	v_cndmask_b32_e64 v45, v67, v68, s4
	v_cmp_u_f32_e64 s4, v46, v46
	v_dual_mul_f32 v48, s11, v48 :: v_dual_and_b32 v41, 0xffff0000, v41
	v_or_b32_e32 v72, 0x400000, v47
	v_bfe_u32 v73, v39, 16, 1
	v_add3_u32 v71, v71, v47, 0x7fff
	s_wait_alu 0xf1ff
	v_cndmask_b32_e64 v46, v69, v70, s4
	v_cmp_u_f32_e64 s4, v47, v47
	v_or_b32_e32 v74, 0x400000, v39
	v_bfe_u32 v75, v48, 16, 1
	v_add3_u32 v73, v73, v39, 0x7fff
	v_cvt_f32_fp8_e32 v50, v50
	s_wait_alu 0xf1ff
	v_cndmask_b32_e64 v47, v71, v72, s4
	v_cmp_u_f32_e64 s4, v39, v39
	v_or_b32_e32 v76, 0x400000, v48
	v_bfe_u32 v77, v49, 16, 1
	v_add3_u32 v75, v75, v48, 0x7fff
	v_and_b32_e32 v43, 0xffff0000, v43
	s_wait_alu 0xf1ff
	v_cndmask_b32_e64 v39, v73, v74, s4
	v_cmp_u_f32_e64 s4, v48, v48
	v_dual_mul_f32 v50, s11, v50 :: v_dual_and_b32 v37, 0xffff0000, v37
	v_or_b32_e32 v78, 0x400000, v49
	v_add3_u32 v77, v77, v49, 0x7fff
	s_wait_alu 0xf1ff
	v_cndmask_b32_e64 v48, v75, v76, s4
	v_cmp_u_f32_e64 s4, v49, v49
	v_dual_mul_f32 v43, v19, v43 :: v_dual_and_b32 v36, 0xffff0000, v36
	v_and_b32_e32 v46, 0xffff0000, v46
	v_and_b32_e32 v40, 0xffff0000, v40
	;; [unrolled: 1-line block ×3, first 2 shown]
	v_bfe_u32 v79, v50, 16, 1
	s_wait_alu 0xf1ff
	v_cndmask_b32_e64 v49, v77, v78, s4
	v_or_b32_e32 v80, 0x400000, v50
	v_dual_fmac_f32 v43, v11, v40 :: v_dual_mul_f32 v42, v14, v42
	v_bfe_u32 v81, v35, 16, 1
	v_add3_u32 v79, v79, v50, 0x7fff
	v_cmp_u_f32_e64 s4, v50, v50
	s_delay_alu instid0(VALU_DEP_4)
	v_dual_fmac_f32 v42, v10, v36 :: v_dual_and_b32 v47, 0xffff0000, v47
	v_dual_fmac_f32 v43, v23, v46 :: v_dual_and_b32 v36, 0xffff0000, v49
	v_and_b32_e32 v38, 0xffff0000, v38
	v_or_b32_e32 v82, 0x400000, v35
	v_add3_u32 v81, v81, v35, 0x7fff
	s_wait_alu 0xf1ff
	v_cndmask_b32_e64 v50, v79, v80, s4
	v_cmp_u_f32_e64 s4, v35, v35
	v_fmac_f32_e32 v43, v28, v36
	v_dual_mul_f32 v38, v21, v38 :: v_dual_and_b32 v39, 0xffff0000, v39
	v_and_b32_e32 v48, 0xffff0000, v48
	s_wait_alu 0xf1ff
	v_cndmask_b32_e64 v35, v81, v82, s4
	v_and_b32_e32 v40, 0xffff0000, v50
	s_delay_alu instid0(VALU_DEP_2) | instskip(NEXT) | instid1(VALU_DEP_1)
	v_dual_fmac_f32 v38, v13, v37 :: v_dual_and_b32 v35, 0xffff0000, v35
	v_fmac_f32_e32 v38, v26, v39
	s_delay_alu instid0(VALU_DEP_1) | instskip(SKIP_1) | instid1(VALU_DEP_1)
	v_fmac_f32_e32 v38, v30, v35
	v_and_b32_e32 v44, 0xffff0000, v44
	v_dual_mul_f32 v44, v20, v44 :: v_dual_and_b32 v45, 0xffff0000, v45
	s_delay_alu instid0(VALU_DEP_1) | instskip(NEXT) | instid1(VALU_DEP_2)
	v_fmac_f32_e32 v42, v22, v45
	v_fmac_f32_e32 v44, v12, v41
	s_delay_alu instid0(VALU_DEP_2) | instskip(NEXT) | instid1(VALU_DEP_2)
	v_fmac_f32_e32 v42, v27, v48
	v_fmac_f32_e32 v44, v24, v47
	s_delay_alu instid0(VALU_DEP_2) | instskip(NEXT) | instid1(VALU_DEP_2)
	v_add_f32_e32 v36, v42, v43
	v_fmac_f32_e32 v44, v29, v40
	s_delay_alu instid0(VALU_DEP_1) | instskip(NEXT) | instid1(VALU_DEP_1)
	v_add_f32_e32 v35, v36, v44
	v_add_f32_e32 v35, v38, v35
	ds_bpermute_b32 v36, v31, v35
	s_and_saveexec_b32 s5, vcc_lo
	s_cbranch_execz .LBB340_9
; %bb.11:                               ;   in Loop: Header=BB340_10 Depth=1
	s_wait_dscnt 0x0
	v_add_f32_e32 v35, v35, v36
	v_add_nc_u32_e32 v37, s24, v32
	v_cmp_gt_i32_e64 s4, s26, v32
	s_delay_alu instid0(VALU_DEP_2) | instskip(NEXT) | instid1(VALU_DEP_1)
	v_cvt_f32_i32_e32 v37, v37
	v_mul_f32_e32 v37, s8, v37
	s_delay_alu instid0(VALU_DEP_1) | instskip(NEXT) | instid1(VALU_DEP_1)
	v_cndmask_b32_e64 v36, 0, v37, s3
	v_dual_max_num_f32 v37, v25, v25 :: v_dual_fmac_f32 v36, s9, v35
	s_delay_alu instid0(VALU_DEP_1) | instskip(SKIP_2) | instid1(VALU_DEP_2)
	v_max_num_f32_e32 v35, v37, v36
	s_wait_alu 0xf1ff
	v_cndmask_b32_e64 v36, 0, v36, s4
	v_cndmask_b32_e64 v25, v25, v35, s4
	ds_store_b32 v33, v36
	s_branch .LBB340_9
.LBB340_12:
	s_or_b32 exec_lo, exec_lo, s14
.LBB340_13:
	s_delay_alu instid0(SALU_CYCLE_1)
	s_or_b32 exec_lo, exec_lo, s10
	v_xor_b32_e32 v1, 16, v7
	v_xor_b32_e32 v2, 8, v7
	v_dual_max_num_f32 v4, v25, v25 :: v_dual_and_b32 v19, 31, v0
	s_load_b128 s[8:11], s[0:1], 0x0
	s_wait_kmcnt 0x0
	s_clause 0x1
	s_load_b64 s[4:5], s[0:1], 0x10
	s_load_b64 s[24:25], s[0:1], 0x28
	v_cmp_lt_i32_e32 vcc_lo, v1, v9
	v_lshlrev_b32_e32 v12, 2, v17
	s_wait_alu 0xfffd
	v_cndmask_b32_e32 v1, v7, v1, vcc_lo
	v_cmp_lt_i32_e32 vcc_lo, v2, v9
	s_wait_alu 0xfffd
	v_cndmask_b32_e32 v2, v7, v2, vcc_lo
	s_delay_alu instid0(VALU_DEP_1) | instskip(SKIP_4) | instid1(VALU_DEP_1)
	v_lshlrev_b32_e32 v10, 2, v2
	v_lshlrev_b32_e32 v3, 2, v1
	ds_bpermute_b32 v1, v3, v25
	s_wait_dscnt 0x0
	v_max_num_f32_e32 v1, v1, v1
	v_max_num_f32_e32 v1, v4, v1
	v_xor_b32_e32 v4, 4, v7
	ds_bpermute_b32 v2, v10, v1
	v_cmp_lt_i32_e32 vcc_lo, v4, v9
	s_wait_alu 0xfffd
	v_cndmask_b32_e32 v4, v7, v4, vcc_lo
	s_delay_alu instid0(VALU_DEP_1) | instskip(SKIP_1) | instid1(VALU_DEP_1)
	v_lshlrev_b32_e32 v11, 2, v4
	v_xor_b32_e32 v4, 2, v7
	v_cmp_lt_i32_e32 vcc_lo, v4, v9
	s_wait_dscnt 0x0
	v_max_num_f32_e32 v2, v2, v2
	s_wait_alu 0xfffd
	v_cndmask_b32_e32 v4, v7, v4, vcc_lo
	v_cmp_eq_u32_e32 vcc_lo, 0, v19
	s_delay_alu instid0(VALU_DEP_3) | instskip(SKIP_3) | instid1(VALU_DEP_1)
	v_max_num_f32_e32 v1, v1, v2
	ds_bpermute_b32 v2, v11, v1
	s_wait_dscnt 0x0
	v_max_num_f32_e32 v2, v2, v2
	v_dual_max_num_f32 v1, v1, v2 :: v_dual_lshlrev_b32 v2, 2, v4
	ds_bpermute_b32 v4, v2, v1
	s_and_saveexec_b32 s0, vcc_lo
	s_cbranch_execz .LBB340_15
; %bb.14:
	s_wait_dscnt 0x0
	v_dual_max_num_f32 v4, v4, v4 :: v_dual_max_num_f32 v1, v1, v1
	s_delay_alu instid0(VALU_DEP_1)
	v_max_num_f32_e32 v1, v1, v4
	ds_store_b32 v12, v1 offset:64
.LBB340_15:
	s_or_b32 exec_lo, exec_lo, s0
	v_cmp_gt_u32_e64 s0, 4, v19
	v_mov_b32_e32 v1, 0xff7fffff
	v_lshlrev_b32_e32 v13, 2, v19
	s_wait_loadcnt_dscnt 0x0
	s_barrier_signal -1
	s_barrier_wait -1
	global_inv scope:SCOPE_SE
	s_and_saveexec_b32 s1, s0
; %bb.16:
	ds_load_b32 v1, v13 offset:64
; %bb.17:
	s_or_b32 exec_lo, exec_lo, s1
	s_wait_dscnt 0x0
	ds_bpermute_b32 v4, v2, v1
	v_xor_b32_e32 v14, 1, v7
	v_max_num_f32_e32 v1, v1, v1
	s_delay_alu instid0(VALU_DEP_2) | instskip(NEXT) | instid1(VALU_DEP_1)
	v_cmp_lt_i32_e64 s1, v14, v9
	v_cndmask_b32_e64 v9, v7, v14, s1
	s_sub_co_i32 s1, s27, s12
	s_wait_alu 0xfffe
	s_lshl_b32 s1, s1, 4
	s_wait_alu 0xfffe
	s_add_co_i32 s1, s1, s28
	s_wait_alu 0xfffe
	s_min_i32 s1, s1, s26
	s_wait_alu 0xfffe
	s_sub_co_i32 s14, s1, s28
	s_wait_dscnt 0x0
	v_max_num_f32_e32 v4, v4, v4
	v_lshlrev_b32_e32 v20, 2, v9
	v_cmp_gt_i32_e64 s1, s14, v0
	s_delay_alu instid0(VALU_DEP_3) | instskip(SKIP_3) | instid1(VALU_DEP_1)
	v_max_num_f32_e32 v1, v1, v4
	ds_bpermute_b32 v4, v20, v1
	s_wait_dscnt 0x0
	v_max_num_f32_e32 v4, v4, v4
	v_max_num_f32_e32 v1, v1, v4
	v_lshlrev_b32_e32 v4, 2, v8
	v_mov_b32_e32 v8, 0
	ds_bpermute_b32 v1, v4, v1
	v_lshl_add_u32 v4, v0, 2, 0x60
	s_and_saveexec_b32 s23, s1
	s_cbranch_execz .LBB340_21
; %bb.18:
	v_lshl_add_u32 v9, v0, 2, 0x60
	v_mov_b32_e32 v8, 0
	v_mov_b32_e32 v14, v0
	s_mov_b32 s33, 0
.LBB340_19:                             ; =>This Inner Loop Header: Depth=1
	ds_load_b32 v21, v9
	v_add_nc_u32_e32 v14, 0x80, v14
	s_delay_alu instid0(VALU_DEP_1) | instskip(SKIP_3) | instid1(VALU_DEP_1)
	v_cmp_le_i32_e64 s3, s14, v14
	s_or_b32 s33, s3, s33
	s_wait_dscnt 0x0
	v_sub_f32_e32 v21, v21, v1
	v_mul_f32_e32 v21, 0x3fb8aa3b, v21
	s_delay_alu instid0(VALU_DEP_1)
	v_exp_f32_e32 v21, v21
	ds_store_b32 v9, v21
	v_add_f32_e32 v8, v8, v21
	v_add_nc_u32_e32 v9, 0x200, v9
	s_and_not1_b32 exec_lo, exec_lo, s33
	s_cbranch_execnz .LBB340_19
; %bb.20:
	s_or_b32 exec_lo, exec_lo, s33
.LBB340_21:
	s_wait_alu 0xfffe
	s_or_b32 exec_lo, exec_lo, s23
	ds_bpermute_b32 v3, v3, v8
	s_wait_dscnt 0x0
	v_add_f32_e32 v3, v8, v3
	ds_bpermute_b32 v8, v10, v3
	s_wait_dscnt 0x0
	v_add_f32_e32 v3, v3, v8
	;; [unrolled: 3-line block ×5, first 2 shown]
	s_and_saveexec_b32 s3, vcc_lo
; %bb.22:
	ds_store_b32 v12, v3 offset:80
; %bb.23:
	s_wait_alu 0xfffe
	s_or_b32 exec_lo, exec_lo, s3
	s_wait_loadcnt_dscnt 0x0
	s_barrier_signal -1
	s_barrier_wait -1
	global_inv scope:SCOPE_SE
	s_and_saveexec_b32 s3, s0
; %bb.24:
	ds_load_b32 v3, v13 offset:80
; %bb.25:
	s_wait_alu 0xfffe
	s_or_b32 exec_lo, exec_lo, s3
	s_wait_dscnt 0x0
	ds_bpermute_b32 v2, v2, v3
	s_wait_dscnt 0x0
	v_dual_add_f32 v2, v3, v2 :: v_dual_lshlrev_b32 v7, 2, v7
	ds_bpermute_b32 v3, v20, v2
	s_wait_dscnt 0x0
	v_add_f32_e32 v2, v2, v3
	v_and_b32_e32 v3, 0xffffff80, v7
	ds_bpermute_b32 v2, v3, v2
	s_and_saveexec_b32 s0, s1
	s_cbranch_execz .LBB340_28
; %bb.26:
	s_wait_dscnt 0x0
	v_add_f32_e32 v3, 0x358637bd, v2
	s_mov_b32 s1, 0
	s_delay_alu instid0(VALU_DEP_1) | instskip(NEXT) | instid1(VALU_DEP_1)
	v_div_scale_f32 v7, null, v3, v3, 1.0
	v_rcp_f32_e32 v8, v7
	s_delay_alu instid0(TRANS32_DEP_1) | instskip(NEXT) | instid1(VALU_DEP_1)
	v_fma_f32 v9, -v7, v8, 1.0
	v_fmac_f32_e32 v8, v9, v8
	v_div_scale_f32 v10, vcc_lo, 1.0, v3, 1.0
	s_delay_alu instid0(VALU_DEP_1) | instskip(NEXT) | instid1(VALU_DEP_1)
	v_mul_f32_e32 v9, v10, v8
	v_fma_f32 v11, -v7, v9, v10
	s_delay_alu instid0(VALU_DEP_1) | instskip(NEXT) | instid1(VALU_DEP_1)
	v_fmac_f32_e32 v9, v11, v8
	v_fma_f32 v7, -v7, v9, v10
	s_wait_alu 0xfffd
	s_delay_alu instid0(VALU_DEP_1) | instskip(NEXT) | instid1(VALU_DEP_1)
	v_div_fmas_f32 v7, v7, v8, v9
	v_div_fixup_f32 v3, v7, v3, 1.0
	v_mov_b32_e32 v7, v0
.LBB340_27:                             ; =>This Inner Loop Header: Depth=1
	ds_load_b32 v8, v4
	s_wait_dscnt 0x0
	v_dual_mul_f32 v8, v3, v8 :: v_dual_add_nc_u32 v7, 0x80, v7
	s_delay_alu instid0(VALU_DEP_1)
	v_cmp_le_i32_e32 vcc_lo, s14, v7
	ds_store_b32 v4, v8
	v_add_nc_u32_e32 v4, 0x200, v4
	s_wait_alu 0xfffe
	s_or_b32 s1, vcc_lo, s1
	s_wait_alu 0xfffe
	s_and_not1_b32 exec_lo, exec_lo, s1
	s_cbranch_execnz .LBB340_27
.LBB340_28:
	s_wait_alu 0xfffe
	s_or_b32 exec_lo, exec_lo, s0
	s_mul_i32 s0, s17, s15
	s_wait_loadcnt_dscnt 0x0
	s_wait_alu 0xfffe
	s_mul_i32 s14, s0, s30
	s_mov_b32 s0, exec_lo
	s_barrier_signal -1
	s_barrier_wait -1
	global_inv scope:SCOPE_SE
	v_cmpx_eq_u32_e32 0, v0
	s_cbranch_execz .LBB340_30
; %bb.29:
	s_wait_alu 0xfffe
	s_ashr_i32 s15, s14, 31
	s_mul_i32 s34, s17, ttmp9
	s_lshl_b32 s1, s29, 2
	s_wait_alu 0xfffe
	s_lshl_b64 s[36:37], s[14:15], 2
	s_ashr_i32 s35, s34, 31
	v_mov_b32_e32 v3, s1
	s_add_nc_u64 s[10:11], s[10:11], s[36:37]
	s_lshl_b64 s[34:35], s[34:35], 2
	s_add_nc_u64 s[8:9], s[8:9], s[36:37]
	s_wait_alu 0xfffe
	s_add_nc_u64 s[10:11], s[10:11], s[34:35]
	s_add_nc_u64 s[8:9], s[8:9], s[34:35]
	s_clause 0x1
	global_store_b32 v3, v1, s[10:11]
	global_store_b32 v3, v2, s[8:9]
.LBB340_30:
	s_wait_alu 0xfffe
	s_or_b32 exec_lo, exec_lo, s0
	v_dual_mov_b32 v22, 0 :: v_dual_mov_b32 v21, 0
	s_and_saveexec_b32 s1, s2
	s_cbranch_execz .LBB340_38
; %bb.31:
	s_load_b32 s2, s[6:7], 0x0
	v_dual_mov_b32 v21, 0 :: v_dual_lshlrev_b32 v2, 5, v16
	v_and_b32_e32 v3, 0xf8, v5
	s_ashr_i32 s23, s22, 31
	s_lshl_b64 s[6:7], s[18:19], 2
	s_wait_kmcnt 0x0
	s_wait_alu 0xfffe
	s_add_nc_u64 s[8:9], s[24:25], s[22:23]
	v_dual_mov_b32 v22, 0 :: v_dual_and_b32 v1, 8, v5
	v_lshl_add_u32 v4, v17, 4, s28
	v_lshl_or_b32 v2, v17, 6, v2
	s_wait_alu 0xfffe
	v_add_co_u32 v9, s0, s8, v3
	s_add_nc_u64 s[6:7], s[20:21], s[6:7]
	s_wait_alu 0xf1ff
	v_add_co_ci_u32_e64 v10, null, s9, 0, s0
	v_add_co_u32 v11, s0, s6, v6
	v_add3_u32 v23, v4, v1, 7
	v_add_nc_u32_e32 v24, 0x60, v2
	s_wait_alu 0xf1ff
	v_add_co_ci_u32_e64 v12, null, s7, 0, s0
	s_mov_b32 s3, s13
	s_add_co_i32 s31, s31, -1
	s_mov_b32 s6, 0
	s_branch .LBB340_33
.LBB340_32:                             ;   in Loop: Header=BB340_33 Depth=1
	s_wait_alu 0xfffe
	s_or_b32 exec_lo, exec_lo, s0
	s_wait_dscnt 0x1
	v_bfe_u32 v28, v5, 16, 1
	v_or_b32_e32 v35, 0x400000, v5
	v_bfe_u32 v36, v6, 16, 1
	v_cmp_u_f32_e32 vcc_lo, v5, v5
	v_bfe_u32 v37, v7, 16, 1
	v_add3_u32 v28, v28, v5, 0x7fff
	v_or_b32_e32 v39, 0x400000, v6
	v_add3_u32 v36, v36, v6, 0x7fff
	v_or_b32_e32 v40, 0x400000, v7
	v_add3_u32 v37, v37, v7, 0x7fff
	s_wait_alu 0xfffd
	v_cndmask_b32_e32 v5, v28, v35, vcc_lo
	v_cmp_u_f32_e32 vcc_lo, v6, v6
	v_bfe_u32 v28, v8, 16, 1
	s_wait_dscnt 0x0
	v_bfe_u32 v35, v1, 16, 1
	v_lshlrev_b32_e32 v26, 16, v26
	v_lshlrev_b32_e32 v30, 16, v30
	s_wait_alu 0xfffd
	v_cndmask_b32_e32 v6, v36, v39, vcc_lo
	v_cmp_u_f32_e32 vcc_lo, v7, v7
	v_add3_u32 v28, v28, v8, 0x7fff
	v_or_b32_e32 v36, 0x400000, v8
	v_add3_u32 v35, v35, v1, 0x7fff
	v_bfe_u32 v39, v2, 16, 1
	s_wait_alu 0xfffd
	v_cndmask_b32_e32 v7, v37, v40, vcc_lo
	v_cmp_u_f32_e32 vcc_lo, v8, v8
	v_or_b32_e32 v37, 0x400000, v1
	v_and_b32_e32 v6, 0xffff0000, v6
	v_lshlrev_b32_e32 v13, 16, v13
	v_add_co_u32 v11, s0, v11, 16
	s_wait_alu 0xfffd
	v_cndmask_b32_e32 v8, v28, v36, vcc_lo
	v_cmp_u_f32_e32 vcc_lo, v1, v1
	v_add3_u32 v28, v39, v2, 0x7fff
	v_bfe_u32 v36, v3, 16, 1
	v_add_nc_u32_e32 v23, 64, v23
	s_wait_alu 0xf1ff
	v_add_co_ci_u32_e64 v12, null, 0, v12, s0
	s_wait_alu 0xfffd
	v_cndmask_b32_e32 v1, v35, v37, vcc_lo
	v_or_b32_e32 v35, 0x400000, v2
	v_cmp_u_f32_e32 vcc_lo, v2, v2
	v_and_b32_e32 v5, 0xffff0000, v5
	v_lshlrev_b32_e32 v14, 16, v14
	v_and_b32_e32 v1, 0xffff0000, v1
	v_add_nc_u32_e32 v18, 4, v18
	s_wait_alu 0xfffd
	v_cndmask_b32_e32 v2, v28, v35, vcc_lo
	v_add3_u32 v28, v36, v3, 0x7fff
	v_or_b32_e32 v35, 0x400000, v3
	v_cmp_u_f32_e32 vcc_lo, v3, v3
	v_bfe_u32 v36, v4, 16, 1
	v_lshlrev_b32_e32 v32, 16, v32
	v_and_b32_e32 v2, 0xffff0000, v2
	s_wait_alu 0xfffd
	v_dual_cndmask_b32 v3, v28, v35 :: v_dual_add_nc_u32 v24, 0x100, v24
	s_delay_alu instid0(VALU_DEP_3) | instskip(SKIP_3) | instid1(VALU_DEP_4)
	v_dual_mul_f32 v32, v6, v32 :: v_dual_lshlrev_b32 v33, 16, v33
	v_add3_u32 v28, v36, v4, 0x7fff
	v_or_b32_e32 v35, 0x400000, v4
	v_cmp_u_f32_e32 vcc_lo, v4, v4
	v_mul_f32_e32 v33, v5, v33
	v_and_b32_e32 v3, 0xffff0000, v3
	s_wait_alu 0xfffd
	v_dual_cndmask_b32 v4, v28, v35 :: v_dual_lshlrev_b32 v29, 16, v29
	s_delay_alu instid0(VALU_DEP_3)
	v_bfe_u32 v36, v33, 16, 1
	v_or_b32_e32 v35, 0x400000, v33
	v_cmp_u_f32_e32 vcc_lo, v33, v33
	v_mul_f32_e32 v26, v3, v26
	v_dual_mul_f32 v29, v1, v29 :: v_dual_and_b32 v8, 0xffff0000, v8
	v_add3_u32 v28, v36, v33, 0x7fff
	v_bfe_u32 v36, v32, 16, 1
	s_delay_alu instid0(VALU_DEP_3)
	v_dual_mul_f32 v30, v8, v30 :: v_dual_and_b32 v7, 0xffff0000, v7
	v_and_b32_e32 v4, 0xffff0000, v4
	s_wait_alu 0xfffd
	v_cndmask_b32_e32 v28, v28, v35, vcc_lo
	v_add3_u32 v33, v36, v32, 0x7fff
	v_or_b32_e32 v36, 0x400000, v32
	v_cmp_u_f32_e32 vcc_lo, v32, v32
	v_lshlrev_b32_e32 v31, 16, v31
	v_bfe_u32 v39, v30, 16, 1
	s_wait_alu 0xfffd
	s_delay_alu instid0(VALU_DEP_2) | instskip(NEXT) | instid1(VALU_DEP_2)
	v_dual_cndmask_b32 v32, v33, v36 :: v_dual_mul_f32 v31, v7, v31
	v_add3_u32 v33, v39, v30, 0x7fff
	v_or_b32_e32 v36, 0x400000, v30
	s_delay_alu instid0(VALU_DEP_3) | instskip(NEXT) | instid1(VALU_DEP_4)
	v_and_b32_e32 v32, 0xffff0000, v32
	v_bfe_u32 v35, v31, 16, 1
	v_or_b32_e32 v37, 0x400000, v31
	v_cmp_u_f32_e32 vcc_lo, v31, v31
	s_delay_alu instid0(VALU_DEP_3) | instskip(SKIP_1) | instid1(VALU_DEP_1)
	v_add3_u32 v35, v35, v31, 0x7fff
	s_wait_alu 0xfffd
	v_cndmask_b32_e32 v31, v35, v37, vcc_lo
	v_bfe_u32 v35, v29, 16, 1
	v_cmp_u_f32_e32 vcc_lo, v30, v30
	v_lshlrev_b32_e32 v27, 16, v27
	v_or_b32_e32 v37, 0x400000, v29
	s_delay_alu instid0(VALU_DEP_4) | instskip(SKIP_1) | instid1(VALU_DEP_3)
	v_add3_u32 v35, v35, v29, 0x7fff
	s_wait_alu 0xfffd
	v_dual_cndmask_b32 v30, v33, v36 :: v_dual_mul_f32 v27, v2, v27
	v_cmp_u_f32_e32 vcc_lo, v29, v29
	s_delay_alu instid0(VALU_DEP_2) | instskip(NEXT) | instid1(VALU_DEP_3)
	v_and_b32_e32 v30, 0xffff0000, v30
	v_bfe_u32 v33, v27, 16, 1
	s_wait_alu 0xfffd
	v_cndmask_b32_e32 v29, v35, v37, vcc_lo
	v_or_b32_e32 v36, 0x400000, v27
	v_cmp_u_f32_e32 vcc_lo, v27, v27
	v_bfe_u32 v35, v26, 16, 1
	v_add3_u32 v33, v33, v27, 0x7fff
	v_and_b32_e32 v29, 0xffff0000, v29
	v_and_b32_e32 v28, 0xffff0000, v28
	v_lshlrev_b32_e32 v25, 16, v25
	v_add3_u32 v35, v35, v26, 0x7fff
	v_or_b32_e32 v37, 0x400000, v26
	s_delay_alu instid0(VALU_DEP_4) | instskip(NEXT) | instid1(VALU_DEP_4)
	v_add_f32_e32 v28, v28, v32
	v_mul_f32_e32 v25, v4, v25
	v_and_b32_e32 v31, 0xffff0000, v31
	s_wait_alu 0xfffd
	v_cndmask_b32_e32 v27, v33, v36, vcc_lo
	v_cmp_u_f32_e32 vcc_lo, v26, v26
	v_mul_f32_e32 v4, v4, v13
	v_bfe_u32 v33, v25, 16, 1
	s_delay_alu instid0(VALU_DEP_4) | instskip(SKIP_2) | instid1(VALU_DEP_3)
	v_dual_add_f32 v30, v31, v30 :: v_dual_and_b32 v27, 0xffff0000, v27
	s_wait_alu 0xfffd
	v_dual_cndmask_b32 v26, v35, v37 :: v_dual_lshlrev_b32 v31, 16, v43
	v_add3_u32 v33, v33, v25, 0x7fff
	v_or_b32_e32 v35, 0x400000, v25
	v_cmp_u_f32_e32 vcc_lo, v25, v25
	s_delay_alu instid0(VALU_DEP_4)
	v_mul_f32_e32 v6, v6, v31
	v_add_f32_e32 v27, v29, v27
	v_lshlrev_b32_e32 v29, 16, v42
	v_lshlrev_b32_e32 v36, 16, v44
	s_wait_alu 0xfffd
	v_dual_add_f32 v28, v30, v28 :: v_dual_cndmask_b32 v25, v33, v35
	v_bfe_u32 v32, v6, 16, 1
	v_mul_f32_e32 v7, v7, v29
	v_mul_f32_e32 v5, v5, v36
	v_lshlrev_b32_e32 v29, 16, v41
	s_delay_alu instid0(VALU_DEP_2) | instskip(SKIP_2) | instid1(VALU_DEP_4)
	v_bfe_u32 v30, v5, 16, 1
	v_or_b32_e32 v31, 0x400000, v5
	v_cmp_u_f32_e32 vcc_lo, v5, v5
	v_dual_mul_f32 v8, v8, v29 :: v_dual_lshlrev_b32 v29, 16, v38
	s_delay_alu instid0(VALU_DEP_4) | instskip(SKIP_1) | instid1(VALU_DEP_1)
	v_add3_u32 v30, v30, v5, 0x7fff
	s_wait_alu 0xfffd
	v_cndmask_b32_e32 v5, v30, v31, vcc_lo
	v_add3_u32 v30, v32, v6, 0x7fff
	v_or_b32_e32 v31, 0x400000, v6
	v_bfe_u32 v32, v7, 16, 1
	v_cmp_u_f32_e32 vcc_lo, v6, v6
	s_wait_alu 0xfffd
	s_delay_alu instid0(VALU_DEP_3) | instskip(NEXT) | instid1(VALU_DEP_3)
	v_dual_cndmask_b32 v6, v30, v31 :: v_dual_and_b32 v5, 0xffff0000, v5
	v_add3_u32 v30, v32, v7, 0x7fff
	v_or_b32_e32 v31, 0x400000, v7
	v_bfe_u32 v32, v8, 16, 1
	v_cmp_u_f32_e32 vcc_lo, v7, v7
	v_dual_mul_f32 v1, v1, v29 :: v_dual_and_b32 v6, 0xffff0000, v6
	s_wait_alu 0xfffd
	v_cndmask_b32_e32 v7, v30, v31, vcc_lo
	v_add3_u32 v30, v32, v8, 0x7fff
	v_or_b32_e32 v31, 0x400000, v8
	v_cmp_u_f32_e32 vcc_lo, v8, v8
	v_add_f32_e32 v5, v5, v6
	v_bfe_u32 v32, v1, 16, 1
	v_or_b32_e32 v13, 0x400000, v1
	s_wait_alu 0xfffd
	v_cndmask_b32_e32 v8, v30, v31, vcc_lo
	v_cmp_u_f32_e32 vcc_lo, v1, v1
	v_add3_u32 v30, v32, v1, 0x7fff
	v_bfe_u32 v32, v4, 16, 1
	s_delay_alu instid0(VALU_DEP_4) | instskip(SKIP_3) | instid1(VALU_DEP_2)
	v_and_b32_e32 v8, 0xffff0000, v8
	v_and_b32_e32 v7, 0xffff0000, v7
	;; [unrolled: 1-line block ×3, first 2 shown]
	s_wait_alu 0xfffd
	v_dual_cndmask_b32 v1, v30, v13 :: v_dual_add_f32 v6, v7, v8
	v_and_b32_e32 v7, 0xffff0000, v26
	v_lshlrev_b32_e32 v29, 16, v34
	s_delay_alu instid0(VALU_DEP_3) | instskip(NEXT) | instid1(VALU_DEP_3)
	v_add_f32_e32 v5, v6, v5
	v_add_f32_e32 v6, v7, v25
	s_delay_alu instid0(VALU_DEP_3) | instskip(NEXT) | instid1(VALU_DEP_1)
	v_mul_f32_e32 v2, v2, v29
	v_bfe_u32 v29, v2, 16, 1
	v_cmp_u_f32_e32 vcc_lo, v2, v2
	v_mul_f32_e32 v3, v3, v14
	s_delay_alu instid0(VALU_DEP_3) | instskip(SKIP_2) | instid1(VALU_DEP_1)
	v_add3_u32 v14, v29, v2, 0x7fff
	v_or_b32_e32 v29, 0x400000, v2
	s_wait_alu 0xfffd
	v_cndmask_b32_e32 v2, v14, v29, vcc_lo
	v_bfe_u32 v31, v3, 16, 1
	v_add3_u32 v14, v32, v4, 0x7fff
	v_or_b32_e32 v29, 0x400000, v4
	v_cmp_u_f32_e32 vcc_lo, v4, v4
	v_or_b32_e32 v30, 0x400000, v3
	v_add3_u32 v13, v31, v3, 0x7fff
	v_and_b32_e32 v2, 0xffff0000, v2
	v_and_b32_e32 v1, 0xffff0000, v1
	s_wait_alu 0xfffd
	v_cndmask_b32_e32 v4, v14, v29, vcc_lo
	v_cmp_u_f32_e32 vcc_lo, v3, v3
	s_delay_alu instid0(VALU_DEP_2) | instskip(SKIP_3) | instid1(VALU_DEP_3)
	v_dual_add_f32 v1, v1, v2 :: v_dual_and_b32 v2, 0xffff0000, v4
	s_wait_alu 0xfffd
	v_dual_cndmask_b32 v3, v13, v30 :: v_dual_add_f32 v4, v27, v28
	v_cmp_le_i32_e32 vcc_lo, s27, v18
	v_add_f32_e32 v1, v1, v5
	s_delay_alu instid0(VALU_DEP_3) | instskip(SKIP_1) | instid1(VALU_DEP_1)
	v_and_b32_e32 v3, 0xffff0000, v3
	s_or_b32 s6, vcc_lo, s6
	v_dual_add_f32 v2, v3, v2 :: v_dual_add_f32 v3, v6, v4
	s_delay_alu instid0(VALU_DEP_1) | instskip(NEXT) | instid1(VALU_DEP_1)
	v_add_f32_e32 v1, v2, v1
	v_dual_add_f32 v21, v21, v3 :: v_dual_add_f32 v22, v22, v1
	s_wait_alu 0xfffe
	s_and_not1_b32 exec_lo, exec_lo, s6
	s_cbranch_execz .LBB340_37
.LBB340_33:                             ; =>This Inner Loop Header: Depth=1
	global_load_b32 v1, v[11:12], off
	v_cmp_eq_u32_e32 vcc_lo, s31, v18
	s_wait_loadcnt 0x0
	s_wait_alu 0xfffe
	v_mad_co_i64_i32 v[13:14], null, v1, s3, v[9:10]
	global_load_b64 v[25:26], v[13:14], off
	ds_load_2addr_b64 v[5:8], v24 offset1:1
	ds_load_2addr_b64 v[1:4], v24 offset0:2 offset1:3
	s_wait_loadcnt 0x0
	v_and_b32_e32 v27, 0xff, v25
	v_bfe_u32 v29, v25, 8, 8
	v_bfe_u32 v30, v25, 16, 8
	v_lshrrev_b32_e32 v25, 24, v25
	v_and_b32_e32 v31, 0xff, v26
	v_cvt_f32_fp8_e32 v27, v27
	v_cvt_f32_fp8_e32 v29, v29
	v_add_nc_u32_e32 v28, -7, v23
	v_cvt_f32_fp8_e32 v30, v30
	v_add_nc_u32_e32 v39, -5, v23
	v_mul_f32_e32 v27, s2, v27
	v_mul_f32_e32 v29, s2, v29
	v_cvt_f32_fp8_e32 v25, v25
	v_mul_f32_e32 v30, s2, v30
	v_add_nc_u32_e32 v40, -6, v23
	v_bfe_u32 v34, v27, 16, 1
	v_or_b32_e32 v38, 0x400000, v27
	v_bfe_u32 v41, v29, 16, 1
	v_cmp_u_f32_e64 s0, v27, v27
	v_bfe_u32 v32, v26, 8, 8
	v_add3_u32 v34, v34, v27, 0x7fff
	v_cvt_f32_fp8_e32 v31, v31
	v_mul_f32_e32 v25, s2, v25
	v_or_b32_e32 v42, 0x400000, v29
	v_bfe_u32 v43, v30, 16, 1
	v_add3_u32 v41, v41, v29, 0x7fff
	s_wait_alu 0xf1ff
	v_cndmask_b32_e64 v27, v34, v38, s0
	v_cmp_u_f32_e64 s0, v29, v29
	v_bfe_u32 v33, v26, 16, 8
	v_cvt_f32_fp8_e32 v32, v32
	v_mul_f32_e32 v31, s2, v31
	v_or_b32_e32 v44, 0x400000, v30
	v_bfe_u32 v45, v25, 16, 1
	v_add3_u32 v43, v43, v30, 0x7fff
	s_wait_alu 0xf1ff
	v_cndmask_b32_e64 v29, v41, v42, s0
	v_cmp_u_f32_e64 s0, v30, v30
	v_dual_mul_f32 v32, s2, v32 :: v_dual_add_nc_u32 v37, -4, v23
	v_lshrrev_b32_e32 v26, 24, v26
	v_cvt_f32_fp8_e32 v33, v33
	v_or_b32_e32 v46, 0x400000, v25
	v_bfe_u32 v47, v31, 16, 1
	v_add3_u32 v45, v45, v25, 0x7fff
	s_wait_alu 0xf1ff
	v_cndmask_b32_e64 v30, v43, v44, s0
	v_cmp_u_f32_e64 s0, v25, v25
	v_dual_mul_f32 v33, s2, v33 :: v_dual_add_nc_u32 v36, -3, v23
	v_cvt_f32_fp8_e32 v26, v26
	v_or_b32_e32 v48, 0x400000, v31
	v_bfe_u32 v49, v32, 16, 1
	v_add3_u32 v47, v47, v31, 0x7fff
	s_wait_alu 0xf1ff
	v_cndmask_b32_e64 v25, v45, v46, s0
	v_cmp_u_f32_e64 s0, v31, v31
	v_dual_mul_f32 v26, s2, v26 :: v_dual_add_nc_u32 v35, -2, v23
	v_or_b32_e32 v50, 0x400000, v32
	v_bfe_u32 v51, v33, 16, 1
	v_add3_u32 v49, v49, v32, 0x7fff
	s_wait_alu 0xf1ff
	v_cndmask_b32_e64 v34, v47, v48, s0
	v_cmp_u_f32_e64 s0, v32, v32
	v_or_b32_e32 v52, 0x400000, v33
	v_bfe_u32 v53, v26, 16, 1
	v_add3_u32 v51, v51, v33, 0x7fff
	v_or_b32_e32 v54, 0x400000, v26
	s_wait_alu 0xf1ff
	v_cndmask_b32_e64 v38, v49, v50, s0
	v_cmp_u_f32_e64 s0, v33, v33
	v_add3_u32 v53, v53, v26, 0x7fff
	v_lshrrev_b32_e32 v33, 16, v27
	v_lshrrev_b32_e32 v32, 16, v29
	;; [unrolled: 1-line block ×3, first 2 shown]
	s_wait_alu 0xf1ff
	v_cndmask_b32_e64 v41, v51, v52, s0
	v_cmp_u_f32_e64 s0, v26, v26
	v_lshrrev_b32_e32 v30, 16, v25
	v_lshrrev_b32_e32 v29, 16, v34
	;; [unrolled: 1-line block ×4, first 2 shown]
	s_wait_alu 0xf1ff
	v_cndmask_b32_e64 v42, v53, v54, s0
	v_add_nc_u32_e32 v45, -1, v23
	s_delay_alu instid0(VALU_DEP_2)
	v_lshrrev_b32_e32 v25, 16, v42
	s_and_saveexec_b32 s7, vcc_lo
	s_cbranch_execz .LBB340_35
; %bb.34:                               ;   in Loop: Header=BB340_33 Depth=1
	v_cmp_gt_i32_e64 s0, s26, v28
	s_wait_alu 0xf1ff
	s_delay_alu instid0(VALU_DEP_1) | instskip(SKIP_2) | instid1(VALU_DEP_1)
	v_cndmask_b32_e64 v33, 0, v33, s0
	v_cmp_gt_i32_e64 s0, s26, v40
	s_wait_alu 0xf1ff
	v_cndmask_b32_e64 v32, 0, v32, s0
	v_cmp_gt_i32_e64 s0, s26, v39
	s_wait_alu 0xf1ff
	s_delay_alu instid0(VALU_DEP_1) | instskip(SKIP_2) | instid1(VALU_DEP_1)
	v_cndmask_b32_e64 v31, 0, v31, s0
	v_cmp_gt_i32_e64 s0, s26, v37
	s_wait_alu 0xf1ff
	v_cndmask_b32_e64 v30, 0, v30, s0
	;; [unrolled: 7-line block ×4, first 2 shown]
.LBB340_35:                             ;   in Loop: Header=BB340_33 Depth=1
	s_wait_alu 0xfffe
	s_or_b32 exec_lo, exec_lo, s7
	global_load_b64 v[13:14], v[13:14], off offset:256
	s_wait_loadcnt 0x0
	v_bfe_u32 v43, v14, 8, 8
	v_bfe_u32 v38, v13, 8, 8
	;; [unrolled: 1-line block ×4, first 2 shown]
	s_delay_alu instid0(VALU_DEP_4)
	v_cvt_f32_fp8_e32 v43, v43
	v_and_b32_e32 v34, 0xff, v13
	v_lshrrev_b32_e32 v13, 24, v13
	v_cvt_f32_fp8_e32 v38, v38
	v_cvt_f32_fp8_e32 v41, v41
	v_mul_f32_e32 v43, s2, v43
	v_cvt_f32_fp8_e32 v34, v34
	v_cvt_f32_fp8_e32 v13, v13
	v_mul_f32_e32 v38, s2, v38
	v_dual_mul_f32 v41, s2, v41 :: v_dual_and_b32 v42, 0xff, v14
	s_delay_alu instid0(VALU_DEP_3) | instskip(NEXT) | instid1(VALU_DEP_3)
	v_dual_mul_f32 v34, s2, v34 :: v_dual_mul_f32 v13, s2, v13
	v_bfe_u32 v48, v38, 16, 1
	s_delay_alu instid0(VALU_DEP_3) | instskip(SKIP_1) | instid1(VALU_DEP_4)
	v_cvt_f32_fp8_e32 v42, v42
	v_or_b32_e32 v49, 0x400000, v38
	v_bfe_u32 v46, v34, 16, 1
	v_or_b32_e32 v47, 0x400000, v34
	v_cmp_u_f32_e64 s0, v34, v34
	v_bfe_u32 v50, v41, 16, 1
	v_add3_u32 v48, v48, v38, 0x7fff
	v_add3_u32 v46, v46, v34, 0x7fff
	v_mul_f32_e32 v42, s2, v42
	v_or_b32_e32 v51, 0x400000, v41
	v_bfe_u32 v52, v13, 16, 1
	v_add3_u32 v50, v50, v41, 0x7fff
	s_wait_alu 0xf1ff
	v_cndmask_b32_e64 v34, v46, v47, s0
	v_cmp_u_f32_e64 s0, v38, v38
	v_lshrrev_b32_e32 v14, 24, v14
	v_cvt_f32_fp8_e32 v44, v44
	v_or_b32_e32 v53, 0x400000, v13
	v_bfe_u32 v54, v42, 16, 1
	s_wait_alu 0xf1ff
	v_cndmask_b32_e64 v38, v48, v49, s0
	v_cmp_u_f32_e64 s0, v41, v41
	v_add3_u32 v52, v52, v13, 0x7fff
	v_cvt_f32_fp8_e32 v14, v14
	v_mul_f32_e32 v44, s2, v44
	v_or_b32_e32 v55, 0x400000, v42
	s_wait_alu 0xf1ff
	v_cndmask_b32_e64 v41, v50, v51, s0
	v_cmp_u_f32_e64 s0, v13, v13
	v_bfe_u32 v56, v43, 16, 1
	v_add3_u32 v54, v54, v42, 0x7fff
	v_mul_f32_e32 v14, s2, v14
	v_or_b32_e32 v57, 0x400000, v43
	s_wait_alu 0xf1ff
	v_cndmask_b32_e64 v13, v52, v53, s0
	v_cmp_u_f32_e64 s0, v42, v42
	v_bfe_u32 v58, v44, 16, 1
	v_add3_u32 v56, v56, v43, 0x7fff
	v_or_b32_e32 v59, 0x400000, v44
	v_bfe_u32 v60, v14, 16, 1
	s_wait_alu 0xf1ff
	v_cndmask_b32_e64 v46, v54, v55, s0
	v_cmp_u_f32_e64 s0, v43, v43
	v_add3_u32 v58, v58, v44, 0x7fff
	v_or_b32_e32 v61, 0x400000, v14
	v_add3_u32 v60, v60, v14, 0x7fff
	v_lshrrev_b32_e32 v43, 16, v38
	s_wait_alu 0xf1ff
	v_cndmask_b32_e64 v47, v56, v57, s0
	v_cmp_u_f32_e64 s0, v44, v44
	v_lshrrev_b32_e32 v44, 16, v34
	v_lshrrev_b32_e32 v42, 16, v41
	;; [unrolled: 1-line block ×4, first 2 shown]
	s_wait_alu 0xf1ff
	v_cndmask_b32_e64 v48, v58, v59, s0
	v_cmp_u_f32_e64 s0, v14, v14
	v_lshrrev_b32_e32 v34, 16, v47
	s_delay_alu instid0(VALU_DEP_3) | instskip(SKIP_1) | instid1(VALU_DEP_3)
	v_lshrrev_b32_e32 v14, 16, v48
	s_wait_alu 0xf1ff
	v_cndmask_b32_e64 v49, v60, v61, s0
	s_delay_alu instid0(VALU_DEP_1)
	v_lshrrev_b32_e32 v13, 16, v49
	s_and_saveexec_b32 s0, vcc_lo
	s_cbranch_execz .LBB340_32
; %bb.36:                               ;   in Loop: Header=BB340_33 Depth=1
	v_cmp_gt_i32_e32 vcc_lo, s26, v28
	s_wait_alu 0xfffd
	v_cndmask_b32_e32 v44, 0, v44, vcc_lo
	v_cmp_gt_i32_e32 vcc_lo, s26, v40
	s_wait_alu 0xfffd
	v_cndmask_b32_e32 v43, 0, v43, vcc_lo
	;; [unrolled: 3-line block ×8, first 2 shown]
	s_branch .LBB340_32
.LBB340_37:
	s_or_b32 exec_lo, exec_lo, s6
.LBB340_38:
	s_wait_alu 0xfffe
	s_or_b32 exec_lo, exec_lo, s1
	ds_bpermute_b32 v1, v20, v21
	ds_bpermute_b32 v5, v20, v22
	v_lshrrev_b32_e32 v3, 1, v19
	v_and_b32_e32 v6, 0x3c1, v0
	s_mov_b32 s0, exec_lo
	s_wait_storecnt 0x0
	s_wait_loadcnt_dscnt 0x0
	s_barrier_signal -1
	v_lshl_add_u32 v4, v3, 2, 0x60
	s_barrier_wait -1
	global_inv scope:SCOPE_SE
	v_add_f32_e32 v2, v21, v1
	v_add_f32_e32 v1, v22, v5
	v_cmpx_eq_u32_e32 64, v6
	s_cbranch_execz .LBB340_40
; %bb.39:
	v_lshl_add_u32 v5, v17, 7, v4
	s_delay_alu instid0(VALU_DEP_1)
	v_add_nc_u32_e32 v6, 0xffffff00, v5
	v_add_nc_u32_e32 v5, 0xffffff40, v5
	ds_store_b32 v6, v2
	ds_store_b32 v5, v1
.LBB340_40:
	s_wait_alu 0xfffe
	s_or_b32 exec_lo, exec_lo, s0
	v_and_b32_e32 v5, 0x3e0, v0
	v_lshlrev_b32_e32 v3, 2, v3
	s_mov_b32 s1, exec_lo
	v_cmp_eq_u32_e32 vcc_lo, 0, v16
	s_wait_loadcnt_dscnt 0x0
	v_lshlrev_b32_e32 v5, 2, v5
	s_barrier_signal -1
	s_barrier_wait -1
	global_inv scope:SCOPE_SE
	v_add3_u32 v3, 0x60, v5, v3
	v_cmpx_gt_u32_e32 64, v0
	s_cbranch_execz .LBB340_46
; %bb.41:
	s_and_saveexec_b32 s0, vcc_lo
	s_cbranch_execz .LBB340_43
; %bb.42:
	ds_load_b32 v5, v3
	s_wait_dscnt 0x0
	v_add_f32_e32 v2, v2, v5
.LBB340_43:
	s_wait_alu 0xfffe
	s_or_b32 exec_lo, exec_lo, s0
	s_and_saveexec_b32 s0, vcc_lo
	s_cbranch_execz .LBB340_45
; %bb.44:
	ds_load_b32 v5, v3 offset:64
	s_wait_dscnt 0x0
	v_add_f32_e32 v1, v1, v5
.LBB340_45:
	s_wait_alu 0xfffe
	s_or_b32 exec_lo, exec_lo, s0
.LBB340_46:
	s_wait_alu 0xfffe
	s_or_b32 exec_lo, exec_lo, s1
	v_and_b32_e32 v5, 0x3e1, v0
	s_mov_b32 s1, exec_lo
	s_wait_loadcnt 0x0
	s_barrier_signal -1
	s_barrier_wait -1
	global_inv scope:SCOPE_SE
	v_cmpx_eq_u32_e32 32, v5
; %bb.47:
	ds_store_2addr_b32 v4, v2, v1 offset1:16
; %bb.48:
	s_wait_alu 0xfffe
	s_or_b32 exec_lo, exec_lo, s1
	s_delay_alu instid0(SALU_CYCLE_1)
	s_mov_b32 s1, exec_lo
	s_wait_loadcnt_dscnt 0x0
	s_barrier_signal -1
	s_barrier_wait -1
	global_inv scope:SCOPE_SE
	v_cmpx_gt_u32_e32 32, v0
	s_cbranch_execz .LBB340_54
; %bb.49:
	s_and_saveexec_b32 s0, vcc_lo
	s_cbranch_execz .LBB340_51
; %bb.50:
	ds_load_b32 v0, v3
	s_wait_dscnt 0x0
	v_add_f32_e32 v2, v2, v0
.LBB340_51:
	s_wait_alu 0xfffe
	s_or_b32 exec_lo, exec_lo, s0
	s_and_saveexec_b32 s0, vcc_lo
	s_cbranch_execz .LBB340_53
; %bb.52:
	ds_load_b32 v0, v3 offset:64
	s_wait_dscnt 0x0
	v_add_f32_e32 v1, v1, v0
.LBB340_53:
	s_wait_alu 0xfffe
	s_or_b32 exec_lo, exec_lo, s0
.LBB340_54:
	s_wait_alu 0xfffe
	s_or_b32 exec_lo, exec_lo, s1
	s_mov_b32 s1, 0
	s_wait_loadcnt 0x0
	s_barrier_signal -1
	s_barrier_wait -1
	global_inv scope:SCOPE_SE
	s_mov_b32 s0, exec_lo
	v_cmpx_eq_u32_e32 0, v5
	s_cbranch_execz .LBB340_56
; %bb.55:
	v_bfe_u32 v0, v2, 16, 1
	v_bfe_u32 v3, v1, 16, 1
	v_or_b32_e32 v4, 0x400000, v2
	v_cmp_u_f32_e32 vcc_lo, v2, v2
	s_lshl_b32 s2, s14, 5
	v_add3_u32 v0, v0, v2, 0x7fff
	s_mul_i32 s6, s17, s16
	s_wait_alu 0xfffe
	s_ashr_i32 s3, s2, 31
	v_add3_u32 v3, v3, v1, 0x7fff
	v_or_b32_e32 v5, 0x400000, v1
	s_wait_alu 0xfffd
	v_cndmask_b32_e32 v0, v0, v4, vcc_lo
	v_cmp_u_f32_e32 vcc_lo, v1, v1
	s_wait_alu 0xfffe
	s_lshl_b64 s[2:3], s[2:3], 1
	s_ashr_i32 s7, s6, 31
	s_wait_kmcnt 0x0
	s_wait_alu 0xfffe
	s_add_nc_u64 s[2:3], s[4:5], s[2:3]
	s_lshl_b64 s[4:5], s[6:7], 1
	v_lshlrev_b32_e32 v2, 1, v15
	s_wait_alu 0xfffe
	s_add_nc_u64 s[2:3], s[2:3], s[4:5]
	s_lshl_b32 s0, s12, 1
	s_wait_alu 0xfffd
	v_cndmask_b32_e32 v1, v3, v5, vcc_lo
	s_wait_alu 0xfffe
	s_add_nc_u64 s[0:1], s[2:3], s[0:1]
	s_clause 0x1
	global_store_d16_hi_b16 v2, v0, s[0:1]
	global_store_d16_hi_b16 v2, v1, s[0:1] offset:32
.LBB340_56:
	s_endpgm
	.section	.rodata,"a",@progbits
	.p2align	6, 0x0
	.amdhsa_kernel _ZN4vllm25paged_attention_v2_kernelI14__hip_bfloat16hLi32ELi16ELi128ELNS_18Fp8KVCacheDataTypeE1ELb0ELi512EEEvPfS3_PT_PKS4_PKT0_SA_ifPKiSC_iPKfiiiSE_SE_iiiii
		.amdhsa_group_segment_fixed_size 96
		.amdhsa_private_segment_fixed_size 0
		.amdhsa_kernarg_size 400
		.amdhsa_user_sgpr_count 2
		.amdhsa_user_sgpr_dispatch_ptr 0
		.amdhsa_user_sgpr_queue_ptr 0
		.amdhsa_user_sgpr_kernarg_segment_ptr 1
		.amdhsa_user_sgpr_dispatch_id 0
		.amdhsa_user_sgpr_private_segment_size 0
		.amdhsa_wavefront_size32 1
		.amdhsa_uses_dynamic_stack 0
		.amdhsa_enable_private_segment 0
		.amdhsa_system_sgpr_workgroup_id_x 1
		.amdhsa_system_sgpr_workgroup_id_y 1
		.amdhsa_system_sgpr_workgroup_id_z 1
		.amdhsa_system_sgpr_workgroup_info 0
		.amdhsa_system_vgpr_workitem_id 0
		.amdhsa_next_free_vgpr 83
		.amdhsa_next_free_sgpr 38
		.amdhsa_reserve_vcc 1
		.amdhsa_float_round_mode_32 0
		.amdhsa_float_round_mode_16_64 0
		.amdhsa_float_denorm_mode_32 3
		.amdhsa_float_denorm_mode_16_64 3
		.amdhsa_fp16_overflow 0
		.amdhsa_workgroup_processor_mode 1
		.amdhsa_memory_ordered 1
		.amdhsa_forward_progress 1
		.amdhsa_inst_pref_size 60
		.amdhsa_round_robin_scheduling 0
		.amdhsa_exception_fp_ieee_invalid_op 0
		.amdhsa_exception_fp_denorm_src 0
		.amdhsa_exception_fp_ieee_div_zero 0
		.amdhsa_exception_fp_ieee_overflow 0
		.amdhsa_exception_fp_ieee_underflow 0
		.amdhsa_exception_fp_ieee_inexact 0
		.amdhsa_exception_int_div_zero 0
	.end_amdhsa_kernel
	.section	.text._ZN4vllm25paged_attention_v2_kernelI14__hip_bfloat16hLi32ELi16ELi128ELNS_18Fp8KVCacheDataTypeE1ELb0ELi512EEEvPfS3_PT_PKS4_PKT0_SA_ifPKiSC_iPKfiiiSE_SE_iiiii,"axG",@progbits,_ZN4vllm25paged_attention_v2_kernelI14__hip_bfloat16hLi32ELi16ELi128ELNS_18Fp8KVCacheDataTypeE1ELb0ELi512EEEvPfS3_PT_PKS4_PKT0_SA_ifPKiSC_iPKfiiiSE_SE_iiiii,comdat
.Lfunc_end340:
	.size	_ZN4vllm25paged_attention_v2_kernelI14__hip_bfloat16hLi32ELi16ELi128ELNS_18Fp8KVCacheDataTypeE1ELb0ELi512EEEvPfS3_PT_PKS4_PKT0_SA_ifPKiSC_iPKfiiiSE_SE_iiiii, .Lfunc_end340-_ZN4vllm25paged_attention_v2_kernelI14__hip_bfloat16hLi32ELi16ELi128ELNS_18Fp8KVCacheDataTypeE1ELb0ELi512EEEvPfS3_PT_PKS4_PKT0_SA_ifPKiSC_iPKfiiiSE_SE_iiiii
                                        ; -- End function
	.set _ZN4vllm25paged_attention_v2_kernelI14__hip_bfloat16hLi32ELi16ELi128ELNS_18Fp8KVCacheDataTypeE1ELb0ELi512EEEvPfS3_PT_PKS4_PKT0_SA_ifPKiSC_iPKfiiiSE_SE_iiiii.num_vgpr, 83
	.set _ZN4vllm25paged_attention_v2_kernelI14__hip_bfloat16hLi32ELi16ELi128ELNS_18Fp8KVCacheDataTypeE1ELb0ELi512EEEvPfS3_PT_PKS4_PKT0_SA_ifPKiSC_iPKfiiiSE_SE_iiiii.num_agpr, 0
	.set _ZN4vllm25paged_attention_v2_kernelI14__hip_bfloat16hLi32ELi16ELi128ELNS_18Fp8KVCacheDataTypeE1ELb0ELi512EEEvPfS3_PT_PKS4_PKT0_SA_ifPKiSC_iPKfiiiSE_SE_iiiii.numbered_sgpr, 38
	.set _ZN4vllm25paged_attention_v2_kernelI14__hip_bfloat16hLi32ELi16ELi128ELNS_18Fp8KVCacheDataTypeE1ELb0ELi512EEEvPfS3_PT_PKS4_PKT0_SA_ifPKiSC_iPKfiiiSE_SE_iiiii.num_named_barrier, 0
	.set _ZN4vllm25paged_attention_v2_kernelI14__hip_bfloat16hLi32ELi16ELi128ELNS_18Fp8KVCacheDataTypeE1ELb0ELi512EEEvPfS3_PT_PKS4_PKT0_SA_ifPKiSC_iPKfiiiSE_SE_iiiii.private_seg_size, 0
	.set _ZN4vllm25paged_attention_v2_kernelI14__hip_bfloat16hLi32ELi16ELi128ELNS_18Fp8KVCacheDataTypeE1ELb0ELi512EEEvPfS3_PT_PKS4_PKT0_SA_ifPKiSC_iPKfiiiSE_SE_iiiii.uses_vcc, 1
	.set _ZN4vllm25paged_attention_v2_kernelI14__hip_bfloat16hLi32ELi16ELi128ELNS_18Fp8KVCacheDataTypeE1ELb0ELi512EEEvPfS3_PT_PKS4_PKT0_SA_ifPKiSC_iPKfiiiSE_SE_iiiii.uses_flat_scratch, 0
	.set _ZN4vllm25paged_attention_v2_kernelI14__hip_bfloat16hLi32ELi16ELi128ELNS_18Fp8KVCacheDataTypeE1ELb0ELi512EEEvPfS3_PT_PKS4_PKT0_SA_ifPKiSC_iPKfiiiSE_SE_iiiii.has_dyn_sized_stack, 0
	.set _ZN4vllm25paged_attention_v2_kernelI14__hip_bfloat16hLi32ELi16ELi128ELNS_18Fp8KVCacheDataTypeE1ELb0ELi512EEEvPfS3_PT_PKS4_PKT0_SA_ifPKiSC_iPKfiiiSE_SE_iiiii.has_recursion, 0
	.set _ZN4vllm25paged_attention_v2_kernelI14__hip_bfloat16hLi32ELi16ELi128ELNS_18Fp8KVCacheDataTypeE1ELb0ELi512EEEvPfS3_PT_PKS4_PKT0_SA_ifPKiSC_iPKfiiiSE_SE_iiiii.has_indirect_call, 0
	.section	.AMDGPU.csdata,"",@progbits
; Kernel info:
; codeLenInByte = 7604
; TotalNumSgprs: 40
; NumVgprs: 83
; ScratchSize: 0
; MemoryBound: 0
; FloatMode: 240
; IeeeMode: 1
; LDSByteSize: 96 bytes/workgroup (compile time only)
; SGPRBlocks: 0
; VGPRBlocks: 10
; NumSGPRsForWavesPerEU: 40
; NumVGPRsForWavesPerEU: 83
; Occupancy: 16
; WaveLimiterHint : 1
; COMPUTE_PGM_RSRC2:SCRATCH_EN: 0
; COMPUTE_PGM_RSRC2:USER_SGPR: 2
; COMPUTE_PGM_RSRC2:TRAP_HANDLER: 0
; COMPUTE_PGM_RSRC2:TGID_X_EN: 1
; COMPUTE_PGM_RSRC2:TGID_Y_EN: 1
; COMPUTE_PGM_RSRC2:TGID_Z_EN: 1
; COMPUTE_PGM_RSRC2:TIDIG_COMP_CNT: 0
	.section	.text._ZN4vllm25paged_attention_v2_kernelI14__hip_bfloat16hLi64ELi16ELi128ELNS_18Fp8KVCacheDataTypeE1ELb0ELi512EEEvPfS3_PT_PKS4_PKT0_SA_ifPKiSC_iPKfiiiSE_SE_iiiii,"axG",@progbits,_ZN4vllm25paged_attention_v2_kernelI14__hip_bfloat16hLi64ELi16ELi128ELNS_18Fp8KVCacheDataTypeE1ELb0ELi512EEEvPfS3_PT_PKS4_PKT0_SA_ifPKiSC_iPKfiiiSE_SE_iiiii,comdat
	.protected	_ZN4vllm25paged_attention_v2_kernelI14__hip_bfloat16hLi64ELi16ELi128ELNS_18Fp8KVCacheDataTypeE1ELb0ELi512EEEvPfS3_PT_PKS4_PKT0_SA_ifPKiSC_iPKfiiiSE_SE_iiiii ; -- Begin function _ZN4vllm25paged_attention_v2_kernelI14__hip_bfloat16hLi64ELi16ELi128ELNS_18Fp8KVCacheDataTypeE1ELb0ELi512EEEvPfS3_PT_PKS4_PKT0_SA_ifPKiSC_iPKfiiiSE_SE_iiiii
	.globl	_ZN4vllm25paged_attention_v2_kernelI14__hip_bfloat16hLi64ELi16ELi128ELNS_18Fp8KVCacheDataTypeE1ELb0ELi512EEEvPfS3_PT_PKS4_PKT0_SA_ifPKiSC_iPKfiiiSE_SE_iiiii
	.p2align	8
	.type	_ZN4vllm25paged_attention_v2_kernelI14__hip_bfloat16hLi64ELi16ELi128ELNS_18Fp8KVCacheDataTypeE1ELb0ELi512EEEvPfS3_PT_PKS4_PKT0_SA_ifPKiSC_iPKfiiiSE_SE_iiiii,@function
_ZN4vllm25paged_attention_v2_kernelI14__hip_bfloat16hLi64ELi16ELi128ELNS_18Fp8KVCacheDataTypeE1ELb0ELi512EEEvPfS3_PT_PKS4_PKT0_SA_ifPKiSC_iPKfiiiSE_SE_iiiii: ; @_ZN4vllm25paged_attention_v2_kernelI14__hip_bfloat16hLi64ELi16ELi128ELNS_18Fp8KVCacheDataTypeE1ELb0ELi512EEEvPfS3_PT_PKS4_PKT0_SA_ifPKiSC_iPKfiiiSE_SE_iiiii
; %bb.0:
	s_load_b64 s[2:3], s[0:1], 0x40
	s_and_b32 s31, ttmp7, 0xffff
	s_lshr_b32 s28, ttmp7, 16
	s_lshl_b32 s4, s31, 2
	s_lshl_b32 s30, s28, 9
	s_wait_kmcnt 0x0
	s_load_b32 s29, s[2:3], s4 offset:0x0
	s_wait_kmcnt 0x0
	s_cmp_ge_i32 s30, s29
	s_cbranch_scc1 .LBB341_62
; %bb.1:
	s_clause 0x1
	s_load_b32 s33, s[0:1], 0x90
	s_load_b64 s[26:27], s[0:1], 0x30
	s_wait_kmcnt 0x0
	s_abs_i32 s5, s33
	s_abs_i32 s2, s26
	s_delay_alu instid0(SALU_CYCLE_1) | instskip(SKIP_1) | instid1(SALU_CYCLE_2)
	s_cvt_f32_u32 s3, s2
	s_sub_co_i32 s4, 0, s2
	v_rcp_iflag_f32_e32 v1, s3
	s_delay_alu instid0(TRANS32_DEP_1) | instskip(SKIP_2) | instid1(SALU_CYCLE_2)
	v_readfirstlane_b32 s3, v1
	s_mul_f32 s3, s3, 0x4f7ffffe
	s_wait_alu 0xfffe
	s_cvt_u32_f32 s3, s3
	s_wait_alu 0xfffe
	s_delay_alu instid0(SALU_CYCLE_2) | instskip(NEXT) | instid1(SALU_CYCLE_1)
	s_mul_i32 s4, s4, s3
	s_mul_hi_u32 s4, s3, s4
	s_delay_alu instid0(SALU_CYCLE_1)
	s_add_co_i32 s3, s3, s4
	s_xor_b32 s4, s33, s26
	s_wait_alu 0xfffe
	s_mul_hi_u32 s3, s5, s3
	s_ashr_i32 s4, s4, 31
	s_wait_alu 0xfffe
	s_mul_i32 s6, s3, s2
	s_delay_alu instid0(SALU_CYCLE_1)
	s_sub_co_i32 s5, s5, s6
	s_add_co_i32 s6, s3, 1
	s_sub_co_i32 s7, s5, s2
	s_cmp_ge_u32 s5, s2
	s_cselect_b32 s3, s6, s3
	s_cselect_b32 s5, s7, s5
	s_wait_alu 0xfffe
	s_add_co_i32 s6, s3, 1
	s_cmp_ge_u32 s5, s2
	s_cselect_b32 s2, s6, s3
	s_load_b64 s[6:7], s[0:1], 0x50
	s_xor_b32 s2, s2, s4
	s_mov_b32 s3, 0
	s_wait_alu 0xfffe
	s_sub_co_i32 s9, s2, s4
	s_mov_b32 s35, s3
	s_abs_i32 s8, s9
	s_delay_alu instid0(SALU_CYCLE_1) | instskip(SKIP_1) | instid1(SALU_CYCLE_2)
	s_cvt_f32_u32 s2, s8
	s_wait_alu 0xfffe
	v_rcp_iflag_f32_e32 v1, s2
	s_delay_alu instid0(TRANS32_DEP_1) | instskip(SKIP_2) | instid1(SALU_CYCLE_2)
	v_readfirstlane_b32 s2, v1
	s_mul_f32 s2, s2, 0x4f7ffffe
	s_wait_alu 0xfffe
	s_cvt_u32_f32 s4, s2
	s_sub_co_i32 s2, 0, s8
	s_wait_alu 0xfffe
	s_delay_alu instid0(SALU_CYCLE_1)
	s_mul_i32 s2, s2, s4
	s_wait_alu 0xfffe
	s_mul_hi_u32 s5, s4, s2
	s_abs_i32 s2, ttmp9
	s_add_co_i32 s4, s4, s5
	s_mov_b32 s5, s3
	s_wait_kmcnt 0x0
	s_cmp_eq_u64 s[6:7], 0
	s_cbranch_scc1 .LBB341_3
; %bb.2:
	s_mov_b32 s10, ttmp9
	s_ashr_i32 s11, ttmp9, 31
	s_delay_alu instid0(SALU_CYCLE_1) | instskip(NEXT) | instid1(SALU_CYCLE_1)
	s_lshl_b64 s[10:11], s[10:11], 2
	s_add_nc_u64 s[6:7], s[6:7], s[10:11]
	s_load_b32 s35, s[6:7], 0x0
.LBB341_3:
	s_load_b96 s[16:18], s[0:1], 0x58
	v_lshrrev_b32_e32 v15, 1, v0
	v_and_b32_e32 v16, 1, v0
	v_lshlrev_b32_e32 v5, 3, v0
	s_mul_u64 s[4:5], s[2:3], s[4:5]
	s_ashr_i32 s3, ttmp9, 31
	s_ashr_i32 s4, s9, 31
	s_lshl_b32 s20, ttmp9, 6
	s_mov_b32 s6, exec_lo
	v_cmpx_gt_u32_e32 16, v0
	s_cbranch_execz .LBB341_5
; %bb.4:
	s_load_b64 s[10:11], s[0:1], 0x18
	s_wait_kmcnt 0x0
	s_mul_i32 s12, s16, s31
	s_ashr_i32 s21, s20, 31
	s_ashr_i32 s13, s12, 31
	v_lshlrev_b32_e32 v3, 3, v15
	s_lshl_b64 s[12:13], s[12:13], 1
	s_delay_alu instid0(VALU_DEP_1) | instskip(SKIP_2) | instid1(SALU_CYCLE_1)
	v_lshl_add_u32 v3, v16, 6, v3
	s_add_nc_u64 s[10:11], s[10:11], s[12:13]
	s_lshl_b64 s[12:13], s[20:21], 1
	s_add_nc_u64 s[10:11], s[10:11], s[12:13]
	global_load_b64 v[1:2], v5, s[10:11]
	s_wait_loadcnt 0x0
	ds_store_b64 v3, v[1:2]
.LBB341_5:
	s_or_b32 exec_lo, exec_lo, s6
	s_add_co_i32 s6, s29, 15
	s_wait_alu 0xfffe
	s_xor_b32 s3, s3, s4
	s_ashr_i32 s7, s6, 31
	s_lshl_b32 s34, s28, 5
	s_lshr_b32 s4, s7, 28
	s_mul_i32 s7, s5, s8
	s_add_co_i32 s6, s6, s4
	s_add_co_i32 s4, s34, 32
	s_ashr_i32 s26, s6, 4
	s_load_b32 s6, s[0:1], 0x48
	s_sub_co_i32 s2, s2, s7
	s_min_i32 s21, s4, s26
	s_add_co_i32 s4, s5, 1
	s_wait_alu 0xfffe
	s_sub_co_i32 s7, s2, s8
	s_cmp_ge_u32 s2, s8
	v_lshrrev_b32_e32 v17, 5, v0
	s_cselect_b32 s4, s4, s5
	s_cselect_b32 s2, s7, s2
	s_add_co_i32 s5, s4, 1
	s_wait_alu 0xfffe
	s_cmp_ge_u32 s2, s8
	v_or_b32_e32 v18, s34, v17
	s_cselect_b32 s2, s5, s4
	v_mbcnt_lo_u32_b32 v7, -1, 0
	s_wait_alu 0xfffe
	s_xor_b32 s2, s2, s3
	s_mov_b32 s4, exec_lo
	s_wait_alu 0xfffe
	s_sub_co_i32 s3, s2, s3
	v_cmp_gt_i32_e64 s2, s21, v18
	s_wait_dscnt 0x0
	s_barrier_signal -1
	s_wait_kmcnt 0x0
	s_mul_i32 s22, s6, s31
	s_barrier_wait -1
	s_ashr_i32 s23, s22, 31
	global_inv scope:SCOPE_SE
                                        ; implicit-def: $vgpr8
                                        ; implicit-def: $vgpr9
	v_cmpx_le_i32_e64 s21, v18
	s_xor_b32 s4, exec_lo, s4
; %bb.6:
	v_dual_mov_b32 v8, 0 :: v_dual_mov_b32 v9, 32
	v_mbcnt_lo_u32_b32 v7, -1, 0
; %bb.7:
	s_or_saveexec_b32 s36, s4
	s_clause 0x2
	s_load_b32 s16, s[0:1], 0x98
	s_load_b64 s[24:25], s[0:1], 0x38
	s_load_b128 s[12:15], s[0:1], 0x68
	v_dual_mov_b32 v41, 0xff7fffff :: v_dual_lshlrev_b32 v6, 2, v18
	s_mul_i32 s18, s3, s18
	s_xor_b32 exec_lo, exec_lo, s36
	s_cbranch_execz .LBB341_13
; %bb.8:
	v_dual_mov_b32 v8, 0 :: v_dual_lshlrev_b32 v9, 6, v16
	s_load_b64 s[4:5], s[0:1], 0x20
	v_bfe_u32 v41, v0, 1, 4
	s_ashr_i32 s19, s18, 31
	ds_load_b128 v[1:4], v9
	ds_load_b128 v[26:29], v9 offset:16
	ds_load_b128 v[34:37], v9 offset:32
	;; [unrolled: 1-line block ×3, first 2 shown]
	v_dual_mov_b32 v9, 32 :: v_dual_lshlrev_b32 v10, 4, v41
	s_wait_kmcnt 0x0
	s_load_b32 s13, s[12:13], 0x0
	s_cmp_neq_f32 s35, 0
	s_mov_b32 s37, s17
	s_add_nc_u64 s[4:5], s[4:5], s[18:19]
	s_mov_b32 s19, 0
	v_add_co_u32 v49, s3, s4, v10
	s_wait_dscnt 0x3
	v_lshlrev_b32_e32 v10, 16, v1
	v_and_b32_e32 v11, 0xffff0000, v1
	v_xor_b32_e32 v1, 1, v7
	s_wait_alu 0xf1ff
	v_add_co_ci_u32_e64 v50, null, s5, 0, s3
	v_lshlrev_b32_e32 v20, 16, v4
	v_and_b32_e32 v21, 0xffff0000, v4
	v_cmp_gt_i32_e32 vcc_lo, 32, v1
	v_lshlrev_b32_e32 v48, 2, v16
	v_lshlrev_b32_e32 v14, 16, v3
	v_and_b32_e32 v19, 0xffff0000, v3
	v_lshlrev_b32_e32 v3, 4, v17
	v_dual_cndmask_b32 v1, v7, v1 :: v_dual_lshlrev_b32 v12, 16, v2
	v_and_b32_e32 v13, 0xffff0000, v2
	s_cselect_b32 s3, -1, 0
	s_wait_dscnt 0x2
	v_lshlrev_b32_e32 v22, 16, v26
	v_lshlrev_b32_e32 v47, 2, v1
	;; [unrolled: 1-line block ×3, first 2 shown]
	v_and_b32_e32 v23, 0xffff0000, v26
	v_lshlrev_b32_e32 v24, 16, v27
	v_and_b32_e32 v25, 0xffff0000, v27
	v_lshlrev_b32_e32 v26, 16, v28
	v_lshl_or_b32 v4, v17, 6, v1
	v_add_co_u32 v1, s4, v49, v48
	s_wait_alu 0xf1ff
	v_add_co_ci_u32_e64 v2, null, 0, v50, s4
	s_lshl_b64 s[4:5], s[22:23], 2
	v_add3_u32 v48, s30, v3, v41
	s_wait_alu 0xfffe
	s_add_nc_u64 s[4:5], s[24:25], s[4:5]
	v_and_b32_e32 v27, 0xffff0000, v28
	s_wait_alu 0xfffe
	v_add_co_u32 v3, s4, s4, v6
	v_lshlrev_b32_e32 v28, 16, v29
	v_and_b32_e32 v29, 0xffff0000, v29
	s_wait_dscnt 0x1
	v_lshlrev_b32_e32 v30, 16, v34
	v_and_b32_e32 v31, 0xffff0000, v34
	v_lshlrev_b32_e32 v32, 16, v35
	v_and_b32_e32 v33, 0xffff0000, v35
	;; [unrolled: 2-line block ×4, first 2 shown]
	s_wait_dscnt 0x0
	v_lshlrev_b32_e32 v38, 16, v43
	v_and_b32_e32 v39, 0xffff0000, v43
	v_lshlrev_b32_e32 v40, 16, v44
	v_and_b32_e32 v42, 0xffff0000, v44
	;; [unrolled: 2-line block ×4, first 2 shown]
	v_add_nc_u32_e32 v49, 0xa0, v4
	s_wait_alu 0xf1ff
	v_add_co_ci_u32_e64 v4, null, s5, 0, s4
	v_dual_mov_b32 v41, 0xff7fffff :: v_dual_mov_b32 v50, v18
	s_sub_co_i32 s38, 1, s29
	v_cmp_eq_u32_e32 vcc_lo, 0, v16
	s_branch .LBB341_10
.LBB341_9:                              ;   in Loop: Header=BB341_10 Depth=1
	s_wait_alu 0xfffe
	s_or_b32 exec_lo, exec_lo, s5
	v_add_nc_u32_e32 v50, 4, v50
	v_add_co_u32 v3, s5, v3, 16
	v_add_nc_u32_e32 v48, 64, v48
	v_add_nc_u32_e32 v49, 0x100, v49
	s_delay_alu instid0(VALU_DEP_4) | instskip(SKIP_3) | instid1(SALU_CYCLE_1)
	v_cmp_le_i32_e64 s4, s21, v50
	s_wait_alu 0xf1ff
	v_add_co_ci_u32_e64 v4, null, 0, v4, s5
	s_or_b32 s19, s4, s19
	s_and_not1_b32 exec_lo, exec_lo, s19
	s_cbranch_execz .LBB341_12
.LBB341_10:                             ; =>This Inner Loop Header: Depth=1
	global_load_b32 v51, v[3:4], off
	s_wait_loadcnt_dscnt 0x0
	v_mad_co_i64_i32 v[51:52], null, v51, s37, v[1:2]
	s_clause 0x7
	global_load_b32 v53, v[51:52], off
	global_load_b32 v54, v[51:52], off offset:8
	global_load_b32 v55, v[51:52], off offset:256
	;; [unrolled: 1-line block ×7, first 2 shown]
	s_wait_loadcnt 0x7
	v_bfe_u32 v60, v53, 8, 8
	s_wait_loadcnt 0x6
	v_bfe_u32 v63, v54, 8, 8
	s_wait_loadcnt 0x5
	v_bfe_u32 v66, v55, 8, 8
	v_bfe_u32 v61, v53, 16, 8
	v_bfe_u32 v64, v54, 16, 8
	;; [unrolled: 1-line block ×3, first 2 shown]
	v_cvt_f32_fp8_e32 v63, v63
	v_and_b32_e32 v52, 0xff, v53
	v_cvt_f32_fp8_e32 v60, v60
	s_wait_loadcnt 0x3
	v_and_b32_e32 v71, 0xff, v57
	v_cvt_f32_fp8_e32 v66, v66
	s_wait_kmcnt 0x0
	v_mul_f32_e32 v63, s13, v63
	v_cvt_f32_fp8_e32 v52, v52
	v_and_b32_e32 v65, 0xff, v55
	v_lshrrev_b32_e32 v53, 24, v53
	v_lshrrev_b32_e32 v55, 24, v55
	v_cvt_f32_fp8_e32 v61, v61
	v_mul_f32_e32 v52, s13, v52
	v_and_b32_e32 v62, 0xff, v54
	v_lshrrev_b32_e32 v54, 24, v54
	v_cvt_f32_fp8_e32 v64, v64
	v_cvt_f32_fp8_e32 v67, v67
	v_mul_f32_e32 v60, s13, v60
	v_cvt_f32_fp8_e32 v71, v71
	v_mul_f32_e32 v66, s13, v66
	v_bfe_u32 v83, v52, 16, 1
	v_cvt_f32_fp8_e32 v53, v53
	v_and_b32_e32 v68, 0xff, v56
	v_cvt_f32_fp8_e32 v54, v54
	v_cvt_f32_fp8_e32 v55, v55
	v_dual_mul_f32 v64, s13, v64 :: v_dual_mul_f32 v67, s13, v67
	v_mul_f32_e32 v71, s13, v71
	v_or_b32_e32 v84, 0x400000, v52
	v_bfe_u32 v101, v66, 16, 1
	v_add3_u32 v83, v83, v52, 0x7fff
	v_cmp_u_f32_e64 s4, v52, v52
	v_bfe_u32 v69, v56, 8, 8
	v_bfe_u32 v73, v57, 16, 8
	v_mul_f32_e32 v53, s13, v53
	v_cvt_f32_fp8_e32 v68, v68
	v_dual_mul_f32 v54, s13, v54 :: v_dual_mul_f32 v55, s13, v55
	v_or_b32_e32 v102, 0x400000, v66
	v_bfe_u32 v103, v67, 16, 1
	s_wait_alu 0xf1ff
	v_cndmask_b32_e64 v83, v83, v84, s4
	v_add3_u32 v101, v101, v66, 0x7fff
	v_cmp_u_f32_e64 s4, v66, v66
	v_bfe_u32 v70, v56, 16, 8
	v_cvt_f32_fp8_e32 v69, v69
	v_cvt_f32_fp8_e32 v73, v73
	v_mul_f32_e32 v68, s13, v68
	v_or_b32_e32 v104, 0x400000, v67
	v_bfe_u32 v105, v55, 16, 1
	v_add3_u32 v103, v103, v67, 0x7fff
	s_wait_alu 0xf1ff
	v_cndmask_b32_e64 v66, v101, v102, s4
	v_cmp_u_f32_e64 s4, v67, v67
	v_lshrrev_b32_e32 v56, 24, v56
	v_bfe_u32 v72, v57, 8, 8
	v_lshrrev_b32_e32 v57, 24, v57
	s_wait_loadcnt 0x0
	v_dual_mul_f32 v69, s13, v69 :: v_dual_and_b32 v80, 0xff, v51
	v_cvt_f32_fp8_e32 v70, v70
	v_mul_f32_e32 v73, s13, v73
	v_or_b32_e32 v106, 0x400000, v55
	v_bfe_u32 v107, v68, 16, 1
	v_add3_u32 v105, v105, v55, 0x7fff
	s_wait_alu 0xf1ff
	v_cndmask_b32_e64 v67, v103, v104, s4
	v_cmp_u_f32_e64 s4, v55, v55
	v_bfe_u32 v75, v58, 8, 8
	v_cvt_f32_fp8_e32 v56, v56
	v_cvt_f32_fp8_e32 v57, v57
	v_mul_f32_e32 v70, s13, v70
	v_or_b32_e32 v108, 0x400000, v68
	v_bfe_u32 v109, v69, 16, 1
	v_add3_u32 v107, v107, v68, 0x7fff
	s_wait_alu 0xf1ff
	v_cndmask_b32_e64 v55, v105, v106, s4
	v_cmp_u_f32_e64 s4, v68, v68
	v_cvt_f32_fp8_e32 v75, v75
	v_dual_mul_f32 v56, s13, v56 :: v_dual_mul_f32 v57, s13, v57
	v_or_b32_e32 v110, 0x400000, v69
	v_bfe_u32 v111, v70, 16, 1
	v_add3_u32 v109, v109, v69, 0x7fff
	s_wait_alu 0xf1ff
	v_cndmask_b32_e64 v68, v107, v108, s4
	v_cmp_u_f32_e64 s4, v69, v69
	v_cvt_f32_fp8_e32 v72, v72
	v_mul_f32_e32 v61, s13, v61
	v_cvt_f32_fp8_e32 v62, v62
	v_and_b32_e32 v77, 0xff, v59
	v_mul_f32_e32 v75, s13, v75
	v_bfe_u32 v112, v56, 16, 1
	v_or_b32_e32 v113, 0x400000, v70
	v_add3_u32 v111, v111, v70, 0x7fff
	s_wait_alu 0xf1ff
	v_cndmask_b32_e64 v69, v109, v110, s4
	v_cmp_u_f32_e64 s4, v70, v70
	v_mul_f32_e32 v62, s13, v62
	v_cvt_f32_fp8_e32 v77, v77
	v_mul_f32_e32 v72, s13, v72
	v_bfe_u32 v114, v71, 16, 1
	v_or_b32_e32 v115, 0x400000, v56
	v_add3_u32 v112, v112, v56, 0x7fff
	s_wait_alu 0xf1ff
	v_cndmask_b32_e64 v70, v111, v113, s4
	v_cmp_u_f32_e64 s4, v56, v56
	v_cvt_f32_fp8_e32 v65, v65
	v_dual_mul_f32 v77, s13, v77 :: v_dual_and_b32 v74, 0xff, v58
	v_bfe_u32 v116, v72, 16, 1
	v_or_b32_e32 v117, 0x400000, v71
	v_add3_u32 v114, v114, v71, 0x7fff
	s_wait_alu 0xf1ff
	v_cndmask_b32_e64 v56, v112, v115, s4
	v_cmp_u_f32_e64 s4, v71, v71
	v_bfe_u32 v79, v59, 16, 8
	v_mul_f32_e32 v65, s13, v65
	v_cvt_f32_fp8_e32 v74, v74
	v_bfe_u32 v118, v73, 16, 1
	v_or_b32_e32 v119, 0x400000, v72
	v_add3_u32 v116, v116, v72, 0x7fff
	s_wait_alu 0xf1ff
	v_cndmask_b32_e64 v71, v114, v117, s4
	v_cmp_u_f32_e64 s4, v72, v72
	v_bfe_u32 v76, v58, 16, 8
	v_cvt_f32_fp8_e32 v79, v79
	v_mul_f32_e32 v74, s13, v74
	v_bfe_u32 v120, v57, 16, 1
	v_or_b32_e32 v121, 0x400000, v73
	v_add3_u32 v118, v118, v73, 0x7fff
	s_wait_alu 0xf1ff
	v_cndmask_b32_e64 v72, v116, v119, s4
	v_cmp_u_f32_e64 s4, v73, v73
	v_lshrrev_b32_e32 v58, 24, v58
	v_bfe_u32 v78, v59, 8, 8
	v_lshrrev_b32_e32 v59, 24, v59
	v_cvt_f32_fp8_e32 v76, v76
	v_mul_f32_e32 v79, s13, v79
	v_bfe_u32 v122, v74, 16, 1
	v_or_b32_e32 v123, 0x400000, v57
	v_add3_u32 v120, v120, v57, 0x7fff
	s_wait_alu 0xf1ff
	v_cndmask_b32_e64 v73, v118, v121, s4
	v_cmp_u_f32_e64 s4, v57, v57
	v_bfe_u32 v81, v51, 8, 8
	v_cvt_f32_fp8_e32 v58, v58
	v_cvt_f32_fp8_e32 v59, v59
	v_mul_f32_e32 v76, s13, v76
	v_bfe_u32 v124, v75, 16, 1
	v_or_b32_e32 v125, 0x400000, v74
	v_add3_u32 v122, v122, v74, 0x7fff
	s_wait_alu 0xf1ff
	v_cndmask_b32_e64 v57, v120, v123, s4
	v_cmp_u_f32_e64 s4, v74, v74
	v_cvt_f32_fp8_e32 v81, v81
	v_dual_mul_f32 v58, s13, v58 :: v_dual_mul_f32 v59, s13, v59
	v_bfe_u32 v126, v76, 16, 1
	v_or_b32_e32 v127, 0x400000, v75
	v_add3_u32 v124, v124, v75, 0x7fff
	s_wait_alu 0xf1ff
	v_cndmask_b32_e64 v74, v122, v125, s4
	v_cmp_u_f32_e64 s4, v75, v75
	v_bfe_u32 v82, v51, 16, 8
	v_lshrrev_b32_e32 v51, 24, v51
	v_cvt_f32_fp8_e32 v78, v78
	v_mul_f32_e32 v81, s13, v81
	v_bfe_u32 v85, v60, 16, 1
	v_bfe_u32 v128, v58, 16, 1
	v_or_b32_e32 v129, 0x400000, v76
	v_add3_u32 v126, v126, v76, 0x7fff
	s_wait_alu 0xf1ff
	v_cndmask_b32_e64 v75, v124, v127, s4
	v_cmp_u_f32_e64 s4, v76, v76
	v_cvt_f32_fp8_e32 v51, v51
	v_mul_f32_e32 v78, s13, v78
	v_or_b32_e32 v86, 0x400000, v60
	v_bfe_u32 v87, v61, 16, 1
	v_bfe_u32 v89, v53, 16, 1
	;; [unrolled: 1-line block ×3, first 2 shown]
	v_add3_u32 v85, v85, v60, 0x7fff
	v_cmp_u_f32_e64 s5, v60, v60
	v_or_b32_e32 v60, 0x400000, v58
	v_add3_u32 v128, v128, v58, 0x7fff
	s_wait_alu 0xf1ff
	v_cndmask_b32_e64 v76, v126, v129, s4
	v_cmp_u_f32_e64 s4, v58, v58
	v_mul_f32_e32 v51, s13, v51
	v_or_b32_e32 v88, 0x400000, v61
	v_or_b32_e32 v90, 0x400000, v53
	v_bfe_u32 v91, v62, 16, 1
	v_bfe_u32 v93, v63, 16, 1
	v_add3_u32 v87, v87, v61, 0x7fff
	v_cmp_u_f32_e64 s6, v61, v61
	v_bfe_u32 v61, v78, 16, 1
	v_add3_u32 v89, v89, v53, 0x7fff
	v_cmp_u_f32_e64 s7, v53, v53
	v_or_b32_e32 v53, 0x400000, v77
	v_add3_u32 v52, v52, v77, 0x7fff
	s_wait_alu 0xf1ff
	v_cndmask_b32_e64 v58, v128, v60, s4
	v_cmp_u_f32_e64 s4, v77, v77
	v_cvt_f32_fp8_e32 v80, v80
	v_or_b32_e32 v92, 0x400000, v62
	v_or_b32_e32 v94, 0x400000, v63
	v_bfe_u32 v95, v64, 16, 1
	v_bfe_u32 v97, v54, 16, 1
	v_add3_u32 v91, v91, v62, 0x7fff
	v_cmp_u_f32_e64 s8, v62, v62
	v_bfe_u32 v62, v79, 16, 1
	v_add3_u32 v93, v93, v63, 0x7fff
	v_cmp_u_f32_e64 s9, v63, v63
	v_or_b32_e32 v63, 0x400000, v78
	v_add3_u32 v61, v61, v78, 0x7fff
	s_wait_alu 0xf1ff
	v_cndmask_b32_e64 v52, v52, v53, s4
	v_cmp_u_f32_e64 s4, v78, v78
	v_mul_f32_e32 v80, s13, v80
	v_or_b32_e32 v96, 0x400000, v64
	v_or_b32_e32 v98, 0x400000, v54
	v_bfe_u32 v99, v65, 16, 1
	v_add3_u32 v95, v95, v64, 0x7fff
	v_cmp_u_f32_e64 s10, v64, v64
	v_bfe_u32 v64, v59, 16, 1
	v_add3_u32 v97, v97, v54, 0x7fff
	v_cmp_u_f32_e64 s11, v54, v54
	v_or_b32_e32 v54, 0x400000, v79
	v_add3_u32 v62, v62, v79, 0x7fff
	s_wait_alu 0xf1ff
	v_cndmask_b32_e64 v53, v61, v63, s4
	v_cmp_u_f32_e64 s4, v79, v79
	v_or_b32_e32 v100, 0x400000, v65
	v_add3_u32 v99, v99, v65, 0x7fff
	v_cmp_u_f32_e64 s12, v65, v65
	v_or_b32_e32 v84, 0x400000, v59
	v_add3_u32 v64, v64, v59, 0x7fff
	s_wait_alu 0xf1ff
	v_cndmask_b32_e64 v54, v62, v54, s4
	v_cmp_u_f32_e64 s4, v59, v59
	v_and_b32_e32 v63, 0xffff0000, v83
	v_bfe_u32 v65, v80, 16, 1
	v_cndmask_b32_e64 v85, v85, v86, s5
	v_bfe_u32 v86, v81, 16, 1
	v_cndmask_b32_e64 v87, v87, v88, s6
	v_or_b32_e32 v88, 0x400000, v80
	v_cndmask_b32_e64 v93, v93, v94, s9
	v_cndmask_b32_e64 v95, v95, v96, s10
	;; [unrolled: 1-line block ×3, first 2 shown]
	v_add3_u32 v65, v65, v80, 0x7fff
	s_wait_alu 0xf1ff
	v_cndmask_b32_e64 v59, v64, v84, s4
	v_cmp_u_f32_e64 s4, v80, v80
	v_cndmask_b32_e64 v91, v91, v92, s8
	v_or_b32_e32 v92, 0x400000, v81
	v_add3_u32 v86, v86, v81, 0x7fff
	v_cvt_f32_fp8_e32 v82, v82
	s_wait_alu 0xf1ff
	v_cndmask_b32_e64 v60, v65, v88, s4
	v_cmp_u_f32_e64 s4, v81, v81
	v_and_b32_e32 v81, 0xffff0000, v97
	v_and_b32_e32 v80, 0xffff0000, v95
	;; [unrolled: 1-line block ×3, first 2 shown]
	v_cndmask_b32_e64 v89, v89, v90, s7
	v_dual_mul_f32 v82, s13, v82 :: v_dual_and_b32 v65, 0xffff0000, v87
	s_delay_alu instid0(VALU_DEP_4) | instskip(NEXT) | instid1(VALU_DEP_4)
	v_mul_f32_e32 v80, v20, v80
	v_dual_mul_f32 v79, v19, v79 :: v_dual_and_b32 v64, 0xffff0000, v85
	v_and_b32_e32 v78, 0xffff0000, v91
	s_delay_alu instid0(VALU_DEP_4)
	v_bfe_u32 v90, v82, 16, 1
	v_cndmask_b32_e64 v99, v99, v100, s12
	v_or_b32_e32 v96, 0x400000, v82
	v_fmac_f32_e32 v79, v11, v64
	v_dual_mul_f32 v78, v14, v78 :: v_dual_and_b32 v77, 0xffff0000, v89
	v_add3_u32 v90, v90, v82, 0x7fff
	s_wait_alu 0xf1ff
	v_cndmask_b32_e64 v61, v86, v92, s4
	v_cmp_u_f32_e64 s4, v82, v82
	v_dual_fmac_f32 v80, v12, v65 :: v_dual_and_b32 v67, 0xffff0000, v67
	v_dual_fmac_f32 v78, v10, v63 :: v_dual_mul_f32 v63, v21, v81
	v_and_b32_e32 v66, 0xffff0000, v66
	s_delay_alu instid0(VALU_DEP_3) | instskip(SKIP_1) | instid1(VALU_DEP_4)
	v_dual_fmac_f32 v80, v24, v67 :: v_dual_and_b32 v69, 0xffff0000, v69
	v_bfe_u32 v94, v51, 16, 1
	v_dual_fmac_f32 v63, v13, v77 :: v_dual_and_b32 v82, 0xffff0000, v99
	s_delay_alu instid0(VALU_DEP_4) | instskip(SKIP_4) | instid1(VALU_DEP_4)
	v_fmac_f32_e32 v79, v23, v66
	v_and_b32_e32 v55, 0xffff0000, v55
	v_and_b32_e32 v68, 0xffff0000, v68
	v_or_b32_e32 v98, 0x400000, v51
	v_fmac_f32_e32 v78, v22, v82
	v_dual_fmac_f32 v63, v25, v55 :: v_dual_and_b32 v70, 0xffff0000, v70
	v_fmac_f32_e32 v79, v27, v69
	s_delay_alu instid0(VALU_DEP_3) | instskip(NEXT) | instid1(VALU_DEP_3)
	v_dual_fmac_f32 v78, v26, v68 :: v_dual_and_b32 v71, 0xffff0000, v71
	v_dual_fmac_f32 v80, v28, v70 :: v_dual_and_b32 v73, 0xffff0000, v73
	v_and_b32_e32 v57, 0xffff0000, v57
	v_and_b32_e32 v75, 0xffff0000, v75
	s_delay_alu instid0(VALU_DEP_4)
	v_fmac_f32_e32 v78, v30, v71
	v_and_b32_e32 v72, 0xffff0000, v72
	v_and_b32_e32 v74, 0xffff0000, v74
	v_fmac_f32_e32 v80, v32, v73
	v_add3_u32 v94, v94, v51, 0x7fff
	s_wait_alu 0xf1ff
	v_cndmask_b32_e64 v62, v90, v96, s4
	v_fmac_f32_e32 v79, v31, v72
	v_and_b32_e32 v56, 0xffff0000, v56
	v_dual_fmac_f32 v78, v34, v74 :: v_dual_and_b32 v53, 0xffff0000, v53
	v_cmp_u_f32_e64 s4, v51, v51
	s_delay_alu instid0(VALU_DEP_4) | instskip(NEXT) | instid1(VALU_DEP_4)
	v_dual_fmac_f32 v79, v35, v75 :: v_dual_and_b32 v58, 0xffff0000, v58
	v_fmac_f32_e32 v63, v29, v56
	v_and_b32_e32 v76, 0xffff0000, v76
	s_wait_alu 0xf1ff
	v_cndmask_b32_e64 v51, v94, v98, s4
	v_fmac_f32_e32 v79, v39, v53
	v_and_b32_e32 v59, 0xffff0000, v59
	v_dual_fmac_f32 v63, v33, v57 :: v_dual_and_b32 v52, 0xffff0000, v52
	s_delay_alu instid0(VALU_DEP_4) | instskip(NEXT) | instid1(VALU_DEP_2)
	v_dual_fmac_f32 v80, v36, v76 :: v_dual_and_b32 v51, 0xffff0000, v51
	v_dual_fmac_f32 v63, v37, v58 :: v_dual_and_b32 v56, 0xffff0000, v61
	s_delay_alu instid0(VALU_DEP_3) | instskip(NEXT) | instid1(VALU_DEP_2)
	v_fmac_f32_e32 v78, v38, v52
	v_dual_fmac_f32 v63, v42, v59 :: v_dual_and_b32 v54, 0xffff0000, v54
	s_delay_alu instid0(VALU_DEP_3) | instskip(SKIP_1) | instid1(VALU_DEP_3)
	v_fmac_f32_e32 v79, v44, v56
	v_and_b32_e32 v55, 0xffff0000, v60
	v_dual_fmac_f32 v63, v46, v51 :: v_dual_and_b32 v52, 0xffff0000, v62
	s_delay_alu instid0(VALU_DEP_4) | instskip(NEXT) | instid1(VALU_DEP_1)
	v_fmac_f32_e32 v80, v40, v54
	v_fmac_f32_e32 v80, v45, v52
	s_delay_alu instid0(VALU_DEP_4) | instskip(NEXT) | instid1(VALU_DEP_1)
	v_fmac_f32_e32 v78, v43, v55
	v_add_f32_e32 v52, v78, v79
	s_delay_alu instid0(VALU_DEP_1) | instskip(NEXT) | instid1(VALU_DEP_1)
	v_add_f32_e32 v51, v52, v80
	v_add_f32_e32 v51, v63, v51
	ds_bpermute_b32 v52, v47, v51
	s_and_saveexec_b32 s5, vcc_lo
	s_cbranch_execz .LBB341_9
; %bb.11:                               ;   in Loop: Header=BB341_10 Depth=1
	s_wait_dscnt 0x0
	v_add_f32_e32 v51, v51, v52
	v_add_nc_u32_e32 v53, s38, v48
	v_cmp_gt_i32_e64 s4, s29, v48
	s_delay_alu instid0(VALU_DEP_2) | instskip(NEXT) | instid1(VALU_DEP_1)
	v_cvt_f32_i32_e32 v53, v53
	v_mul_f32_e32 v53, s35, v53
	s_delay_alu instid0(VALU_DEP_1) | instskip(NEXT) | instid1(VALU_DEP_1)
	v_cndmask_b32_e64 v52, 0, v53, s3
	v_dual_max_num_f32 v53, v41, v41 :: v_dual_fmac_f32 v52, s27, v51
	s_delay_alu instid0(VALU_DEP_1) | instskip(SKIP_2) | instid1(VALU_DEP_2)
	v_max_num_f32_e32 v51, v53, v52
	s_wait_alu 0xf1ff
	v_cndmask_b32_e64 v52, 0, v52, s4
	v_cndmask_b32_e64 v41, v41, v51, s4
	ds_store_b32 v49, v52
	s_branch .LBB341_9
.LBB341_12:
	s_or_b32 exec_lo, exec_lo, s19
.LBB341_13:
	s_delay_alu instid0(SALU_CYCLE_1)
	s_or_b32 exec_lo, exec_lo, s36
	v_xor_b32_e32 v1, 16, v7
	v_xor_b32_e32 v2, 8, v7
	v_dual_max_num_f32 v4, v41, v41 :: v_dual_and_b32 v19, 31, v0
	s_clause 0x1
	s_load_b128 s[4:7], s[0:1], 0x0
	s_load_b64 s[8:9], s[0:1], 0x10
	s_wait_kmcnt 0x0
	s_load_b64 s[12:13], s[0:1], 0x28
	v_cmp_lt_i32_e32 vcc_lo, v1, v9
	v_lshlrev_b32_e32 v12, 2, v17
	s_wait_alu 0xfffd
	v_cndmask_b32_e32 v1, v7, v1, vcc_lo
	v_cmp_lt_i32_e32 vcc_lo, v2, v9
	s_wait_alu 0xfffd
	v_cndmask_b32_e32 v2, v7, v2, vcc_lo
	s_delay_alu instid0(VALU_DEP_1) | instskip(SKIP_4) | instid1(VALU_DEP_1)
	v_lshlrev_b32_e32 v10, 2, v2
	v_lshlrev_b32_e32 v3, 2, v1
	ds_bpermute_b32 v1, v3, v41
	s_wait_dscnt 0x0
	v_max_num_f32_e32 v1, v1, v1
	v_max_num_f32_e32 v1, v4, v1
	v_xor_b32_e32 v4, 4, v7
	ds_bpermute_b32 v2, v10, v1
	v_cmp_lt_i32_e32 vcc_lo, v4, v9
	s_wait_alu 0xfffd
	v_cndmask_b32_e32 v4, v7, v4, vcc_lo
	s_delay_alu instid0(VALU_DEP_1) | instskip(SKIP_1) | instid1(VALU_DEP_1)
	v_lshlrev_b32_e32 v11, 2, v4
	v_xor_b32_e32 v4, 2, v7
	v_cmp_lt_i32_e32 vcc_lo, v4, v9
	s_wait_dscnt 0x0
	v_max_num_f32_e32 v2, v2, v2
	s_wait_alu 0xfffd
	v_cndmask_b32_e32 v4, v7, v4, vcc_lo
	v_cmp_eq_u32_e32 vcc_lo, 0, v19
	s_delay_alu instid0(VALU_DEP_3) | instskip(SKIP_3) | instid1(VALU_DEP_1)
	v_max_num_f32_e32 v1, v1, v2
	ds_bpermute_b32 v2, v11, v1
	s_wait_dscnt 0x0
	v_max_num_f32_e32 v2, v2, v2
	v_dual_max_num_f32 v1, v1, v2 :: v_dual_lshlrev_b32 v2, 2, v4
	ds_bpermute_b32 v4, v2, v1
	s_and_saveexec_b32 s0, vcc_lo
	s_cbranch_execz .LBB341_15
; %bb.14:
	s_wait_dscnt 0x0
	v_dual_max_num_f32 v4, v4, v4 :: v_dual_max_num_f32 v1, v1, v1
	s_delay_alu instid0(VALU_DEP_1)
	v_max_num_f32_e32 v1, v1, v4
	ds_store_b32 v12, v1 offset:128
.LBB341_15:
	s_or_b32 exec_lo, exec_lo, s0
	v_cmp_gt_u32_e64 s0, 4, v19
	v_mov_b32_e32 v1, 0xff7fffff
	v_lshlrev_b32_e32 v13, 2, v19
	s_wait_loadcnt_dscnt 0x0
	s_barrier_signal -1
	s_barrier_wait -1
	global_inv scope:SCOPE_SE
	s_and_saveexec_b32 s1, s0
; %bb.16:
	ds_load_b32 v1, v13 offset:128
; %bb.17:
	s_or_b32 exec_lo, exec_lo, s1
	s_wait_dscnt 0x0
	ds_bpermute_b32 v4, v2, v1
	v_xor_b32_e32 v14, 1, v7
	v_max_num_f32_e32 v1, v1, v1
	s_delay_alu instid0(VALU_DEP_2) | instskip(NEXT) | instid1(VALU_DEP_1)
	v_cmp_lt_i32_e64 s1, v14, v9
	v_cndmask_b32_e64 v9, v7, v14, s1
	s_sub_co_i32 s1, s21, s34
	s_wait_alu 0xfffe
	s_lshl_b32 s1, s1, 4
	s_wait_alu 0xfffe
	s_add_co_i32 s1, s1, s30
	s_wait_alu 0xfffe
	s_min_i32 s1, s1, s29
	s_wait_alu 0xfffe
	s_sub_co_i32 s10, s1, s30
	s_wait_dscnt 0x0
	v_max_num_f32_e32 v4, v4, v4
	v_lshlrev_b32_e32 v20, 2, v9
	s_wait_alu 0xfffe
	v_cmp_gt_i32_e64 s1, s10, v0
	s_delay_alu instid0(VALU_DEP_3) | instskip(SKIP_3) | instid1(VALU_DEP_1)
	v_max_num_f32_e32 v1, v1, v4
	ds_bpermute_b32 v4, v20, v1
	s_wait_dscnt 0x0
	v_max_num_f32_e32 v4, v4, v4
	v_max_num_f32_e32 v1, v1, v4
	v_lshlrev_b32_e32 v4, 2, v8
	v_mov_b32_e32 v8, 0
	ds_bpermute_b32 v1, v4, v1
	v_lshl_add_u32 v4, v0, 2, 0xa0
	s_and_saveexec_b32 s11, s1
	s_cbranch_execz .LBB341_21
; %bb.18:
	v_lshl_add_u32 v9, v0, 2, 0xa0
	v_mov_b32_e32 v8, 0
	v_mov_b32_e32 v14, v0
	s_mov_b32 s19, 0
.LBB341_19:                             ; =>This Inner Loop Header: Depth=1
	ds_load_b32 v21, v9
	v_add_nc_u32_e32 v14, 0x80, v14
	s_delay_alu instid0(VALU_DEP_1) | instskip(SKIP_3) | instid1(VALU_DEP_1)
	v_cmp_le_i32_e64 s3, s10, v14
	s_or_b32 s19, s3, s19
	s_wait_dscnt 0x0
	v_sub_f32_e32 v21, v21, v1
	v_mul_f32_e32 v21, 0x3fb8aa3b, v21
	s_delay_alu instid0(VALU_DEP_1)
	v_exp_f32_e32 v21, v21
	ds_store_b32 v9, v21
	v_add_f32_e32 v8, v8, v21
	v_add_nc_u32_e32 v9, 0x200, v9
	s_and_not1_b32 exec_lo, exec_lo, s19
	s_cbranch_execnz .LBB341_19
; %bb.20:
	s_or_b32 exec_lo, exec_lo, s19
.LBB341_21:
	s_wait_alu 0xfffe
	s_or_b32 exec_lo, exec_lo, s11
	ds_bpermute_b32 v3, v3, v8
	s_wait_dscnt 0x0
	v_add_f32_e32 v3, v8, v3
	ds_bpermute_b32 v8, v10, v3
	s_wait_dscnt 0x0
	v_add_f32_e32 v3, v3, v8
	;; [unrolled: 3-line block ×5, first 2 shown]
	s_and_saveexec_b32 s3, vcc_lo
; %bb.22:
	ds_store_b32 v12, v3 offset:144
; %bb.23:
	s_wait_alu 0xfffe
	s_or_b32 exec_lo, exec_lo, s3
	s_wait_loadcnt_dscnt 0x0
	s_barrier_signal -1
	s_barrier_wait -1
	global_inv scope:SCOPE_SE
	s_and_saveexec_b32 s3, s0
; %bb.24:
	ds_load_b32 v3, v13 offset:144
; %bb.25:
	s_wait_alu 0xfffe
	s_or_b32 exec_lo, exec_lo, s3
	s_wait_dscnt 0x0
	ds_bpermute_b32 v2, v2, v3
	s_wait_dscnt 0x0
	v_dual_add_f32 v2, v3, v2 :: v_dual_lshlrev_b32 v7, 2, v7
	ds_bpermute_b32 v3, v20, v2
	s_wait_dscnt 0x0
	v_add_f32_e32 v2, v2, v3
	v_and_b32_e32 v3, 0xffffff80, v7
	ds_bpermute_b32 v2, v3, v2
	s_and_saveexec_b32 s0, s1
	s_cbranch_execz .LBB341_28
; %bb.26:
	s_wait_dscnt 0x0
	v_add_f32_e32 v3, 0x358637bd, v2
	s_mov_b32 s1, 0
	s_delay_alu instid0(VALU_DEP_1) | instskip(NEXT) | instid1(VALU_DEP_1)
	v_div_scale_f32 v7, null, v3, v3, 1.0
	v_rcp_f32_e32 v8, v7
	s_delay_alu instid0(TRANS32_DEP_1) | instskip(NEXT) | instid1(VALU_DEP_1)
	v_fma_f32 v9, -v7, v8, 1.0
	v_fmac_f32_e32 v8, v9, v8
	v_div_scale_f32 v10, vcc_lo, 1.0, v3, 1.0
	s_delay_alu instid0(VALU_DEP_1) | instskip(NEXT) | instid1(VALU_DEP_1)
	v_mul_f32_e32 v9, v10, v8
	v_fma_f32 v11, -v7, v9, v10
	s_delay_alu instid0(VALU_DEP_1) | instskip(NEXT) | instid1(VALU_DEP_1)
	v_fmac_f32_e32 v9, v11, v8
	v_fma_f32 v7, -v7, v9, v10
	s_wait_alu 0xfffd
	s_delay_alu instid0(VALU_DEP_1) | instskip(NEXT) | instid1(VALU_DEP_1)
	v_div_fmas_f32 v7, v7, v8, v9
	v_div_fixup_f32 v3, v7, v3, 1.0
	v_mov_b32_e32 v7, v0
.LBB341_27:                             ; =>This Inner Loop Header: Depth=1
	ds_load_b32 v8, v4
	s_wait_dscnt 0x0
	v_dual_mul_f32 v8, v3, v8 :: v_dual_add_nc_u32 v7, 0x80, v7
	s_delay_alu instid0(VALU_DEP_1)
	v_cmp_le_i32_e32 vcc_lo, s10, v7
	ds_store_b32 v4, v8
	v_add_nc_u32_e32 v4, 0x200, v4
	s_wait_alu 0xfffe
	s_or_b32 s1, vcc_lo, s1
	s_wait_alu 0xfffe
	s_and_not1_b32 exec_lo, exec_lo, s1
	s_cbranch_execnz .LBB341_27
.LBB341_28:
	s_wait_alu 0xfffe
	s_or_b32 exec_lo, exec_lo, s0
	s_mul_i32 s0, s16, s31
	s_wait_loadcnt_dscnt 0x0
	s_wait_alu 0xfffe
	s_mul_i32 s10, s0, s33
	s_mov_b32 s0, exec_lo
	s_barrier_signal -1
	s_barrier_wait -1
	global_inv scope:SCOPE_SE
	v_cmpx_eq_u32_e32 0, v0
	s_cbranch_execz .LBB341_30
; %bb.29:
	s_wait_alu 0xfffe
	s_ashr_i32 s11, s10, 31
	s_mul_i32 s34, s16, ttmp9
	s_lshl_b32 s1, s28, 2
	s_wait_alu 0xfffe
	s_lshl_b64 s[36:37], s[10:11], 2
	s_ashr_i32 s35, s34, 31
	v_mov_b32_e32 v3, s1
	s_wait_alu 0xfffe
	s_add_nc_u64 s[6:7], s[6:7], s[36:37]
	s_lshl_b64 s[34:35], s[34:35], 2
	s_add_nc_u64 s[4:5], s[4:5], s[36:37]
	s_wait_alu 0xfffe
	s_add_nc_u64 s[6:7], s[6:7], s[34:35]
	s_add_nc_u64 s[4:5], s[4:5], s[34:35]
	s_clause 0x1
	global_store_b32 v3, v1, s[6:7]
	global_store_b32 v3, v2, s[4:5]
.LBB341_30:
	s_wait_alu 0xfffe
	s_or_b32 exec_lo, exec_lo, s0
	v_dual_mov_b32 v23, 0 :: v_dual_mov_b32 v24, 0
	v_dual_mov_b32 v22, 0 :: v_dual_mov_b32 v21, 0
	s_and_saveexec_b32 s1, s2
	s_cbranch_execz .LBB341_42
; %bb.31:
	s_load_b32 s2, s[14:15], 0x0
	v_dual_mov_b32 v24, 0 :: v_dual_and_b32 v3, 0xf8, v5
	s_ashr_i32 s19, s18, 31
	v_dual_mov_b32 v21, 0 :: v_dual_lshlrev_b32 v2, 5, v16
	s_wait_kmcnt 0x0
	s_add_nc_u64 s[4:5], s[12:13], s[18:19]
	v_dual_mov_b32 v22, 0 :: v_dual_and_b32 v1, 8, v5
	s_wait_alu 0xfffe
	v_add_co_u32 v9, s0, s4, v3
	s_wait_alu 0xf1ff
	v_add_co_ci_u32_e64 v10, null, s5, 0, s0
	s_lshl_b64 s[4:5], s[22:23], 2
	v_lshl_add_u32 v4, v17, 4, s30
	v_lshl_or_b32 v2, v17, 6, v2
	s_wait_alu 0xfffe
	s_add_nc_u64 s[4:5], s[24:25], s[4:5]
	v_mov_b32_e32 v23, 0
	s_wait_alu 0xfffe
	v_add_co_u32 v11, s0, s4, v6
	v_add3_u32 v25, v4, v1, 7
	v_add_nc_u32_e32 v26, 0xa0, v2
	s_wait_alu 0xf1ff
	v_add_co_ci_u32_e64 v12, null, s5, 0, s0
	s_mov_b32 s3, s17
	s_add_co_i32 s26, s26, -1
	s_mov_b32 s4, 0
	s_branch .LBB341_33
.LBB341_32:                             ;   in Loop: Header=BB341_33 Depth=1
	s_wait_alu 0xfffe
	s_or_b32 exec_lo, exec_lo, s0
	s_wait_dscnt 0x1
	v_bfe_u32 v35, v5, 16, 1
	v_bfe_u32 v40, v6, 16, 1
	v_or_b32_e32 v41, 0x400000, v5
	v_cmp_u_f32_e32 vcc_lo, v5, v5
	v_or_b32_e32 v42, 0x400000, v6
	v_add3_u32 v35, v35, v5, 0x7fff
	v_bfe_u32 v43, v7, 16, 1
	v_add3_u32 v40, v40, v6, 0x7fff
	v_bfe_u32 v44, v8, 16, 1
	s_wait_alu 0xfffd
	v_dual_cndmask_b32 v5, v35, v41 :: v_dual_lshlrev_b32 v60, 16, v60
	v_cmp_u_f32_e32 vcc_lo, v6, v6
	v_add3_u32 v35, v43, v7, 0x7fff
	v_add3_u32 v41, v44, v8, 0x7fff
	s_wait_dscnt 0x0
	v_bfe_u32 v43, v1, 16, 1
	v_or_b32_e32 v44, 0x400000, v4
	s_wait_alu 0xfffd
	v_cndmask_b32_e32 v6, v40, v42, vcc_lo
	v_or_b32_e32 v40, 0x400000, v7
	v_cmp_u_f32_e32 vcc_lo, v7, v7
	v_or_b32_e32 v42, 0x400000, v8
	v_lshlrev_b32_e32 v39, 16, v39
	v_lshlrev_b32_e32 v33, 16, v33
	;; [unrolled: 1-line block ×3, first 2 shown]
	s_wait_alu 0xfffd
	v_cndmask_b32_e32 v7, v35, v40, vcc_lo
	v_cmp_u_f32_e32 vcc_lo, v8, v8
	v_bfe_u32 v35, v2, 16, 1
	v_add3_u32 v40, v43, v1, 0x7fff
	v_bfe_u32 v43, v3, 16, 1
	v_add_co_u32 v11, s0, v11, 16
	s_wait_alu 0xfffd
	v_cndmask_b32_e32 v8, v41, v42, vcc_lo
	v_or_b32_e32 v41, 0x400000, v1
	v_cmp_u_f32_e32 vcc_lo, v1, v1
	v_add3_u32 v35, v35, v2, 0x7fff
	v_or_b32_e32 v42, 0x400000, v2
	v_add_nc_u32_e32 v25, 64, v25
	s_wait_alu 0xf1ff
	v_add_co_ci_u32_e64 v12, null, 0, v12, s0
	s_wait_alu 0xfffd
	v_cndmask_b32_e32 v1, v40, v41, vcc_lo
	v_cmp_u_f32_e32 vcc_lo, v2, v2
	v_bfe_u32 v40, v4, 16, 1
	v_lshlrev_b32_e32 v36, 16, v36
	v_lshlrev_b32_e32 v31, 16, v31
	s_wait_alu 0xfffd
	v_dual_cndmask_b32 v2, v35, v42 :: v_dual_lshlrev_b32 v29, 16, v29
	v_add3_u32 v35, v43, v3, 0x7fff
	v_or_b32_e32 v43, 0x400000, v3
	v_cmp_u_f32_e32 vcc_lo, v3, v3
	v_and_b32_e32 v6, 0xffff0000, v6
	v_add3_u32 v40, v40, v4, 0x7fff
	v_and_b32_e32 v2, 0xffff0000, v2
	s_wait_alu 0xfffd
	v_dual_cndmask_b32 v3, v35, v43 :: v_dual_lshlrev_b32 v38, 16, v38
	v_cmp_u_f32_e32 vcc_lo, v4, v4
	v_and_b32_e32 v5, 0xffff0000, v5
	v_dual_mul_f32 v39, v2, v39 :: v_dual_lshlrev_b32 v42, 16, v62
	s_wait_alu 0xfffd
	v_dual_cndmask_b32 v4, v40, v44 :: v_dual_and_b32 v3, 0xffff0000, v3
	s_delay_alu instid0(VALU_DEP_2) | instskip(SKIP_2) | instid1(VALU_DEP_3)
	v_dual_mul_f32 v42, v5, v42 :: v_dual_lshlrev_b32 v41, 16, v63
	v_dual_mul_f32 v33, v5, v33 :: v_dual_lshlrev_b32 v34, 16, v34
	v_lshlrev_b32_e32 v27, 16, v27
	v_mul_f32_e32 v41, v6, v41
	s_delay_alu instid0(VALU_DEP_4)
	v_bfe_u32 v40, v42, 16, 1
	v_or_b32_e32 v49, 0x400000, v42
	v_mul_f32_e32 v34, v6, v34
	v_lshlrev_b32_e32 v14, 16, v14
	v_bfe_u32 v35, v41, 16, 1
	v_or_b32_e32 v44, 0x400000, v41
	v_cmp_u_f32_e32 vcc_lo, v41, v41
	v_add3_u32 v40, v40, v42, 0x7fff
	v_add_nc_u32_e32 v18, 4, v18
	v_add3_u32 v35, v35, v41, 0x7fff
	s_wait_alu 0xfffd
	s_delay_alu instid0(VALU_DEP_1)
	v_dual_cndmask_b32 v35, v35, v44 :: v_dual_add_nc_u32 v26, 0x100, v26
	v_lshlrev_b32_e32 v44, 16, v59
	v_cmp_u_f32_e32 vcc_lo, v42, v42
	v_and_b32_e32 v7, 0xffff0000, v7
	v_and_b32_e32 v1, 0xffff0000, v1
	;; [unrolled: 1-line block ×3, first 2 shown]
	v_lshlrev_b32_e32 v56, 16, v56
	s_wait_alu 0xfffd
	v_cndmask_b32_e32 v40, v40, v49, vcc_lo
	v_dual_mul_f32 v42, v7, v60 :: v_dual_lshlrev_b32 v43, 16, v61
	v_lshlrev_b32_e32 v49, 16, v58
	v_and_b32_e32 v8, 0xffff0000, v8
	v_mul_f32_e32 v44, v2, v44
	v_and_b32_e32 v40, 0xffff0000, v40
	v_bfe_u32 v59, v42, 16, 1
	v_mul_f32_e32 v49, v1, v49
	v_mul_f32_e32 v43, v8, v43
	v_dual_mul_f32 v38, v1, v38 :: v_dual_lshlrev_b32 v45, 16, v45
	v_add_f32_e32 v35, v40, v35
	s_delay_alu instid0(VALU_DEP_4) | instskip(NEXT) | instid1(VALU_DEP_4)
	v_bfe_u32 v60, v49, 16, 1
	v_bfe_u32 v41, v43, 16, 1
	v_or_b32_e32 v58, 0x400000, v43
	v_cmp_u_f32_e32 vcc_lo, v43, v43
	v_dual_mul_f32 v31, v7, v31 :: v_dual_lshlrev_b32 v32, 16, v32
	s_delay_alu instid0(VALU_DEP_4) | instskip(SKIP_2) | instid1(VALU_DEP_4)
	v_add3_u32 v41, v41, v43, 0x7fff
	v_add3_u32 v43, v59, v42, 0x7fff
	v_bfe_u32 v59, v44, 16, 1
	v_mul_f32_e32 v32, v8, v32
	v_dual_mul_f32 v29, v1, v29 :: v_dual_lshlrev_b32 v30, 16, v30
	s_wait_alu 0xfffd
	v_cndmask_b32_e32 v41, v41, v58, vcc_lo
	v_or_b32_e32 v58, 0x400000, v42
	v_cmp_u_f32_e32 vcc_lo, v42, v42
	s_wait_alu 0xfffd
	s_delay_alu instid0(VALU_DEP_2)
	v_dual_cndmask_b32 v42, v43, v58 :: v_dual_lshlrev_b32 v57, 16, v57
	v_add3_u32 v43, v59, v44, 0x7fff
	v_or_b32_e32 v58, 0x400000, v44
	v_cmp_u_f32_e32 vcc_lo, v44, v44
	v_and_b32_e32 v4, 0xffff0000, v4
	v_add3_u32 v59, v60, v49, 0x7fff
	v_or_b32_e32 v60, 0x400000, v49
	v_mul_f32_e32 v44, v3, v56
	s_wait_alu 0xfffd
	v_cndmask_b32_e32 v43, v43, v58, vcc_lo
	v_mul_f32_e32 v57, v4, v57
	v_cmp_u_f32_e32 vcc_lo, v49, v49
	v_and_b32_e32 v42, 0xffff0000, v42
	s_delay_alu instid0(VALU_DEP_3)
	v_bfe_u32 v61, v57, 16, 1
	s_wait_alu 0xfffd
	v_cndmask_b32_e32 v49, v59, v60, vcc_lo
	v_or_b32_e32 v58, 0x400000, v57
	v_bfe_u32 v59, v44, 16, 1
	v_cmp_u_f32_e32 vcc_lo, v57, v57
	v_add3_u32 v56, v61, v57, 0x7fff
	s_delay_alu instid0(VALU_DEP_3) | instskip(SKIP_1) | instid1(VALU_DEP_2)
	v_add3_u32 v57, v59, v44, 0x7fff
	s_wait_alu 0xfffd
	v_cndmask_b32_e32 v56, v56, v58, vcc_lo
	v_or_b32_e32 v58, 0x400000, v44
	v_cmp_u_f32_e32 vcc_lo, v44, v44
	v_and_b32_e32 v41, 0xffff0000, v41
	v_dual_mul_f32 v36, v3, v36 :: v_dual_lshlrev_b32 v37, 16, v37
	v_dual_mul_f32 v27, v3, v27 :: v_dual_lshlrev_b32 v28, 16, v28
	s_wait_alu 0xfffd
	v_cndmask_b32_e32 v44, v57, v58, vcc_lo
	v_add_f32_e32 v40, v42, v41
	v_and_b32_e32 v41, 0xffff0000, v49
	v_and_b32_e32 v42, 0xffff0000, v43
	v_lshlrev_b32_e32 v43, 16, v48
	v_mul_f32_e32 v3, v3, v14
	s_delay_alu instid0(VALU_DEP_3) | instskip(NEXT) | instid1(VALU_DEP_3)
	v_dual_add_f32 v35, v40, v35 :: v_dual_add_f32 v40, v41, v42
	v_dual_mul_f32 v41, v6, v43 :: v_dual_and_b32 v42, 0xffff0000, v44
	v_and_b32_e32 v44, 0xffff0000, v56
	s_delay_alu instid0(VALU_DEP_3) | instskip(SKIP_1) | instid1(VALU_DEP_4)
	v_dual_add_f32 v35, v40, v35 :: v_dual_lshlrev_b32 v46, 16, v46
	v_lshlrev_b32_e32 v47, 16, v47
	v_cmp_u_f32_e32 vcc_lo, v41, v41
	s_delay_alu instid0(VALU_DEP_4) | instskip(NEXT) | instid1(VALU_DEP_3)
	v_add_f32_e32 v42, v42, v44
	v_dual_mul_f32 v44, v8, v46 :: v_dual_mul_f32 v43, v5, v47
	v_bfe_u32 v47, v41, 16, 1
	s_delay_alu instid0(VALU_DEP_2) | instskip(NEXT) | instid1(VALU_DEP_3)
	v_bfe_u32 v49, v44, 16, 1
	v_bfe_u32 v40, v43, 16, 1
	s_delay_alu instid0(VALU_DEP_3) | instskip(SKIP_2) | instid1(VALU_DEP_4)
	v_add3_u32 v46, v47, v41, 0x7fff
	v_or_b32_e32 v47, 0x400000, v41
	v_or_b32_e32 v48, 0x400000, v43
	v_add3_u32 v40, v40, v43, 0x7fff
	s_wait_alu 0xfffd
	s_delay_alu instid0(VALU_DEP_3)
	v_cndmask_b32_e32 v41, v46, v47, vcc_lo
	v_cmp_u_f32_e32 vcc_lo, v43, v43
	v_mul_f32_e32 v43, v7, v45
	v_add3_u32 v45, v49, v44, 0x7fff
	v_or_b32_e32 v46, 0x400000, v44
	s_wait_alu 0xfffd
	v_cndmask_b32_e32 v40, v40, v48, vcc_lo
	v_bfe_u32 v47, v43, 16, 1
	v_cmp_u_f32_e32 vcc_lo, v44, v44
	v_bfe_u32 v48, v38, 16, 1
	s_delay_alu instid0(VALU_DEP_4)
	v_dual_mul_f32 v37, v4, v37 :: v_dual_and_b32 v40, 0xffff0000, v40
	s_wait_alu 0xfffd
	v_cndmask_b32_e32 v44, v45, v46, vcc_lo
	v_add3_u32 v45, v47, v43, 0x7fff
	v_or_b32_e32 v46, 0x400000, v43
	v_cmp_u_f32_e32 vcc_lo, v43, v43
	v_bfe_u32 v47, v39, 16, 1
	v_bfe_u32 v49, v37, 16, 1
	v_and_b32_e32 v41, 0xffff0000, v41
	s_wait_alu 0xfffd
	v_dual_cndmask_b32 v43, v45, v46 :: v_dual_and_b32 v44, 0xffff0000, v44
	v_add3_u32 v45, v47, v39, 0x7fff
	v_or_b32_e32 v46, 0x400000, v39
	v_cmp_u_f32_e32 vcc_lo, v39, v39
	v_add3_u32 v47, v48, v38, 0x7fff
	v_or_b32_e32 v48, 0x400000, v38
	v_dual_add_f32 v40, v40, v41 :: v_dual_and_b32 v43, 0xffff0000, v43
	s_wait_alu 0xfffd
	v_cndmask_b32_e32 v39, v45, v46, vcc_lo
	v_cmp_u_f32_e32 vcc_lo, v38, v38
	v_add3_u32 v45, v49, v37, 0x7fff
	v_or_b32_e32 v46, 0x400000, v37
	s_wait_alu 0xfffd
	v_cndmask_b32_e32 v38, v47, v48, vcc_lo
	v_cmp_u_f32_e32 vcc_lo, v37, v37
	v_add_f32_e32 v41, v43, v44
	v_or_b32_e32 v44, 0x400000, v36
	s_delay_alu instid0(VALU_DEP_4) | instskip(NEXT) | instid1(VALU_DEP_3)
	v_and_b32_e32 v38, 0xffff0000, v38
	v_dual_add_f32 v40, v41, v40 :: v_dual_and_b32 v39, 0xffff0000, v39
	s_wait_alu 0xfffd
	v_cndmask_b32_e32 v37, v45, v46, vcc_lo
	v_bfe_u32 v45, v36, 16, 1
	v_cmp_u_f32_e32 vcc_lo, v36, v36
	v_add_f32_e32 v38, v38, v39
	v_bfe_u32 v39, v34, 16, 1
	v_bfe_u32 v41, v33, 16, 1
	v_add3_u32 v43, v45, v36, 0x7fff
	s_delay_alu instid0(VALU_DEP_4) | instskip(NEXT) | instid1(VALU_DEP_4)
	v_dual_add_f32 v38, v38, v40 :: v_dual_and_b32 v37, 0xffff0000, v37
	v_add3_u32 v39, v39, v34, 0x7fff
	v_or_b32_e32 v40, 0x400000, v34
	s_wait_alu 0xfffd
	v_cndmask_b32_e32 v36, v43, v44, vcc_lo
	v_cmp_u_f32_e32 vcc_lo, v34, v34
	v_or_b32_e32 v43, 0x400000, v32
	s_wait_alu 0xfffd
	v_cndmask_b32_e32 v34, v39, v40, vcc_lo
	v_bfe_u32 v39, v32, 16, 1
	v_add3_u32 v40, v41, v33, 0x7fff
	v_or_b32_e32 v41, 0x400000, v33
	v_cmp_u_f32_e32 vcc_lo, v33, v33
	v_and_b32_e32 v36, 0xffff0000, v36
	v_add3_u32 v39, v39, v32, 0x7fff
	s_wait_alu 0xfffd
	v_cndmask_b32_e32 v33, v40, v41, vcc_lo
	v_bfe_u32 v40, v31, 16, 1
	v_cmp_u_f32_e32 vcc_lo, v32, v32
	v_or_b32_e32 v41, 0x400000, v31
	s_delay_alu instid0(VALU_DEP_4) | instskip(NEXT) | instid1(VALU_DEP_4)
	v_and_b32_e32 v33, 0xffff0000, v33
	v_add3_u32 v40, v40, v31, 0x7fff
	s_wait_alu 0xfffd
	v_cndmask_b32_e32 v32, v39, v43, vcc_lo
	v_cmp_u_f32_e32 vcc_lo, v31, v31
	v_mul_f32_e32 v30, v2, v30
	s_wait_alu 0xfffd
	s_delay_alu instid0(VALU_DEP_3) | instskip(NEXT) | instid1(VALU_DEP_2)
	v_dual_cndmask_b32 v31, v40, v41 :: v_dual_and_b32 v32, 0xffff0000, v32
	v_bfe_u32 v39, v30, 16, 1
	v_mul_f32_e32 v28, v4, v28
	v_or_b32_e32 v43, 0x400000, v30
	v_bfe_u32 v40, v29, 16, 1
	v_cmp_u_f32_e32 vcc_lo, v30, v30
	v_add3_u32 v39, v39, v30, 0x7fff
	v_and_b32_e32 v31, 0xffff0000, v31
	v_bfe_u32 v41, v28, 16, 1
	v_and_b32_e32 v34, 0xffff0000, v34
	s_delay_alu instid0(VALU_DEP_3) | instskip(SKIP_1) | instid1(VALU_DEP_2)
	v_dual_mul_f32 v4, v4, v13 :: v_dual_add_f32 v31, v31, v32
	s_wait_alu 0xfffd
	v_dual_cndmask_b32 v30, v39, v43 :: v_dual_add_f32 v33, v33, v34
	v_add3_u32 v39, v40, v29, 0x7fff
	v_or_b32_e32 v40, 0x400000, v29
	v_cmp_u_f32_e32 vcc_lo, v29, v29
	v_add3_u32 v41, v41, v28, 0x7fff
	v_or_b32_e32 v43, 0x400000, v28
	v_dual_add_f32 v31, v31, v33 :: v_dual_lshlrev_b32 v32, 16, v54
	s_wait_alu 0xfffd
	v_cndmask_b32_e32 v29, v39, v40, vcc_lo
	v_cmp_u_f32_e32 vcc_lo, v28, v28
	v_bfe_u32 v39, v27, 16, 1
	v_or_b32_e32 v40, 0x400000, v27
	v_mul_f32_e32 v6, v6, v32
	s_wait_alu 0xfffd
	v_cndmask_b32_e32 v28, v41, v43, vcc_lo
	v_add3_u32 v39, v39, v27, 0x7fff
	v_and_b32_e32 v29, 0xffff0000, v29
	v_cmp_u_f32_e32 vcc_lo, v27, v27
	v_and_b32_e32 v30, 0xffff0000, v30
	v_bfe_u32 v34, v6, 16, 1
	s_wait_alu 0xfffd
	v_cndmask_b32_e32 v27, v39, v40, vcc_lo
	s_delay_alu instid0(VALU_DEP_3) | instskip(NEXT) | instid1(VALU_DEP_1)
	v_dual_add_f32 v29, v29, v30 :: v_dual_lshlrev_b32 v30, 16, v53
	v_dual_mul_f32 v7, v7, v30 :: v_dual_lshlrev_b32 v30, 16, v52
	s_delay_alu instid0(VALU_DEP_1) | instskip(NEXT) | instid1(VALU_DEP_1)
	v_dual_mul_f32 v8, v8, v30 :: v_dual_lshlrev_b32 v41, 16, v55
	v_dual_mul_f32 v5, v5, v41 :: v_dual_lshlrev_b32 v30, 16, v51
	s_delay_alu instid0(VALU_DEP_1) | instskip(SKIP_1) | instid1(VALU_DEP_2)
	v_bfe_u32 v33, v5, 16, 1
	v_cmp_u_f32_e32 vcc_lo, v5, v5
	v_add3_u32 v32, v33, v5, 0x7fff
	v_or_b32_e32 v33, 0x400000, v5
	s_wait_alu 0xfffd
	s_delay_alu instid0(VALU_DEP_1)
	v_cndmask_b32_e32 v5, v32, v33, vcc_lo
	v_add3_u32 v32, v34, v6, 0x7fff
	v_or_b32_e32 v33, 0x400000, v6
	v_bfe_u32 v34, v7, 16, 1
	v_cmp_u_f32_e32 vcc_lo, v6, v6
	s_wait_alu 0xfffd
	s_delay_alu instid0(VALU_DEP_3) | instskip(NEXT) | instid1(VALU_DEP_3)
	v_dual_cndmask_b32 v6, v32, v33 :: v_dual_and_b32 v27, 0xffff0000, v27
	v_add3_u32 v32, v34, v7, 0x7fff
	v_or_b32_e32 v33, 0x400000, v7
	v_bfe_u32 v34, v8, 16, 1
	v_cmp_u_f32_e32 vcc_lo, v7, v7
	s_wait_alu 0xfffd
	s_delay_alu instid0(VALU_DEP_3) | instskip(NEXT) | instid1(VALU_DEP_3)
	v_cndmask_b32_e32 v7, v32, v33, vcc_lo
	v_add3_u32 v32, v34, v8, 0x7fff
	v_or_b32_e32 v33, 0x400000, v8
	v_cmp_u_f32_e32 vcc_lo, v8, v8
	v_mul_f32_e32 v1, v1, v30
	s_wait_alu 0xfffd
	s_delay_alu instid0(VALU_DEP_3) | instskip(NEXT) | instid1(VALU_DEP_2)
	v_dual_cndmask_b32 v8, v32, v33 :: v_dual_and_b32 v7, 0xffff0000, v7
	v_bfe_u32 v34, v1, 16, 1
	v_or_b32_e32 v13, 0x400000, v1
	v_cmp_u_f32_e32 vcc_lo, v1, v1
	v_bfe_u32 v33, v3, 16, 1
	s_delay_alu instid0(VALU_DEP_4) | instskip(SKIP_3) | instid1(VALU_DEP_2)
	v_add3_u32 v32, v34, v1, 0x7fff
	v_lshlrev_b32_e32 v30, 16, v50
	v_bfe_u32 v34, v4, 16, 1
	s_wait_alu 0xfffd
	v_dual_cndmask_b32 v1, v32, v13 :: v_dual_mul_f32 v2, v2, v30
	v_add3_u32 v13, v33, v3, 0x7fff
	v_or_b32_e32 v32, 0x400000, v3
	s_delay_alu instid0(VALU_DEP_3) | instskip(NEXT) | instid1(VALU_DEP_4)
	v_and_b32_e32 v1, 0xffff0000, v1
	v_bfe_u32 v30, v2, 16, 1
	v_cmp_u_f32_e32 vcc_lo, v2, v2
	s_delay_alu instid0(VALU_DEP_2) | instskip(SKIP_2) | instid1(VALU_DEP_1)
	v_add3_u32 v14, v30, v2, 0x7fff
	v_or_b32_e32 v30, 0x400000, v2
	s_wait_alu 0xfffd
	v_cndmask_b32_e32 v2, v14, v30, vcc_lo
	v_add3_u32 v14, v34, v4, 0x7fff
	v_or_b32_e32 v30, 0x400000, v4
	v_cmp_u_f32_e32 vcc_lo, v4, v4
	s_wait_alu 0xfffd
	s_delay_alu instid0(VALU_DEP_2) | instskip(SKIP_3) | instid1(VALU_DEP_1)
	v_dual_cndmask_b32 v4, v14, v30 :: v_dual_and_b32 v5, 0xffff0000, v5
	v_cmp_u_f32_e32 vcc_lo, v3, v3
	s_wait_alu 0xfffd
	v_dual_cndmask_b32 v3, v13, v32 :: v_dual_and_b32 v6, 0xffff0000, v6
	v_dual_add_f32 v5, v5, v6 :: v_dual_and_b32 v8, 0xffff0000, v8
	v_and_b32_e32 v2, 0xffff0000, v2
	v_cmp_le_i32_e32 vcc_lo, s21, v18
	s_delay_alu instid0(VALU_DEP_4) | instskip(NEXT) | instid1(VALU_DEP_3)
	v_and_b32_e32 v3, 0xffff0000, v3
	v_dual_add_f32 v1, v1, v2 :: v_dual_and_b32 v2, 0xffff0000, v4
	v_add_f32_e32 v4, v36, v37
	v_add_f32_e32 v6, v7, v8
	v_and_b32_e32 v7, 0xffff0000, v28
	s_or_b32 s4, vcc_lo, s4
	v_add_f32_e32 v2, v3, v2
	s_delay_alu instid0(VALU_DEP_3) | instskip(NEXT) | instid1(VALU_DEP_3)
	v_dual_add_f32 v4, v4, v38 :: v_dual_add_f32 v5, v6, v5
	v_add_f32_e32 v7, v27, v7
	v_add_f32_e32 v3, v42, v35
	;; [unrolled: 1-line block ×3, first 2 shown]
	s_delay_alu instid0(VALU_DEP_4) | instskip(NEXT) | instid1(VALU_DEP_2)
	v_dual_add_f32 v24, v24, v4 :: v_dual_add_f32 v1, v1, v5
	v_dual_add_f32 v22, v22, v3 :: v_dual_add_f32 v5, v7, v6
	s_delay_alu instid0(VALU_DEP_2) | instskip(NEXT) | instid1(VALU_DEP_2)
	v_add_f32_e32 v1, v2, v1
	v_add_f32_e32 v23, v23, v5
	s_delay_alu instid0(VALU_DEP_2)
	v_add_f32_e32 v21, v21, v1
	s_wait_alu 0xfffe
	s_and_not1_b32 exec_lo, exec_lo, s4
	s_cbranch_execz .LBB341_41
.LBB341_33:                             ; =>This Inner Loop Header: Depth=1
	global_load_b32 v1, v[11:12], off
	s_wait_alu 0xfffe
	v_cmp_eq_u32_e32 vcc_lo, s26, v18
	v_add_nc_u32_e32 v40, -2, v25
	s_wait_loadcnt 0x0
	v_mad_co_i64_i32 v[13:14], null, v1, s3, v[9:10]
	global_load_b64 v[27:28], v[13:14], off
	ds_load_2addr_b64 v[5:8], v26 offset1:1
	ds_load_2addr_b64 v[1:4], v26 offset0:2 offset1:3
	s_wait_loadcnt 0x0
	v_and_b32_e32 v32, 0xff, v28
	v_bfe_u32 v33, v28, 8, 8
	v_bfe_u32 v34, v28, 16, 8
	v_lshrrev_b32_e32 v28, 24, v28
	v_bfe_u32 v30, v27, 8, 8
	v_bfe_u32 v31, v27, 16, 8
	v_cvt_f32_fp8_e32 v33, v33
	v_cvt_f32_fp8_e32 v34, v34
	;; [unrolled: 1-line block ×3, first 2 shown]
	v_and_b32_e32 v29, 0xff, v27
	v_cvt_f32_fp8_e32 v30, v30
	v_add_nc_u32_e32 v35, -7, v25
	v_lshrrev_b32_e32 v27, 24, v27
	v_mul_f32_e32 v28, s2, v28
	v_cvt_f32_fp8_e32 v29, v29
	v_cvt_f32_fp8_e32 v31, v31
	v_mul_f32_e32 v30, s2, v30
	v_add_nc_u32_e32 v44, -6, v25
	v_cvt_f32_fp8_e32 v27, v27
	v_mul_f32_e32 v29, s2, v29
	v_mul_f32_e32 v31, s2, v31
	v_bfe_u32 v38, v30, 16, 1
	s_delay_alu instid0(VALU_DEP_4) | instskip(NEXT) | instid1(VALU_DEP_4)
	v_dual_mul_f32 v27, s2, v27 :: v_dual_add_nc_u32 v42, -4, v25
	v_bfe_u32 v36, v29, 16, 1
	v_or_b32_e32 v37, 0x400000, v29
	v_cmp_u_f32_e64 s0, v29, v29
	v_cvt_f32_fp8_e32 v32, v32
	v_or_b32_e32 v39, 0x400000, v30
	v_add3_u32 v36, v36, v29, 0x7fff
	v_bfe_u32 v45, v31, 16, 1
	v_add3_u32 v38, v38, v30, 0x7fff
	v_dual_mul_f32 v32, s2, v32 :: v_dual_add_nc_u32 v43, -5, v25
	s_wait_alu 0xf1ff
	v_cndmask_b32_e64 v29, v36, v37, s0
	v_cmp_u_f32_e64 s0, v30, v30
	v_or_b32_e32 v46, 0x400000, v31
	v_bfe_u32 v47, v27, 16, 1
	v_add3_u32 v45, v45, v31, 0x7fff
	v_mul_f32_e32 v33, s2, v33
	s_wait_alu 0xf1ff
	v_cndmask_b32_e64 v30, v38, v39, s0
	v_cmp_u_f32_e64 s0, v31, v31
	v_or_b32_e32 v48, 0x400000, v27
	v_bfe_u32 v49, v32, 16, 1
	v_add3_u32 v47, v47, v27, 0x7fff
	v_dual_mul_f32 v34, s2, v34 :: v_dual_add_nc_u32 v41, -3, v25
	s_wait_alu 0xf1ff
	v_cndmask_b32_e64 v31, v45, v46, s0
	v_cmp_u_f32_e64 s0, v27, v27
	v_or_b32_e32 v50, 0x400000, v32
	v_bfe_u32 v51, v33, 16, 1
	v_add3_u32 v49, v49, v32, 0x7fff
	v_or_b32_e32 v52, 0x400000, v33
	s_wait_alu 0xf1ff
	v_cndmask_b32_e64 v27, v47, v48, s0
	v_cmp_u_f32_e64 s0, v32, v32
	v_bfe_u32 v53, v34, 16, 1
	v_add3_u32 v51, v51, v33, 0x7fff
	v_or_b32_e32 v54, 0x400000, v34
	v_bfe_u32 v55, v28, 16, 1
	s_wait_alu 0xf1ff
	v_cndmask_b32_e64 v36, v49, v50, s0
	v_cmp_u_f32_e64 s0, v33, v33
	v_add3_u32 v53, v53, v34, 0x7fff
	v_or_b32_e32 v56, 0x400000, v28
	v_add3_u32 v55, v55, v28, 0x7fff
	v_lshrrev_b32_e32 v33, 16, v29
	s_wait_alu 0xf1ff
	v_cndmask_b32_e64 v37, v51, v52, s0
	v_cmp_u_f32_e64 s0, v34, v34
	v_lshrrev_b32_e32 v34, 16, v30
	v_lshrrev_b32_e32 v31, 16, v31
	;; [unrolled: 1-line block ×4, first 2 shown]
	s_wait_alu 0xf1ff
	v_cndmask_b32_e64 v38, v53, v54, s0
	v_cmp_u_f32_e64 s0, v28, v28
	v_lshrrev_b32_e32 v30, 16, v37
	v_add_nc_u32_e32 v49, -1, v25
	s_delay_alu instid0(VALU_DEP_4) | instskip(SKIP_2) | instid1(VALU_DEP_1)
	v_lshrrev_b32_e32 v27, 16, v38
	s_wait_alu 0xf1ff
	v_cndmask_b32_e64 v28, v55, v56, s0
	v_lshrrev_b32_e32 v28, 16, v28
	s_and_saveexec_b32 s5, vcc_lo
	s_cbranch_execz .LBB341_35
; %bb.34:                               ;   in Loop: Header=BB341_33 Depth=1
	v_cmp_gt_i32_e64 s0, s29, v35
	s_wait_alu 0xf1ff
	s_delay_alu instid0(VALU_DEP_1) | instskip(SKIP_2) | instid1(VALU_DEP_1)
	v_cndmask_b32_e64 v33, 0, v33, s0
	v_cmp_gt_i32_e64 s0, s29, v44
	s_wait_alu 0xf1ff
	v_cndmask_b32_e64 v34, 0, v34, s0
	v_cmp_gt_i32_e64 s0, s29, v43
	s_wait_alu 0xf1ff
	s_delay_alu instid0(VALU_DEP_1) | instskip(SKIP_2) | instid1(VALU_DEP_1)
	v_cndmask_b32_e64 v31, 0, v31, s0
	v_cmp_gt_i32_e64 s0, s29, v42
	s_wait_alu 0xf1ff
	v_cndmask_b32_e64 v32, 0, v32, s0
	;; [unrolled: 7-line block ×4, first 2 shown]
.LBB341_35:                             ;   in Loop: Header=BB341_33 Depth=1
	s_wait_alu 0xfffe
	s_or_b32 exec_lo, exec_lo, s5
	global_load_b64 v[36:37], v[13:14], off offset:256
	s_wait_loadcnt 0x0
	v_bfe_u32 v39, v36, 8, 8
	v_bfe_u32 v45, v36, 16, 8
	;; [unrolled: 1-line block ×4, first 2 shown]
	s_delay_alu instid0(VALU_DEP_4)
	v_cvt_f32_fp8_e32 v39, v39
	v_and_b32_e32 v38, 0xff, v36
	v_cvt_f32_fp8_e32 v45, v45
	v_lshrrev_b32_e32 v36, 24, v36
	v_cvt_f32_fp8_e32 v47, v47
	v_mul_f32_e32 v39, s2, v39
	v_cvt_f32_fp8_e32 v38, v38
	v_and_b32_e32 v46, 0xff, v37
	v_lshrrev_b32_e32 v37, 24, v37
	v_cvt_f32_fp8_e32 v36, v36
	s_delay_alu instid0(VALU_DEP_4) | instskip(SKIP_1) | instid1(VALU_DEP_4)
	v_dual_mul_f32 v45, s2, v45 :: v_dual_mul_f32 v38, s2, v38
	v_bfe_u32 v52, v39, 16, 1
	v_cvt_f32_fp8_e32 v37, v37
	s_delay_alu instid0(VALU_DEP_4) | instskip(NEXT) | instid1(VALU_DEP_4)
	v_dual_mul_f32 v36, s2, v36 :: v_dual_mul_f32 v47, s2, v47
	v_bfe_u32 v50, v38, 16, 1
	v_or_b32_e32 v51, 0x400000, v38
	v_cmp_u_f32_e64 s0, v38, v38
	v_cvt_f32_fp8_e32 v46, v46
	v_or_b32_e32 v53, 0x400000, v39
	v_add3_u32 v50, v50, v38, 0x7fff
	v_bfe_u32 v54, v45, 16, 1
	v_add3_u32 v52, v52, v39, 0x7fff
	v_dual_mul_f32 v46, s2, v46 :: v_dual_mul_f32 v37, s2, v37
	s_wait_alu 0xf1ff
	v_cndmask_b32_e64 v38, v50, v51, s0
	v_cmp_u_f32_e64 s0, v39, v39
	v_or_b32_e32 v55, 0x400000, v45
	v_bfe_u32 v56, v36, 16, 1
	v_add3_u32 v54, v54, v45, 0x7fff
	v_cvt_f32_fp8_e32 v48, v48
	s_wait_alu 0xf1ff
	v_cndmask_b32_e64 v39, v52, v53, s0
	v_cmp_u_f32_e64 s0, v45, v45
	v_or_b32_e32 v57, 0x400000, v36
	v_bfe_u32 v58, v46, 16, 1
	v_add3_u32 v56, v56, v36, 0x7fff
	v_mul_f32_e32 v48, s2, v48
	s_wait_alu 0xf1ff
	v_cndmask_b32_e64 v45, v54, v55, s0
	v_cmp_u_f32_e64 s0, v36, v36
	v_or_b32_e32 v59, 0x400000, v46
	v_bfe_u32 v60, v47, 16, 1
	v_add3_u32 v58, v58, v46, 0x7fff
	v_or_b32_e32 v61, 0x400000, v47
	s_wait_alu 0xf1ff
	v_cndmask_b32_e64 v36, v56, v57, s0
	v_cmp_u_f32_e64 s0, v46, v46
	v_bfe_u32 v62, v48, 16, 1
	v_add3_u32 v60, v60, v47, 0x7fff
	v_or_b32_e32 v63, 0x400000, v48
	v_bfe_u32 v64, v37, 16, 1
	s_wait_alu 0xf1ff
	v_cndmask_b32_e64 v50, v58, v59, s0
	v_cmp_u_f32_e64 s0, v47, v47
	v_add3_u32 v62, v62, v48, 0x7fff
	v_or_b32_e32 v65, 0x400000, v37
	v_add3_u32 v64, v64, v37, 0x7fff
	v_lshrrev_b32_e32 v47, 16, v38
	s_wait_alu 0xf1ff
	v_cndmask_b32_e64 v51, v60, v61, s0
	v_cmp_u_f32_e64 s0, v48, v48
	v_lshrrev_b32_e32 v48, 16, v39
	v_lshrrev_b32_e32 v45, 16, v45
	;; [unrolled: 1-line block ×4, first 2 shown]
	s_wait_alu 0xf1ff
	v_cndmask_b32_e64 v52, v62, v63, s0
	v_cmp_u_f32_e64 s0, v37, v37
	v_lshrrev_b32_e32 v39, 16, v51
	s_delay_alu instid0(VALU_DEP_3) | instskip(SKIP_1) | instid1(VALU_DEP_3)
	v_lshrrev_b32_e32 v36, 16, v52
	s_wait_alu 0xf1ff
	v_cndmask_b32_e64 v37, v64, v65, s0
	s_delay_alu instid0(VALU_DEP_1)
	v_lshrrev_b32_e32 v37, 16, v37
	s_and_saveexec_b32 s5, vcc_lo
	s_cbranch_execz .LBB341_37
; %bb.36:                               ;   in Loop: Header=BB341_33 Depth=1
	v_cmp_gt_i32_e64 s0, s29, v35
	s_wait_alu 0xf1ff
	s_delay_alu instid0(VALU_DEP_1) | instskip(SKIP_2) | instid1(VALU_DEP_1)
	v_cndmask_b32_e64 v47, 0, v47, s0
	v_cmp_gt_i32_e64 s0, s29, v44
	s_wait_alu 0xf1ff
	v_cndmask_b32_e64 v48, 0, v48, s0
	v_cmp_gt_i32_e64 s0, s29, v43
	s_wait_alu 0xf1ff
	s_delay_alu instid0(VALU_DEP_1) | instskip(SKIP_2) | instid1(VALU_DEP_1)
	v_cndmask_b32_e64 v45, 0, v45, s0
	v_cmp_gt_i32_e64 s0, s29, v42
	s_wait_alu 0xf1ff
	v_cndmask_b32_e64 v46, 0, v46, s0
	;; [unrolled: 7-line block ×4, first 2 shown]
.LBB341_37:                             ;   in Loop: Header=BB341_33 Depth=1
	s_wait_alu 0xfffe
	s_or_b32 exec_lo, exec_lo, s5
	global_load_b64 v[50:51], v[13:14], off offset:512
	s_wait_loadcnt 0x0
	v_bfe_u32 v53, v50, 8, 8
	v_bfe_u32 v54, v50, 16, 8
	;; [unrolled: 1-line block ×4, first 2 shown]
	s_delay_alu instid0(VALU_DEP_4)
	v_cvt_f32_fp8_e32 v53, v53
	v_and_b32_e32 v52, 0xff, v50
	v_lshrrev_b32_e32 v50, 24, v50
	v_cvt_f32_fp8_e32 v54, v54
	v_cvt_f32_fp8_e32 v57, v57
	v_mul_f32_e32 v53, s2, v53
	v_cvt_f32_fp8_e32 v52, v52
	v_and_b32_e32 v55, 0xff, v51
	v_cvt_f32_fp8_e32 v50, v50
	v_lshrrev_b32_e32 v51, 24, v51
	v_bfe_u32 v60, v53, 16, 1
	v_mul_f32_e32 v52, s2, v52
	v_cvt_f32_fp8_e32 v55, v55
	v_mul_f32_e32 v54, s2, v54
	v_dual_mul_f32 v50, s2, v50 :: v_dual_mul_f32 v57, s2, v57
	s_delay_alu instid0(VALU_DEP_4)
	v_bfe_u32 v58, v52, 16, 1
	v_or_b32_e32 v59, 0x400000, v52
	v_cmp_u_f32_e64 s0, v52, v52
	v_mul_f32_e32 v55, s2, v55
	v_or_b32_e32 v61, 0x400000, v53
	v_add3_u32 v58, v58, v52, 0x7fff
	v_bfe_u32 v62, v54, 16, 1
	v_add3_u32 v60, v60, v53, 0x7fff
	v_cvt_f32_fp8_e32 v56, v56
	v_or_b32_e32 v63, 0x400000, v54
	s_wait_alu 0xf1ff
	v_cndmask_b32_e64 v52, v58, v59, s0
	v_cmp_u_f32_e64 s0, v53, v53
	v_bfe_u32 v64, v50, 16, 1
	v_add3_u32 v62, v62, v54, 0x7fff
	v_cvt_f32_fp8_e32 v51, v51
	v_mul_f32_e32 v56, s2, v56
	s_wait_alu 0xf1ff
	v_cndmask_b32_e64 v53, v60, v61, s0
	v_cmp_u_f32_e64 s0, v54, v54
	v_or_b32_e32 v65, 0x400000, v50
	v_bfe_u32 v66, v55, 16, 1
	v_add3_u32 v64, v64, v50, 0x7fff
	v_mul_f32_e32 v51, s2, v51
	s_wait_alu 0xf1ff
	v_cndmask_b32_e64 v54, v62, v63, s0
	v_cmp_u_f32_e64 s0, v50, v50
	v_or_b32_e32 v67, 0x400000, v55
	v_bfe_u32 v68, v56, 16, 1
	v_add3_u32 v66, v66, v55, 0x7fff
	v_or_b32_e32 v69, 0x400000, v56
	s_wait_alu 0xf1ff
	v_cndmask_b32_e64 v50, v64, v65, s0
	v_cmp_u_f32_e64 s0, v55, v55
	v_bfe_u32 v70, v57, 16, 1
	v_add3_u32 v68, v68, v56, 0x7fff
	v_or_b32_e32 v71, 0x400000, v57
	v_bfe_u32 v72, v51, 16, 1
	s_wait_alu 0xf1ff
	v_cndmask_b32_e64 v55, v66, v67, s0
	v_cmp_u_f32_e64 s0, v56, v56
	v_add3_u32 v70, v70, v57, 0x7fff
	v_or_b32_e32 v73, 0x400000, v51
	v_add3_u32 v72, v72, v51, 0x7fff
	v_lshrrev_b32_e32 v62, 16, v52
	s_wait_alu 0xf1ff
	v_cndmask_b32_e64 v56, v68, v69, s0
	v_cmp_u_f32_e64 s0, v57, v57
	v_lshrrev_b32_e32 v63, 16, v53
	v_lshrrev_b32_e32 v60, 16, v54
	;; [unrolled: 1-line block ×4, first 2 shown]
	s_wait_alu 0xf1ff
	v_cndmask_b32_e64 v57, v70, v71, s0
	v_cmp_u_f32_e64 s0, v51, v51
	v_lshrrev_b32_e32 v59, 16, v56
	s_delay_alu instid0(VALU_DEP_3) | instskip(SKIP_1) | instid1(VALU_DEP_3)
	v_lshrrev_b32_e32 v56, 16, v57
	s_wait_alu 0xf1ff
	v_cndmask_b32_e64 v51, v72, v73, s0
	s_delay_alu instid0(VALU_DEP_1)
	v_lshrrev_b32_e32 v57, 16, v51
	s_and_saveexec_b32 s5, vcc_lo
	s_cbranch_execz .LBB341_39
; %bb.38:                               ;   in Loop: Header=BB341_33 Depth=1
	v_cmp_gt_i32_e64 s0, s29, v35
	s_wait_alu 0xf1ff
	s_delay_alu instid0(VALU_DEP_1) | instskip(SKIP_2) | instid1(VALU_DEP_1)
	v_cndmask_b32_e64 v62, 0, v62, s0
	v_cmp_gt_i32_e64 s0, s29, v44
	s_wait_alu 0xf1ff
	v_cndmask_b32_e64 v63, 0, v63, s0
	v_cmp_gt_i32_e64 s0, s29, v43
	s_wait_alu 0xf1ff
	s_delay_alu instid0(VALU_DEP_1) | instskip(SKIP_2) | instid1(VALU_DEP_1)
	v_cndmask_b32_e64 v60, 0, v60, s0
	v_cmp_gt_i32_e64 s0, s29, v42
	s_wait_alu 0xf1ff
	v_cndmask_b32_e64 v61, 0, v61, s0
	;; [unrolled: 7-line block ×4, first 2 shown]
.LBB341_39:                             ;   in Loop: Header=BB341_33 Depth=1
	s_wait_alu 0xfffe
	s_or_b32 exec_lo, exec_lo, s5
	global_load_b64 v[13:14], v[13:14], off offset:768
	s_wait_loadcnt 0x0
	v_bfe_u32 v51, v13, 8, 8
	v_bfe_u32 v52, v13, 16, 8
	;; [unrolled: 1-line block ×4, first 2 shown]
	s_delay_alu instid0(VALU_DEP_4)
	v_cvt_f32_fp8_e32 v51, v51
	v_and_b32_e32 v50, 0xff, v13
	v_lshrrev_b32_e32 v13, 24, v13
	v_cvt_f32_fp8_e32 v52, v52
	v_and_b32_e32 v53, 0xff, v14
	v_mul_f32_e32 v51, s2, v51
	v_cvt_f32_fp8_e32 v50, v50
	v_cvt_f32_fp8_e32 v13, v13
	v_mul_f32_e32 v52, s2, v52
	v_cvt_f32_fp8_e32 v53, v53
	v_bfe_u32 v66, v51, 16, 1
	s_delay_alu instid0(VALU_DEP_4) | instskip(SKIP_2) | instid1(VALU_DEP_4)
	v_dual_mul_f32 v50, s2, v50 :: v_dual_mul_f32 v13, s2, v13
	v_or_b32_e32 v67, 0x400000, v51
	v_bfe_u32 v68, v52, 16, 1
	v_add3_u32 v66, v66, v51, 0x7fff
	s_delay_alu instid0(VALU_DEP_4)
	v_bfe_u32 v64, v50, 16, 1
	v_or_b32_e32 v65, 0x400000, v50
	v_cmp_u_f32_e64 s0, v50, v50
	v_cvt_f32_fp8_e32 v54, v54
	v_mul_f32_e32 v53, s2, v53
	v_add3_u32 v64, v64, v50, 0x7fff
	v_or_b32_e32 v69, 0x400000, v52
	v_bfe_u32 v70, v13, 16, 1
	v_add3_u32 v68, v68, v52, 0x7fff
	v_lshrrev_b32_e32 v14, 24, v14
	s_wait_alu 0xf1ff
	v_cndmask_b32_e64 v50, v64, v65, s0
	v_cmp_u_f32_e64 s0, v51, v51
	v_cvt_f32_fp8_e32 v55, v55
	v_mul_f32_e32 v54, s2, v54
	v_or_b32_e32 v71, 0x400000, v13
	v_bfe_u32 v72, v53, 16, 1
	s_wait_alu 0xf1ff
	v_cndmask_b32_e64 v51, v66, v67, s0
	v_cmp_u_f32_e64 s0, v52, v52
	v_add3_u32 v70, v70, v13, 0x7fff
	v_cvt_f32_fp8_e32 v14, v14
	v_mul_f32_e32 v55, s2, v55
	v_or_b32_e32 v73, 0x400000, v53
	s_wait_alu 0xf1ff
	v_cndmask_b32_e64 v52, v68, v69, s0
	v_cmp_u_f32_e64 s0, v13, v13
	v_bfe_u32 v74, v54, 16, 1
	v_add3_u32 v72, v72, v53, 0x7fff
	v_mul_f32_e32 v14, s2, v14
	v_or_b32_e32 v75, 0x400000, v54
	s_wait_alu 0xf1ff
	v_cndmask_b32_e64 v13, v70, v71, s0
	v_cmp_u_f32_e64 s0, v53, v53
	v_bfe_u32 v76, v55, 16, 1
	v_add3_u32 v74, v74, v54, 0x7fff
	v_or_b32_e32 v77, 0x400000, v55
	v_bfe_u32 v78, v14, 16, 1
	s_wait_alu 0xf1ff
	v_cndmask_b32_e64 v64, v72, v73, s0
	v_cmp_u_f32_e64 s0, v54, v54
	v_add3_u32 v76, v76, v55, 0x7fff
	v_or_b32_e32 v79, 0x400000, v14
	v_add3_u32 v78, v78, v14, 0x7fff
	v_lshrrev_b32_e32 v54, 16, v51
	s_wait_alu 0xf1ff
	v_cndmask_b32_e64 v65, v74, v75, s0
	v_cmp_u_f32_e64 s0, v55, v55
	v_lshrrev_b32_e32 v55, 16, v50
	v_lshrrev_b32_e32 v53, 16, v52
	;; [unrolled: 1-line block ×4, first 2 shown]
	s_wait_alu 0xf1ff
	v_cndmask_b32_e64 v66, v76, v77, s0
	v_cmp_u_f32_e64 s0, v14, v14
	v_lshrrev_b32_e32 v50, 16, v65
	s_delay_alu instid0(VALU_DEP_3) | instskip(SKIP_1) | instid1(VALU_DEP_3)
	v_lshrrev_b32_e32 v14, 16, v66
	s_wait_alu 0xf1ff
	v_cndmask_b32_e64 v67, v78, v79, s0
	s_delay_alu instid0(VALU_DEP_1)
	v_lshrrev_b32_e32 v13, 16, v67
	s_and_saveexec_b32 s0, vcc_lo
	s_cbranch_execz .LBB341_32
; %bb.40:                               ;   in Loop: Header=BB341_33 Depth=1
	v_cmp_gt_i32_e32 vcc_lo, s29, v35
	s_wait_alu 0xfffd
	v_cndmask_b32_e32 v55, 0, v55, vcc_lo
	v_cmp_gt_i32_e32 vcc_lo, s29, v44
	s_wait_alu 0xfffd
	v_cndmask_b32_e32 v54, 0, v54, vcc_lo
	;; [unrolled: 3-line block ×8, first 2 shown]
	s_branch .LBB341_32
.LBB341_41:
	s_or_b32 exec_lo, exec_lo, s4
.LBB341_42:
	s_wait_alu 0xfffe
	s_or_b32 exec_lo, exec_lo, s1
	ds_bpermute_b32 v1, v20, v23
	ds_bpermute_b32 v2, v20, v24
	;; [unrolled: 1-line block ×4, first 2 shown]
	v_lshrrev_b32_e32 v5, 1, v19
	v_lshlrev_b32_e32 v7, 8, v17
	v_and_b32_e32 v10, 0x3c1, v0
	s_mov_b32 s0, exec_lo
	s_wait_storecnt 0x0
	s_wait_loadcnt_dscnt 0x0
	v_lshl_add_u32 v6, v5, 2, 0xa0
	s_barrier_signal -1
	s_barrier_wait -1
	global_inv scope:SCOPE_SE
	v_dual_add_f32 v4, v23, v1 :: v_dual_add_f32 v3, v24, v2
	v_dual_add_f32 v2, v22, v8 :: v_dual_add_f32 v1, v21, v9
	v_cmpx_eq_u32_e32 64, v10
	s_cbranch_execz .LBB341_44
; %bb.43:
	v_add_nc_u32_e32 v8, v6, v7
	s_delay_alu instid0(VALU_DEP_1)
	v_add_nc_u32_e32 v9, 0xfffffe00, v8
	v_add_nc_u32_e32 v10, 0xfffffe40, v8
	;; [unrolled: 1-line block ×4, first 2 shown]
	ds_store_b32 v9, v4
	ds_store_b32 v10, v3
	;; [unrolled: 1-line block ×4, first 2 shown]
.LBB341_44:
	s_wait_alu 0xfffe
	s_or_b32 exec_lo, exec_lo, s0
	v_lshlrev_b32_e32 v5, 2, v5
	s_mov_b32 s1, exec_lo
	v_cmp_eq_u32_e32 vcc_lo, 0, v16
	s_wait_loadcnt_dscnt 0x0
	s_barrier_signal -1
	v_add3_u32 v5, 0xa0, v7, v5
	s_barrier_wait -1
	global_inv scope:SCOPE_SE
	v_cmpx_gt_u32_e32 64, v0
	s_cbranch_execz .LBB341_51
; %bb.45:
	s_and_saveexec_b32 s0, vcc_lo
	s_cbranch_execnz .LBB341_63
; %bb.46:
	s_wait_alu 0xfffe
	s_or_b32 exec_lo, exec_lo, s0
	s_and_saveexec_b32 s0, vcc_lo
	s_cbranch_execnz .LBB341_64
.LBB341_47:
	s_wait_alu 0xfffe
	s_or_b32 exec_lo, exec_lo, s0
	s_and_saveexec_b32 s0, vcc_lo
	s_cbranch_execnz .LBB341_65
.LBB341_48:
	s_wait_alu 0xfffe
	s_or_b32 exec_lo, exec_lo, s0
	s_and_saveexec_b32 s0, vcc_lo
	s_cbranch_execz .LBB341_50
.LBB341_49:
	ds_load_b32 v7, v5 offset:192
	s_wait_dscnt 0x0
	v_add_f32_e32 v1, v1, v7
.LBB341_50:
	s_wait_alu 0xfffe
	s_or_b32 exec_lo, exec_lo, s0
.LBB341_51:
	s_wait_alu 0xfffe
	s_or_b32 exec_lo, exec_lo, s1
	v_and_b32_e32 v7, 0x3e1, v0
	s_mov_b32 s1, exec_lo
	s_wait_loadcnt 0x0
	s_barrier_signal -1
	s_barrier_wait -1
	global_inv scope:SCOPE_SE
	v_cmpx_eq_u32_e32 32, v7
	s_cbranch_execz .LBB341_53
; %bb.52:
	ds_store_2addr_b32 v6, v4, v3 offset1:16
	ds_store_2addr_b32 v6, v2, v1 offset0:32 offset1:48
.LBB341_53:
	s_wait_alu 0xfffe
	s_or_b32 exec_lo, exec_lo, s1
	s_delay_alu instid0(SALU_CYCLE_1)
	s_mov_b32 s1, exec_lo
	s_wait_loadcnt_dscnt 0x0
	s_barrier_signal -1
	s_barrier_wait -1
	global_inv scope:SCOPE_SE
	v_cmpx_gt_u32_e32 32, v0
	s_cbranch_execz .LBB341_60
; %bb.54:
	s_and_saveexec_b32 s0, vcc_lo
	s_cbranch_execnz .LBB341_66
; %bb.55:
	s_wait_alu 0xfffe
	s_or_b32 exec_lo, exec_lo, s0
	s_and_saveexec_b32 s0, vcc_lo
	s_cbranch_execnz .LBB341_67
.LBB341_56:
	s_wait_alu 0xfffe
	s_or_b32 exec_lo, exec_lo, s0
	s_and_saveexec_b32 s0, vcc_lo
	s_cbranch_execnz .LBB341_68
.LBB341_57:
	s_wait_alu 0xfffe
	s_or_b32 exec_lo, exec_lo, s0
	s_and_saveexec_b32 s0, vcc_lo
	s_cbranch_execz .LBB341_59
.LBB341_58:
	ds_load_b32 v0, v5 offset:192
	s_wait_dscnt 0x0
	v_add_f32_e32 v1, v1, v0
.LBB341_59:
	s_wait_alu 0xfffe
	s_or_b32 exec_lo, exec_lo, s0
.LBB341_60:
	s_wait_alu 0xfffe
	s_or_b32 exec_lo, exec_lo, s1
	s_mov_b32 s1, 0
	s_wait_loadcnt 0x0
	s_barrier_signal -1
	s_barrier_wait -1
	global_inv scope:SCOPE_SE
	s_mov_b32 s0, exec_lo
	v_cmpx_eq_u32_e32 0, v7
	s_cbranch_execz .LBB341_62
; %bb.61:
	v_bfe_u32 v0, v4, 16, 1
	v_or_b32_e32 v5, 0x400000, v4
	v_bfe_u32 v7, v3, 16, 1
	v_cmp_u_f32_e32 vcc_lo, v4, v4
	v_bfe_u32 v8, v2, 16, 1
	v_add3_u32 v0, v0, v4, 0x7fff
	s_lshl_b32 s2, s10, 6
	v_bfe_u32 v4, v1, 16, 1
	v_or_b32_e32 v9, 0x400000, v2
	v_add3_u32 v8, v8, v2, 0x7fff
	s_wait_alu 0xfffd
	v_cndmask_b32_e32 v0, v0, v5, vcc_lo
	v_add3_u32 v5, v7, v3, 0x7fff
	v_or_b32_e32 v7, 0x400000, v3
	v_cmp_u_f32_e32 vcc_lo, v3, v3
	s_mul_i32 s4, s16, s20
	s_wait_alu 0xfffe
	s_ashr_i32 s3, s2, 31
	s_ashr_i32 s5, s4, 31
	s_wait_alu 0xfffe
	s_lshl_b64 s[2:3], s[2:3], 1
	s_wait_alu 0xfffd
	v_cndmask_b32_e32 v3, v5, v7, vcc_lo
	v_cmp_u_f32_e32 vcc_lo, v2, v2
	v_add3_u32 v4, v4, v1, 0x7fff
	v_or_b32_e32 v10, 0x400000, v1
	s_lshl_b64 s[4:5], s[4:5], 1
	s_wait_alu 0xfffe
	s_add_nc_u64 s[2:3], s[8:9], s[2:3]
	s_wait_alu 0xfffd
	v_cndmask_b32_e32 v2, v8, v9, vcc_lo
	v_cmp_u_f32_e32 vcc_lo, v1, v1
	v_lshlrev_b32_e32 v6, 1, v15
	s_lshl_b32 s0, s28, 7
	s_wait_alu 0xfffe
	s_add_nc_u64 s[2:3], s[2:3], s[4:5]
	s_wait_alu 0xfffe
	s_add_nc_u64 s[0:1], s[2:3], s[0:1]
	s_wait_alu 0xfffd
	v_cndmask_b32_e32 v1, v4, v10, vcc_lo
	s_clause 0x3
	global_store_d16_hi_b16 v6, v0, s[0:1]
	global_store_d16_hi_b16 v6, v3, s[0:1] offset:32
	global_store_d16_hi_b16 v6, v2, s[0:1] offset:64
	;; [unrolled: 1-line block ×3, first 2 shown]
.LBB341_62:
	s_nop 0
	s_sendmsg sendmsg(MSG_DEALLOC_VGPRS)
	s_endpgm
.LBB341_63:
	ds_load_b32 v7, v5
	s_wait_dscnt 0x0
	v_add_f32_e32 v4, v4, v7
	s_wait_alu 0xfffe
	s_or_b32 exec_lo, exec_lo, s0
	s_and_saveexec_b32 s0, vcc_lo
	s_cbranch_execz .LBB341_47
.LBB341_64:
	ds_load_b32 v7, v5 offset:64
	s_wait_dscnt 0x0
	v_add_f32_e32 v3, v3, v7
	s_wait_alu 0xfffe
	s_or_b32 exec_lo, exec_lo, s0
	s_and_saveexec_b32 s0, vcc_lo
	s_cbranch_execz .LBB341_48
.LBB341_65:
	ds_load_b32 v7, v5 offset:128
	s_wait_dscnt 0x0
	v_add_f32_e32 v2, v2, v7
	s_wait_alu 0xfffe
	s_or_b32 exec_lo, exec_lo, s0
	s_and_saveexec_b32 s0, vcc_lo
	s_cbranch_execnz .LBB341_49
	s_branch .LBB341_50
.LBB341_66:
	ds_load_b32 v0, v5
	s_wait_dscnt 0x0
	v_add_f32_e32 v4, v4, v0
	s_wait_alu 0xfffe
	s_or_b32 exec_lo, exec_lo, s0
	s_and_saveexec_b32 s0, vcc_lo
	s_cbranch_execz .LBB341_56
.LBB341_67:
	ds_load_b32 v0, v5 offset:64
	s_wait_dscnt 0x0
	v_add_f32_e32 v3, v3, v0
	s_wait_alu 0xfffe
	s_or_b32 exec_lo, exec_lo, s0
	s_and_saveexec_b32 s0, vcc_lo
	s_cbranch_execz .LBB341_57
.LBB341_68:
	ds_load_b32 v0, v5 offset:128
	s_wait_dscnt 0x0
	v_add_f32_e32 v2, v2, v0
	s_wait_alu 0xfffe
	s_or_b32 exec_lo, exec_lo, s0
	s_and_saveexec_b32 s0, vcc_lo
	s_cbranch_execnz .LBB341_58
	s_branch .LBB341_59
	.section	.rodata,"a",@progbits
	.p2align	6, 0x0
	.amdhsa_kernel _ZN4vllm25paged_attention_v2_kernelI14__hip_bfloat16hLi64ELi16ELi128ELNS_18Fp8KVCacheDataTypeE1ELb0ELi512EEEvPfS3_PT_PKS4_PKT0_SA_ifPKiSC_iPKfiiiSE_SE_iiiii
		.amdhsa_group_segment_fixed_size 160
		.amdhsa_private_segment_fixed_size 0
		.amdhsa_kernarg_size 400
		.amdhsa_user_sgpr_count 2
		.amdhsa_user_sgpr_dispatch_ptr 0
		.amdhsa_user_sgpr_queue_ptr 0
		.amdhsa_user_sgpr_kernarg_segment_ptr 1
		.amdhsa_user_sgpr_dispatch_id 0
		.amdhsa_user_sgpr_private_segment_size 0
		.amdhsa_wavefront_size32 1
		.amdhsa_uses_dynamic_stack 0
		.amdhsa_enable_private_segment 0
		.amdhsa_system_sgpr_workgroup_id_x 1
		.amdhsa_system_sgpr_workgroup_id_y 1
		.amdhsa_system_sgpr_workgroup_id_z 1
		.amdhsa_system_sgpr_workgroup_info 0
		.amdhsa_system_vgpr_workitem_id 0
		.amdhsa_next_free_vgpr 130
		.amdhsa_next_free_sgpr 39
		.amdhsa_reserve_vcc 1
		.amdhsa_float_round_mode_32 0
		.amdhsa_float_round_mode_16_64 0
		.amdhsa_float_denorm_mode_32 3
		.amdhsa_float_denorm_mode_16_64 3
		.amdhsa_fp16_overflow 0
		.amdhsa_workgroup_processor_mode 1
		.amdhsa_memory_ordered 1
		.amdhsa_forward_progress 1
		.amdhsa_inst_pref_size 94
		.amdhsa_round_robin_scheduling 0
		.amdhsa_exception_fp_ieee_invalid_op 0
		.amdhsa_exception_fp_denorm_src 0
		.amdhsa_exception_fp_ieee_div_zero 0
		.amdhsa_exception_fp_ieee_overflow 0
		.amdhsa_exception_fp_ieee_underflow 0
		.amdhsa_exception_fp_ieee_inexact 0
		.amdhsa_exception_int_div_zero 0
	.end_amdhsa_kernel
	.section	.text._ZN4vllm25paged_attention_v2_kernelI14__hip_bfloat16hLi64ELi16ELi128ELNS_18Fp8KVCacheDataTypeE1ELb0ELi512EEEvPfS3_PT_PKS4_PKT0_SA_ifPKiSC_iPKfiiiSE_SE_iiiii,"axG",@progbits,_ZN4vllm25paged_attention_v2_kernelI14__hip_bfloat16hLi64ELi16ELi128ELNS_18Fp8KVCacheDataTypeE1ELb0ELi512EEEvPfS3_PT_PKS4_PKT0_SA_ifPKiSC_iPKfiiiSE_SE_iiiii,comdat
.Lfunc_end341:
	.size	_ZN4vllm25paged_attention_v2_kernelI14__hip_bfloat16hLi64ELi16ELi128ELNS_18Fp8KVCacheDataTypeE1ELb0ELi512EEEvPfS3_PT_PKS4_PKT0_SA_ifPKiSC_iPKfiiiSE_SE_iiiii, .Lfunc_end341-_ZN4vllm25paged_attention_v2_kernelI14__hip_bfloat16hLi64ELi16ELi128ELNS_18Fp8KVCacheDataTypeE1ELb0ELi512EEEvPfS3_PT_PKS4_PKT0_SA_ifPKiSC_iPKfiiiSE_SE_iiiii
                                        ; -- End function
	.set _ZN4vllm25paged_attention_v2_kernelI14__hip_bfloat16hLi64ELi16ELi128ELNS_18Fp8KVCacheDataTypeE1ELb0ELi512EEEvPfS3_PT_PKS4_PKT0_SA_ifPKiSC_iPKfiiiSE_SE_iiiii.num_vgpr, 130
	.set _ZN4vllm25paged_attention_v2_kernelI14__hip_bfloat16hLi64ELi16ELi128ELNS_18Fp8KVCacheDataTypeE1ELb0ELi512EEEvPfS3_PT_PKS4_PKT0_SA_ifPKiSC_iPKfiiiSE_SE_iiiii.num_agpr, 0
	.set _ZN4vllm25paged_attention_v2_kernelI14__hip_bfloat16hLi64ELi16ELi128ELNS_18Fp8KVCacheDataTypeE1ELb0ELi512EEEvPfS3_PT_PKS4_PKT0_SA_ifPKiSC_iPKfiiiSE_SE_iiiii.numbered_sgpr, 39
	.set _ZN4vllm25paged_attention_v2_kernelI14__hip_bfloat16hLi64ELi16ELi128ELNS_18Fp8KVCacheDataTypeE1ELb0ELi512EEEvPfS3_PT_PKS4_PKT0_SA_ifPKiSC_iPKfiiiSE_SE_iiiii.num_named_barrier, 0
	.set _ZN4vllm25paged_attention_v2_kernelI14__hip_bfloat16hLi64ELi16ELi128ELNS_18Fp8KVCacheDataTypeE1ELb0ELi512EEEvPfS3_PT_PKS4_PKT0_SA_ifPKiSC_iPKfiiiSE_SE_iiiii.private_seg_size, 0
	.set _ZN4vllm25paged_attention_v2_kernelI14__hip_bfloat16hLi64ELi16ELi128ELNS_18Fp8KVCacheDataTypeE1ELb0ELi512EEEvPfS3_PT_PKS4_PKT0_SA_ifPKiSC_iPKfiiiSE_SE_iiiii.uses_vcc, 1
	.set _ZN4vllm25paged_attention_v2_kernelI14__hip_bfloat16hLi64ELi16ELi128ELNS_18Fp8KVCacheDataTypeE1ELb0ELi512EEEvPfS3_PT_PKS4_PKT0_SA_ifPKiSC_iPKfiiiSE_SE_iiiii.uses_flat_scratch, 0
	.set _ZN4vllm25paged_attention_v2_kernelI14__hip_bfloat16hLi64ELi16ELi128ELNS_18Fp8KVCacheDataTypeE1ELb0ELi512EEEvPfS3_PT_PKS4_PKT0_SA_ifPKiSC_iPKfiiiSE_SE_iiiii.has_dyn_sized_stack, 0
	.set _ZN4vllm25paged_attention_v2_kernelI14__hip_bfloat16hLi64ELi16ELi128ELNS_18Fp8KVCacheDataTypeE1ELb0ELi512EEEvPfS3_PT_PKS4_PKT0_SA_ifPKiSC_iPKfiiiSE_SE_iiiii.has_recursion, 0
	.set _ZN4vllm25paged_attention_v2_kernelI14__hip_bfloat16hLi64ELi16ELi128ELNS_18Fp8KVCacheDataTypeE1ELb0ELi512EEEvPfS3_PT_PKS4_PKT0_SA_ifPKiSC_iPKfiiiSE_SE_iiiii.has_indirect_call, 0
	.section	.AMDGPU.csdata,"",@progbits
; Kernel info:
; codeLenInByte = 11932
; TotalNumSgprs: 41
; NumVgprs: 130
; ScratchSize: 0
; MemoryBound: 0
; FloatMode: 240
; IeeeMode: 1
; LDSByteSize: 160 bytes/workgroup (compile time only)
; SGPRBlocks: 0
; VGPRBlocks: 16
; NumSGPRsForWavesPerEU: 41
; NumVGPRsForWavesPerEU: 130
; Occupancy: 10
; WaveLimiterHint : 1
; COMPUTE_PGM_RSRC2:SCRATCH_EN: 0
; COMPUTE_PGM_RSRC2:USER_SGPR: 2
; COMPUTE_PGM_RSRC2:TRAP_HANDLER: 0
; COMPUTE_PGM_RSRC2:TGID_X_EN: 1
; COMPUTE_PGM_RSRC2:TGID_Y_EN: 1
; COMPUTE_PGM_RSRC2:TGID_Z_EN: 1
; COMPUTE_PGM_RSRC2:TIDIG_COMP_CNT: 0
	.section	.text._ZN4vllm25paged_attention_v2_kernelI14__hip_bfloat16hLi80ELi16ELi128ELNS_18Fp8KVCacheDataTypeE1ELb0ELi512EEEvPfS3_PT_PKS4_PKT0_SA_ifPKiSC_iPKfiiiSE_SE_iiiii,"axG",@progbits,_ZN4vllm25paged_attention_v2_kernelI14__hip_bfloat16hLi80ELi16ELi128ELNS_18Fp8KVCacheDataTypeE1ELb0ELi512EEEvPfS3_PT_PKS4_PKT0_SA_ifPKiSC_iPKfiiiSE_SE_iiiii,comdat
	.protected	_ZN4vllm25paged_attention_v2_kernelI14__hip_bfloat16hLi80ELi16ELi128ELNS_18Fp8KVCacheDataTypeE1ELb0ELi512EEEvPfS3_PT_PKS4_PKT0_SA_ifPKiSC_iPKfiiiSE_SE_iiiii ; -- Begin function _ZN4vllm25paged_attention_v2_kernelI14__hip_bfloat16hLi80ELi16ELi128ELNS_18Fp8KVCacheDataTypeE1ELb0ELi512EEEvPfS3_PT_PKS4_PKT0_SA_ifPKiSC_iPKfiiiSE_SE_iiiii
	.globl	_ZN4vllm25paged_attention_v2_kernelI14__hip_bfloat16hLi80ELi16ELi128ELNS_18Fp8KVCacheDataTypeE1ELb0ELi512EEEvPfS3_PT_PKS4_PKT0_SA_ifPKiSC_iPKfiiiSE_SE_iiiii
	.p2align	8
	.type	_ZN4vllm25paged_attention_v2_kernelI14__hip_bfloat16hLi80ELi16ELi128ELNS_18Fp8KVCacheDataTypeE1ELb0ELi512EEEvPfS3_PT_PKS4_PKT0_SA_ifPKiSC_iPKfiiiSE_SE_iiiii,@function
_ZN4vllm25paged_attention_v2_kernelI14__hip_bfloat16hLi80ELi16ELi128ELNS_18Fp8KVCacheDataTypeE1ELb0ELi512EEEvPfS3_PT_PKS4_PKT0_SA_ifPKiSC_iPKfiiiSE_SE_iiiii: ; @_ZN4vllm25paged_attention_v2_kernelI14__hip_bfloat16hLi80ELi16ELi128ELNS_18Fp8KVCacheDataTypeE1ELb0ELi512EEEvPfS3_PT_PKS4_PKT0_SA_ifPKiSC_iPKfiiiSE_SE_iiiii
; %bb.0:
	s_load_b64 s[2:3], s[0:1], 0x40
	s_and_b32 s48, ttmp7, 0xffff
	s_lshr_b32 s33, ttmp7, 16
	s_lshl_b32 s4, s48, 2
	s_lshl_b32 s47, s33, 9
	s_wait_kmcnt 0x0
	s_load_b32 s46, s[2:3], s4 offset:0x0
	s_wait_kmcnt 0x0
	s_cmp_ge_i32 s47, s46
	s_cbranch_scc1 .LBB342_66
; %bb.1:
	s_clause 0x1
	s_load_b32 s49, s[0:1], 0x90
	s_load_b64 s[44:45], s[0:1], 0x30
	s_wait_kmcnt 0x0
	s_abs_i32 s5, s49
	s_abs_i32 s2, s44
	s_delay_alu instid0(SALU_CYCLE_1) | instskip(SKIP_1) | instid1(SALU_CYCLE_2)
	s_cvt_f32_u32 s3, s2
	s_sub_co_i32 s4, 0, s2
	v_rcp_iflag_f32_e32 v1, s3
	s_delay_alu instid0(TRANS32_DEP_1) | instskip(SKIP_2) | instid1(SALU_CYCLE_2)
	v_readfirstlane_b32 s3, v1
	s_mul_f32 s3, s3, 0x4f7ffffe
	s_wait_alu 0xfffe
	s_cvt_u32_f32 s3, s3
	s_wait_alu 0xfffe
	s_delay_alu instid0(SALU_CYCLE_2) | instskip(NEXT) | instid1(SALU_CYCLE_1)
	s_mul_i32 s4, s4, s3
	s_mul_hi_u32 s4, s3, s4
	s_delay_alu instid0(SALU_CYCLE_1)
	s_add_co_i32 s3, s3, s4
	s_xor_b32 s4, s49, s44
	s_wait_alu 0xfffe
	s_mul_hi_u32 s3, s5, s3
	s_ashr_i32 s4, s4, 31
	s_wait_alu 0xfffe
	s_mul_i32 s6, s3, s2
	s_delay_alu instid0(SALU_CYCLE_1)
	s_sub_co_i32 s5, s5, s6
	s_add_co_i32 s6, s3, 1
	s_sub_co_i32 s7, s5, s2
	s_cmp_ge_u32 s5, s2
	s_cselect_b32 s3, s6, s3
	s_cselect_b32 s5, s7, s5
	s_wait_alu 0xfffe
	s_add_co_i32 s6, s3, 1
	s_cmp_ge_u32 s5, s2
	s_cselect_b32 s2, s6, s3
	s_load_b64 s[6:7], s[0:1], 0x50
	s_xor_b32 s2, s2, s4
	s_mov_b32 s3, 0
	s_wait_alu 0xfffe
	s_sub_co_i32 s9, s2, s4
	s_mov_b32 s51, s3
	s_abs_i32 s8, s9
	s_delay_alu instid0(SALU_CYCLE_1) | instskip(SKIP_1) | instid1(SALU_CYCLE_2)
	s_cvt_f32_u32 s2, s8
	s_wait_alu 0xfffe
	v_rcp_iflag_f32_e32 v1, s2
	s_delay_alu instid0(TRANS32_DEP_1) | instskip(SKIP_2) | instid1(SALU_CYCLE_2)
	v_readfirstlane_b32 s2, v1
	s_mul_f32 s2, s2, 0x4f7ffffe
	s_wait_alu 0xfffe
	s_cvt_u32_f32 s4, s2
	s_sub_co_i32 s2, 0, s8
	s_wait_alu 0xfffe
	s_delay_alu instid0(SALU_CYCLE_1)
	s_mul_i32 s2, s2, s4
	s_wait_alu 0xfffe
	s_mul_hi_u32 s5, s4, s2
	s_abs_i32 s2, ttmp9
	s_add_co_i32 s4, s4, s5
	s_mov_b32 s5, s3
	s_wait_kmcnt 0x0
	s_cmp_eq_u64 s[6:7], 0
	s_cbranch_scc1 .LBB342_3
; %bb.2:
	s_mov_b32 s10, ttmp9
	s_ashr_i32 s11, ttmp9, 31
	s_delay_alu instid0(SALU_CYCLE_1) | instskip(NEXT) | instid1(SALU_CYCLE_1)
	s_lshl_b64 s[10:11], s[10:11], 2
	s_add_nc_u64 s[6:7], s[6:7], s[10:11]
	s_load_b32 s51, s[6:7], 0x0
.LBB342_3:
	s_load_b96 s[36:38], s[0:1], 0x58
	v_lshrrev_b32_e32 v15, 1, v0
	v_and_b32_e32 v16, 1, v0
	v_lshlrev_b32_e32 v5, 3, v0
	s_mul_u64 s[4:5], s[2:3], s[4:5]
	s_ashr_i32 s3, ttmp9, 31
	s_ashr_i32 s4, s9, 31
	s_mul_i32 s34, ttmp9, 0x50
	s_mov_b32 s6, exec_lo
	v_cmpx_gt_u32_e32 20, v0
	s_cbranch_execz .LBB342_5
; %bb.4:
	s_load_b64 s[10:11], s[0:1], 0x18
	s_wait_kmcnt 0x0
	s_mul_i32 s12, s36, s48
	s_ashr_i32 s35, s34, 31
	s_ashr_i32 s13, s12, 31
	v_lshlrev_b32_e32 v3, 3, v15
	s_lshl_b64 s[12:13], s[12:13], 1
	s_delay_alu instid0(VALU_DEP_1) | instskip(SKIP_2) | instid1(SALU_CYCLE_1)
	v_mad_u32_u24 v3, 0x50, v16, v3
	s_add_nc_u64 s[10:11], s[10:11], s[12:13]
	s_lshl_b64 s[12:13], s[34:35], 1
	s_add_nc_u64 s[10:11], s[10:11], s[12:13]
	global_load_b64 v[1:2], v5, s[10:11]
	s_wait_loadcnt 0x0
	ds_store_b64 v3, v[1:2]
.LBB342_5:
	s_or_b32 exec_lo, exec_lo, s6
	s_add_co_i32 s6, s46, 15
	s_wait_alu 0xfffe
	s_xor_b32 s3, s3, s4
	s_ashr_i32 s7, s6, 31
	s_lshl_b32 s50, s33, 5
	s_lshr_b32 s4, s7, 28
	s_mul_i32 s7, s5, s8
	s_add_co_i32 s6, s6, s4
	s_add_co_i32 s4, s50, 32
	s_ashr_i32 s44, s6, 4
	s_load_b32 s6, s[0:1], 0x48
	s_sub_co_i32 s2, s2, s7
	s_wait_kmcnt 0x0
	s_min_i32 s36, s4, s44
	s_add_co_i32 s4, s5, 1
	s_wait_alu 0xfffe
	s_sub_co_i32 s7, s2, s8
	s_cmp_ge_u32 s2, s8
	v_lshrrev_b32_e32 v17, 5, v0
	s_cselect_b32 s4, s4, s5
	s_cselect_b32 s2, s7, s2
	s_add_co_i32 s5, s4, 1
	s_wait_alu 0xfffe
	s_cmp_ge_u32 s2, s8
	v_or_b32_e32 v18, s50, v17
	s_cselect_b32 s2, s5, s4
	v_mbcnt_lo_u32_b32 v7, -1, 0
	s_wait_alu 0xfffe
	s_xor_b32 s2, s2, s3
	s_mov_b32 s4, exec_lo
	s_wait_alu 0xfffe
	s_sub_co_i32 s3, s2, s3
	v_cmp_gt_i32_e64 s2, s36, v18
	s_wait_dscnt 0x0
	s_barrier_signal -1
	s_mul_i32 s40, s6, s48
	s_barrier_wait -1
	s_ashr_i32 s41, s40, 31
	global_inv scope:SCOPE_SE
                                        ; implicit-def: $vgpr8
                                        ; implicit-def: $vgpr9
	v_cmpx_le_i32_e64 s36, v18
	s_xor_b32 s4, exec_lo, s4
; %bb.6:
	v_dual_mov_b32 v8, 0 :: v_dual_mov_b32 v9, 32
	v_mbcnt_lo_u32_b32 v7, -1, 0
; %bb.7:
	s_or_saveexec_b32 s52, s4
	s_clause 0x2
	s_load_b32 s35, s[0:1], 0x98
	s_load_b64 s[42:43], s[0:1], 0x38
	s_load_b128 s[28:31], s[0:1], 0x68
	v_dual_mov_b32 v49, 0xff7fffff :: v_dual_lshlrev_b32 v6, 2, v18
	s_mul_i32 s38, s3, s38
	s_xor_b32 exec_lo, exec_lo, s52
	s_cbranch_execz .LBB342_13
; %bb.8:
	v_mul_u32_u24_e32 v9, 0x50, v16
	s_load_b64 s[4:5], s[0:1], 0x20
	v_bfe_u32 v49, v0, 1, 4
	s_ashr_i32 s39, s38, 31
	s_cmp_neq_f32 s51, 0
	ds_load_b128 v[1:4], v9
	ds_load_b128 v[26:29], v9 offset:16
	v_lshlrev_b32_e32 v10, 4, v49
	v_mov_b32_e32 v8, 0
	ds_load_b128 v[34:37], v9 offset:32
	ds_load_b128 v[42:45], v9 offset:48
	s_wait_kmcnt 0x0
	s_load_b32 s29, s[28:29], 0x0
	s_mov_b32 s53, s37
	s_add_nc_u64 s[4:5], s[4:5], s[38:39]
	s_mov_b32 s39, 0
	v_add_co_u32 v57, s3, s4, v10
	s_wait_dscnt 0x3
	v_lshlrev_b32_e32 v10, 16, v1
	v_and_b32_e32 v11, 0xffff0000, v1
	v_lshlrev_b32_e32 v12, 16, v2
	v_and_b32_e32 v13, 0xffff0000, v2
	;; [unrolled: 2-line block ×4, first 2 shown]
	ds_load_b128 v[1:4], v9 offset:64
	s_wait_alu 0xf1ff
	v_add_co_ci_u32_e64 v58, null, s5, 0, s3
	s_cselect_b32 s3, -1, 0
	s_wait_dscnt 0x3
	v_lshlrev_b32_e32 v22, 16, v26
	v_and_b32_e32 v23, 0xffff0000, v26
	v_lshlrev_b32_e32 v24, 16, v27
	v_and_b32_e32 v25, 0xffff0000, v27
	;; [unrolled: 2-line block ×4, first 2 shown]
	s_wait_dscnt 0x2
	v_lshlrev_b32_e32 v30, 16, v34
	v_and_b32_e32 v31, 0xffff0000, v34
	v_lshlrev_b32_e32 v32, 16, v35
	v_and_b32_e32 v33, 0xffff0000, v35
	;; [unrolled: 2-line block ×4, first 2 shown]
	s_wait_dscnt 0x0
	v_lshlrev_b32_e32 v46, 16, v1
	v_and_b32_e32 v47, 0xffff0000, v1
	v_xor_b32_e32 v1, 1, v7
	v_lshlrev_b32_e32 v53, 16, v4
	v_and_b32_e32 v54, 0xffff0000, v4
	v_lshlrev_b32_e32 v51, 16, v3
	v_and_b32_e32 v52, 0xffff0000, v3
	v_cmp_gt_i32_e32 vcc_lo, 32, v1
	v_lshlrev_b32_e32 v56, 2, v16
	v_lshlrev_b32_e32 v3, 4, v17
	;; [unrolled: 1-line block ×3, first 2 shown]
	v_dual_cndmask_b32 v1, v7, v1 :: v_dual_and_b32 v50, 0xffff0000, v2
	v_lshlrev_b32_e32 v38, 16, v42
	v_and_b32_e32 v39, 0xffff0000, v42
	v_lshlrev_b32_e32 v40, 16, v43
	v_and_b32_e32 v41, 0xffff0000, v43
	v_lshlrev_b32_e32 v55, 2, v1
	v_lshlrev_b32_e32 v1, 2, v49
	;; [unrolled: 1-line block ×3, first 2 shown]
	v_and_b32_e32 v43, 0xffff0000, v44
	v_lshlrev_b32_e32 v44, 16, v45
	v_and_b32_e32 v45, 0xffff0000, v45
	v_lshl_or_b32 v4, v17, 6, v1
	v_add_co_u32 v1, s4, v57, v56
	s_wait_alu 0xf1ff
	v_add_co_ci_u32_e64 v2, null, 0, v58, s4
	s_lshl_b64 s[4:5], s[40:41], 2
	v_add3_u32 v56, s47, v3, v49
	s_wait_alu 0xfffe
	s_add_nc_u64 s[4:5], s[42:43], s[4:5]
	v_mov_b32_e32 v9, 32
	s_wait_alu 0xfffe
	v_add_co_u32 v3, s4, s4, v6
	v_add_nc_u32_e32 v57, 0xc0, v4
	s_wait_alu 0xf1ff
	v_add_co_ci_u32_e64 v4, null, s5, 0, s4
	v_dual_mov_b32 v49, 0xff7fffff :: v_dual_mov_b32 v58, v18
	s_sub_co_i32 s54, 1, s46
	v_cmp_eq_u32_e32 vcc_lo, 0, v16
	s_branch .LBB342_10
.LBB342_9:                              ;   in Loop: Header=BB342_10 Depth=1
	s_wait_alu 0xfffe
	s_or_b32 exec_lo, exec_lo, s5
	v_add_nc_u32_e32 v58, 4, v58
	v_add_co_u32 v3, s5, v3, 16
	v_add_nc_u32_e32 v56, 64, v56
	v_add_nc_u32_e32 v57, 0x100, v57
	s_delay_alu instid0(VALU_DEP_4) | instskip(SKIP_3) | instid1(SALU_CYCLE_1)
	v_cmp_le_i32_e64 s4, s36, v58
	s_wait_alu 0xf1ff
	v_add_co_ci_u32_e64 v4, null, 0, v4, s5
	s_or_b32 s39, s4, s39
	s_and_not1_b32 exec_lo, exec_lo, s39
	s_cbranch_execz .LBB342_12
.LBB342_10:                             ; =>This Inner Loop Header: Depth=1
	global_load_b32 v59, v[3:4], off
	s_wait_loadcnt_dscnt 0x0
	v_mad_co_i64_i32 v[59:60], null, v59, s53, v[1:2]
	s_clause 0x9
	global_load_b32 v80, v[59:60], off
	global_load_b32 v82, v[59:60], off offset:8
	global_load_b32 v85, v[59:60], off offset:256
	;; [unrolled: 1-line block ×9, first 2 shown]
	s_wait_loadcnt 0x9
	v_bfe_u32 v79, v80, 8, 8
	v_bfe_u32 v61, v80, 16, 8
	s_wait_loadcnt 0x8
	v_bfe_u32 v62, v82, 8, 8
	v_lshrrev_b32_e32 v63, 24, v82
	s_wait_loadcnt 0x7
	v_bfe_u32 v64, v85, 16, 8
	v_cvt_f32_fp8_e32 v79, v79
	v_and_b32_e32 v60, 0xff, v80
	v_lshrrev_b32_e32 v80, 24, v80
	s_wait_loadcnt 0x5
	v_bfe_u32 v67, v90, 16, 8
	v_bfe_u32 v84, v85, 8, 8
	v_cvt_f32_fp8_e32 v62, v62
	v_bfe_u32 v65, v87, 8, 8
	v_cvt_f32_fp8_e32 v80, v80
	v_and_b32_e32 v81, 0xff, v82
	v_bfe_u32 v82, v82, 16, 8
	v_lshrrev_b32_e32 v66, 24, v87
	s_wait_loadcnt 0x4
	v_bfe_u32 v68, v92, 8, 8
	s_wait_kmcnt 0x0
	v_dual_mul_f32 v62, s29, v62 :: v_dual_and_b32 v83, 0xff, v85
	v_lshrrev_b32_e32 v85, 24, v85
	v_bfe_u32 v89, v90, 8, 8
	s_wait_loadcnt 0x3
	v_bfe_u32 v96, v93, 8, 8
	v_cvt_f32_fp8_e32 v61, v61
	v_and_b32_e32 v86, 0xff, v87
	v_bfe_u32 v87, v87, 16, 8
	v_cvt_f32_fp8_e32 v63, v63
	v_cvt_f32_fp8_e32 v64, v64
	v_cvt_f32_fp8_e32 v67, v67
	v_cvt_f32_fp8_e32 v82, v82
	v_and_b32_e32 v91, 0xff, v92
	v_cvt_f32_fp8_e32 v84, v84
	v_and_b32_e32 v95, 0xff, v93
	v_mul_f32_e32 v79, s29, v79
	v_cvt_f32_fp8_e32 v60, v60
	v_mul_f32_e32 v80, s29, v80
	v_cvt_f32_fp8_e32 v81, v81
	v_and_b32_e32 v88, 0xff, v90
	v_lshrrev_b32_e32 v90, 24, v90
	v_lshrrev_b32_e32 v69, 24, v92
	;; [unrolled: 1-line block ×3, first 2 shown]
	s_wait_loadcnt 0x1
	v_dual_mul_f32 v63, s29, v63 :: v_dual_and_b32 v74, 0xff, v77
	s_wait_loadcnt 0x0
	v_dual_mul_f32 v60, s29, v60 :: v_dual_and_b32 v59, 0xff, v78
	v_bfe_u32 v92, v92, 16, 8
	v_bfe_u32 v93, v93, 16, 8
	v_cvt_f32_fp8_e32 v65, v65
	v_cvt_f32_fp8_e32 v68, v68
	;; [unrolled: 1-line block ×6, first 2 shown]
	v_mul_f32_e32 v61, s29, v61
	v_cvt_f32_fp8_e32 v86, v86
	v_mul_f32_e32 v82, s29, v82
	v_cvt_f32_fp8_e32 v91, v91
	;; [unrolled: 2-line block ×3, first 2 shown]
	v_dual_mul_f32 v64, s29, v64 :: v_dual_mul_f32 v85, s29, v85
	v_dual_mul_f32 v67, s29, v67 :: v_dual_mul_f32 v90, s29, v90
	v_bfe_u32 v108, v62, 16, 1
	v_cvt_f32_fp8_e32 v66, v66
	v_cvt_f32_fp8_e32 v69, v69
	;; [unrolled: 1-line block ×5, first 2 shown]
	v_mul_f32_e32 v81, s29, v81
	v_cvt_f32_fp8_e32 v88, v88
	v_dual_mul_f32 v86, s29, v86 :: v_dual_mul_f32 v65, s29, v65
	v_dual_mul_f32 v87, s29, v87 :: v_dual_mul_f32 v66, s29, v66
	;; [unrolled: 1-line block ×4, first 2 shown]
	v_bfe_u32 v99, v60, 16, 1
	v_or_b32_e32 v110, 0x400000, v62
	v_bfe_u32 v112, v63, 16, 1
	v_bfe_u32 v116, v84, 16, 1
	;; [unrolled: 1-line block ×3, first 2 shown]
	v_add3_u32 v108, v108, v62, 0x7fff
	v_cmp_u_f32_e64 s9, v62, v62
	v_bfe_u32 v62, v67, 16, 1
	v_bfe_u32 v71, v94, 8, 8
	;; [unrolled: 1-line block ×3, first 2 shown]
	v_lshrrev_b32_e32 v73, 24, v94
	v_cvt_f32_fp8_e32 v70, v70
	v_cvt_f32_fp8_e32 v83, v83
	v_and_b32_e32 v94, 0xff, v94
	v_dual_mul_f32 v88, s29, v88 :: v_dual_mul_f32 v89, s29, v89
	v_dual_mul_f32 v92, s29, v92 :: v_dual_mul_f32 v69, s29, v69
	;; [unrolled: 1-line block ×3, first 2 shown]
	v_bfe_u32 v100, v79, 16, 1
	v_or_b32_e32 v101, 0x400000, v60
	v_bfe_u32 v103, v61, 16, 1
	v_or_b32_e32 v114, 0x400000, v63
	v_or_b32_e32 v118, 0x400000, v84
	v_bfe_u32 v120, v85, 16, 1
	v_or_b32_e32 v121, 0x400000, v64
	v_bfe_u32 v123, v86, 16, 1
	v_bfe_u32 v124, v65, 16, 1
	;; [unrolled: 1-line block ×3, first 2 shown]
	v_add3_u32 v99, v99, v60, 0x7fff
	v_cmp_u_f32_e64 s4, v60, v60
	v_add3_u32 v112, v112, v63, 0x7fff
	v_cmp_u_f32_e64 s11, v63, v63
	v_or_b32_e32 v63, 0x400000, v67
	v_add3_u32 v116, v116, v84, 0x7fff
	v_cmp_u_f32_e64 s13, v84, v84
	v_bfe_u32 v84, v91, 16, 1
	v_add3_u32 v119, v119, v64, 0x7fff
	v_cmp_u_f32_e64 s14, v64, v64
	v_bfe_u32 v64, v68, 16, 1
	;; [unrolled: 3-line block ×3, first 2 shown]
	v_mul_f32_e32 v83, s29, v83
	v_cvt_f32_fp8_e32 v94, v94
	v_or_b32_e32 v102, 0x400000, v79
	v_bfe_u32 v104, v80, 16, 1
	v_or_b32_e32 v105, 0x400000, v61
	v_bfe_u32 v107, v81, 16, 1
	v_bfe_u32 v111, v82, 16, 1
	v_or_b32_e32 v122, 0x400000, v85
	v_or_b32_e32 v125, 0x400000, v86
	v_or_b32_e32 v126, 0x400000, v65
	v_bfe_u32 v128, v66, 16, 1
	v_or_b32_e32 v129, 0x400000, v87
	v_add3_u32 v100, v100, v79, 0x7fff
	v_cmp_u_f32_e64 s5, v79, v79
	v_bfe_u32 v79, v88, 16, 1
	v_add3_u32 v103, v103, v61, 0x7fff
	v_cmp_u_f32_e64 s6, v61, v61
	v_bfe_u32 v61, v89, 16, 1
	v_add3_u32 v120, v120, v85, 0x7fff
	v_cmp_u_f32_e64 s15, v85, v85
	v_or_b32_e32 v85, 0x400000, v91
	v_add3_u32 v123, v123, v86, 0x7fff
	v_cmp_u_f32_e64 s16, v86, v86
	v_or_b32_e32 v86, 0x400000, v68
	v_add3_u32 v124, v124, v65, 0x7fff
	v_cmp_u_f32_e64 s17, v65, v65
	v_bfe_u32 v65, v92, 16, 1
	v_add3_u32 v127, v127, v87, 0x7fff
	v_cmp_u_f32_e64 s18, v87, v87
	v_bfe_u32 v87, v69, 16, 1
	v_add3_u32 v84, v84, v91, 0x7fff
	v_cmp_u_f32_e64 s24, v91, v91
	v_or_b32_e32 v91, 0x400000, v96
	v_add3_u32 v64, v64, v68, 0x7fff
	v_cmp_u_f32_e64 s25, v68, v68
	v_bfe_u32 v68, v93, 16, 1
	s_wait_alu 0xf1ff
	v_cndmask_b32_e64 v99, v99, v101, s4
	v_add3_u32 v67, v67, v96, 0x7fff
	v_cmp_u_f32_e64 s4, v96, v96
	v_cvt_f32_fp8_e32 v71, v71
	v_mul_f32_e32 v94, s29, v94
	v_or_b32_e32 v106, 0x400000, v80
	v_or_b32_e32 v109, 0x400000, v81
	;; [unrolled: 1-line block ×3, first 2 shown]
	v_bfe_u32 v115, v83, 16, 1
	v_or_b32_e32 v60, 0x400000, v66
	v_add3_u32 v104, v104, v80, 0x7fff
	v_cmp_u_f32_e64 s7, v80, v80
	v_or_b32_e32 v80, 0x400000, v88
	v_add3_u32 v107, v107, v81, 0x7fff
	v_cmp_u_f32_e64 s8, v81, v81
	;; [unrolled: 3-line block ×3, first 2 shown]
	v_bfe_u32 v82, v90, 16, 1
	v_add3_u32 v128, v128, v66, 0x7fff
	v_cmp_u_f32_e64 s19, v66, v66
	v_or_b32_e32 v66, 0x400000, v92
	v_add3_u32 v79, v79, v88, 0x7fff
	v_cmp_u_f32_e64 s20, v88, v88
	v_or_b32_e32 v88, 0x400000, v69
	v_add3_u32 v61, v61, v89, 0x7fff
	v_cmp_u_f32_e64 s21, v89, v89
	v_bfe_u32 v89, v95, 16, 1
	v_add3_u32 v65, v65, v92, 0x7fff
	v_cmp_u_f32_e64 s26, v92, v92
	v_bfe_u32 v92, v70, 16, 1
	v_add3_u32 v87, v87, v69, 0x7fff
	v_cmp_u_f32_e64 s27, v69, v69
	v_or_b32_e32 v69, 0x400000, v93
	v_add3_u32 v68, v68, v93, 0x7fff
	s_wait_alu 0xf1ff
	v_cndmask_b32_e64 v67, v67, v91, s4
	v_cmp_u_f32_e64 s4, v93, v93
	v_cvt_f32_fp8_e32 v72, v72
	v_mul_f32_e32 v71, s29, v71
	v_or_b32_e32 v117, 0x400000, v83
	v_add3_u32 v115, v115, v83, 0x7fff
	v_cmp_u_f32_e64 s12, v83, v83
	v_or_b32_e32 v83, 0x400000, v90
	v_add3_u32 v82, v82, v90, 0x7fff
	v_cmp_u_f32_e64 s23, v90, v90
	;; [unrolled: 3-line block ×3, first 2 shown]
	v_or_b32_e32 v95, 0x400000, v70
	v_bfe_u32 v101, v94, 16, 1
	v_add3_u32 v92, v92, v70, 0x7fff
	s_wait_alu 0xf1ff
	v_cndmask_b32_e64 v68, v68, v69, s4
	v_cmp_u_f32_e64 s4, v70, v70
	v_cvt_f32_fp8_e32 v73, v73
	v_mul_f32_e32 v72, s29, v72
	v_cndmask_b32_e64 v100, v100, v102, s5
	v_bfe_u32 v102, v71, 16, 1
	v_cndmask_b32_e64 v103, v103, v105, s6
	v_or_b32_e32 v105, 0x400000, v94
	v_add3_u32 v101, v101, v94, 0x7fff
	s_wait_alu 0xf1ff
	v_cndmask_b32_e64 v69, v92, v95, s4
	v_cmp_u_f32_e64 s4, v94, v94
	v_bfe_u32 v75, v77, 8, 8
	v_cvt_f32_fp8_e32 v74, v74
	v_mul_f32_e32 v73, s29, v73
	v_cndmask_b32_e64 v104, v104, v106, s7
	v_or_b32_e32 v106, 0x400000, v71
	v_cndmask_b32_e64 v107, v107, v109, s8
	v_bfe_u32 v109, v72, 16, 1
	v_add3_u32 v102, v102, v71, 0x7fff
	s_wait_alu 0xf1ff
	v_cndmask_b32_e64 v70, v101, v105, s4
	v_cmp_u_f32_e64 s4, v71, v71
	v_bfe_u32 v76, v77, 16, 8
	v_cvt_f32_fp8_e32 v75, v75
	v_mul_f32_e32 v74, s29, v74
	v_cndmask_b32_e64 v108, v108, v110, s9
	v_bfe_u32 v110, v73, 16, 1
	v_cndmask_b32_e64 v111, v111, v113, s10
	v_or_b32_e32 v113, 0x400000, v72
	v_add3_u32 v109, v109, v72, 0x7fff
	s_wait_alu 0xf1ff
	v_cndmask_b32_e64 v71, v102, v106, s4
	v_cmp_u_f32_e64 s4, v72, v72
	v_lshrrev_b32_e32 v77, 24, v77
	v_cvt_f32_fp8_e32 v76, v76
	v_mul_f32_e32 v75, s29, v75
	v_cndmask_b32_e64 v112, v112, v114, s11
	v_or_b32_e32 v114, 0x400000, v73
	v_cndmask_b32_e64 v115, v115, v117, s12
	v_bfe_u32 v117, v74, 16, 1
	v_add3_u32 v110, v110, v73, 0x7fff
	s_wait_alu 0xf1ff
	v_cndmask_b32_e64 v72, v109, v113, s4
	v_cmp_u_f32_e64 s4, v73, v73
	v_cvt_f32_fp8_e32 v77, v77
	v_mul_f32_e32 v76, s29, v76
	v_cndmask_b32_e64 v116, v116, v118, s13
	v_bfe_u32 v118, v75, 16, 1
	v_cndmask_b32_e64 v119, v119, v121, s14
	v_or_b32_e32 v121, 0x400000, v74
	v_add3_u32 v117, v117, v74, 0x7fff
	s_wait_alu 0xf1ff
	v_cndmask_b32_e64 v73, v110, v114, s4
	v_cmp_u_f32_e64 s4, v74, v74
	v_bfe_u32 v97, v78, 8, 8
	v_bfe_u32 v98, v78, 16, 8
	v_cvt_f32_fp8_e32 v59, v59
	v_mul_f32_e32 v77, s29, v77
	v_cndmask_b32_e64 v120, v120, v122, s15
	v_or_b32_e32 v122, 0x400000, v75
	v_cndmask_b32_e64 v123, v123, v125, s16
	v_bfe_u32 v125, v76, 16, 1
	v_add3_u32 v118, v118, v75, 0x7fff
	s_wait_alu 0xf1ff
	v_cndmask_b32_e64 v74, v117, v121, s4
	v_cmp_u_f32_e64 s4, v75, v75
	v_lshrrev_b32_e32 v78, 24, v78
	v_cvt_f32_fp8_e32 v97, v97
	v_cvt_f32_fp8_e32 v98, v98
	v_mul_f32_e32 v59, s29, v59
	v_cndmask_b32_e64 v124, v124, v126, s17
	v_bfe_u32 v126, v77, 16, 1
	v_cndmask_b32_e64 v127, v127, v129, s18
	v_or_b32_e32 v129, 0x400000, v76
	v_add3_u32 v125, v125, v76, 0x7fff
	s_wait_alu 0xf1ff
	v_cndmask_b32_e64 v75, v118, v122, s4
	v_cmp_u_f32_e64 s4, v76, v76
	v_cvt_f32_fp8_e32 v78, v78
	v_dual_mul_f32 v97, s29, v97 :: v_dual_mul_f32 v98, s29, v98
	v_cndmask_b32_e64 v60, v128, v60, s19
	v_or_b32_e32 v128, 0x400000, v77
	v_cndmask_b32_e64 v79, v79, v80, s20
	v_bfe_u32 v80, v59, 16, 1
	v_add3_u32 v126, v126, v77, 0x7fff
	s_wait_alu 0xf1ff
	v_cndmask_b32_e64 v76, v125, v129, s4
	v_cmp_u_f32_e64 s4, v77, v77
	v_mul_f32_e32 v78, s29, v78
	v_cndmask_b32_e64 v61, v61, v81, s21
	v_or_b32_e32 v81, 0x400000, v59
	v_cndmask_b32_e64 v62, v62, v63, s22
	v_bfe_u32 v63, v97, 16, 1
	v_add3_u32 v80, v80, v59, 0x7fff
	s_wait_alu 0xf1ff
	v_cndmask_b32_e64 v77, v126, v128, s4
	v_cmp_u_f32_e64 s4, v59, v59
	v_cndmask_b32_e64 v82, v82, v83, s23
	v_or_b32_e32 v83, 0x400000, v97
	v_cndmask_b32_e64 v84, v84, v85, s24
	v_bfe_u32 v85, v98, 16, 1
	v_add3_u32 v63, v63, v97, 0x7fff
	s_wait_alu 0xf1ff
	v_cndmask_b32_e64 v59, v80, v81, s4
	v_cmp_u_f32_e64 s4, v97, v97
	;; [unrolled: 8-line block ×3, first 2 shown]
	v_cndmask_b32_e64 v87, v87, v88, s27
	v_or_b32_e32 v88, 0x400000, v78
	v_add3_u32 v66, v66, v78, 0x7fff
	v_cndmask_b32_e64 v89, v89, v90, s28
	s_wait_alu 0xf1ff
	v_cndmask_b32_e64 v80, v85, v86, s4
	v_cmp_u_f32_e64 s4, v78, v78
	v_and_b32_e32 v90, 0xffff0000, v111
	v_and_b32_e32 v85, 0xffff0000, v104
	;; [unrolled: 1-line block ×4, first 2 shown]
	s_wait_alu 0xf1ff
	v_cndmask_b32_e64 v66, v66, v88, s4
	v_and_b32_e32 v88, 0xffff0000, v108
	v_dual_mul_f32 v90, v20, v90 :: v_dual_and_b32 v83, 0xffff0000, v103
	v_and_b32_e32 v94, 0xffff0000, v119
	v_mul_f32_e32 v86, v14, v86
	s_delay_alu instid0(VALU_DEP_4) | instskip(SKIP_3) | instid1(VALU_DEP_4)
	v_mul_f32_e32 v88, v19, v88
	v_and_b32_e32 v93, 0xffff0000, v116
	v_dual_fmac_f32 v90, v12, v83 :: v_dual_and_b32 v97, 0xffff0000, v124
	v_and_b32_e32 v98, 0xffff0000, v127
	v_fmac_f32_e32 v88, v11, v81
	v_and_b32_e32 v61, 0xffff0000, v61
	s_delay_alu instid0(VALU_DEP_4) | instskip(SKIP_1) | instid1(VALU_DEP_4)
	v_dual_fmac_f32 v90, v24, v94 :: v_dual_and_b32 v87, 0xffff0000, v87
	v_and_b32_e32 v62, 0xffff0000, v62
	v_fmac_f32_e32 v88, v23, v93
	v_and_b32_e32 v69, 0xffff0000, v69
	s_delay_alu instid0(VALU_DEP_4) | instskip(SKIP_1) | instid1(VALU_DEP_4)
	;; [unrolled: 5-line block ×3, first 2 shown]
	v_dual_fmac_f32 v90, v32, v62 :: v_dual_and_b32 v75, 0xffff0000, v75
	v_and_b32_e32 v68, 0xffff0000, v68
	v_dual_fmac_f32 v88, v31, v61 :: v_dual_and_b32 v61, 0xffff0000, v76
	v_and_b32_e32 v72, 0xffff0000, v72
	s_delay_alu instid0(VALU_DEP_4)
	v_fmac_f32_e32 v90, v36, v65
	v_and_b32_e32 v62, 0xffff0000, v63
	v_and_b32_e32 v63, 0xffff0000, v80
	;; [unrolled: 1-line block ×4, first 2 shown]
	v_fmac_f32_e32 v90, v40, v68
	v_and_b32_e32 v84, 0xffff0000, v84
	v_and_b32_e32 v64, 0xffff0000, v64
	;; [unrolled: 1-line block ×4, first 2 shown]
	v_dual_fmac_f32 v90, v44, v72 :: v_dual_and_b32 v59, 0xffff0000, v59
	s_delay_alu instid0(VALU_DEP_4) | instskip(SKIP_1) | instid1(VALU_DEP_3)
	v_fmac_f32_e32 v88, v35, v64
	v_and_b32_e32 v74, 0xffff0000, v74
	v_fmac_f32_e32 v90, v48, v61
	s_delay_alu instid0(VALU_DEP_1) | instskip(SKIP_2) | instid1(VALU_DEP_2)
	v_fmac_f32_e32 v90, v53, v63
	v_and_b32_e32 v78, 0xffff0000, v99
	v_and_b32_e32 v91, 0xffff0000, v112
	v_dual_fmac_f32 v86, v10, v78 :: v_dual_and_b32 v95, 0xffff0000, v120
	v_and_b32_e32 v79, 0xffff0000, v79
	s_delay_alu instid0(VALU_DEP_3) | instskip(NEXT) | instid1(VALU_DEP_3)
	v_mul_f32_e32 v78, v21, v91
	v_dual_fmac_f32 v86, v22, v92 :: v_dual_and_b32 v67, 0xffff0000, v67
	s_delay_alu instid0(VALU_DEP_2) | instskip(NEXT) | instid1(VALU_DEP_2)
	v_fmac_f32_e32 v78, v13, v85
	v_dual_fmac_f32 v88, v39, v67 :: v_dual_and_b32 v89, 0xffff0000, v89
	s_delay_alu instid0(VALU_DEP_3) | instskip(NEXT) | instid1(VALU_DEP_3)
	v_dual_fmac_f32 v86, v26, v96 :: v_dual_and_b32 v73, 0xffff0000, v73
	v_fmac_f32_e32 v78, v25, v95
	s_delay_alu instid0(VALU_DEP_3) | instskip(NEXT) | instid1(VALU_DEP_3)
	v_fmac_f32_e32 v88, v43, v71
	v_fmac_f32_e32 v86, v30, v79
	s_delay_alu instid0(VALU_DEP_3) | instskip(SKIP_1) | instid1(VALU_DEP_4)
	v_fmac_f32_e32 v78, v29, v60
	v_and_b32_e32 v60, 0xffff0000, v77
	v_fmac_f32_e32 v88, v47, v75
	s_delay_alu instid0(VALU_DEP_4) | instskip(NEXT) | instid1(VALU_DEP_4)
	v_fmac_f32_e32 v86, v34, v84
	v_fmac_f32_e32 v78, v33, v82
	s_delay_alu instid0(VALU_DEP_3) | instskip(NEXT) | instid1(VALU_DEP_3)
	v_fmac_f32_e32 v88, v52, v62
	v_fmac_f32_e32 v86, v38, v89
	s_delay_alu instid0(VALU_DEP_3) | instskip(NEXT) | instid1(VALU_DEP_2)
	v_fmac_f32_e32 v78, v37, v87
	v_fmac_f32_e32 v86, v42, v70
	s_delay_alu instid0(VALU_DEP_2) | instskip(NEXT) | instid1(VALU_DEP_2)
	v_fmac_f32_e32 v78, v41, v69
	v_fmac_f32_e32 v86, v46, v74
	s_delay_alu instid0(VALU_DEP_2) | instskip(NEXT) | instid1(VALU_DEP_2)
	v_fmac_f32_e32 v78, v45, v73
	v_dual_fmac_f32 v86, v51, v59 :: v_dual_and_b32 v59, 0xffff0000, v66
	s_delay_alu instid0(VALU_DEP_2) | instskip(NEXT) | instid1(VALU_DEP_2)
	v_fmac_f32_e32 v78, v50, v60
	v_add_f32_e32 v60, v86, v88
	s_delay_alu instid0(VALU_DEP_1) | instskip(NEXT) | instid1(VALU_DEP_1)
	v_dual_fmac_f32 v78, v54, v59 :: v_dual_add_f32 v59, v60, v90
	v_add_f32_e32 v59, v78, v59
	ds_bpermute_b32 v60, v55, v59
	s_and_saveexec_b32 s5, vcc_lo
	s_cbranch_execz .LBB342_9
; %bb.11:                               ;   in Loop: Header=BB342_10 Depth=1
	s_wait_dscnt 0x0
	v_add_f32_e32 v59, v59, v60
	v_add_nc_u32_e32 v61, s54, v56
	v_cmp_gt_i32_e64 s4, s46, v56
	s_delay_alu instid0(VALU_DEP_2) | instskip(NEXT) | instid1(VALU_DEP_1)
	v_cvt_f32_i32_e32 v61, v61
	v_mul_f32_e32 v61, s51, v61
	s_delay_alu instid0(VALU_DEP_1) | instskip(NEXT) | instid1(VALU_DEP_1)
	v_cndmask_b32_e64 v60, 0, v61, s3
	v_dual_max_num_f32 v61, v49, v49 :: v_dual_fmac_f32 v60, s45, v59
	s_delay_alu instid0(VALU_DEP_1) | instskip(SKIP_2) | instid1(VALU_DEP_2)
	v_max_num_f32_e32 v59, v61, v60
	s_wait_alu 0xf1ff
	v_cndmask_b32_e64 v60, 0, v60, s4
	v_cndmask_b32_e64 v49, v49, v59, s4
	ds_store_b32 v57, v60
	s_branch .LBB342_9
.LBB342_12:
	s_or_b32 exec_lo, exec_lo, s39
.LBB342_13:
	s_delay_alu instid0(SALU_CYCLE_1)
	s_or_b32 exec_lo, exec_lo, s52
	v_xor_b32_e32 v1, 16, v7
	v_xor_b32_e32 v2, 8, v7
	v_dual_max_num_f32 v4, v49, v49 :: v_dual_and_b32 v19, 31, v0
	s_clause 0x2
	s_load_b128 s[4:7], s[0:1], 0x0
	s_load_b64 s[8:9], s[0:1], 0x10
	s_load_b64 s[12:13], s[0:1], 0x28
	v_cmp_lt_i32_e32 vcc_lo, v1, v9
	v_lshlrev_b32_e32 v12, 2, v17
	s_wait_alu 0xfffd
	v_cndmask_b32_e32 v1, v7, v1, vcc_lo
	v_cmp_lt_i32_e32 vcc_lo, v2, v9
	s_wait_alu 0xfffd
	v_cndmask_b32_e32 v2, v7, v2, vcc_lo
	s_delay_alu instid0(VALU_DEP_1) | instskip(SKIP_4) | instid1(VALU_DEP_1)
	v_lshlrev_b32_e32 v10, 2, v2
	v_lshlrev_b32_e32 v3, 2, v1
	ds_bpermute_b32 v1, v3, v49
	s_wait_dscnt 0x0
	v_max_num_f32_e32 v1, v1, v1
	v_max_num_f32_e32 v1, v4, v1
	v_xor_b32_e32 v4, 4, v7
	ds_bpermute_b32 v2, v10, v1
	v_cmp_lt_i32_e32 vcc_lo, v4, v9
	s_wait_alu 0xfffd
	v_cndmask_b32_e32 v4, v7, v4, vcc_lo
	s_delay_alu instid0(VALU_DEP_1) | instskip(SKIP_1) | instid1(VALU_DEP_1)
	v_lshlrev_b32_e32 v11, 2, v4
	v_xor_b32_e32 v4, 2, v7
	v_cmp_lt_i32_e32 vcc_lo, v4, v9
	s_wait_dscnt 0x0
	v_max_num_f32_e32 v2, v2, v2
	s_wait_alu 0xfffd
	v_cndmask_b32_e32 v4, v7, v4, vcc_lo
	v_cmp_eq_u32_e32 vcc_lo, 0, v19
	s_delay_alu instid0(VALU_DEP_3) | instskip(SKIP_3) | instid1(VALU_DEP_1)
	v_max_num_f32_e32 v1, v1, v2
	ds_bpermute_b32 v2, v11, v1
	s_wait_dscnt 0x0
	v_max_num_f32_e32 v2, v2, v2
	v_dual_max_num_f32 v1, v1, v2 :: v_dual_lshlrev_b32 v2, 2, v4
	ds_bpermute_b32 v4, v2, v1
	s_and_saveexec_b32 s0, vcc_lo
	s_cbranch_execz .LBB342_15
; %bb.14:
	s_wait_dscnt 0x0
	v_dual_max_num_f32 v4, v4, v4 :: v_dual_max_num_f32 v1, v1, v1
	s_delay_alu instid0(VALU_DEP_1)
	v_max_num_f32_e32 v1, v1, v4
	ds_store_b32 v12, v1 offset:160
.LBB342_15:
	s_or_b32 exec_lo, exec_lo, s0
	v_cmp_gt_u32_e64 s0, 4, v19
	v_mov_b32_e32 v1, 0xff7fffff
	v_lshlrev_b32_e32 v13, 2, v19
	s_wait_loadcnt_dscnt 0x0
	s_barrier_signal -1
	s_barrier_wait -1
	global_inv scope:SCOPE_SE
	s_and_saveexec_b32 s1, s0
; %bb.16:
	ds_load_b32 v1, v13 offset:160
; %bb.17:
	s_or_b32 exec_lo, exec_lo, s1
	s_wait_dscnt 0x0
	ds_bpermute_b32 v4, v2, v1
	v_xor_b32_e32 v14, 1, v7
	v_max_num_f32_e32 v1, v1, v1
	s_delay_alu instid0(VALU_DEP_2) | instskip(NEXT) | instid1(VALU_DEP_1)
	v_cmp_lt_i32_e64 s1, v14, v9
	v_cndmask_b32_e64 v9, v7, v14, s1
	s_sub_co_i32 s1, s36, s50
	s_wait_alu 0xfffe
	s_lshl_b32 s1, s1, 4
	s_wait_alu 0xfffe
	s_add_co_i32 s1, s1, s47
	s_wait_alu 0xfffe
	s_min_i32 s1, s1, s46
	s_wait_alu 0xfffe
	s_sub_co_i32 s10, s1, s47
	s_wait_dscnt 0x0
	v_max_num_f32_e32 v4, v4, v4
	v_lshlrev_b32_e32 v20, 2, v9
	s_wait_alu 0xfffe
	v_cmp_gt_i32_e64 s1, s10, v0
	s_delay_alu instid0(VALU_DEP_3) | instskip(SKIP_3) | instid1(VALU_DEP_1)
	v_max_num_f32_e32 v1, v1, v4
	ds_bpermute_b32 v4, v20, v1
	s_wait_dscnt 0x0
	v_max_num_f32_e32 v4, v4, v4
	v_max_num_f32_e32 v1, v1, v4
	v_lshlrev_b32_e32 v4, 2, v8
	v_mov_b32_e32 v8, 0
	ds_bpermute_b32 v1, v4, v1
	v_lshl_add_u32 v4, v0, 2, 0xc0
	s_and_saveexec_b32 s11, s1
	s_cbranch_execz .LBB342_21
; %bb.18:
	v_lshl_add_u32 v9, v0, 2, 0xc0
	v_mov_b32_e32 v8, 0
	v_mov_b32_e32 v14, v0
	s_mov_b32 s14, 0
.LBB342_19:                             ; =>This Inner Loop Header: Depth=1
	ds_load_b32 v21, v9
	v_add_nc_u32_e32 v14, 0x80, v14
	s_delay_alu instid0(VALU_DEP_1) | instskip(SKIP_4) | instid1(VALU_DEP_1)
	v_cmp_le_i32_e64 s3, s10, v14
	s_wait_alu 0xfffe
	s_or_b32 s14, s3, s14
	s_wait_dscnt 0x0
	v_sub_f32_e32 v21, v21, v1
	v_mul_f32_e32 v21, 0x3fb8aa3b, v21
	s_delay_alu instid0(VALU_DEP_1)
	v_exp_f32_e32 v21, v21
	ds_store_b32 v9, v21
	v_add_f32_e32 v8, v8, v21
	v_add_nc_u32_e32 v9, 0x200, v9
	s_wait_alu 0xfffe
	s_and_not1_b32 exec_lo, exec_lo, s14
	s_cbranch_execnz .LBB342_19
; %bb.20:
	s_or_b32 exec_lo, exec_lo, s14
.LBB342_21:
	s_wait_alu 0xfffe
	s_or_b32 exec_lo, exec_lo, s11
	ds_bpermute_b32 v3, v3, v8
	s_wait_dscnt 0x0
	v_add_f32_e32 v3, v8, v3
	ds_bpermute_b32 v8, v10, v3
	s_wait_dscnt 0x0
	v_add_f32_e32 v3, v3, v8
	ds_bpermute_b32 v8, v11, v3
	s_wait_dscnt 0x0
	v_add_f32_e32 v3, v3, v8
	ds_bpermute_b32 v8, v2, v3
	s_wait_dscnt 0x0
	v_add_f32_e32 v3, v3, v8
	ds_bpermute_b32 v8, v20, v3
	s_wait_dscnt 0x0
	v_add_f32_e32 v3, v3, v8
	s_and_saveexec_b32 s3, vcc_lo
; %bb.22:
	ds_store_b32 v12, v3 offset:176
; %bb.23:
	s_wait_alu 0xfffe
	s_or_b32 exec_lo, exec_lo, s3
	s_wait_loadcnt_dscnt 0x0
	s_barrier_signal -1
	s_barrier_wait -1
	global_inv scope:SCOPE_SE
	s_and_saveexec_b32 s3, s0
; %bb.24:
	ds_load_b32 v3, v13 offset:176
; %bb.25:
	s_wait_alu 0xfffe
	s_or_b32 exec_lo, exec_lo, s3
	s_wait_dscnt 0x0
	ds_bpermute_b32 v2, v2, v3
	s_wait_dscnt 0x0
	v_dual_add_f32 v2, v3, v2 :: v_dual_lshlrev_b32 v7, 2, v7
	ds_bpermute_b32 v3, v20, v2
	s_wait_dscnt 0x0
	v_add_f32_e32 v2, v2, v3
	v_and_b32_e32 v3, 0xffffff80, v7
	ds_bpermute_b32 v2, v3, v2
	s_and_saveexec_b32 s0, s1
	s_cbranch_execz .LBB342_28
; %bb.26:
	s_wait_dscnt 0x0
	v_add_f32_e32 v3, 0x358637bd, v2
	s_mov_b32 s1, 0
	s_delay_alu instid0(VALU_DEP_1) | instskip(NEXT) | instid1(VALU_DEP_1)
	v_div_scale_f32 v7, null, v3, v3, 1.0
	v_rcp_f32_e32 v8, v7
	s_delay_alu instid0(TRANS32_DEP_1) | instskip(NEXT) | instid1(VALU_DEP_1)
	v_fma_f32 v9, -v7, v8, 1.0
	v_fmac_f32_e32 v8, v9, v8
	v_div_scale_f32 v10, vcc_lo, 1.0, v3, 1.0
	s_delay_alu instid0(VALU_DEP_1) | instskip(NEXT) | instid1(VALU_DEP_1)
	v_mul_f32_e32 v9, v10, v8
	v_fma_f32 v11, -v7, v9, v10
	s_delay_alu instid0(VALU_DEP_1) | instskip(NEXT) | instid1(VALU_DEP_1)
	v_fmac_f32_e32 v9, v11, v8
	v_fma_f32 v7, -v7, v9, v10
	s_wait_alu 0xfffd
	s_delay_alu instid0(VALU_DEP_1) | instskip(NEXT) | instid1(VALU_DEP_1)
	v_div_fmas_f32 v7, v7, v8, v9
	v_div_fixup_f32 v3, v7, v3, 1.0
	v_mov_b32_e32 v7, v0
.LBB342_27:                             ; =>This Inner Loop Header: Depth=1
	ds_load_b32 v8, v4
	s_wait_dscnt 0x0
	v_dual_mul_f32 v8, v3, v8 :: v_dual_add_nc_u32 v7, 0x80, v7
	s_delay_alu instid0(VALU_DEP_1)
	v_cmp_le_i32_e32 vcc_lo, s10, v7
	ds_store_b32 v4, v8
	v_add_nc_u32_e32 v4, 0x200, v4
	s_wait_alu 0xfffe
	s_or_b32 s1, vcc_lo, s1
	s_wait_alu 0xfffe
	s_and_not1_b32 exec_lo, exec_lo, s1
	s_cbranch_execnz .LBB342_27
.LBB342_28:
	s_wait_alu 0xfffe
	s_or_b32 exec_lo, exec_lo, s0
	s_wait_kmcnt 0x0
	s_mul_i32 s0, s35, s48
	s_wait_loadcnt_dscnt 0x0
	s_wait_alu 0xfffe
	s_mul_i32 s10, s0, s49
	s_mov_b32 s0, exec_lo
	s_barrier_signal -1
	s_barrier_wait -1
	global_inv scope:SCOPE_SE
	v_cmpx_eq_u32_e32 0, v0
	s_cbranch_execz .LBB342_30
; %bb.29:
	s_wait_alu 0xfffe
	s_ashr_i32 s11, s10, 31
	s_mul_i32 s14, s35, ttmp9
	s_lshl_b32 s1, s33, 2
	s_wait_alu 0xfffe
	s_lshl_b64 s[16:17], s[10:11], 2
	s_ashr_i32 s15, s14, 31
	v_mov_b32_e32 v3, s1
	s_wait_alu 0xfffe
	s_add_nc_u64 s[6:7], s[6:7], s[16:17]
	s_lshl_b64 s[14:15], s[14:15], 2
	s_add_nc_u64 s[4:5], s[4:5], s[16:17]
	s_wait_alu 0xfffe
	s_add_nc_u64 s[6:7], s[6:7], s[14:15]
	s_add_nc_u64 s[4:5], s[4:5], s[14:15]
	s_clause 0x1
	global_store_b32 v3, v1, s[6:7]
	global_store_b32 v3, v2, s[4:5]
.LBB342_30:
	s_wait_alu 0xfffe
	s_or_b32 exec_lo, exec_lo, s0
	v_dual_mov_b32 v24, 0 :: v_dual_mov_b32 v25, 0
	v_dual_mov_b32 v23, 0 :: v_dual_mov_b32 v22, 0
	v_mov_b32_e32 v21, 0
	s_and_saveexec_b32 s1, s2
	s_cbranch_execz .LBB342_44
; %bb.31:
	s_load_b32 s2, s[30:31], 0x0
	v_dual_mov_b32 v24, 0 :: v_dual_and_b32 v3, 0xf8, v5
	s_ashr_i32 s39, s38, 31
	v_dual_mov_b32 v21, 0 :: v_dual_lshlrev_b32 v2, 5, v16
	s_add_nc_u64 s[4:5], s[12:13], s[38:39]
	v_dual_mov_b32 v22, 0 :: v_dual_and_b32 v1, 8, v5
	s_wait_alu 0xfffe
	v_add_co_u32 v9, s0, s4, v3
	s_wait_alu 0xf1ff
	v_add_co_ci_u32_e64 v10, null, s5, 0, s0
	s_lshl_b64 s[4:5], s[40:41], 2
	v_lshl_add_u32 v4, v17, 4, s47
	v_lshl_or_b32 v2, v17, 6, v2
	s_wait_alu 0xfffe
	s_add_nc_u64 s[4:5], s[42:43], s[4:5]
	v_mov_b32_e32 v23, 0
	s_wait_alu 0xfffe
	v_add_co_u32 v11, s0, s4, v6
	v_add3_u32 v26, v4, v1, 7
	v_add_nc_u32_e32 v27, 0xc0, v2
	s_wait_alu 0xf1ff
	v_add_co_ci_u32_e64 v12, null, s5, 0, s0
	v_mov_b32_e32 v25, 0
	s_mov_b32 s3, s37
	s_add_co_i32 s44, s44, -1
	s_mov_b32 s4, 0
	s_branch .LBB342_33
.LBB342_32:                             ;   in Loop: Header=BB342_33 Depth=1
	s_wait_alu 0xfffe
	s_or_b32 exec_lo, exec_lo, s0
	s_wait_dscnt 0x1
	v_bfe_u32 v43, v5, 16, 1
	v_bfe_u32 v45, v6, 16, 1
	v_or_b32_e32 v46, 0x400000, v5
	v_cmp_u_f32_e32 vcc_lo, v5, v5
	v_or_b32_e32 v47, 0x400000, v6
	v_add3_u32 v43, v43, v5, 0x7fff
	v_bfe_u32 v48, v7, 16, 1
	v_add3_u32 v45, v45, v6, 0x7fff
	v_bfe_u32 v49, v8, 16, 1
	v_lshlrev_b32_e32 v66, 16, v66
	s_wait_alu 0xfffd
	v_cndmask_b32_e32 v5, v43, v46, vcc_lo
	v_cmp_u_f32_e32 vcc_lo, v6, v6
	v_add3_u32 v43, v48, v7, 0x7fff
	v_add3_u32 v46, v49, v8, 0x7fff
	s_wait_dscnt 0x0
	v_bfe_u32 v48, v1, 16, 1
	v_or_b32_e32 v49, 0x400000, v4
	s_wait_alu 0xfffd
	v_cndmask_b32_e32 v6, v45, v47, vcc_lo
	v_or_b32_e32 v45, 0x400000, v7
	v_cmp_u_f32_e32 vcc_lo, v7, v7
	v_or_b32_e32 v47, 0x400000, v8
	v_lshlrev_b32_e32 v53, 16, v53
	v_lshlrev_b32_e32 v35, 16, v35
	v_add_co_u32 v11, s0, v11, 16
	s_wait_alu 0xfffd
	v_cndmask_b32_e32 v7, v43, v45, vcc_lo
	v_cmp_u_f32_e32 vcc_lo, v8, v8
	v_bfe_u32 v43, v2, 16, 1
	v_add3_u32 v45, v48, v1, 0x7fff
	v_bfe_u32 v48, v3, 16, 1
	v_add_nc_u32_e32 v27, 0x100, v27
	s_wait_alu 0xfffd
	v_cndmask_b32_e32 v8, v46, v47, vcc_lo
	v_or_b32_e32 v46, 0x400000, v1
	v_cmp_u_f32_e32 vcc_lo, v1, v1
	v_add3_u32 v43, v43, v2, 0x7fff
	v_or_b32_e32 v47, 0x400000, v2
	s_wait_alu 0xf1ff
	v_add_co_ci_u32_e64 v12, null, 0, v12, s0
	s_wait_alu 0xfffd
	v_cndmask_b32_e32 v45, v45, v46, vcc_lo
	v_cmp_u_f32_e32 vcc_lo, v2, v2
	v_add3_u32 v2, v48, v3, 0x7fff
	v_or_b32_e32 v48, 0x400000, v3
	v_and_b32_e32 v1, 0xffff0000, v6
	s_wait_alu 0xfffd
	v_dual_cndmask_b32 v43, v43, v47 :: v_dual_lshlrev_b32 v6, 16, v72
	v_cmp_u_f32_e32 vcc_lo, v3, v3
	v_bfe_u32 v46, v4, 16, 1
	v_lshlrev_b32_e32 v56, 16, v56
	v_lshlrev_b32_e32 v52, 16, v52
	;; [unrolled: 1-line block ×3, first 2 shown]
	s_wait_alu 0xfffd
	v_cndmask_b32_e32 v48, v2, v48, vcc_lo
	v_mul_f32_e32 v6, v1, v6
	v_add3_u32 v46, v46, v4, 0x7fff
	v_cmp_u_f32_e32 vcc_lo, v4, v4
	v_dual_mul_f32 v44, v1, v44 :: v_dual_lshlrev_b32 v47, 16, v71
	s_delay_alu instid0(VALU_DEP_4)
	v_bfe_u32 v3, v6, 16, 1
	v_lshlrev_b32_e32 v42, 16, v42
	s_wait_alu 0xfffd
	v_cndmask_b32_e32 v4, v46, v49, vcc_lo
	v_or_b32_e32 v49, 0x400000, v6
	v_cmp_u_f32_e32 vcc_lo, v6, v6
	v_add3_u32 v3, v3, v6, 0x7fff
	v_and_b32_e32 v2, 0xffff0000, v8
	v_and_b32_e32 v4, 0xffff0000, v4
	v_lshlrev_b32_e32 v40, 16, v40
	s_wait_alu 0xfffd
	v_dual_cndmask_b32 v49, v3, v49 :: v_dual_lshlrev_b32 v38, 16, v38
	s_delay_alu instid0(VALU_DEP_3) | instskip(SKIP_1) | instid1(VALU_DEP_3)
	v_dual_mul_f32 v52, v4, v52 :: v_dual_and_b32 v3, 0xffff0000, v43
	v_dual_mul_f32 v35, v1, v35 :: v_dual_lshlrev_b32 v36, 16, v36
	v_and_b32_e32 v49, 0xffff0000, v49
	v_lshlrev_b32_e32 v43, 16, v68
	v_lshlrev_b32_e32 v8, 16, v70
	;; [unrolled: 1-line block ×5, first 2 shown]
	v_mul_f32_e32 v43, v3, v43
	v_dual_mul_f32 v70, v2, v8 :: v_dual_and_b32 v5, 0xffff0000, v5
	v_dual_mul_f32 v33, v2, v33 :: v_dual_add_nc_u32 v18, 4, v18
	s_delay_alu instid0(VALU_DEP_3) | instskip(NEXT) | instid1(VALU_DEP_3)
	v_bfe_u32 v68, v43, 16, 1
	v_mul_f32_e32 v47, v5, v47
	v_mul_f32_e32 v42, v5, v42
	v_add_nc_u32_e32 v26, 64, v26
	s_delay_alu instid0(VALU_DEP_3) | instskip(SKIP_2) | instid1(VALU_DEP_3)
	v_bfe_u32 v46, v47, 16, 1
	v_or_b32_e32 v50, 0x400000, v47
	v_cmp_u_f32_e32 vcc_lo, v47, v47
	v_add3_u32 v46, v46, v47, 0x7fff
	v_bfe_u32 v47, v70, 16, 1
	s_wait_alu 0xfffd
	s_delay_alu instid0(VALU_DEP_2) | instskip(NEXT) | instid1(VALU_DEP_2)
	v_cndmask_b32_e32 v46, v46, v50, vcc_lo
	v_add3_u32 v47, v47, v70, 0x7fff
	v_or_b32_e32 v50, 0x400000, v70
	v_cmp_u_f32_e32 vcc_lo, v70, v70
	v_and_b32_e32 v6, 0xffff0000, v45
	v_lshlrev_b32_e32 v45, 16, v67
	v_and_b32_e32 v46, 0xffff0000, v46
	s_wait_alu 0xfffd
	v_dual_cndmask_b32 v47, v47, v50 :: v_dual_and_b32 v8, 0xffff0000, v7
	s_delay_alu instid0(VALU_DEP_3) | instskip(SKIP_3) | instid1(VALU_DEP_4)
	v_mul_f32_e32 v45, v6, v45
	v_lshlrev_b32_e32 v7, 16, v69
	v_add_f32_e32 v46, v46, v49
	v_dual_mul_f32 v38, v6, v38 :: v_dual_lshlrev_b32 v41, 16, v41
	v_bfe_u32 v69, v45, 16, 1
	s_delay_alu instid0(VALU_DEP_4) | instskip(NEXT) | instid1(VALU_DEP_3)
	v_mul_f32_e32 v7, v8, v7
	v_dual_mul_f32 v40, v8, v40 :: v_dual_mul_f32 v41, v2, v41
	v_lshlrev_b32_e32 v29, 16, v29
	s_delay_alu instid0(VALU_DEP_4) | instskip(NEXT) | instid1(VALU_DEP_4)
	v_add3_u32 v69, v69, v45, 0x7fff
	v_bfe_u32 v67, v7, 16, 1
	v_cmp_u_f32_e32 vcc_lo, v7, v7
	s_delay_alu instid0(VALU_DEP_4) | instskip(NEXT) | instid1(VALU_DEP_3)
	v_dual_mul_f32 v29, v4, v29 :: v_dual_lshlrev_b32 v30, 16, v30
	v_add3_u32 v50, v67, v7, 0x7fff
	v_or_b32_e32 v67, 0x400000, v7
	s_delay_alu instid0(VALU_DEP_3) | instskip(SKIP_1) | instid1(VALU_DEP_2)
	v_dual_mul_f32 v30, v6, v30 :: v_dual_and_b32 v7, 0xffff0000, v48
	s_wait_alu 0xfffd
	v_cndmask_b32_e32 v50, v50, v67, vcc_lo
	v_add3_u32 v67, v68, v43, 0x7fff
	v_or_b32_e32 v68, 0x400000, v43
	v_cmp_u_f32_e32 vcc_lo, v43, v43
	s_wait_alu 0xfffd
	s_delay_alu instid0(VALU_DEP_2) | instskip(SKIP_1) | instid1(VALU_DEP_2)
	v_dual_cndmask_b32 v43, v67, v68 :: v_dual_mul_f32 v66, v4, v66
	v_cmp_u_f32_e32 vcc_lo, v45, v45
	v_and_b32_e32 v43, 0xffff0000, v43
	s_delay_alu instid0(VALU_DEP_3) | instskip(SKIP_4) | instid1(VALU_DEP_1)
	v_bfe_u32 v70, v66, 16, 1
	v_or_b32_e32 v67, 0x400000, v66
	v_lshlrev_b32_e32 v48, 16, v65
	v_or_b32_e32 v65, 0x400000, v45
	s_wait_alu 0xfffd
	v_cndmask_b32_e32 v45, v69, v65, vcc_lo
	v_add3_u32 v65, v70, v66, 0x7fff
	v_cmp_u_f32_e32 vcc_lo, v66, v66
	s_delay_alu instid0(VALU_DEP_3) | instskip(SKIP_1) | instid1(VALU_DEP_3)
	v_and_b32_e32 v45, 0xffff0000, v45
	s_wait_alu 0xfffd
	v_dual_cndmask_b32 v65, v65, v67 :: v_dual_and_b32 v50, 0xffff0000, v50
	s_delay_alu instid0(VALU_DEP_2) | instskip(SKIP_1) | instid1(VALU_DEP_3)
	v_dual_mul_f32 v48, v7, v48 :: v_dual_add_f32 v43, v45, v43
	v_lshlrev_b32_e32 v45, 16, v60
	v_and_b32_e32 v49, 0xffff0000, v65
	s_delay_alu instid0(VALU_DEP_3)
	v_bfe_u32 v68, v48, 16, 1
	v_or_b32_e32 v67, 0x400000, v48
	v_cmp_u_f32_e32 vcc_lo, v48, v48
	v_mul_f32_e32 v45, v5, v45
	v_bfe_u32 v60, v52, 16, 1
	v_add3_u32 v66, v68, v48, 0x7fff
	s_wait_alu 0xfffd
	s_delay_alu instid0(VALU_DEP_1) | instskip(SKIP_1) | instid1(VALU_DEP_2)
	v_dual_cndmask_b32 v48, v66, v67 :: v_dual_lshlrev_b32 v37, 16, v37
	v_mul_f32_e32 v36, v7, v36
	v_and_b32_e32 v48, 0xffff0000, v48
	v_and_b32_e32 v47, 0xffff0000, v47
	s_delay_alu instid0(VALU_DEP_1) | instskip(SKIP_1) | instid1(VALU_DEP_2)
	v_dual_add_f32 v47, v50, v47 :: v_dual_lshlrev_b32 v50, 16, v58
	v_or_b32_e32 v58, 0x400000, v45
	v_add_f32_e32 v46, v47, v46
	v_lshlrev_b32_e32 v47, 16, v62
	s_delay_alu instid0(VALU_DEP_4) | instskip(NEXT) | instid1(VALU_DEP_3)
	v_mul_f32_e32 v50, v2, v50
	v_add_f32_e32 v43, v43, v46
	s_delay_alu instid0(VALU_DEP_3) | instskip(SKIP_1) | instid1(VALU_DEP_2)
	v_dual_mul_f32 v47, v1, v47 :: v_dual_add_f32 v46, v48, v49
	v_bfe_u32 v49, v45, 16, 1
	v_bfe_u32 v48, v47, 16, 1
	s_delay_alu instid0(VALU_DEP_3) | instskip(SKIP_1) | instid1(VALU_DEP_4)
	v_add_f32_e32 v43, v46, v43
	v_cmp_u_f32_e32 vcc_lo, v47, v47
	v_add3_u32 v49, v49, v45, 0x7fff
	s_delay_alu instid0(VALU_DEP_4) | instskip(SKIP_3) | instid1(VALU_DEP_2)
	v_add3_u32 v46, v48, v47, 0x7fff
	v_or_b32_e32 v48, 0x400000, v47
	v_bfe_u32 v47, v50, 16, 1
	s_wait_alu 0xfffd
	v_cndmask_b32_e32 v46, v46, v48, vcc_lo
	v_cmp_u_f32_e32 vcc_lo, v45, v45
	v_mul_f32_e32 v48, v8, v56
	v_add3_u32 v47, v47, v50, 0x7fff
	s_delay_alu instid0(VALU_DEP_4)
	v_and_b32_e32 v46, 0xffff0000, v46
	s_wait_alu 0xfffd
	v_cndmask_b32_e32 v45, v49, v58, vcc_lo
	v_lshlrev_b32_e32 v49, 16, v54
	v_or_b32_e32 v54, 0x400000, v50
	v_bfe_u32 v56, v48, 16, 1
	v_cmp_u_f32_e32 vcc_lo, v50, v50
	v_mul_f32_e32 v50, v6, v53
	s_delay_alu instid0(VALU_DEP_3)
	v_add3_u32 v53, v56, v48, 0x7fff
	s_wait_alu 0xfffd
	v_cndmask_b32_e32 v47, v47, v54, vcc_lo
	v_or_b32_e32 v54, 0x400000, v48
	v_cmp_u_f32_e32 vcc_lo, v48, v48
	v_bfe_u32 v58, v50, 16, 1
	s_wait_alu 0xfffd
	s_delay_alu instid0(VALU_DEP_3) | instskip(NEXT) | instid1(VALU_DEP_1)
	v_dual_cndmask_b32 v48, v53, v54 :: v_dual_and_b32 v47, 0xffff0000, v47
	v_and_b32_e32 v48, 0xffff0000, v48
	v_and_b32_e32 v45, 0xffff0000, v45
	s_delay_alu instid0(VALU_DEP_1) | instskip(SKIP_1) | instid1(VALU_DEP_2)
	v_dual_add_f32 v45, v45, v46 :: v_dual_add_f32 v46, v48, v47
	v_mul_f32_e32 v49, v3, v49
	v_add_f32_e32 v45, v46, v45
	s_delay_alu instid0(VALU_DEP_2) | instskip(SKIP_2) | instid1(VALU_DEP_3)
	v_bfe_u32 v56, v49, 16, 1
	v_or_b32_e32 v54, 0x400000, v49
	v_cmp_u_f32_e32 vcc_lo, v49, v49
	v_add3_u32 v53, v56, v49, 0x7fff
	v_add3_u32 v56, v58, v50, 0x7fff
	v_or_b32_e32 v58, 0x400000, v50
	s_wait_alu 0xfffd
	s_delay_alu instid0(VALU_DEP_3) | instskip(SKIP_3) | instid1(VALU_DEP_4)
	v_cndmask_b32_e32 v49, v53, v54, vcc_lo
	v_cmp_u_f32_e32 vcc_lo, v50, v50
	v_add3_u32 v53, v60, v52, 0x7fff
	v_or_b32_e32 v54, 0x400000, v52
	v_and_b32_e32 v48, 0xffff0000, v49
	s_wait_alu 0xfffd
	v_cndmask_b32_e32 v50, v56, v58, vcc_lo
	v_cmp_u_f32_e32 vcc_lo, v52, v52
	s_delay_alu instid0(VALU_DEP_2) | instskip(SKIP_3) | instid1(VALU_DEP_3)
	v_and_b32_e32 v47, 0xffff0000, v50
	s_wait_alu 0xfffd
	v_dual_cndmask_b32 v52, v53, v54 :: v_dual_lshlrev_b32 v51, 16, v51
	v_or_b32_e32 v50, 0x400000, v42
	v_add_f32_e32 v46, v47, v48
	s_delay_alu instid0(VALU_DEP_3) | instskip(NEXT) | instid1(VALU_DEP_2)
	v_dual_mul_f32 v51, v7, v51 :: v_dual_and_b32 v48, 0xffff0000, v52
	v_add_f32_e32 v45, v46, v45
	s_delay_alu instid0(VALU_DEP_2) | instskip(SKIP_3) | instid1(VALU_DEP_4)
	v_bfe_u32 v56, v51, 16, 1
	v_or_b32_e32 v54, 0x400000, v51
	v_cmp_u_f32_e32 vcc_lo, v51, v51
	v_bfe_u32 v46, v42, 16, 1
	v_add3_u32 v53, v56, v51, 0x7fff
	v_bfe_u32 v51, v41, 16, 1
	s_delay_alu instid0(VALU_DEP_3) | instskip(SKIP_1) | instid1(VALU_DEP_3)
	v_add3_u32 v46, v46, v42, 0x7fff
	s_wait_alu 0xfffd
	v_cndmask_b32_e32 v49, v53, v54, vcc_lo
	v_cmp_u_f32_e32 vcc_lo, v44, v44
	s_delay_alu instid0(VALU_DEP_2) | instskip(SKIP_1) | instid1(VALU_DEP_2)
	v_and_b32_e32 v47, 0xffff0000, v49
	v_bfe_u32 v49, v44, 16, 1
	v_add_f32_e32 v47, v47, v48
	s_delay_alu instid0(VALU_DEP_2) | instskip(SKIP_2) | instid1(VALU_DEP_1)
	v_add3_u32 v48, v49, v44, 0x7fff
	v_or_b32_e32 v49, 0x400000, v44
	s_wait_alu 0xfffd
	v_cndmask_b32_e32 v44, v48, v49, vcc_lo
	v_cmp_u_f32_e32 vcc_lo, v42, v42
	v_or_b32_e32 v48, 0x400000, v41
	v_bfe_u32 v49, v40, 16, 1
	s_delay_alu instid0(VALU_DEP_4)
	v_dual_mul_f32 v37, v4, v37 :: v_dual_and_b32 v44, 0xffff0000, v44
	s_wait_alu 0xfffd
	v_cndmask_b32_e32 v42, v46, v50, vcc_lo
	v_add3_u32 v46, v51, v41, 0x7fff
	v_cmp_u_f32_e32 vcc_lo, v41, v41
	v_bfe_u32 v50, v38, 16, 1
	v_bfe_u32 v51, v37, 16, 1
	s_wait_alu 0xfffd
	v_dual_cndmask_b32 v41, v46, v48 :: v_dual_and_b32 v42, 0xffff0000, v42
	v_add3_u32 v46, v49, v40, 0x7fff
	v_or_b32_e32 v48, 0x400000, v40
	v_cmp_u_f32_e32 vcc_lo, v40, v40
	s_delay_alu instid0(VALU_DEP_4) | instskip(SKIP_2) | instid1(VALU_DEP_2)
	v_dual_add_f32 v42, v42, v44 :: v_dual_lshlrev_b32 v39, 16, v39
	v_or_b32_e32 v44, 0x400000, v36
	s_wait_alu 0xfffd
	v_dual_cndmask_b32 v40, v46, v48 :: v_dual_mul_f32 v39, v3, v39
	s_delay_alu instid0(VALU_DEP_1) | instskip(NEXT) | instid1(VALU_DEP_2)
	v_and_b32_e32 v40, 0xffff0000, v40
	v_bfe_u32 v49, v39, 16, 1
	v_or_b32_e32 v48, 0x400000, v39
	v_cmp_u_f32_e32 vcc_lo, v39, v39
	s_delay_alu instid0(VALU_DEP_3) | instskip(SKIP_3) | instid1(VALU_DEP_3)
	v_add3_u32 v46, v49, v39, 0x7fff
	v_add3_u32 v49, v50, v38, 0x7fff
	v_or_b32_e32 v50, 0x400000, v38
	s_wait_alu 0xfffd
	v_cndmask_b32_e32 v39, v46, v48, vcc_lo
	v_cmp_u_f32_e32 vcc_lo, v38, v38
	v_add3_u32 v46, v51, v37, 0x7fff
	v_or_b32_e32 v48, 0x400000, v37
	s_wait_alu 0xfffd
	v_cndmask_b32_e32 v38, v49, v50, vcc_lo
	v_cmp_u_f32_e32 vcc_lo, v37, v37
	v_and_b32_e32 v41, 0xffff0000, v41
	s_wait_alu 0xfffd
	s_delay_alu instid0(VALU_DEP_3) | instskip(SKIP_1) | instid1(VALU_DEP_3)
	v_dual_cndmask_b32 v37, v46, v48 :: v_dual_and_b32 v38, 0xffff0000, v38
	v_bfe_u32 v46, v36, 16, 1
	v_add_f32_e32 v40, v40, v41
	v_cmp_u_f32_e32 vcc_lo, v36, v36
	s_delay_alu instid0(VALU_DEP_4) | instskip(NEXT) | instid1(VALU_DEP_4)
	v_and_b32_e32 v37, 0xffff0000, v37
	v_add3_u32 v41, v46, v36, 0x7fff
	s_delay_alu instid0(VALU_DEP_4) | instskip(SKIP_2) | instid1(VALU_DEP_3)
	v_dual_add_f32 v40, v40, v42 :: v_dual_and_b32 v39, 0xffff0000, v39
	v_or_b32_e32 v42, 0x400000, v33
	s_wait_alu 0xfffd
	v_cndmask_b32_e32 v36, v41, v44, vcc_lo
	s_delay_alu instid0(VALU_DEP_3) | instskip(SKIP_2) | instid1(VALU_DEP_3)
	v_add_f32_e32 v38, v38, v39
	v_bfe_u32 v39, v35, 16, 1
	v_cmp_u_f32_e32 vcc_lo, v35, v35
	v_add_f32_e32 v38, v38, v40
	s_delay_alu instid0(VALU_DEP_3) | instskip(SKIP_2) | instid1(VALU_DEP_1)
	v_add3_u32 v39, v39, v35, 0x7fff
	v_or_b32_e32 v40, 0x400000, v35
	s_wait_alu 0xfffd
	v_dual_mul_f32 v34, v5, v34 :: v_dual_cndmask_b32 v35, v39, v40
	s_delay_alu instid0(VALU_DEP_1) | instskip(SKIP_2) | instid1(VALU_DEP_4)
	v_bfe_u32 v41, v34, 16, 1
	v_bfe_u32 v39, v33, 16, 1
	v_cmp_u_f32_e32 vcc_lo, v34, v34
	v_and_b32_e32 v35, 0xffff0000, v35
	s_delay_alu instid0(VALU_DEP_4) | instskip(SKIP_3) | instid1(VALU_DEP_2)
	v_add3_u32 v40, v41, v34, 0x7fff
	v_or_b32_e32 v41, 0x400000, v34
	v_add3_u32 v39, v39, v33, 0x7fff
	s_wait_alu 0xfffd
	v_cndmask_b32_e32 v34, v40, v41, vcc_lo
	v_cmp_u_f32_e32 vcc_lo, v33, v33
	s_wait_alu 0xfffd
	v_dual_cndmask_b32 v33, v39, v42 :: v_dual_lshlrev_b32 v32, 16, v32
	s_delay_alu instid0(VALU_DEP_1) | instskip(SKIP_1) | instid1(VALU_DEP_3)
	v_dual_mul_f32 v32, v8, v32 :: v_dual_lshlrev_b32 v31, 16, v31
	v_and_b32_e32 v36, 0xffff0000, v36
	v_and_b32_e32 v33, 0xffff0000, v33
	s_delay_alu instid0(VALU_DEP_3) | instskip(NEXT) | instid1(VALU_DEP_4)
	v_mul_f32_e32 v31, v3, v31
	v_bfe_u32 v40, v32, 16, 1
	v_or_b32_e32 v41, 0x400000, v32
	v_cmp_u_f32_e32 vcc_lo, v32, v32
	s_delay_alu instid0(VALU_DEP_4) | instskip(NEXT) | instid1(VALU_DEP_4)
	v_bfe_u32 v39, v31, 16, 1
	v_add3_u32 v40, v40, v32, 0x7fff
	v_or_b32_e32 v42, 0x400000, v31
	s_delay_alu instid0(VALU_DEP_3) | instskip(SKIP_1) | instid1(VALU_DEP_3)
	v_add3_u32 v39, v39, v31, 0x7fff
	s_wait_alu 0xfffd
	v_cndmask_b32_e32 v32, v40, v41, vcc_lo
	v_bfe_u32 v40, v30, 16, 1
	v_cmp_u_f32_e32 vcc_lo, v31, v31
	v_bfe_u32 v41, v29, 16, 1
	s_wait_alu 0xfffd
	v_cndmask_b32_e32 v31, v39, v42, vcc_lo
	v_add3_u32 v39, v40, v30, 0x7fff
	v_or_b32_e32 v40, 0x400000, v30
	v_cmp_u_f32_e32 vcc_lo, v30, v30
	v_add3_u32 v41, v41, v29, 0x7fff
	v_or_b32_e32 v42, 0x400000, v29
	s_wait_alu 0xfffd
	v_dual_cndmask_b32 v30, v39, v40 :: v_dual_and_b32 v31, 0xffff0000, v31
	v_cmp_u_f32_e32 vcc_lo, v29, v29
	s_delay_alu instid0(VALU_DEP_2)
	v_and_b32_e32 v30, 0xffff0000, v30
	s_wait_alu 0xfffd
	v_cndmask_b32_e32 v29, v41, v42, vcc_lo
	v_lshlrev_b32_e32 v41, 16, v64
	v_lshlrev_b32_e32 v28, 16, v28
	v_dual_add_f32 v30, v30, v31 :: v_dual_lshlrev_b32 v31, 16, v61
	s_delay_alu instid0(VALU_DEP_2) | instskip(NEXT) | instid1(VALU_DEP_2)
	v_dual_mul_f32 v5, v5, v41 :: v_dual_mul_f32 v28, v7, v28
	v_mul_f32_e32 v8, v8, v31
	s_delay_alu instid0(VALU_DEP_2) | instskip(SKIP_2) | instid1(VALU_DEP_3)
	v_bfe_u32 v39, v28, 16, 1
	v_or_b32_e32 v40, 0x400000, v28
	v_cmp_u_f32_e32 vcc_lo, v28, v28
	v_add3_u32 v39, v39, v28, 0x7fff
	s_wait_alu 0xfffd
	s_delay_alu instid0(VALU_DEP_1) | instskip(SKIP_2) | instid1(VALU_DEP_1)
	v_cndmask_b32_e32 v28, v39, v40, vcc_lo
	v_cmp_u_f32_e32 vcc_lo, v5, v5
	v_and_b32_e32 v32, 0xffff0000, v32
	v_dual_add_f32 v32, v32, v33 :: v_dual_lshlrev_b32 v33, 16, v63
	s_delay_alu instid0(VALU_DEP_1) | instskip(NEXT) | instid1(VALU_DEP_1)
	v_dual_mul_f32 v1, v1, v33 :: v_dual_and_b32 v34, 0xffff0000, v34
	v_add_f32_e32 v34, v34, v35
	s_delay_alu instid0(VALU_DEP_2) | instskip(NEXT) | instid1(VALU_DEP_2)
	v_bfe_u32 v35, v1, 16, 1
	v_add_f32_e32 v32, v32, v34
	v_bfe_u32 v34, v5, 16, 1
	s_delay_alu instid0(VALU_DEP_1) | instskip(SKIP_2) | instid1(VALU_DEP_1)
	v_add3_u32 v33, v34, v5, 0x7fff
	v_or_b32_e32 v34, 0x400000, v5
	s_wait_alu 0xfffd
	v_cndmask_b32_e32 v5, v33, v34, vcc_lo
	v_add3_u32 v33, v35, v1, 0x7fff
	v_or_b32_e32 v34, 0x400000, v1
	v_bfe_u32 v35, v8, 16, 1
	v_cmp_u_f32_e32 vcc_lo, v1, v1
	v_and_b32_e32 v28, 0xffff0000, v28
	v_and_b32_e32 v5, 0xffff0000, v5
	v_lshlrev_b32_e32 v14, 16, v14
	s_wait_alu 0xfffd
	v_cndmask_b32_e32 v1, v33, v34, vcc_lo
	v_add3_u32 v33, v35, v8, 0x7fff
	v_or_b32_e32 v34, 0x400000, v8
	v_cmp_u_f32_e32 vcc_lo, v8, v8
	v_lshlrev_b32_e32 v31, 16, v59
	s_wait_alu 0xfffd
	s_delay_alu instid0(VALU_DEP_3) | instskip(NEXT) | instid1(VALU_DEP_2)
	v_dual_cndmask_b32 v8, v33, v34 :: v_dual_and_b32 v1, 0xffff0000, v1
	v_dual_mul_f32 v2, v2, v31 :: v_dual_lshlrev_b32 v31, 16, v57
	s_delay_alu instid0(VALU_DEP_2) | instskip(NEXT) | instid1(VALU_DEP_3)
	v_add_f32_e32 v1, v5, v1
	v_dual_mul_f32 v7, v7, v14 :: v_dual_and_b32 v8, 0xffff0000, v8
	s_delay_alu instid0(VALU_DEP_3) | instskip(NEXT) | instid1(VALU_DEP_4)
	v_bfe_u32 v35, v2, 16, 1
	v_mul_f32_e32 v6, v6, v31
	v_or_b32_e32 v34, 0x400000, v2
	v_cmp_u_f32_e32 vcc_lo, v2, v2
	s_delay_alu instid0(VALU_DEP_4) | instskip(SKIP_3) | instid1(VALU_DEP_2)
	v_add3_u32 v33, v35, v2, 0x7fff
	v_lshlrev_b32_e32 v31, 16, v55
	v_bfe_u32 v35, v6, 16, 1
	s_wait_alu 0xfffd
	v_dual_cndmask_b32 v2, v33, v34 :: v_dual_mul_f32 v3, v3, v31
	s_delay_alu instid0(VALU_DEP_2) | instskip(SKIP_2) | instid1(VALU_DEP_4)
	v_add3_u32 v33, v35, v6, 0x7fff
	v_cmp_u_f32_e32 vcc_lo, v6, v6
	v_bfe_u32 v34, v7, 16, 1
	v_and_b32_e32 v2, 0xffff0000, v2
	v_bfe_u32 v31, v3, 16, 1
	s_delay_alu instid0(VALU_DEP_2) | instskip(NEXT) | instid1(VALU_DEP_2)
	v_add_f32_e32 v2, v8, v2
	v_add3_u32 v14, v31, v3, 0x7fff
	v_or_b32_e32 v31, 0x400000, v3
	v_mul_f32_e32 v4, v4, v13
	v_or_b32_e32 v13, 0x400000, v6
	s_wait_alu 0xfffd
	s_delay_alu instid0(VALU_DEP_1)
	v_cndmask_b32_e32 v6, v33, v13, vcc_lo
	v_cmp_u_f32_e32 vcc_lo, v3, v3
	v_add3_u32 v13, v34, v7, 0x7fff
	v_or_b32_e32 v33, 0x400000, v7
	s_wait_alu 0xfffd
	v_cndmask_b32_e32 v3, v14, v31, vcc_lo
	v_bfe_u32 v35, v4, 16, 1
	v_or_b32_e32 v31, 0x400000, v4
	v_cmp_u_f32_e32 vcc_lo, v4, v4
	s_delay_alu instid0(VALU_DEP_4) | instskip(NEXT) | instid1(VALU_DEP_4)
	v_and_b32_e32 v3, 0xffff0000, v3
	v_add3_u32 v14, v35, v4, 0x7fff
	s_wait_alu 0xfffd
	s_delay_alu instid0(VALU_DEP_1)
	v_cndmask_b32_e32 v4, v14, v31, vcc_lo
	v_cmp_u_f32_e32 vcc_lo, v7, v7
	v_and_b32_e32 v5, 0xffff0000, v6
	v_and_b32_e32 v7, 0xffff0000, v29
	v_add_f32_e32 v1, v2, v1
	s_wait_alu 0xfffd
	v_cndmask_b32_e32 v6, v13, v33, vcc_lo
	v_dual_add_f32 v2, v5, v3 :: v_dual_and_b32 v3, 0xffff0000, v4
	v_add_f32_e32 v7, v28, v7
	s_delay_alu instid0(VALU_DEP_3) | instskip(SKIP_1) | instid1(VALU_DEP_4)
	v_dual_add_f32 v5, v36, v37 :: v_dual_and_b32 v4, 0xffff0000, v6
	v_add_f32_e32 v6, v30, v32
	v_add_f32_e32 v1, v2, v1
	v_cmp_le_i32_e32 vcc_lo, s36, v18
	s_delay_alu instid0(VALU_DEP_4) | instskip(SKIP_2) | instid1(VALU_DEP_3)
	v_dual_add_f32 v2, v4, v3 :: v_dual_add_f32 v3, v47, v45
	v_add_f32_e32 v4, v5, v38
	v_dual_add_f32 v22, v22, v43 :: v_dual_add_f32 v5, v7, v6
	v_add_f32_e32 v1, v2, v1
	s_delay_alu instid0(VALU_DEP_4) | instskip(NEXT) | instid1(VALU_DEP_4)
	v_add_f32_e32 v23, v23, v3
	v_add_f32_e32 v25, v25, v4
	s_or_b32 s4, vcc_lo, s4
	v_add_f32_e32 v24, v24, v5
	v_add_f32_e32 v21, v21, v1
	s_wait_alu 0xfffe
	s_and_not1_b32 exec_lo, exec_lo, s4
	s_cbranch_execz .LBB342_43
.LBB342_33:                             ; =>This Inner Loop Header: Depth=1
	global_load_b32 v1, v[11:12], off
	s_wait_alu 0xfffe
	v_cmp_eq_u32_e32 vcc_lo, s44, v18
	v_add_nc_u32_e32 v47, -4, v26
	v_add_nc_u32_e32 v45, -2, v26
	s_wait_loadcnt 0x0
	v_mad_co_i64_i32 v[13:14], null, v1, s3, v[9:10]
	global_load_b64 v[28:29], v[13:14], off
	ds_load_2addr_b64 v[5:8], v27 offset1:1
	ds_load_2addr_b64 v[1:4], v27 offset0:2 offset1:3
	s_wait_loadcnt 0x0
	v_bfe_u32 v35, v29, 16, 8
	v_bfe_u32 v31, v28, 8, 8
	;; [unrolled: 1-line block ×4, first 2 shown]
	s_delay_alu instid0(VALU_DEP_4)
	v_cvt_f32_fp8_e32 v35, v35
	v_and_b32_e32 v30, 0xff, v28
	v_cvt_f32_fp8_e32 v31, v31
	v_add_nc_u32_e32 v48, -5, v26
	v_lshrrev_b32_e32 v28, 24, v28
	s_wait_kmcnt 0x0
	v_mul_f32_e32 v35, s2, v35
	v_cvt_f32_fp8_e32 v30, v30
	v_and_b32_e32 v33, 0xff, v29
	v_cvt_f32_fp8_e32 v32, v32
	v_mul_f32_e32 v31, s2, v31
	v_add_nc_u32_e32 v43, -7, v26
	v_mul_f32_e32 v30, s2, v30
	v_cvt_f32_fp8_e32 v28, v28
	v_mul_f32_e32 v32, s2, v32
	v_bfe_u32 v38, v31, 16, 1
	v_add_nc_u32_e32 v49, -6, v26
	v_bfe_u32 v36, v30, 16, 1
	v_or_b32_e32 v37, 0x400000, v30
	v_cmp_u_f32_e64 s0, v30, v30
	v_cvt_f32_fp8_e32 v33, v33
	v_mul_f32_e32 v28, s2, v28
	v_add3_u32 v36, v36, v30, 0x7fff
	v_or_b32_e32 v39, 0x400000, v31
	v_bfe_u32 v40, v32, 16, 1
	v_add3_u32 v38, v38, v31, 0x7fff
	v_dual_mul_f32 v33, s2, v33 :: v_dual_add_nc_u32 v46, -3, v26
	s_wait_alu 0xf1ff
	v_cndmask_b32_e64 v30, v36, v37, s0
	v_cmp_u_f32_e64 s0, v31, v31
	v_lshrrev_b32_e32 v29, 24, v29
	v_cvt_f32_fp8_e32 v34, v34
	v_or_b32_e32 v41, 0x400000, v32
	v_bfe_u32 v42, v28, 16, 1
	v_add3_u32 v40, v40, v32, 0x7fff
	s_wait_alu 0xf1ff
	v_cndmask_b32_e64 v31, v38, v39, s0
	v_cmp_u_f32_e64 s0, v32, v32
	v_cvt_f32_fp8_e32 v29, v29
	v_mul_f32_e32 v34, s2, v34
	v_or_b32_e32 v44, 0x400000, v28
	v_bfe_u32 v50, v33, 16, 1
	v_add3_u32 v42, v42, v28, 0x7fff
	s_wait_alu 0xf1ff
	v_cndmask_b32_e64 v32, v40, v41, s0
	v_cmp_u_f32_e64 s0, v28, v28
	v_mul_f32_e32 v29, s2, v29
	v_or_b32_e32 v51, 0x400000, v33
	v_bfe_u32 v52, v34, 16, 1
	v_add3_u32 v50, v50, v33, 0x7fff
	s_wait_alu 0xf1ff
	v_cndmask_b32_e64 v28, v42, v44, s0
	v_cmp_u_f32_e64 s0, v33, v33
	v_or_b32_e32 v53, 0x400000, v34
	v_bfe_u32 v54, v35, 16, 1
	v_add3_u32 v52, v52, v34, 0x7fff
	v_or_b32_e32 v55, 0x400000, v35
	s_wait_alu 0xf1ff
	v_cndmask_b32_e64 v36, v50, v51, s0
	v_cmp_u_f32_e64 s0, v34, v34
	v_bfe_u32 v56, v29, 16, 1
	v_add3_u32 v54, v54, v35, 0x7fff
	v_or_b32_e32 v57, 0x400000, v29
	v_lshrrev_b32_e32 v34, 16, v30
	s_wait_alu 0xf1ff
	v_cndmask_b32_e64 v37, v52, v53, s0
	v_cmp_u_f32_e64 s0, v35, v35
	v_add3_u32 v56, v56, v29, 0x7fff
	v_lshrrev_b32_e32 v35, 16, v31
	v_lshrrev_b32_e32 v32, 16, v32
	;; [unrolled: 1-line block ×3, first 2 shown]
	s_wait_alu 0xf1ff
	v_cndmask_b32_e64 v38, v54, v55, s0
	v_cmp_u_f32_e64 s0, v29, v29
	v_lshrrev_b32_e32 v30, 16, v36
	v_lshrrev_b32_e32 v31, 16, v37
	v_add_nc_u32_e32 v50, -1, v26
	v_lshrrev_b32_e32 v28, 16, v38
	s_wait_alu 0xf1ff
	v_cndmask_b32_e64 v29, v56, v57, s0
	s_delay_alu instid0(VALU_DEP_1)
	v_lshrrev_b32_e32 v29, 16, v29
	s_and_saveexec_b32 s5, vcc_lo
	s_cbranch_execz .LBB342_35
; %bb.34:                               ;   in Loop: Header=BB342_33 Depth=1
	v_cmp_gt_i32_e64 s0, s46, v43
	s_wait_alu 0xf1ff
	s_delay_alu instid0(VALU_DEP_1) | instskip(SKIP_2) | instid1(VALU_DEP_1)
	v_cndmask_b32_e64 v34, 0, v34, s0
	v_cmp_gt_i32_e64 s0, s46, v49
	s_wait_alu 0xf1ff
	v_cndmask_b32_e64 v35, 0, v35, s0
	v_cmp_gt_i32_e64 s0, s46, v48
	s_wait_alu 0xf1ff
	s_delay_alu instid0(VALU_DEP_1) | instskip(SKIP_2) | instid1(VALU_DEP_1)
	v_cndmask_b32_e64 v32, 0, v32, s0
	v_cmp_gt_i32_e64 s0, s46, v47
	s_wait_alu 0xf1ff
	v_cndmask_b32_e64 v33, 0, v33, s0
	;; [unrolled: 7-line block ×4, first 2 shown]
.LBB342_35:                             ;   in Loop: Header=BB342_33 Depth=1
	s_wait_alu 0xfffe
	s_or_b32 exec_lo, exec_lo, s5
	global_load_b64 v[36:37], v[13:14], off offset:256
	s_wait_loadcnt 0x0
	v_bfe_u32 v39, v36, 8, 8
	v_bfe_u32 v40, v36, 16, 8
	;; [unrolled: 1-line block ×4, first 2 shown]
	s_delay_alu instid0(VALU_DEP_4)
	v_cvt_f32_fp8_e32 v39, v39
	v_and_b32_e32 v38, 0xff, v36
	v_lshrrev_b32_e32 v36, 24, v36
	v_cvt_f32_fp8_e32 v40, v40
	v_cvt_f32_fp8_e32 v42, v42
	v_mul_f32_e32 v39, s2, v39
	v_cvt_f32_fp8_e32 v38, v38
	v_and_b32_e32 v41, 0xff, v37
	v_lshrrev_b32_e32 v37, 24, v37
	v_cvt_f32_fp8_e32 v36, v36
	v_bfe_u32 v53, v39, 16, 1
	v_mul_f32_e32 v38, s2, v38
	v_cvt_f32_fp8_e32 v41, v41
	v_mul_f32_e32 v40, s2, v40
	v_cvt_f32_fp8_e32 v37, v37
	v_mul_f32_e32 v36, s2, v36
	v_bfe_u32 v51, v38, 16, 1
	v_or_b32_e32 v52, 0x400000, v38
	v_cmp_u_f32_e64 s0, v38, v38
	v_mul_f32_e32 v41, s2, v41
	v_or_b32_e32 v54, 0x400000, v39
	v_add3_u32 v51, v51, v38, 0x7fff
	v_bfe_u32 v55, v40, 16, 1
	v_add3_u32 v53, v53, v39, 0x7fff
	v_mul_f32_e32 v37, s2, v37
	v_or_b32_e32 v56, 0x400000, v40
	s_wait_alu 0xf1ff
	v_cndmask_b32_e64 v38, v51, v52, s0
	v_cmp_u_f32_e64 s0, v39, v39
	v_bfe_u32 v57, v36, 16, 1
	v_add3_u32 v55, v55, v40, 0x7fff
	v_cvt_f32_fp8_e32 v44, v44
	v_mul_f32_e32 v42, s2, v42
	s_wait_alu 0xf1ff
	v_cndmask_b32_e64 v39, v53, v54, s0
	v_cmp_u_f32_e64 s0, v40, v40
	v_or_b32_e32 v58, 0x400000, v36
	v_bfe_u32 v59, v41, 16, 1
	v_add3_u32 v57, v57, v36, 0x7fff
	v_mul_f32_e32 v44, s2, v44
	s_wait_alu 0xf1ff
	v_cndmask_b32_e64 v40, v55, v56, s0
	v_cmp_u_f32_e64 s0, v36, v36
	v_or_b32_e32 v60, 0x400000, v41
	v_bfe_u32 v61, v42, 16, 1
	v_add3_u32 v59, v59, v41, 0x7fff
	v_or_b32_e32 v62, 0x400000, v42
	s_wait_alu 0xf1ff
	v_cndmask_b32_e64 v36, v57, v58, s0
	v_cmp_u_f32_e64 s0, v41, v41
	v_bfe_u32 v63, v44, 16, 1
	v_add3_u32 v61, v61, v42, 0x7fff
	v_or_b32_e32 v64, 0x400000, v44
	v_bfe_u32 v65, v37, 16, 1
	s_wait_alu 0xf1ff
	v_cndmask_b32_e64 v51, v59, v60, s0
	v_cmp_u_f32_e64 s0, v42, v42
	v_add3_u32 v63, v63, v44, 0x7fff
	v_or_b32_e32 v66, 0x400000, v37
	v_add3_u32 v65, v65, v37, 0x7fff
	v_lshrrev_b32_e32 v42, 16, v38
	s_wait_alu 0xf1ff
	v_cndmask_b32_e64 v52, v61, v62, s0
	v_cmp_u_f32_e64 s0, v44, v44
	v_lshrrev_b32_e32 v44, 16, v39
	v_lshrrev_b32_e32 v40, 16, v40
	;; [unrolled: 1-line block ×4, first 2 shown]
	s_wait_alu 0xf1ff
	v_cndmask_b32_e64 v53, v63, v64, s0
	v_cmp_u_f32_e64 s0, v37, v37
	v_lshrrev_b32_e32 v39, 16, v52
	s_delay_alu instid0(VALU_DEP_3) | instskip(SKIP_1) | instid1(VALU_DEP_3)
	v_lshrrev_b32_e32 v36, 16, v53
	s_wait_alu 0xf1ff
	v_cndmask_b32_e64 v37, v65, v66, s0
	s_delay_alu instid0(VALU_DEP_1)
	v_lshrrev_b32_e32 v37, 16, v37
	s_and_saveexec_b32 s5, vcc_lo
	s_cbranch_execz .LBB342_37
; %bb.36:                               ;   in Loop: Header=BB342_33 Depth=1
	v_cmp_gt_i32_e64 s0, s46, v43
	s_wait_alu 0xf1ff
	s_delay_alu instid0(VALU_DEP_1) | instskip(SKIP_2) | instid1(VALU_DEP_1)
	v_cndmask_b32_e64 v42, 0, v42, s0
	v_cmp_gt_i32_e64 s0, s46, v49
	s_wait_alu 0xf1ff
	v_cndmask_b32_e64 v44, 0, v44, s0
	v_cmp_gt_i32_e64 s0, s46, v48
	s_wait_alu 0xf1ff
	s_delay_alu instid0(VALU_DEP_1) | instskip(SKIP_2) | instid1(VALU_DEP_1)
	v_cndmask_b32_e64 v40, 0, v40, s0
	v_cmp_gt_i32_e64 s0, s46, v47
	s_wait_alu 0xf1ff
	v_cndmask_b32_e64 v41, 0, v41, s0
	;; [unrolled: 7-line block ×4, first 2 shown]
.LBB342_37:                             ;   in Loop: Header=BB342_33 Depth=1
	s_wait_alu 0xfffe
	s_or_b32 exec_lo, exec_lo, s5
	global_load_b64 v[51:52], v[13:14], off offset:512
	s_wait_loadcnt 0x0
	v_bfe_u32 v54, v51, 8, 8
	v_bfe_u32 v55, v51, 16, 8
	;; [unrolled: 1-line block ×4, first 2 shown]
	s_delay_alu instid0(VALU_DEP_4)
	v_cvt_f32_fp8_e32 v54, v54
	v_and_b32_e32 v53, 0xff, v51
	v_lshrrev_b32_e32 v51, 24, v51
	v_cvt_f32_fp8_e32 v55, v55
	v_cvt_f32_fp8_e32 v58, v58
	v_mul_f32_e32 v54, s2, v54
	v_cvt_f32_fp8_e32 v53, v53
	v_and_b32_e32 v56, 0xff, v52
	v_cvt_f32_fp8_e32 v51, v51
	v_lshrrev_b32_e32 v52, 24, v52
	v_bfe_u32 v61, v54, 16, 1
	v_mul_f32_e32 v53, s2, v53
	v_cvt_f32_fp8_e32 v56, v56
	v_mul_f32_e32 v55, s2, v55
	v_dual_mul_f32 v51, s2, v51 :: v_dual_mul_f32 v58, s2, v58
	s_delay_alu instid0(VALU_DEP_4)
	v_bfe_u32 v59, v53, 16, 1
	v_or_b32_e32 v60, 0x400000, v53
	v_cmp_u_f32_e64 s0, v53, v53
	v_mul_f32_e32 v56, s2, v56
	v_or_b32_e32 v62, 0x400000, v54
	v_add3_u32 v59, v59, v53, 0x7fff
	v_bfe_u32 v63, v55, 16, 1
	v_add3_u32 v61, v61, v54, 0x7fff
	v_cvt_f32_fp8_e32 v57, v57
	v_or_b32_e32 v64, 0x400000, v55
	s_wait_alu 0xf1ff
	v_cndmask_b32_e64 v53, v59, v60, s0
	v_cmp_u_f32_e64 s0, v54, v54
	v_bfe_u32 v65, v51, 16, 1
	v_add3_u32 v63, v63, v55, 0x7fff
	v_cvt_f32_fp8_e32 v52, v52
	v_mul_f32_e32 v57, s2, v57
	s_wait_alu 0xf1ff
	v_cndmask_b32_e64 v54, v61, v62, s0
	v_cmp_u_f32_e64 s0, v55, v55
	v_or_b32_e32 v66, 0x400000, v51
	v_bfe_u32 v67, v56, 16, 1
	v_add3_u32 v65, v65, v51, 0x7fff
	v_mul_f32_e32 v52, s2, v52
	s_wait_alu 0xf1ff
	v_cndmask_b32_e64 v55, v63, v64, s0
	v_cmp_u_f32_e64 s0, v51, v51
	v_or_b32_e32 v68, 0x400000, v56
	v_bfe_u32 v69, v57, 16, 1
	v_add3_u32 v67, v67, v56, 0x7fff
	v_or_b32_e32 v70, 0x400000, v57
	s_wait_alu 0xf1ff
	v_cndmask_b32_e64 v51, v65, v66, s0
	v_cmp_u_f32_e64 s0, v56, v56
	v_bfe_u32 v71, v58, 16, 1
	v_add3_u32 v69, v69, v57, 0x7fff
	v_or_b32_e32 v72, 0x400000, v58
	v_bfe_u32 v73, v52, 16, 1
	s_wait_alu 0xf1ff
	v_cndmask_b32_e64 v59, v67, v68, s0
	v_cmp_u_f32_e64 s0, v57, v57
	v_add3_u32 v71, v71, v58, 0x7fff
	v_or_b32_e32 v74, 0x400000, v52
	v_add3_u32 v73, v73, v52, 0x7fff
	v_lshrrev_b32_e32 v60, 16, v53
	s_wait_alu 0xf1ff
	v_cndmask_b32_e64 v57, v69, v70, s0
	v_cmp_u_f32_e64 s0, v58, v58
	v_lshrrev_b32_e32 v62, 16, v54
	v_lshrrev_b32_e32 v56, 16, v55
	;; [unrolled: 1-line block ×4, first 2 shown]
	s_wait_alu 0xf1ff
	v_cndmask_b32_e64 v61, v71, v72, s0
	v_cmp_u_f32_e64 s0, v52, v52
	v_lshrrev_b32_e32 v54, 16, v57
	s_delay_alu instid0(VALU_DEP_3) | instskip(SKIP_1) | instid1(VALU_DEP_3)
	v_lshrrev_b32_e32 v51, 16, v61
	s_wait_alu 0xf1ff
	v_cndmask_b32_e64 v52, v73, v74, s0
	s_delay_alu instid0(VALU_DEP_1)
	v_lshrrev_b32_e32 v52, 16, v52
	s_and_saveexec_b32 s5, vcc_lo
	s_cbranch_execz .LBB342_39
; %bb.38:                               ;   in Loop: Header=BB342_33 Depth=1
	v_cmp_gt_i32_e64 s0, s46, v43
	s_wait_alu 0xf1ff
	s_delay_alu instid0(VALU_DEP_1) | instskip(SKIP_2) | instid1(VALU_DEP_1)
	v_cndmask_b32_e64 v60, 0, v60, s0
	v_cmp_gt_i32_e64 s0, s46, v49
	s_wait_alu 0xf1ff
	v_cndmask_b32_e64 v62, 0, v62, s0
	v_cmp_gt_i32_e64 s0, s46, v48
	s_wait_alu 0xf1ff
	s_delay_alu instid0(VALU_DEP_1) | instskip(SKIP_2) | instid1(VALU_DEP_1)
	v_cndmask_b32_e64 v56, 0, v56, s0
	v_cmp_gt_i32_e64 s0, s46, v47
	s_wait_alu 0xf1ff
	v_cndmask_b32_e64 v58, 0, v58, s0
	;; [unrolled: 7-line block ×4, first 2 shown]
.LBB342_39:                             ;   in Loop: Header=BB342_33 Depth=1
	s_wait_alu 0xfffe
	s_or_b32 exec_lo, exec_lo, s5
	global_load_b64 v[63:64], v[13:14], off offset:768
	s_wait_loadcnt 0x0
	v_bfe_u32 v66, v64, 16, 8
	v_bfe_u32 v57, v63, 8, 8
	;; [unrolled: 1-line block ×3, first 2 shown]
	v_lshrrev_b32_e32 v61, 24, v63
	v_bfe_u32 v65, v64, 8, 8
	v_cvt_f32_fp8_e32 v66, v66
	v_and_b32_e32 v55, 0xff, v63
	v_and_b32_e32 v63, 0xff, v64
	v_lshrrev_b32_e32 v64, 24, v64
	v_cvt_f32_fp8_e32 v57, v57
	v_mul_f32_e32 v66, s2, v66
	v_cvt_f32_fp8_e32 v55, v55
	v_cvt_f32_fp8_e32 v59, v59
	;; [unrolled: 1-line block ×3, first 2 shown]
	v_mul_f32_e32 v57, s2, v57
	v_cvt_f32_fp8_e32 v61, v61
	v_mul_f32_e32 v55, s2, v55
	s_delay_alu instid0(VALU_DEP_4) | instskip(NEXT) | instid1(VALU_DEP_4)
	v_dual_mul_f32 v59, s2, v59 :: v_dual_mul_f32 v64, s2, v64
	v_bfe_u32 v69, v57, 16, 1
	v_cvt_f32_fp8_e32 v63, v63
	s_delay_alu instid0(VALU_DEP_4)
	v_bfe_u32 v67, v55, 16, 1
	v_or_b32_e32 v68, 0x400000, v55
	v_cmp_u_f32_e64 s0, v55, v55
	v_mul_f32_e32 v61, s2, v61
	v_or_b32_e32 v70, 0x400000, v57
	v_add3_u32 v67, v67, v55, 0x7fff
	v_bfe_u32 v71, v59, 16, 1
	v_add3_u32 v69, v69, v57, 0x7fff
	v_cvt_f32_fp8_e32 v65, v65
	v_mul_f32_e32 v63, s2, v63
	s_wait_alu 0xf1ff
	v_cndmask_b32_e64 v55, v67, v68, s0
	v_cmp_u_f32_e64 s0, v57, v57
	v_or_b32_e32 v72, 0x400000, v59
	v_bfe_u32 v73, v61, 16, 1
	v_add3_u32 v71, v71, v59, 0x7fff
	v_mul_f32_e32 v65, s2, v65
	s_wait_alu 0xf1ff
	v_cndmask_b32_e64 v57, v69, v70, s0
	v_cmp_u_f32_e64 s0, v59, v59
	v_or_b32_e32 v74, 0x400000, v61
	v_bfe_u32 v75, v63, 16, 1
	v_add3_u32 v73, v73, v61, 0x7fff
	v_or_b32_e32 v76, 0x400000, v63
	s_wait_alu 0xf1ff
	v_cndmask_b32_e64 v59, v71, v72, s0
	v_cmp_u_f32_e64 s0, v61, v61
	v_bfe_u32 v77, v65, 16, 1
	v_add3_u32 v75, v75, v63, 0x7fff
	v_or_b32_e32 v78, 0x400000, v65
	v_bfe_u32 v79, v66, 16, 1
	s_wait_alu 0xf1ff
	v_cndmask_b32_e64 v61, v73, v74, s0
	v_cmp_u_f32_e64 s0, v63, v63
	v_add3_u32 v77, v77, v65, 0x7fff
	v_or_b32_e32 v80, 0x400000, v66
	v_bfe_u32 v81, v64, 16, 1
	v_add3_u32 v79, v79, v66, 0x7fff
	s_wait_alu 0xf1ff
	v_cndmask_b32_e64 v63, v75, v76, s0
	v_cmp_u_f32_e64 s0, v65, v65
	v_or_b32_e32 v82, 0x400000, v64
	v_add3_u32 v81, v81, v64, 0x7fff
	v_lshrrev_b32_e32 v71, 16, v55
	v_lshrrev_b32_e32 v72, 16, v57
	s_wait_alu 0xf1ff
	v_cndmask_b32_e64 v65, v77, v78, s0
	v_cmp_u_f32_e64 s0, v66, v66
	v_lshrrev_b32_e32 v69, 16, v59
	v_lshrrev_b32_e32 v70, 16, v61
	;; [unrolled: 1-line block ×4, first 2 shown]
	s_wait_alu 0xf1ff
	v_cndmask_b32_e64 v66, v79, v80, s0
	v_cmp_u_f32_e64 s0, v64, v64
	s_delay_alu instid0(VALU_DEP_2) | instskip(SKIP_1) | instid1(VALU_DEP_2)
	v_lshrrev_b32_e32 v65, 16, v66
	s_wait_alu 0xf1ff
	v_cndmask_b32_e64 v64, v81, v82, s0
	s_delay_alu instid0(VALU_DEP_1)
	v_lshrrev_b32_e32 v66, 16, v64
	s_and_saveexec_b32 s5, vcc_lo
	s_cbranch_execz .LBB342_41
; %bb.40:                               ;   in Loop: Header=BB342_33 Depth=1
	v_cmp_gt_i32_e64 s0, s46, v43
	s_wait_alu 0xf1ff
	s_delay_alu instid0(VALU_DEP_1) | instskip(SKIP_2) | instid1(VALU_DEP_1)
	v_cndmask_b32_e64 v71, 0, v71, s0
	v_cmp_gt_i32_e64 s0, s46, v49
	s_wait_alu 0xf1ff
	v_cndmask_b32_e64 v72, 0, v72, s0
	v_cmp_gt_i32_e64 s0, s46, v48
	s_wait_alu 0xf1ff
	s_delay_alu instid0(VALU_DEP_1) | instskip(SKIP_2) | instid1(VALU_DEP_1)
	v_cndmask_b32_e64 v69, 0, v69, s0
	v_cmp_gt_i32_e64 s0, s46, v47
	s_wait_alu 0xf1ff
	v_cndmask_b32_e64 v70, 0, v70, s0
	;; [unrolled: 7-line block ×4, first 2 shown]
.LBB342_41:                             ;   in Loop: Header=BB342_33 Depth=1
	s_wait_alu 0xfffe
	s_or_b32 exec_lo, exec_lo, s5
	global_load_b64 v[13:14], v[13:14], off offset:1024
	s_wait_loadcnt 0x0
	v_bfe_u32 v64, v14, 16, 8
	v_bfe_u32 v57, v13, 8, 8
	v_and_b32_e32 v61, 0xff, v14
	v_bfe_u32 v63, v14, 8, 8
	v_lshrrev_b32_e32 v14, 24, v14
	v_cvt_f32_fp8_e32 v64, v64
	v_and_b32_e32 v55, 0xff, v13
	v_bfe_u32 v59, v13, 16, 8
	v_cvt_f32_fp8_e32 v57, v57
	v_cvt_f32_fp8_e32 v14, v14
	v_mul_f32_e32 v64, s2, v64
	v_cvt_f32_fp8_e32 v55, v55
	v_lshrrev_b32_e32 v13, 24, v13
	v_cvt_f32_fp8_e32 v59, v59
	v_dual_mul_f32 v57, s2, v57 :: v_dual_mul_f32 v14, s2, v14
	s_delay_alu instid0(VALU_DEP_4) | instskip(NEXT) | instid1(VALU_DEP_4)
	v_mul_f32_e32 v55, s2, v55
	v_cvt_f32_fp8_e32 v13, v13
	s_delay_alu instid0(VALU_DEP_4) | instskip(NEXT) | instid1(VALU_DEP_4)
	v_mul_f32_e32 v59, s2, v59
	v_bfe_u32 v75, v57, 16, 1
	v_cvt_f32_fp8_e32 v61, v61
	v_bfe_u32 v73, v55, 16, 1
	v_or_b32_e32 v74, 0x400000, v55
	v_cmp_u_f32_e64 s0, v55, v55
	v_mul_f32_e32 v13, s2, v13
	v_or_b32_e32 v76, 0x400000, v57
	v_add3_u32 v73, v73, v55, 0x7fff
	v_bfe_u32 v77, v59, 16, 1
	v_add3_u32 v75, v75, v57, 0x7fff
	v_cvt_f32_fp8_e32 v63, v63
	v_mul_f32_e32 v61, s2, v61
	s_wait_alu 0xf1ff
	v_cndmask_b32_e64 v55, v73, v74, s0
	v_cmp_u_f32_e64 s0, v57, v57
	v_or_b32_e32 v78, 0x400000, v59
	v_bfe_u32 v79, v13, 16, 1
	v_add3_u32 v77, v77, v59, 0x7fff
	v_mul_f32_e32 v63, s2, v63
	s_wait_alu 0xf1ff
	v_cndmask_b32_e64 v57, v75, v76, s0
	v_cmp_u_f32_e64 s0, v59, v59
	v_or_b32_e32 v80, 0x400000, v13
	v_bfe_u32 v81, v61, 16, 1
	v_add3_u32 v79, v79, v13, 0x7fff
	v_or_b32_e32 v82, 0x400000, v61
	s_wait_alu 0xf1ff
	v_cndmask_b32_e64 v59, v77, v78, s0
	v_cmp_u_f32_e64 s0, v13, v13
	v_bfe_u32 v83, v63, 16, 1
	v_add3_u32 v81, v81, v61, 0x7fff
	v_or_b32_e32 v84, 0x400000, v63
	v_bfe_u32 v85, v64, 16, 1
	s_wait_alu 0xf1ff
	v_cndmask_b32_e64 v13, v79, v80, s0
	v_cmp_u_f32_e64 s0, v61, v61
	v_add3_u32 v83, v83, v63, 0x7fff
	v_or_b32_e32 v86, 0x400000, v64
	v_bfe_u32 v87, v14, 16, 1
	v_add3_u32 v85, v85, v64, 0x7fff
	s_wait_alu 0xf1ff
	v_cndmask_b32_e64 v73, v81, v82, s0
	v_cmp_u_f32_e64 s0, v63, v63
	v_or_b32_e32 v88, 0x400000, v14
	v_add3_u32 v87, v87, v14, 0x7fff
	v_lshrrev_b32_e32 v63, 16, v57
	v_lshrrev_b32_e32 v61, 16, v59
	s_wait_alu 0xf1ff
	v_cndmask_b32_e64 v74, v83, v84, s0
	v_cmp_u_f32_e64 s0, v64, v64
	v_lshrrev_b32_e32 v64, 16, v55
	v_lshrrev_b32_e32 v59, 16, v13
	;; [unrolled: 1-line block ×4, first 2 shown]
	s_wait_alu 0xf1ff
	v_cndmask_b32_e64 v75, v85, v86, s0
	v_cmp_u_f32_e64 s0, v14, v14
	s_delay_alu instid0(VALU_DEP_2) | instskip(SKIP_1) | instid1(VALU_DEP_2)
	v_lshrrev_b32_e32 v14, 16, v75
	s_wait_alu 0xf1ff
	v_cndmask_b32_e64 v76, v87, v88, s0
	s_delay_alu instid0(VALU_DEP_1)
	v_lshrrev_b32_e32 v13, 16, v76
	s_and_saveexec_b32 s0, vcc_lo
	s_cbranch_execz .LBB342_32
; %bb.42:                               ;   in Loop: Header=BB342_33 Depth=1
	v_cmp_gt_i32_e32 vcc_lo, s46, v43
	s_wait_alu 0xfffd
	v_cndmask_b32_e32 v64, 0, v64, vcc_lo
	v_cmp_gt_i32_e32 vcc_lo, s46, v49
	s_wait_alu 0xfffd
	v_cndmask_b32_e32 v63, 0, v63, vcc_lo
	;; [unrolled: 3-line block ×8, first 2 shown]
	s_branch .LBB342_32
.LBB342_43:
	s_or_b32 exec_lo, exec_lo, s4
.LBB342_44:
	s_wait_alu 0xfffe
	s_or_b32 exec_lo, exec_lo, s1
	ds_bpermute_b32 v1, v20, v24
	ds_bpermute_b32 v2, v20, v25
	;; [unrolled: 1-line block ×5, first 2 shown]
	v_lshrrev_b32_e32 v6, 1, v19
	v_mul_u32_u24_e32 v8, 0x140, v17
	v_and_b32_e32 v11, 0x3c1, v0
	s_mov_b32 s0, exec_lo
	s_wait_storecnt 0x0
	s_wait_loadcnt_dscnt 0x0
	v_lshl_add_u32 v7, v6, 2, 0xc0
	s_barrier_signal -1
	s_barrier_wait -1
	global_inv scope:SCOPE_SE
	v_dual_add_f32 v5, v24, v1 :: v_dual_add_f32 v4, v25, v2
	v_dual_add_f32 v3, v23, v3 :: v_dual_add_f32 v2, v22, v9
	v_add_f32_e32 v1, v21, v10
	v_cmpx_eq_u32_e32 64, v11
	s_cbranch_execz .LBB342_46
; %bb.45:
	v_add_nc_u32_e32 v9, v7, v8
	s_delay_alu instid0(VALU_DEP_1)
	v_add_nc_u32_e32 v10, 0xfffffd80, v9
	v_add_nc_u32_e32 v11, 0xfffffdc0, v9
	;; [unrolled: 1-line block ×5, first 2 shown]
	ds_store_b32 v10, v5
	ds_store_b32 v11, v4
	;; [unrolled: 1-line block ×5, first 2 shown]
.LBB342_46:
	s_wait_alu 0xfffe
	s_or_b32 exec_lo, exec_lo, s0
	v_lshlrev_b32_e32 v6, 2, v6
	s_mov_b32 s1, exec_lo
	v_cmp_eq_u32_e32 vcc_lo, 0, v16
	s_wait_loadcnt_dscnt 0x0
	s_barrier_signal -1
	v_add3_u32 v6, 0xc0, v8, v6
	s_barrier_wait -1
	global_inv scope:SCOPE_SE
	v_cmpx_gt_u32_e32 64, v0
	s_cbranch_execz .LBB342_54
; %bb.47:
	s_and_saveexec_b32 s0, vcc_lo
	s_cbranch_execnz .LBB342_67
; %bb.48:
	s_wait_alu 0xfffe
	s_or_b32 exec_lo, exec_lo, s0
	s_and_saveexec_b32 s0, vcc_lo
	s_cbranch_execnz .LBB342_68
.LBB342_49:
	s_wait_alu 0xfffe
	s_or_b32 exec_lo, exec_lo, s0
	s_and_saveexec_b32 s0, vcc_lo
	s_cbranch_execnz .LBB342_69
.LBB342_50:
	s_wait_alu 0xfffe
	s_or_b32 exec_lo, exec_lo, s0
	s_and_saveexec_b32 s0, vcc_lo
	s_cbranch_execnz .LBB342_70
.LBB342_51:
	s_wait_alu 0xfffe
	s_or_b32 exec_lo, exec_lo, s0
	s_and_saveexec_b32 s0, vcc_lo
	s_cbranch_execz .LBB342_53
.LBB342_52:
	ds_load_b32 v8, v6 offset:256
	s_wait_dscnt 0x0
	v_add_f32_e32 v1, v1, v8
.LBB342_53:
	s_wait_alu 0xfffe
	s_or_b32 exec_lo, exec_lo, s0
.LBB342_54:
	s_wait_alu 0xfffe
	s_or_b32 exec_lo, exec_lo, s1
	v_and_b32_e32 v8, 0x3e1, v0
	s_mov_b32 s1, exec_lo
	s_wait_loadcnt 0x0
	s_barrier_signal -1
	s_barrier_wait -1
	global_inv scope:SCOPE_SE
	v_cmpx_eq_u32_e32 32, v8
	s_cbranch_execz .LBB342_56
; %bb.55:
	ds_store_2addr_b32 v7, v5, v4 offset1:16
	ds_store_2addr_b32 v7, v3, v2 offset0:32 offset1:48
	ds_store_b32 v7, v1 offset:256
.LBB342_56:
	s_wait_alu 0xfffe
	s_or_b32 exec_lo, exec_lo, s1
	s_delay_alu instid0(SALU_CYCLE_1)
	s_mov_b32 s1, exec_lo
	s_wait_loadcnt_dscnt 0x0
	s_barrier_signal -1
	s_barrier_wait -1
	global_inv scope:SCOPE_SE
	v_cmpx_gt_u32_e32 32, v0
	s_cbranch_execz .LBB342_64
; %bb.57:
	s_and_saveexec_b32 s0, vcc_lo
	s_cbranch_execnz .LBB342_71
; %bb.58:
	s_wait_alu 0xfffe
	s_or_b32 exec_lo, exec_lo, s0
	s_and_saveexec_b32 s0, vcc_lo
	s_cbranch_execnz .LBB342_72
.LBB342_59:
	s_wait_alu 0xfffe
	s_or_b32 exec_lo, exec_lo, s0
	s_and_saveexec_b32 s0, vcc_lo
	s_cbranch_execnz .LBB342_73
.LBB342_60:
	s_wait_alu 0xfffe
	s_or_b32 exec_lo, exec_lo, s0
	s_and_saveexec_b32 s0, vcc_lo
	s_cbranch_execnz .LBB342_74
.LBB342_61:
	s_wait_alu 0xfffe
	s_or_b32 exec_lo, exec_lo, s0
	s_and_saveexec_b32 s0, vcc_lo
	s_cbranch_execz .LBB342_63
.LBB342_62:
	ds_load_b32 v0, v6 offset:256
	s_wait_dscnt 0x0
	v_add_f32_e32 v1, v1, v0
.LBB342_63:
	s_wait_alu 0xfffe
	s_or_b32 exec_lo, exec_lo, s0
.LBB342_64:
	s_wait_alu 0xfffe
	s_or_b32 exec_lo, exec_lo, s1
	s_mov_b32 s1, 0
	s_wait_loadcnt 0x0
	s_barrier_signal -1
	s_barrier_wait -1
	global_inv scope:SCOPE_SE
	s_mov_b32 s0, exec_lo
	v_cmpx_eq_u32_e32 0, v8
	s_cbranch_execz .LBB342_66
; %bb.65:
	v_bfe_u32 v0, v5, 16, 1
	v_bfe_u32 v6, v4, 16, 1
	v_or_b32_e32 v7, 0x400000, v5
	v_cmp_u_f32_e32 vcc_lo, v5, v5
	v_or_b32_e32 v9, 0x400000, v4
	v_add3_u32 v0, v0, v5, 0x7fff
	v_add3_u32 v6, v6, v4, 0x7fff
	v_bfe_u32 v5, v3, 16, 1
	s_mul_i32 s2, s10, 0x50
	v_or_b32_e32 v10, 0x400000, v2
	s_wait_alu 0xfffd
	v_cndmask_b32_e32 v0, v0, v7, vcc_lo
	v_cmp_u_f32_e32 vcc_lo, v4, v4
	v_bfe_u32 v7, v2, 16, 1
	v_add3_u32 v5, v5, v3, 0x7fff
	s_mul_i32 s4, s35, s34
	s_wait_alu 0xfffe
	s_ashr_i32 s3, s2, 31
	s_wait_alu 0xfffd
	v_cndmask_b32_e32 v4, v6, v9, vcc_lo
	v_or_b32_e32 v9, 0x400000, v3
	v_cmp_u_f32_e32 vcc_lo, v3, v3
	v_lshlrev_b32_e32 v8, 1, v15
	v_bfe_u32 v6, v1, 16, 1
	v_add3_u32 v7, v7, v2, 0x7fff
	s_ashr_i32 s5, s4, 31
	s_wait_alu 0xfffd
	v_cndmask_b32_e32 v3, v5, v9, vcc_lo
	v_cmp_u_f32_e32 vcc_lo, v2, v2
	s_wait_alu 0xfffe
	s_lshl_b64 s[2:3], s[2:3], 1
	s_lshl_b64 s[4:5], s[4:5], 1
	s_wait_alu 0xfffe
	s_add_nc_u64 s[2:3], s[8:9], s[2:3]
	v_add3_u32 v6, v6, v1, 0x7fff
	v_or_b32_e32 v11, 0x400000, v1
	s_wait_alu 0xfffd
	v_cndmask_b32_e32 v2, v7, v10, vcc_lo
	v_cmp_u_f32_e32 vcc_lo, v1, v1
	s_wait_alu 0xfffe
	s_add_nc_u64 s[2:3], s[2:3], s[4:5]
	s_mul_i32 s0, s33, 0xa0
	s_wait_alu 0xfffe
	s_add_nc_u64 s[0:1], s[2:3], s[0:1]
	s_wait_alu 0xfffd
	v_cndmask_b32_e32 v1, v6, v11, vcc_lo
	s_clause 0x4
	global_store_d16_hi_b16 v8, v0, s[0:1]
	global_store_d16_hi_b16 v8, v4, s[0:1] offset:32
	global_store_d16_hi_b16 v8, v3, s[0:1] offset:64
	global_store_d16_hi_b16 v8, v2, s[0:1] offset:96
	global_store_d16_hi_b16 v8, v1, s[0:1] offset:128
.LBB342_66:
	s_nop 0
	s_sendmsg sendmsg(MSG_DEALLOC_VGPRS)
	s_endpgm
.LBB342_67:
	ds_load_b32 v8, v6
	s_wait_dscnt 0x0
	v_add_f32_e32 v5, v5, v8
	s_wait_alu 0xfffe
	s_or_b32 exec_lo, exec_lo, s0
	s_and_saveexec_b32 s0, vcc_lo
	s_cbranch_execz .LBB342_49
.LBB342_68:
	ds_load_b32 v8, v6 offset:64
	s_wait_dscnt 0x0
	v_add_f32_e32 v4, v4, v8
	s_wait_alu 0xfffe
	s_or_b32 exec_lo, exec_lo, s0
	s_and_saveexec_b32 s0, vcc_lo
	s_cbranch_execz .LBB342_50
.LBB342_69:
	ds_load_b32 v8, v6 offset:128
	s_wait_dscnt 0x0
	v_add_f32_e32 v3, v3, v8
	s_wait_alu 0xfffe
	s_or_b32 exec_lo, exec_lo, s0
	s_and_saveexec_b32 s0, vcc_lo
	s_cbranch_execz .LBB342_51
.LBB342_70:
	ds_load_b32 v8, v6 offset:192
	s_wait_dscnt 0x0
	v_add_f32_e32 v2, v2, v8
	s_wait_alu 0xfffe
	s_or_b32 exec_lo, exec_lo, s0
	s_and_saveexec_b32 s0, vcc_lo
	s_cbranch_execnz .LBB342_52
	s_branch .LBB342_53
.LBB342_71:
	ds_load_b32 v0, v6
	s_wait_dscnt 0x0
	v_add_f32_e32 v5, v5, v0
	s_wait_alu 0xfffe
	s_or_b32 exec_lo, exec_lo, s0
	s_and_saveexec_b32 s0, vcc_lo
	s_cbranch_execz .LBB342_59
.LBB342_72:
	ds_load_b32 v0, v6 offset:64
	s_wait_dscnt 0x0
	v_add_f32_e32 v4, v4, v0
	s_wait_alu 0xfffe
	s_or_b32 exec_lo, exec_lo, s0
	s_and_saveexec_b32 s0, vcc_lo
	s_cbranch_execz .LBB342_60
.LBB342_73:
	ds_load_b32 v0, v6 offset:128
	s_wait_dscnt 0x0
	v_add_f32_e32 v3, v3, v0
	s_wait_alu 0xfffe
	s_or_b32 exec_lo, exec_lo, s0
	s_and_saveexec_b32 s0, vcc_lo
	s_cbranch_execz .LBB342_61
.LBB342_74:
	ds_load_b32 v0, v6 offset:192
	s_wait_dscnt 0x0
	v_add_f32_e32 v2, v2, v0
	s_wait_alu 0xfffe
	s_or_b32 exec_lo, exec_lo, s0
	s_and_saveexec_b32 s0, vcc_lo
	s_cbranch_execnz .LBB342_62
	s_branch .LBB342_63
	.section	.rodata,"a",@progbits
	.p2align	6, 0x0
	.amdhsa_kernel _ZN4vllm25paged_attention_v2_kernelI14__hip_bfloat16hLi80ELi16ELi128ELNS_18Fp8KVCacheDataTypeE1ELb0ELi512EEEvPfS3_PT_PKS4_PKT0_SA_ifPKiSC_iPKfiiiSE_SE_iiiii
		.amdhsa_group_segment_fixed_size 192
		.amdhsa_private_segment_fixed_size 0
		.amdhsa_kernarg_size 400
		.amdhsa_user_sgpr_count 2
		.amdhsa_user_sgpr_dispatch_ptr 0
		.amdhsa_user_sgpr_queue_ptr 0
		.amdhsa_user_sgpr_kernarg_segment_ptr 1
		.amdhsa_user_sgpr_dispatch_id 0
		.amdhsa_user_sgpr_private_segment_size 0
		.amdhsa_wavefront_size32 1
		.amdhsa_uses_dynamic_stack 0
		.amdhsa_enable_private_segment 0
		.amdhsa_system_sgpr_workgroup_id_x 1
		.amdhsa_system_sgpr_workgroup_id_y 1
		.amdhsa_system_sgpr_workgroup_id_z 1
		.amdhsa_system_sgpr_workgroup_info 0
		.amdhsa_system_vgpr_workitem_id 0
		.amdhsa_next_free_vgpr 130
		.amdhsa_next_free_sgpr 55
		.amdhsa_reserve_vcc 1
		.amdhsa_float_round_mode_32 0
		.amdhsa_float_round_mode_16_64 0
		.amdhsa_float_denorm_mode_32 3
		.amdhsa_float_denorm_mode_16_64 3
		.amdhsa_fp16_overflow 0
		.amdhsa_workgroup_processor_mode 1
		.amdhsa_memory_ordered 1
		.amdhsa_forward_progress 1
		.amdhsa_inst_pref_size 111
		.amdhsa_round_robin_scheduling 0
		.amdhsa_exception_fp_ieee_invalid_op 0
		.amdhsa_exception_fp_denorm_src 0
		.amdhsa_exception_fp_ieee_div_zero 0
		.amdhsa_exception_fp_ieee_overflow 0
		.amdhsa_exception_fp_ieee_underflow 0
		.amdhsa_exception_fp_ieee_inexact 0
		.amdhsa_exception_int_div_zero 0
	.end_amdhsa_kernel
	.section	.text._ZN4vllm25paged_attention_v2_kernelI14__hip_bfloat16hLi80ELi16ELi128ELNS_18Fp8KVCacheDataTypeE1ELb0ELi512EEEvPfS3_PT_PKS4_PKT0_SA_ifPKiSC_iPKfiiiSE_SE_iiiii,"axG",@progbits,_ZN4vllm25paged_attention_v2_kernelI14__hip_bfloat16hLi80ELi16ELi128ELNS_18Fp8KVCacheDataTypeE1ELb0ELi512EEEvPfS3_PT_PKS4_PKT0_SA_ifPKiSC_iPKfiiiSE_SE_iiiii,comdat
.Lfunc_end342:
	.size	_ZN4vllm25paged_attention_v2_kernelI14__hip_bfloat16hLi80ELi16ELi128ELNS_18Fp8KVCacheDataTypeE1ELb0ELi512EEEvPfS3_PT_PKS4_PKT0_SA_ifPKiSC_iPKfiiiSE_SE_iiiii, .Lfunc_end342-_ZN4vllm25paged_attention_v2_kernelI14__hip_bfloat16hLi80ELi16ELi128ELNS_18Fp8KVCacheDataTypeE1ELb0ELi512EEEvPfS3_PT_PKS4_PKT0_SA_ifPKiSC_iPKfiiiSE_SE_iiiii
                                        ; -- End function
	.set _ZN4vllm25paged_attention_v2_kernelI14__hip_bfloat16hLi80ELi16ELi128ELNS_18Fp8KVCacheDataTypeE1ELb0ELi512EEEvPfS3_PT_PKS4_PKT0_SA_ifPKiSC_iPKfiiiSE_SE_iiiii.num_vgpr, 130
	.set _ZN4vllm25paged_attention_v2_kernelI14__hip_bfloat16hLi80ELi16ELi128ELNS_18Fp8KVCacheDataTypeE1ELb0ELi512EEEvPfS3_PT_PKS4_PKT0_SA_ifPKiSC_iPKfiiiSE_SE_iiiii.num_agpr, 0
	.set _ZN4vllm25paged_attention_v2_kernelI14__hip_bfloat16hLi80ELi16ELi128ELNS_18Fp8KVCacheDataTypeE1ELb0ELi512EEEvPfS3_PT_PKS4_PKT0_SA_ifPKiSC_iPKfiiiSE_SE_iiiii.numbered_sgpr, 55
	.set _ZN4vllm25paged_attention_v2_kernelI14__hip_bfloat16hLi80ELi16ELi128ELNS_18Fp8KVCacheDataTypeE1ELb0ELi512EEEvPfS3_PT_PKS4_PKT0_SA_ifPKiSC_iPKfiiiSE_SE_iiiii.num_named_barrier, 0
	.set _ZN4vllm25paged_attention_v2_kernelI14__hip_bfloat16hLi80ELi16ELi128ELNS_18Fp8KVCacheDataTypeE1ELb0ELi512EEEvPfS3_PT_PKS4_PKT0_SA_ifPKiSC_iPKfiiiSE_SE_iiiii.private_seg_size, 0
	.set _ZN4vllm25paged_attention_v2_kernelI14__hip_bfloat16hLi80ELi16ELi128ELNS_18Fp8KVCacheDataTypeE1ELb0ELi512EEEvPfS3_PT_PKS4_PKT0_SA_ifPKiSC_iPKfiiiSE_SE_iiiii.uses_vcc, 1
	.set _ZN4vllm25paged_attention_v2_kernelI14__hip_bfloat16hLi80ELi16ELi128ELNS_18Fp8KVCacheDataTypeE1ELb0ELi512EEEvPfS3_PT_PKS4_PKT0_SA_ifPKiSC_iPKfiiiSE_SE_iiiii.uses_flat_scratch, 0
	.set _ZN4vllm25paged_attention_v2_kernelI14__hip_bfloat16hLi80ELi16ELi128ELNS_18Fp8KVCacheDataTypeE1ELb0ELi512EEEvPfS3_PT_PKS4_PKT0_SA_ifPKiSC_iPKfiiiSE_SE_iiiii.has_dyn_sized_stack, 0
	.set _ZN4vllm25paged_attention_v2_kernelI14__hip_bfloat16hLi80ELi16ELi128ELNS_18Fp8KVCacheDataTypeE1ELb0ELi512EEEvPfS3_PT_PKS4_PKT0_SA_ifPKiSC_iPKfiiiSE_SE_iiiii.has_recursion, 0
	.set _ZN4vllm25paged_attention_v2_kernelI14__hip_bfloat16hLi80ELi16ELi128ELNS_18Fp8KVCacheDataTypeE1ELb0ELi512EEEvPfS3_PT_PKS4_PKT0_SA_ifPKiSC_iPKfiiiSE_SE_iiiii.has_indirect_call, 0
	.section	.AMDGPU.csdata,"",@progbits
; Kernel info:
; codeLenInByte = 14160
; TotalNumSgprs: 57
; NumVgprs: 130
; ScratchSize: 0
; MemoryBound: 0
; FloatMode: 240
; IeeeMode: 1
; LDSByteSize: 192 bytes/workgroup (compile time only)
; SGPRBlocks: 0
; VGPRBlocks: 16
; NumSGPRsForWavesPerEU: 57
; NumVGPRsForWavesPerEU: 130
; Occupancy: 10
; WaveLimiterHint : 1
; COMPUTE_PGM_RSRC2:SCRATCH_EN: 0
; COMPUTE_PGM_RSRC2:USER_SGPR: 2
; COMPUTE_PGM_RSRC2:TRAP_HANDLER: 0
; COMPUTE_PGM_RSRC2:TGID_X_EN: 1
; COMPUTE_PGM_RSRC2:TGID_Y_EN: 1
; COMPUTE_PGM_RSRC2:TGID_Z_EN: 1
; COMPUTE_PGM_RSRC2:TIDIG_COMP_CNT: 0
	.section	.text._ZN4vllm25paged_attention_v2_kernelI14__hip_bfloat16hLi96ELi16ELi128ELNS_18Fp8KVCacheDataTypeE1ELb0ELi512EEEvPfS3_PT_PKS4_PKT0_SA_ifPKiSC_iPKfiiiSE_SE_iiiii,"axG",@progbits,_ZN4vllm25paged_attention_v2_kernelI14__hip_bfloat16hLi96ELi16ELi128ELNS_18Fp8KVCacheDataTypeE1ELb0ELi512EEEvPfS3_PT_PKS4_PKT0_SA_ifPKiSC_iPKfiiiSE_SE_iiiii,comdat
	.protected	_ZN4vllm25paged_attention_v2_kernelI14__hip_bfloat16hLi96ELi16ELi128ELNS_18Fp8KVCacheDataTypeE1ELb0ELi512EEEvPfS3_PT_PKS4_PKT0_SA_ifPKiSC_iPKfiiiSE_SE_iiiii ; -- Begin function _ZN4vllm25paged_attention_v2_kernelI14__hip_bfloat16hLi96ELi16ELi128ELNS_18Fp8KVCacheDataTypeE1ELb0ELi512EEEvPfS3_PT_PKS4_PKT0_SA_ifPKiSC_iPKfiiiSE_SE_iiiii
	.globl	_ZN4vllm25paged_attention_v2_kernelI14__hip_bfloat16hLi96ELi16ELi128ELNS_18Fp8KVCacheDataTypeE1ELb0ELi512EEEvPfS3_PT_PKS4_PKT0_SA_ifPKiSC_iPKfiiiSE_SE_iiiii
	.p2align	8
	.type	_ZN4vllm25paged_attention_v2_kernelI14__hip_bfloat16hLi96ELi16ELi128ELNS_18Fp8KVCacheDataTypeE1ELb0ELi512EEEvPfS3_PT_PKS4_PKT0_SA_ifPKiSC_iPKfiiiSE_SE_iiiii,@function
_ZN4vllm25paged_attention_v2_kernelI14__hip_bfloat16hLi96ELi16ELi128ELNS_18Fp8KVCacheDataTypeE1ELb0ELi512EEEvPfS3_PT_PKS4_PKT0_SA_ifPKiSC_iPKfiiiSE_SE_iiiii: ; @_ZN4vllm25paged_attention_v2_kernelI14__hip_bfloat16hLi96ELi16ELi128ELNS_18Fp8KVCacheDataTypeE1ELb0ELi512EEEvPfS3_PT_PKS4_PKT0_SA_ifPKiSC_iPKfiiiSE_SE_iiiii
; %bb.0:
	s_load_b64 s[2:3], s[0:1], 0x40
	s_and_b32 s52, ttmp7, 0xffff
	s_lshr_b32 s33, ttmp7, 16
	s_lshl_b32 s4, s52, 2
	s_lshl_b32 s51, s33, 9
	s_wait_kmcnt 0x0
	s_load_b32 s50, s[2:3], s4 offset:0x0
	s_wait_kmcnt 0x0
	s_cmp_ge_i32 s51, s50
	s_cbranch_scc1 .LBB343_70
; %bb.1:
	s_clause 0x1
	s_load_b32 s53, s[0:1], 0x90
	s_load_b64 s[48:49], s[0:1], 0x30
	s_wait_kmcnt 0x0
	s_abs_i32 s5, s53
	s_abs_i32 s2, s48
	s_delay_alu instid0(SALU_CYCLE_1) | instskip(SKIP_1) | instid1(SALU_CYCLE_2)
	s_cvt_f32_u32 s3, s2
	s_sub_co_i32 s4, 0, s2
	v_rcp_iflag_f32_e32 v1, s3
	s_delay_alu instid0(TRANS32_DEP_1) | instskip(SKIP_2) | instid1(SALU_CYCLE_2)
	v_readfirstlane_b32 s3, v1
	s_mul_f32 s3, s3, 0x4f7ffffe
	s_wait_alu 0xfffe
	s_cvt_u32_f32 s3, s3
	s_wait_alu 0xfffe
	s_delay_alu instid0(SALU_CYCLE_2) | instskip(NEXT) | instid1(SALU_CYCLE_1)
	s_mul_i32 s4, s4, s3
	s_mul_hi_u32 s4, s3, s4
	s_delay_alu instid0(SALU_CYCLE_1)
	s_add_co_i32 s3, s3, s4
	s_xor_b32 s4, s53, s48
	s_wait_alu 0xfffe
	s_mul_hi_u32 s3, s5, s3
	s_ashr_i32 s4, s4, 31
	s_wait_alu 0xfffe
	s_mul_i32 s6, s3, s2
	s_delay_alu instid0(SALU_CYCLE_1)
	s_sub_co_i32 s5, s5, s6
	s_add_co_i32 s6, s3, 1
	s_sub_co_i32 s7, s5, s2
	s_cmp_ge_u32 s5, s2
	s_cselect_b32 s3, s6, s3
	s_cselect_b32 s5, s7, s5
	s_wait_alu 0xfffe
	s_add_co_i32 s6, s3, 1
	s_cmp_ge_u32 s5, s2
	s_cselect_b32 s2, s6, s3
	s_load_b64 s[6:7], s[0:1], 0x50
	s_xor_b32 s2, s2, s4
	s_mov_b32 s3, 0
	s_wait_alu 0xfffe
	s_sub_co_i32 s9, s2, s4
	s_mov_b32 s55, s3
	s_abs_i32 s8, s9
	s_delay_alu instid0(SALU_CYCLE_1) | instskip(SKIP_1) | instid1(SALU_CYCLE_2)
	s_cvt_f32_u32 s2, s8
	s_wait_alu 0xfffe
	v_rcp_iflag_f32_e32 v1, s2
	s_delay_alu instid0(TRANS32_DEP_1) | instskip(SKIP_2) | instid1(SALU_CYCLE_2)
	v_readfirstlane_b32 s2, v1
	s_mul_f32 s2, s2, 0x4f7ffffe
	s_wait_alu 0xfffe
	s_cvt_u32_f32 s4, s2
	s_sub_co_i32 s2, 0, s8
	s_wait_alu 0xfffe
	s_delay_alu instid0(SALU_CYCLE_1)
	s_mul_i32 s2, s2, s4
	s_wait_alu 0xfffe
	s_mul_hi_u32 s5, s4, s2
	s_abs_i32 s2, ttmp9
	s_add_co_i32 s4, s4, s5
	s_mov_b32 s5, s3
	s_wait_kmcnt 0x0
	s_cmp_eq_u64 s[6:7], 0
	s_cbranch_scc1 .LBB343_3
; %bb.2:
	s_mov_b32 s10, ttmp9
	s_ashr_i32 s11, ttmp9, 31
	s_delay_alu instid0(SALU_CYCLE_1) | instskip(NEXT) | instid1(SALU_CYCLE_1)
	s_lshl_b64 s[10:11], s[10:11], 2
	s_add_nc_u64 s[6:7], s[6:7], s[10:11]
	s_load_b32 s55, s[6:7], 0x0
.LBB343_3:
	s_load_b96 s[40:42], s[0:1], 0x58
	v_lshrrev_b32_e32 v15, 1, v0
	v_and_b32_e32 v16, 1, v0
	v_lshlrev_b32_e32 v5, 3, v0
	s_mul_u64 s[4:5], s[2:3], s[4:5]
	s_ashr_i32 s3, ttmp9, 31
	s_ashr_i32 s4, s9, 31
	s_mul_i32 s34, ttmp9, 0x60
	s_mov_b32 s6, exec_lo
	v_cmpx_gt_u32_e32 24, v0
	s_cbranch_execz .LBB343_5
; %bb.4:
	s_load_b64 s[10:11], s[0:1], 0x18
	s_wait_kmcnt 0x0
	s_mul_i32 s12, s40, s52
	s_ashr_i32 s35, s34, 31
	s_ashr_i32 s13, s12, 31
	v_lshlrev_b32_e32 v3, 3, v15
	s_lshl_b64 s[12:13], s[12:13], 1
	s_delay_alu instid0(VALU_DEP_1) | instskip(SKIP_2) | instid1(SALU_CYCLE_1)
	v_mad_u32_u24 v3, 0x60, v16, v3
	s_add_nc_u64 s[10:11], s[10:11], s[12:13]
	s_lshl_b64 s[12:13], s[34:35], 1
	s_add_nc_u64 s[10:11], s[10:11], s[12:13]
	global_load_b64 v[1:2], v5, s[10:11]
	s_wait_loadcnt 0x0
	ds_store_b64 v3, v[1:2]
.LBB343_5:
	s_or_b32 exec_lo, exec_lo, s6
	s_add_co_i32 s6, s50, 15
	s_wait_alu 0xfffe
	s_xor_b32 s3, s3, s4
	s_ashr_i32 s7, s6, 31
	s_lshl_b32 s54, s33, 5
	s_lshr_b32 s4, s7, 28
	s_mul_i32 s7, s5, s8
	s_add_co_i32 s6, s6, s4
	s_add_co_i32 s4, s54, 32
	s_ashr_i32 s48, s6, 4
	s_load_b32 s6, s[0:1], 0x48
	s_sub_co_i32 s2, s2, s7
	s_wait_kmcnt 0x0
	s_min_i32 s40, s4, s48
	s_add_co_i32 s4, s5, 1
	s_wait_alu 0xfffe
	s_sub_co_i32 s7, s2, s8
	s_cmp_ge_u32 s2, s8
	v_lshrrev_b32_e32 v17, 5, v0
	s_cselect_b32 s4, s4, s5
	s_cselect_b32 s2, s7, s2
	s_add_co_i32 s5, s4, 1
	s_wait_alu 0xfffe
	s_cmp_ge_u32 s2, s8
	v_or_b32_e32 v18, s54, v17
	s_cselect_b32 s2, s5, s4
	v_mbcnt_lo_u32_b32 v7, -1, 0
	s_wait_alu 0xfffe
	s_xor_b32 s2, s2, s3
	s_mov_b32 s4, exec_lo
	s_wait_alu 0xfffe
	s_sub_co_i32 s3, s2, s3
	v_cmp_gt_i32_e64 s2, s40, v18
	s_wait_dscnt 0x0
	s_barrier_signal -1
	s_mul_i32 s44, s6, s52
	s_barrier_wait -1
	s_ashr_i32 s45, s44, 31
	global_inv scope:SCOPE_SE
                                        ; implicit-def: $vgpr8
                                        ; implicit-def: $vgpr9
	v_cmpx_le_i32_e64 s40, v18
	s_xor_b32 s4, exec_lo, s4
; %bb.6:
	v_dual_mov_b32 v8, 0 :: v_dual_mov_b32 v9, 32
	v_mbcnt_lo_u32_b32 v7, -1, 0
; %bb.7:
	s_or_saveexec_b32 s56, s4
	s_clause 0x2
	s_load_b32 s35, s[0:1], 0x98
	s_load_b64 s[46:47], s[0:1], 0x38
	s_load_b128 s[36:39], s[0:1], 0x68
	v_dual_mov_b32 v57, 0xff7fffff :: v_dual_lshlrev_b32 v6, 2, v18
	s_mul_i32 s42, s3, s42
	s_xor_b32 exec_lo, exec_lo, s56
	s_cbranch_execz .LBB343_13
; %bb.8:
	v_mul_u32_u24_e32 v9, 0x60, v16
	s_load_b64 s[4:5], s[0:1], 0x20
	v_bfe_u32 v57, v0, 1, 4
	s_ashr_i32 s43, s42, 31
	s_cmp_neq_f32 s55, 0
	ds_load_b128 v[1:4], v9
	ds_load_b128 v[26:29], v9 offset:16
	v_lshlrev_b32_e32 v10, 4, v57
	v_mov_b32_e32 v8, 0
	ds_load_b128 v[34:37], v9 offset:32
	ds_load_b128 v[42:45], v9 offset:48
	s_wait_kmcnt 0x0
	s_load_b32 s36, s[36:37], 0x0
	s_mov_b32 s37, 0
	ds_load_b128 v[59:62], v9 offset:80
	s_add_nc_u64 s[4:5], s[4:5], s[42:43]
	s_mov_b32 s43, s41
	v_add_co_u32 v65, s3, s4, v10
	s_wait_dscnt 0x4
	v_lshlrev_b32_e32 v10, 16, v1
	v_and_b32_e32 v11, 0xffff0000, v1
	v_lshlrev_b32_e32 v12, 16, v2
	v_and_b32_e32 v13, 0xffff0000, v2
	;; [unrolled: 2-line block ×4, first 2 shown]
	ds_load_b128 v[1:4], v9 offset:64
	s_wait_alu 0xf1ff
	v_add_co_ci_u32_e64 v66, null, s5, 0, s3
	s_cselect_b32 s3, -1, 0
	s_wait_dscnt 0x4
	v_lshlrev_b32_e32 v22, 16, v26
	v_and_b32_e32 v23, 0xffff0000, v26
	v_lshlrev_b32_e32 v24, 16, v27
	v_and_b32_e32 v25, 0xffff0000, v27
	;; [unrolled: 2-line block ×4, first 2 shown]
	s_wait_dscnt 0x3
	v_lshlrev_b32_e32 v30, 16, v34
	v_and_b32_e32 v31, 0xffff0000, v34
	v_lshlrev_b32_e32 v32, 16, v35
	v_and_b32_e32 v33, 0xffff0000, v35
	;; [unrolled: 2-line block ×4, first 2 shown]
	s_wait_dscnt 0x0
	v_lshlrev_b32_e32 v46, 16, v1
	v_and_b32_e32 v47, 0xffff0000, v1
	v_xor_b32_e32 v1, 1, v7
	v_lshlrev_b32_e32 v52, 16, v4
	v_and_b32_e32 v53, 0xffff0000, v4
	v_lshlrev_b32_e32 v50, 16, v3
	v_and_b32_e32 v51, 0xffff0000, v3
	v_cmp_gt_i32_e32 vcc_lo, 32, v1
	v_lshlrev_b32_e32 v64, 2, v16
	v_lshlrev_b32_e32 v3, 4, v17
	;; [unrolled: 1-line block ×3, first 2 shown]
	v_and_b32_e32 v49, 0xffff0000, v2
	v_dual_cndmask_b32 v1, v7, v1 :: v_dual_lshlrev_b32 v38, 16, v42
	v_and_b32_e32 v39, 0xffff0000, v42
	v_lshlrev_b32_e32 v40, 16, v43
	v_and_b32_e32 v41, 0xffff0000, v43
	s_delay_alu instid0(VALU_DEP_4)
	v_lshlrev_b32_e32 v63, 2, v1
	v_lshlrev_b32_e32 v1, 2, v57
	;; [unrolled: 1-line block ×3, first 2 shown]
	v_and_b32_e32 v43, 0xffff0000, v44
	v_lshlrev_b32_e32 v44, 16, v45
	v_and_b32_e32 v45, 0xffff0000, v45
	v_lshl_or_b32 v4, v17, 6, v1
	v_add_co_u32 v1, s4, v65, v64
	s_wait_alu 0xf1ff
	v_add_co_ci_u32_e64 v2, null, 0, v66, s4
	s_lshl_b64 s[4:5], s[44:45], 2
	v_add3_u32 v64, s51, v3, v57
	s_wait_alu 0xfffe
	s_add_nc_u64 s[4:5], s[46:47], s[4:5]
	v_lshlrev_b32_e32 v54, 16, v59
	s_wait_alu 0xfffe
	v_add_co_u32 v3, s4, s4, v6
	v_and_b32_e32 v55, 0xffff0000, v59
	v_lshlrev_b32_e32 v56, 16, v60
	v_and_b32_e32 v58, 0xffff0000, v60
	v_lshlrev_b32_e32 v59, 16, v61
	;; [unrolled: 2-line block ×3, first 2 shown]
	v_dual_mov_b32 v9, 32 :: v_dual_and_b32 v62, 0xffff0000, v62
	v_add_nc_u32_e32 v65, 0xe0, v4
	s_wait_alu 0xf1ff
	v_add_co_ci_u32_e64 v4, null, s5, 0, s4
	v_dual_mov_b32 v57, 0xff7fffff :: v_dual_mov_b32 v66, v18
	s_sub_co_i32 s57, 1, s50
	v_cmp_eq_u32_e32 vcc_lo, 0, v16
	s_branch .LBB343_10
.LBB343_9:                              ;   in Loop: Header=BB343_10 Depth=1
	s_wait_alu 0xfffe
	s_or_b32 exec_lo, exec_lo, s5
	v_add_nc_u32_e32 v66, 4, v66
	v_add_co_u32 v3, s5, v3, 16
	v_add_nc_u32_e32 v64, 64, v64
	v_add_nc_u32_e32 v65, 0x100, v65
	s_delay_alu instid0(VALU_DEP_4)
	v_cmp_le_i32_e64 s4, s40, v66
	s_wait_alu 0xf1ff
	v_add_co_ci_u32_e64 v4, null, 0, v4, s5
	s_or_b32 s37, s4, s37
	s_wait_alu 0xfffe
	s_and_not1_b32 exec_lo, exec_lo, s37
	s_cbranch_execz .LBB343_12
.LBB343_10:                             ; =>This Inner Loop Header: Depth=1
	global_load_b32 v67, v[3:4], off
	s_wait_loadcnt 0x0
	v_mad_co_i64_i32 v[79:80], null, v67, s43, v[1:2]
	global_load_b32 v67, v[79:80], off
	s_wait_dscnt 0x0
	s_clause 0xa
	global_load_b32 v68, v[79:80], off offset:8
	global_load_b32 v69, v[79:80], off offset:256
	global_load_b32 v70, v[79:80], off offset:264
	global_load_b32 v71, v[79:80], off offset:520
	global_load_b32 v72, v[79:80], off offset:512
	global_load_b32 v78, v[79:80], off offset:768
	global_load_b32 v77, v[79:80], off offset:776
	global_load_b32 v76, v[79:80], off offset:1024
	global_load_b32 v75, v[79:80], off offset:1032
	global_load_b32 v74, v[79:80], off offset:1280
	global_load_b32 v73, v[79:80], off offset:1288
	s_wait_loadcnt 0xb
	v_bfe_u32 v79, v67, 8, 8
	v_lshrrev_b32_e32 v80, 24, v67
	s_wait_loadcnt 0x9
	v_bfe_u32 v82, v69, 8, 8
	v_lshrrev_b32_e32 v83, 24, v69
	s_wait_loadcnt 0x8
	v_bfe_u32 v84, v70, 16, 8
	s_wait_loadcnt 0x7
	v_bfe_u32 v85, v71, 16, 8
	v_bfe_u32 v81, v68, 16, 8
	v_lshrrev_b32_e32 v88, 24, v71
	s_wait_loadcnt 0x5
	v_bfe_u32 v90, v78, 8, 8
	v_bfe_u32 v91, v78, 16, 8
	s_wait_loadcnt 0x4
	v_bfe_u32 v93, v77, 8, 8
	v_bfe_u32 v94, v77, 16, 8
	v_cvt_f32_fp8_e32 v79, v79
	v_and_b32_e32 v86, 0xff, v72
	v_cvt_f32_fp8_e32 v82, v82
	s_wait_loadcnt 0x3
	v_and_b32_e32 v95, 0xff, v76
	v_cvt_f32_fp8_e32 v83, v83
	v_cvt_f32_fp8_e32 v84, v84
	v_and_b32_e32 v89, 0xff, v78
	v_cvt_f32_fp8_e32 v85, v85
	v_lshrrev_b32_e32 v78, 24, v78
	s_wait_kmcnt 0x0
	v_dual_mul_f32 v83, s36, v83 :: v_dual_and_b32 v92, 0xff, v77
	v_lshrrev_b32_e32 v77, 24, v77
	v_bfe_u32 v96, v76, 8, 8
	v_bfe_u32 v97, v76, 16, 8
	v_lshrrev_b32_e32 v76, 24, v76
	s_wait_loadcnt 0x2
	v_bfe_u32 v99, v75, 8, 8
	v_cvt_f32_fp8_e32 v80, v80
	v_and_b32_e32 v87, 0xff, v71
	v_cvt_f32_fp8_e32 v81, v81
	v_and_b32_e32 v98, 0xff, v75
	v_cvt_f32_fp8_e32 v88, v88
	v_cvt_f32_fp8_e32 v90, v90
	;; [unrolled: 1-line block ×5, first 2 shown]
	v_mul_f32_e32 v79, s36, v79
	v_cvt_f32_fp8_e32 v86, v86
	v_mul_f32_e32 v82, s36, v82
	v_cvt_f32_fp8_e32 v95, v95
	;; [unrolled: 2-line block ×3, first 2 shown]
	v_dual_mul_f32 v85, s36, v85 :: v_dual_mul_f32 v90, s36, v90
	v_bfe_u32 v100, v75, 16, 8
	v_lshrrev_b32_e32 v75, 24, v75
	s_wait_loadcnt 0x1
	v_dual_mul_f32 v88, s36, v88 :: v_dual_and_b32 v101, 0xff, v74
	v_cvt_f32_fp8_e32 v78, v78
	v_cvt_f32_fp8_e32 v92, v92
	;; [unrolled: 1-line block ×7, first 2 shown]
	v_mul_f32_e32 v80, s36, v80
	v_cvt_f32_fp8_e32 v87, v87
	v_mul_f32_e32 v81, s36, v81
	v_cvt_f32_fp8_e32 v98, v98
	v_dual_mul_f32 v86, s36, v86 :: v_dual_mul_f32 v89, s36, v89
	v_dual_mul_f32 v78, s36, v78 :: v_dual_mul_f32 v91, s36, v91
	v_dual_mul_f32 v92, s36, v92 :: v_dual_mul_f32 v93, s36, v93
	v_dual_mul_f32 v94, s36, v94 :: v_dual_mul_f32 v95, s36, v95
	v_mul_f32_e32 v76, s36, v76
	v_bfe_u32 v110, v83, 16, 1
	v_bfe_u32 v118, v85, 16, 1
	v_cvt_f32_fp8_e32 v100, v100
	v_cvt_f32_fp8_e32 v75, v75
	;; [unrolled: 1-line block ×3, first 2 shown]
	v_mul_f32_e32 v87, s36, v87
	v_dual_mul_f32 v77, s36, v77 :: v_dual_mul_f32 v96, s36, v96
	v_dual_mul_f32 v97, s36, v97 :: v_dual_mul_f32 v98, s36, v98
	;; [unrolled: 1-line block ×3, first 2 shown]
	v_bfe_u32 v102, v79, 16, 1
	v_or_b32_e32 v111, 0x400000, v83
	v_bfe_u32 v112, v84, 16, 1
	v_bfe_u32 v114, v86, 16, 1
	v_or_b32_e32 v119, 0x400000, v85
	v_bfe_u32 v120, v88, 16, 1
	v_bfe_u32 v122, v89, 16, 1
	;; [unrolled: 1-line block ×3, first 2 shown]
	v_add3_u32 v110, v110, v83, 0x7fff
	v_cmp_u_f32_e64 s24, v83, v83
	v_bfe_u32 v83, v94, 16, 1
	v_add3_u32 v118, v118, v85, 0x7fff
	v_cmp_u_f32_e64 s28, v85, v85
	v_bfe_u32 v85, v95, 16, 1
	v_mul_f32_e32 v75, s36, v75
	v_mul_f32_e32 v101, s36, v101
	v_or_b32_e32 v103, 0x400000, v79
	v_bfe_u32 v104, v80, 16, 1
	v_bfe_u32 v106, v81, 16, 1
	v_or_b32_e32 v113, 0x400000, v84
	v_or_b32_e32 v115, 0x400000, v86
	v_bfe_u32 v116, v87, 16, 1
	v_or_b32_e32 v121, 0x400000, v88
	v_or_b32_e32 v123, 0x400000, v89
	v_bfe_u32 v124, v90, 16, 1
	v_or_b32_e32 v127, 0x400000, v91
	v_bfe_u32 v128, v78, 16, 1
	v_add3_u32 v102, v102, v79, 0x7fff
	v_cmp_u_f32_e64 s20, v79, v79
	v_bfe_u32 v79, v92, 16, 1
	v_add3_u32 v112, v112, v84, 0x7fff
	v_cmp_u_f32_e64 s25, v84, v84
	v_or_b32_e32 v84, 0x400000, v94
	v_add3_u32 v114, v114, v86, 0x7fff
	v_cmp_u_f32_e64 s26, v86, v86
	v_bfe_u32 v86, v77, 16, 1
	v_add3_u32 v120, v120, v88, 0x7fff
	v_cmp_u_f32_e64 s29, v88, v88
	v_or_b32_e32 v88, 0x400000, v95
	v_add3_u32 v122, v122, v89, 0x7fff
	v_cmp_u_f32_e64 s30, v89, v89
	v_bfe_u32 v89, v96, 16, 1
	v_add3_u32 v126, v126, v91, 0x7fff
	v_cmp_u_f32_e64 s4, v91, v91
	v_bfe_u32 v91, v97, 16, 1
	v_add3_u32 v83, v83, v94, 0x7fff
	v_cmp_u_f32_e64 s8, v94, v94
	v_bfe_u32 v94, v98, 16, 1
	v_add3_u32 v85, v85, v95, 0x7fff
	v_cmp_u_f32_e64 s10, v95, v95
	v_bfe_u32 v95, v99, 16, 1
	v_or_b32_e32 v105, 0x400000, v80
	v_or_b32_e32 v107, 0x400000, v81
	v_bfe_u32 v108, v82, 16, 1
	v_or_b32_e32 v117, 0x400000, v87
	v_or_b32_e32 v125, 0x400000, v90
	;; [unrolled: 1-line block ×3, first 2 shown]
	v_add3_u32 v104, v104, v80, 0x7fff
	v_cmp_u_f32_e64 s21, v80, v80
	v_or_b32_e32 v80, 0x400000, v92
	v_add3_u32 v106, v106, v81, 0x7fff
	v_cmp_u_f32_e64 s22, v81, v81
	v_bfe_u32 v81, v93, 16, 1
	v_add3_u32 v116, v116, v87, 0x7fff
	v_cmp_u_f32_e64 s27, v87, v87
	v_or_b32_e32 v87, 0x400000, v77
	v_add3_u32 v124, v124, v90, 0x7fff
	v_cmp_u_f32_e64 s19, v90, v90
	v_or_b32_e32 v90, 0x400000, v96
	v_add3_u32 v128, v128, v78, 0x7fff
	v_cmp_u_f32_e64 s5, v78, v78
	v_or_b32_e32 v78, 0x400000, v97
	v_add3_u32 v79, v79, v92, 0x7fff
	v_cmp_u_f32_e64 s6, v92, v92
	v_bfe_u32 v92, v76, 16, 1
	v_add3_u32 v86, v86, v77, 0x7fff
	v_cmp_u_f32_e64 s9, v77, v77
	v_or_b32_e32 v77, 0x400000, v98
	v_add3_u32 v89, v89, v96, 0x7fff
	v_cmp_u_f32_e64 s11, v96, v96
	v_or_b32_e32 v96, 0x400000, v99
	v_add3_u32 v91, v91, v97, 0x7fff
	v_cmp_u_f32_e64 s13, v97, v97
	v_bfe_u32 v97, v100, 16, 1
	v_add3_u32 v94, v94, v98, 0x7fff
	v_cmp_u_f32_e64 s15, v98, v98
	v_bfe_u32 v98, v75, 16, 1
	;; [unrolled: 3-line block ×3, first 2 shown]
	v_or_b32_e32 v109, 0x400000, v82
	v_add3_u32 v108, v108, v82, 0x7fff
	v_cmp_u_f32_e64 s23, v82, v82
	v_or_b32_e32 v82, 0x400000, v93
	v_add3_u32 v81, v81, v93, 0x7fff
	v_cmp_u_f32_e64 s7, v93, v93
	;; [unrolled: 3-line block ×6, first 2 shown]
	v_and_b32_e32 v101, 0xff, v67
	v_bfe_u32 v67, v67, 16, 8
	s_wait_alu 0xf1ff
	v_cndmask_b32_e64 v102, v102, v103, s20
	v_cndmask_b32_e64 v106, v106, v107, s22
	v_cndmask_b32_e64 v104, v104, v105, s21
	v_cvt_f32_fp8_e32 v101, v101
	v_cvt_f32_fp8_e32 v67, v67
	v_cndmask_b32_e64 v108, v108, v109, s23
	v_cndmask_b32_e64 v110, v110, v111, s24
	;; [unrolled: 1-line block ×3, first 2 shown]
	v_mul_f32_e32 v101, s36, v101
	v_cndmask_b32_e64 v114, v114, v115, s26
	v_bfe_u32 v71, v71, 8, 8
	v_cndmask_b32_e64 v116, v116, v117, s27
	v_cndmask_b32_e64 v118, v118, v119, s28
	v_bfe_u32 v130, v101, 16, 1
	v_or_b32_e32 v131, 0x400000, v101
	v_cmp_u_f32_e64 s31, v101, v101
	v_cvt_f32_fp8_e32 v71, v71
	v_bfe_u32 v119, v74, 16, 8
	v_add3_u32 v130, v130, v101, 0x7fff
	v_cndmask_b32_e64 v120, v120, v121, s29
	s_wait_loadcnt 0x0
	v_and_b32_e32 v121, 0xff, v73
	v_cndmask_b32_e64 v126, v126, v127, s4
	v_cvt_f32_fp8_e32 v119, v119
	s_wait_alu 0xf1ff
	v_cndmask_b32_e64 v101, v130, v131, s31
	v_mul_f32_e32 v67, s36, v67
	v_cndmask_b32_e64 v122, v122, v123, s30
	v_bfe_u32 v123, v73, 8, 8
	v_cvt_f32_fp8_e32 v121, v121
	v_cndmask_b32_e64 v128, v128, v129, s5
	v_bfe_u32 v103, v67, 16, 1
	v_or_b32_e32 v130, 0x400000, v67
	v_cmp_u_f32_e64 s20, v67, v67
	v_cndmask_b32_e64 v79, v79, v80, s6
	v_cvt_f32_fp8_e32 v123, v123
	v_add3_u32 v103, v103, v67, 0x7fff
	v_mul_f32_e32 v121, s36, v121
	v_cndmask_b32_e64 v81, v81, v82, s7
	v_cndmask_b32_e64 v83, v83, v84, s8
	;; [unrolled: 1-line block ×3, first 2 shown]
	s_wait_alu 0xf1ff
	v_cndmask_b32_e64 v67, v103, v130, s20
	v_and_b32_e32 v103, 0xff, v68
	v_cndmask_b32_e64 v124, v124, v125, s19
	v_bfe_u32 v125, v73, 16, 8
	v_mul_f32_e32 v123, s36, v123
	v_cndmask_b32_e64 v86, v86, v87, s9
	v_cvt_f32_fp8_e32 v103, v103
	v_cndmask_b32_e64 v85, v85, v88, s10
	v_bfe_u32 v88, v121, 16, 1
	v_cvt_f32_fp8_e32 v125, v125
	v_cndmask_b32_e64 v89, v89, v90, s11
	v_mul_f32_e32 v103, s36, v103
	v_or_b32_e32 v90, 0x400000, v121
	v_cndmask_b32_e64 v78, v91, v78, s13
	v_bfe_u32 v91, v123, 16, 1
	v_add3_u32 v88, v88, v121, 0x7fff
	v_bfe_u32 v105, v103, 16, 1
	v_or_b32_e32 v130, 0x400000, v103
	v_cmp_u_f32_e64 s20, v103, v103
	v_mul_f32_e32 v125, s36, v125
	v_cndmask_b32_e64 v92, v92, v93, s14
	v_add3_u32 v105, v105, v103, 0x7fff
	v_or_b32_e32 v93, 0x400000, v123
	v_add3_u32 v91, v91, v123, 0x7fff
	v_lshrrev_b32_e32 v73, 24, v73
	v_cndmask_b32_e64 v77, v94, v77, s15
	s_wait_alu 0xf1ff
	v_cndmask_b32_e64 v103, v105, v130, s20
	v_bfe_u32 v105, v68, 8, 8
	v_lshrrev_b32_e32 v68, 24, v68
	v_cvt_f32_fp8_e32 v73, v73
	v_cndmask_b32_e64 v95, v95, v96, s16
	v_cndmask_b32_e64 v76, v97, v76, s18
	v_cvt_f32_fp8_e32 v105, v105
	v_cvt_f32_fp8_e32 v68, v68
	v_dual_mul_f32 v73, s36, v73 :: v_dual_and_b32 v86, 0xffff0000, v86
	v_cndmask_b32_e64 v98, v98, v100, s17
	s_delay_alu instid0(VALU_DEP_3) | instskip(NEXT) | instid1(VALU_DEP_3)
	v_dual_mul_f32 v105, s36, v105 :: v_dual_mul_f32 v68, s36, v68
	v_bfe_u32 v97, v73, 16, 1
	v_or_b32_e32 v100, 0x400000, v73
	s_delay_alu instid0(VALU_DEP_3)
	v_bfe_u32 v130, v105, 16, 1
	v_or_b32_e32 v131, 0x400000, v105
	v_cmp_u_f32_e64 s20, v105, v105
	v_bfe_u32 v107, v68, 16, 1
	v_add3_u32 v97, v97, v73, 0x7fff
	v_add3_u32 v130, v130, v105, 0x7fff
	s_delay_alu instid0(VALU_DEP_3) | instskip(SKIP_1) | instid1(VALU_DEP_2)
	v_add3_u32 v107, v107, v68, 0x7fff
	s_wait_alu 0xf1ff
	v_cndmask_b32_e64 v105, v130, v131, s20
	v_or_b32_e32 v130, 0x400000, v68
	v_cmp_u_f32_e64 s20, v68, v68
	s_wait_alu 0xf1ff
	s_delay_alu instid0(VALU_DEP_1) | instskip(SKIP_2) | instid1(VALU_DEP_3)
	v_cndmask_b32_e64 v68, v107, v130, s20
	v_and_b32_e32 v107, 0xff, v69
	v_bfe_u32 v69, v69, 16, 8
	v_and_b32_e32 v68, 0xffff0000, v68
	s_delay_alu instid0(VALU_DEP_3) | instskip(NEXT) | instid1(VALU_DEP_3)
	v_cvt_f32_fp8_e32 v107, v107
	v_cvt_f32_fp8_e32 v69, v69
	s_delay_alu instid0(VALU_DEP_2) | instskip(NEXT) | instid1(VALU_DEP_2)
	v_dual_mul_f32 v68, v21, v68 :: v_dual_mul_f32 v107, s36, v107
	v_mul_f32_e32 v69, s36, v69
	v_and_b32_e32 v67, 0xffff0000, v67
	s_delay_alu instid0(VALU_DEP_3) | instskip(SKIP_3) | instid1(VALU_DEP_4)
	v_bfe_u32 v130, v107, 16, 1
	v_or_b32_e32 v131, 0x400000, v107
	v_cmp_u_f32_e64 s20, v107, v107
	v_bfe_u32 v109, v69, 16, 1
	v_add3_u32 v130, v130, v107, 0x7fff
	s_delay_alu instid0(VALU_DEP_2) | instskip(SKIP_1) | instid1(VALU_DEP_2)
	v_add3_u32 v109, v109, v69, 0x7fff
	s_wait_alu 0xf1ff
	v_cndmask_b32_e64 v107, v130, v131, s20
	v_or_b32_e32 v130, 0x400000, v69
	v_cmp_u_f32_e64 s20, v69, v69
	s_wait_alu 0xf1ff
	s_delay_alu instid0(VALU_DEP_1) | instskip(SKIP_1) | instid1(VALU_DEP_2)
	v_cndmask_b32_e64 v69, v109, v130, s20
	v_and_b32_e32 v109, 0xff, v70
	v_and_b32_e32 v69, 0xffff0000, v69
	s_delay_alu instid0(VALU_DEP_2) | instskip(NEXT) | instid1(VALU_DEP_1)
	v_cvt_f32_fp8_e32 v109, v109
	v_mul_f32_e32 v109, s36, v109
	s_delay_alu instid0(VALU_DEP_1) | instskip(SKIP_2) | instid1(VALU_DEP_3)
	v_bfe_u32 v111, v109, 16, 1
	v_or_b32_e32 v130, 0x400000, v109
	v_cmp_u_f32_e64 s20, v109, v109
	v_add3_u32 v111, v111, v109, 0x7fff
	s_wait_alu 0xf1ff
	s_delay_alu instid0(VALU_DEP_1) | instskip(SKIP_2) | instid1(VALU_DEP_2)
	v_cndmask_b32_e64 v109, v111, v130, s20
	v_bfe_u32 v111, v70, 8, 8
	v_lshrrev_b32_e32 v70, 24, v70
	v_cvt_f32_fp8_e32 v111, v111
	s_delay_alu instid0(VALU_DEP_2) | instskip(NEXT) | instid1(VALU_DEP_1)
	v_cvt_f32_fp8_e32 v70, v70
	v_dual_mul_f32 v111, s36, v111 :: v_dual_mul_f32 v70, s36, v70
	s_delay_alu instid0(VALU_DEP_1) | instskip(SKIP_2) | instid1(VALU_DEP_4)
	v_bfe_u32 v130, v111, 16, 1
	v_or_b32_e32 v131, 0x400000, v111
	v_cmp_u_f32_e64 s20, v111, v111
	v_bfe_u32 v113, v70, 16, 1
	s_delay_alu instid0(VALU_DEP_4) | instskip(NEXT) | instid1(VALU_DEP_2)
	v_add3_u32 v130, v130, v111, 0x7fff
	v_add3_u32 v113, v113, v70, 0x7fff
	s_wait_alu 0xf1ff
	s_delay_alu instid0(VALU_DEP_2) | instskip(SKIP_3) | instid1(VALU_DEP_1)
	v_cndmask_b32_e64 v111, v130, v131, s20
	v_or_b32_e32 v130, 0x400000, v70
	v_cmp_u_f32_e64 s20, v70, v70
	s_wait_alu 0xf1ff
	v_cndmask_b32_e64 v70, v113, v130, s20
	v_bfe_u32 v113, v72, 8, 8
	s_delay_alu instid0(VALU_DEP_2) | instskip(NEXT) | instid1(VALU_DEP_2)
	v_and_b32_e32 v70, 0xffff0000, v70
	v_cvt_f32_fp8_e32 v113, v113
	s_delay_alu instid0(VALU_DEP_1) | instskip(NEXT) | instid1(VALU_DEP_1)
	v_mul_f32_e32 v113, s36, v113
	v_bfe_u32 v115, v113, 16, 1
	v_or_b32_e32 v130, 0x400000, v113
	v_cmp_u_f32_e64 s20, v113, v113
	s_delay_alu instid0(VALU_DEP_3) | instskip(SKIP_1) | instid1(VALU_DEP_1)
	v_add3_u32 v115, v115, v113, 0x7fff
	s_wait_alu 0xf1ff
	v_cndmask_b32_e64 v113, v115, v130, s20
	v_bfe_u32 v115, v72, 16, 8
	v_lshrrev_b32_e32 v72, 24, v72
	v_mul_f32_e32 v71, s36, v71
	s_delay_alu instid0(VALU_DEP_3) | instskip(NEXT) | instid1(VALU_DEP_3)
	v_cvt_f32_fp8_e32 v115, v115
	v_cvt_f32_fp8_e32 v72, v72
	s_delay_alu instid0(VALU_DEP_3) | instskip(NEXT) | instid1(VALU_DEP_2)
	v_bfe_u32 v117, v71, 16, 1
	v_dual_mul_f32 v115, s36, v115 :: v_dual_mul_f32 v72, s36, v72
	s_delay_alu instid0(VALU_DEP_2) | instskip(NEXT) | instid1(VALU_DEP_2)
	v_add3_u32 v117, v117, v71, 0x7fff
	v_bfe_u32 v130, v115, 16, 1
	v_or_b32_e32 v131, 0x400000, v115
	v_cmp_u_f32_e64 s20, v115, v115
	s_delay_alu instid0(VALU_DEP_3) | instskip(SKIP_1) | instid1(VALU_DEP_1)
	v_add3_u32 v130, v130, v115, 0x7fff
	s_wait_alu 0xf1ff
	v_cndmask_b32_e64 v115, v130, v131, s20
	v_bfe_u32 v130, v72, 16, 1
	v_or_b32_e32 v131, 0x400000, v72
	v_cmp_u_f32_e64 s20, v72, v72
	s_delay_alu instid0(VALU_DEP_3) | instskip(SKIP_1) | instid1(VALU_DEP_1)
	v_add3_u32 v130, v130, v72, 0x7fff
	s_wait_alu 0xf1ff
	v_cndmask_b32_e64 v72, v130, v131, s20
	v_or_b32_e32 v130, 0x400000, v71
	v_cmp_u_f32_e64 s20, v71, v71
	s_delay_alu instid0(VALU_DEP_3) | instskip(SKIP_1) | instid1(VALU_DEP_2)
	v_dual_mul_f32 v119, s36, v119 :: v_dual_and_b32 v72, 0xffff0000, v72
	s_wait_alu 0xf1ff
	v_cndmask_b32_e64 v71, v117, v130, s20
	v_bfe_u32 v117, v74, 8, 8
	v_lshrrev_b32_e32 v74, 24, v74
	v_bfe_u32 v80, v119, 16, 1
	v_or_b32_e32 v82, 0x400000, v119
	s_delay_alu instid0(VALU_DEP_4) | instskip(NEXT) | instid1(VALU_DEP_4)
	v_cvt_f32_fp8_e32 v117, v117
	v_cvt_f32_fp8_e32 v74, v74
	s_delay_alu instid0(VALU_DEP_4) | instskip(NEXT) | instid1(VALU_DEP_2)
	v_add3_u32 v80, v80, v119, 0x7fff
	v_dual_mul_f32 v117, s36, v117 :: v_dual_mul_f32 v74, s36, v74
	s_delay_alu instid0(VALU_DEP_1) | instskip(SKIP_2) | instid1(VALU_DEP_4)
	v_bfe_u32 v127, v117, 16, 1
	v_or_b32_e32 v129, 0x400000, v117
	v_cmp_u_f32_e64 s4, v117, v117
	v_bfe_u32 v84, v74, 16, 1
	v_or_b32_e32 v87, 0x400000, v74
	v_add3_u32 v127, v127, v117, 0x7fff
	s_delay_alu instid0(VALU_DEP_3) | instskip(SKIP_1) | instid1(VALU_DEP_2)
	v_add3_u32 v84, v84, v74, 0x7fff
	s_wait_alu 0xf1ff
	v_cndmask_b32_e64 v99, v127, v129, s4
	v_cmp_u_f32_e64 s4, v119, v119
	s_wait_alu 0xf1ff
	s_delay_alu instid0(VALU_DEP_1) | instskip(SKIP_2) | instid1(VALU_DEP_1)
	v_cndmask_b32_e64 v80, v80, v82, s4
	v_cmp_u_f32_e64 s4, v74, v74
	s_wait_alu 0xf1ff
	v_cndmask_b32_e64 v74, v84, v87, s4
	v_cmp_u_f32_e64 s4, v121, v121
	s_wait_alu 0xf1ff
	s_delay_alu instid0(VALU_DEP_1) | instskip(SKIP_4) | instid1(VALU_DEP_3)
	v_cndmask_b32_e64 v82, v88, v90, s4
	v_cmp_u_f32_e64 s4, v123, v123
	v_and_b32_e32 v88, 0xffff0000, v103
	v_and_b32_e32 v90, 0xffff0000, v101
	s_wait_alu 0xf1ff
	v_cndmask_b32_e64 v84, v91, v93, s4
	v_and_b32_e32 v91, 0xffff0000, v105
	v_and_b32_e32 v105, 0xffff0000, v114
	;; [unrolled: 1-line block ×3, first 2 shown]
	v_bfe_u32 v94, v125, 16, 1
	v_or_b32_e32 v96, 0x400000, v125
	v_cmp_u_f32_e64 s4, v125, v125
	v_mul_f32_e32 v88, v14, v88
	s_delay_alu instid0(VALU_DEP_4) | instskip(NEXT) | instid1(VALU_DEP_2)
	v_add3_u32 v94, v94, v125, 0x7fff
	v_fmac_f32_e32 v88, v10, v90
	s_wait_alu 0xf1ff
	s_delay_alu instid0(VALU_DEP_2)
	v_cndmask_b32_e64 v87, v94, v96, s4
	v_and_b32_e32 v94, 0xffff0000, v106
	v_and_b32_e32 v96, 0xffff0000, v104
	v_cmp_u_f32_e64 s4, v73, v73
	v_and_b32_e32 v104, 0xffff0000, v112
	v_and_b32_e32 v106, 0xffff0000, v113
	v_mul_f32_e32 v94, v20, v94
	v_fmac_f32_e32 v68, v13, v96
	s_wait_alu 0xf1ff
	v_cndmask_b32_e64 v73, v97, v100, s4
	v_and_b32_e32 v100, 0xffff0000, v108
	v_and_b32_e32 v108, 0xffff0000, v116
	v_fmac_f32_e32 v94, v12, v67
	v_and_b32_e32 v97, 0xffff0000, v107
	v_dual_mul_f32 v91, v19, v91 :: v_dual_and_b32 v78, 0xffff0000, v78
	v_and_b32_e32 v112, 0xffff0000, v124
	s_delay_alu instid0(VALU_DEP_4) | instskip(NEXT) | instid1(VALU_DEP_4)
	v_dual_fmac_f32 v94, v24, v69 :: v_dual_and_b32 v93, 0xffff0000, v102
	v_dual_fmac_f32 v88, v22, v97 :: v_dual_and_b32 v101, 0xffff0000, v110
	v_and_b32_e32 v102, 0xffff0000, v109
	s_delay_alu instid0(VALU_DEP_3) | instskip(SKIP_2) | instid1(VALU_DEP_3)
	v_dual_fmac_f32 v91, v11, v93 :: v_dual_and_b32 v92, 0xffff0000, v92
	v_and_b32_e32 v90, 0xffff0000, v95
	v_dual_fmac_f32 v94, v28, v104 :: v_dual_and_b32 v103, 0xffff0000, v111
	v_dual_fmac_f32 v68, v25, v101 :: v_dual_fmac_f32 v91, v23, v100
	v_dual_fmac_f32 v88, v26, v102 :: v_dual_and_b32 v107, 0xffff0000, v115
	s_delay_alu instid0(VALU_DEP_2) | instskip(NEXT) | instid1(VALU_DEP_3)
	v_dual_fmac_f32 v68, v29, v70 :: v_dual_and_b32 v71, 0xffff0000, v71
	v_fmac_f32_e32 v91, v27, v103
	s_delay_alu instid0(VALU_DEP_3) | instskip(NEXT) | instid1(VALU_DEP_4)
	v_dual_fmac_f32 v94, v32, v107 :: v_dual_and_b32 v111, 0xffff0000, v122
	v_dual_fmac_f32 v88, v30, v105 :: v_dual_and_b32 v109, 0xffff0000, v118
	s_delay_alu instid0(VALU_DEP_4) | instskip(SKIP_2) | instid1(VALU_DEP_4)
	v_fmac_f32_e32 v68, v33, v72
	v_and_b32_e32 v72, 0xffff0000, v74
	v_dual_fmac_f32 v91, v31, v106 :: v_dual_and_b32 v70, 0xffff0000, v99
	v_dual_fmac_f32 v88, v34, v108 :: v_dual_and_b32 v113, 0xffff0000, v126
	v_fmac_f32_e32 v94, v36, v109
	v_and_b32_e32 v110, 0xffff0000, v120
	v_and_b32_e32 v83, 0xffff0000, v83
	v_dual_fmac_f32 v91, v35, v71 :: v_dual_and_b32 v74, 0xffff0000, v82
	s_delay_alu instid0(VALU_DEP_4) | instskip(NEXT) | instid1(VALU_DEP_4)
	v_dual_fmac_f32 v94, v40, v113 :: v_dual_and_b32 v79, 0xffff0000, v79
	v_dual_fmac_f32 v68, v37, v110 :: v_dual_and_b32 v81, 0xffff0000, v81
	;; [unrolled: 1-line block ×3, first 2 shown]
	s_delay_alu instid0(VALU_DEP_3) | instskip(NEXT) | instid1(VALU_DEP_2)
	v_dual_fmac_f32 v94, v44, v83 :: v_dual_fmac_f32 v91, v39, v112
	v_dual_fmac_f32 v88, v42, v79 :: v_dual_and_b32 v85, 0xffff0000, v85
	s_delay_alu instid0(VALU_DEP_4) | instskip(NEXT) | instid1(VALU_DEP_3)
	v_dual_fmac_f32 v68, v41, v114 :: v_dual_and_b32 v89, 0xffff0000, v89
	v_dual_fmac_f32 v94, v48, v78 :: v_dual_fmac_f32 v91, v43, v81
	s_delay_alu instid0(VALU_DEP_3) | instskip(NEXT) | instid1(VALU_DEP_3)
	v_dual_fmac_f32 v88, v46, v85 :: v_dual_and_b32 v67, 0xffff0000, v76
	v_dual_fmac_f32 v68, v45, v86 :: v_dual_and_b32 v75, 0xffff0000, v75
	s_delay_alu instid0(VALU_DEP_3) | instskip(NEXT) | instid1(VALU_DEP_3)
	v_dual_fmac_f32 v91, v47, v89 :: v_dual_and_b32 v76, 0xffff0000, v84
	v_dual_fmac_f32 v88, v50, v77 :: v_dual_and_b32 v69, 0xffff0000, v98
	s_delay_alu instid0(VALU_DEP_3) | instskip(SKIP_1) | instid1(VALU_DEP_3)
	v_fmac_f32_e32 v68, v49, v92
	v_dual_fmac_f32 v94, v52, v67 :: v_dual_and_b32 v71, 0xffff0000, v80
	v_dual_fmac_f32 v91, v51, v90 :: v_dual_fmac_f32 v88, v54, v75
	s_delay_alu instid0(VALU_DEP_3) | instskip(NEXT) | instid1(VALU_DEP_3)
	v_dual_fmac_f32 v68, v53, v69 :: v_dual_and_b32 v67, 0xffff0000, v87
	v_dual_fmac_f32 v94, v56, v71 :: v_dual_and_b32 v69, 0xffff0000, v73
	s_delay_alu instid0(VALU_DEP_3) | instskip(NEXT) | instid1(VALU_DEP_4)
	v_fmac_f32_e32 v91, v55, v70
	v_fmac_f32_e32 v88, v59, v74
	s_delay_alu instid0(VALU_DEP_2) | instskip(NEXT) | instid1(VALU_DEP_1)
	v_dual_fmac_f32 v94, v61, v67 :: v_dual_fmac_f32 v91, v60, v76
	v_dual_fmac_f32 v68, v58, v72 :: v_dual_add_f32 v67, v88, v91
	s_delay_alu instid0(VALU_DEP_1) | instskip(NEXT) | instid1(VALU_DEP_1)
	v_dual_fmac_f32 v68, v62, v69 :: v_dual_add_f32 v67, v67, v94
	v_add_f32_e32 v67, v68, v67
	ds_bpermute_b32 v68, v63, v67
	s_and_saveexec_b32 s5, vcc_lo
	s_cbranch_execz .LBB343_9
; %bb.11:                               ;   in Loop: Header=BB343_10 Depth=1
	s_wait_dscnt 0x0
	v_add_f32_e32 v67, v67, v68
	v_add_nc_u32_e32 v69, s57, v64
	v_cmp_gt_i32_e64 s4, s50, v64
	s_delay_alu instid0(VALU_DEP_2) | instskip(NEXT) | instid1(VALU_DEP_1)
	v_cvt_f32_i32_e32 v69, v69
	v_mul_f32_e32 v69, s55, v69
	s_delay_alu instid0(VALU_DEP_1) | instskip(NEXT) | instid1(VALU_DEP_1)
	v_cndmask_b32_e64 v68, 0, v69, s3
	v_dual_max_num_f32 v69, v57, v57 :: v_dual_fmac_f32 v68, s49, v67
	s_delay_alu instid0(VALU_DEP_1) | instskip(SKIP_2) | instid1(VALU_DEP_2)
	v_max_num_f32_e32 v67, v69, v68
	s_wait_alu 0xf1ff
	v_cndmask_b32_e64 v68, 0, v68, s4
	v_cndmask_b32_e64 v57, v57, v67, s4
	ds_store_b32 v65, v68
	s_branch .LBB343_9
.LBB343_12:
	s_or_b32 exec_lo, exec_lo, s37
.LBB343_13:
	s_delay_alu instid0(SALU_CYCLE_1)
	s_or_b32 exec_lo, exec_lo, s56
	v_xor_b32_e32 v1, 16, v7
	v_xor_b32_e32 v2, 8, v7
	v_dual_max_num_f32 v4, v57, v57 :: v_dual_and_b32 v19, 31, v0
	s_clause 0x2
	s_load_b128 s[4:7], s[0:1], 0x0
	s_load_b64 s[8:9], s[0:1], 0x10
	s_load_b64 s[12:13], s[0:1], 0x28
	v_cmp_lt_i32_e32 vcc_lo, v1, v9
	v_lshlrev_b32_e32 v12, 2, v17
	s_wait_alu 0xfffd
	v_cndmask_b32_e32 v1, v7, v1, vcc_lo
	v_cmp_lt_i32_e32 vcc_lo, v2, v9
	s_wait_alu 0xfffd
	v_cndmask_b32_e32 v2, v7, v2, vcc_lo
	s_delay_alu instid0(VALU_DEP_1) | instskip(SKIP_4) | instid1(VALU_DEP_1)
	v_lshlrev_b32_e32 v10, 2, v2
	v_lshlrev_b32_e32 v3, 2, v1
	ds_bpermute_b32 v1, v3, v57
	s_wait_dscnt 0x0
	v_max_num_f32_e32 v1, v1, v1
	v_max_num_f32_e32 v1, v4, v1
	v_xor_b32_e32 v4, 4, v7
	ds_bpermute_b32 v2, v10, v1
	v_cmp_lt_i32_e32 vcc_lo, v4, v9
	s_wait_alu 0xfffd
	v_cndmask_b32_e32 v4, v7, v4, vcc_lo
	s_delay_alu instid0(VALU_DEP_1) | instskip(SKIP_1) | instid1(VALU_DEP_1)
	v_lshlrev_b32_e32 v11, 2, v4
	v_xor_b32_e32 v4, 2, v7
	v_cmp_lt_i32_e32 vcc_lo, v4, v9
	s_wait_dscnt 0x0
	v_max_num_f32_e32 v2, v2, v2
	s_wait_alu 0xfffd
	v_cndmask_b32_e32 v4, v7, v4, vcc_lo
	v_cmp_eq_u32_e32 vcc_lo, 0, v19
	s_delay_alu instid0(VALU_DEP_3) | instskip(SKIP_3) | instid1(VALU_DEP_1)
	v_max_num_f32_e32 v1, v1, v2
	ds_bpermute_b32 v2, v11, v1
	s_wait_dscnt 0x0
	v_max_num_f32_e32 v2, v2, v2
	v_dual_max_num_f32 v1, v1, v2 :: v_dual_lshlrev_b32 v2, 2, v4
	ds_bpermute_b32 v4, v2, v1
	s_and_saveexec_b32 s0, vcc_lo
	s_cbranch_execz .LBB343_15
; %bb.14:
	s_wait_dscnt 0x0
	v_dual_max_num_f32 v4, v4, v4 :: v_dual_max_num_f32 v1, v1, v1
	s_delay_alu instid0(VALU_DEP_1)
	v_max_num_f32_e32 v1, v1, v4
	ds_store_b32 v12, v1 offset:192
.LBB343_15:
	s_or_b32 exec_lo, exec_lo, s0
	v_cmp_gt_u32_e64 s0, 4, v19
	v_mov_b32_e32 v1, 0xff7fffff
	v_lshlrev_b32_e32 v13, 2, v19
	s_wait_loadcnt_dscnt 0x0
	s_barrier_signal -1
	s_barrier_wait -1
	global_inv scope:SCOPE_SE
	s_and_saveexec_b32 s1, s0
; %bb.16:
	ds_load_b32 v1, v13 offset:192
; %bb.17:
	s_or_b32 exec_lo, exec_lo, s1
	s_wait_dscnt 0x0
	ds_bpermute_b32 v4, v2, v1
	v_xor_b32_e32 v14, 1, v7
	v_max_num_f32_e32 v1, v1, v1
	s_delay_alu instid0(VALU_DEP_2) | instskip(NEXT) | instid1(VALU_DEP_1)
	v_cmp_lt_i32_e64 s1, v14, v9
	v_cndmask_b32_e64 v9, v7, v14, s1
	s_sub_co_i32 s1, s40, s54
	s_wait_alu 0xfffe
	s_lshl_b32 s1, s1, 4
	s_wait_alu 0xfffe
	s_add_co_i32 s1, s1, s51
	s_wait_alu 0xfffe
	s_min_i32 s1, s1, s50
	s_wait_alu 0xfffe
	s_sub_co_i32 s10, s1, s51
	s_wait_dscnt 0x0
	v_max_num_f32_e32 v4, v4, v4
	v_lshlrev_b32_e32 v20, 2, v9
	s_wait_alu 0xfffe
	v_cmp_gt_i32_e64 s1, s10, v0
	s_delay_alu instid0(VALU_DEP_3) | instskip(SKIP_3) | instid1(VALU_DEP_1)
	v_max_num_f32_e32 v1, v1, v4
	ds_bpermute_b32 v4, v20, v1
	s_wait_dscnt 0x0
	v_max_num_f32_e32 v4, v4, v4
	v_max_num_f32_e32 v1, v1, v4
	v_lshlrev_b32_e32 v4, 2, v8
	v_mov_b32_e32 v8, 0
	ds_bpermute_b32 v1, v4, v1
	v_lshl_add_u32 v4, v0, 2, 0xe0
	s_and_saveexec_b32 s11, s1
	s_cbranch_execz .LBB343_21
; %bb.18:
	v_lshl_add_u32 v9, v0, 2, 0xe0
	v_mov_b32_e32 v8, 0
	v_mov_b32_e32 v14, v0
	s_mov_b32 s14, 0
.LBB343_19:                             ; =>This Inner Loop Header: Depth=1
	ds_load_b32 v21, v9
	v_add_nc_u32_e32 v14, 0x80, v14
	s_delay_alu instid0(VALU_DEP_1) | instskip(SKIP_4) | instid1(VALU_DEP_1)
	v_cmp_le_i32_e64 s3, s10, v14
	s_wait_alu 0xfffe
	s_or_b32 s14, s3, s14
	s_wait_dscnt 0x0
	v_sub_f32_e32 v21, v21, v1
	v_mul_f32_e32 v21, 0x3fb8aa3b, v21
	s_delay_alu instid0(VALU_DEP_1)
	v_exp_f32_e32 v21, v21
	ds_store_b32 v9, v21
	v_add_f32_e32 v8, v8, v21
	v_add_nc_u32_e32 v9, 0x200, v9
	s_wait_alu 0xfffe
	s_and_not1_b32 exec_lo, exec_lo, s14
	s_cbranch_execnz .LBB343_19
; %bb.20:
	s_or_b32 exec_lo, exec_lo, s14
.LBB343_21:
	s_wait_alu 0xfffe
	s_or_b32 exec_lo, exec_lo, s11
	ds_bpermute_b32 v3, v3, v8
	s_wait_dscnt 0x0
	v_add_f32_e32 v3, v8, v3
	ds_bpermute_b32 v8, v10, v3
	s_wait_dscnt 0x0
	v_add_f32_e32 v3, v3, v8
	;; [unrolled: 3-line block ×5, first 2 shown]
	s_and_saveexec_b32 s3, vcc_lo
; %bb.22:
	ds_store_b32 v12, v3 offset:208
; %bb.23:
	s_wait_alu 0xfffe
	s_or_b32 exec_lo, exec_lo, s3
	s_wait_loadcnt_dscnt 0x0
	s_barrier_signal -1
	s_barrier_wait -1
	global_inv scope:SCOPE_SE
	s_and_saveexec_b32 s3, s0
; %bb.24:
	ds_load_b32 v3, v13 offset:208
; %bb.25:
	s_wait_alu 0xfffe
	s_or_b32 exec_lo, exec_lo, s3
	s_wait_dscnt 0x0
	ds_bpermute_b32 v2, v2, v3
	s_wait_dscnt 0x0
	v_dual_add_f32 v2, v3, v2 :: v_dual_lshlrev_b32 v7, 2, v7
	ds_bpermute_b32 v3, v20, v2
	s_wait_dscnt 0x0
	v_add_f32_e32 v2, v2, v3
	v_and_b32_e32 v3, 0xffffff80, v7
	ds_bpermute_b32 v2, v3, v2
	s_and_saveexec_b32 s0, s1
	s_cbranch_execz .LBB343_28
; %bb.26:
	s_wait_dscnt 0x0
	v_add_f32_e32 v3, 0x358637bd, v2
	s_mov_b32 s1, 0
	s_delay_alu instid0(VALU_DEP_1) | instskip(NEXT) | instid1(VALU_DEP_1)
	v_div_scale_f32 v7, null, v3, v3, 1.0
	v_rcp_f32_e32 v8, v7
	s_delay_alu instid0(TRANS32_DEP_1) | instskip(NEXT) | instid1(VALU_DEP_1)
	v_fma_f32 v9, -v7, v8, 1.0
	v_fmac_f32_e32 v8, v9, v8
	v_div_scale_f32 v10, vcc_lo, 1.0, v3, 1.0
	s_delay_alu instid0(VALU_DEP_1) | instskip(NEXT) | instid1(VALU_DEP_1)
	v_mul_f32_e32 v9, v10, v8
	v_fma_f32 v11, -v7, v9, v10
	s_delay_alu instid0(VALU_DEP_1) | instskip(NEXT) | instid1(VALU_DEP_1)
	v_fmac_f32_e32 v9, v11, v8
	v_fma_f32 v7, -v7, v9, v10
	s_wait_alu 0xfffd
	s_delay_alu instid0(VALU_DEP_1) | instskip(NEXT) | instid1(VALU_DEP_1)
	v_div_fmas_f32 v7, v7, v8, v9
	v_div_fixup_f32 v3, v7, v3, 1.0
	v_mov_b32_e32 v7, v0
.LBB343_27:                             ; =>This Inner Loop Header: Depth=1
	ds_load_b32 v8, v4
	s_wait_dscnt 0x0
	v_dual_mul_f32 v8, v3, v8 :: v_dual_add_nc_u32 v7, 0x80, v7
	s_delay_alu instid0(VALU_DEP_1)
	v_cmp_le_i32_e32 vcc_lo, s10, v7
	ds_store_b32 v4, v8
	v_add_nc_u32_e32 v4, 0x200, v4
	s_wait_alu 0xfffe
	s_or_b32 s1, vcc_lo, s1
	s_wait_alu 0xfffe
	s_and_not1_b32 exec_lo, exec_lo, s1
	s_cbranch_execnz .LBB343_27
.LBB343_28:
	s_wait_alu 0xfffe
	s_or_b32 exec_lo, exec_lo, s0
	s_wait_kmcnt 0x0
	s_mul_i32 s0, s35, s52
	s_wait_loadcnt_dscnt 0x0
	s_wait_alu 0xfffe
	s_mul_i32 s10, s0, s53
	s_mov_b32 s0, exec_lo
	s_barrier_signal -1
	s_barrier_wait -1
	global_inv scope:SCOPE_SE
	v_cmpx_eq_u32_e32 0, v0
	s_cbranch_execz .LBB343_30
; %bb.29:
	s_wait_alu 0xfffe
	s_ashr_i32 s11, s10, 31
	s_mul_i32 s14, s35, ttmp9
	s_lshl_b32 s1, s33, 2
	s_wait_alu 0xfffe
	s_lshl_b64 s[16:17], s[10:11], 2
	s_ashr_i32 s15, s14, 31
	v_mov_b32_e32 v3, s1
	s_wait_alu 0xfffe
	s_add_nc_u64 s[6:7], s[6:7], s[16:17]
	s_lshl_b64 s[14:15], s[14:15], 2
	s_add_nc_u64 s[4:5], s[4:5], s[16:17]
	s_wait_alu 0xfffe
	s_add_nc_u64 s[6:7], s[6:7], s[14:15]
	s_add_nc_u64 s[4:5], s[4:5], s[14:15]
	s_clause 0x1
	global_store_b32 v3, v1, s[6:7]
	global_store_b32 v3, v2, s[4:5]
.LBB343_30:
	s_wait_alu 0xfffe
	s_or_b32 exec_lo, exec_lo, s0
	v_dual_mov_b32 v25, 0 :: v_dual_mov_b32 v26, 0
	v_dual_mov_b32 v24, 0 :: v_dual_mov_b32 v23, 0
	;; [unrolled: 1-line block ×3, first 2 shown]
	s_and_saveexec_b32 s1, s2
	s_cbranch_execz .LBB343_46
; %bb.31:
	s_load_b32 s2, s[38:39], 0x0
	v_dual_mov_b32 v24, 0 :: v_dual_and_b32 v3, 0xf8, v5
	s_ashr_i32 s43, s42, 31
	v_dual_mov_b32 v21, 0 :: v_dual_lshlrev_b32 v2, 5, v16
	s_wait_alu 0xfffe
	s_add_nc_u64 s[4:5], s[12:13], s[42:43]
	v_dual_mov_b32 v22, 0 :: v_dual_and_b32 v1, 8, v5
	s_wait_alu 0xfffe
	v_add_co_u32 v9, s0, s4, v3
	s_wait_alu 0xf1ff
	v_add_co_ci_u32_e64 v10, null, s5, 0, s0
	s_lshl_b64 s[4:5], s[44:45], 2
	v_lshl_add_u32 v4, v17, 4, s51
	v_lshl_or_b32 v2, v17, 6, v2
	s_wait_alu 0xfffe
	s_add_nc_u64 s[4:5], s[46:47], s[4:5]
	v_mov_b32_e32 v23, 0
	s_wait_alu 0xfffe
	v_add_co_u32 v11, s0, s4, v6
	v_add3_u32 v27, v4, v1, 7
	v_add_nc_u32_e32 v28, 0xe0, v2
	s_wait_alu 0xf1ff
	v_add_co_ci_u32_e64 v12, null, s5, 0, s0
	v_dual_mov_b32 v26, 0 :: v_dual_mov_b32 v25, 0
	s_mov_b32 s3, s41
	s_add_co_i32 s48, s48, -1
	s_mov_b32 s4, 0
	s_branch .LBB343_33
.LBB343_32:                             ;   in Loop: Header=BB343_33 Depth=1
	s_wait_alu 0xfffe
	s_or_b32 exec_lo, exec_lo, s0
	s_wait_dscnt 0x1
	v_bfe_u32 v45, v5, 16, 1
	v_bfe_u32 v46, v6, 16, 1
	v_or_b32_e32 v47, 0x400000, v5
	v_cmp_u_f32_e32 vcc_lo, v5, v5
	v_or_b32_e32 v48, 0x400000, v6
	v_add3_u32 v45, v45, v5, 0x7fff
	v_bfe_u32 v49, v7, 16, 1
	v_add3_u32 v46, v46, v6, 0x7fff
	v_bfe_u32 v50, v8, 16, 1
	v_lshlrev_b32_e32 v75, 16, v75
	s_wait_alu 0xfffd
	v_cndmask_b32_e32 v5, v45, v47, vcc_lo
	v_cmp_u_f32_e32 vcc_lo, v6, v6
	v_add3_u32 v45, v49, v7, 0x7fff
	v_add3_u32 v47, v50, v8, 0x7fff
	s_wait_dscnt 0x0
	v_bfe_u32 v49, v1, 16, 1
	v_or_b32_e32 v50, 0x400000, v4
	s_wait_alu 0xfffd
	v_cndmask_b32_e32 v6, v46, v48, vcc_lo
	v_or_b32_e32 v46, 0x400000, v7
	v_cmp_u_f32_e32 vcc_lo, v7, v7
	v_or_b32_e32 v48, 0x400000, v8
	v_and_b32_e32 v5, 0xffff0000, v5
	v_lshlrev_b32_e32 v44, 16, v44
	s_wait_alu 0xfffd
	v_dual_cndmask_b32 v7, v45, v46 :: v_dual_lshlrev_b32 v36, 16, v36
	v_cmp_u_f32_e32 vcc_lo, v8, v8
	v_bfe_u32 v45, v2, 16, 1
	v_add3_u32 v46, v49, v1, 0x7fff
	v_bfe_u32 v49, v3, 16, 1
	s_wait_alu 0xfffd
	v_dual_cndmask_b32 v8, v47, v48 :: v_dual_lshlrev_b32 v13, 16, v13
	v_or_b32_e32 v47, 0x400000, v1
	v_cmp_u_f32_e32 vcc_lo, v1, v1
	v_add3_u32 v45, v45, v2, 0x7fff
	v_or_b32_e32 v48, 0x400000, v2
	v_add_co_u32 v11, s0, v11, 16
	s_wait_alu 0xfffd
	v_cndmask_b32_e32 v46, v46, v47, vcc_lo
	v_cmp_u_f32_e32 vcc_lo, v2, v2
	v_add3_u32 v2, v49, v3, 0x7fff
	v_or_b32_e32 v49, 0x400000, v3
	v_bfe_u32 v47, v4, 16, 1
	v_add_nc_u32_e32 v27, 64, v27
	s_wait_alu 0xfffd
	v_cndmask_b32_e32 v45, v45, v48, vcc_lo
	v_cmp_u_f32_e32 vcc_lo, v3, v3
	v_lshlrev_b32_e32 v48, 16, v80
	v_add3_u32 v47, v47, v4, 0x7fff
	s_wait_alu 0xf1ff
	v_add_co_ci_u32_e64 v12, null, 0, v12, s0
	s_wait_alu 0xfffd
	v_cndmask_b32_e32 v49, v2, v49, vcc_lo
	v_dual_mul_f32 v48, v5, v48 :: v_dual_and_b32 v1, 0xffff0000, v6
	v_cmp_u_f32_e32 vcc_lo, v4, v4
	v_lshlrev_b32_e32 v66, 16, v66
	v_lshlrev_b32_e32 v68, 16, v68
	v_lshlrev_b32_e32 v70, 16, v70
	v_or_b32_e32 v55, 0x400000, v48
	v_and_b32_e32 v2, 0xffff0000, v8
	v_lshlrev_b32_e32 v8, 16, v79
	v_lshlrev_b32_e32 v6, 16, v81
	;; [unrolled: 1-line block ×5, first 2 shown]
	s_delay_alu instid0(VALU_DEP_4)
	v_dual_mul_f32 v79, v2, v8 :: v_dual_mul_f32 v6, v1, v6
	v_and_b32_e32 v8, 0xffff0000, v7
	v_lshlrev_b32_e32 v7, 16, v78
	s_wait_alu 0xfffd
	v_cndmask_b32_e32 v4, v47, v50, vcc_lo
	v_bfe_u32 v47, v48, 16, 1
	v_bfe_u32 v3, v6, 16, 1
	v_or_b32_e32 v50, 0x400000, v6
	v_cmp_u_f32_e32 vcc_lo, v6, v6
	v_mul_f32_e32 v44, v1, v44
	v_add3_u32 v47, v47, v48, 0x7fff
	v_add3_u32 v3, v3, v6, 0x7fff
	v_lshlrev_b32_e32 v39, 16, v39
	v_lshlrev_b32_e32 v37, 16, v37
	v_dual_mul_f32 v36, v1, v36 :: v_dual_lshlrev_b32 v41, 16, v41
	s_wait_alu 0xfffd
	v_dual_cndmask_b32 v50, v3, v50 :: v_dual_and_b32 v3, 0xffff0000, v45
	v_cmp_u_f32_e32 vcc_lo, v48, v48
	v_bfe_u32 v48, v79, 16, 1
	v_lshlrev_b32_e32 v34, 16, v34
	v_lshlrev_b32_e32 v14, 16, v14
	s_wait_alu 0xfffd
	v_dual_cndmask_b32 v47, v47, v55 :: v_dual_add_nc_u32 v28, 0x100, v28
	v_add3_u32 v48, v48, v79, 0x7fff
	v_or_b32_e32 v55, 0x400000, v79
	v_cmp_u_f32_e32 vcc_lo, v79, v79
	v_dual_mul_f32 v34, v2, v34 :: v_dual_lshlrev_b32 v35, 16, v35
	v_and_b32_e32 v47, 0xffff0000, v47
	v_add_nc_u32_e32 v18, 4, v18
	s_wait_alu 0xfffd
	v_cndmask_b32_e32 v48, v48, v55, vcc_lo
	v_dual_mul_f32 v7, v8, v7 :: v_dual_and_b32 v4, 0xffff0000, v4
	v_and_b32_e32 v6, 0xffff0000, v46
	v_lshlrev_b32_e32 v46, 16, v76
	s_delay_alu instid0(VALU_DEP_4) | instskip(NEXT) | instid1(VALU_DEP_4)
	v_and_b32_e32 v48, 0xffff0000, v48
	v_bfe_u32 v76, v7, 16, 1
	v_cmp_u_f32_e32 vcc_lo, v7, v7
	s_delay_alu instid0(VALU_DEP_2) | instskip(SKIP_3) | instid1(VALU_DEP_2)
	v_add3_u32 v55, v76, v7, 0x7fff
	v_or_b32_e32 v76, 0x400000, v7
	v_and_b32_e32 v7, 0xffff0000, v49
	s_wait_alu 0xfffd
	v_cndmask_b32_e32 v55, v55, v76, vcc_lo
	v_mul_f32_e32 v41, v8, v41
	s_delay_alu instid0(VALU_DEP_2) | instskip(NEXT) | instid1(VALU_DEP_1)
	v_and_b32_e32 v55, 0xffff0000, v55
	v_dual_add_f32 v48, v55, v48 :: v_dual_lshlrev_b32 v49, 16, v74
	s_delay_alu instid0(VALU_DEP_1) | instskip(SKIP_4) | instid1(VALU_DEP_3)
	v_mul_f32_e32 v49, v7, v49
	v_mul_f32_e32 v75, v4, v75
	v_dual_mul_f32 v46, v6, v46 :: v_dual_lshlrev_b32 v45, 16, v77
	v_lshlrev_b32_e32 v55, 16, v72
	v_dual_mul_f32 v68, v6, v68 :: v_dual_lshlrev_b32 v71, 16, v71
	v_mul_f32_e32 v45, v3, v45
	s_delay_alu instid0(VALU_DEP_4)
	v_bfe_u32 v78, v46, 16, 1
	v_or_b32_e32 v74, 0x400000, v46
	v_bfe_u32 v79, v75, 16, 1
	v_mul_f32_e32 v71, v2, v71
	v_bfe_u32 v77, v45, 16, 1
	v_cmp_u_f32_e32 vcc_lo, v45, v45
	v_add3_u32 v78, v78, v46, 0x7fff
	v_mul_f32_e32 v52, v4, v52
	v_dual_mul_f32 v39, v6, v39 :: v_dual_lshlrev_b32 v40, 16, v40
	v_add3_u32 v76, v77, v45, 0x7fff
	v_or_b32_e32 v77, 0x400000, v45
	v_lshlrev_b32_e32 v30, 16, v30
	s_delay_alu instid0(VALU_DEP_4) | instskip(SKIP_1) | instid1(VALU_DEP_3)
	v_dual_mul_f32 v40, v3, v40 :: v_dual_lshlrev_b32 v31, 16, v31
	s_wait_alu 0xfffd
	v_cndmask_b32_e32 v45, v76, v77, vcc_lo
	v_cmp_u_f32_e32 vcc_lo, v46, v46
	v_or_b32_e32 v76, 0x400000, v75
	v_bfe_u32 v77, v49, 16, 1
	s_delay_alu instid0(VALU_DEP_4)
	v_dual_mul_f32 v30, v4, v30 :: v_dual_and_b32 v45, 0xffff0000, v45
	s_wait_alu 0xfffd
	v_cndmask_b32_e32 v46, v78, v74, vcc_lo
	v_add3_u32 v74, v79, v75, 0x7fff
	v_cmp_u_f32_e32 vcc_lo, v75, v75
	v_add3_u32 v75, v77, v49, 0x7fff
	v_mul_f32_e32 v31, v6, v31
	s_wait_alu 0xfffd
	v_cndmask_b32_e32 v74, v74, v76, vcc_lo
	v_or_b32_e32 v76, 0x400000, v49
	v_cmp_u_f32_e32 vcc_lo, v49, v49
	v_and_b32_e32 v50, 0xffff0000, v50
	v_mul_f32_e32 v66, v7, v66
	v_mul_f32_e32 v37, v7, v37
	s_wait_alu 0xfffd
	v_cndmask_b32_e32 v49, v75, v76, vcc_lo
	v_add_f32_e32 v47, v47, v50
	s_delay_alu instid0(VALU_DEP_1) | instskip(NEXT) | instid1(VALU_DEP_1)
	v_dual_add_f32 v47, v48, v47 :: v_dual_and_b32 v46, 0xffff0000, v46
	v_add_f32_e32 v45, v46, v45
	v_lshlrev_b32_e32 v50, 16, v73
	v_mul_f32_e32 v46, v5, v55
	s_delay_alu instid0(VALU_DEP_3) | instskip(NEXT) | instid1(VALU_DEP_3)
	v_add_f32_e32 v45, v45, v47
	v_mul_f32_e32 v48, v1, v50
	v_and_b32_e32 v50, 0xffff0000, v74
	s_delay_alu instid0(VALU_DEP_4) | instskip(SKIP_1) | instid1(VALU_DEP_4)
	v_bfe_u32 v47, v46, 16, 1
	v_or_b32_e32 v72, 0x400000, v46
	v_bfe_u32 v55, v48, 16, 1
	v_cmp_u_f32_e32 vcc_lo, v48, v48
	v_and_b32_e32 v49, 0xffff0000, v49
	v_add3_u32 v47, v47, v46, 0x7fff
	s_delay_alu instid0(VALU_DEP_2) | instskip(SKIP_3) | instid1(VALU_DEP_1)
	v_add_f32_e32 v49, v49, v50
	v_add3_u32 v50, v55, v48, 0x7fff
	v_or_b32_e32 v55, 0x400000, v48
	s_wait_alu 0xfffd
	v_dual_add_f32 v45, v49, v45 :: v_dual_cndmask_b32 v48, v50, v55
	v_cmp_u_f32_e32 vcc_lo, v46, v46
	v_bfe_u32 v50, v71, 16, 1
	v_lshlrev_b32_e32 v55, 16, v69
	v_or_b32_e32 v69, 0x400000, v71
	v_and_b32_e32 v48, 0xffff0000, v48
	s_wait_alu 0xfffd
	v_dual_cndmask_b32 v46, v47, v72 :: v_dual_mul_f32 v47, v8, v70
	v_add3_u32 v50, v50, v71, 0x7fff
	v_mul_f32_e32 v55, v3, v55
	v_cmp_u_f32_e32 vcc_lo, v71, v71
	s_delay_alu instid0(VALU_DEP_4)
	v_and_b32_e32 v46, 0xffff0000, v46
	v_bfe_u32 v70, v47, 16, 1
	v_lshlrev_b32_e32 v67, 16, v67
	v_bfe_u32 v71, v55, 16, 1
	s_wait_alu 0xfffd
	v_cndmask_b32_e32 v50, v50, v69, vcc_lo
	v_cmp_u_f32_e32 vcc_lo, v47, v47
	v_add3_u32 v69, v70, v47, 0x7fff
	v_or_b32_e32 v70, 0x400000, v47
	v_bfe_u32 v72, v68, 16, 1
	v_dual_add_f32 v46, v46, v48 :: v_dual_mul_f32 v67, v4, v67
	v_and_b32_e32 v50, 0xffff0000, v50
	s_wait_alu 0xfffd
	v_cndmask_b32_e32 v47, v69, v70, vcc_lo
	v_add3_u32 v69, v71, v55, 0x7fff
	v_or_b32_e32 v70, 0x400000, v55
	v_cmp_u_f32_e32 vcc_lo, v55, v55
	v_add3_u32 v71, v72, v68, 0x7fff
	v_or_b32_e32 v72, 0x400000, v68
	v_bfe_u32 v73, v67, 16, 1
	s_wait_alu 0xfffd
	v_dual_add_f32 v22, v22, v45 :: v_dual_cndmask_b32 v55, v69, v70
	v_cmp_u_f32_e32 vcc_lo, v68, v68
	v_or_b32_e32 v70, 0x400000, v67
	v_add3_u32 v69, v73, v67, 0x7fff
	s_wait_alu 0xfffd
	v_cndmask_b32_e32 v68, v71, v72, vcc_lo
	v_bfe_u32 v71, v66, 16, 1
	v_cmp_u_f32_e32 vcc_lo, v67, v67
	s_delay_alu instid0(VALU_DEP_3)
	v_and_b32_e32 v48, 0xffff0000, v68
	v_and_b32_e32 v47, 0xffff0000, v47
	s_wait_alu 0xfffd
	v_cndmask_b32_e32 v67, v69, v70, vcc_lo
	v_add3_u32 v69, v71, v66, 0x7fff
	v_or_b32_e32 v70, 0x400000, v66
	v_cmp_u_f32_e32 vcc_lo, v66, v66
	v_dual_add_f32 v47, v47, v50 :: v_dual_and_b32 v50, 0xffff0000, v55
	s_wait_alu 0xfffd
	s_delay_alu instid0(VALU_DEP_3) | instskip(NEXT) | instid1(VALU_DEP_2)
	v_cndmask_b32_e32 v55, v69, v70, vcc_lo
	v_add_f32_e32 v48, v48, v50
	v_lshlrev_b32_e32 v50, 16, v58
	v_and_b32_e32 v58, 0xffff0000, v67
	v_dual_add_f32 v46, v47, v46 :: v_dual_lshlrev_b32 v47, 16, v59
	v_and_b32_e32 v55, 0xffff0000, v55
	s_delay_alu instid0(VALU_DEP_4) | instskip(NEXT) | instid1(VALU_DEP_3)
	v_mul_f32_e32 v49, v5, v50
	v_dual_add_f32 v46, v48, v46 :: v_dual_mul_f32 v47, v1, v47
	s_delay_alu instid0(VALU_DEP_3) | instskip(NEXT) | instid1(VALU_DEP_3)
	v_add_f32_e32 v48, v55, v58
	v_bfe_u32 v55, v49, 16, 1
	v_bfe_u32 v58, v52, 16, 1
	s_delay_alu instid0(VALU_DEP_4) | instskip(SKIP_3) | instid1(VALU_DEP_4)
	v_bfe_u32 v50, v47, 16, 1
	v_cmp_u_f32_e32 vcc_lo, v47, v47
	v_add_f32_e32 v45, v48, v46
	v_or_b32_e32 v48, 0x400000, v47
	v_add3_u32 v46, v50, v47, 0x7fff
	v_add3_u32 v50, v55, v49, 0x7fff
	v_mul_f32_e32 v55, v2, v57
	v_or_b32_e32 v57, 0x400000, v49
	s_wait_alu 0xfffd
	v_cndmask_b32_e32 v46, v46, v48, vcc_lo
	v_cmp_u_f32_e32 vcc_lo, v49, v49
	v_mul_f32_e32 v49, v8, v56
	v_add_f32_e32 v23, v23, v45
	s_wait_alu 0xfffd
	v_cndmask_b32_e32 v48, v50, v57, vcc_lo
	v_lshlrev_b32_e32 v50, 16, v54
	v_bfe_u32 v47, v55, 16, 1
	v_or_b32_e32 v54, 0x400000, v55
	v_lshlrev_b32_e32 v53, 16, v53
	v_bfe_u32 v56, v49, 16, 1
	v_mul_f32_e32 v50, v3, v50
	v_add3_u32 v47, v47, v55, 0x7fff
	v_cmp_u_f32_e32 vcc_lo, v55, v55
	v_mul_f32_e32 v53, v6, v53
	v_or_b32_e32 v55, 0x400000, v49
	s_wait_alu 0xfffd
	v_dual_cndmask_b32 v47, v47, v54 :: v_dual_and_b32 v48, 0xffff0000, v48
	v_add3_u32 v54, v56, v49, 0x7fff
	v_bfe_u32 v56, v50, 16, 1
	v_cmp_u_f32_e32 vcc_lo, v49, v49
	v_bfe_u32 v57, v53, 16, 1
	v_and_b32_e32 v47, 0xffff0000, v47
	s_wait_alu 0xfffd
	v_cndmask_b32_e32 v49, v54, v55, vcc_lo
	v_add3_u32 v54, v56, v50, 0x7fff
	v_or_b32_e32 v55, 0x400000, v50
	v_cmp_u_f32_e32 vcc_lo, v50, v50
	v_add3_u32 v56, v57, v53, 0x7fff
	v_or_b32_e32 v57, 0x400000, v53
	s_wait_alu 0xfffd
	v_cndmask_b32_e32 v50, v54, v55, vcc_lo
	v_cmp_u_f32_e32 vcc_lo, v53, v53
	v_add3_u32 v54, v58, v52, 0x7fff
	v_or_b32_e32 v55, 0x400000, v52
	s_wait_alu 0xfffd
	v_cndmask_b32_e32 v53, v56, v57, vcc_lo
	v_cmp_u_f32_e32 vcc_lo, v52, v52
	s_wait_alu 0xfffd
	v_dual_cndmask_b32 v52, v54, v55 :: v_dual_and_b32 v49, 0xffff0000, v49
	s_delay_alu instid0(VALU_DEP_1) | instskip(NEXT) | instid1(VALU_DEP_1)
	v_dual_add_f32 v47, v49, v47 :: v_dual_and_b32 v46, 0xffff0000, v46
	v_dual_add_f32 v46, v48, v46 :: v_dual_lshlrev_b32 v51, 16, v51
	s_delay_alu instid0(VALU_DEP_1) | instskip(NEXT) | instid1(VALU_DEP_2)
	v_dual_mul_f32 v51, v7, v51 :: v_dual_and_b32 v48, 0xffff0000, v53
	v_dual_add_f32 v46, v47, v46 :: v_dual_lshlrev_b32 v43, 16, v43
	s_delay_alu instid0(VALU_DEP_2) | instskip(SKIP_2) | instid1(VALU_DEP_4)
	v_bfe_u32 v56, v51, 16, 1
	v_or_b32_e32 v55, 0x400000, v51
	v_cmp_u_f32_e32 vcc_lo, v51, v51
	v_mul_f32_e32 v43, v5, v43
	s_delay_alu instid0(VALU_DEP_4) | instskip(SKIP_1) | instid1(VALU_DEP_3)
	v_add3_u32 v54, v56, v51, 0x7fff
	v_and_b32_e32 v49, 0xffff0000, v50
	v_or_b32_e32 v51, 0x400000, v43
	s_wait_alu 0xfffd
	s_delay_alu instid0(VALU_DEP_2) | instskip(SKIP_2) | instid1(VALU_DEP_3)
	v_dual_cndmask_b32 v50, v54, v55 :: v_dual_add_f32 v47, v48, v49
	v_and_b32_e32 v49, 0xffff0000, v52
	v_cmp_u_f32_e32 vcc_lo, v44, v44
	v_and_b32_e32 v48, 0xffff0000, v50
	v_bfe_u32 v50, v44, 16, 1
	v_add_f32_e32 v46, v47, v46
	v_bfe_u32 v47, v43, 16, 1
	s_delay_alu instid0(VALU_DEP_4) | instskip(NEXT) | instid1(VALU_DEP_4)
	v_add_f32_e32 v48, v48, v49
	v_add3_u32 v49, v50, v44, 0x7fff
	v_or_b32_e32 v50, 0x400000, v44
	s_delay_alu instid0(VALU_DEP_4) | instskip(SKIP_1) | instid1(VALU_DEP_2)
	v_add3_u32 v47, v47, v43, 0x7fff
	s_wait_alu 0xfffd
	v_cndmask_b32_e32 v44, v49, v50, vcc_lo
	v_cmp_u_f32_e32 vcc_lo, v43, v43
	v_lshlrev_b32_e32 v42, 16, v42
	v_bfe_u32 v50, v41, 16, 1
	s_wait_alu 0xfffd
	s_delay_alu instid0(VALU_DEP_2) | instskip(SKIP_1) | instid1(VALU_DEP_2)
	v_dual_cndmask_b32 v43, v47, v51 :: v_dual_mul_f32 v42, v2, v42
	v_bfe_u32 v51, v39, 16, 1
	v_and_b32_e32 v43, 0xffff0000, v43
	s_delay_alu instid0(VALU_DEP_3) | instskip(SKIP_2) | instid1(VALU_DEP_3)
	v_bfe_u32 v52, v42, 16, 1
	v_or_b32_e32 v49, 0x400000, v42
	v_cmp_u_f32_e32 vcc_lo, v42, v42
	v_add3_u32 v47, v52, v42, 0x7fff
	s_wait_alu 0xfffd
	s_delay_alu instid0(VALU_DEP_1)
	v_cndmask_b32_e32 v42, v47, v49, vcc_lo
	v_add3_u32 v47, v50, v41, 0x7fff
	v_or_b32_e32 v49, 0x400000, v41
	v_bfe_u32 v50, v40, 16, 1
	v_cmp_u_f32_e32 vcc_lo, v41, v41
	s_wait_alu 0xfffd
	s_delay_alu instid0(VALU_DEP_3) | instskip(NEXT) | instid1(VALU_DEP_3)
	v_dual_cndmask_b32 v41, v47, v49 :: v_dual_lshlrev_b32 v38, 16, v38
	v_add3_u32 v47, v50, v40, 0x7fff
	v_or_b32_e32 v49, 0x400000, v40
	v_cmp_u_f32_e32 vcc_lo, v40, v40
	s_delay_alu instid0(VALU_DEP_4)
	v_mul_f32_e32 v38, v4, v38
	v_add3_u32 v50, v51, v39, 0x7fff
	v_or_b32_e32 v51, 0x400000, v39
	v_and_b32_e32 v41, 0xffff0000, v41
	s_wait_alu 0xfffd
	v_cndmask_b32_e32 v40, v47, v49, vcc_lo
	v_cmp_u_f32_e32 vcc_lo, v39, v39
	v_bfe_u32 v52, v38, 16, 1
	v_or_b32_e32 v49, 0x400000, v38
	s_wait_alu 0xfffd
	v_dual_mul_f32 v4, v4, v13 :: v_dual_cndmask_b32 v39, v50, v51
	v_and_b32_e32 v42, 0xffff0000, v42
	v_and_b32_e32 v44, 0xffff0000, v44
	v_add3_u32 v47, v52, v38, 0x7fff
	v_cmp_u_f32_e32 vcc_lo, v38, v38
	v_and_b32_e32 v39, 0xffff0000, v39
	v_add_f32_e32 v41, v41, v42
	v_add_f32_e32 v43, v43, v44
	v_or_b32_e32 v44, 0x400000, v37
	s_wait_alu 0xfffd
	v_cndmask_b32_e32 v38, v47, v49, vcc_lo
	v_bfe_u32 v47, v37, 16, 1
	v_cmp_u_f32_e32 vcc_lo, v37, v37
	v_dual_add_f32 v41, v41, v43 :: v_dual_and_b32 v40, 0xffff0000, v40
	v_or_b32_e32 v43, 0x400000, v34
	s_delay_alu instid0(VALU_DEP_4) | instskip(NEXT) | instid1(VALU_DEP_3)
	v_add3_u32 v42, v47, v37, 0x7fff
	v_dual_add_f32 v39, v39, v40 :: v_dual_and_b32 v38, 0xffff0000, v38
	v_bfe_u32 v40, v36, 16, 1
	s_wait_alu 0xfffd
	s_delay_alu instid0(VALU_DEP_3)
	v_cndmask_b32_e32 v37, v42, v44, vcc_lo
	v_cmp_u_f32_e32 vcc_lo, v36, v36
	v_add_f32_e32 v39, v39, v41
	v_add3_u32 v40, v40, v36, 0x7fff
	v_or_b32_e32 v41, 0x400000, v36
	s_wait_alu 0xfffd
	s_delay_alu instid0(VALU_DEP_1) | instskip(NEXT) | instid1(VALU_DEP_1)
	v_dual_mul_f32 v35, v5, v35 :: v_dual_cndmask_b32 v36, v40, v41
	v_bfe_u32 v42, v35, 16, 1
	v_bfe_u32 v40, v34, 16, 1
	v_cmp_u_f32_e32 vcc_lo, v35, v35
	s_delay_alu instid0(VALU_DEP_4) | instskip(NEXT) | instid1(VALU_DEP_4)
	v_and_b32_e32 v36, 0xffff0000, v36
	v_add3_u32 v41, v42, v35, 0x7fff
	v_or_b32_e32 v42, 0x400000, v35
	v_add3_u32 v40, v40, v34, 0x7fff
	s_wait_alu 0xfffd
	s_delay_alu instid0(VALU_DEP_2) | instskip(SKIP_3) | instid1(VALU_DEP_1)
	v_cndmask_b32_e32 v35, v41, v42, vcc_lo
	v_cmp_u_f32_e32 vcc_lo, v34, v34
	s_wait_alu 0xfffd
	v_dual_cndmask_b32 v34, v40, v43 :: v_dual_lshlrev_b32 v33, 16, v33
	v_dual_mul_f32 v33, v8, v33 :: v_dual_lshlrev_b32 v32, 16, v32
	v_and_b32_e32 v37, 0xffff0000, v37
	s_delay_alu instid0(VALU_DEP_3) | instskip(NEXT) | instid1(VALU_DEP_3)
	v_and_b32_e32 v34, 0xffff0000, v34
	v_mul_f32_e32 v32, v3, v32
	s_delay_alu instid0(VALU_DEP_4) | instskip(SKIP_2) | instid1(VALU_DEP_4)
	v_bfe_u32 v41, v33, 16, 1
	v_or_b32_e32 v42, 0x400000, v33
	v_cmp_u_f32_e32 vcc_lo, v33, v33
	v_bfe_u32 v40, v32, 16, 1
	s_delay_alu instid0(VALU_DEP_4) | instskip(SKIP_1) | instid1(VALU_DEP_3)
	v_add3_u32 v41, v41, v33, 0x7fff
	v_or_b32_e32 v43, 0x400000, v32
	v_add3_u32 v40, v40, v32, 0x7fff
	s_wait_alu 0xfffd
	s_delay_alu instid0(VALU_DEP_3)
	v_cndmask_b32_e32 v33, v41, v42, vcc_lo
	v_bfe_u32 v41, v31, 16, 1
	v_cmp_u_f32_e32 vcc_lo, v32, v32
	v_bfe_u32 v42, v30, 16, 1
	s_wait_alu 0xfffd
	v_cndmask_b32_e32 v32, v40, v43, vcc_lo
	v_add3_u32 v40, v41, v31, 0x7fff
	v_or_b32_e32 v41, 0x400000, v31
	v_cmp_u_f32_e32 vcc_lo, v31, v31
	v_add3_u32 v42, v42, v30, 0x7fff
	v_and_b32_e32 v32, 0xffff0000, v32
	v_or_b32_e32 v43, 0x400000, v30
	s_wait_alu 0xfffd
	v_cndmask_b32_e32 v31, v40, v41, vcc_lo
	v_cmp_u_f32_e32 vcc_lo, v30, v30
	s_delay_alu instid0(VALU_DEP_2) | instskip(SKIP_1) | instid1(VALU_DEP_1)
	v_and_b32_e32 v31, 0xffff0000, v31
	s_wait_alu 0xfffd
	v_dual_cndmask_b32 v30, v42, v43 :: v_dual_add_f32 v31, v31, v32
	v_lshlrev_b32_e32 v32, 16, v63
	s_delay_alu instid0(VALU_DEP_1) | instskip(NEXT) | instid1(VALU_DEP_1)
	v_dual_mul_f32 v8, v8, v32 :: v_dual_lshlrev_b32 v29, 16, v29
	v_dual_mul_f32 v29, v7, v29 :: v_dual_lshlrev_b32 v32, 16, v62
	v_and_b32_e32 v35, 0xffff0000, v35
	s_delay_alu instid0(VALU_DEP_2)
	v_bfe_u32 v40, v29, 16, 1
	v_or_b32_e32 v41, 0x400000, v29
	v_cmp_u_f32_e32 vcc_lo, v29, v29
	v_mul_f32_e32 v2, v2, v32
	v_dual_add_f32 v35, v35, v36 :: v_dual_lshlrev_b32 v42, 16, v65
	v_add3_u32 v40, v40, v29, 0x7fff
	v_lshlrev_b32_e32 v32, 16, v61
	v_and_b32_e32 v33, 0xffff0000, v33
	s_delay_alu instid0(VALU_DEP_4) | instskip(SKIP_1) | instid1(VALU_DEP_3)
	v_mul_f32_e32 v5, v5, v42
	s_wait_alu 0xfffd
	v_dual_cndmask_b32 v29, v40, v41 :: v_dual_mul_f32 v6, v6, v32
	s_delay_alu instid0(VALU_DEP_3) | instskip(NEXT) | instid1(VALU_DEP_3)
	v_dual_add_f32 v33, v33, v34 :: v_dual_lshlrev_b32 v34, 16, v64
	v_cmp_u_f32_e32 vcc_lo, v5, v5
	v_lshlrev_b32_e32 v32, 16, v60
	s_delay_alu instid0(VALU_DEP_4) | instskip(NEXT) | instid1(VALU_DEP_4)
	v_or_b32_e32 v13, 0x400000, v6
	v_add_f32_e32 v33, v33, v35
	v_bfe_u32 v35, v5, 16, 1
	v_mul_f32_e32 v1, v1, v34
	s_delay_alu instid0(VALU_DEP_2) | instskip(SKIP_1) | instid1(VALU_DEP_3)
	v_add3_u32 v34, v35, v5, 0x7fff
	v_or_b32_e32 v35, 0x400000, v5
	v_bfe_u32 v36, v1, 16, 1
	s_wait_alu 0xfffd
	s_delay_alu instid0(VALU_DEP_2) | instskip(NEXT) | instid1(VALU_DEP_2)
	v_cndmask_b32_e32 v5, v34, v35, vcc_lo
	v_add3_u32 v34, v36, v1, 0x7fff
	v_or_b32_e32 v35, 0x400000, v1
	v_bfe_u32 v36, v8, 16, 1
	v_cmp_u_f32_e32 vcc_lo, v1, v1
	s_wait_alu 0xfffd
	s_delay_alu instid0(VALU_DEP_3) | instskip(NEXT) | instid1(VALU_DEP_3)
	v_cndmask_b32_e32 v1, v34, v35, vcc_lo
	v_add3_u32 v34, v36, v8, 0x7fff
	v_or_b32_e32 v35, 0x400000, v8
	v_bfe_u32 v36, v2, 16, 1
	v_cmp_u_f32_e32 vcc_lo, v8, v8
	s_wait_alu 0xfffd
	s_delay_alu instid0(VALU_DEP_3) | instskip(NEXT) | instid1(VALU_DEP_3)
	v_cndmask_b32_e32 v8, v34, v35, vcc_lo
	v_add3_u32 v34, v36, v2, 0x7fff
	v_or_b32_e32 v35, 0x400000, v2
	v_bfe_u32 v36, v6, 16, 1
	v_cmp_u_f32_e32 vcc_lo, v2, v2
	v_and_b32_e32 v29, 0xffff0000, v29
	v_dual_mul_f32 v7, v7, v14 :: v_dual_and_b32 v8, 0xffff0000, v8
	s_wait_alu 0xfffd
	v_cndmask_b32_e32 v2, v34, v35, vcc_lo
	v_add3_u32 v34, v36, v6, 0x7fff
	v_cmp_u_f32_e32 vcc_lo, v6, v6
	v_mul_f32_e32 v3, v3, v32
	v_bfe_u32 v36, v4, 16, 1
	v_bfe_u32 v35, v7, 16, 1
	v_and_b32_e32 v2, 0xffff0000, v2
	s_wait_alu 0xfffd
	v_cndmask_b32_e32 v6, v34, v13, vcc_lo
	v_bfe_u32 v32, v3, 16, 1
	v_cmp_u_f32_e32 vcc_lo, v3, v3
	v_add3_u32 v13, v35, v7, 0x7fff
	v_dual_add_f32 v2, v8, v2 :: v_dual_and_b32 v1, 0xffff0000, v1
	s_delay_alu instid0(VALU_DEP_4) | instskip(SKIP_3) | instid1(VALU_DEP_2)
	v_add3_u32 v14, v32, v3, 0x7fff
	v_or_b32_e32 v32, 0x400000, v3
	v_or_b32_e32 v34, 0x400000, v7
	s_wait_alu 0xfffd
	v_cndmask_b32_e32 v3, v14, v32, vcc_lo
	v_add3_u32 v14, v36, v4, 0x7fff
	v_or_b32_e32 v32, 0x400000, v4
	v_cmp_u_f32_e32 vcc_lo, v4, v4
	s_wait_alu 0xfffd
	s_delay_alu instid0(VALU_DEP_2) | instskip(SKIP_2) | instid1(VALU_DEP_1)
	v_dual_cndmask_b32 v4, v14, v32 :: v_dual_and_b32 v3, 0xffff0000, v3
	v_cmp_u_f32_e32 vcc_lo, v7, v7
	v_and_b32_e32 v5, 0xffff0000, v5
	v_add_f32_e32 v1, v5, v1
	v_and_b32_e32 v5, 0xffff0000, v6
	s_wait_alu 0xfffd
	v_cndmask_b32_e32 v6, v13, v34, vcc_lo
	v_and_b32_e32 v7, 0xffff0000, v30
	v_cmp_le_i32_e32 vcc_lo, s40, v18
	v_dual_add_f32 v1, v2, v1 :: v_dual_add_f32 v2, v5, v3
	v_and_b32_e32 v3, 0xffff0000, v4
	v_and_b32_e32 v4, 0xffff0000, v6
	v_add_f32_e32 v6, v31, v33
	s_or_b32 s4, vcc_lo, s4
	s_delay_alu instid0(VALU_DEP_2) | instskip(SKIP_2) | instid1(VALU_DEP_2)
	v_dual_add_f32 v1, v2, v1 :: v_dual_add_f32 v2, v4, v3
	v_add_f32_e32 v3, v48, v46
	v_add_f32_e32 v5, v37, v38
	v_dual_add_f32 v1, v2, v1 :: v_dual_add_f32 v24, v24, v3
	s_delay_alu instid0(VALU_DEP_2) | instskip(SKIP_1) | instid1(VALU_DEP_2)
	v_add_f32_e32 v4, v5, v39
	v_add_f32_e32 v7, v29, v7
	v_dual_add_f32 v21, v21, v1 :: v_dual_add_f32 v26, v26, v4
	s_delay_alu instid0(VALU_DEP_2) | instskip(NEXT) | instid1(VALU_DEP_1)
	v_add_f32_e32 v5, v7, v6
	v_add_f32_e32 v25, v25, v5
	s_wait_alu 0xfffe
	s_and_not1_b32 exec_lo, exec_lo, s4
	s_cbranch_execz .LBB343_45
.LBB343_33:                             ; =>This Inner Loop Header: Depth=1
	global_load_b32 v1, v[11:12], off
	s_wait_alu 0xfffe
	v_cmp_eq_u32_e32 vcc_lo, s48, v18
	v_add_nc_u32_e32 v46, -2, v27
	s_wait_loadcnt 0x0
	v_mad_co_i64_i32 v[13:14], null, v1, s3, v[9:10]
	global_load_b64 v[29:30], v[13:14], off
	ds_load_2addr_b64 v[5:8], v28 offset1:1
	ds_load_2addr_b64 v[1:4], v28 offset0:2 offset1:3
	s_wait_loadcnt 0x0
	v_and_b32_e32 v34, 0xff, v30
	v_bfe_u32 v35, v30, 8, 8
	v_bfe_u32 v36, v30, 16, 8
	v_lshrrev_b32_e32 v30, 24, v30
	v_bfe_u32 v32, v29, 8, 8
	v_bfe_u32 v33, v29, 16, 8
	v_cvt_f32_fp8_e32 v35, v35
	v_cvt_f32_fp8_e32 v36, v36
	;; [unrolled: 1-line block ×3, first 2 shown]
	v_and_b32_e32 v31, 0xff, v29
	v_cvt_f32_fp8_e32 v32, v32
	v_add_nc_u32_e32 v45, -7, v27
	v_lshrrev_b32_e32 v29, 24, v29
	s_wait_kmcnt 0x0
	v_mul_f32_e32 v30, s2, v30
	v_cvt_f32_fp8_e32 v31, v31
	v_cvt_f32_fp8_e32 v33, v33
	v_mul_f32_e32 v32, s2, v32
	v_add_nc_u32_e32 v50, -6, v27
	v_cvt_f32_fp8_e32 v29, v29
	v_mul_f32_e32 v31, s2, v31
	v_mul_f32_e32 v33, s2, v33
	v_bfe_u32 v39, v32, 16, 1
	s_delay_alu instid0(VALU_DEP_4) | instskip(NEXT) | instid1(VALU_DEP_4)
	v_dual_mul_f32 v29, s2, v29 :: v_dual_add_nc_u32 v48, -4, v27
	v_bfe_u32 v37, v31, 16, 1
	v_or_b32_e32 v38, 0x400000, v31
	v_cmp_u_f32_e64 s0, v31, v31
	v_cvt_f32_fp8_e32 v34, v34
	v_or_b32_e32 v40, 0x400000, v32
	v_add3_u32 v37, v37, v31, 0x7fff
	v_bfe_u32 v41, v33, 16, 1
	v_add3_u32 v39, v39, v32, 0x7fff
	v_dual_mul_f32 v34, s2, v34 :: v_dual_add_nc_u32 v49, -5, v27
	s_wait_alu 0xf1ff
	v_cndmask_b32_e64 v31, v37, v38, s0
	v_cmp_u_f32_e64 s0, v32, v32
	v_or_b32_e32 v42, 0x400000, v33
	v_bfe_u32 v43, v29, 16, 1
	v_add3_u32 v41, v41, v33, 0x7fff
	v_mul_f32_e32 v35, s2, v35
	s_wait_alu 0xf1ff
	v_cndmask_b32_e64 v32, v39, v40, s0
	v_cmp_u_f32_e64 s0, v33, v33
	v_or_b32_e32 v44, 0x400000, v29
	v_bfe_u32 v51, v34, 16, 1
	v_add3_u32 v43, v43, v29, 0x7fff
	v_dual_mul_f32 v36, s2, v36 :: v_dual_add_nc_u32 v47, -3, v27
	s_wait_alu 0xf1ff
	v_cndmask_b32_e64 v33, v41, v42, s0
	v_cmp_u_f32_e64 s0, v29, v29
	v_or_b32_e32 v52, 0x400000, v34
	v_bfe_u32 v53, v35, 16, 1
	v_add3_u32 v51, v51, v34, 0x7fff
	v_or_b32_e32 v54, 0x400000, v35
	s_wait_alu 0xf1ff
	v_cndmask_b32_e64 v29, v43, v44, s0
	v_cmp_u_f32_e64 s0, v34, v34
	v_bfe_u32 v55, v36, 16, 1
	v_add3_u32 v53, v53, v35, 0x7fff
	v_or_b32_e32 v56, 0x400000, v36
	v_bfe_u32 v57, v30, 16, 1
	s_wait_alu 0xf1ff
	v_cndmask_b32_e64 v37, v51, v52, s0
	v_cmp_u_f32_e64 s0, v35, v35
	v_add3_u32 v55, v55, v36, 0x7fff
	v_or_b32_e32 v58, 0x400000, v30
	v_add3_u32 v57, v57, v30, 0x7fff
	v_lshrrev_b32_e32 v35, 16, v31
	s_wait_alu 0xf1ff
	v_cndmask_b32_e64 v38, v53, v54, s0
	v_cmp_u_f32_e64 s0, v36, v36
	v_lshrrev_b32_e32 v36, 16, v32
	v_lshrrev_b32_e32 v33, 16, v33
	;; [unrolled: 1-line block ×4, first 2 shown]
	s_wait_alu 0xf1ff
	v_cndmask_b32_e64 v39, v55, v56, s0
	v_cmp_u_f32_e64 s0, v30, v30
	v_lshrrev_b32_e32 v32, 16, v38
	v_add_nc_u32_e32 v55, -1, v27
	s_delay_alu instid0(VALU_DEP_4) | instskip(SKIP_2) | instid1(VALU_DEP_1)
	v_lshrrev_b32_e32 v29, 16, v39
	s_wait_alu 0xf1ff
	v_cndmask_b32_e64 v30, v57, v58, s0
	v_lshrrev_b32_e32 v30, 16, v30
	s_and_saveexec_b32 s5, vcc_lo
	s_cbranch_execz .LBB343_35
; %bb.34:                               ;   in Loop: Header=BB343_33 Depth=1
	v_cmp_gt_i32_e64 s0, s50, v45
	s_wait_alu 0xf1ff
	s_delay_alu instid0(VALU_DEP_1) | instskip(SKIP_2) | instid1(VALU_DEP_1)
	v_cndmask_b32_e64 v35, 0, v35, s0
	v_cmp_gt_i32_e64 s0, s50, v50
	s_wait_alu 0xf1ff
	v_cndmask_b32_e64 v36, 0, v36, s0
	v_cmp_gt_i32_e64 s0, s50, v49
	s_wait_alu 0xf1ff
	s_delay_alu instid0(VALU_DEP_1) | instskip(SKIP_2) | instid1(VALU_DEP_1)
	v_cndmask_b32_e64 v33, 0, v33, s0
	v_cmp_gt_i32_e64 s0, s50, v48
	s_wait_alu 0xf1ff
	v_cndmask_b32_e64 v34, 0, v34, s0
	;; [unrolled: 7-line block ×4, first 2 shown]
.LBB343_35:                             ;   in Loop: Header=BB343_33 Depth=1
	s_wait_alu 0xfffe
	s_or_b32 exec_lo, exec_lo, s5
	global_load_b64 v[37:38], v[13:14], off offset:256
	s_wait_loadcnt 0x0
	v_bfe_u32 v40, v37, 8, 8
	v_bfe_u32 v41, v37, 16, 8
	;; [unrolled: 1-line block ×4, first 2 shown]
	s_delay_alu instid0(VALU_DEP_4)
	v_cvt_f32_fp8_e32 v40, v40
	v_and_b32_e32 v39, 0xff, v37
	v_lshrrev_b32_e32 v37, 24, v37
	v_cvt_f32_fp8_e32 v41, v41
	v_cvt_f32_fp8_e32 v44, v44
	v_mul_f32_e32 v40, s2, v40
	v_cvt_f32_fp8_e32 v39, v39
	v_and_b32_e32 v42, 0xff, v38
	v_cvt_f32_fp8_e32 v37, v37
	v_lshrrev_b32_e32 v38, 24, v38
	v_bfe_u32 v53, v40, 16, 1
	v_mul_f32_e32 v39, s2, v39
	v_cvt_f32_fp8_e32 v42, v42
	v_mul_f32_e32 v41, s2, v41
	v_dual_mul_f32 v37, s2, v37 :: v_dual_mul_f32 v44, s2, v44
	s_delay_alu instid0(VALU_DEP_4)
	v_bfe_u32 v51, v39, 16, 1
	v_or_b32_e32 v52, 0x400000, v39
	v_cmp_u_f32_e64 s0, v39, v39
	v_mul_f32_e32 v42, s2, v42
	v_or_b32_e32 v54, 0x400000, v40
	v_add3_u32 v51, v51, v39, 0x7fff
	v_bfe_u32 v56, v41, 16, 1
	v_add3_u32 v53, v53, v40, 0x7fff
	v_cvt_f32_fp8_e32 v43, v43
	v_or_b32_e32 v57, 0x400000, v41
	s_wait_alu 0xf1ff
	v_cndmask_b32_e64 v39, v51, v52, s0
	v_cmp_u_f32_e64 s0, v40, v40
	v_bfe_u32 v58, v37, 16, 1
	v_add3_u32 v56, v56, v41, 0x7fff
	v_cvt_f32_fp8_e32 v38, v38
	v_mul_f32_e32 v43, s2, v43
	s_wait_alu 0xf1ff
	v_cndmask_b32_e64 v40, v53, v54, s0
	v_cmp_u_f32_e64 s0, v41, v41
	v_or_b32_e32 v59, 0x400000, v37
	v_bfe_u32 v60, v42, 16, 1
	v_add3_u32 v58, v58, v37, 0x7fff
	v_mul_f32_e32 v38, s2, v38
	s_wait_alu 0xf1ff
	v_cndmask_b32_e64 v41, v56, v57, s0
	v_cmp_u_f32_e64 s0, v37, v37
	v_or_b32_e32 v61, 0x400000, v42
	v_bfe_u32 v62, v43, 16, 1
	v_add3_u32 v60, v60, v42, 0x7fff
	v_or_b32_e32 v63, 0x400000, v43
	s_wait_alu 0xf1ff
	v_cndmask_b32_e64 v37, v58, v59, s0
	v_cmp_u_f32_e64 s0, v42, v42
	v_bfe_u32 v64, v44, 16, 1
	v_add3_u32 v62, v62, v43, 0x7fff
	v_or_b32_e32 v65, 0x400000, v44
	v_bfe_u32 v66, v38, 16, 1
	s_wait_alu 0xf1ff
	v_cndmask_b32_e64 v51, v60, v61, s0
	v_cmp_u_f32_e64 s0, v43, v43
	v_add3_u32 v64, v64, v44, 0x7fff
	v_or_b32_e32 v67, 0x400000, v38
	v_add3_u32 v66, v66, v38, 0x7fff
	v_lshrrev_b32_e32 v43, 16, v39
	s_wait_alu 0xf1ff
	v_cndmask_b32_e64 v52, v62, v63, s0
	v_cmp_u_f32_e64 s0, v44, v44
	v_lshrrev_b32_e32 v44, 16, v40
	v_lshrrev_b32_e32 v41, 16, v41
	;; [unrolled: 1-line block ×4, first 2 shown]
	s_wait_alu 0xf1ff
	v_cndmask_b32_e64 v53, v64, v65, s0
	v_cmp_u_f32_e64 s0, v38, v38
	v_lshrrev_b32_e32 v40, 16, v52
	s_delay_alu instid0(VALU_DEP_3) | instskip(SKIP_1) | instid1(VALU_DEP_3)
	v_lshrrev_b32_e32 v37, 16, v53
	s_wait_alu 0xf1ff
	v_cndmask_b32_e64 v38, v66, v67, s0
	s_delay_alu instid0(VALU_DEP_1)
	v_lshrrev_b32_e32 v38, 16, v38
	s_and_saveexec_b32 s5, vcc_lo
	s_cbranch_execz .LBB343_37
; %bb.36:                               ;   in Loop: Header=BB343_33 Depth=1
	v_cmp_gt_i32_e64 s0, s50, v45
	s_wait_alu 0xf1ff
	s_delay_alu instid0(VALU_DEP_1) | instskip(SKIP_2) | instid1(VALU_DEP_1)
	v_cndmask_b32_e64 v43, 0, v43, s0
	v_cmp_gt_i32_e64 s0, s50, v50
	s_wait_alu 0xf1ff
	v_cndmask_b32_e64 v44, 0, v44, s0
	v_cmp_gt_i32_e64 s0, s50, v49
	s_wait_alu 0xf1ff
	s_delay_alu instid0(VALU_DEP_1) | instskip(SKIP_2) | instid1(VALU_DEP_1)
	v_cndmask_b32_e64 v41, 0, v41, s0
	v_cmp_gt_i32_e64 s0, s50, v48
	s_wait_alu 0xf1ff
	v_cndmask_b32_e64 v42, 0, v42, s0
	;; [unrolled: 7-line block ×4, first 2 shown]
.LBB343_37:                             ;   in Loop: Header=BB343_33 Depth=1
	s_wait_alu 0xfffe
	s_or_b32 exec_lo, exec_lo, s5
	global_load_b64 v[51:52], v[13:14], off offset:512
	s_wait_loadcnt 0x0
	v_bfe_u32 v54, v51, 8, 8
	v_bfe_u32 v56, v51, 16, 8
	;; [unrolled: 1-line block ×4, first 2 shown]
	s_delay_alu instid0(VALU_DEP_4)
	v_cvt_f32_fp8_e32 v54, v54
	v_and_b32_e32 v53, 0xff, v51
	v_cvt_f32_fp8_e32 v56, v56
	v_lshrrev_b32_e32 v51, 24, v51
	v_cvt_f32_fp8_e32 v58, v58
	v_mul_f32_e32 v54, s2, v54
	v_cvt_f32_fp8_e32 v53, v53
	v_and_b32_e32 v57, 0xff, v52
	v_lshrrev_b32_e32 v52, 24, v52
	v_cvt_f32_fp8_e32 v51, v51
	s_delay_alu instid0(VALU_DEP_4) | instskip(SKIP_1) | instid1(VALU_DEP_4)
	v_dual_mul_f32 v56, s2, v56 :: v_dual_mul_f32 v53, s2, v53
	v_bfe_u32 v62, v54, 16, 1
	v_cvt_f32_fp8_e32 v52, v52
	s_delay_alu instid0(VALU_DEP_4) | instskip(NEXT) | instid1(VALU_DEP_4)
	v_dual_mul_f32 v51, s2, v51 :: v_dual_mul_f32 v58, s2, v58
	v_bfe_u32 v60, v53, 16, 1
	v_or_b32_e32 v61, 0x400000, v53
	v_cmp_u_f32_e64 s0, v53, v53
	v_cvt_f32_fp8_e32 v57, v57
	v_or_b32_e32 v63, 0x400000, v54
	v_add3_u32 v60, v60, v53, 0x7fff
	v_bfe_u32 v64, v56, 16, 1
	v_add3_u32 v62, v62, v54, 0x7fff
	v_dual_mul_f32 v57, s2, v57 :: v_dual_mul_f32 v52, s2, v52
	s_wait_alu 0xf1ff
	v_cndmask_b32_e64 v53, v60, v61, s0
	v_cmp_u_f32_e64 s0, v54, v54
	v_or_b32_e32 v65, 0x400000, v56
	v_bfe_u32 v66, v51, 16, 1
	v_add3_u32 v64, v64, v56, 0x7fff
	v_cvt_f32_fp8_e32 v59, v59
	s_wait_alu 0xf1ff
	v_cndmask_b32_e64 v54, v62, v63, s0
	v_cmp_u_f32_e64 s0, v56, v56
	v_or_b32_e32 v67, 0x400000, v51
	v_bfe_u32 v68, v57, 16, 1
	v_add3_u32 v66, v66, v51, 0x7fff
	v_mul_f32_e32 v59, s2, v59
	s_wait_alu 0xf1ff
	v_cndmask_b32_e64 v56, v64, v65, s0
	v_cmp_u_f32_e64 s0, v51, v51
	v_or_b32_e32 v69, 0x400000, v57
	v_bfe_u32 v70, v58, 16, 1
	v_add3_u32 v68, v68, v57, 0x7fff
	v_or_b32_e32 v71, 0x400000, v58
	s_wait_alu 0xf1ff
	v_cndmask_b32_e64 v51, v66, v67, s0
	v_cmp_u_f32_e64 s0, v57, v57
	v_bfe_u32 v72, v59, 16, 1
	v_add3_u32 v70, v70, v58, 0x7fff
	v_or_b32_e32 v73, 0x400000, v59
	v_bfe_u32 v74, v52, 16, 1
	s_wait_alu 0xf1ff
	v_cndmask_b32_e64 v60, v68, v69, s0
	v_cmp_u_f32_e64 s0, v58, v58
	v_add3_u32 v72, v72, v59, 0x7fff
	v_or_b32_e32 v75, 0x400000, v52
	v_add3_u32 v74, v74, v52, 0x7fff
	v_lshrrev_b32_e32 v58, 16, v53
	s_wait_alu 0xf1ff
	v_cndmask_b32_e64 v61, v70, v71, s0
	v_cmp_u_f32_e64 s0, v59, v59
	v_lshrrev_b32_e32 v59, 16, v54
	v_lshrrev_b32_e32 v56, 16, v56
	v_lshrrev_b32_e32 v57, 16, v51
	v_lshrrev_b32_e32 v53, 16, v60
	s_wait_alu 0xf1ff
	v_cndmask_b32_e64 v62, v72, v73, s0
	v_cmp_u_f32_e64 s0, v52, v52
	v_lshrrev_b32_e32 v54, 16, v61
	s_delay_alu instid0(VALU_DEP_3) | instskip(SKIP_1) | instid1(VALU_DEP_3)
	v_lshrrev_b32_e32 v51, 16, v62
	s_wait_alu 0xf1ff
	v_cndmask_b32_e64 v52, v74, v75, s0
	s_delay_alu instid0(VALU_DEP_1)
	v_lshrrev_b32_e32 v52, 16, v52
	s_and_saveexec_b32 s5, vcc_lo
	s_cbranch_execz .LBB343_39
; %bb.38:                               ;   in Loop: Header=BB343_33 Depth=1
	v_cmp_gt_i32_e64 s0, s50, v45
	s_wait_alu 0xf1ff
	s_delay_alu instid0(VALU_DEP_1) | instskip(SKIP_2) | instid1(VALU_DEP_1)
	v_cndmask_b32_e64 v58, 0, v58, s0
	v_cmp_gt_i32_e64 s0, s50, v50
	s_wait_alu 0xf1ff
	v_cndmask_b32_e64 v59, 0, v59, s0
	v_cmp_gt_i32_e64 s0, s50, v49
	s_wait_alu 0xf1ff
	s_delay_alu instid0(VALU_DEP_1) | instskip(SKIP_2) | instid1(VALU_DEP_1)
	v_cndmask_b32_e64 v56, 0, v56, s0
	v_cmp_gt_i32_e64 s0, s50, v48
	s_wait_alu 0xf1ff
	v_cndmask_b32_e64 v57, 0, v57, s0
	;; [unrolled: 7-line block ×4, first 2 shown]
.LBB343_39:                             ;   in Loop: Header=BB343_33 Depth=1
	s_wait_alu 0xfffe
	s_or_b32 exec_lo, exec_lo, s5
	global_load_b64 v[60:61], v[13:14], off offset:768
	s_wait_loadcnt 0x0
	v_bfe_u32 v63, v60, 8, 8
	v_bfe_u32 v64, v60, 16, 8
	;; [unrolled: 1-line block ×4, first 2 shown]
	s_delay_alu instid0(VALU_DEP_4)
	v_cvt_f32_fp8_e32 v63, v63
	v_and_b32_e32 v62, 0xff, v60
	v_lshrrev_b32_e32 v60, 24, v60
	v_cvt_f32_fp8_e32 v64, v64
	v_cvt_f32_fp8_e32 v67, v67
	v_mul_f32_e32 v63, s2, v63
	v_cvt_f32_fp8_e32 v62, v62
	v_and_b32_e32 v65, 0xff, v61
	v_cvt_f32_fp8_e32 v60, v60
	v_lshrrev_b32_e32 v61, 24, v61
	v_bfe_u32 v70, v63, 16, 1
	v_mul_f32_e32 v62, s2, v62
	v_cvt_f32_fp8_e32 v65, v65
	v_mul_f32_e32 v64, s2, v64
	v_dual_mul_f32 v60, s2, v60 :: v_dual_mul_f32 v67, s2, v67
	s_delay_alu instid0(VALU_DEP_4)
	v_bfe_u32 v68, v62, 16, 1
	v_or_b32_e32 v69, 0x400000, v62
	v_cmp_u_f32_e64 s0, v62, v62
	v_mul_f32_e32 v65, s2, v65
	v_or_b32_e32 v71, 0x400000, v63
	v_add3_u32 v68, v68, v62, 0x7fff
	v_bfe_u32 v72, v64, 16, 1
	v_add3_u32 v70, v70, v63, 0x7fff
	v_cvt_f32_fp8_e32 v66, v66
	v_or_b32_e32 v73, 0x400000, v64
	s_wait_alu 0xf1ff
	v_cndmask_b32_e64 v62, v68, v69, s0
	v_cmp_u_f32_e64 s0, v63, v63
	v_bfe_u32 v74, v60, 16, 1
	v_add3_u32 v72, v72, v64, 0x7fff
	v_cvt_f32_fp8_e32 v61, v61
	v_mul_f32_e32 v66, s2, v66
	s_wait_alu 0xf1ff
	v_cndmask_b32_e64 v63, v70, v71, s0
	v_cmp_u_f32_e64 s0, v64, v64
	v_or_b32_e32 v75, 0x400000, v60
	v_bfe_u32 v76, v65, 16, 1
	v_add3_u32 v74, v74, v60, 0x7fff
	v_mul_f32_e32 v61, s2, v61
	s_wait_alu 0xf1ff
	v_cndmask_b32_e64 v64, v72, v73, s0
	v_cmp_u_f32_e64 s0, v60, v60
	v_or_b32_e32 v77, 0x400000, v65
	v_bfe_u32 v78, v66, 16, 1
	v_add3_u32 v76, v76, v65, 0x7fff
	v_or_b32_e32 v79, 0x400000, v66
	s_wait_alu 0xf1ff
	v_cndmask_b32_e64 v60, v74, v75, s0
	v_cmp_u_f32_e64 s0, v65, v65
	v_bfe_u32 v80, v67, 16, 1
	v_add3_u32 v78, v78, v66, 0x7fff
	v_or_b32_e32 v81, 0x400000, v67
	v_bfe_u32 v82, v61, 16, 1
	s_wait_alu 0xf1ff
	v_cndmask_b32_e64 v65, v76, v77, s0
	v_cmp_u_f32_e64 s0, v66, v66
	v_add3_u32 v80, v80, v67, 0x7fff
	v_or_b32_e32 v83, 0x400000, v61
	v_add3_u32 v82, v82, v61, 0x7fff
	v_lshrrev_b32_e32 v72, 16, v62
	s_wait_alu 0xf1ff
	v_cndmask_b32_e64 v66, v78, v79, s0
	v_cmp_u_f32_e64 s0, v67, v67
	v_lshrrev_b32_e32 v73, 16, v63
	v_lshrrev_b32_e32 v70, 16, v64
	;; [unrolled: 1-line block ×4, first 2 shown]
	s_wait_alu 0xf1ff
	v_cndmask_b32_e64 v67, v80, v81, s0
	v_cmp_u_f32_e64 s0, v61, v61
	v_lshrrev_b32_e32 v69, 16, v66
	s_delay_alu instid0(VALU_DEP_3) | instskip(SKIP_1) | instid1(VALU_DEP_3)
	v_lshrrev_b32_e32 v66, 16, v67
	s_wait_alu 0xf1ff
	v_cndmask_b32_e64 v61, v82, v83, s0
	s_delay_alu instid0(VALU_DEP_1)
	v_lshrrev_b32_e32 v67, 16, v61
	s_and_saveexec_b32 s5, vcc_lo
	s_cbranch_execz .LBB343_41
; %bb.40:                               ;   in Loop: Header=BB343_33 Depth=1
	v_cmp_gt_i32_e64 s0, s50, v45
	s_wait_alu 0xf1ff
	s_delay_alu instid0(VALU_DEP_1) | instskip(SKIP_2) | instid1(VALU_DEP_1)
	v_cndmask_b32_e64 v72, 0, v72, s0
	v_cmp_gt_i32_e64 s0, s50, v50
	s_wait_alu 0xf1ff
	v_cndmask_b32_e64 v73, 0, v73, s0
	v_cmp_gt_i32_e64 s0, s50, v49
	s_wait_alu 0xf1ff
	s_delay_alu instid0(VALU_DEP_1) | instskip(SKIP_2) | instid1(VALU_DEP_1)
	v_cndmask_b32_e64 v70, 0, v70, s0
	v_cmp_gt_i32_e64 s0, s50, v48
	s_wait_alu 0xf1ff
	v_cndmask_b32_e64 v71, 0, v71, s0
	;; [unrolled: 7-line block ×4, first 2 shown]
.LBB343_41:                             ;   in Loop: Header=BB343_33 Depth=1
	s_wait_alu 0xfffe
	s_or_b32 exec_lo, exec_lo, s5
	global_load_b64 v[60:61], v[13:14], off offset:1024
	s_wait_loadcnt 0x0
	v_bfe_u32 v63, v60, 8, 8
	v_bfe_u32 v64, v60, 16, 8
	;; [unrolled: 1-line block ×4, first 2 shown]
	s_delay_alu instid0(VALU_DEP_4)
	v_cvt_f32_fp8_e32 v63, v63
	v_and_b32_e32 v62, 0xff, v60
	v_lshrrev_b32_e32 v60, 24, v60
	v_cvt_f32_fp8_e32 v64, v64
	v_cvt_f32_fp8_e32 v75, v75
	v_mul_f32_e32 v63, s2, v63
	v_cvt_f32_fp8_e32 v62, v62
	v_and_b32_e32 v65, 0xff, v61
	v_cvt_f32_fp8_e32 v60, v60
	v_lshrrev_b32_e32 v61, 24, v61
	v_bfe_u32 v78, v63, 16, 1
	v_mul_f32_e32 v62, s2, v62
	v_cvt_f32_fp8_e32 v65, v65
	v_mul_f32_e32 v64, s2, v64
	v_dual_mul_f32 v60, s2, v60 :: v_dual_mul_f32 v75, s2, v75
	s_delay_alu instid0(VALU_DEP_4)
	v_bfe_u32 v76, v62, 16, 1
	v_or_b32_e32 v77, 0x400000, v62
	v_cmp_u_f32_e64 s0, v62, v62
	v_mul_f32_e32 v65, s2, v65
	v_or_b32_e32 v79, 0x400000, v63
	v_add3_u32 v76, v76, v62, 0x7fff
	v_bfe_u32 v80, v64, 16, 1
	v_add3_u32 v78, v78, v63, 0x7fff
	v_cvt_f32_fp8_e32 v74, v74
	v_or_b32_e32 v81, 0x400000, v64
	s_wait_alu 0xf1ff
	v_cndmask_b32_e64 v62, v76, v77, s0
	v_cmp_u_f32_e64 s0, v63, v63
	v_bfe_u32 v82, v60, 16, 1
	v_add3_u32 v80, v80, v64, 0x7fff
	v_cvt_f32_fp8_e32 v61, v61
	v_mul_f32_e32 v74, s2, v74
	s_wait_alu 0xf1ff
	v_cndmask_b32_e64 v63, v78, v79, s0
	v_cmp_u_f32_e64 s0, v64, v64
	v_or_b32_e32 v83, 0x400000, v60
	v_bfe_u32 v84, v65, 16, 1
	v_add3_u32 v82, v82, v60, 0x7fff
	v_mul_f32_e32 v61, s2, v61
	s_wait_alu 0xf1ff
	v_cndmask_b32_e64 v64, v80, v81, s0
	v_cmp_u_f32_e64 s0, v60, v60
	v_or_b32_e32 v85, 0x400000, v65
	v_bfe_u32 v86, v74, 16, 1
	v_add3_u32 v84, v84, v65, 0x7fff
	v_or_b32_e32 v87, 0x400000, v74
	s_wait_alu 0xf1ff
	v_cndmask_b32_e64 v60, v82, v83, s0
	v_cmp_u_f32_e64 s0, v65, v65
	v_bfe_u32 v88, v75, 16, 1
	v_add3_u32 v86, v86, v74, 0x7fff
	v_or_b32_e32 v89, 0x400000, v75
	v_bfe_u32 v90, v61, 16, 1
	s_wait_alu 0xf1ff
	v_cndmask_b32_e64 v65, v84, v85, s0
	v_cmp_u_f32_e64 s0, v74, v74
	v_add3_u32 v88, v88, v75, 0x7fff
	v_or_b32_e32 v91, 0x400000, v61
	v_add3_u32 v90, v90, v61, 0x7fff
	v_lshrrev_b32_e32 v80, 16, v62
	s_wait_alu 0xf1ff
	v_cndmask_b32_e64 v74, v86, v87, s0
	v_cmp_u_f32_e64 s0, v75, v75
	v_lshrrev_b32_e32 v81, 16, v63
	v_lshrrev_b32_e32 v78, 16, v64
	;; [unrolled: 1-line block ×4, first 2 shown]
	s_wait_alu 0xf1ff
	v_cndmask_b32_e64 v75, v88, v89, s0
	v_cmp_u_f32_e64 s0, v61, v61
	v_lshrrev_b32_e32 v77, 16, v74
	s_delay_alu instid0(VALU_DEP_3) | instskip(SKIP_1) | instid1(VALU_DEP_3)
	v_lshrrev_b32_e32 v74, 16, v75
	s_wait_alu 0xf1ff
	v_cndmask_b32_e64 v61, v90, v91, s0
	s_delay_alu instid0(VALU_DEP_1)
	v_lshrrev_b32_e32 v75, 16, v61
	s_and_saveexec_b32 s5, vcc_lo
	s_cbranch_execz .LBB343_43
; %bb.42:                               ;   in Loop: Header=BB343_33 Depth=1
	v_cmp_gt_i32_e64 s0, s50, v45
	s_wait_alu 0xf1ff
	s_delay_alu instid0(VALU_DEP_1) | instskip(SKIP_2) | instid1(VALU_DEP_1)
	v_cndmask_b32_e64 v80, 0, v80, s0
	v_cmp_gt_i32_e64 s0, s50, v50
	s_wait_alu 0xf1ff
	v_cndmask_b32_e64 v81, 0, v81, s0
	v_cmp_gt_i32_e64 s0, s50, v49
	s_wait_alu 0xf1ff
	s_delay_alu instid0(VALU_DEP_1) | instskip(SKIP_2) | instid1(VALU_DEP_1)
	v_cndmask_b32_e64 v78, 0, v78, s0
	v_cmp_gt_i32_e64 s0, s50, v48
	s_wait_alu 0xf1ff
	v_cndmask_b32_e64 v79, 0, v79, s0
	;; [unrolled: 7-line block ×4, first 2 shown]
.LBB343_43:                             ;   in Loop: Header=BB343_33 Depth=1
	s_wait_alu 0xfffe
	s_or_b32 exec_lo, exec_lo, s5
	global_load_b64 v[13:14], v[13:14], off offset:1280
	s_wait_loadcnt 0x0
	v_and_b32_e32 v63, 0xff, v14
	v_bfe_u32 v61, v13, 8, 8
	v_bfe_u32 v62, v13, 16, 8
	;; [unrolled: 1-line block ×4, first 2 shown]
	v_cvt_f32_fp8_e32 v63, v63
	v_and_b32_e32 v60, 0xff, v13
	v_cvt_f32_fp8_e32 v61, v61
	v_lshrrev_b32_e32 v13, 24, v13
	v_cvt_f32_fp8_e32 v62, v62
	v_mul_f32_e32 v63, s2, v63
	v_cvt_f32_fp8_e32 v60, v60
	v_mul_f32_e32 v61, s2, v61
	;; [unrolled: 2-line block ×4, first 2 shown]
	v_bfe_u32 v84, v61, 16, 1
	v_mul_f32_e32 v13, s2, v13
	v_or_b32_e32 v85, 0x400000, v61
	v_bfe_u32 v86, v62, 16, 1
	v_bfe_u32 v82, v60, 16, 1
	v_or_b32_e32 v83, 0x400000, v60
	v_cmp_u_f32_e64 s0, v60, v60
	v_add3_u32 v84, v84, v61, 0x7fff
	v_mul_f32_e32 v64, s2, v64
	v_add3_u32 v82, v82, v60, 0x7fff
	v_or_b32_e32 v87, 0x400000, v62
	v_bfe_u32 v88, v13, 16, 1
	v_add3_u32 v86, v86, v62, 0x7fff
	v_lshrrev_b32_e32 v14, 24, v14
	s_wait_alu 0xf1ff
	v_cndmask_b32_e64 v60, v82, v83, s0
	v_cmp_u_f32_e64 s0, v61, v61
	v_cvt_f32_fp8_e32 v65, v65
	v_or_b32_e32 v89, 0x400000, v13
	v_bfe_u32 v90, v63, 16, 1
	v_add3_u32 v88, v88, v13, 0x7fff
	s_wait_alu 0xf1ff
	v_cndmask_b32_e64 v61, v84, v85, s0
	v_cmp_u_f32_e64 s0, v62, v62
	v_cvt_f32_fp8_e32 v14, v14
	v_mul_f32_e32 v65, s2, v65
	v_or_b32_e32 v91, 0x400000, v63
	v_bfe_u32 v92, v64, 16, 1
	s_wait_alu 0xf1ff
	v_cndmask_b32_e64 v62, v86, v87, s0
	v_cmp_u_f32_e64 s0, v13, v13
	v_add3_u32 v90, v90, v63, 0x7fff
	v_mul_f32_e32 v14, s2, v14
	v_or_b32_e32 v93, 0x400000, v64
	v_bfe_u32 v94, v65, 16, 1
	s_wait_alu 0xf1ff
	v_cndmask_b32_e64 v13, v88, v89, s0
	v_cmp_u_f32_e64 s0, v63, v63
	v_add3_u32 v92, v92, v64, 0x7fff
	v_or_b32_e32 v95, 0x400000, v65
	v_bfe_u32 v96, v14, 16, 1
	v_add3_u32 v94, v94, v65, 0x7fff
	s_wait_alu 0xf1ff
	v_cndmask_b32_e64 v82, v90, v91, s0
	v_cmp_u_f32_e64 s0, v64, v64
	v_or_b32_e32 v97, 0x400000, v14
	v_add3_u32 v96, v96, v14, 0x7fff
	v_lshrrev_b32_e32 v64, 16, v61
	v_lshrrev_b32_e32 v63, 16, v62
	s_wait_alu 0xf1ff
	v_cndmask_b32_e64 v83, v92, v93, s0
	v_cmp_u_f32_e64 s0, v65, v65
	v_lshrrev_b32_e32 v65, 16, v60
	v_lshrrev_b32_e32 v62, 16, v13
	;; [unrolled: 1-line block ×4, first 2 shown]
	s_wait_alu 0xf1ff
	v_cndmask_b32_e64 v84, v94, v95, s0
	v_cmp_u_f32_e64 s0, v14, v14
	s_delay_alu instid0(VALU_DEP_2) | instskip(SKIP_1) | instid1(VALU_DEP_2)
	v_lshrrev_b32_e32 v14, 16, v84
	s_wait_alu 0xf1ff
	v_cndmask_b32_e64 v85, v96, v97, s0
	s_delay_alu instid0(VALU_DEP_1)
	v_lshrrev_b32_e32 v13, 16, v85
	s_and_saveexec_b32 s0, vcc_lo
	s_cbranch_execz .LBB343_32
; %bb.44:                               ;   in Loop: Header=BB343_33 Depth=1
	v_cmp_gt_i32_e32 vcc_lo, s50, v45
	s_wait_alu 0xfffd
	v_cndmask_b32_e32 v65, 0, v65, vcc_lo
	v_cmp_gt_i32_e32 vcc_lo, s50, v50
	s_wait_alu 0xfffd
	v_cndmask_b32_e32 v64, 0, v64, vcc_lo
	;; [unrolled: 3-line block ×8, first 2 shown]
	s_branch .LBB343_32
.LBB343_45:
	s_or_b32 exec_lo, exec_lo, s4
.LBB343_46:
	s_wait_alu 0xfffe
	s_or_b32 exec_lo, exec_lo, s1
	ds_bpermute_b32 v1, v20, v25
	ds_bpermute_b32 v2, v20, v26
	;; [unrolled: 1-line block ×6, first 2 shown]
	v_lshrrev_b32_e32 v7, 1, v19
	v_mul_u32_u24_e32 v9, 0x180, v17
	v_and_b32_e32 v13, 0x3c1, v0
	s_mov_b32 s0, exec_lo
	s_wait_storecnt 0x0
	s_wait_loadcnt_dscnt 0x0
	v_lshl_add_u32 v8, v7, 2, 0xe0
	s_barrier_signal -1
	s_barrier_wait -1
	global_inv scope:SCOPE_SE
	v_dual_add_f32 v6, v25, v1 :: v_dual_add_f32 v5, v26, v2
	v_dual_add_f32 v4, v24, v3 :: v_dual_add_f32 v3, v23, v10
	;; [unrolled: 1-line block ×3, first 2 shown]
	v_cmpx_eq_u32_e32 64, v13
	s_cbranch_execz .LBB343_48
; %bb.47:
	v_add_nc_u32_e32 v10, v8, v9
	s_delay_alu instid0(VALU_DEP_1)
	v_add_nc_u32_e32 v11, 0xfffffd00, v10
	v_add_nc_u32_e32 v12, 0xfffffd40, v10
	;; [unrolled: 1-line block ×6, first 2 shown]
	ds_store_b32 v11, v6
	ds_store_b32 v12, v5
	;; [unrolled: 1-line block ×6, first 2 shown]
.LBB343_48:
	s_wait_alu 0xfffe
	s_or_b32 exec_lo, exec_lo, s0
	v_lshlrev_b32_e32 v7, 2, v7
	s_mov_b32 s1, exec_lo
	v_cmp_eq_u32_e32 vcc_lo, 0, v16
	s_wait_loadcnt_dscnt 0x0
	s_barrier_signal -1
	v_add3_u32 v7, 0xe0, v9, v7
	s_barrier_wait -1
	global_inv scope:SCOPE_SE
	v_cmpx_gt_u32_e32 64, v0
	s_cbranch_execz .LBB343_57
; %bb.49:
	s_and_saveexec_b32 s0, vcc_lo
	s_cbranch_execnz .LBB343_71
; %bb.50:
	s_wait_alu 0xfffe
	s_or_b32 exec_lo, exec_lo, s0
	s_and_saveexec_b32 s0, vcc_lo
	s_cbranch_execnz .LBB343_72
.LBB343_51:
	s_wait_alu 0xfffe
	s_or_b32 exec_lo, exec_lo, s0
	s_and_saveexec_b32 s0, vcc_lo
	s_cbranch_execnz .LBB343_73
.LBB343_52:
	s_wait_alu 0xfffe
	s_or_b32 exec_lo, exec_lo, s0
	s_and_saveexec_b32 s0, vcc_lo
	s_cbranch_execnz .LBB343_74
.LBB343_53:
	s_wait_alu 0xfffe
	s_or_b32 exec_lo, exec_lo, s0
	s_and_saveexec_b32 s0, vcc_lo
	s_cbranch_execnz .LBB343_75
.LBB343_54:
	s_wait_alu 0xfffe
	s_or_b32 exec_lo, exec_lo, s0
	s_and_saveexec_b32 s0, vcc_lo
	s_cbranch_execz .LBB343_56
.LBB343_55:
	ds_load_b32 v9, v7 offset:320
	s_wait_dscnt 0x0
	v_add_f32_e32 v1, v1, v9
.LBB343_56:
	s_wait_alu 0xfffe
	s_or_b32 exec_lo, exec_lo, s0
.LBB343_57:
	s_wait_alu 0xfffe
	s_or_b32 exec_lo, exec_lo, s1
	v_and_b32_e32 v9, 0x3e1, v0
	s_mov_b32 s1, exec_lo
	s_wait_loadcnt 0x0
	s_barrier_signal -1
	s_barrier_wait -1
	global_inv scope:SCOPE_SE
	v_cmpx_eq_u32_e32 32, v9
	s_cbranch_execz .LBB343_59
; %bb.58:
	ds_store_2addr_b32 v8, v6, v5 offset1:16
	ds_store_2addr_b32 v8, v4, v3 offset0:32 offset1:48
	ds_store_2addr_b32 v8, v2, v1 offset0:64 offset1:80
.LBB343_59:
	s_wait_alu 0xfffe
	s_or_b32 exec_lo, exec_lo, s1
	s_delay_alu instid0(SALU_CYCLE_1)
	s_mov_b32 s1, exec_lo
	s_wait_loadcnt_dscnt 0x0
	s_barrier_signal -1
	s_barrier_wait -1
	global_inv scope:SCOPE_SE
	v_cmpx_gt_u32_e32 32, v0
	s_cbranch_execz .LBB343_68
; %bb.60:
	s_and_saveexec_b32 s0, vcc_lo
	s_cbranch_execnz .LBB343_76
; %bb.61:
	s_wait_alu 0xfffe
	s_or_b32 exec_lo, exec_lo, s0
	s_and_saveexec_b32 s0, vcc_lo
	s_cbranch_execnz .LBB343_77
.LBB343_62:
	s_wait_alu 0xfffe
	s_or_b32 exec_lo, exec_lo, s0
	s_and_saveexec_b32 s0, vcc_lo
	s_cbranch_execnz .LBB343_78
.LBB343_63:
	s_wait_alu 0xfffe
	s_or_b32 exec_lo, exec_lo, s0
	s_and_saveexec_b32 s0, vcc_lo
	s_cbranch_execnz .LBB343_79
.LBB343_64:
	s_wait_alu 0xfffe
	s_or_b32 exec_lo, exec_lo, s0
	s_and_saveexec_b32 s0, vcc_lo
	s_cbranch_execnz .LBB343_80
.LBB343_65:
	s_wait_alu 0xfffe
	s_or_b32 exec_lo, exec_lo, s0
	s_and_saveexec_b32 s0, vcc_lo
	s_cbranch_execz .LBB343_67
.LBB343_66:
	ds_load_b32 v0, v7 offset:320
	s_wait_dscnt 0x0
	v_add_f32_e32 v1, v1, v0
.LBB343_67:
	s_wait_alu 0xfffe
	s_or_b32 exec_lo, exec_lo, s0
.LBB343_68:
	s_wait_alu 0xfffe
	s_or_b32 exec_lo, exec_lo, s1
	s_mov_b32 s1, 0
	s_wait_loadcnt 0x0
	s_barrier_signal -1
	s_barrier_wait -1
	global_inv scope:SCOPE_SE
	s_mov_b32 s0, exec_lo
	v_cmpx_eq_u32_e32 0, v9
	s_cbranch_execz .LBB343_70
; %bb.69:
	v_bfe_u32 v0, v6, 16, 1
	v_bfe_u32 v7, v5, 16, 1
	v_or_b32_e32 v9, 0x400000, v6
	v_cmp_u_f32_e32 vcc_lo, v6, v6
	v_bfe_u32 v10, v4, 16, 1
	v_add3_u32 v0, v0, v6, 0x7fff
	v_add3_u32 v7, v7, v5, 0x7fff
	v_or_b32_e32 v11, 0x400000, v5
	s_mul_i32 s2, s10, 0x60
	v_add3_u32 v6, v10, v4, 0x7fff
	s_wait_alu 0xfffd
	v_cndmask_b32_e32 v0, v0, v9, vcc_lo
	v_cmp_u_f32_e32 vcc_lo, v5, v5
	v_or_b32_e32 v9, 0x400000, v4
	v_bfe_u32 v10, v2, 16, 1
	s_mul_i32 s4, s35, s34
	s_wait_alu 0xfffe
	s_ashr_i32 s3, s2, 31
	s_wait_alu 0xfffd
	v_cndmask_b32_e32 v5, v7, v11, vcc_lo
	v_bfe_u32 v7, v3, 16, 1
	v_cmp_u_f32_e32 vcc_lo, v4, v4
	v_add3_u32 v10, v10, v2, 0x7fff
	v_or_b32_e32 v11, 0x400000, v2
	s_ashr_i32 s5, s4, 31
	v_add3_u32 v7, v7, v3, 0x7fff
	s_wait_alu 0xfffd
	v_cndmask_b32_e32 v4, v6, v9, vcc_lo
	v_or_b32_e32 v9, 0x400000, v3
	v_cmp_u_f32_e32 vcc_lo, v3, v3
	v_lshlrev_b32_e32 v8, 1, v15
	v_bfe_u32 v6, v1, 16, 1
	s_wait_alu 0xfffe
	s_lshl_b64 s[2:3], s[2:3], 1
	s_lshl_b64 s[4:5], s[4:5], 1
	s_wait_alu 0xfffd
	v_cndmask_b32_e32 v3, v7, v9, vcc_lo
	v_cmp_u_f32_e32 vcc_lo, v2, v2
	s_wait_alu 0xfffe
	s_add_nc_u64 s[2:3], s[8:9], s[2:3]
	v_add3_u32 v6, v6, v1, 0x7fff
	v_or_b32_e32 v12, 0x400000, v1
	s_mul_i32 s0, s33, 0xc0
	s_wait_alu 0xfffd
	v_cndmask_b32_e32 v2, v10, v11, vcc_lo
	v_cmp_u_f32_e32 vcc_lo, v1, v1
	s_wait_alu 0xfffe
	s_add_nc_u64 s[2:3], s[2:3], s[4:5]
	s_wait_alu 0xfffe
	s_add_nc_u64 s[0:1], s[2:3], s[0:1]
	s_wait_alu 0xfffd
	v_cndmask_b32_e32 v1, v6, v12, vcc_lo
	s_clause 0x5
	global_store_d16_hi_b16 v8, v0, s[0:1]
	global_store_d16_hi_b16 v8, v5, s[0:1] offset:32
	global_store_d16_hi_b16 v8, v4, s[0:1] offset:64
	;; [unrolled: 1-line block ×5, first 2 shown]
.LBB343_70:
	s_nop 0
	s_sendmsg sendmsg(MSG_DEALLOC_VGPRS)
	s_endpgm
.LBB343_71:
	ds_load_b32 v9, v7
	s_wait_dscnt 0x0
	v_add_f32_e32 v6, v6, v9
	s_wait_alu 0xfffe
	s_or_b32 exec_lo, exec_lo, s0
	s_and_saveexec_b32 s0, vcc_lo
	s_cbranch_execz .LBB343_51
.LBB343_72:
	ds_load_b32 v9, v7 offset:64
	s_wait_dscnt 0x0
	v_add_f32_e32 v5, v5, v9
	s_wait_alu 0xfffe
	s_or_b32 exec_lo, exec_lo, s0
	s_and_saveexec_b32 s0, vcc_lo
	s_cbranch_execz .LBB343_52
.LBB343_73:
	ds_load_b32 v9, v7 offset:128
	s_wait_dscnt 0x0
	v_add_f32_e32 v4, v4, v9
	s_wait_alu 0xfffe
	s_or_b32 exec_lo, exec_lo, s0
	s_and_saveexec_b32 s0, vcc_lo
	s_cbranch_execz .LBB343_53
.LBB343_74:
	ds_load_b32 v9, v7 offset:192
	s_wait_dscnt 0x0
	v_add_f32_e32 v3, v3, v9
	s_wait_alu 0xfffe
	s_or_b32 exec_lo, exec_lo, s0
	s_and_saveexec_b32 s0, vcc_lo
	s_cbranch_execz .LBB343_54
.LBB343_75:
	ds_load_b32 v9, v7 offset:256
	s_wait_dscnt 0x0
	v_add_f32_e32 v2, v2, v9
	s_wait_alu 0xfffe
	s_or_b32 exec_lo, exec_lo, s0
	s_and_saveexec_b32 s0, vcc_lo
	s_cbranch_execnz .LBB343_55
	s_branch .LBB343_56
.LBB343_76:
	ds_load_b32 v0, v7
	s_wait_dscnt 0x0
	v_add_f32_e32 v6, v6, v0
	s_wait_alu 0xfffe
	s_or_b32 exec_lo, exec_lo, s0
	s_and_saveexec_b32 s0, vcc_lo
	s_cbranch_execz .LBB343_62
.LBB343_77:
	ds_load_b32 v0, v7 offset:64
	s_wait_dscnt 0x0
	v_add_f32_e32 v5, v5, v0
	s_wait_alu 0xfffe
	s_or_b32 exec_lo, exec_lo, s0
	s_and_saveexec_b32 s0, vcc_lo
	s_cbranch_execz .LBB343_63
.LBB343_78:
	ds_load_b32 v0, v7 offset:128
	s_wait_dscnt 0x0
	v_add_f32_e32 v4, v4, v0
	s_wait_alu 0xfffe
	s_or_b32 exec_lo, exec_lo, s0
	s_and_saveexec_b32 s0, vcc_lo
	s_cbranch_execz .LBB343_64
.LBB343_79:
	ds_load_b32 v0, v7 offset:192
	s_wait_dscnt 0x0
	v_add_f32_e32 v3, v3, v0
	s_wait_alu 0xfffe
	s_or_b32 exec_lo, exec_lo, s0
	s_and_saveexec_b32 s0, vcc_lo
	s_cbranch_execz .LBB343_65
.LBB343_80:
	ds_load_b32 v0, v7 offset:256
	s_wait_dscnt 0x0
	v_add_f32_e32 v2, v2, v0
	s_wait_alu 0xfffe
	s_or_b32 exec_lo, exec_lo, s0
	s_and_saveexec_b32 s0, vcc_lo
	s_cbranch_execnz .LBB343_66
	s_branch .LBB343_67
	.section	.rodata,"a",@progbits
	.p2align	6, 0x0
	.amdhsa_kernel _ZN4vllm25paged_attention_v2_kernelI14__hip_bfloat16hLi96ELi16ELi128ELNS_18Fp8KVCacheDataTypeE1ELb0ELi512EEEvPfS3_PT_PKS4_PKT0_SA_ifPKiSC_iPKfiiiSE_SE_iiiii
		.amdhsa_group_segment_fixed_size 224
		.amdhsa_private_segment_fixed_size 0
		.amdhsa_kernarg_size 400
		.amdhsa_user_sgpr_count 2
		.amdhsa_user_sgpr_dispatch_ptr 0
		.amdhsa_user_sgpr_queue_ptr 0
		.amdhsa_user_sgpr_kernarg_segment_ptr 1
		.amdhsa_user_sgpr_dispatch_id 0
		.amdhsa_user_sgpr_private_segment_size 0
		.amdhsa_wavefront_size32 1
		.amdhsa_uses_dynamic_stack 0
		.amdhsa_enable_private_segment 0
		.amdhsa_system_sgpr_workgroup_id_x 1
		.amdhsa_system_sgpr_workgroup_id_y 1
		.amdhsa_system_sgpr_workgroup_id_z 1
		.amdhsa_system_sgpr_workgroup_info 0
		.amdhsa_system_vgpr_workitem_id 0
		.amdhsa_next_free_vgpr 132
		.amdhsa_next_free_sgpr 58
		.amdhsa_reserve_vcc 1
		.amdhsa_float_round_mode_32 0
		.amdhsa_float_round_mode_16_64 0
		.amdhsa_float_denorm_mode_32 3
		.amdhsa_float_denorm_mode_16_64 3
		.amdhsa_fp16_overflow 0
		.amdhsa_workgroup_processor_mode 1
		.amdhsa_memory_ordered 1
		.amdhsa_forward_progress 1
		.amdhsa_inst_pref_size 128
		.amdhsa_round_robin_scheduling 0
		.amdhsa_exception_fp_ieee_invalid_op 0
		.amdhsa_exception_fp_denorm_src 0
		.amdhsa_exception_fp_ieee_div_zero 0
		.amdhsa_exception_fp_ieee_overflow 0
		.amdhsa_exception_fp_ieee_underflow 0
		.amdhsa_exception_fp_ieee_inexact 0
		.amdhsa_exception_int_div_zero 0
	.end_amdhsa_kernel
	.section	.text._ZN4vllm25paged_attention_v2_kernelI14__hip_bfloat16hLi96ELi16ELi128ELNS_18Fp8KVCacheDataTypeE1ELb0ELi512EEEvPfS3_PT_PKS4_PKT0_SA_ifPKiSC_iPKfiiiSE_SE_iiiii,"axG",@progbits,_ZN4vllm25paged_attention_v2_kernelI14__hip_bfloat16hLi96ELi16ELi128ELNS_18Fp8KVCacheDataTypeE1ELb0ELi512EEEvPfS3_PT_PKS4_PKT0_SA_ifPKiSC_iPKfiiiSE_SE_iiiii,comdat
.Lfunc_end343:
	.size	_ZN4vllm25paged_attention_v2_kernelI14__hip_bfloat16hLi96ELi16ELi128ELNS_18Fp8KVCacheDataTypeE1ELb0ELi512EEEvPfS3_PT_PKS4_PKT0_SA_ifPKiSC_iPKfiiiSE_SE_iiiii, .Lfunc_end343-_ZN4vllm25paged_attention_v2_kernelI14__hip_bfloat16hLi96ELi16ELi128ELNS_18Fp8KVCacheDataTypeE1ELb0ELi512EEEvPfS3_PT_PKS4_PKT0_SA_ifPKiSC_iPKfiiiSE_SE_iiiii
                                        ; -- End function
	.set _ZN4vllm25paged_attention_v2_kernelI14__hip_bfloat16hLi96ELi16ELi128ELNS_18Fp8KVCacheDataTypeE1ELb0ELi512EEEvPfS3_PT_PKS4_PKT0_SA_ifPKiSC_iPKfiiiSE_SE_iiiii.num_vgpr, 132
	.set _ZN4vllm25paged_attention_v2_kernelI14__hip_bfloat16hLi96ELi16ELi128ELNS_18Fp8KVCacheDataTypeE1ELb0ELi512EEEvPfS3_PT_PKS4_PKT0_SA_ifPKiSC_iPKfiiiSE_SE_iiiii.num_agpr, 0
	.set _ZN4vllm25paged_attention_v2_kernelI14__hip_bfloat16hLi96ELi16ELi128ELNS_18Fp8KVCacheDataTypeE1ELb0ELi512EEEvPfS3_PT_PKS4_PKT0_SA_ifPKiSC_iPKfiiiSE_SE_iiiii.numbered_sgpr, 58
	.set _ZN4vllm25paged_attention_v2_kernelI14__hip_bfloat16hLi96ELi16ELi128ELNS_18Fp8KVCacheDataTypeE1ELb0ELi512EEEvPfS3_PT_PKS4_PKT0_SA_ifPKiSC_iPKfiiiSE_SE_iiiii.num_named_barrier, 0
	.set _ZN4vllm25paged_attention_v2_kernelI14__hip_bfloat16hLi96ELi16ELi128ELNS_18Fp8KVCacheDataTypeE1ELb0ELi512EEEvPfS3_PT_PKS4_PKT0_SA_ifPKiSC_iPKfiiiSE_SE_iiiii.private_seg_size, 0
	.set _ZN4vllm25paged_attention_v2_kernelI14__hip_bfloat16hLi96ELi16ELi128ELNS_18Fp8KVCacheDataTypeE1ELb0ELi512EEEvPfS3_PT_PKS4_PKT0_SA_ifPKiSC_iPKfiiiSE_SE_iiiii.uses_vcc, 1
	.set _ZN4vllm25paged_attention_v2_kernelI14__hip_bfloat16hLi96ELi16ELi128ELNS_18Fp8KVCacheDataTypeE1ELb0ELi512EEEvPfS3_PT_PKS4_PKT0_SA_ifPKiSC_iPKfiiiSE_SE_iiiii.uses_flat_scratch, 0
	.set _ZN4vllm25paged_attention_v2_kernelI14__hip_bfloat16hLi96ELi16ELi128ELNS_18Fp8KVCacheDataTypeE1ELb0ELi512EEEvPfS3_PT_PKS4_PKT0_SA_ifPKiSC_iPKfiiiSE_SE_iiiii.has_dyn_sized_stack, 0
	.set _ZN4vllm25paged_attention_v2_kernelI14__hip_bfloat16hLi96ELi16ELi128ELNS_18Fp8KVCacheDataTypeE1ELb0ELi512EEEvPfS3_PT_PKS4_PKT0_SA_ifPKiSC_iPKfiiiSE_SE_iiiii.has_recursion, 0
	.set _ZN4vllm25paged_attention_v2_kernelI14__hip_bfloat16hLi96ELi16ELi128ELNS_18Fp8KVCacheDataTypeE1ELb0ELi512EEEvPfS3_PT_PKS4_PKT0_SA_ifPKiSC_iPKfiiiSE_SE_iiiii.has_indirect_call, 0
	.section	.AMDGPU.csdata,"",@progbits
; Kernel info:
; codeLenInByte = 16344
; TotalNumSgprs: 60
; NumVgprs: 132
; ScratchSize: 0
; MemoryBound: 0
; FloatMode: 240
; IeeeMode: 1
; LDSByteSize: 224 bytes/workgroup (compile time only)
; SGPRBlocks: 0
; VGPRBlocks: 16
; NumSGPRsForWavesPerEU: 60
; NumVGPRsForWavesPerEU: 132
; Occupancy: 10
; WaveLimiterHint : 1
; COMPUTE_PGM_RSRC2:SCRATCH_EN: 0
; COMPUTE_PGM_RSRC2:USER_SGPR: 2
; COMPUTE_PGM_RSRC2:TRAP_HANDLER: 0
; COMPUTE_PGM_RSRC2:TGID_X_EN: 1
; COMPUTE_PGM_RSRC2:TGID_Y_EN: 1
; COMPUTE_PGM_RSRC2:TGID_Z_EN: 1
; COMPUTE_PGM_RSRC2:TIDIG_COMP_CNT: 0
	.section	.text._ZN4vllm25paged_attention_v2_kernelI14__hip_bfloat16hLi112ELi16ELi128ELNS_18Fp8KVCacheDataTypeE1ELb0ELi512EEEvPfS3_PT_PKS4_PKT0_SA_ifPKiSC_iPKfiiiSE_SE_iiiii,"axG",@progbits,_ZN4vllm25paged_attention_v2_kernelI14__hip_bfloat16hLi112ELi16ELi128ELNS_18Fp8KVCacheDataTypeE1ELb0ELi512EEEvPfS3_PT_PKS4_PKT0_SA_ifPKiSC_iPKfiiiSE_SE_iiiii,comdat
	.protected	_ZN4vllm25paged_attention_v2_kernelI14__hip_bfloat16hLi112ELi16ELi128ELNS_18Fp8KVCacheDataTypeE1ELb0ELi512EEEvPfS3_PT_PKS4_PKT0_SA_ifPKiSC_iPKfiiiSE_SE_iiiii ; -- Begin function _ZN4vllm25paged_attention_v2_kernelI14__hip_bfloat16hLi112ELi16ELi128ELNS_18Fp8KVCacheDataTypeE1ELb0ELi512EEEvPfS3_PT_PKS4_PKT0_SA_ifPKiSC_iPKfiiiSE_SE_iiiii
	.globl	_ZN4vllm25paged_attention_v2_kernelI14__hip_bfloat16hLi112ELi16ELi128ELNS_18Fp8KVCacheDataTypeE1ELb0ELi512EEEvPfS3_PT_PKS4_PKT0_SA_ifPKiSC_iPKfiiiSE_SE_iiiii
	.p2align	8
	.type	_ZN4vllm25paged_attention_v2_kernelI14__hip_bfloat16hLi112ELi16ELi128ELNS_18Fp8KVCacheDataTypeE1ELb0ELi512EEEvPfS3_PT_PKS4_PKT0_SA_ifPKiSC_iPKfiiiSE_SE_iiiii,@function
_ZN4vllm25paged_attention_v2_kernelI14__hip_bfloat16hLi112ELi16ELi128ELNS_18Fp8KVCacheDataTypeE1ELb0ELi512EEEvPfS3_PT_PKS4_PKT0_SA_ifPKiSC_iPKfiiiSE_SE_iiiii: ; @_ZN4vllm25paged_attention_v2_kernelI14__hip_bfloat16hLi112ELi16ELi128ELNS_18Fp8KVCacheDataTypeE1ELb0ELi512EEEvPfS3_PT_PKS4_PKT0_SA_ifPKiSC_iPKfiiiSE_SE_iiiii
; %bb.0:
	s_load_b64 s[2:3], s[0:1], 0x40
	s_and_b32 s59, ttmp7, 0xffff
	s_lshr_b32 s56, ttmp7, 16
	s_lshl_b32 s4, s59, 2
	s_lshl_b32 s58, s56, 9
	s_wait_kmcnt 0x0
	s_load_b32 s57, s[2:3], s4 offset:0x0
	s_wait_kmcnt 0x0
	s_cmp_ge_i32 s58, s57
	s_cbranch_scc1 .LBB344_74
; %bb.1:
	s_clause 0x1
	s_load_b32 s60, s[0:1], 0x90
	s_load_b64 s[54:55], s[0:1], 0x30
	s_wait_kmcnt 0x0
	s_abs_i32 s5, s60
	s_abs_i32 s2, s54
	s_delay_alu instid0(SALU_CYCLE_1) | instskip(SKIP_1) | instid1(SALU_CYCLE_2)
	s_cvt_f32_u32 s3, s2
	s_sub_co_i32 s4, 0, s2
	v_rcp_iflag_f32_e32 v1, s3
	s_delay_alu instid0(TRANS32_DEP_1) | instskip(SKIP_2) | instid1(SALU_CYCLE_2)
	v_readfirstlane_b32 s3, v1
	s_mul_f32 s3, s3, 0x4f7ffffe
	s_wait_alu 0xfffe
	s_cvt_u32_f32 s3, s3
	s_wait_alu 0xfffe
	s_delay_alu instid0(SALU_CYCLE_2) | instskip(NEXT) | instid1(SALU_CYCLE_1)
	s_mul_i32 s4, s4, s3
	s_mul_hi_u32 s4, s3, s4
	s_delay_alu instid0(SALU_CYCLE_1)
	s_add_co_i32 s3, s3, s4
	s_xor_b32 s4, s60, s54
	s_wait_alu 0xfffe
	s_mul_hi_u32 s3, s5, s3
	s_ashr_i32 s4, s4, 31
	s_wait_alu 0xfffe
	s_mul_i32 s6, s3, s2
	s_delay_alu instid0(SALU_CYCLE_1)
	s_sub_co_i32 s5, s5, s6
	s_add_co_i32 s6, s3, 1
	s_sub_co_i32 s7, s5, s2
	s_cmp_ge_u32 s5, s2
	s_cselect_b32 s3, s6, s3
	s_cselect_b32 s5, s7, s5
	s_wait_alu 0xfffe
	s_add_co_i32 s6, s3, 1
	s_cmp_ge_u32 s5, s2
	s_cselect_b32 s2, s6, s3
	s_load_b64 s[6:7], s[0:1], 0x50
	s_xor_b32 s2, s2, s4
	s_mov_b32 s3, 0
	s_wait_alu 0xfffe
	s_sub_co_i32 s9, s2, s4
	s_mov_b32 s62, s3
	s_abs_i32 s8, s9
	s_delay_alu instid0(SALU_CYCLE_1) | instskip(SKIP_1) | instid1(SALU_CYCLE_2)
	s_cvt_f32_u32 s2, s8
	s_wait_alu 0xfffe
	v_rcp_iflag_f32_e32 v1, s2
	s_delay_alu instid0(TRANS32_DEP_1) | instskip(SKIP_2) | instid1(SALU_CYCLE_2)
	v_readfirstlane_b32 s2, v1
	s_mul_f32 s2, s2, 0x4f7ffffe
	s_wait_alu 0xfffe
	s_cvt_u32_f32 s4, s2
	s_sub_co_i32 s2, 0, s8
	s_wait_alu 0xfffe
	s_delay_alu instid0(SALU_CYCLE_1)
	s_mul_i32 s2, s2, s4
	s_wait_alu 0xfffe
	s_mul_hi_u32 s5, s4, s2
	s_abs_i32 s2, ttmp9
	s_add_co_i32 s4, s4, s5
	s_mov_b32 s5, s3
	s_wait_kmcnt 0x0
	s_cmp_eq_u64 s[6:7], 0
	s_cbranch_scc1 .LBB344_3
; %bb.2:
	s_mov_b32 s10, ttmp9
	s_ashr_i32 s11, ttmp9, 31
	s_delay_alu instid0(SALU_CYCLE_1) | instskip(NEXT) | instid1(SALU_CYCLE_1)
	s_lshl_b64 s[10:11], s[10:11], 2
	s_add_nc_u64 s[6:7], s[6:7], s[10:11]
	s_load_b32 s62, s[6:7], 0x0
.LBB344_3:
	s_load_b96 s[44:46], s[0:1], 0x58
	v_lshrrev_b32_e32 v15, 1, v0
	v_and_b32_e32 v16, 1, v0
	v_lshlrev_b32_e32 v7, 3, v0
	s_mul_u64 s[4:5], s[2:3], s[4:5]
	s_ashr_i32 s3, ttmp9, 31
	s_ashr_i32 s4, s9, 31
	s_mul_i32 s48, ttmp9, 0x70
	s_mov_b32 s6, exec_lo
	v_cmpx_gt_u32_e32 28, v0
	s_cbranch_execz .LBB344_5
; %bb.4:
	s_load_b64 s[10:11], s[0:1], 0x18
	s_wait_kmcnt 0x0
	s_mul_i32 s12, s44, s59
	s_ashr_i32 s49, s48, 31
	s_ashr_i32 s13, s12, 31
	v_lshlrev_b32_e32 v3, 3, v15
	s_lshl_b64 s[12:13], s[12:13], 1
	s_delay_alu instid0(VALU_DEP_1) | instskip(SKIP_2) | instid1(SALU_CYCLE_1)
	v_mad_u32_u24 v3, 0x70, v16, v3
	s_add_nc_u64 s[10:11], s[10:11], s[12:13]
	s_lshl_b64 s[12:13], s[48:49], 1
	s_add_nc_u64 s[10:11], s[10:11], s[12:13]
	global_load_b64 v[1:2], v7, s[10:11]
	s_wait_loadcnt 0x0
	ds_store_b64 v3, v[1:2]
.LBB344_5:
	s_or_b32 exec_lo, exec_lo, s6
	s_add_co_i32 s6, s57, 15
	s_wait_alu 0xfffe
	s_xor_b32 s3, s3, s4
	s_ashr_i32 s7, s6, 31
	s_lshl_b32 s61, s56, 5
	s_lshr_b32 s4, s7, 28
	s_mul_i32 s7, s5, s8
	s_add_co_i32 s6, s6, s4
	s_add_co_i32 s4, s61, 32
	s_ashr_i32 s54, s6, 4
	s_load_b32 s6, s[0:1], 0x48
	s_sub_co_i32 s2, s2, s7
	s_min_i32 s49, s4, s54
	s_add_co_i32 s4, s5, 1
	s_wait_alu 0xfffe
	s_sub_co_i32 s7, s2, s8
	s_cmp_ge_u32 s2, s8
	v_lshrrev_b32_e32 v17, 5, v0
	s_cselect_b32 s4, s4, s5
	s_cselect_b32 s2, s7, s2
	s_add_co_i32 s5, s4, 1
	s_wait_alu 0xfffe
	s_cmp_ge_u32 s2, s8
	v_or_b32_e32 v18, s61, v17
	s_cselect_b32 s2, s5, s4
	v_mbcnt_lo_u32_b32 v9, -1, 0
	s_wait_alu 0xfffe
	s_xor_b32 s2, s2, s3
	s_mov_b32 s4, exec_lo
	s_wait_alu 0xfffe
	s_sub_co_i32 s3, s2, s3
	v_cmp_gt_i32_e64 s2, s49, v18
	s_wait_dscnt 0x0
	s_barrier_signal -1
	s_wait_kmcnt 0x0
	s_mul_i32 s50, s6, s59
	s_barrier_wait -1
	s_ashr_i32 s51, s50, 31
	global_inv scope:SCOPE_SE
                                        ; implicit-def: $vgpr10
                                        ; implicit-def: $vgpr11
	v_cmpx_le_i32_e64 s49, v18
	s_xor_b32 s4, exec_lo, s4
; %bb.6:
	v_dual_mov_b32 v10, 0 :: v_dual_mov_b32 v11, 32
	v_mbcnt_lo_u32_b32 v9, -1, 0
; %bb.7:
	s_or_saveexec_b32 s63, s4
	s_clause 0x2
	s_load_b32 s44, s[0:1], 0x98
	s_load_b64 s[52:53], s[0:1], 0x38
	s_load_b128 s[40:43], s[0:1], 0x68
	v_dual_mov_b32 v65, 0xff7fffff :: v_dual_lshlrev_b32 v8, 2, v18
	s_mul_i32 s46, s3, s46
	s_xor_b32 exec_lo, exec_lo, s63
	s_cbranch_execz .LBB344_13
; %bb.8:
	v_mul_u32_u24_e32 v5, 0x70, v16
	s_load_b64 s[4:5], s[0:1], 0x20
	v_bfe_u32 v6, v0, 1, 4
	s_ashr_i32 s47, s46, 31
	v_dual_mov_b32 v10, 0 :: v_dual_lshlrev_b32 v65, 2, v16
	ds_load_b128 v[1:4], v5
	ds_load_b128 v[28:31], v5 offset:16
	ds_load_b128 v[36:39], v5 offset:32
	;; [unrolled: 1-line block ×4, first 2 shown]
	v_dual_mov_b32 v76, v18 :: v_dual_lshlrev_b32 v11, 4, v6
	s_wait_kmcnt 0x0
	s_load_b32 s41, s[40:41], 0x0
	s_cmp_neq_f32 s62, 0
	s_mov_b32 s64, s45
	ds_load_b128 v[60:63], v5 offset:80
	s_add_nc_u64 s[4:5], s[4:5], s[46:47]
	s_mov_b32 s47, 0
	v_add_co_u32 v74, s3, s4, v11
	s_wait_alu 0xf1ff
	v_add_co_ci_u32_e64 v75, null, s5, 0, s3
	s_wait_dscnt 0x5
	v_dual_mov_b32 v11, 32 :: v_dual_lshlrev_b32 v12, 16, v1
	v_and_b32_e32 v13, 0xffff0000, v1
	v_lshlrev_b32_e32 v14, 16, v2
	v_and_b32_e32 v19, 0xffff0000, v2
	v_lshlrev_b32_e32 v20, 16, v3
	;; [unrolled: 2-line block ×3, first 2 shown]
	v_and_b32_e32 v23, 0xffff0000, v4
	ds_load_b128 v[1:4], v5 offset:64
	s_cselect_b32 s3, -1, 0
	s_wait_dscnt 0x5
	v_lshlrev_b32_e32 v24, 16, v28
	v_and_b32_e32 v25, 0xffff0000, v28
	v_lshlrev_b32_e32 v26, 16, v29
	v_and_b32_e32 v27, 0xffff0000, v29
	;; [unrolled: 2-line block ×4, first 2 shown]
	s_wait_dscnt 0x4
	v_lshlrev_b32_e32 v32, 16, v36
	v_and_b32_e32 v33, 0xffff0000, v36
	v_lshlrev_b32_e32 v34, 16, v37
	v_and_b32_e32 v35, 0xffff0000, v37
	;; [unrolled: 2-line block ×4, first 2 shown]
	s_wait_dscnt 0x3
	v_lshlrev_b32_e32 v40, 16, v44
	v_and_b32_e32 v41, 0xffff0000, v44
	s_wait_dscnt 0x0
	v_lshlrev_b32_e32 v48, 16, v1
	v_and_b32_e32 v49, 0xffff0000, v1
	v_xor_b32_e32 v1, 1, v9
	v_lshlrev_b32_e32 v54, 16, v4
	v_and_b32_e32 v55, 0xffff0000, v4
	v_lshlrev_b32_e32 v52, 16, v3
	v_and_b32_e32 v53, 0xffff0000, v3
	v_cmp_gt_i32_e32 vcc_lo, 32, v1
	v_lshlrev_b32_e32 v3, 4, v17
	v_lshlrev_b32_e32 v50, 16, v2
	v_and_b32_e32 v51, 0xffff0000, v2
	v_lshlrev_b32_e32 v42, 16, v45
	v_cndmask_b32_e32 v1, v9, v1, vcc_lo
	v_and_b32_e32 v43, 0xffff0000, v45
	v_lshlrev_b32_e32 v44, 16, v46
	v_and_b32_e32 v45, 0xffff0000, v46
	v_lshlrev_b32_e32 v46, 16, v47
	v_lshlrev_b32_e32 v68, 2, v1
	;; [unrolled: 1-line block ×3, first 2 shown]
	v_and_b32_e32 v47, 0xffff0000, v47
	v_lshlrev_b32_e32 v56, 16, v60
	v_and_b32_e32 v57, 0xffff0000, v60
	v_lshlrev_b32_e32 v58, 16, v61
	v_lshl_or_b32 v4, v17, 6, v1
	v_add_co_u32 v1, s4, v74, v65
	s_wait_alu 0xf1ff
	v_add_co_ci_u32_e64 v2, null, 0, v75, s4
	s_lshl_b64 s[4:5], s[50:51], 2
	v_add3_u32 v74, s58, v3, v6
	s_wait_alu 0xfffe
	s_add_nc_u64 s[4:5], s[52:53], s[4:5]
	v_and_b32_e32 v59, 0xffff0000, v61
	s_wait_alu 0xfffe
	v_add_co_u32 v3, s4, s4, v8
	v_lshlrev_b32_e32 v60, 16, v62
	v_and_b32_e32 v61, 0xffff0000, v62
	v_lshlrev_b32_e32 v62, 16, v63
	v_and_b32_e32 v63, 0xffff0000, v63
	;; [unrolled: 2-line block ×6, first 2 shown]
	v_add_nc_u32_e32 v75, 0x100, v4
	s_wait_alu 0xf1ff
	v_add_co_ci_u32_e64 v4, null, s5, 0, s4
	v_mov_b32_e32 v65, 0xff7fffff
	s_sub_co_i32 s65, 1, s57
	v_cmp_eq_u32_e32 vcc_lo, 0, v16
	s_branch .LBB344_10
.LBB344_9:                              ;   in Loop: Header=BB344_10 Depth=1
	s_wait_alu 0xfffe
	s_or_b32 exec_lo, exec_lo, s5
	v_add_nc_u32_e32 v76, 4, v76
	v_add_co_u32 v3, s5, v3, 16
	v_add_nc_u32_e32 v74, 64, v74
	v_add_nc_u32_e32 v75, 0x100, v75
	s_delay_alu instid0(VALU_DEP_4) | instskip(SKIP_3) | instid1(SALU_CYCLE_1)
	v_cmp_le_i32_e64 s4, s49, v76
	s_wait_alu 0xf1ff
	v_add_co_ci_u32_e64 v4, null, 0, v4, s5
	s_or_b32 s47, s4, s47
	s_and_not1_b32 exec_lo, exec_lo, s47
	s_cbranch_execz .LBB344_12
.LBB344_10:                             ; =>This Inner Loop Header: Depth=1
	global_load_b32 v5, v[3:4], off
	s_wait_loadcnt_dscnt 0x0
	v_mad_co_i64_i32 v[5:6], null, v5, s64, v[1:2]
	s_clause 0xd
	global_load_b32 v93, v[5:6], off offset:512
	global_load_b32 v80, v[5:6], off
	global_load_b32 v79, v[5:6], off offset:8
	global_load_b32 v78, v[5:6], off offset:256
	;; [unrolled: 1-line block ×12, first 2 shown]
	s_wait_loadcnt 0xd
	v_bfe_u32 v6, v93, 8, 8
	s_wait_loadcnt 0xc
	v_bfe_u32 v86, v80, 16, 8
	;; [unrolled: 2-line block ×3, first 2 shown]
	v_lshrrev_b32_e32 v88, 24, v79
	s_wait_loadcnt 0x9
	v_lshrrev_b32_e32 v91, 24, v77
	v_bfe_u32 v90, v77, 8, 8
	s_wait_loadcnt 0x8
	v_bfe_u32 v95, v97, 8, 8
	s_wait_loadcnt 0x7
	v_bfe_u32 v99, v101, 8, 8
	v_bfe_u32 v89, v78, 16, 8
	v_cvt_f32_fp8_e32 v91, v91
	v_and_b32_e32 v94, 0xff, v97
	v_bfe_u32 v96, v97, 16, 8
	v_bfe_u32 v100, v101, 16, 8
	s_wait_loadcnt 0x6
	v_bfe_u32 v106, v102, 8, 8
	v_bfe_u32 v107, v102, 16, 8
	s_wait_loadcnt 0x5
	v_bfe_u32 v109, v104, 8, 8
	v_cvt_f32_fp8_e32 v86, v86
	v_and_b32_e32 v85, 0xff, v80
	v_cvt_f32_fp8_e32 v87, v87
	v_and_b32_e32 v92, 0xff, v93
	;; [unrolled: 2-line block ×3, first 2 shown]
	v_lshrrev_b32_e32 v102, 24, v102
	v_cvt_f32_fp8_e32 v90, v90
	s_wait_loadcnt 0x4
	v_and_b32_e32 v111, 0xff, v105
	v_cvt_f32_fp8_e32 v95, v95
	v_and_b32_e32 v98, 0xff, v101
	v_lshrrev_b32_e32 v101, 24, v101
	v_cvt_f32_fp8_e32 v99, v99
	s_wait_kmcnt 0x0
	v_mul_f32_e32 v91, s41, v91
	v_cvt_f32_fp8_e32 v94, v94
	v_lshrrev_b32_e32 v84, 24, v93
	v_bfe_u32 v93, v93, 16, 8
	v_bfe_u32 v110, v104, 16, 8
	;; [unrolled: 1-line block ×4, first 2 shown]
	s_wait_loadcnt 0x3
	v_bfe_u32 v115, v83, 8, 8
	v_cvt_f32_fp8_e32 v6, v6
	v_cvt_f32_fp8_e32 v89, v89
	v_and_b32_e32 v114, 0xff, v83
	v_cvt_f32_fp8_e32 v96, v96
	v_cvt_f32_fp8_e32 v101, v101
	;; [unrolled: 1-line block ×5, first 2 shown]
	v_mul_f32_e32 v86, s41, v86
	v_cvt_f32_fp8_e32 v85, v85
	v_and_b32_e32 v108, 0xff, v104
	v_lshrrev_b32_e32 v104, 24, v104
	v_mul_f32_e32 v87, s41, v87
	v_cvt_f32_fp8_e32 v92, v92
	v_mul_f32_e32 v88, s41, v88
	v_cvt_f32_fp8_e32 v103, v103
	;; [unrolled: 2-line block ×3, first 2 shown]
	v_dual_mul_f32 v94, s41, v94 :: v_dual_mul_f32 v99, s41, v99
	v_mul_f32_e32 v95, s41, v95
	v_cvt_f32_fp8_e32 v98, v98
	v_lshrrev_b32_e32 v97, 24, v97
	v_lshrrev_b32_e32 v105, 24, v105
	v_bfe_u32 v116, v83, 16, 8
	v_lshrrev_b32_e32 v83, 24, v83
	s_wait_loadcnt 0x2
	v_dual_mul_f32 v92, s41, v92 :: v_dual_and_b32 v117, 0xff, v82
	v_cvt_f32_fp8_e32 v84, v84
	v_cvt_f32_fp8_e32 v93, v93
	;; [unrolled: 1-line block ×8, first 2 shown]
	v_mul_f32_e32 v85, s41, v85
	v_cvt_f32_fp8_e32 v108, v108
	v_mul_f32_e32 v89, s41, v89
	v_cvt_f32_fp8_e32 v114, v114
	v_dual_mul_f32 v6, s41, v6 :: v_dual_mul_f32 v93, s41, v93
	v_dual_mul_f32 v96, s41, v96 :: v_dual_mul_f32 v101, s41, v101
	;; [unrolled: 1-line block ×5, first 2 shown]
	v_bfe_u32 v122, v88, 16, 1
	v_bfe_u32 v137, v94, 16, 1
	;; [unrolled: 1-line block ×3, first 2 shown]
	v_cvt_f32_fp8_e32 v97, v97
	v_cvt_f32_fp8_e32 v110, v110
	;; [unrolled: 1-line block ×6, first 2 shown]
	v_dual_mul_f32 v84, s41, v84 :: v_dual_mul_f32 v97, s41, v97
	v_dual_mul_f32 v100, s41, v100 :: v_dual_mul_f32 v107, s41, v107
	;; [unrolled: 1-line block ×6, first 2 shown]
	v_bfe_u32 v118, v86, 16, 1
	v_bfe_u32 v120, v87, 16, 1
	v_or_b32_e32 v123, 0x400000, v88
	v_bfe_u32 v124, v89, 16, 1
	v_bfe_u32 v126, v90, 16, 1
	;; [unrolled: 1-line block ×4, first 2 shown]
	v_or_b32_e32 v139, 0x400000, v94
	v_bfe_u32 v141, v96, 16, 1
	v_bfe_u32 v145, v98, 16, 1
	v_or_b32_e32 v150, 0x400000, v99
	v_bfe_u32 v152, v101, 16, 1
	v_bfe_u32 v153, v103, 16, 1
	v_add3_u32 v122, v122, v88, 0x7fff
	v_cmp_u_f32_e64 s34, v88, v88
	v_bfe_u32 v88, v106, 16, 1
	v_add3_u32 v137, v137, v94, 0x7fff
	v_cmp_u_f32_e64 s28, v94, v94
	;; [unrolled: 3-line block ×3, first 2 shown]
	v_bfe_u32 v99, v111, 16, 1
	v_dual_mul_f32 v110, s41, v110 :: v_dual_mul_f32 v105, s41, v105
	v_mul_f32_e32 v116, s41, v116
	v_or_b32_e32 v119, 0x400000, v86
	v_or_b32_e32 v121, 0x400000, v87
	;; [unrolled: 1-line block ×4, first 2 shown]
	v_bfe_u32 v128, v91, 16, 1
	v_or_b32_e32 v131, 0x400000, v92
	v_bfe_u32 v133, v93, 16, 1
	v_or_b32_e32 v134, 0x400000, v6
	v_bfe_u32 v136, v84, 16, 1
	v_bfe_u32 v140, v95, 16, 1
	v_or_b32_e32 v143, 0x400000, v96
	v_or_b32_e32 v147, 0x400000, v98
	v_bfe_u32 v149, v100, 16, 1
	v_add3_u32 v118, v118, v86, 0x7fff
	v_cmp_u_f32_e64 s31, v86, v86
	v_or_b32_e32 v86, 0x400000, v101
	v_add3_u32 v120, v120, v87, 0x7fff
	v_cmp_u_f32_e64 s33, v87, v87
	v_or_b32_e32 v87, 0x400000, v103
	v_add3_u32 v124, v124, v89, 0x7fff
	v_cmp_u_f32_e64 s35, v89, v89
	v_bfe_u32 v89, v107, 16, 1
	v_add3_u32 v126, v126, v90, 0x7fff
	v_cmp_u_f32_e64 s36, v90, v90
	v_or_b32_e32 v90, 0x400000, v106
	v_add3_u32 v129, v129, v92, 0x7fff
	v_cmp_u_f32_e64 s38, v92, v92
	v_bfe_u32 v92, v102, 16, 1
	v_add3_u32 v132, v132, v6, 0x7fff
	v_cmp_u_f32_e64 s39, v6, v6
	v_bfe_u32 v6, v108, 16, 1
	v_add3_u32 v141, v141, v96, 0x7fff
	v_cmp_u_f32_e64 s4, v96, v96
	v_or_b32_e32 v96, 0x400000, v109
	v_add3_u32 v145, v145, v98, 0x7fff
	v_cmp_u_f32_e64 s6, v98, v98
	v_bfe_u32 v98, v104, 16, 1
	v_add3_u32 v152, v152, v101, 0x7fff
	v_cmp_u_f32_e64 s9, v101, v101
	v_or_b32_e32 v101, 0x400000, v111
	v_add3_u32 v153, v153, v103, 0x7fff
	v_cmp_u_f32_e64 s10, v103, v103
	v_bfe_u32 v103, v112, 16, 1
	v_add3_u32 v88, v88, v106, 0x7fff
	v_cmp_u_f32_e64 s11, v106, v106
	v_bfe_u32 v106, v113, 16, 1
	;; [unrolled: 3-line block ×4, first 2 shown]
	v_or_b32_e32 v130, 0x400000, v91
	v_or_b32_e32 v135, 0x400000, v93
	;; [unrolled: 1-line block ×4, first 2 shown]
	v_bfe_u32 v144, v97, 16, 1
	v_or_b32_e32 v151, 0x400000, v100
	v_add3_u32 v128, v128, v91, 0x7fff
	v_cmp_u_f32_e64 s37, v91, v91
	v_or_b32_e32 v91, 0x400000, v107
	v_add3_u32 v133, v133, v93, 0x7fff
	v_cmp_u_f32_e64 s30, v93, v93
	;; [unrolled: 3-line block ×4, first 2 shown]
	v_bfe_u32 v95, v110, 16, 1
	v_add3_u32 v149, v149, v100, 0x7fff
	v_cmp_u_f32_e64 s8, v100, v100
	v_or_b32_e32 v100, 0x400000, v104
	v_add3_u32 v89, v89, v107, 0x7fff
	v_cmp_u_f32_e64 s12, v107, v107
	v_or_b32_e32 v107, 0x400000, v112
	v_add3_u32 v92, v92, v102, 0x7fff
	v_cmp_u_f32_e64 s13, v102, v102
	v_or_b32_e32 v102, 0x400000, v113
	v_add3_u32 v6, v6, v108, 0x7fff
	v_cmp_u_f32_e64 s14, v108, v108
	v_bfe_u32 v108, v105, 16, 1
	v_add3_u32 v98, v98, v104, 0x7fff
	v_cmp_u_f32_e64 s18, v104, v104
	v_or_b32_e32 v104, 0x400000, v114
	v_add3_u32 v103, v103, v112, 0x7fff
	v_cmp_u_f32_e64 s20, v112, v112
	v_or_b32_e32 v112, 0x400000, v115
	v_add3_u32 v106, v106, v113, 0x7fff
	v_cmp_u_f32_e64 s21, v113, v113
	v_bfe_u32 v113, v116, 16, 1
	v_add3_u32 v109, v109, v114, 0x7fff
	v_cmp_u_f32_e64 s23, v114, v114
	v_bfe_u32 v114, v83, 16, 1
	;; [unrolled: 3-line block ×3, first 2 shown]
	v_or_b32_e32 v146, 0x400000, v97
	v_add3_u32 v144, v144, v97, 0x7fff
	v_cmp_u_f32_e64 s5, v97, v97
	v_or_b32_e32 v97, 0x400000, v110
	v_add3_u32 v95, v95, v110, 0x7fff
	v_cmp_u_f32_e64 s17, v110, v110
	;; [unrolled: 3-line block ×6, first 2 shown]
	v_bfe_u32 v117, v85, 16, 1
	v_or_b32_e32 v154, 0x400000, v85
	v_cmp_u_f32_e64 s40, v85, v85
	s_wait_alu 0xf1ff
	v_cndmask_b32_e64 v118, v118, v119, s31
	v_cndmask_b32_e64 v120, v120, v121, s33
	v_add3_u32 v117, v117, v85, 0x7fff
	v_cndmask_b32_e64 v136, v136, v138, s29
	s_wait_loadcnt 0x0
	v_and_b32_e32 v138, 0xff, v5
	v_cndmask_b32_e64 v128, v128, v130, s37
	v_bfe_u32 v130, v82, 16, 8
	v_cndmask_b32_e64 v85, v117, v154, s40
	v_bfe_u32 v117, v80, 8, 8
	v_lshrrev_b32_e32 v80, 24, v80
	v_cndmask_b32_e64 v122, v122, v123, s34
	v_cvt_f32_fp8_e32 v130, v130
	v_cndmask_b32_e64 v124, v124, v125, s35
	v_cvt_f32_fp8_e32 v117, v117
	v_cvt_f32_fp8_e32 v80, v80
	v_cndmask_b32_e64 v132, v132, v134, s39
	v_mul_f32_e32 v130, s41, v130
	v_bfe_u32 v134, v81, 8, 8
	s_delay_alu instid0(VALU_DEP_4) | instskip(SKIP_2) | instid1(VALU_DEP_4)
	v_dual_mul_f32 v117, s41, v117 :: v_dual_mul_f32 v80, s41, v80
	v_cndmask_b32_e64 v140, v140, v142, s27
	v_bfe_u32 v142, v5, 16, 8
	v_cvt_f32_fp8_e32 v134, v134
	s_delay_alu instid0(VALU_DEP_4)
	v_bfe_u32 v154, v117, 16, 1
	v_or_b32_e32 v155, 0x400000, v117
	v_cmp_u_f32_e64 s40, v117, v117
	v_bfe_u32 v119, v80, 16, 1
	v_cmp_u_f32_e64 s31, v80, v80
	v_add3_u32 v154, v154, v117, 0x7fff
	v_mul_f32_e32 v134, s41, v134
	v_cvt_f32_fp8_e32 v138, v138
	v_add3_u32 v119, v119, v80, 0x7fff
	v_cvt_f32_fp8_e32 v142, v142
	s_wait_alu 0xf1ff
	v_cndmask_b32_e64 v117, v154, v155, s40
	v_or_b32_e32 v154, 0x400000, v80
	v_mul_f32_e32 v138, s41, v138
	v_cndmask_b32_e64 v126, v126, v127, s36
	v_mul_f32_e32 v142, s41, v142
	v_cndmask_b32_e64 v129, v129, v131, s38
	v_cndmask_b32_e64 v80, v119, v154, s31
	v_and_b32_e32 v119, 0xff, v79
	v_bfe_u32 v79, v79, 16, 8
	v_and_b32_e32 v131, 0xff, v81
	v_cndmask_b32_e64 v141, v141, v143, s4
	v_cndmask_b32_e64 v144, v144, v146, s5
	v_cvt_f32_fp8_e32 v119, v119
	v_cvt_f32_fp8_e32 v79, v79
	;; [unrolled: 1-line block ×3, first 2 shown]
	v_cndmask_b32_e64 v145, v145, v147, s6
	v_bfe_u32 v147, v130, 16, 1
	v_mul_f32_e32 v119, s41, v119
	v_mul_f32_e32 v79, s41, v79
	v_cndmask_b32_e64 v133, v133, v135, s30
	v_bfe_u32 v135, v81, 16, 8
	v_dual_mul_f32 v131, s41, v131 :: v_dual_and_b32 v80, 0xffff0000, v80
	v_bfe_u32 v154, v119, 16, 1
	v_or_b32_e32 v155, 0x400000, v119
	v_cmp_u_f32_e64 s31, v119, v119
	v_bfe_u32 v121, v79, 16, 1
	v_cndmask_b32_e64 v148, v148, v150, s7
	v_add3_u32 v154, v154, v119, 0x7fff
	v_or_b32_e32 v150, 0x400000, v130
	v_cndmask_b32_e64 v149, v149, v151, s8
	v_add3_u32 v121, v121, v79, 0x7fff
	v_add3_u32 v147, v147, v130, 0x7fff
	s_wait_alu 0xf1ff
	v_cndmask_b32_e64 v119, v154, v155, s31
	v_or_b32_e32 v154, 0x400000, v79
	v_cmp_u_f32_e64 s31, v79, v79
	v_cndmask_b32_e64 v83, v115, v83, s16
	v_lshrrev_b32_e32 v81, 24, v81
	v_cvt_f32_fp8_e32 v135, v135
	v_cndmask_b32_e64 v86, v152, v86, s9
	s_wait_alu 0xf1ff
	v_cndmask_b32_e64 v79, v121, v154, s31
	v_and_b32_e32 v121, 0xff, v78
	v_cndmask_b32_e64 v87, v153, v87, s10
	v_bfe_u32 v153, v131, 16, 1
	v_cvt_f32_fp8_e32 v81, v81
	v_cndmask_b32_e64 v88, v88, v90, s11
	v_cvt_f32_fp8_e32 v121, v121
	v_or_b32_e32 v90, 0x400000, v131
	v_cndmask_b32_e64 v89, v89, v91, s12
	v_bfe_u32 v91, v134, 16, 1
	v_add3_u32 v153, v153, v131, 0x7fff
	v_mul_f32_e32 v121, s41, v121
	v_cndmask_b32_e64 v137, v137, v139, s28
	v_bfe_u32 v139, v5, 8, 8
	v_mul_f32_e32 v81, s41, v81
	v_cndmask_b32_e64 v92, v92, v93, s13
	v_bfe_u32 v123, v121, 16, 1
	v_or_b32_e32 v154, 0x400000, v121
	v_cmp_u_f32_e64 s31, v121, v121
	v_or_b32_e32 v93, 0x400000, v134
	v_cndmask_b32_e64 v6, v6, v84, s14
	v_add3_u32 v123, v123, v121, 0x7fff
	v_add3_u32 v91, v91, v134, 0x7fff
	v_cvt_f32_fp8_e32 v139, v139
	v_cndmask_b32_e64 v94, v94, v96, s15
	v_cndmask_b32_e64 v95, v95, v97, s17
	s_wait_alu 0xf1ff
	v_cndmask_b32_e64 v121, v123, v154, s31
	v_bfe_u32 v123, v78, 8, 8
	v_lshrrev_b32_e32 v78, 24, v78
	v_mul_f32_e32 v135, s41, v135
	v_bfe_u32 v97, v81, 16, 1
	v_cndmask_b32_e64 v98, v98, v100, s18
	v_cvt_f32_fp8_e32 v123, v123
	v_cvt_f32_fp8_e32 v78, v78
	v_bfe_u32 v84, v135, 16, 1
	v_or_b32_e32 v96, 0x400000, v135
	v_or_b32_e32 v100, 0x400000, v81
	s_delay_alu instid0(VALU_DEP_4) | instskip(NEXT) | instid1(VALU_DEP_4)
	v_dual_mul_f32 v123, s41, v123 :: v_dual_mul_f32 v78, s41, v78
	v_add3_u32 v84, v84, v135, 0x7fff
	v_cndmask_b32_e64 v99, v99, v101, s19
	v_bfe_u32 v101, v138, 16, 1
	s_delay_alu instid0(VALU_DEP_4)
	v_bfe_u32 v154, v123, 16, 1
	v_or_b32_e32 v155, 0x400000, v123
	v_cmp_u_f32_e64 s31, v123, v123
	v_bfe_u32 v125, v78, 16, 1
	v_add3_u32 v97, v97, v81, 0x7fff
	v_add3_u32 v154, v154, v123, 0x7fff
	v_cndmask_b32_e64 v103, v103, v107, s20
	v_or_b32_e32 v107, 0x400000, v138
	v_add3_u32 v125, v125, v78, 0x7fff
	v_cndmask_b32_e64 v102, v106, v102, s21
	s_wait_alu 0xf1ff
	v_cndmask_b32_e64 v123, v154, v155, s31
	v_or_b32_e32 v154, 0x400000, v78
	v_cmp_u_f32_e64 s31, v78, v78
	v_add3_u32 v101, v101, v138, 0x7fff
	v_lshrrev_b32_e32 v5, 24, v5
	v_cndmask_b32_e64 v108, v108, v110, s22
	v_cndmask_b32_e64 v104, v109, v104, s23
	s_wait_alu 0xf1ff
	v_cndmask_b32_e64 v78, v125, v154, s31
	v_and_b32_e32 v125, 0xff, v77
	v_bfe_u32 v77, v77, 16, 8
	v_bfe_u32 v109, v142, 16, 1
	v_cvt_f32_fp8_e32 v5, v5
	v_cndmask_b32_e64 v111, v111, v112, s24
	v_cvt_f32_fp8_e32 v125, v125
	v_cvt_f32_fp8_e32 v77, v77
	v_or_b32_e32 v112, 0x400000, v142
	v_add3_u32 v109, v109, v142, 0x7fff
	v_mul_f32_e32 v5, s41, v5
	v_mul_f32_e32 v125, s41, v125
	;; [unrolled: 1-line block ×3, first 2 shown]
	v_cndmask_b32_e64 v105, v113, v105, s26
	v_cndmask_b32_e64 v114, v114, v116, s25
	s_delay_alu instid0(VALU_DEP_4) | instskip(SKIP_3) | instid1(VALU_DEP_4)
	v_bfe_u32 v154, v125, 16, 1
	v_or_b32_e32 v155, 0x400000, v125
	v_cmp_u_f32_e64 s31, v125, v125
	v_bfe_u32 v127, v77, 16, 1
	v_add3_u32 v154, v154, v125, 0x7fff
	s_delay_alu instid0(VALU_DEP_2) | instskip(SKIP_1) | instid1(VALU_DEP_2)
	v_add3_u32 v127, v127, v77, 0x7fff
	s_wait_alu 0xf1ff
	v_cndmask_b32_e64 v125, v154, v155, s31
	v_or_b32_e32 v154, 0x400000, v77
	v_cmp_u_f32_e64 s31, v77, v77
	v_mul_f32_e32 v139, s41, v139
	s_wait_alu 0xf1ff
	s_delay_alu instid0(VALU_DEP_2) | instskip(SKIP_4) | instid1(VALU_DEP_4)
	v_cndmask_b32_e64 v77, v127, v154, s31
	v_bfe_u32 v127, v82, 8, 8
	v_lshrrev_b32_e32 v82, 24, v82
	v_bfe_u32 v106, v139, 16, 1
	v_or_b32_e32 v110, 0x400000, v139
	v_cvt_f32_fp8_e32 v127, v127
	s_delay_alu instid0(VALU_DEP_4) | instskip(NEXT) | instid1(VALU_DEP_4)
	v_cvt_f32_fp8_e32 v82, v82
	v_add3_u32 v106, v106, v139, 0x7fff
	s_delay_alu instid0(VALU_DEP_2) | instskip(NEXT) | instid1(VALU_DEP_1)
	v_dual_mul_f32 v127, s41, v127 :: v_dual_mul_f32 v82, s41, v82
	v_bfe_u32 v143, v127, 16, 1
	v_or_b32_e32 v146, 0x400000, v127
	v_cmp_u_f32_e64 s4, v127, v127
	s_delay_alu instid0(VALU_DEP_4) | instskip(SKIP_2) | instid1(VALU_DEP_3)
	v_bfe_u32 v151, v82, 16, 1
	v_or_b32_e32 v152, 0x400000, v82
	v_add3_u32 v143, v143, v127, 0x7fff
	v_add3_u32 v151, v151, v82, 0x7fff
	s_wait_alu 0xf1ff
	s_delay_alu instid0(VALU_DEP_2) | instskip(SKIP_2) | instid1(VALU_DEP_1)
	v_cndmask_b32_e64 v115, v143, v146, s4
	v_cmp_u_f32_e64 s4, v130, v130
	s_wait_alu 0xf1ff
	v_cndmask_b32_e64 v127, v147, v150, s4
	v_cmp_u_f32_e64 s4, v82, v82
	s_wait_alu 0xf1ff
	s_delay_alu instid0(VALU_DEP_1) | instskip(SKIP_2) | instid1(VALU_DEP_1)
	v_cndmask_b32_e64 v82, v151, v152, s4
	v_cmp_u_f32_e64 s4, v131, v131
	s_wait_alu 0xf1ff
	v_cndmask_b32_e64 v90, v153, v90, s4
	v_cmp_u_f32_e64 s4, v134, v134
	s_wait_alu 0xf1ff
	s_delay_alu instid0(VALU_DEP_1) | instskip(SKIP_2) | instid1(VALU_DEP_1)
	v_cndmask_b32_e64 v91, v91, v93, s4
	v_cmp_u_f32_e64 s4, v135, v135
	s_wait_alu 0xf1ff
	v_cndmask_b32_e64 v84, v84, v96, s4
	v_cmp_u_f32_e64 s4, v81, v81
	s_wait_alu 0xf1ff
	s_delay_alu instid0(VALU_DEP_1) | instskip(SKIP_3) | instid1(VALU_DEP_4)
	v_cndmask_b32_e64 v81, v97, v100, s4
	v_cmp_u_f32_e64 s4, v138, v138
	v_and_b32_e32 v100, 0xffff0000, v119
	v_and_b32_e32 v119, 0xffff0000, v129
	;; [unrolled: 1-line block ×3, first 2 shown]
	s_wait_alu 0xf1ff
	v_cndmask_b32_e64 v93, v101, v107, s4
	v_cmp_u_f32_e64 s4, v139, v139
	v_mul_f32_e32 v100, v20, v100
	v_and_b32_e32 v101, 0xffff0000, v120
	v_and_b32_e32 v78, 0xffff0000, v78
	s_wait_alu 0xf1ff
	v_cndmask_b32_e64 v96, v106, v110, s4
	v_cmp_u_f32_e64 s4, v142, v142
	v_and_b32_e32 v106, 0xffff0000, v117
	v_dual_mul_f32 v101, v21, v101 :: v_dual_and_b32 v120, 0xffff0000, v132
	v_and_b32_e32 v110, 0xffff0000, v121
	s_wait_alu 0xf1ff
	v_cndmask_b32_e64 v97, v109, v112, s4
	v_and_b32_e32 v109, 0xffff0000, v122
	v_and_b32_e32 v79, 0xffff0000, v79
	;; [unrolled: 1-line block ×3, first 2 shown]
	v_bfe_u32 v113, v5, 16, 1
	s_delay_alu instid0(VALU_DEP_4) | instskip(SKIP_2) | instid1(VALU_DEP_4)
	v_dual_fmac_f32 v101, v13, v106 :: v_dual_mul_f32 v106, v23, v109
	v_and_b32_e32 v85, 0xffff0000, v85
	v_or_b32_e32 v116, 0x400000, v5
	v_add3_u32 v113, v113, v5, 0x7fff
	v_cmp_u_f32_e64 s4, v5, v5
	v_fmac_f32_e32 v106, v19, v80
	v_dual_fmac_f32 v100, v12, v85 :: v_dual_mul_f32 v79, v22, v79
	v_fmac_f32_e32 v101, v25, v112
	s_wait_alu 0xf1ff
	v_cndmask_b32_e64 v5, v113, v116, s4
	v_dual_fmac_f32 v106, v27, v78 :: v_dual_and_b32 v113, 0xffff0000, v124
	v_and_b32_e32 v116, 0xffff0000, v125
	v_fmac_f32_e32 v100, v24, v110
	v_and_b32_e32 v107, 0xffff0000, v118
	v_and_b32_e32 v118, 0xffff0000, v128
	;; [unrolled: 1-line block ×4, first 2 shown]
	v_fmac_f32_e32 v100, v28, v116
	v_dual_fmac_f32 v79, v14, v107 :: v_dual_and_b32 v122, 0xffff0000, v136
	v_fmac_f32_e32 v106, v31, v118
	v_and_b32_e32 v124, 0xffff0000, v140
	v_and_b32_e32 v5, 0xffff0000, v5
	s_delay_alu instid0(VALU_DEP_3) | instskip(SKIP_3) | instid1(VALU_DEP_4)
	v_dual_fmac_f32 v79, v26, v113 :: v_dual_fmac_f32 v106, v35, v122
	v_dual_fmac_f32 v100, v32, v119 :: v_dual_and_b32 v123, 0xffff0000, v137
	v_and_b32_e32 v117, 0xffff0000, v126
	v_and_b32_e32 v126, 0xffff0000, v144
	v_dual_fmac_f32 v79, v30, v77 :: v_dual_and_b32 v88, 0xffff0000, v88
	s_delay_alu instid0(VALU_DEP_2) | instskip(NEXT) | instid1(VALU_DEP_4)
	v_fmac_f32_e32 v106, v39, v126
	v_dual_fmac_f32 v100, v36, v123 :: v_dual_fmac_f32 v101, v29, v117
	v_and_b32_e32 v121, 0xffff0000, v133
	v_and_b32_e32 v130, 0xffff0000, v149
	s_delay_alu instid0(VALU_DEP_3) | instskip(NEXT) | instid1(VALU_DEP_4)
	v_fmac_f32_e32 v100, v40, v128
	v_dual_fmac_f32 v101, v33, v120 :: v_dual_and_b32 v86, 0xffff0000, v86
	s_delay_alu instid0(VALU_DEP_4) | instskip(SKIP_1) | instid1(VALU_DEP_3)
	v_fmac_f32_e32 v79, v34, v121
	v_and_b32_e32 v129, 0xffff0000, v148
	v_dual_fmac_f32 v101, v37, v124 :: v_dual_and_b32 v6, 0xffff0000, v6
	s_delay_alu instid0(VALU_DEP_4) | instskip(SKIP_2) | instid1(VALU_DEP_4)
	v_dual_fmac_f32 v106, v43, v86 :: v_dual_and_b32 v87, 0xffff0000, v87
	v_and_b32_e32 v94, 0xffff0000, v94
	v_and_b32_e32 v125, 0xffff0000, v141
	v_dual_fmac_f32 v101, v41, v129 :: v_dual_and_b32 v98, 0xffff0000, v98
	s_delay_alu instid0(VALU_DEP_4) | instskip(NEXT) | instid1(VALU_DEP_3)
	v_fmac_f32_e32 v100, v44, v87
	v_dual_fmac_f32 v79, v38, v125 :: v_dual_and_b32 v92, 0xffff0000, v92
	s_delay_alu instid0(VALU_DEP_3) | instskip(SKIP_3) | instid1(VALU_DEP_4)
	v_fmac_f32_e32 v101, v45, v88
	v_and_b32_e32 v89, 0xffff0000, v89
	v_and_b32_e32 v104, 0xffff0000, v104
	v_fmac_f32_e32 v100, v48, v6
	v_dual_fmac_f32 v106, v47, v92 :: v_dual_fmac_f32 v101, v49, v94
	v_and_b32_e32 v99, 0xffff0000, v99
	v_and_b32_e32 v95, 0xffff0000, v95
	v_dual_fmac_f32 v79, v42, v130 :: v_dual_and_b32 v108, 0xffff0000, v108
	s_delay_alu instid0(VALU_DEP_3) | instskip(SKIP_1) | instid1(VALU_DEP_3)
	v_dual_fmac_f32 v100, v52, v99 :: v_dual_and_b32 v105, 0xffff0000, v105
	v_dual_fmac_f32 v106, v51, v98 :: v_dual_and_b32 v103, 0xffff0000, v103
	;; [unrolled: 1-line block ×3, first 2 shown]
	v_and_b32_e32 v78, 0xffff0000, v82
	s_delay_alu instid0(VALU_DEP_4) | instskip(NEXT) | instid1(VALU_DEP_4)
	v_fmac_f32_e32 v100, v56, v104
	v_fmac_f32_e32 v106, v55, v108
	v_dual_fmac_f32 v101, v53, v103 :: v_dual_and_b32 v82, 0xffff0000, v90
	v_and_b32_e32 v83, 0xffff0000, v83
	v_and_b32_e32 v85, 0xffff0000, v114
	v_fmac_f32_e32 v79, v50, v95
	v_and_b32_e32 v80, 0xffff0000, v115
	s_delay_alu instid0(VALU_DEP_4) | instskip(NEXT) | instid1(VALU_DEP_4)
	v_fmac_f32_e32 v100, v60, v83
	v_dual_fmac_f32 v106, v59, v85 :: v_dual_and_b32 v111, 0xffff0000, v111
	s_delay_alu instid0(VALU_DEP_4) | instskip(SKIP_1) | instid1(VALU_DEP_3)
	v_dual_fmac_f32 v79, v54, v102 :: v_dual_and_b32 v6, 0xffff0000, v84
	v_and_b32_e32 v77, 0xffff0000, v127
	v_dual_fmac_f32 v101, v57, v111 :: v_dual_and_b32 v84, 0xffff0000, v93
	s_delay_alu instid0(VALU_DEP_3) | instskip(NEXT) | instid1(VALU_DEP_2)
	v_dual_fmac_f32 v100, v64, v82 :: v_dual_fmac_f32 v79, v58, v105
	v_dual_fmac_f32 v106, v63, v78 :: v_dual_fmac_f32 v101, v61, v80
	s_delay_alu instid0(VALU_DEP_2) | instskip(NEXT) | instid1(VALU_DEP_3)
	v_dual_fmac_f32 v100, v70, v84 :: v_dual_and_b32 v87, 0xffff0000, v91
	v_dual_fmac_f32 v79, v62, v77 :: v_dual_and_b32 v80, 0xffff0000, v96
	s_delay_alu instid0(VALU_DEP_2) | instskip(SKIP_1) | instid1(VALU_DEP_2)
	v_dual_fmac_f32 v106, v69, v81 :: v_dual_fmac_f32 v101, v66, v87
	v_and_b32_e32 v77, 0xffff0000, v97
	v_dual_fmac_f32 v106, v73, v5 :: v_dual_fmac_f32 v101, v71, v80
	s_delay_alu instid0(VALU_DEP_1) | instskip(NEXT) | instid1(VALU_DEP_1)
	v_dual_fmac_f32 v79, v67, v6 :: v_dual_add_f32 v6, v100, v101
	v_fmac_f32_e32 v79, v72, v77
	s_delay_alu instid0(VALU_DEP_1) | instskip(NEXT) | instid1(VALU_DEP_1)
	v_add_f32_e32 v5, v6, v79
	v_add_f32_e32 v5, v106, v5
	ds_bpermute_b32 v6, v68, v5
	s_and_saveexec_b32 s5, vcc_lo
	s_cbranch_execz .LBB344_9
; %bb.11:                               ;   in Loop: Header=BB344_10 Depth=1
	s_wait_dscnt 0x0
	v_add_f32_e32 v5, v5, v6
	v_add_nc_u32_e32 v77, s65, v74
	v_cmp_gt_i32_e64 s4, s57, v74
	s_delay_alu instid0(VALU_DEP_2) | instskip(NEXT) | instid1(VALU_DEP_1)
	v_cvt_f32_i32_e32 v77, v77
	v_mul_f32_e32 v77, s62, v77
	s_delay_alu instid0(VALU_DEP_1) | instskip(SKIP_1) | instid1(VALU_DEP_2)
	v_cndmask_b32_e64 v6, 0, v77, s3
	v_max_num_f32_e32 v77, v65, v65
	v_fmac_f32_e32 v6, s55, v5
	s_delay_alu instid0(VALU_DEP_1) | instskip(SKIP_2) | instid1(VALU_DEP_2)
	v_max_num_f32_e32 v5, v77, v6
	s_wait_alu 0xf1ff
	v_cndmask_b32_e64 v6, 0, v6, s4
	v_cndmask_b32_e64 v65, v65, v5, s4
	ds_store_b32 v75, v6
	s_branch .LBB344_9
.LBB344_12:
	s_or_b32 exec_lo, exec_lo, s47
.LBB344_13:
	s_delay_alu instid0(SALU_CYCLE_1)
	s_or_b32 exec_lo, exec_lo, s63
	v_xor_b32_e32 v1, 16, v9
	v_xor_b32_e32 v2, 8, v9
	s_clause 0x2
	s_load_b128 s[4:7], s[0:1], 0x0
	s_load_b64 s[8:9], s[0:1], 0x10
	s_load_b64 s[12:13], s[0:1], 0x28
	v_and_b32_e32 v19, 31, v0
	v_lshlrev_b32_e32 v12, 2, v17
	v_cmp_lt_i32_e32 vcc_lo, v1, v11
	s_wait_alu 0xfffd
	v_cndmask_b32_e32 v1, v9, v1, vcc_lo
	v_cmp_lt_i32_e32 vcc_lo, v2, v11
	s_wait_alu 0xfffd
	s_delay_alu instid0(VALU_DEP_2)
	v_dual_cndmask_b32 v2, v9, v2 :: v_dual_lshlrev_b32 v3, 2, v1
	v_max_num_f32_e32 v4, v65, v65
	ds_bpermute_b32 v1, v3, v65
	v_lshlrev_b32_e32 v5, 2, v2
	s_wait_dscnt 0x0
	v_max_num_f32_e32 v1, v1, v1
	s_delay_alu instid0(VALU_DEP_1) | instskip(SKIP_1) | instid1(VALU_DEP_1)
	v_max_num_f32_e32 v1, v4, v1
	v_xor_b32_e32 v4, 4, v9
	v_cmp_lt_i32_e32 vcc_lo, v4, v11
	s_wait_alu 0xfffd
	v_cndmask_b32_e32 v4, v9, v4, vcc_lo
	ds_bpermute_b32 v2, v5, v1
	v_lshlrev_b32_e32 v6, 2, v4
	v_xor_b32_e32 v4, 2, v9
	s_delay_alu instid0(VALU_DEP_1)
	v_cmp_lt_i32_e32 vcc_lo, v4, v11
	s_wait_alu 0xfffd
	v_cndmask_b32_e32 v4, v9, v4, vcc_lo
	v_cmp_eq_u32_e32 vcc_lo, 0, v19
	s_wait_dscnt 0x0
	v_max_num_f32_e32 v2, v2, v2
	s_delay_alu instid0(VALU_DEP_1) | instskip(SKIP_3) | instid1(VALU_DEP_1)
	v_max_num_f32_e32 v1, v1, v2
	ds_bpermute_b32 v2, v6, v1
	s_wait_dscnt 0x0
	v_max_num_f32_e32 v2, v2, v2
	v_dual_max_num_f32 v1, v1, v2 :: v_dual_lshlrev_b32 v2, 2, v4
	ds_bpermute_b32 v4, v2, v1
	s_and_saveexec_b32 s0, vcc_lo
	s_cbranch_execz .LBB344_15
; %bb.14:
	s_wait_dscnt 0x0
	v_dual_max_num_f32 v4, v4, v4 :: v_dual_max_num_f32 v1, v1, v1
	s_delay_alu instid0(VALU_DEP_1)
	v_max_num_f32_e32 v1, v1, v4
	ds_store_b32 v12, v1 offset:224
.LBB344_15:
	s_or_b32 exec_lo, exec_lo, s0
	v_cmp_gt_u32_e64 s0, 4, v19
	v_mov_b32_e32 v1, 0xff7fffff
	v_lshlrev_b32_e32 v13, 2, v19
	s_wait_loadcnt_dscnt 0x0
	s_barrier_signal -1
	s_barrier_wait -1
	global_inv scope:SCOPE_SE
	s_and_saveexec_b32 s1, s0
; %bb.16:
	ds_load_b32 v1, v13 offset:224
; %bb.17:
	s_or_b32 exec_lo, exec_lo, s1
	s_wait_dscnt 0x0
	ds_bpermute_b32 v4, v2, v1
	v_xor_b32_e32 v14, 1, v9
	v_max_num_f32_e32 v1, v1, v1
	s_delay_alu instid0(VALU_DEP_2) | instskip(NEXT) | instid1(VALU_DEP_1)
	v_cmp_lt_i32_e64 s1, v14, v11
	v_cndmask_b32_e64 v11, v9, v14, s1
	s_sub_co_i32 s1, s49, s61
	s_wait_alu 0xfffe
	s_lshl_b32 s1, s1, 4
	s_wait_alu 0xfffe
	s_add_co_i32 s1, s1, s58
	s_wait_alu 0xfffe
	s_min_i32 s1, s1, s57
	s_wait_alu 0xfffe
	s_sub_co_i32 s10, s1, s58
	s_wait_dscnt 0x0
	v_max_num_f32_e32 v4, v4, v4
	v_lshlrev_b32_e32 v20, 2, v11
	s_wait_alu 0xfffe
	v_cmp_gt_i32_e64 s1, s10, v0
	s_delay_alu instid0(VALU_DEP_3) | instskip(SKIP_3) | instid1(VALU_DEP_1)
	v_max_num_f32_e32 v1, v1, v4
	ds_bpermute_b32 v4, v20, v1
	s_wait_dscnt 0x0
	v_max_num_f32_e32 v4, v4, v4
	v_dual_max_num_f32 v1, v1, v4 :: v_dual_lshlrev_b32 v4, 2, v10
	v_mov_b32_e32 v10, 0
	ds_bpermute_b32 v1, v4, v1
	v_lshl_add_u32 v4, v0, 2, 0x100
	s_and_saveexec_b32 s11, s1
	s_cbranch_execz .LBB344_21
; %bb.18:
	v_lshl_add_u32 v11, v0, 2, 0x100
	v_mov_b32_e32 v10, 0
	v_mov_b32_e32 v14, v0
	s_mov_b32 s14, 0
.LBB344_19:                             ; =>This Inner Loop Header: Depth=1
	ds_load_b32 v21, v11
	v_add_nc_u32_e32 v14, 0x80, v14
	s_delay_alu instid0(VALU_DEP_1) | instskip(SKIP_4) | instid1(VALU_DEP_1)
	v_cmp_le_i32_e64 s3, s10, v14
	s_wait_alu 0xfffe
	s_or_b32 s14, s3, s14
	s_wait_dscnt 0x0
	v_sub_f32_e32 v21, v21, v1
	v_mul_f32_e32 v21, 0x3fb8aa3b, v21
	s_delay_alu instid0(VALU_DEP_1)
	v_exp_f32_e32 v21, v21
	ds_store_b32 v11, v21
	v_dual_add_f32 v10, v10, v21 :: v_dual_add_nc_u32 v11, 0x200, v11
	s_wait_alu 0xfffe
	s_and_not1_b32 exec_lo, exec_lo, s14
	s_cbranch_execnz .LBB344_19
; %bb.20:
	s_or_b32 exec_lo, exec_lo, s14
.LBB344_21:
	s_wait_alu 0xfffe
	s_or_b32 exec_lo, exec_lo, s11
	ds_bpermute_b32 v3, v3, v10
	s_wait_dscnt 0x0
	v_add_f32_e32 v3, v10, v3
	ds_bpermute_b32 v5, v5, v3
	s_wait_dscnt 0x0
	v_add_f32_e32 v3, v3, v5
	;; [unrolled: 3-line block ×5, first 2 shown]
	s_and_saveexec_b32 s3, vcc_lo
; %bb.22:
	ds_store_b32 v12, v3 offset:240
; %bb.23:
	s_wait_alu 0xfffe
	s_or_b32 exec_lo, exec_lo, s3
	s_wait_loadcnt_dscnt 0x0
	s_barrier_signal -1
	s_barrier_wait -1
	global_inv scope:SCOPE_SE
	s_and_saveexec_b32 s3, s0
; %bb.24:
	ds_load_b32 v3, v13 offset:240
; %bb.25:
	s_wait_alu 0xfffe
	s_or_b32 exec_lo, exec_lo, s3
	s_wait_dscnt 0x0
	ds_bpermute_b32 v2, v2, v3
	s_wait_dscnt 0x0
	v_dual_add_f32 v2, v3, v2 :: v_dual_lshlrev_b32 v5, 2, v9
	ds_bpermute_b32 v3, v20, v2
	s_wait_dscnt 0x0
	v_dual_add_f32 v2, v2, v3 :: v_dual_and_b32 v3, 0xffffff80, v5
	ds_bpermute_b32 v2, v3, v2
	s_and_saveexec_b32 s0, s1
	s_cbranch_execz .LBB344_28
; %bb.26:
	s_wait_dscnt 0x0
	v_add_f32_e32 v3, 0x358637bd, v2
	s_mov_b32 s1, 0
	s_delay_alu instid0(VALU_DEP_1) | instskip(SKIP_1) | instid1(VALU_DEP_2)
	v_div_scale_f32 v5, null, v3, v3, 1.0
	v_div_scale_f32 v10, vcc_lo, 1.0, v3, 1.0
	v_rcp_f32_e32 v6, v5
	s_delay_alu instid0(TRANS32_DEP_1) | instskip(NEXT) | instid1(VALU_DEP_1)
	v_fma_f32 v9, -v5, v6, 1.0
	v_fmac_f32_e32 v6, v9, v6
	s_delay_alu instid0(VALU_DEP_1) | instskip(NEXT) | instid1(VALU_DEP_1)
	v_mul_f32_e32 v9, v10, v6
	v_fma_f32 v11, -v5, v9, v10
	s_delay_alu instid0(VALU_DEP_1) | instskip(NEXT) | instid1(VALU_DEP_1)
	v_fmac_f32_e32 v9, v11, v6
	v_fma_f32 v5, -v5, v9, v10
	s_wait_alu 0xfffd
	s_delay_alu instid0(VALU_DEP_1) | instskip(NEXT) | instid1(VALU_DEP_1)
	v_div_fmas_f32 v5, v5, v6, v9
	v_div_fixup_f32 v3, v5, v3, 1.0
	v_mov_b32_e32 v5, v0
.LBB344_27:                             ; =>This Inner Loop Header: Depth=1
	ds_load_b32 v6, v4
	s_wait_dscnt 0x0
	v_dual_mul_f32 v6, v3, v6 :: v_dual_add_nc_u32 v5, 0x80, v5
	s_delay_alu instid0(VALU_DEP_1)
	v_cmp_le_i32_e32 vcc_lo, s10, v5
	ds_store_b32 v4, v6
	v_add_nc_u32_e32 v4, 0x200, v4
	s_wait_alu 0xfffe
	s_or_b32 s1, vcc_lo, s1
	s_wait_alu 0xfffe
	s_and_not1_b32 exec_lo, exec_lo, s1
	s_cbranch_execnz .LBB344_27
.LBB344_28:
	s_wait_alu 0xfffe
	s_or_b32 exec_lo, exec_lo, s0
	s_wait_kmcnt 0x0
	s_mul_i32 s0, s44, s59
	s_wait_loadcnt_dscnt 0x0
	s_wait_alu 0xfffe
	s_mul_i32 s10, s0, s60
	s_mov_b32 s0, exec_lo
	s_barrier_signal -1
	s_barrier_wait -1
	global_inv scope:SCOPE_SE
	v_cmpx_eq_u32_e32 0, v0
	s_cbranch_execz .LBB344_30
; %bb.29:
	s_wait_alu 0xfffe
	s_ashr_i32 s11, s10, 31
	s_mul_i32 s14, s44, ttmp9
	s_lshl_b32 s1, s56, 2
	s_wait_alu 0xfffe
	s_lshl_b64 s[16:17], s[10:11], 2
	s_ashr_i32 s15, s14, 31
	v_mov_b32_e32 v3, s1
	s_wait_alu 0xfffe
	s_add_nc_u64 s[6:7], s[6:7], s[16:17]
	s_lshl_b64 s[14:15], s[14:15], 2
	s_add_nc_u64 s[4:5], s[4:5], s[16:17]
	s_wait_alu 0xfffe
	s_add_nc_u64 s[6:7], s[6:7], s[14:15]
	s_add_nc_u64 s[4:5], s[4:5], s[14:15]
	s_clause 0x1
	global_store_b32 v3, v1, s[6:7]
	global_store_b32 v3, v2, s[4:5]
.LBB344_30:
	s_wait_alu 0xfffe
	s_or_b32 exec_lo, exec_lo, s0
	v_dual_mov_b32 v26, 0 :: v_dual_mov_b32 v27, 0
	v_dual_mov_b32 v25, 0 :: v_dual_mov_b32 v24, 0
	;; [unrolled: 1-line block ×3, first 2 shown]
	v_mov_b32_e32 v21, 0
	s_and_saveexec_b32 s1, s2
	s_cbranch_execz .LBB344_48
; %bb.31:
	s_load_b32 s2, s[42:43], 0x0
	v_dual_mov_b32 v24, 0 :: v_dual_and_b32 v3, 0xf8, v7
	s_ashr_i32 s47, s46, 31
	v_dual_mov_b32 v21, 0 :: v_dual_lshlrev_b32 v2, 5, v16
	s_add_nc_u64 s[4:5], s[12:13], s[46:47]
	v_dual_mov_b32 v22, 0 :: v_dual_and_b32 v1, 8, v7
	s_wait_alu 0xfffe
	v_add_co_u32 v9, s0, s4, v3
	s_wait_alu 0xf1ff
	v_add_co_ci_u32_e64 v10, null, s5, 0, s0
	s_lshl_b64 s[4:5], s[50:51], 2
	v_lshl_add_u32 v4, v17, 4, s58
	v_lshl_or_b32 v2, v17, 6, v2
	s_wait_alu 0xfffe
	s_add_nc_u64 s[4:5], s[52:53], s[4:5]
	v_mov_b32_e32 v23, 0
	s_wait_alu 0xfffe
	v_add_co_u32 v11, s0, s4, v8
	v_add3_u32 v28, v4, v1, 7
	v_dual_mov_b32 v26, 0 :: v_dual_add_nc_u32 v29, 0x100, v2
	s_wait_alu 0xf1ff
	v_add_co_ci_u32_e64 v12, null, s5, 0, s0
	v_mov_b32_e32 v25, 0
	v_mov_b32_e32 v27, 0
	s_mov_b32 s3, s45
	s_add_co_i32 s54, s54, -1
	s_mov_b32 s4, 0
	s_branch .LBB344_33
.LBB344_32:                             ;   in Loop: Header=BB344_33 Depth=1
	s_wait_alu 0xfffe
	s_or_b32 exec_lo, exec_lo, s0
	s_wait_dscnt 0x1
	v_bfe_u32 v47, v5, 16, 1
	v_or_b32_e32 v55, 0x400000, v5
	v_bfe_u32 v56, v6, 16, 1
	v_cmp_u_f32_e32 vcc_lo, v5, v5
	v_bfe_u32 v57, v7, 16, 1
	v_add3_u32 v47, v47, v5, 0x7fff
	v_or_b32_e32 v58, 0x400000, v6
	v_add3_u32 v56, v56, v6, 0x7fff
	v_or_b32_e32 v59, 0x400000, v7
	v_add3_u32 v57, v57, v7, 0x7fff
	s_wait_alu 0xfffd
	v_cndmask_b32_e32 v5, v47, v55, vcc_lo
	v_cmp_u_f32_e32 vcc_lo, v6, v6
	v_bfe_u32 v47, v8, 16, 1
	s_wait_dscnt 0x0
	v_bfe_u32 v55, v1, 16, 1
	v_lshlrev_b32_e32 v76, 16, v76
	s_wait_alu 0xfffd
	v_dual_cndmask_b32 v6, v56, v58 :: v_dual_lshlrev_b32 v79, 16, v79
	v_cmp_u_f32_e32 vcc_lo, v7, v7
	v_add3_u32 v47, v47, v8, 0x7fff
	v_or_b32_e32 v56, 0x400000, v8
	v_add3_u32 v55, v55, v1, 0x7fff
	v_bfe_u32 v58, v2, 16, 1
	s_wait_alu 0xfffd
	v_cndmask_b32_e32 v7, v57, v59, vcc_lo
	v_cmp_u_f32_e32 vcc_lo, v8, v8
	v_or_b32_e32 v57, 0x400000, v1
	v_lshlrev_b32_e32 v75, 16, v75
	v_lshlrev_b32_e32 v63, 16, v63
	s_wait_alu 0xfffd
	v_dual_cndmask_b32 v8, v47, v56 :: v_dual_lshlrev_b32 v49, 16, v49
	v_cmp_u_f32_e32 vcc_lo, v1, v1
	v_or_b32_e32 v56, 0x400000, v2
	v_lshlrev_b32_e32 v45, 16, v45
	v_lshlrev_b32_e32 v37, 16, v37
	;; [unrolled: 1-line block ×3, first 2 shown]
	s_wait_alu 0xfffd
	v_cndmask_b32_e32 v47, v55, v57, vcc_lo
	v_add3_u32 v55, v58, v2, 0x7fff
	v_bfe_u32 v57, v3, 16, 1
	v_cmp_u_f32_e32 vcc_lo, v2, v2
	v_lshlrev_b32_e32 v33, 16, v33
	v_lshlrev_b32_e32 v13, 16, v13
	;; [unrolled: 1-line block ×3, first 2 shown]
	v_add3_u32 v2, v57, v3, 0x7fff
	s_wait_alu 0xfffd
	v_cndmask_b32_e32 v55, v55, v56, vcc_lo
	v_or_b32_e32 v56, 0x400000, v3
	v_cmp_u_f32_e32 vcc_lo, v3, v3
	v_and_b32_e32 v1, 0xffff0000, v6
	v_lshlrev_b32_e32 v6, 16, v90
	v_bfe_u32 v57, v4, 16, 1
	s_wait_alu 0xfffd
	v_dual_cndmask_b32 v56, v2, v56 :: v_dual_and_b32 v7, 0xffff0000, v7
	v_cmp_u_f32_e32 vcc_lo, v4, v4
	v_mul_f32_e32 v58, v1, v6
	v_add3_u32 v3, v57, v4, 0x7fff
	v_or_b32_e32 v57, 0x400000, v4
	v_and_b32_e32 v6, 0xffff0000, v5
	v_mul_f32_e32 v45, v1, v45
	v_bfe_u32 v59, v58, 16, 1
	v_dual_mul_f32 v37, v1, v37 :: v_dual_lshlrev_b32 v30, 16, v30
	s_wait_alu 0xfffd
	v_cndmask_b32_e32 v4, v3, v57, vcc_lo
	v_or_b32_e32 v57, 0x400000, v58
	v_add3_u32 v3, v59, v58, 0x7fff
	v_cmp_u_f32_e32 vcc_lo, v58, v58
	v_and_b32_e32 v2, 0xffff0000, v8
	v_lshlrev_b32_e32 v8, 16, v88
	v_add_co_u32 v11, s0, v11, 16
	s_wait_alu 0xfffd
	v_cndmask_b32_e32 v57, v3, v57, vcc_lo
	s_delay_alu instid0(VALU_DEP_3) | instskip(SKIP_2) | instid1(VALU_DEP_4)
	v_dual_mul_f32 v60, v2, v8 :: v_dual_lshlrev_b32 v5, 16, v89
	v_lshlrev_b32_e32 v8, 16, v87
	v_and_b32_e32 v3, 0xffff0000, v55
	v_and_b32_e32 v57, 0xffff0000, v57
	s_delay_alu instid0(VALU_DEP_4) | instskip(SKIP_3) | instid1(VALU_DEP_4)
	v_mul_f32_e32 v5, v6, v5
	v_bfe_u32 v87, v60, 16, 1
	v_dual_mul_f32 v88, v7, v8 :: v_dual_mul_f32 v35, v2, v35
	v_mul_f32_e32 v33, v3, v33
	v_bfe_u32 v59, v5, 16, 1
	v_cmp_u_f32_e32 vcc_lo, v5, v5
	v_add_nc_u32_e32 v29, 0x100, v29
	s_wait_alu 0xf1ff
	v_add_co_ci_u32_e64 v12, null, 0, v12, s0
	v_add3_u32 v58, v59, v5, 0x7fff
	v_or_b32_e32 v59, 0x400000, v5
	v_add3_u32 v5, v87, v60, 0x7fff
	v_lshlrev_b32_e32 v40, 16, v40
	v_lshlrev_b32_e32 v42, 16, v42
	s_wait_alu 0xfffd
	v_dual_cndmask_b32 v55, v58, v59 :: v_dual_lshlrev_b32 v34, 16, v34
	v_or_b32_e32 v58, 0x400000, v60
	v_bfe_u32 v59, v88, 16, 1
	v_cmp_u_f32_e32 vcc_lo, v60, v60
	v_or_b32_e32 v60, 0x400000, v88
	v_and_b32_e32 v55, 0xffff0000, v55
	v_dual_mul_f32 v36, v6, v36 :: v_dual_lshlrev_b32 v43, 16, v43
	s_wait_alu 0xfffd
	v_cndmask_b32_e32 v58, v5, v58, vcc_lo
	v_add3_u32 v59, v59, v88, 0x7fff
	v_cmp_u_f32_e32 vcc_lo, v88, v88
	v_dual_add_f32 v55, v55, v57 :: v_dual_lshlrev_b32 v8, 16, v86
	v_and_b32_e32 v5, 0xffff0000, v56
	s_wait_alu 0xfffd
	v_dual_cndmask_b32 v59, v59, v60 :: v_dual_lshlrev_b32 v56, 16, v83
	s_delay_alu instid0(VALU_DEP_3)
	v_mul_f32_e32 v86, v3, v8
	v_and_b32_e32 v8, 0xffff0000, v47
	v_lshlrev_b32_e32 v47, 16, v85
	v_lshlrev_b32_e32 v51, 16, v51
	v_and_b32_e32 v59, 0xffff0000, v59
	v_bfe_u32 v85, v86, 16, 1
	v_cmp_u_f32_e32 vcc_lo, v86, v86
	v_dual_mul_f32 v47, v8, v47 :: v_dual_and_b32 v58, 0xffff0000, v58
	v_lshlrev_b32_e32 v84, 16, v84
	s_delay_alu instid0(VALU_DEP_4) | instskip(SKIP_1) | instid1(VALU_DEP_4)
	v_add3_u32 v83, v85, v86, 0x7fff
	v_or_b32_e32 v85, 0x400000, v86
	v_bfe_u32 v60, v47, 16, 1
	v_or_b32_e32 v87, 0x400000, v47
	v_add_f32_e32 v57, v59, v58
	v_mul_f32_e32 v49, v8, v49
	s_wait_alu 0xfffd
	v_cndmask_b32_e32 v83, v83, v85, vcc_lo
	v_add3_u32 v60, v60, v47, 0x7fff
	v_cmp_u_f32_e32 vcc_lo, v47, v47
	v_dual_add_f32 v55, v57, v55 :: v_dual_and_b32 v4, 0xffff0000, v4
	s_delay_alu instid0(VALU_DEP_4)
	v_and_b32_e32 v58, 0xffff0000, v83
	v_mul_f32_e32 v40, v8, v40
	s_wait_alu 0xfffd
	v_cndmask_b32_e32 v47, v60, v87, vcc_lo
	v_dual_mul_f32 v84, v4, v84 :: v_dual_mul_f32 v51, v7, v51
	v_mul_f32_e32 v43, v2, v43
	v_dual_mul_f32 v34, v7, v34 :: v_dual_lshlrev_b32 v41, 16, v41
	s_delay_alu instid0(VALU_DEP_4) | instskip(NEXT) | instid1(VALU_DEP_4)
	v_and_b32_e32 v47, 0xffff0000, v47
	v_bfe_u32 v88, v84, 16, 1
	v_or_b32_e32 v87, 0x400000, v84
	v_mul_f32_e32 v76, v4, v76
	v_lshlrev_b32_e32 v66, 16, v66
	v_add_f32_e32 v47, v47, v58
	v_add3_u32 v60, v88, v84, 0x7fff
	v_mul_f32_e32 v56, v5, v56
	v_lshlrev_b32_e32 v62, 16, v62
	s_delay_alu instid0(VALU_DEP_4) | instskip(SKIP_1) | instid1(VALU_DEP_4)
	v_dual_mul_f32 v66, v2, v66 :: v_dual_add_f32 v47, v47, v55
	v_lshlrev_b32_e32 v54, 16, v54
	v_bfe_u32 v89, v56, 16, 1
	v_or_b32_e32 v86, 0x400000, v56
	v_cmp_u_f32_e32 vcc_lo, v56, v56
	v_mul_f32_e32 v62, v4, v62
	v_lshlrev_b32_e32 v52, 16, v52
	v_add3_u32 v85, v89, v56, 0x7fff
	v_mul_f32_e32 v54, v1, v54
	v_lshlrev_b32_e32 v46, 16, v46
	v_dual_mul_f32 v63, v8, v63 :: v_dual_lshlrev_b32 v50, 16, v50
	s_wait_alu 0xfffd
	v_cndmask_b32_e32 v56, v85, v86, vcc_lo
	v_cmp_u_f32_e32 vcc_lo, v84, v84
	v_dual_mul_f32 v46, v5, v46 :: v_dual_lshlrev_b32 v77, 16, v77
	v_dual_mul_f32 v30, v5, v30 :: v_dual_lshlrev_b32 v39, 16, v39
	s_wait_alu 0xfffd
	v_dual_cndmask_b32 v59, v60, v87 :: v_dual_and_b32 v56, 0xffff0000, v56
	s_delay_alu instid0(VALU_DEP_2) | instskip(NEXT) | instid1(VALU_DEP_2)
	v_dual_mul_f32 v50, v3, v50 :: v_dual_mul_f32 v39, v4, v39
	v_dual_mul_f32 v52, v2, v52 :: v_dual_and_b32 v57, 0xffff0000, v59
	v_lshlrev_b32_e32 v59, 16, v81
	v_lshlrev_b32_e32 v58, 16, v82
	v_mul_f32_e32 v42, v7, v42
	s_delay_alu instid0(VALU_DEP_4) | instskip(NEXT) | instid1(VALU_DEP_3)
	v_dual_add_f32 v55, v56, v57 :: v_dual_lshlrev_b32 v48, 16, v48
	v_dual_mul_f32 v57, v6, v59 :: v_dual_mul_f32 v56, v1, v58
	v_lshlrev_b32_e32 v59, 16, v80
	v_bfe_u32 v80, v76, 16, 1
	s_delay_alu instid0(VALU_DEP_4) | instskip(NEXT) | instid1(VALU_DEP_4)
	v_add_f32_e32 v47, v55, v47
	v_bfe_u32 v58, v57, 16, 1
	v_bfe_u32 v55, v56, 16, 1
	v_cmp_u_f32_e32 vcc_lo, v56, v56
	v_or_b32_e32 v60, 0x400000, v57
	v_add_f32_e32 v22, v22, v47
	v_add3_u32 v58, v58, v57, 0x7fff
	v_add3_u32 v47, v55, v56, 0x7fff
	v_or_b32_e32 v55, 0x400000, v56
	v_lshlrev_b32_e32 v44, 16, v44
	v_dual_mul_f32 v48, v4, v48 :: v_dual_lshlrev_b32 v53, 16, v53
	s_wait_alu 0xfffd
	s_delay_alu instid0(VALU_DEP_3) | instskip(SKIP_2) | instid1(VALU_DEP_3)
	v_dual_cndmask_b32 v47, v47, v55 :: v_dual_lshlrev_b32 v38, 16, v38
	v_cmp_u_f32_e32 vcc_lo, v57, v57
	v_dual_mul_f32 v57, v7, v79 :: v_dual_mul_f32 v44, v6, v44
	v_dual_mul_f32 v53, v6, v53 :: v_dual_mul_f32 v38, v5, v38
	s_wait_alu 0xfffd
	v_cndmask_b32_e32 v56, v58, v60, vcc_lo
	v_dual_mul_f32 v59, v2, v59 :: v_dual_lshlrev_b32 v58, 16, v78
	v_bfe_u32 v78, v57, 16, 1
	v_lshlrev_b32_e32 v32, 16, v32
	s_delay_alu instid0(VALU_DEP_4) | instskip(NEXT) | instid1(VALU_DEP_4)
	v_and_b32_e32 v56, 0xffff0000, v56
	v_bfe_u32 v55, v59, 16, 1
	v_or_b32_e32 v60, 0x400000, v59
	v_mul_f32_e32 v58, v3, v58
	v_cmp_u_f32_e32 vcc_lo, v59, v59
	v_dual_mul_f32 v41, v3, v41 :: v_dual_mul_f32 v32, v8, v32
	v_add3_u32 v55, v55, v59, 0x7fff
	v_mul_f32_e32 v59, v8, v77
	v_or_b32_e32 v77, 0x400000, v57
	v_lshlrev_b32_e32 v14, 16, v14
	v_add_nc_u32_e32 v28, 64, v28
	s_wait_alu 0xfffd
	v_cndmask_b32_e32 v55, v55, v60, vcc_lo
	v_add3_u32 v60, v78, v57, 0x7fff
	v_bfe_u32 v78, v58, 16, 1
	v_cmp_u_f32_e32 vcc_lo, v57, v57
	v_bfe_u32 v79, v59, 16, 1
	v_and_b32_e32 v55, 0xffff0000, v55
	s_wait_alu 0xfffd
	v_dual_cndmask_b32 v57, v60, v77 :: v_dual_add_nc_u32 v18, 4, v18
	v_add3_u32 v60, v78, v58, 0x7fff
	v_or_b32_e32 v77, 0x400000, v58
	v_cmp_u_f32_e32 vcc_lo, v58, v58
	v_add3_u32 v78, v79, v59, 0x7fff
	v_or_b32_e32 v79, 0x400000, v59
	v_and_b32_e32 v57, 0xffff0000, v57
	s_wait_alu 0xfffd
	v_cndmask_b32_e32 v58, v60, v77, vcc_lo
	v_cmp_u_f32_e32 vcc_lo, v59, v59
	v_or_b32_e32 v77, 0x400000, v76
	v_add_f32_e32 v55, v57, v55
	s_delay_alu instid0(VALU_DEP_4)
	v_and_b32_e32 v57, 0xffff0000, v58
	s_wait_alu 0xfffd
	v_dual_cndmask_b32 v59, v78, v79 :: v_dual_lshlrev_b32 v58, 16, v68
	v_and_b32_e32 v47, 0xffff0000, v47
	v_cmp_u_f32_e32 vcc_lo, v76, v76
	v_bfe_u32 v68, v62, 16, 1
	s_delay_alu instid0(VALU_DEP_3) | instskip(SKIP_2) | instid1(VALU_DEP_2)
	v_add_f32_e32 v47, v56, v47
	v_and_b32_e32 v56, 0xffff0000, v59
	v_lshlrev_b32_e32 v59, 16, v67
	v_dual_add_f32 v47, v55, v47 :: v_dual_add_f32 v56, v56, v57
	v_mul_f32_e32 v60, v5, v75
	s_delay_alu instid0(VALU_DEP_3)
	v_mul_f32_e32 v57, v6, v59
	v_add3_u32 v75, v80, v76, 0x7fff
	v_mul_f32_e32 v55, v1, v58
	v_add_f32_e32 v47, v56, v47
	v_bfe_u32 v78, v60, 16, 1
	v_bfe_u32 v56, v57, 16, 1
	v_or_b32_e32 v67, 0x400000, v57
	s_delay_alu instid0(VALU_DEP_3) | instskip(NEXT) | instid1(VALU_DEP_3)
	v_add3_u32 v76, v78, v60, 0x7fff
	v_add3_u32 v56, v56, v57, 0x7fff
	s_wait_alu 0xfffd
	v_cndmask_b32_e32 v75, v75, v77, vcc_lo
	v_or_b32_e32 v77, 0x400000, v60
	v_cmp_u_f32_e32 vcc_lo, v60, v60
	s_wait_alu 0xfffd
	s_delay_alu instid0(VALU_DEP_2) | instskip(SKIP_1) | instid1(VALU_DEP_2)
	v_dual_cndmask_b32 v60, v76, v77 :: v_dual_and_b32 v59, 0xffff0000, v75
	v_cmp_u_f32_e32 vcc_lo, v55, v55
	v_and_b32_e32 v58, 0xffff0000, v60
	v_bfe_u32 v60, v55, 16, 1
	s_delay_alu instid0(VALU_DEP_2) | instskip(NEXT) | instid1(VALU_DEP_2)
	v_add_f32_e32 v58, v58, v59
	v_add3_u32 v59, v60, v55, 0x7fff
	v_or_b32_e32 v60, 0x400000, v55
	s_delay_alu instid0(VALU_DEP_3) | instskip(SKIP_2) | instid1(VALU_DEP_3)
	v_add_f32_e32 v47, v58, v47
	v_bfe_u32 v58, v53, 16, 1
	s_wait_alu 0xfffd
	v_cndmask_b32_e32 v55, v59, v60, vcc_lo
	v_bfe_u32 v59, v66, 16, 1
	v_cmp_u_f32_e32 vcc_lo, v57, v57
	v_lshlrev_b32_e32 v60, 16, v64
	v_or_b32_e32 v64, 0x400000, v66
	v_and_b32_e32 v55, 0xffff0000, v55
	v_add3_u32 v59, v59, v66, 0x7fff
	s_wait_alu 0xfffd
	v_cndmask_b32_e32 v56, v56, v67, vcc_lo
	v_cmp_u_f32_e32 vcc_lo, v66, v66
	v_mul_f32_e32 v60, v3, v60
	v_bfe_u32 v67, v63, 16, 1
	s_delay_alu instid0(VALU_DEP_4) | instskip(SKIP_3) | instid1(VALU_DEP_3)
	v_dual_add_f32 v23, v23, v47 :: v_dual_and_b32 v56, 0xffff0000, v56
	s_wait_alu 0xfffd
	v_cndmask_b32_e32 v59, v59, v64, vcc_lo
	v_bfe_u32 v66, v60, 16, 1
	v_add_f32_e32 v55, v56, v55
	s_delay_alu instid0(VALU_DEP_3) | instskip(SKIP_1) | instid1(VALU_DEP_1)
	v_and_b32_e32 v59, 0xffff0000, v59
	v_lshlrev_b32_e32 v65, 16, v65
	v_mul_f32_e32 v57, v7, v65
	s_delay_alu instid0(VALU_DEP_1) | instskip(SKIP_1) | instid1(VALU_DEP_2)
	v_bfe_u32 v65, v57, 16, 1
	v_cmp_u_f32_e32 vcc_lo, v57, v57
	v_add3_u32 v64, v65, v57, 0x7fff
	v_or_b32_e32 v65, 0x400000, v57
	s_wait_alu 0xfffd
	s_delay_alu instid0(VALU_DEP_1)
	v_cndmask_b32_e32 v57, v64, v65, vcc_lo
	v_add3_u32 v64, v66, v60, 0x7fff
	v_or_b32_e32 v65, 0x400000, v60
	v_cmp_u_f32_e32 vcc_lo, v60, v60
	v_add3_u32 v66, v67, v63, 0x7fff
	v_or_b32_e32 v67, 0x400000, v63
	v_and_b32_e32 v57, 0xffff0000, v57
	s_wait_alu 0xfffd
	v_cndmask_b32_e32 v60, v64, v65, vcc_lo
	v_cmp_u_f32_e32 vcc_lo, v63, v63
	v_add3_u32 v64, v68, v62, 0x7fff
	v_or_b32_e32 v65, 0x400000, v62
	s_delay_alu instid0(VALU_DEP_4) | instskip(SKIP_3) | instid1(VALU_DEP_3)
	v_dual_add_f32 v56, v57, v59 :: v_dual_and_b32 v59, 0xffff0000, v60
	s_wait_alu 0xfffd
	v_cndmask_b32_e32 v63, v66, v67, vcc_lo
	v_cmp_u_f32_e32 vcc_lo, v62, v62
	v_add_f32_e32 v55, v56, v55
	s_wait_alu 0xfffd
	s_delay_alu instid0(VALU_DEP_3) | instskip(NEXT) | instid1(VALU_DEP_1)
	v_dual_cndmask_b32 v62, v64, v65 :: v_dual_and_b32 v57, 0xffff0000, v63
	v_dual_add_f32 v56, v57, v59 :: v_dual_and_b32 v59, 0xffff0000, v62
	v_lshlrev_b32_e32 v61, 16, v61
	s_delay_alu instid0(VALU_DEP_2) | instskip(NEXT) | instid1(VALU_DEP_2)
	v_add_f32_e32 v55, v56, v55
	v_mul_f32_e32 v61, v5, v61
	v_mul_f32_e32 v5, v5, v14
	s_delay_alu instid0(VALU_DEP_2) | instskip(SKIP_2) | instid1(VALU_DEP_3)
	v_bfe_u32 v66, v61, 16, 1
	v_or_b32_e32 v65, 0x400000, v61
	v_cmp_u_f32_e32 vcc_lo, v61, v61
	v_add3_u32 v64, v66, v61, 0x7fff
	s_wait_alu 0xfffd
	s_delay_alu instid0(VALU_DEP_1) | instskip(SKIP_1) | instid1(VALU_DEP_2)
	v_cndmask_b32_e32 v60, v64, v65, vcc_lo
	v_cmp_u_f32_e32 vcc_lo, v54, v54
	v_and_b32_e32 v57, 0xffff0000, v60
	s_delay_alu instid0(VALU_DEP_1) | instskip(SKIP_2) | instid1(VALU_DEP_3)
	v_add_f32_e32 v56, v57, v59
	v_bfe_u32 v57, v54, 16, 1
	v_bfe_u32 v59, v48, 16, 1
	v_add_f32_e32 v47, v56, v55
	s_delay_alu instid0(VALU_DEP_3) | instskip(SKIP_4) | instid1(VALU_DEP_3)
	v_add3_u32 v55, v57, v54, 0x7fff
	v_or_b32_e32 v56, 0x400000, v54
	v_add3_u32 v57, v58, v53, 0x7fff
	v_or_b32_e32 v58, 0x400000, v53
	s_wait_alu 0xfffd
	v_cndmask_b32_e32 v54, v55, v56, vcc_lo
	v_bfe_u32 v55, v52, 16, 1
	v_cmp_u_f32_e32 vcc_lo, v53, v53
	v_or_b32_e32 v56, 0x400000, v52
	s_delay_alu instid0(VALU_DEP_4) | instskip(NEXT) | instid1(VALU_DEP_4)
	v_and_b32_e32 v54, 0xffff0000, v54
	v_add3_u32 v55, v55, v52, 0x7fff
	s_wait_alu 0xfffd
	v_cndmask_b32_e32 v53, v57, v58, vcc_lo
	v_bfe_u32 v57, v51, 16, 1
	v_cmp_u_f32_e32 vcc_lo, v52, v52
	v_bfe_u32 v58, v49, 16, 1
	s_wait_alu 0xfffd
	v_dual_cndmask_b32 v52, v55, v56 :: v_dual_and_b32 v53, 0xffff0000, v53
	v_add3_u32 v55, v57, v51, 0x7fff
	v_or_b32_e32 v56, 0x400000, v51
	v_bfe_u32 v57, v50, 16, 1
	v_cmp_u_f32_e32 vcc_lo, v51, v51
	v_dual_add_f32 v53, v53, v54 :: v_dual_and_b32 v52, 0xffff0000, v52
	s_wait_alu 0xfffd
	v_cndmask_b32_e32 v51, v55, v56, vcc_lo
	v_add3_u32 v55, v57, v50, 0x7fff
	v_or_b32_e32 v56, 0x400000, v50
	v_cmp_u_f32_e32 vcc_lo, v50, v50
	v_add3_u32 v57, v58, v49, 0x7fff
	v_or_b32_e32 v58, 0x400000, v49
	s_wait_alu 0xfffd
	v_cndmask_b32_e32 v50, v55, v56, vcc_lo
	v_cmp_u_f32_e32 vcc_lo, v49, v49
	v_add3_u32 v55, v59, v48, 0x7fff
	v_or_b32_e32 v56, 0x400000, v48
	s_delay_alu instid0(VALU_DEP_4)
	v_and_b32_e32 v50, 0xffff0000, v50
	s_wait_alu 0xfffd
	v_cndmask_b32_e32 v49, v57, v58, vcc_lo
	v_bfe_u32 v57, v46, 16, 1
	v_cmp_u_f32_e32 vcc_lo, v48, v48
	s_wait_alu 0xfffd
	s_delay_alu instid0(VALU_DEP_3) | instskip(NEXT) | instid1(VALU_DEP_3)
	v_dual_cndmask_b32 v48, v55, v56 :: v_dual_and_b32 v49, 0xffff0000, v49
	v_add3_u32 v55, v57, v46, 0x7fff
	v_or_b32_e32 v56, 0x400000, v46
	v_cmp_u_f32_e32 vcc_lo, v46, v46
	s_delay_alu instid0(VALU_DEP_4)
	v_dual_add_f32 v49, v49, v50 :: v_dual_and_b32 v48, 0xffff0000, v48
	v_bfe_u32 v50, v45, 16, 1
	v_add_f32_e32 v24, v24, v47
	s_wait_alu 0xfffd
	v_cndmask_b32_e32 v46, v55, v56, vcc_lo
	v_cmp_u_f32_e32 vcc_lo, v45, v45
	s_delay_alu instid0(VALU_DEP_2) | instskip(NEXT) | instid1(VALU_DEP_1)
	v_and_b32_e32 v46, 0xffff0000, v46
	v_add_f32_e32 v46, v46, v48
	v_add3_u32 v48, v50, v45, 0x7fff
	v_or_b32_e32 v50, 0x400000, v45
	s_wait_alu 0xfffd
	s_delay_alu instid0(VALU_DEP_1) | instskip(SKIP_2) | instid1(VALU_DEP_3)
	v_cndmask_b32_e32 v45, v48, v50, vcc_lo
	v_cmp_u_f32_e32 vcc_lo, v44, v44
	v_or_b32_e32 v50, 0x400000, v43
	v_and_b32_e32 v45, 0xffff0000, v45
	v_and_b32_e32 v51, 0xffff0000, v51
	s_delay_alu instid0(VALU_DEP_1) | instskip(SKIP_1) | instid1(VALU_DEP_2)
	v_add_f32_e32 v51, v51, v52
	v_or_b32_e32 v52, 0x400000, v44
	v_add_f32_e32 v51, v51, v53
	v_bfe_u32 v53, v43, 16, 1
	s_delay_alu instid0(VALU_DEP_2) | instskip(SKIP_1) | instid1(VALU_DEP_3)
	v_add_f32_e32 v49, v49, v51
	v_bfe_u32 v51, v44, 16, 1
	v_add3_u32 v48, v53, v43, 0x7fff
	v_bfe_u32 v53, v39, 16, 1
	s_delay_alu instid0(VALU_DEP_3) | instskip(SKIP_1) | instid1(VALU_DEP_1)
	v_add3_u32 v51, v51, v44, 0x7fff
	s_wait_alu 0xfffd
	v_cndmask_b32_e32 v44, v51, v52, vcc_lo
	v_cmp_u_f32_e32 vcc_lo, v43, v43
	v_bfe_u32 v51, v42, 16, 1
	v_bfe_u32 v52, v40, 16, 1
	s_wait_alu 0xfffd
	v_dual_cndmask_b32 v43, v48, v50 :: v_dual_and_b32 v44, 0xffff0000, v44
	s_delay_alu instid0(VALU_DEP_3)
	v_add3_u32 v48, v51, v42, 0x7fff
	v_or_b32_e32 v50, 0x400000, v42
	v_bfe_u32 v51, v41, 16, 1
	v_cmp_u_f32_e32 vcc_lo, v42, v42
	v_dual_add_f32 v44, v44, v45 :: v_dual_and_b32 v43, 0xffff0000, v43
	v_or_b32_e32 v45, 0x400000, v38
	s_wait_alu 0xfffd
	v_cndmask_b32_e32 v42, v48, v50, vcc_lo
	v_add3_u32 v48, v51, v41, 0x7fff
	v_or_b32_e32 v50, 0x400000, v41
	v_cmp_u_f32_e32 vcc_lo, v41, v41
	v_add3_u32 v51, v52, v40, 0x7fff
	v_or_b32_e32 v52, 0x400000, v40
	v_and_b32_e32 v42, 0xffff0000, v42
	s_wait_alu 0xfffd
	v_cndmask_b32_e32 v41, v48, v50, vcc_lo
	v_cmp_u_f32_e32 vcc_lo, v40, v40
	v_add3_u32 v48, v53, v39, 0x7fff
	v_or_b32_e32 v50, 0x400000, v39
	s_delay_alu instid0(VALU_DEP_4) | instskip(SKIP_3) | instid1(VALU_DEP_3)
	v_dual_add_f32 v42, v42, v43 :: v_dual_and_b32 v41, 0xffff0000, v41
	s_wait_alu 0xfffd
	v_cndmask_b32_e32 v40, v51, v52, vcc_lo
	v_cmp_u_f32_e32 vcc_lo, v39, v39
	v_add_f32_e32 v42, v42, v44
	v_or_b32_e32 v44, 0x400000, v35
	s_wait_alu 0xfffd
	v_dual_cndmask_b32 v39, v48, v50 :: v_dual_and_b32 v40, 0xffff0000, v40
	v_bfe_u32 v48, v38, 16, 1
	v_cmp_u_f32_e32 vcc_lo, v38, v38
	s_delay_alu instid0(VALU_DEP_3) | instskip(SKIP_1) | instid1(VALU_DEP_4)
	v_add_f32_e32 v40, v40, v41
	v_bfe_u32 v41, v37, 16, 1
	v_add3_u32 v43, v48, v38, 0x7fff
	s_delay_alu instid0(VALU_DEP_3) | instskip(NEXT) | instid1(VALU_DEP_3)
	v_add_f32_e32 v40, v40, v42
	v_add3_u32 v41, v41, v37, 0x7fff
	s_wait_alu 0xfffd
	s_delay_alu instid0(VALU_DEP_3) | instskip(SKIP_3) | instid1(VALU_DEP_4)
	v_cndmask_b32_e32 v38, v43, v45, vcc_lo
	v_or_b32_e32 v42, 0x400000, v37
	v_bfe_u32 v43, v36, 16, 1
	v_cmp_u_f32_e32 vcc_lo, v37, v37
	v_and_b32_e32 v38, 0xffff0000, v38
	s_wait_alu 0xfffd
	v_cndmask_b32_e32 v37, v41, v42, vcc_lo
	v_bfe_u32 v41, v35, 16, 1
	v_add3_u32 v42, v43, v36, 0x7fff
	v_or_b32_e32 v43, 0x400000, v36
	v_cmp_u_f32_e32 vcc_lo, v36, v36
	s_delay_alu instid0(VALU_DEP_4) | instskip(SKIP_1) | instid1(VALU_DEP_3)
	v_add3_u32 v41, v41, v35, 0x7fff
	s_wait_alu 0xfffd
	v_cndmask_b32_e32 v36, v42, v43, vcc_lo
	v_bfe_u32 v42, v34, 16, 1
	v_cmp_u_f32_e32 vcc_lo, v35, v35
	v_or_b32_e32 v43, 0x400000, v34
	s_delay_alu instid0(VALU_DEP_4) | instskip(NEXT) | instid1(VALU_DEP_4)
	v_and_b32_e32 v36, 0xffff0000, v36
	v_add3_u32 v42, v42, v34, 0x7fff
	s_wait_alu 0xfffd
	v_cndmask_b32_e32 v35, v41, v44, vcc_lo
	v_bfe_u32 v41, v33, 16, 1
	v_cmp_u_f32_e32 vcc_lo, v34, v34
	v_or_b32_e32 v44, 0x400000, v33
	s_delay_alu instid0(VALU_DEP_3)
	v_add3_u32 v41, v41, v33, 0x7fff
	s_wait_alu 0xfffd
	v_cndmask_b32_e32 v34, v42, v43, vcc_lo
	v_bfe_u32 v42, v32, 16, 1
	v_cmp_u_f32_e32 vcc_lo, v33, v33
	s_wait_alu 0xfffd
	s_delay_alu instid0(VALU_DEP_3) | instskip(NEXT) | instid1(VALU_DEP_3)
	v_dual_cndmask_b32 v33, v41, v44 :: v_dual_and_b32 v34, 0xffff0000, v34
	v_add3_u32 v41, v42, v32, 0x7fff
	v_or_b32_e32 v42, 0x400000, v32
	v_cmp_u_f32_e32 vcc_lo, v32, v32
	s_wait_alu 0xfffd
	s_delay_alu instid0(VALU_DEP_2) | instskip(SKIP_2) | instid1(VALU_DEP_3)
	v_dual_cndmask_b32 v32, v41, v42 :: v_dual_and_b32 v33, 0xffff0000, v33
	v_bfe_u32 v41, v30, 16, 1
	v_or_b32_e32 v42, 0x400000, v30
	v_and_b32_e32 v32, 0xffff0000, v32
	v_and_b32_e32 v37, 0xffff0000, v37
	s_delay_alu instid0(VALU_DEP_4) | instskip(NEXT) | instid1(VALU_DEP_3)
	v_add3_u32 v41, v41, v30, 0x7fff
	v_dual_add_f32 v32, v32, v33 :: v_dual_and_b32 v35, 0xffff0000, v35
	s_delay_alu instid0(VALU_DEP_3) | instskip(NEXT) | instid1(VALU_DEP_2)
	v_add_f32_e32 v36, v36, v37
	v_add_f32_e32 v34, v34, v35
	v_and_b32_e32 v39, 0xffff0000, v39
	s_delay_alu instid0(VALU_DEP_2) | instskip(SKIP_1) | instid1(VALU_DEP_2)
	v_dual_add_f32 v34, v34, v36 :: v_dual_lshlrev_b32 v35, 16, v73
	v_lshlrev_b32_e32 v33, 16, v72
	v_mul_f32_e32 v1, v1, v35
	s_delay_alu instid0(VALU_DEP_2) | instskip(SKIP_1) | instid1(VALU_DEP_1)
	v_mul_f32_e32 v7, v7, v33
	v_lshlrev_b32_e32 v33, 16, v71
	v_dual_mul_f32 v2, v2, v33 :: v_dual_lshlrev_b32 v31, 16, v31
	s_delay_alu instid0(VALU_DEP_1) | instskip(SKIP_1) | instid1(VALU_DEP_2)
	v_mul_f32_e32 v31, v4, v31
	v_dual_mul_f32 v4, v4, v13 :: v_dual_lshlrev_b32 v33, 16, v70
	v_bfe_u32 v43, v31, 16, 1
	v_or_b32_e32 v44, 0x400000, v31
	v_cmp_u_f32_e32 vcc_lo, v31, v31
	s_delay_alu instid0(VALU_DEP_4) | instskip(SKIP_2) | instid1(VALU_DEP_3)
	v_mul_f32_e32 v8, v8, v33
	v_lshlrev_b32_e32 v33, 16, v69
	v_add3_u32 v43, v43, v31, 0x7fff
	v_or_b32_e32 v13, 0x400000, v8
	s_wait_alu 0xfffd
	s_delay_alu instid0(VALU_DEP_2) | instskip(SKIP_2) | instid1(VALU_DEP_2)
	v_cndmask_b32_e32 v31, v43, v44, vcc_lo
	v_lshlrev_b32_e32 v43, 16, v74
	v_cmp_u_f32_e32 vcc_lo, v30, v30
	v_mul_f32_e32 v6, v6, v43
	s_wait_alu 0xfffd
	v_cndmask_b32_e32 v30, v41, v42, vcc_lo
	s_delay_alu instid0(VALU_DEP_2) | instskip(SKIP_1) | instid1(VALU_DEP_3)
	v_bfe_u32 v36, v6, 16, 1
	v_cmp_u_f32_e32 vcc_lo, v6, v6
	v_and_b32_e32 v30, 0xffff0000, v30
	s_delay_alu instid0(VALU_DEP_3) | instskip(SKIP_2) | instid1(VALU_DEP_1)
	v_add3_u32 v35, v36, v6, 0x7fff
	v_or_b32_e32 v36, 0x400000, v6
	s_wait_alu 0xfffd
	v_cndmask_b32_e32 v6, v35, v36, vcc_lo
	s_delay_alu instid0(VALU_DEP_1) | instskip(SKIP_3) | instid1(VALU_DEP_3)
	v_and_b32_e32 v6, 0xffff0000, v6
	v_bfe_u32 v37, v1, 16, 1
	v_or_b32_e32 v36, 0x400000, v1
	v_cmp_u_f32_e32 vcc_lo, v1, v1
	v_add3_u32 v35, v37, v1, 0x7fff
	v_bfe_u32 v37, v7, 16, 1
	s_wait_alu 0xfffd
	s_delay_alu instid0(VALU_DEP_2) | instskip(NEXT) | instid1(VALU_DEP_2)
	v_cndmask_b32_e32 v1, v35, v36, vcc_lo
	v_add3_u32 v35, v37, v7, 0x7fff
	v_or_b32_e32 v36, 0x400000, v7
	v_bfe_u32 v37, v2, 16, 1
	v_cmp_u_f32_e32 vcc_lo, v7, v7
	v_and_b32_e32 v1, 0xffff0000, v1
	s_wait_alu 0xfffd
	v_cndmask_b32_e32 v7, v35, v36, vcc_lo
	v_add3_u32 v35, v37, v2, 0x7fff
	v_or_b32_e32 v36, 0x400000, v2
	v_bfe_u32 v37, v8, 16, 1
	v_cmp_u_f32_e32 vcc_lo, v2, v2
	v_add_f32_e32 v1, v6, v1
	s_wait_alu 0xfffd
	v_dual_cndmask_b32 v2, v35, v36 :: v_dual_and_b32 v7, 0xffff0000, v7
	v_add3_u32 v35, v37, v8, 0x7fff
	v_cmp_u_f32_e32 vcc_lo, v8, v8
	v_bfe_u32 v37, v4, 16, 1
	v_bfe_u32 v36, v5, 16, 1
	v_and_b32_e32 v2, 0xffff0000, v2
	s_wait_alu 0xfffd
	v_cndmask_b32_e32 v8, v35, v13, vcc_lo
	v_mul_f32_e32 v3, v3, v33
	v_add3_u32 v13, v36, v5, 0x7fff
	v_or_b32_e32 v35, 0x400000, v5
	v_add_f32_e32 v2, v7, v2
	v_and_b32_e32 v6, 0xffff0000, v8
	v_bfe_u32 v33, v3, 16, 1
	v_cmp_u_f32_e32 vcc_lo, v3, v3
	v_and_b32_e32 v7, 0xffff0000, v31
	v_add_f32_e32 v1, v2, v1
	s_delay_alu instid0(VALU_DEP_4) | instskip(SKIP_1) | instid1(VALU_DEP_4)
	v_add3_u32 v14, v33, v3, 0x7fff
	v_or_b32_e32 v33, 0x400000, v3
	v_add_f32_e32 v7, v30, v7
	s_wait_alu 0xfffd
	s_delay_alu instid0(VALU_DEP_2) | instskip(SKIP_4) | instid1(VALU_DEP_2)
	v_cndmask_b32_e32 v3, v14, v33, vcc_lo
	v_add3_u32 v14, v37, v4, 0x7fff
	v_or_b32_e32 v33, 0x400000, v4
	v_cmp_u_f32_e32 vcc_lo, v4, v4
	s_wait_alu 0xfffd
	v_dual_cndmask_b32 v4, v14, v33 :: v_dual_and_b32 v3, 0xffff0000, v3
	v_cmp_u_f32_e32 vcc_lo, v5, v5
	s_delay_alu instid0(VALU_DEP_2) | instskip(NEXT) | instid1(VALU_DEP_3)
	v_add_f32_e32 v2, v6, v3
	v_dual_add_f32 v6, v32, v34 :: v_dual_and_b32 v3, 0xffff0000, v4
	s_wait_alu 0xfffd
	v_cndmask_b32_e32 v5, v13, v35, vcc_lo
	s_delay_alu instid0(VALU_DEP_3) | instskip(SKIP_1) | instid1(VALU_DEP_3)
	v_add_f32_e32 v1, v2, v1
	v_cmp_le_i32_e32 vcc_lo, s49, v18
	v_dual_add_f32 v5, v38, v39 :: v_dual_and_b32 v4, 0xffff0000, v5
	s_or_b32 s4, vcc_lo, s4
	s_delay_alu instid0(VALU_DEP_1) | instskip(NEXT) | instid1(VALU_DEP_2)
	v_dual_add_f32 v2, v4, v3 :: v_dual_add_f32 v3, v46, v49
	v_dual_add_f32 v4, v5, v40 :: v_dual_add_f32 v5, v7, v6
	s_delay_alu instid0(VALU_DEP_2) | instskip(NEXT) | instid1(VALU_DEP_3)
	v_add_f32_e32 v1, v2, v1
	v_add_f32_e32 v25, v25, v3
	s_delay_alu instid0(VALU_DEP_3) | instskip(NEXT) | instid1(VALU_DEP_3)
	v_dual_add_f32 v27, v27, v4 :: v_dual_add_f32 v26, v26, v5
	v_add_f32_e32 v21, v21, v1
	s_wait_alu 0xfffe
	s_and_not1_b32 exec_lo, exec_lo, s4
	s_cbranch_execz .LBB344_47
.LBB344_33:                             ; =>This Inner Loop Header: Depth=1
	global_load_b32 v1, v[11:12], off
	s_wait_alu 0xfffe
	v_cmp_eq_u32_e32 vcc_lo, s54, v18
	v_add_nc_u32_e32 v57, -4, v28
	v_add_nc_u32_e32 v55, -2, v28
	v_add_nc_u32_e32 v60, -1, v28
	s_wait_loadcnt 0x0
	v_mad_co_i64_i32 v[13:14], null, v1, s3, v[9:10]
	global_load_b64 v[30:31], v[13:14], off
	ds_load_2addr_b64 v[5:8], v29 offset1:1
	ds_load_2addr_b64 v[1:4], v29 offset0:2 offset1:3
	s_wait_loadcnt 0x0
	v_bfe_u32 v37, v31, 16, 8
	v_bfe_u32 v33, v30, 8, 8
	;; [unrolled: 1-line block ×4, first 2 shown]
	s_delay_alu instid0(VALU_DEP_4)
	v_cvt_f32_fp8_e32 v37, v37
	v_and_b32_e32 v32, 0xff, v30
	v_cvt_f32_fp8_e32 v33, v33
	v_add_nc_u32_e32 v58, -5, v28
	v_lshrrev_b32_e32 v30, 24, v30
	s_wait_kmcnt 0x0
	v_mul_f32_e32 v37, s2, v37
	v_cvt_f32_fp8_e32 v32, v32
	v_and_b32_e32 v35, 0xff, v31
	v_cvt_f32_fp8_e32 v34, v34
	v_mul_f32_e32 v33, s2, v33
	v_add_nc_u32_e32 v47, -7, v28
	v_mul_f32_e32 v32, s2, v32
	v_cvt_f32_fp8_e32 v30, v30
	v_mul_f32_e32 v34, s2, v34
	v_bfe_u32 v40, v33, 16, 1
	v_add_nc_u32_e32 v59, -6, v28
	v_bfe_u32 v38, v32, 16, 1
	v_or_b32_e32 v39, 0x400000, v32
	v_cmp_u_f32_e64 s0, v32, v32
	v_cvt_f32_fp8_e32 v35, v35
	v_mul_f32_e32 v30, s2, v30
	v_add3_u32 v38, v38, v32, 0x7fff
	v_or_b32_e32 v41, 0x400000, v33
	v_bfe_u32 v42, v34, 16, 1
	v_add3_u32 v40, v40, v33, 0x7fff
	v_dual_mul_f32 v35, s2, v35 :: v_dual_add_nc_u32 v56, -3, v28
	s_wait_alu 0xf1ff
	v_cndmask_b32_e64 v32, v38, v39, s0
	v_cmp_u_f32_e64 s0, v33, v33
	v_lshrrev_b32_e32 v31, 24, v31
	v_cvt_f32_fp8_e32 v36, v36
	v_or_b32_e32 v43, 0x400000, v34
	v_bfe_u32 v44, v30, 16, 1
	v_add3_u32 v42, v42, v34, 0x7fff
	s_wait_alu 0xf1ff
	v_cndmask_b32_e64 v33, v40, v41, s0
	v_cmp_u_f32_e64 s0, v34, v34
	v_cvt_f32_fp8_e32 v31, v31
	v_mul_f32_e32 v36, s2, v36
	v_or_b32_e32 v45, 0x400000, v30
	v_bfe_u32 v46, v35, 16, 1
	v_add3_u32 v44, v44, v30, 0x7fff
	s_wait_alu 0xf1ff
	v_cndmask_b32_e64 v34, v42, v43, s0
	v_cmp_u_f32_e64 s0, v30, v30
	v_mul_f32_e32 v31, s2, v31
	v_or_b32_e32 v48, 0x400000, v35
	v_bfe_u32 v49, v36, 16, 1
	v_add3_u32 v46, v46, v35, 0x7fff
	s_wait_alu 0xf1ff
	v_cndmask_b32_e64 v30, v44, v45, s0
	v_cmp_u_f32_e64 s0, v35, v35
	v_or_b32_e32 v50, 0x400000, v36
	v_bfe_u32 v51, v37, 16, 1
	v_add3_u32 v49, v49, v36, 0x7fff
	v_or_b32_e32 v52, 0x400000, v37
	s_wait_alu 0xf1ff
	v_cndmask_b32_e64 v38, v46, v48, s0
	v_cmp_u_f32_e64 s0, v36, v36
	v_bfe_u32 v53, v31, 16, 1
	v_add3_u32 v51, v51, v37, 0x7fff
	v_or_b32_e32 v54, 0x400000, v31
	v_lshrrev_b32_e32 v36, 16, v32
	s_wait_alu 0xf1ff
	v_cndmask_b32_e64 v39, v49, v50, s0
	v_cmp_u_f32_e64 s0, v37, v37
	v_add3_u32 v53, v53, v31, 0x7fff
	v_lshrrev_b32_e32 v37, 16, v33
	v_lshrrev_b32_e32 v34, 16, v34
	;; [unrolled: 1-line block ×3, first 2 shown]
	s_wait_alu 0xf1ff
	v_cndmask_b32_e64 v40, v51, v52, s0
	v_cmp_u_f32_e64 s0, v31, v31
	v_lshrrev_b32_e32 v32, 16, v38
	v_lshrrev_b32_e32 v33, 16, v39
	s_delay_alu instid0(VALU_DEP_4) | instskip(SKIP_2) | instid1(VALU_DEP_1)
	v_lshrrev_b32_e32 v30, 16, v40
	s_wait_alu 0xf1ff
	v_cndmask_b32_e64 v31, v53, v54, s0
	v_lshrrev_b32_e32 v31, 16, v31
	s_and_saveexec_b32 s5, vcc_lo
	s_cbranch_execz .LBB344_35
; %bb.34:                               ;   in Loop: Header=BB344_33 Depth=1
	v_cmp_gt_i32_e64 s0, s57, v47
	s_wait_alu 0xf1ff
	s_delay_alu instid0(VALU_DEP_1) | instskip(SKIP_2) | instid1(VALU_DEP_1)
	v_cndmask_b32_e64 v36, 0, v36, s0
	v_cmp_gt_i32_e64 s0, s57, v59
	s_wait_alu 0xf1ff
	v_cndmask_b32_e64 v37, 0, v37, s0
	v_cmp_gt_i32_e64 s0, s57, v58
	s_wait_alu 0xf1ff
	s_delay_alu instid0(VALU_DEP_1) | instskip(SKIP_2) | instid1(VALU_DEP_1)
	v_cndmask_b32_e64 v34, 0, v34, s0
	v_cmp_gt_i32_e64 s0, s57, v57
	s_wait_alu 0xf1ff
	v_cndmask_b32_e64 v35, 0, v35, s0
	;; [unrolled: 7-line block ×4, first 2 shown]
.LBB344_35:                             ;   in Loop: Header=BB344_33 Depth=1
	s_wait_alu 0xfffe
	s_or_b32 exec_lo, exec_lo, s5
	global_load_b64 v[38:39], v[13:14], off offset:256
	s_wait_loadcnt 0x0
	v_bfe_u32 v41, v38, 8, 8
	v_bfe_u32 v42, v38, 16, 8
	;; [unrolled: 1-line block ×4, first 2 shown]
	s_delay_alu instid0(VALU_DEP_4)
	v_cvt_f32_fp8_e32 v41, v41
	v_and_b32_e32 v40, 0xff, v38
	v_lshrrev_b32_e32 v38, 24, v38
	v_cvt_f32_fp8_e32 v42, v42
	v_cvt_f32_fp8_e32 v45, v45
	v_mul_f32_e32 v41, s2, v41
	v_cvt_f32_fp8_e32 v40, v40
	v_and_b32_e32 v43, 0xff, v39
	v_cvt_f32_fp8_e32 v38, v38
	v_lshrrev_b32_e32 v39, 24, v39
	v_bfe_u32 v49, v41, 16, 1
	v_mul_f32_e32 v40, s2, v40
	v_cvt_f32_fp8_e32 v43, v43
	v_mul_f32_e32 v42, s2, v42
	v_dual_mul_f32 v38, s2, v38 :: v_dual_mul_f32 v45, s2, v45
	s_delay_alu instid0(VALU_DEP_4)
	v_bfe_u32 v46, v40, 16, 1
	v_or_b32_e32 v48, 0x400000, v40
	v_cmp_u_f32_e64 s0, v40, v40
	v_mul_f32_e32 v43, s2, v43
	v_or_b32_e32 v50, 0x400000, v41
	v_add3_u32 v46, v46, v40, 0x7fff
	v_bfe_u32 v51, v42, 16, 1
	v_add3_u32 v49, v49, v41, 0x7fff
	v_cvt_f32_fp8_e32 v44, v44
	v_or_b32_e32 v52, 0x400000, v42
	s_wait_alu 0xf1ff
	v_cndmask_b32_e64 v40, v46, v48, s0
	v_cmp_u_f32_e64 s0, v41, v41
	v_bfe_u32 v53, v38, 16, 1
	v_add3_u32 v51, v51, v42, 0x7fff
	v_cvt_f32_fp8_e32 v39, v39
	v_mul_f32_e32 v44, s2, v44
	s_wait_alu 0xf1ff
	v_cndmask_b32_e64 v41, v49, v50, s0
	v_cmp_u_f32_e64 s0, v42, v42
	v_or_b32_e32 v54, 0x400000, v38
	v_bfe_u32 v61, v43, 16, 1
	v_add3_u32 v53, v53, v38, 0x7fff
	v_mul_f32_e32 v39, s2, v39
	s_wait_alu 0xf1ff
	v_cndmask_b32_e64 v42, v51, v52, s0
	v_cmp_u_f32_e64 s0, v38, v38
	v_or_b32_e32 v62, 0x400000, v43
	v_bfe_u32 v63, v44, 16, 1
	v_add3_u32 v61, v61, v43, 0x7fff
	v_or_b32_e32 v64, 0x400000, v44
	s_wait_alu 0xf1ff
	v_cndmask_b32_e64 v38, v53, v54, s0
	v_cmp_u_f32_e64 s0, v43, v43
	v_bfe_u32 v65, v45, 16, 1
	v_add3_u32 v63, v63, v44, 0x7fff
	v_or_b32_e32 v66, 0x400000, v45
	v_bfe_u32 v67, v39, 16, 1
	s_wait_alu 0xf1ff
	v_cndmask_b32_e64 v46, v61, v62, s0
	v_cmp_u_f32_e64 s0, v44, v44
	v_add3_u32 v65, v65, v45, 0x7fff
	v_or_b32_e32 v68, 0x400000, v39
	v_add3_u32 v67, v67, v39, 0x7fff
	v_lshrrev_b32_e32 v44, 16, v40
	s_wait_alu 0xf1ff
	v_cndmask_b32_e64 v48, v63, v64, s0
	v_cmp_u_f32_e64 s0, v45, v45
	v_lshrrev_b32_e32 v45, 16, v41
	v_lshrrev_b32_e32 v42, 16, v42
	v_lshrrev_b32_e32 v43, 16, v38
	v_lshrrev_b32_e32 v40, 16, v46
	s_wait_alu 0xf1ff
	v_cndmask_b32_e64 v49, v65, v66, s0
	v_cmp_u_f32_e64 s0, v39, v39
	v_lshrrev_b32_e32 v41, 16, v48
	s_delay_alu instid0(VALU_DEP_3) | instskip(SKIP_1) | instid1(VALU_DEP_3)
	v_lshrrev_b32_e32 v38, 16, v49
	s_wait_alu 0xf1ff
	v_cndmask_b32_e64 v39, v67, v68, s0
	s_delay_alu instid0(VALU_DEP_1)
	v_lshrrev_b32_e32 v39, 16, v39
	s_and_saveexec_b32 s5, vcc_lo
	s_cbranch_execz .LBB344_37
; %bb.36:                               ;   in Loop: Header=BB344_33 Depth=1
	v_cmp_gt_i32_e64 s0, s57, v47
	s_wait_alu 0xf1ff
	s_delay_alu instid0(VALU_DEP_1) | instskip(SKIP_2) | instid1(VALU_DEP_1)
	v_cndmask_b32_e64 v44, 0, v44, s0
	v_cmp_gt_i32_e64 s0, s57, v59
	s_wait_alu 0xf1ff
	v_cndmask_b32_e64 v45, 0, v45, s0
	v_cmp_gt_i32_e64 s0, s57, v58
	s_wait_alu 0xf1ff
	s_delay_alu instid0(VALU_DEP_1) | instskip(SKIP_2) | instid1(VALU_DEP_1)
	v_cndmask_b32_e64 v42, 0, v42, s0
	v_cmp_gt_i32_e64 s0, s57, v57
	s_wait_alu 0xf1ff
	v_cndmask_b32_e64 v43, 0, v43, s0
	;; [unrolled: 7-line block ×4, first 2 shown]
.LBB344_37:                             ;   in Loop: Header=BB344_33 Depth=1
	s_wait_alu 0xfffe
	s_or_b32 exec_lo, exec_lo, s5
	global_load_b64 v[48:49], v[13:14], off offset:512
	s_wait_loadcnt 0x0
	v_bfe_u32 v51, v48, 16, 8
	v_bfe_u32 v50, v48, 8, 8
	;; [unrolled: 1-line block ×3, first 2 shown]
	v_and_b32_e32 v52, 0xff, v49
	v_bfe_u32 v54, v49, 16, 8
	v_cvt_f32_fp8_e32 v51, v51
	v_and_b32_e32 v46, 0xff, v48
	v_lshrrev_b32_e32 v49, 24, v49
	v_cvt_f32_fp8_e32 v50, v50
	v_cvt_f32_fp8_e32 v53, v53
	v_mul_f32_e32 v51, s2, v51
	v_cvt_f32_fp8_e32 v46, v46
	v_lshrrev_b32_e32 v48, 24, v48
	v_cvt_f32_fp8_e32 v49, v49
	v_dual_mul_f32 v50, s2, v50 :: v_dual_mul_f32 v53, s2, v53
	s_delay_alu instid0(VALU_DEP_4) | instskip(NEXT) | instid1(VALU_DEP_4)
	v_mul_f32_e32 v46, s2, v46
	v_cvt_f32_fp8_e32 v48, v48
	s_delay_alu instid0(VALU_DEP_4) | instskip(NEXT) | instid1(VALU_DEP_4)
	v_mul_f32_e32 v49, s2, v49
	v_bfe_u32 v63, v50, 16, 1
	v_cvt_f32_fp8_e32 v52, v52
	v_bfe_u32 v61, v46, 16, 1
	v_or_b32_e32 v62, 0x400000, v46
	v_cmp_u_f32_e64 s0, v46, v46
	v_mul_f32_e32 v48, s2, v48
	v_or_b32_e32 v64, 0x400000, v50
	v_add3_u32 v61, v61, v46, 0x7fff
	v_bfe_u32 v65, v51, 16, 1
	v_add3_u32 v63, v63, v50, 0x7fff
	v_mul_f32_e32 v52, s2, v52
	v_or_b32_e32 v66, 0x400000, v51
	s_wait_alu 0xf1ff
	v_cndmask_b32_e64 v46, v61, v62, s0
	v_cmp_u_f32_e64 s0, v50, v50
	v_bfe_u32 v67, v48, 16, 1
	v_add3_u32 v65, v65, v51, 0x7fff
	v_cvt_f32_fp8_e32 v54, v54
	v_or_b32_e32 v68, 0x400000, v48
	s_wait_alu 0xf1ff
	v_cndmask_b32_e64 v50, v63, v64, s0
	v_cmp_u_f32_e64 s0, v51, v51
	v_bfe_u32 v69, v52, 16, 1
	v_add3_u32 v67, v67, v48, 0x7fff
	v_mul_f32_e32 v54, s2, v54
	v_or_b32_e32 v70, 0x400000, v52
	s_wait_alu 0xf1ff
	v_cndmask_b32_e64 v51, v65, v66, s0
	v_cmp_u_f32_e64 s0, v48, v48
	v_bfe_u32 v71, v53, 16, 1
	v_add3_u32 v69, v69, v52, 0x7fff
	v_or_b32_e32 v72, 0x400000, v53
	v_bfe_u32 v73, v54, 16, 1
	s_wait_alu 0xf1ff
	v_cndmask_b32_e64 v48, v67, v68, s0
	v_cmp_u_f32_e64 s0, v52, v52
	v_add3_u32 v71, v71, v53, 0x7fff
	v_or_b32_e32 v74, 0x400000, v54
	v_bfe_u32 v75, v49, 16, 1
	v_add3_u32 v73, v73, v54, 0x7fff
	s_wait_alu 0xf1ff
	v_cndmask_b32_e64 v61, v69, v70, s0
	v_cmp_u_f32_e64 s0, v53, v53
	v_or_b32_e32 v76, 0x400000, v49
	v_add3_u32 v75, v75, v49, 0x7fff
	v_lshrrev_b32_e32 v53, 16, v46
	v_lshrrev_b32_e32 v51, 16, v51
	s_wait_alu 0xf1ff
	v_cndmask_b32_e64 v62, v71, v72, s0
	v_cmp_u_f32_e64 s0, v54, v54
	v_lshrrev_b32_e32 v54, 16, v50
	v_lshrrev_b32_e32 v52, 16, v48
	s_delay_alu instid0(VALU_DEP_4) | instskip(SKIP_4) | instid1(VALU_DEP_3)
	v_lshrrev_b32_e32 v50, 16, v62
	s_wait_alu 0xf1ff
	v_cndmask_b32_e64 v63, v73, v74, s0
	v_cmp_u_f32_e64 s0, v49, v49
	v_lshrrev_b32_e32 v49, 16, v61
	v_lshrrev_b32_e32 v46, 16, v63
	s_wait_alu 0xf1ff
	s_delay_alu instid0(VALU_DEP_3) | instskip(NEXT) | instid1(VALU_DEP_1)
	v_cndmask_b32_e64 v64, v75, v76, s0
	v_lshrrev_b32_e32 v48, 16, v64
	s_and_saveexec_b32 s5, vcc_lo
	s_cbranch_execz .LBB344_39
; %bb.38:                               ;   in Loop: Header=BB344_33 Depth=1
	v_cmp_gt_i32_e64 s0, s57, v47
	s_wait_alu 0xf1ff
	s_delay_alu instid0(VALU_DEP_1) | instskip(SKIP_2) | instid1(VALU_DEP_1)
	v_cndmask_b32_e64 v53, 0, v53, s0
	v_cmp_gt_i32_e64 s0, s57, v59
	s_wait_alu 0xf1ff
	v_cndmask_b32_e64 v54, 0, v54, s0
	v_cmp_gt_i32_e64 s0, s57, v58
	s_wait_alu 0xf1ff
	s_delay_alu instid0(VALU_DEP_1) | instskip(SKIP_2) | instid1(VALU_DEP_1)
	v_cndmask_b32_e64 v51, 0, v51, s0
	v_cmp_gt_i32_e64 s0, s57, v57
	s_wait_alu 0xf1ff
	v_cndmask_b32_e64 v52, 0, v52, s0
	;; [unrolled: 7-line block ×4, first 2 shown]
.LBB344_39:                             ;   in Loop: Header=BB344_33 Depth=1
	s_wait_alu 0xfffe
	s_or_b32 exec_lo, exec_lo, s5
	global_load_b64 v[61:62], v[13:14], off offset:768
	s_wait_loadcnt 0x0
	v_bfe_u32 v64, v61, 8, 8
	v_bfe_u32 v65, v61, 16, 8
	v_bfe_u32 v68, v62, 16, 8
	v_bfe_u32 v67, v62, 8, 8
	s_delay_alu instid0(VALU_DEP_4)
	v_cvt_f32_fp8_e32 v64, v64
	v_and_b32_e32 v63, 0xff, v61
	v_lshrrev_b32_e32 v61, 24, v61
	v_cvt_f32_fp8_e32 v65, v65
	v_cvt_f32_fp8_e32 v68, v68
	v_mul_f32_e32 v64, s2, v64
	v_cvt_f32_fp8_e32 v63, v63
	v_and_b32_e32 v66, 0xff, v62
	v_cvt_f32_fp8_e32 v61, v61
	v_lshrrev_b32_e32 v62, 24, v62
	v_bfe_u32 v71, v64, 16, 1
	v_mul_f32_e32 v63, s2, v63
	v_cvt_f32_fp8_e32 v66, v66
	v_mul_f32_e32 v65, s2, v65
	v_dual_mul_f32 v61, s2, v61 :: v_dual_mul_f32 v68, s2, v68
	s_delay_alu instid0(VALU_DEP_4)
	v_bfe_u32 v69, v63, 16, 1
	v_or_b32_e32 v70, 0x400000, v63
	v_cmp_u_f32_e64 s0, v63, v63
	v_mul_f32_e32 v66, s2, v66
	v_or_b32_e32 v72, 0x400000, v64
	v_add3_u32 v69, v69, v63, 0x7fff
	v_bfe_u32 v73, v65, 16, 1
	v_add3_u32 v71, v71, v64, 0x7fff
	v_cvt_f32_fp8_e32 v67, v67
	v_or_b32_e32 v74, 0x400000, v65
	s_wait_alu 0xf1ff
	v_cndmask_b32_e64 v63, v69, v70, s0
	v_cmp_u_f32_e64 s0, v64, v64
	v_bfe_u32 v75, v61, 16, 1
	v_add3_u32 v73, v73, v65, 0x7fff
	v_cvt_f32_fp8_e32 v62, v62
	v_mul_f32_e32 v67, s2, v67
	s_wait_alu 0xf1ff
	v_cndmask_b32_e64 v64, v71, v72, s0
	v_cmp_u_f32_e64 s0, v65, v65
	v_or_b32_e32 v76, 0x400000, v61
	v_bfe_u32 v77, v66, 16, 1
	v_add3_u32 v75, v75, v61, 0x7fff
	v_mul_f32_e32 v62, s2, v62
	s_wait_alu 0xf1ff
	v_cndmask_b32_e64 v65, v73, v74, s0
	v_cmp_u_f32_e64 s0, v61, v61
	v_or_b32_e32 v78, 0x400000, v66
	v_bfe_u32 v79, v67, 16, 1
	v_add3_u32 v77, v77, v66, 0x7fff
	v_or_b32_e32 v80, 0x400000, v67
	s_wait_alu 0xf1ff
	v_cndmask_b32_e64 v61, v75, v76, s0
	v_cmp_u_f32_e64 s0, v66, v66
	v_bfe_u32 v81, v68, 16, 1
	v_add3_u32 v79, v79, v67, 0x7fff
	v_or_b32_e32 v82, 0x400000, v68
	v_bfe_u32 v83, v62, 16, 1
	s_wait_alu 0xf1ff
	v_cndmask_b32_e64 v69, v77, v78, s0
	v_cmp_u_f32_e64 s0, v67, v67
	v_add3_u32 v81, v81, v68, 0x7fff
	v_or_b32_e32 v84, 0x400000, v62
	v_add3_u32 v83, v83, v62, 0x7fff
	v_lshrrev_b32_e32 v67, 16, v63
	s_wait_alu 0xf1ff
	v_cndmask_b32_e64 v70, v79, v80, s0
	v_cmp_u_f32_e64 s0, v68, v68
	v_lshrrev_b32_e32 v68, 16, v64
	v_lshrrev_b32_e32 v65, 16, v65
	;; [unrolled: 1-line block ×4, first 2 shown]
	s_wait_alu 0xf1ff
	v_cndmask_b32_e64 v71, v81, v82, s0
	v_cmp_u_f32_e64 s0, v62, v62
	v_lshrrev_b32_e32 v64, 16, v70
	s_delay_alu instid0(VALU_DEP_3) | instskip(SKIP_1) | instid1(VALU_DEP_3)
	v_lshrrev_b32_e32 v61, 16, v71
	s_wait_alu 0xf1ff
	v_cndmask_b32_e64 v62, v83, v84, s0
	s_delay_alu instid0(VALU_DEP_1)
	v_lshrrev_b32_e32 v62, 16, v62
	s_and_saveexec_b32 s5, vcc_lo
	s_cbranch_execz .LBB344_41
; %bb.40:                               ;   in Loop: Header=BB344_33 Depth=1
	v_cmp_gt_i32_e64 s0, s57, v47
	s_wait_alu 0xf1ff
	s_delay_alu instid0(VALU_DEP_1) | instskip(SKIP_2) | instid1(VALU_DEP_1)
	v_cndmask_b32_e64 v67, 0, v67, s0
	v_cmp_gt_i32_e64 s0, s57, v59
	s_wait_alu 0xf1ff
	v_cndmask_b32_e64 v68, 0, v68, s0
	v_cmp_gt_i32_e64 s0, s57, v58
	s_wait_alu 0xf1ff
	s_delay_alu instid0(VALU_DEP_1) | instskip(SKIP_2) | instid1(VALU_DEP_1)
	v_cndmask_b32_e64 v65, 0, v65, s0
	v_cmp_gt_i32_e64 s0, s57, v57
	s_wait_alu 0xf1ff
	v_cndmask_b32_e64 v66, 0, v66, s0
	;; [unrolled: 7-line block ×4, first 2 shown]
.LBB344_41:                             ;   in Loop: Header=BB344_33 Depth=1
	s_wait_alu 0xfffe
	s_or_b32 exec_lo, exec_lo, s5
	global_load_b64 v[69:70], v[13:14], off offset:1024
	s_wait_loadcnt 0x0
	v_bfe_u32 v72, v69, 8, 8
	v_bfe_u32 v73, v69, 16, 8
	;; [unrolled: 1-line block ×4, first 2 shown]
	s_delay_alu instid0(VALU_DEP_4)
	v_cvt_f32_fp8_e32 v72, v72
	v_and_b32_e32 v71, 0xff, v69
	v_lshrrev_b32_e32 v69, 24, v69
	v_cvt_f32_fp8_e32 v73, v73
	v_cvt_f32_fp8_e32 v76, v76
	v_mul_f32_e32 v72, s2, v72
	v_cvt_f32_fp8_e32 v71, v71
	v_and_b32_e32 v74, 0xff, v70
	v_cvt_f32_fp8_e32 v69, v69
	v_lshrrev_b32_e32 v70, 24, v70
	v_bfe_u32 v79, v72, 16, 1
	v_mul_f32_e32 v71, s2, v71
	v_cvt_f32_fp8_e32 v74, v74
	v_mul_f32_e32 v73, s2, v73
	v_dual_mul_f32 v69, s2, v69 :: v_dual_mul_f32 v76, s2, v76
	s_delay_alu instid0(VALU_DEP_4)
	v_bfe_u32 v77, v71, 16, 1
	v_or_b32_e32 v78, 0x400000, v71
	v_cmp_u_f32_e64 s0, v71, v71
	v_mul_f32_e32 v74, s2, v74
	v_or_b32_e32 v80, 0x400000, v72
	v_add3_u32 v77, v77, v71, 0x7fff
	v_bfe_u32 v81, v73, 16, 1
	v_add3_u32 v79, v79, v72, 0x7fff
	v_cvt_f32_fp8_e32 v75, v75
	v_or_b32_e32 v82, 0x400000, v73
	s_wait_alu 0xf1ff
	v_cndmask_b32_e64 v71, v77, v78, s0
	v_cmp_u_f32_e64 s0, v72, v72
	v_bfe_u32 v83, v69, 16, 1
	v_add3_u32 v81, v81, v73, 0x7fff
	v_cvt_f32_fp8_e32 v70, v70
	v_mul_f32_e32 v75, s2, v75
	s_wait_alu 0xf1ff
	v_cndmask_b32_e64 v72, v79, v80, s0
	v_cmp_u_f32_e64 s0, v73, v73
	v_or_b32_e32 v84, 0x400000, v69
	v_bfe_u32 v85, v74, 16, 1
	v_add3_u32 v83, v83, v69, 0x7fff
	v_mul_f32_e32 v70, s2, v70
	s_wait_alu 0xf1ff
	v_cndmask_b32_e64 v73, v81, v82, s0
	v_cmp_u_f32_e64 s0, v69, v69
	v_or_b32_e32 v86, 0x400000, v74
	v_bfe_u32 v87, v75, 16, 1
	v_add3_u32 v85, v85, v74, 0x7fff
	v_or_b32_e32 v88, 0x400000, v75
	s_wait_alu 0xf1ff
	v_cndmask_b32_e64 v69, v83, v84, s0
	v_cmp_u_f32_e64 s0, v74, v74
	v_bfe_u32 v89, v76, 16, 1
	v_add3_u32 v87, v87, v75, 0x7fff
	v_or_b32_e32 v90, 0x400000, v76
	v_bfe_u32 v91, v70, 16, 1
	s_wait_alu 0xf1ff
	v_cndmask_b32_e64 v74, v85, v86, s0
	v_cmp_u_f32_e64 s0, v75, v75
	v_add3_u32 v89, v89, v76, 0x7fff
	v_or_b32_e32 v92, 0x400000, v70
	v_add3_u32 v91, v91, v70, 0x7fff
	v_lshrrev_b32_e32 v81, 16, v71
	s_wait_alu 0xf1ff
	v_cndmask_b32_e64 v75, v87, v88, s0
	v_cmp_u_f32_e64 s0, v76, v76
	v_lshrrev_b32_e32 v82, 16, v72
	v_lshrrev_b32_e32 v79, 16, v73
	;; [unrolled: 1-line block ×4, first 2 shown]
	s_wait_alu 0xf1ff
	v_cndmask_b32_e64 v76, v89, v90, s0
	v_cmp_u_f32_e64 s0, v70, v70
	v_lshrrev_b32_e32 v78, 16, v75
	s_delay_alu instid0(VALU_DEP_3) | instskip(SKIP_1) | instid1(VALU_DEP_3)
	v_lshrrev_b32_e32 v75, 16, v76
	s_wait_alu 0xf1ff
	v_cndmask_b32_e64 v70, v91, v92, s0
	s_delay_alu instid0(VALU_DEP_1)
	v_lshrrev_b32_e32 v76, 16, v70
	s_and_saveexec_b32 s5, vcc_lo
	s_cbranch_execz .LBB344_43
; %bb.42:                               ;   in Loop: Header=BB344_33 Depth=1
	v_cmp_gt_i32_e64 s0, s57, v47
	s_wait_alu 0xf1ff
	s_delay_alu instid0(VALU_DEP_1) | instskip(SKIP_2) | instid1(VALU_DEP_1)
	v_cndmask_b32_e64 v81, 0, v81, s0
	v_cmp_gt_i32_e64 s0, s57, v59
	s_wait_alu 0xf1ff
	v_cndmask_b32_e64 v82, 0, v82, s0
	v_cmp_gt_i32_e64 s0, s57, v58
	s_wait_alu 0xf1ff
	s_delay_alu instid0(VALU_DEP_1) | instskip(SKIP_2) | instid1(VALU_DEP_1)
	v_cndmask_b32_e64 v79, 0, v79, s0
	v_cmp_gt_i32_e64 s0, s57, v57
	s_wait_alu 0xf1ff
	v_cndmask_b32_e64 v80, 0, v80, s0
	;; [unrolled: 7-line block ×4, first 2 shown]
.LBB344_43:                             ;   in Loop: Header=BB344_33 Depth=1
	s_wait_alu 0xfffe
	s_or_b32 exec_lo, exec_lo, s5
	global_load_b64 v[69:70], v[13:14], off offset:1280
	s_wait_loadcnt 0x0
	v_bfe_u32 v72, v69, 8, 8
	v_bfe_u32 v73, v69, 16, 8
	;; [unrolled: 1-line block ×4, first 2 shown]
	s_delay_alu instid0(VALU_DEP_4)
	v_cvt_f32_fp8_e32 v72, v72
	v_and_b32_e32 v71, 0xff, v69
	v_lshrrev_b32_e32 v69, 24, v69
	v_cvt_f32_fp8_e32 v73, v73
	v_cvt_f32_fp8_e32 v84, v84
	v_mul_f32_e32 v72, s2, v72
	v_cvt_f32_fp8_e32 v71, v71
	v_and_b32_e32 v74, 0xff, v70
	v_cvt_f32_fp8_e32 v69, v69
	v_lshrrev_b32_e32 v70, 24, v70
	v_bfe_u32 v87, v72, 16, 1
	v_mul_f32_e32 v71, s2, v71
	v_cvt_f32_fp8_e32 v74, v74
	v_mul_f32_e32 v73, s2, v73
	v_dual_mul_f32 v69, s2, v69 :: v_dual_mul_f32 v84, s2, v84
	s_delay_alu instid0(VALU_DEP_4)
	v_bfe_u32 v85, v71, 16, 1
	v_or_b32_e32 v86, 0x400000, v71
	v_cmp_u_f32_e64 s0, v71, v71
	v_mul_f32_e32 v74, s2, v74
	v_or_b32_e32 v88, 0x400000, v72
	v_add3_u32 v85, v85, v71, 0x7fff
	v_bfe_u32 v89, v73, 16, 1
	v_add3_u32 v87, v87, v72, 0x7fff
	v_cvt_f32_fp8_e32 v83, v83
	v_or_b32_e32 v90, 0x400000, v73
	s_wait_alu 0xf1ff
	v_cndmask_b32_e64 v71, v85, v86, s0
	v_cmp_u_f32_e64 s0, v72, v72
	v_bfe_u32 v91, v69, 16, 1
	v_add3_u32 v89, v89, v73, 0x7fff
	v_cvt_f32_fp8_e32 v70, v70
	v_mul_f32_e32 v83, s2, v83
	s_wait_alu 0xf1ff
	v_cndmask_b32_e64 v72, v87, v88, s0
	v_cmp_u_f32_e64 s0, v73, v73
	v_or_b32_e32 v92, 0x400000, v69
	v_bfe_u32 v93, v74, 16, 1
	v_add3_u32 v91, v91, v69, 0x7fff
	v_mul_f32_e32 v70, s2, v70
	s_wait_alu 0xf1ff
	v_cndmask_b32_e64 v73, v89, v90, s0
	v_cmp_u_f32_e64 s0, v69, v69
	v_or_b32_e32 v94, 0x400000, v74
	v_bfe_u32 v95, v83, 16, 1
	v_add3_u32 v93, v93, v74, 0x7fff
	v_or_b32_e32 v96, 0x400000, v83
	s_wait_alu 0xf1ff
	v_cndmask_b32_e64 v69, v91, v92, s0
	v_cmp_u_f32_e64 s0, v74, v74
	v_bfe_u32 v97, v84, 16, 1
	v_add3_u32 v95, v95, v83, 0x7fff
	v_or_b32_e32 v98, 0x400000, v84
	v_bfe_u32 v99, v70, 16, 1
	s_wait_alu 0xf1ff
	v_cndmask_b32_e64 v74, v93, v94, s0
	v_cmp_u_f32_e64 s0, v83, v83
	v_add3_u32 v97, v97, v84, 0x7fff
	v_or_b32_e32 v100, 0x400000, v70
	v_add3_u32 v99, v99, v70, 0x7fff
	v_lshrrev_b32_e32 v89, 16, v71
	s_wait_alu 0xf1ff
	v_cndmask_b32_e64 v83, v95, v96, s0
	v_cmp_u_f32_e64 s0, v84, v84
	v_lshrrev_b32_e32 v90, 16, v72
	v_lshrrev_b32_e32 v87, 16, v73
	;; [unrolled: 1-line block ×4, first 2 shown]
	s_wait_alu 0xf1ff
	v_cndmask_b32_e64 v84, v97, v98, s0
	v_cmp_u_f32_e64 s0, v70, v70
	v_lshrrev_b32_e32 v86, 16, v83
	s_delay_alu instid0(VALU_DEP_3) | instskip(SKIP_1) | instid1(VALU_DEP_3)
	v_lshrrev_b32_e32 v83, 16, v84
	s_wait_alu 0xf1ff
	v_cndmask_b32_e64 v70, v99, v100, s0
	s_delay_alu instid0(VALU_DEP_1)
	v_lshrrev_b32_e32 v84, 16, v70
	s_and_saveexec_b32 s5, vcc_lo
	s_cbranch_execz .LBB344_45
; %bb.44:                               ;   in Loop: Header=BB344_33 Depth=1
	v_cmp_gt_i32_e64 s0, s57, v47
	s_wait_alu 0xf1ff
	s_delay_alu instid0(VALU_DEP_1) | instskip(SKIP_2) | instid1(VALU_DEP_1)
	v_cndmask_b32_e64 v89, 0, v89, s0
	v_cmp_gt_i32_e64 s0, s57, v59
	s_wait_alu 0xf1ff
	v_cndmask_b32_e64 v90, 0, v90, s0
	v_cmp_gt_i32_e64 s0, s57, v58
	s_wait_alu 0xf1ff
	s_delay_alu instid0(VALU_DEP_1) | instskip(SKIP_2) | instid1(VALU_DEP_1)
	v_cndmask_b32_e64 v87, 0, v87, s0
	v_cmp_gt_i32_e64 s0, s57, v57
	s_wait_alu 0xf1ff
	v_cndmask_b32_e64 v88, 0, v88, s0
	;; [unrolled: 7-line block ×4, first 2 shown]
.LBB344_45:                             ;   in Loop: Header=BB344_33 Depth=1
	s_wait_alu 0xfffe
	s_or_b32 exec_lo, exec_lo, s5
	global_load_b64 v[13:14], v[13:14], off offset:1536
	s_wait_loadcnt 0x0
	v_bfe_u32 v70, v13, 8, 8
	v_bfe_u32 v71, v13, 16, 8
	;; [unrolled: 1-line block ×4, first 2 shown]
	s_delay_alu instid0(VALU_DEP_4)
	v_cvt_f32_fp8_e32 v70, v70
	v_and_b32_e32 v69, 0xff, v13
	v_lshrrev_b32_e32 v13, 24, v13
	v_cvt_f32_fp8_e32 v71, v71
	v_cvt_f32_fp8_e32 v74, v74
	v_mul_f32_e32 v70, s2, v70
	v_cvt_f32_fp8_e32 v69, v69
	v_and_b32_e32 v72, 0xff, v14
	v_cvt_f32_fp8_e32 v13, v13
	v_lshrrev_b32_e32 v14, 24, v14
	v_bfe_u32 v93, v70, 16, 1
	v_mul_f32_e32 v69, s2, v69
	v_cvt_f32_fp8_e32 v72, v72
	v_mul_f32_e32 v71, s2, v71
	v_dual_mul_f32 v13, s2, v13 :: v_dual_mul_f32 v74, s2, v74
	s_delay_alu instid0(VALU_DEP_4)
	v_bfe_u32 v91, v69, 16, 1
	v_or_b32_e32 v92, 0x400000, v69
	v_cmp_u_f32_e64 s0, v69, v69
	v_mul_f32_e32 v72, s2, v72
	v_or_b32_e32 v94, 0x400000, v70
	v_add3_u32 v91, v91, v69, 0x7fff
	v_bfe_u32 v95, v71, 16, 1
	v_add3_u32 v93, v93, v70, 0x7fff
	v_cvt_f32_fp8_e32 v73, v73
	v_or_b32_e32 v96, 0x400000, v71
	s_wait_alu 0xf1ff
	v_cndmask_b32_e64 v69, v91, v92, s0
	v_cmp_u_f32_e64 s0, v70, v70
	v_bfe_u32 v97, v13, 16, 1
	v_add3_u32 v95, v95, v71, 0x7fff
	v_cvt_f32_fp8_e32 v14, v14
	v_mul_f32_e32 v73, s2, v73
	s_wait_alu 0xf1ff
	v_cndmask_b32_e64 v70, v93, v94, s0
	v_cmp_u_f32_e64 s0, v71, v71
	v_or_b32_e32 v98, 0x400000, v13
	v_bfe_u32 v99, v72, 16, 1
	v_add3_u32 v97, v97, v13, 0x7fff
	v_mul_f32_e32 v14, s2, v14
	s_wait_alu 0xf1ff
	v_cndmask_b32_e64 v71, v95, v96, s0
	v_cmp_u_f32_e64 s0, v13, v13
	v_or_b32_e32 v100, 0x400000, v72
	v_bfe_u32 v101, v73, 16, 1
	v_add3_u32 v99, v99, v72, 0x7fff
	v_or_b32_e32 v102, 0x400000, v73
	s_wait_alu 0xf1ff
	v_cndmask_b32_e64 v13, v97, v98, s0
	v_cmp_u_f32_e64 s0, v72, v72
	v_bfe_u32 v103, v74, 16, 1
	v_add3_u32 v101, v101, v73, 0x7fff
	v_or_b32_e32 v104, 0x400000, v74
	v_bfe_u32 v105, v14, 16, 1
	s_wait_alu 0xf1ff
	v_cndmask_b32_e64 v91, v99, v100, s0
	v_cmp_u_f32_e64 s0, v73, v73
	v_add3_u32 v103, v103, v74, 0x7fff
	v_or_b32_e32 v106, 0x400000, v14
	v_add3_u32 v105, v105, v14, 0x7fff
	v_lshrrev_b32_e32 v73, 16, v70
	s_wait_alu 0xf1ff
	v_cndmask_b32_e64 v92, v101, v102, s0
	v_cmp_u_f32_e64 s0, v74, v74
	v_lshrrev_b32_e32 v74, 16, v69
	v_lshrrev_b32_e32 v72, 16, v71
	;; [unrolled: 1-line block ×4, first 2 shown]
	s_wait_alu 0xf1ff
	v_cndmask_b32_e64 v93, v103, v104, s0
	v_cmp_u_f32_e64 s0, v14, v14
	v_lshrrev_b32_e32 v69, 16, v92
	s_delay_alu instid0(VALU_DEP_3) | instskip(SKIP_1) | instid1(VALU_DEP_3)
	v_lshrrev_b32_e32 v14, 16, v93
	s_wait_alu 0xf1ff
	v_cndmask_b32_e64 v94, v105, v106, s0
	s_delay_alu instid0(VALU_DEP_1)
	v_lshrrev_b32_e32 v13, 16, v94
	s_and_saveexec_b32 s0, vcc_lo
	s_cbranch_execz .LBB344_32
; %bb.46:                               ;   in Loop: Header=BB344_33 Depth=1
	v_cmp_gt_i32_e32 vcc_lo, s57, v47
	s_wait_alu 0xfffd
	v_cndmask_b32_e32 v74, 0, v74, vcc_lo
	v_cmp_gt_i32_e32 vcc_lo, s57, v59
	s_wait_alu 0xfffd
	v_cndmask_b32_e32 v73, 0, v73, vcc_lo
	;; [unrolled: 3-line block ×8, first 2 shown]
	s_branch .LBB344_32
.LBB344_47:
	s_or_b32 exec_lo, exec_lo, s4
.LBB344_48:
	s_wait_alu 0xfffe
	s_or_b32 exec_lo, exec_lo, s1
	ds_bpermute_b32 v1, v20, v26
	ds_bpermute_b32 v2, v20, v27
	;; [unrolled: 1-line block ×7, first 2 shown]
	v_lshrrev_b32_e32 v8, 1, v19
	v_mul_u32_u24_e32 v10, 0x1c0, v17
	v_and_b32_e32 v14, 0x3c1, v0
	s_mov_b32 s0, exec_lo
	s_wait_storecnt 0x0
	s_wait_loadcnt_dscnt 0x0
	v_lshl_add_u32 v9, v8, 2, 0x100
	s_barrier_signal -1
	s_barrier_wait -1
	global_inv scope:SCOPE_SE
	v_dual_add_f32 v7, v26, v1 :: v_dual_add_f32 v6, v27, v2
	v_dual_add_f32 v5, v25, v3 :: v_dual_add_f32 v4, v24, v4
	;; [unrolled: 1-line block ×3, first 2 shown]
	v_add_f32_e32 v1, v21, v13
	v_cmpx_eq_u32_e32 64, v14
	s_cbranch_execz .LBB344_50
; %bb.49:
	v_add_nc_u32_e32 v11, v9, v10
	s_delay_alu instid0(VALU_DEP_1)
	v_add_nc_u32_e32 v12, 0xfffffc80, v11
	v_add_nc_u32_e32 v13, 0xfffffcc0, v11
	;; [unrolled: 1-line block ×7, first 2 shown]
	ds_store_b32 v12, v7
	ds_store_b32 v13, v6
	;; [unrolled: 1-line block ×7, first 2 shown]
.LBB344_50:
	s_wait_alu 0xfffe
	s_or_b32 exec_lo, exec_lo, s0
	v_lshlrev_b32_e32 v8, 2, v8
	s_mov_b32 s1, exec_lo
	v_cmp_eq_u32_e32 vcc_lo, 0, v16
	s_wait_loadcnt_dscnt 0x0
	s_barrier_signal -1
	v_add3_u32 v8, 0x100, v10, v8
	s_barrier_wait -1
	global_inv scope:SCOPE_SE
	v_cmpx_gt_u32_e32 64, v0
	s_cbranch_execz .LBB344_60
; %bb.51:
	s_and_saveexec_b32 s0, vcc_lo
	s_cbranch_execnz .LBB344_75
; %bb.52:
	s_wait_alu 0xfffe
	s_or_b32 exec_lo, exec_lo, s0
	s_and_saveexec_b32 s0, vcc_lo
	s_cbranch_execnz .LBB344_76
.LBB344_53:
	s_wait_alu 0xfffe
	s_or_b32 exec_lo, exec_lo, s0
	s_and_saveexec_b32 s0, vcc_lo
	s_cbranch_execnz .LBB344_77
.LBB344_54:
	s_wait_alu 0xfffe
	s_or_b32 exec_lo, exec_lo, s0
	s_and_saveexec_b32 s0, vcc_lo
	s_cbranch_execnz .LBB344_78
.LBB344_55:
	s_wait_alu 0xfffe
	s_or_b32 exec_lo, exec_lo, s0
	s_and_saveexec_b32 s0, vcc_lo
	s_cbranch_execnz .LBB344_79
.LBB344_56:
	s_wait_alu 0xfffe
	s_or_b32 exec_lo, exec_lo, s0
	s_and_saveexec_b32 s0, vcc_lo
	s_cbranch_execnz .LBB344_80
.LBB344_57:
	s_wait_alu 0xfffe
	s_or_b32 exec_lo, exec_lo, s0
	s_and_saveexec_b32 s0, vcc_lo
	s_cbranch_execz .LBB344_59
.LBB344_58:
	ds_load_b32 v10, v8 offset:384
	s_wait_dscnt 0x0
	v_add_f32_e32 v1, v1, v10
.LBB344_59:
	s_wait_alu 0xfffe
	s_or_b32 exec_lo, exec_lo, s0
.LBB344_60:
	s_wait_alu 0xfffe
	s_or_b32 exec_lo, exec_lo, s1
	v_and_b32_e32 v10, 0x3e1, v0
	s_mov_b32 s1, exec_lo
	s_wait_loadcnt 0x0
	s_barrier_signal -1
	s_barrier_wait -1
	global_inv scope:SCOPE_SE
	v_cmpx_eq_u32_e32 32, v10
	s_cbranch_execz .LBB344_62
; %bb.61:
	ds_store_2addr_b32 v9, v7, v6 offset1:16
	ds_store_2addr_b32 v9, v5, v4 offset0:32 offset1:48
	ds_store_2addr_b32 v9, v3, v2 offset0:64 offset1:80
	ds_store_b32 v9, v1 offset:384
.LBB344_62:
	s_wait_alu 0xfffe
	s_or_b32 exec_lo, exec_lo, s1
	s_delay_alu instid0(SALU_CYCLE_1)
	s_mov_b32 s1, exec_lo
	s_wait_loadcnt_dscnt 0x0
	s_barrier_signal -1
	s_barrier_wait -1
	global_inv scope:SCOPE_SE
	v_cmpx_gt_u32_e32 32, v0
	s_cbranch_execz .LBB344_72
; %bb.63:
	s_and_saveexec_b32 s0, vcc_lo
	s_cbranch_execnz .LBB344_81
; %bb.64:
	s_wait_alu 0xfffe
	s_or_b32 exec_lo, exec_lo, s0
	s_and_saveexec_b32 s0, vcc_lo
	s_cbranch_execnz .LBB344_82
.LBB344_65:
	s_wait_alu 0xfffe
	s_or_b32 exec_lo, exec_lo, s0
	s_and_saveexec_b32 s0, vcc_lo
	s_cbranch_execnz .LBB344_83
.LBB344_66:
	s_wait_alu 0xfffe
	s_or_b32 exec_lo, exec_lo, s0
	s_and_saveexec_b32 s0, vcc_lo
	s_cbranch_execnz .LBB344_84
.LBB344_67:
	s_wait_alu 0xfffe
	s_or_b32 exec_lo, exec_lo, s0
	s_and_saveexec_b32 s0, vcc_lo
	s_cbranch_execnz .LBB344_85
.LBB344_68:
	s_wait_alu 0xfffe
	s_or_b32 exec_lo, exec_lo, s0
	s_and_saveexec_b32 s0, vcc_lo
	s_cbranch_execnz .LBB344_86
.LBB344_69:
	s_wait_alu 0xfffe
	s_or_b32 exec_lo, exec_lo, s0
	s_and_saveexec_b32 s0, vcc_lo
	s_cbranch_execz .LBB344_71
.LBB344_70:
	ds_load_b32 v0, v8 offset:384
	s_wait_dscnt 0x0
	v_add_f32_e32 v1, v1, v0
.LBB344_71:
	s_wait_alu 0xfffe
	s_or_b32 exec_lo, exec_lo, s0
.LBB344_72:
	s_wait_alu 0xfffe
	s_or_b32 exec_lo, exec_lo, s1
	s_mov_b32 s1, 0
	s_wait_loadcnt 0x0
	s_barrier_signal -1
	s_barrier_wait -1
	global_inv scope:SCOPE_SE
	s_mov_b32 s0, exec_lo
	v_cmpx_eq_u32_e32 0, v10
	s_cbranch_execz .LBB344_74
; %bb.73:
	v_bfe_u32 v0, v7, 16, 1
	v_or_b32_e32 v8, 0x400000, v7
	v_bfe_u32 v9, v6, 16, 1
	v_cmp_u_f32_e32 vcc_lo, v7, v7
	v_bfe_u32 v11, v5, 16, 1
	v_add3_u32 v0, v0, v7, 0x7fff
	v_or_b32_e32 v13, 0x400000, v1
	v_add3_u32 v7, v9, v6, 0x7fff
	v_bfe_u32 v9, v4, 16, 1
	v_add3_u32 v11, v11, v5, 0x7fff
	s_wait_alu 0xfffd
	v_cndmask_b32_e32 v0, v0, v8, vcc_lo
	v_or_b32_e32 v8, 0x400000, v6
	v_cmp_u_f32_e32 vcc_lo, v6, v6
	v_or_b32_e32 v12, 0x400000, v5
	s_mul_i32 s2, s10, 0x70
	s_mul_i32 s4, s44, s48
	s_wait_alu 0xfffe
	s_ashr_i32 s3, s2, 31
	s_wait_alu 0xfffd
	v_cndmask_b32_e32 v6, v7, v8, vcc_lo
	v_cmp_u_f32_e32 vcc_lo, v5, v5
	v_lshlrev_b32_e32 v10, 1, v15
	v_add3_u32 v7, v9, v4, 0x7fff
	v_or_b32_e32 v8, 0x400000, v4
	v_bfe_u32 v9, v3, 16, 1
	s_wait_alu 0xfffd
	v_cndmask_b32_e32 v5, v11, v12, vcc_lo
	v_cmp_u_f32_e32 vcc_lo, v4, v4
	v_bfe_u32 v11, v2, 16, 1
	v_or_b32_e32 v12, 0x400000, v2
	s_ashr_i32 s5, s4, 31
	s_wait_alu 0xfffe
	s_lshl_b64 s[2:3], s[2:3], 1
	s_wait_alu 0xfffd
	v_cndmask_b32_e32 v4, v7, v8, vcc_lo
	v_add3_u32 v8, v9, v3, 0x7fff
	v_or_b32_e32 v9, 0x400000, v3
	v_cmp_u_f32_e32 vcc_lo, v3, v3
	v_bfe_u32 v7, v1, 16, 1
	v_add3_u32 v11, v11, v2, 0x7fff
	s_lshl_b64 s[4:5], s[4:5], 1
	s_wait_alu 0xfffe
	s_add_nc_u64 s[2:3], s[8:9], s[2:3]
	s_wait_alu 0xfffd
	v_cndmask_b32_e32 v3, v8, v9, vcc_lo
	v_cmp_u_f32_e32 vcc_lo, v2, v2
	v_add3_u32 v7, v7, v1, 0x7fff
	s_mul_i32 s0, s56, 0xe0
	s_wait_alu 0xfffe
	s_add_nc_u64 s[2:3], s[2:3], s[4:5]
	s_wait_alu 0xfffd
	v_cndmask_b32_e32 v2, v11, v12, vcc_lo
	v_cmp_u_f32_e32 vcc_lo, v1, v1
	s_wait_alu 0xfffe
	s_add_nc_u64 s[0:1], s[2:3], s[0:1]
	s_wait_alu 0xfffd
	v_cndmask_b32_e32 v1, v7, v13, vcc_lo
	s_clause 0x6
	global_store_d16_hi_b16 v10, v0, s[0:1]
	global_store_d16_hi_b16 v10, v6, s[0:1] offset:32
	global_store_d16_hi_b16 v10, v5, s[0:1] offset:64
	;; [unrolled: 1-line block ×6, first 2 shown]
.LBB344_74:
	s_nop 0
	s_sendmsg sendmsg(MSG_DEALLOC_VGPRS)
	s_endpgm
.LBB344_75:
	ds_load_b32 v10, v8
	s_wait_dscnt 0x0
	v_add_f32_e32 v7, v7, v10
	s_wait_alu 0xfffe
	s_or_b32 exec_lo, exec_lo, s0
	s_and_saveexec_b32 s0, vcc_lo
	s_cbranch_execz .LBB344_53
.LBB344_76:
	ds_load_b32 v10, v8 offset:64
	s_wait_dscnt 0x0
	v_add_f32_e32 v6, v6, v10
	s_wait_alu 0xfffe
	s_or_b32 exec_lo, exec_lo, s0
	s_and_saveexec_b32 s0, vcc_lo
	s_cbranch_execz .LBB344_54
.LBB344_77:
	ds_load_b32 v10, v8 offset:128
	s_wait_dscnt 0x0
	v_add_f32_e32 v5, v5, v10
	s_wait_alu 0xfffe
	s_or_b32 exec_lo, exec_lo, s0
	s_and_saveexec_b32 s0, vcc_lo
	s_cbranch_execz .LBB344_55
.LBB344_78:
	ds_load_b32 v10, v8 offset:192
	s_wait_dscnt 0x0
	v_add_f32_e32 v4, v4, v10
	s_wait_alu 0xfffe
	s_or_b32 exec_lo, exec_lo, s0
	s_and_saveexec_b32 s0, vcc_lo
	s_cbranch_execz .LBB344_56
.LBB344_79:
	ds_load_b32 v10, v8 offset:256
	s_wait_dscnt 0x0
	v_add_f32_e32 v3, v3, v10
	s_wait_alu 0xfffe
	s_or_b32 exec_lo, exec_lo, s0
	s_and_saveexec_b32 s0, vcc_lo
	s_cbranch_execz .LBB344_57
.LBB344_80:
	ds_load_b32 v10, v8 offset:320
	s_wait_dscnt 0x0
	v_add_f32_e32 v2, v2, v10
	s_wait_alu 0xfffe
	s_or_b32 exec_lo, exec_lo, s0
	s_and_saveexec_b32 s0, vcc_lo
	s_cbranch_execnz .LBB344_58
	s_branch .LBB344_59
.LBB344_81:
	ds_load_b32 v0, v8
	s_wait_dscnt 0x0
	v_add_f32_e32 v7, v7, v0
	s_wait_alu 0xfffe
	s_or_b32 exec_lo, exec_lo, s0
	s_and_saveexec_b32 s0, vcc_lo
	s_cbranch_execz .LBB344_65
.LBB344_82:
	ds_load_b32 v0, v8 offset:64
	s_wait_dscnt 0x0
	v_add_f32_e32 v6, v6, v0
	s_wait_alu 0xfffe
	s_or_b32 exec_lo, exec_lo, s0
	s_and_saveexec_b32 s0, vcc_lo
	s_cbranch_execz .LBB344_66
.LBB344_83:
	ds_load_b32 v0, v8 offset:128
	s_wait_dscnt 0x0
	v_add_f32_e32 v5, v5, v0
	s_wait_alu 0xfffe
	s_or_b32 exec_lo, exec_lo, s0
	s_and_saveexec_b32 s0, vcc_lo
	s_cbranch_execz .LBB344_67
.LBB344_84:
	ds_load_b32 v0, v8 offset:192
	s_wait_dscnt 0x0
	v_add_f32_e32 v4, v4, v0
	s_wait_alu 0xfffe
	s_or_b32 exec_lo, exec_lo, s0
	s_and_saveexec_b32 s0, vcc_lo
	s_cbranch_execz .LBB344_68
.LBB344_85:
	ds_load_b32 v0, v8 offset:256
	s_wait_dscnt 0x0
	v_add_f32_e32 v3, v3, v0
	s_wait_alu 0xfffe
	s_or_b32 exec_lo, exec_lo, s0
	s_and_saveexec_b32 s0, vcc_lo
	s_cbranch_execz .LBB344_69
.LBB344_86:
	ds_load_b32 v0, v8 offset:320
	s_wait_dscnt 0x0
	v_add_f32_e32 v2, v2, v0
	s_wait_alu 0xfffe
	s_or_b32 exec_lo, exec_lo, s0
	s_and_saveexec_b32 s0, vcc_lo
	s_cbranch_execnz .LBB344_70
	s_branch .LBB344_71
	.section	.rodata,"a",@progbits
	.p2align	6, 0x0
	.amdhsa_kernel _ZN4vllm25paged_attention_v2_kernelI14__hip_bfloat16hLi112ELi16ELi128ELNS_18Fp8KVCacheDataTypeE1ELb0ELi512EEEvPfS3_PT_PKS4_PKT0_SA_ifPKiSC_iPKfiiiSE_SE_iiiii
		.amdhsa_group_segment_fixed_size 256
		.amdhsa_private_segment_fixed_size 0
		.amdhsa_kernarg_size 400
		.amdhsa_user_sgpr_count 2
		.amdhsa_user_sgpr_dispatch_ptr 0
		.amdhsa_user_sgpr_queue_ptr 0
		.amdhsa_user_sgpr_kernarg_segment_ptr 1
		.amdhsa_user_sgpr_dispatch_id 0
		.amdhsa_user_sgpr_private_segment_size 0
		.amdhsa_wavefront_size32 1
		.amdhsa_uses_dynamic_stack 0
		.amdhsa_enable_private_segment 0
		.amdhsa_system_sgpr_workgroup_id_x 1
		.amdhsa_system_sgpr_workgroup_id_y 1
		.amdhsa_system_sgpr_workgroup_id_z 1
		.amdhsa_system_sgpr_workgroup_info 0
		.amdhsa_system_vgpr_workitem_id 0
		.amdhsa_next_free_vgpr 156
		.amdhsa_next_free_sgpr 66
		.amdhsa_reserve_vcc 1
		.amdhsa_float_round_mode_32 0
		.amdhsa_float_round_mode_16_64 0
		.amdhsa_float_denorm_mode_32 3
		.amdhsa_float_denorm_mode_16_64 3
		.amdhsa_fp16_overflow 0
		.amdhsa_workgroup_processor_mode 1
		.amdhsa_memory_ordered 1
		.amdhsa_forward_progress 1
		.amdhsa_inst_pref_size 144
		.amdhsa_round_robin_scheduling 0
		.amdhsa_exception_fp_ieee_invalid_op 0
		.amdhsa_exception_fp_denorm_src 0
		.amdhsa_exception_fp_ieee_div_zero 0
		.amdhsa_exception_fp_ieee_overflow 0
		.amdhsa_exception_fp_ieee_underflow 0
		.amdhsa_exception_fp_ieee_inexact 0
		.amdhsa_exception_int_div_zero 0
	.end_amdhsa_kernel
	.section	.text._ZN4vllm25paged_attention_v2_kernelI14__hip_bfloat16hLi112ELi16ELi128ELNS_18Fp8KVCacheDataTypeE1ELb0ELi512EEEvPfS3_PT_PKS4_PKT0_SA_ifPKiSC_iPKfiiiSE_SE_iiiii,"axG",@progbits,_ZN4vllm25paged_attention_v2_kernelI14__hip_bfloat16hLi112ELi16ELi128ELNS_18Fp8KVCacheDataTypeE1ELb0ELi512EEEvPfS3_PT_PKS4_PKT0_SA_ifPKiSC_iPKfiiiSE_SE_iiiii,comdat
.Lfunc_end344:
	.size	_ZN4vllm25paged_attention_v2_kernelI14__hip_bfloat16hLi112ELi16ELi128ELNS_18Fp8KVCacheDataTypeE1ELb0ELi512EEEvPfS3_PT_PKS4_PKT0_SA_ifPKiSC_iPKfiiiSE_SE_iiiii, .Lfunc_end344-_ZN4vllm25paged_attention_v2_kernelI14__hip_bfloat16hLi112ELi16ELi128ELNS_18Fp8KVCacheDataTypeE1ELb0ELi512EEEvPfS3_PT_PKS4_PKT0_SA_ifPKiSC_iPKfiiiSE_SE_iiiii
                                        ; -- End function
	.set _ZN4vllm25paged_attention_v2_kernelI14__hip_bfloat16hLi112ELi16ELi128ELNS_18Fp8KVCacheDataTypeE1ELb0ELi512EEEvPfS3_PT_PKS4_PKT0_SA_ifPKiSC_iPKfiiiSE_SE_iiiii.num_vgpr, 156
	.set _ZN4vllm25paged_attention_v2_kernelI14__hip_bfloat16hLi112ELi16ELi128ELNS_18Fp8KVCacheDataTypeE1ELb0ELi512EEEvPfS3_PT_PKS4_PKT0_SA_ifPKiSC_iPKfiiiSE_SE_iiiii.num_agpr, 0
	.set _ZN4vllm25paged_attention_v2_kernelI14__hip_bfloat16hLi112ELi16ELi128ELNS_18Fp8KVCacheDataTypeE1ELb0ELi512EEEvPfS3_PT_PKS4_PKT0_SA_ifPKiSC_iPKfiiiSE_SE_iiiii.numbered_sgpr, 66
	.set _ZN4vllm25paged_attention_v2_kernelI14__hip_bfloat16hLi112ELi16ELi128ELNS_18Fp8KVCacheDataTypeE1ELb0ELi512EEEvPfS3_PT_PKS4_PKT0_SA_ifPKiSC_iPKfiiiSE_SE_iiiii.num_named_barrier, 0
	.set _ZN4vllm25paged_attention_v2_kernelI14__hip_bfloat16hLi112ELi16ELi128ELNS_18Fp8KVCacheDataTypeE1ELb0ELi512EEEvPfS3_PT_PKS4_PKT0_SA_ifPKiSC_iPKfiiiSE_SE_iiiii.private_seg_size, 0
	.set _ZN4vllm25paged_attention_v2_kernelI14__hip_bfloat16hLi112ELi16ELi128ELNS_18Fp8KVCacheDataTypeE1ELb0ELi512EEEvPfS3_PT_PKS4_PKT0_SA_ifPKiSC_iPKfiiiSE_SE_iiiii.uses_vcc, 1
	.set _ZN4vllm25paged_attention_v2_kernelI14__hip_bfloat16hLi112ELi16ELi128ELNS_18Fp8KVCacheDataTypeE1ELb0ELi512EEEvPfS3_PT_PKS4_PKT0_SA_ifPKiSC_iPKfiiiSE_SE_iiiii.uses_flat_scratch, 0
	.set _ZN4vllm25paged_attention_v2_kernelI14__hip_bfloat16hLi112ELi16ELi128ELNS_18Fp8KVCacheDataTypeE1ELb0ELi512EEEvPfS3_PT_PKS4_PKT0_SA_ifPKiSC_iPKfiiiSE_SE_iiiii.has_dyn_sized_stack, 0
	.set _ZN4vllm25paged_attention_v2_kernelI14__hip_bfloat16hLi112ELi16ELi128ELNS_18Fp8KVCacheDataTypeE1ELb0ELi512EEEvPfS3_PT_PKS4_PKT0_SA_ifPKiSC_iPKfiiiSE_SE_iiiii.has_recursion, 0
	.set _ZN4vllm25paged_attention_v2_kernelI14__hip_bfloat16hLi112ELi16ELi128ELNS_18Fp8KVCacheDataTypeE1ELb0ELi512EEEvPfS3_PT_PKS4_PKT0_SA_ifPKiSC_iPKfiiiSE_SE_iiiii.has_indirect_call, 0
	.section	.AMDGPU.csdata,"",@progbits
; Kernel info:
; codeLenInByte = 18404
; TotalNumSgprs: 68
; NumVgprs: 156
; ScratchSize: 0
; MemoryBound: 0
; FloatMode: 240
; IeeeMode: 1
; LDSByteSize: 256 bytes/workgroup (compile time only)
; SGPRBlocks: 0
; VGPRBlocks: 19
; NumSGPRsForWavesPerEU: 68
; NumVGPRsForWavesPerEU: 156
; Occupancy: 9
; WaveLimiterHint : 1
; COMPUTE_PGM_RSRC2:SCRATCH_EN: 0
; COMPUTE_PGM_RSRC2:USER_SGPR: 2
; COMPUTE_PGM_RSRC2:TRAP_HANDLER: 0
; COMPUTE_PGM_RSRC2:TGID_X_EN: 1
; COMPUTE_PGM_RSRC2:TGID_Y_EN: 1
; COMPUTE_PGM_RSRC2:TGID_Z_EN: 1
; COMPUTE_PGM_RSRC2:TIDIG_COMP_CNT: 0
	.section	.text._ZN4vllm25paged_attention_v2_kernelI14__hip_bfloat16hLi120ELi16ELi128ELNS_18Fp8KVCacheDataTypeE1ELb0ELi512EEEvPfS3_PT_PKS4_PKT0_SA_ifPKiSC_iPKfiiiSE_SE_iiiii,"axG",@progbits,_ZN4vllm25paged_attention_v2_kernelI14__hip_bfloat16hLi120ELi16ELi128ELNS_18Fp8KVCacheDataTypeE1ELb0ELi512EEEvPfS3_PT_PKS4_PKT0_SA_ifPKiSC_iPKfiiiSE_SE_iiiii,comdat
	.protected	_ZN4vllm25paged_attention_v2_kernelI14__hip_bfloat16hLi120ELi16ELi128ELNS_18Fp8KVCacheDataTypeE1ELb0ELi512EEEvPfS3_PT_PKS4_PKT0_SA_ifPKiSC_iPKfiiiSE_SE_iiiii ; -- Begin function _ZN4vllm25paged_attention_v2_kernelI14__hip_bfloat16hLi120ELi16ELi128ELNS_18Fp8KVCacheDataTypeE1ELb0ELi512EEEvPfS3_PT_PKS4_PKT0_SA_ifPKiSC_iPKfiiiSE_SE_iiiii
	.globl	_ZN4vllm25paged_attention_v2_kernelI14__hip_bfloat16hLi120ELi16ELi128ELNS_18Fp8KVCacheDataTypeE1ELb0ELi512EEEvPfS3_PT_PKS4_PKT0_SA_ifPKiSC_iPKfiiiSE_SE_iiiii
	.p2align	8
	.type	_ZN4vllm25paged_attention_v2_kernelI14__hip_bfloat16hLi120ELi16ELi128ELNS_18Fp8KVCacheDataTypeE1ELb0ELi512EEEvPfS3_PT_PKS4_PKT0_SA_ifPKiSC_iPKfiiiSE_SE_iiiii,@function
_ZN4vllm25paged_attention_v2_kernelI14__hip_bfloat16hLi120ELi16ELi128ELNS_18Fp8KVCacheDataTypeE1ELb0ELi512EEEvPfS3_PT_PKS4_PKT0_SA_ifPKiSC_iPKfiiiSE_SE_iiiii: ; @_ZN4vllm25paged_attention_v2_kernelI14__hip_bfloat16hLi120ELi16ELi128ELNS_18Fp8KVCacheDataTypeE1ELb0ELi512EEEvPfS3_PT_PKS4_PKT0_SA_ifPKiSC_iPKfiiiSE_SE_iiiii
; %bb.0:
	s_load_b64 s[2:3], s[0:1], 0x40
	s_and_b32 s55, ttmp7, 0xffff
	s_lshr_b32 s52, ttmp7, 16
	s_lshl_b32 s4, s55, 2
	s_lshl_b32 s54, s52, 9
	s_wait_kmcnt 0x0
	s_load_b32 s53, s[2:3], s4 offset:0x0
	s_wait_kmcnt 0x0
	s_cmp_ge_i32 s54, s53
	s_cbranch_scc1 .LBB345_105
; %bb.1:
	s_clause 0x1
	s_load_b32 s56, s[0:1], 0x90
	s_load_b64 s[50:51], s[0:1], 0x30
	s_wait_kmcnt 0x0
	s_abs_i32 s5, s56
	s_abs_i32 s2, s50
	s_delay_alu instid0(SALU_CYCLE_1) | instskip(SKIP_1) | instid1(SALU_CYCLE_2)
	s_cvt_f32_u32 s3, s2
	s_sub_co_i32 s4, 0, s2
	v_rcp_iflag_f32_e32 v1, s3
	s_delay_alu instid0(TRANS32_DEP_1) | instskip(SKIP_2) | instid1(SALU_CYCLE_2)
	v_readfirstlane_b32 s3, v1
	s_mul_f32 s3, s3, 0x4f7ffffe
	s_wait_alu 0xfffe
	s_cvt_u32_f32 s3, s3
	s_wait_alu 0xfffe
	s_delay_alu instid0(SALU_CYCLE_2) | instskip(NEXT) | instid1(SALU_CYCLE_1)
	s_mul_i32 s4, s4, s3
	s_mul_hi_u32 s4, s3, s4
	s_delay_alu instid0(SALU_CYCLE_1)
	s_add_co_i32 s3, s3, s4
	s_xor_b32 s4, s56, s50
	s_wait_alu 0xfffe
	s_mul_hi_u32 s3, s5, s3
	s_ashr_i32 s4, s4, 31
	s_wait_alu 0xfffe
	s_mul_i32 s6, s3, s2
	s_delay_alu instid0(SALU_CYCLE_1)
	s_sub_co_i32 s5, s5, s6
	s_add_co_i32 s6, s3, 1
	s_sub_co_i32 s7, s5, s2
	s_cmp_ge_u32 s5, s2
	s_cselect_b32 s3, s6, s3
	s_cselect_b32 s5, s7, s5
	s_wait_alu 0xfffe
	s_add_co_i32 s6, s3, 1
	s_cmp_ge_u32 s5, s2
	s_cselect_b32 s2, s6, s3
	s_load_b64 s[6:7], s[0:1], 0x50
	s_xor_b32 s2, s2, s4
	s_mov_b32 s3, 0
	s_wait_alu 0xfffe
	s_sub_co_i32 s9, s2, s4
	s_mov_b32 s58, s3
	s_abs_i32 s8, s9
	s_delay_alu instid0(SALU_CYCLE_1) | instskip(SKIP_1) | instid1(SALU_CYCLE_2)
	s_cvt_f32_u32 s2, s8
	s_wait_alu 0xfffe
	v_rcp_iflag_f32_e32 v1, s2
	s_delay_alu instid0(TRANS32_DEP_1) | instskip(SKIP_2) | instid1(SALU_CYCLE_2)
	v_readfirstlane_b32 s2, v1
	s_mul_f32 s2, s2, 0x4f7ffffe
	s_wait_alu 0xfffe
	s_cvt_u32_f32 s4, s2
	s_sub_co_i32 s2, 0, s8
	s_wait_alu 0xfffe
	s_delay_alu instid0(SALU_CYCLE_1)
	s_mul_i32 s2, s2, s4
	s_wait_alu 0xfffe
	s_mul_hi_u32 s5, s4, s2
	s_abs_i32 s2, ttmp9
	s_add_co_i32 s4, s4, s5
	s_mov_b32 s5, s3
	s_wait_kmcnt 0x0
	s_cmp_eq_u64 s[6:7], 0
	s_cbranch_scc1 .LBB345_3
; %bb.2:
	s_mov_b32 s10, ttmp9
	s_ashr_i32 s11, ttmp9, 31
	s_delay_alu instid0(SALU_CYCLE_1) | instskip(NEXT) | instid1(SALU_CYCLE_1)
	s_lshl_b64 s[10:11], s[10:11], 2
	s_add_nc_u64 s[6:7], s[6:7], s[10:11]
	s_load_b32 s58, s[6:7], 0x0
.LBB345_3:
	s_load_b96 s[40:42], s[0:1], 0x58
	v_lshrrev_b32_e32 v15, 1, v0
	v_and_b32_e32 v16, 1, v0
	v_lshlrev_b32_e32 v7, 3, v0
	s_mul_u64 s[4:5], s[2:3], s[4:5]
	s_ashr_i32 s3, ttmp9, 31
	s_ashr_i32 s4, s9, 31
	s_mul_i32 s44, ttmp9, 0x78
	s_mov_b32 s6, exec_lo
	v_cmpx_gt_u32_e32 30, v0
	s_cbranch_execz .LBB345_5
; %bb.4:
	s_load_b64 s[10:11], s[0:1], 0x18
	s_wait_kmcnt 0x0
	s_mul_i32 s12, s40, s55
	s_ashr_i32 s45, s44, 31
	s_ashr_i32 s13, s12, 31
	v_lshlrev_b32_e32 v3, 3, v15
	s_lshl_b64 s[12:13], s[12:13], 1
	s_delay_alu instid0(VALU_DEP_1) | instskip(SKIP_2) | instid1(SALU_CYCLE_1)
	v_mad_u32_u24 v3, 0x78, v16, v3
	s_add_nc_u64 s[10:11], s[10:11], s[12:13]
	s_lshl_b64 s[12:13], s[44:45], 1
	s_add_nc_u64 s[10:11], s[10:11], s[12:13]
	global_load_b64 v[1:2], v7, s[10:11]
	s_wait_loadcnt 0x0
	ds_store_b64 v3, v[1:2]
.LBB345_5:
	s_or_b32 exec_lo, exec_lo, s6
	s_add_co_i32 s6, s53, 15
	s_wait_alu 0xfffe
	s_xor_b32 s3, s3, s4
	s_ashr_i32 s7, s6, 31
	s_lshl_b32 s57, s52, 5
	s_lshr_b32 s4, s7, 28
	s_mul_i32 s7, s5, s8
	s_add_co_i32 s6, s6, s4
	s_add_co_i32 s4, s57, 32
	s_ashr_i32 s50, s6, 4
	s_sub_co_i32 s2, s2, s7
	s_min_i32 s45, s4, s50
	s_load_b32 s4, s[0:1], 0x48
	s_add_co_i32 s6, s5, 1
	s_sub_co_i32 s7, s2, s8
	s_cmp_ge_u32 s2, s8
	v_lshrrev_b32_e32 v17, 5, v0
	s_cselect_b32 s5, s6, s5
	s_cselect_b32 s2, s7, s2
	s_add_co_i32 s6, s5, 1
	s_wait_alu 0xfffe
	s_cmp_ge_u32 s2, s8
	v_or_b32_e32 v18, s57, v17
	s_cselect_b32 s2, s6, s5
	v_mbcnt_lo_u32_b32 v9, -1, 0
	s_wait_alu 0xfffe
	s_xor_b32 s2, s2, s3
	s_wait_dscnt 0x0
	s_wait_alu 0xfffe
	s_sub_co_i32 s3, s2, s3
	v_cmp_le_i32_e64 s2, s45, v18
	s_barrier_signal -1
	s_barrier_wait -1
	global_inv scope:SCOPE_SE
                                        ; implicit-def: $vgpr10
                                        ; implicit-def: $vgpr11
	s_wait_kmcnt 0x0
	s_mul_i32 s46, s4, s55
	s_delay_alu instid0(SALU_CYCLE_1) | instskip(SKIP_1) | instid1(SALU_CYCLE_1)
	s_ashr_i32 s47, s46, 31
	s_and_saveexec_b32 s4, s2
	s_xor_b32 s4, exec_lo, s4
; %bb.6:
	v_dual_mov_b32 v10, 0 :: v_dual_mov_b32 v11, 32
	v_mbcnt_lo_u32_b32 v9, -1, 0
; %bb.7:
	s_or_saveexec_b32 s59, s4
	s_clause 0x2
	s_load_b32 s40, s[0:1], 0x98
	s_load_b64 s[48:49], s[0:1], 0x38
	s_load_b128 s[36:39], s[0:1], 0x68
	v_mov_b32_e32 v66, 0xff7fffff
	v_lshlrev_b32_e32 v8, 2, v18
	s_mul_i32 s42, s3, s42
	s_xor_b32 exec_lo, exec_lo, s59
	s_cbranch_execz .LBB345_13
; %bb.8:
	v_mul_u32_u24_e32 v5, 0x78, v16
	s_load_b64 s[4:5], s[0:1], 0x20
	v_bfe_u32 v6, v0, 1, 4
	v_mov_b32_e32 v10, 0
	s_ashr_i32 s43, s42, 31
	ds_load_2addr_b64 v[1:4], v5 offset1:1
	ds_load_2addr_b64 v[28:31], v5 offset0:2 offset1:3
	ds_load_2addr_b64 v[36:39], v5 offset0:4 offset1:5
	;; [unrolled: 1-line block ×4, first 2 shown]
	v_lshlrev_b32_e32 v11, 4, v6
	s_wait_kmcnt 0x0
	s_load_b32 s37, s[36:37], 0x0
	s_cmp_neq_f32 s58, 0
	s_mov_b32 s60, s41
	ds_load_2addr_b64 v[60:63], v5 offset0:10 offset1:11
	v_mov_b32_e32 v80, v18
	s_add_nc_u64 s[4:5], s[4:5], s[42:43]
	s_mov_b32 s43, 0
	v_add_co_u32 v78, s3, s4, v11
	s_wait_dscnt 0x5
	v_dual_mov_b32 v11, 32 :: v_dual_lshlrev_b32 v12, 16, v1
	v_and_b32_e32 v13, 0xffff0000, v1
	v_lshlrev_b32_e32 v14, 16, v2
	v_and_b32_e32 v19, 0xffff0000, v2
	v_lshlrev_b32_e32 v20, 16, v3
	;; [unrolled: 2-line block ×3, first 2 shown]
	v_and_b32_e32 v23, 0xffff0000, v4
	ds_load_2addr_b64 v[1:4], v5 offset0:8 offset1:9
	s_wait_alu 0xf1ff
	v_add_co_ci_u32_e64 v79, null, s5, 0, s3
	s_cselect_b32 s3, -1, 0
	s_wait_dscnt 0x5
	v_lshlrev_b32_e32 v24, 16, v28
	v_and_b32_e32 v25, 0xffff0000, v28
	v_lshlrev_b32_e32 v26, 16, v29
	v_and_b32_e32 v27, 0xffff0000, v29
	v_lshlrev_b32_e32 v28, 16, v30
	v_and_b32_e32 v29, 0xffff0000, v30
	v_lshlrev_b32_e32 v30, 16, v31
	v_and_b32_e32 v31, 0xffff0000, v31
	s_wait_dscnt 0x4
	v_lshlrev_b32_e32 v32, 16, v36
	v_and_b32_e32 v33, 0xffff0000, v36
	v_lshlrev_b32_e32 v34, 16, v37
	v_and_b32_e32 v35, 0xffff0000, v37
	;; [unrolled: 2-line block ×4, first 2 shown]
	s_wait_dscnt 0x0
	v_lshlrev_b32_e32 v48, 16, v1
	v_and_b32_e32 v49, 0xffff0000, v1
	v_lshlrev_b32_e32 v50, 16, v2
	v_and_b32_e32 v51, 0xffff0000, v2
	ds_load_b64 v[1:2], v5 offset:112
	v_lshlrev_b32_e32 v52, 16, v3
	v_and_b32_e32 v53, 0xffff0000, v3
	v_xor_b32_e32 v3, 1, v9
	v_lshlrev_b32_e32 v54, 16, v4
	v_and_b32_e32 v55, 0xffff0000, v4
	v_lshlrev_b32_e32 v40, 16, v44
	v_and_b32_e32 v41, 0xffff0000, v44
	v_cmp_gt_i32_e32 vcc_lo, 32, v3
	v_lshlrev_b32_e32 v66, 2, v16
	v_lshlrev_b32_e32 v42, 16, v45
	v_and_b32_e32 v43, 0xffff0000, v45
	v_dual_cndmask_b32 v3, v9, v3 :: v_dual_lshlrev_b32 v44, 16, v46
	v_and_b32_e32 v45, 0xffff0000, v46
	v_lshlrev_b32_e32 v46, 16, v47
	v_and_b32_e32 v47, 0xffff0000, v47
	v_lshlrev_b32_e32 v56, 16, v60
	v_lshlrev_b32_e32 v68, 2, v3
	;; [unrolled: 1-line block ×3, first 2 shown]
	s_wait_dscnt 0x0
	v_lshlrev_b32_e32 v74, 16, v1
	v_and_b32_e32 v75, 0xffff0000, v1
	v_lshlrev_b32_e32 v1, 2, v6
	v_lshlrev_b32_e32 v76, 16, v2
	v_and_b32_e32 v77, 0xffff0000, v2
	v_and_b32_e32 v57, 0xffff0000, v60
	v_lshlrev_b32_e32 v58, 16, v61
	v_lshl_or_b32 v4, v17, 6, v1
	v_add_co_u32 v1, s4, v78, v66
	s_wait_alu 0xf1ff
	v_add_co_ci_u32_e64 v2, null, 0, v79, s4
	s_lshl_b64 s[4:5], s[46:47], 2
	v_add3_u32 v78, s54, v3, v6
	s_wait_alu 0xfffe
	s_add_nc_u64 s[4:5], s[48:49], s[4:5]
	v_and_b32_e32 v59, 0xffff0000, v61
	s_wait_alu 0xfffe
	v_add_co_u32 v3, s4, s4, v8
	v_lshlrev_b32_e32 v60, 16, v62
	v_and_b32_e32 v61, 0xffff0000, v62
	v_lshlrev_b32_e32 v62, 16, v63
	v_and_b32_e32 v63, 0xffff0000, v63
	v_lshlrev_b32_e32 v64, 16, v70
	v_and_b32_e32 v65, 0xffff0000, v70
	v_dual_mov_b32 v66, 0xff7fffff :: v_dual_lshlrev_b32 v67, 16, v71
	v_and_b32_e32 v69, 0xffff0000, v71
	v_lshlrev_b32_e32 v70, 16, v72
	v_and_b32_e32 v71, 0xffff0000, v72
	v_lshlrev_b32_e32 v72, 16, v73
	v_and_b32_e32 v73, 0xffff0000, v73
	v_add_nc_u32_e32 v79, 0x110, v4
	s_wait_alu 0xf1ff
	v_add_co_ci_u32_e64 v4, null, s5, 0, s4
	s_sub_co_i32 s61, 1, s53
	v_cmp_eq_u32_e32 vcc_lo, 0, v16
	s_branch .LBB345_10
.LBB345_9:                              ;   in Loop: Header=BB345_10 Depth=1
	s_wait_alu 0xfffe
	s_or_b32 exec_lo, exec_lo, s5
	v_add_nc_u32_e32 v80, 4, v80
	v_add_co_u32 v3, s5, v3, 16
	v_add_nc_u32_e32 v78, 64, v78
	v_add_nc_u32_e32 v79, 0x100, v79
	s_delay_alu instid0(VALU_DEP_4) | instskip(SKIP_3) | instid1(SALU_CYCLE_1)
	v_cmp_le_i32_e64 s4, s45, v80
	s_wait_alu 0xf1ff
	v_add_co_ci_u32_e64 v4, null, 0, v4, s5
	s_or_b32 s43, s4, s43
	s_and_not1_b32 exec_lo, exec_lo, s43
	s_cbranch_execz .LBB345_12
.LBB345_10:                             ; =>This Inner Loop Header: Depth=1
	global_load_b32 v5, v[3:4], off
	s_wait_loadcnt_dscnt 0x0
	v_mad_co_i64_i32 v[5:6], null, v5, s60, v[1:2]
	s_clause 0xe
	global_load_b32 v81, v[5:6], off
	global_load_b32 v82, v[5:6], off offset:8
	global_load_b32 v83, v[5:6], off offset:256
	;; [unrolled: 1-line block ×14, first 2 shown]
	s_wait_loadcnt 0xe
	v_bfe_u32 v95, v81, 16, 8
	s_wait_loadcnt 0xd
	v_bfe_u32 v96, v82, 8, 8
	s_wait_loadcnt 0xc
	v_bfe_u32 v98, v83, 16, 8
	s_wait_loadcnt 0xb
	v_bfe_u32 v99, v84, 8, 8
	v_lshrrev_b32_e32 v97, 24, v82
	s_wait_loadcnt 0x9
	v_lshrrev_b32_e32 v103, 24, v86
	v_cvt_f32_fp8_e32 v95, v95
	v_and_b32_e32 v6, 0xff, v81
	s_wait_loadcnt 0x6
	v_bfe_u32 v107, v89, 16, 8
	v_cvt_f32_fp8_e32 v99, v99
	v_and_b32_e32 v106, 0xff, v89
	v_bfe_u32 v104, v87, 16, 8
	v_lshrrev_b32_e32 v108, 24, v89
	s_wait_loadcnt 0x5
	v_bfe_u32 v110, v94, 8, 8
	v_bfe_u32 v111, v94, 16, 8
	s_wait_loadcnt 0x4
	v_bfe_u32 v114, v93, 16, 8
	v_cvt_f32_fp8_e32 v96, v96
	v_and_b32_e32 v109, 0xff, v94
	v_cvt_f32_fp8_e32 v98, v98
	s_wait_loadcnt 0x3
	v_and_b32_e32 v115, 0xff, v92
	v_cvt_f32_fp8_e32 v103, v103
	v_cvt_f32_fp8_e32 v107, v107
	s_wait_kmcnt 0x0
	v_mul_f32_e32 v95, s37, v95
	v_cvt_f32_fp8_e32 v6, v6
	v_and_b32_e32 v105, 0xff, v88
	v_mul_f32_e32 v99, s37, v99
	v_cvt_f32_fp8_e32 v106, v106
	v_lshrrev_b32_e32 v100, 24, v84
	v_bfe_u32 v101, v85, 16, 8
	v_lshrrev_b32_e32 v94, 24, v94
	v_dual_mul_f32 v103, s37, v103 :: v_dual_and_b32 v112, 0xff, v93
	v_bfe_u32 v113, v93, 8, 8
	v_lshrrev_b32_e32 v93, 24, v93
	v_bfe_u32 v116, v92, 8, 8
	v_bfe_u32 v117, v92, 16, 8
	v_lshrrev_b32_e32 v92, 24, v92
	s_wait_loadcnt 0x2
	v_bfe_u32 v119, v91, 8, 8
	v_cvt_f32_fp8_e32 v97, v97
	v_and_b32_e32 v118, 0xff, v91
	v_cvt_f32_fp8_e32 v104, v104
	v_cvt_f32_fp8_e32 v108, v108
	;; [unrolled: 1-line block ×5, first 2 shown]
	v_mul_f32_e32 v6, s37, v6
	v_cvt_f32_fp8_e32 v105, v105
	v_mul_f32_e32 v96, s37, v96
	v_cvt_f32_fp8_e32 v109, v109
	;; [unrolled: 2-line block ×3, first 2 shown]
	v_dual_mul_f32 v106, s37, v106 :: v_dual_mul_f32 v107, s37, v107
	v_bfe_u32 v102, v86, 8, 8
	v_bfe_u32 v120, v91, 16, 8
	v_lshrrev_b32_e32 v91, 24, v91
	v_cvt_f32_fp8_e32 v100, v100
	s_wait_loadcnt 0x1
	v_and_b32_e32 v121, 0xff, v90
	v_cvt_f32_fp8_e32 v101, v101
	v_cvt_f32_fp8_e32 v94, v94
	;; [unrolled: 1-line block ×8, first 2 shown]
	v_mul_f32_e32 v97, s37, v97
	v_cvt_f32_fp8_e32 v118, v118
	v_dual_mul_f32 v104, s37, v104 :: v_dual_mul_f32 v105, s37, v105
	v_dual_mul_f32 v108, s37, v108 :: v_dual_mul_f32 v109, s37, v109
	;; [unrolled: 1-line block ×4, first 2 shown]
	v_bfe_u32 v122, v95, 16, 1
	v_bfe_u32 v138, v103, 16, 1
	;; [unrolled: 1-line block ×3, first 2 shown]
	v_cvt_f32_fp8_e32 v102, v102
	v_cvt_f32_fp8_e32 v113, v113
	v_cvt_f32_fp8_e32 v120, v120
	v_cvt_f32_fp8_e32 v91, v91
	v_mul_f32_e32 v100, s37, v100
	v_cvt_f32_fp8_e32 v121, v121
	v_dual_mul_f32 v101, s37, v101 :: v_dual_mul_f32 v102, s37, v102
	v_dual_mul_f32 v94, s37, v94 :: v_dual_mul_f32 v113, s37, v113
	;; [unrolled: 1-line block ×6, first 2 shown]
	v_or_b32_e32 v123, 0x400000, v95
	v_bfe_u32 v124, v96, 16, 1
	v_bfe_u32 v126, v97, 16, 1
	;; [unrolled: 1-line block ×3, first 2 shown]
	v_or_b32_e32 v139, 0x400000, v103
	v_bfe_u32 v140, v104, 16, 1
	v_bfe_u32 v142, v105, 16, 1
	v_or_b32_e32 v147, 0x400000, v107
	v_bfe_u32 v148, v108, 16, 1
	v_bfe_u32 v150, v109, 16, 1
	v_add3_u32 v122, v122, v95, 0x7fff
	v_cmp_u_f32_e64 s26, v95, v95
	v_bfe_u32 v95, v111, 16, 1
	v_add3_u32 v138, v138, v103, 0x7fff
	v_cmp_u_f32_e64 s35, v103, v103
	;; [unrolled: 3-line block ×3, first 2 shown]
	v_bfe_u32 v107, v115, 16, 1
	v_dual_mul_f32 v120, s37, v120 :: v_dual_mul_f32 v121, s37, v121
	v_or_b32_e32 v125, 0x400000, v96
	v_or_b32_e32 v127, 0x400000, v97
	v_bfe_u32 v128, v98, 16, 1
	v_or_b32_e32 v131, 0x400000, v99
	v_bfe_u32 v132, v100, 16, 1
	v_bfe_u32 v134, v101, 16, 1
	v_or_b32_e32 v141, 0x400000, v104
	v_or_b32_e32 v143, 0x400000, v105
	v_bfe_u32 v144, v106, 16, 1
	v_or_b32_e32 v149, 0x400000, v108
	v_or_b32_e32 v151, 0x400000, v109
	v_bfe_u32 v152, v110, 16, 1
	v_add3_u32 v124, v124, v96, 0x7fff
	v_cmp_u_f32_e64 s27, v96, v96
	v_or_b32_e32 v96, 0x400000, v111
	v_add3_u32 v126, v126, v97, 0x7fff
	v_cmp_u_f32_e64 s28, v97, v97
	v_bfe_u32 v97, v94, 16, 1
	v_add3_u32 v130, v130, v99, 0x7fff
	v_cmp_u_f32_e64 s30, v99, v99
	v_bfe_u32 v99, v112, 16, 1
	v_add3_u32 v140, v140, v104, 0x7fff
	v_cmp_u_f32_e64 s25, v104, v104
	v_or_b32_e32 v104, 0x400000, v114
	v_add3_u32 v142, v142, v105, 0x7fff
	v_cmp_u_f32_e64 s24, v105, v105
	v_bfe_u32 v105, v93, 16, 1
	v_add3_u32 v148, v148, v108, 0x7fff
	v_cmp_u_f32_e64 s21, v108, v108
	v_or_b32_e32 v108, 0x400000, v115
	v_add3_u32 v150, v150, v109, 0x7fff
	v_cmp_u_f32_e64 s20, v109, v109
	v_bfe_u32 v109, v116, 16, 1
	v_add3_u32 v95, v95, v111, 0x7fff
	v_cmp_u_f32_e64 s4, v111, v111
	v_bfe_u32 v111, v117, 16, 1
	;; [unrolled: 3-line block ×4, first 2 shown]
	v_or_b32_e32 v129, 0x400000, v98
	v_or_b32_e32 v133, 0x400000, v100
	;; [unrolled: 1-line block ×3, first 2 shown]
	v_bfe_u32 v136, v102, 16, 1
	v_or_b32_e32 v145, 0x400000, v106
	v_or_b32_e32 v153, 0x400000, v110
	v_add3_u32 v128, v128, v98, 0x7fff
	v_cmp_u_f32_e64 s29, v98, v98
	v_or_b32_e32 v98, 0x400000, v94
	v_add3_u32 v132, v132, v100, 0x7fff
	v_cmp_u_f32_e64 s31, v100, v100
	;; [unrolled: 3-line block ×3, first 2 shown]
	v_bfe_u32 v101, v113, 16, 1
	v_add3_u32 v144, v144, v106, 0x7fff
	v_cmp_u_f32_e64 s23, v106, v106
	v_or_b32_e32 v106, 0x400000, v93
	v_add3_u32 v152, v152, v110, 0x7fff
	v_cmp_u_f32_e64 s19, v110, v110
	v_or_b32_e32 v110, 0x400000, v116
	;; [unrolled: 3-line block ×3, first 2 shown]
	v_add3_u32 v99, v99, v112, 0x7fff
	v_cmp_u_f32_e64 s6, v112, v112
	v_bfe_u32 v112, v92, 16, 1
	v_add3_u32 v105, v105, v93, 0x7fff
	v_cmp_u_f32_e64 s9, v93, v93
	v_or_b32_e32 v93, 0x400000, v118
	v_add3_u32 v109, v109, v116, 0x7fff
	v_cmp_u_f32_e64 s11, v116, v116
	v_or_b32_e32 v116, 0x400000, v119
	v_add3_u32 v111, v111, v117, 0x7fff
	v_cmp_u_f32_e64 s13, v117, v117
	v_bfe_u32 v117, v120, 16, 1
	v_add3_u32 v114, v114, v118, 0x7fff
	v_cmp_u_f32_e64 s15, v118, v118
	v_bfe_u32 v118, v91, 16, 1
	;; [unrolled: 3-line block ×3, first 2 shown]
	v_or_b32_e32 v137, 0x400000, v102
	v_add3_u32 v136, v136, v102, 0x7fff
	v_cmp_u_f32_e64 s34, v102, v102
	v_or_b32_e32 v102, 0x400000, v113
	v_add3_u32 v101, v101, v113, 0x7fff
	v_cmp_u_f32_e64 s7, v113, v113
	;; [unrolled: 3-line block ×6, first 2 shown]
	v_bfe_u32 v121, v6, 16, 1
	v_or_b32_e32 v154, 0x400000, v6
	v_cmp_u_f32_e64 s36, v6, v6
	s_wait_alu 0xf1ff
	v_cndmask_b32_e64 v122, v122, v123, s26
	v_cndmask_b32_e64 v124, v124, v125, s27
	v_add3_u32 v121, v121, v6, 0x7fff
	v_cndmask_b32_e64 v126, v126, v127, s28
	v_cndmask_b32_e64 v128, v128, v129, s29
	;; [unrolled: 1-line block ×5, first 2 shown]
	v_bfe_u32 v121, v81, 8, 8
	v_lshrrev_b32_e32 v81, 24, v81
	v_cndmask_b32_e64 v134, v134, v135, s33
	v_cndmask_b32_e64 v136, v136, v137, s34
	v_and_b32_e32 v6, 0xffff0000, v6
	v_cvt_f32_fp8_e32 v121, v121
	v_cvt_f32_fp8_e32 v81, v81
	v_cndmask_b32_e64 v138, v138, v139, s35
	v_cndmask_b32_e64 v140, v140, v141, s25
	;; [unrolled: 1-line block ×3, first 2 shown]
	v_mul_f32_e32 v121, s37, v121
	v_mul_f32_e32 v81, s37, v81
	v_bfe_u32 v89, v89, 8, 8
	v_cndmask_b32_e64 v144, v144, v145, s23
	v_cndmask_b32_e64 v146, v146, v147, s22
	v_bfe_u32 v154, v121, 16, 1
	v_or_b32_e32 v155, 0x400000, v121
	v_cmp_u_f32_e64 s36, v121, v121
	v_bfe_u32 v123, v81, 16, 1
	v_cmp_u_f32_e64 s26, v81, v81
	v_add3_u32 v154, v154, v121, 0x7fff
	v_cvt_f32_fp8_e32 v89, v89
	v_bfe_u32 v147, v90, 16, 8
	v_add3_u32 v123, v123, v81, 0x7fff
	v_cndmask_b32_e64 v95, v95, v96, s4
	s_wait_alu 0xf1ff
	v_cndmask_b32_e64 v121, v154, v155, s36
	v_or_b32_e32 v154, 0x400000, v81
	v_mul_f32_e32 v89, s37, v89
	v_cvt_f32_fp8_e32 v147, v147
	v_cndmask_b32_e64 v97, v97, v98, s5
	v_cndmask_b32_e64 v99, v99, v100, s6
	;; [unrolled: 1-line block ×3, first 2 shown]
	v_and_b32_e32 v123, 0xff, v82
	v_bfe_u32 v82, v82, 16, 8
	v_bfe_u32 v145, v89, 16, 1
	v_cmp_u_f32_e64 s23, v89, v89
	v_cndmask_b32_e64 v101, v101, v102, s7
	v_cvt_f32_fp8_e32 v123, v123
	v_cvt_f32_fp8_e32 v82, v82
	v_add3_u32 v145, v145, v89, 0x7fff
	v_cndmask_b32_e64 v103, v103, v104, s8
	v_cndmask_b32_e64 v105, v105, v106, s9
	s_delay_alu instid0(VALU_DEP_4)
	v_dual_mul_f32 v123, s37, v123 :: v_dual_mul_f32 v82, s37, v82
	v_cndmask_b32_e64 v148, v148, v149, s21
	v_cndmask_b32_e64 v150, v150, v151, s20
	s_wait_loadcnt 0x0
	v_bfe_u32 v151, v5, 8, 8
	v_bfe_u32 v154, v123, 16, 1
	v_or_b32_e32 v155, 0x400000, v123
	v_cmp_u_f32_e64 s26, v123, v123
	v_bfe_u32 v125, v82, 16, 1
	v_cvt_f32_fp8_e32 v151, v151
	v_add3_u32 v154, v154, v123, 0x7fff
	v_cndmask_b32_e64 v107, v107, v108, s10
	v_cndmask_b32_e64 v152, v152, v153, s19
	v_add3_u32 v125, v125, v82, 0x7fff
	v_bfe_u32 v153, v5, 16, 8
	s_wait_alu 0xf1ff
	v_cndmask_b32_e64 v123, v154, v155, s26
	v_or_b32_e32 v154, 0x400000, v82
	v_cmp_u_f32_e64 s26, v82, v82
	v_cndmask_b32_e64 v109, v109, v110, s11
	v_cvt_f32_fp8_e32 v153, v153
	v_cndmask_b32_e64 v94, v111, v94, s13
	v_cndmask_b32_e64 v112, v112, v113, s14
	s_wait_alu 0xf1ff
	v_cndmask_b32_e64 v82, v125, v154, s26
	v_and_b32_e32 v125, 0xff, v83
	v_mul_f32_e32 v153, s37, v153
	v_cndmask_b32_e64 v93, v114, v93, s15
	v_cndmask_b32_e64 v115, v115, v116, s16
	v_and_b32_e32 v82, 0xffff0000, v82
	v_cvt_f32_fp8_e32 v125, v125
	v_cndmask_b32_e64 v92, v117, v92, s18
	v_cndmask_b32_e64 v118, v118, v120, s17
	;; [unrolled: 1-line block ×3, first 2 shown]
	s_delay_alu instid0(VALU_DEP_4) | instskip(NEXT) | instid1(VALU_DEP_1)
	v_dual_mul_f32 v82, v22, v82 :: v_dual_mul_f32 v125, s37, v125
	v_bfe_u32 v127, v125, 16, 1
	v_or_b32_e32 v154, 0x400000, v125
	v_cmp_u_f32_e64 s26, v125, v125
	s_delay_alu instid0(VALU_DEP_3) | instskip(SKIP_1) | instid1(VALU_DEP_1)
	v_add3_u32 v127, v127, v125, 0x7fff
	s_wait_alu 0xf1ff
	v_cndmask_b32_e64 v125, v127, v154, s26
	v_bfe_u32 v127, v83, 8, 8
	v_lshrrev_b32_e32 v83, 24, v83
	s_delay_alu instid0(VALU_DEP_2) | instskip(NEXT) | instid1(VALU_DEP_2)
	v_cvt_f32_fp8_e32 v127, v127
	v_cvt_f32_fp8_e32 v83, v83
	s_delay_alu instid0(VALU_DEP_2) | instskip(NEXT) | instid1(VALU_DEP_2)
	v_mul_f32_e32 v127, s37, v127
	v_mul_f32_e32 v83, s37, v83
	s_delay_alu instid0(VALU_DEP_2) | instskip(SKIP_2) | instid1(VALU_DEP_4)
	v_bfe_u32 v154, v127, 16, 1
	v_or_b32_e32 v155, 0x400000, v127
	v_cmp_u_f32_e64 s26, v127, v127
	v_bfe_u32 v129, v83, 16, 1
	s_delay_alu instid0(VALU_DEP_4) | instskip(NEXT) | instid1(VALU_DEP_2)
	v_add3_u32 v154, v154, v127, 0x7fff
	v_add3_u32 v129, v129, v83, 0x7fff
	s_wait_alu 0xf1ff
	s_delay_alu instid0(VALU_DEP_2) | instskip(SKIP_3) | instid1(VALU_DEP_1)
	v_cndmask_b32_e64 v127, v154, v155, s26
	v_or_b32_e32 v154, 0x400000, v83
	v_cmp_u_f32_e64 s26, v83, v83
	s_wait_alu 0xf1ff
	v_cndmask_b32_e64 v83, v129, v154, s26
	v_and_b32_e32 v129, 0xff, v84
	v_bfe_u32 v84, v84, 16, 8
	s_delay_alu instid0(VALU_DEP_2) | instskip(NEXT) | instid1(VALU_DEP_2)
	v_cvt_f32_fp8_e32 v129, v129
	v_cvt_f32_fp8_e32 v84, v84
	s_delay_alu instid0(VALU_DEP_1) | instskip(NEXT) | instid1(VALU_DEP_1)
	v_dual_mul_f32 v129, s37, v129 :: v_dual_mul_f32 v84, s37, v84
	v_bfe_u32 v154, v129, 16, 1
	v_or_b32_e32 v155, 0x400000, v129
	v_cmp_u_f32_e64 s26, v129, v129
	s_delay_alu instid0(VALU_DEP_4) | instskip(NEXT) | instid1(VALU_DEP_4)
	v_bfe_u32 v131, v84, 16, 1
	v_add3_u32 v154, v154, v129, 0x7fff
	s_delay_alu instid0(VALU_DEP_2) | instskip(SKIP_1) | instid1(VALU_DEP_2)
	v_add3_u32 v131, v131, v84, 0x7fff
	s_wait_alu 0xf1ff
	v_cndmask_b32_e64 v129, v154, v155, s26
	v_or_b32_e32 v154, 0x400000, v84
	v_cmp_u_f32_e64 s26, v84, v84
	s_wait_alu 0xf1ff
	s_delay_alu instid0(VALU_DEP_1) | instskip(SKIP_1) | instid1(VALU_DEP_2)
	v_cndmask_b32_e64 v84, v131, v154, s26
	v_and_b32_e32 v131, 0xff, v85
	v_and_b32_e32 v84, 0xffff0000, v84
	s_delay_alu instid0(VALU_DEP_2) | instskip(NEXT) | instid1(VALU_DEP_1)
	v_cvt_f32_fp8_e32 v131, v131
	v_mul_f32_e32 v131, s37, v131
	s_delay_alu instid0(VALU_DEP_1) | instskip(SKIP_2) | instid1(VALU_DEP_3)
	v_bfe_u32 v133, v131, 16, 1
	v_or_b32_e32 v154, 0x400000, v131
	v_cmp_u_f32_e64 s26, v131, v131
	v_add3_u32 v133, v133, v131, 0x7fff
	s_wait_alu 0xf1ff
	s_delay_alu instid0(VALU_DEP_1) | instskip(SKIP_2) | instid1(VALU_DEP_2)
	v_cndmask_b32_e64 v131, v133, v154, s26
	v_bfe_u32 v133, v85, 8, 8
	v_lshrrev_b32_e32 v85, 24, v85
	v_cvt_f32_fp8_e32 v133, v133
	s_delay_alu instid0(VALU_DEP_2) | instskip(NEXT) | instid1(VALU_DEP_2)
	v_cvt_f32_fp8_e32 v85, v85
	v_mul_f32_e32 v133, s37, v133
	s_delay_alu instid0(VALU_DEP_2) | instskip(NEXT) | instid1(VALU_DEP_2)
	v_mul_f32_e32 v85, s37, v85
	v_bfe_u32 v154, v133, 16, 1
	v_or_b32_e32 v155, 0x400000, v133
	v_cmp_u_f32_e64 s26, v133, v133
	s_delay_alu instid0(VALU_DEP_4) | instskip(NEXT) | instid1(VALU_DEP_4)
	v_bfe_u32 v135, v85, 16, 1
	v_add3_u32 v154, v154, v133, 0x7fff
	s_delay_alu instid0(VALU_DEP_2) | instskip(SKIP_1) | instid1(VALU_DEP_2)
	v_add3_u32 v135, v135, v85, 0x7fff
	s_wait_alu 0xf1ff
	v_cndmask_b32_e64 v133, v154, v155, s26
	v_or_b32_e32 v154, 0x400000, v85
	v_cmp_u_f32_e64 s26, v85, v85
	s_wait_alu 0xf1ff
	s_delay_alu instid0(VALU_DEP_1) | instskip(SKIP_2) | instid1(VALU_DEP_2)
	v_cndmask_b32_e64 v85, v135, v154, s26
	v_and_b32_e32 v135, 0xff, v86
	v_bfe_u32 v86, v86, 16, 8
	v_cvt_f32_fp8_e32 v135, v135
	s_delay_alu instid0(VALU_DEP_2) | instskip(NEXT) | instid1(VALU_DEP_1)
	v_cvt_f32_fp8_e32 v86, v86
	v_dual_mul_f32 v135, s37, v135 :: v_dual_mul_f32 v86, s37, v86
	s_delay_alu instid0(VALU_DEP_1) | instskip(SKIP_2) | instid1(VALU_DEP_4)
	v_bfe_u32 v154, v135, 16, 1
	v_or_b32_e32 v155, 0x400000, v135
	v_cmp_u_f32_e64 s26, v135, v135
	v_bfe_u32 v137, v86, 16, 1
	s_delay_alu instid0(VALU_DEP_4) | instskip(NEXT) | instid1(VALU_DEP_2)
	v_add3_u32 v154, v154, v135, 0x7fff
	v_add3_u32 v137, v137, v86, 0x7fff
	s_wait_alu 0xf1ff
	s_delay_alu instid0(VALU_DEP_2) | instskip(SKIP_3) | instid1(VALU_DEP_1)
	v_cndmask_b32_e64 v135, v154, v155, s26
	v_or_b32_e32 v154, 0x400000, v86
	v_cmp_u_f32_e64 s26, v86, v86
	s_wait_alu 0xf1ff
	v_cndmask_b32_e64 v86, v137, v154, s26
	v_and_b32_e32 v137, 0xff, v87
	s_delay_alu instid0(VALU_DEP_2) | instskip(NEXT) | instid1(VALU_DEP_2)
	v_and_b32_e32 v86, 0xffff0000, v86
	v_cvt_f32_fp8_e32 v137, v137
	s_delay_alu instid0(VALU_DEP_1) | instskip(NEXT) | instid1(VALU_DEP_1)
	v_mul_f32_e32 v137, s37, v137
	v_bfe_u32 v139, v137, 16, 1
	v_or_b32_e32 v154, 0x400000, v137
	v_cmp_u_f32_e64 s26, v137, v137
	s_delay_alu instid0(VALU_DEP_3) | instskip(SKIP_1) | instid1(VALU_DEP_1)
	v_add3_u32 v139, v139, v137, 0x7fff
	s_wait_alu 0xf1ff
	v_cndmask_b32_e64 v137, v139, v154, s26
	v_bfe_u32 v139, v87, 8, 8
	v_lshrrev_b32_e32 v87, 24, v87
	v_mul_f32_e32 v147, s37, v147
	s_delay_alu instid0(VALU_DEP_3) | instskip(NEXT) | instid1(VALU_DEP_3)
	v_cvt_f32_fp8_e32 v139, v139
	v_cvt_f32_fp8_e32 v87, v87
	s_delay_alu instid0(VALU_DEP_3) | instskip(SKIP_1) | instid1(VALU_DEP_4)
	v_bfe_u32 v100, v147, 16, 1
	v_or_b32_e32 v102, 0x400000, v147
	v_mul_f32_e32 v139, s37, v139
	s_delay_alu instid0(VALU_DEP_4) | instskip(NEXT) | instid1(VALU_DEP_4)
	v_mul_f32_e32 v87, s37, v87
	v_add3_u32 v100, v100, v147, 0x7fff
	s_delay_alu instid0(VALU_DEP_3)
	v_bfe_u32 v154, v139, 16, 1
	v_or_b32_e32 v155, 0x400000, v139
	v_cmp_u_f32_e64 s26, v139, v139
	v_bfe_u32 v141, v87, 16, 1
	v_cmp_u_f32_e64 s25, v87, v87
	v_add3_u32 v154, v154, v139, 0x7fff
	s_delay_alu instid0(VALU_DEP_3) | instskip(SKIP_1) | instid1(VALU_DEP_2)
	v_add3_u32 v141, v141, v87, 0x7fff
	s_wait_alu 0xf1ff
	v_cndmask_b32_e64 v139, v154, v155, s26
	v_or_b32_e32 v154, 0x400000, v87
	s_delay_alu instid0(VALU_DEP_1) | instskip(SKIP_1) | instid1(VALU_DEP_1)
	v_cndmask_b32_e64 v87, v141, v154, s25
	v_bfe_u32 v141, v88, 8, 8
	v_cvt_f32_fp8_e32 v141, v141
	s_delay_alu instid0(VALU_DEP_1) | instskip(NEXT) | instid1(VALU_DEP_1)
	v_mul_f32_e32 v141, s37, v141
	v_bfe_u32 v143, v141, 16, 1
	v_or_b32_e32 v154, 0x400000, v141
	v_cmp_u_f32_e64 s24, v141, v141
	s_delay_alu instid0(VALU_DEP_3) | instskip(SKIP_1) | instid1(VALU_DEP_1)
	v_add3_u32 v143, v143, v141, 0x7fff
	s_wait_alu 0xf1ff
	v_cndmask_b32_e64 v141, v143, v154, s24
	v_bfe_u32 v143, v88, 16, 8
	v_lshrrev_b32_e32 v88, 24, v88
	v_mul_f32_e32 v151, s37, v151
	s_delay_alu instid0(VALU_DEP_3) | instskip(NEXT) | instid1(VALU_DEP_3)
	v_cvt_f32_fp8_e32 v143, v143
	v_cvt_f32_fp8_e32 v88, v88
	s_delay_alu instid0(VALU_DEP_1) | instskip(NEXT) | instid1(VALU_DEP_1)
	v_dual_mul_f32 v143, s37, v143 :: v_dual_mul_f32 v88, s37, v88
	v_bfe_u32 v154, v143, 16, 1
	v_or_b32_e32 v155, 0x400000, v143
	v_cmp_u_f32_e64 s24, v143, v143
	s_delay_alu instid0(VALU_DEP_3) | instskip(SKIP_1) | instid1(VALU_DEP_1)
	v_add3_u32 v154, v154, v143, 0x7fff
	s_wait_alu 0xf1ff
	v_cndmask_b32_e64 v143, v154, v155, s24
	v_bfe_u32 v154, v88, 16, 1
	v_or_b32_e32 v155, 0x400000, v88
	v_cmp_u_f32_e64 s24, v88, v88
	s_delay_alu instid0(VALU_DEP_3) | instskip(SKIP_1) | instid1(VALU_DEP_1)
	v_add3_u32 v154, v154, v88, 0x7fff
	s_wait_alu 0xf1ff
	v_cndmask_b32_e64 v88, v154, v155, s24
	v_or_b32_e32 v154, 0x400000, v89
	s_delay_alu instid0(VALU_DEP_2) | instskip(NEXT) | instid1(VALU_DEP_2)
	v_and_b32_e32 v88, 0xffff0000, v88
	v_cndmask_b32_e64 v89, v145, v154, s23
	v_bfe_u32 v145, v90, 8, 8
	v_lshrrev_b32_e32 v90, 24, v90
	s_delay_alu instid0(VALU_DEP_2) | instskip(NEXT) | instid1(VALU_DEP_2)
	v_cvt_f32_fp8_e32 v145, v145
	v_cvt_f32_fp8_e32 v90, v90
	s_delay_alu instid0(VALU_DEP_1) | instskip(NEXT) | instid1(VALU_DEP_1)
	v_dual_mul_f32 v145, s37, v145 :: v_dual_mul_f32 v90, s37, v90
	v_bfe_u32 v96, v145, 16, 1
	v_or_b32_e32 v98, 0x400000, v145
	v_cmp_u_f32_e64 s4, v145, v145
	s_delay_alu instid0(VALU_DEP_4) | instskip(SKIP_2) | instid1(VALU_DEP_3)
	v_bfe_u32 v104, v90, 16, 1
	v_or_b32_e32 v106, 0x400000, v90
	v_add3_u32 v96, v96, v145, 0x7fff
	v_add3_u32 v104, v104, v90, 0x7fff
	s_wait_alu 0xf1ff
	s_delay_alu instid0(VALU_DEP_2) | instskip(SKIP_2) | instid1(VALU_DEP_1)
	v_cndmask_b32_e64 v96, v96, v98, s4
	v_cmp_u_f32_e64 s4, v147, v147
	s_wait_alu 0xf1ff
	v_cndmask_b32_e64 v98, v100, v102, s4
	v_cmp_u_f32_e64 s4, v90, v90
	s_wait_alu 0xf1ff
	s_delay_alu instid0(VALU_DEP_1) | instskip(SKIP_1) | instid1(VALU_DEP_1)
	v_cndmask_b32_e64 v90, v104, v106, s4
	v_and_b32_e32 v106, 0xffff0000, v123
	v_dual_mul_f32 v106, v20, v106 :: v_dual_and_b32 v149, 0xff, v5
	v_lshrrev_b32_e32 v5, 24, v5
	s_delay_alu instid0(VALU_DEP_2) | instskip(NEXT) | instid1(VALU_DEP_3)
	v_fmac_f32_e32 v106, v12, v6
	v_cvt_f32_fp8_e32 v149, v149
	s_delay_alu instid0(VALU_DEP_3) | instskip(NEXT) | instid1(VALU_DEP_2)
	v_cvt_f32_fp8_e32 v5, v5
	v_dual_mul_f32 v149, s37, v149 :: v_dual_and_b32 v6, 0xffff0000, v94
	s_delay_alu instid0(VALU_DEP_2) | instskip(NEXT) | instid1(VALU_DEP_2)
	v_mul_f32_e32 v5, s37, v5
	v_bfe_u32 v108, v149, 16, 1
	v_or_b32_e32 v110, 0x400000, v149
	v_cmp_u_f32_e64 s4, v149, v149
	s_delay_alu instid0(VALU_DEP_3) | instskip(SKIP_1) | instid1(VALU_DEP_1)
	v_add3_u32 v108, v108, v149, 0x7fff
	s_wait_alu 0xf1ff
	v_cndmask_b32_e64 v100, v108, v110, s4
	v_and_b32_e32 v110, 0xffff0000, v121
	v_and_b32_e32 v121, 0xffff0000, v132
	;; [unrolled: 1-line block ×3, first 2 shown]
	v_bfe_u32 v111, v151, 16, 1
	v_or_b32_e32 v113, 0x400000, v151
	v_cmp_u_f32_e64 s4, v151, v151
	v_and_b32_e32 v108, 0xffff0000, v124
	v_and_b32_e32 v124, 0xffff0000, v134
	v_add3_u32 v111, v111, v151, 0x7fff
	v_and_b32_e32 v134, 0xffff0000, v144
	s_delay_alu instid0(VALU_DEP_4) | instskip(SKIP_1) | instid1(VALU_DEP_3)
	v_dual_mul_f32 v108, v21, v108 :: v_dual_and_b32 v81, 0xffff0000, v81
	s_wait_alu 0xf1ff
	v_cndmask_b32_e64 v102, v111, v113, s4
	v_and_b32_e32 v113, 0xffff0000, v126
	v_and_b32_e32 v126, 0xffff0000, v136
	;; [unrolled: 1-line block ×3, first 2 shown]
	v_bfe_u32 v114, v153, 16, 1
	v_or_b32_e32 v116, 0x400000, v153
	v_cmp_u_f32_e64 s4, v153, v153
	v_fmac_f32_e32 v108, v13, v110
	s_delay_alu instid0(VALU_DEP_4) | instskip(SKIP_1) | instid1(VALU_DEP_1)
	v_add3_u32 v114, v114, v153, 0x7fff
	s_wait_alu 0xf1ff
	v_cndmask_b32_e64 v104, v114, v116, s4
	v_and_b32_e32 v116, 0xffff0000, v127
	v_and_b32_e32 v127, 0xffff0000, v138
	;; [unrolled: 1-line block ×3, first 2 shown]
	v_bfe_u32 v117, v5, 16, 1
	v_or_b32_e32 v120, 0x400000, v5
	v_cmp_u_f32_e64 s4, v5, v5
	v_and_b32_e32 v114, 0xffff0000, v125
	v_dual_fmac_f32 v108, v25, v116 :: v_dual_and_b32 v111, 0xffff0000, v122
	v_add3_u32 v117, v117, v5, 0x7fff
	v_and_b32_e32 v122, 0xffff0000, v131
	s_delay_alu instid0(VALU_DEP_4) | instskip(NEXT) | instid1(VALU_DEP_4)
	v_fmac_f32_e32 v106, v24, v114
	v_fmac_f32_e32 v82, v14, v111
	v_mul_f32_e32 v94, v23, v113
	s_wait_alu 0xf1ff
	v_cndmask_b32_e64 v5, v117, v120, s4
	v_and_b32_e32 v117, 0xffff0000, v128
	v_and_b32_e32 v120, 0xffff0000, v130
	v_and_b32_e32 v119, 0xffff0000, v129
	v_and_b32_e32 v128, 0xffff0000, v137
	v_dual_fmac_f32 v94, v19, v81 :: v_dual_and_b32 v83, 0xffff0000, v83
	s_delay_alu instid0(VALU_DEP_4) | instskip(NEXT) | instid1(VALU_DEP_4)
	v_dual_fmac_f32 v108, v29, v120 :: v_dual_and_b32 v123, 0xffff0000, v133
	v_fmac_f32_e32 v106, v28, v119
	v_dual_fmac_f32 v82, v26, v117 :: v_dual_and_b32 v129, 0xffff0000, v139
	v_and_b32_e32 v125, 0xffff0000, v135
	s_delay_alu instid0(VALU_DEP_4) | instskip(NEXT) | instid1(VALU_DEP_4)
	v_fmac_f32_e32 v108, v33, v123
	v_dual_fmac_f32 v106, v32, v122 :: v_dual_and_b32 v85, 0xffff0000, v85
	v_fmac_f32_e32 v94, v27, v83
	v_dual_fmac_f32 v82, v30, v84 :: v_dual_and_b32 v133, 0xffff0000, v143
	s_delay_alu instid0(VALU_DEP_3) | instskip(SKIP_2) | instid1(VALU_DEP_3)
	v_dual_fmac_f32 v106, v36, v125 :: v_dual_and_b32 v131, 0xffff0000, v142
	v_and_b32_e32 v95, 0xffff0000, v95
	v_dual_fmac_f32 v108, v37, v126 :: v_dual_and_b32 v89, 0xffff0000, v89
	v_fmac_f32_e32 v106, v40, v128
	v_dual_fmac_f32 v82, v34, v124 :: v_dual_and_b32 v105, 0xffff0000, v105
	v_and_b32_e32 v130, 0xffff0000, v140
	v_dual_fmac_f32 v94, v31, v121 :: v_dual_and_b32 v87, 0xffff0000, v87
	s_delay_alu instid0(VALU_DEP_4) | instskip(NEXT) | instid1(VALU_DEP_4)
	v_dual_fmac_f32 v106, v44, v131 :: v_dual_and_b32 v137, 0xffff0000, v152
	v_dual_fmac_f32 v82, v38, v86 :: v_dual_and_b32 v99, 0xffff0000, v99
	v_fmac_f32_e32 v108, v41, v129
	s_delay_alu instid0(VALU_DEP_3) | instskip(SKIP_1) | instid1(VALU_DEP_4)
	v_dual_fmac_f32 v106, v48, v134 :: v_dual_and_b32 v81, 0xffff0000, v93
	v_dual_fmac_f32 v94, v35, v85 :: v_dual_and_b32 v135, 0xffff0000, v146
	;; [unrolled: 1-line block ×3, first 2 shown]
	s_delay_alu instid0(VALU_DEP_4) | instskip(NEXT) | instid1(VALU_DEP_4)
	v_dual_fmac_f32 v108, v45, v132 :: v_dual_and_b32 v103, 0xffff0000, v103
	v_dual_fmac_f32 v106, v52, v136 :: v_dual_and_b32 v97, 0xffff0000, v97
	s_delay_alu instid0(VALU_DEP_4) | instskip(NEXT) | instid1(VALU_DEP_4)
	v_fmac_f32_e32 v94, v39, v127
	v_dual_fmac_f32 v82, v46, v133 :: v_dual_and_b32 v107, 0xffff0000, v107
	s_delay_alu instid0(VALU_DEP_4) | instskip(NEXT) | instid1(VALU_DEP_4)
	v_dual_fmac_f32 v108, v49, v89 :: v_dual_and_b32 v83, 0xffff0000, v115
	v_dual_fmac_f32 v106, v56, v99 :: v_dual_and_b32 v89, 0xffff0000, v90
	s_delay_alu instid0(VALU_DEP_4) | instskip(NEXT) | instid1(VALU_DEP_4)
	v_dual_fmac_f32 v94, v43, v87 :: v_dual_and_b32 v109, 0xffff0000, v109
	v_dual_fmac_f32 v82, v50, v135 :: v_dual_and_b32 v87, 0xffff0000, v96
	s_delay_alu instid0(VALU_DEP_4) | instskip(NEXT) | instid1(VALU_DEP_4)
	v_fmac_f32_e32 v108, v53, v137
	v_fmac_f32_e32 v106, v60, v107
	v_and_b32_e32 v84, 0xffff0000, v92
	v_dual_fmac_f32 v94, v47, v88 :: v_dual_and_b32 v85, 0xffff0000, v118
	v_fmac_f32_e32 v82, v54, v95
	s_delay_alu instid0(VALU_DEP_4) | instskip(SKIP_2) | instid1(VALU_DEP_4)
	v_dual_fmac_f32 v106, v64, v81 :: v_dual_and_b32 v81, 0xffff0000, v104
	v_fmac_f32_e32 v108, v57, v101
	v_and_b32_e32 v86, 0xffff0000, v91
	v_fmac_f32_e32 v82, v58, v103
	v_and_b32_e32 v88, 0xffff0000, v98
	v_dual_fmac_f32 v94, v51, v138 :: v_dual_and_b32 v5, 0xffff0000, v5
	v_fmac_f32_e32 v108, v61, v109
	s_delay_alu instid0(VALU_DEP_4)
	v_fmac_f32_e32 v82, v62, v6
	v_and_b32_e32 v90, 0xffff0000, v100
	v_and_b32_e32 v6, 0xffff0000, v102
	v_fmac_f32_e32 v106, v70, v86
	v_fmac_f32_e32 v108, v65, v83
	;; [unrolled: 1-line block ×4, first 2 shown]
	s_delay_alu instid0(VALU_DEP_4) | instskip(NEXT) | instid1(VALU_DEP_4)
	v_fmac_f32_e32 v106, v74, v90
	v_fmac_f32_e32 v108, v71, v87
	s_delay_alu instid0(VALU_DEP_4) | instskip(NEXT) | instid1(VALU_DEP_4)
	v_fmac_f32_e32 v82, v72, v88
	v_fmac_f32_e32 v94, v59, v105
	s_delay_alu instid0(VALU_DEP_3) | instskip(NEXT) | instid1(VALU_DEP_3)
	v_fmac_f32_e32 v108, v75, v6
	v_fmac_f32_e32 v82, v76, v81
	s_delay_alu instid0(VALU_DEP_2) | instskip(SKIP_1) | instid1(VALU_DEP_1)
	v_add_f32_e32 v6, v106, v108
	v_and_b32_e32 v110, 0xffff0000, v112
	v_fmac_f32_e32 v94, v63, v110
	s_delay_alu instid0(VALU_DEP_1) | instskip(NEXT) | instid1(VALU_DEP_1)
	v_fmac_f32_e32 v94, v69, v85
	v_fmac_f32_e32 v94, v73, v89
	s_delay_alu instid0(VALU_DEP_1) | instskip(NEXT) | instid1(VALU_DEP_1)
	v_dual_fmac_f32 v94, v77, v5 :: v_dual_add_f32 v5, v6, v82
	v_add_f32_e32 v5, v94, v5
	ds_bpermute_b32 v6, v68, v5
	s_and_saveexec_b32 s5, vcc_lo
	s_cbranch_execz .LBB345_9
; %bb.11:                               ;   in Loop: Header=BB345_10 Depth=1
	s_wait_dscnt 0x0
	v_add_f32_e32 v5, v5, v6
	v_add_nc_u32_e32 v81, s61, v78
	v_cmp_gt_i32_e64 s4, s53, v78
	s_delay_alu instid0(VALU_DEP_2) | instskip(NEXT) | instid1(VALU_DEP_1)
	v_cvt_f32_i32_e32 v81, v81
	v_mul_f32_e32 v81, s58, v81
	s_delay_alu instid0(VALU_DEP_1) | instskip(NEXT) | instid1(VALU_DEP_1)
	v_cndmask_b32_e64 v6, 0, v81, s3
	v_dual_max_num_f32 v81, v66, v66 :: v_dual_fmac_f32 v6, s51, v5
	s_delay_alu instid0(VALU_DEP_1) | instskip(SKIP_2) | instid1(VALU_DEP_2)
	v_max_num_f32_e32 v5, v81, v6
	s_wait_alu 0xf1ff
	v_cndmask_b32_e64 v6, 0, v6, s4
	v_cndmask_b32_e64 v66, v66, v5, s4
	ds_store_b32 v79, v6
	s_branch .LBB345_9
.LBB345_12:
	s_or_b32 exec_lo, exec_lo, s43
.LBB345_13:
	s_delay_alu instid0(SALU_CYCLE_1)
	s_or_b32 exec_lo, exec_lo, s59
	v_xor_b32_e32 v1, 16, v9
	v_xor_b32_e32 v2, 8, v9
	s_clause 0x2
	s_load_b128 s[4:7], s[0:1], 0x0
	s_load_b64 s[8:9], s[0:1], 0x10
	s_load_b64 s[12:13], s[0:1], 0x28
	v_lshlrev_b32_e32 v13, 2, v17
	v_max_num_f32_e32 v3, v66, v66
	v_cmp_lt_i32_e32 vcc_lo, v1, v11
	s_wait_alu 0xfffd
	v_cndmask_b32_e32 v1, v9, v1, vcc_lo
	v_cmp_lt_i32_e32 vcc_lo, v2, v11
	s_wait_alu 0xfffd
	v_cndmask_b32_e32 v2, v9, v2, vcc_lo
	s_wait_dscnt 0x0
	s_delay_alu instid0(VALU_DEP_1) | instskip(SKIP_4) | instid1(VALU_DEP_1)
	v_lshlrev_b32_e32 v6, 2, v2
	v_lshlrev_b32_e32 v4, 2, v1
	ds_bpermute_b32 v1, v4, v66
	s_wait_dscnt 0x0
	v_max_num_f32_e32 v1, v1, v1
	v_max_num_f32_e32 v1, v3, v1
	v_xor_b32_e32 v3, 4, v9
	ds_bpermute_b32 v2, v6, v1
	v_cmp_lt_i32_e32 vcc_lo, v3, v11
	s_wait_dscnt 0x0
	s_wait_alu 0xfffd
	v_dual_cndmask_b32 v3, v9, v3 :: v_dual_max_num_f32 v2, v2, v2
	s_delay_alu instid0(VALU_DEP_1) | instskip(SKIP_1) | instid1(VALU_DEP_3)
	v_lshlrev_b32_e32 v12, 2, v3
	v_xor_b32_e32 v3, 2, v9
	v_max_num_f32_e32 v1, v1, v2
	s_delay_alu instid0(VALU_DEP_2) | instskip(SKIP_4) | instid1(VALU_DEP_1)
	v_cmp_lt_i32_e32 vcc_lo, v3, v11
	ds_bpermute_b32 v2, v12, v1
	s_wait_alu 0xfffd
	v_cndmask_b32_e32 v3, v9, v3, vcc_lo
	s_wait_dscnt 0x0
	v_dual_max_num_f32 v2, v2, v2 :: v_dual_lshlrev_b32 v3, 2, v3
	s_delay_alu instid0(VALU_DEP_1)
	v_dual_max_num_f32 v2, v1, v2 :: v_dual_and_b32 v1, 31, v0
	ds_bpermute_b32 v5, v3, v2
	v_cmp_eq_u32_e32 vcc_lo, 0, v1
	s_and_saveexec_b32 s0, vcc_lo
	s_cbranch_execz .LBB345_15
; %bb.14:
	s_wait_dscnt 0x0
	v_dual_max_num_f32 v5, v5, v5 :: v_dual_max_num_f32 v2, v2, v2
	s_delay_alu instid0(VALU_DEP_1)
	v_max_num_f32_e32 v2, v2, v5
	ds_store_b32 v13, v2 offset:240
.LBB345_15:
	s_or_b32 exec_lo, exec_lo, s0
	v_cmp_gt_u32_e64 s0, 4, v1
	v_mov_b32_e32 v2, 0xff7fffff
	v_lshlrev_b32_e32 v14, 2, v1
	s_wait_loadcnt_dscnt 0x0
	s_barrier_signal -1
	s_barrier_wait -1
	global_inv scope:SCOPE_SE
	s_and_saveexec_b32 s1, s0
; %bb.16:
	ds_load_b32 v2, v14 offset:240
; %bb.17:
	s_or_b32 exec_lo, exec_lo, s1
	s_wait_dscnt 0x0
	ds_bpermute_b32 v5, v3, v2
	v_xor_b32_e32 v19, 1, v9
	v_max_num_f32_e32 v2, v2, v2
	s_delay_alu instid0(VALU_DEP_2) | instskip(NEXT) | instid1(VALU_DEP_1)
	v_cmp_lt_i32_e64 s1, v19, v11
	v_cndmask_b32_e64 v11, v9, v19, s1
	s_sub_co_i32 s1, s45, s57
	s_wait_alu 0xfffe
	s_lshl_b32 s1, s1, 4
	s_delay_alu instid0(VALU_DEP_1)
	v_lshlrev_b32_e32 v20, 2, v11
	s_wait_alu 0xfffe
	s_add_co_i32 s1, s1, s54
	s_wait_alu 0xfffe
	s_min_i32 s1, s1, s53
	s_wait_dscnt 0x0
	v_max_num_f32_e32 v5, v5, v5
	s_wait_alu 0xfffe
	s_sub_co_i32 s10, s1, s54
	s_wait_alu 0xfffe
	v_cmp_gt_i32_e64 s1, s10, v0
	v_max_num_f32_e32 v2, v2, v5
	ds_bpermute_b32 v5, v20, v2
	s_wait_dscnt 0x0
	v_max_num_f32_e32 v5, v5, v5
	s_delay_alu instid0(VALU_DEP_1)
	v_dual_max_num_f32 v2, v2, v5 :: v_dual_lshlrev_b32 v5, 2, v10
	v_mov_b32_e32 v10, 0
	ds_bpermute_b32 v2, v5, v2
	v_lshl_add_u32 v5, v0, 2, 0x110
	s_and_saveexec_b32 s11, s1
	s_cbranch_execz .LBB345_21
; %bb.18:
	v_lshl_add_u32 v11, v0, 2, 0x110
	v_dual_mov_b32 v10, 0 :: v_dual_mov_b32 v19, v0
	s_mov_b32 s14, 0
.LBB345_19:                             ; =>This Inner Loop Header: Depth=1
	ds_load_b32 v21, v11
	s_wait_dscnt 0x0
	v_sub_f32_e32 v21, v21, v2
	s_delay_alu instid0(VALU_DEP_1) | instskip(NEXT) | instid1(VALU_DEP_1)
	v_mul_f32_e32 v21, 0x3fb8aa3b, v21
	v_exp_f32_e32 v21, v21
	s_delay_alu instid0(TRANS32_DEP_1) | instskip(NEXT) | instid1(VALU_DEP_1)
	v_dual_add_f32 v10, v10, v21 :: v_dual_add_nc_u32 v19, 0x80, v19
	v_cmp_le_i32_e64 s3, s10, v19
	ds_store_b32 v11, v21
	v_add_nc_u32_e32 v11, 0x200, v11
	s_wait_alu 0xfffe
	s_or_b32 s14, s3, s14
	s_wait_alu 0xfffe
	s_and_not1_b32 exec_lo, exec_lo, s14
	s_cbranch_execnz .LBB345_19
; %bb.20:
	s_or_b32 exec_lo, exec_lo, s14
.LBB345_21:
	s_wait_alu 0xfffe
	s_or_b32 exec_lo, exec_lo, s11
	ds_bpermute_b32 v4, v4, v10
	s_wait_dscnt 0x0
	v_add_f32_e32 v4, v10, v4
	ds_bpermute_b32 v6, v6, v4
	s_wait_dscnt 0x0
	v_add_f32_e32 v4, v4, v6
	;; [unrolled: 3-line block ×5, first 2 shown]
	s_and_saveexec_b32 s3, vcc_lo
; %bb.22:
	ds_store_b32 v13, v4 offset:256
; %bb.23:
	s_wait_alu 0xfffe
	s_or_b32 exec_lo, exec_lo, s3
	s_wait_loadcnt_dscnt 0x0
	s_barrier_signal -1
	s_barrier_wait -1
	global_inv scope:SCOPE_SE
	s_and_saveexec_b32 s3, s0
; %bb.24:
	ds_load_b32 v4, v14 offset:256
; %bb.25:
	s_wait_alu 0xfffe
	s_or_b32 exec_lo, exec_lo, s3
	s_wait_dscnt 0x0
	ds_bpermute_b32 v3, v3, v4
	s_wait_dscnt 0x0
	v_dual_add_f32 v3, v4, v3 :: v_dual_lshlrev_b32 v6, 2, v9
	ds_bpermute_b32 v4, v20, v3
	s_wait_dscnt 0x0
	v_dual_add_f32 v3, v3, v4 :: v_dual_and_b32 v4, 0xffffff80, v6
	ds_bpermute_b32 v3, v4, v3
	s_and_saveexec_b32 s0, s1
	s_cbranch_execz .LBB345_28
; %bb.26:
	s_wait_dscnt 0x0
	v_add_f32_e32 v4, 0x358637bd, v3
	s_mov_b32 s1, 0
	s_delay_alu instid0(VALU_DEP_1) | instskip(NEXT) | instid1(VALU_DEP_1)
	v_div_scale_f32 v6, null, v4, v4, 1.0
	v_rcp_f32_e32 v9, v6
	s_delay_alu instid0(TRANS32_DEP_1) | instskip(NEXT) | instid1(VALU_DEP_1)
	v_fma_f32 v10, -v6, v9, 1.0
	v_fmac_f32_e32 v9, v10, v9
	v_div_scale_f32 v11, vcc_lo, 1.0, v4, 1.0
	s_delay_alu instid0(VALU_DEP_1) | instskip(NEXT) | instid1(VALU_DEP_1)
	v_mul_f32_e32 v10, v11, v9
	v_fma_f32 v12, -v6, v10, v11
	s_delay_alu instid0(VALU_DEP_1) | instskip(NEXT) | instid1(VALU_DEP_1)
	v_fmac_f32_e32 v10, v12, v9
	v_fma_f32 v6, -v6, v10, v11
	s_wait_alu 0xfffd
	s_delay_alu instid0(VALU_DEP_1) | instskip(NEXT) | instid1(VALU_DEP_1)
	v_div_fmas_f32 v6, v6, v9, v10
	v_div_fixup_f32 v4, v6, v4, 1.0
	v_mov_b32_e32 v6, v0
.LBB345_27:                             ; =>This Inner Loop Header: Depth=1
	ds_load_b32 v9, v5
	s_wait_dscnt 0x0
	v_dual_mul_f32 v9, v4, v9 :: v_dual_add_nc_u32 v6, 0x80, v6
	s_delay_alu instid0(VALU_DEP_1)
	v_cmp_le_i32_e32 vcc_lo, s10, v6
	ds_store_b32 v5, v9
	v_add_nc_u32_e32 v5, 0x200, v5
	s_wait_alu 0xfffe
	s_or_b32 s1, vcc_lo, s1
	s_wait_alu 0xfffe
	s_and_not1_b32 exec_lo, exec_lo, s1
	s_cbranch_execnz .LBB345_27
.LBB345_28:
	s_wait_alu 0xfffe
	s_or_b32 exec_lo, exec_lo, s0
	s_wait_kmcnt 0x0
	s_mul_i32 s0, s40, s55
	s_wait_loadcnt_dscnt 0x0
	s_wait_alu 0xfffe
	s_mul_i32 s10, s0, s56
	s_mov_b32 s0, exec_lo
	s_barrier_signal -1
	s_barrier_wait -1
	global_inv scope:SCOPE_SE
	v_cmpx_eq_u32_e32 0, v0
	s_cbranch_execz .LBB345_30
; %bb.29:
	s_wait_alu 0xfffe
	s_ashr_i32 s11, s10, 31
	s_mul_i32 s14, s40, ttmp9
	s_lshl_b32 s1, s52, 2
	s_wait_alu 0xfffe
	s_lshl_b64 s[16:17], s[10:11], 2
	s_ashr_i32 s15, s14, 31
	v_mov_b32_e32 v4, s1
	s_wait_alu 0xfffe
	s_add_nc_u64 s[6:7], s[6:7], s[16:17]
	s_lshl_b64 s[14:15], s[14:15], 2
	s_add_nc_u64 s[4:5], s[4:5], s[16:17]
	s_wait_alu 0xfffe
	s_add_nc_u64 s[6:7], s[6:7], s[14:15]
	s_add_nc_u64 s[4:5], s[4:5], s[14:15]
	s_clause 0x1
	global_store_b32 v4, v2, s[6:7]
	global_store_b32 v4, v3, s[4:5]
.LBB345_30:
	s_wait_alu 0xfffe
	s_or_b32 exec_lo, exec_lo, s0
	v_lshrrev_b32_e32 v19, 1, v1
	s_and_saveexec_b32 s0, s2
	s_wait_alu 0xfffe
	s_xor_b32 s0, exec_lo, s0
; %bb.31:
	v_lshrrev_b32_e32 v19, 1, v1
                                        ; implicit-def: $vgpr18
                                        ; implicit-def: $vgpr7
                                        ; implicit-def: $vgpr8
; %bb.32:
	s_wait_alu 0xfffe
	s_or_saveexec_b32 s4, s0
	v_dual_mov_b32 v27, 0 :: v_dual_mov_b32 v28, 0
	v_dual_mov_b32 v26, 0 :: v_dual_mov_b32 v25, 0
	;; [unrolled: 1-line block ×4, first 2 shown]
	s_wait_alu 0xfffe
	s_xor_b32 exec_lo, exec_lo, s4
	s_cbranch_execz .LBB345_54
; %bb.33:
	s_load_b32 s6, s[38:39], 0x0
	v_dual_mov_b32 v24, 0 :: v_dual_lshlrev_b32 v3, 5, v16
	s_lshl_b64 s[0:1], s[46:47], 2
	v_dual_mov_b32 v22, 0 :: v_dual_and_b32 v1, 8, v7
	v_or_b32_e32 v2, 0x70, v19
	v_lshl_add_u32 v4, v17, 4, s54
	v_lshl_or_b32 v3, v17, 6, v3
	s_wait_alu 0xfffe
	s_add_nc_u64 s[0:1], s[48:49], s[0:1]
	v_lshl_or_b32 v29, v19, 4, v1
	s_wait_alu 0xfffe
	v_add_co_u32 v9, s0, s0, v8
	v_dual_mov_b32 v21, 0 :: v_dual_add_nc_u32 v32, 0x110, v3
	v_lshl_or_b32 v30, v2, 4, v1
	v_add3_u32 v31, v4, v1, 7
	s_wait_alu 0xf1ff
	v_add_co_ci_u32_e64 v10, null, s1, 0, s0
	v_dual_mov_b32 v23, 0 :: v_dual_mov_b32 v26, 0
	v_dual_mov_b32 v25, 0 :: v_dual_mov_b32 v28, 0
	v_mov_b32_e32 v27, 0
	s_ashr_i32 s43, s42, 31
	s_mov_b32 s5, s41
	s_add_nc_u64 s[2:3], s[12:13], s[42:43]
	s_add_co_i32 s11, s50, -1
	s_mov_b32 s7, 0
	v_cmp_gt_u32_e32 vcc_lo, 0x78, v2
	s_branch .LBB345_36
.LBB345_34:                             ;   in Loop: Header=BB345_36 Depth=1
	s_wait_alu 0xfffe
	s_or_b32 exec_lo, exec_lo, s1
	v_lshlrev_b32_e32 v7, 16, v7
	v_lshlrev_b32_e32 v12, 16, v12
	;; [unrolled: 1-line block ×9, first 2 shown]
	v_mul_f32_e32 v12, v91, v12
	v_and_b32_e32 v90, 0xffff0000, v2
	v_lshlrev_b32_e32 v57, 16, v2
	s_delay_alu instid0(VALU_DEP_3) | instskip(NEXT) | instid1(VALU_DEP_2)
	v_bfe_u32 v93, v12, 16, 1
	v_dual_mul_f32 v88, v90, v88 :: v_dual_mul_f32 v57, v57, v89
	v_and_b32_e32 v89, 0xffff0000, v1
	s_delay_alu instid0(VALU_DEP_2) | instskip(NEXT) | instid1(VALU_DEP_3)
	v_or_b32_e32 v92, 0x400000, v88
	v_bfe_u32 v90, v57, 16, 1
	s_delay_alu instid0(VALU_DEP_3) | instskip(SKIP_4) | instid1(VALU_DEP_4)
	v_mul_f32_e32 v11, v89, v11
	v_bfe_u32 v89, v88, 16, 1
	v_or_b32_e32 v91, 0x400000, v57
	v_cmp_u_f32_e64 s0, v57, v57
	v_add3_u32 v90, v90, v57, 0x7fff
	v_add3_u32 v89, v89, v88, 0x7fff
	s_wait_alu 0xf1ff
	s_delay_alu instid0(VALU_DEP_2) | instskip(SKIP_2) | instid1(VALU_DEP_3)
	v_cndmask_b32_e64 v57, v90, v91, s0
	v_cmp_u_f32_e64 s0, v88, v88
	v_or_b32_e32 v91, 0x400000, v12
	v_and_b32_e32 v57, 0xffff0000, v57
	s_wait_alu 0xf1ff
	s_delay_alu instid0(VALU_DEP_3) | instskip(SKIP_3) | instid1(VALU_DEP_4)
	v_cndmask_b32_e64 v88, v89, v92, s0
	v_add3_u32 v89, v93, v12, 0x7fff
	v_bfe_u32 v92, v11, 16, 1
	v_cmp_u_f32_e64 s0, v12, v12
	v_and_b32_e32 v88, 0xffff0000, v88
	v_lshlrev_b32_e32 v90, 16, v3
	s_wait_alu 0xf1ff
	s_delay_alu instid0(VALU_DEP_3)
	v_cndmask_b32_e64 v12, v89, v91, s0
	v_add3_u32 v89, v92, v11, 0x7fff
	v_or_b32_e32 v91, 0x400000, v11
	v_cmp_u_f32_e64 s0, v11, v11
	v_add_f32_e32 v57, v57, v88
	v_dual_mul_f32 v7, v90, v7 :: v_dual_and_b32 v12, 0xffff0000, v12
	s_wait_alu 0xf1ff
	s_delay_alu instid0(VALU_DEP_3) | instskip(NEXT) | instid1(VALU_DEP_2)
	v_cndmask_b32_e64 v11, v89, v91, s0
	v_bfe_u32 v92, v7, 16, 1
	v_cmp_u_f32_e64 s0, v7, v7
	s_delay_alu instid0(VALU_DEP_3) | instskip(NEXT) | instid1(VALU_DEP_3)
	v_and_b32_e32 v11, 0xffff0000, v11
	v_add3_u32 v91, v92, v7, 0x7fff
	s_delay_alu instid0(VALU_DEP_2) | instskip(NEXT) | instid1(VALU_DEP_1)
	v_add_f32_e32 v11, v12, v11
	v_dual_add_f32 v11, v11, v57 :: v_dual_and_b32 v90, 0xffff0000, v3
	s_delay_alu instid0(VALU_DEP_1) | instskip(SKIP_1) | instid1(VALU_DEP_2)
	v_mul_f32_e32 v6, v90, v6
	v_lshlrev_b32_e32 v90, 16, v8
	v_bfe_u32 v89, v6, 16, 1
	s_delay_alu instid0(VALU_DEP_2) | instskip(SKIP_2) | instid1(VALU_DEP_4)
	v_mul_f32_e32 v5, v90, v5
	v_or_b32_e32 v90, 0x400000, v7
	v_or_b32_e32 v92, 0x400000, v6
	v_add3_u32 v89, v89, v6, 0x7fff
	s_wait_alu 0xf1ff
	s_delay_alu instid0(VALU_DEP_3) | instskip(SKIP_1) | instid1(VALU_DEP_2)
	v_cndmask_b32_e64 v7, v91, v90, s0
	v_cmp_u_f32_e64 s0, v6, v6
	v_and_b32_e32 v7, 0xffff0000, v7
	s_wait_alu 0xf1ff
	s_delay_alu instid0(VALU_DEP_2) | instskip(SKIP_1) | instid1(VALU_DEP_2)
	v_cndmask_b32_e64 v6, v89, v92, s0
	v_or_b32_e32 v92, 0x400000, v5
	v_and_b32_e32 v6, 0xffff0000, v6
	s_delay_alu instid0(VALU_DEP_1) | instskip(NEXT) | instid1(VALU_DEP_1)
	v_add_f32_e32 v6, v7, v6
	v_dual_add_f32 v6, v6, v11 :: v_dual_and_b32 v93, 0xffff0000, v8
	s_delay_alu instid0(VALU_DEP_1) | instskip(SKIP_1) | instid1(VALU_DEP_2)
	v_mul_f32_e32 v4, v93, v4
	v_bfe_u32 v93, v5, 16, 1
	v_bfe_u32 v94, v4, 16, 1
	v_or_b32_e32 v91, 0x400000, v4
	v_cmp_u_f32_e64 s0, v4, v4
	s_delay_alu instid0(VALU_DEP_4) | instskip(NEXT) | instid1(VALU_DEP_4)
	v_add3_u32 v89, v93, v5, 0x7fff
	v_add3_u32 v90, v94, v4, 0x7fff
	s_wait_alu 0xf1ff
	s_delay_alu instid0(VALU_DEP_1) | instskip(SKIP_1) | instid1(VALU_DEP_2)
	v_cndmask_b32_e64 v4, v90, v91, s0
	v_cmp_u_f32_e64 s0, v5, v5
	v_and_b32_e32 v4, 0xffff0000, v4
	s_wait_alu 0xf1ff
	s_delay_alu instid0(VALU_DEP_2) | instskip(NEXT) | instid1(VALU_DEP_1)
	v_cndmask_b32_e64 v5, v89, v92, s0
	v_and_b32_e32 v5, 0xffff0000, v5
	s_delay_alu instid0(VALU_DEP_1) | instskip(NEXT) | instid1(VALU_DEP_1)
	v_add_f32_e32 v4, v5, v4
	v_add_f32_e32 v4, v4, v6
	s_delay_alu instid0(VALU_DEP_1)
	v_add_f32_e32 v21, v21, v4
.LBB345_35:                             ;   in Loop: Header=BB345_36 Depth=1
	s_wait_alu 0xfffe
	s_or_b32 exec_lo, exec_lo, s12
	v_lshlrev_b32_e32 v12, 16, v84
	v_and_b32_e32 v7, 0xffff0000, v2
	v_lshlrev_b32_e32 v4, 16, v2
	v_lshlrev_b32_e32 v14, 16, v14
	;; [unrolled: 1-line block ×5, first 2 shown]
	v_and_b32_e32 v2, 0xffff0000, v1
	v_lshlrev_b32_e32 v6, 16, v86
	v_lshlrev_b32_e32 v1, 16, v1
	;; [unrolled: 1-line block ×4, first 2 shown]
	v_mul_f32_e32 v11, v2, v11
	v_dual_mul_f32 v6, v4, v6 :: v_dual_lshlrev_b32 v5, 16, v87
	v_dual_mul_f32 v12, v1, v12 :: v_dual_lshlrev_b32 v79, 16, v79
	s_delay_alu instid0(VALU_DEP_3) | instskip(NEXT) | instid1(VALU_DEP_3)
	v_bfe_u32 v87, v11, 16, 1
	v_mul_f32_e32 v5, v7, v5
	s_delay_alu instid0(VALU_DEP_4)
	v_bfe_u32 v84, v6, 16, 1
	v_or_b32_e32 v86, 0x400000, v6
	v_lshlrev_b32_e32 v74, 16, v74
	v_lshlrev_b32_e32 v66, 16, v66
	v_bfe_u32 v57, v5, 16, 1
	v_or_b32_e32 v85, 0x400000, v5
	v_cmp_u_f32_e64 s0, v5, v5
	v_add3_u32 v84, v84, v6, 0x7fff
	v_lshlrev_b32_e32 v75, 16, v75
	v_add3_u32 v57, v57, v5, 0x7fff
	v_and_b32_e32 v5, 0xffff0000, v3
	v_lshlrev_b32_e32 v78, 16, v78
	v_lshlrev_b32_e32 v60, 16, v60
	;; [unrolled: 1-line block ×3, first 2 shown]
	s_wait_alu 0xf1ff
	v_cndmask_b32_e64 v57, v57, v85, s0
	v_cmp_u_f32_e64 s0, v6, v6
	v_add3_u32 v85, v87, v11, 0x7fff
	v_bfe_u32 v87, v12, 16, 1
	v_mul_f32_e32 v83, v5, v83
	v_lshlrev_b32_e32 v6, 16, v3
	s_wait_alu 0xf1ff
	v_cndmask_b32_e64 v84, v84, v86, s0
	v_or_b32_e32 v86, 0x400000, v11
	v_lshlrev_b32_e32 v3, 16, v82
	v_cmp_u_f32_e64 s0, v11, v11
	v_add3_u32 v82, v87, v12, 0x7fff
	v_and_b32_e32 v57, 0xffff0000, v57
	s_delay_alu instid0(VALU_DEP_4)
	v_dual_mul_f32 v87, v6, v3 :: v_dual_lshlrev_b32 v68, 16, v68
	s_wait_alu 0xf1ff
	v_cndmask_b32_e64 v11, v85, v86, s0
	v_or_b32_e32 v85, 0x400000, v12
	v_bfe_u32 v86, v83, 16, 1
	v_cmp_u_f32_e64 s0, v12, v12
	v_or_b32_e32 v88, 0x400000, v87
	v_and_b32_e32 v11, 0xffff0000, v11
	v_lshlrev_b32_e32 v58, 16, v58
	v_lshlrev_b32_e32 v59, 16, v59
	s_wait_alu 0xf1ff
	v_cndmask_b32_e64 v12, v82, v85, s0
	v_bfe_u32 v82, v87, 16, 1
	v_add3_u32 v85, v86, v83, 0x7fff
	v_or_b32_e32 v86, 0x400000, v83
	v_cmp_u_f32_e64 s0, v83, v83
	v_and_b32_e32 v12, 0xffff0000, v12
	v_add3_u32 v82, v82, v87, 0x7fff
	v_dual_mul_f32 v79, v2, v79 :: v_dual_and_b32 v84, 0xffff0000, v84
	s_wait_alu 0xf1ff
	v_cndmask_b32_e64 v83, v85, v86, s0
	v_cmp_u_f32_e64 s0, v87, v87
	v_add_f32_e32 v11, v12, v11
	v_add_f32_e32 v57, v84, v57
	v_lshlrev_b32_e32 v49, 16, v49
	v_lshlrev_b32_e32 v63, 16, v63
	s_wait_alu 0xf1ff
	v_cndmask_b32_e64 v82, v82, v88, s0
	v_dual_add_f32 v11, v11, v57 :: v_dual_lshlrev_b32 v54, 16, v54
	v_lshlrev_b32_e32 v52, 16, v52
	v_lshlrev_b32_e32 v41, 16, v41
	s_delay_alu instid0(VALU_DEP_4) | instskip(SKIP_4) | instid1(VALU_DEP_4)
	v_and_b32_e32 v12, 0xffff0000, v82
	v_and_b32_e32 v82, 0xffff0000, v83
	v_lshlrev_b32_e32 v33, 16, v33
	v_lshlrev_b32_e32 v36, 16, v36
	;; [unrolled: 1-line block ×3, first 2 shown]
	v_dual_add_f32 v12, v12, v82 :: v_dual_lshlrev_b32 v55, 16, v55
	v_and_b32_e32 v3, 0xffff0000, v8
	v_lshlrev_b32_e32 v8, 16, v8
	v_lshlrev_b32_e32 v70, 16, v70
	v_lshlrev_b32_e32 v57, 16, v81
	s_delay_alu instid0(VALU_DEP_4) | instskip(NEXT) | instid1(VALU_DEP_4)
	v_dual_mul_f32 v14, v3, v14 :: v_dual_lshlrev_b32 v69, 16, v69
	v_mul_f32_e32 v13, v8, v13
	v_dual_mul_f32 v60, v6, v60 :: v_dual_lshlrev_b32 v71, 16, v71
	v_lshlrev_b32_e32 v72, 16, v72
	s_delay_alu instid0(VALU_DEP_4) | instskip(NEXT) | instid1(VALU_DEP_4)
	v_bfe_u32 v89, v14, 16, 1
	v_bfe_u32 v90, v13, 16, 1
	v_or_b32_e32 v87, 0x400000, v13
	v_cmp_u_f32_e64 s0, v13, v13
	v_or_b32_e32 v88, 0x400000, v14
	v_add3_u32 v85, v89, v14, 0x7fff
	v_add3_u32 v86, v90, v13, 0x7fff
	v_mul_f32_e32 v71, v2, v71
	v_add_f32_e32 v11, v12, v11
	v_mul_f32_e32 v66, v8, v66
	v_mul_f32_e32 v58, v8, v58
	s_wait_alu 0xf1ff
	v_cndmask_b32_e64 v13, v86, v87, s0
	v_cmp_u_f32_e64 s0, v14, v14
	v_dual_mul_f32 v49, v8, v49 :: v_dual_lshlrev_b32 v56, 16, v56
	v_dual_mul_f32 v41, v8, v41 :: v_dual_lshlrev_b32 v48, 16, v48
	s_wait_alu 0xf1ff
	s_delay_alu instid0(VALU_DEP_3)
	v_cndmask_b32_e64 v14, v85, v88, s0
	v_and_b32_e32 v13, 0xffff0000, v13
	v_lshlrev_b32_e32 v47, 16, v47
	v_lshlrev_b32_e32 v40, 16, v40
	;; [unrolled: 1-line block ×3, first 2 shown]
	v_and_b32_e32 v14, 0xffff0000, v14
	v_dual_mul_f32 v68, v6, v68 :: v_dual_lshlrev_b32 v43, 16, v43
	v_lshlrev_b32_e32 v35, 16, v35
	s_delay_alu instid0(VALU_DEP_3) | instskip(SKIP_2) | instid1(VALU_DEP_3)
	v_dual_add_f32 v12, v13, v14 :: v_dual_lshlrev_b32 v45, 16, v45
	v_mul_f32_e32 v13, v7, v57
	v_dual_mul_f32 v52, v5, v52 :: v_dual_lshlrev_b32 v61, 16, v61
	v_dual_add_f32 v11, v12, v11 :: v_dual_lshlrev_b32 v42, 16, v42
	v_mul_f32_e32 v14, v4, v80
	s_delay_alu instid0(VALU_DEP_4)
	v_bfe_u32 v12, v13, 16, 1
	v_cmp_u_f32_e64 s0, v13, v13
	v_lshlrev_b32_e32 v39, 16, v39
	v_add_f32_e32 v22, v22, v11
	v_bfe_u32 v57, v14, 16, 1
	v_add3_u32 v11, v12, v13, 0x7fff
	v_or_b32_e32 v12, 0x400000, v13
	v_or_b32_e32 v80, 0x400000, v14
	v_lshlrev_b32_e32 v37, 16, v37
	v_add3_u32 v57, v57, v14, 0x7fff
	v_add_nc_u32_e32 v18, 4, v18
	s_wait_alu 0xf1ff
	v_cndmask_b32_e64 v11, v11, v12, s0
	v_cmp_u_f32_e64 s0, v14, v14
	v_bfe_u32 v12, v79, 16, 1
	v_dual_mul_f32 v14, v1, v78 :: v_dual_mul_f32 v75, v3, v75
	s_delay_alu instid0(VALU_DEP_4)
	v_and_b32_e32 v11, 0xffff0000, v11
	s_wait_alu 0xf1ff
	v_cndmask_b32_e64 v13, v57, v80, s0
	v_lshlrev_b32_e32 v57, 16, v77
	v_add3_u32 v12, v12, v79, 0x7fff
	v_or_b32_e32 v77, 0x400000, v79
	v_bfe_u32 v78, v14, 16, 1
	v_cmp_u_f32_e64 s0, v79, v79
	v_mul_f32_e32 v57, v5, v57
	v_and_b32_e32 v13, 0xffff0000, v13
	v_bfe_u32 v81, v75, 16, 1
	v_mul_f32_e32 v67, v3, v67
	s_wait_alu 0xf1ff
	v_cndmask_b32_e64 v12, v12, v77, s0
	v_add3_u32 v77, v78, v14, 0x7fff
	v_or_b32_e32 v78, 0x400000, v14
	v_bfe_u32 v79, v57, 16, 1
	v_cmp_u_f32_e64 s0, v14, v14
	v_dual_add_f32 v11, v13, v11 :: v_dual_mul_f32 v76, v6, v76
	v_dual_mul_f32 v69, v5, v69 :: v_dual_lshlrev_b32 v62, 16, v62
	v_mul_f32_e32 v59, v3, v59
	s_wait_alu 0xf1ff
	v_cndmask_b32_e64 v14, v77, v78, s0
	v_bfe_u32 v80, v76, 16, 1
	v_add3_u32 v77, v79, v57, 0x7fff
	v_or_b32_e32 v78, 0x400000, v57
	v_cmp_u_f32_e64 s0, v57, v57
	v_and_b32_e32 v14, 0xffff0000, v14
	v_add3_u32 v79, v80, v76, 0x7fff
	v_or_b32_e32 v80, 0x400000, v76
	v_lshlrev_b32_e32 v64, 16, v64
	s_wait_alu 0xf1ff
	v_cndmask_b32_e64 v57, v77, v78, s0
	v_cmp_u_f32_e64 s0, v76, v76
	v_add3_u32 v77, v81, v75, 0x7fff
	v_or_b32_e32 v78, 0x400000, v75
	v_lshlrev_b32_e32 v44, 16, v44
	v_dual_mul_f32 v42, v3, v42 :: v_dual_lshlrev_b32 v51, 16, v51
	s_wait_alu 0xf1ff
	v_cndmask_b32_e64 v76, v79, v80, s0
	v_cmp_u_f32_e64 s0, v75, v75
	v_add_co_u32 v9, s1, v9, 16
	v_add_nc_u32_e32 v31, 64, v31
	s_delay_alu instid0(VALU_DEP_4)
	v_and_b32_e32 v13, 0xffff0000, v76
	v_and_b32_e32 v12, 0xffff0000, v12
	s_wait_alu 0xf1ff
	v_cndmask_b32_e64 v75, v77, v78, s0
	v_add_nc_u32_e32 v32, 0x100, v32
	v_add_co_ci_u32_e64 v10, null, 0, v10, s1
	v_add_f32_e32 v12, v14, v12
	v_and_b32_e32 v14, 0xffff0000, v57
	v_lshlrev_b32_e32 v57, 16, v73
	v_mul_f32_e32 v63, v2, v63
	s_delay_alu instid0(VALU_DEP_4) | instskip(SKIP_1) | instid1(VALU_DEP_4)
	v_dual_mul_f32 v54, v2, v54 :: v_dual_add_f32 v11, v12, v11
	v_mul_f32_e32 v74, v8, v74
	v_dual_mul_f32 v12, v7, v57 :: v_dual_add_f32 v13, v13, v14
	v_mul_f32_e32 v14, v4, v72
	v_and_b32_e32 v72, 0xffff0000, v75
	s_delay_alu instid0(VALU_DEP_4)
	v_bfe_u32 v79, v74, 16, 1
	v_or_b32_e32 v78, 0x400000, v74
	v_cmp_u_f32_e64 s0, v74, v74
	v_add_f32_e32 v11, v13, v11
	v_bfe_u32 v13, v14, 16, 1
	v_add3_u32 v77, v79, v74, 0x7fff
	v_or_b32_e32 v74, 0x400000, v14
	v_bfe_u32 v75, v67, 16, 1
	v_mul_f32_e32 v8, v8, v33
	v_add3_u32 v13, v13, v14, 0x7fff
	s_wait_alu 0xf1ff
	v_cndmask_b32_e64 v73, v77, v78, s0
	v_cmp_u_f32_e64 s0, v12, v12
	v_dual_mul_f32 v47, v4, v47 :: v_dual_lshlrev_b32 v50, 16, v50
	v_mul_f32_e32 v61, v5, v61
	s_delay_alu instid0(VALU_DEP_4) | instskip(SKIP_1) | instid1(VALU_DEP_4)
	v_and_b32_e32 v57, 0xffff0000, v73
	v_bfe_u32 v73, v12, 16, 1
	v_dual_mul_f32 v55, v4, v55 :: v_dual_mul_f32 v50, v3, v50
	v_mul_f32_e32 v3, v3, v34
	s_delay_alu instid0(VALU_DEP_4) | instskip(NEXT) | instid1(VALU_DEP_4)
	v_add_f32_e32 v57, v57, v72
	v_add3_u32 v72, v73, v12, 0x7fff
	v_or_b32_e32 v73, 0x400000, v12
	v_dual_mul_f32 v44, v5, v44 :: v_dual_lshlrev_b32 v53, 16, v53
	s_delay_alu instid0(VALU_DEP_4)
	v_add_f32_e32 v11, v57, v11
	v_mul_f32_e32 v57, v4, v64
	s_wait_alu 0xf1ff
	v_cndmask_b32_e64 v12, v72, v73, s0
	v_bfe_u32 v72, v71, 16, 1
	v_cmp_u_f32_e64 s0, v14, v14
	v_dual_mul_f32 v14, v1, v70 :: v_dual_add_f32 v23, v23, v11
	s_delay_alu instid0(VALU_DEP_4) | instskip(NEXT) | instid1(VALU_DEP_4)
	v_and_b32_e32 v12, 0xffff0000, v12
	v_add3_u32 v70, v72, v71, 0x7fff
	s_wait_alu 0xf1ff
	v_cndmask_b32_e64 v13, v13, v74, s0
	v_or_b32_e32 v72, 0x400000, v71
	v_bfe_u32 v73, v14, 16, 1
	v_cmp_u_f32_e64 s0, v71, v71
	v_bfe_u32 v74, v68, 16, 1
	v_and_b32_e32 v13, 0xffff0000, v13
	v_mul_f32_e32 v5, v5, v36
	v_add3_u32 v71, v73, v14, 0x7fff
	s_wait_alu 0xf1ff
	v_cndmask_b32_e64 v70, v70, v72, s0
	v_or_b32_e32 v72, 0x400000, v14
	v_bfe_u32 v73, v69, 16, 1
	v_cmp_u_f32_e64 s0, v14, v14
	v_add_f32_e32 v12, v13, v12
	v_dual_mul_f32 v53, v1, v53 :: v_dual_and_b32 v70, 0xffff0000, v70
	v_or_b32_e32 v33, 0x400000, v5
	s_wait_alu 0xf1ff
	v_cndmask_b32_e64 v14, v71, v72, s0
	v_add3_u32 v71, v73, v69, 0x7fff
	v_or_b32_e32 v72, 0x400000, v69
	v_cmp_u_f32_e64 s0, v69, v69
	v_add3_u32 v73, v74, v68, 0x7fff
	v_or_b32_e32 v74, 0x400000, v68
	v_dual_mul_f32 v51, v6, v51 :: v_dual_and_b32 v14, 0xffff0000, v14
	s_wait_alu 0xf1ff
	v_cndmask_b32_e64 v69, v71, v72, s0
	v_cmp_u_f32_e64 s0, v68, v68
	v_add3_u32 v71, v75, v67, 0x7fff
	v_or_b32_e32 v72, 0x400000, v67
	v_add_f32_e32 v13, v14, v70
	v_mul_f32_e32 v46, v2, v46
	s_wait_alu 0xf1ff
	v_cndmask_b32_e64 v68, v73, v74, s0
	v_bfe_u32 v73, v66, 16, 1
	v_cmp_u_f32_e64 s0, v67, v67
	v_dual_add_f32 v12, v13, v12 :: v_dual_lshlrev_b32 v13, 16, v65
	s_delay_alu instid0(VALU_DEP_4)
	v_and_b32_e32 v14, 0xffff0000, v68
	v_and_b32_e32 v68, 0xffff0000, v69
	s_wait_alu 0xf1ff
	v_cndmask_b32_e64 v67, v71, v72, s0
	v_add3_u32 v71, v73, v66, 0x7fff
	v_or_b32_e32 v72, 0x400000, v66
	v_cmp_u_f32_e64 s0, v66, v66
	v_dual_add_f32 v14, v14, v68 :: v_dual_mul_f32 v13, v7, v13
	v_mul_f32_e32 v43, v6, v43
	v_mul_f32_e32 v6, v6, v35
	s_wait_alu 0xf1ff
	v_cndmask_b32_e64 v66, v71, v72, s0
	v_add_f32_e32 v12, v14, v12
	v_bfe_u32 v64, v13, 16, 1
	v_cmp_u_f32_e64 s0, v13, v13
	v_mul_f32_e32 v45, v1, v45
	v_and_b32_e32 v65, 0xffff0000, v66
	v_and_b32_e32 v66, 0xffff0000, v67
	v_mul_f32_e32 v4, v4, v39
	v_bfe_u32 v35, v6, 16, 1
	s_delay_alu instid0(VALU_DEP_3) | instskip(SKIP_2) | instid1(VALU_DEP_4)
	v_add_f32_e32 v14, v65, v66
	v_bfe_u32 v65, v57, 16, 1
	v_bfe_u32 v66, v59, 16, 1
	v_add3_u32 v34, v35, v6, 0x7fff
	v_or_b32_e32 v35, 0x400000, v6
	v_add_f32_e32 v11, v14, v12
	v_add3_u32 v12, v64, v13, 0x7fff
	v_or_b32_e32 v14, 0x400000, v13
	v_add3_u32 v64, v65, v57, 0x7fff
	v_or_b32_e32 v65, 0x400000, v57
	v_bfe_u32 v13, v63, 16, 1
	v_add_f32_e32 v24, v24, v11
	s_wait_alu 0xf1ff
	v_cndmask_b32_e64 v12, v12, v14, s0
	v_cmp_u_f32_e64 s0, v57, v57
	v_mul_f32_e32 v57, v1, v62
	v_add3_u32 v13, v13, v63, 0x7fff
	v_or_b32_e32 v62, 0x400000, v63
	v_and_b32_e32 v12, 0xffff0000, v12
	s_wait_alu 0xf1ff
	v_cndmask_b32_e64 v14, v64, v65, s0
	v_bfe_u32 v64, v57, 16, 1
	v_cmp_u_f32_e64 s0, v63, v63
	v_or_b32_e32 v63, 0x400000, v57
	v_bfe_u32 v65, v60, 16, 1
	v_dual_mul_f32 v1, v1, v37 :: v_dual_and_b32 v14, 0xffff0000, v14
	s_wait_alu 0xf1ff
	v_cndmask_b32_e64 v13, v13, v62, s0
	v_add3_u32 v62, v64, v57, 0x7fff
	v_bfe_u32 v64, v61, 16, 1
	v_cmp_u_f32_e64 s0, v57, v57
	s_delay_alu instid0(VALU_DEP_4) | instskip(SKIP_1) | instid1(VALU_DEP_2)
	v_dual_add_f32 v12, v14, v12 :: v_dual_and_b32 v13, 0xffff0000, v13
	s_wait_alu 0xf1ff
	v_cndmask_b32_e64 v57, v62, v63, s0
	v_add3_u32 v62, v64, v61, 0x7fff
	v_or_b32_e32 v63, 0x400000, v61
	v_cmp_u_f32_e64 s0, v61, v61
	v_add3_u32 v64, v65, v60, 0x7fff
	v_or_b32_e32 v65, 0x400000, v60
	v_and_b32_e32 v57, 0xffff0000, v57
	s_wait_alu 0xf1ff
	v_cndmask_b32_e64 v61, v62, v63, s0
	v_cmp_u_f32_e64 s0, v60, v60
	v_add3_u32 v62, v66, v59, 0x7fff
	v_or_b32_e32 v63, 0x400000, v59
	v_add_f32_e32 v13, v57, v13
	v_and_b32_e32 v57, 0xffff0000, v61
	s_wait_alu 0xf1ff
	v_cndmask_b32_e64 v60, v64, v65, s0
	v_bfe_u32 v64, v58, 16, 1
	v_cmp_u_f32_e64 s0, v59, v59
	v_add_f32_e32 v12, v13, v12
	s_delay_alu instid0(VALU_DEP_4)
	v_and_b32_e32 v14, 0xffff0000, v60
	v_bfe_u32 v60, v54, 16, 1
	s_wait_alu 0xf1ff
	v_cndmask_b32_e64 v59, v62, v63, s0
	v_add3_u32 v62, v64, v58, 0x7fff
	v_or_b32_e32 v63, 0x400000, v58
	v_cmp_u_f32_e64 s0, v58, v58
	v_dual_add_f32 v13, v14, v57 :: v_dual_mul_f32 v14, v7, v56
	v_and_b32_e32 v57, 0xffff0000, v59
	v_or_b32_e32 v59, 0x400000, v55
	s_wait_alu 0xf1ff
	v_cndmask_b32_e64 v58, v62, v63, s0
	v_add_f32_e32 v12, v13, v12
	v_bfe_u32 v13, v55, 16, 1
	v_cmp_u_f32_e64 s0, v14, v14
	s_delay_alu instid0(VALU_DEP_4) | instskip(SKIP_1) | instid1(VALU_DEP_4)
	v_and_b32_e32 v56, 0xffff0000, v58
	v_bfe_u32 v58, v14, 16, 1
	v_add3_u32 v13, v13, v55, 0x7fff
	s_delay_alu instid0(VALU_DEP_3) | instskip(NEXT) | instid1(VALU_DEP_3)
	v_add_f32_e32 v56, v56, v57
	v_add3_u32 v57, v58, v14, 0x7fff
	v_or_b32_e32 v58, 0x400000, v14
	v_lshlrev_b32_e32 v38, 16, v38
	s_wait_alu 0xf1ff
	s_delay_alu instid0(VALU_DEP_2)
	v_cndmask_b32_e64 v14, v57, v58, s0
	v_cmp_u_f32_e64 s0, v55, v55
	v_add3_u32 v55, v60, v54, 0x7fff
	v_or_b32_e32 v57, 0x400000, v54
	v_bfe_u32 v58, v53, 16, 1
	v_bfe_u32 v60, v50, 16, 1
	s_wait_alu 0xf1ff
	v_cndmask_b32_e64 v13, v13, v59, s0
	v_cmp_u_f32_e64 s0, v54, v54
	v_bfe_u32 v59, v51, 16, 1
	v_and_b32_e32 v14, 0xffff0000, v14
	s_delay_alu instid0(VALU_DEP_4)
	v_dual_mul_f32 v2, v2, v38 :: v_dual_and_b32 v13, 0xffff0000, v13
	s_wait_alu 0xf1ff
	v_cndmask_b32_e64 v54, v55, v57, s0
	v_add3_u32 v55, v58, v53, 0x7fff
	v_or_b32_e32 v57, 0x400000, v53
	v_bfe_u32 v58, v52, 16, 1
	v_cmp_u_f32_e64 s0, v53, v53
	v_and_b32_e32 v54, 0xffff0000, v54
	v_add_f32_e32 v13, v13, v14
	s_wait_alu 0xf1ff
	s_delay_alu instid0(VALU_DEP_3)
	v_cndmask_b32_e64 v53, v55, v57, s0
	v_add3_u32 v55, v58, v52, 0x7fff
	v_or_b32_e32 v57, 0x400000, v52
	v_cmp_u_f32_e64 s0, v52, v52
	v_add3_u32 v58, v59, v51, 0x7fff
	v_or_b32_e32 v59, 0x400000, v51
	v_and_b32_e32 v53, 0xffff0000, v53
	s_wait_alu 0xf1ff
	v_cndmask_b32_e64 v52, v55, v57, s0
	v_cmp_u_f32_e64 s0, v51, v51
	v_add3_u32 v55, v60, v50, 0x7fff
	v_or_b32_e32 v57, 0x400000, v50
	v_add_f32_e32 v14, v53, v54
	v_and_b32_e32 v52, 0xffff0000, v52
	s_wait_alu 0xf1ff
	v_cndmask_b32_e64 v51, v58, v59, s0
	v_cmp_u_f32_e64 s0, v50, v50
	v_or_b32_e32 v54, 0x400000, v49
	v_dual_add_f32 v13, v14, v13 :: v_dual_mul_f32 v14, v7, v48
	s_delay_alu instid0(VALU_DEP_4)
	v_and_b32_e32 v51, 0xffff0000, v51
	s_wait_alu 0xf1ff
	v_cndmask_b32_e64 v50, v55, v57, s0
	v_bfe_u32 v55, v49, 16, 1
	v_cmp_u_f32_e64 s0, v49, v49
	v_mul_f32_e32 v7, v7, v40
	v_add_f32_e32 v48, v51, v52
	v_bfe_u32 v51, v14, 16, 1
	v_add3_u32 v53, v55, v49, 0x7fff
	v_bfe_u32 v52, v47, 16, 1
	s_delay_alu instid0(VALU_DEP_4) | instskip(SKIP_1) | instid1(VALU_DEP_3)
	v_dual_add_f32 v13, v48, v13 :: v_dual_and_b32 v50, 0xffff0000, v50
	s_wait_alu 0xf1ff
	v_cndmask_b32_e64 v49, v53, v54, s0
	v_cmp_u_f32_e64 s0, v14, v14
	v_or_b32_e32 v53, 0x400000, v46
	s_delay_alu instid0(VALU_DEP_3) | instskip(SKIP_3) | instid1(VALU_DEP_1)
	v_and_b32_e32 v48, 0xffff0000, v49
	v_add3_u32 v49, v51, v14, 0x7fff
	v_or_b32_e32 v51, 0x400000, v14
	s_wait_alu 0xf1ff
	v_cndmask_b32_e64 v14, v49, v51, s0
	v_bfe_u32 v49, v46, 16, 1
	v_add3_u32 v51, v52, v47, 0x7fff
	v_or_b32_e32 v52, 0x400000, v47
	v_cmp_u_f32_e64 s0, v47, v47
	s_delay_alu instid0(VALU_DEP_4) | instskip(SKIP_1) | instid1(VALU_DEP_2)
	v_add3_u32 v49, v49, v46, 0x7fff
	s_wait_alu 0xf1ff
	v_cndmask_b32_e64 v47, v51, v52, s0
	v_bfe_u32 v51, v45, 16, 1
	v_cmp_u_f32_e64 s0, v46, v46
	v_or_b32_e32 v52, 0x400000, v45
	s_delay_alu instid0(VALU_DEP_3) | instskip(SKIP_1) | instid1(VALU_DEP_3)
	v_add3_u32 v51, v51, v45, 0x7fff
	s_wait_alu 0xf1ff
	v_cndmask_b32_e64 v46, v49, v53, s0
	v_bfe_u32 v49, v44, 16, 1
	v_cmp_u_f32_e64 s0, v45, v45
	v_or_b32_e32 v53, 0x400000, v44
	s_delay_alu instid0(VALU_DEP_3) | instskip(SKIP_1) | instid1(VALU_DEP_3)
	v_add3_u32 v49, v49, v44, 0x7fff
	s_wait_alu 0xf1ff
	v_cndmask_b32_e64 v45, v51, v52, s0
	v_bfe_u32 v51, v43, 16, 1
	v_cmp_u_f32_e64 s0, v44, v44
	v_bfe_u32 v52, v42, 16, 1
	s_wait_alu 0xf1ff
	s_delay_alu instid0(VALU_DEP_2)
	v_cndmask_b32_e64 v44, v49, v53, s0
	v_add3_u32 v49, v51, v43, 0x7fff
	v_or_b32_e32 v51, 0x400000, v43
	v_cmp_u_f32_e64 s0, v43, v43
	v_add3_u32 v52, v52, v42, 0x7fff
	v_or_b32_e32 v53, 0x400000, v42
	v_and_b32_e32 v44, 0xffff0000, v44
	s_wait_alu 0xf1ff
	v_cndmask_b32_e64 v43, v49, v51, s0
	v_cmp_u_f32_e64 s0, v42, v42
	v_bfe_u32 v49, v41, 16, 1
	v_or_b32_e32 v51, 0x400000, v41
	s_delay_alu instid0(VALU_DEP_4)
	v_and_b32_e32 v43, 0xffff0000, v43
	s_wait_alu 0xf1ff
	v_cndmask_b32_e64 v42, v52, v53, s0
	v_add3_u32 v49, v49, v41, 0x7fff
	v_cmp_u_f32_e64 s0, v41, v41
	v_bfe_u32 v41, v7, 16, 1
	v_add_f32_e32 v43, v43, v44
	v_bfe_u32 v44, v4, 16, 1
	s_wait_alu 0xf1ff
	v_cndmask_b32_e64 v40, v49, v51, s0
	v_cmp_u_f32_e64 s0, v7, v7
	s_delay_alu instid0(VALU_DEP_3) | instskip(NEXT) | instid1(VALU_DEP_3)
	v_add3_u32 v38, v44, v4, 0x7fff
	v_and_b32_e32 v39, 0xffff0000, v40
	v_add3_u32 v40, v41, v7, 0x7fff
	v_or_b32_e32 v41, 0x400000, v7
	s_wait_alu 0xf1ff
	s_delay_alu instid0(VALU_DEP_1) | instskip(SKIP_3) | instid1(VALU_DEP_4)
	v_cndmask_b32_e64 v7, v40, v41, s0
	v_or_b32_e32 v40, 0x400000, v4
	v_bfe_u32 v41, v2, 16, 1
	v_cmp_u_f32_e64 s0, v4, v4
	v_and_b32_e32 v7, 0xffff0000, v7
	s_delay_alu instid0(VALU_DEP_3) | instskip(SKIP_1) | instid1(VALU_DEP_3)
	v_add3_u32 v37, v41, v2, 0x7fff
	s_wait_alu 0xf1ff
	v_cndmask_b32_e64 v4, v38, v40, s0
	v_or_b32_e32 v38, 0x400000, v2
	v_bfe_u32 v40, v1, 16, 1
	v_cmp_u_f32_e64 s0, v2, v2
	s_delay_alu instid0(VALU_DEP_4) | instskip(NEXT) | instid1(VALU_DEP_3)
	v_and_b32_e32 v4, 0xffff0000, v4
	v_add3_u32 v36, v40, v1, 0x7fff
	s_wait_alu 0xf1ff
	s_delay_alu instid0(VALU_DEP_3)
	v_cndmask_b32_e64 v2, v37, v38, s0
	v_or_b32_e32 v37, 0x400000, v1
	v_bfe_u32 v38, v5, 16, 1
	v_cmp_u_f32_e64 s0, v1, v1
	v_add_f32_e32 v4, v4, v7
	v_and_b32_e32 v2, 0xffff0000, v2
	s_wait_alu 0xf1ff
	s_delay_alu instid0(VALU_DEP_3)
	v_cndmask_b32_e64 v1, v36, v37, s0
	v_add3_u32 v36, v38, v5, 0x7fff
	v_cmp_u_f32_e64 s0, v5, v5
	v_bfe_u32 v38, v8, 16, 1
	v_bfe_u32 v37, v3, 16, 1
	v_and_b32_e32 v1, 0xffff0000, v1
	s_wait_alu 0xf1ff
	v_cndmask_b32_e64 v5, v36, v33, s0
	v_cmp_u_f32_e64 s0, v6, v6
	v_add3_u32 v33, v37, v3, 0x7fff
	v_or_b32_e32 v36, 0x400000, v3
	v_add_f32_e32 v1, v1, v2
	v_and_b32_e32 v5, 0xffff0000, v5
	s_wait_alu 0xf1ff
	v_cndmask_b32_e64 v6, v34, v35, s0
	v_add3_u32 v34, v38, v8, 0x7fff
	v_or_b32_e32 v35, 0x400000, v8
	v_cmp_u_f32_e64 s0, v8, v8
	v_dual_add_f32 v1, v1, v4 :: v_dual_and_b32 v14, 0xffff0000, v14
	v_and_b32_e32 v2, 0xffff0000, v6
	v_and_b32_e32 v6, 0xffff0000, v42
	s_wait_alu 0xf1ff
	v_cndmask_b32_e64 v8, v34, v35, s0
	v_cmp_u_f32_e64 s0, v3, v3
	v_dual_add_f32 v2, v2, v5 :: v_dual_and_b32 v47, 0xffff0000, v47
	v_and_b32_e32 v46, 0xffff0000, v46
	s_delay_alu instid0(VALU_DEP_4)
	v_and_b32_e32 v4, 0xffff0000, v8
	s_wait_alu 0xf1ff
	v_cndmask_b32_e64 v3, v33, v36, s0
	v_add_f32_e32 v6, v39, v6
	v_dual_add_f32 v14, v47, v14 :: v_dual_add_f32 v1, v2, v1
	v_add_f32_e32 v5, v48, v50
	s_delay_alu instid0(VALU_DEP_4) | instskip(SKIP_2) | instid1(VALU_DEP_2)
	v_and_b32_e32 v3, 0xffff0000, v3
	v_and_b32_e32 v45, 0xffff0000, v45
	v_cmp_le_i32_e64 s0, s45, v18
	v_dual_add_f32 v2, v4, v3 :: v_dual_add_f32 v45, v45, v46
	v_dual_add_f32 v3, v56, v12 :: v_dual_add_f32 v4, v5, v13
	s_or_b32 s7, s0, s7
	s_delay_alu instid0(VALU_DEP_2) | instskip(NEXT) | instid1(VALU_DEP_2)
	v_dual_add_f32 v1, v2, v1 :: v_dual_add_f32 v14, v45, v14
	v_dual_add_f32 v25, v25, v3 :: v_dual_add_f32 v26, v26, v4
	s_delay_alu instid0(VALU_DEP_2) | instskip(NEXT) | instid1(VALU_DEP_3)
	v_add_f32_e32 v27, v27, v1
	v_add_f32_e32 v7, v43, v14
	s_delay_alu instid0(VALU_DEP_1) | instskip(NEXT) | instid1(VALU_DEP_1)
	v_add_f32_e32 v5, v6, v7
	v_add_f32_e32 v28, v28, v5
	s_wait_alu 0xfffe
	s_and_not1_b32 exec_lo, exec_lo, s7
	s_cbranch_execz .LBB345_53
.LBB345_36:                             ; =>This Inner Loop Header: Depth=1
	global_load_b32 v1, v[9:10], off
	s_wait_loadcnt 0x0
	s_wait_alu 0xfffe
	v_mad_co_i64_i32 v[11:12], null, v1, s5, s[2:3]
	s_delay_alu instid0(VALU_DEP_1) | instskip(SKIP_1) | instid1(VALU_DEP_2)
	v_add_co_u32 v13, s0, v11, v29
	s_wait_alu 0xf1ff
	v_add_co_ci_u32_e64 v14, null, 0, v12, s0
	v_cmp_eq_u32_e64 s0, s11, v18
	global_load_b64 v[33:34], v[13:14], off
	ds_load_2addr_b64 v[5:8], v32 offset1:1
	ds_load_2addr_b64 v[1:4], v32 offset0:2 offset1:3
	s_wait_loadcnt 0x0
	v_and_b32_e32 v38, 0xff, v34
	v_bfe_u32 v36, v33, 8, 8
	v_bfe_u32 v37, v33, 16, 8
	;; [unrolled: 1-line block ×4, first 2 shown]
	v_cvt_f32_fp8_e32 v38, v38
	v_and_b32_e32 v35, 0xff, v33
	v_cvt_f32_fp8_e32 v36, v36
	v_add_nc_u32_e32 v57, -7, v31
	v_lshrrev_b32_e32 v33, 24, v33
	s_wait_kmcnt 0x0
	v_mul_f32_e32 v38, s6, v38
	v_cvt_f32_fp8_e32 v35, v35
	v_cvt_f32_fp8_e32 v37, v37
	v_mul_f32_e32 v36, s6, v36
	v_lshrrev_b32_e32 v34, 24, v34
	v_cvt_f32_fp8_e32 v33, v33
	v_mul_f32_e32 v35, s6, v35
	v_cvt_f32_fp8_e32 v40, v40
	v_mul_f32_e32 v37, s6, v37
	v_bfe_u32 v43, v36, 16, 1
	v_cvt_f32_fp8_e32 v34, v34
	v_bfe_u32 v41, v35, 16, 1
	v_or_b32_e32 v42, 0x400000, v35
	v_cmp_u_f32_e64 s1, v35, v35
	s_delay_alu instid0(VALU_DEP_4) | instskip(NEXT) | instid1(VALU_DEP_4)
	v_dual_mul_f32 v33, s6, v33 :: v_dual_mul_f32 v34, s6, v34
	v_add3_u32 v41, v41, v35, 0x7fff
	v_mul_f32_e32 v40, s6, v40
	v_or_b32_e32 v44, 0x400000, v36
	v_bfe_u32 v45, v37, 16, 1
	v_add3_u32 v43, v43, v36, 0x7fff
	s_wait_alu 0xf1ff
	v_cndmask_b32_e64 v35, v41, v42, s1
	v_cmp_u_f32_e64 s1, v36, v36
	v_cvt_f32_fp8_e32 v39, v39
	v_or_b32_e32 v46, 0x400000, v37
	v_bfe_u32 v47, v33, 16, 1
	v_add3_u32 v45, v45, v37, 0x7fff
	s_wait_alu 0xf1ff
	v_cndmask_b32_e64 v36, v43, v44, s1
	v_cmp_u_f32_e64 s1, v37, v37
	v_mul_f32_e32 v39, s6, v39
	v_or_b32_e32 v48, 0x400000, v33
	v_bfe_u32 v49, v38, 16, 1
	v_add3_u32 v47, v47, v33, 0x7fff
	s_wait_alu 0xf1ff
	v_cndmask_b32_e64 v37, v45, v46, s1
	v_cmp_u_f32_e64 s1, v33, v33
	v_or_b32_e32 v50, 0x400000, v38
	v_bfe_u32 v51, v39, 16, 1
	v_add3_u32 v49, v49, v38, 0x7fff
	v_or_b32_e32 v52, 0x400000, v39
	s_wait_alu 0xf1ff
	v_cndmask_b32_e64 v33, v47, v48, s1
	v_cmp_u_f32_e64 s1, v38, v38
	v_bfe_u32 v53, v40, 16, 1
	v_add3_u32 v51, v51, v39, 0x7fff
	v_or_b32_e32 v54, 0x400000, v40
	v_bfe_u32 v55, v34, 16, 1
	s_wait_alu 0xf1ff
	v_cndmask_b32_e64 v41, v49, v50, s1
	v_cmp_u_f32_e64 s1, v39, v39
	v_add3_u32 v53, v53, v40, 0x7fff
	v_or_b32_e32 v56, 0x400000, v34
	v_add3_u32 v55, v55, v34, 0x7fff
	v_lshrrev_b32_e32 v39, 16, v35
	s_wait_alu 0xf1ff
	v_cndmask_b32_e64 v42, v51, v52, s1
	v_cmp_u_f32_e64 s1, v40, v40
	v_lshrrev_b32_e32 v40, 16, v36
	v_lshrrev_b32_e32 v37, 16, v37
	;; [unrolled: 1-line block ×4, first 2 shown]
	s_wait_alu 0xf1ff
	v_cndmask_b32_e64 v43, v53, v54, s1
	v_cmp_u_f32_e64 s1, v34, v34
	v_lshrrev_b32_e32 v36, 16, v42
	s_delay_alu instid0(VALU_DEP_3) | instskip(SKIP_1) | instid1(VALU_DEP_3)
	v_lshrrev_b32_e32 v33, 16, v43
	s_wait_alu 0xf1ff
	v_cndmask_b32_e64 v34, v55, v56, s1
	s_delay_alu instid0(VALU_DEP_1)
	v_lshrrev_b32_e32 v34, 16, v34
	s_and_saveexec_b32 s12, s0
	s_cbranch_execz .LBB345_38
; %bb.37:                               ;   in Loop: Header=BB345_36 Depth=1
	v_add_nc_u32_e32 v41, -6, v31
	v_cmp_gt_i32_e64 s1, s53, v57
	v_add_nc_u32_e32 v42, -5, v31
	v_add_nc_u32_e32 v43, -2, v31
	s_wait_alu 0xf1ff
	s_delay_alu instid0(VALU_DEP_3) | instskip(SKIP_3) | instid1(VALU_DEP_2)
	v_cndmask_b32_e64 v39, 0, v39, s1
	v_cmp_gt_i32_e64 s1, s53, v41
	v_add_nc_u32_e32 v41, -4, v31
	s_wait_alu 0xf1ff
	v_cndmask_b32_e64 v40, 0, v40, s1
	v_cmp_gt_i32_e64 s1, s53, v42
	v_add_nc_u32_e32 v42, -3, v31
	s_wait_alu 0xf1ff
	s_delay_alu instid0(VALU_DEP_2) | instskip(SKIP_3) | instid1(VALU_DEP_2)
	v_cndmask_b32_e64 v37, 0, v37, s1
	v_cmp_gt_i32_e64 s1, s53, v41
	v_add_nc_u32_e32 v41, -1, v31
	s_wait_alu 0xf1ff
	v_cndmask_b32_e64 v38, 0, v38, s1
	v_cmp_gt_i32_e64 s1, s53, v42
	s_wait_alu 0xf1ff
	s_delay_alu instid0(VALU_DEP_1) | instskip(SKIP_2) | instid1(VALU_DEP_1)
	v_cndmask_b32_e64 v35, 0, v35, s1
	v_cmp_gt_i32_e64 s1, s53, v43
	s_wait_alu 0xf1ff
	v_cndmask_b32_e64 v36, 0, v36, s1
	v_cmp_gt_i32_e64 s1, s53, v41
	s_wait_alu 0xf1ff
	s_delay_alu instid0(VALU_DEP_1) | instskip(SKIP_2) | instid1(VALU_DEP_1)
	v_cndmask_b32_e64 v33, 0, v33, s1
	v_cmp_gt_i32_e64 s1, s53, v31
	s_wait_alu 0xf1ff
	v_cndmask_b32_e64 v34, 0, v34, s1
.LBB345_38:                             ;   in Loop: Header=BB345_36 Depth=1
	s_wait_alu 0xfffe
	s_or_b32 exec_lo, exec_lo, s12
	global_load_b64 v[41:42], v[13:14], off offset:256
	s_wait_loadcnt 0x0
	v_bfe_u32 v44, v41, 8, 8
	v_bfe_u32 v45, v41, 16, 8
	;; [unrolled: 1-line block ×4, first 2 shown]
	s_delay_alu instid0(VALU_DEP_4)
	v_cvt_f32_fp8_e32 v44, v44
	v_and_b32_e32 v43, 0xff, v41
	v_lshrrev_b32_e32 v41, 24, v41
	v_cvt_f32_fp8_e32 v45, v45
	v_cvt_f32_fp8_e32 v48, v48
	v_mul_f32_e32 v44, s6, v44
	v_cvt_f32_fp8_e32 v43, v43
	v_and_b32_e32 v46, 0xff, v42
	v_cvt_f32_fp8_e32 v41, v41
	v_lshrrev_b32_e32 v42, 24, v42
	v_bfe_u32 v51, v44, 16, 1
	v_mul_f32_e32 v43, s6, v43
	v_cvt_f32_fp8_e32 v46, v46
	v_mul_f32_e32 v45, s6, v45
	v_dual_mul_f32 v41, s6, v41 :: v_dual_mul_f32 v48, s6, v48
	s_delay_alu instid0(VALU_DEP_4)
	v_bfe_u32 v49, v43, 16, 1
	v_or_b32_e32 v50, 0x400000, v43
	v_cmp_u_f32_e64 s1, v43, v43
	v_mul_f32_e32 v46, s6, v46
	v_or_b32_e32 v52, 0x400000, v44
	v_add3_u32 v49, v49, v43, 0x7fff
	v_bfe_u32 v53, v45, 16, 1
	v_add3_u32 v51, v51, v44, 0x7fff
	v_cvt_f32_fp8_e32 v47, v47
	v_or_b32_e32 v54, 0x400000, v45
	s_wait_alu 0xf1ff
	v_cndmask_b32_e64 v43, v49, v50, s1
	v_cmp_u_f32_e64 s1, v44, v44
	v_bfe_u32 v55, v41, 16, 1
	v_add3_u32 v53, v53, v45, 0x7fff
	v_cvt_f32_fp8_e32 v42, v42
	v_mul_f32_e32 v47, s6, v47
	s_wait_alu 0xf1ff
	v_cndmask_b32_e64 v44, v51, v52, s1
	v_cmp_u_f32_e64 s1, v45, v45
	v_or_b32_e32 v56, 0x400000, v41
	v_bfe_u32 v58, v46, 16, 1
	v_add3_u32 v55, v55, v41, 0x7fff
	v_mul_f32_e32 v42, s6, v42
	s_wait_alu 0xf1ff
	v_cndmask_b32_e64 v45, v53, v54, s1
	v_cmp_u_f32_e64 s1, v41, v41
	v_or_b32_e32 v59, 0x400000, v46
	v_bfe_u32 v60, v47, 16, 1
	v_add3_u32 v58, v58, v46, 0x7fff
	v_or_b32_e32 v61, 0x400000, v47
	s_wait_alu 0xf1ff
	v_cndmask_b32_e64 v41, v55, v56, s1
	v_cmp_u_f32_e64 s1, v46, v46
	v_bfe_u32 v62, v48, 16, 1
	v_add3_u32 v60, v60, v47, 0x7fff
	v_or_b32_e32 v63, 0x400000, v48
	v_bfe_u32 v64, v42, 16, 1
	s_wait_alu 0xf1ff
	v_cndmask_b32_e64 v49, v58, v59, s1
	v_cmp_u_f32_e64 s1, v47, v47
	v_add3_u32 v62, v62, v48, 0x7fff
	v_or_b32_e32 v65, 0x400000, v42
	v_add3_u32 v64, v64, v42, 0x7fff
	v_lshrrev_b32_e32 v47, 16, v43
	s_wait_alu 0xf1ff
	v_cndmask_b32_e64 v50, v60, v61, s1
	v_cmp_u_f32_e64 s1, v48, v48
	v_lshrrev_b32_e32 v48, 16, v44
	v_lshrrev_b32_e32 v45, 16, v45
	;; [unrolled: 1-line block ×4, first 2 shown]
	s_wait_alu 0xf1ff
	v_cndmask_b32_e64 v51, v62, v63, s1
	v_cmp_u_f32_e64 s1, v42, v42
	v_lshrrev_b32_e32 v44, 16, v50
	s_delay_alu instid0(VALU_DEP_3) | instskip(SKIP_1) | instid1(VALU_DEP_3)
	v_lshrrev_b32_e32 v41, 16, v51
	s_wait_alu 0xf1ff
	v_cndmask_b32_e64 v42, v64, v65, s1
	s_delay_alu instid0(VALU_DEP_1)
	v_lshrrev_b32_e32 v42, 16, v42
	s_and_saveexec_b32 s12, s0
	s_cbranch_execz .LBB345_40
; %bb.39:                               ;   in Loop: Header=BB345_36 Depth=1
	v_add_nc_u32_e32 v49, -6, v31
	v_cmp_gt_i32_e64 s1, s53, v57
	v_add_nc_u32_e32 v50, -5, v31
	v_add_nc_u32_e32 v51, -2, v31
	s_wait_alu 0xf1ff
	s_delay_alu instid0(VALU_DEP_3) | instskip(SKIP_3) | instid1(VALU_DEP_2)
	v_cndmask_b32_e64 v47, 0, v47, s1
	v_cmp_gt_i32_e64 s1, s53, v49
	v_add_nc_u32_e32 v49, -4, v31
	s_wait_alu 0xf1ff
	v_cndmask_b32_e64 v48, 0, v48, s1
	v_cmp_gt_i32_e64 s1, s53, v50
	v_add_nc_u32_e32 v50, -3, v31
	s_wait_alu 0xf1ff
	s_delay_alu instid0(VALU_DEP_2) | instskip(SKIP_3) | instid1(VALU_DEP_2)
	v_cndmask_b32_e64 v45, 0, v45, s1
	v_cmp_gt_i32_e64 s1, s53, v49
	v_add_nc_u32_e32 v49, -1, v31
	s_wait_alu 0xf1ff
	v_cndmask_b32_e64 v46, 0, v46, s1
	v_cmp_gt_i32_e64 s1, s53, v50
	s_wait_alu 0xf1ff
	s_delay_alu instid0(VALU_DEP_1) | instskip(SKIP_2) | instid1(VALU_DEP_1)
	v_cndmask_b32_e64 v43, 0, v43, s1
	v_cmp_gt_i32_e64 s1, s53, v51
	s_wait_alu 0xf1ff
	v_cndmask_b32_e64 v44, 0, v44, s1
	v_cmp_gt_i32_e64 s1, s53, v49
	s_wait_alu 0xf1ff
	s_delay_alu instid0(VALU_DEP_1) | instskip(SKIP_2) | instid1(VALU_DEP_1)
	v_cndmask_b32_e64 v41, 0, v41, s1
	v_cmp_gt_i32_e64 s1, s53, v31
	s_wait_alu 0xf1ff
	v_cndmask_b32_e64 v42, 0, v42, s1
.LBB345_40:                             ;   in Loop: Header=BB345_36 Depth=1
	s_wait_alu 0xfffe
	s_or_b32 exec_lo, exec_lo, s12
	global_load_b64 v[49:50], v[13:14], off offset:512
	s_wait_loadcnt 0x0
	v_bfe_u32 v52, v49, 8, 8
	v_bfe_u32 v53, v49, 16, 8
	;; [unrolled: 1-line block ×4, first 2 shown]
	s_delay_alu instid0(VALU_DEP_4)
	v_cvt_f32_fp8_e32 v52, v52
	v_and_b32_e32 v51, 0xff, v49
	v_lshrrev_b32_e32 v49, 24, v49
	v_cvt_f32_fp8_e32 v53, v53
	v_cvt_f32_fp8_e32 v56, v56
	v_mul_f32_e32 v52, s6, v52
	v_cvt_f32_fp8_e32 v51, v51
	v_and_b32_e32 v54, 0xff, v50
	v_cvt_f32_fp8_e32 v49, v49
	v_lshrrev_b32_e32 v50, 24, v50
	v_bfe_u32 v60, v52, 16, 1
	v_mul_f32_e32 v51, s6, v51
	v_cvt_f32_fp8_e32 v54, v54
	v_mul_f32_e32 v53, s6, v53
	v_dual_mul_f32 v49, s6, v49 :: v_dual_mul_f32 v56, s6, v56
	s_delay_alu instid0(VALU_DEP_4)
	v_bfe_u32 v58, v51, 16, 1
	v_or_b32_e32 v59, 0x400000, v51
	v_cmp_u_f32_e64 s1, v51, v51
	v_mul_f32_e32 v54, s6, v54
	v_or_b32_e32 v61, 0x400000, v52
	v_add3_u32 v58, v58, v51, 0x7fff
	v_bfe_u32 v62, v53, 16, 1
	v_add3_u32 v60, v60, v52, 0x7fff
	v_cvt_f32_fp8_e32 v55, v55
	v_or_b32_e32 v63, 0x400000, v53
	s_wait_alu 0xf1ff
	v_cndmask_b32_e64 v51, v58, v59, s1
	v_cmp_u_f32_e64 s1, v52, v52
	v_bfe_u32 v64, v49, 16, 1
	v_add3_u32 v62, v62, v53, 0x7fff
	v_cvt_f32_fp8_e32 v50, v50
	v_mul_f32_e32 v55, s6, v55
	s_wait_alu 0xf1ff
	v_cndmask_b32_e64 v52, v60, v61, s1
	v_cmp_u_f32_e64 s1, v53, v53
	v_or_b32_e32 v65, 0x400000, v49
	v_bfe_u32 v66, v54, 16, 1
	v_add3_u32 v64, v64, v49, 0x7fff
	v_mul_f32_e32 v50, s6, v50
	s_wait_alu 0xf1ff
	v_cndmask_b32_e64 v53, v62, v63, s1
	v_cmp_u_f32_e64 s1, v49, v49
	v_or_b32_e32 v67, 0x400000, v54
	v_bfe_u32 v68, v55, 16, 1
	v_add3_u32 v66, v66, v54, 0x7fff
	v_or_b32_e32 v69, 0x400000, v55
	s_wait_alu 0xf1ff
	v_cndmask_b32_e64 v49, v64, v65, s1
	v_cmp_u_f32_e64 s1, v54, v54
	v_bfe_u32 v70, v56, 16, 1
	v_add3_u32 v68, v68, v55, 0x7fff
	v_or_b32_e32 v71, 0x400000, v56
	v_bfe_u32 v72, v50, 16, 1
	s_wait_alu 0xf1ff
	v_cndmask_b32_e64 v58, v66, v67, s1
	v_cmp_u_f32_e64 s1, v55, v55
	v_add3_u32 v70, v70, v56, 0x7fff
	v_or_b32_e32 v73, 0x400000, v50
	v_add3_u32 v72, v72, v50, 0x7fff
	v_lshrrev_b32_e32 v55, 16, v51
	s_wait_alu 0xf1ff
	v_cndmask_b32_e64 v59, v68, v69, s1
	v_cmp_u_f32_e64 s1, v56, v56
	v_lshrrev_b32_e32 v56, 16, v52
	v_lshrrev_b32_e32 v53, 16, v53
	;; [unrolled: 1-line block ×4, first 2 shown]
	s_wait_alu 0xf1ff
	v_cndmask_b32_e64 v60, v70, v71, s1
	v_cmp_u_f32_e64 s1, v50, v50
	v_lshrrev_b32_e32 v52, 16, v59
	s_delay_alu instid0(VALU_DEP_3) | instskip(SKIP_1) | instid1(VALU_DEP_3)
	v_lshrrev_b32_e32 v49, 16, v60
	s_wait_alu 0xf1ff
	v_cndmask_b32_e64 v50, v72, v73, s1
	s_delay_alu instid0(VALU_DEP_1)
	v_lshrrev_b32_e32 v50, 16, v50
	s_and_saveexec_b32 s12, s0
	s_cbranch_execz .LBB345_42
; %bb.41:                               ;   in Loop: Header=BB345_36 Depth=1
	v_add_nc_u32_e32 v58, -6, v31
	v_cmp_gt_i32_e64 s1, s53, v57
	v_add_nc_u32_e32 v59, -5, v31
	v_add_nc_u32_e32 v60, -2, v31
	s_wait_alu 0xf1ff
	s_delay_alu instid0(VALU_DEP_3) | instskip(SKIP_3) | instid1(VALU_DEP_2)
	v_cndmask_b32_e64 v55, 0, v55, s1
	v_cmp_gt_i32_e64 s1, s53, v58
	v_add_nc_u32_e32 v58, -4, v31
	s_wait_alu 0xf1ff
	v_cndmask_b32_e64 v56, 0, v56, s1
	v_cmp_gt_i32_e64 s1, s53, v59
	v_add_nc_u32_e32 v59, -3, v31
	s_wait_alu 0xf1ff
	s_delay_alu instid0(VALU_DEP_2) | instskip(SKIP_3) | instid1(VALU_DEP_2)
	v_cndmask_b32_e64 v53, 0, v53, s1
	v_cmp_gt_i32_e64 s1, s53, v58
	v_add_nc_u32_e32 v58, -1, v31
	s_wait_alu 0xf1ff
	v_cndmask_b32_e64 v54, 0, v54, s1
	v_cmp_gt_i32_e64 s1, s53, v59
	s_wait_alu 0xf1ff
	s_delay_alu instid0(VALU_DEP_1) | instskip(SKIP_2) | instid1(VALU_DEP_1)
	v_cndmask_b32_e64 v51, 0, v51, s1
	v_cmp_gt_i32_e64 s1, s53, v60
	s_wait_alu 0xf1ff
	v_cndmask_b32_e64 v52, 0, v52, s1
	v_cmp_gt_i32_e64 s1, s53, v58
	s_wait_alu 0xf1ff
	s_delay_alu instid0(VALU_DEP_1) | instskip(SKIP_2) | instid1(VALU_DEP_1)
	v_cndmask_b32_e64 v49, 0, v49, s1
	v_cmp_gt_i32_e64 s1, s53, v31
	s_wait_alu 0xf1ff
	v_cndmask_b32_e64 v50, 0, v50, s1
.LBB345_42:                             ;   in Loop: Header=BB345_36 Depth=1
	s_wait_alu 0xfffe
	s_or_b32 exec_lo, exec_lo, s12
	global_load_b64 v[58:59], v[13:14], off offset:768
	s_wait_loadcnt 0x0
	v_bfe_u32 v61, v58, 8, 8
	v_bfe_u32 v62, v58, 16, 8
	;; [unrolled: 1-line block ×4, first 2 shown]
	s_delay_alu instid0(VALU_DEP_4)
	v_cvt_f32_fp8_e32 v61, v61
	v_and_b32_e32 v60, 0xff, v58
	v_lshrrev_b32_e32 v58, 24, v58
	v_cvt_f32_fp8_e32 v62, v62
	v_cvt_f32_fp8_e32 v65, v65
	v_mul_f32_e32 v61, s6, v61
	v_cvt_f32_fp8_e32 v60, v60
	v_and_b32_e32 v63, 0xff, v59
	v_cvt_f32_fp8_e32 v58, v58
	v_lshrrev_b32_e32 v59, 24, v59
	v_bfe_u32 v68, v61, 16, 1
	v_mul_f32_e32 v60, s6, v60
	v_cvt_f32_fp8_e32 v63, v63
	v_mul_f32_e32 v62, s6, v62
	v_dual_mul_f32 v58, s6, v58 :: v_dual_mul_f32 v65, s6, v65
	s_delay_alu instid0(VALU_DEP_4)
	v_bfe_u32 v66, v60, 16, 1
	v_or_b32_e32 v67, 0x400000, v60
	v_cmp_u_f32_e64 s1, v60, v60
	v_mul_f32_e32 v63, s6, v63
	v_or_b32_e32 v69, 0x400000, v61
	v_add3_u32 v66, v66, v60, 0x7fff
	v_bfe_u32 v70, v62, 16, 1
	v_add3_u32 v68, v68, v61, 0x7fff
	v_cvt_f32_fp8_e32 v64, v64
	v_or_b32_e32 v71, 0x400000, v62
	s_wait_alu 0xf1ff
	v_cndmask_b32_e64 v60, v66, v67, s1
	v_cmp_u_f32_e64 s1, v61, v61
	v_bfe_u32 v72, v58, 16, 1
	v_add3_u32 v70, v70, v62, 0x7fff
	v_cvt_f32_fp8_e32 v59, v59
	v_mul_f32_e32 v64, s6, v64
	s_wait_alu 0xf1ff
	v_cndmask_b32_e64 v61, v68, v69, s1
	v_cmp_u_f32_e64 s1, v62, v62
	v_or_b32_e32 v73, 0x400000, v58
	v_bfe_u32 v74, v63, 16, 1
	v_add3_u32 v72, v72, v58, 0x7fff
	v_mul_f32_e32 v59, s6, v59
	s_wait_alu 0xf1ff
	v_cndmask_b32_e64 v62, v70, v71, s1
	v_cmp_u_f32_e64 s1, v58, v58
	v_or_b32_e32 v75, 0x400000, v63
	v_bfe_u32 v76, v64, 16, 1
	v_add3_u32 v74, v74, v63, 0x7fff
	v_or_b32_e32 v77, 0x400000, v64
	s_wait_alu 0xf1ff
	v_cndmask_b32_e64 v58, v72, v73, s1
	v_cmp_u_f32_e64 s1, v63, v63
	v_bfe_u32 v78, v65, 16, 1
	v_add3_u32 v76, v76, v64, 0x7fff
	v_or_b32_e32 v79, 0x400000, v65
	v_bfe_u32 v80, v59, 16, 1
	s_wait_alu 0xf1ff
	v_cndmask_b32_e64 v66, v74, v75, s1
	v_cmp_u_f32_e64 s1, v64, v64
	v_add3_u32 v78, v78, v65, 0x7fff
	v_or_b32_e32 v81, 0x400000, v59
	v_add3_u32 v80, v80, v59, 0x7fff
	v_lshrrev_b32_e32 v64, 16, v60
	s_wait_alu 0xf1ff
	v_cndmask_b32_e64 v67, v76, v77, s1
	v_cmp_u_f32_e64 s1, v65, v65
	v_lshrrev_b32_e32 v65, 16, v61
	v_lshrrev_b32_e32 v62, 16, v62
	;; [unrolled: 1-line block ×4, first 2 shown]
	s_wait_alu 0xf1ff
	v_cndmask_b32_e64 v68, v78, v79, s1
	v_cmp_u_f32_e64 s1, v59, v59
	v_lshrrev_b32_e32 v61, 16, v67
	s_delay_alu instid0(VALU_DEP_3) | instskip(SKIP_1) | instid1(VALU_DEP_3)
	v_lshrrev_b32_e32 v58, 16, v68
	s_wait_alu 0xf1ff
	v_cndmask_b32_e64 v59, v80, v81, s1
	s_delay_alu instid0(VALU_DEP_1)
	v_lshrrev_b32_e32 v59, 16, v59
	s_and_saveexec_b32 s12, s0
	s_cbranch_execz .LBB345_44
; %bb.43:                               ;   in Loop: Header=BB345_36 Depth=1
	v_add_nc_u32_e32 v66, -6, v31
	v_cmp_gt_i32_e64 s1, s53, v57
	v_add_nc_u32_e32 v67, -5, v31
	v_add_nc_u32_e32 v68, -2, v31
	s_wait_alu 0xf1ff
	s_delay_alu instid0(VALU_DEP_3) | instskip(SKIP_3) | instid1(VALU_DEP_2)
	v_cndmask_b32_e64 v64, 0, v64, s1
	v_cmp_gt_i32_e64 s1, s53, v66
	v_add_nc_u32_e32 v66, -4, v31
	s_wait_alu 0xf1ff
	v_cndmask_b32_e64 v65, 0, v65, s1
	v_cmp_gt_i32_e64 s1, s53, v67
	v_add_nc_u32_e32 v67, -3, v31
	s_wait_alu 0xf1ff
	s_delay_alu instid0(VALU_DEP_2) | instskip(SKIP_3) | instid1(VALU_DEP_2)
	v_cndmask_b32_e64 v62, 0, v62, s1
	v_cmp_gt_i32_e64 s1, s53, v66
	v_add_nc_u32_e32 v66, -1, v31
	s_wait_alu 0xf1ff
	v_cndmask_b32_e64 v63, 0, v63, s1
	v_cmp_gt_i32_e64 s1, s53, v67
	s_wait_alu 0xf1ff
	s_delay_alu instid0(VALU_DEP_1) | instskip(SKIP_2) | instid1(VALU_DEP_1)
	v_cndmask_b32_e64 v60, 0, v60, s1
	v_cmp_gt_i32_e64 s1, s53, v68
	s_wait_alu 0xf1ff
	v_cndmask_b32_e64 v61, 0, v61, s1
	v_cmp_gt_i32_e64 s1, s53, v66
	s_wait_alu 0xf1ff
	s_delay_alu instid0(VALU_DEP_1) | instskip(SKIP_2) | instid1(VALU_DEP_1)
	v_cndmask_b32_e64 v58, 0, v58, s1
	v_cmp_gt_i32_e64 s1, s53, v31
	s_wait_alu 0xf1ff
	v_cndmask_b32_e64 v59, 0, v59, s1
.LBB345_44:                             ;   in Loop: Header=BB345_36 Depth=1
	s_wait_alu 0xfffe
	s_or_b32 exec_lo, exec_lo, s12
	global_load_b64 v[66:67], v[13:14], off offset:1024
	s_wait_loadcnt 0x0
	v_bfe_u32 v69, v66, 8, 8
	v_bfe_u32 v70, v66, 16, 8
	;; [unrolled: 1-line block ×4, first 2 shown]
	s_delay_alu instid0(VALU_DEP_4)
	v_cvt_f32_fp8_e32 v69, v69
	v_and_b32_e32 v68, 0xff, v66
	v_lshrrev_b32_e32 v66, 24, v66
	v_cvt_f32_fp8_e32 v70, v70
	v_cvt_f32_fp8_e32 v73, v73
	v_mul_f32_e32 v69, s6, v69
	v_cvt_f32_fp8_e32 v68, v68
	v_and_b32_e32 v71, 0xff, v67
	v_cvt_f32_fp8_e32 v66, v66
	v_lshrrev_b32_e32 v67, 24, v67
	v_bfe_u32 v76, v69, 16, 1
	v_mul_f32_e32 v68, s6, v68
	v_cvt_f32_fp8_e32 v71, v71
	v_mul_f32_e32 v70, s6, v70
	v_dual_mul_f32 v66, s6, v66 :: v_dual_mul_f32 v73, s6, v73
	s_delay_alu instid0(VALU_DEP_4)
	v_bfe_u32 v74, v68, 16, 1
	v_or_b32_e32 v75, 0x400000, v68
	v_cmp_u_f32_e64 s1, v68, v68
	v_mul_f32_e32 v71, s6, v71
	v_or_b32_e32 v77, 0x400000, v69
	v_add3_u32 v74, v74, v68, 0x7fff
	v_bfe_u32 v78, v70, 16, 1
	v_add3_u32 v76, v76, v69, 0x7fff
	v_cvt_f32_fp8_e32 v72, v72
	v_or_b32_e32 v79, 0x400000, v70
	s_wait_alu 0xf1ff
	v_cndmask_b32_e64 v68, v74, v75, s1
	v_cmp_u_f32_e64 s1, v69, v69
	v_bfe_u32 v80, v66, 16, 1
	v_add3_u32 v78, v78, v70, 0x7fff
	v_cvt_f32_fp8_e32 v67, v67
	v_mul_f32_e32 v72, s6, v72
	s_wait_alu 0xf1ff
	v_cndmask_b32_e64 v69, v76, v77, s1
	v_cmp_u_f32_e64 s1, v70, v70
	v_or_b32_e32 v81, 0x400000, v66
	v_bfe_u32 v82, v71, 16, 1
	v_add3_u32 v80, v80, v66, 0x7fff
	v_mul_f32_e32 v67, s6, v67
	s_wait_alu 0xf1ff
	v_cndmask_b32_e64 v70, v78, v79, s1
	v_cmp_u_f32_e64 s1, v66, v66
	v_or_b32_e32 v83, 0x400000, v71
	v_bfe_u32 v84, v72, 16, 1
	v_add3_u32 v82, v82, v71, 0x7fff
	v_or_b32_e32 v85, 0x400000, v72
	s_wait_alu 0xf1ff
	v_cndmask_b32_e64 v66, v80, v81, s1
	v_cmp_u_f32_e64 s1, v71, v71
	v_bfe_u32 v86, v73, 16, 1
	v_add3_u32 v84, v84, v72, 0x7fff
	v_or_b32_e32 v87, 0x400000, v73
	v_bfe_u32 v88, v67, 16, 1
	s_wait_alu 0xf1ff
	v_cndmask_b32_e64 v74, v82, v83, s1
	v_cmp_u_f32_e64 s1, v72, v72
	v_add3_u32 v86, v86, v73, 0x7fff
	v_or_b32_e32 v89, 0x400000, v67
	v_add3_u32 v88, v88, v67, 0x7fff
	v_lshrrev_b32_e32 v72, 16, v68
	s_wait_alu 0xf1ff
	v_cndmask_b32_e64 v75, v84, v85, s1
	v_cmp_u_f32_e64 s1, v73, v73
	v_lshrrev_b32_e32 v73, 16, v69
	v_lshrrev_b32_e32 v70, 16, v70
	;; [unrolled: 1-line block ×4, first 2 shown]
	s_wait_alu 0xf1ff
	v_cndmask_b32_e64 v76, v86, v87, s1
	v_cmp_u_f32_e64 s1, v67, v67
	v_lshrrev_b32_e32 v69, 16, v75
	s_delay_alu instid0(VALU_DEP_3) | instskip(SKIP_1) | instid1(VALU_DEP_3)
	v_lshrrev_b32_e32 v66, 16, v76
	s_wait_alu 0xf1ff
	v_cndmask_b32_e64 v67, v88, v89, s1
	s_delay_alu instid0(VALU_DEP_1)
	v_lshrrev_b32_e32 v67, 16, v67
	s_and_saveexec_b32 s12, s0
	s_cbranch_execz .LBB345_46
; %bb.45:                               ;   in Loop: Header=BB345_36 Depth=1
	v_add_nc_u32_e32 v74, -6, v31
	v_cmp_gt_i32_e64 s1, s53, v57
	v_add_nc_u32_e32 v75, -5, v31
	v_add_nc_u32_e32 v76, -2, v31
	s_wait_alu 0xf1ff
	s_delay_alu instid0(VALU_DEP_3) | instskip(SKIP_3) | instid1(VALU_DEP_2)
	v_cndmask_b32_e64 v72, 0, v72, s1
	v_cmp_gt_i32_e64 s1, s53, v74
	v_add_nc_u32_e32 v74, -4, v31
	s_wait_alu 0xf1ff
	v_cndmask_b32_e64 v73, 0, v73, s1
	v_cmp_gt_i32_e64 s1, s53, v75
	v_add_nc_u32_e32 v75, -3, v31
	s_wait_alu 0xf1ff
	s_delay_alu instid0(VALU_DEP_2) | instskip(SKIP_3) | instid1(VALU_DEP_2)
	v_cndmask_b32_e64 v70, 0, v70, s1
	v_cmp_gt_i32_e64 s1, s53, v74
	v_add_nc_u32_e32 v74, -1, v31
	s_wait_alu 0xf1ff
	v_cndmask_b32_e64 v71, 0, v71, s1
	v_cmp_gt_i32_e64 s1, s53, v75
	s_wait_alu 0xf1ff
	s_delay_alu instid0(VALU_DEP_1) | instskip(SKIP_2) | instid1(VALU_DEP_1)
	v_cndmask_b32_e64 v68, 0, v68, s1
	v_cmp_gt_i32_e64 s1, s53, v76
	s_wait_alu 0xf1ff
	v_cndmask_b32_e64 v69, 0, v69, s1
	v_cmp_gt_i32_e64 s1, s53, v74
	s_wait_alu 0xf1ff
	s_delay_alu instid0(VALU_DEP_1) | instskip(SKIP_2) | instid1(VALU_DEP_1)
	v_cndmask_b32_e64 v66, 0, v66, s1
	v_cmp_gt_i32_e64 s1, s53, v31
	s_wait_alu 0xf1ff
	v_cndmask_b32_e64 v67, 0, v67, s1
.LBB345_46:                             ;   in Loop: Header=BB345_36 Depth=1
	s_wait_alu 0xfffe
	s_or_b32 exec_lo, exec_lo, s12
	global_load_b64 v[74:75], v[13:14], off offset:1280
	s_wait_loadcnt 0x0
	v_bfe_u32 v77, v74, 8, 8
	v_bfe_u32 v78, v74, 16, 8
	;; [unrolled: 1-line block ×4, first 2 shown]
	s_delay_alu instid0(VALU_DEP_4)
	v_cvt_f32_fp8_e32 v77, v77
	v_and_b32_e32 v76, 0xff, v74
	v_lshrrev_b32_e32 v74, 24, v74
	v_cvt_f32_fp8_e32 v78, v78
	v_cvt_f32_fp8_e32 v81, v81
	v_mul_f32_e32 v77, s6, v77
	v_cvt_f32_fp8_e32 v76, v76
	v_and_b32_e32 v79, 0xff, v75
	v_cvt_f32_fp8_e32 v74, v74
	v_lshrrev_b32_e32 v75, 24, v75
	v_bfe_u32 v84, v77, 16, 1
	v_mul_f32_e32 v76, s6, v76
	v_cvt_f32_fp8_e32 v79, v79
	v_mul_f32_e32 v78, s6, v78
	v_dual_mul_f32 v74, s6, v74 :: v_dual_mul_f32 v81, s6, v81
	s_delay_alu instid0(VALU_DEP_4)
	v_bfe_u32 v82, v76, 16, 1
	v_or_b32_e32 v83, 0x400000, v76
	v_cmp_u_f32_e64 s1, v76, v76
	v_mul_f32_e32 v79, s6, v79
	v_or_b32_e32 v85, 0x400000, v77
	v_add3_u32 v82, v82, v76, 0x7fff
	v_bfe_u32 v86, v78, 16, 1
	v_add3_u32 v84, v84, v77, 0x7fff
	v_cvt_f32_fp8_e32 v80, v80
	v_or_b32_e32 v87, 0x400000, v78
	s_wait_alu 0xf1ff
	v_cndmask_b32_e64 v76, v82, v83, s1
	v_cmp_u_f32_e64 s1, v77, v77
	v_bfe_u32 v88, v74, 16, 1
	v_add3_u32 v86, v86, v78, 0x7fff
	v_cvt_f32_fp8_e32 v75, v75
	v_mul_f32_e32 v80, s6, v80
	s_wait_alu 0xf1ff
	v_cndmask_b32_e64 v77, v84, v85, s1
	v_cmp_u_f32_e64 s1, v78, v78
	v_or_b32_e32 v89, 0x400000, v74
	v_bfe_u32 v90, v79, 16, 1
	v_add3_u32 v88, v88, v74, 0x7fff
	v_mul_f32_e32 v75, s6, v75
	s_wait_alu 0xf1ff
	v_cndmask_b32_e64 v78, v86, v87, s1
	v_cmp_u_f32_e64 s1, v74, v74
	v_or_b32_e32 v91, 0x400000, v79
	v_bfe_u32 v92, v80, 16, 1
	v_add3_u32 v90, v90, v79, 0x7fff
	v_or_b32_e32 v93, 0x400000, v80
	s_wait_alu 0xf1ff
	v_cndmask_b32_e64 v74, v88, v89, s1
	v_cmp_u_f32_e64 s1, v79, v79
	v_bfe_u32 v94, v81, 16, 1
	v_add3_u32 v92, v92, v80, 0x7fff
	v_or_b32_e32 v95, 0x400000, v81
	v_bfe_u32 v96, v75, 16, 1
	s_wait_alu 0xf1ff
	v_cndmask_b32_e64 v82, v90, v91, s1
	v_cmp_u_f32_e64 s1, v80, v80
	v_add3_u32 v94, v94, v81, 0x7fff
	v_or_b32_e32 v97, 0x400000, v75
	v_add3_u32 v96, v96, v75, 0x7fff
	v_lshrrev_b32_e32 v80, 16, v76
	s_wait_alu 0xf1ff
	v_cndmask_b32_e64 v83, v92, v93, s1
	v_cmp_u_f32_e64 s1, v81, v81
	v_lshrrev_b32_e32 v81, 16, v77
	v_lshrrev_b32_e32 v78, 16, v78
	v_lshrrev_b32_e32 v79, 16, v74
	v_lshrrev_b32_e32 v76, 16, v82
	s_wait_alu 0xf1ff
	v_cndmask_b32_e64 v84, v94, v95, s1
	v_cmp_u_f32_e64 s1, v75, v75
	v_lshrrev_b32_e32 v77, 16, v83
	s_delay_alu instid0(VALU_DEP_3) | instskip(SKIP_1) | instid1(VALU_DEP_3)
	v_lshrrev_b32_e32 v74, 16, v84
	s_wait_alu 0xf1ff
	v_cndmask_b32_e64 v75, v96, v97, s1
	s_delay_alu instid0(VALU_DEP_1)
	v_lshrrev_b32_e32 v75, 16, v75
	s_and_saveexec_b32 s12, s0
	s_cbranch_execz .LBB345_48
; %bb.47:                               ;   in Loop: Header=BB345_36 Depth=1
	v_add_nc_u32_e32 v82, -6, v31
	v_cmp_gt_i32_e64 s1, s53, v57
	v_add_nc_u32_e32 v83, -5, v31
	v_add_nc_u32_e32 v84, -2, v31
	s_wait_alu 0xf1ff
	s_delay_alu instid0(VALU_DEP_3) | instskip(SKIP_3) | instid1(VALU_DEP_2)
	v_cndmask_b32_e64 v80, 0, v80, s1
	v_cmp_gt_i32_e64 s1, s53, v82
	v_add_nc_u32_e32 v82, -4, v31
	s_wait_alu 0xf1ff
	v_cndmask_b32_e64 v81, 0, v81, s1
	v_cmp_gt_i32_e64 s1, s53, v83
	v_add_nc_u32_e32 v83, -3, v31
	s_wait_alu 0xf1ff
	s_delay_alu instid0(VALU_DEP_2) | instskip(SKIP_3) | instid1(VALU_DEP_2)
	v_cndmask_b32_e64 v78, 0, v78, s1
	v_cmp_gt_i32_e64 s1, s53, v82
	v_add_nc_u32_e32 v82, -1, v31
	s_wait_alu 0xf1ff
	v_cndmask_b32_e64 v79, 0, v79, s1
	v_cmp_gt_i32_e64 s1, s53, v83
	s_wait_alu 0xf1ff
	s_delay_alu instid0(VALU_DEP_1) | instskip(SKIP_2) | instid1(VALU_DEP_1)
	v_cndmask_b32_e64 v76, 0, v76, s1
	v_cmp_gt_i32_e64 s1, s53, v84
	s_wait_alu 0xf1ff
	v_cndmask_b32_e64 v77, 0, v77, s1
	v_cmp_gt_i32_e64 s1, s53, v82
	s_wait_alu 0xf1ff
	s_delay_alu instid0(VALU_DEP_1) | instskip(SKIP_2) | instid1(VALU_DEP_1)
	v_cndmask_b32_e64 v74, 0, v74, s1
	v_cmp_gt_i32_e64 s1, s53, v31
	s_wait_alu 0xf1ff
	v_cndmask_b32_e64 v75, 0, v75, s1
.LBB345_48:                             ;   in Loop: Header=BB345_36 Depth=1
	s_wait_alu 0xfffe
	s_or_b32 exec_lo, exec_lo, s12
	global_load_b64 v[13:14], v[13:14], off offset:1536
	s_wait_loadcnt 0x0
	v_bfe_u32 v83, v13, 8, 8
	v_bfe_u32 v84, v13, 16, 8
	;; [unrolled: 1-line block ×4, first 2 shown]
	s_delay_alu instid0(VALU_DEP_4)
	v_cvt_f32_fp8_e32 v83, v83
	v_and_b32_e32 v82, 0xff, v13
	v_lshrrev_b32_e32 v13, 24, v13
	v_cvt_f32_fp8_e32 v84, v84
	v_and_b32_e32 v85, 0xff, v14
	v_mul_f32_e32 v83, s6, v83
	v_cvt_f32_fp8_e32 v82, v82
	v_cvt_f32_fp8_e32 v13, v13
	v_mul_f32_e32 v84, s6, v84
	v_cvt_f32_fp8_e32 v85, v85
	v_bfe_u32 v90, v83, 16, 1
	s_delay_alu instid0(VALU_DEP_4) | instskip(SKIP_2) | instid1(VALU_DEP_4)
	v_dual_mul_f32 v82, s6, v82 :: v_dual_mul_f32 v13, s6, v13
	v_or_b32_e32 v91, 0x400000, v83
	v_bfe_u32 v92, v84, 16, 1
	v_add3_u32 v90, v90, v83, 0x7fff
	s_delay_alu instid0(VALU_DEP_4)
	v_bfe_u32 v88, v82, 16, 1
	v_or_b32_e32 v89, 0x400000, v82
	v_cmp_u_f32_e64 s1, v82, v82
	v_cvt_f32_fp8_e32 v86, v86
	v_mul_f32_e32 v85, s6, v85
	v_add3_u32 v88, v88, v82, 0x7fff
	v_or_b32_e32 v93, 0x400000, v84
	v_bfe_u32 v94, v13, 16, 1
	v_add3_u32 v92, v92, v84, 0x7fff
	v_lshrrev_b32_e32 v14, 24, v14
	s_wait_alu 0xf1ff
	v_cndmask_b32_e64 v82, v88, v89, s1
	v_cmp_u_f32_e64 s1, v83, v83
	v_cvt_f32_fp8_e32 v87, v87
	v_mul_f32_e32 v86, s6, v86
	v_or_b32_e32 v95, 0x400000, v13
	v_bfe_u32 v96, v85, 16, 1
	s_wait_alu 0xf1ff
	v_cndmask_b32_e64 v83, v90, v91, s1
	v_cmp_u_f32_e64 s1, v84, v84
	v_add3_u32 v94, v94, v13, 0x7fff
	v_cvt_f32_fp8_e32 v14, v14
	v_mul_f32_e32 v87, s6, v87
	v_or_b32_e32 v97, 0x400000, v85
	s_wait_alu 0xf1ff
	v_cndmask_b32_e64 v84, v92, v93, s1
	v_cmp_u_f32_e64 s1, v13, v13
	v_bfe_u32 v98, v86, 16, 1
	v_add3_u32 v96, v96, v85, 0x7fff
	v_mul_f32_e32 v14, s6, v14
	v_or_b32_e32 v99, 0x400000, v86
	s_wait_alu 0xf1ff
	v_cndmask_b32_e64 v13, v94, v95, s1
	v_cmp_u_f32_e64 s1, v85, v85
	v_bfe_u32 v100, v87, 16, 1
	v_add3_u32 v98, v98, v86, 0x7fff
	v_or_b32_e32 v101, 0x400000, v87
	v_bfe_u32 v102, v14, 16, 1
	s_wait_alu 0xf1ff
	v_cndmask_b32_e64 v88, v96, v97, s1
	v_cmp_u_f32_e64 s1, v86, v86
	v_add3_u32 v100, v100, v87, 0x7fff
	v_or_b32_e32 v103, 0x400000, v14
	v_add3_u32 v102, v102, v14, 0x7fff
	v_lshrrev_b32_e32 v86, 16, v82
	s_wait_alu 0xf1ff
	v_cndmask_b32_e64 v89, v98, v99, s1
	v_cmp_u_f32_e64 s1, v87, v87
	v_lshrrev_b32_e32 v87, 16, v83
	v_lshrrev_b32_e32 v84, 16, v84
	v_lshrrev_b32_e32 v85, 16, v13
	v_lshrrev_b32_e32 v82, 16, v88
	s_wait_alu 0xf1ff
	v_cndmask_b32_e64 v90, v100, v101, s1
	v_cmp_u_f32_e64 s1, v14, v14
	v_lshrrev_b32_e32 v83, 16, v89
	s_delay_alu instid0(VALU_DEP_3) | instskip(SKIP_1) | instid1(VALU_DEP_3)
	v_lshrrev_b32_e32 v13, 16, v90
	s_wait_alu 0xf1ff
	v_cndmask_b32_e64 v14, v102, v103, s1
	s_delay_alu instid0(VALU_DEP_1)
	v_lshrrev_b32_e32 v14, 16, v14
	s_and_saveexec_b32 s12, s0
	s_cbranch_execz .LBB345_50
; %bb.49:                               ;   in Loop: Header=BB345_36 Depth=1
	v_add_nc_u32_e32 v88, -6, v31
	v_cmp_gt_i32_e64 s1, s53, v57
	v_add_nc_u32_e32 v89, -5, v31
	v_add_nc_u32_e32 v90, -2, v31
	s_wait_alu 0xf1ff
	s_delay_alu instid0(VALU_DEP_3) | instskip(SKIP_3) | instid1(VALU_DEP_2)
	v_cndmask_b32_e64 v86, 0, v86, s1
	v_cmp_gt_i32_e64 s1, s53, v88
	v_add_nc_u32_e32 v88, -4, v31
	s_wait_alu 0xf1ff
	v_cndmask_b32_e64 v87, 0, v87, s1
	v_cmp_gt_i32_e64 s1, s53, v89
	v_add_nc_u32_e32 v89, -3, v31
	s_wait_alu 0xf1ff
	s_delay_alu instid0(VALU_DEP_2) | instskip(SKIP_3) | instid1(VALU_DEP_2)
	v_cndmask_b32_e64 v84, 0, v84, s1
	v_cmp_gt_i32_e64 s1, s53, v88
	v_add_nc_u32_e32 v88, -1, v31
	s_wait_alu 0xf1ff
	v_cndmask_b32_e64 v85, 0, v85, s1
	v_cmp_gt_i32_e64 s1, s53, v89
	s_wait_alu 0xf1ff
	s_delay_alu instid0(VALU_DEP_1) | instskip(SKIP_2) | instid1(VALU_DEP_1)
	v_cndmask_b32_e64 v82, 0, v82, s1
	v_cmp_gt_i32_e64 s1, s53, v90
	s_wait_alu 0xf1ff
	v_cndmask_b32_e64 v83, 0, v83, s1
	v_cmp_gt_i32_e64 s1, s53, v88
	s_wait_alu 0xf1ff
	s_delay_alu instid0(VALU_DEP_1) | instskip(SKIP_2) | instid1(VALU_DEP_1)
	v_cndmask_b32_e64 v13, 0, v13, s1
	v_cmp_gt_i32_e64 s1, s53, v31
	s_wait_alu 0xf1ff
	v_cndmask_b32_e64 v14, 0, v14, s1
.LBB345_50:                             ;   in Loop: Header=BB345_36 Depth=1
	s_wait_alu 0xfffe
	s_or_b32 exec_lo, exec_lo, s12
	s_wait_dscnt 0x1
	v_bfe_u32 v88, v5, 16, 1
	v_bfe_u32 v89, v6, 16, 1
	v_or_b32_e32 v90, 0x400000, v5
	v_cmp_u_f32_e64 s1, v5, v5
	v_or_b32_e32 v91, 0x400000, v6
	v_add3_u32 v88, v88, v5, 0x7fff
	v_bfe_u32 v92, v7, 16, 1
	v_add3_u32 v89, v89, v6, 0x7fff
	v_bfe_u32 v93, v8, 16, 1
	s_wait_alu 0xf1ff
	v_cndmask_b32_e64 v5, v88, v90, s1
	v_cmp_u_f32_e64 s1, v6, v6
	v_add3_u32 v88, v92, v7, 0x7fff
	s_wait_dscnt 0x0
	v_bfe_u32 v90, v1, 16, 1
	v_or_b32_e32 v92, 0x400000, v8
	s_wait_alu 0xf1ff
	v_cndmask_b32_e64 v6, v89, v91, s1
	v_or_b32_e32 v89, 0x400000, v7
	v_cmp_u_f32_e64 s1, v7, v7
	v_add3_u32 v91, v93, v8, 0x7fff
	v_or_b32_e32 v93, 0x400000, v4
	s_wait_alu 0xf1ff
	s_delay_alu instid0(VALU_DEP_3)
	v_cndmask_b32_e64 v7, v88, v89, s1
	v_cmp_u_f32_e64 s1, v8, v8
	v_add3_u32 v88, v90, v1, 0x7fff
	v_or_b32_e32 v89, 0x400000, v1
	v_bfe_u32 v90, v2, 16, 1
	s_wait_alu 0xf1ff
	v_cndmask_b32_e64 v8, v91, v92, s1
	v_cmp_u_f32_e64 s1, v1, v1
	v_bfe_u32 v91, v3, 16, 1
	v_bfe_u32 v1, v4, 16, 1
	v_or_b32_e32 v92, 0x400000, v3
	s_wait_alu 0xf1ff
	v_cndmask_b32_e64 v88, v88, v89, s1
	v_add3_u32 v89, v90, v2, 0x7fff
	v_or_b32_e32 v90, 0x400000, v2
	v_cmp_u_f32_e64 s1, v2, v2
	v_add3_u32 v91, v91, v3, 0x7fff
	v_add3_u32 v1, v1, v4, 0x7fff
	v_perm_b32 v2, v6, v5, 0x7060302
	s_wait_alu 0xf1ff
	v_cndmask_b32_e64 v89, v89, v90, s1
	v_cmp_u_f32_e64 s1, v3, v3
	s_delay_alu instid0(VALU_DEP_2) | instskip(SKIP_1) | instid1(VALU_DEP_2)
	v_perm_b32 v3, v89, v88, 0x7060302
	s_wait_alu 0xf1ff
	v_cndmask_b32_e64 v90, v91, v92, s1
	v_cmp_u_f32_e64 s1, v4, v4
	s_wait_alu 0xf1ff
	s_delay_alu instid0(VALU_DEP_1) | instskip(SKIP_1) | instid1(VALU_DEP_2)
	v_cndmask_b32_e64 v4, v1, v93, s1
	v_perm_b32 v1, v8, v7, 0x7060302
	v_perm_b32 v8, v4, v90, 0x7060302
	s_and_saveexec_b32 s12, vcc_lo
	s_cbranch_execz .LBB345_35
; %bb.51:                               ;   in Loop: Header=BB345_36 Depth=1
	v_add_co_u32 v4, s1, v11, v30
	s_wait_alu 0xf1ff
	v_add_co_ci_u32_e64 v5, null, 0, v12, s1
	global_load_b64 v[4:5], v[4:5], off
	s_wait_loadcnt 0x0
	v_bfe_u32 v7, v4, 8, 8
	v_bfe_u32 v89, v5, 16, 8
	;; [unrolled: 1-line block ×4, first 2 shown]
	s_delay_alu instid0(VALU_DEP_4)
	v_cvt_f32_fp8_e32 v7, v7
	v_and_b32_e32 v6, 0xff, v4
	v_cvt_f32_fp8_e32 v89, v89
	v_lshrrev_b32_e32 v4, 24, v4
	v_cvt_f32_fp8_e32 v11, v11
	v_mul_f32_e32 v7, s6, v7
	v_cvt_f32_fp8_e32 v6, v6
	v_and_b32_e32 v12, 0xff, v5
	v_lshrrev_b32_e32 v5, 24, v5
	v_cvt_f32_fp8_e32 v4, v4
	s_delay_alu instid0(VALU_DEP_4)
	v_dual_mul_f32 v89, s6, v89 :: v_dual_mul_f32 v6, s6, v6
	v_mul_f32_e32 v11, s6, v11
	v_bfe_u32 v92, v7, 16, 1
	v_cvt_f32_fp8_e32 v12, v12
	v_cvt_f32_fp8_e32 v5, v5
	v_bfe_u32 v90, v6, 16, 1
	v_or_b32_e32 v91, 0x400000, v6
	v_cmp_u_f32_e64 s1, v6, v6
	s_delay_alu instid0(VALU_DEP_4) | instskip(NEXT) | instid1(VALU_DEP_4)
	v_dual_mul_f32 v4, s6, v4 :: v_dual_mul_f32 v5, s6, v5
	v_add3_u32 v90, v90, v6, 0x7fff
	v_or_b32_e32 v93, 0x400000, v7
	v_bfe_u32 v94, v11, 16, 1
	v_add3_u32 v92, v92, v7, 0x7fff
	v_cvt_f32_fp8_e32 v88, v88
	s_wait_alu 0xf1ff
	v_cndmask_b32_e64 v6, v90, v91, s1
	v_cmp_u_f32_e64 s1, v7, v7
	v_mul_f32_e32 v12, s6, v12
	v_or_b32_e32 v95, 0x400000, v11
	v_bfe_u32 v96, v4, 16, 1
	v_add3_u32 v94, v94, v11, 0x7fff
	s_wait_alu 0xf1ff
	v_cndmask_b32_e64 v7, v92, v93, s1
	v_cmp_u_f32_e64 s1, v11, v11
	v_mul_f32_e32 v88, s6, v88
	v_or_b32_e32 v97, 0x400000, v4
	v_bfe_u32 v98, v12, 16, 1
	v_add3_u32 v96, v96, v4, 0x7fff
	s_wait_alu 0xf1ff
	v_cndmask_b32_e64 v11, v94, v95, s1
	v_cmp_u_f32_e64 s1, v4, v4
	v_or_b32_e32 v99, 0x400000, v12
	v_bfe_u32 v100, v88, 16, 1
	v_add3_u32 v98, v98, v12, 0x7fff
	v_or_b32_e32 v101, 0x400000, v88
	s_wait_alu 0xf1ff
	v_cndmask_b32_e64 v4, v96, v97, s1
	v_cmp_u_f32_e64 s1, v12, v12
	v_bfe_u32 v102, v89, 16, 1
	v_add3_u32 v100, v100, v88, 0x7fff
	v_or_b32_e32 v103, 0x400000, v89
	v_bfe_u32 v104, v5, 16, 1
	s_wait_alu 0xf1ff
	v_cndmask_b32_e64 v90, v98, v99, s1
	v_cmp_u_f32_e64 s1, v88, v88
	v_add3_u32 v102, v102, v89, 0x7fff
	v_or_b32_e32 v105, 0x400000, v5
	v_add3_u32 v104, v104, v5, 0x7fff
	v_lshrrev_b32_e32 v88, 16, v7
	s_wait_alu 0xf1ff
	v_cndmask_b32_e64 v91, v100, v101, s1
	v_cmp_u_f32_e64 s1, v89, v89
	v_lshrrev_b32_e32 v89, 16, v6
	v_lshrrev_b32_e32 v12, 16, v11
	;; [unrolled: 1-line block ×4, first 2 shown]
	s_wait_alu 0xf1ff
	v_cndmask_b32_e64 v92, v102, v103, s1
	v_cmp_u_f32_e64 s1, v5, v5
	v_lshrrev_b32_e32 v6, 16, v91
	s_delay_alu instid0(VALU_DEP_3) | instskip(SKIP_1) | instid1(VALU_DEP_3)
	v_lshrrev_b32_e32 v5, 16, v92
	s_wait_alu 0xf1ff
	v_cndmask_b32_e64 v93, v104, v105, s1
	s_delay_alu instid0(VALU_DEP_1)
	v_lshrrev_b32_e32 v4, 16, v93
	s_and_saveexec_b32 s1, s0
	s_cbranch_execz .LBB345_34
; %bb.52:                               ;   in Loop: Header=BB345_36 Depth=1
	v_add_nc_u32_e32 v90, -6, v31
	v_cmp_gt_i32_e64 s0, s53, v57
	v_add_nc_u32_e32 v91, -5, v31
	v_add_nc_u32_e32 v57, -4, v31
	s_wait_alu 0xf1ff
	s_delay_alu instid0(VALU_DEP_3) | instskip(SKIP_3) | instid1(VALU_DEP_2)
	v_cndmask_b32_e64 v89, 0, v89, s0
	v_cmp_gt_i32_e64 s0, s53, v90
	v_add_nc_u32_e32 v90, -3, v31
	s_wait_alu 0xf1ff
	v_cndmask_b32_e64 v88, 0, v88, s0
	v_cmp_gt_i32_e64 s0, s53, v91
	v_add_nc_u32_e32 v91, -2, v31
	s_wait_alu 0xf1ff
	s_delay_alu instid0(VALU_DEP_2) | instskip(SKIP_3) | instid1(VALU_DEP_2)
	v_cndmask_b32_e64 v12, 0, v12, s0
	v_cmp_gt_i32_e64 s0, s53, v57
	v_add_nc_u32_e32 v57, -1, v31
	s_wait_alu 0xf1ff
	v_cndmask_b32_e64 v11, 0, v11, s0
	v_cmp_gt_i32_e64 s0, s53, v90
	s_wait_alu 0xf1ff
	s_delay_alu instid0(VALU_DEP_1) | instskip(SKIP_2) | instid1(VALU_DEP_1)
	v_cndmask_b32_e64 v7, 0, v7, s0
	v_cmp_gt_i32_e64 s0, s53, v91
	s_wait_alu 0xf1ff
	v_cndmask_b32_e64 v6, 0, v6, s0
	v_cmp_gt_i32_e64 s0, s53, v57
	s_wait_alu 0xf1ff
	s_delay_alu instid0(VALU_DEP_1) | instskip(SKIP_2) | instid1(VALU_DEP_1)
	v_cndmask_b32_e64 v5, 0, v5, s0
	v_cmp_gt_i32_e64 s0, s53, v31
	s_wait_alu 0xf1ff
	v_cndmask_b32_e64 v4, 0, v4, s0
	s_branch .LBB345_34
.LBB345_53:
	s_or_b32 exec_lo, exec_lo, s7
.LBB345_54:
	s_delay_alu instid0(SALU_CYCLE_1)
	s_or_b32 exec_lo, exec_lo, s4
	ds_bpermute_b32 v1, v20, v27
	ds_bpermute_b32 v2, v20, v28
	ds_bpermute_b32 v3, v20, v26
	ds_bpermute_b32 v4, v20, v25
	ds_bpermute_b32 v10, v20, v24
	ds_bpermute_b32 v11, v20, v23
	ds_bpermute_b32 v12, v20, v22
	ds_bpermute_b32 v13, v20, v21
	s_movk_i32 s0, 0x1e0
	v_and_b32_e32 v14, 0x3c0, v0
	s_wait_alu 0xfffe
	v_mad_u32_u24 v9, v17, s0, 0x110
	s_mov_b32 s1, exec_lo
	v_cmp_eq_u32_e32 vcc_lo, 0, v16
	s_wait_storecnt 0x0
	s_wait_loadcnt_dscnt 0x0
	s_barrier_signal -1
	s_barrier_wait -1
	global_inv scope:SCOPE_SE
	v_dual_add_f32 v8, v27, v1 :: v_dual_add_f32 v7, v28, v2
	v_dual_add_f32 v6, v26, v3 :: v_dual_add_f32 v5, v25, v4
	;; [unrolled: 1-line block ×4, first 2 shown]
	v_cmpx_eq_u32_e32 64, v14
	s_cbranch_execz .LBB345_59
; %bb.55:
	v_add_nc_u32_e32 v10, 0xfffffc40, v9
	s_and_saveexec_b32 s0, vcc_lo
	s_cbranch_execz .LBB345_57
; %bb.56:
	s_delay_alu instid0(VALU_DEP_1)
	v_lshl_add_u32 v11, v19, 2, v10
	ds_store_2addr_b32 v11, v8, v7 offset1:16
	ds_store_2addr_b32 v11, v6, v5 offset0:32 offset1:48
	ds_store_2addr_b32 v11, v4, v3 offset0:64 offset1:80
	ds_store_b32 v11, v2 offset:384
.LBB345_57:
	s_wait_alu 0xfffe
	s_or_b32 exec_lo, exec_lo, s0
	v_or_b32_e32 v11, 0x70, v19
	s_delay_alu instid0(VALU_DEP_1)
	v_cmp_gt_u32_e64 s0, 0x78, v11
	s_and_b32 s0, vcc_lo, s0
	s_wait_alu 0xfffe
	s_and_b32 exec_lo, exec_lo, s0
; %bb.58:
	v_lshl_add_u32 v10, v11, 2, v10
	ds_store_b32 v10, v1
.LBB345_59:
	s_wait_alu 0xfffe
	s_or_b32 exec_lo, exec_lo, s1
	s_delay_alu instid0(SALU_CYCLE_1)
	s_mov_b32 s1, exec_lo
	s_wait_loadcnt_dscnt 0x0
	s_barrier_signal -1
	s_barrier_wait -1
	global_inv scope:SCOPE_SE
	v_cmpx_gt_u32_e32 64, v0
	s_cbranch_execz .LBB345_71
; %bb.60:
	s_and_saveexec_b32 s0, vcc_lo
	s_cbranch_execnz .LBB345_106
; %bb.61:
	s_wait_alu 0xfffe
	s_or_b32 exec_lo, exec_lo, s0
	s_and_saveexec_b32 s0, vcc_lo
	s_cbranch_execnz .LBB345_107
.LBB345_62:
	s_wait_alu 0xfffe
	s_or_b32 exec_lo, exec_lo, s0
	s_and_saveexec_b32 s0, vcc_lo
	s_cbranch_execnz .LBB345_108
.LBB345_63:
	s_wait_alu 0xfffe
	s_or_b32 exec_lo, exec_lo, s0
	s_and_saveexec_b32 s0, vcc_lo
	s_cbranch_execnz .LBB345_109
.LBB345_64:
	s_wait_alu 0xfffe
	s_or_b32 exec_lo, exec_lo, s0
	s_and_saveexec_b32 s0, vcc_lo
	s_cbranch_execnz .LBB345_110
.LBB345_65:
	s_wait_alu 0xfffe
	s_or_b32 exec_lo, exec_lo, s0
	s_and_saveexec_b32 s0, vcc_lo
	s_cbranch_execnz .LBB345_111
.LBB345_66:
	s_wait_alu 0xfffe
	s_or_b32 exec_lo, exec_lo, s0
	s_and_saveexec_b32 s0, vcc_lo
	s_cbranch_execz .LBB345_68
.LBB345_67:
	v_lshl_add_u32 v10, v19, 2, v9
	ds_load_b32 v10, v10 offset:384
	s_wait_dscnt 0x0
	v_add_f32_e32 v2, v2, v10
.LBB345_68:
	s_wait_alu 0xfffe
	s_or_b32 exec_lo, exec_lo, s0
	v_or_b32_e32 v10, 0x70, v19
	s_delay_alu instid0(VALU_DEP_1)
	v_cmp_gt_u32_e64 s0, 0x78, v10
	s_and_b32 s2, vcc_lo, s0
	s_wait_alu 0xfffe
	s_and_saveexec_b32 s0, s2
	s_cbranch_execz .LBB345_70
; %bb.69:
	v_lshl_add_u32 v10, v19, 2, v9
	ds_load_b32 v10, v10 offset:448
	s_wait_dscnt 0x0
	v_add_f32_e32 v1, v1, v10
.LBB345_70:
	s_wait_alu 0xfffe
	s_or_b32 exec_lo, exec_lo, s0
.LBB345_71:
	s_wait_alu 0xfffe
	s_or_b32 exec_lo, exec_lo, s1
	v_and_b32_e32 v10, 0x3e0, v0
	s_mov_b32 s1, exec_lo
	s_wait_loadcnt 0x0
	s_barrier_signal -1
	s_barrier_wait -1
	global_inv scope:SCOPE_SE
	v_cmpx_eq_u32_e32 32, v10
	s_cbranch_execz .LBB345_76
; %bb.72:
	v_lshl_add_u32 v10, v19, 2, 0x110
	s_and_saveexec_b32 s0, vcc_lo
	s_cbranch_execz .LBB345_74
; %bb.73:
	ds_store_2addr_b32 v10, v8, v7 offset1:16
	ds_store_2addr_b32 v10, v6, v5 offset0:32 offset1:48
	ds_store_2addr_b32 v10, v4, v3 offset0:64 offset1:80
	ds_store_b32 v10, v2 offset:384
.LBB345_74:
	s_wait_alu 0xfffe
	s_or_b32 exec_lo, exec_lo, s0
	v_or_b32_e32 v11, 0x70, v19
	s_delay_alu instid0(VALU_DEP_1)
	v_cmp_gt_u32_e64 s0, 0x78, v11
	s_and_b32 s0, vcc_lo, s0
	s_wait_alu 0xfffe
	s_and_b32 exec_lo, exec_lo, s0
; %bb.75:
	ds_store_b32 v10, v1 offset:448
.LBB345_76:
	s_wait_alu 0xfffe
	s_or_b32 exec_lo, exec_lo, s1
	v_cmp_gt_u32_e64 s0, 32, v0
	s_wait_loadcnt_dscnt 0x0
	s_barrier_signal -1
	s_barrier_wait -1
	global_inv scope:SCOPE_SE
	s_and_saveexec_b32 s2, s0
	s_cbranch_execz .LBB345_88
; %bb.77:
	v_lshl_add_u32 v0, v19, 2, v9
	s_and_saveexec_b32 s1, vcc_lo
	s_cbranch_execnz .LBB345_112
; %bb.78:
	s_wait_alu 0xfffe
	s_or_b32 exec_lo, exec_lo, s1
	s_and_saveexec_b32 s1, vcc_lo
	s_cbranch_execnz .LBB345_113
.LBB345_79:
	s_wait_alu 0xfffe
	s_or_b32 exec_lo, exec_lo, s1
	s_and_saveexec_b32 s1, vcc_lo
	s_cbranch_execnz .LBB345_114
.LBB345_80:
	s_wait_alu 0xfffe
	s_or_b32 exec_lo, exec_lo, s1
	s_and_saveexec_b32 s1, vcc_lo
	s_cbranch_execnz .LBB345_115
.LBB345_81:
	s_wait_alu 0xfffe
	s_or_b32 exec_lo, exec_lo, s1
	s_and_saveexec_b32 s1, vcc_lo
	s_cbranch_execnz .LBB345_116
.LBB345_82:
	s_wait_alu 0xfffe
	s_or_b32 exec_lo, exec_lo, s1
	s_and_saveexec_b32 s1, vcc_lo
	s_cbranch_execnz .LBB345_117
.LBB345_83:
	s_wait_alu 0xfffe
	s_or_b32 exec_lo, exec_lo, s1
	s_and_saveexec_b32 s1, vcc_lo
	s_cbranch_execz .LBB345_85
.LBB345_84:
	ds_load_b32 v9, v0 offset:384
	s_wait_dscnt 0x0
	v_add_f32_e32 v2, v2, v9
.LBB345_85:
	s_wait_alu 0xfffe
	s_or_b32 exec_lo, exec_lo, s1
	v_or_b32_e32 v9, 0x70, v19
	s_delay_alu instid0(VALU_DEP_1)
	v_cmp_gt_u32_e64 s1, 0x78, v9
	s_and_b32 s3, vcc_lo, s1
	s_wait_alu 0xfffe
	s_and_saveexec_b32 s1, s3
	s_cbranch_execz .LBB345_87
; %bb.86:
	ds_load_b32 v0, v0 offset:448
	s_wait_dscnt 0x0
	v_add_f32_e32 v1, v1, v0
.LBB345_87:
	s_wait_alu 0xfffe
	s_or_b32 exec_lo, exec_lo, s1
.LBB345_88:
	s_wait_alu 0xfffe
	s_or_b32 exec_lo, exec_lo, s2
	s_wait_loadcnt 0x0
	s_barrier_signal -1
	s_barrier_wait -1
	global_inv scope:SCOPE_SE
	s_and_saveexec_b32 s1, s0
	s_cbranch_execz .LBB345_105
; %bb.89:
	s_mul_i32 s0, s10, 0x78
	s_mul_i32 s2, s40, s44
	s_wait_alu 0xfffe
	s_ashr_i32 s1, s0, 31
	s_ashr_i32 s3, s2, 31
	s_wait_alu 0xfffe
	s_lshl_b64 s[0:1], s[0:1], 1
	s_lshl_b64 s[2:3], s[2:3], 1
	s_wait_alu 0xfffe
	s_add_nc_u64 s[0:1], s[8:9], s[0:1]
	v_lshlrev_b32_e32 v0, 1, v15
	s_mul_i32 s4, s52, 0xf0
	s_wait_alu 0xfffe
	s_add_nc_u64 s[0:1], s[0:1], s[2:3]
	s_mov_b32 s5, 0
	s_wait_alu 0xfffe
	s_add_nc_u64 s[2:3], s[0:1], s[4:5]
	s_and_saveexec_b32 s1, vcc_lo
	s_cbranch_execz .LBB345_91
; %bb.90:
	v_bfe_u32 v9, v8, 16, 1
	v_or_b32_e32 v10, 0x400000, v8
	v_cmp_u_f32_e64 s0, v8, v8
	s_delay_alu instid0(VALU_DEP_3) | instskip(SKIP_1) | instid1(VALU_DEP_1)
	v_add3_u32 v9, v9, v8, 0x7fff
	s_wait_alu 0xf1ff
	v_cndmask_b32_e64 v8, v9, v10, s0
	global_store_d16_hi_b16 v0, v8, s[2:3]
.LBB345_91:
	s_wait_alu 0xfffe
	s_or_b32 exec_lo, exec_lo, s1
	v_or_b32_e32 v8, 16, v15
	s_delay_alu instid0(VALU_DEP_1)
	v_cmp_gt_u32_e64 s0, 0x78, v8
	s_and_b32 s0, vcc_lo, s0
	s_wait_alu 0xfffe
	s_and_saveexec_b32 s1, s0
	s_cbranch_execz .LBB345_93
; %bb.92:
	v_bfe_u32 v8, v7, 16, 1
	v_or_b32_e32 v9, 0x400000, v7
	v_cmp_u_f32_e64 s0, v7, v7
	s_delay_alu instid0(VALU_DEP_3) | instskip(SKIP_1) | instid1(VALU_DEP_1)
	v_add3_u32 v8, v8, v7, 0x7fff
	s_wait_alu 0xf1ff
	v_cndmask_b32_e64 v7, v8, v9, s0
	global_store_d16_hi_b16 v0, v7, s[2:3] offset:32
.LBB345_93:
	s_wait_alu 0xfffe
	s_or_b32 exec_lo, exec_lo, s1
	v_or_b32_e32 v7, 32, v15
	s_delay_alu instid0(VALU_DEP_1)
	v_cmp_gt_u32_e64 s0, 0x78, v7
	s_and_b32 s0, vcc_lo, s0
	s_wait_alu 0xfffe
	s_and_saveexec_b32 s1, s0
	s_cbranch_execz .LBB345_95
; %bb.94:
	v_bfe_u32 v7, v6, 16, 1
	v_or_b32_e32 v8, 0x400000, v6
	v_cmp_u_f32_e64 s0, v6, v6
	s_delay_alu instid0(VALU_DEP_3) | instskip(SKIP_1) | instid1(VALU_DEP_1)
	v_add3_u32 v7, v7, v6, 0x7fff
	s_wait_alu 0xf1ff
	v_cndmask_b32_e64 v6, v7, v8, s0
	global_store_d16_hi_b16 v0, v6, s[2:3] offset:64
.LBB345_95:
	;; [unrolled: 19-line block ×6, first 2 shown]
	s_wait_alu 0xfffe
	s_or_b32 exec_lo, exec_lo, s1
	v_or_b32_e32 v2, 0x70, v15
	s_delay_alu instid0(VALU_DEP_1)
	v_cmp_gt_u32_e64 s0, 0x78, v2
	s_and_b32 s0, vcc_lo, s0
	s_wait_alu 0xfffe
	s_and_b32 exec_lo, exec_lo, s0
	s_cbranch_execz .LBB345_105
; %bb.104:
	v_bfe_u32 v2, v1, 16, 1
	v_or_b32_e32 v3, 0x400000, v1
	v_cmp_u_f32_e32 vcc_lo, v1, v1
	s_delay_alu instid0(VALU_DEP_3) | instskip(SKIP_1) | instid1(VALU_DEP_1)
	v_add3_u32 v2, v2, v1, 0x7fff
	s_wait_alu 0xfffd
	v_cndmask_b32_e32 v1, v2, v3, vcc_lo
	global_store_d16_hi_b16 v0, v1, s[2:3] offset:224
.LBB345_105:
	s_nop 0
	s_sendmsg sendmsg(MSG_DEALLOC_VGPRS)
	s_endpgm
.LBB345_106:
	v_lshl_add_u32 v10, v19, 2, v9
	ds_load_b32 v10, v10
	s_wait_dscnt 0x0
	v_add_f32_e32 v8, v8, v10
	s_wait_alu 0xfffe
	s_or_b32 exec_lo, exec_lo, s0
	s_and_saveexec_b32 s0, vcc_lo
	s_cbranch_execz .LBB345_62
.LBB345_107:
	v_lshl_add_u32 v10, v19, 2, v9
	ds_load_b32 v10, v10 offset:64
	s_wait_dscnt 0x0
	v_add_f32_e32 v7, v7, v10
	s_wait_alu 0xfffe
	s_or_b32 exec_lo, exec_lo, s0
	s_and_saveexec_b32 s0, vcc_lo
	s_cbranch_execz .LBB345_63
.LBB345_108:
	v_lshl_add_u32 v10, v19, 2, v9
	ds_load_b32 v10, v10 offset:128
	s_wait_dscnt 0x0
	v_add_f32_e32 v6, v6, v10
	s_wait_alu 0xfffe
	s_or_b32 exec_lo, exec_lo, s0
	s_and_saveexec_b32 s0, vcc_lo
	s_cbranch_execz .LBB345_64
.LBB345_109:
	v_lshl_add_u32 v10, v19, 2, v9
	ds_load_b32 v10, v10 offset:192
	s_wait_dscnt 0x0
	v_add_f32_e32 v5, v5, v10
	s_wait_alu 0xfffe
	s_or_b32 exec_lo, exec_lo, s0
	s_and_saveexec_b32 s0, vcc_lo
	s_cbranch_execz .LBB345_65
.LBB345_110:
	v_lshl_add_u32 v10, v19, 2, v9
	ds_load_b32 v10, v10 offset:256
	s_wait_dscnt 0x0
	v_add_f32_e32 v4, v4, v10
	s_wait_alu 0xfffe
	s_or_b32 exec_lo, exec_lo, s0
	s_and_saveexec_b32 s0, vcc_lo
	s_cbranch_execz .LBB345_66
.LBB345_111:
	v_lshl_add_u32 v10, v19, 2, v9
	ds_load_b32 v10, v10 offset:320
	s_wait_dscnt 0x0
	v_add_f32_e32 v3, v3, v10
	s_wait_alu 0xfffe
	s_or_b32 exec_lo, exec_lo, s0
	s_and_saveexec_b32 s0, vcc_lo
	s_cbranch_execnz .LBB345_67
	s_branch .LBB345_68
.LBB345_112:
	ds_load_b32 v9, v0
	s_wait_dscnt 0x0
	v_add_f32_e32 v8, v8, v9
	s_wait_alu 0xfffe
	s_or_b32 exec_lo, exec_lo, s1
	s_and_saveexec_b32 s1, vcc_lo
	s_cbranch_execz .LBB345_79
.LBB345_113:
	ds_load_b32 v9, v0 offset:64
	s_wait_dscnt 0x0
	v_add_f32_e32 v7, v7, v9
	s_wait_alu 0xfffe
	s_or_b32 exec_lo, exec_lo, s1
	s_and_saveexec_b32 s1, vcc_lo
	s_cbranch_execz .LBB345_80
.LBB345_114:
	ds_load_b32 v9, v0 offset:128
	s_wait_dscnt 0x0
	v_add_f32_e32 v6, v6, v9
	s_wait_alu 0xfffe
	s_or_b32 exec_lo, exec_lo, s1
	s_and_saveexec_b32 s1, vcc_lo
	s_cbranch_execz .LBB345_81
.LBB345_115:
	ds_load_b32 v9, v0 offset:192
	s_wait_dscnt 0x0
	v_add_f32_e32 v5, v5, v9
	s_wait_alu 0xfffe
	s_or_b32 exec_lo, exec_lo, s1
	s_and_saveexec_b32 s1, vcc_lo
	s_cbranch_execz .LBB345_82
.LBB345_116:
	ds_load_b32 v9, v0 offset:256
	s_wait_dscnt 0x0
	v_add_f32_e32 v4, v4, v9
	s_wait_alu 0xfffe
	s_or_b32 exec_lo, exec_lo, s1
	s_and_saveexec_b32 s1, vcc_lo
	s_cbranch_execz .LBB345_83
.LBB345_117:
	ds_load_b32 v9, v0 offset:320
	s_wait_dscnt 0x0
	v_add_f32_e32 v3, v3, v9
	s_wait_alu 0xfffe
	s_or_b32 exec_lo, exec_lo, s1
	s_and_saveexec_b32 s1, vcc_lo
	s_cbranch_execnz .LBB345_84
	s_branch .LBB345_85
	.section	.rodata,"a",@progbits
	.p2align	6, 0x0
	.amdhsa_kernel _ZN4vllm25paged_attention_v2_kernelI14__hip_bfloat16hLi120ELi16ELi128ELNS_18Fp8KVCacheDataTypeE1ELb0ELi512EEEvPfS3_PT_PKS4_PKT0_SA_ifPKiSC_iPKfiiiSE_SE_iiiii
		.amdhsa_group_segment_fixed_size 272
		.amdhsa_private_segment_fixed_size 0
		.amdhsa_kernarg_size 400
		.amdhsa_user_sgpr_count 2
		.amdhsa_user_sgpr_dispatch_ptr 0
		.amdhsa_user_sgpr_queue_ptr 0
		.amdhsa_user_sgpr_kernarg_segment_ptr 1
		.amdhsa_user_sgpr_dispatch_id 0
		.amdhsa_user_sgpr_private_segment_size 0
		.amdhsa_wavefront_size32 1
		.amdhsa_uses_dynamic_stack 0
		.amdhsa_enable_private_segment 0
		.amdhsa_system_sgpr_workgroup_id_x 1
		.amdhsa_system_sgpr_workgroup_id_y 1
		.amdhsa_system_sgpr_workgroup_id_z 1
		.amdhsa_system_sgpr_workgroup_info 0
		.amdhsa_system_vgpr_workitem_id 0
		.amdhsa_next_free_vgpr 156
		.amdhsa_next_free_sgpr 62
		.amdhsa_reserve_vcc 1
		.amdhsa_float_round_mode_32 0
		.amdhsa_float_round_mode_16_64 0
		.amdhsa_float_denorm_mode_32 3
		.amdhsa_float_denorm_mode_16_64 3
		.amdhsa_fp16_overflow 0
		.amdhsa_workgroup_processor_mode 1
		.amdhsa_memory_ordered 1
		.amdhsa_forward_progress 1
		.amdhsa_inst_pref_size 172
		.amdhsa_round_robin_scheduling 0
		.amdhsa_exception_fp_ieee_invalid_op 0
		.amdhsa_exception_fp_denorm_src 0
		.amdhsa_exception_fp_ieee_div_zero 0
		.amdhsa_exception_fp_ieee_overflow 0
		.amdhsa_exception_fp_ieee_underflow 0
		.amdhsa_exception_fp_ieee_inexact 0
		.amdhsa_exception_int_div_zero 0
	.end_amdhsa_kernel
	.section	.text._ZN4vllm25paged_attention_v2_kernelI14__hip_bfloat16hLi120ELi16ELi128ELNS_18Fp8KVCacheDataTypeE1ELb0ELi512EEEvPfS3_PT_PKS4_PKT0_SA_ifPKiSC_iPKfiiiSE_SE_iiiii,"axG",@progbits,_ZN4vllm25paged_attention_v2_kernelI14__hip_bfloat16hLi120ELi16ELi128ELNS_18Fp8KVCacheDataTypeE1ELb0ELi512EEEvPfS3_PT_PKS4_PKT0_SA_ifPKiSC_iPKfiiiSE_SE_iiiii,comdat
.Lfunc_end345:
	.size	_ZN4vllm25paged_attention_v2_kernelI14__hip_bfloat16hLi120ELi16ELi128ELNS_18Fp8KVCacheDataTypeE1ELb0ELi512EEEvPfS3_PT_PKS4_PKT0_SA_ifPKiSC_iPKfiiiSE_SE_iiiii, .Lfunc_end345-_ZN4vllm25paged_attention_v2_kernelI14__hip_bfloat16hLi120ELi16ELi128ELNS_18Fp8KVCacheDataTypeE1ELb0ELi512EEEvPfS3_PT_PKS4_PKT0_SA_ifPKiSC_iPKfiiiSE_SE_iiiii
                                        ; -- End function
	.set _ZN4vllm25paged_attention_v2_kernelI14__hip_bfloat16hLi120ELi16ELi128ELNS_18Fp8KVCacheDataTypeE1ELb0ELi512EEEvPfS3_PT_PKS4_PKT0_SA_ifPKiSC_iPKfiiiSE_SE_iiiii.num_vgpr, 156
	.set _ZN4vllm25paged_attention_v2_kernelI14__hip_bfloat16hLi120ELi16ELi128ELNS_18Fp8KVCacheDataTypeE1ELb0ELi512EEEvPfS3_PT_PKS4_PKT0_SA_ifPKiSC_iPKfiiiSE_SE_iiiii.num_agpr, 0
	.set _ZN4vllm25paged_attention_v2_kernelI14__hip_bfloat16hLi120ELi16ELi128ELNS_18Fp8KVCacheDataTypeE1ELb0ELi512EEEvPfS3_PT_PKS4_PKT0_SA_ifPKiSC_iPKfiiiSE_SE_iiiii.numbered_sgpr, 62
	.set _ZN4vllm25paged_attention_v2_kernelI14__hip_bfloat16hLi120ELi16ELi128ELNS_18Fp8KVCacheDataTypeE1ELb0ELi512EEEvPfS3_PT_PKS4_PKT0_SA_ifPKiSC_iPKfiiiSE_SE_iiiii.num_named_barrier, 0
	.set _ZN4vllm25paged_attention_v2_kernelI14__hip_bfloat16hLi120ELi16ELi128ELNS_18Fp8KVCacheDataTypeE1ELb0ELi512EEEvPfS3_PT_PKS4_PKT0_SA_ifPKiSC_iPKfiiiSE_SE_iiiii.private_seg_size, 0
	.set _ZN4vllm25paged_attention_v2_kernelI14__hip_bfloat16hLi120ELi16ELi128ELNS_18Fp8KVCacheDataTypeE1ELb0ELi512EEEvPfS3_PT_PKS4_PKT0_SA_ifPKiSC_iPKfiiiSE_SE_iiiii.uses_vcc, 1
	.set _ZN4vllm25paged_attention_v2_kernelI14__hip_bfloat16hLi120ELi16ELi128ELNS_18Fp8KVCacheDataTypeE1ELb0ELi512EEEvPfS3_PT_PKS4_PKT0_SA_ifPKiSC_iPKfiiiSE_SE_iiiii.uses_flat_scratch, 0
	.set _ZN4vllm25paged_attention_v2_kernelI14__hip_bfloat16hLi120ELi16ELi128ELNS_18Fp8KVCacheDataTypeE1ELb0ELi512EEEvPfS3_PT_PKS4_PKT0_SA_ifPKiSC_iPKfiiiSE_SE_iiiii.has_dyn_sized_stack, 0
	.set _ZN4vllm25paged_attention_v2_kernelI14__hip_bfloat16hLi120ELi16ELi128ELNS_18Fp8KVCacheDataTypeE1ELb0ELi512EEEvPfS3_PT_PKS4_PKT0_SA_ifPKiSC_iPKfiiiSE_SE_iiiii.has_recursion, 0
	.set _ZN4vllm25paged_attention_v2_kernelI14__hip_bfloat16hLi120ELi16ELi128ELNS_18Fp8KVCacheDataTypeE1ELb0ELi512EEEvPfS3_PT_PKS4_PKT0_SA_ifPKiSC_iPKfiiiSE_SE_iiiii.has_indirect_call, 0
	.section	.AMDGPU.csdata,"",@progbits
; Kernel info:
; codeLenInByte = 21908
; TotalNumSgprs: 64
; NumVgprs: 156
; ScratchSize: 0
; MemoryBound: 0
; FloatMode: 240
; IeeeMode: 1
; LDSByteSize: 272 bytes/workgroup (compile time only)
; SGPRBlocks: 0
; VGPRBlocks: 19
; NumSGPRsForWavesPerEU: 64
; NumVGPRsForWavesPerEU: 156
; Occupancy: 9
; WaveLimiterHint : 1
; COMPUTE_PGM_RSRC2:SCRATCH_EN: 0
; COMPUTE_PGM_RSRC2:USER_SGPR: 2
; COMPUTE_PGM_RSRC2:TRAP_HANDLER: 0
; COMPUTE_PGM_RSRC2:TGID_X_EN: 1
; COMPUTE_PGM_RSRC2:TGID_Y_EN: 1
; COMPUTE_PGM_RSRC2:TGID_Z_EN: 1
; COMPUTE_PGM_RSRC2:TIDIG_COMP_CNT: 0
	.section	.text._ZN4vllm25paged_attention_v2_kernelI14__hip_bfloat16hLi128ELi16ELi128ELNS_18Fp8KVCacheDataTypeE1ELb0ELi512EEEvPfS3_PT_PKS4_PKT0_SA_ifPKiSC_iPKfiiiSE_SE_iiiii,"axG",@progbits,_ZN4vllm25paged_attention_v2_kernelI14__hip_bfloat16hLi128ELi16ELi128ELNS_18Fp8KVCacheDataTypeE1ELb0ELi512EEEvPfS3_PT_PKS4_PKT0_SA_ifPKiSC_iPKfiiiSE_SE_iiiii,comdat
	.protected	_ZN4vllm25paged_attention_v2_kernelI14__hip_bfloat16hLi128ELi16ELi128ELNS_18Fp8KVCacheDataTypeE1ELb0ELi512EEEvPfS3_PT_PKS4_PKT0_SA_ifPKiSC_iPKfiiiSE_SE_iiiii ; -- Begin function _ZN4vllm25paged_attention_v2_kernelI14__hip_bfloat16hLi128ELi16ELi128ELNS_18Fp8KVCacheDataTypeE1ELb0ELi512EEEvPfS3_PT_PKS4_PKT0_SA_ifPKiSC_iPKfiiiSE_SE_iiiii
	.globl	_ZN4vllm25paged_attention_v2_kernelI14__hip_bfloat16hLi128ELi16ELi128ELNS_18Fp8KVCacheDataTypeE1ELb0ELi512EEEvPfS3_PT_PKS4_PKT0_SA_ifPKiSC_iPKfiiiSE_SE_iiiii
	.p2align	8
	.type	_ZN4vllm25paged_attention_v2_kernelI14__hip_bfloat16hLi128ELi16ELi128ELNS_18Fp8KVCacheDataTypeE1ELb0ELi512EEEvPfS3_PT_PKS4_PKT0_SA_ifPKiSC_iPKfiiiSE_SE_iiiii,@function
_ZN4vllm25paged_attention_v2_kernelI14__hip_bfloat16hLi128ELi16ELi128ELNS_18Fp8KVCacheDataTypeE1ELb0ELi512EEEvPfS3_PT_PKS4_PKT0_SA_ifPKiSC_iPKfiiiSE_SE_iiiii: ; @_ZN4vllm25paged_attention_v2_kernelI14__hip_bfloat16hLi128ELi16ELi128ELNS_18Fp8KVCacheDataTypeE1ELb0ELi512EEEvPfS3_PT_PKS4_PKT0_SA_ifPKiSC_iPKfiiiSE_SE_iiiii
; %bb.0:
	s_load_b64 s[2:3], s[0:1], 0x40
	s_and_b32 s69, ttmp7, 0xffff
	s_lshr_b32 s66, ttmp7, 16
	s_lshl_b32 s4, s69, 2
	s_lshl_b32 s68, s66, 9
	s_wait_kmcnt 0x0
	s_load_b32 s67, s[2:3], s4 offset:0x0
	s_wait_kmcnt 0x0
	s_cmp_ge_i32 s68, s67
	s_cbranch_scc1 .LBB346_78
; %bb.1:
	s_clause 0x1
	s_load_b32 s70, s[0:1], 0x90
	s_load_b64 s[50:51], s[0:1], 0x30
	s_wait_kmcnt 0x0
	s_abs_i32 s5, s70
	s_abs_i32 s2, s50
	s_delay_alu instid0(SALU_CYCLE_1) | instskip(SKIP_1) | instid1(SALU_CYCLE_2)
	s_cvt_f32_u32 s3, s2
	s_sub_co_i32 s4, 0, s2
	v_rcp_iflag_f32_e32 v1, s3
	s_delay_alu instid0(TRANS32_DEP_1) | instskip(SKIP_2) | instid1(SALU_CYCLE_2)
	v_readfirstlane_b32 s3, v1
	s_mul_f32 s3, s3, 0x4f7ffffe
	s_wait_alu 0xfffe
	s_cvt_u32_f32 s3, s3
	s_wait_alu 0xfffe
	s_delay_alu instid0(SALU_CYCLE_2) | instskip(NEXT) | instid1(SALU_CYCLE_1)
	s_mul_i32 s4, s4, s3
	s_mul_hi_u32 s4, s3, s4
	s_delay_alu instid0(SALU_CYCLE_1)
	s_add_co_i32 s3, s3, s4
	s_xor_b32 s4, s70, s50
	s_wait_alu 0xfffe
	s_mul_hi_u32 s3, s5, s3
	s_ashr_i32 s4, s4, 31
	s_wait_alu 0xfffe
	s_mul_i32 s6, s3, s2
	s_delay_alu instid0(SALU_CYCLE_1)
	s_sub_co_i32 s5, s5, s6
	s_add_co_i32 s6, s3, 1
	s_sub_co_i32 s7, s5, s2
	s_cmp_ge_u32 s5, s2
	s_cselect_b32 s3, s6, s3
	s_cselect_b32 s5, s7, s5
	s_wait_alu 0xfffe
	s_add_co_i32 s6, s3, 1
	s_cmp_ge_u32 s5, s2
	s_mov_b32 s5, 0
	s_cselect_b32 s2, s6, s3
	s_load_b64 s[6:7], s[0:1], 0x50
	s_xor_b32 s2, s2, s4
	s_mov_b32 s73, s5
	s_wait_alu 0xfffe
	s_sub_co_i32 s9, s2, s4
	s_abs_i32 s4, ttmp9
	s_abs_i32 s8, s9
	s_delay_alu instid0(SALU_CYCLE_1) | instskip(SKIP_2) | instid1(SALU_CYCLE_1)
	s_cvt_f32_u32 s2, s8
	s_sub_co_i32 s3, 0, s8
	s_wait_alu 0xfffe
	v_rcp_iflag_f32_e32 v1, s2
	s_delay_alu instid0(TRANS32_DEP_1) | instskip(SKIP_2) | instid1(SALU_CYCLE_2)
	v_readfirstlane_b32 s2, v1
	s_mul_f32 s2, s2, 0x4f7ffffe
	s_wait_alu 0xfffe
	s_cvt_u32_f32 s2, s2
	s_wait_alu 0xfffe
	s_delay_alu instid0(SALU_CYCLE_2)
	s_mul_i32 s3, s3, s2
	s_wait_alu 0xfffe
	s_mul_hi_u32 s3, s2, s3
	s_wait_alu 0xfffe
	s_add_co_i32 s2, s2, s3
	s_mov_b32 s3, s5
	s_wait_kmcnt 0x0
	s_cmp_eq_u64 s[6:7], 0
	s_cbranch_scc1 .LBB346_3
; %bb.2:
	s_mov_b32 s10, ttmp9
	s_ashr_i32 s11, ttmp9, 31
	s_delay_alu instid0(SALU_CYCLE_1) | instskip(NEXT) | instid1(SALU_CYCLE_1)
	s_lshl_b64 s[10:11], s[10:11], 2
	s_add_nc_u64 s[6:7], s[6:7], s[10:11]
	s_load_b32 s73, s[6:7], 0x0
.LBB346_3:
	s_load_b96 s[56:58], s[0:1], 0x58
	s_mul_u64 s[2:3], s[4:5], s[2:3]
	v_lshrrev_b32_e32 v15, 1, v0
	v_and_b32_e32 v16, 1, v0
	v_cmp_gt_u32_e64 s2, 32, v0
	v_lshlrev_b32_e32 v7, 3, v0
	s_ashr_i32 s5, ttmp9, 31
	s_ashr_i32 s6, s9, 31
	s_lshl_b32 s60, ttmp9, 7
	s_wait_alu 0xfffe
	s_and_saveexec_b32 s7, s2
	s_cbranch_execz .LBB346_5
; %bb.4:
	s_load_b64 s[10:11], s[0:1], 0x18
	s_wait_kmcnt 0x0
	s_mul_i32 s12, s56, s69
	s_ashr_i32 s61, s60, 31
	s_ashr_i32 s13, s12, 31
	v_lshlrev_b32_e32 v3, 3, v15
	s_lshl_b64 s[12:13], s[12:13], 1
	s_delay_alu instid0(VALU_DEP_1) | instskip(SKIP_2) | instid1(SALU_CYCLE_1)
	v_lshl_add_u32 v3, v16, 7, v3
	s_add_nc_u64 s[10:11], s[10:11], s[12:13]
	s_lshl_b64 s[12:13], s[60:61], 1
	s_add_nc_u64 s[10:11], s[10:11], s[12:13]
	global_load_b64 v[1:2], v7, s[10:11]
	s_wait_loadcnt 0x0
	ds_store_b64 v3, v[1:2]
.LBB346_5:
	s_or_b32 exec_lo, exec_lo, s7
	s_add_co_i32 s7, s67, 15
	s_xor_b32 s5, s5, s6
	s_ashr_i32 s9, s7, 31
	s_lshl_b32 s72, s66, 5
	s_lshr_b32 s6, s9, 28
	s_mul_i32 s9, s3, s8
	s_add_co_i32 s7, s7, s6
	s_add_co_i32 s6, s72, 32
	s_ashr_i32 s71, s7, 4
	s_load_b32 s7, s[0:1], 0x48
	s_sub_co_i32 s4, s4, s9
	s_min_i32 s61, s6, s71
	s_add_co_i32 s6, s3, 1
	s_sub_co_i32 s9, s4, s8
	s_cmp_ge_u32 s4, s8
	v_lshrrev_b32_e32 v17, 5, v0
	s_cselect_b32 s3, s6, s3
	s_cselect_b32 s4, s9, s4
	s_wait_alu 0xfffe
	s_add_co_i32 s6, s3, 1
	s_cmp_ge_u32 s4, s8
	v_or_b32_e32 v18, s72, v17
	s_cselect_b32 s3, s6, s3
	v_mbcnt_lo_u32_b32 v9, -1, 0
	s_wait_alu 0xfffe
	s_xor_b32 s3, s3, s5
	s_wait_dscnt 0x0
	s_wait_alu 0xfffe
	s_sub_co_i32 s4, s3, s5
	v_cmp_gt_i32_e64 s3, s61, v18
	s_mov_b32 s5, exec_lo
	s_barrier_signal -1
	s_wait_kmcnt 0x0
	s_mul_i32 s62, s7, s69
	s_barrier_wait -1
	s_ashr_i32 s63, s62, 31
	global_inv scope:SCOPE_SE
                                        ; implicit-def: $vgpr10
                                        ; implicit-def: $vgpr11
	v_cmpx_le_i32_e64 s61, v18
	s_xor_b32 s5, exec_lo, s5
; %bb.6:
	v_dual_mov_b32 v10, 0 :: v_dual_mov_b32 v11, 32
	v_mbcnt_lo_u32_b32 v9, -1, 0
; %bb.7:
	s_or_saveexec_b32 s74, s5
	s_clause 0x2
	s_load_b32 s56, s[0:1], 0x98
	s_load_b64 s[64:65], s[0:1], 0x38
	s_load_b128 s[52:55], s[0:1], 0x68
	v_mov_b32_e32 v68, 0xff7fffff
	v_lshlrev_b32_e32 v8, 2, v18
	s_mul_i32 s58, s4, s58
	s_xor_b32 exec_lo, exec_lo, s74
	s_cbranch_execz .LBB346_13
; %bb.8:
	v_dual_mov_b32 v10, 0 :: v_dual_lshlrev_b32 v5, 7, v16
	s_load_b64 s[4:5], s[0:1], 0x20
	v_bfe_u32 v6, v0, 1, 4
	s_ashr_i32 s59, s58, 31
	ds_load_b128 v[1:4], v5
	ds_load_b128 v[28:31], v5 offset:16
	ds_load_b128 v[36:39], v5 offset:32
	;; [unrolled: 1-line block ×4, first 2 shown]
	s_wait_kmcnt 0x0
	s_load_b32 s52, s[52:53], 0x0
	v_lshlrev_b32_e32 v11, 4, v6
	s_cmp_neq_f32 s73, 0
	s_mov_b32 s53, 0
	ds_load_b128 v[60:63], v5 offset:80
	v_mov_b32_e32 v84, v18
	s_add_nc_u64 s[4:5], s[4:5], s[58:59]
	s_mov_b32 s59, s57
	v_add_co_u32 v82, s4, s4, v11
	s_wait_dscnt 0x5
	v_dual_mov_b32 v11, 32 :: v_dual_lshlrev_b32 v12, 16, v1
	v_and_b32_e32 v13, 0xffff0000, v1
	v_lshlrev_b32_e32 v14, 16, v2
	v_and_b32_e32 v19, 0xffff0000, v2
	v_lshlrev_b32_e32 v20, 16, v3
	;; [unrolled: 2-line block ×3, first 2 shown]
	v_and_b32_e32 v23, 0xffff0000, v4
	ds_load_b128 v[1:4], v5 offset:64
	s_wait_alu 0xf1ff
	v_add_co_ci_u32_e64 v83, null, s5, 0, s4
	s_cselect_b32 s4, -1, 0
	s_lshl_b64 s[6:7], s[62:63], 2
	s_wait_dscnt 0x5
	v_lshlrev_b32_e32 v24, 16, v28
	s_add_nc_u64 s[6:7], s[64:65], s[6:7]
	v_and_b32_e32 v25, 0xffff0000, v28
	v_lshlrev_b32_e32 v26, 16, v29
	v_and_b32_e32 v27, 0xffff0000, v29
	v_lshlrev_b32_e32 v28, 16, v30
	;; [unrolled: 2-line block ×3, first 2 shown]
	v_and_b32_e32 v31, 0xffff0000, v31
	s_wait_dscnt 0x4
	v_lshlrev_b32_e32 v32, 16, v36
	v_and_b32_e32 v33, 0xffff0000, v36
	v_lshlrev_b32_e32 v34, 16, v37
	v_and_b32_e32 v35, 0xffff0000, v37
	;; [unrolled: 2-line block ×3, first 2 shown]
	s_wait_dscnt 0x0
	v_lshlrev_b32_e32 v48, 16, v1
	v_and_b32_e32 v49, 0xffff0000, v1
	v_lshlrev_b32_e32 v50, 16, v2
	v_and_b32_e32 v51, 0xffff0000, v2
	;; [unrolled: 2-line block ×4, first 2 shown]
	ds_load_b128 v[1:4], v5 offset:112
	v_xor_b32_e32 v5, 1, v9
	v_lshlrev_b32_e32 v38, 16, v39
	v_and_b32_e32 v39, 0xffff0000, v39
	v_lshlrev_b32_e32 v40, 16, v44
	v_and_b32_e32 v41, 0xffff0000, v44
	v_cmp_gt_i32_e32 vcc_lo, 32, v5
	v_lshlrev_b32_e32 v68, 2, v16
	v_lshlrev_b32_e32 v42, 16, v45
	v_and_b32_e32 v43, 0xffff0000, v45
	v_dual_cndmask_b32 v5, v9, v5 :: v_dual_lshlrev_b32 v44, 16, v46
	v_and_b32_e32 v45, 0xffff0000, v46
	v_lshlrev_b32_e32 v46, 16, v47
	v_and_b32_e32 v47, 0xffff0000, v47
	v_lshlrev_b32_e32 v56, 16, v60
	;; [unrolled: 2-line block ×4, first 2 shown]
	s_wait_dscnt 0x0
	v_lshlrev_b32_e32 v74, 16, v1
	v_and_b32_e32 v75, 0xffff0000, v1
	v_lshlrev_b32_e32 v1, 2, v6
	v_lshlrev_b32_e32 v78, 16, v3
	v_and_b32_e32 v79, 0xffff0000, v3
	v_lshlrev_b32_e32 v3, 4, v17
	v_lshlrev_b32_e32 v80, 16, v4
	v_and_b32_e32 v81, 0xffff0000, v4
	v_lshl_or_b32 v4, v17, 6, v1
	v_add_co_u32 v1, s5, v82, v68
	v_lshlrev_b32_e32 v76, 16, v2
	v_and_b32_e32 v77, 0xffff0000, v2
	s_wait_alu 0xf1ff
	v_add_co_ci_u32_e64 v2, null, 0, v83, s5
	v_add3_u32 v82, s68, v3, v6
	v_add_co_u32 v3, s5, s6, v8
	v_and_b32_e32 v61, 0xffff0000, v62
	v_lshlrev_b32_e32 v62, 16, v63
	v_and_b32_e32 v63, 0xffff0000, v63
	v_lshlrev_b32_e32 v64, 16, v70
	;; [unrolled: 2-line block ×3, first 2 shown]
	v_lshlrev_b32_e32 v67, 2, v5
	v_and_b32_e32 v69, 0xffff0000, v71
	v_lshlrev_b32_e32 v70, 16, v72
	v_and_b32_e32 v71, 0xffff0000, v72
	;; [unrolled: 2-line block ×3, first 2 shown]
	v_add_nc_u32_e32 v83, 0x120, v4
	s_wait_alu 0xf1ff
	v_add_co_ci_u32_e64 v4, null, s7, 0, s5
	v_mov_b32_e32 v68, 0xff7fffff
	s_sub_co_i32 s75, 1, s67
	v_cmp_eq_u32_e32 vcc_lo, 0, v16
	s_branch .LBB346_10
.LBB346_9:                              ;   in Loop: Header=BB346_10 Depth=1
	s_wait_alu 0xfffe
	s_or_b32 exec_lo, exec_lo, s6
	v_add_nc_u32_e32 v84, 4, v84
	v_add_co_u32 v3, s6, v3, 16
	v_add_nc_u32_e32 v82, 64, v82
	v_add_nc_u32_e32 v83, 0x100, v83
	s_delay_alu instid0(VALU_DEP_4)
	v_cmp_le_i32_e64 s5, s61, v84
	s_wait_alu 0xf1ff
	v_add_co_ci_u32_e64 v4, null, 0, v4, s6
	s_or_b32 s53, s5, s53
	s_wait_alu 0xfffe
	s_and_not1_b32 exec_lo, exec_lo, s53
	s_cbranch_execz .LBB346_12
.LBB346_10:                             ; =>This Inner Loop Header: Depth=1
	global_load_b32 v5, v[3:4], off
	s_wait_loadcnt_dscnt 0x0
	v_mad_co_i64_i32 v[5:6], null, v5, s59, v[1:2]
	s_clause 0xf
	global_load_b32 v85, v[5:6], off
	global_load_b32 v86, v[5:6], off offset:8
	global_load_b32 v90, v[5:6], off offset:256
	;; [unrolled: 1-line block ×15, first 2 shown]
	s_wait_loadcnt 0xf
	v_bfe_u32 v6, v85, 8, 8
	s_wait_loadcnt 0xe
	v_bfe_u32 v101, v86, 16, 8
	;; [unrolled: 2-line block ×3, first 2 shown]
	v_lshrrev_b32_e32 v100, 24, v85
	v_bfe_u32 v104, v90, 16, 8
	v_cvt_f32_fp8_e32 v6, v6
	s_wait_loadcnt 0xc
	v_and_b32_e32 v105, 0xff, v91
	v_cvt_f32_fp8_e32 v101, v101
	v_and_b32_e32 v102, 0xff, v90
	v_lshrrev_b32_e32 v90, 24, v90
	v_bfe_u32 v107, v91, 16, 8
	s_wait_loadcnt 0xb
	v_bfe_u32 v109, v92, 8, 8
	v_bfe_u32 v110, v92, 16, 8
	s_wait_loadcnt 0x9
	v_bfe_u32 v115, v94, 8, 8
	v_bfe_u32 v116, v94, 16, 8
	v_cvt_f32_fp8_e32 v103, v103
	v_and_b32_e32 v108, 0xff, v92
	v_lshrrev_b32_e32 v92, 24, v92
	s_wait_kmcnt 0x0
	v_mul_f32_e32 v6, s52, v6
	v_cvt_f32_fp8_e32 v105, v105
	v_and_b32_e32 v114, 0xff, v94
	v_lshrrev_b32_e32 v94, 24, v94
	v_mul_f32_e32 v101, s52, v101
	v_cvt_f32_fp8_e32 v102, v102
	v_bfe_u32 v106, v91, 8, 8
	v_lshrrev_b32_e32 v91, 24, v91
	v_bfe_u32 v112, v93, 8, 8
	v_bfe_u32 v113, v93, 16, 8
	s_wait_loadcnt 0x8
	v_dual_mul_f32 v102, s52, v102 :: v_dual_and_b32 v117, 0xff, v95
	v_bfe_u32 v118, v95, 8, 8
	v_bfe_u32 v119, v95, 16, 8
	v_lshrrev_b32_e32 v95, 24, v95
	s_wait_loadcnt 0x7
	v_bfe_u32 v121, v96, 8, 8
	v_bfe_u32 v122, v96, 16, 8
	s_wait_loadcnt 0x6
	v_bfe_u32 v124, v97, 8, 8
	v_bfe_u32 v125, v97, 16, 8
	v_cvt_f32_fp8_e32 v100, v100
	v_and_b32_e32 v111, 0xff, v93
	v_lshrrev_b32_e32 v93, 24, v93
	v_cvt_f32_fp8_e32 v104, v104
	v_and_b32_e32 v123, 0xff, v97
	v_lshrrev_b32_e32 v97, 24, v97
	v_cvt_f32_fp8_e32 v90, v90
	v_cvt_f32_fp8_e32 v107, v107
	v_and_b32_e32 v120, 0xff, v96
	v_lshrrev_b32_e32 v96, 24, v96
	v_cvt_f32_fp8_e32 v110, v110
	v_cvt_f32_fp8_e32 v92, v92
	;; [unrolled: 1-line block ×3, first 2 shown]
	s_wait_loadcnt 0x5
	v_bfe_u32 v127, v98, 8, 8
	v_bfe_u32 v128, v98, 16, 8
	s_wait_loadcnt 0x4
	v_dual_mul_f32 v90, s52, v90 :: v_dual_and_b32 v129, 0xff, v99
	v_bfe_u32 v130, v99, 8, 8
	v_cvt_f32_fp8_e32 v106, v106
	v_cvt_f32_fp8_e32 v91, v91
	v_and_b32_e32 v126, 0xff, v98
	v_lshrrev_b32_e32 v98, 24, v98
	v_cvt_f32_fp8_e32 v112, v112
	v_cvt_f32_fp8_e32 v113, v113
	;; [unrolled: 1-line block ×11, first 2 shown]
	v_mul_f32_e32 v100, s52, v100
	v_cvt_f32_fp8_e32 v111, v111
	v_mul_f32_e32 v103, s52, v103
	v_cvt_f32_fp8_e32 v108, v108
	v_dual_mul_f32 v105, s52, v105 :: v_dual_mul_f32 v110, s52, v110
	v_dual_mul_f32 v93, s52, v93 :: v_dual_mul_f32 v92, s52, v92
	;; [unrolled: 1-line block ×3, first 2 shown]
	v_mul_f32_e32 v121, s52, v121
	v_bfe_u32 v139, v102, 16, 1
	v_bfe_u32 v131, v99, 16, 8
	v_lshrrev_b32_e32 v99, 24, v99
	v_cvt_f32_fp8_e32 v109, v109
	s_wait_loadcnt 0x3
	v_and_b32_e32 v132, 0xff, v87
	v_cvt_f32_fp8_e32 v114, v114
	v_cvt_f32_fp8_e32 v117, v117
	;; [unrolled: 1-line block ×9, first 2 shown]
	v_mul_f32_e32 v104, s52, v104
	v_cvt_f32_fp8_e32 v123, v123
	v_dual_mul_f32 v106, s52, v106 :: v_dual_mul_f32 v111, s52, v111
	v_mul_f32_e32 v107, s52, v107
	v_cvt_f32_fp8_e32 v120, v120
	v_dual_mul_f32 v91, s52, v91 :: v_dual_mul_f32 v108, s52, v108
	v_dual_mul_f32 v113, s52, v113 :: v_dual_mul_f32 v112, s52, v112
	;; [unrolled: 1-line block ×6, first 2 shown]
	v_mul_f32_e32 v127, s52, v127
	v_bfe_u32 v133, v6, 16, 1
	v_bfe_u32 v137, v101, 16, 1
	v_or_b32_e32 v141, 0x400000, v102
	v_bfe_u32 v144, v90, 16, 1
	v_bfe_u32 v147, v105, 16, 1
	;; [unrolled: 1-line block ×5, first 2 shown]
	v_add3_u32 v139, v139, v102, 0x7fff
	v_cmp_u_f32_e64 s41, v102, v102
	v_cvt_f32_fp8_e32 v126, v126
	v_cvt_f32_fp8_e32 v129, v129
	;; [unrolled: 1-line block ×4, first 2 shown]
	v_mul_f32_e32 v109, s52, v109
	v_cvt_f32_fp8_e32 v132, v132
	v_dual_mul_f32 v114, s52, v114 :: v_dual_mul_f32 v119, s52, v119
	v_dual_mul_f32 v120, s52, v120 :: v_dual_mul_f32 v125, s52, v125
	;; [unrolled: 1-line block ×4, first 2 shown]
	v_mul_f32_e32 v98, s52, v98
	v_mul_f32_e32 v130, s52, v130
	v_or_b32_e32 v134, 0x400000, v6
	v_bfe_u32 v135, v100, 16, 1
	v_or_b32_e32 v138, 0x400000, v101
	v_bfe_u32 v140, v103, 16, 1
	v_bfe_u32 v143, v104, 16, 1
	v_or_b32_e32 v146, 0x400000, v90
	v_bfe_u32 v148, v106, 16, 1
	v_or_b32_e32 v149, 0x400000, v105
	;; [unrolled: 2-line block ×3, first 2 shown]
	v_or_b32_e32 v162, 0x400000, v92
	v_bfe_u32 v163, v111, 16, 1
	v_bfe_u32 v164, v112, 16, 1
	;; [unrolled: 1-line block ×5, first 2 shown]
	v_add3_u32 v133, v133, v6, 0x7fff
	v_cmp_u_f32_e64 s38, v6, v6
	v_or_b32_e32 v6, 0x400000, v94
	v_add3_u32 v137, v137, v101, 0x7fff
	v_cmp_u_f32_e64 s40, v101, v101
	v_bfe_u32 v101, v118, 16, 1
	v_add3_u32 v144, v144, v90, 0x7fff
	v_cmp_u_f32_e64 s44, v90, v90
	v_bfe_u32 v90, v95, 16, 1
	v_add3_u32 v147, v147, v105, 0x7fff
	v_cmp_u_f32_e64 s45, v105, v105
	v_add3_u32 v159, v159, v110, 0x7fff
	v_cmp_u_f32_e64 s5, v110, v110
	v_bfe_u32 v110, v122, 16, 1
	v_add3_u32 v160, v160, v92, 0x7fff
	v_cmp_u_f32_e64 s6, v92, v92
	v_bfe_u32 v92, v96, 16, 1
	;; [unrolled: 3-line block ×3, first 2 shown]
	s_wait_alu 0xf1ff
	v_cndmask_b32_e64 v139, v139, v141, s41
	v_bfe_u32 v141, v87, 16, 8
	v_dual_mul_f32 v126, s52, v126 :: v_dual_mul_f32 v131, s52, v131
	v_or_b32_e32 v136, 0x400000, v100
	v_or_b32_e32 v142, 0x400000, v103
	;; [unrolled: 1-line block ×4, first 2 shown]
	v_bfe_u32 v151, v107, 16, 1
	v_or_b32_e32 v154, 0x400000, v91
	v_bfe_u32 v156, v109, 16, 1
	v_or_b32_e32 v165, 0x400000, v111
	v_or_b32_e32 v166, 0x400000, v112
	;; [unrolled: 1-line block ×4, first 2 shown]
	v_bfe_u32 v171, v114, 16, 1
	v_bfe_u32 v172, v115, 16, 1
	v_or_b32_e32 v177, 0x400000, v116
	v_add3_u32 v135, v135, v100, 0x7fff
	v_cmp_u_f32_e64 s39, v100, v100
	v_bfe_u32 v100, v117, 16, 1
	v_add3_u32 v140, v140, v103, 0x7fff
	v_cmp_u_f32_e64 s42, v103, v103
	v_or_b32_e32 v103, 0x400000, v118
	v_add3_u32 v143, v143, v104, 0x7fff
	v_cmp_u_f32_e64 s43, v104, v104
	v_bfe_u32 v104, v119, 16, 1
	v_add3_u32 v148, v148, v106, 0x7fff
	v_cmp_u_f32_e64 s46, v106, v106
	;; [unrolled: 6-line block ×3, first 2 shown]
	v_or_b32_e32 v111, 0x400000, v122
	v_add3_u32 v164, v164, v112, 0x7fff
	v_cmp_u_f32_e64 s8, v112, v112
	v_or_b32_e32 v112, 0x400000, v96
	v_add3_u32 v167, v167, v113, 0x7fff
	v_cmp_u_f32_e64 s9, v113, v113
	v_bfe_u32 v113, v123, 16, 1
	v_add3_u32 v168, v168, v93, 0x7fff
	v_cmp_u_f32_e64 s10, v93, v93
	v_bfe_u32 v93, v124, 16, 1
	;; [unrolled: 3-line block ×3, first 2 shown]
	v_add3_u32 v101, v101, v118, 0x7fff
	v_cmp_u_f32_e64 s16, v118, v118
	v_or_b32_e32 v118, 0x400000, v97
	v_add3_u32 v90, v90, v95, 0x7fff
	v_cmp_u_f32_e64 s18, v95, v95
	v_bfe_u32 v95, v127, 16, 1
	v_add3_u32 v110, v110, v122, 0x7fff
	v_cmp_u_f32_e64 s21, v122, v122
	v_bfe_u32 v122, v128, 16, 1
	;; [unrolled: 3-line block ×3, first 2 shown]
	v_add3_u32 v94, v94, v97, 0x7fff
	v_cmp_u_f32_e64 s26, v97, v97
	v_cndmask_b32_e64 v147, v147, v149, s45
	s_wait_loadcnt 0x1
	v_and_b32_e32 v149, 0xff, v89
	v_bfe_u32 v97, v130, 16, 1
	v_cvt_f32_fp8_e32 v141, v141
	v_mul_f32_e32 v132, s52, v132
	v_or_b32_e32 v153, 0x400000, v107
	v_bfe_u32 v155, v108, 16, 1
	v_or_b32_e32 v158, 0x400000, v109
	v_or_b32_e32 v173, 0x400000, v114
	;; [unrolled: 1-line block ×5, first 2 shown]
	v_add3_u32 v151, v151, v107, 0x7fff
	v_cmp_u_f32_e64 s47, v107, v107
	v_bfe_u32 v107, v120, 16, 1
	v_add3_u32 v156, v156, v109, 0x7fff
	v_cmp_u_f32_e64 s37, v109, v109
	v_or_b32_e32 v109, 0x400000, v121
	v_add3_u32 v171, v171, v114, 0x7fff
	v_cmp_u_f32_e64 s11, v114, v114
	v_or_b32_e32 v114, 0x400000, v123
	;; [unrolled: 3-line block ×4, first 2 shown]
	v_add3_u32 v104, v104, v119, 0x7fff
	v_cmp_u_f32_e64 s17, v119, v119
	v_bfe_u32 v119, v126, 16, 1
	v_add3_u32 v91, v91, v121, 0x7fff
	v_cmp_u_f32_e64 s20, v121, v121
	v_or_b32_e32 v121, 0x400000, v127
	v_add3_u32 v113, v113, v123, 0x7fff
	v_cmp_u_f32_e64 s23, v123, v123
	v_or_b32_e32 v123, 0x400000, v128
	;; [unrolled: 3-line block ×3, first 2 shown]
	v_add3_u32 v116, v116, v125, 0x7fff
	v_cmp_u_f32_e64 s25, v125, v125
	v_bfe_u32 v125, v129, 16, 1
	v_add3_u32 v95, v95, v127, 0x7fff
	v_cmp_u_f32_e64 s28, v127, v127
	v_or_b32_e32 v127, 0x400000, v130
	v_add3_u32 v122, v122, v128, 0x7fff
	v_cmp_u_f32_e64 s30, v128, v128
	v_bfe_u32 v128, v131, 16, 1
	v_add3_u32 v96, v96, v98, 0x7fff
	v_cmp_u_f32_e64 s31, v98, v98
	v_bfe_u32 v98, v99, 16, 1
	v_add3_u32 v97, v97, v130, 0x7fff
	v_cmp_u_f32_e64 s34, v130, v130
	v_mul_f32_e32 v141, s52, v141
	v_bfe_u32 v130, v132, 16, 1
	v_or_b32_e32 v157, 0x400000, v108
	v_add3_u32 v155, v155, v108, 0x7fff
	v_cmp_u_f32_e64 s49, v108, v108
	v_or_b32_e32 v108, 0x400000, v120
	v_add3_u32 v107, v107, v120, 0x7fff
	v_cmp_u_f32_e64 s19, v120, v120
	;; [unrolled: 3-line block ×7, first 2 shown]
	v_and_b32_e32 v132, 0xff, v85
	v_bfe_u32 v85, v85, 16, 8
	s_wait_alu 0xf1ff
	v_cndmask_b32_e64 v143, v143, v145, s43
	v_bfe_u32 v145, v88, 8, 8
	v_cndmask_b32_e64 v133, v133, v134, s38
	v_cvt_f32_fp8_e32 v132, v132
	v_cvt_f32_fp8_e32 v85, v85
	;; [unrolled: 1-line block ×4, first 2 shown]
	v_cndmask_b32_e64 v151, v151, v153, s47
	s_delay_alu instid0(VALU_DEP_4) | instskip(SKIP_1) | instid1(VALU_DEP_4)
	v_dual_mul_f32 v132, s52, v132 :: v_dual_mul_f32 v85, s52, v85
	v_bfe_u32 v153, v89, 16, 8
	v_mul_f32_e32 v145, s52, v145
	v_mul_f32_e32 v149, s52, v149
	s_delay_alu instid0(VALU_DEP_4)
	v_bfe_u32 v178, v132, 16, 1
	v_or_b32_e32 v179, 0x400000, v132
	v_cmp_u_f32_e64 s50, v132, v132
	v_bfe_u32 v134, v85, 16, 1
	v_cmp_u_f32_e64 s38, v85, v85
	v_add3_u32 v178, v178, v132, 0x7fff
	v_cvt_f32_fp8_e32 v153, v153
	v_cndmask_b32_e64 v135, v135, v136, s39
	v_add3_u32 v134, v134, v85, 0x7fff
	v_cndmask_b32_e64 v148, v148, v150, s46
	s_wait_alu 0xf1ff
	v_cndmask_b32_e64 v132, v178, v179, s50
	v_or_b32_e32 v178, 0x400000, v85
	v_mul_f32_e32 v153, s52, v153
	v_bfe_u32 v150, v89, 8, 8
	v_lshrrev_b32_e32 v89, 24, v89
	v_cndmask_b32_e64 v155, v155, v157, s49
	v_cndmask_b32_e64 v85, v134, v178, s38
	v_and_b32_e32 v134, 0xff, v86
	s_wait_loadcnt 0x0
	v_bfe_u32 v157, v5, 8, 8
	v_cvt_f32_fp8_e32 v89, v89
	v_cndmask_b32_e64 v137, v137, v138, s40
	v_cndmask_b32_e64 v152, v152, v154, s48
	v_cvt_f32_fp8_e32 v134, v134
	v_cvt_f32_fp8_e32 v157, v157
	v_mul_f32_e32 v89, s52, v89
	v_and_b32_e32 v154, 0xff, v5
	v_cndmask_b32_e64 v156, v156, v158, s37
	s_delay_alu instid0(VALU_DEP_4) | instskip(SKIP_3) | instid1(VALU_DEP_4)
	v_dual_mul_f32 v134, s52, v134 :: v_dual_mul_f32 v157, s52, v157
	v_bfe_u32 v158, v5, 16, 8
	v_lshrrev_b32_e32 v5, 24, v5
	v_cndmask_b32_e64 v140, v140, v142, s42
	v_bfe_u32 v136, v134, 16, 1
	v_or_b32_e32 v178, 0x400000, v134
	v_cmp_u_f32_e64 s38, v134, v134
	v_cvt_f32_fp8_e32 v5, v5
	v_and_b32_e32 v142, 0xff, v88
	v_add3_u32 v136, v136, v134, 0x7fff
	v_cndmask_b32_e64 v159, v159, v161, s5
	v_cndmask_b32_e64 v160, v160, v162, s6
	v_mul_f32_e32 v5, s52, v5
	v_cvt_f32_fp8_e32 v142, v142
	s_wait_alu 0xf1ff
	v_cndmask_b32_e64 v134, v136, v178, s38
	v_bfe_u32 v136, v86, 8, 8
	v_lshrrev_b32_e32 v86, 24, v86
	v_cndmask_b32_e64 v163, v163, v165, s7
	v_bfe_u32 v165, v141, 16, 1
	v_cndmask_b32_e64 v144, v144, v146, s44
	v_cvt_f32_fp8_e32 v136, v136
	v_cvt_f32_fp8_e32 v86, v86
	v_bfe_u32 v146, v88, 16, 8
	v_mul_f32_e32 v142, s52, v142
	v_cndmask_b32_e64 v164, v164, v166, s8
	v_mul_f32_e32 v136, s52, v136
	v_mul_f32_e32 v86, s52, v86
	v_cndmask_b32_e64 v167, v167, v169, s9
	v_or_b32_e32 v169, 0x400000, v141
	v_add3_u32 v165, v165, v141, 0x7fff
	v_bfe_u32 v178, v136, 16, 1
	v_or_b32_e32 v179, 0x400000, v136
	v_cmp_u_f32_e64 s38, v136, v136
	v_bfe_u32 v138, v86, 16, 1
	v_cndmask_b32_e64 v99, v130, v99, s29
	v_add3_u32 v178, v178, v136, 0x7fff
	v_lshrrev_b32_e32 v88, 24, v88
	v_cvt_f32_fp8_e32 v146, v146
	v_add3_u32 v138, v138, v86, 0x7fff
	v_cndmask_b32_e64 v168, v168, v170, s10
	s_wait_alu 0xf1ff
	v_cndmask_b32_e64 v136, v178, v179, s38
	v_or_b32_e32 v178, 0x400000, v86
	v_cmp_u_f32_e64 s38, v86, v86
	v_cndmask_b32_e64 v171, v171, v173, s11
	v_bfe_u32 v173, v142, 16, 1
	v_cvt_f32_fp8_e32 v88, v88
	v_dual_mul_f32 v146, s52, v146 :: v_dual_and_b32 v85, 0xffff0000, v85
	s_wait_alu 0xf1ff
	v_cndmask_b32_e64 v86, v138, v178, s38
	v_bfe_u32 v138, v87, 8, 8
	v_lshrrev_b32_e32 v87, 24, v87
	v_cndmask_b32_e64 v172, v172, v174, s12
	v_bfe_u32 v174, v145, 16, 1
	v_cndmask_b32_e64 v175, v175, v177, s13
	v_cvt_f32_fp8_e32 v138, v138
	v_cvt_f32_fp8_e32 v87, v87
	v_or_b32_e32 v177, 0x400000, v142
	v_add3_u32 v173, v173, v142, 0x7fff
	v_mul_f32_e32 v88, s52, v88
	s_delay_alu instid0(VALU_DEP_4) | instskip(SKIP_3) | instid1(VALU_DEP_4)
	v_dual_mul_f32 v138, s52, v138 :: v_dual_mul_f32 v87, s52, v87
	v_cndmask_b32_e64 v6, v176, v6, s14
	v_or_b32_e32 v176, 0x400000, v145
	v_cndmask_b32_e64 v100, v100, v102, s15
	v_bfe_u32 v161, v138, 16, 1
	v_or_b32_e32 v162, 0x400000, v138
	v_cmp_u_f32_e64 s5, v138, v138
	v_bfe_u32 v166, v87, 16, 1
	v_or_b32_e32 v170, 0x400000, v87
	v_add3_u32 v161, v161, v138, 0x7fff
	v_bfe_u32 v102, v146, 16, 1
	v_add3_u32 v174, v174, v145, 0x7fff
	v_add3_u32 v166, v166, v87, 0x7fff
	v_cvt_f32_fp8_e32 v150, v150
	s_wait_alu 0xf1ff
	v_cndmask_b32_e64 v130, v161, v162, s5
	v_cmp_u_f32_e64 s5, v141, v141
	v_cndmask_b32_e64 v101, v101, v103, s16
	v_bfe_u32 v103, v88, 16, 1
	v_cndmask_b32_e64 v104, v104, v105, s17
	v_or_b32_e32 v105, 0x400000, v146
	s_wait_alu 0xf1ff
	v_cndmask_b32_e64 v138, v165, v169, s5
	v_cmp_u_f32_e64 s5, v87, v87
	v_add3_u32 v102, v102, v146, 0x7fff
	v_mul_f32_e32 v150, s52, v150
	v_cndmask_b32_e64 v90, v90, v106, s18
	v_or_b32_e32 v106, 0x400000, v88
	s_wait_alu 0xf1ff
	v_cndmask_b32_e64 v87, v166, v170, s5
	v_cmp_u_f32_e64 s5, v142, v142
	v_cndmask_b32_e64 v107, v107, v108, s19
	v_bfe_u32 v108, v149, 16, 1
	v_add3_u32 v103, v103, v88, 0x7fff
	v_cndmask_b32_e64 v91, v91, v109, s20
	s_wait_alu 0xf1ff
	v_cndmask_b32_e64 v141, v173, v177, s5
	v_cmp_u_f32_e64 s5, v145, v145
	v_bfe_u32 v109, v150, 16, 1
	v_cndmask_b32_e64 v110, v110, v111, s21
	v_or_b32_e32 v111, 0x400000, v149
	v_add3_u32 v108, v108, v149, 0x7fff
	s_wait_alu 0xf1ff
	v_cndmask_b32_e64 v142, v174, v176, s5
	v_cmp_u_f32_e64 s5, v146, v146
	v_cndmask_b32_e64 v92, v92, v112, s22
	v_or_b32_e32 v112, 0x400000, v150
	v_cndmask_b32_e64 v113, v113, v114, s23
	v_bfe_u32 v114, v153, 16, 1
	s_wait_alu 0xf1ff
	v_cndmask_b32_e64 v102, v102, v105, s5
	v_cmp_u_f32_e64 s5, v88, v88
	v_add3_u32 v109, v109, v150, 0x7fff
	v_cndmask_b32_e64 v93, v93, v115, s24
	v_bfe_u32 v115, v89, 16, 1
	v_cndmask_b32_e64 v116, v116, v117, s25
	s_wait_alu 0xf1ff
	v_cndmask_b32_e64 v88, v103, v106, s5
	v_cmp_u_f32_e64 s5, v149, v149
	v_or_b32_e32 v117, 0x400000, v153
	v_add3_u32 v114, v114, v153, 0x7fff
	v_cndmask_b32_e64 v94, v94, v118, s26
	v_or_b32_e32 v118, 0x400000, v89
	s_wait_alu 0xf1ff
	v_cndmask_b32_e64 v103, v108, v111, s5
	v_cmp_u_f32_e64 s5, v150, v150
	v_add3_u32 v115, v115, v89, 0x7fff
	v_cvt_f32_fp8_e32 v158, v158
	v_cndmask_b32_e64 v119, v119, v120, s27
	v_cndmask_b32_e64 v95, v95, v121, s28
	s_wait_alu 0xf1ff
	v_cndmask_b32_e64 v105, v109, v112, s5
	v_cmp_u_f32_e64 s5, v153, v153
	v_mul_f32_e32 v158, s52, v158
	v_cndmask_b32_e64 v122, v122, v123, s30
	v_bfe_u32 v123, v157, 16, 1
	v_cndmask_b32_e64 v96, v96, v124, s31
	s_wait_alu 0xf1ff
	v_cndmask_b32_e64 v106, v114, v117, s5
	v_cmp_u_f32_e64 s5, v89, v89
	v_or_b32_e32 v124, 0x400000, v157
	v_cndmask_b32_e64 v125, v125, v126, s33
	v_bfe_u32 v126, v158, 16, 1
	v_add3_u32 v123, v123, v157, 0x7fff
	s_wait_alu 0xf1ff
	v_cndmask_b32_e64 v89, v115, v118, s5
	v_and_b32_e32 v115, 0xffff0000, v136
	v_cndmask_b32_e64 v97, v97, v127, s34
	v_or_b32_e32 v127, 0x400000, v158
	v_cndmask_b32_e64 v128, v128, v129, s36
	v_bfe_u32 v129, v5, 16, 1
	v_mul_f32_e32 v115, v21, v115
	v_cvt_f32_fp8_e32 v154, v154
	v_add3_u32 v126, v126, v158, 0x7fff
	v_and_b32_e32 v117, 0xffff0000, v133
	v_cndmask_b32_e64 v98, v98, v131, s35
	v_or_b32_e32 v131, 0x400000, v5
	v_mul_f32_e32 v154, s52, v154
	v_add3_u32 v129, v129, v5, 0x7fff
	v_dual_fmac_f32 v115, v13, v117 :: v_dual_and_b32 v112, 0xffff0000, v134
	v_and_b32_e32 v93, 0xffff0000, v93
	s_delay_alu instid0(VALU_DEP_4)
	v_bfe_u32 v120, v154, 16, 1
	v_or_b32_e32 v121, 0x400000, v154
	v_cmp_u_f32_e64 s5, v154, v154
	v_and_b32_e32 v134, 0xffff0000, v156
	v_mul_f32_e32 v112, v20, v112
	v_add3_u32 v120, v120, v154, 0x7fff
	v_and_b32_e32 v104, 0xffff0000, v104
	v_and_b32_e32 v110, 0xffff0000, v110
	v_and_b32_e32 v116, 0xffff0000, v116
	v_and_b32_e32 v122, 0xffff0000, v122
	s_wait_alu 0xf1ff
	v_cndmask_b32_e64 v108, v120, v121, s5
	v_cmp_u_f32_e64 s5, v157, v157
	v_and_b32_e32 v121, 0xffff0000, v139
	v_and_b32_e32 v128, 0xffff0000, v128
	v_and_b32_e32 v90, 0xffff0000, v90
	v_and_b32_e32 v89, 0xffff0000, v89
	s_wait_alu 0xf1ff
	v_cndmask_b32_e64 v109, v123, v124, s5
	v_cmp_u_f32_e64 s5, v158, v158
	;; [unrolled: 7-line block ×3, first 2 shown]
	v_fmac_f32_e32 v115, v25, v123
	v_and_b32_e32 v127, 0xffff0000, v147
	v_dual_fmac_f32 v112, v12, v114 :: v_dual_and_b32 v145, 0xffff0000, v172
	s_wait_alu 0xf1ff
	v_cndmask_b32_e64 v5, v129, v131, s5
	v_and_b32_e32 v129, 0xffff0000, v148
	v_and_b32_e32 v86, 0xffff0000, v86
	v_dual_fmac_f32 v112, v24, v121 :: v_dual_and_b32 v131, 0xffff0000, v151
	s_delay_alu instid0(VALU_DEP_3) | instskip(SKIP_1) | instid1(VALU_DEP_4)
	v_dual_fmac_f32 v115, v29, v129 :: v_dual_and_b32 v114, 0xffff0000, v130
	v_and_b32_e32 v118, 0xffff0000, v137
	v_dual_mul_f32 v86, v23, v86 :: v_dual_and_b32 v137, 0xffff0000, v163
	s_delay_alu instid0(VALU_DEP_3) | instskip(NEXT) | instid1(VALU_DEP_3)
	v_dual_fmac_f32 v112, v28, v127 :: v_dual_fmac_f32 v115, v33, v134
	v_dual_mul_f32 v118, v22, v118 :: v_dual_and_b32 v133, 0xffff0000, v155
	v_and_b32_e32 v139, 0xffff0000, v164
	v_and_b32_e32 v119, 0xffff0000, v119
	;; [unrolled: 1-line block ×3, first 2 shown]
	s_delay_alu instid0(VALU_DEP_4)
	v_fmac_f32_e32 v112, v32, v133
	v_fmac_f32_e32 v118, v14, v85
	v_dual_fmac_f32 v115, v37, v139 :: v_dual_and_b32 v126, 0xffff0000, v144
	v_and_b32_e32 v120, 0xffff0000, v135
	v_and_b32_e32 v135, 0xffff0000, v159
	v_dual_fmac_f32 v112, v36, v137 :: v_dual_and_b32 v95, 0xffff0000, v95
	s_delay_alu instid0(VALU_DEP_4) | instskip(NEXT) | instid1(VALU_DEP_4)
	v_fmac_f32_e32 v115, v41, v145
	v_dual_fmac_f32 v86, v19, v120 :: v_dual_and_b32 v101, 0xffff0000, v101
	v_and_b32_e32 v124, 0xffff0000, v143
	v_and_b32_e32 v143, 0xffff0000, v168
	;; [unrolled: 1-line block ×3, first 2 shown]
	s_delay_alu instid0(VALU_DEP_4) | instskip(SKIP_2) | instid1(VALU_DEP_3)
	v_dual_fmac_f32 v115, v45, v101 :: v_dual_fmac_f32 v86, v27, v126
	v_and_b32_e32 v132, 0xffff0000, v152
	v_dual_fmac_f32 v118, v26, v124 :: v_dual_and_b32 v107, 0xffff0000, v107
	v_fmac_f32_e32 v115, v49, v91
	s_delay_alu instid0(VALU_DEP_3) | instskip(SKIP_1) | instid1(VALU_DEP_3)
	v_dual_fmac_f32 v86, v31, v132 :: v_dual_and_b32 v113, 0xffff0000, v113
	v_and_b32_e32 v120, 0xffff0000, v142
	v_dual_fmac_f32 v118, v30, v131 :: v_dual_fmac_f32 v115, v53, v93
	v_and_b32_e32 v136, 0xffff0000, v160
	v_and_b32_e32 v125, 0xffff0000, v125
	s_delay_alu instid0(VALU_DEP_3) | instskip(NEXT) | instid1(VALU_DEP_4)
	v_dual_fmac_f32 v118, v34, v135 :: v_dual_and_b32 v91, 0xffff0000, v106
	v_fmac_f32_e32 v115, v57, v95
	s_delay_alu instid0(VALU_DEP_4) | instskip(SKIP_2) | instid1(VALU_DEP_3)
	v_dual_fmac_f32 v86, v35, v136 :: v_dual_and_b32 v97, 0xffff0000, v97
	v_and_b32_e32 v140, 0xffff0000, v167
	v_and_b32_e32 v117, 0xffff0000, v141
	v_dual_fmac_f32 v115, v61, v97 :: v_dual_and_b32 v96, 0xffff0000, v96
	v_and_b32_e32 v144, 0xffff0000, v171
	s_delay_alu instid0(VALU_DEP_4) | instskip(NEXT) | instid1(VALU_DEP_3)
	v_dual_fmac_f32 v118, v38, v140 :: v_dual_and_b32 v99, 0xffff0000, v99
	v_dual_fmac_f32 v86, v39, v143 :: v_dual_fmac_f32 v115, v65, v114
	v_and_b32_e32 v146, 0xffff0000, v175
	s_delay_alu instid0(VALU_DEP_4) | instskip(NEXT) | instid1(VALU_DEP_3)
	v_dual_fmac_f32 v112, v40, v144 :: v_dual_and_b32 v85, 0xffff0000, v138
	v_dual_fmac_f32 v115, v71, v120 :: v_dual_and_b32 v98, 0xffff0000, v98
	s_delay_alu instid0(VALU_DEP_3) | instskip(SKIP_2) | instid1(VALU_DEP_3)
	v_dual_fmac_f32 v118, v42, v146 :: v_dual_and_b32 v87, 0xffff0000, v87
	v_and_b32_e32 v102, 0xffff0000, v102
	v_and_b32_e32 v88, 0xffff0000, v88
	v_fmac_f32_e32 v118, v46, v104
	s_delay_alu instid0(VALU_DEP_1) | instskip(NEXT) | instid1(VALU_DEP_1)
	v_fmac_f32_e32 v118, v50, v110
	v_fmac_f32_e32 v118, v54, v116
	s_delay_alu instid0(VALU_DEP_1) | instskip(NEXT) | instid1(VALU_DEP_1)
	v_fmac_f32_e32 v118, v58, v122
	v_fmac_f32_e32 v118, v62, v128
	s_delay_alu instid0(VALU_DEP_1) | instskip(SKIP_2) | instid1(VALU_DEP_3)
	v_fmac_f32_e32 v118, v66, v85
	v_and_b32_e32 v85, 0xffff0000, v109
	v_and_b32_e32 v6, 0xffff0000, v6
	v_fmac_f32_e32 v118, v72, v102
	s_delay_alu instid0(VALU_DEP_2) | instskip(SKIP_1) | instid1(VALU_DEP_3)
	v_fmac_f32_e32 v86, v43, v6
	v_and_b32_e32 v6, 0xffff0000, v103
	v_fmac_f32_e32 v118, v76, v91
	s_delay_alu instid0(VALU_DEP_3) | instskip(SKIP_2) | instid1(VALU_DEP_3)
	v_fmac_f32_e32 v86, v47, v90
	v_and_b32_e32 v90, 0xffff0000, v105
	v_and_b32_e32 v100, 0xffff0000, v100
	v_fmac_f32_e32 v86, v51, v92
	s_delay_alu instid0(VALU_DEP_2) | instskip(SKIP_1) | instid1(VALU_DEP_3)
	v_dual_fmac_f32 v115, v75, v90 :: v_dual_fmac_f32 v112, v44, v100
	v_and_b32_e32 v92, 0xffff0000, v108
	v_fmac_f32_e32 v86, v55, v94
	s_delay_alu instid0(VALU_DEP_3) | instskip(NEXT) | instid1(VALU_DEP_2)
	v_dual_fmac_f32 v115, v79, v85 :: v_dual_fmac_f32 v112, v48, v107
	v_fmac_f32_e32 v86, v59, v96
	s_delay_alu instid0(VALU_DEP_2) | instskip(NEXT) | instid1(VALU_DEP_2)
	v_fmac_f32_e32 v112, v52, v113
	v_fmac_f32_e32 v86, v63, v98
	s_delay_alu instid0(VALU_DEP_2) | instskip(NEXT) | instid1(VALU_DEP_2)
	v_fmac_f32_e32 v112, v56, v119
	;; [unrolled: 3-line block ×5, first 2 shown]
	v_fmac_f32_e32 v86, v81, v5
	s_delay_alu instid0(VALU_DEP_2) | instskip(SKIP_1) | instid1(VALU_DEP_2)
	v_fmac_f32_e32 v112, v74, v6
	v_and_b32_e32 v6, 0xffff0000, v111
	v_fmac_f32_e32 v112, v78, v92
	s_delay_alu instid0(VALU_DEP_2) | instskip(NEXT) | instid1(VALU_DEP_2)
	v_fmac_f32_e32 v118, v80, v6
	v_add_f32_e32 v6, v112, v115
	s_delay_alu instid0(VALU_DEP_1) | instskip(NEXT) | instid1(VALU_DEP_1)
	v_add_f32_e32 v5, v6, v118
	v_add_f32_e32 v5, v86, v5
	ds_bpermute_b32 v6, v67, v5
	s_and_saveexec_b32 s6, vcc_lo
	s_cbranch_execz .LBB346_9
; %bb.11:                               ;   in Loop: Header=BB346_10 Depth=1
	s_wait_dscnt 0x0
	v_add_f32_e32 v5, v5, v6
	v_add_nc_u32_e32 v85, s75, v82
	v_cmp_gt_i32_e64 s5, s67, v82
	s_delay_alu instid0(VALU_DEP_2) | instskip(NEXT) | instid1(VALU_DEP_1)
	v_cvt_f32_i32_e32 v85, v85
	v_mul_f32_e32 v85, s73, v85
	s_wait_alu 0xfffe
	s_delay_alu instid0(VALU_DEP_1) | instskip(NEXT) | instid1(VALU_DEP_1)
	v_cndmask_b32_e64 v6, 0, v85, s4
	v_dual_max_num_f32 v85, v68, v68 :: v_dual_fmac_f32 v6, s51, v5
	s_delay_alu instid0(VALU_DEP_1) | instskip(SKIP_2) | instid1(VALU_DEP_2)
	v_max_num_f32_e32 v5, v85, v6
	s_wait_alu 0xf1ff
	v_cndmask_b32_e64 v6, 0, v6, s5
	v_cndmask_b32_e64 v68, v68, v5, s5
	ds_store_b32 v83, v6
	s_branch .LBB346_9
.LBB346_12:
	s_or_b32 exec_lo, exec_lo, s53
.LBB346_13:
	s_delay_alu instid0(SALU_CYCLE_1)
	s_or_b32 exec_lo, exec_lo, s74
	v_xor_b32_e32 v1, 16, v9
	v_xor_b32_e32 v2, 8, v9
	s_clause 0x2
	s_load_b128 s[8:11], s[0:1], 0x0
	s_load_b64 s[6:7], s[0:1], 0x10
	s_load_b64 s[12:13], s[0:1], 0x28
	v_max_num_f32_e32 v4, v68, v68
	v_and_b32_e32 v19, 31, v0
	v_cmp_lt_i32_e32 vcc_lo, v1, v11
	v_lshlrev_b32_e32 v12, 2, v17
	s_wait_alu 0xfffd
	v_cndmask_b32_e32 v1, v9, v1, vcc_lo
	v_cmp_lt_i32_e32 vcc_lo, v2, v11
	s_wait_alu 0xfffd
	s_delay_alu instid0(VALU_DEP_2) | instskip(SKIP_3) | instid1(VALU_DEP_1)
	v_dual_cndmask_b32 v2, v9, v2 :: v_dual_lshlrev_b32 v3, 2, v1
	ds_bpermute_b32 v1, v3, v68
	s_wait_dscnt 0x0
	v_max_num_f32_e32 v1, v1, v1
	v_max_num_f32_e32 v1, v4, v1
	v_xor_b32_e32 v4, 4, v9
	s_delay_alu instid0(VALU_DEP_1) | instskip(SKIP_2) | instid1(VALU_DEP_1)
	v_cmp_lt_i32_e32 vcc_lo, v4, v11
	s_wait_alu 0xfffd
	v_dual_cndmask_b32 v4, v9, v4 :: v_dual_lshlrev_b32 v5, 2, v2
	v_lshlrev_b32_e32 v6, 2, v4
	ds_bpermute_b32 v2, v5, v1
	v_xor_b32_e32 v4, 2, v9
	s_delay_alu instid0(VALU_DEP_1)
	v_cmp_lt_i32_e32 vcc_lo, v4, v11
	s_wait_alu 0xfffd
	v_cndmask_b32_e32 v4, v9, v4, vcc_lo
	v_cmp_eq_u32_e32 vcc_lo, 0, v19
	s_wait_dscnt 0x0
	v_max_num_f32_e32 v2, v2, v2
	s_delay_alu instid0(VALU_DEP_1) | instskip(SKIP_3) | instid1(VALU_DEP_1)
	v_max_num_f32_e32 v1, v1, v2
	ds_bpermute_b32 v2, v6, v1
	s_wait_dscnt 0x0
	v_max_num_f32_e32 v2, v2, v2
	v_dual_max_num_f32 v1, v1, v2 :: v_dual_lshlrev_b32 v2, 2, v4
	ds_bpermute_b32 v4, v2, v1
	s_and_saveexec_b32 s0, vcc_lo
	s_cbranch_execz .LBB346_15
; %bb.14:
	s_wait_dscnt 0x0
	v_dual_max_num_f32 v4, v4, v4 :: v_dual_max_num_f32 v1, v1, v1
	s_delay_alu instid0(VALU_DEP_1)
	v_max_num_f32_e32 v1, v1, v4
	ds_store_b32 v12, v1 offset:256
.LBB346_15:
	s_or_b32 exec_lo, exec_lo, s0
	v_cmp_gt_u32_e64 s0, 4, v19
	v_mov_b32_e32 v1, 0xff7fffff
	v_lshlrev_b32_e32 v13, 2, v19
	s_wait_loadcnt_dscnt 0x0
	s_barrier_signal -1
	s_barrier_wait -1
	global_inv scope:SCOPE_SE
	s_and_saveexec_b32 s1, s0
; %bb.16:
	ds_load_b32 v1, v13 offset:256
; %bb.17:
	s_or_b32 exec_lo, exec_lo, s1
	s_wait_dscnt 0x0
	ds_bpermute_b32 v4, v2, v1
	v_xor_b32_e32 v14, 1, v9
	v_max_num_f32_e32 v1, v1, v1
	s_delay_alu instid0(VALU_DEP_2) | instskip(NEXT) | instid1(VALU_DEP_1)
	v_cmp_lt_i32_e64 s1, v14, v11
	v_cndmask_b32_e64 v11, v9, v14, s1
	s_sub_co_i32 s1, s61, s72
	s_wait_alu 0xfffe
	s_lshl_b32 s1, s1, 4
	s_wait_alu 0xfffe
	s_add_co_i32 s1, s1, s68
	s_wait_alu 0xfffe
	s_min_i32 s1, s1, s67
	s_wait_alu 0xfffe
	s_sub_co_i32 s5, s1, s68
	s_wait_dscnt 0x0
	v_max_num_f32_e32 v4, v4, v4
	v_lshlrev_b32_e32 v20, 2, v11
	s_wait_alu 0xfffe
	v_cmp_gt_i32_e64 s1, s5, v0
	s_delay_alu instid0(VALU_DEP_3) | instskip(SKIP_3) | instid1(VALU_DEP_1)
	v_max_num_f32_e32 v1, v1, v4
	ds_bpermute_b32 v4, v20, v1
	s_wait_dscnt 0x0
	v_max_num_f32_e32 v4, v4, v4
	v_dual_max_num_f32 v1, v1, v4 :: v_dual_lshlrev_b32 v4, 2, v10
	v_mov_b32_e32 v10, 0
	ds_bpermute_b32 v1, v4, v1
	v_lshl_add_u32 v4, v0, 2, 0x120
	s_and_saveexec_b32 s14, s1
	s_cbranch_execz .LBB346_21
; %bb.18:
	v_lshl_add_u32 v11, v0, 2, 0x120
	v_mov_b32_e32 v10, 0
	v_mov_b32_e32 v14, v0
	s_mov_b32 s15, 0
.LBB346_19:                             ; =>This Inner Loop Header: Depth=1
	ds_load_b32 v21, v11
	v_add_nc_u32_e32 v14, 0x80, v14
	s_delay_alu instid0(VALU_DEP_1) | instskip(SKIP_4) | instid1(VALU_DEP_1)
	v_cmp_le_i32_e64 s4, s5, v14
	s_wait_alu 0xfffe
	s_or_b32 s15, s4, s15
	s_wait_dscnt 0x0
	v_sub_f32_e32 v21, v21, v1
	v_mul_f32_e32 v21, 0x3fb8aa3b, v21
	s_delay_alu instid0(VALU_DEP_1)
	v_exp_f32_e32 v21, v21
	ds_store_b32 v11, v21
	v_dual_add_f32 v10, v10, v21 :: v_dual_add_nc_u32 v11, 0x200, v11
	s_wait_alu 0xfffe
	s_and_not1_b32 exec_lo, exec_lo, s15
	s_cbranch_execnz .LBB346_19
; %bb.20:
	s_or_b32 exec_lo, exec_lo, s15
.LBB346_21:
	s_wait_alu 0xfffe
	s_or_b32 exec_lo, exec_lo, s14
	ds_bpermute_b32 v3, v3, v10
	s_wait_dscnt 0x0
	v_add_f32_e32 v3, v10, v3
	ds_bpermute_b32 v5, v5, v3
	s_wait_dscnt 0x0
	v_add_f32_e32 v3, v3, v5
	;; [unrolled: 3-line block ×5, first 2 shown]
	s_and_saveexec_b32 s4, vcc_lo
; %bb.22:
	ds_store_b32 v12, v3 offset:272
; %bb.23:
	s_wait_alu 0xfffe
	s_or_b32 exec_lo, exec_lo, s4
	s_wait_loadcnt_dscnt 0x0
	s_barrier_signal -1
	s_barrier_wait -1
	global_inv scope:SCOPE_SE
	s_and_saveexec_b32 s4, s0
; %bb.24:
	ds_load_b32 v3, v13 offset:272
; %bb.25:
	s_wait_alu 0xfffe
	s_or_b32 exec_lo, exec_lo, s4
	s_wait_dscnt 0x0
	ds_bpermute_b32 v2, v2, v3
	s_wait_dscnt 0x0
	v_dual_add_f32 v2, v3, v2 :: v_dual_lshlrev_b32 v5, 2, v9
	ds_bpermute_b32 v3, v20, v2
	s_wait_dscnt 0x0
	v_dual_add_f32 v2, v2, v3 :: v_dual_and_b32 v3, 0xffffff80, v5
	ds_bpermute_b32 v2, v3, v2
	s_and_saveexec_b32 s0, s1
	s_cbranch_execz .LBB346_28
; %bb.26:
	s_wait_dscnt 0x0
	v_add_f32_e32 v3, 0x358637bd, v2
	s_mov_b32 s1, 0
	s_delay_alu instid0(VALU_DEP_1) | instskip(SKIP_1) | instid1(VALU_DEP_2)
	v_div_scale_f32 v5, null, v3, v3, 1.0
	v_div_scale_f32 v10, vcc_lo, 1.0, v3, 1.0
	v_rcp_f32_e32 v6, v5
	s_delay_alu instid0(TRANS32_DEP_1) | instskip(NEXT) | instid1(VALU_DEP_1)
	v_fma_f32 v9, -v5, v6, 1.0
	v_fmac_f32_e32 v6, v9, v6
	s_delay_alu instid0(VALU_DEP_1) | instskip(NEXT) | instid1(VALU_DEP_1)
	v_mul_f32_e32 v9, v10, v6
	v_fma_f32 v11, -v5, v9, v10
	s_delay_alu instid0(VALU_DEP_1) | instskip(NEXT) | instid1(VALU_DEP_1)
	v_fmac_f32_e32 v9, v11, v6
	v_fma_f32 v5, -v5, v9, v10
	s_wait_alu 0xfffd
	s_delay_alu instid0(VALU_DEP_1) | instskip(NEXT) | instid1(VALU_DEP_1)
	v_div_fmas_f32 v5, v5, v6, v9
	v_div_fixup_f32 v3, v5, v3, 1.0
	v_mov_b32_e32 v5, v0
.LBB346_27:                             ; =>This Inner Loop Header: Depth=1
	ds_load_b32 v6, v4
	s_wait_dscnt 0x0
	v_dual_mul_f32 v6, v3, v6 :: v_dual_add_nc_u32 v5, 0x80, v5
	s_delay_alu instid0(VALU_DEP_1)
	v_cmp_le_i32_e32 vcc_lo, s5, v5
	ds_store_b32 v4, v6
	v_add_nc_u32_e32 v4, 0x200, v4
	s_wait_alu 0xfffe
	s_or_b32 s1, vcc_lo, s1
	s_wait_alu 0xfffe
	s_and_not1_b32 exec_lo, exec_lo, s1
	s_cbranch_execnz .LBB346_27
.LBB346_28:
	s_wait_alu 0xfffe
	s_or_b32 exec_lo, exec_lo, s0
	s_wait_kmcnt 0x0
	s_mul_i32 s0, s56, s69
	s_wait_loadcnt_dscnt 0x0
	s_wait_alu 0xfffe
	s_mul_i32 s4, s0, s70
	s_mov_b32 s0, exec_lo
	s_barrier_signal -1
	s_barrier_wait -1
	global_inv scope:SCOPE_SE
	v_cmpx_eq_u32_e32 0, v0
	s_cbranch_execz .LBB346_30
; %bb.29:
	s_wait_alu 0xfffe
	s_ashr_i32 s5, s4, 31
	s_mul_i32 s14, s56, ttmp9
	s_lshl_b32 s1, s66, 2
	s_wait_alu 0xfffe
	s_lshl_b64 s[16:17], s[4:5], 2
	s_ashr_i32 s15, s14, 31
	v_mov_b32_e32 v3, s1
	s_wait_alu 0xfffe
	s_add_nc_u64 s[10:11], s[10:11], s[16:17]
	s_lshl_b64 s[14:15], s[14:15], 2
	s_add_nc_u64 s[8:9], s[8:9], s[16:17]
	s_wait_alu 0xfffe
	s_add_nc_u64 s[10:11], s[10:11], s[14:15]
	s_add_nc_u64 s[8:9], s[8:9], s[14:15]
	s_clause 0x1
	global_store_b32 v3, v1, s[10:11]
	global_store_b32 v3, v2, s[8:9]
.LBB346_30:
	s_wait_alu 0xfffe
	s_or_b32 exec_lo, exec_lo, s0
	v_dual_mov_b32 v27, 0 :: v_dual_mov_b32 v28, 0
	v_dual_mov_b32 v26, 0 :: v_dual_mov_b32 v25, 0
	;; [unrolled: 1-line block ×4, first 2 shown]
	s_and_saveexec_b32 s1, s3
	s_cbranch_execz .LBB346_50
; %bb.31:
	s_load_b32 s3, s[54:55], 0x0
	v_dual_mov_b32 v24, 0 :: v_dual_and_b32 v3, 0xf8, v7
	s_ashr_i32 s59, s58, 31
	v_dual_mov_b32 v21, 0 :: v_dual_lshlrev_b32 v2, 5, v16
	s_wait_alu 0xfffe
	s_add_nc_u64 s[8:9], s[12:13], s[58:59]
	v_dual_mov_b32 v22, 0 :: v_dual_and_b32 v1, 8, v7
	s_wait_alu 0xfffe
	v_add_co_u32 v9, s0, s8, v3
	s_wait_alu 0xf1ff
	v_add_co_ci_u32_e64 v10, null, s9, 0, s0
	s_lshl_b64 s[8:9], s[62:63], 2
	v_lshl_add_u32 v4, v17, 4, s68
	v_lshl_or_b32 v2, v17, 6, v2
	s_wait_alu 0xfffe
	s_add_nc_u64 s[8:9], s[64:65], s[8:9]
	v_mov_b32_e32 v23, 0
	s_wait_alu 0xfffe
	v_add_co_u32 v11, s0, s8, v8
	v_add3_u32 v29, v4, v1, 7
	v_add_nc_u32_e32 v30, 0x120, v2
	s_wait_alu 0xf1ff
	v_add_co_ci_u32_e64 v12, null, s9, 0, s0
	v_dual_mov_b32 v25, 0 :: v_dual_mov_b32 v26, 0
	v_dual_mov_b32 v28, 0 :: v_dual_mov_b32 v27, 0
	s_mov_b32 s5, s57
	s_add_co_i32 s71, s71, -1
	s_mov_b32 s8, 0
	s_branch .LBB346_33
.LBB346_32:                             ;   in Loop: Header=BB346_33 Depth=1
	s_wait_alu 0xfffe
	s_or_b32 exec_lo, exec_lo, s0
	s_wait_dscnt 0x1
	v_bfe_u32 v55, v5, 16, 1
	v_bfe_u32 v56, v6, 16, 1
	v_or_b32_e32 v57, 0x400000, v5
	v_cmp_u_f32_e32 vcc_lo, v5, v5
	v_or_b32_e32 v58, 0x400000, v6
	v_add3_u32 v55, v55, v5, 0x7fff
	v_bfe_u32 v59, v7, 16, 1
	v_add3_u32 v56, v56, v6, 0x7fff
	v_bfe_u32 v60, v8, 16, 1
	v_lshlrev_b32_e32 v93, 16, v93
	s_wait_alu 0xfffd
	v_cndmask_b32_e32 v5, v55, v57, vcc_lo
	v_cmp_u_f32_e32 vcc_lo, v6, v6
	v_add3_u32 v55, v59, v7, 0x7fff
	s_wait_dscnt 0x0
	v_bfe_u32 v57, v1, 16, 1
	v_or_b32_e32 v59, 0x400000, v8
	v_lshlrev_b32_e32 v88, 16, v88
	s_wait_alu 0xfffd
	v_cndmask_b32_e32 v6, v56, v58, vcc_lo
	v_or_b32_e32 v56, 0x400000, v7
	v_cmp_u_f32_e32 vcc_lo, v7, v7
	v_add3_u32 v58, v60, v8, 0x7fff
	v_lshlrev_b32_e32 v54, 16, v54
	v_lshlrev_b32_e32 v35, 16, v35
	v_lshlrev_b32_e32 v13, 16, v13
	s_wait_alu 0xfffd
	v_cndmask_b32_e32 v7, v55, v56, vcc_lo
	v_cmp_u_f32_e32 vcc_lo, v8, v8
	v_add3_u32 v55, v57, v1, 0x7fff
	v_or_b32_e32 v56, 0x400000, v1
	v_bfe_u32 v57, v2, 16, 1
	v_add_co_u32 v11, s0, v11, 16
	s_wait_alu 0xfffd
	v_cndmask_b32_e32 v8, v58, v59, vcc_lo
	v_cmp_u_f32_e32 vcc_lo, v1, v1
	v_add3_u32 v57, v57, v2, 0x7fff
	v_or_b32_e32 v58, 0x400000, v2
	v_or_b32_e32 v59, 0x400000, v3
	v_add_nc_u32_e32 v29, 64, v29
	s_wait_alu 0xfffd
	v_cndmask_b32_e32 v55, v55, v56, vcc_lo
	v_bfe_u32 v56, v3, 16, 1
	v_cmp_u_f32_e32 vcc_lo, v2, v2
	s_wait_alu 0xf1ff
	v_add_co_ci_u32_e64 v12, null, 0, v12, s0
	v_and_b32_e32 v5, 0xffff0000, v5
	v_add3_u32 v56, v56, v3, 0x7fff
	s_wait_alu 0xfffd
	v_cndmask_b32_e32 v2, v57, v58, vcc_lo
	v_cmp_u_f32_e32 vcc_lo, v3, v3
	v_and_b32_e32 v1, 0xffff0000, v6
	v_lshlrev_b32_e32 v6, 16, v99
	v_bfe_u32 v57, v4, 16, 1
	v_lshlrev_b32_e32 v83, 16, v83
	s_wait_alu 0xfffd
	v_cndmask_b32_e32 v56, v56, v59, vcc_lo
	v_or_b32_e32 v59, 0x400000, v4
	v_mul_f32_e32 v6, v1, v6
	v_add3_u32 v57, v57, v4, 0x7fff
	v_cmp_u_f32_e32 vcc_lo, v4, v4
	v_lshlrev_b32_e32 v84, 16, v84
	v_lshlrev_b32_e32 v80, 16, v80
	v_bfe_u32 v3, v6, 16, 1
	v_or_b32_e32 v61, 0x400000, v6
	s_wait_alu 0xfffd
	v_cndmask_b32_e32 v4, v57, v59, vcc_lo
	v_cmp_u_f32_e32 vcc_lo, v6, v6
	v_lshlrev_b32_e32 v76, 16, v76
	v_add3_u32 v60, v3, v6, 0x7fff
	v_lshlrev_b32_e32 v58, 16, v98
	v_and_b32_e32 v3, 0xffff0000, v8
	v_and_b32_e32 v6, 0xffff0000, v7
	v_lshlrev_b32_e32 v7, 16, v96
	v_lshlrev_b32_e32 v8, 16, v97
	s_wait_alu 0xfffd
	v_dual_cndmask_b32 v57, v60, v61 :: v_dual_mul_f32 v58, v5, v58
	s_delay_alu instid0(VALU_DEP_3) | instskip(NEXT) | instid1(VALU_DEP_3)
	v_dual_mul_f32 v7, v6, v7 :: v_dual_and_b32 v2, 0xffff0000, v2
	v_mul_f32_e32 v60, v3, v8
	v_lshlrev_b32_e32 v8, 16, v95
	s_delay_alu instid0(VALU_DEP_4)
	v_bfe_u32 v59, v58, 16, 1
	v_and_b32_e32 v57, 0xffff0000, v57
	v_or_b32_e32 v61, 0x400000, v58
	v_cmp_u_f32_e32 vcc_lo, v58, v58
	v_mul_f32_e32 v96, v2, v8
	v_and_b32_e32 v8, 0xffff0000, v55
	v_lshlrev_b32_e32 v55, 16, v94
	v_add3_u32 v59, v59, v58, 0x7fff
	v_and_b32_e32 v4, 0xffff0000, v4
	v_bfe_u32 v97, v96, 16, 1
	s_delay_alu instid0(VALU_DEP_4) | instskip(SKIP_2) | instid1(VALU_DEP_4)
	v_dual_mul_f32 v55, v8, v55 :: v_dual_lshlrev_b32 v74, 16, v74
	v_bfe_u32 v95, v60, 16, 1
	v_lshlrev_b32_e32 v66, 16, v66
	v_add3_u32 v94, v97, v96, 0x7fff
	s_wait_alu 0xfffd
	v_cndmask_b32_e32 v58, v59, v61, vcc_lo
	v_or_b32_e32 v61, 0x400000, v60
	v_add3_u32 v59, v95, v60, 0x7fff
	v_bfe_u32 v95, v7, 16, 1
	v_cmp_u_f32_e32 vcc_lo, v60, v60
	v_bfe_u32 v97, v55, 16, 1
	v_dual_mul_f32 v54, v1, v54 :: v_dual_lshlrev_b32 v63, 16, v63
	s_delay_alu instid0(VALU_DEP_4)
	v_add3_u32 v60, v95, v7, 0x7fff
	s_wait_alu 0xfffd
	v_cndmask_b32_e32 v59, v59, v61, vcc_lo
	v_or_b32_e32 v61, 0x400000, v7
	v_cmp_u_f32_e32 vcc_lo, v7, v7
	v_and_b32_e32 v7, 0xffff0000, v56
	v_lshlrev_b32_e32 v56, 16, v92
	v_or_b32_e32 v95, 0x400000, v96
	v_mul_f32_e32 v88, v6, v88
	s_wait_alu 0xfffd
	v_cndmask_b32_e32 v60, v60, v61, vcc_lo
	v_cmp_u_f32_e32 vcc_lo, v96, v96
	v_dual_mul_f32 v56, v7, v56 :: v_dual_mul_f32 v61, v4, v93
	v_dual_mul_f32 v84, v7, v84 :: v_dual_lshlrev_b32 v85, 16, v85
	s_wait_alu 0xfffd
	v_cndmask_b32_e32 v93, v94, v95, vcc_lo
	v_add3_u32 v94, v97, v55, 0x7fff
	v_or_b32_e32 v95, 0x400000, v55
	v_bfe_u32 v96, v61, 16, 1
	v_cmp_u_f32_e32 vcc_lo, v55, v55
	v_and_b32_e32 v60, 0xffff0000, v60
	v_lshlrev_b32_e32 v64, 16, v64
	v_lshlrev_b32_e32 v33, 16, v33
	v_add3_u32 v92, v96, v61, 0x7fff
	s_wait_alu 0xfffd
	v_cndmask_b32_e32 v55, v94, v95, vcc_lo
	v_or_b32_e32 v94, 0x400000, v61
	v_cmp_u_f32_e32 vcc_lo, v61, v61
	v_mul_f32_e32 v63, v4, v63
	v_lshlrev_b32_e32 v53, 16, v53
	v_and_b32_e32 v55, 0xffff0000, v55
	v_and_b32_e32 v58, 0xffff0000, v58
	s_wait_alu 0xfffd
	v_cndmask_b32_e32 v61, v92, v94, vcc_lo
	v_cmp_u_f32_e32 vcc_lo, v56, v56
	v_and_b32_e32 v59, 0xffff0000, v59
	v_bfe_u32 v92, v56, 16, 1
	v_dual_add_f32 v57, v58, v57 :: v_dual_mul_f32 v64, v8, v64
	s_delay_alu instid0(VALU_DEP_3) | instskip(SKIP_1) | instid1(VALU_DEP_4)
	v_dual_mul_f32 v53, v5, v53 :: v_dual_add_f32 v58, v60, v59
	v_lshlrev_b32_e32 v59, 16, v91
	v_add3_u32 v91, v92, v56, 0x7fff
	v_or_b32_e32 v92, 0x400000, v56
	v_lshlrev_b32_e32 v51, 16, v51
	s_delay_alu instid0(VALU_DEP_4)
	v_dual_add_f32 v57, v58, v57 :: v_dual_mul_f32 v58, v1, v59
	v_lshlrev_b32_e32 v59, 16, v90
	v_and_b32_e32 v60, 0xffff0000, v93
	s_wait_alu 0xfffd
	v_cndmask_b32_e32 v56, v91, v92, vcc_lo
	v_bfe_u32 v93, v84, 16, 1
	v_lshlrev_b32_e32 v49, 16, v49
	v_mul_f32_e32 v51, v6, v51
	v_add_f32_e32 v55, v55, v60
	v_lshlrev_b32_e32 v47, 16, v47
	s_delay_alu instid0(VALU_DEP_4) | instskip(NEXT) | instid1(VALU_DEP_3)
	v_dual_mul_f32 v49, v8, v49 :: v_dual_lshlrev_b32 v50, 16, v50
	v_dual_add_f32 v55, v55, v57 :: v_dual_lshlrev_b32 v42, 16, v42
	v_mul_f32_e32 v57, v5, v59
	v_lshlrev_b32_e32 v59, 16, v89
	v_bfe_u32 v60, v58, 16, 1
	v_and_b32_e32 v56, 0xffff0000, v56
	v_or_b32_e32 v89, 0x400000, v58
	v_bfe_u32 v90, v57, 16, 1
	v_mul_f32_e32 v59, v3, v59
	v_add3_u32 v60, v60, v58, 0x7fff
	v_cmp_u_f32_e32 vcc_lo, v58, v58
	v_mul_f32_e32 v47, v7, v47
	v_dual_mul_f32 v42, v2, v42 :: v_dual_lshlrev_b32 v43, 16, v43
	v_lshlrev_b32_e32 v40, 16, v40
	s_wait_alu 0xfffd
	v_cndmask_b32_e32 v58, v60, v89, vcc_lo
	v_add3_u32 v60, v90, v57, 0x7fff
	v_or_b32_e32 v89, 0x400000, v57
	v_bfe_u32 v90, v59, 16, 1
	v_cmp_u_f32_e32 vcc_lo, v57, v57
	v_dual_mul_f32 v85, v4, v85 :: v_dual_and_b32 v58, 0xffff0000, v58
	v_dual_mul_f32 v43, v6, v43 :: v_dual_mul_f32 v40, v4, v40
	s_wait_alu 0xfffd
	v_cndmask_b32_e32 v57, v60, v89, vcc_lo
	v_add3_u32 v60, v90, v59, 0x7fff
	v_or_b32_e32 v89, 0x400000, v59
	v_cmp_u_f32_e32 vcc_lo, v59, v59
	v_lshlrev_b32_e32 v86, 16, v86
	v_bfe_u32 v90, v88, 16, 1
	v_bfe_u32 v92, v85, 16, 1
	v_and_b32_e32 v57, 0xffff0000, v57
	s_wait_alu 0xfffd
	v_cndmask_b32_e32 v59, v60, v89, vcc_lo
	v_dual_mul_f32 v86, v8, v86 :: v_dual_lshlrev_b32 v87, 16, v87
	v_add3_u32 v60, v90, v88, 0x7fff
	v_or_b32_e32 v89, 0x400000, v88
	v_cmp_u_f32_e32 vcc_lo, v88, v88
	s_delay_alu instid0(VALU_DEP_4)
	v_mul_f32_e32 v87, v2, v87
	v_bfe_u32 v88, v86, 16, 1
	v_or_b32_e32 v91, 0x400000, v86
	s_wait_alu 0xfffd
	v_dual_add_f32 v57, v57, v58 :: v_dual_cndmask_b32 v60, v60, v89
	v_bfe_u32 v90, v87, 16, 1
	v_cmp_u_f32_e32 vcc_lo, v87, v87
	v_add3_u32 v88, v88, v86, 0x7fff
	v_lshlrev_b32_e32 v38, 16, v38
	v_lshlrev_b32_e32 v36, 16, v36
	v_add3_u32 v89, v90, v87, 0x7fff
	v_or_b32_e32 v90, 0x400000, v87
	v_lshlrev_b32_e32 v34, 16, v34
	v_mul_f32_e32 v38, v1, v38
	v_dual_mul_f32 v36, v3, v36 :: v_dual_lshlrev_b32 v37, 16, v37
	s_wait_alu 0xfffd
	v_cndmask_b32_e32 v87, v89, v90, vcc_lo
	v_cmp_u_f32_e32 vcc_lo, v86, v86
	v_add3_u32 v89, v93, v84, 0x7fff
	v_or_b32_e32 v90, 0x400000, v84
	v_and_b32_e32 v60, 0xffff0000, v60
	v_mul_f32_e32 v34, v2, v34
	s_wait_alu 0xfffd
	v_cndmask_b32_e32 v86, v88, v91, vcc_lo
	v_cmp_u_f32_e32 vcc_lo, v84, v84
	v_add3_u32 v88, v92, v85, 0x7fff
	v_and_b32_e32 v59, 0xffff0000, v59
	v_or_b32_e32 v91, 0x400000, v85
	v_lshlrev_b32_e32 v32, 16, v32
	s_wait_alu 0xfffd
	v_cndmask_b32_e32 v84, v89, v90, vcc_lo
	v_cmp_u_f32_e32 vcc_lo, v85, v85
	v_dual_add_f32 v58, v60, v59 :: v_dual_and_b32 v59, 0xffff0000, v86
	v_and_b32_e32 v60, 0xffff0000, v87
	v_mul_f32_e32 v32, v4, v32
	s_wait_alu 0xfffd
	v_cndmask_b32_e32 v85, v88, v91, vcc_lo
	v_dual_add_f32 v57, v58, v57 :: v_dual_lshlrev_b32 v14, 16, v14
	v_add_f32_e32 v58, v59, v60
	v_and_b32_e32 v59, 0xffff0000, v84
	s_delay_alu instid0(VALU_DEP_4) | instskip(SKIP_1) | instid1(VALU_DEP_4)
	v_and_b32_e32 v60, 0xffff0000, v85
	v_and_b32_e32 v61, 0xffff0000, v61
	v_dual_add_f32 v57, v58, v57 :: v_dual_add_nc_u32 v30, 0x100, v30
	v_add_nc_u32_e32 v18, 4, v18
	s_delay_alu instid0(VALU_DEP_4) | instskip(NEXT) | instid1(VALU_DEP_4)
	v_add_f32_e32 v58, v59, v60
	v_add_f32_e32 v56, v56, v61
	s_delay_alu instid0(VALU_DEP_1) | instskip(NEXT) | instid1(VALU_DEP_1)
	v_dual_add_f32 v55, v56, v55 :: v_dual_lshlrev_b32 v60, 16, v81
	v_dual_mul_f32 v60, v3, v60 :: v_dual_lshlrev_b32 v61, 16, v82
	s_delay_alu instid0(VALU_DEP_4) | instskip(NEXT) | instid1(VALU_DEP_3)
	v_add_f32_e32 v57, v58, v57
	v_add_f32_e32 v22, v22, v55
	s_delay_alu instid0(VALU_DEP_3) | instskip(SKIP_1) | instid1(VALU_DEP_4)
	v_mul_f32_e32 v56, v5, v61
	v_mul_f32_e32 v59, v1, v83
	v_add_f32_e32 v23, v23, v57
	s_delay_alu instid0(VALU_DEP_3) | instskip(NEXT) | instid1(VALU_DEP_3)
	v_bfe_u32 v55, v56, 16, 1
	v_bfe_u32 v58, v59, 16, 1
	v_cmp_u_f32_e32 vcc_lo, v59, v59
	v_or_b32_e32 v61, 0x400000, v56
	s_delay_alu instid0(VALU_DEP_4) | instskip(NEXT) | instid1(VALU_DEP_4)
	v_add3_u32 v55, v55, v56, 0x7fff
	v_add3_u32 v57, v58, v59, 0x7fff
	v_or_b32_e32 v58, 0x400000, v59
	s_wait_alu 0xfffd
	s_delay_alu instid0(VALU_DEP_1) | instskip(SKIP_2) | instid1(VALU_DEP_3)
	v_cndmask_b32_e32 v57, v57, v58, vcc_lo
	v_bfe_u32 v58, v60, 16, 1
	v_cmp_u_f32_e32 vcc_lo, v56, v56
	v_dual_mul_f32 v56, v6, v80 :: v_dual_and_b32 v57, 0xffff0000, v57
	s_delay_alu instid0(VALU_DEP_3)
	v_add3_u32 v58, v58, v60, 0x7fff
	s_wait_alu 0xfffd
	v_cndmask_b32_e32 v55, v55, v61, vcc_lo
	v_or_b32_e32 v61, 0x400000, v60
	v_cmp_u_f32_e32 vcc_lo, v60, v60
	v_lshlrev_b32_e32 v59, 16, v78
	v_bfe_u32 v78, v56, 16, 1
	v_mul_f32_e32 v60, v8, v76
	v_or_b32_e32 v76, 0x400000, v56
	s_wait_alu 0xfffd
	v_cndmask_b32_e32 v58, v58, v61, vcc_lo
	v_mul_f32_e32 v59, v2, v59
	v_add3_u32 v61, v78, v56, 0x7fff
	v_cmp_u_f32_e32 vcc_lo, v56, v56
	v_bfe_u32 v80, v60, 16, 1
	v_and_b32_e32 v55, 0xffff0000, v55
	v_bfe_u32 v78, v59, 16, 1
	v_lshlrev_b32_e32 v72, 16, v72
	s_wait_alu 0xfffd
	v_cndmask_b32_e32 v56, v61, v76, vcc_lo
	v_or_b32_e32 v76, 0x400000, v59
	v_cmp_u_f32_e32 vcc_lo, v59, v59
	v_add3_u32 v61, v78, v59, 0x7fff
	v_mul_f32_e32 v74, v4, v74
	v_add3_u32 v78, v80, v60, 0x7fff
	v_or_b32_e32 v80, 0x400000, v60
	v_add_f32_e32 v55, v55, v57
	s_wait_alu 0xfffd
	v_cndmask_b32_e32 v59, v61, v76, vcc_lo
	v_cmp_u_f32_e32 vcc_lo, v60, v60
	v_bfe_u32 v81, v74, 16, 1
	v_dual_mul_f32 v61, v7, v72 :: v_dual_and_b32 v58, 0xffff0000, v58
	v_or_b32_e32 v76, 0x400000, v74
	s_wait_alu 0xfffd
	v_cndmask_b32_e32 v60, v78, v80, vcc_lo
	v_add3_u32 v72, v81, v74, 0x7fff
	v_bfe_u32 v78, v61, 16, 1
	v_cmp_u_f32_e32 vcc_lo, v74, v74
	s_delay_alu instid0(VALU_DEP_4) | instskip(SKIP_1) | instid1(VALU_DEP_4)
	v_and_b32_e32 v57, 0xffff0000, v60
	v_and_b32_e32 v56, 0xffff0000, v56
	v_add3_u32 v74, v78, v61, 0x7fff
	s_wait_alu 0xfffd
	v_cndmask_b32_e32 v72, v72, v76, vcc_lo
	v_or_b32_e32 v76, 0x400000, v61
	v_cmp_u_f32_e32 vcc_lo, v61, v61
	v_add_f32_e32 v56, v56, v58
	v_and_b32_e32 v58, 0xffff0000, v59
	v_lshlrev_b32_e32 v59, 16, v69
	v_bfe_u32 v69, v63, 16, 1
	s_wait_alu 0xfffd
	v_cndmask_b32_e32 v61, v74, v76, vcc_lo
	v_dual_add_f32 v55, v56, v55 :: v_dual_lshlrev_b32 v60, 16, v68
	v_mul_f32_e32 v56, v1, v59
	v_add_f32_e32 v57, v57, v58
	s_delay_alu instid0(VALU_DEP_3) | instskip(SKIP_1) | instid1(VALU_DEP_4)
	v_dual_mul_f32 v58, v5, v60 :: v_dual_and_b32 v59, 0xffff0000, v61
	v_and_b32_e32 v60, 0xffff0000, v72
	v_bfe_u32 v61, v56, 16, 1
	s_delay_alu instid0(VALU_DEP_4)
	v_add_f32_e32 v55, v57, v55
	v_cmp_u_f32_e32 vcc_lo, v56, v56
	v_bfe_u32 v57, v58, 16, 1
	v_add_f32_e32 v59, v59, v60
	v_add3_u32 v60, v61, v56, 0x7fff
	v_or_b32_e32 v61, 0x400000, v56
	v_lshlrev_b32_e32 v67, 16, v67
	v_add3_u32 v57, v57, v58, 0x7fff
	v_or_b32_e32 v68, 0x400000, v58
	s_wait_alu 0xfffd
	v_dual_add_f32 v55, v59, v55 :: v_dual_cndmask_b32 v56, v60, v61
	v_mul_f32_e32 v67, v3, v67
	v_cmp_u_f32_e32 vcc_lo, v58, v58
	v_dual_mul_f32 v58, v6, v66 :: v_dual_lshlrev_b32 v61, 16, v65
	s_delay_alu instid0(VALU_DEP_4) | instskip(NEXT) | instid1(VALU_DEP_4)
	v_dual_add_f32 v24, v24, v55 :: v_dual_lshlrev_b32 v59, 16, v52
	v_bfe_u32 v60, v67, 16, 1
	s_wait_alu 0xfffd
	v_cndmask_b32_e32 v57, v57, v68, vcc_lo
	v_or_b32_e32 v65, 0x400000, v67
	v_bfe_u32 v66, v58, 16, 1
	v_mul_f32_e32 v61, v2, v61
	v_add3_u32 v60, v60, v67, 0x7fff
	v_cmp_u_f32_e32 vcc_lo, v67, v67
	v_bfe_u32 v68, v64, 16, 1
	v_and_b32_e32 v57, 0xffff0000, v57
	v_bfe_u32 v67, v61, 16, 1
	v_bfe_u32 v55, v53, 16, 1
	s_wait_alu 0xfffd
	v_cndmask_b32_e32 v60, v60, v65, vcc_lo
	v_add3_u32 v65, v66, v58, 0x7fff
	v_or_b32_e32 v66, 0x400000, v58
	v_cmp_u_f32_e32 vcc_lo, v58, v58
	v_add3_u32 v55, v55, v53, 0x7fff
	v_and_b32_e32 v60, 0xffff0000, v60
	s_wait_alu 0xfffd
	v_cndmask_b32_e32 v58, v65, v66, vcc_lo
	v_add3_u32 v65, v67, v61, 0x7fff
	v_or_b32_e32 v66, 0x400000, v61
	v_cmp_u_f32_e32 vcc_lo, v61, v61
	v_add3_u32 v67, v68, v64, 0x7fff
	v_or_b32_e32 v68, 0x400000, v64
	v_and_b32_e32 v58, 0xffff0000, v58
	v_lshlrev_b32_e32 v62, 16, v62
	s_wait_alu 0xfffd
	v_cndmask_b32_e32 v61, v65, v66, vcc_lo
	v_cmp_u_f32_e32 vcc_lo, v64, v64
	v_add3_u32 v65, v69, v63, 0x7fff
	v_or_b32_e32 v66, 0x400000, v63
	s_wait_alu 0xfffd
	v_cndmask_b32_e32 v64, v67, v68, vcc_lo
	v_cmp_u_f32_e32 vcc_lo, v63, v63
	s_wait_alu 0xfffd
	v_dual_cndmask_b32 v63, v65, v66 :: v_dual_and_b32 v56, 0xffff0000, v56
	s_delay_alu instid0(VALU_DEP_1) | instskip(SKIP_4) | instid1(VALU_DEP_4)
	v_add_f32_e32 v56, v57, v56
	v_add_f32_e32 v57, v58, v60
	v_and_b32_e32 v58, 0xffff0000, v64
	v_and_b32_e32 v60, 0xffff0000, v61
	v_mul_f32_e32 v62, v7, v62
	v_add_f32_e32 v56, v57, v56
	s_delay_alu instid0(VALU_DEP_3) | instskip(NEXT) | instid1(VALU_DEP_3)
	v_add_f32_e32 v57, v58, v60
	v_bfe_u32 v67, v62, 16, 1
	v_or_b32_e32 v66, 0x400000, v62
	v_cmp_u_f32_e32 vcc_lo, v62, v62
	v_and_b32_e32 v60, 0xffff0000, v63
	v_add_f32_e32 v56, v57, v56
	v_add3_u32 v65, v67, v62, 0x7fff
	s_wait_alu 0xfffd
	s_delay_alu instid0(VALU_DEP_1) | instskip(SKIP_1) | instid1(VALU_DEP_2)
	v_cndmask_b32_e32 v61, v65, v66, vcc_lo
	v_cmp_u_f32_e32 vcc_lo, v54, v54
	v_and_b32_e32 v58, 0xffff0000, v61
	s_delay_alu instid0(VALU_DEP_1) | instskip(SKIP_1) | instid1(VALU_DEP_2)
	v_add_f32_e32 v57, v58, v60
	v_bfe_u32 v58, v54, 16, 1
	v_add_f32_e32 v52, v57, v56
	s_delay_alu instid0(VALU_DEP_2) | instskip(SKIP_4) | instid1(VALU_DEP_3)
	v_add3_u32 v56, v58, v54, 0x7fff
	v_or_b32_e32 v57, 0x400000, v54
	v_mul_f32_e32 v58, v3, v59
	v_or_b32_e32 v59, 0x400000, v53
	s_wait_alu 0xfffd
	v_dual_add_f32 v25, v25, v52 :: v_dual_cndmask_b32 v54, v56, v57
	s_delay_alu instid0(VALU_DEP_3)
	v_bfe_u32 v56, v58, 16, 1
	v_cmp_u_f32_e32 vcc_lo, v53, v53
	v_bfe_u32 v57, v51, 16, 1
	s_wait_alu 0xfffd
	v_cndmask_b32_e32 v53, v55, v59, vcc_lo
	v_add3_u32 v55, v56, v58, 0x7fff
	v_or_b32_e32 v56, 0x400000, v58
	v_mul_f32_e32 v50, v2, v50
	v_cmp_u_f32_e32 vcc_lo, v58, v58
	v_and_b32_e32 v53, 0xffff0000, v53
	v_bfe_u32 v59, v49, 16, 1
	s_delay_alu instid0(VALU_DEP_4)
	v_bfe_u32 v58, v50, 16, 1
	s_wait_alu 0xfffd
	v_cndmask_b32_e32 v55, v55, v56, vcc_lo
	v_add3_u32 v56, v57, v51, 0x7fff
	v_or_b32_e32 v57, 0x400000, v51
	v_cmp_u_f32_e32 vcc_lo, v51, v51
	s_delay_alu instid0(VALU_DEP_4) | instskip(SKIP_1) | instid1(VALU_DEP_3)
	v_and_b32_e32 v55, 0xffff0000, v55
	s_wait_alu 0xfffd
	v_cndmask_b32_e32 v51, v56, v57, vcc_lo
	v_add3_u32 v56, v58, v50, 0x7fff
	v_or_b32_e32 v57, 0x400000, v50
	v_cmp_u_f32_e32 vcc_lo, v50, v50
	v_add3_u32 v58, v59, v49, 0x7fff
	v_or_b32_e32 v59, 0x400000, v49
	v_and_b32_e32 v51, 0xffff0000, v51
	v_and_b32_e32 v54, 0xffff0000, v54
	s_wait_alu 0xfffd
	v_cndmask_b32_e32 v50, v56, v57, vcc_lo
	v_cmp_u_f32_e32 vcc_lo, v49, v49
	v_dual_add_f32 v51, v51, v55 :: v_dual_lshlrev_b32 v48, 16, v48
	v_add_f32_e32 v53, v53, v54
	s_wait_alu 0xfffd
	v_dual_cndmask_b32 v49, v58, v59 :: v_dual_lshlrev_b32 v46, 16, v46
	s_delay_alu instid0(VALU_DEP_3) | instskip(SKIP_1) | instid1(VALU_DEP_3)
	v_mul_f32_e32 v48, v4, v48
	v_bfe_u32 v58, v47, 16, 1
	v_dual_add_f32 v51, v51, v53 :: v_dual_mul_f32 v46, v1, v46
	s_delay_alu instid0(VALU_DEP_4) | instskip(NEXT) | instid1(VALU_DEP_4)
	v_and_b32_e32 v49, 0xffff0000, v49
	v_bfe_u32 v60, v48, 16, 1
	v_or_b32_e32 v57, 0x400000, v48
	v_cmp_u_f32_e32 vcc_lo, v48, v48
	v_mul_f32_e32 v4, v4, v13
	s_delay_alu instid0(VALU_DEP_4) | instskip(SKIP_1) | instid1(VALU_DEP_1)
	v_add3_u32 v56, v60, v48, 0x7fff
	s_wait_alu 0xfffd
	v_cndmask_b32_e32 v48, v56, v57, vcc_lo
	v_add3_u32 v56, v58, v47, 0x7fff
	v_or_b32_e32 v57, 0x400000, v47
	v_cmp_u_f32_e32 vcc_lo, v47, v47
	v_and_b32_e32 v50, 0xffff0000, v50
	s_wait_alu 0xfffd
	s_delay_alu instid0(VALU_DEP_3) | instskip(NEXT) | instid1(VALU_DEP_2)
	v_dual_cndmask_b32 v47, v56, v57 :: v_dual_and_b32 v48, 0xffff0000, v48
	v_dual_add_f32 v49, v49, v50 :: v_dual_lshlrev_b32 v44, 16, v44
	v_bfe_u32 v50, v46, 16, 1
	v_cmp_u_f32_e32 vcc_lo, v46, v46
	s_delay_alu instid0(VALU_DEP_4) | instskip(NEXT) | instid1(VALU_DEP_4)
	v_and_b32_e32 v47, 0xffff0000, v47
	v_add_f32_e32 v49, v49, v51
	v_dual_mul_f32 v44, v3, v44 :: v_dual_lshlrev_b32 v45, 16, v45
	s_delay_alu instid0(VALU_DEP_3) | instskip(SKIP_1) | instid1(VALU_DEP_3)
	v_add_f32_e32 v47, v47, v48
	v_add3_u32 v48, v50, v46, 0x7fff
	v_mul_f32_e32 v45, v5, v45
	v_or_b32_e32 v50, 0x400000, v46
	v_bfe_u32 v54, v44, 16, 1
	s_delay_alu instid0(VALU_DEP_3)
	v_bfe_u32 v51, v45, 16, 1
	v_or_b32_e32 v53, 0x400000, v45
	s_wait_alu 0xfffd
	v_cndmask_b32_e32 v46, v48, v50, vcc_lo
	v_cmp_u_f32_e32 vcc_lo, v45, v45
	v_add3_u32 v48, v54, v44, 0x7fff
	v_add3_u32 v51, v51, v45, 0x7fff
	v_or_b32_e32 v50, 0x400000, v44
	v_and_b32_e32 v46, 0xffff0000, v46
	v_bfe_u32 v54, v40, 16, 1
	s_wait_alu 0xfffd
	v_cndmask_b32_e32 v45, v51, v53, vcc_lo
	v_bfe_u32 v51, v43, 16, 1
	v_cmp_u_f32_e32 vcc_lo, v44, v44
	s_wait_alu 0xfffd
	s_delay_alu instid0(VALU_DEP_3) | instskip(NEXT) | instid1(VALU_DEP_3)
	v_dual_cndmask_b32 v44, v48, v50 :: v_dual_and_b32 v45, 0xffff0000, v45
	v_add3_u32 v48, v51, v43, 0x7fff
	v_or_b32_e32 v50, 0x400000, v43
	v_bfe_u32 v51, v42, 16, 1
	v_cmp_u_f32_e32 vcc_lo, v43, v43
	v_dual_add_f32 v45, v45, v46 :: v_dual_and_b32 v44, 0xffff0000, v44
	s_wait_alu 0xfffd
	v_cndmask_b32_e32 v43, v48, v50, vcc_lo
	v_add3_u32 v48, v51, v42, 0x7fff
	v_or_b32_e32 v50, 0x400000, v42
	v_cmp_u_f32_e32 vcc_lo, v42, v42
	v_lshlrev_b32_e32 v41, 16, v41
	s_wait_alu 0xfffd
	s_delay_alu instid0(VALU_DEP_3) | instskip(NEXT) | instid1(VALU_DEP_2)
	v_dual_cndmask_b32 v42, v48, v50 :: v_dual_and_b32 v43, 0xffff0000, v43
	v_mul_f32_e32 v41, v8, v41
	v_add3_u32 v48, v54, v40, 0x7fff
	v_or_b32_e32 v50, 0x400000, v40
	s_delay_alu instid0(VALU_DEP_4) | instskip(NEXT) | instid1(VALU_DEP_4)
	v_dual_add_f32 v43, v43, v44 :: v_dual_and_b32 v42, 0xffff0000, v42
	v_bfe_u32 v53, v41, 16, 1
	v_cmp_u_f32_e32 vcc_lo, v41, v41
	s_delay_alu instid0(VALU_DEP_2) | instskip(SKIP_2) | instid1(VALU_DEP_1)
	v_add3_u32 v51, v53, v41, 0x7fff
	v_or_b32_e32 v53, 0x400000, v41
	s_wait_alu 0xfffd
	v_cndmask_b32_e32 v41, v51, v53, vcc_lo
	v_cmp_u_f32_e32 vcc_lo, v40, v40
	s_wait_alu 0xfffd
	v_dual_cndmask_b32 v40, v48, v50 :: v_dual_lshlrev_b32 v39, 16, v39
	s_delay_alu instid0(VALU_DEP_1) | instskip(SKIP_2) | instid1(VALU_DEP_4)
	v_mul_f32_e32 v39, v7, v39
	v_add_f32_e32 v43, v43, v45
	v_or_b32_e32 v45, 0x400000, v36
	v_and_b32_e32 v40, 0xffff0000, v40
	s_delay_alu instid0(VALU_DEP_4) | instskip(SKIP_2) | instid1(VALU_DEP_3)
	v_bfe_u32 v48, v39, 16, 1
	v_or_b32_e32 v46, 0x400000, v39
	v_cmp_u_f32_e32 vcc_lo, v39, v39
	v_add3_u32 v44, v48, v39, 0x7fff
	s_wait_alu 0xfffd
	s_delay_alu instid0(VALU_DEP_1) | instskip(SKIP_2) | instid1(VALU_DEP_1)
	v_cndmask_b32_e32 v39, v44, v46, vcc_lo
	v_cmp_u_f32_e32 vcc_lo, v38, v38
	v_and_b32_e32 v41, 0xffff0000, v41
	v_add_f32_e32 v41, v41, v42
	v_bfe_u32 v42, v38, 16, 1
	s_delay_alu instid0(VALU_DEP_2) | instskip(NEXT) | instid1(VALU_DEP_2)
	v_add_f32_e32 v41, v41, v43
	v_add3_u32 v42, v42, v38, 0x7fff
	v_or_b32_e32 v43, 0x400000, v38
	s_wait_alu 0xfffd
	s_delay_alu instid0(VALU_DEP_1) | instskip(SKIP_1) | instid1(VALU_DEP_2)
	v_dual_cndmask_b32 v38, v42, v43 :: v_dual_mul_f32 v37, v5, v37
	v_bfe_u32 v42, v36, 16, 1
	v_and_b32_e32 v38, 0xffff0000, v38
	s_delay_alu instid0(VALU_DEP_3) | instskip(SKIP_1) | instid1(VALU_DEP_4)
	v_bfe_u32 v44, v37, 16, 1
	v_cmp_u_f32_e32 vcc_lo, v37, v37
	v_add3_u32 v42, v42, v36, 0x7fff
	s_delay_alu instid0(VALU_DEP_3) | instskip(SKIP_2) | instid1(VALU_DEP_1)
	v_add3_u32 v43, v44, v37, 0x7fff
	v_or_b32_e32 v44, 0x400000, v37
	s_wait_alu 0xfffd
	v_cndmask_b32_e32 v37, v43, v44, vcc_lo
	v_cmp_u_f32_e32 vcc_lo, v36, v36
	s_wait_alu 0xfffd
	v_cndmask_b32_e32 v36, v42, v45, vcc_lo
	v_mul_f32_e32 v35, v6, v35
	v_bfe_u32 v42, v34, 16, 1
	v_or_b32_e32 v45, 0x400000, v34
	s_delay_alu instid0(VALU_DEP_4) | instskip(NEXT) | instid1(VALU_DEP_4)
	v_and_b32_e32 v36, 0xffff0000, v36
	v_bfe_u32 v43, v35, 16, 1
	v_or_b32_e32 v44, 0x400000, v35
	v_cmp_u_f32_e32 vcc_lo, v35, v35
	v_add3_u32 v42, v42, v34, 0x7fff
	s_delay_alu instid0(VALU_DEP_4) | instskip(SKIP_1) | instid1(VALU_DEP_1)
	v_add3_u32 v43, v43, v35, 0x7fff
	s_wait_alu 0xfffd
	v_cndmask_b32_e32 v35, v43, v44, vcc_lo
	v_cmp_u_f32_e32 vcc_lo, v34, v34
	v_and_b32_e32 v39, 0xffff0000, v39
	v_bfe_u32 v44, v32, 16, 1
	s_wait_alu 0xfffd
	v_dual_cndmask_b32 v34, v42, v45 :: v_dual_and_b32 v35, 0xffff0000, v35
	v_mul_f32_e32 v33, v8, v33
	s_delay_alu instid0(VALU_DEP_3) | instskip(SKIP_1) | instid1(VALU_DEP_4)
	v_add3_u32 v44, v44, v32, 0x7fff
	v_or_b32_e32 v45, 0x400000, v32
	v_dual_add_f32 v35, v35, v36 :: v_dual_and_b32 v34, 0xffff0000, v34
	s_delay_alu instid0(VALU_DEP_4) | instskip(SKIP_2) | instid1(VALU_DEP_3)
	v_bfe_u32 v43, v33, 16, 1
	v_cmp_u_f32_e32 vcc_lo, v33, v33
	v_lshlrev_b32_e32 v36, 16, v77
	v_add3_u32 v42, v43, v33, 0x7fff
	v_or_b32_e32 v43, 0x400000, v33
	s_delay_alu instid0(VALU_DEP_3) | instskip(SKIP_1) | instid1(VALU_DEP_2)
	v_mul_f32_e32 v1, v1, v36
	s_wait_alu 0xfffd
	v_cndmask_b32_e32 v33, v42, v43, vcc_lo
	v_cmp_u_f32_e32 vcc_lo, v32, v32
	s_delay_alu instid0(VALU_DEP_2) | instskip(SKIP_2) | instid1(VALU_DEP_2)
	v_and_b32_e32 v33, 0xffff0000, v33
	s_wait_alu 0xfffd
	v_cndmask_b32_e32 v32, v44, v45, vcc_lo
	v_dual_add_f32 v33, v33, v34 :: v_dual_lshlrev_b32 v44, 16, v79
	s_delay_alu instid0(VALU_DEP_1) | instskip(NEXT) | instid1(VALU_DEP_1)
	v_dual_mul_f32 v5, v5, v44 :: v_dual_lshlrev_b32 v34, 16, v75
	v_mul_f32_e32 v6, v6, v34
	v_lshlrev_b32_e32 v34, 16, v73
	s_delay_alu instid0(VALU_DEP_1) | instskip(NEXT) | instid1(VALU_DEP_1)
	v_dual_mul_f32 v3, v3, v34 :: v_dual_lshlrev_b32 v34, 16, v71
	v_dual_mul_f32 v8, v8, v34 :: v_dual_lshlrev_b32 v31, 16, v31
	s_delay_alu instid0(VALU_DEP_1) | instskip(SKIP_2) | instid1(VALU_DEP_4)
	v_dual_mul_f32 v31, v7, v31 :: v_dual_lshlrev_b32 v34, 16, v70
	v_and_b32_e32 v37, 0xffff0000, v37
	v_mul_f32_e32 v7, v7, v14
	v_or_b32_e32 v13, 0x400000, v8
	s_delay_alu instid0(VALU_DEP_4)
	v_bfe_u32 v42, v31, 16, 1
	v_mul_f32_e32 v2, v2, v34
	v_add_f32_e32 v37, v37, v38
	v_or_b32_e32 v43, 0x400000, v31
	v_cmp_u_f32_e32 vcc_lo, v31, v31
	v_add3_u32 v42, v42, v31, 0x7fff
	v_bfe_u32 v38, v1, 16, 1
	v_add_f32_e32 v35, v35, v37
	v_bfe_u32 v37, v5, 16, 1
	v_bfe_u32 v34, v2, 16, 1
	s_wait_alu 0xfffd
	v_cndmask_b32_e32 v31, v42, v43, vcc_lo
	v_cmp_u_f32_e32 vcc_lo, v5, v5
	v_add3_u32 v36, v37, v5, 0x7fff
	v_or_b32_e32 v37, 0x400000, v5
	v_add3_u32 v14, v34, v2, 0x7fff
	v_or_b32_e32 v34, 0x400000, v2
	s_wait_alu 0xfffd
	s_delay_alu instid0(VALU_DEP_3)
	v_cndmask_b32_e32 v5, v36, v37, vcc_lo
	v_add3_u32 v36, v38, v1, 0x7fff
	v_or_b32_e32 v37, 0x400000, v1
	v_bfe_u32 v38, v6, 16, 1
	v_cmp_u_f32_e32 vcc_lo, v1, v1
	s_wait_alu 0xfffd
	s_delay_alu instid0(VALU_DEP_3) | instskip(NEXT) | instid1(VALU_DEP_3)
	v_cndmask_b32_e32 v1, v36, v37, vcc_lo
	v_add3_u32 v36, v38, v6, 0x7fff
	v_or_b32_e32 v37, 0x400000, v6
	v_bfe_u32 v38, v3, 16, 1
	v_cmp_u_f32_e32 vcc_lo, v6, v6
	v_and_b32_e32 v1, 0xffff0000, v1
	s_wait_alu 0xfffd
	v_cndmask_b32_e32 v6, v36, v37, vcc_lo
	v_add3_u32 v36, v38, v3, 0x7fff
	v_or_b32_e32 v37, 0x400000, v3
	v_bfe_u32 v38, v8, 16, 1
	v_cmp_u_f32_e32 vcc_lo, v3, v3
	s_wait_alu 0xfffd
	s_delay_alu instid0(VALU_DEP_3) | instskip(NEXT) | instid1(VALU_DEP_3)
	v_dual_cndmask_b32 v3, v36, v37 :: v_dual_and_b32 v6, 0xffff0000, v6
	v_add3_u32 v36, v38, v8, 0x7fff
	v_cmp_u_f32_e32 vcc_lo, v8, v8
	v_bfe_u32 v38, v4, 16, 1
	v_bfe_u32 v37, v7, 16, 1
	s_wait_alu 0xfffd
	v_dual_cndmask_b32 v8, v36, v13 :: v_dual_and_b32 v3, 0xffff0000, v3
	v_cmp_u_f32_e32 vcc_lo, v2, v2
	s_delay_alu instid0(VALU_DEP_3) | instskip(SKIP_1) | instid1(VALU_DEP_4)
	v_add3_u32 v13, v37, v7, 0x7fff
	v_or_b32_e32 v36, 0x400000, v7
	v_add_f32_e32 v3, v6, v3
	s_wait_alu 0xfffd
	v_cndmask_b32_e32 v2, v14, v34, vcc_lo
	v_add3_u32 v14, v38, v4, 0x7fff
	v_or_b32_e32 v34, 0x400000, v4
	v_cmp_u_f32_e32 vcc_lo, v4, v4
	s_delay_alu instid0(VALU_DEP_4) | instskip(SKIP_1) | instid1(VALU_DEP_3)
	v_and_b32_e32 v2, 0xffff0000, v2
	s_wait_alu 0xfffd
	v_dual_cndmask_b32 v4, v14, v34 :: v_dual_and_b32 v5, 0xffff0000, v5
	v_cmp_u_f32_e32 vcc_lo, v7, v7
	v_and_b32_e32 v31, 0xffff0000, v31
	s_delay_alu instid0(VALU_DEP_3)
	v_add_f32_e32 v1, v5, v1
	v_and_b32_e32 v5, 0xffff0000, v8
	v_and_b32_e32 v7, 0xffff0000, v32
	s_wait_alu 0xfffd
	v_cndmask_b32_e32 v6, v13, v36, vcc_lo
	v_cmp_le_i32_e32 vcc_lo, s61, v18
	v_dual_add_f32 v1, v3, v1 :: v_dual_add_f32 v2, v5, v2
	v_and_b32_e32 v3, 0xffff0000, v4
	s_delay_alu instid0(VALU_DEP_4) | instskip(SKIP_2) | instid1(VALU_DEP_3)
	v_dual_add_f32 v5, v39, v40 :: v_dual_and_b32 v4, 0xffff0000, v6
	v_add_f32_e32 v6, v33, v35
	v_add_f32_e32 v7, v31, v7
	v_dual_add_f32 v1, v2, v1 :: v_dual_add_f32 v2, v4, v3
	v_add_f32_e32 v3, v47, v49
	s_delay_alu instid0(VALU_DEP_3) | instskip(SKIP_1) | instid1(VALU_DEP_3)
	v_dual_add_f32 v4, v5, v41 :: v_dual_add_f32 v5, v7, v6
	s_or_b32 s8, vcc_lo, s8
	v_add_f32_e32 v1, v2, v1
	s_delay_alu instid0(VALU_DEP_3) | instskip(NEXT) | instid1(VALU_DEP_3)
	v_add_f32_e32 v26, v26, v3
	v_dual_add_f32 v28, v28, v4 :: v_dual_add_f32 v27, v27, v5
	s_delay_alu instid0(VALU_DEP_3)
	v_add_f32_e32 v21, v21, v1
	s_wait_alu 0xfffe
	s_and_not1_b32 exec_lo, exec_lo, s8
	s_cbranch_execz .LBB346_49
.LBB346_33:                             ; =>This Inner Loop Header: Depth=1
	global_load_b32 v1, v[11:12], off
	v_cmp_eq_u32_e32 vcc_lo, s71, v18
	v_add_nc_u32_e32 v56, -2, v29
	v_add_nc_u32_e32 v61, -1, v29
	s_wait_loadcnt 0x0
	s_wait_alu 0xfffe
	v_mad_co_i64_i32 v[13:14], null, v1, s5, v[9:10]
	global_load_b64 v[31:32], v[13:14], off
	ds_load_2addr_b64 v[5:8], v30 offset1:1
	ds_load_2addr_b64 v[1:4], v30 offset0:2 offset1:3
	s_wait_loadcnt 0x0
	v_and_b32_e32 v36, 0xff, v32
	v_bfe_u32 v37, v32, 8, 8
	v_bfe_u32 v38, v32, 16, 8
	v_lshrrev_b32_e32 v32, 24, v32
	v_bfe_u32 v34, v31, 8, 8
	v_bfe_u32 v35, v31, 16, 8
	v_cvt_f32_fp8_e32 v37, v37
	v_cvt_f32_fp8_e32 v38, v38
	;; [unrolled: 1-line block ×3, first 2 shown]
	v_and_b32_e32 v33, 0xff, v31
	v_cvt_f32_fp8_e32 v34, v34
	v_add_nc_u32_e32 v55, -7, v29
	v_lshrrev_b32_e32 v31, 24, v31
	s_wait_kmcnt 0x0
	v_mul_f32_e32 v32, s3, v32
	v_cvt_f32_fp8_e32 v33, v33
	v_cvt_f32_fp8_e32 v35, v35
	v_mul_f32_e32 v34, s3, v34
	v_add_nc_u32_e32 v60, -6, v29
	v_cvt_f32_fp8_e32 v31, v31
	v_mul_f32_e32 v33, s3, v33
	v_mul_f32_e32 v35, s3, v35
	v_bfe_u32 v41, v34, 16, 1
	s_delay_alu instid0(VALU_DEP_4) | instskip(NEXT) | instid1(VALU_DEP_4)
	v_dual_mul_f32 v31, s3, v31 :: v_dual_add_nc_u32 v58, -4, v29
	v_bfe_u32 v39, v33, 16, 1
	v_or_b32_e32 v40, 0x400000, v33
	v_cmp_u_f32_e64 s0, v33, v33
	v_cvt_f32_fp8_e32 v36, v36
	v_or_b32_e32 v42, 0x400000, v34
	v_add3_u32 v39, v39, v33, 0x7fff
	v_bfe_u32 v43, v35, 16, 1
	v_add3_u32 v41, v41, v34, 0x7fff
	v_dual_mul_f32 v36, s3, v36 :: v_dual_add_nc_u32 v59, -5, v29
	s_wait_alu 0xf1ff
	v_cndmask_b32_e64 v33, v39, v40, s0
	v_cmp_u_f32_e64 s0, v34, v34
	v_or_b32_e32 v44, 0x400000, v35
	v_bfe_u32 v45, v31, 16, 1
	v_add3_u32 v43, v43, v35, 0x7fff
	v_mul_f32_e32 v37, s3, v37
	s_wait_alu 0xf1ff
	v_cndmask_b32_e64 v34, v41, v42, s0
	v_cmp_u_f32_e64 s0, v35, v35
	v_or_b32_e32 v46, 0x400000, v31
	v_bfe_u32 v47, v36, 16, 1
	v_add3_u32 v45, v45, v31, 0x7fff
	v_dual_mul_f32 v38, s3, v38 :: v_dual_add_nc_u32 v57, -3, v29
	s_wait_alu 0xf1ff
	v_cndmask_b32_e64 v35, v43, v44, s0
	v_cmp_u_f32_e64 s0, v31, v31
	v_or_b32_e32 v48, 0x400000, v36
	v_bfe_u32 v49, v37, 16, 1
	v_add3_u32 v47, v47, v36, 0x7fff
	v_or_b32_e32 v50, 0x400000, v37
	s_wait_alu 0xf1ff
	v_cndmask_b32_e64 v31, v45, v46, s0
	v_cmp_u_f32_e64 s0, v36, v36
	v_bfe_u32 v51, v38, 16, 1
	v_add3_u32 v49, v49, v37, 0x7fff
	v_or_b32_e32 v52, 0x400000, v38
	v_bfe_u32 v53, v32, 16, 1
	s_wait_alu 0xf1ff
	v_cndmask_b32_e64 v39, v47, v48, s0
	v_cmp_u_f32_e64 s0, v37, v37
	v_add3_u32 v51, v51, v38, 0x7fff
	v_or_b32_e32 v54, 0x400000, v32
	v_add3_u32 v53, v53, v32, 0x7fff
	v_lshrrev_b32_e32 v37, 16, v33
	s_wait_alu 0xf1ff
	v_cndmask_b32_e64 v40, v49, v50, s0
	v_cmp_u_f32_e64 s0, v38, v38
	v_lshrrev_b32_e32 v38, 16, v34
	v_lshrrev_b32_e32 v35, 16, v35
	;; [unrolled: 1-line block ×4, first 2 shown]
	s_wait_alu 0xf1ff
	v_cndmask_b32_e64 v41, v51, v52, s0
	v_cmp_u_f32_e64 s0, v32, v32
	v_lshrrev_b32_e32 v34, 16, v40
	s_delay_alu instid0(VALU_DEP_3) | instskip(SKIP_1) | instid1(VALU_DEP_3)
	v_lshrrev_b32_e32 v31, 16, v41
	s_wait_alu 0xf1ff
	v_cndmask_b32_e64 v32, v53, v54, s0
	s_delay_alu instid0(VALU_DEP_1)
	v_lshrrev_b32_e32 v32, 16, v32
	s_and_saveexec_b32 s9, vcc_lo
	s_cbranch_execz .LBB346_35
; %bb.34:                               ;   in Loop: Header=BB346_33 Depth=1
	v_cmp_gt_i32_e64 s0, s67, v55
	s_wait_alu 0xf1ff
	s_delay_alu instid0(VALU_DEP_1) | instskip(SKIP_2) | instid1(VALU_DEP_1)
	v_cndmask_b32_e64 v37, 0, v37, s0
	v_cmp_gt_i32_e64 s0, s67, v60
	s_wait_alu 0xf1ff
	v_cndmask_b32_e64 v38, 0, v38, s0
	v_cmp_gt_i32_e64 s0, s67, v59
	s_wait_alu 0xf1ff
	s_delay_alu instid0(VALU_DEP_1) | instskip(SKIP_2) | instid1(VALU_DEP_1)
	v_cndmask_b32_e64 v35, 0, v35, s0
	v_cmp_gt_i32_e64 s0, s67, v58
	s_wait_alu 0xf1ff
	v_cndmask_b32_e64 v36, 0, v36, s0
	;; [unrolled: 7-line block ×4, first 2 shown]
.LBB346_35:                             ;   in Loop: Header=BB346_33 Depth=1
	s_wait_alu 0xfffe
	s_or_b32 exec_lo, exec_lo, s9
	global_load_b64 v[39:40], v[13:14], off offset:256
	s_wait_loadcnt 0x0
	v_bfe_u32 v42, v39, 8, 8
	v_bfe_u32 v43, v39, 16, 8
	;; [unrolled: 1-line block ×4, first 2 shown]
	s_delay_alu instid0(VALU_DEP_4)
	v_cvt_f32_fp8_e32 v42, v42
	v_and_b32_e32 v41, 0xff, v39
	v_lshrrev_b32_e32 v39, 24, v39
	v_cvt_f32_fp8_e32 v43, v43
	v_cvt_f32_fp8_e32 v46, v46
	v_mul_f32_e32 v42, s3, v42
	v_cvt_f32_fp8_e32 v41, v41
	v_and_b32_e32 v44, 0xff, v40
	v_cvt_f32_fp8_e32 v39, v39
	v_lshrrev_b32_e32 v40, 24, v40
	v_bfe_u32 v49, v42, 16, 1
	v_mul_f32_e32 v41, s3, v41
	v_cvt_f32_fp8_e32 v44, v44
	v_mul_f32_e32 v43, s3, v43
	v_dual_mul_f32 v39, s3, v39 :: v_dual_mul_f32 v46, s3, v46
	s_delay_alu instid0(VALU_DEP_4)
	v_bfe_u32 v47, v41, 16, 1
	v_or_b32_e32 v48, 0x400000, v41
	v_cmp_u_f32_e64 s0, v41, v41
	v_mul_f32_e32 v44, s3, v44
	v_or_b32_e32 v50, 0x400000, v42
	v_add3_u32 v47, v47, v41, 0x7fff
	v_bfe_u32 v51, v43, 16, 1
	v_add3_u32 v49, v49, v42, 0x7fff
	v_cvt_f32_fp8_e32 v45, v45
	v_or_b32_e32 v52, 0x400000, v43
	s_wait_alu 0xf1ff
	v_cndmask_b32_e64 v41, v47, v48, s0
	v_cmp_u_f32_e64 s0, v42, v42
	v_bfe_u32 v53, v39, 16, 1
	v_add3_u32 v51, v51, v43, 0x7fff
	v_cvt_f32_fp8_e32 v40, v40
	v_mul_f32_e32 v45, s3, v45
	s_wait_alu 0xf1ff
	v_cndmask_b32_e64 v42, v49, v50, s0
	v_cmp_u_f32_e64 s0, v43, v43
	v_or_b32_e32 v54, 0x400000, v39
	v_bfe_u32 v62, v44, 16, 1
	v_add3_u32 v53, v53, v39, 0x7fff
	v_mul_f32_e32 v40, s3, v40
	s_wait_alu 0xf1ff
	v_cndmask_b32_e64 v43, v51, v52, s0
	v_cmp_u_f32_e64 s0, v39, v39
	v_or_b32_e32 v63, 0x400000, v44
	v_bfe_u32 v64, v45, 16, 1
	v_add3_u32 v62, v62, v44, 0x7fff
	v_or_b32_e32 v65, 0x400000, v45
	s_wait_alu 0xf1ff
	v_cndmask_b32_e64 v39, v53, v54, s0
	v_cmp_u_f32_e64 s0, v44, v44
	v_bfe_u32 v66, v46, 16, 1
	v_add3_u32 v64, v64, v45, 0x7fff
	v_or_b32_e32 v67, 0x400000, v46
	v_bfe_u32 v68, v40, 16, 1
	s_wait_alu 0xf1ff
	v_cndmask_b32_e64 v47, v62, v63, s0
	v_cmp_u_f32_e64 s0, v45, v45
	v_add3_u32 v66, v66, v46, 0x7fff
	v_or_b32_e32 v69, 0x400000, v40
	v_add3_u32 v68, v68, v40, 0x7fff
	v_lshrrev_b32_e32 v45, 16, v41
	s_wait_alu 0xf1ff
	v_cndmask_b32_e64 v48, v64, v65, s0
	v_cmp_u_f32_e64 s0, v46, v46
	v_lshrrev_b32_e32 v46, 16, v42
	v_lshrrev_b32_e32 v43, 16, v43
	;; [unrolled: 1-line block ×4, first 2 shown]
	s_wait_alu 0xf1ff
	v_cndmask_b32_e64 v49, v66, v67, s0
	v_cmp_u_f32_e64 s0, v40, v40
	v_lshrrev_b32_e32 v42, 16, v48
	s_delay_alu instid0(VALU_DEP_3) | instskip(SKIP_1) | instid1(VALU_DEP_3)
	v_lshrrev_b32_e32 v39, 16, v49
	s_wait_alu 0xf1ff
	v_cndmask_b32_e64 v40, v68, v69, s0
	s_delay_alu instid0(VALU_DEP_1)
	v_lshrrev_b32_e32 v40, 16, v40
	s_and_saveexec_b32 s9, vcc_lo
	s_cbranch_execz .LBB346_37
; %bb.36:                               ;   in Loop: Header=BB346_33 Depth=1
	v_cmp_gt_i32_e64 s0, s67, v55
	s_wait_alu 0xf1ff
	s_delay_alu instid0(VALU_DEP_1) | instskip(SKIP_2) | instid1(VALU_DEP_1)
	v_cndmask_b32_e64 v45, 0, v45, s0
	v_cmp_gt_i32_e64 s0, s67, v60
	s_wait_alu 0xf1ff
	v_cndmask_b32_e64 v46, 0, v46, s0
	v_cmp_gt_i32_e64 s0, s67, v59
	s_wait_alu 0xf1ff
	s_delay_alu instid0(VALU_DEP_1) | instskip(SKIP_2) | instid1(VALU_DEP_1)
	v_cndmask_b32_e64 v43, 0, v43, s0
	v_cmp_gt_i32_e64 s0, s67, v58
	s_wait_alu 0xf1ff
	v_cndmask_b32_e64 v44, 0, v44, s0
	;; [unrolled: 7-line block ×4, first 2 shown]
.LBB346_37:                             ;   in Loop: Header=BB346_33 Depth=1
	s_wait_alu 0xfffe
	s_or_b32 exec_lo, exec_lo, s9
	global_load_b64 v[47:48], v[13:14], off offset:512
	s_wait_loadcnt 0x0
	v_bfe_u32 v50, v47, 8, 8
	v_bfe_u32 v51, v47, 16, 8
	;; [unrolled: 1-line block ×4, first 2 shown]
	s_delay_alu instid0(VALU_DEP_4)
	v_cvt_f32_fp8_e32 v50, v50
	v_and_b32_e32 v49, 0xff, v47
	v_lshrrev_b32_e32 v47, 24, v47
	v_cvt_f32_fp8_e32 v51, v51
	v_cvt_f32_fp8_e32 v54, v54
	v_mul_f32_e32 v50, s3, v50
	v_cvt_f32_fp8_e32 v49, v49
	v_and_b32_e32 v52, 0xff, v48
	v_cvt_f32_fp8_e32 v47, v47
	v_lshrrev_b32_e32 v48, 24, v48
	v_bfe_u32 v64, v50, 16, 1
	v_mul_f32_e32 v49, s3, v49
	v_cvt_f32_fp8_e32 v52, v52
	v_mul_f32_e32 v51, s3, v51
	v_dual_mul_f32 v47, s3, v47 :: v_dual_mul_f32 v54, s3, v54
	s_delay_alu instid0(VALU_DEP_4)
	v_bfe_u32 v62, v49, 16, 1
	v_or_b32_e32 v63, 0x400000, v49
	v_cmp_u_f32_e64 s0, v49, v49
	v_mul_f32_e32 v52, s3, v52
	v_or_b32_e32 v65, 0x400000, v50
	v_add3_u32 v62, v62, v49, 0x7fff
	v_bfe_u32 v66, v51, 16, 1
	v_add3_u32 v64, v64, v50, 0x7fff
	v_cvt_f32_fp8_e32 v53, v53
	v_or_b32_e32 v67, 0x400000, v51
	s_wait_alu 0xf1ff
	v_cndmask_b32_e64 v49, v62, v63, s0
	v_cmp_u_f32_e64 s0, v50, v50
	v_bfe_u32 v68, v47, 16, 1
	v_add3_u32 v66, v66, v51, 0x7fff
	v_cvt_f32_fp8_e32 v48, v48
	v_mul_f32_e32 v53, s3, v53
	s_wait_alu 0xf1ff
	v_cndmask_b32_e64 v50, v64, v65, s0
	v_cmp_u_f32_e64 s0, v51, v51
	v_or_b32_e32 v69, 0x400000, v47
	v_bfe_u32 v70, v52, 16, 1
	v_add3_u32 v68, v68, v47, 0x7fff
	v_mul_f32_e32 v48, s3, v48
	s_wait_alu 0xf1ff
	v_cndmask_b32_e64 v51, v66, v67, s0
	v_cmp_u_f32_e64 s0, v47, v47
	v_or_b32_e32 v71, 0x400000, v52
	v_bfe_u32 v72, v53, 16, 1
	v_add3_u32 v70, v70, v52, 0x7fff
	v_or_b32_e32 v73, 0x400000, v53
	s_wait_alu 0xf1ff
	v_cndmask_b32_e64 v47, v68, v69, s0
	v_cmp_u_f32_e64 s0, v52, v52
	v_bfe_u32 v74, v54, 16, 1
	v_add3_u32 v72, v72, v53, 0x7fff
	v_or_b32_e32 v75, 0x400000, v54
	v_bfe_u32 v76, v48, 16, 1
	s_wait_alu 0xf1ff
	v_cndmask_b32_e64 v62, v70, v71, s0
	v_cmp_u_f32_e64 s0, v53, v53
	v_add3_u32 v74, v74, v54, 0x7fff
	v_or_b32_e32 v77, 0x400000, v48
	v_add3_u32 v76, v76, v48, 0x7fff
	v_lshrrev_b32_e32 v53, 16, v49
	s_wait_alu 0xf1ff
	v_cndmask_b32_e64 v63, v72, v73, s0
	v_cmp_u_f32_e64 s0, v54, v54
	v_lshrrev_b32_e32 v54, 16, v50
	v_lshrrev_b32_e32 v51, 16, v51
	v_lshrrev_b32_e32 v52, 16, v47
	v_lshrrev_b32_e32 v49, 16, v62
	s_wait_alu 0xf1ff
	v_cndmask_b32_e64 v64, v74, v75, s0
	v_cmp_u_f32_e64 s0, v48, v48
	v_lshrrev_b32_e32 v50, 16, v63
	s_delay_alu instid0(VALU_DEP_3) | instskip(SKIP_1) | instid1(VALU_DEP_3)
	v_lshrrev_b32_e32 v47, 16, v64
	s_wait_alu 0xf1ff
	v_cndmask_b32_e64 v48, v76, v77, s0
	s_delay_alu instid0(VALU_DEP_1)
	v_lshrrev_b32_e32 v48, 16, v48
	s_and_saveexec_b32 s9, vcc_lo
	s_cbranch_execz .LBB346_39
; %bb.38:                               ;   in Loop: Header=BB346_33 Depth=1
	v_cmp_gt_i32_e64 s0, s67, v55
	s_wait_alu 0xf1ff
	s_delay_alu instid0(VALU_DEP_1) | instskip(SKIP_2) | instid1(VALU_DEP_1)
	v_cndmask_b32_e64 v53, 0, v53, s0
	v_cmp_gt_i32_e64 s0, s67, v60
	s_wait_alu 0xf1ff
	v_cndmask_b32_e64 v54, 0, v54, s0
	v_cmp_gt_i32_e64 s0, s67, v59
	s_wait_alu 0xf1ff
	s_delay_alu instid0(VALU_DEP_1) | instskip(SKIP_2) | instid1(VALU_DEP_1)
	v_cndmask_b32_e64 v51, 0, v51, s0
	v_cmp_gt_i32_e64 s0, s67, v58
	s_wait_alu 0xf1ff
	v_cndmask_b32_e64 v52, 0, v52, s0
	;; [unrolled: 7-line block ×4, first 2 shown]
.LBB346_39:                             ;   in Loop: Header=BB346_33 Depth=1
	s_wait_alu 0xfffe
	s_or_b32 exec_lo, exec_lo, s9
	global_load_b64 v[62:63], v[13:14], off offset:768
	s_wait_loadcnt 0x0
	v_bfe_u32 v65, v62, 8, 8
	v_bfe_u32 v66, v62, 16, 8
	;; [unrolled: 1-line block ×4, first 2 shown]
	s_delay_alu instid0(VALU_DEP_4)
	v_cvt_f32_fp8_e32 v65, v65
	v_and_b32_e32 v64, 0xff, v62
	v_lshrrev_b32_e32 v62, 24, v62
	v_cvt_f32_fp8_e32 v66, v66
	v_cvt_f32_fp8_e32 v69, v69
	v_mul_f32_e32 v65, s3, v65
	v_cvt_f32_fp8_e32 v64, v64
	v_and_b32_e32 v67, 0xff, v63
	v_cvt_f32_fp8_e32 v62, v62
	v_lshrrev_b32_e32 v63, 24, v63
	v_bfe_u32 v72, v65, 16, 1
	v_mul_f32_e32 v64, s3, v64
	v_cvt_f32_fp8_e32 v67, v67
	v_mul_f32_e32 v66, s3, v66
	v_dual_mul_f32 v62, s3, v62 :: v_dual_mul_f32 v69, s3, v69
	s_delay_alu instid0(VALU_DEP_4)
	v_bfe_u32 v70, v64, 16, 1
	v_or_b32_e32 v71, 0x400000, v64
	v_cmp_u_f32_e64 s0, v64, v64
	v_mul_f32_e32 v67, s3, v67
	v_or_b32_e32 v73, 0x400000, v65
	v_add3_u32 v70, v70, v64, 0x7fff
	v_bfe_u32 v74, v66, 16, 1
	v_add3_u32 v72, v72, v65, 0x7fff
	v_cvt_f32_fp8_e32 v68, v68
	v_or_b32_e32 v75, 0x400000, v66
	s_wait_alu 0xf1ff
	v_cndmask_b32_e64 v64, v70, v71, s0
	v_cmp_u_f32_e64 s0, v65, v65
	v_bfe_u32 v76, v62, 16, 1
	v_add3_u32 v74, v74, v66, 0x7fff
	v_cvt_f32_fp8_e32 v63, v63
	v_mul_f32_e32 v68, s3, v68
	s_wait_alu 0xf1ff
	v_cndmask_b32_e64 v65, v72, v73, s0
	v_cmp_u_f32_e64 s0, v66, v66
	v_or_b32_e32 v77, 0x400000, v62
	v_bfe_u32 v78, v67, 16, 1
	v_add3_u32 v76, v76, v62, 0x7fff
	v_mul_f32_e32 v63, s3, v63
	s_wait_alu 0xf1ff
	v_cndmask_b32_e64 v66, v74, v75, s0
	v_cmp_u_f32_e64 s0, v62, v62
	v_or_b32_e32 v79, 0x400000, v67
	v_bfe_u32 v80, v68, 16, 1
	v_add3_u32 v78, v78, v67, 0x7fff
	v_or_b32_e32 v81, 0x400000, v68
	s_wait_alu 0xf1ff
	v_cndmask_b32_e64 v62, v76, v77, s0
	v_cmp_u_f32_e64 s0, v67, v67
	v_bfe_u32 v82, v69, 16, 1
	v_add3_u32 v80, v80, v68, 0x7fff
	v_or_b32_e32 v83, 0x400000, v69
	v_bfe_u32 v84, v63, 16, 1
	s_wait_alu 0xf1ff
	v_cndmask_b32_e64 v70, v78, v79, s0
	v_cmp_u_f32_e64 s0, v68, v68
	v_add3_u32 v82, v82, v69, 0x7fff
	v_or_b32_e32 v85, 0x400000, v63
	v_add3_u32 v84, v84, v63, 0x7fff
	v_lshrrev_b32_e32 v68, 16, v64
	s_wait_alu 0xf1ff
	v_cndmask_b32_e64 v71, v80, v81, s0
	v_cmp_u_f32_e64 s0, v69, v69
	v_lshrrev_b32_e32 v69, 16, v65
	v_lshrrev_b32_e32 v66, 16, v66
	;; [unrolled: 1-line block ×4, first 2 shown]
	s_wait_alu 0xf1ff
	v_cndmask_b32_e64 v72, v82, v83, s0
	v_cmp_u_f32_e64 s0, v63, v63
	v_lshrrev_b32_e32 v65, 16, v71
	s_delay_alu instid0(VALU_DEP_3) | instskip(SKIP_1) | instid1(VALU_DEP_3)
	v_lshrrev_b32_e32 v62, 16, v72
	s_wait_alu 0xf1ff
	v_cndmask_b32_e64 v63, v84, v85, s0
	s_delay_alu instid0(VALU_DEP_1)
	v_lshrrev_b32_e32 v63, 16, v63
	s_and_saveexec_b32 s9, vcc_lo
	s_cbranch_execz .LBB346_41
; %bb.40:                               ;   in Loop: Header=BB346_33 Depth=1
	v_cmp_gt_i32_e64 s0, s67, v55
	s_wait_alu 0xf1ff
	s_delay_alu instid0(VALU_DEP_1) | instskip(SKIP_2) | instid1(VALU_DEP_1)
	v_cndmask_b32_e64 v68, 0, v68, s0
	v_cmp_gt_i32_e64 s0, s67, v60
	s_wait_alu 0xf1ff
	v_cndmask_b32_e64 v69, 0, v69, s0
	v_cmp_gt_i32_e64 s0, s67, v59
	s_wait_alu 0xf1ff
	s_delay_alu instid0(VALU_DEP_1) | instskip(SKIP_2) | instid1(VALU_DEP_1)
	v_cndmask_b32_e64 v66, 0, v66, s0
	v_cmp_gt_i32_e64 s0, s67, v58
	s_wait_alu 0xf1ff
	v_cndmask_b32_e64 v67, 0, v67, s0
	v_cmp_gt_i32_e64 s0, s67, v57
	s_wait_alu 0xf1ff
	s_delay_alu instid0(VALU_DEP_1) | instskip(SKIP_2) | instid1(VALU_DEP_1)
	v_cndmask_b32_e64 v64, 0, v64, s0
	v_cmp_gt_i32_e64 s0, s67, v56
	s_wait_alu 0xf1ff
	v_cndmask_b32_e64 v65, 0, v65, s0
	v_cmp_gt_i32_e64 s0, s67, v61
	s_wait_alu 0xf1ff
	s_delay_alu instid0(VALU_DEP_1) | instskip(SKIP_2) | instid1(VALU_DEP_1)
	v_cndmask_b32_e64 v62, 0, v62, s0
	v_cmp_gt_i32_e64 s0, s67, v29
	s_wait_alu 0xf1ff
	v_cndmask_b32_e64 v63, 0, v63, s0
.LBB346_41:                             ;   in Loop: Header=BB346_33 Depth=1
	s_wait_alu 0xfffe
	s_or_b32 exec_lo, exec_lo, s9
	global_load_b64 v[70:71], v[13:14], off offset:1024
	s_wait_loadcnt 0x0
	v_bfe_u32 v73, v70, 8, 8
	v_bfe_u32 v74, v70, 16, 8
	;; [unrolled: 1-line block ×4, first 2 shown]
	s_delay_alu instid0(VALU_DEP_4)
	v_cvt_f32_fp8_e32 v73, v73
	v_and_b32_e32 v72, 0xff, v70
	v_lshrrev_b32_e32 v70, 24, v70
	v_cvt_f32_fp8_e32 v74, v74
	v_cvt_f32_fp8_e32 v77, v77
	v_mul_f32_e32 v73, s3, v73
	v_cvt_f32_fp8_e32 v72, v72
	v_and_b32_e32 v75, 0xff, v71
	v_cvt_f32_fp8_e32 v70, v70
	v_lshrrev_b32_e32 v71, 24, v71
	v_bfe_u32 v80, v73, 16, 1
	v_mul_f32_e32 v72, s3, v72
	v_cvt_f32_fp8_e32 v75, v75
	v_mul_f32_e32 v74, s3, v74
	v_dual_mul_f32 v70, s3, v70 :: v_dual_mul_f32 v77, s3, v77
	s_delay_alu instid0(VALU_DEP_4)
	v_bfe_u32 v78, v72, 16, 1
	v_or_b32_e32 v79, 0x400000, v72
	v_cmp_u_f32_e64 s0, v72, v72
	v_mul_f32_e32 v75, s3, v75
	v_or_b32_e32 v81, 0x400000, v73
	v_add3_u32 v78, v78, v72, 0x7fff
	v_bfe_u32 v82, v74, 16, 1
	v_add3_u32 v80, v80, v73, 0x7fff
	v_cvt_f32_fp8_e32 v76, v76
	v_or_b32_e32 v83, 0x400000, v74
	s_wait_alu 0xf1ff
	v_cndmask_b32_e64 v72, v78, v79, s0
	v_cmp_u_f32_e64 s0, v73, v73
	v_bfe_u32 v84, v70, 16, 1
	v_add3_u32 v82, v82, v74, 0x7fff
	v_cvt_f32_fp8_e32 v71, v71
	v_mul_f32_e32 v76, s3, v76
	s_wait_alu 0xf1ff
	v_cndmask_b32_e64 v73, v80, v81, s0
	v_cmp_u_f32_e64 s0, v74, v74
	v_or_b32_e32 v85, 0x400000, v70
	v_bfe_u32 v86, v75, 16, 1
	v_add3_u32 v84, v84, v70, 0x7fff
	v_mul_f32_e32 v71, s3, v71
	s_wait_alu 0xf1ff
	v_cndmask_b32_e64 v74, v82, v83, s0
	v_cmp_u_f32_e64 s0, v70, v70
	v_or_b32_e32 v87, 0x400000, v75
	v_bfe_u32 v88, v76, 16, 1
	v_add3_u32 v86, v86, v75, 0x7fff
	v_or_b32_e32 v89, 0x400000, v76
	s_wait_alu 0xf1ff
	v_cndmask_b32_e64 v70, v84, v85, s0
	v_cmp_u_f32_e64 s0, v75, v75
	v_bfe_u32 v90, v77, 16, 1
	v_add3_u32 v88, v88, v76, 0x7fff
	v_or_b32_e32 v91, 0x400000, v77
	v_bfe_u32 v92, v71, 16, 1
	s_wait_alu 0xf1ff
	v_cndmask_b32_e64 v75, v86, v87, s0
	v_cmp_u_f32_e64 s0, v76, v76
	v_add3_u32 v90, v90, v77, 0x7fff
	v_or_b32_e32 v93, 0x400000, v71
	v_add3_u32 v92, v92, v71, 0x7fff
	v_lshrrev_b32_e32 v82, 16, v72
	s_wait_alu 0xf1ff
	v_cndmask_b32_e64 v78, v88, v89, s0
	v_cmp_u_f32_e64 s0, v77, v77
	v_lshrrev_b32_e32 v83, 16, v73
	v_lshrrev_b32_e32 v80, 16, v74
	;; [unrolled: 1-line block ×4, first 2 shown]
	s_wait_alu 0xf1ff
	v_cndmask_b32_e64 v77, v90, v91, s0
	v_cmp_u_f32_e64 s0, v71, v71
	v_lshrrev_b32_e32 v78, 16, v78
	s_delay_alu instid0(VALU_DEP_3) | instskip(SKIP_1) | instid1(VALU_DEP_3)
	v_lshrrev_b32_e32 v72, 16, v77
	s_wait_alu 0xf1ff
	v_cndmask_b32_e64 v71, v92, v93, s0
	s_delay_alu instid0(VALU_DEP_1)
	v_lshrrev_b32_e32 v74, 16, v71
	s_and_saveexec_b32 s9, vcc_lo
	s_cbranch_execz .LBB346_43
; %bb.42:                               ;   in Loop: Header=BB346_33 Depth=1
	v_cmp_gt_i32_e64 s0, s67, v55
	s_wait_alu 0xf1ff
	s_delay_alu instid0(VALU_DEP_1) | instskip(SKIP_2) | instid1(VALU_DEP_1)
	v_cndmask_b32_e64 v82, 0, v82, s0
	v_cmp_gt_i32_e64 s0, s67, v60
	s_wait_alu 0xf1ff
	v_cndmask_b32_e64 v83, 0, v83, s0
	v_cmp_gt_i32_e64 s0, s67, v59
	s_wait_alu 0xf1ff
	s_delay_alu instid0(VALU_DEP_1) | instskip(SKIP_2) | instid1(VALU_DEP_1)
	v_cndmask_b32_e64 v80, 0, v80, s0
	v_cmp_gt_i32_e64 s0, s67, v58
	s_wait_alu 0xf1ff
	v_cndmask_b32_e64 v81, 0, v81, s0
	;; [unrolled: 7-line block ×4, first 2 shown]
.LBB346_43:                             ;   in Loop: Header=BB346_33 Depth=1
	s_wait_alu 0xfffe
	s_or_b32 exec_lo, exec_lo, s9
	global_load_b64 v[70:71], v[13:14], off offset:1280
	s_wait_loadcnt 0x0
	v_bfe_u32 v84, v71, 8, 8
	v_bfe_u32 v75, v70, 8, 8
	;; [unrolled: 1-line block ×4, first 2 shown]
	s_delay_alu instid0(VALU_DEP_4)
	v_cvt_f32_fp8_e32 v84, v84
	v_and_b32_e32 v73, 0xff, v70
	v_cvt_f32_fp8_e32 v75, v75
	v_lshrrev_b32_e32 v70, 24, v70
	v_cvt_f32_fp8_e32 v77, v77
	v_mul_f32_e32 v84, s3, v84
	v_cvt_f32_fp8_e32 v73, v73
	v_mul_f32_e32 v75, s3, v75
	v_cvt_f32_fp8_e32 v70, v70
	v_and_b32_e32 v79, 0xff, v71
	v_mul_f32_e32 v77, s3, v77
	v_mul_f32_e32 v73, s3, v73
	v_bfe_u32 v88, v75, 16, 1
	v_mul_f32_e32 v70, s3, v70
	v_cvt_f32_fp8_e32 v79, v79
	v_or_b32_e32 v89, 0x400000, v75
	v_bfe_u32 v86, v73, 16, 1
	v_or_b32_e32 v87, 0x400000, v73
	v_cmp_u_f32_e64 s0, v73, v73
	v_bfe_u32 v90, v77, 16, 1
	v_add3_u32 v88, v88, v75, 0x7fff
	v_add3_u32 v86, v86, v73, 0x7fff
	v_mul_f32_e32 v79, s3, v79
	v_or_b32_e32 v91, 0x400000, v77
	v_bfe_u32 v92, v70, 16, 1
	v_add3_u32 v90, v90, v77, 0x7fff
	s_wait_alu 0xf1ff
	v_cndmask_b32_e64 v73, v86, v87, s0
	v_cmp_u_f32_e64 s0, v75, v75
	v_lshrrev_b32_e32 v71, 24, v71
	v_cvt_f32_fp8_e32 v85, v85
	v_or_b32_e32 v93, 0x400000, v70
	v_bfe_u32 v94, v79, 16, 1
	s_wait_alu 0xf1ff
	v_cndmask_b32_e64 v75, v88, v89, s0
	v_cmp_u_f32_e64 s0, v77, v77
	v_add3_u32 v92, v92, v70, 0x7fff
	v_cvt_f32_fp8_e32 v71, v71
	v_mul_f32_e32 v85, s3, v85
	v_or_b32_e32 v95, 0x400000, v79
	s_wait_alu 0xf1ff
	v_cndmask_b32_e64 v77, v90, v91, s0
	v_cmp_u_f32_e64 s0, v70, v70
	v_bfe_u32 v96, v84, 16, 1
	v_add3_u32 v94, v94, v79, 0x7fff
	v_mul_f32_e32 v71, s3, v71
	v_or_b32_e32 v97, 0x400000, v84
	s_wait_alu 0xf1ff
	v_cndmask_b32_e64 v70, v92, v93, s0
	v_cmp_u_f32_e64 s0, v79, v79
	v_bfe_u32 v98, v85, 16, 1
	v_add3_u32 v96, v96, v84, 0x7fff
	v_or_b32_e32 v99, 0x400000, v85
	v_bfe_u32 v100, v71, 16, 1
	s_wait_alu 0xf1ff
	v_cndmask_b32_e64 v79, v94, v95, s0
	v_cmp_u_f32_e64 s0, v84, v84
	v_add3_u32 v98, v98, v85, 0x7fff
	v_or_b32_e32 v101, 0x400000, v71
	v_add3_u32 v100, v100, v71, 0x7fff
	v_lshrrev_b32_e32 v90, 16, v73
	s_wait_alu 0xf1ff
	v_cndmask_b32_e64 v84, v96, v97, s0
	v_cmp_u_f32_e64 s0, v85, v85
	v_lshrrev_b32_e32 v91, 16, v75
	v_lshrrev_b32_e32 v88, 16, v77
	v_lshrrev_b32_e32 v89, 16, v70
	v_lshrrev_b32_e32 v86, 16, v79
	s_wait_alu 0xf1ff
	v_cndmask_b32_e64 v85, v98, v99, s0
	v_cmp_u_f32_e64 s0, v71, v71
	v_lshrrev_b32_e32 v87, 16, v84
	s_delay_alu instid0(VALU_DEP_3) | instskip(SKIP_1) | instid1(VALU_DEP_3)
	v_lshrrev_b32_e32 v84, 16, v85
	s_wait_alu 0xf1ff
	v_cndmask_b32_e64 v71, v100, v101, s0
	s_delay_alu instid0(VALU_DEP_1)
	v_lshrrev_b32_e32 v85, 16, v71
	s_and_saveexec_b32 s9, vcc_lo
	s_cbranch_execz .LBB346_45
; %bb.44:                               ;   in Loop: Header=BB346_33 Depth=1
	v_cmp_gt_i32_e64 s0, s67, v55
	s_wait_alu 0xf1ff
	s_delay_alu instid0(VALU_DEP_1) | instskip(SKIP_2) | instid1(VALU_DEP_1)
	v_cndmask_b32_e64 v90, 0, v90, s0
	v_cmp_gt_i32_e64 s0, s67, v60
	s_wait_alu 0xf1ff
	v_cndmask_b32_e64 v91, 0, v91, s0
	v_cmp_gt_i32_e64 s0, s67, v59
	s_wait_alu 0xf1ff
	s_delay_alu instid0(VALU_DEP_1) | instskip(SKIP_2) | instid1(VALU_DEP_1)
	v_cndmask_b32_e64 v88, 0, v88, s0
	v_cmp_gt_i32_e64 s0, s67, v58
	s_wait_alu 0xf1ff
	v_cndmask_b32_e64 v89, 0, v89, s0
	;; [unrolled: 7-line block ×4, first 2 shown]
.LBB346_45:                             ;   in Loop: Header=BB346_33 Depth=1
	s_wait_alu 0xfffe
	s_or_b32 exec_lo, exec_lo, s9
	global_load_b64 v[70:71], v[13:14], off offset:1536
	s_wait_loadcnt 0x0
	v_bfe_u32 v92, v71, 8, 8
	v_bfe_u32 v75, v70, 8, 8
	;; [unrolled: 1-line block ×4, first 2 shown]
	s_delay_alu instid0(VALU_DEP_4)
	v_cvt_f32_fp8_e32 v92, v92
	v_and_b32_e32 v73, 0xff, v70
	v_cvt_f32_fp8_e32 v75, v75
	v_lshrrev_b32_e32 v70, 24, v70
	v_cvt_f32_fp8_e32 v77, v77
	v_mul_f32_e32 v92, s3, v92
	v_cvt_f32_fp8_e32 v73, v73
	v_mul_f32_e32 v75, s3, v75
	v_cvt_f32_fp8_e32 v70, v70
	v_and_b32_e32 v79, 0xff, v71
	v_mul_f32_e32 v77, s3, v77
	v_mul_f32_e32 v73, s3, v73
	v_bfe_u32 v96, v75, 16, 1
	v_mul_f32_e32 v70, s3, v70
	v_cvt_f32_fp8_e32 v79, v79
	v_or_b32_e32 v97, 0x400000, v75
	v_bfe_u32 v94, v73, 16, 1
	v_or_b32_e32 v95, 0x400000, v73
	v_cmp_u_f32_e64 s0, v73, v73
	v_bfe_u32 v98, v77, 16, 1
	v_add3_u32 v96, v96, v75, 0x7fff
	v_add3_u32 v94, v94, v73, 0x7fff
	v_mul_f32_e32 v79, s3, v79
	v_or_b32_e32 v99, 0x400000, v77
	v_bfe_u32 v100, v70, 16, 1
	v_add3_u32 v98, v98, v77, 0x7fff
	s_wait_alu 0xf1ff
	v_cndmask_b32_e64 v73, v94, v95, s0
	v_cmp_u_f32_e64 s0, v75, v75
	v_lshrrev_b32_e32 v71, 24, v71
	v_cvt_f32_fp8_e32 v93, v93
	v_or_b32_e32 v101, 0x400000, v70
	v_bfe_u32 v102, v79, 16, 1
	s_wait_alu 0xf1ff
	v_cndmask_b32_e64 v75, v96, v97, s0
	v_cmp_u_f32_e64 s0, v77, v77
	v_add3_u32 v100, v100, v70, 0x7fff
	v_cvt_f32_fp8_e32 v71, v71
	v_mul_f32_e32 v93, s3, v93
	v_or_b32_e32 v103, 0x400000, v79
	s_wait_alu 0xf1ff
	v_cndmask_b32_e64 v77, v98, v99, s0
	v_cmp_u_f32_e64 s0, v70, v70
	v_bfe_u32 v104, v92, 16, 1
	v_add3_u32 v102, v102, v79, 0x7fff
	v_mul_f32_e32 v71, s3, v71
	v_or_b32_e32 v105, 0x400000, v92
	s_wait_alu 0xf1ff
	v_cndmask_b32_e64 v70, v100, v101, s0
	v_cmp_u_f32_e64 s0, v79, v79
	v_bfe_u32 v106, v93, 16, 1
	v_add3_u32 v104, v104, v92, 0x7fff
	v_or_b32_e32 v107, 0x400000, v93
	v_bfe_u32 v108, v71, 16, 1
	s_wait_alu 0xf1ff
	v_cndmask_b32_e64 v79, v102, v103, s0
	v_cmp_u_f32_e64 s0, v92, v92
	v_add3_u32 v106, v106, v93, 0x7fff
	v_or_b32_e32 v109, 0x400000, v71
	v_add3_u32 v108, v108, v71, 0x7fff
	v_lshrrev_b32_e32 v98, 16, v73
	s_wait_alu 0xf1ff
	v_cndmask_b32_e64 v92, v104, v105, s0
	v_cmp_u_f32_e64 s0, v93, v93
	v_lshrrev_b32_e32 v99, 16, v75
	v_lshrrev_b32_e32 v96, 16, v77
	;; [unrolled: 1-line block ×4, first 2 shown]
	s_wait_alu 0xf1ff
	v_cndmask_b32_e64 v93, v106, v107, s0
	v_cmp_u_f32_e64 s0, v71, v71
	v_lshrrev_b32_e32 v95, 16, v92
	s_delay_alu instid0(VALU_DEP_3) | instskip(SKIP_1) | instid1(VALU_DEP_3)
	v_lshrrev_b32_e32 v92, 16, v93
	s_wait_alu 0xf1ff
	v_cndmask_b32_e64 v71, v108, v109, s0
	s_delay_alu instid0(VALU_DEP_1)
	v_lshrrev_b32_e32 v93, 16, v71
	s_and_saveexec_b32 s9, vcc_lo
	s_cbranch_execz .LBB346_47
; %bb.46:                               ;   in Loop: Header=BB346_33 Depth=1
	v_cmp_gt_i32_e64 s0, s67, v55
	s_wait_alu 0xf1ff
	s_delay_alu instid0(VALU_DEP_1) | instskip(SKIP_2) | instid1(VALU_DEP_1)
	v_cndmask_b32_e64 v98, 0, v98, s0
	v_cmp_gt_i32_e64 s0, s67, v60
	s_wait_alu 0xf1ff
	v_cndmask_b32_e64 v99, 0, v99, s0
	v_cmp_gt_i32_e64 s0, s67, v59
	s_wait_alu 0xf1ff
	s_delay_alu instid0(VALU_DEP_1) | instskip(SKIP_2) | instid1(VALU_DEP_1)
	v_cndmask_b32_e64 v96, 0, v96, s0
	v_cmp_gt_i32_e64 s0, s67, v58
	s_wait_alu 0xf1ff
	v_cndmask_b32_e64 v97, 0, v97, s0
	;; [unrolled: 7-line block ×4, first 2 shown]
.LBB346_47:                             ;   in Loop: Header=BB346_33 Depth=1
	s_wait_alu 0xfffe
	s_or_b32 exec_lo, exec_lo, s9
	global_load_b64 v[13:14], v[13:14], off offset:1792
	s_wait_loadcnt 0x0
	v_bfe_u32 v71, v13, 8, 8
	v_bfe_u32 v73, v13, 16, 8
	v_and_b32_e32 v75, 0xff, v14
	v_bfe_u32 v77, v14, 8, 8
	v_bfe_u32 v79, v14, 16, 8
	v_cvt_f32_fp8_e32 v71, v71
	v_and_b32_e32 v70, 0xff, v13
	v_cvt_f32_fp8_e32 v73, v73
	v_lshrrev_b32_e32 v13, 24, v13
	v_lshrrev_b32_e32 v14, 24, v14
	v_mul_f32_e32 v71, s3, v71
	v_cvt_f32_fp8_e32 v70, v70
	v_cvt_f32_fp8_e32 v75, v75
	;; [unrolled: 1-line block ×4, first 2 shown]
	s_delay_alu instid0(VALU_DEP_4) | instskip(SKIP_1) | instid1(VALU_DEP_3)
	v_dual_mul_f32 v73, s3, v73 :: v_dual_mul_f32 v70, s3, v70
	v_bfe_u32 v102, v71, 16, 1
	v_dual_mul_f32 v13, s3, v13 :: v_dual_mul_f32 v14, s3, v14
	v_or_b32_e32 v103, 0x400000, v71
	s_delay_alu instid0(VALU_DEP_4)
	v_bfe_u32 v100, v70, 16, 1
	v_or_b32_e32 v101, 0x400000, v70
	v_cmp_u_f32_e64 s0, v70, v70
	v_bfe_u32 v104, v73, 16, 1
	v_add3_u32 v102, v102, v71, 0x7fff
	v_add3_u32 v100, v100, v70, 0x7fff
	v_cvt_f32_fp8_e32 v77, v77
	v_mul_f32_e32 v75, s3, v75
	v_or_b32_e32 v105, 0x400000, v73
	v_bfe_u32 v106, v13, 16, 1
	s_wait_alu 0xf1ff
	v_cndmask_b32_e64 v70, v100, v101, s0
	v_cmp_u_f32_e64 s0, v71, v71
	v_add3_u32 v104, v104, v73, 0x7fff
	v_cvt_f32_fp8_e32 v79, v79
	v_mul_f32_e32 v77, s3, v77
	v_or_b32_e32 v107, 0x400000, v13
	s_wait_alu 0xf1ff
	v_cndmask_b32_e64 v71, v102, v103, s0
	v_cmp_u_f32_e64 s0, v73, v73
	v_bfe_u32 v108, v75, 16, 1
	v_add3_u32 v106, v106, v13, 0x7fff
	v_mul_f32_e32 v79, s3, v79
	v_or_b32_e32 v109, 0x400000, v75
	s_wait_alu 0xf1ff
	v_cndmask_b32_e64 v73, v104, v105, s0
	v_cmp_u_f32_e64 s0, v13, v13
	v_bfe_u32 v110, v77, 16, 1
	v_add3_u32 v108, v108, v75, 0x7fff
	v_or_b32_e32 v111, 0x400000, v77
	v_bfe_u32 v112, v79, 16, 1
	s_wait_alu 0xf1ff
	v_cndmask_b32_e64 v13, v106, v107, s0
	v_cmp_u_f32_e64 s0, v75, v75
	v_add3_u32 v110, v110, v77, 0x7fff
	v_or_b32_e32 v113, 0x400000, v79
	v_bfe_u32 v114, v14, 16, 1
	v_add3_u32 v112, v112, v79, 0x7fff
	s_wait_alu 0xf1ff
	v_cndmask_b32_e64 v100, v108, v109, s0
	v_cmp_u_f32_e64 s0, v77, v77
	v_or_b32_e32 v115, 0x400000, v14
	v_add3_u32 v114, v114, v14, 0x7fff
	v_lshrrev_b32_e32 v77, 16, v71
	v_lshrrev_b32_e32 v75, 16, v73
	s_wait_alu 0xf1ff
	v_cndmask_b32_e64 v101, v110, v111, s0
	v_cmp_u_f32_e64 s0, v79, v79
	v_lshrrev_b32_e32 v79, 16, v70
	v_lshrrev_b32_e32 v73, 16, v13
	;; [unrolled: 1-line block ×4, first 2 shown]
	s_wait_alu 0xf1ff
	v_cndmask_b32_e64 v102, v112, v113, s0
	v_cmp_u_f32_e64 s0, v14, v14
	s_delay_alu instid0(VALU_DEP_2) | instskip(SKIP_1) | instid1(VALU_DEP_2)
	v_lshrrev_b32_e32 v14, 16, v102
	s_wait_alu 0xf1ff
	v_cndmask_b32_e64 v103, v114, v115, s0
	s_delay_alu instid0(VALU_DEP_1)
	v_lshrrev_b32_e32 v13, 16, v103
	s_and_saveexec_b32 s0, vcc_lo
	s_cbranch_execz .LBB346_32
; %bb.48:                               ;   in Loop: Header=BB346_33 Depth=1
	v_cmp_gt_i32_e32 vcc_lo, s67, v55
	s_wait_alu 0xfffd
	v_cndmask_b32_e32 v79, 0, v79, vcc_lo
	v_cmp_gt_i32_e32 vcc_lo, s67, v60
	s_wait_alu 0xfffd
	v_cndmask_b32_e32 v77, 0, v77, vcc_lo
	;; [unrolled: 3-line block ×8, first 2 shown]
	s_branch .LBB346_32
.LBB346_49:
	s_or_b32 exec_lo, exec_lo, s8
.LBB346_50:
	s_wait_alu 0xfffe
	s_or_b32 exec_lo, exec_lo, s1
	ds_bpermute_b32 v1, v20, v27
	ds_bpermute_b32 v2, v20, v28
	;; [unrolled: 1-line block ×8, first 2 shown]
	v_lshrrev_b32_e32 v9, 1, v19
	v_lshlrev_b32_e32 v11, 9, v17
	v_and_b32_e32 v17, 0x3c1, v0
	s_mov_b32 s0, exec_lo
	s_wait_storecnt 0x0
	s_wait_loadcnt_dscnt 0x0
	v_lshl_add_u32 v10, v9, 2, 0x120
	s_barrier_signal -1
	s_barrier_wait -1
	global_inv scope:SCOPE_SE
	v_dual_add_f32 v8, v27, v1 :: v_dual_add_f32 v7, v28, v2
	v_dual_add_f32 v6, v26, v3 :: v_dual_add_f32 v5, v25, v4
	;; [unrolled: 1-line block ×3, first 2 shown]
	v_add_f32_e32 v2, v22, v14
	v_add_f32_e32 v1, v21, v18
	v_cmpx_eq_u32_e32 64, v17
	s_cbranch_execz .LBB346_52
; %bb.51:
	v_add_nc_u32_e32 v12, v10, v11
	s_delay_alu instid0(VALU_DEP_1)
	v_add_nc_u32_e32 v13, 0xfffffc00, v12
	v_add_nc_u32_e32 v14, 0xfffffc40, v12
	;; [unrolled: 1-line block ×8, first 2 shown]
	ds_store_b32 v13, v8
	ds_store_b32 v14, v7
	ds_store_b32 v17, v6
	ds_store_b32 v18, v5
	ds_store_b32 v19, v4
	ds_store_b32 v20, v3
	ds_store_b32 v21, v2
	ds_store_b32 v12, v1
.LBB346_52:
	s_wait_alu 0xfffe
	s_or_b32 exec_lo, exec_lo, s0
	v_lshlrev_b32_e32 v9, 2, v9
	s_mov_b32 s1, exec_lo
	v_cmp_eq_u32_e32 vcc_lo, 0, v16
	s_wait_loadcnt_dscnt 0x0
	s_barrier_signal -1
	v_add3_u32 v9, 0x120, v11, v9
	s_barrier_wait -1
	global_inv scope:SCOPE_SE
	v_cmpx_gt_u32_e32 64, v0
	s_cbranch_execz .LBB346_63
; %bb.53:
	s_and_saveexec_b32 s0, vcc_lo
	s_cbranch_execnz .LBB346_79
; %bb.54:
	s_wait_alu 0xfffe
	s_or_b32 exec_lo, exec_lo, s0
	s_and_saveexec_b32 s0, vcc_lo
	s_cbranch_execnz .LBB346_80
.LBB346_55:
	s_wait_alu 0xfffe
	s_or_b32 exec_lo, exec_lo, s0
	s_and_saveexec_b32 s0, vcc_lo
	s_cbranch_execnz .LBB346_81
.LBB346_56:
	s_wait_alu 0xfffe
	s_or_b32 exec_lo, exec_lo, s0
	s_and_saveexec_b32 s0, vcc_lo
	s_cbranch_execnz .LBB346_82
.LBB346_57:
	s_wait_alu 0xfffe
	s_or_b32 exec_lo, exec_lo, s0
	s_and_saveexec_b32 s0, vcc_lo
	s_cbranch_execnz .LBB346_83
.LBB346_58:
	s_wait_alu 0xfffe
	s_or_b32 exec_lo, exec_lo, s0
	s_and_saveexec_b32 s0, vcc_lo
	s_cbranch_execnz .LBB346_84
.LBB346_59:
	s_wait_alu 0xfffe
	s_or_b32 exec_lo, exec_lo, s0
	s_and_saveexec_b32 s0, vcc_lo
	s_cbranch_execnz .LBB346_85
.LBB346_60:
	s_wait_alu 0xfffe
	s_or_b32 exec_lo, exec_lo, s0
	s_and_saveexec_b32 s0, vcc_lo
	s_cbranch_execz .LBB346_62
.LBB346_61:
	ds_load_b32 v11, v9 offset:448
	s_wait_dscnt 0x0
	v_add_f32_e32 v1, v1, v11
.LBB346_62:
	s_wait_alu 0xfffe
	s_or_b32 exec_lo, exec_lo, s0
.LBB346_63:
	s_wait_alu 0xfffe
	s_or_b32 exec_lo, exec_lo, s1
	v_and_b32_e32 v0, 0x3e1, v0
	s_mov_b32 s1, exec_lo
	s_wait_loadcnt 0x0
	s_barrier_signal -1
	s_barrier_wait -1
	global_inv scope:SCOPE_SE
	v_cmpx_eq_u32_e32 32, v0
	s_cbranch_execz .LBB346_65
; %bb.64:
	ds_store_2addr_b32 v10, v8, v7 offset1:16
	ds_store_2addr_b32 v10, v6, v5 offset0:32 offset1:48
	ds_store_2addr_b32 v10, v4, v3 offset0:64 offset1:80
	ds_store_2addr_b32 v10, v2, v1 offset0:96 offset1:112
.LBB346_65:
	s_wait_alu 0xfffe
	s_or_b32 exec_lo, exec_lo, s1
	s_wait_loadcnt_dscnt 0x0
	s_barrier_signal -1
	s_barrier_wait -1
	global_inv scope:SCOPE_SE
	s_and_saveexec_b32 s0, s2
	s_cbranch_execz .LBB346_76
; %bb.66:
	s_and_saveexec_b32 s1, vcc_lo
	s_cbranch_execnz .LBB346_86
; %bb.67:
	s_wait_alu 0xfffe
	s_or_b32 exec_lo, exec_lo, s1
	s_and_saveexec_b32 s1, vcc_lo
	s_cbranch_execnz .LBB346_87
.LBB346_68:
	s_wait_alu 0xfffe
	s_or_b32 exec_lo, exec_lo, s1
	s_and_saveexec_b32 s1, vcc_lo
	s_cbranch_execnz .LBB346_88
.LBB346_69:
	s_wait_alu 0xfffe
	s_or_b32 exec_lo, exec_lo, s1
	s_and_saveexec_b32 s1, vcc_lo
	s_cbranch_execnz .LBB346_89
.LBB346_70:
	s_wait_alu 0xfffe
	s_or_b32 exec_lo, exec_lo, s1
	s_and_saveexec_b32 s1, vcc_lo
	s_cbranch_execnz .LBB346_90
.LBB346_71:
	s_wait_alu 0xfffe
	s_or_b32 exec_lo, exec_lo, s1
	s_and_saveexec_b32 s1, vcc_lo
	s_cbranch_execnz .LBB346_91
.LBB346_72:
	s_wait_alu 0xfffe
	s_or_b32 exec_lo, exec_lo, s1
	s_and_saveexec_b32 s1, vcc_lo
	s_cbranch_execnz .LBB346_92
.LBB346_73:
	s_wait_alu 0xfffe
	s_or_b32 exec_lo, exec_lo, s1
	s_and_saveexec_b32 s1, vcc_lo
	s_cbranch_execz .LBB346_75
.LBB346_74:
	ds_load_b32 v9, v9 offset:448
	s_wait_dscnt 0x0
	v_add_f32_e32 v1, v1, v9
.LBB346_75:
	s_wait_alu 0xfffe
	s_or_b32 exec_lo, exec_lo, s1
.LBB346_76:
	s_wait_alu 0xfffe
	s_or_b32 exec_lo, exec_lo, s0
	s_mov_b32 s1, 0
	s_wait_loadcnt 0x0
	s_barrier_signal -1
	s_barrier_wait -1
	global_inv scope:SCOPE_SE
	s_mov_b32 s0, exec_lo
	v_cmpx_eq_u32_e32 0, v0
	s_cbranch_execz .LBB346_78
; %bb.77:
	v_bfe_u32 v0, v8, 16, 1
	v_bfe_u32 v9, v7, 16, 1
	v_or_b32_e32 v11, 0x400000, v8
	v_cmp_u_f32_e32 vcc_lo, v8, v8
	v_or_b32_e32 v12, 0x400000, v7
	v_add3_u32 v0, v0, v8, 0x7fff
	v_add3_u32 v9, v9, v7, 0x7fff
	v_bfe_u32 v13, v6, 16, 1
	v_or_b32_e32 v14, 0x400000, v1
	v_bfe_u32 v8, v5, 16, 1
	s_wait_alu 0xfffd
	v_cndmask_b32_e32 v0, v0, v11, vcc_lo
	v_cmp_u_f32_e32 vcc_lo, v7, v7
	v_lshlrev_b32_e32 v10, 1, v15
	v_or_b32_e32 v11, 0x400000, v6
	v_add3_u32 v8, v8, v5, 0x7fff
	s_lshl_b32 s2, s4, 7
	s_wait_alu 0xfffd
	v_cndmask_b32_e32 v7, v9, v12, vcc_lo
	v_add3_u32 v9, v13, v6, 0x7fff
	v_cmp_u_f32_e32 vcc_lo, v6, v6
	v_bfe_u32 v12, v4, 16, 1
	v_or_b32_e32 v13, 0x400000, v5
	s_mul_i32 s4, s56, s60
	s_wait_alu 0xfffe
	s_ashr_i32 s3, s2, 31
	s_wait_alu 0xfffd
	v_cndmask_b32_e32 v6, v9, v11, vcc_lo
	v_cmp_u_f32_e32 vcc_lo, v5, v5
	v_add3_u32 v9, v12, v4, 0x7fff
	v_or_b32_e32 v11, 0x400000, v4
	v_bfe_u32 v12, v2, 16, 1
	s_ashr_i32 s5, s4, 31
	s_wait_alu 0xfffd
	v_cndmask_b32_e32 v5, v8, v13, vcc_lo
	v_bfe_u32 v8, v3, 16, 1
	v_cmp_u_f32_e32 vcc_lo, v4, v4
	v_add3_u32 v12, v12, v2, 0x7fff
	v_or_b32_e32 v13, 0x400000, v2
	s_wait_alu 0xfffe
	s_lshl_b64 s[2:3], s[2:3], 1
	v_add3_u32 v8, v8, v3, 0x7fff
	s_wait_alu 0xfffd
	v_cndmask_b32_e32 v4, v9, v11, vcc_lo
	v_or_b32_e32 v11, 0x400000, v3
	v_cmp_u_f32_e32 vcc_lo, v3, v3
	v_bfe_u32 v9, v1, 16, 1
	s_lshl_b64 s[4:5], s[4:5], 1
	s_wait_alu 0xfffe
	s_add_nc_u64 s[2:3], s[6:7], s[2:3]
	s_lshl_b32 s0, s66, 8
	s_wait_alu 0xfffd
	v_cndmask_b32_e32 v3, v8, v11, vcc_lo
	v_cmp_u_f32_e32 vcc_lo, v2, v2
	v_add3_u32 v9, v9, v1, 0x7fff
	s_wait_alu 0xfffe
	s_add_nc_u64 s[2:3], s[2:3], s[4:5]
	s_wait_alu 0xfffe
	s_add_nc_u64 s[0:1], s[2:3], s[0:1]
	s_wait_alu 0xfffd
	v_cndmask_b32_e32 v2, v12, v13, vcc_lo
	v_cmp_u_f32_e32 vcc_lo, v1, v1
	s_wait_alu 0xfffd
	v_cndmask_b32_e32 v1, v9, v14, vcc_lo
	s_clause 0x7
	global_store_d16_hi_b16 v10, v0, s[0:1]
	global_store_d16_hi_b16 v10, v7, s[0:1] offset:32
	global_store_d16_hi_b16 v10, v6, s[0:1] offset:64
	;; [unrolled: 1-line block ×7, first 2 shown]
.LBB346_78:
	s_nop 0
	s_sendmsg sendmsg(MSG_DEALLOC_VGPRS)
	s_endpgm
.LBB346_79:
	ds_load_b32 v11, v9
	s_wait_dscnt 0x0
	v_add_f32_e32 v8, v8, v11
	s_wait_alu 0xfffe
	s_or_b32 exec_lo, exec_lo, s0
	s_and_saveexec_b32 s0, vcc_lo
	s_cbranch_execz .LBB346_55
.LBB346_80:
	ds_load_b32 v11, v9 offset:64
	s_wait_dscnt 0x0
	v_add_f32_e32 v7, v7, v11
	s_wait_alu 0xfffe
	s_or_b32 exec_lo, exec_lo, s0
	s_and_saveexec_b32 s0, vcc_lo
	s_cbranch_execz .LBB346_56
.LBB346_81:
	ds_load_b32 v11, v9 offset:128
	s_wait_dscnt 0x0
	v_add_f32_e32 v6, v6, v11
	s_wait_alu 0xfffe
	s_or_b32 exec_lo, exec_lo, s0
	s_and_saveexec_b32 s0, vcc_lo
	s_cbranch_execz .LBB346_57
.LBB346_82:
	ds_load_b32 v11, v9 offset:192
	s_wait_dscnt 0x0
	v_add_f32_e32 v5, v5, v11
	s_wait_alu 0xfffe
	s_or_b32 exec_lo, exec_lo, s0
	s_and_saveexec_b32 s0, vcc_lo
	s_cbranch_execz .LBB346_58
.LBB346_83:
	ds_load_b32 v11, v9 offset:256
	s_wait_dscnt 0x0
	v_add_f32_e32 v4, v4, v11
	s_wait_alu 0xfffe
	s_or_b32 exec_lo, exec_lo, s0
	s_and_saveexec_b32 s0, vcc_lo
	s_cbranch_execz .LBB346_59
.LBB346_84:
	ds_load_b32 v11, v9 offset:320
	s_wait_dscnt 0x0
	v_add_f32_e32 v3, v3, v11
	s_wait_alu 0xfffe
	s_or_b32 exec_lo, exec_lo, s0
	s_and_saveexec_b32 s0, vcc_lo
	s_cbranch_execz .LBB346_60
.LBB346_85:
	ds_load_b32 v11, v9 offset:384
	s_wait_dscnt 0x0
	v_add_f32_e32 v2, v2, v11
	s_wait_alu 0xfffe
	s_or_b32 exec_lo, exec_lo, s0
	s_and_saveexec_b32 s0, vcc_lo
	s_cbranch_execnz .LBB346_61
	s_branch .LBB346_62
.LBB346_86:
	ds_load_b32 v10, v9
	s_wait_dscnt 0x0
	v_add_f32_e32 v8, v8, v10
	s_wait_alu 0xfffe
	s_or_b32 exec_lo, exec_lo, s1
	s_and_saveexec_b32 s1, vcc_lo
	s_cbranch_execz .LBB346_68
.LBB346_87:
	ds_load_b32 v10, v9 offset:64
	s_wait_dscnt 0x0
	v_add_f32_e32 v7, v7, v10
	s_wait_alu 0xfffe
	s_or_b32 exec_lo, exec_lo, s1
	s_and_saveexec_b32 s1, vcc_lo
	s_cbranch_execz .LBB346_69
.LBB346_88:
	ds_load_b32 v10, v9 offset:128
	s_wait_dscnt 0x0
	v_add_f32_e32 v6, v6, v10
	s_wait_alu 0xfffe
	s_or_b32 exec_lo, exec_lo, s1
	s_and_saveexec_b32 s1, vcc_lo
	s_cbranch_execz .LBB346_70
.LBB346_89:
	ds_load_b32 v10, v9 offset:192
	s_wait_dscnt 0x0
	v_add_f32_e32 v5, v5, v10
	s_wait_alu 0xfffe
	s_or_b32 exec_lo, exec_lo, s1
	s_and_saveexec_b32 s1, vcc_lo
	s_cbranch_execz .LBB346_71
.LBB346_90:
	ds_load_b32 v10, v9 offset:256
	s_wait_dscnt 0x0
	v_add_f32_e32 v4, v4, v10
	s_wait_alu 0xfffe
	s_or_b32 exec_lo, exec_lo, s1
	s_and_saveexec_b32 s1, vcc_lo
	s_cbranch_execz .LBB346_72
.LBB346_91:
	ds_load_b32 v10, v9 offset:320
	s_wait_dscnt 0x0
	v_add_f32_e32 v3, v3, v10
	s_wait_alu 0xfffe
	s_or_b32 exec_lo, exec_lo, s1
	s_and_saveexec_b32 s1, vcc_lo
	s_cbranch_execz .LBB346_73
.LBB346_92:
	ds_load_b32 v10, v9 offset:384
	s_wait_dscnt 0x0
	v_add_f32_e32 v2, v2, v10
	s_wait_alu 0xfffe
	s_or_b32 exec_lo, exec_lo, s1
	s_and_saveexec_b32 s1, vcc_lo
	s_cbranch_execnz .LBB346_74
	s_branch .LBB346_75
	.section	.rodata,"a",@progbits
	.p2align	6, 0x0
	.amdhsa_kernel _ZN4vllm25paged_attention_v2_kernelI14__hip_bfloat16hLi128ELi16ELi128ELNS_18Fp8KVCacheDataTypeE1ELb0ELi512EEEvPfS3_PT_PKS4_PKT0_SA_ifPKiSC_iPKfiiiSE_SE_iiiii
		.amdhsa_group_segment_fixed_size 288
		.amdhsa_private_segment_fixed_size 0
		.amdhsa_kernarg_size 400
		.amdhsa_user_sgpr_count 2
		.amdhsa_user_sgpr_dispatch_ptr 0
		.amdhsa_user_sgpr_queue_ptr 0
		.amdhsa_user_sgpr_kernarg_segment_ptr 1
		.amdhsa_user_sgpr_dispatch_id 0
		.amdhsa_user_sgpr_private_segment_size 0
		.amdhsa_wavefront_size32 1
		.amdhsa_uses_dynamic_stack 0
		.amdhsa_enable_private_segment 0
		.amdhsa_system_sgpr_workgroup_id_x 1
		.amdhsa_system_sgpr_workgroup_id_y 1
		.amdhsa_system_sgpr_workgroup_id_z 1
		.amdhsa_system_sgpr_workgroup_info 0
		.amdhsa_system_vgpr_workitem_id 0
		.amdhsa_next_free_vgpr 180
		.amdhsa_next_free_sgpr 76
		.amdhsa_reserve_vcc 1
		.amdhsa_float_round_mode_32 0
		.amdhsa_float_round_mode_16_64 0
		.amdhsa_float_denorm_mode_32 3
		.amdhsa_float_denorm_mode_16_64 3
		.amdhsa_fp16_overflow 0
		.amdhsa_workgroup_processor_mode 1
		.amdhsa_memory_ordered 1
		.amdhsa_forward_progress 1
		.amdhsa_inst_pref_size 160
		.amdhsa_round_robin_scheduling 0
		.amdhsa_exception_fp_ieee_invalid_op 0
		.amdhsa_exception_fp_denorm_src 0
		.amdhsa_exception_fp_ieee_div_zero 0
		.amdhsa_exception_fp_ieee_overflow 0
		.amdhsa_exception_fp_ieee_underflow 0
		.amdhsa_exception_fp_ieee_inexact 0
		.amdhsa_exception_int_div_zero 0
	.end_amdhsa_kernel
	.section	.text._ZN4vllm25paged_attention_v2_kernelI14__hip_bfloat16hLi128ELi16ELi128ELNS_18Fp8KVCacheDataTypeE1ELb0ELi512EEEvPfS3_PT_PKS4_PKT0_SA_ifPKiSC_iPKfiiiSE_SE_iiiii,"axG",@progbits,_ZN4vllm25paged_attention_v2_kernelI14__hip_bfloat16hLi128ELi16ELi128ELNS_18Fp8KVCacheDataTypeE1ELb0ELi512EEEvPfS3_PT_PKS4_PKT0_SA_ifPKiSC_iPKfiiiSE_SE_iiiii,comdat
.Lfunc_end346:
	.size	_ZN4vllm25paged_attention_v2_kernelI14__hip_bfloat16hLi128ELi16ELi128ELNS_18Fp8KVCacheDataTypeE1ELb0ELi512EEEvPfS3_PT_PKS4_PKT0_SA_ifPKiSC_iPKfiiiSE_SE_iiiii, .Lfunc_end346-_ZN4vllm25paged_attention_v2_kernelI14__hip_bfloat16hLi128ELi16ELi128ELNS_18Fp8KVCacheDataTypeE1ELb0ELi512EEEvPfS3_PT_PKS4_PKT0_SA_ifPKiSC_iPKfiiiSE_SE_iiiii
                                        ; -- End function
	.set _ZN4vllm25paged_attention_v2_kernelI14__hip_bfloat16hLi128ELi16ELi128ELNS_18Fp8KVCacheDataTypeE1ELb0ELi512EEEvPfS3_PT_PKS4_PKT0_SA_ifPKiSC_iPKfiiiSE_SE_iiiii.num_vgpr, 180
	.set _ZN4vllm25paged_attention_v2_kernelI14__hip_bfloat16hLi128ELi16ELi128ELNS_18Fp8KVCacheDataTypeE1ELb0ELi512EEEvPfS3_PT_PKS4_PKT0_SA_ifPKiSC_iPKfiiiSE_SE_iiiii.num_agpr, 0
	.set _ZN4vllm25paged_attention_v2_kernelI14__hip_bfloat16hLi128ELi16ELi128ELNS_18Fp8KVCacheDataTypeE1ELb0ELi512EEEvPfS3_PT_PKS4_PKT0_SA_ifPKiSC_iPKfiiiSE_SE_iiiii.numbered_sgpr, 76
	.set _ZN4vllm25paged_attention_v2_kernelI14__hip_bfloat16hLi128ELi16ELi128ELNS_18Fp8KVCacheDataTypeE1ELb0ELi512EEEvPfS3_PT_PKS4_PKT0_SA_ifPKiSC_iPKfiiiSE_SE_iiiii.num_named_barrier, 0
	.set _ZN4vllm25paged_attention_v2_kernelI14__hip_bfloat16hLi128ELi16ELi128ELNS_18Fp8KVCacheDataTypeE1ELb0ELi512EEEvPfS3_PT_PKS4_PKT0_SA_ifPKiSC_iPKfiiiSE_SE_iiiii.private_seg_size, 0
	.set _ZN4vllm25paged_attention_v2_kernelI14__hip_bfloat16hLi128ELi16ELi128ELNS_18Fp8KVCacheDataTypeE1ELb0ELi512EEEvPfS3_PT_PKS4_PKT0_SA_ifPKiSC_iPKfiiiSE_SE_iiiii.uses_vcc, 1
	.set _ZN4vllm25paged_attention_v2_kernelI14__hip_bfloat16hLi128ELi16ELi128ELNS_18Fp8KVCacheDataTypeE1ELb0ELi512EEEvPfS3_PT_PKS4_PKT0_SA_ifPKiSC_iPKfiiiSE_SE_iiiii.uses_flat_scratch, 0
	.set _ZN4vllm25paged_attention_v2_kernelI14__hip_bfloat16hLi128ELi16ELi128ELNS_18Fp8KVCacheDataTypeE1ELb0ELi512EEEvPfS3_PT_PKS4_PKT0_SA_ifPKiSC_iPKfiiiSE_SE_iiiii.has_dyn_sized_stack, 0
	.set _ZN4vllm25paged_attention_v2_kernelI14__hip_bfloat16hLi128ELi16ELi128ELNS_18Fp8KVCacheDataTypeE1ELb0ELi512EEEvPfS3_PT_PKS4_PKT0_SA_ifPKiSC_iPKfiiiSE_SE_iiiii.has_recursion, 0
	.set _ZN4vllm25paged_attention_v2_kernelI14__hip_bfloat16hLi128ELi16ELi128ELNS_18Fp8KVCacheDataTypeE1ELb0ELi512EEEvPfS3_PT_PKS4_PKT0_SA_ifPKiSC_iPKfiiiSE_SE_iiiii.has_indirect_call, 0
	.section	.AMDGPU.csdata,"",@progbits
; Kernel info:
; codeLenInByte = 20460
; TotalNumSgprs: 78
; NumVgprs: 180
; ScratchSize: 0
; MemoryBound: 0
; FloatMode: 240
; IeeeMode: 1
; LDSByteSize: 288 bytes/workgroup (compile time only)
; SGPRBlocks: 0
; VGPRBlocks: 22
; NumSGPRsForWavesPerEU: 78
; NumVGPRsForWavesPerEU: 180
; Occupancy: 8
; WaveLimiterHint : 1
; COMPUTE_PGM_RSRC2:SCRATCH_EN: 0
; COMPUTE_PGM_RSRC2:USER_SGPR: 2
; COMPUTE_PGM_RSRC2:TRAP_HANDLER: 0
; COMPUTE_PGM_RSRC2:TGID_X_EN: 1
; COMPUTE_PGM_RSRC2:TGID_Y_EN: 1
; COMPUTE_PGM_RSRC2:TGID_Z_EN: 1
; COMPUTE_PGM_RSRC2:TIDIG_COMP_CNT: 0
	.section	.text._ZN4vllm25paged_attention_v2_kernelI14__hip_bfloat16hLi192ELi16ELi128ELNS_18Fp8KVCacheDataTypeE1ELb0ELi512EEEvPfS3_PT_PKS4_PKT0_SA_ifPKiSC_iPKfiiiSE_SE_iiiii,"axG",@progbits,_ZN4vllm25paged_attention_v2_kernelI14__hip_bfloat16hLi192ELi16ELi128ELNS_18Fp8KVCacheDataTypeE1ELb0ELi512EEEvPfS3_PT_PKS4_PKT0_SA_ifPKiSC_iPKfiiiSE_SE_iiiii,comdat
	.protected	_ZN4vllm25paged_attention_v2_kernelI14__hip_bfloat16hLi192ELi16ELi128ELNS_18Fp8KVCacheDataTypeE1ELb0ELi512EEEvPfS3_PT_PKS4_PKT0_SA_ifPKiSC_iPKfiiiSE_SE_iiiii ; -- Begin function _ZN4vllm25paged_attention_v2_kernelI14__hip_bfloat16hLi192ELi16ELi128ELNS_18Fp8KVCacheDataTypeE1ELb0ELi512EEEvPfS3_PT_PKS4_PKT0_SA_ifPKiSC_iPKfiiiSE_SE_iiiii
	.globl	_ZN4vllm25paged_attention_v2_kernelI14__hip_bfloat16hLi192ELi16ELi128ELNS_18Fp8KVCacheDataTypeE1ELb0ELi512EEEvPfS3_PT_PKS4_PKT0_SA_ifPKiSC_iPKfiiiSE_SE_iiiii
	.p2align	8
	.type	_ZN4vllm25paged_attention_v2_kernelI14__hip_bfloat16hLi192ELi16ELi128ELNS_18Fp8KVCacheDataTypeE1ELb0ELi512EEEvPfS3_PT_PKS4_PKT0_SA_ifPKiSC_iPKfiiiSE_SE_iiiii,@function
_ZN4vllm25paged_attention_v2_kernelI14__hip_bfloat16hLi192ELi16ELi128ELNS_18Fp8KVCacheDataTypeE1ELb0ELi512EEEvPfS3_PT_PKS4_PKT0_SA_ifPKiSC_iPKfiiiSE_SE_iiiii: ; @_ZN4vllm25paged_attention_v2_kernelI14__hip_bfloat16hLi192ELi16ELi128ELNS_18Fp8KVCacheDataTypeE1ELb0ELi512EEEvPfS3_PT_PKS4_PKT0_SA_ifPKiSC_iPKfiiiSE_SE_iiiii
; %bb.0:
	s_load_b64 s[2:3], s[0:1], 0x40
	s_and_b32 s15, ttmp7, 0xffff
	s_lshr_b32 s26, ttmp7, 16
	s_lshl_b32 s4, s15, 2
	s_lshl_b32 s28, s26, 9
	s_wait_kmcnt 0x0
	s_load_b32 s27, s[2:3], s4 offset:0x0
	s_wait_kmcnt 0x0
	s_cmp_ge_i32 s28, s27
	s_cbranch_scc1 .LBB347_94
; %bb.1:
	s_clause 0x1
	s_load_b32 s29, s[0:1], 0x90
	s_load_b64 s[8:9], s[0:1], 0x30
	v_mov_b32_e32 v149, v0
	s_wait_kmcnt 0x0
	s_abs_i32 s5, s29
	s_abs_i32 s2, s8
	s_delay_alu instid0(SALU_CYCLE_1) | instskip(SKIP_1) | instid1(SALU_CYCLE_2)
	s_cvt_f32_u32 s3, s2
	s_sub_co_i32 s4, 0, s2
	v_rcp_iflag_f32_e32 v0, s3
	s_delay_alu instid0(TRANS32_DEP_1) | instskip(SKIP_2) | instid1(SALU_CYCLE_2)
	v_readfirstlane_b32 s3, v0
	s_mul_f32 s3, s3, 0x4f7ffffe
	s_wait_alu 0xfffe
	s_cvt_u32_f32 s3, s3
	s_wait_alu 0xfffe
	s_delay_alu instid0(SALU_CYCLE_2) | instskip(NEXT) | instid1(SALU_CYCLE_1)
	s_mul_i32 s4, s4, s3
	s_mul_hi_u32 s4, s3, s4
	s_delay_alu instid0(SALU_CYCLE_1)
	s_add_co_i32 s3, s3, s4
	s_xor_b32 s4, s29, s8
	s_wait_alu 0xfffe
	s_mul_hi_u32 s3, s5, s3
	s_ashr_i32 s4, s4, 31
	s_wait_alu 0xfffe
	s_mul_i32 s6, s3, s2
	s_delay_alu instid0(SALU_CYCLE_1)
	s_sub_co_i32 s5, s5, s6
	s_add_co_i32 s6, s3, 1
	s_sub_co_i32 s7, s5, s2
	s_cmp_ge_u32 s5, s2
	s_cselect_b32 s3, s6, s3
	s_cselect_b32 s5, s7, s5
	s_wait_alu 0xfffe
	s_add_co_i32 s6, s3, 1
	s_cmp_ge_u32 s5, s2
	s_cselect_b32 s2, s6, s3
	s_load_b64 s[6:7], s[0:1], 0x50
	s_xor_b32 s2, s2, s4
	s_mov_b32 s3, 0
	s_wait_alu 0xfffe
	s_sub_co_i32 s11, s2, s4
	s_mov_b32 s8, s3
	s_abs_i32 s10, s11
	s_delay_alu instid0(SALU_CYCLE_1) | instskip(SKIP_1) | instid1(SALU_CYCLE_2)
	s_cvt_f32_u32 s2, s10
	s_wait_alu 0xfffe
	v_rcp_iflag_f32_e32 v0, s2
	s_delay_alu instid0(TRANS32_DEP_1) | instskip(SKIP_2) | instid1(SALU_CYCLE_2)
	v_readfirstlane_b32 s2, v0
	s_mul_f32 s2, s2, 0x4f7ffffe
	s_wait_alu 0xfffe
	s_cvt_u32_f32 s4, s2
	s_sub_co_i32 s2, 0, s10
	s_wait_alu 0xfffe
	s_delay_alu instid0(SALU_CYCLE_1)
	s_mul_i32 s2, s2, s4
	s_wait_alu 0xfffe
	s_mul_hi_u32 s5, s4, s2
	s_abs_i32 s2, ttmp9
	s_add_co_i32 s4, s4, s5
	s_mov_b32 s5, s3
	s_wait_kmcnt 0x0
	s_cmp_eq_u64 s[6:7], 0
	s_cbranch_scc1 .LBB347_3
; %bb.2:
	s_mov_b32 s12, ttmp9
	s_ashr_i32 s13, ttmp9, 31
	s_delay_alu instid0(SALU_CYCLE_1) | instskip(NEXT) | instid1(SALU_CYCLE_1)
	s_lshl_b64 s[12:13], s[12:13], 2
	s_add_nc_u64 s[6:7], s[6:7], s[12:13]
	s_load_b32 s8, s[6:7], 0x0
.LBB347_3:
	s_load_b96 s[12:14], s[0:1], 0x58
	v_lshrrev_b32_e32 v148, 1, v149
	v_and_b32_e32 v150, 1, v149
	v_lshlrev_b32_e32 v12, 3, v149
	s_mul_u64 s[4:5], s[2:3], s[4:5]
	s_ashr_i32 s3, ttmp9, 31
	s_ashr_i32 s4, s11, 31
	s_mul_i32 s16, ttmp9, 0xc0
	s_mov_b32 s6, exec_lo
	v_cmpx_gt_u32_e32 48, v149
	s_cbranch_execz .LBB347_5
; %bb.4:
	s_load_b64 s[18:19], s[0:1], 0x18
	s_wait_kmcnt 0x0
	s_mul_i32 s20, s12, s15
	s_ashr_i32 s17, s16, 31
	s_ashr_i32 s21, s20, 31
	v_lshlrev_b32_e32 v2, 3, v148
	s_lshl_b64 s[20:21], s[20:21], 1
	s_delay_alu instid0(VALU_DEP_1) | instskip(SKIP_2) | instid1(SALU_CYCLE_1)
	v_mad_u32_u24 v2, 0xc0, v150, v2
	s_add_nc_u64 s[18:19], s[18:19], s[20:21]
	s_lshl_b64 s[20:21], s[16:17], 1
	s_add_nc_u64 s[18:19], s[18:19], s[20:21]
	global_load_b64 v[0:1], v12, s[18:19]
	s_wait_loadcnt 0x0
	ds_store_b64 v2, v[0:1]
.LBB347_5:
	s_or_b32 exec_lo, exec_lo, s6
	s_add_co_i32 s6, s27, 15
	s_wait_alu 0xfffe
	s_xor_b32 s3, s3, s4
	s_ashr_i32 s7, s6, 31
	s_lshl_b32 s31, s26, 5
	s_lshr_b32 s4, s7, 28
	s_mul_i32 s7, s5, s10
	s_add_co_i32 s6, s6, s4
	s_add_co_i32 s4, s31, 32
	s_ashr_i32 s30, s6, 4
	s_load_b32 s6, s[0:1], 0x48
	s_sub_co_i32 s2, s2, s7
	s_min_i32 s17, s4, s30
	s_add_co_i32 s4, s5, 1
	s_wait_alu 0xfffe
	s_sub_co_i32 s7, s2, s10
	s_cmp_ge_u32 s2, s10
	v_lshrrev_b32_e32 v151, 5, v149
	s_cselect_b32 s4, s4, s5
	s_cselect_b32 s2, s7, s2
	s_add_co_i32 s5, s4, 1
	s_wait_alu 0xfffe
	s_cmp_ge_u32 s2, s10
	v_or_b32_e32 v18, s31, v151
	s_cselect_b32 s2, s5, s4
	v_mbcnt_lo_u32_b32 v21, -1, 0
	s_wait_alu 0xfffe
	s_xor_b32 s2, s2, s3
	s_mov_b32 s4, exec_lo
	s_wait_alu 0xfffe
	s_sub_co_i32 s3, s2, s3
	v_cmp_gt_i32_e64 s2, s17, v18
	s_wait_dscnt 0x0
	s_barrier_signal -1
	s_wait_kmcnt 0x0
	s_mul_i32 s18, s6, s15
	s_barrier_wait -1
	s_ashr_i32 s19, s18, 31
	global_inv scope:SCOPE_SE
                                        ; implicit-def: $vgpr9
                                        ; implicit-def: $vgpr10
	v_cmpx_le_i32_e64 s17, v18
	s_xor_b32 s4, exec_lo, s4
; %bb.6:
	v_dual_mov_b32 v9, 0 :: v_dual_mov_b32 v10, 32
	v_mbcnt_lo_u32_b32 v21, -1, 0
; %bb.7:
	s_or_saveexec_b32 s10, s4
	s_clause 0x2
	s_load_b32 s12, s[0:1], 0x98
	s_load_b64 s[20:21], s[0:1], 0x38
	s_load_b128 s[4:7], s[0:1], 0x68
	v_dual_mov_b32 v112, 0xff7fffff :: v_dual_lshlrev_b32 v17, 2, v18
	s_mul_i32 s22, s3, s14
	s_xor_b32 exec_lo, exec_lo, s10
	s_cbranch_execz .LBB347_13
; %bb.8:
	v_mul_u32_u24_e32 v16, 0xc0, v150
	scratch_store_b32 off, v12, off offset:60 ; 4-byte Folded Spill
	s_load_b64 s[24:25], s[0:1], 0x20
	s_ashr_i32 s23, s22, 31
	s_cmp_neq_f32 s8, 0
	ds_load_b128 v[0:3], v16
	ds_load_b128 v[4:7], v16 offset:16
	ds_load_b128 v[8:11], v16 offset:32
	;; [unrolled: 1-line block ×4, first 2 shown]
	s_wait_kmcnt 0x0
	s_load_b32 s11, s[4:5], 0x0
	s_mov_b32 s14, 0
	v_mov_b32_e32 v112, 0xff7fffff
	v_mov_b32_e32 v116, v18
	s_clause 0x3
	scratch_store_b32 off, v149, off offset:48
	scratch_store_b32 off, v150, off offset:52
	;; [unrolled: 1-line block ×4, first 2 shown]
	s_wait_dscnt 0x4
	v_lshlrev_b32_e32 v19, 16, v0
	v_and_b32_e32 v0, 0xffff0000, v0
	s_wait_dscnt 0x3
	v_lshlrev_b32_e32 v26, 16, v6
	v_and_b32_e32 v27, 0xffff0000, v6
	v_lshlrev_b32_e32 v28, 16, v7
	s_clause 0x1
	scratch_store_b32 off, v19, off
	scratch_store_b32 off, v0, off offset:4
	v_lshlrev_b32_e32 v0, 16, v1
	v_and_b32_e32 v29, 0xffff0000, v7
	s_wait_dscnt 0x2
	v_lshlrev_b32_e32 v30, 16, v8
	v_and_b32_e32 v31, 0xffff0000, v8
	v_lshlrev_b32_e32 v32, 16, v9
	scratch_store_b32 off, v0, off offset:8 ; 4-byte Folded Spill
	v_and_b32_e32 v0, 0xffff0000, v1
	v_and_b32_e32 v33, 0xffff0000, v9
	v_lshlrev_b32_e32 v34, 16, v10
	v_and_b32_e32 v35, 0xffff0000, v10
	v_lshlrev_b32_e32 v36, 16, v11
	scratch_store_b32 off, v0, off offset:12 ; 4-byte Folded Spill
	v_lshlrev_b32_e32 v0, 16, v2
	v_and_b32_e32 v37, 0xffff0000, v11
	ds_load_b128 v[8:11], v16 offset:112
	s_wait_dscnt 0x2
	v_lshlrev_b32_e32 v38, 16, v12
	v_and_b32_e32 v39, 0xffff0000, v12
	scratch_store_b32 off, v0, off offset:16 ; 4-byte Folded Spill
	v_and_b32_e32 v0, 0xffff0000, v2
	v_lshlrev_b32_e32 v40, 16, v13
	v_and_b32_e32 v41, 0xffff0000, v13
	v_lshlrev_b32_e32 v42, 16, v14
	v_and_b32_e32 v43, 0xffff0000, v14
	scratch_store_b32 off, v0, off offset:20 ; 4-byte Folded Spill
	v_lshlrev_b32_e32 v0, 16, v3
	v_lshlrev_b32_e32 v44, 16, v15
	v_and_b32_e32 v45, 0xffff0000, v15
	ds_load_b128 v[12:15], v16 offset:128
	s_add_nc_u64 s[24:25], s[24:25], s[22:23]
	scratch_store_b32 off, v0, off offset:24 ; 4-byte Folded Spill
	v_and_b32_e32 v0, 0xffff0000, v3
	s_wait_dscnt 0x2
	v_lshlrev_b32_e32 v46, 16, v50
	v_and_b32_e32 v47, 0xffff0000, v50
	v_lshlrev_b32_e32 v48, 16, v51
	s_wait_dscnt 0x1
	v_lshlrev_b32_e32 v72, 16, v8
	scratch_store_b32 off, v0, off offset:28 ; 4-byte Folded Spill
	v_lshlrev_b32_e32 v0, 16, v4
	v_and_b32_e32 v73, 0xffff0000, v8
	v_lshlrev_b32_e32 v74, 16, v9
	v_and_b32_e32 v75, 0xffff0000, v9
	v_lshlrev_b32_e32 v76, 16, v10
	scratch_store_b32 off, v0, off offset:32 ; 4-byte Folded Spill
	v_and_b32_e32 v0, 0xffff0000, v4
	v_and_b32_e32 v77, 0xffff0000, v10
	v_lshlrev_b32_e32 v78, 16, v11
	v_and_b32_e32 v79, 0xffff0000, v11
	ds_load_b128 v[8:11], v16 offset:176
	scratch_store_b32 off, v0, off offset:36 ; 4-byte Folded Spill
	v_lshlrev_b32_e32 v0, 16, v5
	v_and_b32_e32 v49, 0xffff0000, v51
	v_lshlrev_b32_e32 v50, 16, v52
	v_and_b32_e32 v51, 0xffff0000, v52
	v_lshlrev_b32_e32 v52, 16, v53
	scratch_store_b32 off, v0, off offset:40 ; 4-byte Folded Spill
	v_and_b32_e32 v0, 0xffff0000, v5
	ds_load_b128 v[4:7], v16 offset:96
	v_and_b32_e32 v53, 0xffff0000, v53
	s_wait_dscnt 0x2
	v_lshlrev_b32_e32 v80, 16, v12
	v_and_b32_e32 v81, 0xffff0000, v12
	scratch_store_b32 off, v0, off offset:44 ; 4-byte Folded Spill
	ds_load_b128 v[0:3], v16 offset:80
	v_lshlrev_b32_e32 v82, 16, v13
	v_and_b32_e32 v83, 0xffff0000, v13
	v_lshlrev_b32_e32 v84, 16, v14
	v_and_b32_e32 v85, 0xffff0000, v14
	;; [unrolled: 2-line block ×3, first 2 shown]
	s_wait_dscnt 0x2
	v_lshlrev_b32_e32 v104, 16, v8
	v_and_b32_e32 v105, 0xffff0000, v8
	v_lshlrev_b32_e32 v106, 16, v9
	v_and_b32_e32 v107, 0xffff0000, v9
	;; [unrolled: 2-line block ×4, first 2 shown]
	s_wait_dscnt 0x1
	v_lshlrev_b32_e32 v63, 16, v4
	v_and_b32_e32 v64, 0xffff0000, v4
	v_lshlrev_b32_e32 v65, 16, v5
	v_and_b32_e32 v66, 0xffff0000, v5
	v_lshlrev_b32_e32 v67, 16, v6
	s_wait_dscnt 0x0
	v_lshlrev_b32_e32 v54, 16, v0
	v_and_b32_e32 v55, 0xffff0000, v0
	v_lshlrev_b32_e32 v56, 16, v1
	v_and_b32_e32 v57, 0xffff0000, v1
	;; [unrolled: 2-line block ×4, first 2 shown]
	ds_load_b128 v[0:3], v16 offset:144
	v_and_b32_e32 v69, 0xffff0000, v6
	v_lshlrev_b32_e32 v70, 16, v7
	v_and_b32_e32 v71, 0xffff0000, v7
	ds_load_b128 v[4:7], v16 offset:160
	s_mov_b32 s23, s13
	s_wait_dscnt 0x1
	v_lshlrev_b32_e32 v88, 16, v0
	v_and_b32_e32 v89, 0xffff0000, v0
	v_bfe_u32 v0, v149, 1, 4
	v_lshlrev_b32_e32 v90, 16, v1
	v_and_b32_e32 v91, 0xffff0000, v1
	v_lshlrev_b32_e32 v92, 16, v2
	v_and_b32_e32 v93, 0xffff0000, v2
	v_lshlrev_b32_e32 v1, 4, v0
	v_lshlrev_b32_e32 v2, 2, v150
	;; [unrolled: 1-line block ×3, first 2 shown]
	v_and_b32_e32 v95, 0xffff0000, v3
	s_wait_dscnt 0x0
	v_lshlrev_b32_e32 v96, 16, v4
	v_add_co_u32 v1, s3, s24, v1
	v_and_b32_e32 v97, 0xffff0000, v4
	s_wait_alu 0xf1ff
	v_add_co_ci_u32_e64 v3, null, s25, 0, s3
	v_xor_b32_e32 v4, 1, v21
	v_add_co_u32 v1, vcc_lo, v1, v2
	v_lshlrev_b32_e32 v98, 16, v5
	v_and_b32_e32 v99, 0xffff0000, v5
	v_lshlrev_b32_e32 v5, 4, v151
	v_add_co_ci_u32_e64 v2, null, 0, v3, vcc_lo
	v_lshlrev_b32_e32 v3, 2, v0
	v_cmp_gt_i32_e32 vcc_lo, 32, v4
	s_cselect_b32 s3, -1, 0
	s_lshl_b64 s[4:5], s[18:19], 2
	v_add3_u32 v113, s28, v5, v0
	v_lshl_or_b32 v0, v151, 6, v3
	s_wait_alu 0xfffd
	v_cndmask_b32_e32 v4, v21, v4, vcc_lo
	s_add_nc_u64 s[4:5], s[20:21], s[4:5]
	v_lshlrev_b32_e32 v100, 16, v6
	v_add_co_u32 v3, s4, s4, v17
	v_and_b32_e32 v101, 0xffff0000, v6
	v_lshlrev_b32_e32 v102, 16, v7
	v_and_b32_e32 v103, 0xffff0000, v7
	v_lshlrev_b32_e32 v114, 2, v4
	v_add_nc_u32_e32 v115, 0x1a0, v0
	s_wait_alu 0xf1ff
	v_add_co_ci_u32_e64 v4, null, s5, 0, s4
	s_sub_co_i32 s24, 1, s27
	v_cmp_eq_u32_e32 vcc_lo, 0, v150
	s_branch .LBB347_10
.LBB347_9:                              ;   in Loop: Header=BB347_10 Depth=1
	s_wait_alu 0xfffe
	s_or_b32 exec_lo, exec_lo, s5
	v_add_nc_u32_e32 v116, 4, v116
	v_add_co_u32 v3, s5, v3, 16
	v_add_nc_u32_e32 v113, 64, v113
	v_add_nc_u32_e32 v115, 0x100, v115
	s_delay_alu instid0(VALU_DEP_4) | instskip(SKIP_3) | instid1(SALU_CYCLE_1)
	v_cmp_le_i32_e64 s4, s17, v116
	s_wait_alu 0xf1ff
	v_add_co_ci_u32_e64 v4, null, 0, v4, s5
	s_or_b32 s14, s4, s14
	s_and_not1_b32 exec_lo, exec_lo, s14
	s_cbranch_execz .LBB347_12
.LBB347_10:                             ; =>This Inner Loop Header: Depth=1
	global_load_b32 v0, v[3:4], off
	s_wait_loadcnt_dscnt 0x0
	v_mad_co_i64_i32 v[5:6], null, v0, s23, v[1:2]
	s_clause 0x17
	global_load_b32 v122, v[5:6], off
	global_load_b32 v128, v[5:6], off offset:8
	global_load_b32 v134, v[5:6], off offset:256
	;; [unrolled: 1-line block ×23, first 2 shown]
	s_wait_loadcnt 0x17
	v_and_b32_e32 v0, 0xff, v122
	s_delay_alu instid0(VALU_DEP_1) | instskip(SKIP_1) | instid1(VALU_DEP_1)
	v_cvt_f32_fp8_e32 v0, v0
	s_wait_kmcnt 0x0
	v_mul_f32_e32 v0, s11, v0
	s_delay_alu instid0(VALU_DEP_1) | instskip(SKIP_2) | instid1(VALU_DEP_3)
	v_bfe_u32 v5, v0, 16, 1
	v_or_b32_e32 v7, 0x400000, v0
	v_cmp_u_f32_e64 s4, v0, v0
	v_add3_u32 v5, v5, v0, 0x7fff
	v_bfe_u32 v0, v122, 8, 8
	s_wait_alu 0xf1ff
	s_delay_alu instid0(VALU_DEP_2) | instskip(NEXT) | instid1(VALU_DEP_2)
	v_cndmask_b32_e64 v5, v5, v7, s4
	v_cvt_f32_fp8_e32 v0, v0
	s_delay_alu instid0(VALU_DEP_1) | instskip(NEXT) | instid1(VALU_DEP_1)
	v_dual_mul_f32 v0, s11, v0 :: v_dual_and_b32 v5, 0xffff0000, v5
	v_bfe_u32 v7, v0, 16, 1
	v_or_b32_e32 v8, 0x400000, v0
	v_cmp_u_f32_e64 s4, v0, v0
	s_delay_alu instid0(VALU_DEP_3) | instskip(SKIP_2) | instid1(VALU_DEP_2)
	v_add3_u32 v7, v7, v0, 0x7fff
	v_bfe_u32 v0, v122, 16, 8
	s_wait_alu 0xf1ff
	v_cndmask_b32_e64 v117, v7, v8, s4
	s_delay_alu instid0(VALU_DEP_2) | instskip(NEXT) | instid1(VALU_DEP_1)
	v_cvt_f32_fp8_e32 v0, v0
	v_mul_f32_e32 v0, s11, v0
	s_delay_alu instid0(VALU_DEP_1) | instskip(SKIP_2) | instid1(VALU_DEP_3)
	v_bfe_u32 v7, v0, 16, 1
	v_or_b32_e32 v8, 0x400000, v0
	v_cmp_u_f32_e64 s4, v0, v0
	v_add3_u32 v7, v7, v0, 0x7fff
	v_lshrrev_b32_e32 v0, 24, v122
	s_wait_alu 0xf1ff
	s_delay_alu instid0(VALU_DEP_2) | instskip(NEXT) | instid1(VALU_DEP_2)
	v_cndmask_b32_e64 v120, v7, v8, s4
	v_cvt_f32_fp8_e32 v0, v0
	s_delay_alu instid0(VALU_DEP_1) | instskip(NEXT) | instid1(VALU_DEP_1)
	v_mul_f32_e32 v0, s11, v0
	v_bfe_u32 v7, v0, 16, 1
	v_or_b32_e32 v8, 0x400000, v0
	v_cmp_u_f32_e64 s4, v0, v0
	s_delay_alu instid0(VALU_DEP_3) | instskip(SKIP_3) | instid1(VALU_DEP_2)
	v_add3_u32 v7, v7, v0, 0x7fff
	s_wait_loadcnt 0x16
	v_and_b32_e32 v0, 0xff, v128
	s_wait_alu 0xf1ff
	v_cndmask_b32_e64 v122, v7, v8, s4
	s_delay_alu instid0(VALU_DEP_2) | instskip(NEXT) | instid1(VALU_DEP_1)
	v_cvt_f32_fp8_e32 v0, v0
	v_mul_f32_e32 v0, s11, v0
	s_delay_alu instid0(VALU_DEP_1) | instskip(SKIP_2) | instid1(VALU_DEP_3)
	v_bfe_u32 v7, v0, 16, 1
	v_or_b32_e32 v8, 0x400000, v0
	v_cmp_u_f32_e64 s4, v0, v0
	v_add3_u32 v7, v7, v0, 0x7fff
	v_bfe_u32 v0, v128, 8, 8
	s_wait_alu 0xf1ff
	s_delay_alu instid0(VALU_DEP_2) | instskip(NEXT) | instid1(VALU_DEP_2)
	v_cndmask_b32_e64 v124, v7, v8, s4
	v_cvt_f32_fp8_e32 v0, v0
	s_delay_alu instid0(VALU_DEP_1) | instskip(NEXT) | instid1(VALU_DEP_1)
	v_mul_f32_e32 v0, s11, v0
	v_bfe_u32 v7, v0, 16, 1
	v_or_b32_e32 v8, 0x400000, v0
	v_cmp_u_f32_e64 s4, v0, v0
	s_delay_alu instid0(VALU_DEP_3) | instskip(SKIP_2) | instid1(VALU_DEP_2)
	v_add3_u32 v7, v7, v0, 0x7fff
	v_bfe_u32 v0, v128, 16, 8
	s_wait_alu 0xf1ff
	v_cndmask_b32_e64 v126, v7, v8, s4
	s_delay_alu instid0(VALU_DEP_2) | instskip(NEXT) | instid1(VALU_DEP_1)
	v_cvt_f32_fp8_e32 v0, v0
	v_mul_f32_e32 v0, s11, v0
	s_delay_alu instid0(VALU_DEP_1) | instskip(SKIP_2) | instid1(VALU_DEP_3)
	v_bfe_u32 v7, v0, 16, 1
	v_or_b32_e32 v8, 0x400000, v0
	v_cmp_u_f32_e64 s4, v0, v0
	v_add3_u32 v7, v7, v0, 0x7fff
	v_lshrrev_b32_e32 v0, 24, v128
	s_wait_alu 0xf1ff
	s_delay_alu instid0(VALU_DEP_2) | instskip(NEXT) | instid1(VALU_DEP_2)
	v_cndmask_b32_e64 v127, v7, v8, s4
	v_cvt_f32_fp8_e32 v0, v0
	s_delay_alu instid0(VALU_DEP_1) | instskip(NEXT) | instid1(VALU_DEP_1)
	v_mul_f32_e32 v0, s11, v0
	v_bfe_u32 v7, v0, 16, 1
	v_or_b32_e32 v8, 0x400000, v0
	v_cmp_u_f32_e64 s4, v0, v0
	s_delay_alu instid0(VALU_DEP_3) | instskip(SKIP_3) | instid1(VALU_DEP_2)
	v_add3_u32 v7, v7, v0, 0x7fff
	s_wait_loadcnt 0x15
	v_and_b32_e32 v0, 0xff, v134
	s_wait_alu 0xf1ff
	v_cndmask_b32_e64 v128, v7, v8, s4
	s_delay_alu instid0(VALU_DEP_2) | instskip(NEXT) | instid1(VALU_DEP_1)
	v_cvt_f32_fp8_e32 v0, v0
	v_mul_f32_e32 v0, s11, v0
	s_delay_alu instid0(VALU_DEP_1) | instskip(SKIP_2) | instid1(VALU_DEP_3)
	v_bfe_u32 v7, v0, 16, 1
	v_or_b32_e32 v8, 0x400000, v0
	v_cmp_u_f32_e64 s4, v0, v0
	v_add3_u32 v7, v7, v0, 0x7fff
	v_bfe_u32 v0, v134, 8, 8
	s_wait_alu 0xf1ff
	s_delay_alu instid0(VALU_DEP_2) | instskip(NEXT) | instid1(VALU_DEP_2)
	v_cndmask_b32_e64 v130, v7, v8, s4
	v_cvt_f32_fp8_e32 v0, v0
	s_delay_alu instid0(VALU_DEP_1) | instskip(NEXT) | instid1(VALU_DEP_1)
	v_mul_f32_e32 v0, s11, v0
	;; [unrolled: 47-line block ×17, first 2 shown]
	v_bfe_u32 v7, v0, 16, 1
	v_or_b32_e32 v8, 0x400000, v0
	v_cmp_u_f32_e64 s4, v0, v0
	s_delay_alu instid0(VALU_DEP_3) | instskip(SKIP_2) | instid1(VALU_DEP_2)
	v_add3_u32 v7, v7, v0, 0x7fff
	v_bfe_u32 v0, v129, 16, 8
	s_wait_alu 0xf1ff
	v_cndmask_b32_e64 v191, v7, v8, s4
	s_delay_alu instid0(VALU_DEP_2) | instskip(NEXT) | instid1(VALU_DEP_1)
	v_cvt_f32_fp8_e32 v0, v0
	v_mul_f32_e32 v0, s11, v0
	s_delay_alu instid0(VALU_DEP_1) | instskip(SKIP_2) | instid1(VALU_DEP_3)
	v_bfe_u32 v7, v0, 16, 1
	v_or_b32_e32 v8, 0x400000, v0
	v_cmp_u_f32_e64 s4, v0, v0
	v_add3_u32 v7, v7, v0, 0x7fff
	v_lshrrev_b32_e32 v0, 24, v129
	s_wait_alu 0xf1ff
	s_delay_alu instid0(VALU_DEP_2) | instskip(NEXT) | instid1(VALU_DEP_2)
	v_cndmask_b32_e64 v15, v7, v8, s4
	v_cvt_f32_fp8_e32 v0, v0
	s_delay_alu instid0(VALU_DEP_1) | instskip(NEXT) | instid1(VALU_DEP_1)
	v_dual_mul_f32 v0, s11, v0 :: v_dual_and_b32 v15, 0xffff0000, v15
	v_bfe_u32 v7, v0, 16, 1
	v_or_b32_e32 v8, 0x400000, v0
	v_cmp_u_f32_e64 s4, v0, v0
	s_delay_alu instid0(VALU_DEP_3) | instskip(SKIP_3) | instid1(VALU_DEP_2)
	v_add3_u32 v7, v7, v0, 0x7fff
	s_wait_loadcnt 0x5
	v_and_b32_e32 v0, 0xff, v125
	s_wait_alu 0xf1ff
	v_cndmask_b32_e64 v129, v7, v8, s4
	s_delay_alu instid0(VALU_DEP_2) | instskip(NEXT) | instid1(VALU_DEP_1)
	v_cvt_f32_fp8_e32 v0, v0
	v_mul_f32_e32 v0, s11, v0
	s_delay_alu instid0(VALU_DEP_1) | instskip(SKIP_2) | instid1(VALU_DEP_3)
	v_bfe_u32 v7, v0, 16, 1
	v_or_b32_e32 v8, 0x400000, v0
	v_cmp_u_f32_e64 s4, v0, v0
	v_add3_u32 v7, v7, v0, 0x7fff
	v_bfe_u32 v0, v125, 8, 8
	s_wait_alu 0xf1ff
	s_delay_alu instid0(VALU_DEP_2) | instskip(NEXT) | instid1(VALU_DEP_2)
	v_cndmask_b32_e64 v16, v7, v8, s4
	v_cvt_f32_fp8_e32 v0, v0
	s_delay_alu instid0(VALU_DEP_1) | instskip(NEXT) | instid1(VALU_DEP_1)
	v_mul_f32_e32 v0, s11, v0
	v_bfe_u32 v7, v0, 16, 1
	v_or_b32_e32 v8, 0x400000, v0
	v_cmp_u_f32_e64 s4, v0, v0
	s_delay_alu instid0(VALU_DEP_3) | instskip(SKIP_2) | instid1(VALU_DEP_2)
	v_add3_u32 v7, v7, v0, 0x7fff
	v_bfe_u32 v0, v125, 16, 8
	s_wait_alu 0xf1ff
	v_cndmask_b32_e64 v8, v7, v8, s4
	s_delay_alu instid0(VALU_DEP_2) | instskip(NEXT) | instid1(VALU_DEP_2)
	v_cvt_f32_fp8_e32 v0, v0
	v_and_b32_e32 v8, 0xffff0000, v8
	s_delay_alu instid0(VALU_DEP_2) | instskip(NEXT) | instid1(VALU_DEP_1)
	v_mul_f32_e32 v0, s11, v0
	v_bfe_u32 v7, v0, 16, 1
	v_or_b32_e32 v9, 0x400000, v0
	v_cmp_u_f32_e64 s4, v0, v0
	s_delay_alu instid0(VALU_DEP_3) | instskip(SKIP_2) | instid1(VALU_DEP_2)
	v_add3_u32 v7, v7, v0, 0x7fff
	v_lshrrev_b32_e32 v0, 24, v125
	s_wait_alu 0xf1ff
	v_cndmask_b32_e64 v7, v7, v9, s4
	s_delay_alu instid0(VALU_DEP_2) | instskip(NEXT) | instid1(VALU_DEP_1)
	v_cvt_f32_fp8_e32 v0, v0
	v_dual_mul_f32 v0, s11, v0 :: v_dual_and_b32 v7, 0xffff0000, v7
	s_delay_alu instid0(VALU_DEP_1) | instskip(SKIP_2) | instid1(VALU_DEP_3)
	v_bfe_u32 v9, v0, 16, 1
	v_or_b32_e32 v10, 0x400000, v0
	v_cmp_u_f32_e64 s4, v0, v0
	v_add3_u32 v9, v9, v0, 0x7fff
	s_wait_loadcnt 0x4
	v_and_b32_e32 v0, 0xff, v123
	s_wait_alu 0xf1ff
	s_delay_alu instid0(VALU_DEP_2) | instskip(NEXT) | instid1(VALU_DEP_2)
	v_cndmask_b32_e64 v125, v9, v10, s4
	v_cvt_f32_fp8_e32 v0, v0
	s_delay_alu instid0(VALU_DEP_1) | instskip(NEXT) | instid1(VALU_DEP_1)
	v_mul_f32_e32 v0, s11, v0
	v_bfe_u32 v9, v0, 16, 1
	v_or_b32_e32 v10, 0x400000, v0
	v_cmp_u_f32_e64 s4, v0, v0
	s_delay_alu instid0(VALU_DEP_3) | instskip(SKIP_2) | instid1(VALU_DEP_2)
	v_add3_u32 v9, v9, v0, 0x7fff
	v_bfe_u32 v0, v123, 8, 8
	s_wait_alu 0xf1ff
	v_cndmask_b32_e64 v17, v9, v10, s4
	s_delay_alu instid0(VALU_DEP_2) | instskip(NEXT) | instid1(VALU_DEP_1)
	v_cvt_f32_fp8_e32 v0, v0
	v_mul_f32_e32 v0, s11, v0
	s_delay_alu instid0(VALU_DEP_1) | instskip(SKIP_2) | instid1(VALU_DEP_3)
	v_bfe_u32 v9, v0, 16, 1
	v_or_b32_e32 v10, 0x400000, v0
	v_cmp_u_f32_e64 s4, v0, v0
	v_add3_u32 v9, v9, v0, 0x7fff
	v_bfe_u32 v0, v123, 16, 8
	s_wait_alu 0xf1ff
	s_delay_alu instid0(VALU_DEP_2) | instskip(NEXT) | instid1(VALU_DEP_2)
	v_cndmask_b32_e64 v60, v9, v10, s4
	v_cvt_f32_fp8_e32 v0, v0
	s_delay_alu instid0(VALU_DEP_1) | instskip(NEXT) | instid1(VALU_DEP_1)
	v_mul_f32_e32 v0, s11, v0
	v_bfe_u32 v9, v0, 16, 1
	v_or_b32_e32 v10, 0x400000, v0
	v_cmp_u_f32_e64 s4, v0, v0
	s_delay_alu instid0(VALU_DEP_3) | instskip(SKIP_2) | instid1(VALU_DEP_2)
	v_add3_u32 v9, v9, v0, 0x7fff
	v_lshrrev_b32_e32 v0, 24, v123
	s_wait_alu 0xf1ff
	v_cndmask_b32_e64 v68, v9, v10, s4
	s_delay_alu instid0(VALU_DEP_2) | instskip(NEXT) | instid1(VALU_DEP_1)
	v_cvt_f32_fp8_e32 v0, v0
	v_mul_f32_e32 v0, s11, v0
	s_delay_alu instid0(VALU_DEP_1) | instskip(SKIP_2) | instid1(VALU_DEP_3)
	v_bfe_u32 v9, v0, 16, 1
	v_or_b32_e32 v10, 0x400000, v0
	v_cmp_u_f32_e64 s4, v0, v0
	v_add3_u32 v9, v9, v0, 0x7fff
	s_wait_loadcnt 0x3
	v_and_b32_e32 v0, 0xff, v121
	s_wait_alu 0xf1ff
	s_delay_alu instid0(VALU_DEP_2) | instskip(NEXT) | instid1(VALU_DEP_2)
	v_cndmask_b32_e64 v123, v9, v10, s4
	v_cvt_f32_fp8_e32 v0, v0
	s_delay_alu instid0(VALU_DEP_1) | instskip(NEXT) | instid1(VALU_DEP_1)
	v_mul_f32_e32 v0, s11, v0
	v_bfe_u32 v9, v0, 16, 1
	v_or_b32_e32 v10, 0x400000, v0
	v_cmp_u_f32_e64 s4, v0, v0
	s_delay_alu instid0(VALU_DEP_3) | instskip(SKIP_1) | instid1(VALU_DEP_1)
	v_add3_u32 v9, v9, v0, 0x7fff
	s_wait_alu 0xf1ff
	v_cndmask_b32_e64 v0, v9, v10, s4
	v_bfe_u32 v9, v121, 8, 8
	s_delay_alu instid0(VALU_DEP_2) | instskip(NEXT) | instid1(VALU_DEP_2)
	v_and_b32_e32 v0, 0xffff0000, v0
	v_cvt_f32_fp8_e32 v9, v9
	s_delay_alu instid0(VALU_DEP_1) | instskip(NEXT) | instid1(VALU_DEP_1)
	v_mul_f32_e32 v9, s11, v9
	v_bfe_u32 v10, v9, 16, 1
	v_or_b32_e32 v11, 0x400000, v9
	v_cmp_u_f32_e64 s4, v9, v9
	s_delay_alu instid0(VALU_DEP_3) | instskip(SKIP_1) | instid1(VALU_DEP_1)
	v_add3_u32 v10, v10, v9, 0x7fff
	s_wait_alu 0xf1ff
	v_cndmask_b32_e64 v9, v10, v11, s4
	v_bfe_u32 v10, v121, 16, 8
	s_delay_alu instid0(VALU_DEP_1) | instskip(NEXT) | instid1(VALU_DEP_1)
	v_cvt_f32_fp8_e32 v10, v10
	v_mul_f32_e32 v10, s11, v10
	s_delay_alu instid0(VALU_DEP_1) | instskip(SKIP_2) | instid1(VALU_DEP_3)
	v_bfe_u32 v11, v10, 16, 1
	v_or_b32_e32 v12, 0x400000, v10
	v_cmp_u_f32_e64 s4, v10, v10
	v_add3_u32 v11, v11, v10, 0x7fff
	s_wait_alu 0xf1ff
	s_delay_alu instid0(VALU_DEP_1) | instskip(SKIP_1) | instid1(VALU_DEP_1)
	v_cndmask_b32_e64 v10, v11, v12, s4
	v_lshrrev_b32_e32 v11, 24, v121
	v_cvt_f32_fp8_e32 v11, v11
	s_delay_alu instid0(VALU_DEP_1) | instskip(NEXT) | instid1(VALU_DEP_1)
	v_mul_f32_e32 v11, s11, v11
	v_bfe_u32 v12, v11, 16, 1
	v_or_b32_e32 v13, 0x400000, v11
	v_cmp_u_f32_e64 s4, v11, v11
	s_delay_alu instid0(VALU_DEP_3) | instskip(SKIP_3) | instid1(VALU_DEP_2)
	v_add3_u32 v12, v12, v11, 0x7fff
	s_wait_loadcnt 0x2
	v_and_b32_e32 v11, 0xff, v119
	s_wait_alu 0xf1ff
	v_cndmask_b32_e64 v121, v12, v13, s4
	s_delay_alu instid0(VALU_DEP_2) | instskip(NEXT) | instid1(VALU_DEP_1)
	v_cvt_f32_fp8_e32 v11, v11
	v_mul_f32_e32 v11, s11, v11
	s_delay_alu instid0(VALU_DEP_1) | instskip(SKIP_2) | instid1(VALU_DEP_3)
	v_bfe_u32 v12, v11, 16, 1
	v_or_b32_e32 v13, 0x400000, v11
	v_cmp_u_f32_e64 s4, v11, v11
	v_add3_u32 v12, v12, v11, 0x7fff
	s_wait_alu 0xf1ff
	s_delay_alu instid0(VALU_DEP_1) | instskip(SKIP_1) | instid1(VALU_DEP_1)
	v_cndmask_b32_e64 v11, v12, v13, s4
	v_bfe_u32 v12, v119, 8, 8
	v_cvt_f32_fp8_e32 v12, v12
	s_delay_alu instid0(VALU_DEP_1) | instskip(NEXT) | instid1(VALU_DEP_1)
	v_mul_f32_e32 v12, s11, v12
	v_bfe_u32 v13, v12, 16, 1
	v_or_b32_e32 v14, 0x400000, v12
	v_cmp_u_f32_e64 s4, v12, v12
	s_delay_alu instid0(VALU_DEP_3) | instskip(SKIP_2) | instid1(VALU_DEP_2)
	v_add3_u32 v13, v13, v12, 0x7fff
	v_bfe_u32 v12, v119, 16, 8
	s_wait_alu 0xf1ff
	v_cndmask_b32_e64 v13, v13, v14, s4
	s_delay_alu instid0(VALU_DEP_2) | instskip(NEXT) | instid1(VALU_DEP_1)
	v_cvt_f32_fp8_e32 v12, v12
	v_mul_f32_e32 v12, s11, v12
	s_delay_alu instid0(VALU_DEP_1) | instskip(SKIP_2) | instid1(VALU_DEP_3)
	v_bfe_u32 v14, v12, 16, 1
	v_or_b32_e32 v19, 0x400000, v12
	v_cmp_u_f32_e64 s4, v12, v12
	v_add3_u32 v14, v14, v12, 0x7fff
	s_wait_alu 0xf1ff
	s_delay_alu instid0(VALU_DEP_1) | instskip(SKIP_1) | instid1(VALU_DEP_1)
	v_cndmask_b32_e64 v12, v14, v19, s4
	v_lshrrev_b32_e32 v14, 24, v119
	v_cvt_f32_fp8_e32 v14, v14
	s_delay_alu instid0(VALU_DEP_1) | instskip(NEXT) | instid1(VALU_DEP_1)
	v_mul_f32_e32 v14, s11, v14
	v_bfe_u32 v19, v14, 16, 1
	v_or_b32_e32 v119, 0x400000, v14
	v_cmp_u_f32_e64 s4, v14, v14
	s_delay_alu instid0(VALU_DEP_3) | instskip(SKIP_3) | instid1(VALU_DEP_2)
	v_add3_u32 v19, v19, v14, 0x7fff
	s_wait_loadcnt 0x1
	v_and_b32_e32 v14, 0xff, v118
	s_wait_alu 0xf1ff
	v_cndmask_b32_e64 v119, v19, v119, s4
	s_delay_alu instid0(VALU_DEP_2) | instskip(NEXT) | instid1(VALU_DEP_1)
	v_cvt_f32_fp8_e32 v14, v14
	v_mul_f32_e32 v14, s11, v14
	s_delay_alu instid0(VALU_DEP_1) | instskip(SKIP_2) | instid1(VALU_DEP_3)
	v_bfe_u32 v19, v14, 16, 1
	v_or_b32_e32 v20, 0x400000, v14
	v_cmp_u_f32_e64 s4, v14, v14
	v_add3_u32 v19, v19, v14, 0x7fff
	s_wait_alu 0xf1ff
	s_delay_alu instid0(VALU_DEP_1) | instskip(SKIP_1) | instid1(VALU_DEP_1)
	v_cndmask_b32_e64 v14, v19, v20, s4
	v_bfe_u32 v19, v118, 8, 8
	v_cvt_f32_fp8_e32 v19, v19
	s_delay_alu instid0(VALU_DEP_1) | instskip(NEXT) | instid1(VALU_DEP_1)
	v_mul_f32_e32 v19, s11, v19
	v_bfe_u32 v20, v19, 16, 1
	v_or_b32_e32 v21, 0x400000, v19
	v_cmp_u_f32_e64 s4, v19, v19
	s_delay_alu instid0(VALU_DEP_3) | instskip(SKIP_2) | instid1(VALU_DEP_2)
	v_add3_u32 v20, v20, v19, 0x7fff
	v_bfe_u32 v19, v118, 16, 8
	s_wait_alu 0xf1ff
	v_cndmask_b32_e64 v20, v20, v21, s4
	s_delay_alu instid0(VALU_DEP_2) | instskip(NEXT) | instid1(VALU_DEP_1)
	v_cvt_f32_fp8_e32 v19, v19
	v_mul_f32_e32 v19, s11, v19
	s_delay_alu instid0(VALU_DEP_1) | instskip(SKIP_2) | instid1(VALU_DEP_3)
	v_bfe_u32 v21, v19, 16, 1
	v_or_b32_e32 v22, 0x400000, v19
	v_cmp_u_f32_e64 s4, v19, v19
	v_add3_u32 v21, v21, v19, 0x7fff
	s_wait_alu 0xf1ff
	s_delay_alu instid0(VALU_DEP_1) | instskip(SKIP_1) | instid1(VALU_DEP_1)
	v_cndmask_b32_e64 v19, v21, v22, s4
	v_lshrrev_b32_e32 v21, 24, v118
	v_cvt_f32_fp8_e32 v21, v21
	s_delay_alu instid0(VALU_DEP_1) | instskip(NEXT) | instid1(VALU_DEP_1)
	v_mul_f32_e32 v21, s11, v21
	v_bfe_u32 v22, v21, 16, 1
	v_or_b32_e32 v118, 0x400000, v21
	v_cmp_u_f32_e64 s4, v21, v21
	s_delay_alu instid0(VALU_DEP_3) | instskip(SKIP_3) | instid1(VALU_DEP_2)
	v_add3_u32 v22, v22, v21, 0x7fff
	s_wait_loadcnt 0x0
	v_and_b32_e32 v21, 0xff, v6
	s_wait_alu 0xf1ff
	v_cndmask_b32_e64 v118, v22, v118, s4
	s_delay_alu instid0(VALU_DEP_2) | instskip(NEXT) | instid1(VALU_DEP_1)
	v_cvt_f32_fp8_e32 v21, v21
	v_mul_f32_e32 v21, s11, v21
	s_delay_alu instid0(VALU_DEP_1) | instskip(SKIP_2) | instid1(VALU_DEP_3)
	v_bfe_u32 v22, v21, 16, 1
	v_or_b32_e32 v23, 0x400000, v21
	v_cmp_u_f32_e64 s4, v21, v21
	v_add3_u32 v22, v22, v21, 0x7fff
	s_wait_alu 0xf1ff
	s_delay_alu instid0(VALU_DEP_1) | instskip(SKIP_1) | instid1(VALU_DEP_1)
	v_cndmask_b32_e64 v21, v22, v23, s4
	v_bfe_u32 v22, v6, 8, 8
	v_cvt_f32_fp8_e32 v22, v22
	s_delay_alu instid0(VALU_DEP_1) | instskip(NEXT) | instid1(VALU_DEP_1)
	v_mul_f32_e32 v22, s11, v22
	v_bfe_u32 v23, v22, 16, 1
	v_or_b32_e32 v24, 0x400000, v22
	v_cmp_u_f32_e64 s4, v22, v22
	s_delay_alu instid0(VALU_DEP_3) | instskip(SKIP_1) | instid1(VALU_DEP_1)
	v_add3_u32 v23, v23, v22, 0x7fff
	s_wait_alu 0xf1ff
	v_cndmask_b32_e64 v22, v23, v24, s4
	v_bfe_u32 v23, v6, 16, 8
	v_lshrrev_b32_e32 v6, 24, v6
	s_delay_alu instid0(VALU_DEP_2) | instskip(NEXT) | instid1(VALU_DEP_2)
	v_cvt_f32_fp8_e32 v23, v23
	v_cvt_f32_fp8_e32 v6, v6
	s_delay_alu instid0(VALU_DEP_1) | instskip(NEXT) | instid1(VALU_DEP_1)
	v_dual_mul_f32 v23, s11, v23 :: v_dual_mul_f32 v6, s11, v6
	v_bfe_u32 v24, v23, 16, 1
	v_or_b32_e32 v25, 0x400000, v23
	v_cmp_u_f32_e64 s4, v23, v23
	s_delay_alu instid0(VALU_DEP_3) | instskip(SKIP_1) | instid1(VALU_DEP_1)
	v_add3_u32 v24, v24, v23, 0x7fff
	s_wait_alu 0xf1ff
	v_cndmask_b32_e64 v23, v24, v25, s4
	v_bfe_u32 v24, v6, 16, 1
	v_or_b32_e32 v25, 0x400000, v6
	v_cmp_u_f32_e64 s4, v6, v6
	s_delay_alu instid0(VALU_DEP_3) | instskip(SKIP_1) | instid1(VALU_DEP_1)
	v_add3_u32 v24, v24, v6, 0x7fff
	s_wait_alu 0xf1ff
	v_cndmask_b32_e64 v6, v24, v25, s4
	scratch_load_b32 v25, off, off offset:16 ; 4-byte Folded Reload
	v_and_b32_e32 v24, 0xffff0000, v124
	s_wait_loadcnt 0x0
	s_delay_alu instid0(VALU_DEP_1)
	v_mul_f32_e32 v24, v25, v24
	scratch_load_b32 v25, off, off          ; 4-byte Folded Reload
	s_wait_loadcnt 0x0
	v_fmac_f32_e32 v24, v25, v5
	v_and_b32_e32 v25, 0xffff0000, v117
	scratch_load_b32 v117, off, off offset:20 ; 4-byte Folded Reload
	v_and_b32_e32 v5, 0xffff0000, v126
	s_wait_loadcnt 0x0
	s_delay_alu instid0(VALU_DEP_1)
	v_mul_f32_e32 v5, v117, v5
	scratch_load_b32 v117, off, off offset:4 ; 4-byte Folded Reload
	s_wait_loadcnt 0x0
	v_fmac_f32_e32 v5, v117, v25
	v_and_b32_e32 v117, 0xffff0000, v120
	scratch_load_b32 v120, off, off offset:24 ; 4-byte Folded Reload
	v_and_b32_e32 v25, 0xffff0000, v127
	s_wait_loadcnt 0x0
	s_delay_alu instid0(VALU_DEP_1)
	v_mul_f32_e32 v25, v120, v25
	scratch_load_b32 v120, off, off offset:8 ; 4-byte Folded Reload
	s_wait_loadcnt 0x0
	v_dual_fmac_f32 v25, v120, v117 :: v_dual_and_b32 v120, 0xffff0000, v122
	scratch_load_b32 v122, off, off offset:28 ; 4-byte Folded Reload
	v_and_b32_e32 v117, 0xffff0000, v128
	s_wait_loadcnt 0x0
	s_delay_alu instid0(VALU_DEP_1)
	v_mul_f32_e32 v117, v122, v117
	scratch_load_b32 v122, off, off offset:12 ; 4-byte Folded Reload
	s_wait_loadcnt 0x0
	v_fmac_f32_e32 v117, v122, v120
	scratch_load_b32 v122, off, off offset:32 ; 4-byte Folded Reload
	v_and_b32_e32 v120, 0xffff0000, v130
	s_wait_loadcnt 0x0
	s_delay_alu instid0(VALU_DEP_1) | instskip(SKIP_3) | instid1(VALU_DEP_1)
	v_fmac_f32_e32 v24, v122, v120
	scratch_load_b32 v122, off, off offset:36 ; 4-byte Folded Reload
	v_and_b32_e32 v120, 0xffff0000, v131
	s_wait_loadcnt 0x0
	v_fmac_f32_e32 v5, v122, v120
	scratch_load_b32 v122, off, off offset:40 ; 4-byte Folded Reload
	v_and_b32_e32 v120, 0xffff0000, v133
	s_wait_loadcnt 0x0
	s_delay_alu instid0(VALU_DEP_1) | instskip(SKIP_3) | instid1(VALU_DEP_1)
	v_fmac_f32_e32 v25, v122, v120
	scratch_load_b32 v122, off, off offset:44 ; 4-byte Folded Reload
	v_and_b32_e32 v120, 0xffff0000, v134
	s_wait_loadcnt 0x0
	v_fmac_f32_e32 v117, v122, v120
	v_and_b32_e32 v120, 0xffff0000, v136
	s_delay_alu instid0(VALU_DEP_1) | instskip(SKIP_1) | instid1(VALU_DEP_1)
	v_fmac_f32_e32 v24, v26, v120
	v_and_b32_e32 v120, 0xffff0000, v137
	v_dual_fmac_f32 v5, v27, v120 :: v_dual_and_b32 v120, 0xffff0000, v139
	s_delay_alu instid0(VALU_DEP_1) | instskip(SKIP_1) | instid1(VALU_DEP_1)
	v_fmac_f32_e32 v25, v28, v120
	v_and_b32_e32 v120, 0xffff0000, v140
	v_dual_fmac_f32 v117, v29, v120 :: v_dual_and_b32 v120, 0xffff0000, v141
	s_delay_alu instid0(VALU_DEP_1) | instskip(SKIP_1) | instid1(VALU_DEP_1)
	v_fmac_f32_e32 v24, v30, v120
	v_and_b32_e32 v120, 0xffff0000, v143
	v_fmac_f32_e32 v5, v31, v120
	v_and_b32_e32 v120, 0xffff0000, v144
	s_delay_alu instid0(VALU_DEP_1) | instskip(NEXT) | instid1(VALU_DEP_1)
	v_dual_fmac_f32 v25, v32, v120 :: v_dual_and_b32 v120, 0xffff0000, v146
	v_dual_fmac_f32 v117, v33, v120 :: v_dual_and_b32 v120, 0xffff0000, v147
	s_delay_alu instid0(VALU_DEP_1) | instskip(SKIP_1) | instid1(VALU_DEP_1)
	v_fmac_f32_e32 v24, v34, v120
	v_and_b32_e32 v120, 0xffff0000, v149
	v_dual_fmac_f32 v5, v35, v120 :: v_dual_and_b32 v120, 0xffff0000, v150
	s_delay_alu instid0(VALU_DEP_1) | instskip(SKIP_1) | instid1(VALU_DEP_1)
	v_fmac_f32_e32 v25, v36, v120
	v_and_b32_e32 v120, 0xffff0000, v152
	;; [unrolled: 4-line block ×3, first 2 shown]
	v_fmac_f32_e32 v5, v39, v120
	v_and_b32_e32 v120, 0xffff0000, v156
	s_delay_alu instid0(VALU_DEP_1) | instskip(NEXT) | instid1(VALU_DEP_1)
	v_dual_fmac_f32 v25, v40, v120 :: v_dual_and_b32 v120, 0xffff0000, v157
	v_dual_fmac_f32 v117, v41, v120 :: v_dual_and_b32 v120, 0xffff0000, v159
	s_delay_alu instid0(VALU_DEP_1) | instskip(SKIP_1) | instid1(VALU_DEP_1)
	v_fmac_f32_e32 v24, v42, v120
	v_and_b32_e32 v120, 0xffff0000, v160
	v_dual_fmac_f32 v5, v43, v120 :: v_dual_and_b32 v120, 0xffff0000, v162
	s_delay_alu instid0(VALU_DEP_1) | instskip(NEXT) | instid1(VALU_DEP_1)
	v_dual_fmac_f32 v25, v44, v120 :: v_dual_and_b32 v120, 0xffff0000, v161
	v_dual_fmac_f32 v117, v45, v120 :: v_dual_and_b32 v120, 0xffff0000, v163
	s_delay_alu instid0(VALU_DEP_1) | instskip(SKIP_1) | instid1(VALU_DEP_1)
	v_fmac_f32_e32 v24, v46, v120
	v_and_b32_e32 v120, 0xffff0000, v164
	v_dual_fmac_f32 v5, v47, v120 :: v_dual_and_b32 v120, 0xffff0000, v165
	s_delay_alu instid0(VALU_DEP_1) | instskip(NEXT) | instid1(VALU_DEP_1)
	v_dual_fmac_f32 v25, v48, v120 :: v_dual_and_b32 v120, 0xffff0000, v158
	v_dual_fmac_f32 v117, v49, v120 :: v_dual_and_b32 v120, 0xffff0000, v166
	s_delay_alu instid0(VALU_DEP_1) | instskip(SKIP_1) | instid1(VALU_DEP_1)
	v_fmac_f32_e32 v24, v50, v120
	v_and_b32_e32 v120, 0xffff0000, v167
	v_fmac_f32_e32 v5, v51, v120
	v_and_b32_e32 v120, 0xffff0000, v168
	s_delay_alu instid0(VALU_DEP_1) | instskip(NEXT) | instid1(VALU_DEP_1)
	v_dual_fmac_f32 v25, v52, v120 :: v_dual_and_b32 v120, 0xffff0000, v154
	v_dual_fmac_f32 v117, v53, v120 :: v_dual_and_b32 v120, 0xffff0000, v169
	s_delay_alu instid0(VALU_DEP_1) | instskip(SKIP_1) | instid1(VALU_DEP_1)
	v_fmac_f32_e32 v24, v54, v120
	v_and_b32_e32 v120, 0xffff0000, v170
	v_dual_fmac_f32 v5, v55, v120 :: v_dual_and_b32 v120, 0xffff0000, v171
	s_delay_alu instid0(VALU_DEP_1) | instskip(NEXT) | instid1(VALU_DEP_1)
	v_dual_fmac_f32 v25, v56, v120 :: v_dual_and_b32 v120, 0xffff0000, v151
	v_fmac_f32_e32 v117, v57, v120
	v_and_b32_e32 v120, 0xffff0000, v172
	s_delay_alu instid0(VALU_DEP_1) | instskip(SKIP_1) | instid1(VALU_DEP_1)
	v_fmac_f32_e32 v24, v58, v120
	v_and_b32_e32 v120, 0xffff0000, v173
	v_dual_fmac_f32 v5, v59, v120 :: v_dual_and_b32 v120, 0xffff0000, v174
	s_delay_alu instid0(VALU_DEP_1) | instskip(SKIP_1) | instid1(VALU_DEP_1)
	v_fmac_f32_e32 v25, v61, v120
	v_and_b32_e32 v120, 0xffff0000, v148
	v_dual_fmac_f32 v117, v62, v120 :: v_dual_and_b32 v120, 0xffff0000, v175
	s_delay_alu instid0(VALU_DEP_1) | instskip(SKIP_1) | instid1(VALU_DEP_1)
	v_fmac_f32_e32 v24, v63, v120
	v_and_b32_e32 v120, 0xffff0000, v176
	v_dual_fmac_f32 v5, v64, v120 :: v_dual_and_b32 v120, 0xffff0000, v177
	s_delay_alu instid0(VALU_DEP_1) | instskip(NEXT) | instid1(VALU_DEP_1)
	v_dual_fmac_f32 v25, v65, v120 :: v_dual_and_b32 v120, 0xffff0000, v145
	v_dual_fmac_f32 v117, v66, v120 :: v_dual_and_b32 v120, 0xffff0000, v178
	s_delay_alu instid0(VALU_DEP_1) | instskip(SKIP_1) | instid1(VALU_DEP_1)
	v_fmac_f32_e32 v24, v67, v120
	v_and_b32_e32 v120, 0xffff0000, v179
	v_fmac_f32_e32 v5, v69, v120
	v_and_b32_e32 v120, 0xffff0000, v180
	s_delay_alu instid0(VALU_DEP_1) | instskip(NEXT) | instid1(VALU_DEP_1)
	v_dual_fmac_f32 v25, v70, v120 :: v_dual_and_b32 v120, 0xffff0000, v142
	v_dual_fmac_f32 v117, v71, v120 :: v_dual_and_b32 v120, 0xffff0000, v181
	s_delay_alu instid0(VALU_DEP_1) | instskip(SKIP_1) | instid1(VALU_DEP_1)
	v_fmac_f32_e32 v24, v72, v120
	v_and_b32_e32 v120, 0xffff0000, v182
	v_dual_fmac_f32 v5, v73, v120 :: v_dual_and_b32 v120, 0xffff0000, v183
	s_delay_alu instid0(VALU_DEP_1) | instskip(NEXT) | instid1(VALU_DEP_1)
	v_dual_fmac_f32 v25, v74, v120 :: v_dual_and_b32 v120, 0xffff0000, v138
	v_fmac_f32_e32 v117, v75, v120
	v_and_b32_e32 v120, 0xffff0000, v184
	s_delay_alu instid0(VALU_DEP_1) | instskip(SKIP_1) | instid1(VALU_DEP_1)
	v_fmac_f32_e32 v24, v76, v120
	v_and_b32_e32 v120, 0xffff0000, v185
	v_dual_fmac_f32 v5, v77, v120 :: v_dual_and_b32 v120, 0xffff0000, v186
	s_delay_alu instid0(VALU_DEP_1) | instskip(NEXT) | instid1(VALU_DEP_1)
	v_dual_fmac_f32 v25, v78, v120 :: v_dual_and_b32 v120, 0xffff0000, v135
	v_dual_fmac_f32 v117, v79, v120 :: v_dual_and_b32 v120, 0xffff0000, v187
	s_delay_alu instid0(VALU_DEP_1) | instskip(SKIP_1) | instid1(VALU_DEP_1)
	v_fmac_f32_e32 v24, v80, v120
	v_and_b32_e32 v120, 0xffff0000, v188
	v_dual_fmac_f32 v5, v81, v120 :: v_dual_and_b32 v120, 0xffff0000, v189
	s_delay_alu instid0(VALU_DEP_1) | instskip(SKIP_1) | instid1(VALU_DEP_1)
	v_fmac_f32_e32 v25, v82, v120
	v_and_b32_e32 v120, 0xffff0000, v132
	v_dual_fmac_f32 v117, v83, v120 :: v_dual_and_b32 v120, 0xffff0000, v190
	s_delay_alu instid0(VALU_DEP_3) | instskip(NEXT) | instid1(VALU_DEP_2)
	v_fmac_f32_e32 v25, v86, v15
	v_dual_fmac_f32 v24, v84, v120 :: v_dual_and_b32 v15, 0xffff0000, v129
	v_and_b32_e32 v120, 0xffff0000, v191
	s_delay_alu instid0(VALU_DEP_2) | instskip(NEXT) | instid1(VALU_DEP_4)
	v_fmac_f32_e32 v117, v87, v15
	v_fmac_f32_e32 v25, v90, v7
	v_and_b32_e32 v7, 0xffff0000, v125
	s_delay_alu instid0(VALU_DEP_1) | instskip(SKIP_2) | instid1(VALU_DEP_1)
	v_fmac_f32_e32 v117, v91, v7
	v_and_b32_e32 v7, 0xffff0000, v17
	v_and_b32_e32 v15, 0xffff0000, v16
	v_dual_fmac_f32 v5, v85, v120 :: v_dual_fmac_f32 v24, v88, v15
	s_delay_alu instid0(VALU_DEP_1) | instskip(SKIP_1) | instid1(VALU_DEP_1)
	v_dual_fmac_f32 v5, v89, v8 :: v_dual_fmac_f32 v24, v92, v7
	v_and_b32_e32 v7, 0xffff0000, v60
	v_dual_fmac_f32 v24, v96, v0 :: v_dual_fmac_f32 v5, v93, v7
	v_and_b32_e32 v7, 0xffff0000, v68
	s_delay_alu instid0(VALU_DEP_1) | instskip(SKIP_1) | instid1(VALU_DEP_2)
	v_dual_fmac_f32 v25, v94, v7 :: v_dual_and_b32 v0, 0xffff0000, v9
	v_and_b32_e32 v7, 0xffff0000, v123
	v_dual_fmac_f32 v5, v97, v0 :: v_dual_and_b32 v0, 0xffff0000, v10
	s_delay_alu instid0(VALU_DEP_2) | instskip(NEXT) | instid1(VALU_DEP_2)
	v_fmac_f32_e32 v117, v95, v7
	v_dual_fmac_f32 v25, v98, v0 :: v_dual_and_b32 v0, 0xffff0000, v121
	s_delay_alu instid0(VALU_DEP_1) | instskip(NEXT) | instid1(VALU_DEP_1)
	v_dual_fmac_f32 v117, v99, v0 :: v_dual_and_b32 v0, 0xffff0000, v11
	v_fmac_f32_e32 v24, v100, v0
	v_and_b32_e32 v0, 0xffff0000, v13
	s_delay_alu instid0(VALU_DEP_1) | instskip(SKIP_1) | instid1(VALU_DEP_1)
	v_fmac_f32_e32 v5, v101, v0
	v_and_b32_e32 v0, 0xffff0000, v12
	v_dual_fmac_f32 v25, v102, v0 :: v_dual_and_b32 v0, 0xffff0000, v119
	s_delay_alu instid0(VALU_DEP_1) | instskip(NEXT) | instid1(VALU_DEP_1)
	v_dual_fmac_f32 v117, v103, v0 :: v_dual_and_b32 v0, 0xffff0000, v14
	v_fmac_f32_e32 v24, v104, v0
	v_and_b32_e32 v0, 0xffff0000, v20
	s_delay_alu instid0(VALU_DEP_1) | instskip(NEXT) | instid1(VALU_DEP_1)
	v_dual_fmac_f32 v5, v105, v0 :: v_dual_and_b32 v0, 0xffff0000, v19
	v_dual_fmac_f32 v25, v106, v0 :: v_dual_and_b32 v0, 0xffff0000, v21
	s_delay_alu instid0(VALU_DEP_1) | instskip(SKIP_1) | instid1(VALU_DEP_1)
	v_fmac_f32_e32 v24, v108, v0
	v_and_b32_e32 v0, 0xffff0000, v22
	v_dual_fmac_f32 v5, v109, v0 :: v_dual_and_b32 v0, 0xffff0000, v118
	s_delay_alu instid0(VALU_DEP_1) | instskip(NEXT) | instid1(VALU_DEP_1)
	v_dual_fmac_f32 v117, v107, v0 :: v_dual_and_b32 v0, 0xffff0000, v23
	v_dual_fmac_f32 v25, v110, v0 :: v_dual_add_f32 v0, v24, v5
	s_delay_alu instid0(VALU_DEP_1) | instskip(NEXT) | instid1(VALU_DEP_1)
	v_dual_add_f32 v0, v0, v25 :: v_dual_and_b32 v5, 0xffff0000, v6
	v_fmac_f32_e32 v117, v111, v5
	s_delay_alu instid0(VALU_DEP_1)
	v_add_f32_e32 v0, v117, v0
	ds_bpermute_b32 v5, v114, v0
	s_and_saveexec_b32 s5, vcc_lo
	s_cbranch_execz .LBB347_9
; %bb.11:                               ;   in Loop: Header=BB347_10 Depth=1
	s_wait_dscnt 0x0
	v_add_f32_e32 v0, v0, v5
	s_wait_alu 0xfffe
	v_add_nc_u32_e32 v6, s24, v113
	v_cmp_gt_i32_e64 s4, s27, v113
	s_delay_alu instid0(VALU_DEP_2) | instskip(NEXT) | instid1(VALU_DEP_1)
	v_cvt_f32_i32_e32 v6, v6
	v_mul_f32_e32 v6, s8, v6
	s_delay_alu instid0(VALU_DEP_1) | instskip(SKIP_1) | instid1(VALU_DEP_2)
	v_cndmask_b32_e64 v5, 0, v6, s3
	v_max_num_f32_e32 v6, v112, v112
	v_fmac_f32_e32 v5, s9, v0
	s_delay_alu instid0(VALU_DEP_1) | instskip(SKIP_2) | instid1(VALU_DEP_2)
	v_max_num_f32_e32 v0, v6, v5
	s_wait_alu 0xf1ff
	v_cndmask_b32_e64 v5, 0, v5, s4
	v_cndmask_b32_e64 v112, v112, v0, s4
	ds_store_b32 v115, v5
	s_branch .LBB347_9
.LBB347_12:
	s_or_b32 exec_lo, exec_lo, s14
	s_clause 0x4
	scratch_load_b32 v149, off, off offset:48
	scratch_load_b32 v150, off, off offset:52
	;; [unrolled: 1-line block ×5, first 2 shown]
	v_dual_mov_b32 v10, 32 :: v_dual_lshlrev_b32 v17, 2, v18
	v_mov_b32_e32 v9, 0
	s_wait_loadcnt 0x4
	v_lshrrev_b32_e32 v148, 1, v149
.LBB347_13:
	s_or_b32 exec_lo, exec_lo, s10
	s_wait_loadcnt 0x0
	v_xor_b32_e32 v0, 16, v21
	v_xor_b32_e32 v1, 8, v21
	s_load_b128 s[8:11], s[0:1], 0x0
	s_wait_kmcnt 0x0
	s_clause 0x1
	s_load_b64 s[4:5], s[0:1], 0x10
	s_load_b64 s[24:25], s[0:1], 0x28
	v_and_b32_e32 v19, 31, v149
	v_lshlrev_b32_e32 v6, 2, v151
	v_cmp_lt_i32_e32 vcc_lo, v0, v10
	s_wait_alu 0xfffd
	v_cndmask_b32_e32 v0, v21, v0, vcc_lo
	v_cmp_lt_i32_e32 vcc_lo, v1, v10
	s_wait_alu 0xfffd
	s_delay_alu instid0(VALU_DEP_2)
	v_dual_cndmask_b32 v1, v21, v1 :: v_dual_lshlrev_b32 v2, 2, v0
	v_max_num_f32_e32 v3, v112, v112
	ds_bpermute_b32 v0, v2, v112
	v_lshlrev_b32_e32 v4, 2, v1
	s_wait_dscnt 0x0
	v_max_num_f32_e32 v0, v0, v0
	s_delay_alu instid0(VALU_DEP_1)
	v_max_num_f32_e32 v0, v3, v0
	v_xor_b32_e32 v3, 4, v21
	ds_bpermute_b32 v1, v4, v0
	v_cmp_lt_i32_e32 vcc_lo, v3, v10
	s_wait_alu 0xfffd
	v_cndmask_b32_e32 v3, v21, v3, vcc_lo
	s_delay_alu instid0(VALU_DEP_1) | instskip(SKIP_1) | instid1(VALU_DEP_1)
	v_lshlrev_b32_e32 v5, 2, v3
	v_xor_b32_e32 v3, 2, v21
	v_cmp_lt_i32_e32 vcc_lo, v3, v10
	s_wait_dscnt 0x0
	v_max_num_f32_e32 v1, v1, v1
	s_wait_alu 0xfffd
	v_cndmask_b32_e32 v3, v21, v3, vcc_lo
	v_cmp_eq_u32_e32 vcc_lo, 0, v19
	s_delay_alu instid0(VALU_DEP_3) | instskip(SKIP_3) | instid1(VALU_DEP_1)
	v_max_num_f32_e32 v0, v0, v1
	ds_bpermute_b32 v1, v5, v0
	s_wait_dscnt 0x0
	v_max_num_f32_e32 v1, v1, v1
	v_dual_max_num_f32 v0, v0, v1 :: v_dual_lshlrev_b32 v1, 2, v3
	ds_bpermute_b32 v3, v1, v0
	s_and_saveexec_b32 s0, vcc_lo
	s_cbranch_execz .LBB347_15
; %bb.14:
	s_wait_dscnt 0x0
	v_dual_max_num_f32 v3, v3, v3 :: v_dual_max_num_f32 v0, v0, v0
	s_delay_alu instid0(VALU_DEP_1)
	v_max_num_f32_e32 v0, v0, v3
	ds_store_b32 v6, v0 offset:384
.LBB347_15:
	s_or_b32 exec_lo, exec_lo, s0
	v_cmp_gt_u32_e64 s0, 4, v19
	v_dual_mov_b32 v0, 0xff7fffff :: v_dual_lshlrev_b32 v7, 2, v19
	s_wait_storecnt_dscnt 0x0
	s_barrier_signal -1
	s_barrier_wait -1
	global_inv scope:SCOPE_SE
	s_and_saveexec_b32 s1, s0
; %bb.16:
	ds_load_b32 v0, v7 offset:384
; %bb.17:
	s_or_b32 exec_lo, exec_lo, s1
	s_wait_dscnt 0x0
	ds_bpermute_b32 v3, v1, v0
	v_xor_b32_e32 v8, 1, v21
	v_max_num_f32_e32 v0, v0, v0
	s_delay_alu instid0(VALU_DEP_2) | instskip(NEXT) | instid1(VALU_DEP_1)
	v_cmp_lt_i32_e64 s1, v8, v10
	v_cndmask_b32_e64 v8, v21, v8, s1
	s_sub_co_i32 s1, s17, s31
	s_wait_alu 0xfffe
	s_lshl_b32 s1, s1, 4
	s_delay_alu instid0(VALU_DEP_1)
	v_lshlrev_b32_e32 v20, 2, v8
	s_wait_alu 0xfffe
	s_add_co_i32 s1, s1, s28
	v_mov_b32_e32 v8, 0
	s_wait_alu 0xfffe
	s_min_i32 s1, s1, s27
	s_wait_dscnt 0x0
	v_max_num_f32_e32 v3, v3, v3
	s_wait_alu 0xfffe
	s_sub_co_i32 s14, s1, s28
	s_delay_alu instid0(SALU_CYCLE_1) | instskip(NEXT) | instid1(VALU_DEP_2)
	v_cmp_gt_i32_e64 s1, s14, v149
	v_max_num_f32_e32 v0, v0, v3
	ds_bpermute_b32 v3, v20, v0
	s_wait_dscnt 0x0
	v_max_num_f32_e32 v3, v3, v3
	s_delay_alu instid0(VALU_DEP_1)
	v_dual_max_num_f32 v0, v0, v3 :: v_dual_lshlrev_b32 v3, 2, v9
	ds_bpermute_b32 v0, v3, v0
	v_lshl_add_u32 v3, v149, 2, 0x1a0
	s_and_saveexec_b32 s23, s1
	s_cbranch_execz .LBB347_21
; %bb.18:
	v_lshl_add_u32 v9, v149, 2, 0x1a0
	v_mov_b32_e32 v8, 0
	v_mov_b32_e32 v10, v149
	s_mov_b32 s31, 0
.LBB347_19:                             ; =>This Inner Loop Header: Depth=1
	ds_load_b32 v11, v9
	v_add_nc_u32_e32 v10, 0x80, v10
	s_delay_alu instid0(VALU_DEP_1) | instskip(SKIP_4) | instid1(VALU_DEP_1)
	v_cmp_le_i32_e64 s3, s14, v10
	s_wait_alu 0xfffe
	s_or_b32 s31, s3, s31
	s_wait_dscnt 0x0
	v_sub_f32_e32 v11, v11, v0
	v_mul_f32_e32 v11, 0x3fb8aa3b, v11
	s_delay_alu instid0(VALU_DEP_1)
	v_exp_f32_e32 v11, v11
	ds_store_b32 v9, v11
	v_dual_add_f32 v8, v8, v11 :: v_dual_add_nc_u32 v9, 0x200, v9
	s_wait_alu 0xfffe
	s_and_not1_b32 exec_lo, exec_lo, s31
	s_cbranch_execnz .LBB347_19
; %bb.20:
	s_or_b32 exec_lo, exec_lo, s31
.LBB347_21:
	s_wait_alu 0xfffe
	s_or_b32 exec_lo, exec_lo, s23
	ds_bpermute_b32 v2, v2, v8
	s_wait_dscnt 0x0
	v_add_f32_e32 v2, v8, v2
	ds_bpermute_b32 v4, v4, v2
	s_wait_dscnt 0x0
	v_add_f32_e32 v2, v2, v4
	;; [unrolled: 3-line block ×5, first 2 shown]
	s_and_saveexec_b32 s3, vcc_lo
; %bb.22:
	ds_store_b32 v6, v2 offset:400
; %bb.23:
	s_wait_alu 0xfffe
	s_or_b32 exec_lo, exec_lo, s3
	s_wait_loadcnt_dscnt 0x0
	s_barrier_signal -1
	s_barrier_wait -1
	global_inv scope:SCOPE_SE
	s_and_saveexec_b32 s3, s0
; %bb.24:
	ds_load_b32 v2, v7 offset:400
; %bb.25:
	s_wait_alu 0xfffe
	s_or_b32 exec_lo, exec_lo, s3
	s_wait_dscnt 0x0
	ds_bpermute_b32 v1, v1, v2
	v_lshlrev_b32_e32 v4, 2, v21
	s_wait_dscnt 0x0
	v_add_f32_e32 v1, v2, v1
	ds_bpermute_b32 v2, v20, v1
	s_wait_dscnt 0x0
	v_dual_add_f32 v1, v1, v2 :: v_dual_and_b32 v2, 0xffffff80, v4
	ds_bpermute_b32 v1, v2, v1
	s_and_saveexec_b32 s0, s1
	s_cbranch_execz .LBB347_28
; %bb.26:
	s_wait_dscnt 0x0
	v_add_f32_e32 v2, 0x358637bd, v1
	s_mov_b32 s1, 0
	s_delay_alu instid0(VALU_DEP_1) | instskip(SKIP_1) | instid1(VALU_DEP_2)
	v_div_scale_f32 v4, null, v2, v2, 1.0
	v_div_scale_f32 v7, vcc_lo, 1.0, v2, 1.0
	v_rcp_f32_e32 v5, v4
	s_delay_alu instid0(TRANS32_DEP_1) | instskip(NEXT) | instid1(VALU_DEP_1)
	v_fma_f32 v6, -v4, v5, 1.0
	v_fmac_f32_e32 v5, v6, v5
	s_delay_alu instid0(VALU_DEP_1) | instskip(NEXT) | instid1(VALU_DEP_1)
	v_mul_f32_e32 v6, v7, v5
	v_fma_f32 v8, -v4, v6, v7
	s_delay_alu instid0(VALU_DEP_1) | instskip(NEXT) | instid1(VALU_DEP_1)
	v_fmac_f32_e32 v6, v8, v5
	v_fma_f32 v4, -v4, v6, v7
	s_wait_alu 0xfffd
	s_delay_alu instid0(VALU_DEP_1) | instskip(NEXT) | instid1(VALU_DEP_1)
	v_div_fmas_f32 v4, v4, v5, v6
	v_div_fixup_f32 v2, v4, v2, 1.0
	v_mov_b32_e32 v4, v149
.LBB347_27:                             ; =>This Inner Loop Header: Depth=1
	ds_load_b32 v5, v3
	s_wait_dscnt 0x0
	v_dual_mul_f32 v5, v2, v5 :: v_dual_add_nc_u32 v4, 0x80, v4
	s_delay_alu instid0(VALU_DEP_1)
	v_cmp_le_i32_e32 vcc_lo, s14, v4
	ds_store_b32 v3, v5
	v_add_nc_u32_e32 v3, 0x200, v3
	s_wait_alu 0xfffe
	s_or_b32 s1, vcc_lo, s1
	s_wait_alu 0xfffe
	s_and_not1_b32 exec_lo, exec_lo, s1
	s_cbranch_execnz .LBB347_27
.LBB347_28:
	s_wait_alu 0xfffe
	s_or_b32 exec_lo, exec_lo, s0
	s_mul_i32 s0, s12, s15
	s_wait_loadcnt_dscnt 0x0
	s_wait_alu 0xfffe
	s_mul_i32 s14, s0, s29
	s_mov_b32 s0, exec_lo
	s_barrier_signal -1
	s_barrier_wait -1
	global_inv scope:SCOPE_SE
	v_cmpx_eq_u32_e32 0, v149
	s_cbranch_execz .LBB347_30
; %bb.29:
	s_wait_alu 0xfffe
	s_ashr_i32 s15, s14, 31
	s_mul_i32 s34, s12, ttmp9
	s_lshl_b32 s1, s26, 2
	s_wait_alu 0xfffe
	s_lshl_b64 s[36:37], s[14:15], 2
	s_ashr_i32 s35, s34, 31
	v_mov_b32_e32 v2, s1
	s_add_nc_u64 s[10:11], s[10:11], s[36:37]
	s_lshl_b64 s[34:35], s[34:35], 2
	s_add_nc_u64 s[8:9], s[8:9], s[36:37]
	s_wait_alu 0xfffe
	s_add_nc_u64 s[10:11], s[10:11], s[34:35]
	s_add_nc_u64 s[8:9], s[8:9], s[34:35]
	s_clause 0x1
	global_store_b32 v2, v0, s[10:11]
	global_store_b32 v2, v1, s[8:9]
.LBB347_30:
	s_wait_alu 0xfffe
	s_or_b32 exec_lo, exec_lo, s0
	v_dual_mov_b32 v31, 0 :: v_dual_mov_b32 v32, 0
	v_dual_mov_b32 v30, 0 :: v_dual_mov_b32 v29, 0
	;; [unrolled: 1-line block ×6, first 2 shown]
	s_and_saveexec_b32 s1, s2
	s_cbranch_execz .LBB347_58
; %bb.31:
	s_load_b32 s2, s[6:7], 0x0
	v_dual_mov_b32 v22, 0 :: v_dual_lshlrev_b32 v1, 5, v150
	v_dual_mov_b32 v23, 0 :: v_dual_and_b32 v2, 0xf8, v12
	s_ashr_i32 s23, s22, 31
	s_lshl_b64 s[6:7], s[18:19], 2
	s_wait_kmcnt 0x0
	s_wait_alu 0xfffe
	s_add_nc_u64 s[8:9], s[24:25], s[22:23]
	v_dual_mov_b32 v21, 0 :: v_dual_and_b32 v0, 8, v12
	v_lshl_add_u32 v3, v151, 4, s28
	v_lshl_or_b32 v1, v151, 6, v1
	s_wait_alu 0xfffe
	v_add_co_u32 v9, s0, s8, v2
	s_add_nc_u64 s[6:7], s[20:21], s[6:7]
	s_wait_alu 0xf1ff
	v_add_co_ci_u32_e64 v10, null, s9, 0, s0
	v_add_co_u32 v11, s0, s6, v17
	v_add3_u32 v33, v3, v0, 7
	v_dual_mov_b32 v25, 0 :: v_dual_add_nc_u32 v34, 0x1a0, v1
	s_wait_alu 0xf1ff
	v_add_co_ci_u32_e64 v12, null, s7, 0, s0
	v_dual_mov_b32 v24, 0 :: v_dual_mov_b32 v27, 0
	v_dual_mov_b32 v26, 0 :: v_dual_mov_b32 v29, 0
	;; [unrolled: 1-line block ×3, first 2 shown]
	v_mov_b32_e32 v30, 0
	v_mov_b32_e32 v32, 0
	s_mov_b32 s3, s13
	s_add_co_i32 s7, s30, -1
	s_mov_b32 s6, 0
	s_branch .LBB347_33
.LBB347_32:                             ;   in Loop: Header=BB347_33 Depth=1
	s_wait_alu 0xfffe
	s_or_b32 exec_lo, exec_lo, s0
	s_wait_dscnt 0x1
	v_bfe_u32 v67, v5, 16, 1
	v_bfe_u32 v75, v6, 16, 1
	v_or_b32_e32 v76, 0x400000, v5
	v_cmp_u_f32_e32 vcc_lo, v5, v5
	v_or_b32_e32 v78, 0x400000, v6
	v_add3_u32 v67, v67, v5, 0x7fff
	v_bfe_u32 v79, v7, 16, 1
	v_add3_u32 v75, v75, v6, 0x7fff
	v_bfe_u32 v80, v8, 16, 1
	v_lshlrev_b32_e32 v15, 16, v15
	s_wait_alu 0xfffd
	v_cndmask_b32_e32 v5, v67, v76, vcc_lo
	v_cmp_u_f32_e32 vcc_lo, v6, v6
	v_add3_u32 v67, v79, v7, 0x7fff
	s_wait_dscnt 0x0
	v_bfe_u32 v76, v1, 16, 1
	v_or_b32_e32 v79, 0x400000, v8
	v_lshlrev_b32_e32 v0, 16, v0
	s_wait_alu 0xfffd
	v_cndmask_b32_e32 v6, v75, v78, vcc_lo
	v_or_b32_e32 v75, 0x400000, v7
	v_cmp_u_f32_e32 vcc_lo, v7, v7
	v_add3_u32 v78, v80, v8, 0x7fff
	v_lshlrev_b32_e32 v65, 16, v65
	v_lshlrev_b32_e32 v55, 16, v55
	;; [unrolled: 1-line block ×3, first 2 shown]
	s_wait_alu 0xfffd
	v_cndmask_b32_e32 v7, v67, v75, vcc_lo
	v_cmp_u_f32_e32 vcc_lo, v8, v8
	v_add3_u32 v67, v76, v1, 0x7fff
	v_or_b32_e32 v75, 0x400000, v1
	v_bfe_u32 v76, v2, 16, 1
	v_lshlrev_b32_e32 v51, 16, v51
	s_wait_alu 0xfffd
	v_cndmask_b32_e32 v8, v78, v79, vcc_lo
	v_cmp_u_f32_e32 vcc_lo, v1, v1
	v_or_b32_e32 v78, 0x400000, v2
	v_add3_u32 v76, v76, v2, 0x7fff
	v_or_b32_e32 v79, 0x400000, v3
	v_and_b32_e32 v5, 0xffff0000, v5
	s_wait_alu 0xfffd
	v_cndmask_b32_e32 v67, v67, v75, vcc_lo
	v_bfe_u32 v75, v3, 16, 1
	v_cmp_u_f32_e32 vcc_lo, v2, v2
	v_lshlrev_b32_e32 v45, 16, v45
	v_lshlrev_b32_e32 v41, 16, v41
	;; [unrolled: 1-line block ×3, first 2 shown]
	v_add3_u32 v75, v75, v3, 0x7fff
	s_wait_alu 0xfffd
	v_cndmask_b32_e32 v2, v76, v78, vcc_lo
	v_bfe_u32 v76, v4, 16, 1
	v_cmp_u_f32_e32 vcc_lo, v3, v3
	v_dual_mul_f32 v41, v5, v41 :: v_dual_lshlrev_b32 v78, 16, v130
	v_lshlrev_b32_e32 v37, 16, v37
	s_delay_alu instid0(VALU_DEP_4)
	v_add3_u32 v76, v76, v4, 0x7fff
	s_wait_alu 0xfffd
	v_cndmask_b32_e32 v75, v75, v79, vcc_lo
	v_or_b32_e32 v79, 0x400000, v4
	v_cmp_u_f32_e32 vcc_lo, v4, v4
	v_and_b32_e32 v1, 0xffff0000, v6
	v_lshlrev_b32_e32 v6, 16, v131
	v_dual_mul_f32 v78, v5, v78 :: v_dual_lshlrev_b32 v35, 16, v35
	s_wait_alu 0xfffd
	v_cndmask_b32_e32 v4, v76, v79, vcc_lo
	v_add_co_u32 v11, s0, v11, 16
	v_dual_mul_f32 v6, v1, v6 :: v_dual_add_nc_u32 v33, 64, v33
	s_delay_alu instid0(VALU_DEP_3) | instskip(SKIP_2) | instid1(VALU_DEP_3)
	v_and_b32_e32 v4, 0xffff0000, v4
	s_wait_alu 0xf1ff
	v_add_co_ci_u32_e64 v12, null, 0, v12, s0
	v_bfe_u32 v3, v6, 16, 1
	v_or_b32_e32 v81, 0x400000, v6
	v_cmp_u_f32_e32 vcc_lo, v6, v6
	v_dual_mul_f32 v15, v4, v15 :: v_dual_lshlrev_b32 v42, 16, v42
	s_delay_alu instid0(VALU_DEP_4)
	v_add3_u32 v80, v3, v6, 0x7fff
	v_and_b32_e32 v3, 0xffff0000, v8
	v_bfe_u32 v79, v78, 16, 1
	v_and_b32_e32 v6, 0xffff0000, v7
	s_wait_alu 0xfffd
	v_dual_cndmask_b32 v76, v80, v81 :: v_dual_lshlrev_b32 v7, 16, v128
	v_lshlrev_b32_e32 v8, 16, v129
	v_cmp_u_f32_e32 vcc_lo, v78, v78
	s_delay_alu instid0(VALU_DEP_3) | instskip(NEXT) | instid1(VALU_DEP_3)
	v_dual_mul_f32 v7, v6, v7 :: v_dual_lshlrev_b32 v36, 16, v36
	v_dual_mul_f32 v80, v3, v8 :: v_dual_lshlrev_b32 v121, 16, v121
	v_lshlrev_b32_e32 v8, 16, v17
	v_add3_u32 v17, v79, v78, 0x7fff
	v_or_b32_e32 v79, 0x400000, v78
	v_lshlrev_b32_e32 v84, 16, v84
	v_lshlrev_b32_e32 v82, 16, v82
	;; [unrolled: 1-line block ×3, first 2 shown]
	s_wait_alu 0xfffd
	v_dual_cndmask_b32 v17, v17, v79 :: v_dual_lshlrev_b32 v72, 16, v72
	v_bfe_u32 v81, v80, 16, 1
	v_or_b32_e32 v79, 0x400000, v80
	v_cmp_u_f32_e32 vcc_lo, v80, v80
	s_delay_alu instid0(VALU_DEP_4) | instskip(NEXT) | instid1(VALU_DEP_4)
	v_dual_mul_f32 v74, v5, v74 :: v_dual_and_b32 v17, 0xffff0000, v17
	v_add3_u32 v78, v81, v80, 0x7fff
	v_and_b32_e32 v2, 0xffff0000, v2
	v_bfe_u32 v81, v7, 16, 1
	v_and_b32_e32 v76, 0xffff0000, v76
	v_lshlrev_b32_e32 v68, 16, v68
	v_lshlrev_b32_e32 v70, 16, v70
	v_mul_f32_e32 v128, v2, v8
	s_delay_alu instid0(VALU_DEP_4)
	v_dual_add_f32 v17, v17, v76 :: v_dual_and_b32 v8, 0xffff0000, v67
	s_wait_alu 0xfffd
	v_cndmask_b32_e32 v67, v78, v79, vcc_lo
	v_add3_u32 v78, v81, v7, 0x7fff
	v_or_b32_e32 v79, 0x400000, v7
	v_cmp_u_f32_e32 vcc_lo, v7, v7
	v_and_b32_e32 v7, 0xffff0000, v75
	v_lshlrev_b32_e32 v76, 16, v127
	v_and_b32_e32 v67, 0xffff0000, v67
	v_bfe_u32 v129, v128, 16, 1
	s_wait_alu 0xfffd
	v_cndmask_b32_e32 v78, v78, v79, vcc_lo
	v_mul_f32_e32 v0, v7, v0
	v_or_b32_e32 v81, 0x400000, v128
	v_cmp_u_f32_e32 vcc_lo, v128, v128
	v_add3_u32 v80, v129, v128, 0x7fff
	v_and_b32_e32 v78, 0xffff0000, v78
	v_lshlrev_b32_e32 v16, 16, v16
	v_bfe_u32 v128, v15, 16, 1
	v_mul_f32_e32 v84, v8, v84
	s_wait_alu 0xfffd
	v_cndmask_b32_e32 v79, v80, v81, vcc_lo
	v_dual_add_f32 v67, v78, v67 :: v_dual_mul_f32 v16, v8, v16
	v_add3_u32 v75, v128, v15, 0x7fff
	v_mul_f32_e32 v82, v7, v82
	s_delay_alu instid0(VALU_DEP_3) | instskip(NEXT) | instid1(VALU_DEP_4)
	v_dual_add_f32 v17, v67, v17 :: v_dual_and_b32 v78, 0xffff0000, v79
	v_bfe_u32 v129, v16, 16, 1
	v_or_b32_e32 v81, 0x400000, v16
	v_cmp_u_f32_e32 vcc_lo, v16, v16
	v_or_b32_e32 v79, 0x400000, v0
	v_mul_f32_e32 v67, v1, v76
	v_add3_u32 v80, v129, v16, 0x7fff
	v_dual_mul_f32 v68, v7, v68 :: v_dual_lshlrev_b32 v77, 16, v77
	v_mul_f32_e32 v53, v8, v53
	s_wait_alu 0xfffd
	s_delay_alu instid0(VALU_DEP_3) | instskip(SKIP_3) | instid1(VALU_DEP_4)
	v_dual_mul_f32 v51, v7, v51 :: v_dual_cndmask_b32 v16, v80, v81
	v_or_b32_e32 v80, 0x400000, v15
	v_cmp_u_f32_e32 vcc_lo, v15, v15
	v_lshlrev_b32_e32 v81, 16, v123
	v_dual_mul_f32 v45, v8, v45 :: v_dual_and_b32 v16, 0xffff0000, v16
	v_mul_f32_e32 v37, v8, v37
	s_wait_alu 0xfffd
	v_cndmask_b32_e32 v15, v75, v80, vcc_lo
	v_bfe_u32 v75, v0, 16, 1
	v_cmp_u_f32_e32 vcc_lo, v0, v0
	v_add_f32_e32 v16, v16, v78
	v_or_b32_e32 v78, 0x400000, v67
	v_lshlrev_b32_e32 v80, 16, v124
	v_add3_u32 v75, v75, v0, 0x7fff
	v_mul_f32_e32 v81, v2, v81
	v_dual_add_f32 v16, v16, v17 :: v_dual_and_b32 v15, 0xffff0000, v15
	v_mul_f32_e32 v55, v6, v55
	s_wait_alu 0xfffd
	v_cndmask_b32_e32 v0, v75, v79, vcc_lo
	v_bfe_u32 v75, v67, 16, 1
	v_cmp_u_f32_e32 vcc_lo, v67, v67
	v_lshlrev_b32_e32 v43, 16, v43
	v_dual_mul_f32 v35, v7, v35 :: v_dual_lshlrev_b32 v66, 16, v66
	s_delay_alu instid0(VALU_DEP_4) | instskip(NEXT) | instid1(VALU_DEP_3)
	v_add3_u32 v75, v75, v67, 0x7fff
	v_dual_mul_f32 v43, v7, v43 :: v_dual_lshlrev_b32 v62, 16, v62
	v_lshlrev_b32_e32 v64, 16, v64
	s_wait_alu 0xfffd
	s_delay_alu instid0(VALU_DEP_3) | instskip(SKIP_2) | instid1(VALU_DEP_3)
	v_dual_cndmask_b32 v67, v75, v78 :: v_dual_lshlrev_b32 v60, 16, v60
	v_dual_mul_f32 v80, v6, v80 :: v_dual_lshlrev_b32 v47, 16, v47
	v_mul_f32_e32 v36, v4, v36
	v_dual_mul_f32 v64, v3, v64 :: v_dual_and_b32 v67, 0xffff0000, v67
	s_delay_alu instid0(VALU_DEP_3) | instskip(SKIP_2) | instid1(VALU_DEP_3)
	v_dual_mul_f32 v47, v6, v47 :: v_dual_lshlrev_b32 v76, 16, v126
	v_dual_mul_f32 v60, v4, v60 :: v_dual_lshlrev_b32 v39, 16, v39
	v_lshlrev_b32_e32 v56, 16, v56
	v_dual_mul_f32 v17, v5, v76 :: v_dual_lshlrev_b32 v76, 16, v125
	v_mul_f32_e32 v62, v2, v62
	v_lshlrev_b32_e32 v54, 16, v54
	s_delay_alu instid0(VALU_DEP_4) | instskip(NEXT) | instid1(VALU_DEP_4)
	v_mul_f32_e32 v56, v3, v56
	v_bfe_u32 v79, v17, 16, 1
	v_or_b32_e32 v78, 0x400000, v17
	v_cmp_u_f32_e32 vcc_lo, v17, v17
	v_dual_mul_f32 v54, v2, v54 :: v_dual_lshlrev_b32 v61, 16, v61
	s_delay_alu instid0(VALU_DEP_4) | instskip(SKIP_2) | instid1(VALU_DEP_4)
	v_add3_u32 v75, v79, v17, 0x7fff
	v_lshlrev_b32_e32 v52, 16, v52
	v_lshlrev_b32_e32 v59, 16, v59
	v_dual_mul_f32 v61, v8, v61 :: v_dual_lshlrev_b32 v50, 16, v50
	s_wait_alu 0xfffd
	v_cndmask_b32_e32 v17, v75, v78, vcc_lo
	v_mul_f32_e32 v76, v3, v76
	v_dual_mul_f32 v52, v4, v52 :: v_dual_mul_f32 v59, v7, v59
	v_lshlrev_b32_e32 v48, 16, v48
	s_delay_alu instid0(VALU_DEP_4) | instskip(NEXT) | instid1(VALU_DEP_4)
	v_and_b32_e32 v17, 0xffff0000, v17
	v_bfe_u32 v79, v76, 16, 1
	v_or_b32_e32 v78, 0x400000, v76
	v_cmp_u_f32_e32 vcc_lo, v76, v76
	v_dual_mul_f32 v48, v3, v48 :: v_dual_lshlrev_b32 v57, 16, v57
	s_delay_alu instid0(VALU_DEP_4) | instskip(SKIP_2) | instid1(VALU_DEP_4)
	v_add3_u32 v75, v79, v76, 0x7fff
	v_bfe_u32 v79, v80, 16, 1
	v_add_f32_e32 v17, v17, v67
	v_dual_mul_f32 v57, v5, v57 :: v_dual_lshlrev_b32 v46, 16, v46
	s_wait_alu 0xfffd
	v_cndmask_b32_e32 v75, v75, v78, vcc_lo
	v_add3_u32 v76, v79, v80, 0x7fff
	v_or_b32_e32 v78, 0x400000, v80
	v_bfe_u32 v79, v81, 16, 1
	v_cmp_u_f32_e32 vcc_lo, v80, v80
	v_mul_f32_e32 v80, v4, v121
	v_or_b32_e32 v121, 0x400000, v81
	v_and_b32_e32 v75, 0xffff0000, v75
	v_add3_u32 v79, v79, v81, 0x7fff
	s_wait_alu 0xfffd
	v_cndmask_b32_e32 v76, v76, v78, vcc_lo
	v_cmp_u_f32_e32 vcc_lo, v81, v81
	v_mul_f32_e32 v46, v2, v46
	v_lshlrev_b32_e32 v44, 16, v44
	v_lshlrev_b32_e32 v40, 16, v40
	s_wait_alu 0xfffd
	v_dual_cndmask_b32 v79, v79, v121 :: v_dual_and_b32 v76, 0xffff0000, v76
	v_and_b32_e32 v0, 0xffff0000, v0
	v_mul_f32_e32 v44, v4, v44
	s_delay_alu instid0(VALU_DEP_3) | instskip(NEXT) | instid1(VALU_DEP_4)
	v_dual_mul_f32 v40, v3, v40 :: v_dual_add_f32 v67, v76, v75
	v_and_b32_e32 v76, 0xffff0000, v79
	v_lshlrev_b32_e32 v122, 16, v122
	v_dual_add_f32 v0, v0, v15 :: v_dual_lshlrev_b32 v15, 16, v118
	s_delay_alu instid0(VALU_DEP_4) | instskip(NEXT) | instid1(VALU_DEP_3)
	v_dual_add_f32 v17, v67, v17 :: v_dual_lshlrev_b32 v120, 16, v120
	v_mul_f32_e32 v122, v8, v122
	s_delay_alu instid0(VALU_DEP_3) | instskip(NEXT) | instid1(VALU_DEP_3)
	v_dual_mul_f32 v15, v5, v15 :: v_dual_lshlrev_b32 v38, 16, v38
	v_dual_mul_f32 v120, v7, v120 :: v_dual_lshlrev_b32 v49, 16, v49
	s_delay_alu instid0(VALU_DEP_3) | instskip(SKIP_2) | instid1(VALU_DEP_4)
	v_bfe_u32 v78, v122, 16, 1
	v_or_b32_e32 v123, 0x400000, v122
	v_cmp_u_f32_e32 vcc_lo, v122, v122
	v_bfe_u32 v125, v120, 16, 1
	v_mul_f32_e32 v38, v2, v38
	v_add3_u32 v78, v78, v122, 0x7fff
	v_or_b32_e32 v122, 0x400000, v120
	v_mul_f32_e32 v49, v5, v49
	v_add3_u32 v121, v125, v120, 0x7fff
	v_lshlrev_b32_e32 v14, 16, v14
	s_wait_alu 0xfffd
	v_cndmask_b32_e32 v78, v78, v123, vcc_lo
	v_cmp_u_f32_e32 vcc_lo, v120, v120
	v_add_nc_u32_e32 v18, 4, v18
	v_add_nc_u32_e32 v34, 0x100, v34
	s_delay_alu instid0(VALU_DEP_4)
	v_and_b32_e32 v75, 0xffff0000, v78
	v_bfe_u32 v124, v80, 16, 1
	v_or_b32_e32 v123, 0x400000, v80
	s_wait_alu 0xfffd
	v_cndmask_b32_e32 v120, v121, v122, vcc_lo
	v_cmp_u_f32_e32 vcc_lo, v80, v80
	v_add_f32_e32 v67, v75, v76
	v_add3_u32 v81, v124, v80, 0x7fff
	s_delay_alu instid0(VALU_DEP_4) | instskip(SKIP_1) | instid1(VALU_DEP_2)
	v_and_b32_e32 v75, 0xffff0000, v120
	s_wait_alu 0xfffd
	v_dual_add_f32 v17, v67, v17 :: v_dual_cndmask_b32 v78, v81, v123
	s_delay_alu instid0(VALU_DEP_1) | instskip(NEXT) | instid1(VALU_DEP_1)
	v_and_b32_e32 v76, 0xffff0000, v78
	v_dual_add_f32 v67, v75, v76 :: v_dual_lshlrev_b32 v78, 16, v119
	s_delay_alu instid0(VALU_DEP_1) | instskip(SKIP_2) | instid1(VALU_DEP_4)
	v_dual_mul_f32 v75, v1, v78 :: v_dual_lshlrev_b32 v78, 16, v116
	v_add_f32_e32 v0, v0, v16
	v_or_b32_e32 v76, 0x400000, v15
	v_add_f32_e32 v16, v67, v17
	s_delay_alu instid0(VALU_DEP_4) | instskip(NEXT) | instid1(VALU_DEP_4)
	v_bfe_u32 v17, v75, 16, 1
	v_dual_add_f32 v22, v22, v0 :: v_dual_lshlrev_b32 v67, 16, v117
	v_bfe_u32 v0, v15, 16, 1
	s_delay_alu instid0(VALU_DEP_4) | instskip(NEXT) | instid1(VALU_DEP_4)
	v_add_f32_e32 v23, v23, v16
	v_add3_u32 v16, v17, v75, 0x7fff
	v_or_b32_e32 v17, 0x400000, v75
	v_mul_f32_e32 v67, v3, v67
	v_cmp_u_f32_e32 vcc_lo, v75, v75
	v_add3_u32 v0, v0, v15, 0x7fff
	s_wait_alu 0xfffd
	v_dual_cndmask_b32 v16, v16, v17 :: v_dual_lshlrev_b32 v75, 16, v115
	v_bfe_u32 v17, v67, 16, 1
	v_cmp_u_f32_e32 vcc_lo, v15, v15
	v_mul_f32_e32 v15, v6, v78
	s_delay_alu instid0(VALU_DEP_4) | instskip(NEXT) | instid1(VALU_DEP_4)
	v_dual_mul_f32 v75, v2, v75 :: v_dual_lshlrev_b32 v78, 16, v114
	v_add3_u32 v17, v17, v67, 0x7fff
	s_wait_alu 0xfffd
	v_cndmask_b32_e32 v0, v0, v76, vcc_lo
	v_or_b32_e32 v76, 0x400000, v67
	v_bfe_u32 v79, v15, 16, 1
	v_cmp_u_f32_e32 vcc_lo, v67, v67
	v_mul_f32_e32 v67, v8, v78
	v_or_b32_e32 v78, 0x400000, v15
	s_wait_alu 0xfffd
	v_cndmask_b32_e32 v17, v17, v76, vcc_lo
	v_add3_u32 v76, v79, v15, 0x7fff
	v_cmp_u_f32_e32 vcc_lo, v15, v15
	v_bfe_u32 v79, v75, 16, 1
	v_lshlrev_b32_e32 v80, 16, v113
	v_bfe_u32 v81, v67, 16, 1
	v_and_b32_e32 v17, 0xffff0000, v17
	s_wait_alu 0xfffd
	v_cndmask_b32_e32 v15, v76, v78, vcc_lo
	v_add3_u32 v76, v79, v75, 0x7fff
	v_or_b32_e32 v79, 0x400000, v75
	v_cmp_u_f32_e32 vcc_lo, v75, v75
	s_delay_alu instid0(VALU_DEP_4)
	v_dual_mul_f32 v78, v4, v80 :: v_dual_and_b32 v15, 0xffff0000, v15
	v_add3_u32 v80, v81, v67, 0x7fff
	v_lshlrev_b32_e32 v81, 16, v112
	v_or_b32_e32 v112, 0x400000, v67
	s_wait_alu 0xfffd
	v_cndmask_b32_e32 v75, v76, v79, vcc_lo
	v_cmp_u_f32_e32 vcc_lo, v67, v67
	v_add_f32_e32 v15, v15, v17
	v_bfe_u32 v113, v78, 16, 1
	v_dual_mul_f32 v76, v7, v81 :: v_dual_lshlrev_b32 v17, 16, v111
	s_wait_alu 0xfffd
	v_cndmask_b32_e32 v67, v80, v112, vcc_lo
	v_or_b32_e32 v80, 0x400000, v78
	v_add3_u32 v79, v113, v78, 0x7fff
	v_bfe_u32 v81, v76, 16, 1
	v_and_b32_e32 v0, 0xffff0000, v0
	v_and_b32_e32 v16, 0xffff0000, v16
	v_cmp_u_f32_e32 vcc_lo, v78, v78
	s_delay_alu instid0(VALU_DEP_2)
	v_add_f32_e32 v0, v0, v16
	s_wait_alu 0xfffd
	v_cndmask_b32_e32 v78, v79, v80, vcc_lo
	v_add3_u32 v79, v81, v76, 0x7fff
	v_or_b32_e32 v80, 0x400000, v76
	v_cmp_u_f32_e32 vcc_lo, v76, v76
	v_and_b32_e32 v16, 0xffff0000, v67
	v_and_b32_e32 v67, 0xffff0000, v75
	v_lshlrev_b32_e32 v81, 16, v106
	s_wait_alu 0xfffd
	v_cndmask_b32_e32 v75, v79, v80, vcc_lo
	v_dual_add_f32 v0, v15, v0 :: v_dual_mul_f32 v15, v1, v17
	v_dual_add_f32 v16, v16, v67 :: v_dual_lshlrev_b32 v17, 16, v110
	s_delay_alu instid0(VALU_DEP_3) | instskip(SKIP_1) | instid1(VALU_DEP_4)
	v_and_b32_e32 v67, 0xffff0000, v75
	v_and_b32_e32 v75, 0xffff0000, v78
	v_bfe_u32 v76, v15, 16, 1
	s_delay_alu instid0(VALU_DEP_4)
	v_add_f32_e32 v0, v16, v0
	v_dual_mul_f32 v16, v5, v17 :: v_dual_lshlrev_b32 v79, 16, v108
	v_lshlrev_b32_e32 v17, 16, v109
	v_add_f32_e32 v67, v67, v75
	v_add3_u32 v75, v76, v15, 0x7fff
	v_or_b32_e32 v76, 0x400000, v15
	v_bfe_u32 v78, v16, 16, 1
	v_dual_mul_f32 v17, v3, v17 :: v_dual_lshlrev_b32 v80, 16, v107
	v_cmp_u_f32_e32 vcc_lo, v15, v15
	v_add_f32_e32 v0, v67, v0
	s_delay_alu instid0(VALU_DEP_3)
	v_mul_f32_e32 v80, v2, v80
	s_wait_alu 0xfffd
	v_cndmask_b32_e32 v15, v75, v76, vcc_lo
	v_add3_u32 v75, v78, v16, 0x7fff
	v_or_b32_e32 v76, 0x400000, v16
	v_bfe_u32 v78, v17, 16, 1
	v_cmp_u_f32_e32 vcc_lo, v16, v16
	v_dual_mul_f32 v79, v6, v79 :: v_dual_add_f32 v24, v24, v0
	s_wait_alu 0xfffd
	v_cndmask_b32_e32 v16, v75, v76, vcc_lo
	v_add3_u32 v75, v78, v17, 0x7fff
	v_or_b32_e32 v76, 0x400000, v17
	v_bfe_u32 v78, v79, 16, 1
	v_cmp_u_f32_e32 vcc_lo, v17, v17
	v_and_b32_e32 v16, 0xffff0000, v16
	s_wait_alu 0xfffd
	v_cndmask_b32_e32 v17, v75, v76, vcc_lo
	v_add3_u32 v75, v78, v79, 0x7fff
	v_or_b32_e32 v76, 0x400000, v79
	v_mul_f32_e32 v78, v8, v81
	v_bfe_u32 v81, v80, 16, 1
	v_cmp_u_f32_e32 vcc_lo, v79, v79
	s_delay_alu instid0(VALU_DEP_3) | instskip(NEXT) | instid1(VALU_DEP_3)
	v_or_b32_e32 v106, 0x400000, v78
	v_add3_u32 v79, v81, v80, 0x7fff
	s_wait_alu 0xfffd
	v_cndmask_b32_e32 v75, v75, v76, vcc_lo
	v_cmp_u_f32_e32 vcc_lo, v80, v80
	v_lshlrev_b32_e32 v104, 16, v104
	v_lshlrev_b32_e32 v105, 16, v105
	v_bfe_u32 v76, v78, 16, 1
	s_delay_alu instid0(VALU_DEP_2) | instskip(SKIP_1) | instid1(VALU_DEP_3)
	v_dual_mul_f32 v104, v7, v104 :: v_dual_mul_f32 v81, v4, v105
	v_or_b32_e32 v105, 0x400000, v80
	v_add3_u32 v76, v76, v78, 0x7fff
	s_delay_alu instid0(VALU_DEP_3) | instskip(NEXT) | instid1(VALU_DEP_4)
	v_bfe_u32 v80, v104, 16, 1
	v_bfe_u32 v107, v81, 16, 1
	s_wait_alu 0xfffd
	v_cndmask_b32_e32 v79, v79, v105, vcc_lo
	v_cmp_u_f32_e32 vcc_lo, v78, v78
	v_or_b32_e32 v105, 0x400000, v81
	v_add3_u32 v80, v80, v104, 0x7fff
	v_add3_u32 v78, v107, v81, 0x7fff
	s_wait_alu 0xfffd
	v_dual_cndmask_b32 v76, v76, v106 :: v_dual_and_b32 v75, 0xffff0000, v75
	v_and_b32_e32 v17, 0xffff0000, v17
	v_and_b32_e32 v15, 0xffff0000, v15
	v_or_b32_e32 v106, 0x400000, v104
	v_cmp_u_f32_e32 vcc_lo, v104, v104
	s_delay_alu instid0(VALU_DEP_3)
	v_dual_add_f32 v15, v16, v15 :: v_dual_add_f32 v16, v75, v17
	v_and_b32_e32 v17, 0xffff0000, v76
	s_wait_alu 0xfffd
	v_dual_cndmask_b32 v76, v80, v106 :: v_dual_and_b32 v75, 0xffff0000, v79
	v_cmp_u_f32_e32 vcc_lo, v81, v81
	v_lshlrev_b32_e32 v80, 16, v94
	s_wait_alu 0xfffd
	v_dual_cndmask_b32 v78, v78, v105 :: v_dual_add_f32 v15, v16, v15
	v_dual_add_f32 v16, v17, v75 :: v_dual_lshlrev_b32 v17, 16, v97
	v_and_b32_e32 v75, 0xffff0000, v76
	v_lshlrev_b32_e32 v76, 16, v96
	s_delay_alu instid0(VALU_DEP_3) | instskip(NEXT) | instid1(VALU_DEP_4)
	v_dual_add_f32 v15, v16, v15 :: v_dual_and_b32 v78, 0xffff0000, v78
	v_mul_f32_e32 v17, v1, v17
	s_delay_alu instid0(VALU_DEP_2) | instskip(SKIP_1) | instid1(VALU_DEP_3)
	v_dual_mul_f32 v16, v5, v76 :: v_dual_add_f32 v67, v75, v78
	v_lshlrev_b32_e32 v75, 16, v95
	v_bfe_u32 v76, v17, 16, 1
	v_cmp_u_f32_e32 vcc_lo, v17, v17
	s_delay_alu instid0(VALU_DEP_4)
	v_bfe_u32 v0, v16, 16, 1
	v_add_f32_e32 v15, v67, v15
	v_mul_f32_e32 v67, v3, v75
	v_add3_u32 v75, v76, v17, 0x7fff
	v_or_b32_e32 v76, 0x400000, v17
	v_add3_u32 v0, v0, v16, 0x7fff
	v_or_b32_e32 v78, 0x400000, v16
	s_wait_alu 0xfffd
	s_delay_alu instid0(VALU_DEP_3)
	v_cndmask_b32_e32 v17, v75, v76, vcc_lo
	v_cmp_u_f32_e32 vcc_lo, v16, v16
	v_mul_f32_e32 v16, v6, v80
	s_wait_alu 0xfffd
	v_cndmask_b32_e32 v0, v0, v78, vcc_lo
	v_lshlrev_b32_e32 v78, 16, v93
	s_delay_alu instid0(VALU_DEP_3) | instskip(NEXT) | instid1(VALU_DEP_3)
	v_bfe_u32 v80, v16, 16, 1
	v_dual_add_f32 v25, v25, v15 :: v_dual_and_b32 v0, 0xffff0000, v0
	v_bfe_u32 v79, v67, 16, 1
	v_or_b32_e32 v76, 0x400000, v67
	v_cmp_u_f32_e32 vcc_lo, v67, v67
	s_delay_alu instid0(VALU_DEP_3) | instskip(SKIP_2) | instid1(VALU_DEP_2)
	v_add3_u32 v75, v79, v67, 0x7fff
	v_lshlrev_b32_e32 v79, 16, v92
	s_wait_alu 0xfffd
	v_cndmask_b32_e32 v67, v75, v76, vcc_lo
	s_delay_alu instid0(VALU_DEP_2)
	v_dual_mul_f32 v75, v2, v78 :: v_dual_mul_f32 v76, v8, v79
	v_add3_u32 v78, v80, v16, 0x7fff
	v_or_b32_e32 v79, 0x400000, v16
	v_cmp_u_f32_e32 vcc_lo, v16, v16
	v_lshlrev_b32_e32 v80, 16, v91
	v_bfe_u32 v91, v76, 16, 1
	s_wait_alu 0xfffd
	v_cndmask_b32_e32 v16, v78, v79, vcc_lo
	s_delay_alu instid0(VALU_DEP_3) | instskip(NEXT) | instid1(VALU_DEP_2)
	v_dual_mul_f32 v78, v4, v80 :: v_dual_and_b32 v67, 0xffff0000, v67
	v_and_b32_e32 v16, 0xffff0000, v16
	v_bfe_u32 v81, v75, 16, 1
	v_or_b32_e32 v80, 0x400000, v75
	v_cmp_u_f32_e32 vcc_lo, v75, v75
	v_bfe_u32 v92, v78, 16, 1
	v_dual_add_f32 v16, v16, v67 :: v_dual_and_b32 v17, 0xffff0000, v17
	v_add3_u32 v79, v81, v75, 0x7fff
	v_add3_u32 v81, v91, v76, 0x7fff
	v_or_b32_e32 v91, 0x400000, v76
	s_delay_alu instid0(VALU_DEP_4)
	v_add_f32_e32 v0, v0, v17
	v_lshlrev_b32_e32 v67, 16, v89
	s_wait_alu 0xfffd
	v_cndmask_b32_e32 v75, v79, v80, vcc_lo
	v_lshlrev_b32_e32 v79, 16, v90
	v_cmp_u_f32_e32 vcc_lo, v76, v76
	v_add3_u32 v80, v92, v78, 0x7fff
	v_add_f32_e32 v0, v16, v0
	v_mul_f32_e32 v16, v1, v67
	v_mul_f32_e32 v79, v7, v79
	s_wait_alu 0xfffd
	v_cndmask_b32_e32 v76, v81, v91, vcc_lo
	v_or_b32_e32 v81, 0x400000, v78
	v_cmp_u_f32_e32 vcc_lo, v78, v78
	v_lshlrev_b32_e32 v67, 16, v88
	v_bfe_u32 v88, v82, 16, 1
	v_and_b32_e32 v17, 0xffff0000, v76
	s_wait_alu 0xfffd
	v_dual_mul_f32 v7, v7, v14 :: v_dual_cndmask_b32 v78, v80, v81
	v_bfe_u32 v80, v79, 16, 1
	v_lshlrev_b32_e32 v81, 16, v86
	v_and_b32_e32 v75, 0xffff0000, v75
	v_cmp_u_f32_e32 vcc_lo, v79, v79
	v_and_b32_e32 v78, 0xffff0000, v78
	v_add3_u32 v76, v80, v79, 0x7fff
	v_or_b32_e32 v80, 0x400000, v79
	v_mul_f32_e32 v81, v6, v81
	v_add_f32_e32 v17, v17, v75
	v_or_b32_e32 v79, 0x400000, v16
	v_or_b32_e32 v86, 0x400000, v84
	s_wait_alu 0xfffd
	v_cndmask_b32_e32 v75, v76, v80, vcc_lo
	v_bfe_u32 v76, v16, 16, 1
	v_cmp_u_f32_e32 vcc_lo, v16, v16
	v_add_f32_e32 v0, v17, v0
	s_delay_alu instid0(VALU_DEP_3) | instskip(SKIP_1) | instid1(VALU_DEP_1)
	v_add3_u32 v76, v76, v16, 0x7fff
	s_wait_alu 0xfffd
	v_cndmask_b32_e32 v16, v76, v79, vcc_lo
	v_mul_f32_e32 v17, v5, v67
	v_lshlrev_b32_e32 v67, 16, v87
	s_delay_alu instid0(VALU_DEP_3) | instskip(NEXT) | instid1(VALU_DEP_3)
	v_and_b32_e32 v16, 0xffff0000, v16
	v_bfe_u32 v80, v17, 16, 1
	s_delay_alu instid0(VALU_DEP_3) | instskip(SKIP_2) | instid1(VALU_DEP_4)
	v_mul_f32_e32 v67, v3, v67
	v_or_b32_e32 v79, 0x400000, v17
	v_cmp_u_f32_e32 vcc_lo, v17, v17
	v_add3_u32 v76, v80, v17, 0x7fff
	s_delay_alu instid0(VALU_DEP_4) | instskip(SKIP_1) | instid1(VALU_DEP_2)
	v_bfe_u32 v80, v67, 16, 1
	s_wait_alu 0xfffd
	v_cndmask_b32_e32 v17, v76, v79, vcc_lo
	s_delay_alu instid0(VALU_DEP_2)
	v_add3_u32 v76, v80, v67, 0x7fff
	v_or_b32_e32 v79, 0x400000, v67
	v_bfe_u32 v80, v81, 16, 1
	v_cmp_u_f32_e32 vcc_lo, v67, v67
	v_and_b32_e32 v17, 0xffff0000, v17
	v_and_b32_e32 v75, 0xffff0000, v75
	s_wait_alu 0xfffd
	v_cndmask_b32_e32 v67, v76, v79, vcc_lo
	v_add3_u32 v76, v80, v81, 0x7fff
	v_or_b32_e32 v79, 0x400000, v81
	v_cmp_u_f32_e32 vcc_lo, v81, v81
	s_delay_alu instid0(VALU_DEP_4) | instskip(SKIP_1) | instid1(VALU_DEP_3)
	v_dual_add_f32 v16, v17, v16 :: v_dual_and_b32 v67, 0xffff0000, v67
	s_wait_alu 0xfffd
	v_dual_add_f32 v75, v75, v78 :: v_dual_cndmask_b32 v76, v76, v79
	v_bfe_u32 v79, v84, 16, 1
	s_delay_alu instid0(VALU_DEP_2) | instskip(NEXT) | instid1(VALU_DEP_3)
	v_add_f32_e32 v0, v75, v0
	v_and_b32_e32 v76, 0xffff0000, v76
	s_delay_alu instid0(VALU_DEP_3) | instskip(NEXT) | instid1(VALU_DEP_3)
	v_add3_u32 v79, v79, v84, 0x7fff
	v_add_f32_e32 v26, v26, v0
	v_bfe_u32 v0, v74, 16, 1
	s_delay_alu instid0(VALU_DEP_4) | instskip(SKIP_1) | instid1(VALU_DEP_3)
	v_add_f32_e32 v17, v76, v67
	v_lshlrev_b32_e32 v85, 16, v85
	v_add3_u32 v0, v0, v74, 0x7fff
	s_delay_alu instid0(VALU_DEP_2) | instskip(SKIP_1) | instid1(VALU_DEP_2)
	v_dual_add_f32 v16, v17, v16 :: v_dual_mul_f32 v85, v2, v85
	v_lshlrev_b32_e32 v83, 16, v83
	v_bfe_u32 v80, v85, 16, 1
	s_delay_alu instid0(VALU_DEP_2) | instskip(SKIP_2) | instid1(VALU_DEP_4)
	v_mul_f32_e32 v81, v4, v83
	v_or_b32_e32 v83, 0x400000, v85
	v_cmp_u_f32_e32 vcc_lo, v85, v85
	v_add3_u32 v80, v80, v85, 0x7fff
	s_delay_alu instid0(VALU_DEP_4) | instskip(SKIP_2) | instid1(VALU_DEP_3)
	v_bfe_u32 v87, v81, 16, 1
	v_or_b32_e32 v85, 0x400000, v82
	s_wait_alu 0xfffd
	v_cndmask_b32_e32 v80, v80, v83, vcc_lo
	v_cmp_u_f32_e32 vcc_lo, v84, v84
	v_add3_u32 v84, v88, v82, 0x7fff
	v_add3_u32 v83, v87, v81, 0x7fff
	s_wait_alu 0xfffd
	v_dual_cndmask_b32 v79, v79, v86 :: v_dual_and_b32 v76, 0xffff0000, v80
	v_cmp_u_f32_e32 vcc_lo, v82, v82
	v_or_b32_e32 v86, 0x400000, v81
	s_wait_alu 0xfffd
	s_delay_alu instid0(VALU_DEP_3) | instskip(SKIP_3) | instid1(VALU_DEP_3)
	v_dual_cndmask_b32 v82, v84, v85 :: v_dual_and_b32 v67, 0xffff0000, v79
	v_cmp_u_f32_e32 vcc_lo, v81, v81
	s_wait_alu 0xfffd
	v_cndmask_b32_e32 v79, v83, v86, vcc_lo
	v_add_f32_e32 v17, v67, v76
	v_and_b32_e32 v67, 0xffff0000, v82
	s_delay_alu instid0(VALU_DEP_3) | instskip(NEXT) | instid1(VALU_DEP_3)
	v_and_b32_e32 v76, 0xffff0000, v79
	v_add_f32_e32 v16, v17, v16
	s_delay_alu instid0(VALU_DEP_2) | instskip(SKIP_1) | instid1(VALU_DEP_2)
	v_add_f32_e32 v17, v67, v76
	v_mul_f32_e32 v67, v1, v77
	v_add_f32_e32 v15, v17, v16
	s_delay_alu instid0(VALU_DEP_2) | instskip(SKIP_1) | instid1(VALU_DEP_3)
	v_bfe_u32 v16, v67, 16, 1
	v_cmp_u_f32_e32 vcc_lo, v67, v67
	v_add_f32_e32 v27, v27, v15
	s_delay_alu instid0(VALU_DEP_3) | instskip(SKIP_3) | instid1(VALU_DEP_2)
	v_add3_u32 v15, v16, v67, 0x7fff
	v_or_b32_e32 v16, 0x400000, v67
	v_mul_f32_e32 v67, v6, v72
	s_wait_alu 0xfffd
	v_cndmask_b32_e32 v15, v15, v16, vcc_lo
	v_cmp_u_f32_e32 vcc_lo, v74, v74
	s_delay_alu instid0(VALU_DEP_2) | instskip(SKIP_3) | instid1(VALU_DEP_1)
	v_and_b32_e32 v15, 0xffff0000, v15
	v_lshlrev_b32_e32 v17, 16, v73
	v_or_b32_e32 v73, 0x400000, v74
	s_wait_alu 0xfffd
	v_cndmask_b32_e32 v0, v0, v73, vcc_lo
	v_bfe_u32 v73, v67, 16, 1
	s_delay_alu instid0(VALU_DEP_2) | instskip(NEXT) | instid1(VALU_DEP_1)
	v_and_b32_e32 v0, 0xffff0000, v0
	v_dual_add_f32 v0, v0, v15 :: v_dual_mul_f32 v17, v3, v17
	s_delay_alu instid0(VALU_DEP_1) | instskip(SKIP_2) | instid1(VALU_DEP_3)
	v_bfe_u32 v16, v17, 16, 1
	v_or_b32_e32 v72, 0x400000, v17
	v_cmp_u_f32_e32 vcc_lo, v17, v17
	v_add3_u32 v16, v16, v17, 0x7fff
	v_mul_f32_e32 v17, v8, v70
	v_add3_u32 v70, v73, v67, 0x7fff
	s_wait_alu 0xfffd
	s_delay_alu instid0(VALU_DEP_3) | instskip(SKIP_3) | instid1(VALU_DEP_4)
	v_cndmask_b32_e32 v16, v16, v72, vcc_lo
	v_or_b32_e32 v72, 0x400000, v67
	v_cmp_u_f32_e32 vcc_lo, v67, v67
	v_bfe_u32 v74, v17, 16, 1
	v_and_b32_e32 v16, 0xffff0000, v16
	s_wait_alu 0xfffd
	v_cndmask_b32_e32 v67, v70, v72, vcc_lo
	s_delay_alu instid0(VALU_DEP_1) | instskip(NEXT) | instid1(VALU_DEP_1)
	v_and_b32_e32 v67, 0xffff0000, v67
	v_add_f32_e32 v15, v67, v16
	s_delay_alu instid0(VALU_DEP_1) | instskip(NEXT) | instid1(VALU_DEP_1)
	v_dual_add_f32 v0, v15, v0 :: v_dual_lshlrev_b32 v71, 16, v71
	v_mul_f32_e32 v71, v2, v71
	v_mul_f32_e32 v15, v1, v66
	s_delay_alu instid0(VALU_DEP_2) | instskip(SKIP_2) | instid1(VALU_DEP_3)
	v_bfe_u32 v73, v71, 16, 1
	v_or_b32_e32 v72, 0x400000, v71
	v_cmp_u_f32_e32 vcc_lo, v71, v71
	v_add3_u32 v70, v73, v71, 0x7fff
	v_add3_u32 v73, v74, v17, 0x7fff
	v_or_b32_e32 v74, 0x400000, v17
	s_wait_alu 0xfffd
	s_delay_alu instid0(VALU_DEP_3) | instskip(SKIP_4) | instid1(VALU_DEP_2)
	v_cndmask_b32_e32 v70, v70, v72, vcc_lo
	v_cmp_u_f32_e32 vcc_lo, v17, v17
	s_wait_alu 0xfffd
	v_cndmask_b32_e32 v17, v73, v74, vcc_lo
	v_bfe_u32 v73, v68, 16, 1
	v_and_b32_e32 v16, 0xffff0000, v17
	v_and_b32_e32 v17, 0xffff0000, v70
	s_delay_alu instid0(VALU_DEP_1) | instskip(NEXT) | instid1(VALU_DEP_1)
	v_add_f32_e32 v16, v16, v17
	v_dual_mul_f32 v17, v5, v65 :: v_dual_add_f32 v0, v16, v0
	s_delay_alu instid0(VALU_DEP_1) | instskip(NEXT) | instid1(VALU_DEP_1)
	v_bfe_u32 v16, v17, 16, 1
	v_add3_u32 v16, v16, v17, 0x7fff
	v_lshlrev_b32_e32 v69, 16, v69
	s_delay_alu instid0(VALU_DEP_1) | instskip(SKIP_1) | instid1(VALU_DEP_2)
	v_mul_f32_e32 v69, v4, v69
	v_dual_mul_f32 v4, v4, v13 :: v_dual_mul_f32 v39, v6, v39
	v_bfe_u32 v75, v69, 16, 1
	v_or_b32_e32 v72, 0x400000, v69
	v_cmp_u_f32_e32 vcc_lo, v69, v69
	s_delay_alu instid0(VALU_DEP_3) | instskip(SKIP_1) | instid1(VALU_DEP_1)
	v_add3_u32 v71, v75, v69, 0x7fff
	s_wait_alu 0xfffd
	v_cndmask_b32_e32 v69, v71, v72, vcc_lo
	v_add3_u32 v71, v73, v68, 0x7fff
	v_or_b32_e32 v72, 0x400000, v68
	v_cmp_u_f32_e32 vcc_lo, v68, v68
	v_or_b32_e32 v68, 0x400000, v17
	v_and_b32_e32 v66, 0xffff0000, v69
	v_bfe_u32 v69, v60, 16, 1
	s_wait_alu 0xfffd
	v_cndmask_b32_e32 v67, v71, v72, vcc_lo
	v_cmp_u_f32_e32 vcc_lo, v15, v15
	s_delay_alu instid0(VALU_DEP_2) | instskip(SKIP_1) | instid1(VALU_DEP_2)
	v_and_b32_e32 v65, 0xffff0000, v67
	v_bfe_u32 v67, v15, 16, 1
	v_add_f32_e32 v65, v65, v66
	s_delay_alu instid0(VALU_DEP_2) | instskip(SKIP_1) | instid1(VALU_DEP_3)
	v_add3_u32 v66, v67, v15, 0x7fff
	v_or_b32_e32 v67, 0x400000, v15
	v_dual_add_f32 v0, v65, v0 :: v_dual_lshlrev_b32 v63, 16, v63
	s_wait_alu 0xfffd
	s_delay_alu instid0(VALU_DEP_2) | instskip(SKIP_3) | instid1(VALU_DEP_4)
	v_cndmask_b32_e32 v15, v66, v67, vcc_lo
	v_bfe_u32 v66, v64, 16, 1
	v_cmp_u_f32_e32 vcc_lo, v17, v17
	v_dual_mul_f32 v17, v6, v63 :: v_dual_add_f32 v28, v28, v0
	v_and_b32_e32 v15, 0xffff0000, v15
	s_delay_alu instid0(VALU_DEP_4)
	v_add3_u32 v63, v66, v64, 0x7fff
	s_wait_alu 0xfffd
	v_cndmask_b32_e32 v16, v16, v68, vcc_lo
	v_or_b32_e32 v66, 0x400000, v64
	v_bfe_u32 v67, v17, 16, 1
	v_cmp_u_f32_e32 vcc_lo, v64, v64
	v_bfe_u32 v68, v61, 16, 1
	v_and_b32_e32 v16, 0xffff0000, v16
	v_bfe_u32 v0, v57, 16, 1
	v_add3_u32 v64, v67, v17, 0x7fff
	s_wait_alu 0xfffd
	v_cndmask_b32_e32 v63, v63, v66, vcc_lo
	v_or_b32_e32 v66, 0x400000, v17
	v_bfe_u32 v67, v62, 16, 1
	v_cmp_u_f32_e32 vcc_lo, v17, v17
	v_add_f32_e32 v15, v16, v15
	v_and_b32_e32 v63, 0xffff0000, v63
	v_add3_u32 v0, v0, v57, 0x7fff
	s_wait_alu 0xfffd
	v_cndmask_b32_e32 v17, v64, v66, vcc_lo
	v_add3_u32 v64, v67, v62, 0x7fff
	v_or_b32_e32 v66, 0x400000, v62
	v_cmp_u_f32_e32 vcc_lo, v62, v62
	v_add3_u32 v67, v68, v61, 0x7fff
	v_or_b32_e32 v68, 0x400000, v61
	s_wait_alu 0xfffd
	v_dual_cndmask_b32 v62, v64, v66 :: v_dual_and_b32 v17, 0xffff0000, v17
	v_cmp_u_f32_e32 vcc_lo, v61, v61
	v_add3_u32 v64, v69, v60, 0x7fff
	v_or_b32_e32 v66, 0x400000, v60
	s_wait_alu 0xfffd
	v_dual_add_f32 v16, v17, v63 :: v_dual_cndmask_b32 v61, v67, v68
	v_bfe_u32 v67, v59, 16, 1
	v_cmp_u_f32_e32 vcc_lo, v60, v60
	s_delay_alu instid0(VALU_DEP_3) | instskip(NEXT) | instid1(VALU_DEP_4)
	v_dual_add_f32 v15, v16, v15 :: v_dual_lshlrev_b32 v16, 16, v58
	v_and_b32_e32 v17, 0xffff0000, v61
	v_and_b32_e32 v61, 0xffff0000, v62
	s_wait_alu 0xfffd
	v_cndmask_b32_e32 v60, v64, v66, vcc_lo
	v_add3_u32 v64, v67, v59, 0x7fff
	v_or_b32_e32 v66, 0x400000, v59
	v_cmp_u_f32_e32 vcc_lo, v59, v59
	v_add_f32_e32 v17, v17, v61
	s_wait_alu 0xfffd
	s_delay_alu instid0(VALU_DEP_3) | instskip(NEXT) | instid1(VALU_DEP_2)
	v_dual_mul_f32 v16, v1, v16 :: v_dual_cndmask_b32 v59, v64, v66
	v_add_f32_e32 v15, v17, v15
	s_delay_alu instid0(VALU_DEP_2) | instskip(NEXT) | instid1(VALU_DEP_3)
	v_cmp_u_f32_e32 vcc_lo, v16, v16
	v_and_b32_e32 v58, 0xffff0000, v59
	v_and_b32_e32 v59, 0xffff0000, v60
	v_bfe_u32 v60, v52, 16, 1
	s_delay_alu instid0(VALU_DEP_2) | instskip(SKIP_2) | instid1(VALU_DEP_3)
	v_add_f32_e32 v17, v58, v59
	v_bfe_u32 v58, v16, 16, 1
	v_or_b32_e32 v59, 0x400000, v57
	v_add_f32_e32 v15, v17, v15
	s_delay_alu instid0(VALU_DEP_3) | instskip(SKIP_1) | instid1(VALU_DEP_3)
	v_add3_u32 v17, v58, v16, 0x7fff
	v_or_b32_e32 v58, 0x400000, v16
	v_add_f32_e32 v29, v29, v15
	s_wait_alu 0xfffd
	s_delay_alu instid0(VALU_DEP_2)
	v_cndmask_b32_e32 v16, v17, v58, vcc_lo
	v_bfe_u32 v17, v56, 16, 1
	v_cmp_u_f32_e32 vcc_lo, v57, v57
	v_or_b32_e32 v57, 0x400000, v56
	v_bfe_u32 v58, v55, 16, 1
	v_and_b32_e32 v16, 0xffff0000, v16
	v_add3_u32 v17, v17, v56, 0x7fff
	s_wait_alu 0xfffd
	v_cndmask_b32_e32 v0, v0, v59, vcc_lo
	v_cmp_u_f32_e32 vcc_lo, v56, v56
	v_add3_u32 v56, v58, v55, 0x7fff
	v_bfe_u32 v58, v54, 16, 1
	v_bfe_u32 v59, v53, 16, 1
	s_wait_alu 0xfffd
	v_dual_cndmask_b32 v17, v17, v57 :: v_dual_and_b32 v0, 0xffff0000, v0
	v_or_b32_e32 v57, 0x400000, v55
	v_cmp_u_f32_e32 vcc_lo, v55, v55
	s_delay_alu instid0(VALU_DEP_3) | instskip(SKIP_1) | instid1(VALU_DEP_3)
	v_dual_add_f32 v0, v0, v16 :: v_dual_and_b32 v17, 0xffff0000, v17
	s_wait_alu 0xfffd
	v_cndmask_b32_e32 v55, v56, v57, vcc_lo
	v_add3_u32 v56, v58, v54, 0x7fff
	v_or_b32_e32 v57, 0x400000, v54
	v_cmp_u_f32_e32 vcc_lo, v54, v54
	v_add3_u32 v58, v59, v53, 0x7fff
	v_or_b32_e32 v59, 0x400000, v53
	s_wait_alu 0xfffd
	v_dual_cndmask_b32 v54, v56, v57 :: v_dual_and_b32 v55, 0xffff0000, v55
	v_cmp_u_f32_e32 vcc_lo, v53, v53
	v_add3_u32 v56, v60, v52, 0x7fff
	v_or_b32_e32 v57, 0x400000, v52
	s_wait_alu 0xfffd
	v_dual_add_f32 v16, v55, v17 :: v_dual_cndmask_b32 v53, v58, v59
	v_bfe_u32 v58, v51, 16, 1
	v_cmp_u_f32_e32 vcc_lo, v52, v52
	s_delay_alu instid0(VALU_DEP_3)
	v_dual_add_f32 v0, v16, v0 :: v_dual_and_b32 v17, 0xffff0000, v53
	s_wait_alu 0xfffd
	v_dual_cndmask_b32 v52, v56, v57 :: v_dual_and_b32 v53, 0xffff0000, v54
	v_add3_u32 v56, v58, v51, 0x7fff
	v_or_b32_e32 v57, 0x400000, v51
	v_cmp_u_f32_e32 vcc_lo, v51, v51
	s_delay_alu instid0(VALU_DEP_4)
	v_add_f32_e32 v16, v17, v53
	v_mul_f32_e32 v17, v1, v50
	v_or_b32_e32 v53, 0x400000, v49
	v_bfe_u32 v54, v48, 16, 1
	s_wait_alu 0xfffd
	v_cndmask_b32_e32 v51, v56, v57, vcc_lo
	v_add_f32_e32 v0, v16, v0
	v_cmp_u_f32_e32 vcc_lo, v17, v17
	v_bfe_u32 v16, v49, 16, 1
	s_delay_alu instid0(VALU_DEP_4) | instskip(SKIP_2) | instid1(VALU_DEP_4)
	v_and_b32_e32 v50, 0xffff0000, v51
	v_and_b32_e32 v51, 0xffff0000, v52
	v_bfe_u32 v52, v17, 16, 1
	v_add3_u32 v16, v16, v49, 0x7fff
	s_delay_alu instid0(VALU_DEP_3) | instskip(NEXT) | instid1(VALU_DEP_3)
	v_add_f32_e32 v50, v50, v51
	v_add3_u32 v51, v52, v17, 0x7fff
	v_or_b32_e32 v52, 0x400000, v17
	s_delay_alu instid0(VALU_DEP_3) | instskip(SKIP_1) | instid1(VALU_DEP_2)
	v_add_f32_e32 v0, v50, v0
	s_wait_alu 0xfffd
	v_cndmask_b32_e32 v17, v51, v52, vcc_lo
	v_cmp_u_f32_e32 vcc_lo, v49, v49
	v_add3_u32 v49, v54, v48, 0x7fff
	v_or_b32_e32 v51, 0x400000, v48
	v_bfe_u32 v52, v47, 16, 1
	v_bfe_u32 v54, v44, 16, 1
	s_wait_alu 0xfffd
	v_cndmask_b32_e32 v16, v16, v53, vcc_lo
	v_cmp_u_f32_e32 vcc_lo, v48, v48
	v_bfe_u32 v53, v45, 16, 1
	v_dual_add_f32 v30, v30, v0 :: v_dual_and_b32 v17, 0xffff0000, v17
	s_delay_alu instid0(VALU_DEP_4)
	v_and_b32_e32 v16, 0xffff0000, v16
	s_wait_alu 0xfffd
	v_cndmask_b32_e32 v48, v49, v51, vcc_lo
	v_add3_u32 v49, v52, v47, 0x7fff
	v_or_b32_e32 v51, 0x400000, v47
	v_bfe_u32 v52, v46, 16, 1
	v_cmp_u_f32_e32 vcc_lo, v47, v47
	v_and_b32_e32 v48, 0xffff0000, v48
	s_wait_alu 0xfffd
	v_dual_add_f32 v16, v16, v17 :: v_dual_cndmask_b32 v47, v49, v51
	v_add3_u32 v49, v52, v46, 0x7fff
	v_or_b32_e32 v51, 0x400000, v46
	v_cmp_u_f32_e32 vcc_lo, v46, v46
	v_add3_u32 v52, v53, v45, 0x7fff
	v_or_b32_e32 v53, 0x400000, v45
	v_and_b32_e32 v47, 0xffff0000, v47
	s_wait_alu 0xfffd
	v_cndmask_b32_e32 v46, v49, v51, vcc_lo
	v_cmp_u_f32_e32 vcc_lo, v45, v45
	v_add3_u32 v49, v54, v44, 0x7fff
	v_or_b32_e32 v51, 0x400000, v44
	s_delay_alu instid0(VALU_DEP_4)
	v_dual_add_f32 v17, v47, v48 :: v_dual_and_b32 v46, 0xffff0000, v46
	s_wait_alu 0xfffd
	v_cndmask_b32_e32 v45, v52, v53, vcc_lo
	v_cmp_u_f32_e32 vcc_lo, v44, v44
	v_or_b32_e32 v48, 0x400000, v43
	v_add_f32_e32 v16, v17, v16
	v_mul_f32_e32 v17, v1, v42
	s_wait_alu 0xfffd
	v_dual_cndmask_b32 v44, v49, v51 :: v_dual_and_b32 v45, 0xffff0000, v45
	v_bfe_u32 v49, v43, 16, 1
	v_cmp_u_f32_e32 vcc_lo, v43, v43
	s_delay_alu instid0(VALU_DEP_3) | instskip(SKIP_1) | instid1(VALU_DEP_4)
	v_add_f32_e32 v42, v45, v46
	v_bfe_u32 v45, v17, 16, 1
	v_add3_u32 v47, v49, v43, 0x7fff
	v_bfe_u32 v46, v41, 16, 1
	v_and_b32_e32 v44, 0xffff0000, v44
	v_add_f32_e32 v16, v42, v16
	s_wait_alu 0xfffd
	v_cndmask_b32_e32 v43, v47, v48, vcc_lo
	v_cmp_u_f32_e32 vcc_lo, v17, v17
	v_or_b32_e32 v47, 0x400000, v40
	s_delay_alu instid0(VALU_DEP_3) | instskip(SKIP_3) | instid1(VALU_DEP_1)
	v_and_b32_e32 v42, 0xffff0000, v43
	v_add3_u32 v43, v45, v17, 0x7fff
	v_or_b32_e32 v45, 0x400000, v17
	s_wait_alu 0xfffd
	v_cndmask_b32_e32 v17, v43, v45, vcc_lo
	v_bfe_u32 v43, v40, 16, 1
	v_add3_u32 v45, v46, v41, 0x7fff
	v_or_b32_e32 v46, 0x400000, v41
	v_cmp_u_f32_e32 vcc_lo, v41, v41
	v_and_b32_e32 v17, 0xffff0000, v17
	v_add3_u32 v43, v43, v40, 0x7fff
	s_wait_alu 0xfffd
	v_cndmask_b32_e32 v41, v45, v46, vcc_lo
	v_bfe_u32 v45, v39, 16, 1
	v_cmp_u_f32_e32 vcc_lo, v40, v40
	v_or_b32_e32 v46, 0x400000, v39
	s_delay_alu instid0(VALU_DEP_4) | instskip(NEXT) | instid1(VALU_DEP_4)
	v_and_b32_e32 v41, 0xffff0000, v41
	v_add3_u32 v45, v45, v39, 0x7fff
	s_wait_alu 0xfffd
	v_cndmask_b32_e32 v40, v43, v47, vcc_lo
	v_bfe_u32 v43, v38, 16, 1
	v_cmp_u_f32_e32 vcc_lo, v39, v39
	v_or_b32_e32 v47, 0x400000, v38
	s_delay_alu instid0(VALU_DEP_4) | instskip(NEXT) | instid1(VALU_DEP_4)
	v_dual_add_f32 v17, v41, v17 :: v_dual_and_b32 v40, 0xffff0000, v40
	v_add3_u32 v43, v43, v38, 0x7fff
	s_wait_alu 0xfffd
	v_cndmask_b32_e32 v39, v45, v46, vcc_lo
	v_bfe_u32 v45, v37, 16, 1
	v_cmp_u_f32_e32 vcc_lo, v38, v38
	v_bfe_u32 v46, v36, 16, 1
	s_wait_alu 0xfffd
	v_cndmask_b32_e32 v38, v43, v47, vcc_lo
	v_add3_u32 v43, v45, v37, 0x7fff
	v_or_b32_e32 v45, 0x400000, v37
	v_cmp_u_f32_e32 vcc_lo, v37, v37
	v_add3_u32 v46, v46, v36, 0x7fff
	v_or_b32_e32 v47, 0x400000, v36
	s_wait_alu 0xfffd
	v_dual_cndmask_b32 v37, v43, v45 :: v_dual_and_b32 v38, 0xffff0000, v38
	v_cmp_u_f32_e32 vcc_lo, v36, v36
	v_bfe_u32 v43, v35, 16, 1
	v_or_b32_e32 v45, 0x400000, v35
	s_wait_alu 0xfffd
	v_dual_cndmask_b32 v36, v46, v47 :: v_dual_and_b32 v37, 0xffff0000, v37
	v_lshlrev_b32_e32 v46, 16, v103
	v_add3_u32 v43, v43, v35, 0x7fff
	v_cmp_u_f32_e32 vcc_lo, v35, v35
	s_delay_alu instid0(VALU_DEP_4) | instskip(SKIP_4) | instid1(VALU_DEP_3)
	v_add_f32_e32 v37, v37, v38
	v_and_b32_e32 v39, 0xffff0000, v39
	v_dual_mul_f32 v5, v5, v46 :: v_dual_lshlrev_b32 v38, 16, v101
	s_wait_alu 0xfffd
	v_cndmask_b32_e32 v35, v43, v45, vcc_lo
	v_dual_add_f32 v39, v39, v40 :: v_dual_lshlrev_b32 v40, 16, v102
	s_delay_alu instid0(VALU_DEP_3) | instskip(SKIP_2) | instid1(VALU_DEP_4)
	v_mul_f32_e32 v6, v6, v38
	v_lshlrev_b32_e32 v38, 16, v100
	v_cmp_u_f32_e32 vcc_lo, v5, v5
	v_add_f32_e32 v17, v39, v17
	v_bfe_u32 v39, v5, 16, 1
	v_mul_f32_e32 v1, v1, v40
	v_or_b32_e32 v40, 0x400000, v5
	v_dual_mul_f32 v3, v3, v38 :: v_dual_lshlrev_b32 v38, 16, v99
	s_delay_alu instid0(VALU_DEP_4) | instskip(NEXT) | instid1(VALU_DEP_4)
	v_add3_u32 v39, v39, v5, 0x7fff
	v_bfe_u32 v41, v1, 16, 1
	s_delay_alu instid0(VALU_DEP_3) | instskip(SKIP_1) | instid1(VALU_DEP_3)
	v_dual_mul_f32 v8, v8, v38 :: v_dual_and_b32 v35, 0xffff0000, v35
	s_wait_alu 0xfffd
	v_cndmask_b32_e32 v5, v39, v40, vcc_lo
	s_delay_alu instid0(VALU_DEP_3)
	v_add3_u32 v39, v41, v1, 0x7fff
	v_or_b32_e32 v40, 0x400000, v1
	v_bfe_u32 v41, v6, 16, 1
	v_cmp_u_f32_e32 vcc_lo, v1, v1
	v_lshlrev_b32_e32 v38, 16, v98
	v_or_b32_e32 v13, 0x400000, v8
	v_and_b32_e32 v5, 0xffff0000, v5
	s_wait_alu 0xfffd
	v_cndmask_b32_e32 v1, v39, v40, vcc_lo
	v_add3_u32 v39, v41, v6, 0x7fff
	v_or_b32_e32 v40, 0x400000, v6
	v_bfe_u32 v41, v3, 16, 1
	v_cmp_u_f32_e32 vcc_lo, v6, v6
	v_dual_mul_f32 v2, v2, v38 :: v_dual_and_b32 v1, 0xffff0000, v1
	s_wait_alu 0xfffd
	v_cndmask_b32_e32 v6, v39, v40, vcc_lo
	v_add3_u32 v39, v41, v3, 0x7fff
	v_or_b32_e32 v40, 0x400000, v3
	v_bfe_u32 v41, v8, 16, 1
	v_cmp_u_f32_e32 vcc_lo, v3, v3
	v_bfe_u32 v38, v2, 16, 1
	v_dual_add_f32 v1, v5, v1 :: v_dual_and_b32 v6, 0xffff0000, v6
	s_wait_alu 0xfffd
	v_cndmask_b32_e32 v3, v39, v40, vcc_lo
	v_add3_u32 v39, v41, v8, 0x7fff
	v_cmp_u_f32_e32 vcc_lo, v8, v8
	v_add3_u32 v14, v38, v2, 0x7fff
	v_or_b32_e32 v38, 0x400000, v2
	v_bfe_u32 v41, v4, 16, 1
	v_bfe_u32 v40, v7, 16, 1
	s_wait_alu 0xfffd
	v_cndmask_b32_e32 v8, v39, v13, vcc_lo
	v_cmp_u_f32_e32 vcc_lo, v2, v2
	v_and_b32_e32 v3, 0xffff0000, v3
	v_or_b32_e32 v39, 0x400000, v7
	v_add3_u32 v13, v40, v7, 0x7fff
	s_wait_alu 0xfffd
	v_dual_cndmask_b32 v2, v14, v38 :: v_dual_and_b32 v5, 0xffff0000, v8
	v_add3_u32 v14, v41, v4, 0x7fff
	v_or_b32_e32 v38, 0x400000, v4
	v_cmp_u_f32_e32 vcc_lo, v4, v4
	s_delay_alu instid0(VALU_DEP_4) | instskip(SKIP_1) | instid1(VALU_DEP_3)
	v_dual_add_f32 v3, v6, v3 :: v_dual_and_b32 v2, 0xffff0000, v2
	s_wait_alu 0xfffd
	v_cndmask_b32_e32 v4, v14, v38, vcc_lo
	v_cmp_u_f32_e32 vcc_lo, v7, v7
	v_and_b32_e32 v7, 0xffff0000, v36
	v_dual_add_f32 v1, v3, v1 :: v_dual_add_f32 v2, v5, v2
	s_wait_alu 0xfffd
	v_dual_cndmask_b32 v6, v13, v39 :: v_dual_and_b32 v3, 0xffff0000, v4
	v_add_f32_e32 v5, v42, v44
	v_add_f32_e32 v7, v35, v7
	;; [unrolled: 1-line block ×3, first 2 shown]
	v_cmp_le_i32_e32 vcc_lo, s17, v18
	v_and_b32_e32 v4, 0xffff0000, v6
	v_add_f32_e32 v6, v37, v17
	s_or_b32 s6, vcc_lo, s6
	s_delay_alu instid0(VALU_DEP_2) | instskip(NEXT) | instid1(VALU_DEP_1)
	v_dual_add_f32 v2, v4, v3 :: v_dual_add_f32 v3, v5, v16
	v_dual_add_f32 v4, v7, v6 :: v_dual_add_f32 v1, v2, v1
	s_delay_alu instid0(VALU_DEP_1) | instskip(NEXT) | instid1(VALU_DEP_2)
	v_dual_add_f32 v32, v32, v3 :: v_dual_add_f32 v31, v31, v4
	v_add_f32_e32 v21, v21, v1
	s_wait_alu 0xfffe
	s_and_not1_b32 exec_lo, exec_lo, s6
	s_cbranch_execz .LBB347_57
.LBB347_33:                             ; =>This Inner Loop Header: Depth=1
	global_load_b32 v0, v[11:12], off
	s_wait_alu 0xfffe
	v_cmp_eq_u32_e32 vcc_lo, s7, v18
	v_add_nc_u32_e32 v76, -3, v33
	v_add_nc_u32_e32 v81, -1, v33
	s_wait_loadcnt 0x0
	v_mad_co_i64_i32 v[13:14], null, v0, s3, v[9:10]
	global_load_b64 v[15:16], v[13:14], off
	ds_load_2addr_b64 v[5:8], v34 offset1:1
	ds_load_2addr_b64 v[1:4], v34 offset0:2 offset1:3
	s_wait_loadcnt 0x0
	v_bfe_u32 v17, v15, 8, 8
	v_bfe_u32 v35, v15, 16, 8
	;; [unrolled: 1-line block ×4, first 2 shown]
	s_delay_alu instid0(VALU_DEP_4)
	v_cvt_f32_fp8_e32 v17, v17
	v_and_b32_e32 v0, 0xff, v15
	v_lshrrev_b32_e32 v15, 24, v15
	v_cvt_f32_fp8_e32 v35, v35
	v_add_nc_u32_e32 v80, -6, v33
	v_mul_f32_e32 v17, s2, v17
	v_cvt_f32_fp8_e32 v0, v0
	v_add_nc_u32_e32 v67, -7, v33
	v_cvt_f32_fp8_e32 v15, v15
	v_cvt_f32_fp8_e32 v37, v37
	v_and_b32_e32 v36, 0xff, v16
	v_dual_mul_f32 v0, s2, v0 :: v_dual_mul_f32 v35, s2, v35
	v_bfe_u32 v41, v17, 16, 1
	v_dual_mul_f32 v15, s2, v15 :: v_dual_add_nc_u32 v78, -4, v33
	s_delay_alu instid0(VALU_DEP_3)
	v_bfe_u32 v39, v0, 16, 1
	v_or_b32_e32 v40, 0x400000, v0
	v_cmp_u_f32_e64 s0, v0, v0
	v_mul_f32_e32 v37, s2, v37
	v_cvt_f32_fp8_e32 v36, v36
	v_add3_u32 v39, v39, v0, 0x7fff
	v_or_b32_e32 v42, 0x400000, v17
	v_bfe_u32 v43, v35, 16, 1
	v_add3_u32 v41, v41, v17, 0x7fff
	v_dual_mul_f32 v36, s2, v36 :: v_dual_add_nc_u32 v79, -5, v33
	s_wait_alu 0xf1ff
	v_cndmask_b32_e64 v0, v39, v40, s0
	v_cmp_u_f32_e64 s0, v17, v17
	v_or_b32_e32 v44, 0x400000, v35
	v_bfe_u32 v45, v15, 16, 1
	v_add3_u32 v43, v43, v35, 0x7fff
	v_lshrrev_b32_e32 v16, 24, v16
	s_wait_alu 0xf1ff
	v_cndmask_b32_e64 v17, v41, v42, s0
	v_cmp_u_f32_e64 s0, v35, v35
	v_cvt_f32_fp8_e32 v38, v38
	v_or_b32_e32 v46, 0x400000, v15
	v_bfe_u32 v47, v36, 16, 1
	v_add3_u32 v45, v45, v15, 0x7fff
	s_wait_alu 0xf1ff
	v_cndmask_b32_e64 v35, v43, v44, s0
	v_cmp_u_f32_e64 s0, v15, v15
	v_dual_mul_f32 v38, s2, v38 :: v_dual_add_nc_u32 v75, -2, v33
	v_cvt_f32_fp8_e32 v16, v16
	v_or_b32_e32 v48, 0x400000, v36
	v_bfe_u32 v49, v37, 16, 1
	v_add3_u32 v47, v47, v36, 0x7fff
	s_wait_alu 0xf1ff
	v_cndmask_b32_e64 v15, v45, v46, s0
	v_cmp_u_f32_e64 s0, v36, v36
	v_mul_f32_e32 v16, s2, v16
	v_or_b32_e32 v50, 0x400000, v37
	v_bfe_u32 v51, v38, 16, 1
	v_add3_u32 v49, v49, v37, 0x7fff
	s_wait_alu 0xf1ff
	v_cndmask_b32_e64 v36, v47, v48, s0
	v_cmp_u_f32_e64 s0, v37, v37
	v_or_b32_e32 v52, 0x400000, v38
	v_bfe_u32 v53, v16, 16, 1
	v_add3_u32 v51, v51, v38, 0x7fff
	v_or_b32_e32 v54, 0x400000, v16
	s_wait_alu 0xf1ff
	v_cndmask_b32_e64 v43, v49, v50, s0
	v_cmp_u_f32_e64 s0, v38, v38
	v_add3_u32 v53, v53, v16, 0x7fff
	v_lshrrev_b32_e32 v41, 16, v0
	v_lshrrev_b32_e32 v42, 16, v17
	;; [unrolled: 1-line block ×3, first 2 shown]
	s_wait_alu 0xf1ff
	v_cndmask_b32_e64 v44, v51, v52, s0
	v_cmp_u_f32_e64 s0, v16, v16
	v_lshrrev_b32_e32 v40, 16, v15
	v_lshrrev_b32_e32 v37, 16, v36
	;; [unrolled: 1-line block ×4, first 2 shown]
	s_wait_alu 0xf1ff
	v_cndmask_b32_e64 v16, v53, v54, s0
	s_delay_alu instid0(VALU_DEP_1)
	v_lshrrev_b32_e32 v36, 16, v16
	s_and_saveexec_b32 s8, vcc_lo
	s_cbranch_execz .LBB347_35
; %bb.34:                               ;   in Loop: Header=BB347_33 Depth=1
	v_cmp_gt_i32_e64 s0, s27, v67
	s_wait_alu 0xf1ff
	s_delay_alu instid0(VALU_DEP_1) | instskip(SKIP_2) | instid1(VALU_DEP_1)
	v_cndmask_b32_e64 v41, 0, v41, s0
	v_cmp_gt_i32_e64 s0, s27, v80
	s_wait_alu 0xf1ff
	v_cndmask_b32_e64 v42, 0, v42, s0
	v_cmp_gt_i32_e64 s0, s27, v79
	s_wait_alu 0xf1ff
	s_delay_alu instid0(VALU_DEP_1) | instskip(SKIP_2) | instid1(VALU_DEP_1)
	v_cndmask_b32_e64 v39, 0, v39, s0
	v_cmp_gt_i32_e64 s0, s27, v78
	s_wait_alu 0xf1ff
	v_cndmask_b32_e64 v40, 0, v40, s0
	;; [unrolled: 7-line block ×4, first 2 shown]
.LBB347_35:                             ;   in Loop: Header=BB347_33 Depth=1
	s_wait_alu 0xfffe
	s_or_b32 exec_lo, exec_lo, s8
	global_load_b64 v[15:16], v[13:14], off offset:256
	s_wait_loadcnt 0x0
	v_bfe_u32 v17, v15, 8, 8
	v_bfe_u32 v43, v15, 16, 8
	v_bfe_u32 v45, v16, 8, 8
	v_bfe_u32 v46, v16, 16, 8
	s_delay_alu instid0(VALU_DEP_4) | instskip(SKIP_3) | instid1(VALU_DEP_4)
	v_cvt_f32_fp8_e32 v17, v17
	v_and_b32_e32 v0, 0xff, v15
	v_lshrrev_b32_e32 v15, 24, v15
	v_cvt_f32_fp8_e32 v43, v43
	v_dual_mul_f32 v17, s2, v17 :: v_dual_and_b32 v44, 0xff, v16
	s_delay_alu instid0(VALU_DEP_4) | instskip(NEXT) | instid1(VALU_DEP_4)
	v_cvt_f32_fp8_e32 v0, v0
	v_cvt_f32_fp8_e32 v15, v15
	s_delay_alu instid0(VALU_DEP_4) | instskip(NEXT) | instid1(VALU_DEP_4)
	v_mul_f32_e32 v43, s2, v43
	v_cvt_f32_fp8_e32 v44, v44
	v_bfe_u32 v49, v17, 16, 1
	s_delay_alu instid0(VALU_DEP_4) | instskip(SKIP_2) | instid1(VALU_DEP_4)
	v_dual_mul_f32 v0, s2, v0 :: v_dual_mul_f32 v15, s2, v15
	v_or_b32_e32 v50, 0x400000, v17
	v_bfe_u32 v51, v43, 16, 1
	v_add3_u32 v49, v49, v17, 0x7fff
	s_delay_alu instid0(VALU_DEP_4)
	v_bfe_u32 v47, v0, 16, 1
	v_or_b32_e32 v48, 0x400000, v0
	v_cmp_u_f32_e64 s0, v0, v0
	v_cvt_f32_fp8_e32 v45, v45
	v_mul_f32_e32 v44, s2, v44
	v_add3_u32 v47, v47, v0, 0x7fff
	v_or_b32_e32 v52, 0x400000, v43
	v_bfe_u32 v53, v15, 16, 1
	v_add3_u32 v51, v51, v43, 0x7fff
	v_lshrrev_b32_e32 v16, 24, v16
	s_wait_alu 0xf1ff
	v_cndmask_b32_e64 v0, v47, v48, s0
	v_cmp_u_f32_e64 s0, v17, v17
	v_cvt_f32_fp8_e32 v46, v46
	v_mul_f32_e32 v45, s2, v45
	v_or_b32_e32 v54, 0x400000, v15
	v_bfe_u32 v55, v44, 16, 1
	s_wait_alu 0xf1ff
	v_cndmask_b32_e64 v17, v49, v50, s0
	v_cmp_u_f32_e64 s0, v43, v43
	v_add3_u32 v53, v53, v15, 0x7fff
	v_cvt_f32_fp8_e32 v16, v16
	v_mul_f32_e32 v46, s2, v46
	v_or_b32_e32 v56, 0x400000, v44
	s_wait_alu 0xf1ff
	v_cndmask_b32_e64 v43, v51, v52, s0
	v_cmp_u_f32_e64 s0, v15, v15
	v_bfe_u32 v57, v45, 16, 1
	v_add3_u32 v55, v55, v44, 0x7fff
	v_mul_f32_e32 v16, s2, v16
	v_or_b32_e32 v58, 0x400000, v45
	s_wait_alu 0xf1ff
	v_cndmask_b32_e64 v15, v53, v54, s0
	v_cmp_u_f32_e64 s0, v44, v44
	v_bfe_u32 v59, v46, 16, 1
	v_add3_u32 v57, v57, v45, 0x7fff
	v_or_b32_e32 v60, 0x400000, v46
	v_bfe_u32 v61, v16, 16, 1
	s_wait_alu 0xf1ff
	v_cndmask_b32_e64 v44, v55, v56, s0
	v_cmp_u_f32_e64 s0, v45, v45
	v_add3_u32 v59, v59, v46, 0x7fff
	v_or_b32_e32 v62, 0x400000, v16
	v_add3_u32 v61, v61, v16, 0x7fff
	v_lshrrev_b32_e32 v49, 16, v0
	s_wait_alu 0xf1ff
	v_cndmask_b32_e64 v51, v57, v58, s0
	v_cmp_u_f32_e64 s0, v46, v46
	v_lshrrev_b32_e32 v50, 16, v17
	v_lshrrev_b32_e32 v47, 16, v43
	;; [unrolled: 1-line block ×4, first 2 shown]
	s_wait_alu 0xf1ff
	v_cndmask_b32_e64 v52, v59, v60, s0
	v_cmp_u_f32_e64 s0, v16, v16
	v_lshrrev_b32_e32 v46, 16, v51
	s_delay_alu instid0(VALU_DEP_3) | instskip(SKIP_1) | instid1(VALU_DEP_3)
	v_lshrrev_b32_e32 v43, 16, v52
	s_wait_alu 0xf1ff
	v_cndmask_b32_e64 v16, v61, v62, s0
	s_delay_alu instid0(VALU_DEP_1)
	v_lshrrev_b32_e32 v44, 16, v16
	s_and_saveexec_b32 s8, vcc_lo
	s_cbranch_execz .LBB347_37
; %bb.36:                               ;   in Loop: Header=BB347_33 Depth=1
	v_cmp_gt_i32_e64 s0, s27, v67
	s_wait_alu 0xf1ff
	s_delay_alu instid0(VALU_DEP_1) | instskip(SKIP_2) | instid1(VALU_DEP_1)
	v_cndmask_b32_e64 v49, 0, v49, s0
	v_cmp_gt_i32_e64 s0, s27, v80
	s_wait_alu 0xf1ff
	v_cndmask_b32_e64 v50, 0, v50, s0
	v_cmp_gt_i32_e64 s0, s27, v79
	s_wait_alu 0xf1ff
	s_delay_alu instid0(VALU_DEP_1) | instskip(SKIP_2) | instid1(VALU_DEP_1)
	v_cndmask_b32_e64 v47, 0, v47, s0
	v_cmp_gt_i32_e64 s0, s27, v78
	s_wait_alu 0xf1ff
	v_cndmask_b32_e64 v48, 0, v48, s0
	;; [unrolled: 7-line block ×4, first 2 shown]
.LBB347_37:                             ;   in Loop: Header=BB347_33 Depth=1
	s_wait_alu 0xfffe
	s_or_b32 exec_lo, exec_lo, s8
	global_load_b64 v[15:16], v[13:14], off offset:512
	s_wait_loadcnt 0x0
	v_bfe_u32 v17, v15, 8, 8
	v_bfe_u32 v51, v15, 16, 8
	;; [unrolled: 1-line block ×4, first 2 shown]
	s_delay_alu instid0(VALU_DEP_4) | instskip(SKIP_3) | instid1(VALU_DEP_4)
	v_cvt_f32_fp8_e32 v17, v17
	v_and_b32_e32 v0, 0xff, v15
	v_lshrrev_b32_e32 v15, 24, v15
	v_cvt_f32_fp8_e32 v51, v51
	v_dual_mul_f32 v17, s2, v17 :: v_dual_and_b32 v52, 0xff, v16
	s_delay_alu instid0(VALU_DEP_4) | instskip(NEXT) | instid1(VALU_DEP_4)
	v_cvt_f32_fp8_e32 v0, v0
	v_cvt_f32_fp8_e32 v15, v15
	s_delay_alu instid0(VALU_DEP_4) | instskip(NEXT) | instid1(VALU_DEP_4)
	v_mul_f32_e32 v51, s2, v51
	v_cvt_f32_fp8_e32 v52, v52
	v_bfe_u32 v57, v17, 16, 1
	s_delay_alu instid0(VALU_DEP_4) | instskip(SKIP_2) | instid1(VALU_DEP_4)
	v_dual_mul_f32 v0, s2, v0 :: v_dual_mul_f32 v15, s2, v15
	v_or_b32_e32 v58, 0x400000, v17
	v_bfe_u32 v59, v51, 16, 1
	v_add3_u32 v57, v57, v17, 0x7fff
	s_delay_alu instid0(VALU_DEP_4)
	v_bfe_u32 v55, v0, 16, 1
	v_or_b32_e32 v56, 0x400000, v0
	v_cmp_u_f32_e64 s0, v0, v0
	v_cvt_f32_fp8_e32 v53, v53
	v_mul_f32_e32 v52, s2, v52
	v_add3_u32 v55, v55, v0, 0x7fff
	v_or_b32_e32 v60, 0x400000, v51
	v_bfe_u32 v61, v15, 16, 1
	v_add3_u32 v59, v59, v51, 0x7fff
	v_lshrrev_b32_e32 v16, 24, v16
	s_wait_alu 0xf1ff
	v_cndmask_b32_e64 v0, v55, v56, s0
	v_cmp_u_f32_e64 s0, v17, v17
	v_cvt_f32_fp8_e32 v54, v54
	v_mul_f32_e32 v53, s2, v53
	v_or_b32_e32 v62, 0x400000, v15
	v_bfe_u32 v63, v52, 16, 1
	s_wait_alu 0xf1ff
	v_cndmask_b32_e64 v17, v57, v58, s0
	v_cmp_u_f32_e64 s0, v51, v51
	v_add3_u32 v61, v61, v15, 0x7fff
	v_cvt_f32_fp8_e32 v16, v16
	v_mul_f32_e32 v54, s2, v54
	v_or_b32_e32 v64, 0x400000, v52
	s_wait_alu 0xf1ff
	v_cndmask_b32_e64 v51, v59, v60, s0
	v_cmp_u_f32_e64 s0, v15, v15
	v_bfe_u32 v65, v53, 16, 1
	v_add3_u32 v63, v63, v52, 0x7fff
	v_mul_f32_e32 v16, s2, v16
	v_or_b32_e32 v66, 0x400000, v53
	s_wait_alu 0xf1ff
	v_cndmask_b32_e64 v15, v61, v62, s0
	v_cmp_u_f32_e64 s0, v52, v52
	v_bfe_u32 v68, v54, 16, 1
	v_add3_u32 v65, v65, v53, 0x7fff
	v_or_b32_e32 v69, 0x400000, v54
	v_bfe_u32 v70, v16, 16, 1
	s_wait_alu 0xf1ff
	v_cndmask_b32_e64 v52, v63, v64, s0
	v_cmp_u_f32_e64 s0, v53, v53
	v_add3_u32 v68, v68, v54, 0x7fff
	v_or_b32_e32 v71, 0x400000, v16
	v_add3_u32 v70, v70, v16, 0x7fff
	v_lshrrev_b32_e32 v57, 16, v0
	s_wait_alu 0xf1ff
	v_cndmask_b32_e64 v59, v65, v66, s0
	v_cmp_u_f32_e64 s0, v54, v54
	v_lshrrev_b32_e32 v58, 16, v17
	v_lshrrev_b32_e32 v55, 16, v51
	;; [unrolled: 1-line block ×4, first 2 shown]
	s_wait_alu 0xf1ff
	v_cndmask_b32_e64 v60, v68, v69, s0
	v_cmp_u_f32_e64 s0, v16, v16
	v_lshrrev_b32_e32 v54, 16, v59
	s_delay_alu instid0(VALU_DEP_3) | instskip(SKIP_1) | instid1(VALU_DEP_3)
	v_lshrrev_b32_e32 v51, 16, v60
	s_wait_alu 0xf1ff
	v_cndmask_b32_e64 v16, v70, v71, s0
	s_delay_alu instid0(VALU_DEP_1)
	v_lshrrev_b32_e32 v52, 16, v16
	s_and_saveexec_b32 s8, vcc_lo
	s_cbranch_execz .LBB347_39
; %bb.38:                               ;   in Loop: Header=BB347_33 Depth=1
	v_cmp_gt_i32_e64 s0, s27, v67
	s_wait_alu 0xf1ff
	s_delay_alu instid0(VALU_DEP_1) | instskip(SKIP_2) | instid1(VALU_DEP_1)
	v_cndmask_b32_e64 v57, 0, v57, s0
	v_cmp_gt_i32_e64 s0, s27, v80
	s_wait_alu 0xf1ff
	v_cndmask_b32_e64 v58, 0, v58, s0
	v_cmp_gt_i32_e64 s0, s27, v79
	s_wait_alu 0xf1ff
	s_delay_alu instid0(VALU_DEP_1) | instskip(SKIP_2) | instid1(VALU_DEP_1)
	v_cndmask_b32_e64 v55, 0, v55, s0
	v_cmp_gt_i32_e64 s0, s27, v78
	s_wait_alu 0xf1ff
	v_cndmask_b32_e64 v56, 0, v56, s0
	;; [unrolled: 7-line block ×4, first 2 shown]
.LBB347_39:                             ;   in Loop: Header=BB347_33 Depth=1
	s_wait_alu 0xfffe
	s_or_b32 exec_lo, exec_lo, s8
	global_load_b64 v[15:16], v[13:14], off offset:768
	s_wait_loadcnt 0x0
	v_bfe_u32 v17, v15, 8, 8
	v_bfe_u32 v59, v15, 16, 8
	;; [unrolled: 1-line block ×4, first 2 shown]
	s_delay_alu instid0(VALU_DEP_4) | instskip(SKIP_3) | instid1(VALU_DEP_4)
	v_cvt_f32_fp8_e32 v17, v17
	v_and_b32_e32 v0, 0xff, v15
	v_lshrrev_b32_e32 v15, 24, v15
	v_cvt_f32_fp8_e32 v59, v59
	v_dual_mul_f32 v17, s2, v17 :: v_dual_and_b32 v60, 0xff, v16
	s_delay_alu instid0(VALU_DEP_4) | instskip(NEXT) | instid1(VALU_DEP_4)
	v_cvt_f32_fp8_e32 v0, v0
	v_cvt_f32_fp8_e32 v15, v15
	s_delay_alu instid0(VALU_DEP_4) | instskip(NEXT) | instid1(VALU_DEP_4)
	v_mul_f32_e32 v59, s2, v59
	v_cvt_f32_fp8_e32 v60, v60
	v_bfe_u32 v65, v17, 16, 1
	s_delay_alu instid0(VALU_DEP_4) | instskip(SKIP_2) | instid1(VALU_DEP_4)
	v_dual_mul_f32 v0, s2, v0 :: v_dual_mul_f32 v15, s2, v15
	v_or_b32_e32 v66, 0x400000, v17
	v_bfe_u32 v68, v59, 16, 1
	v_add3_u32 v65, v65, v17, 0x7fff
	s_delay_alu instid0(VALU_DEP_4)
	v_bfe_u32 v63, v0, 16, 1
	v_or_b32_e32 v64, 0x400000, v0
	v_cmp_u_f32_e64 s0, v0, v0
	v_cvt_f32_fp8_e32 v61, v61
	v_mul_f32_e32 v60, s2, v60
	v_add3_u32 v63, v63, v0, 0x7fff
	v_or_b32_e32 v69, 0x400000, v59
	v_bfe_u32 v70, v15, 16, 1
	v_add3_u32 v68, v68, v59, 0x7fff
	v_lshrrev_b32_e32 v16, 24, v16
	s_wait_alu 0xf1ff
	v_cndmask_b32_e64 v0, v63, v64, s0
	v_cmp_u_f32_e64 s0, v17, v17
	v_cvt_f32_fp8_e32 v62, v62
	v_mul_f32_e32 v61, s2, v61
	v_or_b32_e32 v71, 0x400000, v15
	v_bfe_u32 v72, v60, 16, 1
	s_wait_alu 0xf1ff
	v_cndmask_b32_e64 v17, v65, v66, s0
	v_cmp_u_f32_e64 s0, v59, v59
	v_add3_u32 v70, v70, v15, 0x7fff
	v_cvt_f32_fp8_e32 v16, v16
	v_mul_f32_e32 v62, s2, v62
	v_or_b32_e32 v73, 0x400000, v60
	s_wait_alu 0xf1ff
	v_cndmask_b32_e64 v59, v68, v69, s0
	v_cmp_u_f32_e64 s0, v15, v15
	v_bfe_u32 v74, v61, 16, 1
	v_add3_u32 v72, v72, v60, 0x7fff
	v_mul_f32_e32 v16, s2, v16
	v_or_b32_e32 v77, 0x400000, v61
	s_wait_alu 0xf1ff
	v_cndmask_b32_e64 v15, v70, v71, s0
	v_cmp_u_f32_e64 s0, v60, v60
	v_bfe_u32 v82, v62, 16, 1
	v_add3_u32 v74, v74, v61, 0x7fff
	v_or_b32_e32 v83, 0x400000, v62
	v_bfe_u32 v84, v16, 16, 1
	s_wait_alu 0xf1ff
	v_cndmask_b32_e64 v60, v72, v73, s0
	v_cmp_u_f32_e64 s0, v61, v61
	v_add3_u32 v82, v82, v62, 0x7fff
	v_or_b32_e32 v85, 0x400000, v16
	v_add3_u32 v84, v84, v16, 0x7fff
	v_lshrrev_b32_e32 v65, 16, v0
	s_wait_alu 0xf1ff
	v_cndmask_b32_e64 v68, v74, v77, s0
	v_cmp_u_f32_e64 s0, v62, v62
	v_lshrrev_b32_e32 v66, 16, v17
	v_lshrrev_b32_e32 v63, 16, v59
	;; [unrolled: 1-line block ×4, first 2 shown]
	s_wait_alu 0xf1ff
	v_cndmask_b32_e64 v69, v82, v83, s0
	v_cmp_u_f32_e64 s0, v16, v16
	v_lshrrev_b32_e32 v62, 16, v68
	s_delay_alu instid0(VALU_DEP_3) | instskip(SKIP_1) | instid1(VALU_DEP_3)
	v_lshrrev_b32_e32 v59, 16, v69
	s_wait_alu 0xf1ff
	v_cndmask_b32_e64 v16, v84, v85, s0
	s_delay_alu instid0(VALU_DEP_1)
	v_lshrrev_b32_e32 v60, 16, v16
	s_and_saveexec_b32 s8, vcc_lo
	s_cbranch_execz .LBB347_41
; %bb.40:                               ;   in Loop: Header=BB347_33 Depth=1
	v_cmp_gt_i32_e64 s0, s27, v67
	s_wait_alu 0xf1ff
	s_delay_alu instid0(VALU_DEP_1) | instskip(SKIP_2) | instid1(VALU_DEP_1)
	v_cndmask_b32_e64 v65, 0, v65, s0
	v_cmp_gt_i32_e64 s0, s27, v80
	s_wait_alu 0xf1ff
	v_cndmask_b32_e64 v66, 0, v66, s0
	v_cmp_gt_i32_e64 s0, s27, v79
	s_wait_alu 0xf1ff
	s_delay_alu instid0(VALU_DEP_1) | instskip(SKIP_2) | instid1(VALU_DEP_1)
	v_cndmask_b32_e64 v63, 0, v63, s0
	v_cmp_gt_i32_e64 s0, s27, v78
	s_wait_alu 0xf1ff
	v_cndmask_b32_e64 v64, 0, v64, s0
	;; [unrolled: 7-line block ×4, first 2 shown]
.LBB347_41:                             ;   in Loop: Header=BB347_33 Depth=1
	s_wait_alu 0xfffe
	s_or_b32 exec_lo, exec_lo, s8
	global_load_b64 v[15:16], v[13:14], off offset:1024
	s_wait_loadcnt 0x0
	v_bfe_u32 v17, v15, 8, 8
	v_bfe_u32 v68, v15, 16, 8
	;; [unrolled: 1-line block ×4, first 2 shown]
	s_delay_alu instid0(VALU_DEP_4)
	v_cvt_f32_fp8_e32 v17, v17
	v_and_b32_e32 v0, 0xff, v15
	v_lshrrev_b32_e32 v15, 24, v15
	v_cvt_f32_fp8_e32 v68, v68
	v_cvt_f32_fp8_e32 v70, v70
	v_mul_f32_e32 v17, s2, v17
	v_cvt_f32_fp8_e32 v0, v0
	v_cvt_f32_fp8_e32 v15, v15
	s_delay_alu instid0(VALU_DEP_4) | instskip(NEXT) | instid1(VALU_DEP_4)
	v_dual_mul_f32 v70, s2, v70 :: v_dual_and_b32 v69, 0xff, v16
	v_bfe_u32 v74, v17, 16, 1
	s_delay_alu instid0(VALU_DEP_3) | instskip(NEXT) | instid1(VALU_DEP_3)
	v_dual_mul_f32 v0, s2, v0 :: v_dual_mul_f32 v15, s2, v15
	v_cvt_f32_fp8_e32 v69, v69
	v_mul_f32_e32 v68, s2, v68
	v_or_b32_e32 v77, 0x400000, v17
	s_delay_alu instid0(VALU_DEP_4)
	v_bfe_u32 v72, v0, 16, 1
	v_or_b32_e32 v73, 0x400000, v0
	v_cmp_u_f32_e64 s0, v0, v0
	v_mul_f32_e32 v69, s2, v69
	v_bfe_u32 v82, v68, 16, 1
	v_add3_u32 v72, v72, v0, 0x7fff
	v_add3_u32 v74, v74, v17, 0x7fff
	v_or_b32_e32 v83, 0x400000, v68
	v_bfe_u32 v84, v15, 16, 1
	v_add3_u32 v82, v82, v68, 0x7fff
	s_wait_alu 0xf1ff
	v_cndmask_b32_e64 v0, v72, v73, s0
	v_cmp_u_f32_e64 s0, v17, v17
	v_lshrrev_b32_e32 v16, 24, v16
	v_cvt_f32_fp8_e32 v71, v71
	v_or_b32_e32 v85, 0x400000, v15
	v_bfe_u32 v86, v69, 16, 1
	s_wait_alu 0xf1ff
	v_cndmask_b32_e64 v17, v74, v77, s0
	v_cmp_u_f32_e64 s0, v68, v68
	v_add3_u32 v84, v84, v15, 0x7fff
	v_cvt_f32_fp8_e32 v16, v16
	v_mul_f32_e32 v71, s2, v71
	v_or_b32_e32 v87, 0x400000, v69
	s_wait_alu 0xf1ff
	v_cndmask_b32_e64 v68, v82, v83, s0
	v_cmp_u_f32_e64 s0, v15, v15
	v_bfe_u32 v88, v70, 16, 1
	v_add3_u32 v86, v86, v69, 0x7fff
	v_mul_f32_e32 v16, s2, v16
	v_or_b32_e32 v89, 0x400000, v70
	s_wait_alu 0xf1ff
	v_cndmask_b32_e64 v15, v84, v85, s0
	v_cmp_u_f32_e64 s0, v69, v69
	v_bfe_u32 v90, v71, 16, 1
	v_add3_u32 v88, v88, v70, 0x7fff
	v_or_b32_e32 v91, 0x400000, v71
	v_bfe_u32 v92, v16, 16, 1
	s_wait_alu 0xf1ff
	v_cndmask_b32_e64 v69, v86, v87, s0
	v_cmp_u_f32_e64 s0, v70, v70
	v_add3_u32 v90, v90, v71, 0x7fff
	v_or_b32_e32 v93, 0x400000, v16
	v_add3_u32 v92, v92, v16, 0x7fff
	v_lshrrev_b32_e32 v74, 16, v0
	s_wait_alu 0xf1ff
	v_cndmask_b32_e64 v82, v88, v89, s0
	v_cmp_u_f32_e64 s0, v71, v71
	v_lshrrev_b32_e32 v77, 16, v17
	v_lshrrev_b32_e32 v72, 16, v68
	;; [unrolled: 1-line block ×4, first 2 shown]
	s_wait_alu 0xf1ff
	v_cndmask_b32_e64 v83, v90, v91, s0
	v_cmp_u_f32_e64 s0, v16, v16
	v_lshrrev_b32_e32 v71, 16, v82
	s_delay_alu instid0(VALU_DEP_3) | instskip(SKIP_1) | instid1(VALU_DEP_3)
	v_lshrrev_b32_e32 v68, 16, v83
	s_wait_alu 0xf1ff
	v_cndmask_b32_e64 v16, v92, v93, s0
	s_delay_alu instid0(VALU_DEP_1)
	v_lshrrev_b32_e32 v69, 16, v16
	s_and_saveexec_b32 s8, vcc_lo
	s_cbranch_execz .LBB347_43
; %bb.42:                               ;   in Loop: Header=BB347_33 Depth=1
	v_cmp_gt_i32_e64 s0, s27, v67
	s_wait_alu 0xf1ff
	s_delay_alu instid0(VALU_DEP_1) | instskip(SKIP_2) | instid1(VALU_DEP_1)
	v_cndmask_b32_e64 v74, 0, v74, s0
	v_cmp_gt_i32_e64 s0, s27, v80
	s_wait_alu 0xf1ff
	v_cndmask_b32_e64 v77, 0, v77, s0
	v_cmp_gt_i32_e64 s0, s27, v79
	s_wait_alu 0xf1ff
	s_delay_alu instid0(VALU_DEP_1) | instskip(SKIP_2) | instid1(VALU_DEP_1)
	v_cndmask_b32_e64 v72, 0, v72, s0
	v_cmp_gt_i32_e64 s0, s27, v78
	s_wait_alu 0xf1ff
	v_cndmask_b32_e64 v73, 0, v73, s0
	;; [unrolled: 7-line block ×4, first 2 shown]
.LBB347_43:                             ;   in Loop: Header=BB347_33 Depth=1
	s_wait_alu 0xfffe
	s_or_b32 exec_lo, exec_lo, s8
	global_load_b64 v[15:16], v[13:14], off offset:1280
	s_wait_loadcnt 0x0
	v_bfe_u32 v17, v15, 8, 8
	v_bfe_u32 v82, v15, 16, 8
	;; [unrolled: 1-line block ×4, first 2 shown]
	s_delay_alu instid0(VALU_DEP_4)
	v_cvt_f32_fp8_e32 v17, v17
	v_and_b32_e32 v0, 0xff, v15
	v_lshrrev_b32_e32 v15, 24, v15
	v_cvt_f32_fp8_e32 v82, v82
	v_and_b32_e32 v83, 0xff, v16
	v_mul_f32_e32 v17, s2, v17
	v_cvt_f32_fp8_e32 v0, v0
	v_cvt_f32_fp8_e32 v15, v15
	v_mul_f32_e32 v82, s2, v82
	v_cvt_f32_fp8_e32 v83, v83
	v_bfe_u32 v88, v17, 16, 1
	s_delay_alu instid0(VALU_DEP_4) | instskip(SKIP_2) | instid1(VALU_DEP_4)
	v_dual_mul_f32 v0, s2, v0 :: v_dual_mul_f32 v15, s2, v15
	v_or_b32_e32 v89, 0x400000, v17
	v_bfe_u32 v90, v82, 16, 1
	v_add3_u32 v88, v88, v17, 0x7fff
	s_delay_alu instid0(VALU_DEP_4)
	v_bfe_u32 v86, v0, 16, 1
	v_or_b32_e32 v87, 0x400000, v0
	v_cmp_u_f32_e64 s0, v0, v0
	v_cvt_f32_fp8_e32 v84, v84
	v_mul_f32_e32 v83, s2, v83
	v_add3_u32 v86, v86, v0, 0x7fff
	v_or_b32_e32 v91, 0x400000, v82
	v_bfe_u32 v92, v15, 16, 1
	v_add3_u32 v90, v90, v82, 0x7fff
	v_lshrrev_b32_e32 v16, 24, v16
	s_wait_alu 0xf1ff
	v_cndmask_b32_e64 v0, v86, v87, s0
	v_cmp_u_f32_e64 s0, v17, v17
	v_cvt_f32_fp8_e32 v85, v85
	v_mul_f32_e32 v84, s2, v84
	v_or_b32_e32 v93, 0x400000, v15
	v_bfe_u32 v94, v83, 16, 1
	s_wait_alu 0xf1ff
	v_cndmask_b32_e64 v17, v88, v89, s0
	v_cmp_u_f32_e64 s0, v82, v82
	v_add3_u32 v92, v92, v15, 0x7fff
	v_cvt_f32_fp8_e32 v16, v16
	v_mul_f32_e32 v85, s2, v85
	v_or_b32_e32 v95, 0x400000, v83
	s_wait_alu 0xf1ff
	v_cndmask_b32_e64 v82, v90, v91, s0
	v_cmp_u_f32_e64 s0, v15, v15
	v_bfe_u32 v96, v84, 16, 1
	v_add3_u32 v94, v94, v83, 0x7fff
	v_mul_f32_e32 v16, s2, v16
	v_or_b32_e32 v97, 0x400000, v84
	s_wait_alu 0xf1ff
	v_cndmask_b32_e64 v15, v92, v93, s0
	v_cmp_u_f32_e64 s0, v83, v83
	v_bfe_u32 v98, v85, 16, 1
	v_add3_u32 v96, v96, v84, 0x7fff
	v_or_b32_e32 v99, 0x400000, v85
	v_bfe_u32 v100, v16, 16, 1
	s_wait_alu 0xf1ff
	v_cndmask_b32_e64 v83, v94, v95, s0
	v_cmp_u_f32_e64 s0, v84, v84
	v_add3_u32 v98, v98, v85, 0x7fff
	v_or_b32_e32 v101, 0x400000, v16
	v_add3_u32 v100, v100, v16, 0x7fff
	v_lshrrev_b32_e32 v88, 16, v0
	s_wait_alu 0xf1ff
	v_cndmask_b32_e64 v90, v96, v97, s0
	v_cmp_u_f32_e64 s0, v85, v85
	v_lshrrev_b32_e32 v89, 16, v17
	v_lshrrev_b32_e32 v86, 16, v82
	;; [unrolled: 1-line block ×4, first 2 shown]
	s_wait_alu 0xf1ff
	v_cndmask_b32_e64 v91, v98, v99, s0
	v_cmp_u_f32_e64 s0, v16, v16
	v_lshrrev_b32_e32 v85, 16, v90
	s_delay_alu instid0(VALU_DEP_3) | instskip(SKIP_1) | instid1(VALU_DEP_3)
	v_lshrrev_b32_e32 v82, 16, v91
	s_wait_alu 0xf1ff
	v_cndmask_b32_e64 v16, v100, v101, s0
	s_delay_alu instid0(VALU_DEP_1)
	v_lshrrev_b32_e32 v83, 16, v16
	s_and_saveexec_b32 s8, vcc_lo
	s_cbranch_execz .LBB347_45
; %bb.44:                               ;   in Loop: Header=BB347_33 Depth=1
	v_cmp_gt_i32_e64 s0, s27, v67
	s_wait_alu 0xf1ff
	s_delay_alu instid0(VALU_DEP_1) | instskip(SKIP_2) | instid1(VALU_DEP_1)
	v_cndmask_b32_e64 v88, 0, v88, s0
	v_cmp_gt_i32_e64 s0, s27, v80
	s_wait_alu 0xf1ff
	v_cndmask_b32_e64 v89, 0, v89, s0
	v_cmp_gt_i32_e64 s0, s27, v79
	s_wait_alu 0xf1ff
	s_delay_alu instid0(VALU_DEP_1) | instskip(SKIP_2) | instid1(VALU_DEP_1)
	v_cndmask_b32_e64 v86, 0, v86, s0
	v_cmp_gt_i32_e64 s0, s27, v78
	s_wait_alu 0xf1ff
	v_cndmask_b32_e64 v87, 0, v87, s0
	;; [unrolled: 7-line block ×4, first 2 shown]
.LBB347_45:                             ;   in Loop: Header=BB347_33 Depth=1
	s_wait_alu 0xfffe
	s_or_b32 exec_lo, exec_lo, s8
	global_load_b64 v[15:16], v[13:14], off offset:1536
	s_wait_loadcnt 0x0
	v_bfe_u32 v17, v15, 8, 8
	v_bfe_u32 v90, v15, 16, 8
	;; [unrolled: 1-line block ×4, first 2 shown]
	s_delay_alu instid0(VALU_DEP_4)
	v_cvt_f32_fp8_e32 v17, v17
	v_and_b32_e32 v0, 0xff, v15
	v_lshrrev_b32_e32 v15, 24, v15
	v_cvt_f32_fp8_e32 v90, v90
	v_and_b32_e32 v91, 0xff, v16
	v_mul_f32_e32 v17, s2, v17
	v_cvt_f32_fp8_e32 v0, v0
	v_cvt_f32_fp8_e32 v15, v15
	v_mul_f32_e32 v90, s2, v90
	v_cvt_f32_fp8_e32 v91, v91
	v_bfe_u32 v96, v17, 16, 1
	s_delay_alu instid0(VALU_DEP_4) | instskip(SKIP_2) | instid1(VALU_DEP_4)
	v_dual_mul_f32 v0, s2, v0 :: v_dual_mul_f32 v15, s2, v15
	v_or_b32_e32 v97, 0x400000, v17
	v_bfe_u32 v98, v90, 16, 1
	v_add3_u32 v96, v96, v17, 0x7fff
	s_delay_alu instid0(VALU_DEP_4)
	v_bfe_u32 v94, v0, 16, 1
	v_or_b32_e32 v95, 0x400000, v0
	v_cmp_u_f32_e64 s0, v0, v0
	v_cvt_f32_fp8_e32 v92, v92
	v_mul_f32_e32 v91, s2, v91
	v_add3_u32 v94, v94, v0, 0x7fff
	v_or_b32_e32 v99, 0x400000, v90
	v_bfe_u32 v100, v15, 16, 1
	v_add3_u32 v98, v98, v90, 0x7fff
	v_lshrrev_b32_e32 v16, 24, v16
	s_wait_alu 0xf1ff
	v_cndmask_b32_e64 v0, v94, v95, s0
	v_cmp_u_f32_e64 s0, v17, v17
	v_cvt_f32_fp8_e32 v93, v93
	v_mul_f32_e32 v92, s2, v92
	v_or_b32_e32 v101, 0x400000, v15
	v_bfe_u32 v102, v91, 16, 1
	s_wait_alu 0xf1ff
	v_cndmask_b32_e64 v17, v96, v97, s0
	v_cmp_u_f32_e64 s0, v90, v90
	v_add3_u32 v100, v100, v15, 0x7fff
	v_cvt_f32_fp8_e32 v16, v16
	v_mul_f32_e32 v93, s2, v93
	v_or_b32_e32 v103, 0x400000, v91
	s_wait_alu 0xf1ff
	v_cndmask_b32_e64 v90, v98, v99, s0
	v_cmp_u_f32_e64 s0, v15, v15
	v_bfe_u32 v104, v92, 16, 1
	v_add3_u32 v102, v102, v91, 0x7fff
	v_mul_f32_e32 v16, s2, v16
	v_or_b32_e32 v105, 0x400000, v92
	s_wait_alu 0xf1ff
	v_cndmask_b32_e64 v15, v100, v101, s0
	v_cmp_u_f32_e64 s0, v91, v91
	v_bfe_u32 v106, v93, 16, 1
	v_add3_u32 v104, v104, v92, 0x7fff
	v_or_b32_e32 v107, 0x400000, v93
	v_bfe_u32 v108, v16, 16, 1
	s_wait_alu 0xf1ff
	v_cndmask_b32_e64 v91, v102, v103, s0
	v_cmp_u_f32_e64 s0, v92, v92
	v_add3_u32 v106, v106, v93, 0x7fff
	v_or_b32_e32 v109, 0x400000, v16
	v_add3_u32 v108, v108, v16, 0x7fff
	v_lshrrev_b32_e32 v96, 16, v0
	s_wait_alu 0xf1ff
	v_cndmask_b32_e64 v98, v104, v105, s0
	v_cmp_u_f32_e64 s0, v93, v93
	v_lshrrev_b32_e32 v97, 16, v17
	v_lshrrev_b32_e32 v94, 16, v90
	;; [unrolled: 1-line block ×4, first 2 shown]
	s_wait_alu 0xf1ff
	v_cndmask_b32_e64 v99, v106, v107, s0
	v_cmp_u_f32_e64 s0, v16, v16
	v_lshrrev_b32_e32 v93, 16, v98
	s_delay_alu instid0(VALU_DEP_3) | instskip(SKIP_1) | instid1(VALU_DEP_3)
	v_lshrrev_b32_e32 v90, 16, v99
	s_wait_alu 0xf1ff
	v_cndmask_b32_e64 v16, v108, v109, s0
	s_delay_alu instid0(VALU_DEP_1)
	v_lshrrev_b32_e32 v91, 16, v16
	s_and_saveexec_b32 s8, vcc_lo
	s_cbranch_execz .LBB347_47
; %bb.46:                               ;   in Loop: Header=BB347_33 Depth=1
	v_cmp_gt_i32_e64 s0, s27, v67
	s_wait_alu 0xf1ff
	s_delay_alu instid0(VALU_DEP_1) | instskip(SKIP_2) | instid1(VALU_DEP_1)
	v_cndmask_b32_e64 v96, 0, v96, s0
	v_cmp_gt_i32_e64 s0, s27, v80
	s_wait_alu 0xf1ff
	v_cndmask_b32_e64 v97, 0, v97, s0
	v_cmp_gt_i32_e64 s0, s27, v79
	s_wait_alu 0xf1ff
	s_delay_alu instid0(VALU_DEP_1) | instskip(SKIP_2) | instid1(VALU_DEP_1)
	v_cndmask_b32_e64 v94, 0, v94, s0
	v_cmp_gt_i32_e64 s0, s27, v78
	s_wait_alu 0xf1ff
	v_cndmask_b32_e64 v95, 0, v95, s0
	;; [unrolled: 7-line block ×4, first 2 shown]
.LBB347_47:                             ;   in Loop: Header=BB347_33 Depth=1
	s_wait_alu 0xfffe
	s_or_b32 exec_lo, exec_lo, s8
	global_load_b64 v[15:16], v[13:14], off offset:1792
	s_wait_loadcnt 0x0
	v_bfe_u32 v17, v15, 8, 8
	v_bfe_u32 v98, v15, 16, 8
	;; [unrolled: 1-line block ×4, first 2 shown]
	s_delay_alu instid0(VALU_DEP_4)
	v_cvt_f32_fp8_e32 v17, v17
	v_and_b32_e32 v0, 0xff, v15
	v_lshrrev_b32_e32 v15, 24, v15
	v_cvt_f32_fp8_e32 v98, v98
	v_and_b32_e32 v99, 0xff, v16
	v_mul_f32_e32 v17, s2, v17
	v_cvt_f32_fp8_e32 v0, v0
	v_cvt_f32_fp8_e32 v15, v15
	v_mul_f32_e32 v98, s2, v98
	v_cvt_f32_fp8_e32 v99, v99
	v_bfe_u32 v104, v17, 16, 1
	s_delay_alu instid0(VALU_DEP_4) | instskip(SKIP_2) | instid1(VALU_DEP_4)
	v_dual_mul_f32 v0, s2, v0 :: v_dual_mul_f32 v15, s2, v15
	v_or_b32_e32 v105, 0x400000, v17
	v_bfe_u32 v106, v98, 16, 1
	v_add3_u32 v104, v104, v17, 0x7fff
	s_delay_alu instid0(VALU_DEP_4)
	v_bfe_u32 v102, v0, 16, 1
	v_or_b32_e32 v103, 0x400000, v0
	v_cmp_u_f32_e64 s0, v0, v0
	v_cvt_f32_fp8_e32 v100, v100
	v_mul_f32_e32 v99, s2, v99
	v_add3_u32 v102, v102, v0, 0x7fff
	v_or_b32_e32 v107, 0x400000, v98
	v_bfe_u32 v108, v15, 16, 1
	v_add3_u32 v106, v106, v98, 0x7fff
	v_lshrrev_b32_e32 v16, 24, v16
	s_wait_alu 0xf1ff
	v_cndmask_b32_e64 v0, v102, v103, s0
	v_cmp_u_f32_e64 s0, v17, v17
	v_cvt_f32_fp8_e32 v101, v101
	v_mul_f32_e32 v100, s2, v100
	v_or_b32_e32 v109, 0x400000, v15
	v_bfe_u32 v110, v99, 16, 1
	s_wait_alu 0xf1ff
	v_cndmask_b32_e64 v17, v104, v105, s0
	v_cmp_u_f32_e64 s0, v98, v98
	v_add3_u32 v108, v108, v15, 0x7fff
	v_cvt_f32_fp8_e32 v16, v16
	v_mul_f32_e32 v101, s2, v101
	v_or_b32_e32 v111, 0x400000, v99
	s_wait_alu 0xf1ff
	v_cndmask_b32_e64 v98, v106, v107, s0
	v_cmp_u_f32_e64 s0, v15, v15
	v_bfe_u32 v112, v100, 16, 1
	v_add3_u32 v110, v110, v99, 0x7fff
	v_mul_f32_e32 v16, s2, v16
	v_or_b32_e32 v113, 0x400000, v100
	s_wait_alu 0xf1ff
	v_cndmask_b32_e64 v15, v108, v109, s0
	v_cmp_u_f32_e64 s0, v99, v99
	v_bfe_u32 v114, v101, 16, 1
	v_add3_u32 v112, v112, v100, 0x7fff
	v_or_b32_e32 v115, 0x400000, v101
	v_bfe_u32 v116, v16, 16, 1
	s_wait_alu 0xf1ff
	v_cndmask_b32_e64 v99, v110, v111, s0
	v_cmp_u_f32_e64 s0, v100, v100
	v_add3_u32 v114, v114, v101, 0x7fff
	v_or_b32_e32 v117, 0x400000, v16
	v_add3_u32 v116, v116, v16, 0x7fff
	v_lshrrev_b32_e32 v110, 16, v0
	s_wait_alu 0xf1ff
	v_cndmask_b32_e64 v100, v112, v113, s0
	v_cmp_u_f32_e64 s0, v101, v101
	v_lshrrev_b32_e32 v111, 16, v17
	v_lshrrev_b32_e32 v108, 16, v98
	;; [unrolled: 1-line block ×4, first 2 shown]
	s_wait_alu 0xf1ff
	v_cndmask_b32_e64 v101, v114, v115, s0
	v_cmp_u_f32_e64 s0, v16, v16
	v_lshrrev_b32_e32 v107, 16, v100
	s_delay_alu instid0(VALU_DEP_3) | instskip(SKIP_1) | instid1(VALU_DEP_3)
	v_lshrrev_b32_e32 v104, 16, v101
	s_wait_alu 0xf1ff
	v_cndmask_b32_e64 v16, v116, v117, s0
	s_delay_alu instid0(VALU_DEP_1)
	v_lshrrev_b32_e32 v105, 16, v16
	s_and_saveexec_b32 s8, vcc_lo
	s_cbranch_execz .LBB347_49
; %bb.48:                               ;   in Loop: Header=BB347_33 Depth=1
	v_cmp_gt_i32_e64 s0, s27, v67
	s_wait_alu 0xf1ff
	s_delay_alu instid0(VALU_DEP_1) | instskip(SKIP_2) | instid1(VALU_DEP_1)
	v_cndmask_b32_e64 v110, 0, v110, s0
	v_cmp_gt_i32_e64 s0, s27, v80
	s_wait_alu 0xf1ff
	v_cndmask_b32_e64 v111, 0, v111, s0
	v_cmp_gt_i32_e64 s0, s27, v79
	s_wait_alu 0xf1ff
	s_delay_alu instid0(VALU_DEP_1) | instskip(SKIP_2) | instid1(VALU_DEP_1)
	v_cndmask_b32_e64 v108, 0, v108, s0
	v_cmp_gt_i32_e64 s0, s27, v78
	s_wait_alu 0xf1ff
	v_cndmask_b32_e64 v109, 0, v109, s0
	v_cmp_gt_i32_e64 s0, s27, v76
	s_wait_alu 0xf1ff
	s_delay_alu instid0(VALU_DEP_1) | instskip(SKIP_2) | instid1(VALU_DEP_1)
	v_cndmask_b32_e64 v106, 0, v106, s0
	v_cmp_gt_i32_e64 s0, s27, v75
	s_wait_alu 0xf1ff
	v_cndmask_b32_e64 v107, 0, v107, s0
	v_cmp_gt_i32_e64 s0, s27, v81
	s_wait_alu 0xf1ff
	s_delay_alu instid0(VALU_DEP_1) | instskip(SKIP_2) | instid1(VALU_DEP_1)
	v_cndmask_b32_e64 v104, 0, v104, s0
	v_cmp_gt_i32_e64 s0, s27, v33
	s_wait_alu 0xf1ff
	v_cndmask_b32_e64 v105, 0, v105, s0
.LBB347_49:                             ;   in Loop: Header=BB347_33 Depth=1
	s_wait_alu 0xfffe
	s_or_b32 exec_lo, exec_lo, s8
	global_load_b64 v[15:16], v[13:14], off offset:2048
	s_wait_loadcnt 0x0
	v_bfe_u32 v17, v15, 8, 8
	v_bfe_u32 v98, v15, 16, 8
	;; [unrolled: 1-line block ×4, first 2 shown]
	s_delay_alu instid0(VALU_DEP_4)
	v_cvt_f32_fp8_e32 v17, v17
	v_and_b32_e32 v0, 0xff, v15
	v_lshrrev_b32_e32 v15, 24, v15
	v_cvt_f32_fp8_e32 v98, v98
	v_and_b32_e32 v99, 0xff, v16
	v_mul_f32_e32 v17, s2, v17
	v_cvt_f32_fp8_e32 v0, v0
	v_cvt_f32_fp8_e32 v15, v15
	v_mul_f32_e32 v98, s2, v98
	v_cvt_f32_fp8_e32 v99, v99
	v_bfe_u32 v112, v17, 16, 1
	s_delay_alu instid0(VALU_DEP_4) | instskip(SKIP_2) | instid1(VALU_DEP_4)
	v_dual_mul_f32 v0, s2, v0 :: v_dual_mul_f32 v15, s2, v15
	v_or_b32_e32 v113, 0x400000, v17
	v_bfe_u32 v114, v98, 16, 1
	v_add3_u32 v112, v112, v17, 0x7fff
	s_delay_alu instid0(VALU_DEP_4)
	v_bfe_u32 v102, v0, 16, 1
	v_or_b32_e32 v103, 0x400000, v0
	v_cmp_u_f32_e64 s0, v0, v0
	v_cvt_f32_fp8_e32 v100, v100
	v_mul_f32_e32 v99, s2, v99
	v_add3_u32 v102, v102, v0, 0x7fff
	v_or_b32_e32 v115, 0x400000, v98
	v_bfe_u32 v116, v15, 16, 1
	v_add3_u32 v114, v114, v98, 0x7fff
	v_lshrrev_b32_e32 v16, 24, v16
	s_wait_alu 0xf1ff
	v_cndmask_b32_e64 v0, v102, v103, s0
	v_cmp_u_f32_e64 s0, v17, v17
	v_cvt_f32_fp8_e32 v101, v101
	v_mul_f32_e32 v100, s2, v100
	v_or_b32_e32 v117, 0x400000, v15
	v_bfe_u32 v118, v99, 16, 1
	s_wait_alu 0xf1ff
	v_cndmask_b32_e64 v17, v112, v113, s0
	v_cmp_u_f32_e64 s0, v98, v98
	v_add3_u32 v116, v116, v15, 0x7fff
	v_cvt_f32_fp8_e32 v16, v16
	v_mul_f32_e32 v101, s2, v101
	v_or_b32_e32 v119, 0x400000, v99
	s_wait_alu 0xf1ff
	v_cndmask_b32_e64 v98, v114, v115, s0
	v_cmp_u_f32_e64 s0, v15, v15
	v_bfe_u32 v120, v100, 16, 1
	v_add3_u32 v118, v118, v99, 0x7fff
	v_mul_f32_e32 v16, s2, v16
	v_or_b32_e32 v121, 0x400000, v100
	s_wait_alu 0xf1ff
	v_cndmask_b32_e64 v15, v116, v117, s0
	v_cmp_u_f32_e64 s0, v99, v99
	v_bfe_u32 v122, v101, 16, 1
	v_add3_u32 v120, v120, v100, 0x7fff
	v_or_b32_e32 v123, 0x400000, v101
	v_bfe_u32 v124, v16, 16, 1
	s_wait_alu 0xf1ff
	v_cndmask_b32_e64 v99, v118, v119, s0
	v_cmp_u_f32_e64 s0, v100, v100
	v_add3_u32 v122, v122, v101, 0x7fff
	v_or_b32_e32 v125, 0x400000, v16
	v_add3_u32 v124, v124, v16, 0x7fff
	v_lshrrev_b32_e32 v118, 16, v0
	s_wait_alu 0xf1ff
	v_cndmask_b32_e64 v100, v120, v121, s0
	v_cmp_u_f32_e64 s0, v101, v101
	v_lshrrev_b32_e32 v119, 16, v17
	v_lshrrev_b32_e32 v116, 16, v98
	;; [unrolled: 1-line block ×4, first 2 shown]
	s_wait_alu 0xf1ff
	v_cndmask_b32_e64 v101, v122, v123, s0
	v_cmp_u_f32_e64 s0, v16, v16
	v_lshrrev_b32_e32 v115, 16, v100
	s_delay_alu instid0(VALU_DEP_3) | instskip(SKIP_1) | instid1(VALU_DEP_3)
	v_lshrrev_b32_e32 v112, 16, v101
	s_wait_alu 0xf1ff
	v_cndmask_b32_e64 v16, v124, v125, s0
	s_delay_alu instid0(VALU_DEP_1)
	v_lshrrev_b32_e32 v113, 16, v16
	s_and_saveexec_b32 s8, vcc_lo
	s_cbranch_execz .LBB347_51
; %bb.50:                               ;   in Loop: Header=BB347_33 Depth=1
	v_cmp_gt_i32_e64 s0, s27, v67
	s_wait_alu 0xf1ff
	s_delay_alu instid0(VALU_DEP_1) | instskip(SKIP_2) | instid1(VALU_DEP_1)
	v_cndmask_b32_e64 v118, 0, v118, s0
	v_cmp_gt_i32_e64 s0, s27, v80
	s_wait_alu 0xf1ff
	v_cndmask_b32_e64 v119, 0, v119, s0
	v_cmp_gt_i32_e64 s0, s27, v79
	s_wait_alu 0xf1ff
	s_delay_alu instid0(VALU_DEP_1) | instskip(SKIP_2) | instid1(VALU_DEP_1)
	v_cndmask_b32_e64 v116, 0, v116, s0
	v_cmp_gt_i32_e64 s0, s27, v78
	s_wait_alu 0xf1ff
	v_cndmask_b32_e64 v117, 0, v117, s0
	;; [unrolled: 7-line block ×4, first 2 shown]
.LBB347_51:                             ;   in Loop: Header=BB347_33 Depth=1
	s_wait_alu 0xfffe
	s_or_b32 exec_lo, exec_lo, s8
	global_load_b64 v[15:16], v[13:14], off offset:2304
	s_wait_loadcnt 0x0
	v_bfe_u32 v17, v15, 8, 8
	v_bfe_u32 v98, v15, 16, 8
	;; [unrolled: 1-line block ×4, first 2 shown]
	s_delay_alu instid0(VALU_DEP_4)
	v_cvt_f32_fp8_e32 v17, v17
	v_and_b32_e32 v0, 0xff, v15
	v_lshrrev_b32_e32 v15, 24, v15
	v_cvt_f32_fp8_e32 v98, v98
	v_and_b32_e32 v99, 0xff, v16
	v_mul_f32_e32 v17, s2, v17
	v_cvt_f32_fp8_e32 v0, v0
	v_cvt_f32_fp8_e32 v15, v15
	v_mul_f32_e32 v98, s2, v98
	v_cvt_f32_fp8_e32 v99, v99
	v_bfe_u32 v120, v17, 16, 1
	s_delay_alu instid0(VALU_DEP_4) | instskip(SKIP_2) | instid1(VALU_DEP_4)
	v_dual_mul_f32 v0, s2, v0 :: v_dual_mul_f32 v15, s2, v15
	v_or_b32_e32 v121, 0x400000, v17
	v_bfe_u32 v122, v98, 16, 1
	v_add3_u32 v120, v120, v17, 0x7fff
	s_delay_alu instid0(VALU_DEP_4)
	v_bfe_u32 v102, v0, 16, 1
	v_or_b32_e32 v103, 0x400000, v0
	v_cmp_u_f32_e64 s0, v0, v0
	v_cvt_f32_fp8_e32 v100, v100
	v_mul_f32_e32 v99, s2, v99
	v_add3_u32 v102, v102, v0, 0x7fff
	v_or_b32_e32 v123, 0x400000, v98
	v_bfe_u32 v124, v15, 16, 1
	v_add3_u32 v122, v122, v98, 0x7fff
	v_lshrrev_b32_e32 v16, 24, v16
	s_wait_alu 0xf1ff
	v_cndmask_b32_e64 v0, v102, v103, s0
	v_cmp_u_f32_e64 s0, v17, v17
	v_cvt_f32_fp8_e32 v101, v101
	v_mul_f32_e32 v100, s2, v100
	v_or_b32_e32 v125, 0x400000, v15
	v_bfe_u32 v126, v99, 16, 1
	s_wait_alu 0xf1ff
	v_cndmask_b32_e64 v17, v120, v121, s0
	v_cmp_u_f32_e64 s0, v98, v98
	v_add3_u32 v124, v124, v15, 0x7fff
	v_cvt_f32_fp8_e32 v16, v16
	v_mul_f32_e32 v101, s2, v101
	v_or_b32_e32 v127, 0x400000, v99
	s_wait_alu 0xf1ff
	v_cndmask_b32_e64 v98, v122, v123, s0
	v_cmp_u_f32_e64 s0, v15, v15
	v_bfe_u32 v128, v100, 16, 1
	v_add3_u32 v126, v126, v99, 0x7fff
	v_mul_f32_e32 v16, s2, v16
	v_or_b32_e32 v129, 0x400000, v100
	s_wait_alu 0xf1ff
	v_cndmask_b32_e64 v15, v124, v125, s0
	v_cmp_u_f32_e64 s0, v99, v99
	v_bfe_u32 v130, v101, 16, 1
	v_add3_u32 v128, v128, v100, 0x7fff
	v_or_b32_e32 v131, 0x400000, v101
	v_bfe_u32 v132, v16, 16, 1
	s_wait_alu 0xf1ff
	v_cndmask_b32_e64 v99, v126, v127, s0
	v_cmp_u_f32_e64 s0, v100, v100
	v_add3_u32 v130, v130, v101, 0x7fff
	v_or_b32_e32 v133, 0x400000, v16
	v_add3_u32 v132, v132, v16, 0x7fff
	v_lshrrev_b32_e32 v126, 16, v0
	s_wait_alu 0xf1ff
	v_cndmask_b32_e64 v100, v128, v129, s0
	v_cmp_u_f32_e64 s0, v101, v101
	v_lshrrev_b32_e32 v127, 16, v17
	v_lshrrev_b32_e32 v124, 16, v98
	;; [unrolled: 1-line block ×4, first 2 shown]
	s_wait_alu 0xf1ff
	v_cndmask_b32_e64 v101, v130, v131, s0
	v_cmp_u_f32_e64 s0, v16, v16
	v_lshrrev_b32_e32 v123, 16, v100
	s_delay_alu instid0(VALU_DEP_3) | instskip(SKIP_1) | instid1(VALU_DEP_3)
	v_lshrrev_b32_e32 v120, 16, v101
	s_wait_alu 0xf1ff
	v_cndmask_b32_e64 v16, v132, v133, s0
	s_delay_alu instid0(VALU_DEP_1)
	v_lshrrev_b32_e32 v121, 16, v16
	s_and_saveexec_b32 s8, vcc_lo
	s_cbranch_execz .LBB347_53
; %bb.52:                               ;   in Loop: Header=BB347_33 Depth=1
	v_cmp_gt_i32_e64 s0, s27, v67
	s_wait_alu 0xf1ff
	s_delay_alu instid0(VALU_DEP_1) | instskip(SKIP_2) | instid1(VALU_DEP_1)
	v_cndmask_b32_e64 v126, 0, v126, s0
	v_cmp_gt_i32_e64 s0, s27, v80
	s_wait_alu 0xf1ff
	v_cndmask_b32_e64 v127, 0, v127, s0
	v_cmp_gt_i32_e64 s0, s27, v79
	s_wait_alu 0xf1ff
	s_delay_alu instid0(VALU_DEP_1) | instskip(SKIP_2) | instid1(VALU_DEP_1)
	v_cndmask_b32_e64 v124, 0, v124, s0
	v_cmp_gt_i32_e64 s0, s27, v78
	s_wait_alu 0xf1ff
	v_cndmask_b32_e64 v125, 0, v125, s0
	;; [unrolled: 7-line block ×4, first 2 shown]
.LBB347_53:                             ;   in Loop: Header=BB347_33 Depth=1
	s_wait_alu 0xfffe
	s_or_b32 exec_lo, exec_lo, s8
	global_load_b64 v[15:16], v[13:14], off offset:2560
	s_wait_loadcnt 0x0
	v_bfe_u32 v17, v15, 8, 8
	v_bfe_u32 v98, v15, 16, 8
	;; [unrolled: 1-line block ×4, first 2 shown]
	s_delay_alu instid0(VALU_DEP_4)
	v_cvt_f32_fp8_e32 v17, v17
	v_and_b32_e32 v0, 0xff, v15
	v_lshrrev_b32_e32 v15, 24, v15
	v_cvt_f32_fp8_e32 v98, v98
	v_and_b32_e32 v99, 0xff, v16
	v_mul_f32_e32 v17, s2, v17
	v_cvt_f32_fp8_e32 v0, v0
	v_cvt_f32_fp8_e32 v15, v15
	v_mul_f32_e32 v98, s2, v98
	v_cvt_f32_fp8_e32 v99, v99
	v_bfe_u32 v128, v17, 16, 1
	s_delay_alu instid0(VALU_DEP_4) | instskip(SKIP_2) | instid1(VALU_DEP_4)
	v_dual_mul_f32 v0, s2, v0 :: v_dual_mul_f32 v15, s2, v15
	v_or_b32_e32 v129, 0x400000, v17
	v_bfe_u32 v130, v98, 16, 1
	v_add3_u32 v128, v128, v17, 0x7fff
	s_delay_alu instid0(VALU_DEP_4)
	v_bfe_u32 v102, v0, 16, 1
	v_or_b32_e32 v103, 0x400000, v0
	v_cmp_u_f32_e64 s0, v0, v0
	v_cvt_f32_fp8_e32 v100, v100
	v_mul_f32_e32 v99, s2, v99
	v_add3_u32 v102, v102, v0, 0x7fff
	v_or_b32_e32 v131, 0x400000, v98
	v_bfe_u32 v132, v15, 16, 1
	v_add3_u32 v130, v130, v98, 0x7fff
	v_lshrrev_b32_e32 v16, 24, v16
	s_wait_alu 0xf1ff
	v_cndmask_b32_e64 v0, v102, v103, s0
	v_cmp_u_f32_e64 s0, v17, v17
	v_cvt_f32_fp8_e32 v101, v101
	v_mul_f32_e32 v100, s2, v100
	v_or_b32_e32 v133, 0x400000, v15
	v_bfe_u32 v134, v99, 16, 1
	s_wait_alu 0xf1ff
	v_cndmask_b32_e64 v17, v128, v129, s0
	v_cmp_u_f32_e64 s0, v98, v98
	v_add3_u32 v132, v132, v15, 0x7fff
	v_cvt_f32_fp8_e32 v16, v16
	v_mul_f32_e32 v101, s2, v101
	v_or_b32_e32 v135, 0x400000, v99
	s_wait_alu 0xf1ff
	v_cndmask_b32_e64 v98, v130, v131, s0
	v_cmp_u_f32_e64 s0, v15, v15
	v_bfe_u32 v136, v100, 16, 1
	v_add3_u32 v134, v134, v99, 0x7fff
	v_mul_f32_e32 v16, s2, v16
	v_or_b32_e32 v137, 0x400000, v100
	s_wait_alu 0xf1ff
	v_cndmask_b32_e64 v15, v132, v133, s0
	v_cmp_u_f32_e64 s0, v99, v99
	v_bfe_u32 v138, v101, 16, 1
	v_add3_u32 v136, v136, v100, 0x7fff
	v_or_b32_e32 v139, 0x400000, v101
	v_bfe_u32 v140, v16, 16, 1
	s_wait_alu 0xf1ff
	v_cndmask_b32_e64 v99, v134, v135, s0
	v_cmp_u_f32_e64 s0, v100, v100
	v_add3_u32 v138, v138, v101, 0x7fff
	v_or_b32_e32 v141, 0x400000, v16
	v_add3_u32 v140, v140, v16, 0x7fff
	v_lshrrev_b32_e32 v130, 16, v0
	s_wait_alu 0xf1ff
	v_cndmask_b32_e64 v100, v136, v137, s0
	v_cmp_u_f32_e64 s0, v101, v101
	v_lshrrev_b32_e32 v131, 16, v17
	v_lshrrev_b32_e32 v128, 16, v98
	;; [unrolled: 1-line block ×4, first 2 shown]
	s_wait_alu 0xf1ff
	v_cndmask_b32_e64 v101, v138, v139, s0
	v_cmp_u_f32_e64 s0, v16, v16
	v_lshrrev_b32_e32 v16, 16, v99
	s_delay_alu instid0(VALU_DEP_3) | instskip(SKIP_1) | instid1(VALU_DEP_3)
	v_lshrrev_b32_e32 v0, 16, v101
	s_wait_alu 0xf1ff
	v_cndmask_b32_e64 v102, v140, v141, s0
	s_delay_alu instid0(VALU_DEP_1)
	v_lshrrev_b32_e32 v15, 16, v102
	s_and_saveexec_b32 s8, vcc_lo
	s_cbranch_execz .LBB347_55
; %bb.54:                               ;   in Loop: Header=BB347_33 Depth=1
	v_cmp_gt_i32_e64 s0, s27, v67
	s_wait_alu 0xf1ff
	s_delay_alu instid0(VALU_DEP_1) | instskip(SKIP_2) | instid1(VALU_DEP_1)
	v_cndmask_b32_e64 v130, 0, v130, s0
	v_cmp_gt_i32_e64 s0, s27, v80
	s_wait_alu 0xf1ff
	v_cndmask_b32_e64 v131, 0, v131, s0
	v_cmp_gt_i32_e64 s0, s27, v79
	s_wait_alu 0xf1ff
	s_delay_alu instid0(VALU_DEP_1) | instskip(SKIP_2) | instid1(VALU_DEP_1)
	v_cndmask_b32_e64 v128, 0, v128, s0
	v_cmp_gt_i32_e64 s0, s27, v78
	s_wait_alu 0xf1ff
	v_cndmask_b32_e64 v129, 0, v129, s0
	;; [unrolled: 7-line block ×4, first 2 shown]
.LBB347_55:                             ;   in Loop: Header=BB347_33 Depth=1
	s_wait_alu 0xfffe
	s_or_b32 exec_lo, exec_lo, s8
	global_load_b64 v[13:14], v[13:14], off offset:2816
	s_wait_loadcnt 0x0
	v_bfe_u32 v99, v13, 8, 8
	v_bfe_u32 v100, v13, 16, 8
	;; [unrolled: 1-line block ×4, first 2 shown]
	s_delay_alu instid0(VALU_DEP_4)
	v_cvt_f32_fp8_e32 v99, v99
	v_and_b32_e32 v98, 0xff, v13
	v_lshrrev_b32_e32 v13, 24, v13
	v_cvt_f32_fp8_e32 v100, v100
	v_and_b32_e32 v101, 0xff, v14
	v_mul_f32_e32 v99, s2, v99
	v_cvt_f32_fp8_e32 v98, v98
	v_cvt_f32_fp8_e32 v13, v13
	v_mul_f32_e32 v100, s2, v100
	v_cvt_f32_fp8_e32 v101, v101
	v_bfe_u32 v134, v99, 16, 1
	s_delay_alu instid0(VALU_DEP_4) | instskip(SKIP_2) | instid1(VALU_DEP_4)
	v_dual_mul_f32 v98, s2, v98 :: v_dual_mul_f32 v13, s2, v13
	v_or_b32_e32 v135, 0x400000, v99
	v_bfe_u32 v136, v100, 16, 1
	v_add3_u32 v134, v134, v99, 0x7fff
	s_delay_alu instid0(VALU_DEP_4)
	v_bfe_u32 v132, v98, 16, 1
	v_or_b32_e32 v133, 0x400000, v98
	v_cmp_u_f32_e64 s0, v98, v98
	v_cvt_f32_fp8_e32 v102, v102
	v_mul_f32_e32 v101, s2, v101
	v_add3_u32 v132, v132, v98, 0x7fff
	v_or_b32_e32 v137, 0x400000, v100
	v_bfe_u32 v138, v13, 16, 1
	v_add3_u32 v136, v136, v100, 0x7fff
	v_lshrrev_b32_e32 v14, 24, v14
	s_wait_alu 0xf1ff
	v_cndmask_b32_e64 v98, v132, v133, s0
	v_cmp_u_f32_e64 s0, v99, v99
	v_cvt_f32_fp8_e32 v103, v103
	v_mul_f32_e32 v102, s2, v102
	v_or_b32_e32 v139, 0x400000, v13
	v_bfe_u32 v140, v101, 16, 1
	s_wait_alu 0xf1ff
	v_cndmask_b32_e64 v99, v134, v135, s0
	v_cmp_u_f32_e64 s0, v100, v100
	v_add3_u32 v138, v138, v13, 0x7fff
	v_cvt_f32_fp8_e32 v14, v14
	v_mul_f32_e32 v103, s2, v103
	v_or_b32_e32 v141, 0x400000, v101
	s_wait_alu 0xf1ff
	v_cndmask_b32_e64 v100, v136, v137, s0
	v_cmp_u_f32_e64 s0, v13, v13
	v_bfe_u32 v142, v102, 16, 1
	v_add3_u32 v140, v140, v101, 0x7fff
	v_mul_f32_e32 v14, s2, v14
	v_or_b32_e32 v143, 0x400000, v102
	s_wait_alu 0xf1ff
	v_cndmask_b32_e64 v13, v138, v139, s0
	v_cmp_u_f32_e64 s0, v101, v101
	v_bfe_u32 v144, v103, 16, 1
	v_add3_u32 v142, v142, v102, 0x7fff
	v_or_b32_e32 v145, 0x400000, v103
	v_bfe_u32 v146, v14, 16, 1
	s_wait_alu 0xf1ff
	v_cndmask_b32_e64 v132, v140, v141, s0
	v_cmp_u_f32_e64 s0, v102, v102
	v_add3_u32 v144, v144, v103, 0x7fff
	v_or_b32_e32 v147, 0x400000, v14
	v_add3_u32 v146, v146, v14, 0x7fff
	v_lshrrev_b32_e32 v102, 16, v99
	s_wait_alu 0xf1ff
	v_cndmask_b32_e64 v133, v142, v143, s0
	v_cmp_u_f32_e64 s0, v103, v103
	v_lshrrev_b32_e32 v103, 16, v98
	v_lshrrev_b32_e32 v101, 16, v100
	;; [unrolled: 1-line block ×4, first 2 shown]
	s_wait_alu 0xf1ff
	v_cndmask_b32_e64 v134, v144, v145, s0
	v_cmp_u_f32_e64 s0, v14, v14
	v_lshrrev_b32_e32 v98, 16, v133
	s_delay_alu instid0(VALU_DEP_3) | instskip(SKIP_1) | instid1(VALU_DEP_3)
	v_lshrrev_b32_e32 v14, 16, v134
	s_wait_alu 0xf1ff
	v_cndmask_b32_e64 v135, v146, v147, s0
	s_delay_alu instid0(VALU_DEP_1)
	v_lshrrev_b32_e32 v13, 16, v135
	s_and_saveexec_b32 s0, vcc_lo
	s_cbranch_execz .LBB347_32
; %bb.56:                               ;   in Loop: Header=BB347_33 Depth=1
	v_cmp_gt_i32_e32 vcc_lo, s27, v67
	s_wait_alu 0xfffd
	v_cndmask_b32_e32 v103, 0, v103, vcc_lo
	v_cmp_gt_i32_e32 vcc_lo, s27, v80
	s_wait_alu 0xfffd
	v_cndmask_b32_e32 v102, 0, v102, vcc_lo
	;; [unrolled: 3-line block ×8, first 2 shown]
	s_branch .LBB347_32
.LBB347_57:
	s_or_b32 exec_lo, exec_lo, s6
.LBB347_58:
	s_wait_alu 0xfffe
	s_or_b32 exec_lo, exec_lo, s1
	ds_bpermute_b32 v0, v20, v31
	ds_bpermute_b32 v1, v20, v32
	;; [unrolled: 1-line block ×12, first 2 shown]
	s_mov_b32 s0, exec_lo
	s_wait_storecnt 0x0
	s_wait_loadcnt_dscnt 0x0
	s_barrier_signal -1
	s_barrier_wait -1
	global_inv scope:SCOPE_SE
	v_dual_add_f32 v12, v31, v0 :: v_dual_add_f32 v11, v32, v1
	v_lshrrev_b32_e32 v0, 1, v19
	v_dual_add_f32 v10, v30, v2 :: v_dual_add_f32 v9, v29, v3
	v_dual_add_f32 v8, v28, v4 :: v_dual_add_f32 v7, v27, v5
	;; [unrolled: 1-line block ×4, first 2 shown]
	v_and_b32_e32 v15, 0x3c1, v149
	v_dual_add_f32 v3, v22, v16 :: v_dual_add_f32 v2, v21, v17
	v_lshl_add_u32 v13, v0, 2, 0x1a0
	v_mul_u32_u24_e32 v14, 0x300, v151
	s_delay_alu instid0(VALU_DEP_4)
	v_cmpx_eq_u32_e32 64, v15
	s_cbranch_execz .LBB347_60
; %bb.59:
	s_delay_alu instid0(VALU_DEP_2) | instskip(NEXT) | instid1(VALU_DEP_1)
	v_add_nc_u32_e32 v15, v13, v14
	v_add_nc_u32_e32 v16, 0xfffffa00, v15
	;; [unrolled: 1-line block ×13, first 2 shown]
	ds_store_b32 v16, v12
	ds_store_b32 v17, v11
	ds_store_b32 v18, v10
	ds_store_b32 v19, v9
	ds_store_b32 v20, v8
	ds_store_b32 v21, v7
	ds_store_b32 v22, v6
	ds_store_b32 v23, v5
	ds_store_b32 v24, v4
	ds_store_b32 v25, v1
	ds_store_b32 v26, v3
	ds_store_b32 v15, v2
.LBB347_60:
	s_wait_alu 0xfffe
	s_or_b32 exec_lo, exec_lo, s0
	v_lshlrev_b32_e32 v0, 2, v0
	s_mov_b32 s1, exec_lo
	v_cmp_eq_u32_e32 vcc_lo, 0, v150
	s_wait_loadcnt_dscnt 0x0
	s_barrier_signal -1
	v_add3_u32 v0, 0x1a0, v14, v0
	s_barrier_wait -1
	global_inv scope:SCOPE_SE
	v_cmpx_gt_u32_e32 64, v149
	s_cbranch_execz .LBB347_75
; %bb.61:
	s_and_saveexec_b32 s0, vcc_lo
	s_cbranch_execnz .LBB347_95
; %bb.62:
	s_wait_alu 0xfffe
	s_or_b32 exec_lo, exec_lo, s0
	s_and_saveexec_b32 s0, vcc_lo
	s_cbranch_execnz .LBB347_96
.LBB347_63:
	s_wait_alu 0xfffe
	s_or_b32 exec_lo, exec_lo, s0
	s_and_saveexec_b32 s0, vcc_lo
	s_cbranch_execnz .LBB347_97
.LBB347_64:
	s_wait_alu 0xfffe
	s_or_b32 exec_lo, exec_lo, s0
	s_and_saveexec_b32 s0, vcc_lo
	s_cbranch_execnz .LBB347_98
.LBB347_65:
	s_wait_alu 0xfffe
	s_or_b32 exec_lo, exec_lo, s0
	s_and_saveexec_b32 s0, vcc_lo
	s_cbranch_execnz .LBB347_99
.LBB347_66:
	s_wait_alu 0xfffe
	s_or_b32 exec_lo, exec_lo, s0
	s_and_saveexec_b32 s0, vcc_lo
	s_cbranch_execnz .LBB347_100
.LBB347_67:
	s_wait_alu 0xfffe
	s_or_b32 exec_lo, exec_lo, s0
	s_and_saveexec_b32 s0, vcc_lo
	s_cbranch_execnz .LBB347_101
.LBB347_68:
	s_wait_alu 0xfffe
	s_or_b32 exec_lo, exec_lo, s0
	s_and_saveexec_b32 s0, vcc_lo
	s_cbranch_execnz .LBB347_102
.LBB347_69:
	s_wait_alu 0xfffe
	s_or_b32 exec_lo, exec_lo, s0
	s_and_saveexec_b32 s0, vcc_lo
	s_cbranch_execnz .LBB347_103
.LBB347_70:
	s_wait_alu 0xfffe
	s_or_b32 exec_lo, exec_lo, s0
	s_and_saveexec_b32 s0, vcc_lo
	s_cbranch_execnz .LBB347_104
.LBB347_71:
	s_wait_alu 0xfffe
	s_or_b32 exec_lo, exec_lo, s0
	s_and_saveexec_b32 s0, vcc_lo
	s_cbranch_execnz .LBB347_105
.LBB347_72:
	s_wait_alu 0xfffe
	s_or_b32 exec_lo, exec_lo, s0
	s_and_saveexec_b32 s0, vcc_lo
	s_cbranch_execz .LBB347_74
.LBB347_73:
	ds_load_b32 v14, v0 offset:704
	s_wait_dscnt 0x0
	v_add_f32_e32 v2, v2, v14
.LBB347_74:
	s_wait_alu 0xfffe
	s_or_b32 exec_lo, exec_lo, s0
.LBB347_75:
	s_wait_alu 0xfffe
	s_or_b32 exec_lo, exec_lo, s1
	v_and_b32_e32 v14, 0x3e1, v149
	s_mov_b32 s1, exec_lo
	s_wait_loadcnt 0x0
	s_barrier_signal -1
	s_barrier_wait -1
	global_inv scope:SCOPE_SE
	v_cmpx_eq_u32_e32 32, v14
	s_cbranch_execz .LBB347_77
; %bb.76:
	ds_store_2addr_b32 v13, v12, v11 offset1:16
	ds_store_2addr_b32 v13, v10, v9 offset0:32 offset1:48
	ds_store_2addr_b32 v13, v8, v7 offset0:64 offset1:80
	;; [unrolled: 1-line block ×5, first 2 shown]
.LBB347_77:
	s_wait_alu 0xfffe
	s_or_b32 exec_lo, exec_lo, s1
	s_delay_alu instid0(SALU_CYCLE_1)
	s_mov_b32 s1, exec_lo
	s_wait_loadcnt_dscnt 0x0
	s_barrier_signal -1
	s_barrier_wait -1
	global_inv scope:SCOPE_SE
	v_cmpx_gt_u32_e32 32, v149
	s_cbranch_execz .LBB347_92
; %bb.78:
	s_and_saveexec_b32 s0, vcc_lo
	s_cbranch_execnz .LBB347_106
; %bb.79:
	s_wait_alu 0xfffe
	s_or_b32 exec_lo, exec_lo, s0
	s_and_saveexec_b32 s0, vcc_lo
	s_cbranch_execnz .LBB347_107
.LBB347_80:
	s_wait_alu 0xfffe
	s_or_b32 exec_lo, exec_lo, s0
	s_and_saveexec_b32 s0, vcc_lo
	s_cbranch_execnz .LBB347_108
.LBB347_81:
	s_wait_alu 0xfffe
	s_or_b32 exec_lo, exec_lo, s0
	s_and_saveexec_b32 s0, vcc_lo
	s_cbranch_execnz .LBB347_109
.LBB347_82:
	s_wait_alu 0xfffe
	s_or_b32 exec_lo, exec_lo, s0
	s_and_saveexec_b32 s0, vcc_lo
	s_cbranch_execnz .LBB347_110
.LBB347_83:
	s_wait_alu 0xfffe
	s_or_b32 exec_lo, exec_lo, s0
	s_and_saveexec_b32 s0, vcc_lo
	s_cbranch_execnz .LBB347_111
.LBB347_84:
	s_wait_alu 0xfffe
	s_or_b32 exec_lo, exec_lo, s0
	s_and_saveexec_b32 s0, vcc_lo
	s_cbranch_execnz .LBB347_112
.LBB347_85:
	s_wait_alu 0xfffe
	s_or_b32 exec_lo, exec_lo, s0
	s_and_saveexec_b32 s0, vcc_lo
	s_cbranch_execnz .LBB347_113
.LBB347_86:
	s_wait_alu 0xfffe
	s_or_b32 exec_lo, exec_lo, s0
	s_and_saveexec_b32 s0, vcc_lo
	s_cbranch_execnz .LBB347_114
.LBB347_87:
	s_wait_alu 0xfffe
	s_or_b32 exec_lo, exec_lo, s0
	s_and_saveexec_b32 s0, vcc_lo
	s_cbranch_execnz .LBB347_115
.LBB347_88:
	s_wait_alu 0xfffe
	s_or_b32 exec_lo, exec_lo, s0
	s_and_saveexec_b32 s0, vcc_lo
	s_cbranch_execnz .LBB347_116
.LBB347_89:
	s_wait_alu 0xfffe
	s_or_b32 exec_lo, exec_lo, s0
	s_and_saveexec_b32 s0, vcc_lo
	s_cbranch_execz .LBB347_91
.LBB347_90:
	ds_load_b32 v0, v0 offset:704
	s_wait_dscnt 0x0
	v_add_f32_e32 v2, v2, v0
.LBB347_91:
	s_wait_alu 0xfffe
	s_or_b32 exec_lo, exec_lo, s0
.LBB347_92:
	s_wait_alu 0xfffe
	s_or_b32 exec_lo, exec_lo, s1
	s_mov_b32 s1, 0
	s_wait_loadcnt 0x0
	s_barrier_signal -1
	s_barrier_wait -1
	global_inv scope:SCOPE_SE
	s_mov_b32 s0, exec_lo
	v_cmpx_eq_u32_e32 0, v14
	s_cbranch_execz .LBB347_94
; %bb.93:
	v_bfe_u32 v0, v12, 16, 1
	v_bfe_u32 v13, v11, 16, 1
	v_or_b32_e32 v15, 0x400000, v12
	v_cmp_u_f32_e32 vcc_lo, v12, v12
	v_or_b32_e32 v16, 0x400000, v11
	v_add3_u32 v0, v0, v12, 0x7fff
	v_add3_u32 v13, v13, v11, 0x7fff
	v_bfe_u32 v17, v10, 16, 1
	v_bfe_u32 v12, v9, 16, 1
	s_mul_i32 s2, s14, 0xc0
	s_wait_alu 0xfffd
	v_cndmask_b32_e32 v0, v0, v15, vcc_lo
	v_cmp_u_f32_e32 vcc_lo, v11, v11
	v_or_b32_e32 v15, 0x400000, v10
	v_add3_u32 v12, v12, v9, 0x7fff
	s_mul_i32 s6, s12, s16
	s_wait_alu 0xfffe
	s_ashr_i32 s3, s2, 31
	s_wait_alu 0xfffd
	v_cndmask_b32_e32 v11, v13, v16, vcc_lo
	v_add3_u32 v13, v17, v10, 0x7fff
	v_cmp_u_f32_e32 vcc_lo, v10, v10
	v_or_b32_e32 v16, 0x400000, v9
	v_bfe_u32 v17, v8, 16, 1
	v_or_b32_e32 v18, 0x400000, v2
	s_ashr_i32 s7, s6, 31
	s_wait_alu 0xfffd
	v_cndmask_b32_e32 v10, v13, v15, vcc_lo
	v_cmp_u_f32_e32 vcc_lo, v9, v9
	v_bfe_u32 v13, v7, 16, 1
	v_or_b32_e32 v15, 0x400000, v8
	s_wait_alu 0xfffe
	s_lshl_b64 s[2:3], s[2:3], 1
	s_lshl_b64 s[6:7], s[6:7], 1
	s_wait_alu 0xfffd
	v_cndmask_b32_e32 v9, v12, v16, vcc_lo
	v_add3_u32 v12, v17, v8, 0x7fff
	v_cmp_u_f32_e32 vcc_lo, v8, v8
	v_add3_u32 v13, v13, v7, 0x7fff
	v_or_b32_e32 v16, 0x400000, v7
	v_bfe_u32 v17, v6, 16, 1
	s_wait_kmcnt 0x0
	s_wait_alu 0xfffe
	s_add_nc_u64 s[2:3], s[4:5], s[2:3]
	s_wait_alu 0xfffd
	v_cndmask_b32_e32 v8, v12, v15, vcc_lo
	v_cmp_u_f32_e32 vcc_lo, v7, v7
	v_bfe_u32 v12, v5, 16, 1
	v_or_b32_e32 v15, 0x400000, v6
	s_wait_alu 0xfffe
	s_add_nc_u64 s[2:3], s[2:3], s[6:7]
	s_mul_i32 s0, s26, 0x180
	s_wait_alu 0xfffd
	v_cndmask_b32_e32 v7, v13, v16, vcc_lo
	v_add3_u32 v13, v17, v6, 0x7fff
	v_cmp_u_f32_e32 vcc_lo, v6, v6
	v_bfe_u32 v16, v4, 16, 1
	v_add3_u32 v12, v12, v5, 0x7fff
	v_or_b32_e32 v17, 0x400000, v5
	s_wait_alu 0xfffe
	s_add_nc_u64 s[0:1], s[2:3], s[0:1]
	s_wait_alu 0xfffd
	v_cndmask_b32_e32 v6, v13, v15, vcc_lo
	v_cmp_u_f32_e32 vcc_lo, v5, v5
	v_lshlrev_b32_e32 v14, 1, v148
	v_add3_u32 v13, v16, v4, 0x7fff
	v_or_b32_e32 v15, 0x400000, v4
	v_bfe_u32 v16, v3, 16, 1
	s_wait_alu 0xfffd
	v_cndmask_b32_e32 v5, v12, v17, vcc_lo
	v_bfe_u32 v12, v1, 16, 1
	v_cmp_u_f32_e32 vcc_lo, v4, v4
	v_or_b32_e32 v17, 0x400000, v3
	v_add3_u32 v16, v16, v3, 0x7fff
	s_delay_alu instid0(VALU_DEP_4)
	v_add3_u32 v12, v12, v1, 0x7fff
	s_wait_alu 0xfffd
	v_cndmask_b32_e32 v4, v13, v15, vcc_lo
	v_bfe_u32 v13, v2, 16, 1
	v_or_b32_e32 v15, 0x400000, v1
	v_cmp_u_f32_e32 vcc_lo, v1, v1
	s_delay_alu instid0(VALU_DEP_3) | instskip(SKIP_1) | instid1(VALU_DEP_3)
	v_add3_u32 v13, v13, v2, 0x7fff
	s_wait_alu 0xfffd
	v_cndmask_b32_e32 v1, v12, v15, vcc_lo
	v_cmp_u_f32_e32 vcc_lo, v3, v3
	s_wait_alu 0xfffd
	v_cndmask_b32_e32 v3, v16, v17, vcc_lo
	v_cmp_u_f32_e32 vcc_lo, v2, v2
	s_wait_alu 0xfffd
	v_cndmask_b32_e32 v2, v13, v18, vcc_lo
	s_clause 0xb
	global_store_d16_hi_b16 v14, v0, s[0:1]
	global_store_d16_hi_b16 v14, v11, s[0:1] offset:32
	global_store_d16_hi_b16 v14, v10, s[0:1] offset:64
	;; [unrolled: 1-line block ×11, first 2 shown]
.LBB347_94:
	s_nop 0
	s_sendmsg sendmsg(MSG_DEALLOC_VGPRS)
	s_endpgm
.LBB347_95:
	ds_load_b32 v14, v0
	s_wait_dscnt 0x0
	v_add_f32_e32 v12, v12, v14
	s_wait_alu 0xfffe
	s_or_b32 exec_lo, exec_lo, s0
	s_and_saveexec_b32 s0, vcc_lo
	s_cbranch_execz .LBB347_63
.LBB347_96:
	ds_load_b32 v14, v0 offset:64
	s_wait_dscnt 0x0
	v_add_f32_e32 v11, v11, v14
	s_wait_alu 0xfffe
	s_or_b32 exec_lo, exec_lo, s0
	s_and_saveexec_b32 s0, vcc_lo
	s_cbranch_execz .LBB347_64
.LBB347_97:
	ds_load_b32 v14, v0 offset:128
	s_wait_dscnt 0x0
	v_add_f32_e32 v10, v10, v14
	s_wait_alu 0xfffe
	s_or_b32 exec_lo, exec_lo, s0
	s_and_saveexec_b32 s0, vcc_lo
	s_cbranch_execz .LBB347_65
.LBB347_98:
	ds_load_b32 v14, v0 offset:192
	s_wait_dscnt 0x0
	v_add_f32_e32 v9, v9, v14
	s_wait_alu 0xfffe
	s_or_b32 exec_lo, exec_lo, s0
	s_and_saveexec_b32 s0, vcc_lo
	s_cbranch_execz .LBB347_66
.LBB347_99:
	ds_load_b32 v14, v0 offset:256
	s_wait_dscnt 0x0
	v_add_f32_e32 v8, v8, v14
	s_wait_alu 0xfffe
	s_or_b32 exec_lo, exec_lo, s0
	s_and_saveexec_b32 s0, vcc_lo
	s_cbranch_execz .LBB347_67
.LBB347_100:
	ds_load_b32 v14, v0 offset:320
	s_wait_dscnt 0x0
	v_add_f32_e32 v7, v7, v14
	s_wait_alu 0xfffe
	s_or_b32 exec_lo, exec_lo, s0
	s_and_saveexec_b32 s0, vcc_lo
	s_cbranch_execz .LBB347_68
.LBB347_101:
	ds_load_b32 v14, v0 offset:384
	s_wait_dscnt 0x0
	v_add_f32_e32 v6, v6, v14
	s_wait_alu 0xfffe
	s_or_b32 exec_lo, exec_lo, s0
	s_and_saveexec_b32 s0, vcc_lo
	s_cbranch_execz .LBB347_69
.LBB347_102:
	ds_load_b32 v14, v0 offset:448
	s_wait_dscnt 0x0
	v_add_f32_e32 v5, v5, v14
	s_wait_alu 0xfffe
	s_or_b32 exec_lo, exec_lo, s0
	s_and_saveexec_b32 s0, vcc_lo
	s_cbranch_execz .LBB347_70
.LBB347_103:
	ds_load_b32 v14, v0 offset:512
	s_wait_dscnt 0x0
	v_add_f32_e32 v4, v4, v14
	s_wait_alu 0xfffe
	s_or_b32 exec_lo, exec_lo, s0
	s_and_saveexec_b32 s0, vcc_lo
	s_cbranch_execz .LBB347_71
.LBB347_104:
	ds_load_b32 v14, v0 offset:576
	s_wait_dscnt 0x0
	v_add_f32_e32 v1, v1, v14
	s_wait_alu 0xfffe
	s_or_b32 exec_lo, exec_lo, s0
	s_and_saveexec_b32 s0, vcc_lo
	s_cbranch_execz .LBB347_72
.LBB347_105:
	ds_load_b32 v14, v0 offset:640
	s_wait_dscnt 0x0
	v_add_f32_e32 v3, v3, v14
	s_wait_alu 0xfffe
	s_or_b32 exec_lo, exec_lo, s0
	s_and_saveexec_b32 s0, vcc_lo
	s_cbranch_execnz .LBB347_73
	s_branch .LBB347_74
.LBB347_106:
	ds_load_b32 v13, v0
	s_wait_dscnt 0x0
	v_add_f32_e32 v12, v12, v13
	s_wait_alu 0xfffe
	s_or_b32 exec_lo, exec_lo, s0
	s_and_saveexec_b32 s0, vcc_lo
	s_cbranch_execz .LBB347_80
.LBB347_107:
	ds_load_b32 v13, v0 offset:64
	s_wait_dscnt 0x0
	v_add_f32_e32 v11, v11, v13
	s_wait_alu 0xfffe
	s_or_b32 exec_lo, exec_lo, s0
	s_and_saveexec_b32 s0, vcc_lo
	s_cbranch_execz .LBB347_81
.LBB347_108:
	ds_load_b32 v13, v0 offset:128
	s_wait_dscnt 0x0
	v_add_f32_e32 v10, v10, v13
	s_wait_alu 0xfffe
	s_or_b32 exec_lo, exec_lo, s0
	s_and_saveexec_b32 s0, vcc_lo
	s_cbranch_execz .LBB347_82
.LBB347_109:
	ds_load_b32 v13, v0 offset:192
	s_wait_dscnt 0x0
	v_add_f32_e32 v9, v9, v13
	s_wait_alu 0xfffe
	s_or_b32 exec_lo, exec_lo, s0
	s_and_saveexec_b32 s0, vcc_lo
	s_cbranch_execz .LBB347_83
.LBB347_110:
	ds_load_b32 v13, v0 offset:256
	s_wait_dscnt 0x0
	v_add_f32_e32 v8, v8, v13
	s_wait_alu 0xfffe
	s_or_b32 exec_lo, exec_lo, s0
	s_and_saveexec_b32 s0, vcc_lo
	s_cbranch_execz .LBB347_84
.LBB347_111:
	ds_load_b32 v13, v0 offset:320
	s_wait_dscnt 0x0
	v_add_f32_e32 v7, v7, v13
	s_wait_alu 0xfffe
	s_or_b32 exec_lo, exec_lo, s0
	s_and_saveexec_b32 s0, vcc_lo
	s_cbranch_execz .LBB347_85
.LBB347_112:
	ds_load_b32 v13, v0 offset:384
	s_wait_dscnt 0x0
	v_add_f32_e32 v6, v6, v13
	s_wait_alu 0xfffe
	s_or_b32 exec_lo, exec_lo, s0
	s_and_saveexec_b32 s0, vcc_lo
	s_cbranch_execz .LBB347_86
.LBB347_113:
	ds_load_b32 v13, v0 offset:448
	s_wait_dscnt 0x0
	v_add_f32_e32 v5, v5, v13
	s_wait_alu 0xfffe
	s_or_b32 exec_lo, exec_lo, s0
	s_and_saveexec_b32 s0, vcc_lo
	s_cbranch_execz .LBB347_87
.LBB347_114:
	ds_load_b32 v13, v0 offset:512
	s_wait_dscnt 0x0
	v_add_f32_e32 v4, v4, v13
	s_wait_alu 0xfffe
	s_or_b32 exec_lo, exec_lo, s0
	s_and_saveexec_b32 s0, vcc_lo
	s_cbranch_execz .LBB347_88
.LBB347_115:
	ds_load_b32 v13, v0 offset:576
	s_wait_dscnt 0x0
	v_add_f32_e32 v1, v1, v13
	s_wait_alu 0xfffe
	s_or_b32 exec_lo, exec_lo, s0
	s_and_saveexec_b32 s0, vcc_lo
	s_cbranch_execz .LBB347_89
.LBB347_116:
	ds_load_b32 v13, v0 offset:640
	s_wait_dscnt 0x0
	v_add_f32_e32 v3, v3, v13
	s_wait_alu 0xfffe
	s_or_b32 exec_lo, exec_lo, s0
	s_and_saveexec_b32 s0, vcc_lo
	s_cbranch_execnz .LBB347_90
	s_branch .LBB347_91
	.section	.rodata,"a",@progbits
	.p2align	6, 0x0
	.amdhsa_kernel _ZN4vllm25paged_attention_v2_kernelI14__hip_bfloat16hLi192ELi16ELi128ELNS_18Fp8KVCacheDataTypeE1ELb0ELi512EEEvPfS3_PT_PKS4_PKT0_SA_ifPKiSC_iPKfiiiSE_SE_iiiii
		.amdhsa_group_segment_fixed_size 416
		.amdhsa_private_segment_fixed_size 72
		.amdhsa_kernarg_size 400
		.amdhsa_user_sgpr_count 2
		.amdhsa_user_sgpr_dispatch_ptr 0
		.amdhsa_user_sgpr_queue_ptr 0
		.amdhsa_user_sgpr_kernarg_segment_ptr 1
		.amdhsa_user_sgpr_dispatch_id 0
		.amdhsa_user_sgpr_private_segment_size 0
		.amdhsa_wavefront_size32 1
		.amdhsa_uses_dynamic_stack 0
		.amdhsa_enable_private_segment 1
		.amdhsa_system_sgpr_workgroup_id_x 1
		.amdhsa_system_sgpr_workgroup_id_y 1
		.amdhsa_system_sgpr_workgroup_id_z 1
		.amdhsa_system_sgpr_workgroup_info 0
		.amdhsa_system_vgpr_workitem_id 0
		.amdhsa_next_free_vgpr 192
		.amdhsa_next_free_sgpr 38
		.amdhsa_reserve_vcc 1
		.amdhsa_float_round_mode_32 0
		.amdhsa_float_round_mode_16_64 0
		.amdhsa_float_denorm_mode_32 3
		.amdhsa_float_denorm_mode_16_64 3
		.amdhsa_fp16_overflow 0
		.amdhsa_workgroup_processor_mode 1
		.amdhsa_memory_ordered 1
		.amdhsa_forward_progress 1
		.amdhsa_inst_pref_size 242
		.amdhsa_round_robin_scheduling 0
		.amdhsa_exception_fp_ieee_invalid_op 0
		.amdhsa_exception_fp_denorm_src 0
		.amdhsa_exception_fp_ieee_div_zero 0
		.amdhsa_exception_fp_ieee_overflow 0
		.amdhsa_exception_fp_ieee_underflow 0
		.amdhsa_exception_fp_ieee_inexact 0
		.amdhsa_exception_int_div_zero 0
	.end_amdhsa_kernel
	.section	.text._ZN4vllm25paged_attention_v2_kernelI14__hip_bfloat16hLi192ELi16ELi128ELNS_18Fp8KVCacheDataTypeE1ELb0ELi512EEEvPfS3_PT_PKS4_PKT0_SA_ifPKiSC_iPKfiiiSE_SE_iiiii,"axG",@progbits,_ZN4vllm25paged_attention_v2_kernelI14__hip_bfloat16hLi192ELi16ELi128ELNS_18Fp8KVCacheDataTypeE1ELb0ELi512EEEvPfS3_PT_PKS4_PKT0_SA_ifPKiSC_iPKfiiiSE_SE_iiiii,comdat
.Lfunc_end347:
	.size	_ZN4vllm25paged_attention_v2_kernelI14__hip_bfloat16hLi192ELi16ELi128ELNS_18Fp8KVCacheDataTypeE1ELb0ELi512EEEvPfS3_PT_PKS4_PKT0_SA_ifPKiSC_iPKfiiiSE_SE_iiiii, .Lfunc_end347-_ZN4vllm25paged_attention_v2_kernelI14__hip_bfloat16hLi192ELi16ELi128ELNS_18Fp8KVCacheDataTypeE1ELb0ELi512EEEvPfS3_PT_PKS4_PKT0_SA_ifPKiSC_iPKfiiiSE_SE_iiiii
                                        ; -- End function
	.set _ZN4vllm25paged_attention_v2_kernelI14__hip_bfloat16hLi192ELi16ELi128ELNS_18Fp8KVCacheDataTypeE1ELb0ELi512EEEvPfS3_PT_PKS4_PKT0_SA_ifPKiSC_iPKfiiiSE_SE_iiiii.num_vgpr, 192
	.set _ZN4vllm25paged_attention_v2_kernelI14__hip_bfloat16hLi192ELi16ELi128ELNS_18Fp8KVCacheDataTypeE1ELb0ELi512EEEvPfS3_PT_PKS4_PKT0_SA_ifPKiSC_iPKfiiiSE_SE_iiiii.num_agpr, 0
	.set _ZN4vllm25paged_attention_v2_kernelI14__hip_bfloat16hLi192ELi16ELi128ELNS_18Fp8KVCacheDataTypeE1ELb0ELi512EEEvPfS3_PT_PKS4_PKT0_SA_ifPKiSC_iPKfiiiSE_SE_iiiii.numbered_sgpr, 38
	.set _ZN4vllm25paged_attention_v2_kernelI14__hip_bfloat16hLi192ELi16ELi128ELNS_18Fp8KVCacheDataTypeE1ELb0ELi512EEEvPfS3_PT_PKS4_PKT0_SA_ifPKiSC_iPKfiiiSE_SE_iiiii.num_named_barrier, 0
	.set _ZN4vllm25paged_attention_v2_kernelI14__hip_bfloat16hLi192ELi16ELi128ELNS_18Fp8KVCacheDataTypeE1ELb0ELi512EEEvPfS3_PT_PKS4_PKT0_SA_ifPKiSC_iPKfiiiSE_SE_iiiii.private_seg_size, 72
	.set _ZN4vllm25paged_attention_v2_kernelI14__hip_bfloat16hLi192ELi16ELi128ELNS_18Fp8KVCacheDataTypeE1ELb0ELi512EEEvPfS3_PT_PKS4_PKT0_SA_ifPKiSC_iPKfiiiSE_SE_iiiii.uses_vcc, 1
	.set _ZN4vllm25paged_attention_v2_kernelI14__hip_bfloat16hLi192ELi16ELi128ELNS_18Fp8KVCacheDataTypeE1ELb0ELi512EEEvPfS3_PT_PKS4_PKT0_SA_ifPKiSC_iPKfiiiSE_SE_iiiii.uses_flat_scratch, 1
	.set _ZN4vllm25paged_attention_v2_kernelI14__hip_bfloat16hLi192ELi16ELi128ELNS_18Fp8KVCacheDataTypeE1ELb0ELi512EEEvPfS3_PT_PKS4_PKT0_SA_ifPKiSC_iPKfiiiSE_SE_iiiii.has_dyn_sized_stack, 0
	.set _ZN4vllm25paged_attention_v2_kernelI14__hip_bfloat16hLi192ELi16ELi128ELNS_18Fp8KVCacheDataTypeE1ELb0ELi512EEEvPfS3_PT_PKS4_PKT0_SA_ifPKiSC_iPKfiiiSE_SE_iiiii.has_recursion, 0
	.set _ZN4vllm25paged_attention_v2_kernelI14__hip_bfloat16hLi192ELi16ELi128ELNS_18Fp8KVCacheDataTypeE1ELb0ELi512EEEvPfS3_PT_PKS4_PKT0_SA_ifPKiSC_iPKfiiiSE_SE_iiiii.has_indirect_call, 0
	.section	.AMDGPU.csdata,"",@progbits
; Kernel info:
; codeLenInByte = 30900
; TotalNumSgprs: 40
; NumVgprs: 192
; ScratchSize: 72
; MemoryBound: 0
; FloatMode: 240
; IeeeMode: 1
; LDSByteSize: 416 bytes/workgroup (compile time only)
; SGPRBlocks: 0
; VGPRBlocks: 23
; NumSGPRsForWavesPerEU: 40
; NumVGPRsForWavesPerEU: 192
; Occupancy: 8
; WaveLimiterHint : 1
; COMPUTE_PGM_RSRC2:SCRATCH_EN: 1
; COMPUTE_PGM_RSRC2:USER_SGPR: 2
; COMPUTE_PGM_RSRC2:TRAP_HANDLER: 0
; COMPUTE_PGM_RSRC2:TGID_X_EN: 1
; COMPUTE_PGM_RSRC2:TGID_Y_EN: 1
; COMPUTE_PGM_RSRC2:TGID_Z_EN: 1
; COMPUTE_PGM_RSRC2:TIDIG_COMP_CNT: 0
	.section	.text._ZN4vllm25paged_attention_v2_kernelI14__hip_bfloat16hLi256ELi16ELi128ELNS_18Fp8KVCacheDataTypeE1ELb0ELi512EEEvPfS3_PT_PKS4_PKT0_SA_ifPKiSC_iPKfiiiSE_SE_iiiii,"axG",@progbits,_ZN4vllm25paged_attention_v2_kernelI14__hip_bfloat16hLi256ELi16ELi128ELNS_18Fp8KVCacheDataTypeE1ELb0ELi512EEEvPfS3_PT_PKS4_PKT0_SA_ifPKiSC_iPKfiiiSE_SE_iiiii,comdat
	.protected	_ZN4vllm25paged_attention_v2_kernelI14__hip_bfloat16hLi256ELi16ELi128ELNS_18Fp8KVCacheDataTypeE1ELb0ELi512EEEvPfS3_PT_PKS4_PKT0_SA_ifPKiSC_iPKfiiiSE_SE_iiiii ; -- Begin function _ZN4vllm25paged_attention_v2_kernelI14__hip_bfloat16hLi256ELi16ELi128ELNS_18Fp8KVCacheDataTypeE1ELb0ELi512EEEvPfS3_PT_PKS4_PKT0_SA_ifPKiSC_iPKfiiiSE_SE_iiiii
	.globl	_ZN4vllm25paged_attention_v2_kernelI14__hip_bfloat16hLi256ELi16ELi128ELNS_18Fp8KVCacheDataTypeE1ELb0ELi512EEEvPfS3_PT_PKS4_PKT0_SA_ifPKiSC_iPKfiiiSE_SE_iiiii
	.p2align	8
	.type	_ZN4vllm25paged_attention_v2_kernelI14__hip_bfloat16hLi256ELi16ELi128ELNS_18Fp8KVCacheDataTypeE1ELb0ELi512EEEvPfS3_PT_PKS4_PKT0_SA_ifPKiSC_iPKfiiiSE_SE_iiiii,@function
_ZN4vllm25paged_attention_v2_kernelI14__hip_bfloat16hLi256ELi16ELi128ELNS_18Fp8KVCacheDataTypeE1ELb0ELi512EEEvPfS3_PT_PKS4_PKT0_SA_ifPKiSC_iPKfiiiSE_SE_iiiii: ; @_ZN4vllm25paged_attention_v2_kernelI14__hip_bfloat16hLi256ELi16ELi128ELNS_18Fp8KVCacheDataTypeE1ELb0ELi512EEEvPfS3_PT_PKS4_PKT0_SA_ifPKiSC_iPKfiiiSE_SE_iiiii
; %bb.0:
	s_load_b64 s[2:3], s[0:1], 0x40
	s_and_b32 s29, ttmp7, 0xffff
	s_lshr_b32 s28, ttmp7, 16
	s_lshl_b32 s4, s29, 2
	s_lshl_b32 s20, s28, 9
	s_wait_kmcnt 0x0
	s_load_b32 s21, s[2:3], s4 offset:0x0
	s_wait_kmcnt 0x0
	s_cmp_ge_i32 s20, s21
	s_cbranch_scc1 .LBB348_110
; %bb.1:
	s_clause 0x1
	s_load_b32 s30, s[0:1], 0x90
	s_load_b64 s[6:7], s[0:1], 0x30
	v_mov_b32_e32 v185, v0
	s_wait_kmcnt 0x0
	s_abs_i32 s5, s30
	s_abs_i32 s2, s6
	s_delay_alu instid0(SALU_CYCLE_1) | instskip(SKIP_1) | instid1(SALU_CYCLE_2)
	s_cvt_f32_u32 s3, s2
	s_sub_co_i32 s4, 0, s2
	v_rcp_iflag_f32_e32 v0, s3
	s_delay_alu instid0(TRANS32_DEP_1) | instskip(SKIP_2) | instid1(SALU_CYCLE_2)
	v_readfirstlane_b32 s3, v0
	s_mul_f32 s3, s3, 0x4f7ffffe
	s_wait_alu 0xfffe
	s_cvt_u32_f32 s3, s3
	s_wait_alu 0xfffe
	s_delay_alu instid0(SALU_CYCLE_2) | instskip(NEXT) | instid1(SALU_CYCLE_1)
	s_mul_i32 s4, s4, s3
	s_mul_hi_u32 s4, s3, s4
	s_delay_alu instid0(SALU_CYCLE_1)
	s_add_co_i32 s3, s3, s4
	s_xor_b32 s4, s30, s6
	s_wait_alu 0xfffe
	s_mul_hi_u32 s3, s5, s3
	s_ashr_i32 s4, s4, 31
	s_wait_alu 0xfffe
	s_mul_i32 s6, s3, s2
	s_delay_alu instid0(SALU_CYCLE_1)
	s_sub_co_i32 s5, s5, s6
	s_add_co_i32 s6, s3, 1
	s_sub_co_i32 s8, s5, s2
	s_cmp_ge_u32 s5, s2
	s_cselect_b32 s3, s6, s3
	s_cselect_b32 s5, s8, s5
	s_wait_alu 0xfffe
	s_add_co_i32 s6, s3, 1
	s_cmp_ge_u32 s5, s2
	s_load_b64 s[8:9], s[0:1], 0x50
	s_cselect_b32 s2, s6, s3
	s_mov_b32 s5, 0
	s_wait_alu 0xfffe
	s_xor_b32 s2, s2, s4
	s_mov_b32 s12, s5
	s_wait_alu 0xfffe
	s_sub_co_i32 s10, s2, s4
	s_abs_i32 s4, ttmp9
	s_abs_i32 s6, s10
	s_delay_alu instid0(SALU_CYCLE_1) | instskip(SKIP_2) | instid1(SALU_CYCLE_1)
	s_cvt_f32_u32 s2, s6
	s_sub_co_i32 s3, 0, s6
	s_wait_alu 0xfffe
	v_rcp_iflag_f32_e32 v0, s2
	s_delay_alu instid0(TRANS32_DEP_1) | instskip(SKIP_2) | instid1(SALU_CYCLE_2)
	v_readfirstlane_b32 s2, v0
	s_mul_f32 s2, s2, 0x4f7ffffe
	s_wait_alu 0xfffe
	s_cvt_u32_f32 s2, s2
	s_wait_alu 0xfffe
	s_delay_alu instid0(SALU_CYCLE_2)
	s_mul_i32 s3, s3, s2
	s_wait_alu 0xfffe
	s_mul_hi_u32 s3, s2, s3
	s_wait_alu 0xfffe
	s_add_co_i32 s2, s2, s3
	s_mov_b32 s3, s5
	s_wait_kmcnt 0x0
	s_cmp_eq_u64 s[8:9], 0
	s_cbranch_scc1 .LBB348_3
; %bb.2:
	s_mov_b32 s12, ttmp9
	s_ashr_i32 s13, ttmp9, 31
	s_delay_alu instid0(SALU_CYCLE_1) | instskip(NEXT) | instid1(SALU_CYCLE_1)
	s_lshl_b64 s[12:13], s[12:13], 2
	s_add_nc_u64 s[8:9], s[8:9], s[12:13]
	s_load_b32 s12, s[8:9], 0x0
.LBB348_3:
	s_load_b96 s[16:18], s[0:1], 0x58
	s_mul_u64 s[2:3], s[4:5], s[2:3]
	v_lshrrev_b32_e32 v184, 1, v185
	v_and_b32_e32 v186, 1, v185
	v_cmp_gt_u32_e64 s2, 64, v185
	v_lshlrev_b32_e32 v12, 3, v185
	s_ashr_i32 s5, ttmp9, 31
	s_ashr_i32 s8, s10, 31
	s_lshl_b32 s22, ttmp9, 8
	s_wait_alu 0xfffe
	s_and_saveexec_b32 s9, s2
	s_cbranch_execz .LBB348_5
; %bb.4:
	s_load_b64 s[10:11], s[0:1], 0x18
	s_wait_kmcnt 0x0
	s_mul_i32 s14, s16, s29
	s_ashr_i32 s23, s22, 31
	s_ashr_i32 s15, s14, 31
	v_lshlrev_b32_e32 v2, 3, v184
	s_lshl_b64 s[14:15], s[14:15], 1
	s_delay_alu instid0(VALU_DEP_1) | instskip(SKIP_2) | instid1(SALU_CYCLE_1)
	v_lshl_add_u32 v2, v186, 8, v2
	s_add_nc_u64 s[10:11], s[10:11], s[14:15]
	s_lshl_b64 s[14:15], s[22:23], 1
	s_add_nc_u64 s[10:11], s[10:11], s[14:15]
	global_load_b64 v[0:1], v12, s[10:11]
	s_wait_loadcnt 0x0
	ds_store_b64 v2, v[0:1]
.LBB348_5:
	s_or_b32 exec_lo, exec_lo, s9
	s_add_co_i32 s9, s21, 15
	s_xor_b32 s5, s5, s8
	s_ashr_i32 s10, s9, 31
	s_lshl_b32 s33, s28, 5
	s_lshr_b32 s8, s10, 28
	s_mul_i32 s10, s3, s6
	s_add_co_i32 s9, s9, s8
	s_add_co_i32 s8, s33, 32
	s_ashr_i32 s31, s9, 4
	s_load_b32 s9, s[0:1], 0x48
	s_sub_co_i32 s4, s4, s10
	s_min_i32 s23, s8, s31
	s_add_co_i32 s8, s3, 1
	s_sub_co_i32 s10, s4, s6
	s_cmp_ge_u32 s4, s6
	v_lshrrev_b32_e32 v187, 5, v185
	s_cselect_b32 s3, s8, s3
	s_cselect_b32 s4, s10, s4
	s_wait_alu 0xfffe
	s_add_co_i32 s8, s3, 1
	s_cmp_ge_u32 s4, s6
	v_or_b32_e32 v18, s33, v187
	s_cselect_b32 s3, s8, s3
	v_mbcnt_lo_u32_b32 v23, -1, 0
	s_wait_alu 0xfffe
	s_xor_b32 s3, s3, s5
	s_wait_dscnt 0x0
	s_wait_alu 0xfffe
	s_sub_co_i32 s4, s3, s5
	v_cmp_gt_i32_e64 s3, s23, v18
	s_mov_b32 s5, exec_lo
	s_barrier_signal -1
	s_wait_kmcnt 0x0
	s_mul_i32 s24, s9, s29
	s_barrier_wait -1
	s_ashr_i32 s25, s24, 31
	global_inv scope:SCOPE_SE
                                        ; implicit-def: $vgpr9
                                        ; implicit-def: $vgpr10
	v_cmpx_le_i32_e64 s23, v18
	s_xor_b32 s5, exec_lo, s5
; %bb.6:
	v_dual_mov_b32 v9, 0 :: v_dual_mov_b32 v10, 32
	v_mbcnt_lo_u32_b32 v23, -1, 0
; %bb.7:
	s_or_saveexec_b32 s13, s5
	s_clause 0x2
	s_load_b32 s16, s[0:1], 0x98
	s_load_b64 s[26:27], s[0:1], 0x38
	s_load_b128 s[8:11], s[0:1], 0x68
	v_dual_mov_b32 v144, 0xff7fffff :: v_dual_lshlrev_b32 v17, 2, v18
	s_mul_i32 s18, s4, s18
	s_xor_b32 exec_lo, exec_lo, s13
	s_cbranch_execz .LBB348_13
; %bb.8:
	v_lshlrev_b32_e32 v16, 8, v186
	scratch_store_b32 off, v12, off offset:316 ; 4-byte Folded Spill
	s_load_b64 s[4:5], s[0:1], 0x20
	s_ashr_i32 s19, s18, 31
	s_cmp_neq_f32 s12, 0
	ds_load_b128 v[0:3], v16
	ds_load_b128 v[4:7], v16 offset:16
	ds_load_b128 v[8:11], v16 offset:32
	;; [unrolled: 1-line block ×4, first 2 shown]
	s_wait_kmcnt 0x0
	s_load_b32 s8, s[8:9], 0x0
	s_mov_b32 s9, 0
	s_clause 0x3
	scratch_store_b32 off, v185, off offset:304
	scratch_store_b32 off, v186, off offset:308
	;; [unrolled: 1-line block ×4, first 2 shown]
	v_mov_b32_e32 v144, 0xff7fffff
	v_mov_b32_e32 v148, v18
	s_wait_dscnt 0x4
	v_lshlrev_b32_e32 v24, 16, v0
	v_and_b32_e32 v0, 0xffff0000, v0
	s_add_nc_u64 s[4:5], s[4:5], s[18:19]
	s_clause 0x1
	scratch_store_b32 off, v24, off
	scratch_store_b32 off, v0, off offset:4
	v_lshlrev_b32_e32 v0, 16, v1
	scratch_store_b32 off, v0, off offset:8 ; 4-byte Folded Spill
	v_and_b32_e32 v0, 0xffff0000, v1
	scratch_store_b32 off, v0, off offset:12 ; 4-byte Folded Spill
	v_lshlrev_b32_e32 v0, 16, v2
	scratch_store_b32 off, v0, off offset:16 ; 4-byte Folded Spill
	v_and_b32_e32 v0, 0xffff0000, v2
	scratch_store_b32 off, v0, off offset:20 ; 4-byte Folded Spill
	;; [unrolled: 4-line block ×3, first 2 shown]
	s_wait_dscnt 0x3
	v_lshlrev_b32_e32 v0, 16, v4
	scratch_store_b32 off, v0, off offset:32 ; 4-byte Folded Spill
	v_and_b32_e32 v0, 0xffff0000, v4
	s_wait_dscnt 0x2
	v_and_b32_e32 v4, 0xffff0000, v11
	s_clause 0x1
	scratch_store_b32 off, v0, off offset:36
	scratch_store_b32 off, v4, off offset:92
	v_lshlrev_b32_e32 v0, 16, v5
	s_wait_dscnt 0x1
	v_lshlrev_b32_e32 v4, 16, v12
	s_clause 0x1
	scratch_store_b32 off, v0, off offset:40
	scratch_store_b32 off, v4, off offset:96
	v_and_b32_e32 v0, 0xffff0000, v5
	v_and_b32_e32 v4, 0xffff0000, v12
	s_wait_dscnt 0x0
	v_and_b32_e32 v12, 0xffff0000, v22
	s_clause 0x2
	scratch_store_b32 off, v0, off offset:44
	scratch_store_b32 off, v4, off offset:100
	;; [unrolled: 1-line block ×3, first 2 shown]
	v_lshlrev_b32_e32 v0, 16, v6
	v_lshlrev_b32_e32 v4, 16, v13
	s_clause 0x1
	scratch_store_b32 off, v0, off offset:48
	scratch_store_b32 off, v4, off offset:104
	v_and_b32_e32 v0, 0xffff0000, v6
	v_and_b32_e32 v4, 0xffff0000, v13
	s_clause 0x1
	scratch_store_b32 off, v0, off offset:52
	scratch_store_b32 off, v4, off offset:108
	v_lshlrev_b32_e32 v0, 16, v7
	v_lshlrev_b32_e32 v4, 16, v14
	s_clause 0x1
	scratch_store_b32 off, v0, off offset:56
	scratch_store_b32 off, v4, off offset:112
	v_and_b32_e32 v0, 0xffff0000, v7
	v_and_b32_e32 v4, 0xffff0000, v14
	s_clause 0x1
	scratch_store_b32 off, v0, off offset:60
	scratch_store_b32 off, v4, off offset:116
	v_lshlrev_b32_e32 v0, 16, v8
	v_lshlrev_b32_e32 v4, 16, v15
	scratch_store_b32 off, v0, off offset:64 ; 4-byte Folded Spill
	v_and_b32_e32 v0, 0xffff0000, v8
	v_and_b32_e32 v8, 0xffff0000, v15
	s_clause 0x1
	scratch_store_b32 off, v0, off offset:68
	scratch_store_b32 off, v8, off offset:124
	v_lshlrev_b32_e32 v0, 16, v9
	v_lshlrev_b32_e32 v8, 16, v19
	s_clause 0x1
	scratch_store_b32 off, v0, off offset:72
	scratch_store_b32 off, v8, off offset:128
	v_and_b32_e32 v0, 0xffff0000, v9
	v_and_b32_e32 v8, 0xffff0000, v19
	s_clause 0x1
	scratch_store_b32 off, v0, off offset:76
	scratch_store_b32 off, v8, off offset:132
	v_lshlrev_b32_e32 v0, 16, v10
	v_lshlrev_b32_e32 v8, 16, v20
	s_clause 0x1
	scratch_store_b32 off, v0, off offset:80
	scratch_store_b32 off, v8, off offset:136
	;; [unrolled: 10-line block ×3, first 2 shown]
	ds_load_b128 v[0:3], v16 offset:80
	v_and_b32_e32 v8, 0xffff0000, v21
	scratch_store_b32 off, v4, off offset:120 ; 4-byte Folded Spill
	ds_load_b128 v[4:7], v16 offset:96
	s_wait_dscnt 0x1
	v_lshlrev_b32_e32 v12, 16, v0
	scratch_store_b32 off, v8, off offset:148 ; 4-byte Folded Spill
	v_lshlrev_b32_e32 v8, 16, v22
	v_and_b32_e32 v0, 0xffff0000, v0
	s_clause 0x1
	scratch_store_b32 off, v8, off offset:152
	scratch_store_b32 off, v0, off offset:164
	v_lshlrev_b32_e32 v0, 16, v1
	scratch_store_b32 off, v12, off offset:160 ; 4-byte Folded Spill
	ds_load_b128 v[8:11], v16 offset:112
	ds_load_b128 v[12:15], v16 offset:128
	scratch_store_b32 off, v0, off offset:168 ; 4-byte Folded Spill
	v_and_b32_e32 v0, 0xffff0000, v1
	scratch_store_b32 off, v0, off offset:172 ; 4-byte Folded Spill
	v_lshlrev_b32_e32 v0, 16, v2
	scratch_store_b32 off, v0, off offset:176 ; 4-byte Folded Spill
	v_and_b32_e32 v0, 0xffff0000, v2
	scratch_store_b32 off, v0, off offset:180 ; 4-byte Folded Spill
	v_lshlrev_b32_e32 v0, 16, v3
	scratch_store_b32 off, v0, off offset:184 ; 4-byte Folded Spill
	v_and_b32_e32 v0, 0xffff0000, v3
	scratch_store_b32 off, v0, off offset:188 ; 4-byte Folded Spill
	s_wait_dscnt 0x2
	v_lshlrev_b32_e32 v0, 16, v4
	scratch_store_b32 off, v0, off offset:192 ; 4-byte Folded Spill
	v_and_b32_e32 v0, 0xffff0000, v4
	v_and_b32_e32 v4, 0xffff0000, v6
	s_clause 0x1
	scratch_store_b32 off, v0, off offset:196
	scratch_store_b32 off, v4, off offset:212
	v_lshlrev_b32_e32 v0, 16, v5
	v_lshlrev_b32_e32 v4, 16, v7
	s_clause 0x1
	scratch_store_b32 off, v0, off offset:200
	scratch_store_b32 off, v4, off offset:216
	v_and_b32_e32 v0, 0xffff0000, v5
	v_and_b32_e32 v4, 0xffff0000, v7
	s_clause 0x1
	scratch_store_b32 off, v0, off offset:204
	scratch_store_b32 off, v4, off offset:220
	v_lshlrev_b32_e32 v0, 16, v6
	s_wait_dscnt 0x1
	v_lshlrev_b32_e32 v4, 16, v8
	s_clause 0x1
	scratch_store_b32 off, v0, off offset:208
	scratch_store_b32 off, v4, off offset:224
	v_and_b32_e32 v4, 0xffff0000, v8
	v_and_b32_e32 v8, 0xffff0000, v11
	ds_load_b128 v[0:3], v16 offset:144
	s_clause 0x1
	scratch_store_b32 off, v4, off offset:228
	scratch_store_b32 off, v8, off offset:252
	v_lshlrev_b32_e32 v4, 16, v9
	s_wait_dscnt 0x1
	v_lshlrev_b32_e32 v8, 16, v12
	s_clause 0x1
	scratch_store_b32 off, v4, off offset:232
	scratch_store_b32 off, v8, off offset:256
	v_and_b32_e32 v4, 0xffff0000, v9
	v_and_b32_e32 v8, 0xffff0000, v12
	;; [unrolled: 1-line block ×3, first 2 shown]
	s_clause 0x2
	scratch_store_b32 off, v4, off offset:236
	scratch_store_b32 off, v8, off offset:260
	;; [unrolled: 1-line block ×3, first 2 shown]
	v_lshlrev_b32_e32 v4, 16, v10
	v_lshlrev_b32_e32 v8, 16, v13
	s_clause 0x1
	scratch_store_b32 off, v4, off offset:240
	scratch_store_b32 off, v8, off offset:264
	v_and_b32_e32 v4, 0xffff0000, v10
	v_and_b32_e32 v8, 0xffff0000, v13
	s_clause 0x1
	scratch_store_b32 off, v4, off offset:244
	scratch_store_b32 off, v8, off offset:268
	v_lshlrev_b32_e32 v4, 16, v11
	v_lshlrev_b32_e32 v8, 16, v14
	scratch_store_b32 off, v4, off offset:248 ; 4-byte Folded Spill
	ds_load_b128 v[4:7], v16 offset:160
	s_wait_dscnt 0x1
	v_lshlrev_b32_e32 v12, 16, v0
	scratch_store_b32 off, v8, off offset:272 ; 4-byte Folded Spill
	v_and_b32_e32 v8, 0xffff0000, v14
	v_and_b32_e32 v0, 0xffff0000, v0
	v_lshlrev_b32_e32 v90, 16, v2
	v_and_b32_e32 v91, 0xffff0000, v2
	v_lshlrev_b32_e32 v92, 16, v3
	s_clause 0x1
	scratch_store_b32 off, v8, off offset:276
	scratch_store_b32 off, v0, off offset:292
	v_lshlrev_b32_e32 v8, 16, v15
	v_lshlrev_b32_e32 v0, 16, v1
	v_and_b32_e32 v94, 0xffff0000, v3
	s_clause 0x1
	scratch_store_b32 off, v8, off offset:280
	scratch_store_b32 off, v0, off offset:296
	v_and_b32_e32 v0, 0xffff0000, v1
	scratch_store_b32 off, v12, off offset:288 ; 4-byte Folded Spill
	ds_load_b128 v[8:11], v16 offset:176
	ds_load_b128 v[12:15], v16 offset:192
	s_wait_dscnt 0x2
	v_lshlrev_b32_e32 v95, 16, v4
	scratch_store_b32 off, v0, off offset:300 ; 4-byte Folded Spill
	ds_load_b128 v[0:3], v16 offset:208
	v_and_b32_e32 v96, 0xffff0000, v4
	v_lshlrev_b32_e32 v97, 16, v5
	v_and_b32_e32 v98, 0xffff0000, v5
	v_lshlrev_b32_e32 v100, 16, v6
	;; [unrolled: 2-line block ×3, first 2 shown]
	v_and_b32_e32 v103, 0xffff0000, v7
	ds_load_b128 v[4:7], v16 offset:224
	s_wait_dscnt 0x3
	v_lshlrev_b32_e32 v104, 16, v8
	v_and_b32_e32 v105, 0xffff0000, v8
	v_lshlrev_b32_e32 v106, 16, v9
	v_and_b32_e32 v107, 0xffff0000, v9
	s_wait_dscnt 0x1
	v_lshlrev_b32_e32 v120, 16, v0
	v_and_b32_e32 v121, 0xffff0000, v0
	v_bfe_u32 v0, v185, 1, 4
	v_lshlrev_b32_e32 v122, 16, v1
	v_and_b32_e32 v123, 0xffff0000, v1
	v_lshlrev_b32_e32 v108, 16, v10
	v_and_b32_e32 v109, 0xffff0000, v10
	v_lshlrev_b32_e32 v1, 4, v0
	v_lshlrev_b32_e32 v110, 16, v11
	v_and_b32_e32 v111, 0xffff0000, v11
	ds_load_b128 v[8:11], v16 offset:240
	v_lshlrev_b32_e32 v124, 16, v2
	v_and_b32_e32 v125, 0xffff0000, v2
	v_lshlrev_b32_e32 v2, 2, v186
	v_add_co_u32 v1, s4, s4, v1
	v_lshlrev_b32_e32 v126, 16, v3
	v_and_b32_e32 v127, 0xffff0000, v3
	s_wait_dscnt 0x1
	v_lshlrev_b32_e32 v128, 16, v4
	v_and_b32_e32 v129, 0xffff0000, v4
	s_wait_alu 0xf1ff
	v_add_co_ci_u32_e64 v3, null, s5, 0, s4
	v_xor_b32_e32 v4, 1, v23
	v_add_co_u32 v1, vcc_lo, v1, v2
	v_lshlrev_b32_e32 v130, 16, v5
	v_and_b32_e32 v131, 0xffff0000, v5
	v_lshlrev_b32_e32 v5, 4, v187
	v_add_co_ci_u32_e64 v2, null, 0, v3, vcc_lo
	v_lshlrev_b32_e32 v3, 2, v0
	v_cmp_gt_i32_e32 vcc_lo, 32, v4
	s_cselect_b32 s4, -1, 0
	s_lshl_b64 s[14:15], s[24:25], 2
	v_add3_u32 v145, s20, v5, v0
	v_lshl_or_b32 v0, v187, 6, v3
	s_wait_alu 0xfffd
	v_cndmask_b32_e32 v4, v23, v4, vcc_lo
	s_add_nc_u64 s[14:15], s[26:27], s[14:15]
	v_lshlrev_b32_e32 v112, 16, v12
	v_add_co_u32 v3, s5, s14, v17
	v_and_b32_e32 v113, 0xffff0000, v12
	v_lshlrev_b32_e32 v114, 16, v13
	v_and_b32_e32 v115, 0xffff0000, v13
	v_lshlrev_b32_e32 v116, 16, v14
	v_and_b32_e32 v117, 0xffff0000, v14
	v_lshlrev_b32_e32 v118, 16, v15
	v_and_b32_e32 v119, 0xffff0000, v15
	v_lshlrev_b32_e32 v132, 16, v6
	v_and_b32_e32 v133, 0xffff0000, v6
	v_lshlrev_b32_e32 v134, 16, v7
	v_and_b32_e32 v135, 0xffff0000, v7
	s_wait_dscnt 0x0
	v_lshlrev_b32_e32 v136, 16, v8
	v_and_b32_e32 v137, 0xffff0000, v8
	v_lshlrev_b32_e32 v138, 16, v9
	v_and_b32_e32 v139, 0xffff0000, v9
	v_lshlrev_b32_e32 v140, 16, v10
	v_and_b32_e32 v141, 0xffff0000, v10
	v_lshlrev_b32_e32 v142, 16, v11
	v_and_b32_e32 v143, 0xffff0000, v11
	v_lshlrev_b32_e32 v146, 2, v4
	v_add_nc_u32_e32 v147, 0x220, v0
	s_wait_alu 0xf1ff
	v_add_co_ci_u32_e64 v4, null, s15, 0, s5
	s_mov_b32 s14, s17
	s_sub_co_i32 s15, 1, s21
	v_cmp_eq_u32_e32 vcc_lo, 0, v186
	s_branch .LBB348_10
.LBB348_9:                              ;   in Loop: Header=BB348_10 Depth=1
	s_wait_alu 0xfffe
	s_or_b32 exec_lo, exec_lo, s6
	v_add_nc_u32_e32 v148, 4, v148
	v_add_co_u32 v3, s6, v3, 16
	v_add_nc_u32_e32 v145, 64, v145
	v_add_nc_u32_e32 v147, 0x100, v147
	s_delay_alu instid0(VALU_DEP_4)
	v_cmp_le_i32_e64 s5, s23, v148
	s_wait_alu 0xf1ff
	v_add_co_ci_u32_e64 v4, null, 0, v4, s6
	s_or_b32 s9, s5, s9
	s_wait_alu 0xfffe
	s_and_not1_b32 exec_lo, exec_lo, s9
	s_cbranch_execz .LBB348_12
.LBB348_10:                             ; =>This Inner Loop Header: Depth=1
	global_load_b32 v0, v[3:4], off
	s_wait_loadcnt_dscnt 0x0
	s_wait_alu 0xfffe
	v_mad_co_i64_i32 v[5:6], null, v0, s14, v[1:2]
	s_clause 0x7
	global_load_b32 v0, v[5:6], off
	global_load_b32 v7, v[5:6], off offset:8
	global_load_b32 v8, v[5:6], off offset:256
	;; [unrolled: 1-line block ×7, first 2 shown]
	s_wait_loadcnt 0x7
	v_and_b32_e32 v14, 0xff, v0
	s_delay_alu instid0(VALU_DEP_1) | instskip(SKIP_1) | instid1(VALU_DEP_1)
	v_cvt_f32_fp8_e32 v14, v14
	s_wait_kmcnt 0x0
	v_mul_f32_e32 v14, s8, v14
	s_delay_alu instid0(VALU_DEP_1) | instskip(SKIP_2) | instid1(VALU_DEP_3)
	v_bfe_u32 v15, v14, 16, 1
	v_or_b32_e32 v16, 0x400000, v14
	v_cmp_u_f32_e64 s5, v14, v14
	v_add3_u32 v15, v15, v14, 0x7fff
	v_bfe_u32 v14, v0, 8, 8
	s_wait_alu 0xf1ff
	s_delay_alu instid0(VALU_DEP_2) | instskip(NEXT) | instid1(VALU_DEP_2)
	v_cndmask_b32_e64 v152, v15, v16, s5
	v_cvt_f32_fp8_e32 v14, v14
	s_delay_alu instid0(VALU_DEP_1) | instskip(NEXT) | instid1(VALU_DEP_1)
	v_mul_f32_e32 v14, s8, v14
	v_bfe_u32 v15, v14, 16, 1
	v_or_b32_e32 v16, 0x400000, v14
	v_cmp_u_f32_e64 s5, v14, v14
	s_delay_alu instid0(VALU_DEP_3) | instskip(SKIP_3) | instid1(VALU_DEP_3)
	v_add3_u32 v15, v15, v14, 0x7fff
	v_bfe_u32 v14, v0, 16, 8
	v_lshrrev_b32_e32 v0, 24, v0
	s_wait_alu 0xf1ff
	v_cndmask_b32_e64 v151, v15, v16, s5
	s_delay_alu instid0(VALU_DEP_3) | instskip(NEXT) | instid1(VALU_DEP_3)
	v_cvt_f32_fp8_e32 v14, v14
	v_cvt_f32_fp8_e32 v0, v0
	s_delay_alu instid0(VALU_DEP_2) | instskip(NEXT) | instid1(VALU_DEP_2)
	v_mul_f32_e32 v14, s8, v14
	v_mul_f32_e32 v0, s8, v0
	s_delay_alu instid0(VALU_DEP_2) | instskip(SKIP_2) | instid1(VALU_DEP_3)
	v_bfe_u32 v15, v14, 16, 1
	v_or_b32_e32 v16, 0x400000, v14
	v_cmp_u_f32_e64 s5, v14, v14
	v_add3_u32 v15, v15, v14, 0x7fff
	v_bfe_u32 v14, v0, 16, 1
	s_wait_alu 0xf1ff
	s_delay_alu instid0(VALU_DEP_2) | instskip(NEXT) | instid1(VALU_DEP_2)
	v_cndmask_b32_e64 v150, v15, v16, s5
	v_add3_u32 v14, v14, v0, 0x7fff
	v_or_b32_e32 v15, 0x400000, v0
	v_cmp_u_f32_e64 s5, v0, v0
	s_wait_loadcnt 0x6
	v_and_b32_e32 v0, 0xff, v7
	s_wait_alu 0xf1ff
	s_delay_alu instid0(VALU_DEP_2) | instskip(NEXT) | instid1(VALU_DEP_2)
	v_cndmask_b32_e64 v149, v14, v15, s5
	v_cvt_f32_fp8_e32 v0, v0
	s_delay_alu instid0(VALU_DEP_1) | instskip(NEXT) | instid1(VALU_DEP_1)
	v_mul_f32_e32 v0, s8, v0
	v_bfe_u32 v14, v0, 16, 1
	v_or_b32_e32 v15, 0x400000, v0
	v_cmp_u_f32_e64 s5, v0, v0
	s_delay_alu instid0(VALU_DEP_3) | instskip(SKIP_2) | instid1(VALU_DEP_2)
	v_add3_u32 v14, v14, v0, 0x7fff
	v_bfe_u32 v0, v7, 8, 8
	s_wait_alu 0xf1ff
	v_cndmask_b32_e64 v159, v14, v15, s5
	s_delay_alu instid0(VALU_DEP_2) | instskip(NEXT) | instid1(VALU_DEP_1)
	v_cvt_f32_fp8_e32 v0, v0
	v_mul_f32_e32 v0, s8, v0
	s_delay_alu instid0(VALU_DEP_1) | instskip(SKIP_2) | instid1(VALU_DEP_3)
	v_bfe_u32 v14, v0, 16, 1
	v_or_b32_e32 v15, 0x400000, v0
	v_cmp_u_f32_e64 s5, v0, v0
	v_add3_u32 v14, v14, v0, 0x7fff
	v_bfe_u32 v0, v7, 16, 8
	s_wait_alu 0xf1ff
	s_delay_alu instid0(VALU_DEP_2) | instskip(NEXT) | instid1(VALU_DEP_2)
	v_cndmask_b32_e64 v157, v14, v15, s5
	v_cvt_f32_fp8_e32 v0, v0
	s_delay_alu instid0(VALU_DEP_1) | instskip(NEXT) | instid1(VALU_DEP_1)
	v_mul_f32_e32 v0, s8, v0
	v_bfe_u32 v14, v0, 16, 1
	v_or_b32_e32 v15, 0x400000, v0
	v_cmp_u_f32_e64 s5, v0, v0
	s_delay_alu instid0(VALU_DEP_3) | instskip(SKIP_2) | instid1(VALU_DEP_2)
	v_add3_u32 v14, v14, v0, 0x7fff
	v_lshrrev_b32_e32 v0, 24, v7
	s_wait_alu 0xf1ff
	v_cndmask_b32_e64 v156, v14, v15, s5
	s_delay_alu instid0(VALU_DEP_2) | instskip(NEXT) | instid1(VALU_DEP_1)
	v_cvt_f32_fp8_e32 v0, v0
	v_mul_f32_e32 v0, s8, v0
	s_delay_alu instid0(VALU_DEP_1) | instskip(SKIP_2) | instid1(VALU_DEP_3)
	v_bfe_u32 v7, v0, 16, 1
	v_or_b32_e32 v14, 0x400000, v0
	v_cmp_u_f32_e64 s5, v0, v0
	v_add3_u32 v7, v7, v0, 0x7fff
	s_wait_loadcnt 0x5
	v_and_b32_e32 v0, 0xff, v8
	s_wait_alu 0xf1ff
	s_delay_alu instid0(VALU_DEP_2) | instskip(NEXT) | instid1(VALU_DEP_2)
	v_cndmask_b32_e64 v154, v7, v14, s5
	v_cvt_f32_fp8_e32 v0, v0
	s_delay_alu instid0(VALU_DEP_1) | instskip(NEXT) | instid1(VALU_DEP_1)
	v_mul_f32_e32 v0, s8, v0
	v_bfe_u32 v7, v0, 16, 1
	v_or_b32_e32 v14, 0x400000, v0
	v_cmp_u_f32_e64 s5, v0, v0
	s_delay_alu instid0(VALU_DEP_3) | instskip(SKIP_2) | instid1(VALU_DEP_2)
	v_add3_u32 v7, v7, v0, 0x7fff
	v_bfe_u32 v0, v8, 8, 8
	s_wait_alu 0xf1ff
	v_cndmask_b32_e64 v153, v7, v14, s5
	s_delay_alu instid0(VALU_DEP_2) | instskip(NEXT) | instid1(VALU_DEP_1)
	v_cvt_f32_fp8_e32 v0, v0
	v_mul_f32_e32 v0, s8, v0
	s_delay_alu instid0(VALU_DEP_1) | instskip(SKIP_2) | instid1(VALU_DEP_3)
	v_bfe_u32 v7, v0, 16, 1
	v_or_b32_e32 v14, 0x400000, v0
	v_cmp_u_f32_e64 s5, v0, v0
	v_add3_u32 v7, v7, v0, 0x7fff
	v_bfe_u32 v0, v8, 16, 8
	s_wait_alu 0xf1ff
	s_delay_alu instid0(VALU_DEP_2) | instskip(NEXT) | instid1(VALU_DEP_2)
	v_cndmask_b32_e64 v155, v7, v14, s5
	v_cvt_f32_fp8_e32 v0, v0
	s_delay_alu instid0(VALU_DEP_1) | instskip(NEXT) | instid1(VALU_DEP_1)
	v_mul_f32_e32 v0, s8, v0
	v_bfe_u32 v7, v0, 16, 1
	v_or_b32_e32 v14, 0x400000, v0
	v_cmp_u_f32_e64 s5, v0, v0
	s_delay_alu instid0(VALU_DEP_3) | instskip(SKIP_2) | instid1(VALU_DEP_2)
	v_add3_u32 v7, v7, v0, 0x7fff
	v_lshrrev_b32_e32 v0, 24, v8
	s_wait_alu 0xf1ff
	v_cndmask_b32_e64 v158, v7, v14, s5
	s_delay_alu instid0(VALU_DEP_2) | instskip(NEXT) | instid1(VALU_DEP_1)
	v_cvt_f32_fp8_e32 v0, v0
	v_mul_f32_e32 v0, s8, v0
	s_delay_alu instid0(VALU_DEP_1) | instskip(SKIP_2) | instid1(VALU_DEP_3)
	v_bfe_u32 v7, v0, 16, 1
	v_or_b32_e32 v8, 0x400000, v0
	v_cmp_u_f32_e64 s5, v0, v0
	v_add3_u32 v7, v7, v0, 0x7fff
	;; [unrolled: 47-line block ×7, first 2 shown]
	s_wait_alu 0xf1ff
	s_delay_alu instid0(VALU_DEP_1)
	v_cndmask_b32_e64 v180, v7, v8, s5
	s_clause 0xf
	global_load_b32 v0, v[5:6], off offset:1024
	global_load_b32 v7, v[5:6], off offset:1032
	;; [unrolled: 1-line block ×16, first 2 shown]
	s_wait_loadcnt 0xf
	v_and_b32_e32 v11, 0xff, v0
	s_delay_alu instid0(VALU_DEP_1) | instskip(NEXT) | instid1(VALU_DEP_1)
	v_cvt_f32_fp8_e32 v11, v11
	v_mul_f32_e32 v11, s8, v11
	s_delay_alu instid0(VALU_DEP_1) | instskip(SKIP_2) | instid1(VALU_DEP_3)
	v_bfe_u32 v12, v11, 16, 1
	v_or_b32_e32 v14, 0x400000, v11
	v_cmp_u_f32_e64 s5, v11, v11
	v_add3_u32 v12, v12, v11, 0x7fff
	v_bfe_u32 v11, v0, 8, 8
	s_wait_alu 0xf1ff
	s_delay_alu instid0(VALU_DEP_2) | instskip(NEXT) | instid1(VALU_DEP_2)
	v_cndmask_b32_e64 v181, v12, v14, s5
	v_cvt_f32_fp8_e32 v11, v11
	s_delay_alu instid0(VALU_DEP_1) | instskip(NEXT) | instid1(VALU_DEP_1)
	v_mul_f32_e32 v11, s8, v11
	v_bfe_u32 v12, v11, 16, 1
	v_or_b32_e32 v14, 0x400000, v11
	v_cmp_u_f32_e64 s5, v11, v11
	s_delay_alu instid0(VALU_DEP_3) | instskip(SKIP_3) | instid1(VALU_DEP_3)
	v_add3_u32 v12, v12, v11, 0x7fff
	v_bfe_u32 v11, v0, 16, 8
	v_lshrrev_b32_e32 v0, 24, v0
	s_wait_alu 0xf1ff
	v_cndmask_b32_e64 v182, v12, v14, s5
	s_delay_alu instid0(VALU_DEP_3) | instskip(NEXT) | instid1(VALU_DEP_3)
	v_cvt_f32_fp8_e32 v11, v11
	v_cvt_f32_fp8_e32 v0, v0
	s_delay_alu instid0(VALU_DEP_1) | instskip(NEXT) | instid1(VALU_DEP_1)
	v_dual_mul_f32 v11, s8, v11 :: v_dual_mul_f32 v0, s8, v0
	v_bfe_u32 v12, v11, 16, 1
	v_or_b32_e32 v14, 0x400000, v11
	v_cmp_u_f32_e64 s5, v11, v11
	s_delay_alu instid0(VALU_DEP_3) | instskip(SKIP_2) | instid1(VALU_DEP_2)
	v_add3_u32 v12, v12, v11, 0x7fff
	v_bfe_u32 v11, v0, 16, 1
	s_wait_alu 0xf1ff
	v_cndmask_b32_e64 v183, v12, v14, s5
	s_delay_alu instid0(VALU_DEP_2)
	v_add3_u32 v11, v11, v0, 0x7fff
	v_or_b32_e32 v12, 0x400000, v0
	v_cmp_u_f32_e64 s5, v0, v0
	s_wait_loadcnt 0xe
	v_and_b32_e32 v0, 0xff, v7
	s_wait_alu 0xf1ff
	s_delay_alu instid0(VALU_DEP_2) | instskip(NEXT) | instid1(VALU_DEP_2)
	v_cndmask_b32_e64 v184, v11, v12, s5
	v_cvt_f32_fp8_e32 v0, v0
	s_delay_alu instid0(VALU_DEP_1) | instskip(NEXT) | instid1(VALU_DEP_1)
	v_mul_f32_e32 v0, s8, v0
	v_bfe_u32 v11, v0, 16, 1
	v_or_b32_e32 v12, 0x400000, v0
	v_cmp_u_f32_e64 s5, v0, v0
	s_delay_alu instid0(VALU_DEP_3) | instskip(SKIP_2) | instid1(VALU_DEP_2)
	v_add3_u32 v11, v11, v0, 0x7fff
	v_bfe_u32 v0, v7, 8, 8
	s_wait_alu 0xf1ff
	v_cndmask_b32_e64 v185, v11, v12, s5
	s_delay_alu instid0(VALU_DEP_2) | instskip(NEXT) | instid1(VALU_DEP_1)
	v_cvt_f32_fp8_e32 v0, v0
	v_mul_f32_e32 v0, s8, v0
	s_delay_alu instid0(VALU_DEP_1) | instskip(SKIP_2) | instid1(VALU_DEP_3)
	v_bfe_u32 v11, v0, 16, 1
	v_or_b32_e32 v12, 0x400000, v0
	v_cmp_u_f32_e64 s5, v0, v0
	v_add3_u32 v11, v11, v0, 0x7fff
	v_bfe_u32 v0, v7, 16, 8
	s_wait_alu 0xf1ff
	s_delay_alu instid0(VALU_DEP_2) | instskip(NEXT) | instid1(VALU_DEP_2)
	v_cndmask_b32_e64 v186, v11, v12, s5
	v_cvt_f32_fp8_e32 v0, v0
	s_delay_alu instid0(VALU_DEP_1) | instskip(NEXT) | instid1(VALU_DEP_1)
	v_mul_f32_e32 v0, s8, v0
	v_bfe_u32 v11, v0, 16, 1
	v_or_b32_e32 v12, 0x400000, v0
	v_cmp_u_f32_e64 s5, v0, v0
	s_delay_alu instid0(VALU_DEP_3) | instskip(SKIP_2) | instid1(VALU_DEP_2)
	v_add3_u32 v11, v11, v0, 0x7fff
	v_lshrrev_b32_e32 v0, 24, v7
	s_wait_alu 0xf1ff
	v_cndmask_b32_e64 v187, v11, v12, s5
	s_delay_alu instid0(VALU_DEP_2) | instskip(NEXT) | instid1(VALU_DEP_1)
	v_cvt_f32_fp8_e32 v0, v0
	v_mul_f32_e32 v0, s8, v0
	s_delay_alu instid0(VALU_DEP_1) | instskip(SKIP_2) | instid1(VALU_DEP_3)
	v_bfe_u32 v7, v0, 16, 1
	v_or_b32_e32 v11, 0x400000, v0
	v_cmp_u_f32_e64 s5, v0, v0
	v_add3_u32 v7, v7, v0, 0x7fff
	s_wait_loadcnt 0xd
	v_and_b32_e32 v0, 0xff, v8
	s_wait_alu 0xf1ff
	s_delay_alu instid0(VALU_DEP_2) | instskip(NEXT) | instid1(VALU_DEP_2)
	v_cndmask_b32_e64 v188, v7, v11, s5
	v_cvt_f32_fp8_e32 v0, v0
	s_delay_alu instid0(VALU_DEP_1) | instskip(NEXT) | instid1(VALU_DEP_1)
	v_mul_f32_e32 v0, s8, v0
	v_bfe_u32 v7, v0, 16, 1
	v_or_b32_e32 v11, 0x400000, v0
	v_cmp_u_f32_e64 s5, v0, v0
	s_delay_alu instid0(VALU_DEP_3) | instskip(SKIP_2) | instid1(VALU_DEP_2)
	v_add3_u32 v7, v7, v0, 0x7fff
	v_bfe_u32 v0, v8, 8, 8
	s_wait_alu 0xf1ff
	v_cndmask_b32_e64 v189, v7, v11, s5
	s_delay_alu instid0(VALU_DEP_2) | instskip(NEXT) | instid1(VALU_DEP_1)
	v_cvt_f32_fp8_e32 v0, v0
	v_mul_f32_e32 v0, s8, v0
	s_delay_alu instid0(VALU_DEP_1) | instskip(SKIP_2) | instid1(VALU_DEP_3)
	v_bfe_u32 v7, v0, 16, 1
	v_or_b32_e32 v11, 0x400000, v0
	v_cmp_u_f32_e64 s5, v0, v0
	v_add3_u32 v7, v7, v0, 0x7fff
	v_bfe_u32 v0, v8, 16, 8
	s_wait_alu 0xf1ff
	s_delay_alu instid0(VALU_DEP_2) | instskip(NEXT) | instid1(VALU_DEP_2)
	v_cndmask_b32_e64 v190, v7, v11, s5
	v_cvt_f32_fp8_e32 v0, v0
	s_delay_alu instid0(VALU_DEP_1) | instskip(NEXT) | instid1(VALU_DEP_1)
	v_mul_f32_e32 v0, s8, v0
	v_bfe_u32 v7, v0, 16, 1
	v_or_b32_e32 v11, 0x400000, v0
	v_cmp_u_f32_e64 s5, v0, v0
	s_delay_alu instid0(VALU_DEP_3) | instskip(SKIP_2) | instid1(VALU_DEP_2)
	v_add3_u32 v7, v7, v0, 0x7fff
	v_lshrrev_b32_e32 v0, 24, v8
	s_wait_alu 0xf1ff
	v_cndmask_b32_e64 v191, v7, v11, s5
	s_delay_alu instid0(VALU_DEP_2) | instskip(NEXT) | instid1(VALU_DEP_1)
	v_cvt_f32_fp8_e32 v0, v0
	v_mul_f32_e32 v0, s8, v0
	s_delay_alu instid0(VALU_DEP_1) | instskip(SKIP_2) | instid1(VALU_DEP_3)
	v_bfe_u32 v7, v0, 16, 1
	v_or_b32_e32 v8, 0x400000, v0
	v_cmp_u_f32_e64 s5, v0, v0
	v_add3_u32 v7, v7, v0, 0x7fff
	s_wait_loadcnt 0xc
	v_and_b32_e32 v0, 0xff, v9
	s_wait_alu 0xf1ff
	s_delay_alu instid0(VALU_DEP_2) | instskip(NEXT) | instid1(VALU_DEP_2)
	v_cndmask_b32_e64 v8, v7, v8, s5
	v_cvt_f32_fp8_e32 v0, v0
	s_delay_alu instid0(VALU_DEP_2) | instskip(NEXT) | instid1(VALU_DEP_2)
	v_and_b32_e32 v8, 0xffff0000, v8
	v_mul_f32_e32 v0, s8, v0
	s_delay_alu instid0(VALU_DEP_1) | instskip(SKIP_2) | instid1(VALU_DEP_3)
	v_bfe_u32 v7, v0, 16, 1
	v_or_b32_e32 v11, 0x400000, v0
	v_cmp_u_f32_e64 s5, v0, v0
	v_add3_u32 v7, v7, v0, 0x7fff
	v_bfe_u32 v0, v9, 8, 8
	s_wait_alu 0xf1ff
	s_delay_alu instid0(VALU_DEP_2) | instskip(NEXT) | instid1(VALU_DEP_2)
	v_cndmask_b32_e64 v15, v7, v11, s5
	v_cvt_f32_fp8_e32 v0, v0
	s_delay_alu instid0(VALU_DEP_1) | instskip(NEXT) | instid1(VALU_DEP_1)
	v_mul_f32_e32 v0, s8, v0
	v_bfe_u32 v7, v0, 16, 1
	v_or_b32_e32 v11, 0x400000, v0
	v_cmp_u_f32_e64 s5, v0, v0
	s_delay_alu instid0(VALU_DEP_3) | instskip(SKIP_2) | instid1(VALU_DEP_2)
	v_add3_u32 v7, v7, v0, 0x7fff
	v_bfe_u32 v0, v9, 16, 8
	s_wait_alu 0xf1ff
	v_cndmask_b32_e64 v16, v7, v11, s5
	s_delay_alu instid0(VALU_DEP_2) | instskip(NEXT) | instid1(VALU_DEP_1)
	v_cvt_f32_fp8_e32 v0, v0
	v_mul_f32_e32 v0, s8, v0
	s_delay_alu instid0(VALU_DEP_1) | instskip(SKIP_2) | instid1(VALU_DEP_3)
	v_bfe_u32 v7, v0, 16, 1
	v_or_b32_e32 v11, 0x400000, v0
	v_cmp_u_f32_e64 s5, v0, v0
	v_add3_u32 v7, v7, v0, 0x7fff
	v_lshrrev_b32_e32 v0, 24, v9
	s_wait_alu 0xf1ff
	s_delay_alu instid0(VALU_DEP_2) | instskip(NEXT) | instid1(VALU_DEP_2)
	v_cndmask_b32_e64 v7, v7, v11, s5
	v_cvt_f32_fp8_e32 v0, v0
	s_delay_alu instid0(VALU_DEP_1) | instskip(NEXT) | instid1(VALU_DEP_1)
	v_dual_mul_f32 v0, s8, v0 :: v_dual_and_b32 v7, 0xffff0000, v7
	v_bfe_u32 v9, v0, 16, 1
	v_or_b32_e32 v11, 0x400000, v0
	v_cmp_u_f32_e64 s5, v0, v0
	s_delay_alu instid0(VALU_DEP_3) | instskip(SKIP_3) | instid1(VALU_DEP_2)
	v_add3_u32 v9, v9, v0, 0x7fff
	s_wait_loadcnt 0xb
	v_and_b32_e32 v0, 0xff, v10
	s_wait_alu 0xf1ff
	v_cndmask_b32_e64 v17, v9, v11, s5
	s_delay_alu instid0(VALU_DEP_2) | instskip(NEXT) | instid1(VALU_DEP_1)
	v_cvt_f32_fp8_e32 v0, v0
	v_mul_f32_e32 v0, s8, v0
	s_delay_alu instid0(VALU_DEP_1) | instskip(SKIP_2) | instid1(VALU_DEP_3)
	v_bfe_u32 v9, v0, 16, 1
	v_or_b32_e32 v11, 0x400000, v0
	v_cmp_u_f32_e64 s5, v0, v0
	v_add3_u32 v9, v9, v0, 0x7fff
	v_bfe_u32 v0, v10, 8, 8
	s_wait_alu 0xf1ff
	s_delay_alu instid0(VALU_DEP_2) | instskip(NEXT) | instid1(VALU_DEP_2)
	v_cndmask_b32_e64 v93, v9, v11, s5
	v_cvt_f32_fp8_e32 v0, v0
	s_delay_alu instid0(VALU_DEP_1) | instskip(NEXT) | instid1(VALU_DEP_1)
	v_mul_f32_e32 v0, s8, v0
	v_bfe_u32 v9, v0, 16, 1
	v_or_b32_e32 v11, 0x400000, v0
	v_cmp_u_f32_e64 s5, v0, v0
	s_delay_alu instid0(VALU_DEP_3) | instskip(SKIP_2) | instid1(VALU_DEP_2)
	v_add3_u32 v9, v9, v0, 0x7fff
	v_bfe_u32 v0, v10, 16, 8
	s_wait_alu 0xf1ff
	v_cndmask_b32_e64 v99, v9, v11, s5
	s_delay_alu instid0(VALU_DEP_2) | instskip(NEXT) | instid1(VALU_DEP_1)
	v_cvt_f32_fp8_e32 v0, v0
	v_mul_f32_e32 v0, s8, v0
	s_delay_alu instid0(VALU_DEP_1) | instskip(SKIP_2) | instid1(VALU_DEP_3)
	v_bfe_u32 v9, v0, 16, 1
	v_or_b32_e32 v11, 0x400000, v0
	v_cmp_u_f32_e64 s5, v0, v0
	v_add3_u32 v9, v9, v0, 0x7fff
	v_lshrrev_b32_e32 v0, 24, v10
	s_wait_alu 0xf1ff
	s_delay_alu instid0(VALU_DEP_2) | instskip(NEXT) | instid1(VALU_DEP_2)
	v_cndmask_b32_e64 v9, v9, v11, s5
	v_cvt_f32_fp8_e32 v0, v0
	s_delay_alu instid0(VALU_DEP_1) | instskip(NEXT) | instid1(VALU_DEP_1)
	v_mul_f32_e32 v0, s8, v0
	v_bfe_u32 v10, v0, 16, 1
	v_or_b32_e32 v11, 0x400000, v0
	v_cmp_u_f32_e64 s5, v0, v0
	s_delay_alu instid0(VALU_DEP_3) | instskip(SKIP_1) | instid1(VALU_DEP_1)
	v_add3_u32 v10, v10, v0, 0x7fff
	s_wait_alu 0xf1ff
	v_cndmask_b32_e64 v0, v10, v11, s5
	s_wait_loadcnt 0xa
	v_and_b32_e32 v10, 0xff, v13
	s_delay_alu instid0(VALU_DEP_2) | instskip(NEXT) | instid1(VALU_DEP_2)
	v_and_b32_e32 v0, 0xffff0000, v0
	v_cvt_f32_fp8_e32 v10, v10
	s_delay_alu instid0(VALU_DEP_1) | instskip(NEXT) | instid1(VALU_DEP_1)
	v_mul_f32_e32 v10, s8, v10
	v_bfe_u32 v11, v10, 16, 1
	v_or_b32_e32 v12, 0x400000, v10
	v_cmp_u_f32_e64 s5, v10, v10
	s_delay_alu instid0(VALU_DEP_3) | instskip(SKIP_1) | instid1(VALU_DEP_1)
	v_add3_u32 v11, v11, v10, 0x7fff
	s_wait_alu 0xf1ff
	v_cndmask_b32_e64 v10, v11, v12, s5
	v_bfe_u32 v11, v13, 8, 8
	s_delay_alu instid0(VALU_DEP_1) | instskip(NEXT) | instid1(VALU_DEP_1)
	v_cvt_f32_fp8_e32 v11, v11
	v_mul_f32_e32 v11, s8, v11
	s_delay_alu instid0(VALU_DEP_1) | instskip(SKIP_2) | instid1(VALU_DEP_3)
	v_bfe_u32 v12, v11, 16, 1
	v_or_b32_e32 v14, 0x400000, v11
	v_cmp_u_f32_e64 s5, v11, v11
	v_add3_u32 v12, v12, v11, 0x7fff
	s_wait_alu 0xf1ff
	s_delay_alu instid0(VALU_DEP_1) | instskip(SKIP_2) | instid1(VALU_DEP_2)
	v_cndmask_b32_e64 v11, v12, v14, s5
	v_bfe_u32 v12, v13, 16, 8
	v_lshrrev_b32_e32 v13, 24, v13
	v_cvt_f32_fp8_e32 v12, v12
	s_delay_alu instid0(VALU_DEP_2) | instskip(NEXT) | instid1(VALU_DEP_1)
	v_cvt_f32_fp8_e32 v13, v13
	v_dual_mul_f32 v12, s8, v12 :: v_dual_mul_f32 v13, s8, v13
	s_delay_alu instid0(VALU_DEP_1) | instskip(SKIP_2) | instid1(VALU_DEP_3)
	v_bfe_u32 v14, v12, 16, 1
	v_or_b32_e32 v19, 0x400000, v12
	v_cmp_u_f32_e64 s5, v12, v12
	v_add3_u32 v14, v14, v12, 0x7fff
	s_wait_alu 0xf1ff
	s_delay_alu instid0(VALU_DEP_1) | instskip(SKIP_3) | instid1(VALU_DEP_3)
	v_cndmask_b32_e64 v12, v14, v19, s5
	v_bfe_u32 v14, v13, 16, 1
	v_or_b32_e32 v19, 0x400000, v13
	v_cmp_u_f32_e64 s5, v13, v13
	v_add3_u32 v14, v14, v13, 0x7fff
	s_wait_alu 0xf1ff
	s_delay_alu instid0(VALU_DEP_1) | instskip(SKIP_2) | instid1(VALU_DEP_1)
	v_cndmask_b32_e64 v13, v14, v19, s5
	s_wait_loadcnt 0x9
	v_and_b32_e32 v14, 0xff, v21
	v_cvt_f32_fp8_e32 v14, v14
	s_delay_alu instid0(VALU_DEP_1) | instskip(NEXT) | instid1(VALU_DEP_1)
	v_mul_f32_e32 v14, s8, v14
	v_bfe_u32 v19, v14, 16, 1
	v_or_b32_e32 v20, 0x400000, v14
	v_cmp_u_f32_e64 s5, v14, v14
	s_delay_alu instid0(VALU_DEP_3) | instskip(SKIP_1) | instid1(VALU_DEP_1)
	v_add3_u32 v19, v19, v14, 0x7fff
	s_wait_alu 0xf1ff
	v_cndmask_b32_e64 v14, v19, v20, s5
	v_bfe_u32 v19, v21, 8, 8
	s_delay_alu instid0(VALU_DEP_1) | instskip(NEXT) | instid1(VALU_DEP_1)
	v_cvt_f32_fp8_e32 v19, v19
	v_mul_f32_e32 v19, s8, v19
	s_delay_alu instid0(VALU_DEP_1) | instskip(SKIP_2) | instid1(VALU_DEP_3)
	v_bfe_u32 v20, v19, 16, 1
	v_or_b32_e32 v22, 0x400000, v19
	v_cmp_u_f32_e64 s5, v19, v19
	v_add3_u32 v20, v20, v19, 0x7fff
	s_wait_alu 0xf1ff
	s_delay_alu instid0(VALU_DEP_1) | instskip(SKIP_2) | instid1(VALU_DEP_2)
	v_cndmask_b32_e64 v19, v20, v22, s5
	v_bfe_u32 v20, v21, 16, 8
	v_lshrrev_b32_e32 v21, 24, v21
	v_cvt_f32_fp8_e32 v20, v20
	s_delay_alu instid0(VALU_DEP_2) | instskip(NEXT) | instid1(VALU_DEP_1)
	v_cvt_f32_fp8_e32 v21, v21
	v_dual_mul_f32 v20, s8, v20 :: v_dual_mul_f32 v21, s8, v21
	s_delay_alu instid0(VALU_DEP_1) | instskip(SKIP_2) | instid1(VALU_DEP_3)
	v_bfe_u32 v22, v20, 16, 1
	v_or_b32_e32 v23, 0x400000, v20
	v_cmp_u_f32_e64 s5, v20, v20
	v_add3_u32 v22, v22, v20, 0x7fff
	s_wait_alu 0xf1ff
	s_delay_alu instid0(VALU_DEP_1) | instskip(SKIP_3) | instid1(VALU_DEP_3)
	v_cndmask_b32_e64 v20, v22, v23, s5
	v_bfe_u32 v22, v21, 16, 1
	v_or_b32_e32 v23, 0x400000, v21
	v_cmp_u_f32_e64 s5, v21, v21
	v_add3_u32 v22, v22, v21, 0x7fff
	s_wait_alu 0xf1ff
	s_delay_alu instid0(VALU_DEP_1) | instskip(SKIP_2) | instid1(VALU_DEP_1)
	v_cndmask_b32_e64 v21, v22, v23, s5
	s_wait_loadcnt 0x8
	v_and_b32_e32 v22, 0xff, v25
	v_cvt_f32_fp8_e32 v22, v22
	s_delay_alu instid0(VALU_DEP_1) | instskip(NEXT) | instid1(VALU_DEP_1)
	v_mul_f32_e32 v22, s8, v22
	v_bfe_u32 v23, v22, 16, 1
	v_or_b32_e32 v24, 0x400000, v22
	v_cmp_u_f32_e64 s5, v22, v22
	s_delay_alu instid0(VALU_DEP_3) | instskip(SKIP_1) | instid1(VALU_DEP_1)
	v_add3_u32 v23, v23, v22, 0x7fff
	s_wait_alu 0xf1ff
	v_cndmask_b32_e64 v22, v23, v24, s5
	v_bfe_u32 v23, v25, 8, 8
	s_delay_alu instid0(VALU_DEP_1) | instskip(NEXT) | instid1(VALU_DEP_1)
	v_cvt_f32_fp8_e32 v23, v23
	v_mul_f32_e32 v23, s8, v23
	s_delay_alu instid0(VALU_DEP_1) | instskip(SKIP_2) | instid1(VALU_DEP_3)
	v_bfe_u32 v24, v23, 16, 1
	v_or_b32_e32 v26, 0x400000, v23
	v_cmp_u_f32_e64 s5, v23, v23
	v_add3_u32 v24, v24, v23, 0x7fff
	s_wait_alu 0xf1ff
	s_delay_alu instid0(VALU_DEP_1) | instskip(SKIP_2) | instid1(VALU_DEP_2)
	v_cndmask_b32_e64 v23, v24, v26, s5
	v_bfe_u32 v24, v25, 16, 8
	v_lshrrev_b32_e32 v25, 24, v25
	v_cvt_f32_fp8_e32 v24, v24
	s_delay_alu instid0(VALU_DEP_2) | instskip(NEXT) | instid1(VALU_DEP_1)
	v_cvt_f32_fp8_e32 v25, v25
	v_dual_mul_f32 v24, s8, v24 :: v_dual_mul_f32 v25, s8, v25
	s_delay_alu instid0(VALU_DEP_1) | instskip(SKIP_2) | instid1(VALU_DEP_3)
	v_bfe_u32 v26, v24, 16, 1
	v_or_b32_e32 v27, 0x400000, v24
	v_cmp_u_f32_e64 s5, v24, v24
	v_add3_u32 v26, v26, v24, 0x7fff
	s_wait_alu 0xf1ff
	s_delay_alu instid0(VALU_DEP_1) | instskip(SKIP_3) | instid1(VALU_DEP_3)
	v_cndmask_b32_e64 v24, v26, v27, s5
	v_bfe_u32 v26, v25, 16, 1
	v_or_b32_e32 v27, 0x400000, v25
	v_cmp_u_f32_e64 s5, v25, v25
	v_add3_u32 v26, v26, v25, 0x7fff
	s_wait_alu 0xf1ff
	s_delay_alu instid0(VALU_DEP_1) | instskip(SKIP_2) | instid1(VALU_DEP_1)
	v_cndmask_b32_e64 v25, v26, v27, s5
	s_wait_loadcnt 0x7
	v_and_b32_e32 v26, 0xff, v29
	v_cvt_f32_fp8_e32 v26, v26
	s_delay_alu instid0(VALU_DEP_1) | instskip(NEXT) | instid1(VALU_DEP_1)
	v_mul_f32_e32 v26, s8, v26
	v_bfe_u32 v27, v26, 16, 1
	v_or_b32_e32 v28, 0x400000, v26
	v_cmp_u_f32_e64 s5, v26, v26
	s_delay_alu instid0(VALU_DEP_3) | instskip(SKIP_1) | instid1(VALU_DEP_1)
	v_add3_u32 v27, v27, v26, 0x7fff
	s_wait_alu 0xf1ff
	v_cndmask_b32_e64 v26, v27, v28, s5
	v_bfe_u32 v27, v29, 8, 8
	s_delay_alu instid0(VALU_DEP_1) | instskip(NEXT) | instid1(VALU_DEP_1)
	v_cvt_f32_fp8_e32 v27, v27
	v_mul_f32_e32 v27, s8, v27
	s_delay_alu instid0(VALU_DEP_1) | instskip(SKIP_2) | instid1(VALU_DEP_3)
	v_bfe_u32 v28, v27, 16, 1
	v_or_b32_e32 v30, 0x400000, v27
	v_cmp_u_f32_e64 s5, v27, v27
	v_add3_u32 v28, v28, v27, 0x7fff
	s_wait_alu 0xf1ff
	s_delay_alu instid0(VALU_DEP_1) | instskip(SKIP_2) | instid1(VALU_DEP_2)
	v_cndmask_b32_e64 v27, v28, v30, s5
	v_bfe_u32 v28, v29, 16, 8
	v_lshrrev_b32_e32 v29, 24, v29
	v_cvt_f32_fp8_e32 v28, v28
	s_delay_alu instid0(VALU_DEP_2) | instskip(NEXT) | instid1(VALU_DEP_1)
	v_cvt_f32_fp8_e32 v29, v29
	v_dual_mul_f32 v28, s8, v28 :: v_dual_mul_f32 v29, s8, v29
	s_delay_alu instid0(VALU_DEP_1) | instskip(SKIP_2) | instid1(VALU_DEP_3)
	v_bfe_u32 v30, v28, 16, 1
	v_or_b32_e32 v31, 0x400000, v28
	v_cmp_u_f32_e64 s5, v28, v28
	v_add3_u32 v30, v30, v28, 0x7fff
	s_wait_alu 0xf1ff
	s_delay_alu instid0(VALU_DEP_1) | instskip(SKIP_3) | instid1(VALU_DEP_3)
	v_cndmask_b32_e64 v28, v30, v31, s5
	v_bfe_u32 v30, v29, 16, 1
	v_or_b32_e32 v31, 0x400000, v29
	v_cmp_u_f32_e64 s5, v29, v29
	v_add3_u32 v30, v30, v29, 0x7fff
	s_wait_alu 0xf1ff
	s_delay_alu instid0(VALU_DEP_1) | instskip(SKIP_2) | instid1(VALU_DEP_1)
	v_cndmask_b32_e64 v29, v30, v31, s5
	s_wait_loadcnt 0x6
	v_and_b32_e32 v30, 0xff, v33
	v_cvt_f32_fp8_e32 v30, v30
	s_delay_alu instid0(VALU_DEP_1) | instskip(NEXT) | instid1(VALU_DEP_1)
	v_mul_f32_e32 v30, s8, v30
	v_bfe_u32 v31, v30, 16, 1
	v_or_b32_e32 v32, 0x400000, v30
	v_cmp_u_f32_e64 s5, v30, v30
	s_delay_alu instid0(VALU_DEP_3) | instskip(SKIP_1) | instid1(VALU_DEP_1)
	v_add3_u32 v31, v31, v30, 0x7fff
	s_wait_alu 0xf1ff
	v_cndmask_b32_e64 v30, v31, v32, s5
	v_bfe_u32 v31, v33, 8, 8
	s_delay_alu instid0(VALU_DEP_1) | instskip(NEXT) | instid1(VALU_DEP_1)
	v_cvt_f32_fp8_e32 v31, v31
	v_mul_f32_e32 v31, s8, v31
	s_delay_alu instid0(VALU_DEP_1) | instskip(SKIP_2) | instid1(VALU_DEP_3)
	v_bfe_u32 v32, v31, 16, 1
	v_or_b32_e32 v34, 0x400000, v31
	v_cmp_u_f32_e64 s5, v31, v31
	v_add3_u32 v32, v32, v31, 0x7fff
	s_wait_alu 0xf1ff
	s_delay_alu instid0(VALU_DEP_1) | instskip(SKIP_2) | instid1(VALU_DEP_2)
	v_cndmask_b32_e64 v31, v32, v34, s5
	v_bfe_u32 v32, v33, 16, 8
	v_lshrrev_b32_e32 v33, 24, v33
	v_cvt_f32_fp8_e32 v32, v32
	s_delay_alu instid0(VALU_DEP_2) | instskip(NEXT) | instid1(VALU_DEP_1)
	v_cvt_f32_fp8_e32 v33, v33
	v_dual_mul_f32 v32, s8, v32 :: v_dual_mul_f32 v33, s8, v33
	s_delay_alu instid0(VALU_DEP_1) | instskip(SKIP_2) | instid1(VALU_DEP_3)
	v_bfe_u32 v34, v32, 16, 1
	v_or_b32_e32 v35, 0x400000, v32
	v_cmp_u_f32_e64 s5, v32, v32
	v_add3_u32 v34, v34, v32, 0x7fff
	s_wait_alu 0xf1ff
	s_delay_alu instid0(VALU_DEP_1) | instskip(SKIP_3) | instid1(VALU_DEP_3)
	v_cndmask_b32_e64 v32, v34, v35, s5
	v_bfe_u32 v34, v33, 16, 1
	v_or_b32_e32 v35, 0x400000, v33
	v_cmp_u_f32_e64 s5, v33, v33
	v_add3_u32 v34, v34, v33, 0x7fff
	s_wait_alu 0xf1ff
	s_delay_alu instid0(VALU_DEP_1) | instskip(SKIP_2) | instid1(VALU_DEP_1)
	v_cndmask_b32_e64 v33, v34, v35, s5
	s_wait_loadcnt 0x5
	v_and_b32_e32 v34, 0xff, v37
	v_cvt_f32_fp8_e32 v34, v34
	s_delay_alu instid0(VALU_DEP_1) | instskip(NEXT) | instid1(VALU_DEP_1)
	v_mul_f32_e32 v34, s8, v34
	v_bfe_u32 v35, v34, 16, 1
	v_or_b32_e32 v36, 0x400000, v34
	v_cmp_u_f32_e64 s5, v34, v34
	s_delay_alu instid0(VALU_DEP_3) | instskip(SKIP_1) | instid1(VALU_DEP_1)
	v_add3_u32 v35, v35, v34, 0x7fff
	s_wait_alu 0xf1ff
	v_cndmask_b32_e64 v34, v35, v36, s5
	v_bfe_u32 v35, v37, 8, 8
	s_delay_alu instid0(VALU_DEP_1) | instskip(NEXT) | instid1(VALU_DEP_1)
	v_cvt_f32_fp8_e32 v35, v35
	v_mul_f32_e32 v35, s8, v35
	s_delay_alu instid0(VALU_DEP_1) | instskip(SKIP_2) | instid1(VALU_DEP_3)
	v_bfe_u32 v36, v35, 16, 1
	v_or_b32_e32 v38, 0x400000, v35
	v_cmp_u_f32_e64 s5, v35, v35
	v_add3_u32 v36, v36, v35, 0x7fff
	s_wait_alu 0xf1ff
	s_delay_alu instid0(VALU_DEP_1) | instskip(SKIP_2) | instid1(VALU_DEP_2)
	v_cndmask_b32_e64 v35, v36, v38, s5
	v_bfe_u32 v36, v37, 16, 8
	v_lshrrev_b32_e32 v37, 24, v37
	v_cvt_f32_fp8_e32 v36, v36
	s_delay_alu instid0(VALU_DEP_2) | instskip(NEXT) | instid1(VALU_DEP_1)
	v_cvt_f32_fp8_e32 v37, v37
	v_dual_mul_f32 v36, s8, v36 :: v_dual_mul_f32 v37, s8, v37
	s_delay_alu instid0(VALU_DEP_1) | instskip(SKIP_2) | instid1(VALU_DEP_3)
	v_bfe_u32 v38, v36, 16, 1
	v_or_b32_e32 v39, 0x400000, v36
	v_cmp_u_f32_e64 s5, v36, v36
	v_add3_u32 v38, v38, v36, 0x7fff
	s_wait_alu 0xf1ff
	s_delay_alu instid0(VALU_DEP_1) | instskip(SKIP_3) | instid1(VALU_DEP_3)
	v_cndmask_b32_e64 v36, v38, v39, s5
	v_bfe_u32 v38, v37, 16, 1
	v_or_b32_e32 v39, 0x400000, v37
	v_cmp_u_f32_e64 s5, v37, v37
	v_add3_u32 v38, v38, v37, 0x7fff
	s_wait_alu 0xf1ff
	s_delay_alu instid0(VALU_DEP_1) | instskip(SKIP_2) | instid1(VALU_DEP_1)
	v_cndmask_b32_e64 v37, v38, v39, s5
	s_wait_loadcnt 0x4
	v_and_b32_e32 v38, 0xff, v41
	v_cvt_f32_fp8_e32 v38, v38
	s_delay_alu instid0(VALU_DEP_1) | instskip(NEXT) | instid1(VALU_DEP_1)
	v_mul_f32_e32 v38, s8, v38
	v_bfe_u32 v39, v38, 16, 1
	v_or_b32_e32 v40, 0x400000, v38
	v_cmp_u_f32_e64 s5, v38, v38
	s_delay_alu instid0(VALU_DEP_3) | instskip(SKIP_1) | instid1(VALU_DEP_1)
	v_add3_u32 v39, v39, v38, 0x7fff
	s_wait_alu 0xf1ff
	v_cndmask_b32_e64 v38, v39, v40, s5
	v_bfe_u32 v39, v41, 8, 8
	s_delay_alu instid0(VALU_DEP_1) | instskip(NEXT) | instid1(VALU_DEP_1)
	v_cvt_f32_fp8_e32 v39, v39
	v_mul_f32_e32 v39, s8, v39
	s_delay_alu instid0(VALU_DEP_1) | instskip(SKIP_2) | instid1(VALU_DEP_3)
	v_bfe_u32 v40, v39, 16, 1
	v_or_b32_e32 v42, 0x400000, v39
	v_cmp_u_f32_e64 s5, v39, v39
	v_add3_u32 v40, v40, v39, 0x7fff
	s_wait_alu 0xf1ff
	s_delay_alu instid0(VALU_DEP_1) | instskip(SKIP_2) | instid1(VALU_DEP_2)
	v_cndmask_b32_e64 v39, v40, v42, s5
	v_bfe_u32 v40, v41, 16, 8
	v_lshrrev_b32_e32 v41, 24, v41
	v_cvt_f32_fp8_e32 v40, v40
	s_delay_alu instid0(VALU_DEP_2) | instskip(NEXT) | instid1(VALU_DEP_1)
	v_cvt_f32_fp8_e32 v41, v41
	v_dual_mul_f32 v40, s8, v40 :: v_dual_mul_f32 v41, s8, v41
	s_delay_alu instid0(VALU_DEP_1) | instskip(SKIP_2) | instid1(VALU_DEP_3)
	v_bfe_u32 v42, v40, 16, 1
	v_or_b32_e32 v43, 0x400000, v40
	v_cmp_u_f32_e64 s5, v40, v40
	v_add3_u32 v42, v42, v40, 0x7fff
	s_wait_alu 0xf1ff
	s_delay_alu instid0(VALU_DEP_1) | instskip(SKIP_3) | instid1(VALU_DEP_3)
	v_cndmask_b32_e64 v40, v42, v43, s5
	v_bfe_u32 v42, v41, 16, 1
	v_or_b32_e32 v43, 0x400000, v41
	v_cmp_u_f32_e64 s5, v41, v41
	v_add3_u32 v42, v42, v41, 0x7fff
	s_wait_alu 0xf1ff
	s_delay_alu instid0(VALU_DEP_1) | instskip(SKIP_2) | instid1(VALU_DEP_1)
	v_cndmask_b32_e64 v41, v42, v43, s5
	s_wait_loadcnt 0x3
	v_and_b32_e32 v42, 0xff, v45
	v_cvt_f32_fp8_e32 v42, v42
	s_delay_alu instid0(VALU_DEP_1) | instskip(NEXT) | instid1(VALU_DEP_1)
	v_mul_f32_e32 v42, s8, v42
	v_bfe_u32 v43, v42, 16, 1
	v_or_b32_e32 v44, 0x400000, v42
	v_cmp_u_f32_e64 s5, v42, v42
	s_delay_alu instid0(VALU_DEP_3) | instskip(SKIP_1) | instid1(VALU_DEP_1)
	v_add3_u32 v43, v43, v42, 0x7fff
	s_wait_alu 0xf1ff
	v_cndmask_b32_e64 v42, v43, v44, s5
	v_bfe_u32 v43, v45, 8, 8
	s_delay_alu instid0(VALU_DEP_1) | instskip(NEXT) | instid1(VALU_DEP_1)
	v_cvt_f32_fp8_e32 v43, v43
	v_mul_f32_e32 v43, s8, v43
	s_delay_alu instid0(VALU_DEP_1) | instskip(SKIP_2) | instid1(VALU_DEP_3)
	v_bfe_u32 v44, v43, 16, 1
	v_or_b32_e32 v46, 0x400000, v43
	v_cmp_u_f32_e64 s5, v43, v43
	v_add3_u32 v44, v44, v43, 0x7fff
	s_wait_alu 0xf1ff
	s_delay_alu instid0(VALU_DEP_1) | instskip(SKIP_2) | instid1(VALU_DEP_2)
	v_cndmask_b32_e64 v43, v44, v46, s5
	v_bfe_u32 v44, v45, 16, 8
	v_lshrrev_b32_e32 v45, 24, v45
	v_cvt_f32_fp8_e32 v44, v44
	s_delay_alu instid0(VALU_DEP_2) | instskip(NEXT) | instid1(VALU_DEP_1)
	v_cvt_f32_fp8_e32 v45, v45
	v_dual_mul_f32 v44, s8, v44 :: v_dual_mul_f32 v45, s8, v45
	s_delay_alu instid0(VALU_DEP_1) | instskip(SKIP_2) | instid1(VALU_DEP_3)
	v_bfe_u32 v46, v44, 16, 1
	v_or_b32_e32 v47, 0x400000, v44
	v_cmp_u_f32_e64 s5, v44, v44
	v_add3_u32 v46, v46, v44, 0x7fff
	s_wait_alu 0xf1ff
	s_delay_alu instid0(VALU_DEP_1) | instskip(SKIP_3) | instid1(VALU_DEP_3)
	v_cndmask_b32_e64 v44, v46, v47, s5
	v_bfe_u32 v46, v45, 16, 1
	v_or_b32_e32 v47, 0x400000, v45
	v_cmp_u_f32_e64 s5, v45, v45
	v_add3_u32 v46, v46, v45, 0x7fff
	s_wait_alu 0xf1ff
	s_delay_alu instid0(VALU_DEP_1) | instskip(SKIP_2) | instid1(VALU_DEP_1)
	v_cndmask_b32_e64 v45, v46, v47, s5
	s_wait_loadcnt 0x2
	v_and_b32_e32 v46, 0xff, v49
	v_cvt_f32_fp8_e32 v46, v46
	s_delay_alu instid0(VALU_DEP_1) | instskip(NEXT) | instid1(VALU_DEP_1)
	v_mul_f32_e32 v46, s8, v46
	v_bfe_u32 v47, v46, 16, 1
	v_or_b32_e32 v48, 0x400000, v46
	v_cmp_u_f32_e64 s5, v46, v46
	s_delay_alu instid0(VALU_DEP_3) | instskip(SKIP_1) | instid1(VALU_DEP_1)
	v_add3_u32 v47, v47, v46, 0x7fff
	s_wait_alu 0xf1ff
	v_cndmask_b32_e64 v46, v47, v48, s5
	v_bfe_u32 v47, v49, 8, 8
	s_delay_alu instid0(VALU_DEP_1) | instskip(NEXT) | instid1(VALU_DEP_1)
	v_cvt_f32_fp8_e32 v47, v47
	v_mul_f32_e32 v47, s8, v47
	s_delay_alu instid0(VALU_DEP_1) | instskip(SKIP_2) | instid1(VALU_DEP_3)
	v_bfe_u32 v48, v47, 16, 1
	v_or_b32_e32 v50, 0x400000, v47
	v_cmp_u_f32_e64 s5, v47, v47
	v_add3_u32 v48, v48, v47, 0x7fff
	s_wait_alu 0xf1ff
	s_delay_alu instid0(VALU_DEP_1) | instskip(SKIP_2) | instid1(VALU_DEP_2)
	v_cndmask_b32_e64 v47, v48, v50, s5
	v_bfe_u32 v48, v49, 16, 8
	v_lshrrev_b32_e32 v49, 24, v49
	v_cvt_f32_fp8_e32 v48, v48
	s_delay_alu instid0(VALU_DEP_2) | instskip(NEXT) | instid1(VALU_DEP_1)
	v_cvt_f32_fp8_e32 v49, v49
	v_dual_mul_f32 v48, s8, v48 :: v_dual_mul_f32 v49, s8, v49
	s_delay_alu instid0(VALU_DEP_1) | instskip(SKIP_2) | instid1(VALU_DEP_3)
	v_bfe_u32 v50, v48, 16, 1
	v_or_b32_e32 v51, 0x400000, v48
	v_cmp_u_f32_e64 s5, v48, v48
	v_add3_u32 v50, v50, v48, 0x7fff
	s_wait_alu 0xf1ff
	s_delay_alu instid0(VALU_DEP_1) | instskip(SKIP_3) | instid1(VALU_DEP_3)
	v_cndmask_b32_e64 v48, v50, v51, s5
	v_bfe_u32 v50, v49, 16, 1
	v_or_b32_e32 v51, 0x400000, v49
	v_cmp_u_f32_e64 s5, v49, v49
	v_add3_u32 v50, v50, v49, 0x7fff
	s_wait_alu 0xf1ff
	s_delay_alu instid0(VALU_DEP_1) | instskip(SKIP_2) | instid1(VALU_DEP_1)
	v_cndmask_b32_e64 v49, v50, v51, s5
	s_wait_loadcnt 0x1
	v_and_b32_e32 v50, 0xff, v53
	v_cvt_f32_fp8_e32 v50, v50
	s_delay_alu instid0(VALU_DEP_1) | instskip(NEXT) | instid1(VALU_DEP_1)
	v_mul_f32_e32 v50, s8, v50
	v_bfe_u32 v51, v50, 16, 1
	v_or_b32_e32 v52, 0x400000, v50
	v_cmp_u_f32_e64 s5, v50, v50
	s_delay_alu instid0(VALU_DEP_3) | instskip(SKIP_1) | instid1(VALU_DEP_1)
	v_add3_u32 v51, v51, v50, 0x7fff
	s_wait_alu 0xf1ff
	v_cndmask_b32_e64 v50, v51, v52, s5
	v_bfe_u32 v51, v53, 8, 8
	s_delay_alu instid0(VALU_DEP_1) | instskip(NEXT) | instid1(VALU_DEP_1)
	v_cvt_f32_fp8_e32 v51, v51
	v_mul_f32_e32 v51, s8, v51
	s_delay_alu instid0(VALU_DEP_1) | instskip(SKIP_2) | instid1(VALU_DEP_3)
	v_bfe_u32 v52, v51, 16, 1
	v_or_b32_e32 v54, 0x400000, v51
	v_cmp_u_f32_e64 s5, v51, v51
	v_add3_u32 v52, v52, v51, 0x7fff
	s_wait_alu 0xf1ff
	s_delay_alu instid0(VALU_DEP_1) | instskip(SKIP_2) | instid1(VALU_DEP_2)
	v_cndmask_b32_e64 v51, v52, v54, s5
	v_bfe_u32 v52, v53, 16, 8
	v_lshrrev_b32_e32 v53, 24, v53
	v_cvt_f32_fp8_e32 v52, v52
	s_delay_alu instid0(VALU_DEP_2) | instskip(NEXT) | instid1(VALU_DEP_1)
	v_cvt_f32_fp8_e32 v53, v53
	v_dual_mul_f32 v52, s8, v52 :: v_dual_mul_f32 v53, s8, v53
	s_delay_alu instid0(VALU_DEP_1) | instskip(SKIP_2) | instid1(VALU_DEP_3)
	v_bfe_u32 v54, v52, 16, 1
	v_or_b32_e32 v55, 0x400000, v52
	v_cmp_u_f32_e64 s5, v52, v52
	v_add3_u32 v54, v54, v52, 0x7fff
	s_wait_alu 0xf1ff
	s_delay_alu instid0(VALU_DEP_1) | instskip(SKIP_3) | instid1(VALU_DEP_3)
	v_cndmask_b32_e64 v52, v54, v55, s5
	v_bfe_u32 v54, v53, 16, 1
	v_or_b32_e32 v55, 0x400000, v53
	v_cmp_u_f32_e64 s5, v53, v53
	v_add3_u32 v54, v54, v53, 0x7fff
	s_wait_alu 0xf1ff
	s_delay_alu instid0(VALU_DEP_1) | instskip(SKIP_2) | instid1(VALU_DEP_1)
	v_cndmask_b32_e64 v53, v54, v55, s5
	s_wait_loadcnt 0x0
	v_and_b32_e32 v54, 0xff, v57
	v_cvt_f32_fp8_e32 v54, v54
	s_delay_alu instid0(VALU_DEP_1) | instskip(NEXT) | instid1(VALU_DEP_1)
	v_mul_f32_e32 v54, s8, v54
	v_bfe_u32 v55, v54, 16, 1
	v_or_b32_e32 v56, 0x400000, v54
	v_cmp_u_f32_e64 s5, v54, v54
	s_delay_alu instid0(VALU_DEP_3) | instskip(SKIP_1) | instid1(VALU_DEP_1)
	v_add3_u32 v55, v55, v54, 0x7fff
	s_wait_alu 0xf1ff
	v_cndmask_b32_e64 v54, v55, v56, s5
	v_bfe_u32 v55, v57, 8, 8
	s_delay_alu instid0(VALU_DEP_1) | instskip(NEXT) | instid1(VALU_DEP_1)
	v_cvt_f32_fp8_e32 v55, v55
	v_mul_f32_e32 v55, s8, v55
	s_delay_alu instid0(VALU_DEP_1) | instskip(SKIP_2) | instid1(VALU_DEP_3)
	v_bfe_u32 v56, v55, 16, 1
	v_or_b32_e32 v58, 0x400000, v55
	v_cmp_u_f32_e64 s5, v55, v55
	v_add3_u32 v56, v56, v55, 0x7fff
	s_wait_alu 0xf1ff
	s_delay_alu instid0(VALU_DEP_1) | instskip(SKIP_2) | instid1(VALU_DEP_2)
	v_cndmask_b32_e64 v55, v56, v58, s5
	v_bfe_u32 v56, v57, 16, 8
	v_lshrrev_b32_e32 v57, 24, v57
	v_cvt_f32_fp8_e32 v56, v56
	s_delay_alu instid0(VALU_DEP_2) | instskip(NEXT) | instid1(VALU_DEP_1)
	v_cvt_f32_fp8_e32 v57, v57
	v_dual_mul_f32 v56, s8, v56 :: v_dual_mul_f32 v57, s8, v57
	s_delay_alu instid0(VALU_DEP_1) | instskip(SKIP_2) | instid1(VALU_DEP_3)
	v_bfe_u32 v58, v56, 16, 1
	v_or_b32_e32 v59, 0x400000, v56
	v_cmp_u_f32_e64 s5, v56, v56
	v_add3_u32 v58, v58, v56, 0x7fff
	s_wait_alu 0xf1ff
	s_delay_alu instid0(VALU_DEP_1) | instskip(SKIP_3) | instid1(VALU_DEP_3)
	v_cndmask_b32_e64 v56, v58, v59, s5
	v_bfe_u32 v58, v57, 16, 1
	v_or_b32_e32 v59, 0x400000, v57
	v_cmp_u_f32_e64 s5, v57, v57
	v_add3_u32 v58, v58, v57, 0x7fff
	s_wait_alu 0xf1ff
	s_delay_alu instid0(VALU_DEP_1)
	v_cndmask_b32_e64 v57, v58, v59, s5
	s_clause 0x7
	global_load_b32 v59, v[5:6], off offset:3072
	global_load_b32 v63, v[5:6], off offset:3080
	;; [unrolled: 1-line block ×8, first 2 shown]
	s_wait_loadcnt 0x7
	v_and_b32_e32 v5, 0xff, v59
	s_delay_alu instid0(VALU_DEP_1) | instskip(NEXT) | instid1(VALU_DEP_1)
	v_cvt_f32_fp8_e32 v5, v5
	v_mul_f32_e32 v5, s8, v5
	s_delay_alu instid0(VALU_DEP_1) | instskip(SKIP_2) | instid1(VALU_DEP_3)
	v_bfe_u32 v6, v5, 16, 1
	v_or_b32_e32 v58, 0x400000, v5
	v_cmp_u_f32_e64 s5, v5, v5
	v_add3_u32 v6, v6, v5, 0x7fff
	s_wait_alu 0xf1ff
	s_delay_alu instid0(VALU_DEP_1) | instskip(SKIP_1) | instid1(VALU_DEP_1)
	v_cndmask_b32_e64 v5, v6, v58, s5
	v_bfe_u32 v6, v59, 8, 8
	v_cvt_f32_fp8_e32 v6, v6
	s_delay_alu instid0(VALU_DEP_1) | instskip(NEXT) | instid1(VALU_DEP_1)
	v_mul_f32_e32 v6, s8, v6
	v_bfe_u32 v58, v6, 16, 1
	v_or_b32_e32 v60, 0x400000, v6
	v_cmp_u_f32_e64 s5, v6, v6
	s_delay_alu instid0(VALU_DEP_3) | instskip(SKIP_1) | instid1(VALU_DEP_1)
	v_add3_u32 v58, v58, v6, 0x7fff
	s_wait_alu 0xf1ff
	v_cndmask_b32_e64 v6, v58, v60, s5
	v_bfe_u32 v58, v59, 16, 8
	v_lshrrev_b32_e32 v59, 24, v59
	s_delay_alu instid0(VALU_DEP_2) | instskip(NEXT) | instid1(VALU_DEP_2)
	v_cvt_f32_fp8_e32 v58, v58
	v_cvt_f32_fp8_e32 v59, v59
	s_delay_alu instid0(VALU_DEP_1) | instskip(NEXT) | instid1(VALU_DEP_1)
	v_dual_mul_f32 v58, s8, v58 :: v_dual_mul_f32 v59, s8, v59
	v_bfe_u32 v60, v58, 16, 1
	v_or_b32_e32 v61, 0x400000, v58
	v_cmp_u_f32_e64 s5, v58, v58
	s_delay_alu instid0(VALU_DEP_3) | instskip(SKIP_1) | instid1(VALU_DEP_1)
	v_add3_u32 v60, v60, v58, 0x7fff
	s_wait_alu 0xf1ff
	v_cndmask_b32_e64 v58, v60, v61, s5
	v_bfe_u32 v60, v59, 16, 1
	v_or_b32_e32 v61, 0x400000, v59
	v_cmp_u_f32_e64 s5, v59, v59
	s_delay_alu instid0(VALU_DEP_3) | instskip(SKIP_1) | instid1(VALU_DEP_1)
	v_add3_u32 v60, v60, v59, 0x7fff
	s_wait_alu 0xf1ff
	v_cndmask_b32_e64 v59, v60, v61, s5
	s_wait_loadcnt 0x6
	v_and_b32_e32 v60, 0xff, v63
	s_delay_alu instid0(VALU_DEP_1) | instskip(NEXT) | instid1(VALU_DEP_1)
	v_cvt_f32_fp8_e32 v60, v60
	v_mul_f32_e32 v60, s8, v60
	s_delay_alu instid0(VALU_DEP_1) | instskip(SKIP_2) | instid1(VALU_DEP_3)
	v_bfe_u32 v61, v60, 16, 1
	v_or_b32_e32 v62, 0x400000, v60
	v_cmp_u_f32_e64 s5, v60, v60
	v_add3_u32 v61, v61, v60, 0x7fff
	s_wait_alu 0xf1ff
	s_delay_alu instid0(VALU_DEP_1) | instskip(SKIP_1) | instid1(VALU_DEP_1)
	v_cndmask_b32_e64 v60, v61, v62, s5
	v_bfe_u32 v61, v63, 8, 8
	v_cvt_f32_fp8_e32 v61, v61
	s_delay_alu instid0(VALU_DEP_1) | instskip(NEXT) | instid1(VALU_DEP_1)
	v_mul_f32_e32 v61, s8, v61
	v_bfe_u32 v62, v61, 16, 1
	v_or_b32_e32 v64, 0x400000, v61
	v_cmp_u_f32_e64 s5, v61, v61
	s_delay_alu instid0(VALU_DEP_3) | instskip(SKIP_1) | instid1(VALU_DEP_1)
	v_add3_u32 v62, v62, v61, 0x7fff
	s_wait_alu 0xf1ff
	v_cndmask_b32_e64 v61, v62, v64, s5
	v_bfe_u32 v62, v63, 16, 8
	v_lshrrev_b32_e32 v63, 24, v63
	s_delay_alu instid0(VALU_DEP_2) | instskip(NEXT) | instid1(VALU_DEP_2)
	v_cvt_f32_fp8_e32 v62, v62
	v_cvt_f32_fp8_e32 v63, v63
	s_delay_alu instid0(VALU_DEP_1) | instskip(NEXT) | instid1(VALU_DEP_1)
	v_dual_mul_f32 v62, s8, v62 :: v_dual_mul_f32 v63, s8, v63
	v_bfe_u32 v64, v62, 16, 1
	v_or_b32_e32 v65, 0x400000, v62
	v_cmp_u_f32_e64 s5, v62, v62
	s_delay_alu instid0(VALU_DEP_3) | instskip(SKIP_1) | instid1(VALU_DEP_1)
	v_add3_u32 v64, v64, v62, 0x7fff
	s_wait_alu 0xf1ff
	v_cndmask_b32_e64 v62, v64, v65, s5
	v_bfe_u32 v64, v63, 16, 1
	v_or_b32_e32 v65, 0x400000, v63
	v_cmp_u_f32_e64 s5, v63, v63
	s_delay_alu instid0(VALU_DEP_3) | instskip(SKIP_1) | instid1(VALU_DEP_1)
	v_add3_u32 v64, v64, v63, 0x7fff
	s_wait_alu 0xf1ff
	v_cndmask_b32_e64 v63, v64, v65, s5
	s_wait_loadcnt 0x5
	v_and_b32_e32 v64, 0xff, v67
	s_delay_alu instid0(VALU_DEP_1) | instskip(NEXT) | instid1(VALU_DEP_1)
	v_cvt_f32_fp8_e32 v64, v64
	v_mul_f32_e32 v64, s8, v64
	s_delay_alu instid0(VALU_DEP_1) | instskip(SKIP_2) | instid1(VALU_DEP_3)
	v_bfe_u32 v65, v64, 16, 1
	v_or_b32_e32 v66, 0x400000, v64
	v_cmp_u_f32_e64 s5, v64, v64
	v_add3_u32 v65, v65, v64, 0x7fff
	s_wait_alu 0xf1ff
	s_delay_alu instid0(VALU_DEP_1) | instskip(SKIP_1) | instid1(VALU_DEP_1)
	v_cndmask_b32_e64 v64, v65, v66, s5
	v_bfe_u32 v65, v67, 8, 8
	v_cvt_f32_fp8_e32 v65, v65
	s_delay_alu instid0(VALU_DEP_1) | instskip(NEXT) | instid1(VALU_DEP_1)
	v_mul_f32_e32 v65, s8, v65
	v_bfe_u32 v66, v65, 16, 1
	v_or_b32_e32 v68, 0x400000, v65
	v_cmp_u_f32_e64 s5, v65, v65
	s_delay_alu instid0(VALU_DEP_3) | instskip(SKIP_3) | instid1(VALU_DEP_3)
	v_add3_u32 v66, v66, v65, 0x7fff
	v_bfe_u32 v65, v67, 16, 8
	v_lshrrev_b32_e32 v67, 24, v67
	s_wait_alu 0xf1ff
	v_cndmask_b32_e64 v66, v66, v68, s5
	s_delay_alu instid0(VALU_DEP_3) | instskip(NEXT) | instid1(VALU_DEP_3)
	v_cvt_f32_fp8_e32 v65, v65
	v_cvt_f32_fp8_e32 v67, v67
	s_delay_alu instid0(VALU_DEP_2) | instskip(NEXT) | instid1(VALU_DEP_2)
	v_mul_f32_e32 v65, s8, v65
	v_mul_f32_e32 v67, s8, v67
	s_delay_alu instid0(VALU_DEP_2) | instskip(SKIP_2) | instid1(VALU_DEP_3)
	v_bfe_u32 v68, v65, 16, 1
	v_or_b32_e32 v69, 0x400000, v65
	v_cmp_u_f32_e64 s5, v65, v65
	v_add3_u32 v68, v68, v65, 0x7fff
	s_wait_alu 0xf1ff
	s_delay_alu instid0(VALU_DEP_1) | instskip(SKIP_3) | instid1(VALU_DEP_3)
	v_cndmask_b32_e64 v65, v68, v69, s5
	v_bfe_u32 v68, v67, 16, 1
	v_or_b32_e32 v69, 0x400000, v67
	v_cmp_u_f32_e64 s5, v67, v67
	v_add3_u32 v68, v68, v67, 0x7fff
	s_wait_alu 0xf1ff
	s_delay_alu instid0(VALU_DEP_1) | instskip(SKIP_2) | instid1(VALU_DEP_1)
	v_cndmask_b32_e64 v67, v68, v69, s5
	s_wait_loadcnt 0x4
	v_and_b32_e32 v68, 0xff, v71
	v_cvt_f32_fp8_e32 v68, v68
	s_delay_alu instid0(VALU_DEP_1) | instskip(NEXT) | instid1(VALU_DEP_1)
	v_mul_f32_e32 v68, s8, v68
	v_bfe_u32 v69, v68, 16, 1
	v_or_b32_e32 v70, 0x400000, v68
	v_cmp_u_f32_e64 s5, v68, v68
	s_delay_alu instid0(VALU_DEP_3) | instskip(SKIP_1) | instid1(VALU_DEP_1)
	v_add3_u32 v69, v69, v68, 0x7fff
	s_wait_alu 0xf1ff
	v_cndmask_b32_e64 v68, v69, v70, s5
	v_bfe_u32 v69, v71, 8, 8
	s_delay_alu instid0(VALU_DEP_1) | instskip(NEXT) | instid1(VALU_DEP_1)
	v_cvt_f32_fp8_e32 v69, v69
	v_mul_f32_e32 v69, s8, v69
	s_delay_alu instid0(VALU_DEP_1) | instskip(SKIP_2) | instid1(VALU_DEP_3)
	v_bfe_u32 v70, v69, 16, 1
	v_or_b32_e32 v72, 0x400000, v69
	v_cmp_u_f32_e64 s5, v69, v69
	v_add3_u32 v70, v70, v69, 0x7fff
	s_wait_alu 0xf1ff
	s_delay_alu instid0(VALU_DEP_1) | instskip(SKIP_2) | instid1(VALU_DEP_2)
	v_cndmask_b32_e64 v69, v70, v72, s5
	v_bfe_u32 v70, v71, 16, 8
	v_lshrrev_b32_e32 v71, 24, v71
	v_cvt_f32_fp8_e32 v70, v70
	s_delay_alu instid0(VALU_DEP_2) | instskip(NEXT) | instid1(VALU_DEP_1)
	v_cvt_f32_fp8_e32 v71, v71
	v_dual_mul_f32 v70, s8, v70 :: v_dual_mul_f32 v71, s8, v71
	s_delay_alu instid0(VALU_DEP_1) | instskip(SKIP_2) | instid1(VALU_DEP_3)
	v_bfe_u32 v72, v70, 16, 1
	v_or_b32_e32 v73, 0x400000, v70
	v_cmp_u_f32_e64 s5, v70, v70
	v_add3_u32 v72, v72, v70, 0x7fff
	s_wait_alu 0xf1ff
	s_delay_alu instid0(VALU_DEP_1) | instskip(SKIP_3) | instid1(VALU_DEP_3)
	v_cndmask_b32_e64 v70, v72, v73, s5
	v_bfe_u32 v72, v71, 16, 1
	v_or_b32_e32 v73, 0x400000, v71
	v_cmp_u_f32_e64 s5, v71, v71
	v_add3_u32 v72, v72, v71, 0x7fff
	s_wait_alu 0xf1ff
	s_delay_alu instid0(VALU_DEP_1) | instskip(SKIP_2) | instid1(VALU_DEP_1)
	v_cndmask_b32_e64 v71, v72, v73, s5
	s_wait_loadcnt 0x3
	v_and_b32_e32 v72, 0xff, v75
	v_cvt_f32_fp8_e32 v72, v72
	s_delay_alu instid0(VALU_DEP_1) | instskip(NEXT) | instid1(VALU_DEP_1)
	v_mul_f32_e32 v72, s8, v72
	v_bfe_u32 v73, v72, 16, 1
	v_or_b32_e32 v74, 0x400000, v72
	v_cmp_u_f32_e64 s5, v72, v72
	s_delay_alu instid0(VALU_DEP_3) | instskip(SKIP_1) | instid1(VALU_DEP_1)
	v_add3_u32 v73, v73, v72, 0x7fff
	s_wait_alu 0xf1ff
	v_cndmask_b32_e64 v72, v73, v74, s5
	v_bfe_u32 v73, v75, 8, 8
	s_delay_alu instid0(VALU_DEP_1) | instskip(NEXT) | instid1(VALU_DEP_1)
	v_cvt_f32_fp8_e32 v73, v73
	v_mul_f32_e32 v73, s8, v73
	s_delay_alu instid0(VALU_DEP_1) | instskip(SKIP_2) | instid1(VALU_DEP_3)
	v_bfe_u32 v74, v73, 16, 1
	v_or_b32_e32 v76, 0x400000, v73
	v_cmp_u_f32_e64 s5, v73, v73
	v_add3_u32 v74, v74, v73, 0x7fff
	s_wait_alu 0xf1ff
	s_delay_alu instid0(VALU_DEP_1) | instskip(SKIP_2) | instid1(VALU_DEP_2)
	v_cndmask_b32_e64 v73, v74, v76, s5
	v_bfe_u32 v74, v75, 16, 8
	v_lshrrev_b32_e32 v75, 24, v75
	v_cvt_f32_fp8_e32 v74, v74
	s_delay_alu instid0(VALU_DEP_2) | instskip(NEXT) | instid1(VALU_DEP_1)
	v_cvt_f32_fp8_e32 v75, v75
	v_dual_mul_f32 v74, s8, v74 :: v_dual_mul_f32 v75, s8, v75
	s_delay_alu instid0(VALU_DEP_1) | instskip(SKIP_2) | instid1(VALU_DEP_3)
	v_bfe_u32 v76, v74, 16, 1
	v_or_b32_e32 v77, 0x400000, v74
	v_cmp_u_f32_e64 s5, v74, v74
	v_add3_u32 v76, v76, v74, 0x7fff
	s_wait_alu 0xf1ff
	s_delay_alu instid0(VALU_DEP_1) | instskip(SKIP_3) | instid1(VALU_DEP_3)
	v_cndmask_b32_e64 v74, v76, v77, s5
	v_bfe_u32 v76, v75, 16, 1
	v_or_b32_e32 v77, 0x400000, v75
	v_cmp_u_f32_e64 s5, v75, v75
	v_add3_u32 v76, v76, v75, 0x7fff
	s_wait_loadcnt 0x2
	v_and_b32_e32 v75, 0xff, v79
	s_wait_alu 0xf1ff
	s_delay_alu instid0(VALU_DEP_2) | instskip(NEXT) | instid1(VALU_DEP_2)
	v_cndmask_b32_e64 v76, v76, v77, s5
	v_cvt_f32_fp8_e32 v75, v75
	s_delay_alu instid0(VALU_DEP_1) | instskip(NEXT) | instid1(VALU_DEP_1)
	v_mul_f32_e32 v75, s8, v75
	v_bfe_u32 v77, v75, 16, 1
	v_or_b32_e32 v78, 0x400000, v75
	v_cmp_u_f32_e64 s5, v75, v75
	s_delay_alu instid0(VALU_DEP_3) | instskip(SKIP_1) | instid1(VALU_DEP_1)
	v_add3_u32 v77, v77, v75, 0x7fff
	s_wait_alu 0xf1ff
	v_cndmask_b32_e64 v75, v77, v78, s5
	v_bfe_u32 v77, v79, 8, 8
	s_delay_alu instid0(VALU_DEP_1) | instskip(NEXT) | instid1(VALU_DEP_1)
	v_cvt_f32_fp8_e32 v77, v77
	v_mul_f32_e32 v77, s8, v77
	s_delay_alu instid0(VALU_DEP_1) | instskip(SKIP_2) | instid1(VALU_DEP_3)
	v_bfe_u32 v78, v77, 16, 1
	v_or_b32_e32 v80, 0x400000, v77
	v_cmp_u_f32_e64 s5, v77, v77
	v_add3_u32 v78, v78, v77, 0x7fff
	s_wait_alu 0xf1ff
	s_delay_alu instid0(VALU_DEP_1) | instskip(SKIP_2) | instid1(VALU_DEP_2)
	v_cndmask_b32_e64 v77, v78, v80, s5
	v_bfe_u32 v78, v79, 16, 8
	v_lshrrev_b32_e32 v79, 24, v79
	v_cvt_f32_fp8_e32 v78, v78
	s_delay_alu instid0(VALU_DEP_2) | instskip(NEXT) | instid1(VALU_DEP_1)
	v_cvt_f32_fp8_e32 v79, v79
	v_dual_mul_f32 v78, s8, v78 :: v_dual_mul_f32 v79, s8, v79
	s_delay_alu instid0(VALU_DEP_1) | instskip(SKIP_2) | instid1(VALU_DEP_3)
	v_bfe_u32 v80, v78, 16, 1
	v_or_b32_e32 v81, 0x400000, v78
	v_cmp_u_f32_e64 s5, v78, v78
	v_add3_u32 v80, v80, v78, 0x7fff
	s_wait_alu 0xf1ff
	s_delay_alu instid0(VALU_DEP_1) | instskip(SKIP_3) | instid1(VALU_DEP_3)
	v_cndmask_b32_e64 v78, v80, v81, s5
	v_bfe_u32 v80, v79, 16, 1
	v_or_b32_e32 v81, 0x400000, v79
	v_cmp_u_f32_e64 s5, v79, v79
	v_add3_u32 v80, v80, v79, 0x7fff
	s_wait_alu 0xf1ff
	s_delay_alu instid0(VALU_DEP_1) | instskip(SKIP_2) | instid1(VALU_DEP_1)
	v_cndmask_b32_e64 v79, v80, v81, s5
	s_wait_loadcnt 0x1
	v_and_b32_e32 v80, 0xff, v83
	v_cvt_f32_fp8_e32 v80, v80
	s_delay_alu instid0(VALU_DEP_1) | instskip(NEXT) | instid1(VALU_DEP_1)
	v_mul_f32_e32 v80, s8, v80
	v_bfe_u32 v81, v80, 16, 1
	v_or_b32_e32 v82, 0x400000, v80
	v_cmp_u_f32_e64 s5, v80, v80
	s_delay_alu instid0(VALU_DEP_3) | instskip(SKIP_1) | instid1(VALU_DEP_1)
	v_add3_u32 v81, v81, v80, 0x7fff
	s_wait_alu 0xf1ff
	v_cndmask_b32_e64 v80, v81, v82, s5
	v_bfe_u32 v81, v83, 8, 8
	s_delay_alu instid0(VALU_DEP_1) | instskip(NEXT) | instid1(VALU_DEP_1)
	v_cvt_f32_fp8_e32 v81, v81
	v_mul_f32_e32 v81, s8, v81
	s_delay_alu instid0(VALU_DEP_1) | instskip(SKIP_2) | instid1(VALU_DEP_3)
	v_bfe_u32 v82, v81, 16, 1
	v_or_b32_e32 v84, 0x400000, v81
	v_cmp_u_f32_e64 s5, v81, v81
	v_add3_u32 v82, v82, v81, 0x7fff
	s_wait_alu 0xf1ff
	s_delay_alu instid0(VALU_DEP_1) | instskip(SKIP_2) | instid1(VALU_DEP_2)
	v_cndmask_b32_e64 v81, v82, v84, s5
	v_bfe_u32 v82, v83, 16, 8
	v_lshrrev_b32_e32 v83, 24, v83
	v_cvt_f32_fp8_e32 v82, v82
	s_delay_alu instid0(VALU_DEP_2) | instskip(NEXT) | instid1(VALU_DEP_1)
	v_cvt_f32_fp8_e32 v83, v83
	v_dual_mul_f32 v82, s8, v82 :: v_dual_mul_f32 v83, s8, v83
	s_delay_alu instid0(VALU_DEP_1) | instskip(SKIP_2) | instid1(VALU_DEP_3)
	v_bfe_u32 v84, v82, 16, 1
	v_or_b32_e32 v85, 0x400000, v82
	v_cmp_u_f32_e64 s5, v82, v82
	v_add3_u32 v84, v84, v82, 0x7fff
	s_wait_alu 0xf1ff
	s_delay_alu instid0(VALU_DEP_1) | instskip(SKIP_3) | instid1(VALU_DEP_3)
	v_cndmask_b32_e64 v82, v84, v85, s5
	v_bfe_u32 v84, v83, 16, 1
	v_or_b32_e32 v85, 0x400000, v83
	v_cmp_u_f32_e64 s5, v83, v83
	v_add3_u32 v84, v84, v83, 0x7fff
	s_wait_alu 0xf1ff
	s_delay_alu instid0(VALU_DEP_1) | instskip(SKIP_2) | instid1(VALU_DEP_1)
	v_cndmask_b32_e64 v83, v84, v85, s5
	s_wait_loadcnt 0x0
	v_and_b32_e32 v84, 0xff, v86
	v_cvt_f32_fp8_e32 v84, v84
	s_delay_alu instid0(VALU_DEP_1) | instskip(NEXT) | instid1(VALU_DEP_1)
	v_mul_f32_e32 v84, s8, v84
	v_bfe_u32 v85, v84, 16, 1
	v_or_b32_e32 v87, 0x400000, v84
	v_cmp_u_f32_e64 s5, v84, v84
	s_delay_alu instid0(VALU_DEP_3) | instskip(SKIP_1) | instid1(VALU_DEP_1)
	v_add3_u32 v85, v85, v84, 0x7fff
	s_wait_alu 0xf1ff
	v_cndmask_b32_e64 v84, v85, v87, s5
	v_bfe_u32 v85, v86, 8, 8
	s_delay_alu instid0(VALU_DEP_1) | instskip(NEXT) | instid1(VALU_DEP_1)
	v_cvt_f32_fp8_e32 v85, v85
	v_mul_f32_e32 v85, s8, v85
	s_delay_alu instid0(VALU_DEP_1) | instskip(SKIP_2) | instid1(VALU_DEP_3)
	v_bfe_u32 v87, v85, 16, 1
	v_or_b32_e32 v88, 0x400000, v85
	v_cmp_u_f32_e64 s5, v85, v85
	v_add3_u32 v87, v87, v85, 0x7fff
	s_wait_alu 0xf1ff
	s_delay_alu instid0(VALU_DEP_1) | instskip(SKIP_2) | instid1(VALU_DEP_2)
	v_cndmask_b32_e64 v85, v87, v88, s5
	v_bfe_u32 v87, v86, 16, 8
	v_lshrrev_b32_e32 v86, 24, v86
	v_cvt_f32_fp8_e32 v87, v87
	s_delay_alu instid0(VALU_DEP_2) | instskip(NEXT) | instid1(VALU_DEP_1)
	v_cvt_f32_fp8_e32 v86, v86
	v_dual_mul_f32 v87, s8, v87 :: v_dual_mul_f32 v86, s8, v86
	s_delay_alu instid0(VALU_DEP_1) | instskip(SKIP_2) | instid1(VALU_DEP_3)
	v_bfe_u32 v88, v87, 16, 1
	v_or_b32_e32 v89, 0x400000, v87
	v_cmp_u_f32_e64 s5, v87, v87
	v_add3_u32 v88, v88, v87, 0x7fff
	s_wait_alu 0xf1ff
	s_delay_alu instid0(VALU_DEP_1) | instskip(SKIP_3) | instid1(VALU_DEP_3)
	v_cndmask_b32_e64 v87, v88, v89, s5
	v_bfe_u32 v88, v86, 16, 1
	v_or_b32_e32 v89, 0x400000, v86
	v_cmp_u_f32_e64 s5, v86, v86
	v_add3_u32 v88, v88, v86, 0x7fff
	s_wait_alu 0xf1ff
	s_delay_alu instid0(VALU_DEP_1) | instskip(SKIP_4) | instid1(VALU_DEP_1)
	v_cndmask_b32_e64 v86, v88, v89, s5
	v_and_b32_e32 v89, 0xffff0000, v152
	scratch_load_b32 v152, off, off offset:16 ; 4-byte Folded Reload
	v_and_b32_e32 v88, 0xffff0000, v159
	s_wait_loadcnt 0x0
	v_mul_f32_e32 v152, v152, v88
	scratch_load_b32 v88, off, off          ; 4-byte Folded Reload
	s_wait_loadcnt 0x0
	v_dual_fmac_f32 v152, v88, v89 :: v_dual_and_b32 v89, 0xffff0000, v151
	scratch_load_b32 v151, off, off offset:20 ; 4-byte Folded Reload
	v_and_b32_e32 v88, 0xffff0000, v157
	s_wait_loadcnt 0x0
	s_delay_alu instid0(VALU_DEP_1)
	v_mul_f32_e32 v151, v151, v88
	scratch_load_b32 v88, off, off offset:4 ; 4-byte Folded Reload
	s_wait_loadcnt 0x0
	v_fmac_f32_e32 v151, v88, v89
	v_and_b32_e32 v89, 0xffff0000, v150
	scratch_load_b32 v150, off, off offset:24 ; 4-byte Folded Reload
	v_and_b32_e32 v88, 0xffff0000, v156
	s_wait_loadcnt 0x0
	s_delay_alu instid0(VALU_DEP_1)
	v_mul_f32_e32 v150, v150, v88
	scratch_load_b32 v88, off, off offset:8 ; 4-byte Folded Reload
	s_wait_loadcnt 0x0
	v_fmac_f32_e32 v150, v88, v89
	v_and_b32_e32 v89, 0xffff0000, v149
	scratch_load_b32 v149, off, off offset:28 ; 4-byte Folded Reload
	v_and_b32_e32 v88, 0xffff0000, v154
	s_wait_loadcnt 0x0
	s_delay_alu instid0(VALU_DEP_1)
	v_mul_f32_e32 v149, v149, v88
	scratch_load_b32 v88, off, off offset:12 ; 4-byte Folded Reload
	s_wait_loadcnt 0x0
	v_fmac_f32_e32 v149, v88, v89
	scratch_load_b32 v89, off, off offset:32 ; 4-byte Folded Reload
	v_and_b32_e32 v88, 0xffff0000, v153
	s_wait_loadcnt 0x0
	s_delay_alu instid0(VALU_DEP_1) | instskip(SKIP_3) | instid1(VALU_DEP_1)
	v_fmac_f32_e32 v152, v89, v88
	scratch_load_b32 v89, off, off offset:36 ; 4-byte Folded Reload
	v_and_b32_e32 v88, 0xffff0000, v155
	s_wait_loadcnt 0x0
	v_fmac_f32_e32 v151, v89, v88
	scratch_load_b32 v89, off, off offset:40 ; 4-byte Folded Reload
	v_and_b32_e32 v88, 0xffff0000, v158
	s_wait_loadcnt 0x0
	s_delay_alu instid0(VALU_DEP_1) | instskip(SKIP_3) | instid1(VALU_DEP_1)
	v_fmac_f32_e32 v150, v89, v88
	scratch_load_b32 v89, off, off offset:44 ; 4-byte Folded Reload
	v_and_b32_e32 v88, 0xffff0000, v160
	;; [unrolled: 9-line block ×17, first 2 shown]
	s_wait_loadcnt 0x0
	v_fmac_f32_e32 v151, v89, v88
	scratch_load_b32 v89, off, off offset:168 ; 4-byte Folded Reload
	v_and_b32_e32 v88, 0xffff0000, v191
	s_wait_loadcnt 0x0
	s_delay_alu instid0(VALU_DEP_1)
	v_fmac_f32_e32 v150, v89, v88
	scratch_load_b32 v88, off, off offset:172 ; 4-byte Folded Reload
	s_wait_loadcnt 0x0
	v_dual_fmac_f32 v149, v88, v8 :: v_dual_and_b32 v8, 0xffff0000, v15
	scratch_load_b32 v15, off, off offset:176 ; 4-byte Folded Reload
	s_wait_loadcnt 0x0
	v_fmac_f32_e32 v152, v15, v8
	scratch_load_b32 v15, off, off offset:180 ; 4-byte Folded Reload
	v_and_b32_e32 v8, 0xffff0000, v16
	s_wait_loadcnt 0x0
	s_delay_alu instid0(VALU_DEP_1)
	v_fmac_f32_e32 v151, v15, v8
	scratch_load_b32 v8, off, off offset:184 ; 4-byte Folded Reload
	s_wait_loadcnt 0x0
	v_fmac_f32_e32 v150, v8, v7
	scratch_load_b32 v8, off, off offset:188 ; 4-byte Folded Reload
	v_and_b32_e32 v7, 0xffff0000, v17
	s_wait_loadcnt 0x0
	s_delay_alu instid0(VALU_DEP_1) | instskip(SKIP_3) | instid1(VALU_DEP_1)
	v_fmac_f32_e32 v149, v8, v7
	scratch_load_b32 v8, off, off offset:192 ; 4-byte Folded Reload
	v_and_b32_e32 v7, 0xffff0000, v93
	s_wait_loadcnt 0x0
	v_fmac_f32_e32 v152, v8, v7
	scratch_load_b32 v8, off, off offset:196 ; 4-byte Folded Reload
	v_and_b32_e32 v7, 0xffff0000, v99
	s_wait_loadcnt 0x0
	s_delay_alu instid0(VALU_DEP_1) | instskip(SKIP_3) | instid1(VALU_DEP_1)
	v_fmac_f32_e32 v151, v8, v7
	scratch_load_b32 v8, off, off offset:200 ; 4-byte Folded Reload
	v_and_b32_e32 v7, 0xffff0000, v9
	s_wait_loadcnt 0x0
	v_fmac_f32_e32 v150, v8, v7
	scratch_load_b32 v7, off, off offset:204 ; 4-byte Folded Reload
	s_wait_loadcnt 0x0
	v_fmac_f32_e32 v149, v7, v0
	scratch_load_b32 v7, off, off offset:208 ; 4-byte Folded Reload
	v_and_b32_e32 v0, 0xffff0000, v10
	s_wait_loadcnt 0x0
	s_delay_alu instid0(VALU_DEP_1) | instskip(SKIP_3) | instid1(VALU_DEP_1)
	v_fmac_f32_e32 v152, v7, v0
	scratch_load_b32 v7, off, off offset:212 ; 4-byte Folded Reload
	v_and_b32_e32 v0, 0xffff0000, v11
	s_wait_loadcnt 0x0
	v_fmac_f32_e32 v151, v7, v0
	scratch_load_b32 v7, off, off offset:216 ; 4-byte Folded Reload
	v_and_b32_e32 v0, 0xffff0000, v12
	s_wait_loadcnt 0x0
	s_delay_alu instid0(VALU_DEP_1) | instskip(SKIP_3) | instid1(VALU_DEP_1)
	v_fmac_f32_e32 v150, v7, v0
	scratch_load_b32 v7, off, off offset:220 ; 4-byte Folded Reload
	v_and_b32_e32 v0, 0xffff0000, v13
	;; [unrolled: 9-line block ×12, first 2 shown]
	s_wait_loadcnt 0x0
	v_dual_fmac_f32 v149, v7, v0 :: v_dual_and_b32 v0, 0xffff0000, v38
	s_delay_alu instid0(VALU_DEP_1) | instskip(SKIP_1) | instid1(VALU_DEP_1)
	v_fmac_f32_e32 v152, v90, v0
	v_and_b32_e32 v0, 0xffff0000, v39
	v_fmac_f32_e32 v151, v91, v0
	v_and_b32_e32 v0, 0xffff0000, v40
	s_delay_alu instid0(VALU_DEP_1) | instskip(SKIP_1) | instid1(VALU_DEP_1)
	v_fmac_f32_e32 v150, v92, v0
	v_and_b32_e32 v0, 0xffff0000, v41
	v_dual_fmac_f32 v149, v94, v0 :: v_dual_and_b32 v0, 0xffff0000, v42
	s_delay_alu instid0(VALU_DEP_1) | instskip(SKIP_1) | instid1(VALU_DEP_1)
	v_fmac_f32_e32 v152, v95, v0
	v_and_b32_e32 v0, 0xffff0000, v43
	v_fmac_f32_e32 v151, v96, v0
	v_and_b32_e32 v0, 0xffff0000, v44
	s_delay_alu instid0(VALU_DEP_1) | instskip(SKIP_1) | instid1(VALU_DEP_1)
	v_fmac_f32_e32 v150, v97, v0
	v_and_b32_e32 v0, 0xffff0000, v45
	;; [unrolled: 9-line block ×5, first 2 shown]
	v_dual_fmac_f32 v149, v111, v0 :: v_dual_and_b32 v0, 0xffff0000, v5
	s_delay_alu instid0(VALU_DEP_1) | instskip(SKIP_1) | instid1(VALU_DEP_1)
	v_dual_fmac_f32 v152, v112, v0 :: v_dual_and_b32 v5, 0xffff0000, v86
	v_and_b32_e32 v0, 0xffff0000, v6
	v_dual_fmac_f32 v151, v113, v0 :: v_dual_and_b32 v0, 0xffff0000, v58
	s_delay_alu instid0(VALU_DEP_1) | instskip(SKIP_1) | instid1(VALU_DEP_1)
	v_fmac_f32_e32 v150, v114, v0
	v_and_b32_e32 v0, 0xffff0000, v59
	v_fmac_f32_e32 v149, v115, v0
	v_and_b32_e32 v0, 0xffff0000, v60
	s_delay_alu instid0(VALU_DEP_1) | instskip(SKIP_1) | instid1(VALU_DEP_1)
	v_fmac_f32_e32 v152, v116, v0
	v_and_b32_e32 v0, 0xffff0000, v61
	v_dual_fmac_f32 v151, v117, v0 :: v_dual_and_b32 v0, 0xffff0000, v62
	s_delay_alu instid0(VALU_DEP_1) | instskip(SKIP_1) | instid1(VALU_DEP_1)
	v_fmac_f32_e32 v150, v118, v0
	v_and_b32_e32 v0, 0xffff0000, v63
	v_fmac_f32_e32 v149, v119, v0
	v_and_b32_e32 v0, 0xffff0000, v64
	s_delay_alu instid0(VALU_DEP_1) | instskip(SKIP_1) | instid1(VALU_DEP_1)
	v_fmac_f32_e32 v152, v120, v0
	;; [unrolled: 9-line block ×4, first 2 shown]
	v_and_b32_e32 v0, 0xffff0000, v73
	v_dual_fmac_f32 v151, v129, v0 :: v_dual_and_b32 v0, 0xffff0000, v74
	s_delay_alu instid0(VALU_DEP_1) | instskip(SKIP_1) | instid1(VALU_DEP_1)
	v_fmac_f32_e32 v150, v130, v0
	v_and_b32_e32 v0, 0xffff0000, v76
	v_dual_fmac_f32 v149, v131, v0 :: v_dual_and_b32 v0, 0xffff0000, v75
	s_delay_alu instid0(VALU_DEP_1) | instskip(SKIP_1) | instid1(VALU_DEP_1)
	v_fmac_f32_e32 v152, v132, v0
	;; [unrolled: 4-line block ×3, first 2 shown]
	v_and_b32_e32 v0, 0xffff0000, v79
	v_fmac_f32_e32 v149, v135, v0
	v_and_b32_e32 v0, 0xffff0000, v80
	s_delay_alu instid0(VALU_DEP_1) | instskip(SKIP_1) | instid1(VALU_DEP_1)
	v_fmac_f32_e32 v152, v136, v0
	v_and_b32_e32 v0, 0xffff0000, v81
	v_dual_fmac_f32 v151, v137, v0 :: v_dual_and_b32 v0, 0xffff0000, v82
	s_delay_alu instid0(VALU_DEP_1) | instskip(SKIP_1) | instid1(VALU_DEP_1)
	v_fmac_f32_e32 v150, v138, v0
	v_and_b32_e32 v0, 0xffff0000, v83
	v_fmac_f32_e32 v149, v139, v0
	s_delay_alu instid0(VALU_DEP_1) | instskip(NEXT) | instid1(VALU_DEP_1)
	v_dual_fmac_f32 v149, v143, v5 :: v_dual_and_b32 v0, 0xffff0000, v84
	v_fmac_f32_e32 v152, v140, v0
	v_and_b32_e32 v0, 0xffff0000, v85
	s_delay_alu instid0(VALU_DEP_1) | instskip(NEXT) | instid1(VALU_DEP_1)
	v_dual_fmac_f32 v151, v141, v0 :: v_dual_and_b32 v0, 0xffff0000, v87
	v_fmac_f32_e32 v150, v142, v0
	s_delay_alu instid0(VALU_DEP_2) | instskip(NEXT) | instid1(VALU_DEP_1)
	v_add_f32_e32 v0, v152, v151
	v_add_f32_e32 v0, v0, v150
	s_delay_alu instid0(VALU_DEP_1)
	v_add_f32_e32 v0, v149, v0
	ds_bpermute_b32 v5, v146, v0
	s_and_saveexec_b32 s6, vcc_lo
	s_cbranch_execz .LBB348_9
; %bb.11:                               ;   in Loop: Header=BB348_10 Depth=1
	s_wait_dscnt 0x0
	v_add_f32_e32 v0, v0, v5
	v_add_nc_u32_e32 v6, s15, v145
	v_cmp_gt_i32_e64 s5, s21, v145
	s_delay_alu instid0(VALU_DEP_2) | instskip(NEXT) | instid1(VALU_DEP_1)
	v_cvt_f32_i32_e32 v6, v6
	v_mul_f32_e32 v6, s12, v6
	s_delay_alu instid0(VALU_DEP_1) | instskip(SKIP_1) | instid1(VALU_DEP_2)
	v_cndmask_b32_e64 v5, 0, v6, s4
	v_max_num_f32_e32 v6, v144, v144
	v_fmac_f32_e32 v5, s7, v0
	s_delay_alu instid0(VALU_DEP_1) | instskip(SKIP_2) | instid1(VALU_DEP_2)
	v_max_num_f32_e32 v0, v6, v5
	s_wait_alu 0xf1ff
	v_cndmask_b32_e64 v5, 0, v5, s5
	v_cndmask_b32_e64 v144, v144, v0, s5
	ds_store_b32 v147, v5
	s_branch .LBB348_9
.LBB348_12:
	s_or_b32 exec_lo, exec_lo, s9
	s_clause 0x4
	scratch_load_b32 v185, off, off offset:304
	scratch_load_b32 v186, off, off offset:308
	;; [unrolled: 1-line block ×5, first 2 shown]
	v_dual_mov_b32 v10, 32 :: v_dual_lshlrev_b32 v17, 2, v18
	v_mov_b32_e32 v9, 0
	s_wait_loadcnt 0x4
	v_lshrrev_b32_e32 v184, 1, v185
.LBB348_13:
	s_or_b32 exec_lo, exec_lo, s13
	s_wait_loadcnt 0x0
	v_xor_b32_e32 v0, 16, v23
	v_xor_b32_e32 v1, 8, v23
	s_clause 0x1
	s_load_b128 s[12:15], s[0:1], 0x0
	s_load_b64 s[6:7], s[0:1], 0x10
	s_wait_kmcnt 0x0
	s_load_b64 s[8:9], s[0:1], 0x28
	v_and_b32_e32 v19, 31, v185
	v_lshlrev_b32_e32 v6, 2, v187
	v_cmp_lt_i32_e32 vcc_lo, v0, v10
	s_wait_alu 0xfffd
	v_cndmask_b32_e32 v0, v23, v0, vcc_lo
	v_cmp_lt_i32_e32 vcc_lo, v1, v10
	s_wait_alu 0xfffd
	s_delay_alu instid0(VALU_DEP_2)
	v_dual_cndmask_b32 v1, v23, v1 :: v_dual_lshlrev_b32 v2, 2, v0
	v_max_num_f32_e32 v3, v144, v144
	ds_bpermute_b32 v0, v2, v144
	v_lshlrev_b32_e32 v4, 2, v1
	s_wait_dscnt 0x0
	v_max_num_f32_e32 v0, v0, v0
	s_delay_alu instid0(VALU_DEP_1) | instskip(SKIP_1) | instid1(VALU_DEP_1)
	v_max_num_f32_e32 v0, v3, v0
	v_xor_b32_e32 v3, 4, v23
	v_cmp_lt_i32_e32 vcc_lo, v3, v10
	s_wait_alu 0xfffd
	v_cndmask_b32_e32 v3, v23, v3, vcc_lo
	s_delay_alu instid0(VALU_DEP_1) | instskip(SKIP_2) | instid1(VALU_DEP_1)
	v_lshlrev_b32_e32 v5, 2, v3
	ds_bpermute_b32 v1, v4, v0
	v_xor_b32_e32 v3, 2, v23
	v_cmp_lt_i32_e32 vcc_lo, v3, v10
	s_wait_alu 0xfffd
	v_cndmask_b32_e32 v3, v23, v3, vcc_lo
	v_cmp_eq_u32_e32 vcc_lo, 0, v19
	s_wait_dscnt 0x0
	v_max_num_f32_e32 v1, v1, v1
	s_delay_alu instid0(VALU_DEP_1) | instskip(SKIP_3) | instid1(VALU_DEP_1)
	v_max_num_f32_e32 v0, v0, v1
	ds_bpermute_b32 v1, v5, v0
	s_wait_dscnt 0x0
	v_max_num_f32_e32 v1, v1, v1
	v_dual_max_num_f32 v0, v0, v1 :: v_dual_lshlrev_b32 v1, 2, v3
	ds_bpermute_b32 v3, v1, v0
	s_and_saveexec_b32 s0, vcc_lo
	s_cbranch_execz .LBB348_15
; %bb.14:
	s_wait_dscnt 0x0
	v_dual_max_num_f32 v3, v3, v3 :: v_dual_max_num_f32 v0, v0, v0
	s_delay_alu instid0(VALU_DEP_1)
	v_max_num_f32_e32 v0, v0, v3
	ds_store_b32 v6, v0 offset:512
.LBB348_15:
	s_or_b32 exec_lo, exec_lo, s0
	v_cmp_gt_u32_e64 s0, 4, v19
	v_dual_mov_b32 v0, 0xff7fffff :: v_dual_lshlrev_b32 v7, 2, v19
	s_wait_storecnt_dscnt 0x0
	s_barrier_signal -1
	s_barrier_wait -1
	global_inv scope:SCOPE_SE
	s_and_saveexec_b32 s1, s0
; %bb.16:
	ds_load_b32 v0, v7 offset:512
; %bb.17:
	s_or_b32 exec_lo, exec_lo, s1
	s_wait_dscnt 0x0
	ds_bpermute_b32 v3, v1, v0
	v_xor_b32_e32 v8, 1, v23
	v_max_num_f32_e32 v0, v0, v0
	s_delay_alu instid0(VALU_DEP_2) | instskip(NEXT) | instid1(VALU_DEP_1)
	v_cmp_lt_i32_e64 s1, v8, v10
	v_cndmask_b32_e64 v8, v23, v8, s1
	s_sub_co_i32 s1, s23, s33
	s_wait_alu 0xfffe
	s_lshl_b32 s1, s1, 4
	s_delay_alu instid0(VALU_DEP_1)
	v_lshlrev_b32_e32 v20, 2, v8
	s_wait_alu 0xfffe
	s_add_co_i32 s1, s1, s20
	v_mov_b32_e32 v8, 0
	s_wait_alu 0xfffe
	s_min_i32 s1, s1, s21
	s_wait_dscnt 0x0
	v_max_num_f32_e32 v3, v3, v3
	s_wait_alu 0xfffe
	s_sub_co_i32 s5, s1, s20
	s_wait_alu 0xfffe
	v_cmp_gt_i32_e64 s1, s5, v185
	v_max_num_f32_e32 v0, v0, v3
	ds_bpermute_b32 v3, v20, v0
	s_wait_dscnt 0x0
	v_max_num_f32_e32 v3, v3, v3
	s_delay_alu instid0(VALU_DEP_1)
	v_dual_max_num_f32 v0, v0, v3 :: v_dual_lshlrev_b32 v3, 2, v9
	ds_bpermute_b32 v0, v3, v0
	v_lshl_add_u32 v3, v185, 2, 0x220
	s_and_saveexec_b32 s19, s1
	s_cbranch_execz .LBB348_21
; %bb.18:
	v_lshl_add_u32 v9, v185, 2, 0x220
	v_mov_b32_e32 v8, 0
	v_mov_b32_e32 v10, v185
	s_mov_b32 s33, 0
.LBB348_19:                             ; =>This Inner Loop Header: Depth=1
	ds_load_b32 v11, v9
	v_add_nc_u32_e32 v10, 0x80, v10
	s_delay_alu instid0(VALU_DEP_1) | instskip(SKIP_4) | instid1(VALU_DEP_1)
	v_cmp_le_i32_e64 s4, s5, v10
	s_wait_alu 0xfffe
	s_or_b32 s33, s4, s33
	s_wait_dscnt 0x0
	v_sub_f32_e32 v11, v11, v0
	v_mul_f32_e32 v11, 0x3fb8aa3b, v11
	s_delay_alu instid0(VALU_DEP_1)
	v_exp_f32_e32 v11, v11
	ds_store_b32 v9, v11
	v_dual_add_f32 v8, v8, v11 :: v_dual_add_nc_u32 v9, 0x200, v9
	s_wait_alu 0xfffe
	s_and_not1_b32 exec_lo, exec_lo, s33
	s_cbranch_execnz .LBB348_19
; %bb.20:
	s_or_b32 exec_lo, exec_lo, s33
.LBB348_21:
	s_delay_alu instid0(SALU_CYCLE_1)
	s_or_b32 exec_lo, exec_lo, s19
	ds_bpermute_b32 v2, v2, v8
	s_wait_dscnt 0x0
	v_add_f32_e32 v2, v8, v2
	ds_bpermute_b32 v4, v4, v2
	s_wait_dscnt 0x0
	v_add_f32_e32 v2, v2, v4
	;; [unrolled: 3-line block ×5, first 2 shown]
	s_and_saveexec_b32 s4, vcc_lo
; %bb.22:
	ds_store_b32 v6, v2 offset:528
; %bb.23:
	s_wait_alu 0xfffe
	s_or_b32 exec_lo, exec_lo, s4
	s_wait_loadcnt_dscnt 0x0
	s_barrier_signal -1
	s_barrier_wait -1
	global_inv scope:SCOPE_SE
	s_and_saveexec_b32 s4, s0
; %bb.24:
	ds_load_b32 v2, v7 offset:528
; %bb.25:
	s_wait_alu 0xfffe
	s_or_b32 exec_lo, exec_lo, s4
	s_wait_dscnt 0x0
	ds_bpermute_b32 v1, v1, v2
	s_wait_dscnt 0x0
	v_dual_add_f32 v1, v2, v1 :: v_dual_lshlrev_b32 v4, 2, v23
	ds_bpermute_b32 v2, v20, v1
	s_wait_dscnt 0x0
	v_dual_add_f32 v1, v1, v2 :: v_dual_and_b32 v2, 0xffffff80, v4
	ds_bpermute_b32 v1, v2, v1
	s_and_saveexec_b32 s0, s1
	s_cbranch_execz .LBB348_28
; %bb.26:
	s_wait_dscnt 0x0
	v_add_f32_e32 v2, 0x358637bd, v1
	s_mov_b32 s1, 0
	s_delay_alu instid0(VALU_DEP_1) | instskip(SKIP_1) | instid1(VALU_DEP_2)
	v_div_scale_f32 v4, null, v2, v2, 1.0
	v_div_scale_f32 v7, vcc_lo, 1.0, v2, 1.0
	v_rcp_f32_e32 v5, v4
	s_delay_alu instid0(TRANS32_DEP_1) | instskip(NEXT) | instid1(VALU_DEP_1)
	v_fma_f32 v6, -v4, v5, 1.0
	v_fmac_f32_e32 v5, v6, v5
	s_delay_alu instid0(VALU_DEP_1) | instskip(NEXT) | instid1(VALU_DEP_1)
	v_mul_f32_e32 v6, v7, v5
	v_fma_f32 v8, -v4, v6, v7
	s_delay_alu instid0(VALU_DEP_1) | instskip(NEXT) | instid1(VALU_DEP_1)
	v_fmac_f32_e32 v6, v8, v5
	v_fma_f32 v4, -v4, v6, v7
	s_wait_alu 0xfffd
	s_delay_alu instid0(VALU_DEP_1) | instskip(NEXT) | instid1(VALU_DEP_1)
	v_div_fmas_f32 v4, v4, v5, v6
	v_div_fixup_f32 v2, v4, v2, 1.0
	v_mov_b32_e32 v4, v185
.LBB348_27:                             ; =>This Inner Loop Header: Depth=1
	ds_load_b32 v5, v3
	s_wait_dscnt 0x0
	v_dual_mul_f32 v5, v2, v5 :: v_dual_add_nc_u32 v4, 0x80, v4
	s_delay_alu instid0(VALU_DEP_1)
	v_cmp_le_i32_e32 vcc_lo, s5, v4
	ds_store_b32 v3, v5
	v_add_nc_u32_e32 v3, 0x200, v3
	s_wait_alu 0xfffe
	s_or_b32 s1, vcc_lo, s1
	s_wait_alu 0xfffe
	s_and_not1_b32 exec_lo, exec_lo, s1
	s_cbranch_execnz .LBB348_27
.LBB348_28:
	s_wait_alu 0xfffe
	s_or_b32 exec_lo, exec_lo, s0
	s_mul_i32 s0, s16, s29
	s_wait_loadcnt_dscnt 0x0
	s_wait_alu 0xfffe
	s_mul_i32 s4, s0, s30
	s_mov_b32 s0, exec_lo
	s_barrier_signal -1
	s_barrier_wait -1
	global_inv scope:SCOPE_SE
	v_cmpx_eq_u32_e32 0, v185
	s_cbranch_execz .LBB348_30
; %bb.29:
	s_wait_alu 0xfffe
	s_ashr_i32 s5, s4, 31
	s_mul_i32 s34, s16, ttmp9
	s_lshl_b32 s1, s28, 2
	s_wait_alu 0xfffe
	s_lshl_b64 s[36:37], s[4:5], 2
	s_ashr_i32 s35, s34, 31
	v_mov_b32_e32 v2, s1
	s_add_nc_u64 s[14:15], s[14:15], s[36:37]
	s_lshl_b64 s[28:29], s[34:35], 2
	s_add_nc_u64 s[12:13], s[12:13], s[36:37]
	s_wait_alu 0xfffe
	s_add_nc_u64 s[14:15], s[14:15], s[28:29]
	s_add_nc_u64 s[12:13], s[12:13], s[28:29]
	s_clause 0x1
	global_store_b32 v2, v0, s[14:15]
	global_store_b32 v2, v1, s[12:13]
.LBB348_30:
	s_wait_alu 0xfffe
	s_or_b32 exec_lo, exec_lo, s0
	v_dual_mov_b32 v35, 0 :: v_dual_mov_b32 v36, 0
	v_dual_mov_b32 v34, 0 :: v_dual_mov_b32 v33, 0
	;; [unrolled: 1-line block ×8, first 2 shown]
	s_and_saveexec_b32 s1, s3
	s_cbranch_execz .LBB348_66
; %bb.31:
	s_load_b32 s3, s[10:11], 0x0
	v_dual_mov_b32 v23, 0 :: v_dual_and_b32 v2, 0xf8, v12
	s_ashr_i32 s19, s18, 31
	v_dual_mov_b32 v22, 0 :: v_dual_lshlrev_b32 v1, 5, v186
	s_wait_kmcnt 0x0
	s_add_nc_u64 s[8:9], s[8:9], s[18:19]
	v_dual_mov_b32 v21, 0 :: v_dual_and_b32 v0, 8, v12
	s_wait_alu 0xfffe
	v_add_co_u32 v9, s0, s8, v2
	s_wait_alu 0xf1ff
	v_add_co_ci_u32_e64 v10, null, s9, 0, s0
	s_lshl_b64 s[8:9], s[24:25], 2
	v_lshl_add_u32 v3, v187, 4, s20
	v_lshl_or_b32 v1, v187, 6, v1
	s_wait_alu 0xfffe
	s_add_nc_u64 s[8:9], s[26:27], s[8:9]
	v_dual_mov_b32 v24, 0 :: v_dual_mov_b32 v27, 0
	s_wait_alu 0xfffe
	v_add_co_u32 v11, s0, s8, v17
	v_add3_u32 v37, v3, v0, 7
	v_dual_mov_b32 v25, 0 :: v_dual_add_nc_u32 v38, 0x220, v1
	s_wait_alu 0xf1ff
	v_add_co_ci_u32_e64 v12, null, s9, 0, s0
	v_dual_mov_b32 v26, 0 :: v_dual_mov_b32 v29, 0
	v_dual_mov_b32 v28, 0 :: v_dual_mov_b32 v31, 0
	;; [unrolled: 1-line block ×4, first 2 shown]
	v_mov_b32_e32 v34, 0
	v_mov_b32_e32 v36, 0
	s_mov_b32 s5, s17
	s_add_co_i32 s31, s31, -1
	s_mov_b32 s8, 0
	s_branch .LBB348_33
.LBB348_32:                             ;   in Loop: Header=BB348_33 Depth=1
	s_wait_alu 0xfffe
	s_or_b32 exec_lo, exec_lo, s0
	s_wait_dscnt 0x1
	v_bfe_u32 v15, v5, 16, 1
	v_bfe_u32 v17, v6, 16, 1
	v_or_b32_e32 v87, 0x400000, v5
	v_cmp_u_f32_e32 vcc_lo, v5, v5
	v_or_b32_e32 v88, 0x400000, v6
	v_add3_u32 v15, v15, v5, 0x7fff
	v_bfe_u32 v89, v7, 16, 1
	v_add3_u32 v17, v17, v6, 0x7fff
	v_bfe_u32 v90, v8, 16, 1
	v_lshlrev_b32_e32 v161, 16, v161
	s_wait_alu 0xfffd
	v_cndmask_b32_e32 v5, v15, v87, vcc_lo
	v_cmp_u_f32_e32 vcc_lo, v6, v6
	v_add3_u32 v15, v89, v7, 0x7fff
	s_wait_dscnt 0x0
	v_bfe_u32 v87, v1, 16, 1
	v_or_b32_e32 v89, 0x400000, v8
	v_lshlrev_b32_e32 v156, 16, v156
	s_wait_alu 0xfffd
	v_cndmask_b32_e32 v6, v17, v88, vcc_lo
	v_or_b32_e32 v17, 0x400000, v7
	v_cmp_u_f32_e32 vcc_lo, v7, v7
	v_add3_u32 v88, v90, v8, 0x7fff
	v_lshlrev_b32_e32 v154, 16, v154
	v_lshlrev_b32_e32 v151, 16, v151
	;; [unrolled: 1-line block ×3, first 2 shown]
	s_wait_alu 0xfffd
	v_cndmask_b32_e32 v7, v15, v17, vcc_lo
	v_cmp_u_f32_e32 vcc_lo, v8, v8
	v_add3_u32 v15, v87, v1, 0x7fff
	v_or_b32_e32 v17, 0x400000, v1
	v_bfe_u32 v87, v2, 16, 1
	s_wait_alu 0xfffd
	v_dual_cndmask_b32 v8, v88, v89 :: v_dual_lshlrev_b32 v139, 16, v139
	v_cmp_u_f32_e32 vcc_lo, v1, v1
	v_and_b32_e32 v1, 0xffff0000, v6
	v_lshlrev_b32_e32 v6, 16, v167
	v_add3_u32 v87, v87, v2, 0x7fff
	v_or_b32_e32 v88, 0x400000, v2
	s_wait_alu 0xfffd
	v_cndmask_b32_e32 v15, v15, v17, vcc_lo
	v_bfe_u32 v17, v3, 16, 1
	v_cmp_u_f32_e32 vcc_lo, v2, v2
	v_or_b32_e32 v89, 0x400000, v3
	v_dual_mul_f32 v6, v1, v6 :: v_dual_lshlrev_b32 v137, 16, v137
	s_delay_alu instid0(VALU_DEP_4)
	v_add3_u32 v17, v17, v3, 0x7fff
	s_wait_alu 0xfffd
	v_cndmask_b32_e32 v2, v87, v88, vcc_lo
	v_bfe_u32 v87, v4, 16, 1
	v_cmp_u_f32_e32 vcc_lo, v3, v3
	v_bfe_u32 v3, v6, 16, 1
	v_or_b32_e32 v91, 0x400000, v6
	v_lshlrev_b32_e32 v121, 16, v121
	v_add3_u32 v87, v87, v4, 0x7fff
	s_wait_alu 0xfffd
	v_cndmask_b32_e32 v17, v17, v89, vcc_lo
	v_or_b32_e32 v89, 0x400000, v4
	v_cmp_u_f32_e32 vcc_lo, v4, v4
	v_add3_u32 v90, v3, v6, 0x7fff
	v_and_b32_e32 v3, 0xffff0000, v8
	v_lshlrev_b32_e32 v8, 16, v165
	v_and_b32_e32 v2, 0xffff0000, v2
	s_wait_alu 0xfffd
	v_cndmask_b32_e32 v4, v87, v89, vcc_lo
	v_and_b32_e32 v5, 0xffff0000, v5
	v_cmp_u_f32_e32 vcc_lo, v6, v6
	v_lshlrev_b32_e32 v88, 16, v166
	v_lshlrev_b32_e32 v131, 16, v131
	v_and_b32_e32 v4, 0xffff0000, v4
	v_and_b32_e32 v6, 0xffff0000, v7
	s_wait_alu 0xfffd
	v_dual_cndmask_b32 v87, v90, v91 :: v_dual_mul_f32 v90, v3, v8
	v_lshlrev_b32_e32 v7, 16, v164
	v_mul_f32_e32 v88, v5, v88
	v_lshlrev_b32_e32 v8, 16, v163
	s_delay_alu instid0(VALU_DEP_4)
	v_and_b32_e32 v87, 0xffff0000, v87
	v_bfe_u32 v163, v90, 16, 1
	v_mul_f32_e32 v7, v6, v7
	v_bfe_u32 v89, v88, 16, 1
	v_or_b32_e32 v91, 0x400000, v88
	v_cmp_u_f32_e32 vcc_lo, v88, v88
	v_lshlrev_b32_e32 v101, 16, v101
	v_lshlrev_b32_e32 v93, 16, v93
	v_add3_u32 v89, v89, v88, 0x7fff
	v_lshlrev_b32_e32 v0, 16, v0
	v_lshlrev_b32_e32 v86, 16, v86
	;; [unrolled: 1-line block ×3, first 2 shown]
	s_wait_alu 0xfffd
	v_dual_cndmask_b32 v88, v89, v91 :: v_dual_lshlrev_b32 v85, 16, v85
	v_add3_u32 v89, v163, v90, 0x7fff
	v_or_b32_e32 v91, 0x400000, v90
	v_bfe_u32 v163, v7, 16, 1
	v_cmp_u_f32_e32 vcc_lo, v90, v90
	v_and_b32_e32 v88, 0xffff0000, v88
	v_dual_mul_f32 v86, v1, v86 :: v_dual_lshlrev_b32 v81, 16, v81
	s_delay_alu instid0(VALU_DEP_4)
	v_add3_u32 v90, v163, v7, 0x7fff
	s_wait_alu 0xfffd
	v_cndmask_b32_e32 v89, v89, v91, vcc_lo
	v_or_b32_e32 v91, 0x400000, v7
	v_cmp_u_f32_e32 vcc_lo, v7, v7
	v_dual_add_f32 v87, v88, v87 :: v_dual_lshlrev_b32 v152, 16, v152
	s_delay_alu instid0(VALU_DEP_4)
	v_and_b32_e32 v89, 0xffff0000, v89
	v_lshlrev_b32_e32 v16, 16, v16
	s_wait_alu 0xfffd
	v_dual_cndmask_b32 v90, v90, v91 :: v_dual_mul_f32 v91, v4, v161
	v_dual_mul_f32 v156, v6, v156 :: v_dual_and_b32 v7, 0xffff0000, v17
	v_lshlrev_b32_e32 v136, 16, v136
	s_delay_alu instid0(VALU_DEP_3) | instskip(SKIP_1) | instid1(VALU_DEP_4)
	v_and_b32_e32 v90, 0xffff0000, v90
	v_lshlrev_b32_e32 v17, 16, v160
	v_mul_f32_e32 v152, v7, v152
	v_dual_mul_f32 v85, v5, v85 :: v_dual_lshlrev_b32 v112, 16, v112
	v_lshlrev_b32_e32 v82, 16, v82
	v_add_f32_e32 v88, v90, v89
	v_dual_mul_f32 v17, v7, v17 :: v_dual_mul_f32 v164, v2, v8
	v_and_b32_e32 v8, 0xffff0000, v15
	v_lshlrev_b32_e32 v15, 16, v162
	v_lshlrev_b32_e32 v89, 16, v159
	v_add_f32_e32 v87, v88, v87
	v_bfe_u32 v165, v164, 16, 1
	v_or_b32_e32 v163, 0x400000, v164
	v_mul_f32_e32 v15, v8, v15
	v_cmp_u_f32_e32 vcc_lo, v164, v164
	v_mul_f32_e32 v88, v1, v89
	v_add3_u32 v162, v165, v164, 0x7fff
	v_bfe_u32 v164, v91, 16, 1
	v_bfe_u32 v165, v15, 16, 1
	v_lshlrev_b32_e32 v89, 16, v158
	v_mul_f32_e32 v139, v2, v139
	s_wait_alu 0xfffd
	v_cndmask_b32_e32 v161, v162, v163, vcc_lo
	v_or_b32_e32 v163, 0x400000, v15
	v_add3_u32 v162, v165, v15, 0x7fff
	v_cmp_u_f32_e32 vcc_lo, v15, v15
	v_add3_u32 v160, v164, v91, 0x7fff
	v_and_b32_e32 v90, 0xffff0000, v161
	v_bfe_u32 v161, v152, 16, 1
	v_mul_f32_e32 v145, v4, v145
	s_wait_alu 0xfffd
	v_cndmask_b32_e32 v15, v162, v163, vcc_lo
	v_or_b32_e32 v162, 0x400000, v91
	v_cmp_u_f32_e32 vcc_lo, v91, v91
	v_mul_f32_e32 v137, v4, v137
	v_lshlrev_b32_e32 v129, 16, v129
	v_dual_mul_f32 v101, v2, v101 :: v_dual_lshlrev_b32 v60, 16, v60
	s_wait_alu 0xfffd
	v_cndmask_b32_e32 v91, v160, v162, vcc_lo
	v_bfe_u32 v160, v17, 16, 1
	v_cmp_u_f32_e32 vcc_lo, v17, v17
	v_mul_f32_e32 v129, v4, v129
	v_dual_mul_f32 v60, v3, v60 :: v_dual_lshlrev_b32 v83, 16, v83
	s_delay_alu instid0(VALU_DEP_4) | instskip(SKIP_2) | instid1(VALU_DEP_4)
	v_add3_u32 v159, v160, v17, 0x7fff
	v_or_b32_e32 v160, 0x400000, v17
	v_mul_f32_e32 v81, v8, v81
	v_dual_mul_f32 v83, v6, v83 :: v_dual_lshlrev_b32 v78, 16, v78
	v_lshlrev_b32_e32 v71, 16, v71
	s_wait_alu 0xfffd
	v_cndmask_b32_e32 v17, v159, v160, vcc_lo
	v_cmp_u_f32_e32 vcc_lo, v88, v88
	v_and_b32_e32 v15, 0xffff0000, v15
	v_lshlrev_b32_e32 v146, 16, v146
	v_and_b32_e32 v91, 0xffff0000, v91
	v_mul_f32_e32 v71, v7, v71
	v_lshlrev_b32_e32 v65, 16, v65
	v_add_f32_e32 v15, v15, v90
	v_bfe_u32 v90, v88, 16, 1
	v_lshlrev_b32_e32 v63, 16, v63
	s_delay_alu instid0(VALU_DEP_4) | instskip(NEXT) | instid1(VALU_DEP_4)
	v_dual_mul_f32 v65, v8, v65 :: v_dual_lshlrev_b32 v42, 16, v42
	v_add_f32_e32 v15, v15, v87
	v_mul_f32_e32 v87, v5, v89
	v_lshlrev_b32_e32 v89, 16, v157
	v_add3_u32 v90, v90, v88, 0x7fff
	v_or_b32_e32 v157, 0x400000, v88
	v_dual_mul_f32 v42, v2, v42 :: v_dual_lshlrev_b32 v69, 16, v69
	v_bfe_u32 v158, v87, 16, 1
	v_mul_f32_e32 v89, v3, v89
	s_wait_alu 0xfffd
	v_cndmask_b32_e32 v88, v90, v157, vcc_lo
	v_or_b32_e32 v157, 0x400000, v87
	v_cmp_u_f32_e32 vcc_lo, v87, v87
	v_add3_u32 v90, v158, v87, 0x7fff
	v_bfe_u32 v158, v89, 16, 1
	v_and_b32_e32 v88, 0xffff0000, v88
	v_dual_mul_f32 v63, v7, v63 :: v_dual_lshlrev_b32 v144, 16, v144
	s_wait_alu 0xfffd
	v_dual_cndmask_b32 v87, v90, v157 :: v_dual_lshlrev_b32 v40, 16, v40
	v_add3_u32 v90, v158, v89, 0x7fff
	v_or_b32_e32 v157, 0x400000, v89
	v_bfe_u32 v158, v156, 16, 1
	v_cmp_u_f32_e32 vcc_lo, v89, v89
	v_and_b32_e32 v87, 0xffff0000, v87
	v_lshlrev_b32_e32 v67, 16, v67
	v_lshlrev_b32_e32 v13, 16, v13
	;; [unrolled: 1-line block ×3, first 2 shown]
	s_wait_alu 0xfffd
	v_cndmask_b32_e32 v89, v90, v157, vcc_lo
	v_add3_u32 v90, v158, v156, 0x7fff
	v_or_b32_e32 v157, 0x400000, v156
	v_cmp_u_f32_e32 vcc_lo, v156, v156
	v_add_f32_e32 v87, v87, v88
	v_dual_mul_f32 v154, v8, v154 :: v_dual_and_b32 v89, 0xffff0000, v89
	v_mul_f32_e32 v61, v5, v61
	s_wait_alu 0xfffd
	v_cndmask_b32_e32 v90, v90, v157, vcc_lo
	v_lshlrev_b32_e32 v140, 16, v140
	v_lshlrev_b32_e32 v59, 16, v59
	v_bfe_u32 v156, v154, 16, 1
	v_or_b32_e32 v159, 0x400000, v154
	v_and_b32_e32 v90, 0xffff0000, v90
	v_lshlrev_b32_e32 v155, 16, v155
	v_mul_f32_e32 v59, v6, v59
	v_add3_u32 v156, v156, v154, 0x7fff
	v_lshlrev_b32_e32 v57, 16, v57
	v_add_f32_e32 v88, v90, v89
	v_mul_f32_e32 v155, v2, v155
	v_lshlrev_b32_e32 v55, 16, v55
	s_delay_alu instid0(VALU_DEP_4) | instskip(NEXT) | instid1(VALU_DEP_4)
	v_dual_mul_f32 v57, v8, v57 :: v_dual_add_nc_u32 v18, 4, v18
	v_add_f32_e32 v87, v88, v87
	s_delay_alu instid0(VALU_DEP_4) | instskip(SKIP_3) | instid1(VALU_DEP_4)
	v_bfe_u32 v158, v155, 16, 1
	v_cmp_u_f32_e32 vcc_lo, v155, v155
	v_dual_mul_f32 v55, v7, v55 :: v_dual_lshlrev_b32 v148, 16, v148
	v_lshlrev_b32_e32 v53, 16, v53
	v_add3_u32 v157, v158, v155, 0x7fff
	v_or_b32_e32 v158, 0x400000, v155
	v_lshlrev_b32_e32 v51, 16, v51
	v_lshlrev_b32_e32 v49, 16, v49
	v_mul_f32_e32 v53, v5, v53
	v_lshlrev_b32_e32 v47, 16, v47
	s_wait_alu 0xfffd
	v_cndmask_b32_e32 v155, v157, v158, vcc_lo
	v_cmp_u_f32_e32 vcc_lo, v154, v154
	v_add3_u32 v157, v161, v152, 0x7fff
	v_or_b32_e32 v158, 0x400000, v152
	v_mul_f32_e32 v140, v6, v140
	v_and_b32_e32 v90, 0xffff0000, v155
	s_wait_alu 0xfffd
	v_cndmask_b32_e32 v154, v156, v159, vcc_lo
	v_cmp_u_f32_e32 vcc_lo, v152, v152
	v_dual_mul_f32 v51, v6, v51 :: v_dual_lshlrev_b32 v138, 16, v138
	s_delay_alu instid0(VALU_DEP_3) | instskip(SKIP_3) | instid1(VALU_DEP_3)
	v_dual_mul_f32 v136, v7, v136 :: v_dual_and_b32 v89, 0xffff0000, v154
	s_wait_alu 0xfffd
	v_dual_cndmask_b32 v152, v157, v158 :: v_dual_and_b32 v17, 0xffff0000, v17
	v_mul_f32_e32 v49, v8, v49
	v_dual_mul_f32 v47, v7, v47 :: v_dual_add_f32 v88, v89, v90
	s_delay_alu instid0(VALU_DEP_3) | instskip(NEXT) | instid1(VALU_DEP_4)
	v_add_f32_e32 v17, v17, v91
	v_and_b32_e32 v89, 0xffff0000, v152
	v_lshlrev_b32_e32 v153, 16, v153
	v_lshlrev_b32_e32 v91, 16, v150
	v_add_f32_e32 v87, v88, v87
	v_dual_add_f32 v15, v17, v15 :: v_dual_mul_f32 v138, v8, v138
	s_delay_alu instid0(VALU_DEP_4) | instskip(NEXT) | instid1(VALU_DEP_4)
	v_mul_f32_e32 v153, v4, v153
	v_mul_f32_e32 v17, v5, v91
	s_delay_alu instid0(VALU_DEP_3) | instskip(SKIP_1) | instid1(VALU_DEP_4)
	v_dual_add_f32 v22, v22, v15 :: v_dual_lshlrev_b32 v45, 16, v45
	v_lshlrev_b32_e32 v43, 16, v43
	v_bfe_u32 v160, v153, 16, 1
	v_or_b32_e32 v159, 0x400000, v153
	v_cmp_u_f32_e32 vcc_lo, v153, v153
	v_bfe_u32 v15, v17, 16, 1
	v_or_b32_e32 v91, 0x400000, v17
	v_add3_u32 v156, v160, v153, 0x7fff
	v_mul_f32_e32 v45, v5, v45
	v_mul_f32_e32 v43, v6, v43
	v_add3_u32 v15, v15, v17, 0x7fff
	v_lshlrev_b32_e32 v41, 16, v41
	s_wait_alu 0xfffd
	v_cndmask_b32_e32 v153, v156, v159, vcc_lo
	v_lshlrev_b32_e32 v39, 16, v39
	v_add_co_u32 v11, s0, v11, 16
	v_mul_f32_e32 v41, v8, v41
	s_delay_alu instid0(VALU_DEP_3) | instskip(SKIP_3) | instid1(VALU_DEP_3)
	v_dual_mul_f32 v39, v7, v39 :: v_dual_and_b32 v90, 0xffff0000, v153
	v_add_nc_u32_e32 v37, 64, v37
	s_wait_alu 0xf1ff
	v_add_co_ci_u32_e64 v12, null, 0, v12, s0
	v_add_f32_e32 v88, v89, v90
	v_dual_mul_f32 v89, v1, v151 :: v_dual_lshlrev_b32 v90, 16, v149
	v_bfe_u32 v149, v145, 16, 1
	s_delay_alu instid0(VALU_DEP_3) | instskip(NEXT) | instid1(VALU_DEP_3)
	v_dual_add_f32 v87, v88, v87 :: v_dual_lshlrev_b32 v132, 16, v132
	v_bfe_u32 v88, v89, 16, 1
	s_delay_alu instid0(VALU_DEP_4) | instskip(SKIP_1) | instid1(VALU_DEP_4)
	v_mul_f32_e32 v90, v3, v90
	v_cmp_u_f32_e32 vcc_lo, v89, v89
	v_dual_add_f32 v23, v23, v87 :: v_dual_lshlrev_b32 v130, 16, v130
	s_delay_alu instid0(VALU_DEP_4)
	v_add3_u32 v87, v88, v89, 0x7fff
	v_or_b32_e32 v88, 0x400000, v89
	v_lshlrev_b32_e32 v89, 16, v147
	v_lshlrev_b32_e32 v128, 16, v128
	;; [unrolled: 1-line block ×4, first 2 shown]
	s_wait_alu 0xfffd
	v_cndmask_b32_e32 v87, v87, v88, vcc_lo
	v_bfe_u32 v88, v90, 16, 1
	v_cmp_u_f32_e32 vcc_lo, v17, v17
	v_mul_f32_e32 v17, v6, v148
	v_dual_mul_f32 v89, v2, v89 :: v_dual_mul_f32 v128, v7, v128
	s_delay_alu instid0(VALU_DEP_4)
	v_add3_u32 v88, v88, v90, 0x7fff
	s_wait_alu 0xfffd
	v_cndmask_b32_e32 v15, v15, v91, vcc_lo
	v_or_b32_e32 v91, 0x400000, v90
	v_bfe_u32 v147, v17, 16, 1
	v_cmp_u_f32_e32 vcc_lo, v90, v90
	v_mul_f32_e32 v90, v8, v146
	v_or_b32_e32 v146, 0x400000, v17
	v_dual_mul_f32 v122, v8, v122 :: v_dual_and_b32 v15, 0xffff0000, v15
	s_wait_alu 0xfffd
	v_cndmask_b32_e32 v88, v88, v91, vcc_lo
	v_add3_u32 v91, v147, v17, 0x7fff
	v_bfe_u32 v147, v89, 16, 1
	v_cmp_u_f32_e32 vcc_lo, v17, v17
	v_bfe_u32 v148, v90, 16, 1
	v_and_b32_e32 v88, 0xffff0000, v88
	v_mul_f32_e32 v124, v6, v124
	s_wait_alu 0xfffd
	v_dual_cndmask_b32 v17, v91, v146 :: v_dual_lshlrev_b32 v120, 16, v120
	v_add3_u32 v91, v147, v89, 0x7fff
	v_or_b32_e32 v146, 0x400000, v89
	v_cmp_u_f32_e32 vcc_lo, v89, v89
	v_add3_u32 v147, v148, v90, 0x7fff
	v_or_b32_e32 v148, 0x400000, v90
	v_dual_mul_f32 v120, v7, v120 :: v_dual_and_b32 v17, 0xffff0000, v17
	s_wait_alu 0xfffd
	v_cndmask_b32_e32 v89, v91, v146, vcc_lo
	v_mul_f32_e32 v91, v7, v144
	v_cmp_u_f32_e32 vcc_lo, v90, v90
	v_add3_u32 v144, v149, v145, 0x7fff
	v_or_b32_e32 v146, 0x400000, v145
	v_dual_add_f32 v17, v17, v88 :: v_dual_lshlrev_b32 v88, 16, v143
	s_wait_alu 0xfffd
	v_cndmask_b32_e32 v90, v147, v148, vcc_lo
	v_bfe_u32 v147, v91, 16, 1
	v_and_b32_e32 v87, 0xffff0000, v87
	v_cmp_u_f32_e32 vcc_lo, v145, v145
	v_and_b32_e32 v89, 0xffff0000, v89
	v_bfe_u32 v143, v137, 16, 1
	v_add3_u32 v145, v147, v91, 0x7fff
	s_wait_alu 0xfffd
	v_dual_add_f32 v15, v15, v87 :: v_dual_cndmask_b32 v144, v144, v146
	v_or_b32_e32 v146, 0x400000, v91
	v_and_b32_e32 v87, 0xffff0000, v90
	v_cmp_u_f32_e32 vcc_lo, v91, v91
	s_delay_alu instid0(VALU_DEP_4) | instskip(SKIP_4) | instid1(VALU_DEP_3)
	v_add_f32_e32 v15, v17, v15
	v_dual_mul_f32 v17, v1, v88 :: v_dual_lshlrev_b32 v88, 16, v142
	s_wait_alu 0xfffd
	v_dual_add_f32 v87, v87, v89 :: v_dual_cndmask_b32 v90, v145, v146
	v_or_b32_e32 v142, 0x400000, v138
	v_bfe_u32 v91, v17, 16, 1
	v_cmp_u_f32_e32 vcc_lo, v17, v17
	s_delay_alu instid0(VALU_DEP_4) | instskip(SKIP_4) | instid1(VALU_DEP_3)
	v_add_f32_e32 v15, v87, v15
	v_and_b32_e32 v89, 0xffff0000, v90
	v_and_b32_e32 v90, 0xffff0000, v144
	v_dual_mul_f32 v87, v5, v88 :: v_dual_lshlrev_b32 v88, 16, v141
	v_lshlrev_b32_e32 v110, 16, v110
	v_dual_add_f32 v89, v89, v90 :: v_dual_lshlrev_b32 v108, 16, v108
	v_add3_u32 v90, v91, v17, 0x7fff
	v_or_b32_e32 v91, 0x400000, v17
	v_bfe_u32 v141, v87, 16, 1
	s_delay_alu instid0(VALU_DEP_4) | instskip(SKIP_1) | instid1(VALU_DEP_3)
	v_dual_mul_f32 v88, v3, v88 :: v_dual_add_f32 v15, v89, v15
	s_wait_alu 0xfffd
	v_dual_cndmask_b32 v17, v90, v91 :: v_dual_lshlrev_b32 v106, 16, v106
	s_delay_alu instid0(VALU_DEP_3)
	v_add3_u32 v90, v141, v87, 0x7fff
	v_or_b32_e32 v91, 0x400000, v87
	v_bfe_u32 v141, v88, 16, 1
	v_cmp_u_f32_e32 vcc_lo, v87, v87
	v_dual_add_f32 v24, v24, v15 :: v_dual_and_b32 v17, 0xffff0000, v17
	v_lshlrev_b32_e32 v102, 16, v102
	s_wait_alu 0xfffd
	v_dual_cndmask_b32 v87, v90, v91 :: v_dual_lshlrev_b32 v100, 16, v100
	v_add3_u32 v90, v141, v88, 0x7fff
	v_or_b32_e32 v91, 0x400000, v88
	v_bfe_u32 v141, v140, 16, 1
	v_cmp_u_f32_e32 vcc_lo, v88, v88
	v_dual_mul_f32 v102, v6, v102 :: v_dual_and_b32 v87, 0xffff0000, v87
	v_dual_mul_f32 v100, v8, v100 :: v_dual_lshlrev_b32 v123, 16, v123
	s_wait_alu 0xfffd
	v_cndmask_b32_e32 v88, v90, v91, vcc_lo
	v_add3_u32 v90, v141, v140, 0x7fff
	v_or_b32_e32 v91, 0x400000, v140
	v_bfe_u32 v141, v139, 16, 1
	v_cmp_u_f32_e32 vcc_lo, v140, v140
	v_dual_add_f32 v17, v87, v17 :: v_dual_and_b32 v88, 0xffff0000, v88
	v_dual_mul_f32 v123, v2, v123 :: v_dual_lshlrev_b32 v98, 16, v98
	s_wait_alu 0xfffd
	v_cndmask_b32_e32 v90, v90, v91, vcc_lo
	v_bfe_u32 v91, v138, 16, 1
	v_add3_u32 v140, v141, v139, 0x7fff
	v_or_b32_e32 v141, 0x400000, v139
	v_cmp_u_f32_e32 vcc_lo, v139, v139
	v_and_b32_e32 v90, 0xffff0000, v90
	v_add3_u32 v91, v91, v138, 0x7fff
	v_dual_mul_f32 v121, v4, v121 :: v_dual_mul_f32 v98, v7, v98
	s_wait_alu 0xfffd
	v_cndmask_b32_e32 v139, v140, v141, vcc_lo
	v_cmp_u_f32_e32 vcc_lo, v138, v138
	v_bfe_u32 v140, v136, 16, 1
	v_add3_u32 v138, v143, v137, 0x7fff
	v_or_b32_e32 v141, 0x400000, v137
	v_add_f32_e32 v87, v90, v88
	s_wait_alu 0xfffd
	v_cndmask_b32_e32 v91, v91, v142, vcc_lo
	v_add3_u32 v140, v140, v136, 0x7fff
	v_or_b32_e32 v142, 0x400000, v136
	v_cmp_u_f32_e32 vcc_lo, v136, v136
	v_and_b32_e32 v90, 0xffff0000, v139
	v_dual_add_f32 v17, v87, v17 :: v_dual_and_b32 v88, 0xffff0000, v91
	v_mul_f32_e32 v16, v4, v16
	s_wait_alu 0xfffd
	v_cndmask_b32_e32 v91, v140, v142, vcc_lo
	v_cmp_u_f32_e32 vcc_lo, v137, v137
	v_dual_add_f32 v87, v88, v90 :: v_dual_lshlrev_b32 v88, 16, v135
	v_mul_f32_e32 v0, v7, v0
	s_delay_alu instid0(VALU_DEP_4) | instskip(SKIP_4) | instid1(VALU_DEP_3)
	v_and_b32_e32 v90, 0xffff0000, v91
	s_wait_alu 0xfffd
	v_dual_cndmask_b32 v136, v138, v141 :: v_dual_lshlrev_b32 v91, 16, v134
	v_dual_mul_f32 v88, v1, v88 :: v_dual_add_f32 v17, v87, v17
	v_lshlrev_b32_e32 v94, 16, v94
	v_dual_mul_f32 v87, v5, v91 :: v_dual_and_b32 v134, 0xffff0000, v136
	s_delay_alu instid0(VALU_DEP_3) | instskip(SKIP_1) | instid1(VALU_DEP_3)
	v_bfe_u32 v91, v88, 16, 1
	v_cmp_u_f32_e32 vcc_lo, v88, v88
	v_dual_add_f32 v89, v90, v134 :: v_dual_lshlrev_b32 v92, 16, v92
	v_lshlrev_b32_e32 v90, 16, v133
	v_bfe_u32 v15, v87, 16, 1
	v_or_b32_e32 v133, 0x400000, v87
	s_delay_alu instid0(VALU_DEP_4) | instskip(NEXT) | instid1(VALU_DEP_4)
	v_dual_mul_f32 v82, v2, v82 :: v_dual_add_f32 v17, v89, v17
	v_mul_f32_e32 v89, v3, v90
	v_add3_u32 v90, v91, v88, 0x7fff
	v_or_b32_e32 v91, 0x400000, v88
	v_add3_u32 v15, v15, v87, 0x7fff
	v_lshlrev_b32_e32 v84, 16, v84
	v_bfe_u32 v134, v89, 16, 1
	v_lshlrev_b32_e32 v107, 16, v107
	s_wait_alu 0xfffd
	v_cndmask_b32_e32 v88, v90, v91, vcc_lo
	v_cmp_u_f32_e32 vcc_lo, v87, v87
	v_mul_f32_e32 v87, v6, v132
	v_add3_u32 v90, v134, v89, 0x7fff
	v_or_b32_e32 v91, 0x400000, v89
	v_bfe_u32 v134, v129, 16, 1
	s_wait_alu 0xfffd
	v_cndmask_b32_e32 v15, v15, v133, vcc_lo
	v_cmp_u_f32_e32 vcc_lo, v89, v89
	v_bfe_u32 v132, v87, 16, 1
	v_and_b32_e32 v88, 0xffff0000, v88
	s_delay_alu instid0(VALU_DEP_4)
	v_dual_mul_f32 v84, v3, v84 :: v_dual_and_b32 v15, 0xffff0000, v15
	s_wait_alu 0xfffd
	v_cndmask_b32_e32 v89, v90, v91, vcc_lo
	v_dual_mul_f32 v90, v2, v131 :: v_dual_mul_f32 v91, v8, v130
	v_add3_u32 v130, v132, v87, 0x7fff
	v_or_b32_e32 v131, 0x400000, v87
	v_cmp_u_f32_e32 vcc_lo, v87, v87
	s_delay_alu instid0(VALU_DEP_4)
	v_bfe_u32 v132, v90, 16, 1
	v_bfe_u32 v133, v91, 16, 1
	v_and_b32_e32 v89, 0xffff0000, v89
	v_add_f32_e32 v15, v15, v88
	s_wait_alu 0xfffd
	v_cndmask_b32_e32 v87, v130, v131, vcc_lo
	v_add3_u32 v130, v132, v90, 0x7fff
	v_or_b32_e32 v131, 0x400000, v90
	v_cmp_u_f32_e32 vcc_lo, v90, v90
	v_add3_u32 v132, v133, v91, 0x7fff
	v_or_b32_e32 v133, 0x400000, v91
	v_and_b32_e32 v87, 0xffff0000, v87
	v_mul_f32_e32 v107, v4, v107
	s_wait_alu 0xfffd
	v_cndmask_b32_e32 v90, v130, v131, vcc_lo
	v_cmp_u_f32_e32 vcc_lo, v91, v91
	v_add3_u32 v130, v134, v129, 0x7fff
	v_or_b32_e32 v131, 0x400000, v129
	v_add_f32_e32 v87, v87, v89
	v_lshlrev_b32_e32 v89, 16, v127
	s_wait_alu 0xfffd
	v_cndmask_b32_e32 v91, v132, v133, vcc_lo
	v_cmp_u_f32_e32 vcc_lo, v129, v129
	v_and_b32_e32 v90, 0xffff0000, v90
	v_or_b32_e32 v127, 0x400000, v128
	v_add_f32_e32 v15, v87, v15
	v_and_b32_e32 v88, 0xffff0000, v91
	s_wait_alu 0xfffd
	v_cndmask_b32_e32 v129, v130, v131, vcc_lo
	v_bfe_u32 v130, v128, 16, 1
	v_mul_f32_e32 v87, v1, v89
	v_lshlrev_b32_e32 v89, 16, v126
	v_add_f32_e32 v88, v88, v90
	v_cmp_u_f32_e32 vcc_lo, v128, v128
	v_add3_u32 v91, v130, v128, 0x7fff
	v_bfe_u32 v130, v120, 16, 1
	v_bfe_u32 v128, v121, 16, 1
	v_dual_add_f32 v15, v88, v15 :: v_dual_mul_f32 v88, v5, v89
	s_wait_alu 0xfffd
	v_cndmask_b32_e32 v90, v91, v127, vcc_lo
	v_bfe_u32 v91, v87, 16, 1
	v_lshlrev_b32_e32 v89, 16, v125
	v_or_b32_e32 v125, 0x400000, v87
	v_bfe_u32 v126, v88, 16, 1
	v_cmp_u_f32_e32 vcc_lo, v87, v87
	v_add3_u32 v91, v91, v87, 0x7fff
	v_mul_f32_e32 v89, v3, v89
	v_or_b32_e32 v127, 0x400000, v122
	v_and_b32_e32 v90, 0xffff0000, v90
	s_wait_alu 0xfffd
	v_dual_cndmask_b32 v87, v91, v125 :: v_dual_lshlrev_b32 v80, 16, v80
	v_add3_u32 v91, v126, v88, 0x7fff
	v_or_b32_e32 v125, 0x400000, v88
	v_bfe_u32 v126, v89, 16, 1
	v_cmp_u_f32_e32 vcc_lo, v88, v88
	v_dual_mul_f32 v80, v4, v80 :: v_dual_and_b32 v87, 0xffff0000, v87
	v_mul_f32_e32 v78, v1, v78
	v_lshlrev_b32_e32 v76, 16, v76
	s_wait_alu 0xfffd
	v_cndmask_b32_e32 v88, v91, v125, vcc_lo
	v_add3_u32 v91, v126, v89, 0x7fff
	v_or_b32_e32 v125, 0x400000, v89
	v_bfe_u32 v126, v124, 16, 1
	v_cmp_u_f32_e32 vcc_lo, v89, v89
	v_and_b32_e32 v88, 0xffff0000, v88
	v_dual_mul_f32 v76, v3, v76 :: v_dual_lshlrev_b32 v99, 16, v99
	s_wait_alu 0xfffd
	v_dual_cndmask_b32 v89, v91, v125 :: v_dual_lshlrev_b32 v74, 16, v74
	v_add3_u32 v91, v126, v124, 0x7fff
	v_or_b32_e32 v125, 0x400000, v124
	v_bfe_u32 v126, v123, 16, 1
	v_cmp_u_f32_e32 vcc_lo, v124, v124
	v_bfe_u32 v124, v122, 16, 1
	v_and_b32_e32 v89, 0xffff0000, v89
	v_add_f32_e32 v87, v88, v87
	v_mul_f32_e32 v99, v4, v99
	s_wait_alu 0xfffd
	v_cndmask_b32_e32 v91, v91, v125, vcc_lo
	v_add3_u32 v125, v126, v123, 0x7fff
	v_or_b32_e32 v126, 0x400000, v123
	v_cmp_u_f32_e32 vcc_lo, v123, v123
	v_add3_u32 v124, v124, v122, 0x7fff
	v_and_b32_e32 v91, 0xffff0000, v91
	v_lshlrev_b32_e32 v72, 16, v72
	v_mul_f32_e32 v74, v2, v74
	s_wait_alu 0xfffd
	v_cndmask_b32_e32 v123, v125, v126, vcc_lo
	v_cmp_u_f32_e32 vcc_lo, v122, v122
	v_add3_u32 v125, v130, v120, 0x7fff
	v_or_b32_e32 v126, 0x400000, v120
	s_delay_alu instid0(VALU_DEP_4)
	v_dual_add_f32 v88, v91, v89 :: v_dual_and_b32 v91, 0xffff0000, v123
	s_wait_alu 0xfffd
	v_cndmask_b32_e32 v122, v124, v127, vcc_lo
	v_cmp_u_f32_e32 vcc_lo, v120, v120
	v_add3_u32 v124, v128, v121, 0x7fff
	v_or_b32_e32 v127, 0x400000, v121
	v_add_f32_e32 v87, v88, v87
	v_and_b32_e32 v89, 0xffff0000, v122
	s_wait_alu 0xfffd
	v_cndmask_b32_e32 v120, v125, v126, vcc_lo
	v_cmp_u_f32_e32 vcc_lo, v121, v121
	v_and_b32_e32 v122, 0xffff0000, v129
	v_mul_f32_e32 v72, v4, v72
	s_delay_alu instid0(VALU_DEP_4) | instskip(SKIP_1) | instid1(VALU_DEP_3)
	v_dual_add_f32 v88, v89, v91 :: v_dual_and_b32 v89, 0xffff0000, v120
	s_wait_alu 0xfffd
	v_dual_cndmask_b32 v121, v124, v127 :: v_dual_add_f32 v90, v90, v122
	v_add_f32_e32 v25, v25, v17
	s_delay_alu instid0(VALU_DEP_3) | instskip(NEXT) | instid1(VALU_DEP_3)
	v_dual_add_f32 v87, v88, v87 :: v_dual_lshlrev_b32 v70, 16, v70
	v_and_b32_e32 v91, 0xffff0000, v121
	s_delay_alu instid0(VALU_DEP_4) | instskip(SKIP_2) | instid1(VALU_DEP_4)
	v_dual_add_f32 v15, v90, v15 :: v_dual_mul_f32 v90, v5, v112
	v_lshlrev_b32_e32 v66, 16, v66
	v_lshlrev_b32_e32 v68, 16, v68
	v_add_f32_e32 v88, v89, v91
	s_delay_alu instid0(VALU_DEP_4) | instskip(SKIP_2) | instid1(VALU_DEP_4)
	v_dual_mul_f32 v89, v1, v113 :: v_dual_add_f32 v26, v26, v15
	v_bfe_u32 v15, v90, 16, 1
	v_or_b32_e32 v91, 0x400000, v90
	v_add_f32_e32 v17, v88, v87
	s_delay_alu instid0(VALU_DEP_4)
	v_bfe_u32 v87, v89, 16, 1
	v_lshlrev_b32_e32 v88, 16, v111
	v_cmp_u_f32_e32 vcc_lo, v89, v89
	v_add3_u32 v15, v15, v90, 0x7fff
	v_add_f32_e32 v27, v27, v17
	v_add3_u32 v17, v87, v89, 0x7fff
	v_or_b32_e32 v87, 0x400000, v89
	v_dual_mul_f32 v88, v3, v88 :: v_dual_mul_f32 v89, v6, v110
	v_bfe_u32 v111, v107, 16, 1
	s_wait_alu 0xfffd
	s_delay_alu instid0(VALU_DEP_3) | instskip(NEXT) | instid1(VALU_DEP_3)
	v_dual_mul_f32 v68, v3, v68 :: v_dual_cndmask_b32 v17, v17, v87
	v_bfe_u32 v87, v88, 16, 1
	v_cmp_u_f32_e32 vcc_lo, v90, v90
	v_lshlrev_b32_e32 v90, 16, v109
	v_bfe_u32 v109, v89, 16, 1
	v_and_b32_e32 v17, 0xffff0000, v17
	v_add3_u32 v87, v87, v88, 0x7fff
	s_wait_alu 0xfffd
	v_cndmask_b32_e32 v15, v15, v91, vcc_lo
	v_or_b32_e32 v91, 0x400000, v88
	v_mul_f32_e32 v90, v2, v90
	v_cmp_u_f32_e32 vcc_lo, v88, v88
	v_mul_f32_e32 v88, v8, v108
	v_or_b32_e32 v108, 0x400000, v89
	v_dual_mul_f32 v66, v2, v66 :: v_dual_and_b32 v15, 0xffff0000, v15
	s_wait_alu 0xfffd
	v_cndmask_b32_e32 v87, v87, v91, vcc_lo
	v_add3_u32 v91, v109, v89, 0x7fff
	v_bfe_u32 v109, v90, 16, 1
	v_cmp_u_f32_e32 vcc_lo, v89, v89
	v_bfe_u32 v110, v88, 16, 1
	v_and_b32_e32 v87, 0xffff0000, v87
	v_dual_add_f32 v15, v15, v17 :: v_dual_lshlrev_b32 v64, 16, v64
	s_wait_alu 0xfffd
	v_cndmask_b32_e32 v89, v91, v108, vcc_lo
	v_add3_u32 v91, v109, v90, 0x7fff
	v_or_b32_e32 v108, 0x400000, v90
	v_cmp_u_f32_e32 vcc_lo, v90, v90
	v_add3_u32 v109, v110, v88, 0x7fff
	v_or_b32_e32 v110, 0x400000, v88
	v_dual_mul_f32 v64, v4, v64 :: v_dual_and_b32 v89, 0xffff0000, v89
	s_wait_alu 0xfffd
	v_cndmask_b32_e32 v90, v91, v108, vcc_lo
	v_mul_f32_e32 v91, v7, v106
	v_cmp_u_f32_e32 vcc_lo, v88, v88
	v_add3_u32 v106, v111, v107, 0x7fff
	v_or_b32_e32 v108, 0x400000, v107
	v_add_f32_e32 v17, v89, v87
	v_and_b32_e32 v89, 0xffff0000, v90
	s_wait_alu 0xfffd
	v_cndmask_b32_e32 v88, v109, v110, vcc_lo
	v_bfe_u32 v109, v91, 16, 1
	v_cmp_u_f32_e32 vcc_lo, v107, v107
	v_dual_add_f32 v15, v17, v15 :: v_dual_lshlrev_b32 v50, 16, v50
	s_delay_alu instid0(VALU_DEP_4) | instskip(NEXT) | instid1(VALU_DEP_4)
	v_and_b32_e32 v87, 0xffff0000, v88
	v_add3_u32 v107, v109, v91, 0x7fff
	s_wait_alu 0xfffd
	v_cndmask_b32_e32 v106, v106, v108, vcc_lo
	v_or_b32_e32 v108, 0x400000, v91
	v_lshlrev_b32_e32 v88, 16, v105
	v_cmp_u_f32_e32 vcc_lo, v91, v91
	v_add_f32_e32 v87, v87, v89
	v_bfe_u32 v105, v99, 16, 1
	s_delay_alu instid0(VALU_DEP_4)
	v_dual_mul_f32 v17, v1, v88 :: v_dual_lshlrev_b32 v58, 16, v58
	s_wait_alu 0xfffd
	v_cndmask_b32_e32 v90, v107, v108, vcc_lo
	v_dual_add_f32 v15, v87, v15 :: v_dual_lshlrev_b32 v88, 16, v104
	v_or_b32_e32 v104, 0x400000, v100
	v_bfe_u32 v91, v17, 16, 1
	s_delay_alu instid0(VALU_DEP_4) | instskip(NEXT) | instid1(VALU_DEP_4)
	v_and_b32_e32 v89, 0xffff0000, v90
	v_dual_mul_f32 v87, v5, v88 :: v_dual_and_b32 v90, 0xffff0000, v106
	v_lshlrev_b32_e32 v88, 16, v103
	v_cmp_u_f32_e32 vcc_lo, v17, v17
	v_dual_mul_f32 v58, v2, v58 :: v_dual_lshlrev_b32 v79, 16, v79
	s_delay_alu instid0(VALU_DEP_4) | instskip(SKIP_3) | instid1(VALU_DEP_4)
	v_add_f32_e32 v89, v89, v90
	v_add3_u32 v90, v91, v17, 0x7fff
	v_or_b32_e32 v91, 0x400000, v17
	v_bfe_u32 v103, v87, 16, 1
	v_dual_mul_f32 v88, v3, v88 :: v_dual_add_f32 v15, v89, v15
	v_mul_f32_e32 v79, v7, v79
	s_wait_alu 0xfffd
	v_cndmask_b32_e32 v17, v90, v91, vcc_lo
	v_add3_u32 v90, v103, v87, 0x7fff
	v_or_b32_e32 v91, 0x400000, v87
	v_bfe_u32 v103, v88, 16, 1
	v_cmp_u_f32_e32 vcc_lo, v87, v87
	v_dual_add_f32 v28, v28, v15 :: v_dual_and_b32 v17, 0xffff0000, v17
	v_lshlrev_b32_e32 v56, 16, v56
	s_wait_alu 0xfffd
	v_dual_cndmask_b32 v87, v90, v91 :: v_dual_lshlrev_b32 v54, 16, v54
	v_add3_u32 v90, v103, v88, 0x7fff
	v_or_b32_e32 v91, 0x400000, v88
	v_bfe_u32 v103, v102, 16, 1
	v_cmp_u_f32_e32 vcc_lo, v88, v88
	v_dual_mul_f32 v56, v4, v56 :: v_dual_and_b32 v87, 0xffff0000, v87
	v_lshlrev_b32_e32 v52, 16, v52
	v_dual_mul_f32 v50, v2, v50 :: v_dual_lshlrev_b32 v75, 16, v75
	s_wait_alu 0xfffd
	v_cndmask_b32_e32 v88, v90, v91, vcc_lo
	v_add3_u32 v90, v103, v102, 0x7fff
	v_or_b32_e32 v91, 0x400000, v102
	v_bfe_u32 v103, v101, 16, 1
	v_cmp_u_f32_e32 vcc_lo, v102, v102
	v_dual_add_f32 v17, v87, v17 :: v_dual_and_b32 v88, 0xffff0000, v88
	v_mul_f32_e32 v52, v3, v52
	s_delay_alu instid0(VALU_DEP_4)
	v_add3_u32 v102, v103, v101, 0x7fff
	s_wait_alu 0xfffd
	v_cndmask_b32_e32 v90, v90, v91, vcc_lo
	v_bfe_u32 v91, v100, 16, 1
	v_or_b32_e32 v103, 0x400000, v101
	v_cmp_u_f32_e32 vcc_lo, v101, v101
	v_lshlrev_b32_e32 v48, 16, v48
	v_and_b32_e32 v90, 0xffff0000, v90
	v_add3_u32 v91, v91, v100, 0x7fff
	v_lshlrev_b32_e32 v73, 16, v73
	s_wait_alu 0xfffd
	v_cndmask_b32_e32 v101, v102, v103, vcc_lo
	v_cmp_u_f32_e32 vcc_lo, v100, v100
	v_bfe_u32 v102, v98, 16, 1
	v_add3_u32 v100, v105, v99, 0x7fff
	v_or_b32_e32 v103, 0x400000, v99
	v_add_f32_e32 v87, v90, v88
	s_wait_alu 0xfffd
	v_cndmask_b32_e32 v91, v91, v104, vcc_lo
	v_add3_u32 v102, v102, v98, 0x7fff
	v_or_b32_e32 v104, 0x400000, v98
	v_cmp_u_f32_e32 vcc_lo, v98, v98
	v_and_b32_e32 v90, 0xffff0000, v101
	v_dual_add_f32 v17, v87, v17 :: v_dual_and_b32 v88, 0xffff0000, v91
	v_mul_f32_e32 v48, v4, v48
	s_wait_alu 0xfffd
	v_cndmask_b32_e32 v91, v102, v104, vcc_lo
	v_cmp_u_f32_e32 vcc_lo, v99, v99
	v_dual_add_f32 v87, v88, v90 :: v_dual_lshlrev_b32 v88, 16, v97
	s_delay_alu instid0(VALU_DEP_3) | instskip(SKIP_2) | instid1(VALU_DEP_3)
	v_dual_mul_f32 v73, v8, v73 :: v_dual_and_b32 v90, 0xffff0000, v91
	s_wait_alu 0xfffd
	v_dual_cndmask_b32 v98, v100, v103 :: v_dual_lshlrev_b32 v91, 16, v96
	v_dual_mul_f32 v88, v1, v88 :: v_dual_add_f32 v17, v87, v17
	v_lshlrev_b32_e32 v46, 16, v46
	s_delay_alu instid0(VALU_DEP_3) | instskip(NEXT) | instid1(VALU_DEP_3)
	v_dual_mul_f32 v87, v5, v91 :: v_dual_and_b32 v96, 0xffff0000, v98
	v_bfe_u32 v91, v88, 16, 1
	v_cmp_u_f32_e32 vcc_lo, v88, v88
	v_lshlrev_b32_e32 v44, 16, v44
	s_delay_alu instid0(VALU_DEP_4) | instskip(SKIP_2) | instid1(VALU_DEP_3)
	v_dual_add_f32 v89, v90, v96 :: v_dual_lshlrev_b32 v90, 16, v95
	v_bfe_u32 v15, v87, 16, 1
	v_or_b32_e32 v95, 0x400000, v87
	v_dual_mul_f32 v44, v3, v44 :: v_dual_add_f32 v17, v89, v17
	s_delay_alu instid0(VALU_DEP_4)
	v_mul_f32_e32 v89, v3, v90
	v_add3_u32 v90, v91, v88, 0x7fff
	v_or_b32_e32 v91, 0x400000, v88
	v_add3_u32 v15, v15, v87, 0x7fff
	v_add_f32_e32 v29, v29, v17
	v_bfe_u32 v96, v89, 16, 1
	v_bfe_u32 v17, v78, 16, 1
	s_wait_alu 0xfffd
	v_cndmask_b32_e32 v88, v90, v91, vcc_lo
	v_cmp_u_f32_e32 vcc_lo, v87, v87
	v_mul_f32_e32 v87, v6, v94
	v_add3_u32 v90, v96, v89, 0x7fff
	v_or_b32_e32 v91, 0x400000, v89
	v_bfe_u32 v96, v16, 16, 1
	s_wait_alu 0xfffd
	v_cndmask_b32_e32 v15, v15, v95, vcc_lo
	v_cmp_u_f32_e32 vcc_lo, v89, v89
	v_bfe_u32 v94, v87, 16, 1
	v_and_b32_e32 v88, 0xffff0000, v88
	s_delay_alu instid0(VALU_DEP_4)
	v_dual_mul_f32 v40, v4, v40 :: v_dual_and_b32 v15, 0xffff0000, v15
	s_wait_alu 0xfffd
	v_cndmask_b32_e32 v89, v90, v91, vcc_lo
	v_dual_mul_f32 v90, v2, v93 :: v_dual_mul_f32 v91, v8, v92
	v_add3_u32 v92, v94, v87, 0x7fff
	v_or_b32_e32 v93, 0x400000, v87
	v_cmp_u_f32_e32 vcc_lo, v87, v87
	s_delay_alu instid0(VALU_DEP_4)
	v_bfe_u32 v94, v90, 16, 1
	v_bfe_u32 v95, v91, 16, 1
	v_and_b32_e32 v89, 0xffff0000, v89
	v_add_f32_e32 v15, v15, v88
	s_wait_alu 0xfffd
	v_cndmask_b32_e32 v87, v92, v93, vcc_lo
	v_add3_u32 v92, v94, v90, 0x7fff
	v_or_b32_e32 v93, 0x400000, v90
	v_cmp_u_f32_e32 vcc_lo, v90, v90
	v_add3_u32 v94, v95, v91, 0x7fff
	v_or_b32_e32 v95, 0x400000, v91
	v_dual_mul_f32 v4, v4, v13 :: v_dual_and_b32 v87, 0xffff0000, v87
	s_wait_alu 0xfffd
	v_cndmask_b32_e32 v90, v92, v93, vcc_lo
	v_cmp_u_f32_e32 vcc_lo, v91, v91
	v_add3_u32 v92, v96, v16, 0x7fff
	v_or_b32_e32 v93, 0x400000, v16
	v_add_f32_e32 v87, v87, v89
	v_and_b32_e32 v89, 0xffff0000, v90
	s_wait_alu 0xfffd
	v_cndmask_b32_e32 v91, v94, v95, vcc_lo
	v_cmp_u_f32_e32 vcc_lo, v16, v16
	v_dual_add_f32 v15, v87, v15 :: v_dual_lshlrev_b32 v14, 16, v14
	v_add_nc_u32_e32 v38, 0x100, v38
	s_delay_alu instid0(VALU_DEP_4)
	v_and_b32_e32 v88, 0xffff0000, v91
	s_wait_alu 0xfffd
	v_cndmask_b32_e32 v16, v92, v93, vcc_lo
	v_bfe_u32 v92, v0, 16, 1
	v_or_b32_e32 v91, 0x400000, v0
	v_cmp_u_f32_e32 vcc_lo, v0, v0
	v_add_f32_e32 v87, v88, v89
	v_bfe_u32 v88, v86, 16, 1
	v_add3_u32 v90, v92, v0, 0x7fff
	v_bfe_u32 v89, v85, 16, 1
	v_bfe_u32 v92, v79, 16, 1
	v_add_f32_e32 v15, v87, v15
	v_add3_u32 v87, v88, v86, 0x7fff
	s_wait_alu 0xfffd
	v_cndmask_b32_e32 v0, v90, v91, vcc_lo
	v_or_b32_e32 v88, 0x400000, v86
	v_cmp_u_f32_e32 vcc_lo, v86, v86
	v_or_b32_e32 v90, 0x400000, v81
	v_bfe_u32 v91, v80, 16, 1
	v_and_b32_e32 v0, 0xffff0000, v0
	v_and_b32_e32 v16, 0xffff0000, v16
	s_wait_alu 0xfffd
	v_cndmask_b32_e32 v86, v87, v88, vcc_lo
	v_add3_u32 v87, v89, v85, 0x7fff
	v_or_b32_e32 v88, 0x400000, v85
	v_bfe_u32 v89, v84, 16, 1
	v_cmp_u_f32_e32 vcc_lo, v85, v85
	v_and_b32_e32 v86, 0xffff0000, v86
	v_add_f32_e32 v0, v0, v16
	v_dual_mul_f32 v7, v7, v14 :: v_dual_lshlrev_b32 v16, 16, v77
	s_wait_alu 0xfffd
	v_cndmask_b32_e32 v85, v87, v88, vcc_lo
	v_add3_u32 v87, v89, v84, 0x7fff
	v_or_b32_e32 v88, 0x400000, v84
	v_bfe_u32 v89, v83, 16, 1
	v_cmp_u_f32_e32 vcc_lo, v84, v84
	v_dual_add_f32 v0, v0, v15 :: v_dual_and_b32 v85, 0xffff0000, v85
	v_mul_f32_e32 v15, v5, v16
	s_wait_alu 0xfffd
	v_cndmask_b32_e32 v84, v87, v88, vcc_lo
	v_add3_u32 v87, v89, v83, 0x7fff
	v_or_b32_e32 v88, 0x400000, v83
	v_cmp_u_f32_e32 vcc_lo, v83, v83
	v_bfe_u32 v89, v82, 16, 1
	v_dual_add_f32 v85, v85, v86 :: v_dual_and_b32 v84, 0xffff0000, v84
	v_add_f32_e32 v30, v30, v0
	s_wait_alu 0xfffd
	v_cndmask_b32_e32 v83, v87, v88, vcc_lo
	v_bfe_u32 v87, v81, 16, 1
	v_add3_u32 v88, v89, v82, 0x7fff
	v_or_b32_e32 v89, 0x400000, v82
	v_cmp_u_f32_e32 vcc_lo, v82, v82
	v_and_b32_e32 v83, 0xffff0000, v83
	v_add3_u32 v87, v87, v81, 0x7fff
	v_bfe_u32 v0, v15, 16, 1
	s_wait_alu 0xfffd
	v_cndmask_b32_e32 v82, v88, v89, vcc_lo
	v_cmp_u_f32_e32 vcc_lo, v81, v81
	v_add3_u32 v88, v92, v79, 0x7fff
	v_or_b32_e32 v89, 0x400000, v79
	s_delay_alu instid0(VALU_DEP_4)
	v_dual_add_f32 v83, v83, v84 :: v_dual_and_b32 v82, 0xffff0000, v82
	s_wait_alu 0xfffd
	v_cndmask_b32_e32 v81, v87, v90, vcc_lo
	v_cmp_u_f32_e32 vcc_lo, v79, v79
	v_add3_u32 v87, v91, v80, 0x7fff
	v_or_b32_e32 v90, 0x400000, v80
	v_add_f32_e32 v83, v83, v85
	v_and_b32_e32 v81, 0xffff0000, v81
	s_wait_alu 0xfffd
	v_cndmask_b32_e32 v79, v88, v89, vcc_lo
	v_cmp_u_f32_e32 vcc_lo, v80, v80
	v_add3_u32 v0, v0, v15, 0x7fff
	v_add_f32_e32 v81, v81, v82
	s_wait_alu 0xfffd
	v_dual_cndmask_b32 v80, v87, v90 :: v_dual_and_b32 v79, 0xffff0000, v79
	v_cmp_u_f32_e32 vcc_lo, v78, v78
	s_delay_alu instid0(VALU_DEP_2) | instskip(NEXT) | instid1(VALU_DEP_1)
	v_dual_add_f32 v77, v81, v83 :: v_dual_and_b32 v80, 0xffff0000, v80
	v_add_f32_e32 v79, v79, v80
	s_delay_alu instid0(VALU_DEP_1) | instskip(SKIP_2) | instid1(VALU_DEP_3)
	v_add_f32_e32 v16, v79, v77
	v_or_b32_e32 v77, 0x400000, v15
	v_bfe_u32 v79, v72, 16, 1
	v_add_f32_e32 v31, v31, v16
	v_add3_u32 v16, v17, v78, 0x7fff
	v_or_b32_e32 v17, 0x400000, v78
	v_bfe_u32 v78, v73, 16, 1
	s_wait_alu 0xfffd
	s_delay_alu instid0(VALU_DEP_2)
	v_cndmask_b32_e32 v16, v16, v17, vcc_lo
	v_bfe_u32 v17, v76, 16, 1
	v_cmp_u_f32_e32 vcc_lo, v15, v15
	v_mul_f32_e32 v15, v6, v75
	v_or_b32_e32 v75, 0x400000, v76
	v_and_b32_e32 v16, 0xffff0000, v16
	v_add3_u32 v17, v17, v76, 0x7fff
	s_wait_alu 0xfffd
	v_cndmask_b32_e32 v0, v0, v77, vcc_lo
	v_bfe_u32 v77, v15, 16, 1
	v_cmp_u_f32_e32 vcc_lo, v76, v76
	v_or_b32_e32 v76, 0x400000, v15
	s_wait_alu 0xfffd
	v_dual_cndmask_b32 v17, v17, v75 :: v_dual_and_b32 v0, 0xffff0000, v0
	v_add3_u32 v75, v77, v15, 0x7fff
	v_bfe_u32 v77, v74, 16, 1
	v_cmp_u_f32_e32 vcc_lo, v15, v15
	s_delay_alu instid0(VALU_DEP_4)
	v_dual_add_f32 v0, v0, v16 :: v_dual_and_b32 v17, 0xffff0000, v17
	s_wait_alu 0xfffd
	v_cndmask_b32_e32 v15, v75, v76, vcc_lo
	v_add3_u32 v75, v77, v74, 0x7fff
	v_or_b32_e32 v76, 0x400000, v74
	v_cmp_u_f32_e32 vcc_lo, v74, v74
	v_add3_u32 v77, v78, v73, 0x7fff
	v_or_b32_e32 v78, 0x400000, v73
	s_wait_alu 0xfffd
	v_dual_cndmask_b32 v74, v75, v76 :: v_dual_and_b32 v15, 0xffff0000, v15
	v_cmp_u_f32_e32 vcc_lo, v73, v73
	v_add3_u32 v75, v79, v72, 0x7fff
	v_or_b32_e32 v76, 0x400000, v72
	s_delay_alu instid0(VALU_DEP_4)
	v_add_f32_e32 v15, v15, v17
	v_and_b32_e32 v17, 0xffff0000, v74
	s_wait_alu 0xfffd
	v_cndmask_b32_e32 v73, v77, v78, vcc_lo
	v_bfe_u32 v77, v71, 16, 1
	v_cmp_u_f32_e32 vcc_lo, v72, v72
	v_dual_add_f32 v0, v15, v0 :: v_dual_mul_f32 v15, v1, v70
	s_delay_alu instid0(VALU_DEP_4)
	v_and_b32_e32 v16, 0xffff0000, v73
	v_bfe_u32 v73, v64, 16, 1
	s_wait_alu 0xfffd
	v_cndmask_b32_e32 v72, v75, v76, vcc_lo
	v_add3_u32 v75, v77, v71, 0x7fff
	v_or_b32_e32 v76, 0x400000, v71
	v_cmp_u_f32_e32 vcc_lo, v71, v71
	v_add_f32_e32 v16, v16, v17
	v_dual_mul_f32 v17, v5, v69 :: v_dual_and_b32 v70, 0xffff0000, v72
	s_wait_alu 0xfffd
	v_cndmask_b32_e32 v71, v75, v76, vcc_lo
	s_delay_alu instid0(VALU_DEP_3) | instskip(NEXT) | instid1(VALU_DEP_3)
	v_add_f32_e32 v0, v16, v0
	v_bfe_u32 v16, v17, 16, 1
	v_cmp_u_f32_e32 vcc_lo, v15, v15
	v_or_b32_e32 v72, 0x400000, v17
	v_and_b32_e32 v69, 0xffff0000, v71
	v_bfe_u32 v71, v15, 16, 1
	v_add3_u32 v16, v16, v17, 0x7fff
	s_delay_alu instid0(VALU_DEP_3) | instskip(NEXT) | instid1(VALU_DEP_3)
	v_add_f32_e32 v69, v69, v70
	v_add3_u32 v70, v71, v15, 0x7fff
	v_or_b32_e32 v71, 0x400000, v15
	s_wait_alu 0xfffd
	s_delay_alu instid0(VALU_DEP_1) | instskip(SKIP_2) | instid1(VALU_DEP_3)
	v_dual_add_f32 v0, v69, v0 :: v_dual_cndmask_b32 v15, v70, v71
	v_bfe_u32 v70, v68, 16, 1
	v_cmp_u_f32_e32 vcc_lo, v17, v17
	v_dual_mul_f32 v17, v6, v67 :: v_dual_add_f32 v32, v32, v0
	s_delay_alu instid0(VALU_DEP_4) | instskip(NEXT) | instid1(VALU_DEP_4)
	v_and_b32_e32 v15, 0xffff0000, v15
	v_add3_u32 v67, v70, v68, 0x7fff
	s_wait_alu 0xfffd
	v_cndmask_b32_e32 v16, v16, v72, vcc_lo
	v_or_b32_e32 v70, 0x400000, v68
	v_bfe_u32 v71, v17, 16, 1
	v_cmp_u_f32_e32 vcc_lo, v68, v68
	v_bfe_u32 v72, v65, 16, 1
	v_and_b32_e32 v16, 0xffff0000, v16
	s_delay_alu instid0(VALU_DEP_4)
	v_add3_u32 v68, v71, v17, 0x7fff
	s_wait_alu 0xfffd
	v_cndmask_b32_e32 v67, v67, v70, vcc_lo
	v_or_b32_e32 v70, 0x400000, v17
	v_bfe_u32 v71, v66, 16, 1
	v_cmp_u_f32_e32 vcc_lo, v17, v17
	v_add_f32_e32 v15, v16, v15
	v_and_b32_e32 v67, 0xffff0000, v67
	s_wait_alu 0xfffd
	v_cndmask_b32_e32 v17, v68, v70, vcc_lo
	v_add3_u32 v68, v71, v66, 0x7fff
	v_or_b32_e32 v70, 0x400000, v66
	v_cmp_u_f32_e32 vcc_lo, v66, v66
	v_add3_u32 v71, v72, v65, 0x7fff
	v_or_b32_e32 v72, 0x400000, v65
	s_wait_alu 0xfffd
	v_dual_cndmask_b32 v66, v68, v70 :: v_dual_and_b32 v17, 0xffff0000, v17
	v_cmp_u_f32_e32 vcc_lo, v65, v65
	v_add3_u32 v68, v73, v64, 0x7fff
	v_or_b32_e32 v70, 0x400000, v64
	s_wait_alu 0xfffd
	v_dual_add_f32 v16, v17, v67 :: v_dual_cndmask_b32 v65, v71, v72
	v_bfe_u32 v71, v63, 16, 1
	v_cmp_u_f32_e32 vcc_lo, v64, v64
	s_delay_alu instid0(VALU_DEP_3) | instskip(NEXT) | instid1(VALU_DEP_4)
	v_dual_add_f32 v15, v16, v15 :: v_dual_lshlrev_b32 v16, 16, v62
	v_and_b32_e32 v17, 0xffff0000, v65
	v_and_b32_e32 v65, 0xffff0000, v66
	s_wait_alu 0xfffd
	v_cndmask_b32_e32 v64, v68, v70, vcc_lo
	v_add3_u32 v68, v71, v63, 0x7fff
	v_or_b32_e32 v70, 0x400000, v63
	v_cmp_u_f32_e32 vcc_lo, v63, v63
	v_add_f32_e32 v17, v17, v65
	s_wait_alu 0xfffd
	s_delay_alu instid0(VALU_DEP_3) | instskip(NEXT) | instid1(VALU_DEP_2)
	v_dual_mul_f32 v16, v1, v16 :: v_dual_cndmask_b32 v63, v68, v70
	v_add_f32_e32 v15, v17, v15
	s_delay_alu instid0(VALU_DEP_2) | instskip(NEXT) | instid1(VALU_DEP_3)
	v_cmp_u_f32_e32 vcc_lo, v16, v16
	v_and_b32_e32 v62, 0xffff0000, v63
	v_and_b32_e32 v63, 0xffff0000, v64
	v_bfe_u32 v64, v56, 16, 1
	s_delay_alu instid0(VALU_DEP_2) | instskip(SKIP_2) | instid1(VALU_DEP_3)
	v_add_f32_e32 v17, v62, v63
	v_bfe_u32 v62, v16, 16, 1
	v_bfe_u32 v63, v61, 16, 1
	v_add_f32_e32 v0, v17, v15
	s_delay_alu instid0(VALU_DEP_3) | instskip(SKIP_1) | instid1(VALU_DEP_4)
	v_add3_u32 v15, v62, v16, 0x7fff
	v_or_b32_e32 v17, 0x400000, v16
	v_add3_u32 v62, v63, v61, 0x7fff
	v_or_b32_e32 v63, 0x400000, v61
	v_bfe_u32 v16, v60, 16, 1
	v_add_f32_e32 v33, v33, v0
	s_wait_alu 0xfffd
	v_cndmask_b32_e32 v15, v15, v17, vcc_lo
	v_cmp_u_f32_e32 vcc_lo, v61, v61
	v_or_b32_e32 v61, 0x400000, v60
	v_add3_u32 v16, v16, v60, 0x7fff
	s_delay_alu instid0(VALU_DEP_4)
	v_and_b32_e32 v15, 0xffff0000, v15
	s_wait_alu 0xfffd
	v_cndmask_b32_e32 v17, v62, v63, vcc_lo
	v_bfe_u32 v62, v59, 16, 1
	v_cmp_u_f32_e32 vcc_lo, v60, v60
	v_bfe_u32 v63, v57, 16, 1
	s_delay_alu instid0(VALU_DEP_4) | instskip(NEXT) | instid1(VALU_DEP_4)
	v_and_b32_e32 v17, 0xffff0000, v17
	v_add3_u32 v60, v62, v59, 0x7fff
	s_wait_alu 0xfffd
	v_cndmask_b32_e32 v16, v16, v61, vcc_lo
	v_or_b32_e32 v61, 0x400000, v59
	v_bfe_u32 v62, v58, 16, 1
	v_cmp_u_f32_e32 vcc_lo, v59, v59
	s_delay_alu instid0(VALU_DEP_4)
	v_dual_add_f32 v15, v17, v15 :: v_dual_and_b32 v16, 0xffff0000, v16
	s_wait_alu 0xfffd
	v_cndmask_b32_e32 v59, v60, v61, vcc_lo
	v_add3_u32 v60, v62, v58, 0x7fff
	v_or_b32_e32 v61, 0x400000, v58
	v_cmp_u_f32_e32 vcc_lo, v58, v58
	v_add3_u32 v62, v63, v57, 0x7fff
	v_or_b32_e32 v63, 0x400000, v57
	s_wait_alu 0xfffd
	v_dual_cndmask_b32 v58, v60, v61 :: v_dual_and_b32 v59, 0xffff0000, v59
	v_cmp_u_f32_e32 vcc_lo, v57, v57
	v_add3_u32 v60, v64, v56, 0x7fff
	v_or_b32_e32 v61, 0x400000, v56
	s_wait_alu 0xfffd
	v_dual_add_f32 v16, v59, v16 :: v_dual_cndmask_b32 v57, v62, v63
	v_bfe_u32 v62, v55, 16, 1
	v_cmp_u_f32_e32 vcc_lo, v56, v56
	s_delay_alu instid0(VALU_DEP_3) | instskip(NEXT) | instid1(VALU_DEP_4)
	v_add_f32_e32 v15, v16, v15
	v_and_b32_e32 v17, 0xffff0000, v57
	s_wait_alu 0xfffd
	v_dual_cndmask_b32 v56, v60, v61 :: v_dual_and_b32 v57, 0xffff0000, v58
	v_add3_u32 v60, v62, v55, 0x7fff
	v_or_b32_e32 v61, 0x400000, v55
	v_cmp_u_f32_e32 vcc_lo, v55, v55
	s_delay_alu instid0(VALU_DEP_4)
	v_add_f32_e32 v16, v17, v57
	v_mul_f32_e32 v17, v1, v54
	v_or_b32_e32 v57, 0x400000, v53
	v_bfe_u32 v58, v52, 16, 1
	s_wait_alu 0xfffd
	v_cndmask_b32_e32 v55, v60, v61, vcc_lo
	v_add_f32_e32 v15, v16, v15
	v_bfe_u32 v16, v53, 16, 1
	v_cmp_u_f32_e32 vcc_lo, v17, v17
	s_delay_alu instid0(VALU_DEP_4) | instskip(SKIP_3) | instid1(VALU_DEP_3)
	v_and_b32_e32 v54, 0xffff0000, v55
	v_and_b32_e32 v55, 0xffff0000, v56
	v_bfe_u32 v56, v17, 16, 1
	v_add3_u32 v16, v16, v53, 0x7fff
	v_add_f32_e32 v54, v54, v55
	s_delay_alu instid0(VALU_DEP_3) | instskip(SKIP_2) | instid1(VALU_DEP_1)
	v_add3_u32 v55, v56, v17, 0x7fff
	v_or_b32_e32 v56, 0x400000, v17
	s_wait_alu 0xfffd
	v_cndmask_b32_e32 v17, v55, v56, vcc_lo
	v_cmp_u_f32_e32 vcc_lo, v53, v53
	v_add3_u32 v53, v58, v52, 0x7fff
	v_or_b32_e32 v55, 0x400000, v52
	v_bfe_u32 v56, v51, 16, 1
	v_bfe_u32 v58, v48, 16, 1
	s_wait_alu 0xfffd
	v_cndmask_b32_e32 v16, v16, v57, vcc_lo
	v_cmp_u_f32_e32 vcc_lo, v52, v52
	v_bfe_u32 v57, v49, 16, 1
	v_and_b32_e32 v17, 0xffff0000, v17
	s_delay_alu instid0(VALU_DEP_4)
	v_and_b32_e32 v16, 0xffff0000, v16
	s_wait_alu 0xfffd
	v_cndmask_b32_e32 v52, v53, v55, vcc_lo
	v_add3_u32 v53, v56, v51, 0x7fff
	v_or_b32_e32 v55, 0x400000, v51
	v_bfe_u32 v56, v50, 16, 1
	v_cmp_u_f32_e32 vcc_lo, v51, v51
	v_and_b32_e32 v52, 0xffff0000, v52
	s_wait_alu 0xfffd
	v_dual_add_f32 v16, v16, v17 :: v_dual_cndmask_b32 v51, v53, v55
	v_add3_u32 v53, v56, v50, 0x7fff
	v_or_b32_e32 v55, 0x400000, v50
	v_cmp_u_f32_e32 vcc_lo, v50, v50
	v_add3_u32 v56, v57, v49, 0x7fff
	v_or_b32_e32 v57, 0x400000, v49
	v_and_b32_e32 v51, 0xffff0000, v51
	s_wait_alu 0xfffd
	v_cndmask_b32_e32 v50, v53, v55, vcc_lo
	v_cmp_u_f32_e32 vcc_lo, v49, v49
	v_add3_u32 v53, v58, v48, 0x7fff
	v_or_b32_e32 v55, 0x400000, v48
	s_delay_alu instid0(VALU_DEP_4)
	v_dual_add_f32 v17, v51, v52 :: v_dual_and_b32 v50, 0xffff0000, v50
	s_wait_alu 0xfffd
	v_cndmask_b32_e32 v49, v56, v57, vcc_lo
	v_cmp_u_f32_e32 vcc_lo, v48, v48
	v_or_b32_e32 v52, 0x400000, v47
	v_add_f32_e32 v16, v17, v16
	v_mul_f32_e32 v17, v1, v46
	s_wait_alu 0xfffd
	v_dual_cndmask_b32 v48, v53, v55 :: v_dual_and_b32 v49, 0xffff0000, v49
	v_bfe_u32 v53, v47, 16, 1
	v_cmp_u_f32_e32 vcc_lo, v47, v47
	s_delay_alu instid0(VALU_DEP_3) | instskip(SKIP_1) | instid1(VALU_DEP_4)
	v_add_f32_e32 v46, v49, v50
	v_bfe_u32 v49, v17, 16, 1
	v_add3_u32 v51, v53, v47, 0x7fff
	v_bfe_u32 v50, v45, 16, 1
	v_and_b32_e32 v48, 0xffff0000, v48
	v_add_f32_e32 v16, v46, v16
	s_wait_alu 0xfffd
	v_cndmask_b32_e32 v47, v51, v52, vcc_lo
	v_cmp_u_f32_e32 vcc_lo, v17, v17
	v_or_b32_e32 v51, 0x400000, v44
	s_delay_alu instid0(VALU_DEP_3) | instskip(SKIP_3) | instid1(VALU_DEP_1)
	v_and_b32_e32 v46, 0xffff0000, v47
	v_add3_u32 v47, v49, v17, 0x7fff
	v_or_b32_e32 v49, 0x400000, v17
	s_wait_alu 0xfffd
	v_cndmask_b32_e32 v17, v47, v49, vcc_lo
	v_bfe_u32 v47, v44, 16, 1
	v_add3_u32 v49, v50, v45, 0x7fff
	v_or_b32_e32 v50, 0x400000, v45
	v_cmp_u_f32_e32 vcc_lo, v45, v45
	v_and_b32_e32 v17, 0xffff0000, v17
	v_add3_u32 v47, v47, v44, 0x7fff
	s_wait_alu 0xfffd
	v_cndmask_b32_e32 v45, v49, v50, vcc_lo
	v_bfe_u32 v49, v43, 16, 1
	v_cmp_u_f32_e32 vcc_lo, v44, v44
	v_or_b32_e32 v50, 0x400000, v43
	s_delay_alu instid0(VALU_DEP_4) | instskip(NEXT) | instid1(VALU_DEP_4)
	v_and_b32_e32 v45, 0xffff0000, v45
	v_add3_u32 v49, v49, v43, 0x7fff
	s_wait_alu 0xfffd
	v_cndmask_b32_e32 v44, v47, v51, vcc_lo
	v_bfe_u32 v47, v42, 16, 1
	v_cmp_u_f32_e32 vcc_lo, v43, v43
	v_or_b32_e32 v51, 0x400000, v42
	s_delay_alu instid0(VALU_DEP_4) | instskip(NEXT) | instid1(VALU_DEP_4)
	v_dual_add_f32 v17, v45, v17 :: v_dual_and_b32 v44, 0xffff0000, v44
	v_add3_u32 v47, v47, v42, 0x7fff
	s_wait_alu 0xfffd
	v_cndmask_b32_e32 v43, v49, v50, vcc_lo
	v_bfe_u32 v49, v41, 16, 1
	v_cmp_u_f32_e32 vcc_lo, v42, v42
	v_bfe_u32 v50, v40, 16, 1
	s_delay_alu instid0(VALU_DEP_4)
	v_and_b32_e32 v43, 0xffff0000, v43
	s_wait_alu 0xfffd
	v_cndmask_b32_e32 v42, v47, v51, vcc_lo
	v_add3_u32 v47, v49, v41, 0x7fff
	v_or_b32_e32 v49, 0x400000, v41
	v_cmp_u_f32_e32 vcc_lo, v41, v41
	v_add3_u32 v50, v50, v40, 0x7fff
	v_or_b32_e32 v51, 0x400000, v40
	v_dual_add_f32 v43, v43, v44 :: v_dual_and_b32 v42, 0xffff0000, v42
	s_wait_alu 0xfffd
	v_cndmask_b32_e32 v41, v47, v49, vcc_lo
	v_cmp_u_f32_e32 vcc_lo, v40, v40
	v_bfe_u32 v47, v39, 16, 1
	v_lshlrev_b32_e32 v44, 16, v118
	v_or_b32_e32 v49, 0x400000, v39
	s_wait_alu 0xfffd
	v_dual_cndmask_b32 v40, v50, v51 :: v_dual_and_b32 v41, 0xffff0000, v41
	v_lshlrev_b32_e32 v50, 16, v119
	v_add3_u32 v47, v47, v39, 0x7fff
	v_cmp_u_f32_e32 vcc_lo, v39, v39
	v_add_f32_e32 v17, v43, v17
	v_add_f32_e32 v41, v41, v42
	v_mul_f32_e32 v5, v5, v50
	v_dual_mul_f32 v1, v1, v44 :: v_dual_lshlrev_b32 v42, 16, v117
	s_wait_alu 0xfffd
	v_cndmask_b32_e32 v39, v47, v49, vcc_lo
	s_delay_alu instid0(VALU_DEP_3)
	v_bfe_u32 v43, v5, 16, 1
	v_or_b32_e32 v44, 0x400000, v5
	v_bfe_u32 v45, v1, 16, 1
	v_mul_f32_e32 v6, v6, v42
	v_lshlrev_b32_e32 v42, 16, v116
	v_add3_u32 v43, v43, v5, 0x7fff
	v_cmp_u_f32_e32 vcc_lo, v5, v5
	v_and_b32_e32 v39, 0xffff0000, v39
	s_delay_alu instid0(VALU_DEP_4)
	v_dual_mul_f32 v3, v3, v42 :: v_dual_lshlrev_b32 v42, 16, v115
	s_wait_alu 0xfffd
	v_cndmask_b32_e32 v5, v43, v44, vcc_lo
	v_add3_u32 v43, v45, v1, 0x7fff
	v_or_b32_e32 v44, 0x400000, v1
	v_bfe_u32 v45, v6, 16, 1
	v_cmp_u_f32_e32 vcc_lo, v1, v1
	v_mul_f32_e32 v8, v8, v42
	v_lshlrev_b32_e32 v42, 16, v114
	v_and_b32_e32 v5, 0xffff0000, v5
	s_wait_alu 0xfffd
	v_cndmask_b32_e32 v1, v43, v44, vcc_lo
	v_add3_u32 v43, v45, v6, 0x7fff
	v_or_b32_e32 v44, 0x400000, v6
	v_bfe_u32 v45, v3, 16, 1
	v_cmp_u_f32_e32 vcc_lo, v6, v6
	v_mul_f32_e32 v2, v2, v42
	v_or_b32_e32 v13, 0x400000, v8
	s_wait_alu 0xfffd
	v_dual_cndmask_b32 v6, v43, v44 :: v_dual_and_b32 v1, 0xffff0000, v1
	v_add3_u32 v43, v45, v3, 0x7fff
	v_or_b32_e32 v44, 0x400000, v3
	v_bfe_u32 v45, v8, 16, 1
	v_cmp_u_f32_e32 vcc_lo, v3, v3
	v_bfe_u32 v42, v2, 16, 1
	v_dual_add_f32 v1, v5, v1 :: v_dual_and_b32 v6, 0xffff0000, v6
	s_wait_alu 0xfffd
	v_cndmask_b32_e32 v3, v43, v44, vcc_lo
	v_add3_u32 v43, v45, v8, 0x7fff
	v_cmp_u_f32_e32 vcc_lo, v8, v8
	v_add3_u32 v14, v42, v2, 0x7fff
	v_or_b32_e32 v42, 0x400000, v2
	v_bfe_u32 v45, v4, 16, 1
	v_bfe_u32 v44, v7, 16, 1
	s_wait_alu 0xfffd
	v_cndmask_b32_e32 v8, v43, v13, vcc_lo
	v_cmp_u_f32_e32 vcc_lo, v2, v2
	v_and_b32_e32 v3, 0xffff0000, v3
	v_or_b32_e32 v43, 0x400000, v7
	v_add3_u32 v13, v44, v7, 0x7fff
	s_wait_alu 0xfffd
	v_dual_cndmask_b32 v2, v14, v42 :: v_dual_and_b32 v5, 0xffff0000, v8
	v_add3_u32 v14, v45, v4, 0x7fff
	v_or_b32_e32 v42, 0x400000, v4
	v_cmp_u_f32_e32 vcc_lo, v4, v4
	s_delay_alu instid0(VALU_DEP_4) | instskip(SKIP_1) | instid1(VALU_DEP_3)
	v_dual_add_f32 v3, v6, v3 :: v_dual_and_b32 v2, 0xffff0000, v2
	s_wait_alu 0xfffd
	v_cndmask_b32_e32 v4, v14, v42, vcc_lo
	v_cmp_u_f32_e32 vcc_lo, v7, v7
	v_and_b32_e32 v7, 0xffff0000, v40
	v_dual_add_f32 v1, v3, v1 :: v_dual_add_f32 v2, v5, v2
	s_wait_alu 0xfffd
	v_dual_cndmask_b32 v6, v13, v43 :: v_dual_and_b32 v3, 0xffff0000, v4
	v_add_f32_e32 v5, v46, v48
	v_add_f32_e32 v7, v39, v7
	;; [unrolled: 1-line block ×3, first 2 shown]
	v_cmp_le_i32_e32 vcc_lo, s23, v18
	v_and_b32_e32 v4, 0xffff0000, v6
	v_add_f32_e32 v6, v41, v17
	s_or_b32 s8, vcc_lo, s8
	s_delay_alu instid0(VALU_DEP_2) | instskip(SKIP_1) | instid1(VALU_DEP_2)
	v_add_f32_e32 v2, v4, v3
	v_dual_add_f32 v3, v54, v15 :: v_dual_add_f32 v4, v5, v16
	v_dual_add_f32 v0, v7, v6 :: v_dual_add_f32 v1, v2, v1
	s_delay_alu instid0(VALU_DEP_2) | instskip(NEXT) | instid1(VALU_DEP_3)
	v_add_f32_e32 v34, v34, v3
	v_add_f32_e32 v36, v36, v4
	s_delay_alu instid0(VALU_DEP_3) | instskip(NEXT) | instid1(VALU_DEP_4)
	v_add_f32_e32 v35, v35, v0
	v_add_f32_e32 v21, v21, v1
	s_wait_alu 0xfffe
	s_and_not1_b32 exec_lo, exec_lo, s8
	s_cbranch_execz .LBB348_65
.LBB348_33:                             ; =>This Inner Loop Header: Depth=1
	global_load_b32 v0, v[11:12], off
	v_cmp_eq_u32_e32 vcc_lo, s31, v18
	s_wait_loadcnt 0x0
	s_wait_alu 0xfffe
	v_mad_co_i64_i32 v[13:14], null, v0, s5, v[9:10]
	global_load_b64 v[16:17], v[13:14], off
	ds_load_2addr_b64 v[5:8], v38 offset1:1
	ds_load_2addr_b64 v[1:4], v38 offset0:2 offset1:3
	s_wait_loadcnt 0x0
	v_and_b32_e32 v41, 0xff, v17
	v_bfe_u32 v39, v16, 8, 8
	v_bfe_u32 v40, v16, 16, 8
	;; [unrolled: 1-line block ×4, first 2 shown]
	v_cvt_f32_fp8_e32 v41, v41
	v_and_b32_e32 v0, 0xff, v16
	v_cvt_f32_fp8_e32 v39, v39
	v_add_nc_u32_e32 v90, -4, v37
	v_lshrrev_b32_e32 v16, 24, v16
	v_mul_f32_e32 v41, s3, v41
	v_cvt_f32_fp8_e32 v0, v0
	v_add_nc_u32_e32 v87, -7, v37
	v_cvt_f32_fp8_e32 v40, v40
	v_mul_f32_e32 v39, s3, v39
	s_delay_alu instid0(VALU_DEP_4) | instskip(SKIP_1) | instid1(VALU_DEP_4)
	v_dual_mul_f32 v0, s3, v0 :: v_dual_add_nc_u32 v91, -6, v37
	v_cvt_f32_fp8_e32 v16, v16
	v_mul_f32_e32 v40, s3, v40
	s_delay_alu instid0(VALU_DEP_4)
	v_bfe_u32 v46, v39, 16, 1
	v_add_nc_u32_e32 v15, -5, v37
	v_bfe_u32 v44, v0, 16, 1
	v_or_b32_e32 v45, 0x400000, v0
	v_cmp_u_f32_e64 s0, v0, v0
	v_mul_f32_e32 v16, s3, v16
	v_or_b32_e32 v47, 0x400000, v39
	v_add3_u32 v44, v44, v0, 0x7fff
	v_bfe_u32 v48, v40, 16, 1
	v_add3_u32 v46, v46, v39, 0x7fff
	v_cvt_f32_fp8_e32 v42, v42
	v_or_b32_e32 v49, 0x400000, v40
	s_wait_alu 0xf1ff
	v_cndmask_b32_e64 v0, v44, v45, s0
	v_cmp_u_f32_e64 s0, v39, v39
	v_bfe_u32 v50, v16, 16, 1
	v_add3_u32 v48, v48, v40, 0x7fff
	v_dual_mul_f32 v42, s3, v42 :: v_dual_add_nc_u32 v89, -3, v37
	s_wait_alu 0xf1ff
	v_cndmask_b32_e64 v39, v46, v47, s0
	v_cmp_u_f32_e64 s0, v40, v40
	v_lshrrev_b32_e32 v17, 24, v17
	v_cvt_f32_fp8_e32 v43, v43
	v_or_b32_e32 v51, 0x400000, v16
	v_bfe_u32 v52, v41, 16, 1
	v_add3_u32 v50, v50, v16, 0x7fff
	s_wait_alu 0xf1ff
	v_cndmask_b32_e64 v40, v48, v49, s0
	v_cmp_u_f32_e64 s0, v16, v16
	v_dual_mul_f32 v43, s3, v43 :: v_dual_add_nc_u32 v88, -2, v37
	v_cvt_f32_fp8_e32 v17, v17
	v_or_b32_e32 v53, 0x400000, v41
	v_bfe_u32 v54, v42, 16, 1
	v_add3_u32 v52, v52, v41, 0x7fff
	s_wait_alu 0xf1ff
	v_cndmask_b32_e64 v16, v50, v51, s0
	v_cmp_u_f32_e64 s0, v41, v41
	v_mul_f32_e32 v17, s3, v17
	v_or_b32_e32 v55, 0x400000, v42
	v_bfe_u32 v56, v43, 16, 1
	v_add3_u32 v54, v54, v42, 0x7fff
	s_wait_alu 0xf1ff
	v_cndmask_b32_e64 v41, v52, v53, s0
	v_cmp_u_f32_e64 s0, v42, v42
	v_or_b32_e32 v57, 0x400000, v43
	v_bfe_u32 v58, v17, 16, 1
	v_add3_u32 v56, v56, v43, 0x7fff
	v_or_b32_e32 v59, 0x400000, v17
	s_wait_alu 0xf1ff
	v_cndmask_b32_e64 v42, v54, v55, s0
	v_cmp_u_f32_e64 s0, v43, v43
	v_add3_u32 v58, v58, v17, 0x7fff
	v_lshrrev_b32_e32 v45, 16, v0
	v_lshrrev_b32_e32 v46, 16, v39
	;; [unrolled: 1-line block ×3, first 2 shown]
	s_wait_alu 0xf1ff
	v_cndmask_b32_e64 v47, v56, v57, s0
	v_cmp_u_f32_e64 s0, v17, v17
	v_lshrrev_b32_e32 v44, 16, v16
	v_lshrrev_b32_e32 v41, 16, v41
	;; [unrolled: 1-line block ×4, first 2 shown]
	s_wait_alu 0xf1ff
	v_cndmask_b32_e64 v17, v58, v59, s0
	s_delay_alu instid0(VALU_DEP_1)
	v_lshrrev_b32_e32 v40, 16, v17
	v_add_nc_u32_e32 v17, -1, v37
	s_and_saveexec_b32 s9, vcc_lo
	s_cbranch_execz .LBB348_35
; %bb.34:                               ;   in Loop: Header=BB348_33 Depth=1
	v_cmp_gt_i32_e64 s0, s21, v87
	s_wait_alu 0xf1ff
	s_delay_alu instid0(VALU_DEP_1) | instskip(SKIP_2) | instid1(VALU_DEP_1)
	v_cndmask_b32_e64 v45, 0, v45, s0
	v_cmp_gt_i32_e64 s0, s21, v91
	s_wait_alu 0xf1ff
	v_cndmask_b32_e64 v46, 0, v46, s0
	v_cmp_gt_i32_e64 s0, s21, v15
	s_wait_alu 0xf1ff
	s_delay_alu instid0(VALU_DEP_1) | instskip(SKIP_2) | instid1(VALU_DEP_1)
	v_cndmask_b32_e64 v43, 0, v43, s0
	v_cmp_gt_i32_e64 s0, s21, v90
	s_wait_alu 0xf1ff
	v_cndmask_b32_e64 v44, 0, v44, s0
	v_cmp_gt_i32_e64 s0, s21, v89
	s_wait_alu 0xf1ff
	s_delay_alu instid0(VALU_DEP_1) | instskip(SKIP_2) | instid1(VALU_DEP_1)
	v_cndmask_b32_e64 v41, 0, v41, s0
	v_cmp_gt_i32_e64 s0, s21, v88
	s_wait_alu 0xf1ff
	v_cndmask_b32_e64 v42, 0, v42, s0
	v_cmp_gt_i32_e64 s0, s21, v17
	s_wait_alu 0xf1ff
	s_delay_alu instid0(VALU_DEP_1) | instskip(SKIP_2) | instid1(VALU_DEP_1)
	v_cndmask_b32_e64 v39, 0, v39, s0
	v_cmp_gt_i32_e64 s0, s21, v37
	s_wait_alu 0xf1ff
	v_cndmask_b32_e64 v40, 0, v40, s0
.LBB348_35:                             ;   in Loop: Header=BB348_33 Depth=1
	s_wait_alu 0xfffe
	s_or_b32 exec_lo, exec_lo, s9
	global_load_b64 v[47:48], v[13:14], off offset:256
	s_wait_loadcnt 0x0
	v_bfe_u32 v49, v47, 16, 8
	v_bfe_u32 v16, v47, 8, 8
	;; [unrolled: 1-line block ×4, first 2 shown]
	s_delay_alu instid0(VALU_DEP_4)
	v_cvt_f32_fp8_e32 v49, v49
	v_and_b32_e32 v0, 0xff, v47
	v_cvt_f32_fp8_e32 v16, v16
	v_cvt_f32_fp8_e32 v51, v51
	v_lshrrev_b32_e32 v47, 24, v47
	v_mul_f32_e32 v49, s3, v49
	v_cvt_f32_fp8_e32 v0, v0
	v_mul_f32_e32 v16, s3, v16
	v_cvt_f32_fp8_e32 v52, v52
	v_cvt_f32_fp8_e32 v47, v47
	s_delay_alu instid0(VALU_DEP_4) | instskip(SKIP_2) | instid1(VALU_DEP_4)
	v_dual_mul_f32 v51, s3, v51 :: v_dual_mul_f32 v0, s3, v0
	v_and_b32_e32 v50, 0xff, v48
	v_bfe_u32 v55, v16, 16, 1
	v_mul_f32_e32 v47, s3, v47
	v_or_b32_e32 v56, 0x400000, v16
	v_bfe_u32 v53, v0, 16, 1
	v_or_b32_e32 v54, 0x400000, v0
	v_cmp_u_f32_e64 s0, v0, v0
	v_cvt_f32_fp8_e32 v50, v50
	v_bfe_u32 v57, v49, 16, 1
	v_add3_u32 v53, v53, v0, 0x7fff
	v_add3_u32 v55, v55, v16, 0x7fff
	v_or_b32_e32 v58, 0x400000, v49
	v_mul_f32_e32 v50, s3, v50
	v_bfe_u32 v59, v47, 16, 1
	s_wait_alu 0xf1ff
	v_cndmask_b32_e64 v0, v53, v54, s0
	v_cmp_u_f32_e64 s0, v16, v16
	v_add3_u32 v57, v57, v49, 0x7fff
	v_lshrrev_b32_e32 v48, 24, v48
	v_or_b32_e32 v60, 0x400000, v47
	v_bfe_u32 v61, v50, 16, 1
	s_wait_alu 0xf1ff
	v_cndmask_b32_e64 v16, v55, v56, s0
	v_cmp_u_f32_e64 s0, v49, v49
	v_add3_u32 v59, v59, v47, 0x7fff
	v_cvt_f32_fp8_e32 v48, v48
	v_mul_f32_e32 v52, s3, v52
	v_or_b32_e32 v62, 0x400000, v50
	s_wait_alu 0xf1ff
	v_cndmask_b32_e64 v49, v57, v58, s0
	v_cmp_u_f32_e64 s0, v47, v47
	v_bfe_u32 v63, v51, 16, 1
	v_add3_u32 v61, v61, v50, 0x7fff
	v_mul_f32_e32 v48, s3, v48
	v_or_b32_e32 v64, 0x400000, v51
	s_wait_alu 0xf1ff
	v_cndmask_b32_e64 v47, v59, v60, s0
	v_cmp_u_f32_e64 s0, v50, v50
	v_bfe_u32 v65, v52, 16, 1
	v_add3_u32 v63, v63, v51, 0x7fff
	v_or_b32_e32 v66, 0x400000, v52
	v_bfe_u32 v67, v48, 16, 1
	s_wait_alu 0xf1ff
	v_cndmask_b32_e64 v50, v61, v62, s0
	v_cmp_u_f32_e64 s0, v51, v51
	v_add3_u32 v65, v65, v52, 0x7fff
	v_or_b32_e32 v68, 0x400000, v48
	v_add3_u32 v67, v67, v48, 0x7fff
	v_lshrrev_b32_e32 v53, 16, v0
	s_wait_alu 0xf1ff
	v_cndmask_b32_e64 v55, v63, v64, s0
	v_cmp_u_f32_e64 s0, v52, v52
	v_lshrrev_b32_e32 v54, 16, v16
	v_lshrrev_b32_e32 v51, 16, v49
	;; [unrolled: 1-line block ×4, first 2 shown]
	s_wait_alu 0xf1ff
	v_cndmask_b32_e64 v56, v65, v66, s0
	v_cmp_u_f32_e64 s0, v48, v48
	v_lshrrev_b32_e32 v50, 16, v55
	s_delay_alu instid0(VALU_DEP_3) | instskip(SKIP_1) | instid1(VALU_DEP_3)
	v_lshrrev_b32_e32 v47, 16, v56
	s_wait_alu 0xf1ff
	v_cndmask_b32_e64 v48, v67, v68, s0
	s_delay_alu instid0(VALU_DEP_1)
	v_lshrrev_b32_e32 v48, 16, v48
	s_and_saveexec_b32 s9, vcc_lo
	s_cbranch_execz .LBB348_37
; %bb.36:                               ;   in Loop: Header=BB348_33 Depth=1
	v_cmp_gt_i32_e64 s0, s21, v87
	s_wait_alu 0xf1ff
	s_delay_alu instid0(VALU_DEP_1) | instskip(SKIP_2) | instid1(VALU_DEP_1)
	v_cndmask_b32_e64 v53, 0, v53, s0
	v_cmp_gt_i32_e64 s0, s21, v91
	s_wait_alu 0xf1ff
	v_cndmask_b32_e64 v54, 0, v54, s0
	v_cmp_gt_i32_e64 s0, s21, v15
	s_wait_alu 0xf1ff
	s_delay_alu instid0(VALU_DEP_1) | instskip(SKIP_2) | instid1(VALU_DEP_1)
	v_cndmask_b32_e64 v51, 0, v51, s0
	v_cmp_gt_i32_e64 s0, s21, v90
	s_wait_alu 0xf1ff
	v_cndmask_b32_e64 v52, 0, v52, s0
	;; [unrolled: 7-line block ×4, first 2 shown]
.LBB348_37:                             ;   in Loop: Header=BB348_33 Depth=1
	s_wait_alu 0xfffe
	s_or_b32 exec_lo, exec_lo, s9
	global_load_b64 v[55:56], v[13:14], off offset:512
	s_wait_loadcnt 0x0
	v_bfe_u32 v57, v55, 16, 8
	v_bfe_u32 v16, v55, 8, 8
	;; [unrolled: 1-line block ×4, first 2 shown]
	s_delay_alu instid0(VALU_DEP_4)
	v_cvt_f32_fp8_e32 v57, v57
	v_and_b32_e32 v0, 0xff, v55
	v_cvt_f32_fp8_e32 v16, v16
	v_cvt_f32_fp8_e32 v59, v59
	v_lshrrev_b32_e32 v55, 24, v55
	v_mul_f32_e32 v57, s3, v57
	v_cvt_f32_fp8_e32 v0, v0
	v_mul_f32_e32 v16, s3, v16
	v_cvt_f32_fp8_e32 v60, v60
	v_cvt_f32_fp8_e32 v55, v55
	s_delay_alu instid0(VALU_DEP_4) | instskip(SKIP_2) | instid1(VALU_DEP_4)
	v_dual_mul_f32 v59, s3, v59 :: v_dual_mul_f32 v0, s3, v0
	v_and_b32_e32 v58, 0xff, v56
	v_bfe_u32 v63, v16, 16, 1
	v_mul_f32_e32 v55, s3, v55
	v_or_b32_e32 v64, 0x400000, v16
	v_bfe_u32 v61, v0, 16, 1
	v_or_b32_e32 v62, 0x400000, v0
	v_cmp_u_f32_e64 s0, v0, v0
	v_cvt_f32_fp8_e32 v58, v58
	v_bfe_u32 v65, v57, 16, 1
	v_add3_u32 v61, v61, v0, 0x7fff
	v_add3_u32 v63, v63, v16, 0x7fff
	v_or_b32_e32 v66, 0x400000, v57
	v_mul_f32_e32 v58, s3, v58
	v_bfe_u32 v67, v55, 16, 1
	s_wait_alu 0xf1ff
	v_cndmask_b32_e64 v0, v61, v62, s0
	v_cmp_u_f32_e64 s0, v16, v16
	v_add3_u32 v65, v65, v57, 0x7fff
	v_lshrrev_b32_e32 v56, 24, v56
	v_or_b32_e32 v68, 0x400000, v55
	v_bfe_u32 v69, v58, 16, 1
	s_wait_alu 0xf1ff
	v_cndmask_b32_e64 v16, v63, v64, s0
	v_cmp_u_f32_e64 s0, v57, v57
	v_add3_u32 v67, v67, v55, 0x7fff
	v_cvt_f32_fp8_e32 v56, v56
	v_mul_f32_e32 v60, s3, v60
	v_or_b32_e32 v70, 0x400000, v58
	s_wait_alu 0xf1ff
	v_cndmask_b32_e64 v57, v65, v66, s0
	v_cmp_u_f32_e64 s0, v55, v55
	v_bfe_u32 v71, v59, 16, 1
	v_add3_u32 v69, v69, v58, 0x7fff
	v_mul_f32_e32 v56, s3, v56
	v_or_b32_e32 v72, 0x400000, v59
	s_wait_alu 0xf1ff
	v_cndmask_b32_e64 v55, v67, v68, s0
	v_cmp_u_f32_e64 s0, v58, v58
	v_bfe_u32 v73, v60, 16, 1
	v_add3_u32 v71, v71, v59, 0x7fff
	v_or_b32_e32 v74, 0x400000, v60
	v_bfe_u32 v75, v56, 16, 1
	s_wait_alu 0xf1ff
	v_cndmask_b32_e64 v58, v69, v70, s0
	v_cmp_u_f32_e64 s0, v59, v59
	v_add3_u32 v73, v73, v60, 0x7fff
	v_or_b32_e32 v76, 0x400000, v56
	v_add3_u32 v75, v75, v56, 0x7fff
	v_lshrrev_b32_e32 v61, 16, v0
	s_wait_alu 0xf1ff
	v_cndmask_b32_e64 v63, v71, v72, s0
	v_cmp_u_f32_e64 s0, v60, v60
	v_lshrrev_b32_e32 v62, 16, v16
	v_lshrrev_b32_e32 v59, 16, v57
	;; [unrolled: 1-line block ×4, first 2 shown]
	s_wait_alu 0xf1ff
	v_cndmask_b32_e64 v64, v73, v74, s0
	v_cmp_u_f32_e64 s0, v56, v56
	v_lshrrev_b32_e32 v58, 16, v63
	s_delay_alu instid0(VALU_DEP_3) | instskip(SKIP_1) | instid1(VALU_DEP_3)
	v_lshrrev_b32_e32 v55, 16, v64
	s_wait_alu 0xf1ff
	v_cndmask_b32_e64 v56, v75, v76, s0
	s_delay_alu instid0(VALU_DEP_1)
	v_lshrrev_b32_e32 v56, 16, v56
	s_and_saveexec_b32 s9, vcc_lo
	s_cbranch_execz .LBB348_39
; %bb.38:                               ;   in Loop: Header=BB348_33 Depth=1
	v_cmp_gt_i32_e64 s0, s21, v87
	s_wait_alu 0xf1ff
	s_delay_alu instid0(VALU_DEP_1) | instskip(SKIP_2) | instid1(VALU_DEP_1)
	v_cndmask_b32_e64 v61, 0, v61, s0
	v_cmp_gt_i32_e64 s0, s21, v91
	s_wait_alu 0xf1ff
	v_cndmask_b32_e64 v62, 0, v62, s0
	v_cmp_gt_i32_e64 s0, s21, v15
	s_wait_alu 0xf1ff
	s_delay_alu instid0(VALU_DEP_1) | instskip(SKIP_2) | instid1(VALU_DEP_1)
	v_cndmask_b32_e64 v59, 0, v59, s0
	v_cmp_gt_i32_e64 s0, s21, v90
	s_wait_alu 0xf1ff
	v_cndmask_b32_e64 v60, 0, v60, s0
	;; [unrolled: 7-line block ×4, first 2 shown]
.LBB348_39:                             ;   in Loop: Header=BB348_33 Depth=1
	s_wait_alu 0xfffe
	s_or_b32 exec_lo, exec_lo, s9
	global_load_b64 v[63:64], v[13:14], off offset:768
	s_wait_loadcnt 0x0
	v_bfe_u32 v65, v63, 16, 8
	v_bfe_u32 v16, v63, 8, 8
	;; [unrolled: 1-line block ×4, first 2 shown]
	s_delay_alu instid0(VALU_DEP_4)
	v_cvt_f32_fp8_e32 v65, v65
	v_and_b32_e32 v0, 0xff, v63
	v_cvt_f32_fp8_e32 v16, v16
	v_cvt_f32_fp8_e32 v67, v67
	v_lshrrev_b32_e32 v63, 24, v63
	v_mul_f32_e32 v65, s3, v65
	v_cvt_f32_fp8_e32 v0, v0
	v_mul_f32_e32 v16, s3, v16
	v_cvt_f32_fp8_e32 v68, v68
	v_cvt_f32_fp8_e32 v63, v63
	s_delay_alu instid0(VALU_DEP_4) | instskip(SKIP_2) | instid1(VALU_DEP_4)
	v_dual_mul_f32 v67, s3, v67 :: v_dual_mul_f32 v0, s3, v0
	v_and_b32_e32 v66, 0xff, v64
	v_bfe_u32 v71, v16, 16, 1
	v_mul_f32_e32 v63, s3, v63
	v_or_b32_e32 v72, 0x400000, v16
	v_bfe_u32 v69, v0, 16, 1
	v_or_b32_e32 v70, 0x400000, v0
	v_cmp_u_f32_e64 s0, v0, v0
	v_cvt_f32_fp8_e32 v66, v66
	v_bfe_u32 v73, v65, 16, 1
	v_add3_u32 v69, v69, v0, 0x7fff
	v_add3_u32 v71, v71, v16, 0x7fff
	v_or_b32_e32 v74, 0x400000, v65
	v_mul_f32_e32 v66, s3, v66
	v_bfe_u32 v75, v63, 16, 1
	s_wait_alu 0xf1ff
	v_cndmask_b32_e64 v0, v69, v70, s0
	v_cmp_u_f32_e64 s0, v16, v16
	v_add3_u32 v73, v73, v65, 0x7fff
	v_lshrrev_b32_e32 v64, 24, v64
	v_or_b32_e32 v76, 0x400000, v63
	v_bfe_u32 v77, v66, 16, 1
	s_wait_alu 0xf1ff
	v_cndmask_b32_e64 v16, v71, v72, s0
	v_cmp_u_f32_e64 s0, v65, v65
	v_add3_u32 v75, v75, v63, 0x7fff
	v_cvt_f32_fp8_e32 v64, v64
	v_mul_f32_e32 v68, s3, v68
	v_or_b32_e32 v78, 0x400000, v66
	s_wait_alu 0xf1ff
	v_cndmask_b32_e64 v65, v73, v74, s0
	v_cmp_u_f32_e64 s0, v63, v63
	v_bfe_u32 v79, v67, 16, 1
	v_add3_u32 v77, v77, v66, 0x7fff
	v_mul_f32_e32 v64, s3, v64
	v_or_b32_e32 v80, 0x400000, v67
	s_wait_alu 0xf1ff
	v_cndmask_b32_e64 v63, v75, v76, s0
	v_cmp_u_f32_e64 s0, v66, v66
	v_bfe_u32 v81, v68, 16, 1
	v_add3_u32 v79, v79, v67, 0x7fff
	v_or_b32_e32 v82, 0x400000, v68
	v_bfe_u32 v83, v64, 16, 1
	s_wait_alu 0xf1ff
	v_cndmask_b32_e64 v66, v77, v78, s0
	v_cmp_u_f32_e64 s0, v67, v67
	v_add3_u32 v81, v81, v68, 0x7fff
	v_or_b32_e32 v84, 0x400000, v64
	v_add3_u32 v83, v83, v64, 0x7fff
	v_lshrrev_b32_e32 v69, 16, v0
	s_wait_alu 0xf1ff
	v_cndmask_b32_e64 v71, v79, v80, s0
	v_cmp_u_f32_e64 s0, v68, v68
	v_lshrrev_b32_e32 v70, 16, v16
	v_lshrrev_b32_e32 v67, 16, v65
	;; [unrolled: 1-line block ×4, first 2 shown]
	s_wait_alu 0xf1ff
	v_cndmask_b32_e64 v72, v81, v82, s0
	v_cmp_u_f32_e64 s0, v64, v64
	v_lshrrev_b32_e32 v66, 16, v71
	s_delay_alu instid0(VALU_DEP_3) | instskip(SKIP_1) | instid1(VALU_DEP_3)
	v_lshrrev_b32_e32 v63, 16, v72
	s_wait_alu 0xf1ff
	v_cndmask_b32_e64 v64, v83, v84, s0
	s_delay_alu instid0(VALU_DEP_1)
	v_lshrrev_b32_e32 v64, 16, v64
	s_and_saveexec_b32 s9, vcc_lo
	s_cbranch_execz .LBB348_41
; %bb.40:                               ;   in Loop: Header=BB348_33 Depth=1
	v_cmp_gt_i32_e64 s0, s21, v87
	s_wait_alu 0xf1ff
	s_delay_alu instid0(VALU_DEP_1) | instskip(SKIP_2) | instid1(VALU_DEP_1)
	v_cndmask_b32_e64 v69, 0, v69, s0
	v_cmp_gt_i32_e64 s0, s21, v91
	s_wait_alu 0xf1ff
	v_cndmask_b32_e64 v70, 0, v70, s0
	v_cmp_gt_i32_e64 s0, s21, v15
	s_wait_alu 0xf1ff
	s_delay_alu instid0(VALU_DEP_1) | instskip(SKIP_2) | instid1(VALU_DEP_1)
	v_cndmask_b32_e64 v67, 0, v67, s0
	v_cmp_gt_i32_e64 s0, s21, v90
	s_wait_alu 0xf1ff
	v_cndmask_b32_e64 v68, 0, v68, s0
	;; [unrolled: 7-line block ×4, first 2 shown]
.LBB348_41:                             ;   in Loop: Header=BB348_33 Depth=1
	s_wait_alu 0xfffe
	s_or_b32 exec_lo, exec_lo, s9
	global_load_b64 v[71:72], v[13:14], off offset:1024
	s_wait_loadcnt 0x0
	v_bfe_u32 v73, v71, 16, 8
	v_bfe_u32 v16, v71, 8, 8
	;; [unrolled: 1-line block ×4, first 2 shown]
	s_delay_alu instid0(VALU_DEP_4)
	v_cvt_f32_fp8_e32 v73, v73
	v_and_b32_e32 v0, 0xff, v71
	v_cvt_f32_fp8_e32 v16, v16
	v_cvt_f32_fp8_e32 v75, v75
	v_lshrrev_b32_e32 v71, 24, v71
	v_mul_f32_e32 v73, s3, v73
	v_cvt_f32_fp8_e32 v0, v0
	v_mul_f32_e32 v16, s3, v16
	v_cvt_f32_fp8_e32 v76, v76
	v_cvt_f32_fp8_e32 v71, v71
	s_delay_alu instid0(VALU_DEP_4) | instskip(SKIP_2) | instid1(VALU_DEP_4)
	v_dual_mul_f32 v75, s3, v75 :: v_dual_mul_f32 v0, s3, v0
	v_and_b32_e32 v74, 0xff, v72
	v_bfe_u32 v79, v16, 16, 1
	v_mul_f32_e32 v71, s3, v71
	v_or_b32_e32 v80, 0x400000, v16
	v_bfe_u32 v77, v0, 16, 1
	v_or_b32_e32 v78, 0x400000, v0
	v_cmp_u_f32_e64 s0, v0, v0
	v_cvt_f32_fp8_e32 v74, v74
	v_bfe_u32 v81, v73, 16, 1
	v_add3_u32 v77, v77, v0, 0x7fff
	v_add3_u32 v79, v79, v16, 0x7fff
	v_or_b32_e32 v82, 0x400000, v73
	v_mul_f32_e32 v74, s3, v74
	v_bfe_u32 v83, v71, 16, 1
	s_wait_alu 0xf1ff
	v_cndmask_b32_e64 v0, v77, v78, s0
	v_cmp_u_f32_e64 s0, v16, v16
	v_add3_u32 v81, v81, v73, 0x7fff
	v_lshrrev_b32_e32 v72, 24, v72
	v_or_b32_e32 v84, 0x400000, v71
	v_bfe_u32 v85, v74, 16, 1
	s_wait_alu 0xf1ff
	v_cndmask_b32_e64 v16, v79, v80, s0
	v_cmp_u_f32_e64 s0, v73, v73
	v_add3_u32 v83, v83, v71, 0x7fff
	v_cvt_f32_fp8_e32 v72, v72
	v_mul_f32_e32 v76, s3, v76
	v_or_b32_e32 v86, 0x400000, v74
	s_wait_alu 0xf1ff
	v_cndmask_b32_e64 v73, v81, v82, s0
	v_cmp_u_f32_e64 s0, v71, v71
	v_bfe_u32 v92, v75, 16, 1
	v_add3_u32 v85, v85, v74, 0x7fff
	v_mul_f32_e32 v72, s3, v72
	v_or_b32_e32 v93, 0x400000, v75
	s_wait_alu 0xf1ff
	v_cndmask_b32_e64 v71, v83, v84, s0
	v_cmp_u_f32_e64 s0, v74, v74
	v_bfe_u32 v94, v76, 16, 1
	v_add3_u32 v92, v92, v75, 0x7fff
	v_or_b32_e32 v95, 0x400000, v76
	v_bfe_u32 v96, v72, 16, 1
	s_wait_alu 0xf1ff
	v_cndmask_b32_e64 v74, v85, v86, s0
	v_cmp_u_f32_e64 s0, v75, v75
	v_add3_u32 v94, v94, v76, 0x7fff
	v_or_b32_e32 v97, 0x400000, v72
	v_add3_u32 v96, v96, v72, 0x7fff
	v_lshrrev_b32_e32 v77, 16, v0
	s_wait_alu 0xf1ff
	v_cndmask_b32_e64 v79, v92, v93, s0
	v_cmp_u_f32_e64 s0, v76, v76
	v_lshrrev_b32_e32 v78, 16, v16
	v_lshrrev_b32_e32 v75, 16, v73
	;; [unrolled: 1-line block ×4, first 2 shown]
	s_wait_alu 0xf1ff
	v_cndmask_b32_e64 v80, v94, v95, s0
	v_cmp_u_f32_e64 s0, v72, v72
	v_lshrrev_b32_e32 v74, 16, v79
	s_delay_alu instid0(VALU_DEP_3) | instskip(SKIP_1) | instid1(VALU_DEP_3)
	v_lshrrev_b32_e32 v71, 16, v80
	s_wait_alu 0xf1ff
	v_cndmask_b32_e64 v72, v96, v97, s0
	s_delay_alu instid0(VALU_DEP_1)
	v_lshrrev_b32_e32 v72, 16, v72
	s_and_saveexec_b32 s9, vcc_lo
	s_cbranch_execz .LBB348_43
; %bb.42:                               ;   in Loop: Header=BB348_33 Depth=1
	v_cmp_gt_i32_e64 s0, s21, v87
	s_wait_alu 0xf1ff
	s_delay_alu instid0(VALU_DEP_1) | instskip(SKIP_2) | instid1(VALU_DEP_1)
	v_cndmask_b32_e64 v77, 0, v77, s0
	v_cmp_gt_i32_e64 s0, s21, v91
	s_wait_alu 0xf1ff
	v_cndmask_b32_e64 v78, 0, v78, s0
	v_cmp_gt_i32_e64 s0, s21, v15
	s_wait_alu 0xf1ff
	s_delay_alu instid0(VALU_DEP_1) | instskip(SKIP_2) | instid1(VALU_DEP_1)
	v_cndmask_b32_e64 v75, 0, v75, s0
	v_cmp_gt_i32_e64 s0, s21, v90
	s_wait_alu 0xf1ff
	v_cndmask_b32_e64 v76, 0, v76, s0
	;; [unrolled: 7-line block ×4, first 2 shown]
.LBB348_43:                             ;   in Loop: Header=BB348_33 Depth=1
	s_wait_alu 0xfffe
	s_or_b32 exec_lo, exec_lo, s9
	global_load_b64 v[79:80], v[13:14], off offset:1280
	s_wait_loadcnt 0x0
	v_bfe_u32 v81, v79, 16, 8
	v_bfe_u32 v16, v79, 8, 8
	v_bfe_u32 v83, v80, 8, 8
	v_bfe_u32 v84, v80, 16, 8
	s_delay_alu instid0(VALU_DEP_4)
	v_cvt_f32_fp8_e32 v81, v81
	v_and_b32_e32 v0, 0xff, v79
	v_cvt_f32_fp8_e32 v16, v16
	v_cvt_f32_fp8_e32 v83, v83
	v_lshrrev_b32_e32 v79, 24, v79
	v_mul_f32_e32 v81, s3, v81
	v_cvt_f32_fp8_e32 v0, v0
	v_mul_f32_e32 v16, s3, v16
	v_cvt_f32_fp8_e32 v84, v84
	v_cvt_f32_fp8_e32 v79, v79
	s_delay_alu instid0(VALU_DEP_4) | instskip(SKIP_2) | instid1(VALU_DEP_4)
	v_dual_mul_f32 v83, s3, v83 :: v_dual_mul_f32 v0, s3, v0
	v_and_b32_e32 v82, 0xff, v80
	v_bfe_u32 v92, v16, 16, 1
	v_mul_f32_e32 v79, s3, v79
	v_or_b32_e32 v93, 0x400000, v16
	v_bfe_u32 v85, v0, 16, 1
	v_or_b32_e32 v86, 0x400000, v0
	v_cmp_u_f32_e64 s0, v0, v0
	v_cvt_f32_fp8_e32 v82, v82
	v_bfe_u32 v94, v81, 16, 1
	v_add3_u32 v85, v85, v0, 0x7fff
	v_add3_u32 v92, v92, v16, 0x7fff
	v_or_b32_e32 v95, 0x400000, v81
	v_mul_f32_e32 v82, s3, v82
	v_bfe_u32 v96, v79, 16, 1
	s_wait_alu 0xf1ff
	v_cndmask_b32_e64 v0, v85, v86, s0
	v_cmp_u_f32_e64 s0, v16, v16
	v_add3_u32 v94, v94, v81, 0x7fff
	v_lshrrev_b32_e32 v80, 24, v80
	v_or_b32_e32 v97, 0x400000, v79
	v_bfe_u32 v98, v82, 16, 1
	s_wait_alu 0xf1ff
	v_cndmask_b32_e64 v16, v92, v93, s0
	v_cmp_u_f32_e64 s0, v81, v81
	v_add3_u32 v96, v96, v79, 0x7fff
	v_cvt_f32_fp8_e32 v80, v80
	v_mul_f32_e32 v84, s3, v84
	v_or_b32_e32 v99, 0x400000, v82
	s_wait_alu 0xf1ff
	v_cndmask_b32_e64 v81, v94, v95, s0
	v_cmp_u_f32_e64 s0, v79, v79
	v_bfe_u32 v100, v83, 16, 1
	v_add3_u32 v98, v98, v82, 0x7fff
	v_mul_f32_e32 v80, s3, v80
	v_or_b32_e32 v101, 0x400000, v83
	s_wait_alu 0xf1ff
	v_cndmask_b32_e64 v79, v96, v97, s0
	v_cmp_u_f32_e64 s0, v82, v82
	v_bfe_u32 v102, v84, 16, 1
	v_add3_u32 v100, v100, v83, 0x7fff
	v_or_b32_e32 v103, 0x400000, v84
	v_bfe_u32 v104, v80, 16, 1
	s_wait_alu 0xf1ff
	v_cndmask_b32_e64 v82, v98, v99, s0
	v_cmp_u_f32_e64 s0, v83, v83
	v_add3_u32 v102, v102, v84, 0x7fff
	v_or_b32_e32 v105, 0x400000, v80
	v_add3_u32 v104, v104, v80, 0x7fff
	v_lshrrev_b32_e32 v85, 16, v0
	s_wait_alu 0xf1ff
	v_cndmask_b32_e64 v92, v100, v101, s0
	v_cmp_u_f32_e64 s0, v84, v84
	v_lshrrev_b32_e32 v86, 16, v16
	v_lshrrev_b32_e32 v83, 16, v81
	;; [unrolled: 1-line block ×4, first 2 shown]
	s_wait_alu 0xf1ff
	v_cndmask_b32_e64 v93, v102, v103, s0
	v_cmp_u_f32_e64 s0, v80, v80
	v_lshrrev_b32_e32 v82, 16, v92
	s_delay_alu instid0(VALU_DEP_3) | instskip(SKIP_1) | instid1(VALU_DEP_3)
	v_lshrrev_b32_e32 v79, 16, v93
	s_wait_alu 0xf1ff
	v_cndmask_b32_e64 v80, v104, v105, s0
	s_delay_alu instid0(VALU_DEP_1)
	v_lshrrev_b32_e32 v80, 16, v80
	s_and_saveexec_b32 s9, vcc_lo
	s_cbranch_execz .LBB348_45
; %bb.44:                               ;   in Loop: Header=BB348_33 Depth=1
	v_cmp_gt_i32_e64 s0, s21, v87
	s_wait_alu 0xf1ff
	s_delay_alu instid0(VALU_DEP_1) | instskip(SKIP_2) | instid1(VALU_DEP_1)
	v_cndmask_b32_e64 v85, 0, v85, s0
	v_cmp_gt_i32_e64 s0, s21, v91
	s_wait_alu 0xf1ff
	v_cndmask_b32_e64 v86, 0, v86, s0
	v_cmp_gt_i32_e64 s0, s21, v15
	s_wait_alu 0xf1ff
	s_delay_alu instid0(VALU_DEP_1) | instskip(SKIP_2) | instid1(VALU_DEP_1)
	v_cndmask_b32_e64 v83, 0, v83, s0
	v_cmp_gt_i32_e64 s0, s21, v90
	s_wait_alu 0xf1ff
	v_cndmask_b32_e64 v84, 0, v84, s0
	;; [unrolled: 7-line block ×4, first 2 shown]
.LBB348_45:                             ;   in Loop: Header=BB348_33 Depth=1
	s_wait_alu 0xfffe
	s_or_b32 exec_lo, exec_lo, s9
	global_load_b64 v[92:93], v[13:14], off offset:1536
	s_wait_loadcnt 0x0
	v_and_b32_e32 v95, 0xff, v93
	v_bfe_u32 v16, v92, 8, 8
	v_bfe_u32 v94, v92, 16, 8
	;; [unrolled: 1-line block ×4, first 2 shown]
	v_cvt_f32_fp8_e32 v95, v95
	v_and_b32_e32 v0, 0xff, v92
	v_cvt_f32_fp8_e32 v16, v16
	v_lshrrev_b32_e32 v92, 24, v92
	v_lshrrev_b32_e32 v93, 24, v93
	v_mul_f32_e32 v95, s3, v95
	v_cvt_f32_fp8_e32 v0, v0
	v_cvt_f32_fp8_e32 v94, v94
	;; [unrolled: 1-line block ×3, first 2 shown]
	v_mul_f32_e32 v16, s3, v16
	v_cvt_f32_fp8_e32 v92, v92
	v_mul_f32_e32 v0, s3, v0
	v_cvt_f32_fp8_e32 v93, v93
	v_dual_mul_f32 v94, s3, v94 :: v_dual_mul_f32 v97, s3, v97
	v_bfe_u32 v100, v16, 16, 1
	s_delay_alu instid0(VALU_DEP_4) | instskip(SKIP_3) | instid1(VALU_DEP_4)
	v_bfe_u32 v98, v0, 16, 1
	v_or_b32_e32 v99, 0x400000, v0
	v_cmp_u_f32_e64 s0, v0, v0
	v_dual_mul_f32 v92, s3, v92 :: v_dual_mul_f32 v93, s3, v93
	v_add3_u32 v98, v98, v0, 0x7fff
	v_or_b32_e32 v101, 0x400000, v16
	v_bfe_u32 v102, v94, 16, 1
	v_add3_u32 v100, v100, v16, 0x7fff
	v_cvt_f32_fp8_e32 v96, v96
	s_wait_alu 0xf1ff
	v_cndmask_b32_e64 v0, v98, v99, s0
	v_cmp_u_f32_e64 s0, v16, v16
	v_or_b32_e32 v103, 0x400000, v94
	v_bfe_u32 v104, v92, 16, 1
	v_add3_u32 v102, v102, v94, 0x7fff
	v_mul_f32_e32 v96, s3, v96
	s_wait_alu 0xf1ff
	v_cndmask_b32_e64 v16, v100, v101, s0
	v_cmp_u_f32_e64 s0, v94, v94
	v_or_b32_e32 v105, 0x400000, v92
	v_bfe_u32 v106, v95, 16, 1
	v_add3_u32 v104, v104, v92, 0x7fff
	v_or_b32_e32 v107, 0x400000, v95
	s_wait_alu 0xf1ff
	v_cndmask_b32_e64 v94, v102, v103, s0
	v_cmp_u_f32_e64 s0, v92, v92
	v_bfe_u32 v108, v96, 16, 1
	v_add3_u32 v106, v106, v95, 0x7fff
	v_or_b32_e32 v109, 0x400000, v96
	v_bfe_u32 v110, v97, 16, 1
	s_wait_alu 0xf1ff
	v_cndmask_b32_e64 v92, v104, v105, s0
	v_cmp_u_f32_e64 s0, v95, v95
	v_add3_u32 v108, v108, v96, 0x7fff
	v_or_b32_e32 v111, 0x400000, v97
	v_bfe_u32 v112, v93, 16, 1
	v_add3_u32 v110, v110, v97, 0x7fff
	s_wait_alu 0xf1ff
	v_cndmask_b32_e64 v98, v106, v107, s0
	v_cmp_u_f32_e64 s0, v96, v96
	v_or_b32_e32 v113, 0x400000, v93
	v_add3_u32 v112, v112, v93, 0x7fff
	v_lshrrev_b32_e32 v96, 16, v0
	v_lshrrev_b32_e32 v94, 16, v94
	s_wait_alu 0xf1ff
	v_cndmask_b32_e64 v99, v108, v109, s0
	v_cmp_u_f32_e64 s0, v97, v97
	v_lshrrev_b32_e32 v97, 16, v16
	v_lshrrev_b32_e32 v95, 16, v92
	;; [unrolled: 1-line block ×3, first 2 shown]
	s_wait_alu 0xf1ff
	v_cndmask_b32_e64 v100, v110, v111, s0
	v_cmp_u_f32_e64 s0, v93, v93
	v_lshrrev_b32_e32 v93, 16, v99
	s_delay_alu instid0(VALU_DEP_3) | instskip(SKIP_1) | instid1(VALU_DEP_3)
	v_lshrrev_b32_e32 v0, 16, v100
	s_wait_alu 0xf1ff
	v_cndmask_b32_e64 v101, v112, v113, s0
	s_delay_alu instid0(VALU_DEP_1)
	v_lshrrev_b32_e32 v16, 16, v101
	s_and_saveexec_b32 s9, vcc_lo
	s_cbranch_execz .LBB348_47
; %bb.46:                               ;   in Loop: Header=BB348_33 Depth=1
	v_cmp_gt_i32_e64 s0, s21, v87
	s_wait_alu 0xf1ff
	s_delay_alu instid0(VALU_DEP_1) | instskip(SKIP_2) | instid1(VALU_DEP_1)
	v_cndmask_b32_e64 v96, 0, v96, s0
	v_cmp_gt_i32_e64 s0, s21, v91
	s_wait_alu 0xf1ff
	v_cndmask_b32_e64 v97, 0, v97, s0
	v_cmp_gt_i32_e64 s0, s21, v15
	s_wait_alu 0xf1ff
	s_delay_alu instid0(VALU_DEP_1) | instskip(SKIP_2) | instid1(VALU_DEP_1)
	v_cndmask_b32_e64 v94, 0, v94, s0
	v_cmp_gt_i32_e64 s0, s21, v90
	s_wait_alu 0xf1ff
	v_cndmask_b32_e64 v95, 0, v95, s0
	;; [unrolled: 7-line block ×4, first 2 shown]
.LBB348_47:                             ;   in Loop: Header=BB348_33 Depth=1
	s_wait_alu 0xfffe
	s_or_b32 exec_lo, exec_lo, s9
	global_load_b64 v[98:99], v[13:14], off offset:1792
	s_wait_loadcnt 0x0
	v_bfe_u32 v101, v98, 8, 8
	v_bfe_u32 v102, v98, 16, 8
	;; [unrolled: 1-line block ×4, first 2 shown]
	s_delay_alu instid0(VALU_DEP_4)
	v_cvt_f32_fp8_e32 v101, v101
	v_and_b32_e32 v100, 0xff, v98
	v_lshrrev_b32_e32 v98, 24, v98
	v_cvt_f32_fp8_e32 v102, v102
	v_cvt_f32_fp8_e32 v105, v105
	v_mul_f32_e32 v101, s3, v101
	v_cvt_f32_fp8_e32 v100, v100
	v_and_b32_e32 v103, 0xff, v99
	v_cvt_f32_fp8_e32 v98, v98
	v_lshrrev_b32_e32 v99, 24, v99
	v_bfe_u32 v108, v101, 16, 1
	v_mul_f32_e32 v100, s3, v100
	v_cvt_f32_fp8_e32 v103, v103
	v_mul_f32_e32 v102, s3, v102
	v_dual_mul_f32 v98, s3, v98 :: v_dual_mul_f32 v105, s3, v105
	s_delay_alu instid0(VALU_DEP_4)
	v_bfe_u32 v106, v100, 16, 1
	v_or_b32_e32 v107, 0x400000, v100
	v_cmp_u_f32_e64 s0, v100, v100
	v_mul_f32_e32 v103, s3, v103
	v_or_b32_e32 v109, 0x400000, v101
	v_add3_u32 v106, v106, v100, 0x7fff
	v_bfe_u32 v110, v102, 16, 1
	v_add3_u32 v108, v108, v101, 0x7fff
	v_cvt_f32_fp8_e32 v104, v104
	v_or_b32_e32 v111, 0x400000, v102
	s_wait_alu 0xf1ff
	v_cndmask_b32_e64 v100, v106, v107, s0
	v_cmp_u_f32_e64 s0, v101, v101
	v_bfe_u32 v112, v98, 16, 1
	v_add3_u32 v110, v110, v102, 0x7fff
	v_cvt_f32_fp8_e32 v99, v99
	v_mul_f32_e32 v104, s3, v104
	s_wait_alu 0xf1ff
	v_cndmask_b32_e64 v101, v108, v109, s0
	v_cmp_u_f32_e64 s0, v102, v102
	v_or_b32_e32 v113, 0x400000, v98
	v_bfe_u32 v114, v103, 16, 1
	v_add3_u32 v112, v112, v98, 0x7fff
	v_mul_f32_e32 v99, s3, v99
	s_wait_alu 0xf1ff
	v_cndmask_b32_e64 v102, v110, v111, s0
	v_cmp_u_f32_e64 s0, v98, v98
	v_or_b32_e32 v115, 0x400000, v103
	v_bfe_u32 v116, v104, 16, 1
	v_add3_u32 v114, v114, v103, 0x7fff
	v_or_b32_e32 v117, 0x400000, v104
	s_wait_alu 0xf1ff
	v_cndmask_b32_e64 v98, v112, v113, s0
	v_cmp_u_f32_e64 s0, v103, v103
	v_bfe_u32 v118, v105, 16, 1
	v_add3_u32 v116, v116, v104, 0x7fff
	v_or_b32_e32 v119, 0x400000, v105
	v_bfe_u32 v120, v99, 16, 1
	s_wait_alu 0xf1ff
	v_cndmask_b32_e64 v106, v114, v115, s0
	v_cmp_u_f32_e64 s0, v104, v104
	v_add3_u32 v118, v118, v105, 0x7fff
	v_or_b32_e32 v121, 0x400000, v99
	v_add3_u32 v120, v120, v99, 0x7fff
	v_lshrrev_b32_e32 v104, 16, v100
	s_wait_alu 0xf1ff
	v_cndmask_b32_e64 v107, v116, v117, s0
	v_cmp_u_f32_e64 s0, v105, v105
	v_lshrrev_b32_e32 v105, 16, v101
	v_lshrrev_b32_e32 v102, 16, v102
	v_lshrrev_b32_e32 v103, 16, v98
	v_lshrrev_b32_e32 v100, 16, v106
	s_wait_alu 0xf1ff
	v_cndmask_b32_e64 v108, v118, v119, s0
	v_cmp_u_f32_e64 s0, v99, v99
	v_lshrrev_b32_e32 v101, 16, v107
	s_delay_alu instid0(VALU_DEP_3) | instskip(SKIP_1) | instid1(VALU_DEP_3)
	v_lshrrev_b32_e32 v98, 16, v108
	s_wait_alu 0xf1ff
	v_cndmask_b32_e64 v99, v120, v121, s0
	s_delay_alu instid0(VALU_DEP_1)
	v_lshrrev_b32_e32 v99, 16, v99
	s_and_saveexec_b32 s9, vcc_lo
	s_cbranch_execz .LBB348_49
; %bb.48:                               ;   in Loop: Header=BB348_33 Depth=1
	v_cmp_gt_i32_e64 s0, s21, v87
	s_wait_alu 0xf1ff
	s_delay_alu instid0(VALU_DEP_1) | instskip(SKIP_2) | instid1(VALU_DEP_1)
	v_cndmask_b32_e64 v104, 0, v104, s0
	v_cmp_gt_i32_e64 s0, s21, v91
	s_wait_alu 0xf1ff
	v_cndmask_b32_e64 v105, 0, v105, s0
	v_cmp_gt_i32_e64 s0, s21, v15
	s_wait_alu 0xf1ff
	s_delay_alu instid0(VALU_DEP_1) | instskip(SKIP_2) | instid1(VALU_DEP_1)
	v_cndmask_b32_e64 v102, 0, v102, s0
	v_cmp_gt_i32_e64 s0, s21, v90
	s_wait_alu 0xf1ff
	v_cndmask_b32_e64 v103, 0, v103, s0
	;; [unrolled: 7-line block ×4, first 2 shown]
.LBB348_49:                             ;   in Loop: Header=BB348_33 Depth=1
	s_wait_alu 0xfffe
	s_or_b32 exec_lo, exec_lo, s9
	global_load_b64 v[106:107], v[13:14], off offset:2048
	s_wait_loadcnt 0x0
	v_bfe_u32 v109, v106, 8, 8
	v_bfe_u32 v110, v106, 16, 8
	;; [unrolled: 1-line block ×4, first 2 shown]
	s_delay_alu instid0(VALU_DEP_4)
	v_cvt_f32_fp8_e32 v109, v109
	v_and_b32_e32 v108, 0xff, v106
	v_lshrrev_b32_e32 v106, 24, v106
	v_cvt_f32_fp8_e32 v110, v110
	v_cvt_f32_fp8_e32 v113, v113
	v_mul_f32_e32 v109, s3, v109
	v_cvt_f32_fp8_e32 v108, v108
	v_and_b32_e32 v111, 0xff, v107
	v_cvt_f32_fp8_e32 v106, v106
	v_lshrrev_b32_e32 v107, 24, v107
	v_bfe_u32 v116, v109, 16, 1
	v_mul_f32_e32 v108, s3, v108
	v_cvt_f32_fp8_e32 v111, v111
	v_mul_f32_e32 v110, s3, v110
	v_dual_mul_f32 v106, s3, v106 :: v_dual_mul_f32 v113, s3, v113
	s_delay_alu instid0(VALU_DEP_4)
	v_bfe_u32 v114, v108, 16, 1
	v_or_b32_e32 v115, 0x400000, v108
	v_cmp_u_f32_e64 s0, v108, v108
	v_mul_f32_e32 v111, s3, v111
	v_or_b32_e32 v117, 0x400000, v109
	v_add3_u32 v114, v114, v108, 0x7fff
	v_bfe_u32 v118, v110, 16, 1
	v_add3_u32 v116, v116, v109, 0x7fff
	v_cvt_f32_fp8_e32 v112, v112
	v_or_b32_e32 v119, 0x400000, v110
	s_wait_alu 0xf1ff
	v_cndmask_b32_e64 v108, v114, v115, s0
	v_cmp_u_f32_e64 s0, v109, v109
	v_bfe_u32 v120, v106, 16, 1
	v_add3_u32 v118, v118, v110, 0x7fff
	v_cvt_f32_fp8_e32 v107, v107
	v_mul_f32_e32 v112, s3, v112
	s_wait_alu 0xf1ff
	v_cndmask_b32_e64 v109, v116, v117, s0
	v_cmp_u_f32_e64 s0, v110, v110
	v_or_b32_e32 v121, 0x400000, v106
	v_bfe_u32 v122, v111, 16, 1
	v_add3_u32 v120, v120, v106, 0x7fff
	v_mul_f32_e32 v107, s3, v107
	s_wait_alu 0xf1ff
	v_cndmask_b32_e64 v110, v118, v119, s0
	v_cmp_u_f32_e64 s0, v106, v106
	v_or_b32_e32 v123, 0x400000, v111
	v_bfe_u32 v124, v112, 16, 1
	v_add3_u32 v122, v122, v111, 0x7fff
	v_or_b32_e32 v125, 0x400000, v112
	s_wait_alu 0xf1ff
	v_cndmask_b32_e64 v106, v120, v121, s0
	v_cmp_u_f32_e64 s0, v111, v111
	v_bfe_u32 v126, v113, 16, 1
	v_add3_u32 v124, v124, v112, 0x7fff
	v_or_b32_e32 v127, 0x400000, v113
	v_bfe_u32 v128, v107, 16, 1
	s_wait_alu 0xf1ff
	v_cndmask_b32_e64 v114, v122, v123, s0
	v_cmp_u_f32_e64 s0, v112, v112
	v_add3_u32 v126, v126, v113, 0x7fff
	v_or_b32_e32 v129, 0x400000, v107
	v_add3_u32 v128, v128, v107, 0x7fff
	v_lshrrev_b32_e32 v112, 16, v108
	s_wait_alu 0xf1ff
	v_cndmask_b32_e64 v115, v124, v125, s0
	v_cmp_u_f32_e64 s0, v113, v113
	v_lshrrev_b32_e32 v113, 16, v109
	v_lshrrev_b32_e32 v110, 16, v110
	;; [unrolled: 1-line block ×4, first 2 shown]
	s_wait_alu 0xf1ff
	v_cndmask_b32_e64 v116, v126, v127, s0
	v_cmp_u_f32_e64 s0, v107, v107
	v_lshrrev_b32_e32 v109, 16, v115
	s_delay_alu instid0(VALU_DEP_3) | instskip(SKIP_1) | instid1(VALU_DEP_3)
	v_lshrrev_b32_e32 v106, 16, v116
	s_wait_alu 0xf1ff
	v_cndmask_b32_e64 v107, v128, v129, s0
	s_delay_alu instid0(VALU_DEP_1)
	v_lshrrev_b32_e32 v107, 16, v107
	s_and_saveexec_b32 s9, vcc_lo
	s_cbranch_execz .LBB348_51
; %bb.50:                               ;   in Loop: Header=BB348_33 Depth=1
	v_cmp_gt_i32_e64 s0, s21, v87
	s_wait_alu 0xf1ff
	s_delay_alu instid0(VALU_DEP_1) | instskip(SKIP_2) | instid1(VALU_DEP_1)
	v_cndmask_b32_e64 v112, 0, v112, s0
	v_cmp_gt_i32_e64 s0, s21, v91
	s_wait_alu 0xf1ff
	v_cndmask_b32_e64 v113, 0, v113, s0
	v_cmp_gt_i32_e64 s0, s21, v15
	s_wait_alu 0xf1ff
	s_delay_alu instid0(VALU_DEP_1) | instskip(SKIP_2) | instid1(VALU_DEP_1)
	v_cndmask_b32_e64 v110, 0, v110, s0
	v_cmp_gt_i32_e64 s0, s21, v90
	s_wait_alu 0xf1ff
	v_cndmask_b32_e64 v111, 0, v111, s0
	;; [unrolled: 7-line block ×4, first 2 shown]
.LBB348_51:                             ;   in Loop: Header=BB348_33 Depth=1
	s_wait_alu 0xfffe
	s_or_b32 exec_lo, exec_lo, s9
	global_load_b64 v[114:115], v[13:14], off offset:2304
	s_wait_loadcnt 0x0
	v_bfe_u32 v117, v114, 8, 8
	v_bfe_u32 v118, v114, 16, 8
	;; [unrolled: 1-line block ×4, first 2 shown]
	s_delay_alu instid0(VALU_DEP_4)
	v_cvt_f32_fp8_e32 v117, v117
	v_and_b32_e32 v116, 0xff, v114
	v_lshrrev_b32_e32 v114, 24, v114
	v_cvt_f32_fp8_e32 v118, v118
	v_cvt_f32_fp8_e32 v121, v121
	v_mul_f32_e32 v117, s3, v117
	v_cvt_f32_fp8_e32 v116, v116
	v_and_b32_e32 v119, 0xff, v115
	v_cvt_f32_fp8_e32 v114, v114
	v_lshrrev_b32_e32 v115, 24, v115
	v_bfe_u32 v124, v117, 16, 1
	v_mul_f32_e32 v116, s3, v116
	v_cvt_f32_fp8_e32 v119, v119
	v_mul_f32_e32 v118, s3, v118
	v_dual_mul_f32 v114, s3, v114 :: v_dual_mul_f32 v121, s3, v121
	s_delay_alu instid0(VALU_DEP_4)
	v_bfe_u32 v122, v116, 16, 1
	v_or_b32_e32 v123, 0x400000, v116
	v_cmp_u_f32_e64 s0, v116, v116
	v_mul_f32_e32 v119, s3, v119
	v_or_b32_e32 v125, 0x400000, v117
	v_add3_u32 v122, v122, v116, 0x7fff
	v_bfe_u32 v126, v118, 16, 1
	v_add3_u32 v124, v124, v117, 0x7fff
	v_cvt_f32_fp8_e32 v120, v120
	v_or_b32_e32 v127, 0x400000, v118
	s_wait_alu 0xf1ff
	v_cndmask_b32_e64 v116, v122, v123, s0
	v_cmp_u_f32_e64 s0, v117, v117
	v_bfe_u32 v128, v114, 16, 1
	v_add3_u32 v126, v126, v118, 0x7fff
	v_cvt_f32_fp8_e32 v115, v115
	v_mul_f32_e32 v120, s3, v120
	s_wait_alu 0xf1ff
	v_cndmask_b32_e64 v117, v124, v125, s0
	v_cmp_u_f32_e64 s0, v118, v118
	v_or_b32_e32 v129, 0x400000, v114
	v_bfe_u32 v130, v119, 16, 1
	v_add3_u32 v128, v128, v114, 0x7fff
	v_mul_f32_e32 v115, s3, v115
	s_wait_alu 0xf1ff
	v_cndmask_b32_e64 v118, v126, v127, s0
	v_cmp_u_f32_e64 s0, v114, v114
	v_or_b32_e32 v131, 0x400000, v119
	v_bfe_u32 v132, v120, 16, 1
	v_add3_u32 v130, v130, v119, 0x7fff
	v_or_b32_e32 v133, 0x400000, v120
	s_wait_alu 0xf1ff
	v_cndmask_b32_e64 v114, v128, v129, s0
	v_cmp_u_f32_e64 s0, v119, v119
	v_bfe_u32 v134, v121, 16, 1
	v_add3_u32 v132, v132, v120, 0x7fff
	v_or_b32_e32 v135, 0x400000, v121
	v_bfe_u32 v136, v115, 16, 1
	s_wait_alu 0xf1ff
	v_cndmask_b32_e64 v119, v130, v131, s0
	v_cmp_u_f32_e64 s0, v120, v120
	v_add3_u32 v134, v134, v121, 0x7fff
	v_or_b32_e32 v137, 0x400000, v115
	v_add3_u32 v136, v136, v115, 0x7fff
	v_lshrrev_b32_e32 v126, 16, v116
	s_wait_alu 0xf1ff
	v_cndmask_b32_e64 v120, v132, v133, s0
	v_cmp_u_f32_e64 s0, v121, v121
	v_lshrrev_b32_e32 v127, 16, v117
	v_lshrrev_b32_e32 v124, 16, v118
	;; [unrolled: 1-line block ×4, first 2 shown]
	s_wait_alu 0xf1ff
	v_cndmask_b32_e64 v121, v134, v135, s0
	v_cmp_u_f32_e64 s0, v115, v115
	v_lshrrev_b32_e32 v123, 16, v120
	s_delay_alu instid0(VALU_DEP_3) | instskip(SKIP_1) | instid1(VALU_DEP_3)
	v_lshrrev_b32_e32 v120, 16, v121
	s_wait_alu 0xf1ff
	v_cndmask_b32_e64 v115, v136, v137, s0
	s_delay_alu instid0(VALU_DEP_1)
	v_lshrrev_b32_e32 v121, 16, v115
	s_and_saveexec_b32 s9, vcc_lo
	s_cbranch_execz .LBB348_53
; %bb.52:                               ;   in Loop: Header=BB348_33 Depth=1
	v_cmp_gt_i32_e64 s0, s21, v87
	s_wait_alu 0xf1ff
	s_delay_alu instid0(VALU_DEP_1) | instskip(SKIP_2) | instid1(VALU_DEP_1)
	v_cndmask_b32_e64 v126, 0, v126, s0
	v_cmp_gt_i32_e64 s0, s21, v91
	s_wait_alu 0xf1ff
	v_cndmask_b32_e64 v127, 0, v127, s0
	v_cmp_gt_i32_e64 s0, s21, v15
	s_wait_alu 0xf1ff
	s_delay_alu instid0(VALU_DEP_1) | instskip(SKIP_2) | instid1(VALU_DEP_1)
	v_cndmask_b32_e64 v124, 0, v124, s0
	v_cmp_gt_i32_e64 s0, s21, v90
	s_wait_alu 0xf1ff
	v_cndmask_b32_e64 v125, 0, v125, s0
	;; [unrolled: 7-line block ×4, first 2 shown]
.LBB348_53:                             ;   in Loop: Header=BB348_33 Depth=1
	s_wait_alu 0xfffe
	s_or_b32 exec_lo, exec_lo, s9
	global_load_b64 v[114:115], v[13:14], off offset:2560
	s_wait_loadcnt 0x0
	v_bfe_u32 v117, v114, 8, 8
	v_bfe_u32 v118, v114, 16, 8
	;; [unrolled: 1-line block ×4, first 2 shown]
	s_delay_alu instid0(VALU_DEP_4)
	v_cvt_f32_fp8_e32 v117, v117
	v_and_b32_e32 v116, 0xff, v114
	v_lshrrev_b32_e32 v114, 24, v114
	v_cvt_f32_fp8_e32 v118, v118
	v_cvt_f32_fp8_e32 v129, v129
	v_mul_f32_e32 v117, s3, v117
	v_cvt_f32_fp8_e32 v116, v116
	v_and_b32_e32 v119, 0xff, v115
	v_cvt_f32_fp8_e32 v114, v114
	v_lshrrev_b32_e32 v115, 24, v115
	v_bfe_u32 v132, v117, 16, 1
	v_mul_f32_e32 v116, s3, v116
	v_cvt_f32_fp8_e32 v119, v119
	v_mul_f32_e32 v118, s3, v118
	v_dual_mul_f32 v114, s3, v114 :: v_dual_mul_f32 v129, s3, v129
	s_delay_alu instid0(VALU_DEP_4)
	v_bfe_u32 v130, v116, 16, 1
	v_or_b32_e32 v131, 0x400000, v116
	v_cmp_u_f32_e64 s0, v116, v116
	v_mul_f32_e32 v119, s3, v119
	v_or_b32_e32 v133, 0x400000, v117
	v_add3_u32 v130, v130, v116, 0x7fff
	v_bfe_u32 v134, v118, 16, 1
	v_add3_u32 v132, v132, v117, 0x7fff
	v_cvt_f32_fp8_e32 v128, v128
	v_or_b32_e32 v135, 0x400000, v118
	s_wait_alu 0xf1ff
	v_cndmask_b32_e64 v116, v130, v131, s0
	v_cmp_u_f32_e64 s0, v117, v117
	v_bfe_u32 v136, v114, 16, 1
	v_add3_u32 v134, v134, v118, 0x7fff
	v_cvt_f32_fp8_e32 v115, v115
	v_mul_f32_e32 v128, s3, v128
	s_wait_alu 0xf1ff
	v_cndmask_b32_e64 v117, v132, v133, s0
	v_cmp_u_f32_e64 s0, v118, v118
	v_or_b32_e32 v137, 0x400000, v114
	v_bfe_u32 v138, v119, 16, 1
	v_add3_u32 v136, v136, v114, 0x7fff
	v_mul_f32_e32 v115, s3, v115
	s_wait_alu 0xf1ff
	v_cndmask_b32_e64 v118, v134, v135, s0
	v_cmp_u_f32_e64 s0, v114, v114
	v_or_b32_e32 v139, 0x400000, v119
	v_bfe_u32 v140, v128, 16, 1
	v_add3_u32 v138, v138, v119, 0x7fff
	v_or_b32_e32 v141, 0x400000, v128
	s_wait_alu 0xf1ff
	v_cndmask_b32_e64 v114, v136, v137, s0
	v_cmp_u_f32_e64 s0, v119, v119
	v_bfe_u32 v142, v129, 16, 1
	v_add3_u32 v140, v140, v128, 0x7fff
	v_or_b32_e32 v143, 0x400000, v129
	v_bfe_u32 v144, v115, 16, 1
	s_wait_alu 0xf1ff
	v_cndmask_b32_e64 v119, v138, v139, s0
	v_cmp_u_f32_e64 s0, v128, v128
	v_add3_u32 v142, v142, v129, 0x7fff
	v_or_b32_e32 v145, 0x400000, v115
	v_add3_u32 v144, v144, v115, 0x7fff
	v_lshrrev_b32_e32 v134, 16, v116
	s_wait_alu 0xf1ff
	v_cndmask_b32_e64 v128, v140, v141, s0
	v_cmp_u_f32_e64 s0, v129, v129
	v_lshrrev_b32_e32 v135, 16, v117
	v_lshrrev_b32_e32 v132, 16, v118
	;; [unrolled: 1-line block ×4, first 2 shown]
	s_wait_alu 0xf1ff
	v_cndmask_b32_e64 v129, v142, v143, s0
	v_cmp_u_f32_e64 s0, v115, v115
	v_lshrrev_b32_e32 v131, 16, v128
	s_delay_alu instid0(VALU_DEP_3) | instskip(SKIP_1) | instid1(VALU_DEP_3)
	v_lshrrev_b32_e32 v128, 16, v129
	s_wait_alu 0xf1ff
	v_cndmask_b32_e64 v115, v144, v145, s0
	s_delay_alu instid0(VALU_DEP_1)
	v_lshrrev_b32_e32 v129, 16, v115
	s_and_saveexec_b32 s9, vcc_lo
	s_cbranch_execz .LBB348_55
; %bb.54:                               ;   in Loop: Header=BB348_33 Depth=1
	v_cmp_gt_i32_e64 s0, s21, v87
	s_wait_alu 0xf1ff
	s_delay_alu instid0(VALU_DEP_1) | instskip(SKIP_2) | instid1(VALU_DEP_1)
	v_cndmask_b32_e64 v134, 0, v134, s0
	v_cmp_gt_i32_e64 s0, s21, v91
	s_wait_alu 0xf1ff
	v_cndmask_b32_e64 v135, 0, v135, s0
	v_cmp_gt_i32_e64 s0, s21, v15
	s_wait_alu 0xf1ff
	s_delay_alu instid0(VALU_DEP_1) | instskip(SKIP_2) | instid1(VALU_DEP_1)
	v_cndmask_b32_e64 v132, 0, v132, s0
	v_cmp_gt_i32_e64 s0, s21, v90
	s_wait_alu 0xf1ff
	v_cndmask_b32_e64 v133, 0, v133, s0
	;; [unrolled: 7-line block ×4, first 2 shown]
.LBB348_55:                             ;   in Loop: Header=BB348_33 Depth=1
	s_wait_alu 0xfffe
	s_or_b32 exec_lo, exec_lo, s9
	global_load_b64 v[114:115], v[13:14], off offset:2816
	s_wait_loadcnt 0x0
	v_bfe_u32 v117, v114, 8, 8
	v_bfe_u32 v118, v114, 16, 8
	;; [unrolled: 1-line block ×4, first 2 shown]
	s_delay_alu instid0(VALU_DEP_4)
	v_cvt_f32_fp8_e32 v117, v117
	v_and_b32_e32 v116, 0xff, v114
	v_lshrrev_b32_e32 v114, 24, v114
	v_cvt_f32_fp8_e32 v118, v118
	v_cvt_f32_fp8_e32 v137, v137
	v_mul_f32_e32 v117, s3, v117
	v_cvt_f32_fp8_e32 v116, v116
	v_and_b32_e32 v119, 0xff, v115
	v_cvt_f32_fp8_e32 v114, v114
	v_lshrrev_b32_e32 v115, 24, v115
	v_bfe_u32 v140, v117, 16, 1
	v_mul_f32_e32 v116, s3, v116
	v_cvt_f32_fp8_e32 v119, v119
	v_mul_f32_e32 v118, s3, v118
	v_dual_mul_f32 v114, s3, v114 :: v_dual_mul_f32 v137, s3, v137
	s_delay_alu instid0(VALU_DEP_4)
	v_bfe_u32 v138, v116, 16, 1
	v_or_b32_e32 v139, 0x400000, v116
	v_cmp_u_f32_e64 s0, v116, v116
	v_mul_f32_e32 v119, s3, v119
	v_or_b32_e32 v141, 0x400000, v117
	v_add3_u32 v138, v138, v116, 0x7fff
	v_bfe_u32 v142, v118, 16, 1
	v_add3_u32 v140, v140, v117, 0x7fff
	v_cvt_f32_fp8_e32 v136, v136
	v_or_b32_e32 v143, 0x400000, v118
	s_wait_alu 0xf1ff
	v_cndmask_b32_e64 v116, v138, v139, s0
	v_cmp_u_f32_e64 s0, v117, v117
	v_bfe_u32 v144, v114, 16, 1
	v_add3_u32 v142, v142, v118, 0x7fff
	v_cvt_f32_fp8_e32 v115, v115
	v_mul_f32_e32 v136, s3, v136
	s_wait_alu 0xf1ff
	v_cndmask_b32_e64 v117, v140, v141, s0
	v_cmp_u_f32_e64 s0, v118, v118
	v_or_b32_e32 v145, 0x400000, v114
	v_bfe_u32 v146, v119, 16, 1
	v_add3_u32 v144, v144, v114, 0x7fff
	v_mul_f32_e32 v115, s3, v115
	s_wait_alu 0xf1ff
	v_cndmask_b32_e64 v118, v142, v143, s0
	v_cmp_u_f32_e64 s0, v114, v114
	v_or_b32_e32 v147, 0x400000, v119
	v_bfe_u32 v148, v136, 16, 1
	v_add3_u32 v146, v146, v119, 0x7fff
	v_or_b32_e32 v149, 0x400000, v136
	s_wait_alu 0xf1ff
	v_cndmask_b32_e64 v114, v144, v145, s0
	v_cmp_u_f32_e64 s0, v119, v119
	v_bfe_u32 v150, v137, 16, 1
	v_add3_u32 v148, v148, v136, 0x7fff
	v_or_b32_e32 v151, 0x400000, v137
	v_bfe_u32 v152, v115, 16, 1
	s_wait_alu 0xf1ff
	v_cndmask_b32_e64 v119, v146, v147, s0
	v_cmp_u_f32_e64 s0, v136, v136
	v_add3_u32 v150, v150, v137, 0x7fff
	v_or_b32_e32 v153, 0x400000, v115
	v_add3_u32 v152, v152, v115, 0x7fff
	v_lshrrev_b32_e32 v142, 16, v116
	s_wait_alu 0xf1ff
	v_cndmask_b32_e64 v136, v148, v149, s0
	v_cmp_u_f32_e64 s0, v137, v137
	v_lshrrev_b32_e32 v143, 16, v117
	v_lshrrev_b32_e32 v140, 16, v118
	;; [unrolled: 1-line block ×4, first 2 shown]
	s_wait_alu 0xf1ff
	v_cndmask_b32_e64 v137, v150, v151, s0
	v_cmp_u_f32_e64 s0, v115, v115
	v_lshrrev_b32_e32 v139, 16, v136
	s_delay_alu instid0(VALU_DEP_3) | instskip(SKIP_1) | instid1(VALU_DEP_3)
	v_lshrrev_b32_e32 v136, 16, v137
	s_wait_alu 0xf1ff
	v_cndmask_b32_e64 v115, v152, v153, s0
	s_delay_alu instid0(VALU_DEP_1)
	v_lshrrev_b32_e32 v137, 16, v115
	s_and_saveexec_b32 s9, vcc_lo
	s_cbranch_execz .LBB348_57
; %bb.56:                               ;   in Loop: Header=BB348_33 Depth=1
	v_cmp_gt_i32_e64 s0, s21, v87
	s_wait_alu 0xf1ff
	s_delay_alu instid0(VALU_DEP_1) | instskip(SKIP_2) | instid1(VALU_DEP_1)
	v_cndmask_b32_e64 v142, 0, v142, s0
	v_cmp_gt_i32_e64 s0, s21, v91
	s_wait_alu 0xf1ff
	v_cndmask_b32_e64 v143, 0, v143, s0
	v_cmp_gt_i32_e64 s0, s21, v15
	s_wait_alu 0xf1ff
	s_delay_alu instid0(VALU_DEP_1) | instskip(SKIP_2) | instid1(VALU_DEP_1)
	v_cndmask_b32_e64 v140, 0, v140, s0
	v_cmp_gt_i32_e64 s0, s21, v90
	s_wait_alu 0xf1ff
	v_cndmask_b32_e64 v141, 0, v141, s0
	;; [unrolled: 7-line block ×4, first 2 shown]
.LBB348_57:                             ;   in Loop: Header=BB348_33 Depth=1
	s_wait_alu 0xfffe
	s_or_b32 exec_lo, exec_lo, s9
	global_load_b64 v[114:115], v[13:14], off offset:3072
	s_wait_loadcnt 0x0
	v_bfe_u32 v117, v114, 8, 8
	v_bfe_u32 v118, v114, 16, 8
	;; [unrolled: 1-line block ×4, first 2 shown]
	s_delay_alu instid0(VALU_DEP_4)
	v_cvt_f32_fp8_e32 v117, v117
	v_and_b32_e32 v116, 0xff, v114
	v_lshrrev_b32_e32 v114, 24, v114
	v_cvt_f32_fp8_e32 v118, v118
	v_cvt_f32_fp8_e32 v145, v145
	v_mul_f32_e32 v117, s3, v117
	v_cvt_f32_fp8_e32 v116, v116
	v_and_b32_e32 v119, 0xff, v115
	v_cvt_f32_fp8_e32 v114, v114
	v_lshrrev_b32_e32 v115, 24, v115
	v_bfe_u32 v148, v117, 16, 1
	v_mul_f32_e32 v116, s3, v116
	v_cvt_f32_fp8_e32 v119, v119
	v_mul_f32_e32 v118, s3, v118
	v_dual_mul_f32 v114, s3, v114 :: v_dual_mul_f32 v145, s3, v145
	s_delay_alu instid0(VALU_DEP_4)
	v_bfe_u32 v146, v116, 16, 1
	v_or_b32_e32 v147, 0x400000, v116
	v_cmp_u_f32_e64 s0, v116, v116
	v_mul_f32_e32 v119, s3, v119
	v_or_b32_e32 v149, 0x400000, v117
	v_add3_u32 v146, v146, v116, 0x7fff
	v_bfe_u32 v150, v118, 16, 1
	v_add3_u32 v148, v148, v117, 0x7fff
	v_cvt_f32_fp8_e32 v144, v144
	v_or_b32_e32 v151, 0x400000, v118
	s_wait_alu 0xf1ff
	v_cndmask_b32_e64 v116, v146, v147, s0
	v_cmp_u_f32_e64 s0, v117, v117
	v_bfe_u32 v152, v114, 16, 1
	v_add3_u32 v150, v150, v118, 0x7fff
	v_cvt_f32_fp8_e32 v115, v115
	v_mul_f32_e32 v144, s3, v144
	s_wait_alu 0xf1ff
	v_cndmask_b32_e64 v117, v148, v149, s0
	v_cmp_u_f32_e64 s0, v118, v118
	v_or_b32_e32 v153, 0x400000, v114
	v_bfe_u32 v154, v119, 16, 1
	v_add3_u32 v152, v152, v114, 0x7fff
	v_mul_f32_e32 v115, s3, v115
	s_wait_alu 0xf1ff
	v_cndmask_b32_e64 v118, v150, v151, s0
	v_cmp_u_f32_e64 s0, v114, v114
	v_or_b32_e32 v155, 0x400000, v119
	v_bfe_u32 v156, v144, 16, 1
	v_add3_u32 v154, v154, v119, 0x7fff
	v_or_b32_e32 v157, 0x400000, v144
	s_wait_alu 0xf1ff
	v_cndmask_b32_e64 v114, v152, v153, s0
	v_cmp_u_f32_e64 s0, v119, v119
	v_bfe_u32 v158, v145, 16, 1
	v_add3_u32 v156, v156, v144, 0x7fff
	v_or_b32_e32 v159, 0x400000, v145
	v_bfe_u32 v160, v115, 16, 1
	s_wait_alu 0xf1ff
	v_cndmask_b32_e64 v119, v154, v155, s0
	v_cmp_u_f32_e64 s0, v144, v144
	v_add3_u32 v158, v158, v145, 0x7fff
	v_or_b32_e32 v161, 0x400000, v115
	v_add3_u32 v160, v160, v115, 0x7fff
	v_lshrrev_b32_e32 v150, 16, v116
	s_wait_alu 0xf1ff
	v_cndmask_b32_e64 v144, v156, v157, s0
	v_cmp_u_f32_e64 s0, v145, v145
	v_lshrrev_b32_e32 v151, 16, v117
	v_lshrrev_b32_e32 v148, 16, v118
	;; [unrolled: 1-line block ×4, first 2 shown]
	s_wait_alu 0xf1ff
	v_cndmask_b32_e64 v145, v158, v159, s0
	v_cmp_u_f32_e64 s0, v115, v115
	v_lshrrev_b32_e32 v147, 16, v144
	s_delay_alu instid0(VALU_DEP_3) | instskip(SKIP_1) | instid1(VALU_DEP_3)
	v_lshrrev_b32_e32 v144, 16, v145
	s_wait_alu 0xf1ff
	v_cndmask_b32_e64 v115, v160, v161, s0
	s_delay_alu instid0(VALU_DEP_1)
	v_lshrrev_b32_e32 v145, 16, v115
	s_and_saveexec_b32 s9, vcc_lo
	s_cbranch_execz .LBB348_59
; %bb.58:                               ;   in Loop: Header=BB348_33 Depth=1
	v_cmp_gt_i32_e64 s0, s21, v87
	s_wait_alu 0xf1ff
	s_delay_alu instid0(VALU_DEP_1) | instskip(SKIP_2) | instid1(VALU_DEP_1)
	v_cndmask_b32_e64 v150, 0, v150, s0
	v_cmp_gt_i32_e64 s0, s21, v91
	s_wait_alu 0xf1ff
	v_cndmask_b32_e64 v151, 0, v151, s0
	v_cmp_gt_i32_e64 s0, s21, v15
	s_wait_alu 0xf1ff
	s_delay_alu instid0(VALU_DEP_1) | instskip(SKIP_2) | instid1(VALU_DEP_1)
	v_cndmask_b32_e64 v148, 0, v148, s0
	v_cmp_gt_i32_e64 s0, s21, v90
	s_wait_alu 0xf1ff
	v_cndmask_b32_e64 v149, 0, v149, s0
	;; [unrolled: 7-line block ×4, first 2 shown]
.LBB348_59:                             ;   in Loop: Header=BB348_33 Depth=1
	s_wait_alu 0xfffe
	s_or_b32 exec_lo, exec_lo, s9
	global_load_b64 v[114:115], v[13:14], off offset:3328
	s_wait_loadcnt 0x0
	v_bfe_u32 v117, v114, 8, 8
	v_bfe_u32 v118, v114, 16, 8
	;; [unrolled: 1-line block ×4, first 2 shown]
	s_delay_alu instid0(VALU_DEP_4)
	v_cvt_f32_fp8_e32 v117, v117
	v_and_b32_e32 v116, 0xff, v114
	v_lshrrev_b32_e32 v114, 24, v114
	v_cvt_f32_fp8_e32 v118, v118
	v_cvt_f32_fp8_e32 v153, v153
	v_mul_f32_e32 v117, s3, v117
	v_cvt_f32_fp8_e32 v116, v116
	v_and_b32_e32 v119, 0xff, v115
	v_cvt_f32_fp8_e32 v114, v114
	v_lshrrev_b32_e32 v115, 24, v115
	v_bfe_u32 v156, v117, 16, 1
	v_mul_f32_e32 v116, s3, v116
	v_cvt_f32_fp8_e32 v119, v119
	v_mul_f32_e32 v118, s3, v118
	v_dual_mul_f32 v114, s3, v114 :: v_dual_mul_f32 v153, s3, v153
	s_delay_alu instid0(VALU_DEP_4)
	v_bfe_u32 v154, v116, 16, 1
	v_or_b32_e32 v155, 0x400000, v116
	v_cmp_u_f32_e64 s0, v116, v116
	v_mul_f32_e32 v119, s3, v119
	v_or_b32_e32 v157, 0x400000, v117
	v_add3_u32 v154, v154, v116, 0x7fff
	v_bfe_u32 v158, v118, 16, 1
	v_add3_u32 v156, v156, v117, 0x7fff
	v_cvt_f32_fp8_e32 v152, v152
	v_or_b32_e32 v159, 0x400000, v118
	s_wait_alu 0xf1ff
	v_cndmask_b32_e64 v116, v154, v155, s0
	v_cmp_u_f32_e64 s0, v117, v117
	v_bfe_u32 v160, v114, 16, 1
	v_add3_u32 v158, v158, v118, 0x7fff
	v_cvt_f32_fp8_e32 v115, v115
	v_mul_f32_e32 v152, s3, v152
	s_wait_alu 0xf1ff
	v_cndmask_b32_e64 v117, v156, v157, s0
	v_cmp_u_f32_e64 s0, v118, v118
	v_or_b32_e32 v161, 0x400000, v114
	v_bfe_u32 v162, v119, 16, 1
	v_add3_u32 v160, v160, v114, 0x7fff
	v_mul_f32_e32 v115, s3, v115
	s_wait_alu 0xf1ff
	v_cndmask_b32_e64 v118, v158, v159, s0
	v_cmp_u_f32_e64 s0, v114, v114
	v_or_b32_e32 v163, 0x400000, v119
	v_bfe_u32 v164, v152, 16, 1
	v_add3_u32 v162, v162, v119, 0x7fff
	v_or_b32_e32 v165, 0x400000, v152
	s_wait_alu 0xf1ff
	v_cndmask_b32_e64 v114, v160, v161, s0
	v_cmp_u_f32_e64 s0, v119, v119
	v_bfe_u32 v166, v153, 16, 1
	v_add3_u32 v164, v164, v152, 0x7fff
	v_or_b32_e32 v167, 0x400000, v153
	v_bfe_u32 v168, v115, 16, 1
	s_wait_alu 0xf1ff
	v_cndmask_b32_e64 v119, v162, v163, s0
	v_cmp_u_f32_e64 s0, v152, v152
	v_add3_u32 v166, v166, v153, 0x7fff
	v_or_b32_e32 v169, 0x400000, v115
	v_add3_u32 v168, v168, v115, 0x7fff
	v_lshrrev_b32_e32 v158, 16, v116
	s_wait_alu 0xf1ff
	v_cndmask_b32_e64 v152, v164, v165, s0
	v_cmp_u_f32_e64 s0, v153, v153
	v_lshrrev_b32_e32 v159, 16, v117
	v_lshrrev_b32_e32 v156, 16, v118
	;; [unrolled: 1-line block ×4, first 2 shown]
	s_wait_alu 0xf1ff
	v_cndmask_b32_e64 v153, v166, v167, s0
	v_cmp_u_f32_e64 s0, v115, v115
	v_lshrrev_b32_e32 v155, 16, v152
	s_delay_alu instid0(VALU_DEP_3) | instskip(SKIP_1) | instid1(VALU_DEP_3)
	v_lshrrev_b32_e32 v152, 16, v153
	s_wait_alu 0xf1ff
	v_cndmask_b32_e64 v115, v168, v169, s0
	s_delay_alu instid0(VALU_DEP_1)
	v_lshrrev_b32_e32 v153, 16, v115
	s_and_saveexec_b32 s9, vcc_lo
	s_cbranch_execz .LBB348_61
; %bb.60:                               ;   in Loop: Header=BB348_33 Depth=1
	v_cmp_gt_i32_e64 s0, s21, v87
	s_wait_alu 0xf1ff
	s_delay_alu instid0(VALU_DEP_1) | instskip(SKIP_2) | instid1(VALU_DEP_1)
	v_cndmask_b32_e64 v158, 0, v158, s0
	v_cmp_gt_i32_e64 s0, s21, v91
	s_wait_alu 0xf1ff
	v_cndmask_b32_e64 v159, 0, v159, s0
	v_cmp_gt_i32_e64 s0, s21, v15
	s_wait_alu 0xf1ff
	s_delay_alu instid0(VALU_DEP_1) | instskip(SKIP_2) | instid1(VALU_DEP_1)
	v_cndmask_b32_e64 v156, 0, v156, s0
	v_cmp_gt_i32_e64 s0, s21, v90
	s_wait_alu 0xf1ff
	v_cndmask_b32_e64 v157, 0, v157, s0
	;; [unrolled: 7-line block ×4, first 2 shown]
.LBB348_61:                             ;   in Loop: Header=BB348_33 Depth=1
	s_wait_alu 0xfffe
	s_or_b32 exec_lo, exec_lo, s9
	global_load_b64 v[114:115], v[13:14], off offset:3584
	s_wait_loadcnt 0x0
	v_bfe_u32 v117, v114, 8, 8
	v_bfe_u32 v118, v114, 16, 8
	;; [unrolled: 1-line block ×4, first 2 shown]
	s_delay_alu instid0(VALU_DEP_4)
	v_cvt_f32_fp8_e32 v117, v117
	v_and_b32_e32 v116, 0xff, v114
	v_lshrrev_b32_e32 v114, 24, v114
	v_cvt_f32_fp8_e32 v118, v118
	v_cvt_f32_fp8_e32 v161, v161
	v_mul_f32_e32 v117, s3, v117
	v_cvt_f32_fp8_e32 v116, v116
	v_and_b32_e32 v119, 0xff, v115
	v_cvt_f32_fp8_e32 v114, v114
	v_lshrrev_b32_e32 v115, 24, v115
	v_bfe_u32 v164, v117, 16, 1
	v_mul_f32_e32 v116, s3, v116
	v_cvt_f32_fp8_e32 v119, v119
	v_mul_f32_e32 v118, s3, v118
	v_dual_mul_f32 v114, s3, v114 :: v_dual_mul_f32 v161, s3, v161
	s_delay_alu instid0(VALU_DEP_4)
	v_bfe_u32 v162, v116, 16, 1
	v_or_b32_e32 v163, 0x400000, v116
	v_cmp_u_f32_e64 s0, v116, v116
	v_mul_f32_e32 v119, s3, v119
	v_or_b32_e32 v165, 0x400000, v117
	v_add3_u32 v162, v162, v116, 0x7fff
	v_bfe_u32 v166, v118, 16, 1
	v_add3_u32 v164, v164, v117, 0x7fff
	v_cvt_f32_fp8_e32 v160, v160
	v_or_b32_e32 v167, 0x400000, v118
	s_wait_alu 0xf1ff
	v_cndmask_b32_e64 v116, v162, v163, s0
	v_cmp_u_f32_e64 s0, v117, v117
	v_bfe_u32 v168, v114, 16, 1
	v_add3_u32 v166, v166, v118, 0x7fff
	v_cvt_f32_fp8_e32 v115, v115
	v_mul_f32_e32 v160, s3, v160
	s_wait_alu 0xf1ff
	v_cndmask_b32_e64 v117, v164, v165, s0
	v_cmp_u_f32_e64 s0, v118, v118
	v_or_b32_e32 v169, 0x400000, v114
	v_bfe_u32 v170, v119, 16, 1
	v_add3_u32 v168, v168, v114, 0x7fff
	v_mul_f32_e32 v115, s3, v115
	s_wait_alu 0xf1ff
	v_cndmask_b32_e64 v118, v166, v167, s0
	v_cmp_u_f32_e64 s0, v114, v114
	v_or_b32_e32 v171, 0x400000, v119
	v_bfe_u32 v172, v160, 16, 1
	v_add3_u32 v170, v170, v119, 0x7fff
	v_or_b32_e32 v173, 0x400000, v160
	s_wait_alu 0xf1ff
	v_cndmask_b32_e64 v114, v168, v169, s0
	v_cmp_u_f32_e64 s0, v119, v119
	v_bfe_u32 v174, v161, 16, 1
	v_add3_u32 v172, v172, v160, 0x7fff
	v_or_b32_e32 v175, 0x400000, v161
	v_bfe_u32 v176, v115, 16, 1
	s_wait_alu 0xf1ff
	v_cndmask_b32_e64 v119, v170, v171, s0
	v_cmp_u_f32_e64 s0, v160, v160
	v_add3_u32 v174, v174, v161, 0x7fff
	v_or_b32_e32 v177, 0x400000, v115
	v_add3_u32 v176, v176, v115, 0x7fff
	v_lshrrev_b32_e32 v166, 16, v116
	s_wait_alu 0xf1ff
	v_cndmask_b32_e64 v160, v172, v173, s0
	v_cmp_u_f32_e64 s0, v161, v161
	v_lshrrev_b32_e32 v167, 16, v117
	v_lshrrev_b32_e32 v164, 16, v118
	;; [unrolled: 1-line block ×4, first 2 shown]
	s_wait_alu 0xf1ff
	v_cndmask_b32_e64 v161, v174, v175, s0
	v_cmp_u_f32_e64 s0, v115, v115
	v_lshrrev_b32_e32 v163, 16, v160
	s_delay_alu instid0(VALU_DEP_3) | instskip(SKIP_1) | instid1(VALU_DEP_3)
	v_lshrrev_b32_e32 v160, 16, v161
	s_wait_alu 0xf1ff
	v_cndmask_b32_e64 v115, v176, v177, s0
	s_delay_alu instid0(VALU_DEP_1)
	v_lshrrev_b32_e32 v161, 16, v115
	s_and_saveexec_b32 s9, vcc_lo
	s_cbranch_execz .LBB348_63
; %bb.62:                               ;   in Loop: Header=BB348_33 Depth=1
	v_cmp_gt_i32_e64 s0, s21, v87
	s_wait_alu 0xf1ff
	s_delay_alu instid0(VALU_DEP_1) | instskip(SKIP_2) | instid1(VALU_DEP_1)
	v_cndmask_b32_e64 v166, 0, v166, s0
	v_cmp_gt_i32_e64 s0, s21, v91
	s_wait_alu 0xf1ff
	v_cndmask_b32_e64 v167, 0, v167, s0
	v_cmp_gt_i32_e64 s0, s21, v15
	s_wait_alu 0xf1ff
	s_delay_alu instid0(VALU_DEP_1) | instskip(SKIP_2) | instid1(VALU_DEP_1)
	v_cndmask_b32_e64 v164, 0, v164, s0
	v_cmp_gt_i32_e64 s0, s21, v90
	s_wait_alu 0xf1ff
	v_cndmask_b32_e64 v165, 0, v165, s0
	;; [unrolled: 7-line block ×4, first 2 shown]
.LBB348_63:                             ;   in Loop: Header=BB348_33 Depth=1
	s_wait_alu 0xfffe
	s_or_b32 exec_lo, exec_lo, s9
	global_load_b64 v[13:14], v[13:14], off offset:3840
	s_wait_loadcnt 0x0
	v_bfe_u32 v115, v13, 8, 8
	v_bfe_u32 v116, v13, 16, 8
	;; [unrolled: 1-line block ×4, first 2 shown]
	s_delay_alu instid0(VALU_DEP_4)
	v_cvt_f32_fp8_e32 v115, v115
	v_and_b32_e32 v114, 0xff, v13
	v_lshrrev_b32_e32 v13, 24, v13
	v_cvt_f32_fp8_e32 v116, v116
	v_and_b32_e32 v117, 0xff, v14
	v_mul_f32_e32 v115, s3, v115
	v_cvt_f32_fp8_e32 v114, v114
	v_cvt_f32_fp8_e32 v13, v13
	v_mul_f32_e32 v116, s3, v116
	v_cvt_f32_fp8_e32 v117, v117
	v_bfe_u32 v170, v115, 16, 1
	s_delay_alu instid0(VALU_DEP_4) | instskip(SKIP_2) | instid1(VALU_DEP_4)
	v_dual_mul_f32 v114, s3, v114 :: v_dual_mul_f32 v13, s3, v13
	v_or_b32_e32 v171, 0x400000, v115
	v_bfe_u32 v172, v116, 16, 1
	v_add3_u32 v170, v170, v115, 0x7fff
	s_delay_alu instid0(VALU_DEP_4)
	v_bfe_u32 v168, v114, 16, 1
	v_or_b32_e32 v169, 0x400000, v114
	v_cmp_u_f32_e64 s0, v114, v114
	v_cvt_f32_fp8_e32 v118, v118
	v_mul_f32_e32 v117, s3, v117
	v_add3_u32 v168, v168, v114, 0x7fff
	v_or_b32_e32 v173, 0x400000, v116
	v_bfe_u32 v174, v13, 16, 1
	v_add3_u32 v172, v172, v116, 0x7fff
	v_lshrrev_b32_e32 v14, 24, v14
	s_wait_alu 0xf1ff
	v_cndmask_b32_e64 v114, v168, v169, s0
	v_cmp_u_f32_e64 s0, v115, v115
	v_cvt_f32_fp8_e32 v119, v119
	v_mul_f32_e32 v118, s3, v118
	v_or_b32_e32 v175, 0x400000, v13
	v_bfe_u32 v176, v117, 16, 1
	s_wait_alu 0xf1ff
	v_cndmask_b32_e64 v115, v170, v171, s0
	v_cmp_u_f32_e64 s0, v116, v116
	v_add3_u32 v174, v174, v13, 0x7fff
	v_cvt_f32_fp8_e32 v14, v14
	v_mul_f32_e32 v119, s3, v119
	v_or_b32_e32 v177, 0x400000, v117
	s_wait_alu 0xf1ff
	v_cndmask_b32_e64 v116, v172, v173, s0
	v_cmp_u_f32_e64 s0, v13, v13
	v_bfe_u32 v178, v118, 16, 1
	v_add3_u32 v176, v176, v117, 0x7fff
	v_mul_f32_e32 v14, s3, v14
	v_or_b32_e32 v179, 0x400000, v118
	s_wait_alu 0xf1ff
	v_cndmask_b32_e64 v13, v174, v175, s0
	v_cmp_u_f32_e64 s0, v117, v117
	v_bfe_u32 v180, v119, 16, 1
	v_add3_u32 v178, v178, v118, 0x7fff
	v_or_b32_e32 v181, 0x400000, v119
	v_bfe_u32 v182, v14, 16, 1
	s_wait_alu 0xf1ff
	v_cndmask_b32_e64 v168, v176, v177, s0
	v_cmp_u_f32_e64 s0, v118, v118
	v_add3_u32 v180, v180, v119, 0x7fff
	v_or_b32_e32 v183, 0x400000, v14
	v_add3_u32 v182, v182, v14, 0x7fff
	v_lshrrev_b32_e32 v118, 16, v115
	s_wait_alu 0xf1ff
	v_cndmask_b32_e64 v169, v178, v179, s0
	v_cmp_u_f32_e64 s0, v119, v119
	v_lshrrev_b32_e32 v119, 16, v114
	v_lshrrev_b32_e32 v117, 16, v116
	;; [unrolled: 1-line block ×4, first 2 shown]
	s_wait_alu 0xf1ff
	v_cndmask_b32_e64 v170, v180, v181, s0
	v_cmp_u_f32_e64 s0, v14, v14
	v_lshrrev_b32_e32 v114, 16, v169
	s_delay_alu instid0(VALU_DEP_3) | instskip(SKIP_1) | instid1(VALU_DEP_3)
	v_lshrrev_b32_e32 v14, 16, v170
	s_wait_alu 0xf1ff
	v_cndmask_b32_e64 v171, v182, v183, s0
	s_delay_alu instid0(VALU_DEP_1)
	v_lshrrev_b32_e32 v13, 16, v171
	s_and_saveexec_b32 s0, vcc_lo
	s_cbranch_execz .LBB348_32
; %bb.64:                               ;   in Loop: Header=BB348_33 Depth=1
	v_cmp_gt_i32_e32 vcc_lo, s21, v87
	s_wait_alu 0xfffd
	v_cndmask_b32_e32 v119, 0, v119, vcc_lo
	v_cmp_gt_i32_e32 vcc_lo, s21, v91
	s_wait_alu 0xfffd
	v_cndmask_b32_e32 v118, 0, v118, vcc_lo
	;; [unrolled: 3-line block ×8, first 2 shown]
	s_branch .LBB348_32
.LBB348_65:
	s_or_b32 exec_lo, exec_lo, s8
.LBB348_66:
	s_wait_alu 0xfffe
	s_or_b32 exec_lo, exec_lo, s1
	ds_bpermute_b32 v6, v20, v30
	ds_bpermute_b32 v7, v20, v29
	;; [unrolled: 1-line block ×16, first 2 shown]
	s_mov_b32 s0, exec_lo
	s_wait_storecnt 0x0
	s_wait_loadcnt_dscnt 0x0
	s_barrier_signal -1
	s_barrier_wait -1
	v_dual_add_f32 v9, v30, v6 :: v_dual_add_f32 v8, v29, v7
	v_add_f32_e32 v7, v28, v16
	v_lshrrev_b32_e32 v16, 1, v19
	v_dual_add_f32 v15, v35, v0 :: v_dual_add_f32 v14, v36, v1
	v_dual_add_f32 v13, v34, v2 :: v_dual_add_f32 v12, v33, v3
	;; [unrolled: 1-line block ×5, first 2 shown]
	v_dual_add_f32 v0, v23, v39 :: v_dual_and_b32 v19, 0x3c1, v185
	v_add_f32_e32 v2, v22, v40
	v_dual_add_f32 v1, v21, v20 :: v_dual_lshlrev_b32 v18, 10, v187
	v_lshl_add_u32 v17, v16, 2, 0x220
	global_inv scope:SCOPE_SE
	v_cmpx_eq_u32_e32 64, v19
	s_cbranch_execz .LBB348_68
; %bb.67:
	v_add_nc_u32_e32 v19, v17, v18
	s_delay_alu instid0(VALU_DEP_1)
	v_add_nc_u32_e32 v20, 0xfffff800, v19
	v_add_nc_u32_e32 v21, 0xfffff840, v19
	;; [unrolled: 1-line block ×8, first 2 shown]
	ds_store_b32 v20, v15
	ds_store_b32 v21, v14
	;; [unrolled: 1-line block ×8, first 2 shown]
	v_add_nc_u32_e32 v20, 0xfffffa00, v19
	v_add_nc_u32_e32 v21, 0xfffffa40, v19
	;; [unrolled: 1-line block ×8, first 2 shown]
	ds_store_b32 v20, v7
	ds_store_b32 v21, v6
	;; [unrolled: 1-line block ×8, first 2 shown]
.LBB348_68:
	s_wait_alu 0xfffe
	s_or_b32 exec_lo, exec_lo, s0
	v_lshlrev_b32_e32 v16, 2, v16
	v_cmp_eq_u32_e32 vcc_lo, 0, v186
	s_wait_loadcnt_dscnt 0x0
	s_barrier_signal -1
	s_barrier_wait -1
	v_add3_u32 v16, 0x220, v18, v16
	global_inv scope:SCOPE_SE
	s_and_saveexec_b32 s0, s2
	s_cbranch_execz .LBB348_87
; %bb.69:
	s_and_saveexec_b32 s1, vcc_lo
	s_cbranch_execnz .LBB348_111
; %bb.70:
	s_wait_alu 0xfffe
	s_or_b32 exec_lo, exec_lo, s1
	s_and_saveexec_b32 s1, vcc_lo
	s_cbranch_execnz .LBB348_112
.LBB348_71:
	s_wait_alu 0xfffe
	s_or_b32 exec_lo, exec_lo, s1
	s_and_saveexec_b32 s1, vcc_lo
	s_cbranch_execnz .LBB348_113
.LBB348_72:
	s_wait_alu 0xfffe
	s_or_b32 exec_lo, exec_lo, s1
	s_and_saveexec_b32 s1, vcc_lo
	s_cbranch_execnz .LBB348_114
.LBB348_73:
	s_wait_alu 0xfffe
	s_or_b32 exec_lo, exec_lo, s1
	s_and_saveexec_b32 s1, vcc_lo
	s_cbranch_execnz .LBB348_115
.LBB348_74:
	s_wait_alu 0xfffe
	s_or_b32 exec_lo, exec_lo, s1
	s_and_saveexec_b32 s1, vcc_lo
	s_cbranch_execnz .LBB348_116
.LBB348_75:
	s_wait_alu 0xfffe
	s_or_b32 exec_lo, exec_lo, s1
	s_and_saveexec_b32 s1, vcc_lo
	s_cbranch_execnz .LBB348_117
.LBB348_76:
	s_wait_alu 0xfffe
	s_or_b32 exec_lo, exec_lo, s1
	s_and_saveexec_b32 s1, vcc_lo
	s_cbranch_execnz .LBB348_118
.LBB348_77:
	s_wait_alu 0xfffe
	s_or_b32 exec_lo, exec_lo, s1
	s_and_saveexec_b32 s1, vcc_lo
	s_cbranch_execnz .LBB348_119
.LBB348_78:
	s_wait_alu 0xfffe
	s_or_b32 exec_lo, exec_lo, s1
	s_and_saveexec_b32 s1, vcc_lo
	s_cbranch_execnz .LBB348_120
.LBB348_79:
	s_wait_alu 0xfffe
	s_or_b32 exec_lo, exec_lo, s1
	s_and_saveexec_b32 s1, vcc_lo
	s_cbranch_execnz .LBB348_121
.LBB348_80:
	s_wait_alu 0xfffe
	s_or_b32 exec_lo, exec_lo, s1
	s_and_saveexec_b32 s1, vcc_lo
	s_cbranch_execnz .LBB348_122
.LBB348_81:
	s_wait_alu 0xfffe
	s_or_b32 exec_lo, exec_lo, s1
	s_and_saveexec_b32 s1, vcc_lo
	s_cbranch_execnz .LBB348_123
.LBB348_82:
	s_wait_alu 0xfffe
	s_or_b32 exec_lo, exec_lo, s1
	s_and_saveexec_b32 s1, vcc_lo
	s_cbranch_execnz .LBB348_124
.LBB348_83:
	s_wait_alu 0xfffe
	s_or_b32 exec_lo, exec_lo, s1
	s_and_saveexec_b32 s1, vcc_lo
	s_cbranch_execnz .LBB348_125
.LBB348_84:
	s_wait_alu 0xfffe
	s_or_b32 exec_lo, exec_lo, s1
	s_and_saveexec_b32 s1, vcc_lo
	s_cbranch_execz .LBB348_86
.LBB348_85:
	ds_load_b32 v18, v16 offset:960
	s_wait_dscnt 0x0
	v_add_f32_e32 v1, v1, v18
.LBB348_86:
	s_wait_alu 0xfffe
	s_or_b32 exec_lo, exec_lo, s1
.LBB348_87:
	s_wait_alu 0xfffe
	s_or_b32 exec_lo, exec_lo, s0
	v_and_b32_e32 v18, 0x3e1, v185
	s_mov_b32 s1, exec_lo
	s_wait_loadcnt 0x0
	s_barrier_signal -1
	s_barrier_wait -1
	global_inv scope:SCOPE_SE
	v_cmpx_eq_u32_e32 32, v18
	s_cbranch_execz .LBB348_89
; %bb.88:
	ds_store_2addr_b32 v17, v15, v14 offset1:16
	ds_store_2addr_b32 v17, v13, v12 offset0:32 offset1:48
	ds_store_2addr_b32 v17, v11, v10 offset0:64 offset1:80
	;; [unrolled: 1-line block ×7, first 2 shown]
.LBB348_89:
	s_wait_alu 0xfffe
	s_or_b32 exec_lo, exec_lo, s1
	s_delay_alu instid0(SALU_CYCLE_1)
	s_mov_b32 s1, exec_lo
	s_wait_loadcnt_dscnt 0x0
	s_barrier_signal -1
	s_barrier_wait -1
	global_inv scope:SCOPE_SE
	v_cmpx_gt_u32_e32 32, v185
	s_cbranch_execz .LBB348_108
; %bb.90:
	s_and_saveexec_b32 s0, vcc_lo
	s_cbranch_execnz .LBB348_126
; %bb.91:
	s_wait_alu 0xfffe
	s_or_b32 exec_lo, exec_lo, s0
	s_and_saveexec_b32 s0, vcc_lo
	s_cbranch_execnz .LBB348_127
.LBB348_92:
	s_wait_alu 0xfffe
	s_or_b32 exec_lo, exec_lo, s0
	s_and_saveexec_b32 s0, vcc_lo
	s_cbranch_execnz .LBB348_128
.LBB348_93:
	s_wait_alu 0xfffe
	s_or_b32 exec_lo, exec_lo, s0
	s_and_saveexec_b32 s0, vcc_lo
	s_cbranch_execnz .LBB348_129
.LBB348_94:
	s_wait_alu 0xfffe
	s_or_b32 exec_lo, exec_lo, s0
	s_and_saveexec_b32 s0, vcc_lo
	s_cbranch_execnz .LBB348_130
.LBB348_95:
	s_wait_alu 0xfffe
	s_or_b32 exec_lo, exec_lo, s0
	s_and_saveexec_b32 s0, vcc_lo
	s_cbranch_execnz .LBB348_131
.LBB348_96:
	s_wait_alu 0xfffe
	s_or_b32 exec_lo, exec_lo, s0
	s_and_saveexec_b32 s0, vcc_lo
	s_cbranch_execnz .LBB348_132
.LBB348_97:
	s_wait_alu 0xfffe
	s_or_b32 exec_lo, exec_lo, s0
	s_and_saveexec_b32 s0, vcc_lo
	s_cbranch_execnz .LBB348_133
.LBB348_98:
	s_wait_alu 0xfffe
	s_or_b32 exec_lo, exec_lo, s0
	s_and_saveexec_b32 s0, vcc_lo
	s_cbranch_execnz .LBB348_134
.LBB348_99:
	s_wait_alu 0xfffe
	s_or_b32 exec_lo, exec_lo, s0
	s_and_saveexec_b32 s0, vcc_lo
	s_cbranch_execnz .LBB348_135
.LBB348_100:
	s_wait_alu 0xfffe
	s_or_b32 exec_lo, exec_lo, s0
	s_and_saveexec_b32 s0, vcc_lo
	s_cbranch_execnz .LBB348_136
.LBB348_101:
	s_wait_alu 0xfffe
	s_or_b32 exec_lo, exec_lo, s0
	s_and_saveexec_b32 s0, vcc_lo
	s_cbranch_execnz .LBB348_137
.LBB348_102:
	s_wait_alu 0xfffe
	s_or_b32 exec_lo, exec_lo, s0
	s_and_saveexec_b32 s0, vcc_lo
	s_cbranch_execnz .LBB348_138
.LBB348_103:
	s_wait_alu 0xfffe
	s_or_b32 exec_lo, exec_lo, s0
	s_and_saveexec_b32 s0, vcc_lo
	s_cbranch_execnz .LBB348_139
.LBB348_104:
	s_wait_alu 0xfffe
	s_or_b32 exec_lo, exec_lo, s0
	s_and_saveexec_b32 s0, vcc_lo
	s_cbranch_execnz .LBB348_140
.LBB348_105:
	s_wait_alu 0xfffe
	s_or_b32 exec_lo, exec_lo, s0
	s_and_saveexec_b32 s0, vcc_lo
	s_cbranch_execz .LBB348_107
.LBB348_106:
	ds_load_b32 v16, v16 offset:960
	s_wait_dscnt 0x0
	v_add_f32_e32 v1, v1, v16
.LBB348_107:
	s_wait_alu 0xfffe
	s_or_b32 exec_lo, exec_lo, s0
.LBB348_108:
	s_wait_alu 0xfffe
	s_or_b32 exec_lo, exec_lo, s1
	s_mov_b32 s21, 0
	s_wait_loadcnt 0x0
	s_barrier_signal -1
	s_barrier_wait -1
	global_inv scope:SCOPE_SE
	s_mov_b32 s0, exec_lo
	v_cmpx_eq_u32_e32 0, v18
	s_cbranch_execz .LBB348_110
; %bb.109:
	v_bfe_u32 v16, v15, 16, 1
	v_bfe_u32 v17, v14, 16, 1
	v_or_b32_e32 v19, 0x400000, v15
	v_cmp_u_f32_e32 vcc_lo, v15, v15
	v_or_b32_e32 v20, 0x400000, v14
	v_add3_u32 v16, v16, v15, 0x7fff
	v_lshlrev_b32_e32 v18, 1, v184
	v_add3_u32 v17, v17, v14, 0x7fff
	v_bfe_u32 v21, v13, 16, 1
	s_lshl_b32 s0, s4, 8
	s_wait_alu 0xfffd
	v_cndmask_b32_e32 v15, v16, v19, vcc_lo
	v_cmp_u_f32_e32 vcc_lo, v14, v14
	v_bfe_u32 v16, v12, 16, 1
	v_or_b32_e32 v19, 0x400000, v13
	s_mul_i32 s2, s16, s22
	s_wait_alu 0xfffe
	s_ashr_i32 s1, s0, 31
	s_wait_alu 0xfffd
	v_cndmask_b32_e32 v14, v17, v20, vcc_lo
	v_add3_u32 v17, v21, v13, 0x7fff
	v_cmp_u_f32_e32 vcc_lo, v13, v13
	v_bfe_u32 v20, v11, 16, 1
	v_add3_u32 v16, v16, v12, 0x7fff
	v_or_b32_e32 v21, 0x400000, v12
	s_ashr_i32 s3, s2, 31
	s_wait_alu 0xfffd
	v_cndmask_b32_e32 v13, v17, v19, vcc_lo
	v_cmp_u_f32_e32 vcc_lo, v12, v12
	v_add3_u32 v17, v20, v11, 0x7fff
	v_or_b32_e32 v19, 0x400000, v11
	v_bfe_u32 v20, v9, 16, 1
	s_wait_alu 0xfffe
	s_lshl_b64 s[0:1], s[0:1], 1
	s_wait_alu 0xfffd
	v_cndmask_b32_e32 v12, v16, v21, vcc_lo
	v_bfe_u32 v16, v10, 16, 1
	v_cmp_u_f32_e32 vcc_lo, v11, v11
	v_add3_u32 v20, v20, v9, 0x7fff
	v_or_b32_e32 v21, 0x400000, v9
	s_lshl_b64 s[2:3], s[2:3], 1
	v_add3_u32 v16, v16, v10, 0x7fff
	s_wait_alu 0xfffd
	v_cndmask_b32_e32 v11, v17, v19, vcc_lo
	v_or_b32_e32 v19, 0x400000, v10
	v_cmp_u_f32_e32 vcc_lo, v10, v10
	v_bfe_u32 v17, v8, 16, 1
	s_wait_alu 0xfffe
	s_add_nc_u64 s[0:1], s[6:7], s[0:1]
	v_or_b32_e32 v22, 0x400000, v8
	s_wait_alu 0xfffe
	s_add_nc_u64 s[0:1], s[0:1], s[2:3]
	s_wait_alu 0xfffd
	v_cndmask_b32_e32 v10, v16, v19, vcc_lo
	v_cmp_u_f32_e32 vcc_lo, v9, v9
	v_add3_u32 v17, v17, v8, 0x7fff
	v_bfe_u32 v16, v7, 16, 1
	s_wait_alu 0xfffe
	s_add_nc_u64 s[0:1], s[0:1], s[20:21]
	s_wait_alu 0xfffd
	v_cndmask_b32_e32 v9, v20, v21, vcc_lo
	v_cmp_u_f32_e32 vcc_lo, v8, v8
	s_wait_alu 0xfffd
	v_cndmask_b32_e32 v8, v17, v22, vcc_lo
	v_bfe_u32 v17, v6, 16, 1
	s_clause 0x7
	global_store_d16_hi_b16 v18, v15, s[0:1]
	global_store_d16_hi_b16 v18, v14, s[0:1] offset:32
	global_store_d16_hi_b16 v18, v13, s[0:1] offset:64
	;; [unrolled: 1-line block ×7, first 2 shown]
	v_add3_u32 v8, v16, v7, 0x7fff
	v_or_b32_e32 v9, 0x400000, v7
	v_cmp_u_f32_e32 vcc_lo, v7, v7
	v_add3_u32 v10, v17, v6, 0x7fff
	v_or_b32_e32 v11, 0x400000, v6
	v_bfe_u32 v12, v5, 16, 1
	v_or_b32_e32 v13, 0x400000, v1
	s_wait_alu 0xfffd
	v_cndmask_b32_e32 v7, v8, v9, vcc_lo
	v_cmp_u_f32_e32 vcc_lo, v6, v6
	v_bfe_u32 v8, v4, 16, 1
	v_add3_u32 v9, v12, v5, 0x7fff
	v_or_b32_e32 v12, 0x400000, v4
	s_wait_alu 0xfffd
	v_cndmask_b32_e32 v6, v10, v11, vcc_lo
	v_or_b32_e32 v10, 0x400000, v5
	v_cmp_u_f32_e32 vcc_lo, v5, v5
	v_bfe_u32 v11, v3, 16, 1
	v_add3_u32 v8, v8, v4, 0x7fff
	s_wait_alu 0xfffd
	v_cndmask_b32_e32 v5, v9, v10, vcc_lo
	v_cmp_u_f32_e32 vcc_lo, v4, v4
	v_add3_u32 v9, v11, v3, 0x7fff
	v_or_b32_e32 v10, 0x400000, v3
	v_bfe_u32 v11, v2, 16, 1
	s_wait_alu 0xfffd
	v_cndmask_b32_e32 v4, v8, v12, vcc_lo
	v_bfe_u32 v8, v0, 16, 1
	v_cmp_u_f32_e32 vcc_lo, v3, v3
	v_add3_u32 v11, v11, v2, 0x7fff
	v_or_b32_e32 v12, 0x400000, v2
	s_delay_alu instid0(VALU_DEP_4)
	v_add3_u32 v8, v8, v0, 0x7fff
	s_wait_alu 0xfffd
	v_cndmask_b32_e32 v3, v9, v10, vcc_lo
	v_or_b32_e32 v10, 0x400000, v0
	v_cmp_u_f32_e32 vcc_lo, v0, v0
	v_bfe_u32 v9, v1, 16, 1
	s_wait_alu 0xfffd
	s_delay_alu instid0(VALU_DEP_3) | instskip(SKIP_1) | instid1(VALU_DEP_3)
	v_cndmask_b32_e32 v0, v8, v10, vcc_lo
	v_cmp_u_f32_e32 vcc_lo, v2, v2
	v_add3_u32 v9, v9, v1, 0x7fff
	s_wait_alu 0xfffd
	v_cndmask_b32_e32 v2, v11, v12, vcc_lo
	v_cmp_u_f32_e32 vcc_lo, v1, v1
	s_wait_alu 0xfffd
	v_cndmask_b32_e32 v1, v9, v13, vcc_lo
	s_clause 0x7
	global_store_d16_hi_b16 v18, v7, s[0:1] offset:256
	global_store_d16_hi_b16 v18, v6, s[0:1] offset:288
	;; [unrolled: 1-line block ×8, first 2 shown]
.LBB348_110:
	s_nop 0
	s_sendmsg sendmsg(MSG_DEALLOC_VGPRS)
	s_endpgm
.LBB348_111:
	ds_load_b32 v18, v16
	s_wait_dscnt 0x0
	v_add_f32_e32 v15, v15, v18
	s_wait_alu 0xfffe
	s_or_b32 exec_lo, exec_lo, s1
	s_and_saveexec_b32 s1, vcc_lo
	s_cbranch_execz .LBB348_71
.LBB348_112:
	ds_load_b32 v18, v16 offset:64
	s_wait_dscnt 0x0
	v_add_f32_e32 v14, v14, v18
	s_wait_alu 0xfffe
	s_or_b32 exec_lo, exec_lo, s1
	s_and_saveexec_b32 s1, vcc_lo
	s_cbranch_execz .LBB348_72
.LBB348_113:
	ds_load_b32 v18, v16 offset:128
	s_wait_dscnt 0x0
	v_add_f32_e32 v13, v13, v18
	s_wait_alu 0xfffe
	s_or_b32 exec_lo, exec_lo, s1
	s_and_saveexec_b32 s1, vcc_lo
	s_cbranch_execz .LBB348_73
.LBB348_114:
	ds_load_b32 v18, v16 offset:192
	s_wait_dscnt 0x0
	v_add_f32_e32 v12, v12, v18
	s_wait_alu 0xfffe
	s_or_b32 exec_lo, exec_lo, s1
	s_and_saveexec_b32 s1, vcc_lo
	s_cbranch_execz .LBB348_74
.LBB348_115:
	ds_load_b32 v18, v16 offset:256
	s_wait_dscnt 0x0
	v_add_f32_e32 v11, v11, v18
	s_wait_alu 0xfffe
	s_or_b32 exec_lo, exec_lo, s1
	s_and_saveexec_b32 s1, vcc_lo
	s_cbranch_execz .LBB348_75
.LBB348_116:
	ds_load_b32 v18, v16 offset:320
	s_wait_dscnt 0x0
	v_add_f32_e32 v10, v10, v18
	s_wait_alu 0xfffe
	s_or_b32 exec_lo, exec_lo, s1
	s_and_saveexec_b32 s1, vcc_lo
	s_cbranch_execz .LBB348_76
.LBB348_117:
	ds_load_b32 v18, v16 offset:384
	s_wait_dscnt 0x0
	v_add_f32_e32 v9, v9, v18
	s_wait_alu 0xfffe
	s_or_b32 exec_lo, exec_lo, s1
	s_and_saveexec_b32 s1, vcc_lo
	s_cbranch_execz .LBB348_77
.LBB348_118:
	ds_load_b32 v18, v16 offset:448
	s_wait_dscnt 0x0
	v_add_f32_e32 v8, v8, v18
	s_wait_alu 0xfffe
	s_or_b32 exec_lo, exec_lo, s1
	s_and_saveexec_b32 s1, vcc_lo
	s_cbranch_execz .LBB348_78
.LBB348_119:
	ds_load_b32 v18, v16 offset:512
	s_wait_dscnt 0x0
	v_add_f32_e32 v7, v7, v18
	s_wait_alu 0xfffe
	s_or_b32 exec_lo, exec_lo, s1
	s_and_saveexec_b32 s1, vcc_lo
	s_cbranch_execz .LBB348_79
.LBB348_120:
	ds_load_b32 v18, v16 offset:576
	s_wait_dscnt 0x0
	v_add_f32_e32 v6, v6, v18
	s_wait_alu 0xfffe
	s_or_b32 exec_lo, exec_lo, s1
	s_and_saveexec_b32 s1, vcc_lo
	s_cbranch_execz .LBB348_80
.LBB348_121:
	ds_load_b32 v18, v16 offset:640
	s_wait_dscnt 0x0
	v_add_f32_e32 v5, v5, v18
	s_wait_alu 0xfffe
	s_or_b32 exec_lo, exec_lo, s1
	s_and_saveexec_b32 s1, vcc_lo
	s_cbranch_execz .LBB348_81
.LBB348_122:
	ds_load_b32 v18, v16 offset:704
	s_wait_dscnt 0x0
	v_add_f32_e32 v4, v4, v18
	s_wait_alu 0xfffe
	s_or_b32 exec_lo, exec_lo, s1
	s_and_saveexec_b32 s1, vcc_lo
	s_cbranch_execz .LBB348_82
.LBB348_123:
	ds_load_b32 v18, v16 offset:768
	s_wait_dscnt 0x0
	v_add_f32_e32 v3, v3, v18
	s_wait_alu 0xfffe
	s_or_b32 exec_lo, exec_lo, s1
	s_and_saveexec_b32 s1, vcc_lo
	s_cbranch_execz .LBB348_83
.LBB348_124:
	ds_load_b32 v18, v16 offset:832
	s_wait_dscnt 0x0
	v_add_f32_e32 v0, v0, v18
	s_wait_alu 0xfffe
	s_or_b32 exec_lo, exec_lo, s1
	s_and_saveexec_b32 s1, vcc_lo
	s_cbranch_execz .LBB348_84
.LBB348_125:
	ds_load_b32 v18, v16 offset:896
	s_wait_dscnt 0x0
	v_add_f32_e32 v2, v2, v18
	s_wait_alu 0xfffe
	s_or_b32 exec_lo, exec_lo, s1
	s_and_saveexec_b32 s1, vcc_lo
	s_cbranch_execnz .LBB348_85
	s_branch .LBB348_86
.LBB348_126:
	ds_load_b32 v17, v16
	s_wait_dscnt 0x0
	v_add_f32_e32 v15, v15, v17
	s_wait_alu 0xfffe
	s_or_b32 exec_lo, exec_lo, s0
	s_and_saveexec_b32 s0, vcc_lo
	s_cbranch_execz .LBB348_92
.LBB348_127:
	ds_load_b32 v17, v16 offset:64
	s_wait_dscnt 0x0
	v_add_f32_e32 v14, v14, v17
	s_wait_alu 0xfffe
	s_or_b32 exec_lo, exec_lo, s0
	s_and_saveexec_b32 s0, vcc_lo
	s_cbranch_execz .LBB348_93
.LBB348_128:
	ds_load_b32 v17, v16 offset:128
	s_wait_dscnt 0x0
	v_add_f32_e32 v13, v13, v17
	s_wait_alu 0xfffe
	s_or_b32 exec_lo, exec_lo, s0
	s_and_saveexec_b32 s0, vcc_lo
	s_cbranch_execz .LBB348_94
.LBB348_129:
	ds_load_b32 v17, v16 offset:192
	s_wait_dscnt 0x0
	v_add_f32_e32 v12, v12, v17
	s_wait_alu 0xfffe
	s_or_b32 exec_lo, exec_lo, s0
	s_and_saveexec_b32 s0, vcc_lo
	s_cbranch_execz .LBB348_95
.LBB348_130:
	ds_load_b32 v17, v16 offset:256
	s_wait_dscnt 0x0
	v_add_f32_e32 v11, v11, v17
	s_wait_alu 0xfffe
	s_or_b32 exec_lo, exec_lo, s0
	s_and_saveexec_b32 s0, vcc_lo
	s_cbranch_execz .LBB348_96
.LBB348_131:
	ds_load_b32 v17, v16 offset:320
	s_wait_dscnt 0x0
	v_add_f32_e32 v10, v10, v17
	s_wait_alu 0xfffe
	s_or_b32 exec_lo, exec_lo, s0
	s_and_saveexec_b32 s0, vcc_lo
	s_cbranch_execz .LBB348_97
.LBB348_132:
	ds_load_b32 v17, v16 offset:384
	s_wait_dscnt 0x0
	v_add_f32_e32 v9, v9, v17
	s_wait_alu 0xfffe
	s_or_b32 exec_lo, exec_lo, s0
	s_and_saveexec_b32 s0, vcc_lo
	s_cbranch_execz .LBB348_98
.LBB348_133:
	ds_load_b32 v17, v16 offset:448
	s_wait_dscnt 0x0
	v_add_f32_e32 v8, v8, v17
	s_wait_alu 0xfffe
	s_or_b32 exec_lo, exec_lo, s0
	s_and_saveexec_b32 s0, vcc_lo
	s_cbranch_execz .LBB348_99
.LBB348_134:
	ds_load_b32 v17, v16 offset:512
	s_wait_dscnt 0x0
	v_add_f32_e32 v7, v7, v17
	s_wait_alu 0xfffe
	s_or_b32 exec_lo, exec_lo, s0
	s_and_saveexec_b32 s0, vcc_lo
	s_cbranch_execz .LBB348_100
.LBB348_135:
	ds_load_b32 v17, v16 offset:576
	s_wait_dscnt 0x0
	v_add_f32_e32 v6, v6, v17
	s_wait_alu 0xfffe
	s_or_b32 exec_lo, exec_lo, s0
	s_and_saveexec_b32 s0, vcc_lo
	s_cbranch_execz .LBB348_101
.LBB348_136:
	ds_load_b32 v17, v16 offset:640
	s_wait_dscnt 0x0
	v_add_f32_e32 v5, v5, v17
	s_wait_alu 0xfffe
	s_or_b32 exec_lo, exec_lo, s0
	s_and_saveexec_b32 s0, vcc_lo
	s_cbranch_execz .LBB348_102
.LBB348_137:
	ds_load_b32 v17, v16 offset:704
	s_wait_dscnt 0x0
	v_add_f32_e32 v4, v4, v17
	s_wait_alu 0xfffe
	s_or_b32 exec_lo, exec_lo, s0
	s_and_saveexec_b32 s0, vcc_lo
	s_cbranch_execz .LBB348_103
.LBB348_138:
	ds_load_b32 v17, v16 offset:768
	s_wait_dscnt 0x0
	v_add_f32_e32 v3, v3, v17
	s_wait_alu 0xfffe
	s_or_b32 exec_lo, exec_lo, s0
	s_and_saveexec_b32 s0, vcc_lo
	s_cbranch_execz .LBB348_104
.LBB348_139:
	ds_load_b32 v17, v16 offset:832
	s_wait_dscnt 0x0
	v_add_f32_e32 v0, v0, v17
	s_wait_alu 0xfffe
	s_or_b32 exec_lo, exec_lo, s0
	s_and_saveexec_b32 s0, vcc_lo
	s_cbranch_execz .LBB348_105
.LBB348_140:
	ds_load_b32 v17, v16 offset:896
	s_wait_dscnt 0x0
	v_add_f32_e32 v2, v2, v17
	s_wait_alu 0xfffe
	s_or_b32 exec_lo, exec_lo, s0
	s_and_saveexec_b32 s0, vcc_lo
	s_cbranch_execnz .LBB348_106
	s_branch .LBB348_107
	.section	.rodata,"a",@progbits
	.p2align	6, 0x0
	.amdhsa_kernel _ZN4vllm25paged_attention_v2_kernelI14__hip_bfloat16hLi256ELi16ELi128ELNS_18Fp8KVCacheDataTypeE1ELb0ELi512EEEvPfS3_PT_PKS4_PKT0_SA_ifPKiSC_iPKfiiiSE_SE_iiiii
		.amdhsa_group_segment_fixed_size 544
		.amdhsa_private_segment_fixed_size 328
		.amdhsa_kernarg_size 400
		.amdhsa_user_sgpr_count 2
		.amdhsa_user_sgpr_dispatch_ptr 0
		.amdhsa_user_sgpr_queue_ptr 0
		.amdhsa_user_sgpr_kernarg_segment_ptr 1
		.amdhsa_user_sgpr_dispatch_id 0
		.amdhsa_user_sgpr_private_segment_size 0
		.amdhsa_wavefront_size32 1
		.amdhsa_uses_dynamic_stack 0
		.amdhsa_enable_private_segment 1
		.amdhsa_system_sgpr_workgroup_id_x 1
		.amdhsa_system_sgpr_workgroup_id_y 1
		.amdhsa_system_sgpr_workgroup_id_z 1
		.amdhsa_system_sgpr_workgroup_info 0
		.amdhsa_system_vgpr_workitem_id 0
		.amdhsa_next_free_vgpr 192
		.amdhsa_next_free_sgpr 38
		.amdhsa_reserve_vcc 1
		.amdhsa_float_round_mode_32 0
		.amdhsa_float_round_mode_16_64 0
		.amdhsa_float_denorm_mode_32 3
		.amdhsa_float_denorm_mode_16_64 3
		.amdhsa_fp16_overflow 0
		.amdhsa_workgroup_processor_mode 1
		.amdhsa_memory_ordered 1
		.amdhsa_forward_progress 1
		.amdhsa_inst_pref_size 255
		.amdhsa_round_robin_scheduling 0
		.amdhsa_exception_fp_ieee_invalid_op 0
		.amdhsa_exception_fp_denorm_src 0
		.amdhsa_exception_fp_ieee_div_zero 0
		.amdhsa_exception_fp_ieee_overflow 0
		.amdhsa_exception_fp_ieee_underflow 0
		.amdhsa_exception_fp_ieee_inexact 0
		.amdhsa_exception_int_div_zero 0
	.end_amdhsa_kernel
	.section	.text._ZN4vllm25paged_attention_v2_kernelI14__hip_bfloat16hLi256ELi16ELi128ELNS_18Fp8KVCacheDataTypeE1ELb0ELi512EEEvPfS3_PT_PKS4_PKT0_SA_ifPKiSC_iPKfiiiSE_SE_iiiii,"axG",@progbits,_ZN4vllm25paged_attention_v2_kernelI14__hip_bfloat16hLi256ELi16ELi128ELNS_18Fp8KVCacheDataTypeE1ELb0ELi512EEEvPfS3_PT_PKS4_PKT0_SA_ifPKiSC_iPKfiiiSE_SE_iiiii,comdat
.Lfunc_end348:
	.size	_ZN4vllm25paged_attention_v2_kernelI14__hip_bfloat16hLi256ELi16ELi128ELNS_18Fp8KVCacheDataTypeE1ELb0ELi512EEEvPfS3_PT_PKS4_PKT0_SA_ifPKiSC_iPKfiiiSE_SE_iiiii, .Lfunc_end348-_ZN4vllm25paged_attention_v2_kernelI14__hip_bfloat16hLi256ELi16ELi128ELNS_18Fp8KVCacheDataTypeE1ELb0ELi512EEEvPfS3_PT_PKS4_PKT0_SA_ifPKiSC_iPKfiiiSE_SE_iiiii
                                        ; -- End function
	.set _ZN4vllm25paged_attention_v2_kernelI14__hip_bfloat16hLi256ELi16ELi128ELNS_18Fp8KVCacheDataTypeE1ELb0ELi512EEEvPfS3_PT_PKS4_PKT0_SA_ifPKiSC_iPKfiiiSE_SE_iiiii.num_vgpr, 192
	.set _ZN4vllm25paged_attention_v2_kernelI14__hip_bfloat16hLi256ELi16ELi128ELNS_18Fp8KVCacheDataTypeE1ELb0ELi512EEEvPfS3_PT_PKS4_PKT0_SA_ifPKiSC_iPKfiiiSE_SE_iiiii.num_agpr, 0
	.set _ZN4vllm25paged_attention_v2_kernelI14__hip_bfloat16hLi256ELi16ELi128ELNS_18Fp8KVCacheDataTypeE1ELb0ELi512EEEvPfS3_PT_PKS4_PKT0_SA_ifPKiSC_iPKfiiiSE_SE_iiiii.numbered_sgpr, 38
	.set _ZN4vllm25paged_attention_v2_kernelI14__hip_bfloat16hLi256ELi16ELi128ELNS_18Fp8KVCacheDataTypeE1ELb0ELi512EEEvPfS3_PT_PKS4_PKT0_SA_ifPKiSC_iPKfiiiSE_SE_iiiii.num_named_barrier, 0
	.set _ZN4vllm25paged_attention_v2_kernelI14__hip_bfloat16hLi256ELi16ELi128ELNS_18Fp8KVCacheDataTypeE1ELb0ELi512EEEvPfS3_PT_PKS4_PKT0_SA_ifPKiSC_iPKfiiiSE_SE_iiiii.private_seg_size, 328
	.set _ZN4vllm25paged_attention_v2_kernelI14__hip_bfloat16hLi256ELi16ELi128ELNS_18Fp8KVCacheDataTypeE1ELb0ELi512EEEvPfS3_PT_PKS4_PKT0_SA_ifPKiSC_iPKfiiiSE_SE_iiiii.uses_vcc, 1
	.set _ZN4vllm25paged_attention_v2_kernelI14__hip_bfloat16hLi256ELi16ELi128ELNS_18Fp8KVCacheDataTypeE1ELb0ELi512EEEvPfS3_PT_PKS4_PKT0_SA_ifPKiSC_iPKfiiiSE_SE_iiiii.uses_flat_scratch, 1
	.set _ZN4vllm25paged_attention_v2_kernelI14__hip_bfloat16hLi256ELi16ELi128ELNS_18Fp8KVCacheDataTypeE1ELb0ELi512EEEvPfS3_PT_PKS4_PKT0_SA_ifPKiSC_iPKfiiiSE_SE_iiiii.has_dyn_sized_stack, 0
	.set _ZN4vllm25paged_attention_v2_kernelI14__hip_bfloat16hLi256ELi16ELi128ELNS_18Fp8KVCacheDataTypeE1ELb0ELi512EEEvPfS3_PT_PKS4_PKT0_SA_ifPKiSC_iPKfiiiSE_SE_iiiii.has_recursion, 0
	.set _ZN4vllm25paged_attention_v2_kernelI14__hip_bfloat16hLi256ELi16ELi128ELNS_18Fp8KVCacheDataTypeE1ELb0ELi512EEEvPfS3_PT_PKS4_PKT0_SA_ifPKiSC_iPKfiiiSE_SE_iiiii.has_indirect_call, 0
	.section	.AMDGPU.csdata,"",@progbits
; Kernel info:
; codeLenInByte = 41420
; TotalNumSgprs: 40
; NumVgprs: 192
; ScratchSize: 328
; MemoryBound: 0
; FloatMode: 240
; IeeeMode: 1
; LDSByteSize: 544 bytes/workgroup (compile time only)
; SGPRBlocks: 0
; VGPRBlocks: 23
; NumSGPRsForWavesPerEU: 40
; NumVGPRsForWavesPerEU: 192
; Occupancy: 8
; WaveLimiterHint : 1
; COMPUTE_PGM_RSRC2:SCRATCH_EN: 1
; COMPUTE_PGM_RSRC2:USER_SGPR: 2
; COMPUTE_PGM_RSRC2:TRAP_HANDLER: 0
; COMPUTE_PGM_RSRC2:TGID_X_EN: 1
; COMPUTE_PGM_RSRC2:TGID_Y_EN: 1
; COMPUTE_PGM_RSRC2:TGID_Z_EN: 1
; COMPUTE_PGM_RSRC2:TIDIG_COMP_CNT: 0
	.section	.text._ZN4vllm25paged_attention_v2_kernelI14__hip_bfloat16hLi32ELi32ELi128ELNS_18Fp8KVCacheDataTypeE1ELb1ELi512EEEvPfS3_PT_PKS4_PKT0_SA_ifPKiSC_iPKfiiiSE_SE_iiiii,"axG",@progbits,_ZN4vllm25paged_attention_v2_kernelI14__hip_bfloat16hLi32ELi32ELi128ELNS_18Fp8KVCacheDataTypeE1ELb1ELi512EEEvPfS3_PT_PKS4_PKT0_SA_ifPKiSC_iPKfiiiSE_SE_iiiii,comdat
	.protected	_ZN4vllm25paged_attention_v2_kernelI14__hip_bfloat16hLi32ELi32ELi128ELNS_18Fp8KVCacheDataTypeE1ELb1ELi512EEEvPfS3_PT_PKS4_PKT0_SA_ifPKiSC_iPKfiiiSE_SE_iiiii ; -- Begin function _ZN4vllm25paged_attention_v2_kernelI14__hip_bfloat16hLi32ELi32ELi128ELNS_18Fp8KVCacheDataTypeE1ELb1ELi512EEEvPfS3_PT_PKS4_PKT0_SA_ifPKiSC_iPKfiiiSE_SE_iiiii
	.globl	_ZN4vllm25paged_attention_v2_kernelI14__hip_bfloat16hLi32ELi32ELi128ELNS_18Fp8KVCacheDataTypeE1ELb1ELi512EEEvPfS3_PT_PKS4_PKT0_SA_ifPKiSC_iPKfiiiSE_SE_iiiii
	.p2align	8
	.type	_ZN4vllm25paged_attention_v2_kernelI14__hip_bfloat16hLi32ELi32ELi128ELNS_18Fp8KVCacheDataTypeE1ELb1ELi512EEEvPfS3_PT_PKS4_PKT0_SA_ifPKiSC_iPKfiiiSE_SE_iiiii,@function
_ZN4vllm25paged_attention_v2_kernelI14__hip_bfloat16hLi32ELi32ELi128ELNS_18Fp8KVCacheDataTypeE1ELb1ELi512EEEvPfS3_PT_PKS4_PKT0_SA_ifPKiSC_iPKfiiiSE_SE_iiiii: ; @_ZN4vllm25paged_attention_v2_kernelI14__hip_bfloat16hLi32ELi32ELi128ELNS_18Fp8KVCacheDataTypeE1ELb1ELi512EEEvPfS3_PT_PKS4_PKT0_SA_ifPKiSC_iPKfiiiSE_SE_iiiii
; %bb.0:
	s_load_b64 s[2:3], s[0:1], 0x40
	s_and_b32 s47, ttmp7, 0xffff
	s_lshr_b32 s33, ttmp7, 16
	s_lshl_b32 s4, s47, 2
	s_lshl_b32 s49, s33, 9
	s_wait_kmcnt 0x0
	s_load_b32 s46, s[2:3], s4 offset:0x0
	s_wait_kmcnt 0x0
	s_cmp_ge_i32 s49, s46
	s_cbranch_scc1 .LBB349_68
; %bb.1:
	s_clause 0x1
	s_load_b32 s48, s[0:1], 0x90
	s_load_b64 s[22:23], s[0:1], 0x30
	s_wait_kmcnt 0x0
	s_abs_i32 s5, s48
	s_abs_i32 s2, s22
	s_delay_alu instid0(SALU_CYCLE_1) | instskip(SKIP_1) | instid1(SALU_CYCLE_2)
	s_cvt_f32_u32 s3, s2
	s_sub_co_i32 s4, 0, s2
	v_rcp_iflag_f32_e32 v1, s3
	s_delay_alu instid0(TRANS32_DEP_1) | instskip(SKIP_2) | instid1(SALU_CYCLE_2)
	v_readfirstlane_b32 s3, v1
	s_mul_f32 s3, s3, 0x4f7ffffe
	s_wait_alu 0xfffe
	s_cvt_u32_f32 s3, s3
	s_wait_alu 0xfffe
	s_delay_alu instid0(SALU_CYCLE_2) | instskip(NEXT) | instid1(SALU_CYCLE_1)
	s_mul_i32 s4, s4, s3
	s_mul_hi_u32 s4, s3, s4
	s_delay_alu instid0(SALU_CYCLE_1)
	s_add_co_i32 s3, s3, s4
	s_xor_b32 s4, s48, s22
	s_wait_alu 0xfffe
	s_mul_hi_u32 s3, s5, s3
	s_ashr_i32 s4, s4, 31
	s_wait_alu 0xfffe
	s_mul_i32 s6, s3, s2
	s_delay_alu instid0(SALU_CYCLE_1)
	s_sub_co_i32 s5, s5, s6
	s_add_co_i32 s6, s3, 1
	s_sub_co_i32 s7, s5, s2
	s_cmp_ge_u32 s5, s2
	s_cselect_b32 s3, s6, s3
	s_cselect_b32 s5, s7, s5
	s_wait_alu 0xfffe
	s_add_co_i32 s6, s3, 1
	s_cmp_ge_u32 s5, s2
	s_cselect_b32 s2, s6, s3
	s_load_b64 s[6:7], s[0:1], 0x50
	s_xor_b32 s2, s2, s4
	s_mov_b32 s3, 0
	s_wait_alu 0xfffe
	s_sub_co_i32 s9, s2, s4
	s_mov_b32 s52, s3
	s_abs_i32 s8, s9
	s_delay_alu instid0(SALU_CYCLE_1) | instskip(SKIP_1) | instid1(SALU_CYCLE_2)
	s_cvt_f32_u32 s2, s8
	s_wait_alu 0xfffe
	v_rcp_iflag_f32_e32 v1, s2
	s_delay_alu instid0(TRANS32_DEP_1) | instskip(SKIP_2) | instid1(SALU_CYCLE_2)
	v_readfirstlane_b32 s2, v1
	s_mul_f32 s2, s2, 0x4f7ffffe
	s_wait_alu 0xfffe
	s_cvt_u32_f32 s4, s2
	s_sub_co_i32 s2, 0, s8
	s_wait_alu 0xfffe
	s_delay_alu instid0(SALU_CYCLE_1)
	s_mul_i32 s2, s2, s4
	s_wait_alu 0xfffe
	s_mul_hi_u32 s5, s4, s2
	s_abs_i32 s2, ttmp9
	s_add_co_i32 s4, s4, s5
	s_mov_b32 s5, s3
	s_wait_kmcnt 0x0
	s_cmp_eq_u64 s[6:7], 0
	s_cbranch_scc1 .LBB349_3
; %bb.2:
	s_mov_b32 s10, ttmp9
	s_ashr_i32 s11, ttmp9, 31
	s_delay_alu instid0(SALU_CYCLE_1) | instskip(NEXT) | instid1(SALU_CYCLE_1)
	s_lshl_b64 s[10:11], s[10:11], 2
	s_add_nc_u64 s[6:7], s[6:7], s[10:11]
	s_load_b32 s52, s[6:7], 0x0
.LBB349_3:
	s_load_b96 s[36:38], s[0:1], 0x58
	s_mul_u64 s[4:5], s[2:3], s[4:5]
	s_ashr_i32 s3, ttmp9, 31
	s_ashr_i32 s4, s9, 31
	s_lshl_b32 s34, ttmp9, 5
	s_mov_b32 s6, exec_lo
	v_cmpx_gt_u32_e32 4, v0
	s_cbranch_execz .LBB349_5
; %bb.4:
	s_load_b64 s[10:11], s[0:1], 0x18
	s_wait_kmcnt 0x0
	s_mul_i32 s12, s36, s47
	s_ashr_i32 s35, s34, 31
	s_ashr_i32 s13, s12, 31
	v_lshlrev_b32_e32 v5, 4, v0
	s_lshl_b64 s[12:13], s[12:13], 1
	s_delay_alu instid0(SALU_CYCLE_1) | instskip(SKIP_1) | instid1(SALU_CYCLE_1)
	s_add_nc_u64 s[10:11], s[10:11], s[12:13]
	s_lshl_b64 s[12:13], s[34:35], 1
	s_add_nc_u64 s[10:11], s[10:11], s[12:13]
	global_load_b128 v[1:4], v5, s[10:11]
	s_wait_loadcnt 0x0
	ds_store_b128 v5, v[1:4]
.LBB349_5:
	s_or_b32 exec_lo, exec_lo, s6
	s_clause 0x1
	s_load_b128 s[28:31], s[0:1], 0x78
	s_load_b32 s7, s[0:1], 0x88
	s_mul_i32 s6, s5, s8
	s_xor_b32 s3, s3, s4
	s_sub_co_i32 s2, s2, s6
	s_add_co_i32 s4, s5, 1
	s_wait_alu 0xfffe
	s_sub_co_i32 s6, s2, s8
	s_cmp_ge_u32 s2, s8
	s_mov_b32 s9, -1
	s_cselect_b32 s4, s4, s5
	s_cselect_b32 s2, s6, s2
	s_add_co_i32 s5, s4, 1
	s_wait_alu 0xfffe
	s_cmp_ge_u32 s2, s8
	s_wait_dscnt 0x0
	s_cselect_b32 s2, s5, s4
	s_add_co_i32 s8, s46, -1
	s_wait_alu 0xfffe
	s_xor_b32 s2, s2, s3
	s_barrier_signal -1
	s_wait_alu 0xfffe
	s_sub_co_i32 s6, s2, s3
	s_barrier_wait -1
	s_wait_kmcnt 0x0
	s_abs_i32 s35, s31
	global_inv scope:SCOPE_SE
	s_cvt_f32_u32 s4, s35
                                        ; implicit-def: $sgpr36
	s_delay_alu instid0(SALU_CYCLE_3) | instskip(NEXT) | instid1(TRANS32_DEP_1)
	v_rcp_iflag_f32_e32 v1, s4
	v_readfirstlane_b32 s4, v1
	s_mul_f32 s2, s4, 0x4f7ffffe
	s_wait_alu 0xfffe
	s_delay_alu instid0(SALU_CYCLE_2) | instskip(SKIP_2) | instid1(SALU_CYCLE_1)
	s_cvt_u32_f32 s4, s2
	s_sub_co_i32 s2, 0, s35
	s_wait_alu 0xfffe
	s_mul_i32 s3, s2, s4
	s_abs_i32 s2, s8
	s_wait_alu 0xfffe
	s_mul_hi_u32 s5, s4, s3
	s_mov_b32 s3, 0
	s_wait_alu 0xfffe
	s_add_co_i32 s40, s4, s5
	s_cmp_lt_i32 s7, 0
	s_mov_b32 s41, s3
	s_cbranch_scc0 .LBB349_7
; %bb.6:
	s_mul_i32 s4, s28, s22
	s_mov_b32 s9, s3
	s_wait_alu 0xfffe
	s_add_co_i32 s4, s6, s4
	s_wait_alu 0xfffe
	s_mul_i32 s4, s4, s7
	s_wait_alu 0xfffe
	s_sub_co_i32 s36, 1, s4
.LBB349_7:
	s_mul_u64 s[4:5], s[2:3], s[40:41]
	s_ashr_i32 s3, s8, 31
	s_and_not1_b32 vcc_lo, exec_lo, s9
	s_ashr_i32 s31, s31, 31
	s_cbranch_vccnz .LBB349_9
; %bb.8:
	s_mul_i32 s4, s48, s28
	s_wait_alu 0xfffe
	s_add_co_i32 s4, s4, ttmp9
	s_wait_alu 0xfffe
	s_mul_i32 s4, s4, s7
	s_wait_alu 0xfffe
	s_add_co_i32 s36, s4, 1
.LBB349_9:
	s_clause 0x3
	s_load_b32 s4, s[0:1], 0x48
	s_load_b64 s[42:43], s[0:1], 0x38
	s_load_b32 s28, s[0:1], 0x98
	s_load_b128 s[24:27], s[0:1], 0x68
	s_mul_i32 s7, s5, s35
	s_xor_b32 s3, s3, s31
	s_sub_co_i32 s2, s2, s7
	s_add_co_i32 s8, s5, 1
	v_lshrrev_b32_e32 v15, 5, v0
	v_dual_mov_b32 v29, 0xff7fffff :: v_dual_and_b32 v16, 31, v0
	s_mul_i32 s38, s6, s38
	s_delay_alu instid0(VALU_DEP_2) | instskip(NEXT) | instid1(VALU_DEP_2)
	v_lshl_add_u32 v17, v15, 5, s49
	v_lshlrev_b32_e32 v10, 2, v16
	s_wait_kmcnt 0x0
	s_mul_i32 s44, s4, s47
	s_wait_alu 0xfffe
	s_sub_co_i32 s4, s2, s35
	s_ashr_i32 s45, s44, 31
	s_cmp_ge_u32 s2, s35
	s_cselect_b32 s5, s8, s5
	s_wait_alu 0xfffe
	s_cselect_b32 s2, s4, s2
	s_add_co_i32 s4, s5, 1
	s_wait_alu 0xfffe
	s_cmp_ge_u32 s2, s35
	s_cselect_b32 s2, s4, s5
	s_add_co_i32 s4, s46, 31
	s_lshl_b32 s53, s33, 4
	s_wait_alu 0xfffe
	s_ashr_i32 s5, s4, 31
	v_add_nc_u32_e32 v18, s53, v15
	s_wait_alu 0xfffe
	s_lshr_b32 s5, s5, 27
	s_wait_alu 0xfffe
	s_add_co_i32 s4, s4, s5
	s_add_co_i32 s5, s53, 16
	s_wait_alu 0xfffe
	s_ashr_i32 s50, s4, 5
	s_xor_b32 s4, s2, s3
	s_min_i32 s41, s5, s50
	v_lshlrev_b32_e32 v9, 2, v18
	v_cmp_gt_i32_e64 s2, s41, v18
	s_wait_alu 0xfffe
	s_sub_co_i32 s51, s4, s3
	s_and_saveexec_b32 s54, s2
	s_cbranch_execz .LBB349_17
; %bb.10:
	s_load_b64 s[4:5], s[0:1], 0x20
	v_dual_mov_b32 v5, 0 :: v_dual_lshlrev_b32 v6, 4, v16
	s_sub_co_i32 s55, s51, s29
	s_ashr_i32 s39, s38, 31
	s_cmp_neq_f32 s52, 0
	ds_load_b128 v[1:4], v5
	ds_load_b128 v[26:29], v5 offset:16
	ds_load_b128 v[36:39], v5 offset:32
	;; [unrolled: 1-line block ×3, first 2 shown]
	s_cselect_b32 vcc_lo, -1, 0
	v_lshl_add_u32 v48, v15, 5, s49
	s_mov_b32 s56, s37
	s_mov_b32 s57, 0
	v_dual_mov_b32 v51, 0xff7fffff :: v_dual_mov_b32 v52, v18
	s_wait_kmcnt 0x0
	s_add_nc_u64 s[4:5], s[4:5], s[38:39]
	s_abs_i32 s39, s30
	s_wait_alu 0xfffe
	v_add_co_u32 v5, s3, s4, v6
	s_wait_alu 0xf1ff
	v_add_co_ci_u32_e64 v6, null, s5, 0, s3
	s_cvt_f32_u32 s3, s39
	s_wait_dscnt 0x3
	v_lshlrev_b32_e32 v11, 16, v1
	v_and_b32_e32 v12, 0xffff0000, v1
	s_lshl_b64 s[4:5], s[44:45], 2
	s_wait_alu 0xfffe
	v_rcp_iflag_f32_e32 v1, s3
	v_lshlrev_b32_e32 v13, 16, v2
	v_and_b32_e32 v14, 0xffff0000, v2
	v_lshl_or_b32 v2, v15, 7, v10
	s_add_nc_u64 s[4:5], s[42:43], s[4:5]
	s_sub_co_i32 s6, 0, s39
	s_wait_alu 0xfffe
	v_add_co_u32 v7, s4, s4, v9
	v_lshlrev_b32_e32 v19, 16, v3
	v_and_b32_e32 v20, 0xffff0000, v3
	v_readfirstlane_b32 s3, v1
	v_subrev_nc_u32_e32 v1, s46, v16
	v_lshlrev_b32_e32 v21, 16, v4
	v_and_b32_e32 v22, 0xffff0000, v4
	s_wait_dscnt 0x2
	v_lshlrev_b32_e32 v23, 16, v26
	s_mul_f32 s3, s3, 0x4f7ffffe
	v_and_b32_e32 v24, 0xffff0000, v26
	v_lshlrev_b32_e32 v25, 16, v27
	v_and_b32_e32 v26, 0xffff0000, v27
	s_wait_alu 0xfffe
	s_cvt_u32_f32 s3, s3
	v_lshlrev_b32_e32 v27, 16, v28
	v_and_b32_e32 v28, 0xffff0000, v28
	v_lshlrev_b32_e32 v30, 16, v29
	s_wait_alu 0xfffe
	s_mul_i32 s6, s6, s3
	v_and_b32_e32 v31, 0xffff0000, v29
	s_wait_dscnt 0x1
	v_dual_mov_b32 v29, 0xff7fffff :: v_dual_lshlrev_b32 v32, 16, v36
	v_and_b32_e32 v33, 0xffff0000, v36
	v_lshlrev_b32_e32 v34, 16, v37
	v_and_b32_e32 v35, 0xffff0000, v37
	v_lshlrev_b32_e32 v36, 16, v38
	;; [unrolled: 2-line block ×3, first 2 shown]
	v_and_b32_e32 v39, 0xffff0000, v39
	s_wait_dscnt 0x0
	v_lshlrev_b32_e32 v40, 16, v44
	v_and_b32_e32 v41, 0xffff0000, v44
	v_lshlrev_b32_e32 v42, 16, v45
	v_and_b32_e32 v43, 0xffff0000, v45
	;; [unrolled: 2-line block ×4, first 2 shown]
	v_add_co_ci_u32_e64 v8, null, s5, 0, s4
	v_add_nc_u32_e32 v49, 1, v1
	v_add_nc_u32_e32 v50, 0x60, v2
	s_mul_hi_u32 s4, s3, s6
	s_wait_alu 0xfffe
	s_add_co_i32 s58, s3, s4
	s_branch .LBB349_12
.LBB349_11:                             ;   in Loop: Header=BB349_12 Depth=1
	s_wait_alu 0xfffe
	s_or_b32 exec_lo, exec_lo, s59
	v_add_nc_u32_e32 v52, 4, v52
	v_add_co_u32 v7, s4, v7, 16
	s_wait_alu 0xf1ff
	v_add_co_ci_u32_e64 v8, null, 0, v8, s4
	s_delay_alu instid0(VALU_DEP_3)
	v_cmp_le_i32_e64 s3, s41, v52
	v_add_nc_u32_e32 v48, 0x80, v48
	v_add_nc_u32_e32 v50, 0x200, v50
	s_or_b32 s57, s3, s57
	s_wait_alu 0xfffe
	s_and_not1_b32 exec_lo, exec_lo, s57
	s_cbranch_execz .LBB349_16
.LBB349_12:                             ; =>This Inner Loop Header: Depth=1
	v_sub_nc_u32_e32 v1, 0, v48
	s_delay_alu instid0(VALU_DEP_1) | instskip(NEXT) | instid1(VALU_DEP_1)
	v_max_i32_e32 v1, v48, v1
	v_mul_hi_u32 v2, v1, s40
	s_delay_alu instid0(VALU_DEP_1) | instskip(NEXT) | instid1(VALU_DEP_1)
	v_mul_lo_u32 v3, v2, s35
	v_sub_nc_u32_e32 v1, v1, v3
	v_add_nc_u32_e32 v3, 1, v2
	s_delay_alu instid0(VALU_DEP_2) | instskip(SKIP_2) | instid1(VALU_DEP_1)
	v_subrev_nc_u32_e32 v4, s35, v1
	v_cmp_le_u32_e64 s3, s35, v1
	s_wait_alu 0xf1ff
	v_cndmask_b32_e64 v2, v2, v3, s3
	s_delay_alu instid0(VALU_DEP_3) | instskip(SKIP_1) | instid1(VALU_DEP_3)
	v_cndmask_b32_e64 v1, v1, v4, s3
	v_ashrrev_i32_e32 v3, 31, v48
	v_add_nc_u32_e32 v4, 1, v2
	s_delay_alu instid0(VALU_DEP_3) | instskip(NEXT) | instid1(VALU_DEP_3)
	v_cmp_le_u32_e64 s3, s35, v1
	v_xor_b32_e32 v3, s31, v3
	s_wait_alu 0xf1ff
	s_delay_alu instid0(VALU_DEP_2) | instskip(NEXT) | instid1(VALU_DEP_1)
	v_cndmask_b32_e64 v1, v2, v4, s3
	v_xor_b32_e32 v1, v1, v3
	s_delay_alu instid0(VALU_DEP_1) | instskip(NEXT) | instid1(VALU_DEP_1)
	v_sub_nc_u32_e32 v1, v1, v3
	v_add_nc_u32_e32 v2, s36, v1
	v_cmp_ge_i32_e64 s4, s55, v1
	s_delay_alu instid0(VALU_DEP_2) | instskip(NEXT) | instid1(VALU_DEP_1)
	v_sub_nc_u32_e32 v3, 0, v2
	v_max_i32_e32 v3, v2, v3
	v_ashrrev_i32_e32 v2, 31, v2
	s_delay_alu instid0(VALU_DEP_2) | instskip(NEXT) | instid1(VALU_DEP_1)
	v_mul_hi_u32 v4, v3, s58
	v_mul_lo_u32 v4, v4, s39
	s_delay_alu instid0(VALU_DEP_1) | instskip(NEXT) | instid1(VALU_DEP_1)
	v_sub_nc_u32_e32 v3, v3, v4
	v_subrev_nc_u32_e32 v4, s39, v3
	v_cmp_le_u32_e64 s3, s39, v3
	s_wait_alu 0xf1ff
	s_delay_alu instid0(VALU_DEP_1) | instskip(NEXT) | instid1(VALU_DEP_1)
	v_cndmask_b32_e64 v3, v3, v4, s3
	v_subrev_nc_u32_e32 v4, s39, v3
	v_cmp_le_u32_e64 s3, s39, v3
	s_wait_alu 0xf1ff
	s_delay_alu instid0(VALU_DEP_1) | instskip(NEXT) | instid1(VALU_DEP_1)
	v_cndmask_b32_e64 v3, v3, v4, s3
	v_xor_b32_e32 v3, v3, v2
	s_delay_alu instid0(VALU_DEP_1) | instskip(NEXT) | instid1(VALU_DEP_1)
	v_sub_nc_u32_e32 v2, v3, v2
	v_cmp_ne_u32_e64 s3, 0, v2
	s_and_b32 s3, s3, s4
	s_wait_alu 0xfffe
	s_and_saveexec_b32 s4, s3
	s_wait_alu 0xfffe
	s_xor_b32 s3, exec_lo, s4
; %bb.13:                               ;   in Loop: Header=BB349_12 Depth=1
	ds_store_b32 v50, v51
; %bb.14:                               ;   in Loop: Header=BB349_12 Depth=1
	s_wait_alu 0xfffe
	s_and_not1_saveexec_b32 s59, s3
	s_cbranch_execz .LBB349_11
; %bb.15:                               ;   in Loop: Header=BB349_12 Depth=1
	global_load_b32 v1, v[7:8], off
	s_wait_loadcnt 0x0
	v_mad_co_i64_i32 v[53:54], null, v1, s56, v[5:6]
	s_clause 0x1
	global_load_b128 v[1:4], v[53:54], off
	global_load_b128 v[53:56], v[53:54], off offset:512
	s_load_b32 s60, s[24:25], 0x0
	s_wait_loadcnt 0x1
	v_bfe_u32 v62, v2, 16, 8
	v_bfe_u32 v58, v1, 8, 8
	;; [unrolled: 1-line block ×5, first 2 shown]
	v_cvt_f32_fp8_e32 v62, v62
	v_and_b32_e32 v57, 0xff, v1
	v_lshrrev_b32_e32 v1, 24, v1
	v_cvt_f32_fp8_e32 v61, v61
	v_and_b32_e32 v66, 0xff, v4
	v_bfe_u32 v65, v3, 16, 8
	v_bfe_u32 v67, v4, 8, 8
	v_cvt_f32_fp8_e32 v1, v1
	v_and_b32_e32 v60, 0xff, v2
	v_lshrrev_b32_e32 v2, 24, v2
	v_bfe_u32 v68, v4, 16, 8
	v_lshrrev_b32_e32 v4, 24, v4
	s_wait_loadcnt 0x0
	v_bfe_u32 v71, v53, 16, 8
	v_cvt_f32_fp8_e32 v64, v64
	v_cvt_f32_fp8_e32 v2, v2
	v_and_b32_e32 v63, 0xff, v3
	v_lshrrev_b32_e32 v3, 24, v3
	s_wait_kmcnt 0x0
	v_dual_mul_f32 v64, s60, v64 :: v_dual_and_b32 v69, 0xff, v53
	v_mul_f32_e32 v61, s60, v61
	v_cvt_f32_fp8_e32 v66, v66
	v_mul_f32_e32 v2, s60, v2
	v_cvt_f32_fp8_e32 v63, v63
	v_bfe_u32 v70, v53, 8, 8
	v_lshrrev_b32_e32 v53, 24, v53
	v_and_b32_e32 v72, 0xff, v54
	v_bfe_u32 v73, v54, 8, 8
	v_dual_mul_f32 v66, s60, v66 :: v_dual_and_b32 v75, 0xff, v55
	v_cvt_f32_fp8_e32 v65, v65
	v_cvt_f32_fp8_e32 v3, v3
	;; [unrolled: 1-line block ×7, first 2 shown]
	v_dual_mul_f32 v1, s60, v1 :: v_dual_mul_f32 v62, s60, v62
	v_mul_f32_e32 v63, s60, v63
	v_bfe_u32 v74, v54, 16, 8
	v_dual_mul_f32 v65, s60, v65 :: v_dual_and_b32 v78, 0xff, v56
	v_cvt_f32_fp8_e32 v70, v70
	v_cvt_f32_fp8_e32 v53, v53
	;; [unrolled: 1-line block ×4, first 2 shown]
	v_dual_mul_f32 v3, s60, v3 :: v_dual_mul_f32 v68, s60, v68
	v_dual_mul_f32 v67, s60, v67 :: v_dual_mul_f32 v4, s60, v4
	;; [unrolled: 1-line block ×4, first 2 shown]
	v_bfe_u32 v81, v1, 16, 1
	v_bfe_u32 v85, v62, 16, 1
	;; [unrolled: 1-line block ×4, first 2 shown]
	v_cvt_f32_fp8_e32 v74, v74
	v_mul_f32_e32 v53, s60, v53
	v_or_b32_e32 v82, 0x400000, v1
	v_or_b32_e32 v86, 0x400000, v62
	v_bfe_u32 v87, v2, 16, 1
	v_or_b32_e32 v90, 0x400000, v63
	v_bfe_u32 v91, v64, 16, 1
	v_bfe_u32 v93, v65, 16, 1
	;; [unrolled: 1-line block ×3, first 2 shown]
	v_or_b32_e32 v98, 0x400000, v66
	v_add3_u32 v81, v81, v1, 0x7fff
	v_cmp_u_f32_e64 s3, v1, v1
	v_bfe_u32 v1, v68, 16, 1
	v_add3_u32 v85, v85, v62, 0x7fff
	v_cmp_u_f32_e64 s5, v62, v62
	v_bfe_u32 v62, v4, 16, 1
	;; [unrolled: 3-line block ×4, first 2 shown]
	v_cvt_f32_fp8_e32 v58, v58
	v_dual_mul_f32 v73, s60, v73 :: v_dual_mul_f32 v74, s60, v74
	v_bfe_u32 v83, v61, 16, 1
	v_or_b32_e32 v88, 0x400000, v2
	v_or_b32_e32 v92, 0x400000, v64
	;; [unrolled: 1-line block ×4, first 2 shown]
	v_bfe_u32 v99, v67, 16, 1
	v_add3_u32 v87, v87, v2, 0x7fff
	v_cmp_u_f32_e64 s6, v2, v2
	v_or_b32_e32 v2, 0x400000, v68
	v_add3_u32 v91, v91, v64, 0x7fff
	v_cmp_u_f32_e64 s8, v64, v64
	v_or_b32_e32 v64, 0x400000, v4
	v_add3_u32 v93, v93, v65, 0x7fff
	v_cmp_u_f32_e64 s9, v65, v65
	v_bfe_u32 v65, v70, 16, 1
	v_add3_u32 v95, v95, v3, 0x7fff
	v_cmp_u_f32_e64 s10, v3, v3
	v_or_b32_e32 v3, 0x400000, v69
	v_add3_u32 v1, v1, v68, 0x7fff
	v_cmp_u_f32_e64 s13, v68, v68
	v_bfe_u32 v68, v53, 16, 1
	;; [unrolled: 6-line block ×3, first 2 shown]
	v_add3_u32 v66, v66, v71, 0x7fff
	v_cmp_u_f32_e64 s17, v71, v71
	v_cvt_f32_fp8_e32 v57, v57
	v_mul_f32_e32 v58, s60, v58
	v_bfe_u32 v71, v73, 16, 1
	v_or_b32_e32 v84, 0x400000, v61
	v_add3_u32 v83, v83, v61, 0x7fff
	v_cmp_u_f32_e64 s4, v61, v61
	v_or_b32_e32 v61, 0x400000, v67
	v_add3_u32 v99, v99, v67, 0x7fff
	v_cmp_u_f32_e64 s12, v67, v67
	;; [unrolled: 3-line block ×6, first 2 shown]
	v_bfe_u32 v73, v74, 16, 1
	v_cvt_f32_fp8_e32 v60, v60
	v_mul_f32_e32 v57, s60, v57
	v_or_b32_e32 v100, 0x400000, v74
	v_cmp_u_f32_e64 s21, v74, v74
	v_add3_u32 v73, v73, v74, 0x7fff
	v_mul_f32_e32 v60, s60, v60
	v_bfe_u32 v74, v57, 16, 1
	v_or_b32_e32 v101, 0x400000, v57
	v_cmp_u_f32_e64 s22, v57, v57
	v_lshrrev_b32_e32 v54, 24, v54
	v_cvt_f32_fp8_e32 v59, v59
	v_add3_u32 v74, v74, v57, 0x7fff
	v_bfe_u32 v76, v55, 8, 8
	v_cvt_f32_fp8_e32 v75, v75
	v_cvt_f32_fp8_e32 v54, v54
	v_mul_f32_e32 v59, s60, v59
	s_wait_alu 0xf1ff
	v_cndmask_b32_e64 v57, v74, v101, s22
	v_bfe_u32 v74, v58, 16, 1
	v_or_b32_e32 v101, 0x400000, v58
	v_cmp_u_f32_e64 s22, v58, v58
	v_mul_f32_e32 v54, s60, v54
	v_bfe_u32 v77, v55, 16, 8
	v_add3_u32 v74, v74, v58, 0x7fff
	v_cvt_f32_fp8_e32 v76, v76
	v_mul_f32_e32 v75, s60, v75
	v_lshrrev_b32_e32 v55, 24, v55
	v_bfe_u32 v80, v56, 16, 8
	s_wait_alu 0xf1ff
	v_cndmask_b32_e64 v58, v74, v101, s22
	v_bfe_u32 v74, v59, 16, 1
	v_or_b32_e32 v101, 0x400000, v59
	v_cmp_u_f32_e64 s22, v59, v59
	v_cvt_f32_fp8_e32 v77, v77
	v_mul_f32_e32 v76, s60, v76
	v_add3_u32 v74, v74, v59, 0x7fff
	v_bfe_u32 v79, v56, 8, 8
	v_lshrrev_b32_e32 v56, 24, v56
	v_cvt_f32_fp8_e32 v55, v55
	v_cvt_f32_fp8_e32 v80, v80
	s_wait_alu 0xf1ff
	v_cndmask_b32_e64 v59, v74, v101, s22
	v_cndmask_b32_e64 v74, v81, v82, s3
	v_bfe_u32 v81, v60, 16, 1
	v_or_b32_e32 v82, 0x400000, v60
	v_cmp_u_f32_e64 s3, v60, v60
	v_dual_mul_f32 v77, s60, v77 :: v_dual_mul_f32 v80, s60, v80
	s_delay_alu instid0(VALU_DEP_4)
	v_add3_u32 v81, v81, v60, 0x7fff
	v_cvt_f32_fp8_e32 v78, v78
	v_cvt_f32_fp8_e32 v56, v56
	v_mul_f32_e32 v55, s60, v55
	v_cvt_f32_fp8_e32 v79, v79
	s_wait_alu 0xf1ff
	v_cndmask_b32_e64 v60, v81, v82, s3
	v_cndmask_b32_e64 v82, v83, v84, s4
	v_bfe_u32 v83, v54, 16, 1
	v_cndmask_b32_e64 v84, v85, v86, s5
	v_bfe_u32 v85, v75, 16, 1
	v_cndmask_b32_e64 v86, v87, v88, s6
	v_or_b32_e32 v87, 0x400000, v54
	v_add3_u32 v83, v83, v54, 0x7fff
	v_cmp_u_f32_e64 s3, v54, v54
	v_cndmask_b32_e64 v88, v89, v90, s7
	v_bfe_u32 v89, v76, 16, 1
	v_cndmask_b32_e64 v90, v91, v92, s8
	v_or_b32_e32 v91, 0x400000, v75
	v_add3_u32 v85, v85, v75, 0x7fff
	s_wait_alu 0xf1ff
	v_cndmask_b32_e64 v54, v83, v87, s3
	v_cmp_u_f32_e64 s3, v75, v75
	v_cndmask_b32_e64 v92, v93, v94, s9
	v_bfe_u32 v93, v77, 16, 1
	v_cndmask_b32_e64 v94, v95, v96, s10
	v_or_b32_e32 v95, 0x400000, v76
	v_add3_u32 v89, v89, v76, 0x7fff
	s_wait_alu 0xf1ff
	v_cndmask_b32_e64 v75, v85, v91, s3
	v_cmp_u_f32_e64 s3, v76, v76
	v_dual_mul_f32 v78, s60, v78 :: v_dual_add_nc_u32 v81, v49, v48
	v_mul_f32_e32 v56, s60, v56
	v_cndmask_b32_e64 v96, v97, v98, s11
	v_bfe_u32 v97, v55, 16, 1
	v_or_b32_e32 v98, 0x400000, v77
	v_add3_u32 v93, v93, v77, 0x7fff
	s_wait_alu 0xf1ff
	v_cndmask_b32_e64 v76, v89, v95, s3
	v_cmp_u_f32_e64 s3, v77, v77
	v_dual_mul_f32 v79, s60, v79 :: v_dual_and_b32 v58, 0xffff0000, v58
	v_cndmask_b32_e64 v1, v1, v2, s13
	v_bfe_u32 v2, v78, 16, 1
	v_cndmask_b32_e64 v62, v62, v64, s14
	v_or_b32_e32 v64, 0x400000, v55
	v_add3_u32 v97, v97, v55, 0x7fff
	s_wait_alu 0xf1ff
	v_cndmask_b32_e64 v77, v93, v98, s3
	v_cmp_u_f32_e64 s3, v55, v55
	v_cndmask_b32_e64 v3, v63, v3, s15
	v_bfe_u32 v63, v79, 16, 1
	v_cndmask_b32_e64 v65, v65, v67, s16
	v_or_b32_e32 v67, 0x400000, v78
	v_add3_u32 v2, v2, v78, 0x7fff
	s_wait_alu 0xf1ff
	v_cndmask_b32_e64 v55, v97, v64, s3
	v_cmp_u_f32_e64 s3, v78, v78
	v_cndmask_b32_e64 v4, v66, v4, s17
	v_bfe_u32 v66, v80, 16, 1
	v_cndmask_b32_e64 v68, v68, v70, s18
	v_or_b32_e32 v70, 0x400000, v79
	v_add3_u32 v63, v63, v79, 0x7fff
	s_wait_alu 0xf1ff
	v_cndmask_b32_e64 v2, v2, v67, s3
	v_cmp_u_f32_e64 s3, v79, v79
	v_cndmask_b32_e64 v53, v69, v53, s19
	v_cndmask_b32_e64 v71, v71, v72, s20
	v_or_b32_e32 v72, 0x400000, v80
	v_add3_u32 v66, v66, v80, 0x7fff
	s_wait_alu 0xf1ff
	v_cndmask_b32_e64 v63, v63, v70, s3
	v_cmp_u_f32_e64 s3, v80, v80
	v_and_b32_e32 v80, 0xffff0000, v96
	v_cndmask_b32_e64 v61, v99, v61, s12
	v_bfe_u32 v69, v56, 16, 1
	v_and_b32_e32 v68, 0xffff0000, v68
	s_wait_alu 0xf1ff
	v_cndmask_b32_e64 v64, v66, v72, s3
	v_and_b32_e32 v66, 0xffff0000, v74
	v_and_b32_e32 v53, 0xffff0000, v53
	;; [unrolled: 1-line block ×4, first 2 shown]
	v_cndmask_b32_e64 v73, v73, v100, s21
	v_or_b32_e32 v99, 0x400000, v56
	v_add3_u32 v69, v69, v56, 0x7fff
	v_mul_f32_e32 v74, v24, v74
	v_and_b32_e32 v79, 0xffff0000, v94
	v_and_b32_e32 v61, 0xffff0000, v61
	;; [unrolled: 1-line block ×3, first 2 shown]
	v_cmp_u_f32_e64 s3, v56, v56
	v_fmac_f32_e32 v74, v12, v58
	v_mul_f32_e32 v58, v26, v79
	s_delay_alu instid0(VALU_DEP_4) | instskip(SKIP_3) | instid1(VALU_DEP_4)
	v_dual_mul_f32 v1, v30, v1 :: v_dual_and_b32 v72, 0xffff0000, v88
	v_and_b32_e32 v57, 0xffff0000, v57
	v_and_b32_e32 v62, 0xffff0000, v62
	;; [unrolled: 1-line block ×3, first 2 shown]
	v_dual_mul_f32 v72, v23, v72 :: v_dual_and_b32 v67, 0xffff0000, v82
	v_and_b32_e32 v76, 0xffff0000, v76
	v_and_b32_e32 v55, 0xffff0000, v55
	s_wait_alu 0xf1ff
	v_cndmask_b32_e64 v56, v69, v99, s3
	v_fmac_f32_e32 v72, v11, v57
	v_and_b32_e32 v65, 0xffff0000, v65
	v_and_b32_e32 v3, 0xffff0000, v3
	s_delay_alu instid0(VALU_DEP_4) | instskip(NEXT) | instid1(VALU_DEP_3)
	v_and_b32_e32 v56, 0xffff0000, v56
	v_fmac_f32_e32 v74, v33, v65
	s_delay_alu instid0(VALU_DEP_3) | instskip(SKIP_1) | instid1(VALU_DEP_3)
	v_dual_fmac_f32 v72, v32, v3 :: v_dual_mul_f32 v3, v27, v80
	v_dual_fmac_f32 v58, v14, v66 :: v_dual_and_b32 v75, 0xffff0000, v75
	v_dual_fmac_f32 v74, v41, v76 :: v_dual_and_b32 v77, 0xffff0000, v77
	s_delay_alu instid0(VALU_DEP_2) | instskip(NEXT) | instid1(VALU_DEP_3)
	v_dual_fmac_f32 v58, v35, v68 :: v_dual_and_b32 v73, 0xffff0000, v73
	v_fmac_f32_e32 v72, v40, v75
	v_and_b32_e32 v60, 0xffff0000, v60
	s_delay_alu instid0(VALU_DEP_3) | instskip(SKIP_2) | instid1(VALU_DEP_1)
	v_fmac_f32_e32 v58, v43, v55
	v_mul_f32_e32 v55, v31, v62
	v_dual_mul_f32 v78, v25, v78 :: v_dual_and_b32 v69, 0xffff0000, v84
	v_fmac_f32_e32 v1, v21, v69
	s_delay_alu instid0(VALU_DEP_2) | instskip(SKIP_1) | instid1(VALU_DEP_3)
	v_dual_fmac_f32 v78, v13, v59 :: v_dual_add_f32 v59, v72, v74
	v_dual_fmac_f32 v3, v19, v60 :: v_dual_and_b32 v70, 0xffff0000, v86
	v_dual_fmac_f32 v1, v38, v73 :: v_dual_and_b32 v54, 0xffff0000, v54
	v_and_b32_e32 v2, 0xffff0000, v2
	s_delay_alu instid0(VALU_DEP_3) | instskip(NEXT) | instid1(VALU_DEP_4)
	v_fmac_f32_e32 v55, v22, v70
	v_dual_fmac_f32 v3, v36, v53 :: v_dual_and_b32 v4, 0xffff0000, v4
	s_delay_alu instid0(VALU_DEP_2) | instskip(NEXT) | instid1(VALU_DEP_2)
	v_fmac_f32_e32 v55, v39, v54
	v_fmac_f32_e32 v3, v44, v2
	s_delay_alu instid0(VALU_DEP_3) | instskip(SKIP_1) | instid1(VALU_DEP_2)
	v_dual_fmac_f32 v78, v34, v4 :: v_dual_and_b32 v71, 0xffff0000, v71
	v_dual_mul_f32 v4, v28, v61 :: v_dual_and_b32 v57, 0xffff0000, v63
	v_dual_fmac_f32 v55, v47, v56 :: v_dual_fmac_f32 v78, v42, v77
	s_delay_alu instid0(VALU_DEP_1) | instskip(NEXT) | instid1(VALU_DEP_1)
	v_dual_fmac_f32 v4, v20, v67 :: v_dual_add_f32 v53, v59, v78
	v_dual_add_f32 v2, v58, v53 :: v_dual_and_b32 v53, 0xffff0000, v64
	s_delay_alu instid0(VALU_DEP_2) | instskip(NEXT) | instid1(VALU_DEP_2)
	v_fmac_f32_e32 v4, v37, v71
	v_add_f32_e32 v2, v3, v2
	v_cvt_f32_i32_e32 v3, v81
	s_delay_alu instid0(VALU_DEP_3) | instskip(SKIP_1) | instid1(VALU_DEP_2)
	v_fmac_f32_e32 v4, v45, v57
	v_fmac_f32_e32 v1, v46, v53
	v_dual_mul_f32 v3, s52, v3 :: v_dual_add_f32 v2, v4, v2
	s_delay_alu instid0(VALU_DEP_1) | instskip(SKIP_1) | instid1(VALU_DEP_2)
	v_dual_add_f32 v1, v1, v2 :: v_dual_cndmask_b32 v2, 0, v3
	v_max_num_f32_e32 v3, v29, v29
	v_add_f32_e32 v1, v55, v1
	s_delay_alu instid0(VALU_DEP_1) | instskip(NEXT) | instid1(VALU_DEP_1)
	v_dual_fmac_f32 v2, s23, v1 :: v_dual_add_nc_u32 v1, v16, v48
	v_max_num_f32_e32 v3, v3, v2
	s_delay_alu instid0(VALU_DEP_2) | instskip(SKIP_1) | instid1(VALU_DEP_1)
	v_cmp_gt_i32_e64 s3, s46, v1
	s_wait_alu 0xf1ff
	v_cndmask_b32_e64 v1, 0, v2, s3
	s_delay_alu instid0(VALU_DEP_3)
	v_cndmask_b32_e64 v29, v29, v3, s3
	ds_store_b32 v50, v1
	s_branch .LBB349_11
.LBB349_16:
	s_or_b32 exec_lo, exec_lo, s57
.LBB349_17:
	s_delay_alu instid0(SALU_CYCLE_1)
	s_or_b32 exec_lo, exec_lo, s54
	v_mbcnt_lo_u32_b32 v1, -1, 0
	s_clause 0x2
	s_load_b128 s[4:7], s[0:1], 0x0
	s_load_b64 s[8:9], s[0:1], 0x10
	s_load_b64 s[12:13], s[0:1], 0x28
	v_max_num_f32_e32 v5, v29, v29
	v_xor_b32_e32 v2, 16, v1
	v_xor_b32_e32 v4, 8, v1
	s_delay_alu instid0(VALU_DEP_2) | instskip(SKIP_2) | instid1(VALU_DEP_3)
	v_cmp_gt_i32_e32 vcc_lo, 32, v2
	s_wait_alu 0xfffd
	v_cndmask_b32_e32 v2, v1, v2, vcc_lo
	v_cmp_gt_i32_e32 vcc_lo, 32, v4
	s_delay_alu instid0(VALU_DEP_2)
	v_lshlrev_b32_e32 v2, 2, v2
	s_wait_alu 0xfffd
	v_cndmask_b32_e32 v4, v1, v4, vcc_lo
	ds_bpermute_b32 v3, v2, v29
	s_wait_dscnt 0x0
	v_dual_max_num_f32 v6, v3, v3 :: v_dual_lshlrev_b32 v3, 2, v4
	s_delay_alu instid0(VALU_DEP_1)
	v_max_num_f32_e32 v4, v5, v6
	v_xor_b32_e32 v6, 4, v1
	ds_bpermute_b32 v5, v3, v4
	v_cmp_gt_i32_e32 vcc_lo, 32, v6
	s_wait_alu 0xfffd
	v_cndmask_b32_e32 v6, v1, v6, vcc_lo
	s_wait_dscnt 0x0
	v_max_num_f32_e32 v7, v5, v5
	s_delay_alu instid0(VALU_DEP_1)
	v_dual_max_num_f32 v4, v4, v7 :: v_dual_lshlrev_b32 v5, 2, v6
	v_xor_b32_e32 v7, 2, v1
	ds_bpermute_b32 v6, v5, v4
	v_cmp_gt_i32_e32 vcc_lo, 32, v7
	s_wait_dscnt 0x0
	s_wait_alu 0xfffd
	v_dual_cndmask_b32 v7, v1, v7 :: v_dual_max_num_f32 v6, v6, v6
	s_delay_alu instid0(VALU_DEP_1) | instskip(SKIP_1) | instid1(VALU_DEP_1)
	v_lshlrev_b32_e32 v19, 2, v7
	v_xor_b32_e32 v7, 1, v1
	v_cmp_gt_i32_e32 vcc_lo, 32, v7
	s_wait_alu 0xfffd
	v_dual_max_num_f32 v4, v4, v6 :: v_dual_cndmask_b32 v7, v1, v7
	ds_bpermute_b32 v6, v19, v4
	v_cmp_eq_u32_e32 vcc_lo, 0, v16
	v_lshlrev_b32_e32 v20, 2, v7
	s_wait_dscnt 0x0
	v_max_num_f32_e32 v6, v6, v6
	s_delay_alu instid0(VALU_DEP_1)
	v_dual_max_num_f32 v1, v4, v6 :: v_dual_lshlrev_b32 v6, 2, v15
	ds_bpermute_b32 v4, v20, v1
	s_and_saveexec_b32 s0, vcc_lo
	s_cbranch_execz .LBB349_19
; %bb.18:
	s_wait_dscnt 0x0
	v_dual_max_num_f32 v4, v4, v4 :: v_dual_max_num_f32 v1, v1, v1
	s_delay_alu instid0(VALU_DEP_1)
	v_max_num_f32_e32 v1, v1, v4
	ds_store_b32 v6, v1 offset:64
.LBB349_19:
	s_or_b32 exec_lo, exec_lo, s0
	v_cmp_gt_u32_e64 s0, 4, v16
	v_mov_b32_e32 v1, 0xff7fffff
	s_wait_loadcnt_dscnt 0x0
	s_barrier_signal -1
	s_barrier_wait -1
	global_inv scope:SCOPE_SE
	s_and_saveexec_b32 s1, s0
; %bb.20:
	ds_load_b32 v1, v10 offset:64
; %bb.21:
	s_or_b32 exec_lo, exec_lo, s1
	s_wait_dscnt 0x0
	ds_bpermute_b32 v4, v19, v1
	v_max_num_f32_e32 v1, v1, v1
	s_sub_co_i32 s1, s41, s53
	v_mov_b32_e32 v7, 0
	s_lshl_b32 s1, s1, 5
	s_delay_alu instid0(SALU_CYCLE_1) | instskip(NEXT) | instid1(SALU_CYCLE_1)
	s_add_co_i32 s1, s1, s49
	s_min_i32 s1, s1, s46
	s_delay_alu instid0(SALU_CYCLE_1) | instskip(SKIP_4) | instid1(VALU_DEP_1)
	s_sub_co_i32 s10, s1, s49
	s_wait_alu 0xfffe
	v_cmp_gt_i32_e64 s1, s10, v0
	s_wait_dscnt 0x0
	v_max_num_f32_e32 v4, v4, v4
	v_max_num_f32_e32 v1, v1, v4
	ds_bpermute_b32 v4, v20, v1
	s_wait_dscnt 0x0
	v_max_num_f32_e32 v4, v4, v4
	s_delay_alu instid0(VALU_DEP_1)
	v_max_num_f32_e32 v1, v1, v4
	v_lshl_add_u32 v4, v0, 2, 0x60
	ds_bpermute_b32 v1, v7, v1
	s_and_saveexec_b32 s11, s1
	s_cbranch_execz .LBB349_25
; %bb.22:
	v_lshl_add_u32 v8, v0, 2, 0x60
	v_mov_b32_e32 v7, 0
	v_mov_b32_e32 v11, v0
	s_mov_b32 s14, 0
.LBB349_23:                             ; =>This Inner Loop Header: Depth=1
	ds_load_b32 v12, v8
	v_add_nc_u32_e32 v11, 0x80, v11
	s_delay_alu instid0(VALU_DEP_1) | instskip(SKIP_4) | instid1(VALU_DEP_1)
	v_cmp_le_i32_e64 s3, s10, v11
	s_wait_alu 0xfffe
	s_or_b32 s14, s3, s14
	s_wait_dscnt 0x0
	v_sub_f32_e32 v12, v12, v1
	v_mul_f32_e32 v12, 0x3fb8aa3b, v12
	s_delay_alu instid0(VALU_DEP_1)
	v_exp_f32_e32 v12, v12
	ds_store_b32 v8, v12
	v_add_f32_e32 v7, v7, v12
	v_add_nc_u32_e32 v8, 0x200, v8
	s_wait_alu 0xfffe
	s_and_not1_b32 exec_lo, exec_lo, s14
	s_cbranch_execnz .LBB349_23
; %bb.24:
	s_or_b32 exec_lo, exec_lo, s14
.LBB349_25:
	s_wait_alu 0xfffe
	s_or_b32 exec_lo, exec_lo, s11
	ds_bpermute_b32 v2, v2, v7
	s_wait_dscnt 0x0
	v_add_f32_e32 v2, v7, v2
	ds_bpermute_b32 v3, v3, v2
	s_wait_dscnt 0x0
	v_add_f32_e32 v2, v2, v3
	;; [unrolled: 3-line block ×5, first 2 shown]
	s_and_saveexec_b32 s3, vcc_lo
; %bb.26:
	ds_store_b32 v6, v2 offset:80
; %bb.27:
	s_wait_alu 0xfffe
	s_or_b32 exec_lo, exec_lo, s3
	s_wait_loadcnt_dscnt 0x0
	s_barrier_signal -1
	s_barrier_wait -1
	global_inv scope:SCOPE_SE
	s_and_saveexec_b32 s3, s0
; %bb.28:
	ds_load_b32 v2, v10 offset:80
; %bb.29:
	s_wait_alu 0xfffe
	s_or_b32 exec_lo, exec_lo, s3
	s_wait_dscnt 0x0
	ds_bpermute_b32 v3, v19, v2
	s_wait_dscnt 0x0
	v_add_f32_e32 v2, v2, v3
	ds_bpermute_b32 v3, v20, v2
	s_wait_dscnt 0x0
	v_dual_add_f32 v2, v2, v3 :: v_dual_mov_b32 v3, 0
	ds_bpermute_b32 v2, v3, v2
	s_and_saveexec_b32 s0, s1
	s_cbranch_execz .LBB349_32
; %bb.30:
	s_wait_dscnt 0x0
	v_add_f32_e32 v3, 0x358637bd, v2
	s_mov_b32 s1, 0
	s_delay_alu instid0(VALU_DEP_1) | instskip(SKIP_1) | instid1(VALU_DEP_2)
	v_div_scale_f32 v5, null, v3, v3, 1.0
	v_div_scale_f32 v8, vcc_lo, 1.0, v3, 1.0
	v_rcp_f32_e32 v6, v5
	s_delay_alu instid0(TRANS32_DEP_1) | instskip(NEXT) | instid1(VALU_DEP_1)
	v_fma_f32 v7, -v5, v6, 1.0
	v_fmac_f32_e32 v6, v7, v6
	s_delay_alu instid0(VALU_DEP_1) | instskip(NEXT) | instid1(VALU_DEP_1)
	v_mul_f32_e32 v7, v8, v6
	v_fma_f32 v10, -v5, v7, v8
	s_delay_alu instid0(VALU_DEP_1) | instskip(NEXT) | instid1(VALU_DEP_1)
	v_fmac_f32_e32 v7, v10, v6
	v_fma_f32 v5, -v5, v7, v8
	s_wait_alu 0xfffd
	s_delay_alu instid0(VALU_DEP_1) | instskip(NEXT) | instid1(VALU_DEP_1)
	v_div_fmas_f32 v5, v5, v6, v7
	v_div_fixup_f32 v3, v5, v3, 1.0
	v_mov_b32_e32 v5, v0
.LBB349_31:                             ; =>This Inner Loop Header: Depth=1
	ds_load_b32 v6, v4
	s_wait_dscnt 0x0
	v_dual_mul_f32 v6, v3, v6 :: v_dual_add_nc_u32 v5, 0x80, v5
	s_delay_alu instid0(VALU_DEP_1) | instskip(SKIP_3) | instid1(SALU_CYCLE_1)
	v_cmp_le_i32_e32 vcc_lo, s10, v5
	ds_store_b32 v4, v6
	v_add_nc_u32_e32 v4, 0x200, v4
	s_or_b32 s1, vcc_lo, s1
	s_and_not1_b32 exec_lo, exec_lo, s1
	s_cbranch_execnz .LBB349_31
.LBB349_32:
	s_or_b32 exec_lo, exec_lo, s0
	s_mul_i32 s0, s28, s47
	s_wait_loadcnt_dscnt 0x0
	s_mul_i32 s10, s0, s48
	s_mov_b32 s0, exec_lo
	s_barrier_signal -1
	s_barrier_wait -1
	global_inv scope:SCOPE_SE
	v_cmpx_eq_u32_e32 0, v0
	s_cbranch_execz .LBB349_34
; %bb.33:
	s_wait_alu 0xfffe
	s_ashr_i32 s11, s10, 31
	s_mul_i32 s14, s28, ttmp9
	s_lshl_b32 s1, s33, 2
	s_wait_alu 0xfffe
	s_lshl_b64 s[16:17], s[10:11], 2
	s_ashr_i32 s15, s14, 31
	v_mov_b32_e32 v3, s1
	s_wait_kmcnt 0x0
	s_wait_alu 0xfffe
	s_add_nc_u64 s[6:7], s[6:7], s[16:17]
	s_lshl_b64 s[14:15], s[14:15], 2
	s_add_nc_u64 s[4:5], s[4:5], s[16:17]
	s_wait_alu 0xfffe
	s_add_nc_u64 s[6:7], s[6:7], s[14:15]
	s_add_nc_u64 s[4:5], s[4:5], s[14:15]
	s_clause 0x1
	global_store_b32 v3, v1, s[6:7]
	global_store_b32 v3, v2, s[4:5]
.LBB349_34:
	s_or_b32 exec_lo, exec_lo, s0
	v_dual_mov_b32 v24, 0 :: v_dual_and_b32 v21, 3, v0
	v_dual_mov_b32 v25, 0 :: v_dual_mov_b32 v22, 0
	v_mov_b32_e32 v23, 0
	s_and_saveexec_b32 s1, s2
	s_cbranch_execz .LBB349_48
; %bb.35:
	s_abs_i32 s2, s30
	v_dual_mov_b32 v22, 0 :: v_dual_lshlrev_b32 v1, 3, v0
	s_wait_alu 0xfffe
	s_cvt_f32_u32 s0, s2
	s_wait_kmcnt 0x0
	s_lshl_b64 s[6:7], s[44:45], 2
	v_dual_mov_b32 v24, 0 :: v_dual_lshlrev_b32 v3, 5, v21
	s_wait_alu 0xfffe
	v_rcp_iflag_f32_e32 v2, s0
	s_add_nc_u64 s[6:7], s[42:43], s[6:7]
	s_ashr_i32 s39, s38, 31
	s_wait_alu 0xfffe
	v_add_co_u32 v9, s6, s6, v9
	s_wait_alu 0xf1ff
	v_add_co_ci_u32_e64 v10, null, s7, 0, s6
	v_dual_mov_b32 v25, 0 :: v_dual_and_b32 v26, 24, v1
	s_add_nc_u64 s[12:13], s[12:13], s[38:39]
	s_delay_alu instid0(TRANS32_DEP_1)
	v_readfirstlane_b32 s5, v2
	v_dual_mov_b32 v23, 0 :: v_dual_and_b32 v2, 0xf8, v1
	v_lshl_or_b32 v1, v15, 7, v3
	s_sub_co_i32 s0, 0, s2
	s_mul_f32 s5, s5, 0x4f7ffffe
	s_sub_co_i32 s3, s51, s29
	s_mov_b32 s4, s37
	v_add_nc_u32_e32 v27, 0x60, v1
	s_wait_alu 0xfffe
	s_cvt_u32_f32 s6, s5
	v_add_co_u32 v11, s5, s12, v2
	s_wait_alu 0xf1ff
	v_add_co_ci_u32_e64 v12, null, s13, 0, s5
	s_wait_alu 0xfffe
	s_mul_i32 s0, s0, s6
	s_add_co_i32 s50, s50, -1
	s_wait_alu 0xfffe
	s_mul_hi_u32 s0, s6, s0
	s_mov_b32 s5, 0
	s_wait_alu 0xfffe
	s_add_co_i32 s6, s6, s0
	s_branch .LBB349_38
.LBB349_36:                             ;   in Loop: Header=BB349_38 Depth=1
	s_wait_alu 0xfffe
	s_or_b32 exec_lo, exec_lo, s0
	s_wait_dscnt 0x1
	v_bfe_u32 v36, v5, 16, 1
	v_bfe_u32 v40, v6, 16, 1
	v_or_b32_e32 v41, 0x400000, v5
	v_cmp_u_f32_e32 vcc_lo, v5, v5
	v_or_b32_e32 v42, 0x400000, v6
	v_add3_u32 v36, v36, v5, 0x7fff
	v_bfe_u32 v44, v7, 16, 1
	v_add3_u32 v40, v40, v6, 0x7fff
	v_bfe_u32 v45, v8, 16, 1
	v_lshlrev_b32_e32 v59, 16, v59
	s_wait_alu 0xfffd
	v_cndmask_b32_e32 v5, v36, v41, vcc_lo
	v_cmp_u_f32_e32 vcc_lo, v6, v6
	v_add3_u32 v36, v44, v7, 0x7fff
	v_add3_u32 v41, v45, v8, 0x7fff
	s_wait_dscnt 0x0
	v_bfe_u32 v44, v1, 16, 1
	v_or_b32_e32 v45, 0x400000, v4
	s_wait_alu 0xfffd
	v_cndmask_b32_e32 v6, v40, v42, vcc_lo
	v_or_b32_e32 v40, 0x400000, v7
	v_cmp_u_f32_e32 vcc_lo, v7, v7
	v_or_b32_e32 v42, 0x400000, v8
	v_lshlrev_b32_e32 v38, 16, v38
	v_lshlrev_b32_e32 v35, 16, v35
	v_lshlrev_b32_e32 v51, 16, v62
	s_wait_alu 0xfffd
	v_cndmask_b32_e32 v7, v36, v40, vcc_lo
	v_cmp_u_f32_e32 vcc_lo, v8, v8
	v_bfe_u32 v36, v2, 16, 1
	v_add3_u32 v40, v44, v1, 0x7fff
	v_bfe_u32 v44, v3, 16, 1
	s_wait_alu 0xfffd
	v_dual_cndmask_b32 v8, v41, v42 :: v_dual_lshlrev_b32 v39, 16, v39
	v_or_b32_e32 v41, 0x400000, v1
	v_cmp_u_f32_e32 vcc_lo, v1, v1
	v_add3_u32 v36, v36, v2, 0x7fff
	v_or_b32_e32 v42, 0x400000, v2
	v_and_b32_e32 v5, 0xffff0000, v5
	v_lshlrev_b32_e32 v47, 16, v47
	s_wait_alu 0xfffd
	v_cndmask_b32_e32 v1, v40, v41, vcc_lo
	v_cmp_u_f32_e32 vcc_lo, v2, v2
	v_lshlrev_b32_e32 v41, 16, v65
	v_and_b32_e32 v6, 0xffff0000, v6
	v_bfe_u32 v40, v4, 16, 1
	s_wait_alu 0xfffd
	v_dual_cndmask_b32 v2, v36, v42 :: v_dual_and_b32 v7, 0xffff0000, v7
	v_add3_u32 v36, v44, v3, 0x7fff
	v_lshlrev_b32_e32 v42, 16, v64
	v_or_b32_e32 v44, 0x400000, v3
	v_mul_f32_e32 v41, v6, v41
	v_cmp_u_f32_e32 vcc_lo, v3, v3
	v_add3_u32 v40, v40, v4, 0x7fff
	v_dual_mul_f32 v42, v5, v42 :: v_dual_and_b32 v1, 0xffff0000, v1
	s_wait_alu 0xfffd
	v_dual_cndmask_b32 v3, v36, v44 :: v_dual_lshlrev_b32 v58, 16, v58
	v_lshlrev_b32_e32 v44, 16, v63
	v_bfe_u32 v36, v41, 16, 1
	v_cmp_u_f32_e32 vcc_lo, v4, v4
	v_or_b32_e32 v46, 0x400000, v42
	v_mul_f32_e32 v35, v6, v35
	v_lshlrev_b32_e32 v33, 16, v33
	v_add3_u32 v36, v36, v41, 0x7fff
	s_wait_alu 0xfffd
	v_cndmask_b32_e32 v4, v40, v45, vcc_lo
	v_bfe_u32 v40, v42, 16, 1
	v_or_b32_e32 v45, 0x400000, v41
	v_cmp_u_f32_e32 vcc_lo, v41, v41
	v_lshlrev_b32_e32 v29, 16, v29
	v_and_b32_e32 v4, 0xffff0000, v4
	v_add3_u32 v40, v40, v42, 0x7fff
	v_and_b32_e32 v2, 0xffff0000, v2
	s_wait_alu 0xfffd
	v_cndmask_b32_e32 v36, v36, v45, vcc_lo
	v_cmp_u_f32_e32 vcc_lo, v42, v42
	v_lshlrev_b32_e32 v45, 16, v61
	v_dual_mul_f32 v59, v4, v59 :: v_dual_and_b32 v8, 0xffff0000, v8
	v_mul_f32_e32 v42, v7, v51
	s_wait_alu 0xfffd
	s_delay_alu instid0(VALU_DEP_3) | instskip(NEXT) | instid1(VALU_DEP_3)
	v_dual_cndmask_b32 v40, v40, v46 :: v_dual_mul_f32 v45, v2, v45
	v_bfe_u32 v62, v59, 16, 1
	v_dual_mul_f32 v44, v8, v44 :: v_dual_mul_f32 v39, v1, v39
	s_delay_alu instid0(VALU_DEP_3) | instskip(SKIP_2) | instid1(VALU_DEP_4)
	v_and_b32_e32 v40, 0xffff0000, v40
	v_lshlrev_b32_e32 v37, 16, v37
	v_mul_f32_e32 v33, v8, v33
	v_bfe_u32 v41, v44, 16, 1
	v_or_b32_e32 v51, 0x400000, v44
	v_cmp_u_f32_e32 vcc_lo, v44, v44
	v_lshlrev_b32_e32 v31, 16, v31
	v_lshlrev_b32_e32 v32, 16, v32
	v_add3_u32 v41, v41, v44, 0x7fff
	v_lshlrev_b32_e32 v13, 16, v13
	s_delay_alu instid0(VALU_DEP_3) | instskip(SKIP_1) | instid1(VALU_DEP_3)
	v_dual_mul_f32 v31, v2, v31 :: v_dual_mul_f32 v32, v7, v32
	s_wait_alu 0xfffd
	v_dual_cndmask_b32 v41, v41, v51 :: v_dual_and_b32 v36, 0xffff0000, v36
	v_and_b32_e32 v3, 0xffff0000, v3
	v_or_b32_e32 v51, 0x400000, v42
	v_cmp_u_f32_e32 vcc_lo, v42, v42
	s_delay_alu instid0(VALU_DEP_4) | instskip(SKIP_3) | instid1(VALU_DEP_2)
	v_dual_add_f32 v36, v40, v36 :: v_dual_and_b32 v41, 0xffff0000, v41
	v_lshlrev_b32_e32 v46, 16, v60
	v_bfe_u32 v60, v42, 16, 1
	v_mul_f32_e32 v37, v3, v37
	v_add3_u32 v44, v60, v42, 0x7fff
	v_bfe_u32 v60, v45, 16, 1
	s_wait_alu 0xfffd
	s_delay_alu instid0(VALU_DEP_2) | instskip(NEXT) | instid1(VALU_DEP_2)
	v_cndmask_b32_e32 v42, v44, v51, vcc_lo
	v_add3_u32 v44, v60, v45, 0x7fff
	v_or_b32_e32 v51, 0x400000, v45
	v_cmp_u_f32_e32 vcc_lo, v45, v45
	v_mul_f32_e32 v45, v3, v58
	v_mul_f32_e32 v46, v1, v46
	v_or_b32_e32 v58, 0x400000, v59
	v_and_b32_e32 v42, 0xffff0000, v42
	s_wait_alu 0xfffd
	v_cndmask_b32_e32 v44, v44, v51, vcc_lo
	v_add3_u32 v51, v62, v59, 0x7fff
	v_bfe_u32 v61, v46, 16, 1
	v_cmp_u_f32_e32 vcc_lo, v46, v46
	s_delay_alu instid0(VALU_DEP_2) | instskip(SKIP_2) | instid1(VALU_DEP_1)
	v_add3_u32 v60, v61, v46, 0x7fff
	v_or_b32_e32 v61, 0x400000, v46
	s_wait_alu 0xfffd
	v_cndmask_b32_e32 v46, v60, v61, vcc_lo
	v_cmp_u_f32_e32 vcc_lo, v59, v59
	v_bfe_u32 v60, v45, 16, 1
	v_or_b32_e32 v59, 0x400000, v45
	s_wait_alu 0xfffd
	v_dual_cndmask_b32 v51, v51, v58 :: v_dual_add_f32 v40, v42, v41
	v_and_b32_e32 v41, 0xffff0000, v46
	v_dual_mul_f32 v38, v4, v38 :: v_dual_lshlrev_b32 v43, 16, v43
	v_and_b32_e32 v42, 0xffff0000, v44
	v_add3_u32 v58, v60, v45, 0x7fff
	v_lshlrev_b32_e32 v44, 16, v50
	v_cmp_u_f32_e32 vcc_lo, v45, v45
	v_dual_add_f32 v36, v40, v36 :: v_dual_mul_f32 v43, v2, v43
	v_add_f32_e32 v40, v41, v42
	s_wait_alu 0xfffd
	v_dual_cndmask_b32 v45, v58, v59 :: v_dual_lshlrev_b32 v46, 16, v49
	v_dual_mul_f32 v41, v6, v44 :: v_dual_lshlrev_b32 v30, 16, v30
	s_delay_alu instid0(VALU_DEP_2) | instskip(NEXT) | instid1(VALU_DEP_3)
	v_dual_mul_f32 v29, v4, v29 :: v_dual_mul_f32 v44, v5, v46
	v_and_b32_e32 v42, 0xffff0000, v45
	v_and_b32_e32 v45, 0xffff0000, v51
	v_lshlrev_b32_e32 v46, 16, v48
	v_bfe_u32 v48, v41, 16, 1
	v_add_f32_e32 v36, v40, v36
	v_bfe_u32 v40, v44, 16, 1
	s_delay_alu instid0(VALU_DEP_4) | instskip(NEXT) | instid1(VALU_DEP_4)
	v_dual_add_f32 v42, v42, v45 :: v_dual_mul_f32 v45, v8, v46
	v_add3_u32 v46, v48, v41, 0x7fff
	v_or_b32_e32 v48, 0x400000, v41
	v_cmp_u_f32_e32 vcc_lo, v41, v41
	v_add3_u32 v40, v40, v44, 0x7fff
	v_or_b32_e32 v49, 0x400000, v44
	v_bfe_u32 v50, v45, 16, 1
	s_wait_alu 0xfffd
	v_dual_mul_f32 v30, v1, v30 :: v_dual_cndmask_b32 v41, v46, v48
	v_cmp_u_f32_e32 vcc_lo, v44, v44
	v_mul_f32_e32 v44, v7, v47
	v_add3_u32 v46, v50, v45, 0x7fff
	v_or_b32_e32 v47, 0x400000, v45
	v_and_b32_e32 v41, 0xffff0000, v41
	s_wait_alu 0xfffd
	v_cndmask_b32_e32 v40, v40, v49, vcc_lo
	v_bfe_u32 v48, v44, 16, 1
	v_cmp_u_f32_e32 vcc_lo, v45, v45
	v_bfe_u32 v49, v39, 16, 1
	v_bfe_u32 v50, v38, 16, 1
	s_wait_alu 0xfffd
	v_cndmask_b32_e32 v45, v46, v47, vcc_lo
	v_add3_u32 v46, v48, v44, 0x7fff
	v_or_b32_e32 v47, 0x400000, v44
	v_bfe_u32 v48, v43, 16, 1
	v_cmp_u_f32_e32 vcc_lo, v44, v44
	s_wait_alu 0xfffd
	s_delay_alu instid0(VALU_DEP_3) | instskip(NEXT) | instid1(VALU_DEP_3)
	v_dual_cndmask_b32 v44, v46, v47 :: v_dual_and_b32 v45, 0xffff0000, v45
	v_add3_u32 v46, v48, v43, 0x7fff
	v_or_b32_e32 v47, 0x400000, v43
	v_cmp_u_f32_e32 vcc_lo, v43, v43
	v_add3_u32 v48, v49, v39, 0x7fff
	v_or_b32_e32 v49, 0x400000, v39
	s_wait_alu 0xfffd
	v_dual_cndmask_b32 v43, v46, v47 :: v_dual_and_b32 v44, 0xffff0000, v44
	v_cmp_u_f32_e32 vcc_lo, v39, v39
	v_add3_u32 v46, v50, v38, 0x7fff
	v_or_b32_e32 v47, 0x400000, v38
	s_delay_alu instid0(VALU_DEP_4) | instskip(SKIP_3) | instid1(VALU_DEP_2)
	v_and_b32_e32 v43, 0xffff0000, v43
	s_wait_alu 0xfffd
	v_cndmask_b32_e32 v39, v48, v49, vcc_lo
	v_cmp_u_f32_e32 vcc_lo, v38, v38
	v_and_b32_e32 v39, 0xffff0000, v39
	s_delay_alu instid0(VALU_DEP_1) | instskip(NEXT) | instid1(VALU_DEP_1)
	v_dual_add_f32 v39, v39, v43 :: v_dual_and_b32 v40, 0xffff0000, v40
	v_add_f32_e32 v40, v40, v41
	v_add_f32_e32 v41, v44, v45
	v_or_b32_e32 v45, 0x400000, v37
	s_wait_alu 0xfffd
	v_cndmask_b32_e32 v38, v46, v47, vcc_lo
	v_bfe_u32 v46, v37, 16, 1
	v_cmp_u_f32_e32 vcc_lo, v37, v37
	v_add_f32_e32 v40, v41, v40
	v_lshlrev_b32_e32 v34, 16, v34
	v_bfe_u32 v41, v35, 16, 1
	v_add3_u32 v44, v46, v37, 0x7fff
	s_delay_alu instid0(VALU_DEP_3) | instskip(NEXT) | instid1(VALU_DEP_3)
	v_dual_add_f32 v39, v39, v40 :: v_dual_mul_f32 v34, v5, v34
	v_add3_u32 v40, v41, v35, 0x7fff
	s_wait_alu 0xfffd
	s_delay_alu instid0(VALU_DEP_3)
	v_cndmask_b32_e32 v37, v44, v45, vcc_lo
	v_or_b32_e32 v41, 0x400000, v35
	v_cmp_u_f32_e32 vcc_lo, v35, v35
	v_bfe_u32 v43, v34, 16, 1
	v_and_b32_e32 v38, 0xffff0000, v38
	v_and_b32_e32 v37, 0xffff0000, v37
	v_or_b32_e32 v44, 0x400000, v33
	s_wait_alu 0xfffd
	v_cndmask_b32_e32 v35, v40, v41, vcc_lo
	v_bfe_u32 v40, v33, 16, 1
	v_add3_u32 v41, v43, v34, 0x7fff
	v_or_b32_e32 v43, 0x400000, v34
	v_cmp_u_f32_e32 vcc_lo, v34, v34
	v_and_b32_e32 v35, 0xffff0000, v35
	v_add3_u32 v40, v40, v33, 0x7fff
	s_wait_alu 0xfffd
	v_cndmask_b32_e32 v34, v41, v43, vcc_lo
	v_bfe_u32 v41, v32, 16, 1
	v_cmp_u_f32_e32 vcc_lo, v33, v33
	v_or_b32_e32 v43, 0x400000, v32
	s_delay_alu instid0(VALU_DEP_3)
	v_add3_u32 v41, v41, v32, 0x7fff
	s_wait_alu 0xfffd
	v_cndmask_b32_e32 v33, v40, v44, vcc_lo
	v_bfe_u32 v40, v31, 16, 1
	v_cmp_u_f32_e32 vcc_lo, v32, v32
	v_or_b32_e32 v44, 0x400000, v31
	s_delay_alu instid0(VALU_DEP_3)
	v_add3_u32 v40, v40, v31, 0x7fff
	s_wait_alu 0xfffd
	v_cndmask_b32_e32 v32, v41, v43, vcc_lo
	v_bfe_u32 v41, v30, 16, 1
	v_cmp_u_f32_e32 vcc_lo, v31, v31
	v_bfe_u32 v43, v29, 16, 1
	s_wait_alu 0xfffd
	v_cndmask_b32_e32 v31, v40, v44, vcc_lo
	v_add3_u32 v40, v41, v30, 0x7fff
	v_or_b32_e32 v41, 0x400000, v30
	v_cmp_u_f32_e32 vcc_lo, v30, v30
	v_add3_u32 v43, v43, v29, 0x7fff
	v_or_b32_e32 v44, 0x400000, v29
	s_wait_alu 0xfffd
	v_cndmask_b32_e32 v30, v40, v41, vcc_lo
	v_cmp_u_f32_e32 vcc_lo, v29, v29
	s_wait_alu 0xfffd
	v_cndmask_b32_e32 v29, v43, v44, vcc_lo
	v_lshlrev_b32_e32 v43, 16, v57
	v_lshlrev_b32_e32 v28, 16, v28
	s_delay_alu instid0(VALU_DEP_2) | instskip(NEXT) | instid1(VALU_DEP_2)
	v_dual_mul_f32 v5, v5, v43 :: v_dual_and_b32 v30, 0xffff0000, v30
	v_mul_f32_e32 v28, v3, v28
	s_delay_alu instid0(VALU_DEP_1) | instskip(SKIP_2) | instid1(VALU_DEP_3)
	v_bfe_u32 v40, v28, 16, 1
	v_or_b32_e32 v41, 0x400000, v28
	v_cmp_u_f32_e32 vcc_lo, v28, v28
	v_add3_u32 v40, v40, v28, 0x7fff
	s_wait_alu 0xfffd
	s_delay_alu instid0(VALU_DEP_1) | instskip(NEXT) | instid1(VALU_DEP_1)
	v_dual_cndmask_b32 v28, v40, v41 :: v_dual_and_b32 v31, 0xffff0000, v31
	v_add_f32_e32 v30, v30, v31
	v_lshlrev_b32_e32 v31, 16, v55
	v_and_b32_e32 v34, 0xffff0000, v34
	v_cmp_u_f32_e32 vcc_lo, v5, v5
	s_delay_alu instid0(VALU_DEP_3) | instskip(NEXT) | instid1(VALU_DEP_3)
	v_dual_mul_f32 v7, v7, v31 :: v_dual_and_b32 v32, 0xffff0000, v32
	v_dual_add_f32 v34, v34, v35 :: v_dual_and_b32 v33, 0xffff0000, v33
	s_delay_alu instid0(VALU_DEP_1) | instskip(NEXT) | instid1(VALU_DEP_1)
	v_dual_add_f32 v32, v32, v33 :: v_dual_lshlrev_b32 v31, 16, v54
	v_dual_mul_f32 v8, v8, v31 :: v_dual_lshlrev_b32 v33, 16, v56
	s_delay_alu instid0(VALU_DEP_2) | instskip(SKIP_1) | instid1(VALU_DEP_2)
	v_dual_add_f32 v32, v32, v34 :: v_dual_lshlrev_b32 v31, 16, v53
	v_bfe_u32 v34, v5, 16, 1
	v_dual_mul_f32 v6, v6, v33 :: v_dual_mul_f32 v1, v1, v31
	v_lshlrev_b32_e32 v31, 16, v52
	s_delay_alu instid0(VALU_DEP_3) | instskip(SKIP_1) | instid1(VALU_DEP_4)
	v_add3_u32 v33, v34, v5, 0x7fff
	v_or_b32_e32 v34, 0x400000, v5
	v_bfe_u32 v35, v6, 16, 1
	s_wait_alu 0xfffd
	s_delay_alu instid0(VALU_DEP_2) | instskip(NEXT) | instid1(VALU_DEP_2)
	v_dual_mul_f32 v2, v2, v31 :: v_dual_cndmask_b32 v5, v33, v34
	v_add3_u32 v33, v35, v6, 0x7fff
	v_or_b32_e32 v34, 0x400000, v6
	v_bfe_u32 v35, v7, 16, 1
	v_cmp_u_f32_e32 vcc_lo, v6, v6
	v_bfe_u32 v31, v2, 16, 1
	s_wait_alu 0xfffd
	v_dual_cndmask_b32 v6, v33, v34 :: v_dual_and_b32 v5, 0xffff0000, v5
	v_add3_u32 v33, v35, v7, 0x7fff
	v_or_b32_e32 v34, 0x400000, v7
	v_bfe_u32 v35, v8, 16, 1
	v_cmp_u_f32_e32 vcc_lo, v7, v7
	s_wait_alu 0xfffd
	s_delay_alu instid0(VALU_DEP_3) | instskip(NEXT) | instid1(VALU_DEP_3)
	v_dual_cndmask_b32 v7, v33, v34 :: v_dual_and_b32 v28, 0xffff0000, v28
	v_add3_u32 v33, v35, v8, 0x7fff
	v_or_b32_e32 v34, 0x400000, v8
	v_bfe_u32 v35, v1, 16, 1
	v_cmp_u_f32_e32 vcc_lo, v8, v8
	v_dual_mul_f32 v4, v4, v13 :: v_dual_and_b32 v7, 0xffff0000, v7
	v_or_b32_e32 v13, 0x400000, v1
	s_wait_alu 0xfffd
	v_cndmask_b32_e32 v8, v33, v34, vcc_lo
	v_add3_u32 v33, v35, v1, 0x7fff
	v_cmp_u_f32_e32 vcc_lo, v1, v1
	v_lshlrev_b32_e32 v14, 16, v14
	v_bfe_u32 v35, v4, 16, 1
	s_wait_alu 0xfffd
	v_cndmask_b32_e32 v1, v33, v13, vcc_lo
	v_cmp_u_f32_e32 vcc_lo, v2, v2
	v_mul_f32_e32 v3, v3, v14
	v_add3_u32 v14, v31, v2, 0x7fff
	v_or_b32_e32 v31, 0x400000, v2
	s_wait_alu 0xfffd
	s_delay_alu instid0(VALU_DEP_1)
	v_dual_cndmask_b32 v2, v14, v31 :: v_dual_and_b32 v1, 0xffff0000, v1
	v_bfe_u32 v34, v3, 16, 1
	v_add3_u32 v14, v35, v4, 0x7fff
	v_or_b32_e32 v31, 0x400000, v4
	v_cmp_u_f32_e32 vcc_lo, v4, v4
	v_or_b32_e32 v33, 0x400000, v3
	v_add3_u32 v13, v34, v3, 0x7fff
	s_wait_alu 0xfffd
	v_cndmask_b32_e32 v4, v14, v31, vcc_lo
	v_cmp_u_f32_e32 vcc_lo, v3, v3
	s_wait_alu 0xfffd
	v_dual_cndmask_b32 v3, v13, v33 :: v_dual_and_b32 v6, 0xffff0000, v6
	s_delay_alu instid0(VALU_DEP_1) | instskip(NEXT) | instid1(VALU_DEP_1)
	v_dual_add_f32 v5, v5, v6 :: v_dual_and_b32 v8, 0xffff0000, v8
	v_dual_add_f32 v6, v7, v8 :: v_dual_and_b32 v3, 0xffff0000, v3
	v_and_b32_e32 v7, 0xffff0000, v29
	s_delay_alu instid0(VALU_DEP_2) | instskip(NEXT) | instid1(VALU_DEP_2)
	v_dual_add_f32 v5, v6, v5 :: v_dual_and_b32 v2, 0xffff0000, v2
	v_dual_add_f32 v6, v30, v32 :: v_dual_add_f32 v7, v28, v7
	s_delay_alu instid0(VALU_DEP_2) | instskip(SKIP_1) | instid1(VALU_DEP_2)
	v_dual_add_f32 v1, v1, v2 :: v_dual_and_b32 v2, 0xffff0000, v4
	v_add_f32_e32 v4, v37, v38
	v_dual_add_f32 v1, v1, v5 :: v_dual_add_f32 v2, v3, v2
	s_delay_alu instid0(VALU_DEP_2) | instskip(NEXT) | instid1(VALU_DEP_2)
	v_dual_add_f32 v3, v42, v36 :: v_dual_add_f32 v4, v4, v39
	v_add_f32_e32 v1, v2, v1
	v_add_f32_e32 v5, v7, v6
	s_delay_alu instid0(VALU_DEP_2) | instskip(NEXT) | instid1(VALU_DEP_2)
	v_dual_add_f32 v25, v25, v4 :: v_dual_add_f32 v22, v22, v1
	v_dual_add_f32 v23, v23, v3 :: v_dual_add_f32 v24, v24, v5
.LBB349_37:                             ;   in Loop: Header=BB349_38 Depth=1
	s_wait_alu 0xfffe
	s_or_b32 exec_lo, exec_lo, s7
	v_add_nc_u32_e32 v18, 4, v18
	v_add_co_u32 v9, s0, v9, 16
	s_wait_alu 0xf1ff
	v_add_co_ci_u32_e64 v10, null, 0, v10, s0
	s_delay_alu instid0(VALU_DEP_3)
	v_cmp_le_i32_e32 vcc_lo, s41, v18
	v_add_nc_u32_e32 v17, 0x80, v17
	v_add_nc_u32_e32 v27, 0x200, v27
	s_or_b32 s5, vcc_lo, s5
	s_wait_alu 0xfffe
	s_and_not1_b32 exec_lo, exec_lo, s5
	s_cbranch_execz .LBB349_47
.LBB349_38:                             ; =>This Inner Loop Header: Depth=1
	v_sub_nc_u32_e32 v1, 0, v17
	s_delay_alu instid0(VALU_DEP_1) | instskip(NEXT) | instid1(VALU_DEP_1)
	v_max_i32_e32 v1, v17, v1
	v_mul_hi_u32 v2, v1, s40
	s_delay_alu instid0(VALU_DEP_1) | instskip(NEXT) | instid1(VALU_DEP_1)
	v_mul_lo_u32 v3, v2, s35
	v_sub_nc_u32_e32 v1, v1, v3
	v_add_nc_u32_e32 v3, 1, v2
	s_delay_alu instid0(VALU_DEP_2) | instskip(SKIP_2) | instid1(VALU_DEP_2)
	v_subrev_nc_u32_e32 v4, s35, v1
	v_cmp_le_u32_e32 vcc_lo, s35, v1
	s_wait_alu 0xfffd
	v_dual_cndmask_b32 v2, v2, v3 :: v_dual_cndmask_b32 v1, v1, v4
	v_ashrrev_i32_e32 v3, 31, v17
	s_delay_alu instid0(VALU_DEP_2) | instskip(NEXT) | instid1(VALU_DEP_3)
	v_add_nc_u32_e32 v4, 1, v2
	v_cmp_le_u32_e32 vcc_lo, s35, v1
	s_delay_alu instid0(VALU_DEP_3) | instskip(SKIP_1) | instid1(VALU_DEP_3)
	v_xor_b32_e32 v3, s31, v3
	s_wait_alu 0xfffd
	v_cndmask_b32_e32 v1, v2, v4, vcc_lo
	s_delay_alu instid0(VALU_DEP_1) | instskip(NEXT) | instid1(VALU_DEP_1)
	v_xor_b32_e32 v1, v1, v3
	v_sub_nc_u32_e32 v1, v1, v3
	s_delay_alu instid0(VALU_DEP_1) | instskip(SKIP_1) | instid1(VALU_DEP_2)
	v_add_nc_u32_e32 v2, s36, v1
	v_cmp_lt_i32_e64 s0, s3, v1
	v_sub_nc_u32_e32 v3, 0, v2
	s_delay_alu instid0(VALU_DEP_1) | instskip(SKIP_1) | instid1(VALU_DEP_1)
	v_max_i32_e32 v3, v2, v3
	s_wait_alu 0xfffe
	v_mul_hi_u32 v4, v3, s6
	s_delay_alu instid0(VALU_DEP_1) | instskip(NEXT) | instid1(VALU_DEP_1)
	v_mul_lo_u32 v4, v4, s2
	v_sub_nc_u32_e32 v3, v3, v4
	s_delay_alu instid0(VALU_DEP_1) | instskip(SKIP_2) | instid1(VALU_DEP_2)
	v_subrev_nc_u32_e32 v4, s2, v3
	v_cmp_le_u32_e32 vcc_lo, s2, v3
	s_wait_alu 0xfffd
	v_cndmask_b32_e32 v3, v3, v4, vcc_lo
	v_ashrrev_i32_e32 v2, 31, v2
	s_delay_alu instid0(VALU_DEP_2) | instskip(SKIP_2) | instid1(VALU_DEP_2)
	v_subrev_nc_u32_e32 v4, s2, v3
	v_cmp_le_u32_e32 vcc_lo, s2, v3
	s_wait_alu 0xfffd
	v_cndmask_b32_e32 v3, v3, v4, vcc_lo
	s_delay_alu instid0(VALU_DEP_1) | instskip(NEXT) | instid1(VALU_DEP_1)
	v_xor_b32_e32 v3, v3, v2
	v_sub_nc_u32_e32 v2, v3, v2
	s_delay_alu instid0(VALU_DEP_1)
	v_cmp_eq_u32_e32 vcc_lo, 0, v2
	s_or_b32 s0, vcc_lo, s0
	s_wait_alu 0xfffe
	s_and_saveexec_b32 s7, s0
	s_cbranch_execz .LBB349_37
; %bb.39:                               ;   in Loop: Header=BB349_38 Depth=1
	global_load_b32 v1, v[9:10], off
	v_cmp_eq_u32_e32 vcc_lo, s50, v18
	s_wait_loadcnt 0x0
	v_mad_co_i64_i32 v[13:14], null, v1, s4, v[11:12]
	global_load_b64 v[28:29], v[13:14], off
	ds_load_2addr_b64 v[5:8], v27 offset1:1
	ds_load_2addr_b64 v[1:4], v27 offset0:2 offset1:3
	s_load_b32 s11, s[26:27], 0x0
	s_wait_loadcnt 0x0
	v_and_b32_e32 v30, 0xff, v28
	v_bfe_u32 v31, v28, 8, 8
	v_bfe_u32 v32, v28, 16, 8
	v_lshrrev_b32_e32 v28, 24, v28
	v_bfe_u32 v34, v29, 8, 8
	v_cvt_f32_fp8_e32 v30, v30
	v_cvt_f32_fp8_e32 v31, v31
	v_add_nc_u32_e32 v36, v26, v17
	v_cvt_f32_fp8_e32 v32, v32
	s_wait_kmcnt 0x0
	v_dual_mul_f32 v30, s11, v30 :: v_dual_and_b32 v33, 0xff, v29
	v_mul_f32_e32 v31, s11, v31
	v_add_nc_u32_e32 v45, 2, v36
	v_cvt_f32_fp8_e32 v28, v28
	v_mul_f32_e32 v32, s11, v32
	v_bfe_u32 v37, v30, 16, 1
	v_or_b32_e32 v38, 0x400000, v30
	v_bfe_u32 v39, v31, 16, 1
	v_cmp_u_f32_e64 s0, v30, v30
	v_cvt_f32_fp8_e32 v33, v33
	v_add3_u32 v37, v37, v30, 0x7fff
	v_mul_f32_e32 v28, s11, v28
	v_or_b32_e32 v43, 0x400000, v31
	v_bfe_u32 v47, v32, 16, 1
	v_add3_u32 v39, v39, v31, 0x7fff
	s_wait_alu 0xf1ff
	v_cndmask_b32_e64 v30, v37, v38, s0
	v_cmp_u_f32_e64 s0, v31, v31
	v_dual_mul_f32 v33, s11, v33 :: v_dual_add_nc_u32 v46, 1, v36
	v_bfe_u32 v35, v29, 16, 8
	v_cvt_f32_fp8_e32 v34, v34
	v_or_b32_e32 v48, 0x400000, v32
	v_bfe_u32 v49, v28, 16, 1
	v_add3_u32 v47, v47, v32, 0x7fff
	s_wait_alu 0xf1ff
	v_cndmask_b32_e64 v31, v39, v43, s0
	v_cmp_u_f32_e64 s0, v32, v32
	v_dual_mul_f32 v34, s11, v34 :: v_dual_add_nc_u32 v41, 5, v36
	v_lshrrev_b32_e32 v29, 24, v29
	v_cvt_f32_fp8_e32 v35, v35
	v_or_b32_e32 v50, 0x400000, v28
	v_bfe_u32 v51, v33, 16, 1
	v_add3_u32 v49, v49, v28, 0x7fff
	s_wait_alu 0xf1ff
	v_cndmask_b32_e64 v32, v47, v48, s0
	v_cmp_u_f32_e64 s0, v28, v28
	v_dual_mul_f32 v35, s11, v35 :: v_dual_add_nc_u32 v44, 3, v36
	v_cvt_f32_fp8_e32 v29, v29
	v_or_b32_e32 v52, 0x400000, v33
	v_bfe_u32 v53, v34, 16, 1
	v_add3_u32 v51, v51, v33, 0x7fff
	s_wait_alu 0xf1ff
	v_cndmask_b32_e64 v28, v49, v50, s0
	v_cmp_u_f32_e64 s0, v33, v33
	v_dual_mul_f32 v29, s11, v29 :: v_dual_add_nc_u32 v42, 4, v36
	v_or_b32_e32 v54, 0x400000, v34
	v_bfe_u32 v55, v35, 16, 1
	v_add3_u32 v53, v53, v34, 0x7fff
	s_wait_alu 0xf1ff
	v_cndmask_b32_e64 v37, v51, v52, s0
	v_cmp_u_f32_e64 s0, v34, v34
	v_or_b32_e32 v56, 0x400000, v35
	v_bfe_u32 v57, v29, 16, 1
	v_add3_u32 v55, v55, v35, 0x7fff
	v_or_b32_e32 v58, 0x400000, v29
	s_wait_alu 0xf1ff
	v_cndmask_b32_e64 v38, v53, v54, s0
	v_cmp_u_f32_e64 s0, v35, v35
	v_add3_u32 v57, v57, v29, 0x7fff
	v_add_nc_u32_e32 v40, 6, v36
	v_lshrrev_b32_e32 v34, 16, v30
	v_lshrrev_b32_e32 v35, 16, v31
	s_wait_alu 0xf1ff
	v_cndmask_b32_e64 v39, v55, v56, s0
	v_cmp_u_f32_e64 s0, v29, v29
	v_lshrrev_b32_e32 v32, 16, v32
	v_lshrrev_b32_e32 v33, 16, v28
	;; [unrolled: 1-line block ×4, first 2 shown]
	s_wait_alu 0xf1ff
	v_cndmask_b32_e64 v29, v57, v58, s0
	v_lshrrev_b32_e32 v28, 16, v39
	v_add_nc_u32_e32 v51, 7, v36
	s_delay_alu instid0(VALU_DEP_3)
	v_lshrrev_b32_e32 v29, 16, v29
	s_and_saveexec_b32 s12, vcc_lo
	s_cbranch_execz .LBB349_41
; %bb.40:                               ;   in Loop: Header=BB349_38 Depth=1
	v_cmp_gt_i32_e64 s0, s46, v36
	s_wait_alu 0xf1ff
	s_delay_alu instid0(VALU_DEP_1) | instskip(SKIP_2) | instid1(VALU_DEP_1)
	v_cndmask_b32_e64 v34, 0, v34, s0
	v_cmp_gt_i32_e64 s0, s46, v46
	s_wait_alu 0xf1ff
	v_cndmask_b32_e64 v35, 0, v35, s0
	v_cmp_gt_i32_e64 s0, s46, v45
	s_wait_alu 0xf1ff
	s_delay_alu instid0(VALU_DEP_1) | instskip(SKIP_2) | instid1(VALU_DEP_1)
	v_cndmask_b32_e64 v32, 0, v32, s0
	v_cmp_gt_i32_e64 s0, s46, v44
	s_wait_alu 0xf1ff
	v_cndmask_b32_e64 v33, 0, v33, s0
	v_cmp_gt_i32_e64 s0, s46, v42
	s_wait_alu 0xf1ff
	s_delay_alu instid0(VALU_DEP_1) | instskip(SKIP_2) | instid1(VALU_DEP_1)
	v_cndmask_b32_e64 v30, 0, v30, s0
	v_cmp_gt_i32_e64 s0, s46, v41
	s_wait_alu 0xf1ff
	v_cndmask_b32_e64 v31, 0, v31, s0
	v_cmp_gt_i32_e64 s0, s46, v40
	s_wait_alu 0xf1ff
	s_delay_alu instid0(VALU_DEP_1) | instskip(SKIP_2) | instid1(VALU_DEP_1)
	v_cndmask_b32_e64 v28, 0, v28, s0
	v_cmp_gt_i32_e64 s0, s46, v51
	s_wait_alu 0xf1ff
	v_cndmask_b32_e64 v29, 0, v29, s0
.LBB349_41:                             ;   in Loop: Header=BB349_38 Depth=1
	s_wait_alu 0xfffe
	s_or_b32 exec_lo, exec_lo, s12
	global_load_b64 v[37:38], v[13:14], off offset:256
	s_wait_loadcnt 0x0
	v_and_b32_e32 v48, 0xff, v38
	v_bfe_u32 v43, v37, 8, 8
	v_bfe_u32 v47, v37, 16, 8
	v_bfe_u32 v50, v38, 16, 8
	v_bfe_u32 v49, v38, 8, 8
	v_cvt_f32_fp8_e32 v48, v48
	v_and_b32_e32 v39, 0xff, v37
	v_cvt_f32_fp8_e32 v43, v43
	v_lshrrev_b32_e32 v37, 24, v37
	v_lshrrev_b32_e32 v38, 24, v38
	v_mul_f32_e32 v48, s11, v48
	v_cvt_f32_fp8_e32 v39, v39
	v_cvt_f32_fp8_e32 v47, v47
	;; [unrolled: 1-line block ×3, first 2 shown]
	v_mul_f32_e32 v43, s11, v43
	v_cvt_f32_fp8_e32 v37, v37
	v_mul_f32_e32 v39, s11, v39
	v_cvt_f32_fp8_e32 v38, v38
	v_dual_mul_f32 v47, s11, v47 :: v_dual_mul_f32 v50, s11, v50
	v_bfe_u32 v54, v43, 16, 1
	s_delay_alu instid0(VALU_DEP_4) | instskip(SKIP_3) | instid1(VALU_DEP_4)
	v_bfe_u32 v52, v39, 16, 1
	v_or_b32_e32 v53, 0x400000, v39
	v_cmp_u_f32_e64 s0, v39, v39
	v_dual_mul_f32 v37, s11, v37 :: v_dual_mul_f32 v38, s11, v38
	v_add3_u32 v52, v52, v39, 0x7fff
	v_or_b32_e32 v55, 0x400000, v43
	v_bfe_u32 v56, v47, 16, 1
	v_add3_u32 v54, v54, v43, 0x7fff
	v_cvt_f32_fp8_e32 v49, v49
	s_wait_alu 0xf1ff
	v_cndmask_b32_e64 v39, v52, v53, s0
	v_cmp_u_f32_e64 s0, v43, v43
	v_or_b32_e32 v57, 0x400000, v47
	v_bfe_u32 v58, v37, 16, 1
	v_add3_u32 v56, v56, v47, 0x7fff
	v_mul_f32_e32 v49, s11, v49
	s_wait_alu 0xf1ff
	v_cndmask_b32_e64 v43, v54, v55, s0
	v_cmp_u_f32_e64 s0, v47, v47
	v_or_b32_e32 v59, 0x400000, v37
	v_bfe_u32 v60, v48, 16, 1
	v_add3_u32 v58, v58, v37, 0x7fff
	v_or_b32_e32 v61, 0x400000, v48
	s_wait_alu 0xf1ff
	v_cndmask_b32_e64 v47, v56, v57, s0
	v_cmp_u_f32_e64 s0, v37, v37
	v_bfe_u32 v62, v49, 16, 1
	v_add3_u32 v60, v60, v48, 0x7fff
	v_or_b32_e32 v63, 0x400000, v49
	v_bfe_u32 v64, v50, 16, 1
	s_wait_alu 0xf1ff
	v_cndmask_b32_e64 v37, v58, v59, s0
	v_cmp_u_f32_e64 s0, v48, v48
	v_add3_u32 v62, v62, v49, 0x7fff
	v_or_b32_e32 v65, 0x400000, v50
	v_bfe_u32 v66, v38, 16, 1
	v_add3_u32 v64, v64, v50, 0x7fff
	s_wait_alu 0xf1ff
	v_cndmask_b32_e64 v52, v60, v61, s0
	v_cmp_u_f32_e64 s0, v49, v49
	v_or_b32_e32 v67, 0x400000, v38
	v_add3_u32 v66, v66, v38, 0x7fff
	v_lshrrev_b32_e32 v49, 16, v39
	v_lshrrev_b32_e32 v47, 16, v47
	s_wait_alu 0xf1ff
	v_cndmask_b32_e64 v53, v62, v63, s0
	v_cmp_u_f32_e64 s0, v50, v50
	v_lshrrev_b32_e32 v50, 16, v43
	v_lshrrev_b32_e32 v48, 16, v37
	;; [unrolled: 1-line block ×4, first 2 shown]
	s_wait_alu 0xf1ff
	v_cndmask_b32_e64 v54, v64, v65, s0
	v_cmp_u_f32_e64 s0, v38, v38
	s_delay_alu instid0(VALU_DEP_2) | instskip(SKIP_1) | instid1(VALU_DEP_2)
	v_lshrrev_b32_e32 v37, 16, v54
	s_wait_alu 0xf1ff
	v_cndmask_b32_e64 v38, v66, v67, s0
	s_delay_alu instid0(VALU_DEP_1)
	v_lshrrev_b32_e32 v38, 16, v38
	s_and_saveexec_b32 s12, vcc_lo
	s_cbranch_execz .LBB349_43
; %bb.42:                               ;   in Loop: Header=BB349_38 Depth=1
	v_cmp_gt_i32_e64 s0, s46, v36
	s_wait_alu 0xf1ff
	s_delay_alu instid0(VALU_DEP_1) | instskip(SKIP_2) | instid1(VALU_DEP_1)
	v_cndmask_b32_e64 v49, 0, v49, s0
	v_cmp_gt_i32_e64 s0, s46, v46
	s_wait_alu 0xf1ff
	v_cndmask_b32_e64 v50, 0, v50, s0
	v_cmp_gt_i32_e64 s0, s46, v45
	s_wait_alu 0xf1ff
	s_delay_alu instid0(VALU_DEP_1) | instskip(SKIP_2) | instid1(VALU_DEP_1)
	v_cndmask_b32_e64 v47, 0, v47, s0
	v_cmp_gt_i32_e64 s0, s46, v44
	s_wait_alu 0xf1ff
	v_cndmask_b32_e64 v48, 0, v48, s0
	;; [unrolled: 7-line block ×4, first 2 shown]
.LBB349_43:                             ;   in Loop: Header=BB349_38 Depth=1
	s_wait_alu 0xfffe
	s_or_b32 exec_lo, exec_lo, s12
	global_load_b64 v[52:53], v[13:14], off offset:512
	s_wait_loadcnt 0x0
	v_bfe_u32 v55, v52, 8, 8
	v_bfe_u32 v56, v52, 16, 8
	;; [unrolled: 1-line block ×4, first 2 shown]
	s_delay_alu instid0(VALU_DEP_4)
	v_cvt_f32_fp8_e32 v55, v55
	v_and_b32_e32 v54, 0xff, v52
	v_lshrrev_b32_e32 v52, 24, v52
	v_cvt_f32_fp8_e32 v56, v56
	v_cvt_f32_fp8_e32 v59, v59
	v_mul_f32_e32 v55, s11, v55
	v_cvt_f32_fp8_e32 v54, v54
	v_and_b32_e32 v57, 0xff, v53
	v_cvt_f32_fp8_e32 v52, v52
	v_lshrrev_b32_e32 v53, 24, v53
	v_bfe_u32 v62, v55, 16, 1
	v_mul_f32_e32 v54, s11, v54
	v_cvt_f32_fp8_e32 v57, v57
	v_mul_f32_e32 v56, s11, v56
	v_dual_mul_f32 v52, s11, v52 :: v_dual_mul_f32 v59, s11, v59
	s_delay_alu instid0(VALU_DEP_4)
	v_bfe_u32 v60, v54, 16, 1
	v_or_b32_e32 v61, 0x400000, v54
	v_cmp_u_f32_e64 s0, v54, v54
	v_mul_f32_e32 v57, s11, v57
	v_or_b32_e32 v63, 0x400000, v55
	v_add3_u32 v60, v60, v54, 0x7fff
	v_bfe_u32 v64, v56, 16, 1
	v_add3_u32 v62, v62, v55, 0x7fff
	v_cvt_f32_fp8_e32 v58, v58
	v_or_b32_e32 v65, 0x400000, v56
	s_wait_alu 0xf1ff
	v_cndmask_b32_e64 v54, v60, v61, s0
	v_cmp_u_f32_e64 s0, v55, v55
	v_bfe_u32 v66, v52, 16, 1
	v_add3_u32 v64, v64, v56, 0x7fff
	v_cvt_f32_fp8_e32 v53, v53
	v_mul_f32_e32 v58, s11, v58
	s_wait_alu 0xf1ff
	v_cndmask_b32_e64 v55, v62, v63, s0
	v_cmp_u_f32_e64 s0, v56, v56
	v_or_b32_e32 v67, 0x400000, v52
	v_bfe_u32 v68, v57, 16, 1
	v_add3_u32 v66, v66, v52, 0x7fff
	v_mul_f32_e32 v53, s11, v53
	s_wait_alu 0xf1ff
	v_cndmask_b32_e64 v56, v64, v65, s0
	v_cmp_u_f32_e64 s0, v52, v52
	v_or_b32_e32 v69, 0x400000, v57
	v_bfe_u32 v70, v58, 16, 1
	v_add3_u32 v68, v68, v57, 0x7fff
	v_or_b32_e32 v71, 0x400000, v58
	s_wait_alu 0xf1ff
	v_cndmask_b32_e64 v52, v66, v67, s0
	v_cmp_u_f32_e64 s0, v57, v57
	v_bfe_u32 v72, v59, 16, 1
	v_add3_u32 v70, v70, v58, 0x7fff
	v_or_b32_e32 v73, 0x400000, v59
	v_bfe_u32 v74, v53, 16, 1
	s_wait_alu 0xf1ff
	v_cndmask_b32_e64 v57, v68, v69, s0
	v_cmp_u_f32_e64 s0, v58, v58
	v_add3_u32 v72, v72, v59, 0x7fff
	v_or_b32_e32 v75, 0x400000, v53
	v_add3_u32 v74, v74, v53, 0x7fff
	v_lshrrev_b32_e32 v64, 16, v54
	s_wait_alu 0xf1ff
	v_cndmask_b32_e64 v58, v70, v71, s0
	v_cmp_u_f32_e64 s0, v59, v59
	v_lshrrev_b32_e32 v65, 16, v55
	v_lshrrev_b32_e32 v62, 16, v56
	;; [unrolled: 1-line block ×4, first 2 shown]
	s_wait_alu 0xf1ff
	v_cndmask_b32_e64 v59, v72, v73, s0
	v_cmp_u_f32_e64 s0, v53, v53
	v_lshrrev_b32_e32 v61, 16, v58
	s_delay_alu instid0(VALU_DEP_3) | instskip(SKIP_1) | instid1(VALU_DEP_3)
	v_lshrrev_b32_e32 v58, 16, v59
	s_wait_alu 0xf1ff
	v_cndmask_b32_e64 v53, v74, v75, s0
	s_delay_alu instid0(VALU_DEP_1)
	v_lshrrev_b32_e32 v59, 16, v53
	s_and_saveexec_b32 s12, vcc_lo
	s_cbranch_execz .LBB349_45
; %bb.44:                               ;   in Loop: Header=BB349_38 Depth=1
	v_cmp_gt_i32_e64 s0, s46, v36
	s_wait_alu 0xf1ff
	s_delay_alu instid0(VALU_DEP_1) | instskip(SKIP_2) | instid1(VALU_DEP_1)
	v_cndmask_b32_e64 v64, 0, v64, s0
	v_cmp_gt_i32_e64 s0, s46, v46
	s_wait_alu 0xf1ff
	v_cndmask_b32_e64 v65, 0, v65, s0
	v_cmp_gt_i32_e64 s0, s46, v45
	s_wait_alu 0xf1ff
	s_delay_alu instid0(VALU_DEP_1) | instskip(SKIP_2) | instid1(VALU_DEP_1)
	v_cndmask_b32_e64 v62, 0, v62, s0
	v_cmp_gt_i32_e64 s0, s46, v44
	s_wait_alu 0xf1ff
	v_cndmask_b32_e64 v63, 0, v63, s0
	;; [unrolled: 7-line block ×4, first 2 shown]
.LBB349_45:                             ;   in Loop: Header=BB349_38 Depth=1
	s_wait_alu 0xfffe
	s_or_b32 exec_lo, exec_lo, s12
	global_load_b64 v[13:14], v[13:14], off offset:768
	s_wait_loadcnt 0x0
	v_and_b32_e32 v55, 0xff, v14
	v_bfe_u32 v53, v13, 8, 8
	v_bfe_u32 v54, v13, 16, 8
	;; [unrolled: 1-line block ×4, first 2 shown]
	v_cvt_f32_fp8_e32 v55, v55
	v_and_b32_e32 v52, 0xff, v13
	v_cvt_f32_fp8_e32 v53, v53
	v_lshrrev_b32_e32 v13, 24, v13
	v_cvt_f32_fp8_e32 v54, v54
	v_mul_f32_e32 v55, s11, v55
	v_cvt_f32_fp8_e32 v52, v52
	v_mul_f32_e32 v53, s11, v53
	;; [unrolled: 2-line block ×4, first 2 shown]
	v_bfe_u32 v68, v53, 16, 1
	v_mul_f32_e32 v13, s11, v13
	v_or_b32_e32 v69, 0x400000, v53
	v_bfe_u32 v70, v54, 16, 1
	v_bfe_u32 v66, v52, 16, 1
	v_or_b32_e32 v67, 0x400000, v52
	v_cmp_u_f32_e64 s0, v52, v52
	v_add3_u32 v68, v68, v53, 0x7fff
	v_mul_f32_e32 v56, s11, v56
	v_add3_u32 v66, v66, v52, 0x7fff
	v_or_b32_e32 v71, 0x400000, v54
	v_bfe_u32 v72, v13, 16, 1
	v_add3_u32 v70, v70, v54, 0x7fff
	v_lshrrev_b32_e32 v14, 24, v14
	s_wait_alu 0xf1ff
	v_cndmask_b32_e64 v52, v66, v67, s0
	v_cmp_u_f32_e64 s0, v53, v53
	v_cvt_f32_fp8_e32 v57, v57
	v_or_b32_e32 v73, 0x400000, v13
	v_bfe_u32 v74, v55, 16, 1
	v_add3_u32 v72, v72, v13, 0x7fff
	s_wait_alu 0xf1ff
	v_cndmask_b32_e64 v53, v68, v69, s0
	v_cmp_u_f32_e64 s0, v54, v54
	v_cvt_f32_fp8_e32 v14, v14
	v_mul_f32_e32 v57, s11, v57
	v_or_b32_e32 v75, 0x400000, v55
	v_bfe_u32 v76, v56, 16, 1
	s_wait_alu 0xf1ff
	v_cndmask_b32_e64 v54, v70, v71, s0
	v_cmp_u_f32_e64 s0, v13, v13
	v_add3_u32 v74, v74, v55, 0x7fff
	v_mul_f32_e32 v14, s11, v14
	v_or_b32_e32 v77, 0x400000, v56
	v_bfe_u32 v78, v57, 16, 1
	s_wait_alu 0xf1ff
	v_cndmask_b32_e64 v13, v72, v73, s0
	v_cmp_u_f32_e64 s0, v55, v55
	v_add3_u32 v76, v76, v56, 0x7fff
	v_or_b32_e32 v79, 0x400000, v57
	v_bfe_u32 v80, v14, 16, 1
	v_add3_u32 v78, v78, v57, 0x7fff
	s_wait_alu 0xf1ff
	v_cndmask_b32_e64 v66, v74, v75, s0
	v_cmp_u_f32_e64 s0, v56, v56
	v_or_b32_e32 v81, 0x400000, v14
	v_add3_u32 v80, v80, v14, 0x7fff
	v_lshrrev_b32_e32 v56, 16, v53
	v_lshrrev_b32_e32 v55, 16, v54
	s_wait_alu 0xf1ff
	v_cndmask_b32_e64 v67, v76, v77, s0
	v_cmp_u_f32_e64 s0, v57, v57
	v_lshrrev_b32_e32 v57, 16, v52
	v_lshrrev_b32_e32 v54, 16, v13
	v_lshrrev_b32_e32 v53, 16, v66
	v_lshrrev_b32_e32 v52, 16, v67
	s_wait_alu 0xf1ff
	v_cndmask_b32_e64 v68, v78, v79, s0
	v_cmp_u_f32_e64 s0, v14, v14
	s_delay_alu instid0(VALU_DEP_2) | instskip(SKIP_1) | instid1(VALU_DEP_2)
	v_lshrrev_b32_e32 v14, 16, v68
	s_wait_alu 0xf1ff
	v_cndmask_b32_e64 v69, v80, v81, s0
	s_delay_alu instid0(VALU_DEP_1)
	v_lshrrev_b32_e32 v13, 16, v69
	s_and_saveexec_b32 s0, vcc_lo
	s_cbranch_execz .LBB349_36
; %bb.46:                               ;   in Loop: Header=BB349_38 Depth=1
	v_cmp_gt_i32_e32 vcc_lo, s46, v36
	s_wait_alu 0xfffd
	v_cndmask_b32_e32 v57, 0, v57, vcc_lo
	v_cmp_gt_i32_e32 vcc_lo, s46, v46
	s_wait_alu 0xfffd
	v_cndmask_b32_e32 v56, 0, v56, vcc_lo
	;; [unrolled: 3-line block ×8, first 2 shown]
	s_branch .LBB349_36
.LBB349_47:
	s_or_b32 exec_lo, exec_lo, s5
.LBB349_48:
	s_wait_alu 0xfffe
	s_or_b32 exec_lo, exec_lo, s1
	ds_bpermute_b32 v1, v19, v24
	ds_bpermute_b32 v2, v19, v25
	;; [unrolled: 1-line block ×4, first 2 shown]
	v_lshrrev_b32_e32 v5, 2, v16
	s_mov_b32 s0, exec_lo
	s_wait_storecnt 0x0
	s_wait_loadcnt_dscnt 0x0
	s_barrier_signal -1
	s_barrier_wait -1
	global_inv scope:SCOPE_SE
	v_dual_add_f32 v1, v24, v1 :: v_dual_add_f32 v2, v25, v2
	v_dual_add_f32 v7, v23, v3 :: v_dual_add_f32 v8, v22, v4
	ds_bpermute_b32 v3, v20, v1
	ds_bpermute_b32 v9, v20, v2
	;; [unrolled: 1-line block ×4, first 2 shown]
	v_and_b32_e32 v4, 28, v16
	v_and_b32_e32 v12, 0x3c3, v0
	s_delay_alu instid0(VALU_DEP_2)
	v_add_nc_u32_e32 v6, 0x60, v4
	s_wait_dscnt 0x2
	v_dual_add_f32 v4, v1, v3 :: v_dual_add_f32 v3, v2, v9
	s_wait_dscnt 0x0
	v_dual_add_f32 v2, v7, v10 :: v_dual_add_f32 v1, v8, v11
	v_cmpx_eq_u32_e32 64, v12
	s_cbranch_execz .LBB349_50
; %bb.49:
	v_lshl_add_u32 v7, v15, 7, v6
	s_delay_alu instid0(VALU_DEP_1)
	v_add_nc_u32_e32 v8, 0xffffff00, v7
	v_add_nc_u32_e32 v9, 0xffffff20, v7
	;; [unrolled: 1-line block ×4, first 2 shown]
	ds_store_b32 v8, v4
	ds_store_b32 v9, v3
	;; [unrolled: 1-line block ×4, first 2 shown]
.LBB349_50:
	s_wait_alu 0xfffe
	s_or_b32 exec_lo, exec_lo, s0
	v_and_b32_e32 v7, 0x3e0, v0
	v_lshlrev_b32_e32 v5, 2, v5
	s_mov_b32 s1, exec_lo
	v_cmp_eq_u32_e32 vcc_lo, 0, v21
	s_wait_loadcnt_dscnt 0x0
	v_lshlrev_b32_e32 v7, 2, v7
	s_barrier_signal -1
	s_barrier_wait -1
	global_inv scope:SCOPE_SE
	v_add3_u32 v5, 0x60, v7, v5
	v_cmpx_gt_u32_e32 64, v0
	s_cbranch_execz .LBB349_57
; %bb.51:
	s_and_saveexec_b32 s0, vcc_lo
	s_cbranch_execnz .LBB349_69
; %bb.52:
	s_wait_alu 0xfffe
	s_or_b32 exec_lo, exec_lo, s0
	s_and_saveexec_b32 s0, vcc_lo
	s_cbranch_execnz .LBB349_70
.LBB349_53:
	s_wait_alu 0xfffe
	s_or_b32 exec_lo, exec_lo, s0
	s_and_saveexec_b32 s0, vcc_lo
	s_cbranch_execnz .LBB349_71
.LBB349_54:
	s_wait_alu 0xfffe
	s_or_b32 exec_lo, exec_lo, s0
	s_and_saveexec_b32 s0, vcc_lo
	s_cbranch_execz .LBB349_56
.LBB349_55:
	ds_load_b32 v7, v5 offset:96
	s_wait_dscnt 0x0
	v_add_f32_e32 v1, v1, v7
.LBB349_56:
	s_wait_alu 0xfffe
	s_or_b32 exec_lo, exec_lo, s0
.LBB349_57:
	s_wait_alu 0xfffe
	s_or_b32 exec_lo, exec_lo, s1
	v_and_b32_e32 v7, 0x3e3, v0
	s_mov_b32 s1, exec_lo
	s_wait_loadcnt 0x0
	s_barrier_signal -1
	s_barrier_wait -1
	global_inv scope:SCOPE_SE
	v_cmpx_eq_u32_e32 32, v7
	s_cbranch_execz .LBB349_59
; %bb.58:
	ds_store_2addr_b32 v6, v4, v3 offset1:8
	ds_store_2addr_b32 v6, v2, v1 offset0:16 offset1:24
.LBB349_59:
	s_wait_alu 0xfffe
	s_or_b32 exec_lo, exec_lo, s1
	s_delay_alu instid0(SALU_CYCLE_1)
	s_mov_b32 s1, exec_lo
	s_wait_loadcnt_dscnt 0x0
	s_barrier_signal -1
	s_barrier_wait -1
	global_inv scope:SCOPE_SE
	v_cmpx_gt_u32_e32 32, v0
	s_cbranch_execz .LBB349_66
; %bb.60:
	s_and_saveexec_b32 s0, vcc_lo
	s_cbranch_execnz .LBB349_72
; %bb.61:
	s_wait_alu 0xfffe
	s_or_b32 exec_lo, exec_lo, s0
	s_and_saveexec_b32 s0, vcc_lo
	s_cbranch_execnz .LBB349_73
.LBB349_62:
	s_wait_alu 0xfffe
	s_or_b32 exec_lo, exec_lo, s0
	s_and_saveexec_b32 s0, vcc_lo
	s_cbranch_execnz .LBB349_74
.LBB349_63:
	s_wait_alu 0xfffe
	s_or_b32 exec_lo, exec_lo, s0
	s_and_saveexec_b32 s0, vcc_lo
	s_cbranch_execz .LBB349_65
.LBB349_64:
	ds_load_b32 v5, v5 offset:96
	s_wait_dscnt 0x0
	v_add_f32_e32 v1, v1, v5
.LBB349_65:
	s_wait_alu 0xfffe
	s_or_b32 exec_lo, exec_lo, s0
.LBB349_66:
	s_wait_alu 0xfffe
	s_or_b32 exec_lo, exec_lo, s1
	s_mov_b32 s1, 0
	s_wait_loadcnt 0x0
	s_barrier_signal -1
	s_barrier_wait -1
	global_inv scope:SCOPE_SE
	s_mov_b32 s0, exec_lo
	v_cmpx_eq_u32_e32 0, v7
	s_cbranch_execz .LBB349_68
; %bb.67:
	v_bfe_u32 v5, v4, 16, 1
	v_or_b32_e32 v6, 0x400000, v4
	v_bfe_u32 v7, v3, 16, 1
	v_cmp_u_f32_e32 vcc_lo, v4, v4
	v_bfe_u32 v8, v2, 16, 1
	v_add3_u32 v5, v5, v4, 0x7fff
	s_lshl_b32 s2, s10, 5
	v_or_b32_e32 v9, 0x400000, v2
	s_wait_kmcnt 0x0
	s_mul_i32 s4, s28, s34
	v_add3_u32 v8, v8, v2, 0x7fff
	s_wait_alu 0xfffd
	v_cndmask_b32_e32 v4, v5, v6, vcc_lo
	v_add3_u32 v6, v7, v3, 0x7fff
	v_or_b32_e32 v7, 0x400000, v3
	v_cmp_u_f32_e32 vcc_lo, v3, v3
	v_bfe_u32 v5, v1, 16, 1
	s_wait_alu 0xfffe
	s_ashr_i32 s3, s2, 31
	s_ashr_i32 s5, s4, 31
	s_wait_alu 0xfffe
	s_lshl_b64 s[2:3], s[2:3], 1
	s_wait_alu 0xfffd
	v_cndmask_b32_e32 v3, v6, v7, vcc_lo
	v_cmp_u_f32_e32 vcc_lo, v2, v2
	v_add3_u32 v5, v5, v1, 0x7fff
	v_or_b32_e32 v10, 0x400000, v1
	s_lshl_b64 s[4:5], s[4:5], 1
	s_wait_alu 0xfffe
	s_add_nc_u64 s[2:3], s[8:9], s[2:3]
	s_wait_alu 0xfffd
	v_cndmask_b32_e32 v2, v8, v9, vcc_lo
	v_cmp_u_f32_e32 vcc_lo, v1, v1
	v_lshrrev_b32_e32 v0, 1, v0
	s_lshl_b32 s0, s33, 6
	s_wait_alu 0xfffe
	s_add_nc_u64 s[2:3], s[2:3], s[4:5]
	s_wait_alu 0xfffe
	s_add_nc_u64 s[0:1], s[2:3], s[0:1]
	s_wait_alu 0xfffd
	v_cndmask_b32_e32 v1, v5, v10, vcc_lo
	s_clause 0x3
	global_store_d16_hi_b16 v0, v4, s[0:1]
	global_store_d16_hi_b16 v0, v3, s[0:1] offset:16
	global_store_d16_hi_b16 v0, v2, s[0:1] offset:32
	;; [unrolled: 1-line block ×3, first 2 shown]
.LBB349_68:
	s_nop 0
	s_sendmsg sendmsg(MSG_DEALLOC_VGPRS)
	s_endpgm
.LBB349_69:
	ds_load_b32 v7, v5
	s_wait_dscnt 0x0
	v_add_f32_e32 v4, v4, v7
	s_wait_alu 0xfffe
	s_or_b32 exec_lo, exec_lo, s0
	s_and_saveexec_b32 s0, vcc_lo
	s_cbranch_execz .LBB349_53
.LBB349_70:
	ds_load_b32 v7, v5 offset:32
	s_wait_dscnt 0x0
	v_add_f32_e32 v3, v3, v7
	s_wait_alu 0xfffe
	s_or_b32 exec_lo, exec_lo, s0
	s_and_saveexec_b32 s0, vcc_lo
	s_cbranch_execz .LBB349_54
.LBB349_71:
	ds_load_b32 v7, v5 offset:64
	s_wait_dscnt 0x0
	v_add_f32_e32 v2, v2, v7
	s_wait_alu 0xfffe
	s_or_b32 exec_lo, exec_lo, s0
	s_and_saveexec_b32 s0, vcc_lo
	s_cbranch_execnz .LBB349_55
	s_branch .LBB349_56
.LBB349_72:
	ds_load_b32 v6, v5
	s_wait_dscnt 0x0
	v_add_f32_e32 v4, v4, v6
	s_wait_alu 0xfffe
	s_or_b32 exec_lo, exec_lo, s0
	s_and_saveexec_b32 s0, vcc_lo
	s_cbranch_execz .LBB349_62
.LBB349_73:
	ds_load_b32 v6, v5 offset:32
	s_wait_dscnt 0x0
	v_add_f32_e32 v3, v3, v6
	s_wait_alu 0xfffe
	s_or_b32 exec_lo, exec_lo, s0
	s_and_saveexec_b32 s0, vcc_lo
	s_cbranch_execz .LBB349_63
.LBB349_74:
	ds_load_b32 v6, v5 offset:64
	s_wait_dscnt 0x0
	v_add_f32_e32 v2, v2, v6
	s_wait_alu 0xfffe
	s_or_b32 exec_lo, exec_lo, s0
	s_and_saveexec_b32 s0, vcc_lo
	s_cbranch_execnz .LBB349_64
	s_branch .LBB349_65
	.section	.rodata,"a",@progbits
	.p2align	6, 0x0
	.amdhsa_kernel _ZN4vllm25paged_attention_v2_kernelI14__hip_bfloat16hLi32ELi32ELi128ELNS_18Fp8KVCacheDataTypeE1ELb1ELi512EEEvPfS3_PT_PKS4_PKT0_SA_ifPKiSC_iPKfiiiSE_SE_iiiii
		.amdhsa_group_segment_fixed_size 96
		.amdhsa_private_segment_fixed_size 0
		.amdhsa_kernarg_size 400
		.amdhsa_user_sgpr_count 2
		.amdhsa_user_sgpr_dispatch_ptr 0
		.amdhsa_user_sgpr_queue_ptr 0
		.amdhsa_user_sgpr_kernarg_segment_ptr 1
		.amdhsa_user_sgpr_dispatch_id 0
		.amdhsa_user_sgpr_private_segment_size 0
		.amdhsa_wavefront_size32 1
		.amdhsa_uses_dynamic_stack 0
		.amdhsa_enable_private_segment 0
		.amdhsa_system_sgpr_workgroup_id_x 1
		.amdhsa_system_sgpr_workgroup_id_y 1
		.amdhsa_system_sgpr_workgroup_id_z 1
		.amdhsa_system_sgpr_workgroup_info 0
		.amdhsa_system_vgpr_workitem_id 0
		.amdhsa_next_free_vgpr 102
		.amdhsa_next_free_sgpr 61
		.amdhsa_reserve_vcc 1
		.amdhsa_float_round_mode_32 0
		.amdhsa_float_round_mode_16_64 0
		.amdhsa_float_denorm_mode_32 3
		.amdhsa_float_denorm_mode_16_64 3
		.amdhsa_fp16_overflow 0
		.amdhsa_workgroup_processor_mode 1
		.amdhsa_memory_ordered 1
		.amdhsa_forward_progress 1
		.amdhsa_inst_pref_size 100
		.amdhsa_round_robin_scheduling 0
		.amdhsa_exception_fp_ieee_invalid_op 0
		.amdhsa_exception_fp_denorm_src 0
		.amdhsa_exception_fp_ieee_div_zero 0
		.amdhsa_exception_fp_ieee_overflow 0
		.amdhsa_exception_fp_ieee_underflow 0
		.amdhsa_exception_fp_ieee_inexact 0
		.amdhsa_exception_int_div_zero 0
	.end_amdhsa_kernel
	.section	.text._ZN4vllm25paged_attention_v2_kernelI14__hip_bfloat16hLi32ELi32ELi128ELNS_18Fp8KVCacheDataTypeE1ELb1ELi512EEEvPfS3_PT_PKS4_PKT0_SA_ifPKiSC_iPKfiiiSE_SE_iiiii,"axG",@progbits,_ZN4vllm25paged_attention_v2_kernelI14__hip_bfloat16hLi32ELi32ELi128ELNS_18Fp8KVCacheDataTypeE1ELb1ELi512EEEvPfS3_PT_PKS4_PKT0_SA_ifPKiSC_iPKfiiiSE_SE_iiiii,comdat
.Lfunc_end349:
	.size	_ZN4vllm25paged_attention_v2_kernelI14__hip_bfloat16hLi32ELi32ELi128ELNS_18Fp8KVCacheDataTypeE1ELb1ELi512EEEvPfS3_PT_PKS4_PKT0_SA_ifPKiSC_iPKfiiiSE_SE_iiiii, .Lfunc_end349-_ZN4vllm25paged_attention_v2_kernelI14__hip_bfloat16hLi32ELi32ELi128ELNS_18Fp8KVCacheDataTypeE1ELb1ELi512EEEvPfS3_PT_PKS4_PKT0_SA_ifPKiSC_iPKfiiiSE_SE_iiiii
                                        ; -- End function
	.set _ZN4vllm25paged_attention_v2_kernelI14__hip_bfloat16hLi32ELi32ELi128ELNS_18Fp8KVCacheDataTypeE1ELb1ELi512EEEvPfS3_PT_PKS4_PKT0_SA_ifPKiSC_iPKfiiiSE_SE_iiiii.num_vgpr, 102
	.set _ZN4vllm25paged_attention_v2_kernelI14__hip_bfloat16hLi32ELi32ELi128ELNS_18Fp8KVCacheDataTypeE1ELb1ELi512EEEvPfS3_PT_PKS4_PKT0_SA_ifPKiSC_iPKfiiiSE_SE_iiiii.num_agpr, 0
	.set _ZN4vllm25paged_attention_v2_kernelI14__hip_bfloat16hLi32ELi32ELi128ELNS_18Fp8KVCacheDataTypeE1ELb1ELi512EEEvPfS3_PT_PKS4_PKT0_SA_ifPKiSC_iPKfiiiSE_SE_iiiii.numbered_sgpr, 61
	.set _ZN4vllm25paged_attention_v2_kernelI14__hip_bfloat16hLi32ELi32ELi128ELNS_18Fp8KVCacheDataTypeE1ELb1ELi512EEEvPfS3_PT_PKS4_PKT0_SA_ifPKiSC_iPKfiiiSE_SE_iiiii.num_named_barrier, 0
	.set _ZN4vllm25paged_attention_v2_kernelI14__hip_bfloat16hLi32ELi32ELi128ELNS_18Fp8KVCacheDataTypeE1ELb1ELi512EEEvPfS3_PT_PKS4_PKT0_SA_ifPKiSC_iPKfiiiSE_SE_iiiii.private_seg_size, 0
	.set _ZN4vllm25paged_attention_v2_kernelI14__hip_bfloat16hLi32ELi32ELi128ELNS_18Fp8KVCacheDataTypeE1ELb1ELi512EEEvPfS3_PT_PKS4_PKT0_SA_ifPKiSC_iPKfiiiSE_SE_iiiii.uses_vcc, 1
	.set _ZN4vllm25paged_attention_v2_kernelI14__hip_bfloat16hLi32ELi32ELi128ELNS_18Fp8KVCacheDataTypeE1ELb1ELi512EEEvPfS3_PT_PKS4_PKT0_SA_ifPKiSC_iPKfiiiSE_SE_iiiii.uses_flat_scratch, 0
	.set _ZN4vllm25paged_attention_v2_kernelI14__hip_bfloat16hLi32ELi32ELi128ELNS_18Fp8KVCacheDataTypeE1ELb1ELi512EEEvPfS3_PT_PKS4_PKT0_SA_ifPKiSC_iPKfiiiSE_SE_iiiii.has_dyn_sized_stack, 0
	.set _ZN4vllm25paged_attention_v2_kernelI14__hip_bfloat16hLi32ELi32ELi128ELNS_18Fp8KVCacheDataTypeE1ELb1ELi512EEEvPfS3_PT_PKS4_PKT0_SA_ifPKiSC_iPKfiiiSE_SE_iiiii.has_recursion, 0
	.set _ZN4vllm25paged_attention_v2_kernelI14__hip_bfloat16hLi32ELi32ELi128ELNS_18Fp8KVCacheDataTypeE1ELb1ELi512EEEvPfS3_PT_PKS4_PKT0_SA_ifPKiSC_iPKfiiiSE_SE_iiiii.has_indirect_call, 0
	.section	.AMDGPU.csdata,"",@progbits
; Kernel info:
; codeLenInByte = 12696
; TotalNumSgprs: 63
; NumVgprs: 102
; ScratchSize: 0
; MemoryBound: 0
; FloatMode: 240
; IeeeMode: 1
; LDSByteSize: 96 bytes/workgroup (compile time only)
; SGPRBlocks: 0
; VGPRBlocks: 12
; NumSGPRsForWavesPerEU: 63
; NumVGPRsForWavesPerEU: 102
; Occupancy: 12
; WaveLimiterHint : 1
; COMPUTE_PGM_RSRC2:SCRATCH_EN: 0
; COMPUTE_PGM_RSRC2:USER_SGPR: 2
; COMPUTE_PGM_RSRC2:TRAP_HANDLER: 0
; COMPUTE_PGM_RSRC2:TGID_X_EN: 1
; COMPUTE_PGM_RSRC2:TGID_Y_EN: 1
; COMPUTE_PGM_RSRC2:TGID_Z_EN: 1
; COMPUTE_PGM_RSRC2:TIDIG_COMP_CNT: 0
	.section	.text._ZN4vllm25paged_attention_v2_kernelI14__hip_bfloat16hLi64ELi32ELi128ELNS_18Fp8KVCacheDataTypeE1ELb1ELi512EEEvPfS3_PT_PKS4_PKT0_SA_ifPKiSC_iPKfiiiSE_SE_iiiii,"axG",@progbits,_ZN4vllm25paged_attention_v2_kernelI14__hip_bfloat16hLi64ELi32ELi128ELNS_18Fp8KVCacheDataTypeE1ELb1ELi512EEEvPfS3_PT_PKS4_PKT0_SA_ifPKiSC_iPKfiiiSE_SE_iiiii,comdat
	.protected	_ZN4vllm25paged_attention_v2_kernelI14__hip_bfloat16hLi64ELi32ELi128ELNS_18Fp8KVCacheDataTypeE1ELb1ELi512EEEvPfS3_PT_PKS4_PKT0_SA_ifPKiSC_iPKfiiiSE_SE_iiiii ; -- Begin function _ZN4vllm25paged_attention_v2_kernelI14__hip_bfloat16hLi64ELi32ELi128ELNS_18Fp8KVCacheDataTypeE1ELb1ELi512EEEvPfS3_PT_PKS4_PKT0_SA_ifPKiSC_iPKfiiiSE_SE_iiiii
	.globl	_ZN4vllm25paged_attention_v2_kernelI14__hip_bfloat16hLi64ELi32ELi128ELNS_18Fp8KVCacheDataTypeE1ELb1ELi512EEEvPfS3_PT_PKS4_PKT0_SA_ifPKiSC_iPKfiiiSE_SE_iiiii
	.p2align	8
	.type	_ZN4vllm25paged_attention_v2_kernelI14__hip_bfloat16hLi64ELi32ELi128ELNS_18Fp8KVCacheDataTypeE1ELb1ELi512EEEvPfS3_PT_PKS4_PKT0_SA_ifPKiSC_iPKfiiiSE_SE_iiiii,@function
_ZN4vllm25paged_attention_v2_kernelI14__hip_bfloat16hLi64ELi32ELi128ELNS_18Fp8KVCacheDataTypeE1ELb1ELi512EEEvPfS3_PT_PKS4_PKT0_SA_ifPKiSC_iPKfiiiSE_SE_iiiii: ; @_ZN4vllm25paged_attention_v2_kernelI14__hip_bfloat16hLi64ELi32ELi128ELNS_18Fp8KVCacheDataTypeE1ELb1ELi512EEEvPfS3_PT_PKS4_PKT0_SA_ifPKiSC_iPKfiiiSE_SE_iiiii
; %bb.0:
	s_load_b64 s[2:3], s[0:1], 0x40
	s_and_b32 s56, ttmp7, 0xffff
	s_lshr_b32 s33, ttmp7, 16
	s_lshl_b32 s4, s56, 2
	s_lshl_b32 s58, s33, 9
	s_wait_kmcnt 0x0
	s_load_b32 s54, s[2:3], s4 offset:0x0
	s_wait_kmcnt 0x0
	s_cmp_ge_i32 s58, s54
	s_cbranch_scc1 .LBB350_84
; %bb.1:
	s_clause 0x1
	s_load_b32 s57, s[0:1], 0x90
	s_load_b64 s[30:31], s[0:1], 0x30
	s_wait_kmcnt 0x0
	s_abs_i32 s5, s57
	s_abs_i32 s2, s30
	s_delay_alu instid0(SALU_CYCLE_1) | instskip(SKIP_1) | instid1(SALU_CYCLE_2)
	s_cvt_f32_u32 s3, s2
	s_sub_co_i32 s4, 0, s2
	v_rcp_iflag_f32_e32 v1, s3
	s_delay_alu instid0(TRANS32_DEP_1) | instskip(SKIP_2) | instid1(SALU_CYCLE_2)
	v_readfirstlane_b32 s3, v1
	s_mul_f32 s3, s3, 0x4f7ffffe
	s_wait_alu 0xfffe
	s_cvt_u32_f32 s3, s3
	s_wait_alu 0xfffe
	s_delay_alu instid0(SALU_CYCLE_2) | instskip(NEXT) | instid1(SALU_CYCLE_1)
	s_mul_i32 s4, s4, s3
	s_mul_hi_u32 s4, s3, s4
	s_delay_alu instid0(SALU_CYCLE_1)
	s_add_co_i32 s3, s3, s4
	s_xor_b32 s4, s57, s30
	s_wait_alu 0xfffe
	s_mul_hi_u32 s3, s5, s3
	s_ashr_i32 s4, s4, 31
	s_wait_alu 0xfffe
	s_mul_i32 s6, s3, s2
	s_delay_alu instid0(SALU_CYCLE_1)
	s_sub_co_i32 s5, s5, s6
	s_add_co_i32 s6, s3, 1
	s_sub_co_i32 s7, s5, s2
	s_cmp_ge_u32 s5, s2
	s_cselect_b32 s3, s6, s3
	s_cselect_b32 s5, s7, s5
	s_wait_alu 0xfffe
	s_add_co_i32 s6, s3, 1
	s_cmp_ge_u32 s5, s2
	s_cselect_b32 s2, s6, s3
	s_load_b64 s[6:7], s[0:1], 0x50
	s_xor_b32 s2, s2, s4
	s_mov_b32 s3, 0
	s_wait_alu 0xfffe
	s_sub_co_i32 s9, s2, s4
	s_mov_b32 s60, s3
	s_abs_i32 s8, s9
	s_delay_alu instid0(SALU_CYCLE_1) | instskip(SKIP_1) | instid1(SALU_CYCLE_2)
	s_cvt_f32_u32 s2, s8
	s_wait_alu 0xfffe
	v_rcp_iflag_f32_e32 v1, s2
	s_delay_alu instid0(TRANS32_DEP_1) | instskip(SKIP_2) | instid1(SALU_CYCLE_2)
	v_readfirstlane_b32 s2, v1
	s_mul_f32 s2, s2, 0x4f7ffffe
	s_wait_alu 0xfffe
	s_cvt_u32_f32 s4, s2
	s_sub_co_i32 s2, 0, s8
	s_wait_alu 0xfffe
	s_delay_alu instid0(SALU_CYCLE_1)
	s_mul_i32 s2, s2, s4
	s_wait_alu 0xfffe
	s_mul_hi_u32 s5, s4, s2
	s_abs_i32 s2, ttmp9
	s_add_co_i32 s4, s4, s5
	s_mov_b32 s5, s3
	s_wait_kmcnt 0x0
	s_cmp_eq_u64 s[6:7], 0
	s_cbranch_scc1 .LBB350_3
; %bb.2:
	s_mov_b32 s10, ttmp9
	s_ashr_i32 s11, ttmp9, 31
	s_delay_alu instid0(SALU_CYCLE_1) | instskip(NEXT) | instid1(SALU_CYCLE_1)
	s_lshl_b64 s[10:11], s[10:11], 2
	s_add_nc_u64 s[6:7], s[6:7], s[10:11]
	s_load_b32 s60, s[6:7], 0x0
.LBB350_3:
	s_load_b96 s[44:46], s[0:1], 0x58
	s_mul_u64 s[4:5], s[2:3], s[4:5]
	s_ashr_i32 s3, ttmp9, 31
	s_ashr_i32 s4, s9, 31
	s_lshl_b32 s34, ttmp9, 6
	s_mov_b32 s6, exec_lo
	v_cmpx_gt_u32_e32 8, v0
	s_cbranch_execz .LBB350_5
; %bb.4:
	s_load_b64 s[10:11], s[0:1], 0x18
	s_wait_kmcnt 0x0
	s_mul_i32 s12, s44, s56
	s_ashr_i32 s35, s34, 31
	s_ashr_i32 s13, s12, 31
	v_lshlrev_b32_e32 v5, 4, v0
	s_lshl_b64 s[12:13], s[12:13], 1
	s_delay_alu instid0(SALU_CYCLE_1) | instskip(SKIP_1) | instid1(SALU_CYCLE_1)
	s_add_nc_u64 s[10:11], s[10:11], s[12:13]
	s_lshl_b64 s[12:13], s[34:35], 1
	s_add_nc_u64 s[10:11], s[10:11], s[12:13]
	global_load_b128 v[1:4], v5, s[10:11]
	s_wait_loadcnt 0x0
	ds_store_b128 v5, v[1:4]
.LBB350_5:
	s_or_b32 exec_lo, exec_lo, s6
	s_clause 0x1
	s_load_b128 s[40:43], s[0:1], 0x78
	s_load_b32 s7, s[0:1], 0x88
	s_mul_i32 s6, s5, s8
	s_xor_b32 s3, s3, s4
	s_sub_co_i32 s2, s2, s6
	s_add_co_i32 s4, s5, 1
	s_wait_alu 0xfffe
	s_sub_co_i32 s6, s2, s8
	s_cmp_ge_u32 s2, s8
	s_mov_b32 s9, -1
	s_cselect_b32 s4, s4, s5
	s_cselect_b32 s2, s6, s2
	s_add_co_i32 s5, s4, 1
	s_wait_alu 0xfffe
	s_cmp_ge_u32 s2, s8
	s_wait_dscnt 0x0
	s_cselect_b32 s2, s5, s4
	s_add_co_i32 s8, s54, -1
	s_wait_alu 0xfffe
	s_xor_b32 s2, s2, s3
	s_barrier_signal -1
	s_wait_alu 0xfffe
	s_sub_co_i32 s6, s2, s3
	s_barrier_wait -1
	s_wait_kmcnt 0x0
	s_abs_i32 s44, s43
	global_inv scope:SCOPE_SE
	s_cvt_f32_u32 s4, s44
                                        ; implicit-def: $sgpr55
	s_delay_alu instid0(SALU_CYCLE_3) | instskip(NEXT) | instid1(TRANS32_DEP_1)
	v_rcp_iflag_f32_e32 v1, s4
	v_readfirstlane_b32 s4, v1
	s_mul_f32 s2, s4, 0x4f7ffffe
	s_wait_alu 0xfffe
	s_delay_alu instid0(SALU_CYCLE_2) | instskip(SKIP_2) | instid1(SALU_CYCLE_1)
	s_cvt_u32_f32 s4, s2
	s_sub_co_i32 s2, 0, s44
	s_wait_alu 0xfffe
	s_mul_i32 s3, s2, s4
	s_abs_i32 s2, s8
	s_wait_alu 0xfffe
	s_mul_hi_u32 s5, s4, s3
	s_mov_b32 s3, 0
	s_wait_alu 0xfffe
	s_add_co_i32 s48, s4, s5
	s_cmp_lt_i32 s7, 0
	s_mov_b32 s49, s3
	s_cbranch_scc0 .LBB350_7
; %bb.6:
	s_mul_i32 s4, s40, s30
	s_mov_b32 s9, s3
	s_wait_alu 0xfffe
	s_add_co_i32 s4, s6, s4
	s_wait_alu 0xfffe
	s_mul_i32 s4, s4, s7
	s_wait_alu 0xfffe
	s_sub_co_i32 s55, 1, s4
.LBB350_7:
	s_mul_u64 s[4:5], s[2:3], s[48:49]
	s_ashr_i32 s3, s8, 31
	s_and_not1_b32 vcc_lo, exec_lo, s9
	s_ashr_i32 s43, s43, 31
	s_cbranch_vccnz .LBB350_9
; %bb.8:
	s_mul_i32 s4, s57, s40
	s_wait_alu 0xfffe
	s_add_co_i32 s4, s4, ttmp9
	s_wait_alu 0xfffe
	s_mul_i32 s4, s4, s7
	s_wait_alu 0xfffe
	s_add_co_i32 s55, s4, 1
.LBB350_9:
	s_clause 0x3
	s_load_b32 s4, s[0:1], 0x48
	s_load_b64 s[50:51], s[0:1], 0x38
	s_load_b32 s35, s[0:1], 0x98
	s_load_b128 s[36:39], s[0:1], 0x68
	s_mul_i32 s7, s5, s44
	s_xor_b32 s3, s3, s43
	s_sub_co_i32 s2, s2, s7
	s_add_co_i32 s8, s5, 1
	v_lshrrev_b32_e32 v15, 5, v0
	v_dual_mov_b32 v67, 0xff7fffff :: v_dual_and_b32 v16, 31, v0
	s_mul_i32 s46, s6, s46
	s_delay_alu instid0(VALU_DEP_2) | instskip(NEXT) | instid1(VALU_DEP_2)
	v_lshl_add_u32 v17, v15, 5, s58
	v_lshlrev_b32_e32 v21, 2, v16
	s_wait_kmcnt 0x0
	s_mul_i32 s52, s4, s56
	s_wait_alu 0xfffe
	s_sub_co_i32 s4, s2, s44
	s_ashr_i32 s53, s52, 31
	s_cmp_ge_u32 s2, s44
	s_cselect_b32 s5, s8, s5
	s_wait_alu 0xfffe
	s_cselect_b32 s2, s4, s2
	s_add_co_i32 s4, s5, 1
	s_wait_alu 0xfffe
	s_cmp_ge_u32 s2, s44
	s_cselect_b32 s2, s4, s5
	s_add_co_i32 s4, s54, 31
	s_lshl_b32 s61, s33, 4
	s_wait_alu 0xfffe
	s_ashr_i32 s5, s4, 31
	v_add_nc_u32_e32 v18, s61, v15
	s_wait_alu 0xfffe
	s_lshr_b32 s5, s5, 27
	s_wait_alu 0xfffe
	s_add_co_i32 s4, s4, s5
	s_add_co_i32 s5, s61, 16
	s_wait_alu 0xfffe
	s_ashr_i32 s49, s4, 5
	s_xor_b32 s4, s2, s3
	s_min_i32 s40, s5, s49
	v_lshlrev_b32_e32 v23, 2, v18
	v_cmp_gt_i32_e64 s2, s40, v18
	s_wait_alu 0xfffe
	s_sub_co_i32 s59, s4, s3
	s_and_saveexec_b32 s62, s2
	s_cbranch_execz .LBB350_17
; %bb.10:
	v_mov_b32_e32 v63, 0
	s_load_b64 s[4:5], s[0:1], 0x20
	s_sub_co_i32 s63, s59, s41
	s_ashr_i32 s47, s46, 31
	v_dual_mov_b32 v90, v18 :: v_dual_lshlrev_b32 v9, 4, v16
	ds_load_b128 v[1:4], v63
	ds_load_b128 v[5:8], v63 offset:16
	s_cmp_neq_f32 s60, 0
	v_lshl_add_u32 v86, v15, 5, s58
	s_mov_b32 s64, s45
	s_mov_b32 s65, 0
	s_cselect_b32 vcc_lo, -1, 0
	v_mov_b32_e32 v89, 0xff7fffff
	v_mov_b32_e32 v67, 0xff7fffff
	s_wait_kmcnt 0x0
	s_add_nc_u64 s[4:5], s[4:5], s[46:47]
	s_abs_i32 s47, s42
	s_wait_alu 0xfffe
	v_add_co_u32 v9, s3, s4, v9
	s_wait_dscnt 0x1
	v_lshlrev_b32_e32 v19, 16, v1
	v_and_b32_e32 v20, 0xffff0000, v1
	ds_load_b128 v[11:14], v63 offset:32
	ds_load_b128 v[49:52], v63 offset:48
	v_lshlrev_b32_e32 v22, 16, v2
	v_and_b32_e32 v24, 0xffff0000, v2
	v_lshlrev_b32_e32 v25, 16, v3
	v_and_b32_e32 v26, 0xffff0000, v3
	;; [unrolled: 2-line block ×3, first 2 shown]
	ds_load_b128 v[1:4], v63 offset:64
	s_wait_dscnt 0x3
	v_lshlrev_b32_e32 v29, 16, v5
	v_and_b32_e32 v30, 0xffff0000, v5
	v_lshlrev_b32_e32 v31, 16, v6
	v_and_b32_e32 v32, 0xffff0000, v6
	;; [unrolled: 2-line block ×4, first 2 shown]
	ds_load_b128 v[5:8], v63 offset:80
	s_wait_alu 0xf1ff
	v_add_co_ci_u32_e64 v10, null, s5, 0, s3
	s_cvt_f32_u32 s3, s47
	s_wait_dscnt 0x3
	v_lshlrev_b32_e32 v37, 16, v11
	v_and_b32_e32 v38, 0xffff0000, v11
	v_lshlrev_b32_e32 v39, 16, v12
	v_and_b32_e32 v40, 0xffff0000, v12
	;; [unrolled: 2-line block ×4, first 2 shown]
	s_wait_dscnt 0x1
	v_lshlrev_b32_e32 v53, 16, v1
	v_and_b32_e32 v54, 0xffff0000, v1
	v_lshlrev_b32_e32 v55, 16, v2
	ds_load_b128 v[11:14], v63 offset:96
	v_and_b32_e32 v56, 0xffff0000, v2
	v_lshlrev_b32_e32 v57, 16, v3
	v_and_b32_e32 v58, 0xffff0000, v3
	v_lshlrev_b32_e32 v59, 16, v4
	v_and_b32_e32 v60, 0xffff0000, v4
	ds_load_b128 v[1:4], v63 offset:112
	s_wait_dscnt 0x2
	v_lshlrev_b32_e32 v61, 16, v5
	v_and_b32_e32 v62, 0xffff0000, v5
	s_wait_alu 0xfffe
	v_rcp_iflag_f32_e32 v5, s3
	s_lshl_b64 s[4:5], s[52:53], 2
	s_sub_co_i32 s6, 0, s47
	s_wait_alu 0xfffe
	s_add_nc_u64 s[4:5], s[50:51], s[4:5]
	v_lshlrev_b32_e32 v45, 16, v49
	v_and_b32_e32 v46, 0xffff0000, v49
	v_lshlrev_b32_e32 v47, 16, v50
	v_and_b32_e32 v48, 0xffff0000, v50
	;; [unrolled: 2-line block ×3, first 2 shown]
	v_readfirstlane_b32 s3, v5
	s_wait_dscnt 0x1
	v_lshlrev_b32_e32 v70, 16, v11
	v_and_b32_e32 v71, 0xffff0000, v11
	s_wait_alu 0xfffe
	v_add_co_u32 v11, s4, s4, v23
	s_mul_f32 s3, s3, 0x4f7ffffe
	v_lshlrev_b32_e32 v51, 16, v52
	s_wait_dscnt 0x0
	v_lshlrev_b32_e32 v78, 16, v1
	v_and_b32_e32 v79, 0xffff0000, v1
	v_lshlrev_b32_e32 v80, 16, v2
	v_and_b32_e32 v81, 0xffff0000, v2
	s_wait_alu 0xfffe
	s_cvt_u32_f32 s3, s3
	v_subrev_nc_u32_e32 v1, s54, v16
	v_lshl_or_b32 v2, v15, 7, v21
	v_and_b32_e32 v52, 0xffff0000, v52
	s_wait_alu 0xfffe
	s_mul_i32 s6, s6, s3
	v_lshlrev_b32_e32 v63, 16, v6
	v_and_b32_e32 v64, 0xffff0000, v6
	v_lshlrev_b32_e32 v65, 16, v7
	v_and_b32_e32 v66, 0xffff0000, v7
	;; [unrolled: 2-line block ×8, first 2 shown]
	v_add_co_ci_u32_e64 v12, null, s5, 0, s4
	v_add_nc_u32_e32 v87, 1, v1
	v_add_nc_u32_e32 v88, 0xa0, v2
	s_mul_hi_u32 s4, s3, s6
	s_wait_alu 0xfffe
	s_add_co_i32 s66, s3, s4
	s_branch .LBB350_12
.LBB350_11:                             ;   in Loop: Header=BB350_12 Depth=1
	s_wait_alu 0xfffe
	s_or_b32 exec_lo, exec_lo, s67
	v_add_nc_u32_e32 v90, 4, v90
	v_add_co_u32 v11, s4, v11, 16
	s_wait_alu 0xf1ff
	v_add_co_ci_u32_e64 v12, null, 0, v12, s4
	s_delay_alu instid0(VALU_DEP_3)
	v_cmp_le_i32_e64 s3, s40, v90
	v_add_nc_u32_e32 v86, 0x80, v86
	v_add_nc_u32_e32 v88, 0x200, v88
	s_or_b32 s65, s3, s65
	s_wait_alu 0xfffe
	s_and_not1_b32 exec_lo, exec_lo, s65
	s_cbranch_execz .LBB350_16
.LBB350_12:                             ; =>This Inner Loop Header: Depth=1
	v_sub_nc_u32_e32 v1, 0, v86
	s_delay_alu instid0(VALU_DEP_1) | instskip(NEXT) | instid1(VALU_DEP_1)
	v_max_i32_e32 v1, v86, v1
	v_mul_hi_u32 v2, v1, s48
	s_delay_alu instid0(VALU_DEP_1) | instskip(NEXT) | instid1(VALU_DEP_1)
	v_mul_lo_u32 v3, v2, s44
	v_sub_nc_u32_e32 v1, v1, v3
	v_add_nc_u32_e32 v3, 1, v2
	s_delay_alu instid0(VALU_DEP_2) | instskip(SKIP_2) | instid1(VALU_DEP_1)
	v_subrev_nc_u32_e32 v4, s44, v1
	v_cmp_le_u32_e64 s3, s44, v1
	s_wait_alu 0xf1ff
	v_cndmask_b32_e64 v2, v2, v3, s3
	s_delay_alu instid0(VALU_DEP_3) | instskip(SKIP_1) | instid1(VALU_DEP_3)
	v_cndmask_b32_e64 v1, v1, v4, s3
	v_ashrrev_i32_e32 v3, 31, v86
	v_add_nc_u32_e32 v4, 1, v2
	s_delay_alu instid0(VALU_DEP_3) | instskip(NEXT) | instid1(VALU_DEP_3)
	v_cmp_le_u32_e64 s3, s44, v1
	v_xor_b32_e32 v3, s43, v3
	s_wait_alu 0xf1ff
	s_delay_alu instid0(VALU_DEP_2) | instskip(NEXT) | instid1(VALU_DEP_1)
	v_cndmask_b32_e64 v1, v2, v4, s3
	v_xor_b32_e32 v1, v1, v3
	s_delay_alu instid0(VALU_DEP_1) | instskip(NEXT) | instid1(VALU_DEP_1)
	v_sub_nc_u32_e32 v1, v1, v3
	v_add_nc_u32_e32 v2, s55, v1
	v_cmp_ge_i32_e64 s4, s63, v1
	s_delay_alu instid0(VALU_DEP_2) | instskip(NEXT) | instid1(VALU_DEP_1)
	v_sub_nc_u32_e32 v3, 0, v2
	v_max_i32_e32 v3, v2, v3
	v_ashrrev_i32_e32 v2, 31, v2
	s_delay_alu instid0(VALU_DEP_2) | instskip(NEXT) | instid1(VALU_DEP_1)
	v_mul_hi_u32 v4, v3, s66
	v_mul_lo_u32 v4, v4, s47
	s_delay_alu instid0(VALU_DEP_1) | instskip(NEXT) | instid1(VALU_DEP_1)
	v_sub_nc_u32_e32 v3, v3, v4
	v_subrev_nc_u32_e32 v4, s47, v3
	v_cmp_le_u32_e64 s3, s47, v3
	s_wait_alu 0xf1ff
	s_delay_alu instid0(VALU_DEP_1) | instskip(NEXT) | instid1(VALU_DEP_1)
	v_cndmask_b32_e64 v3, v3, v4, s3
	v_subrev_nc_u32_e32 v4, s47, v3
	v_cmp_le_u32_e64 s3, s47, v3
	s_wait_alu 0xf1ff
	s_delay_alu instid0(VALU_DEP_1) | instskip(NEXT) | instid1(VALU_DEP_1)
	v_cndmask_b32_e64 v3, v3, v4, s3
	v_xor_b32_e32 v3, v3, v2
	s_delay_alu instid0(VALU_DEP_1) | instskip(NEXT) | instid1(VALU_DEP_1)
	v_sub_nc_u32_e32 v2, v3, v2
	v_cmp_ne_u32_e64 s3, 0, v2
	s_and_b32 s3, s3, s4
	s_wait_alu 0xfffe
	s_and_saveexec_b32 s4, s3
	s_wait_alu 0xfffe
	s_xor_b32 s3, exec_lo, s4
; %bb.13:                               ;   in Loop: Header=BB350_12 Depth=1
	ds_store_b32 v88, v89
; %bb.14:                               ;   in Loop: Header=BB350_12 Depth=1
	s_wait_alu 0xfffe
	s_and_not1_saveexec_b32 s67, s3
	s_cbranch_execz .LBB350_11
; %bb.15:                               ;   in Loop: Header=BB350_12 Depth=1
	global_load_b32 v1, v[11:12], off
	s_wait_loadcnt 0x0
	v_mad_co_i64_i32 v[13:14], null, v1, s64, v[9:10]
	s_clause 0x3
	global_load_b128 v[1:4], v[13:14], off
	global_load_b128 v[5:8], v[13:14], off offset:512
	global_load_b128 v[118:121], v[13:14], off offset:1024
	;; [unrolled: 1-line block ×3, first 2 shown]
	s_load_b32 s68, s[36:37], 0x0
	s_wait_loadcnt 0x3
	v_bfe_u32 v112, v2, 8, 8
	s_wait_loadcnt 0x2
	v_bfe_u32 v139, v7, 16, 8
	v_lshrrev_b32_e32 v140, 24, v7
	v_lshrrev_b32_e32 v144, 24, v8
	s_wait_loadcnt 0x1
	v_lshrrev_b32_e32 v148, 24, v118
	v_and_b32_e32 v132, 0xff, v119
	v_bfe_u32 v131, v119, 8, 8
	v_bfe_u32 v130, v119, 16, 8
	v_bfe_u32 v96, v6, 8, 8
	v_bfe_u32 v95, v6, 16, 8
	v_lshrrev_b32_e32 v137, 24, v6
	v_and_b32_e32 v94, 0xff, v7
	v_bfe_u32 v138, v7, 8, 8
	v_bfe_u32 v142, v8, 8, 8
	;; [unrolled: 1-line block ×5, first 2 shown]
	s_wait_loadcnt 0x0
	v_bfe_u32 v7, v135, 8, 8
	v_lshrrev_b32_e32 v13, 24, v135
	v_bfe_u32 v91, v136, 8, 8
	v_bfe_u32 v92, v136, 16, 8
	v_lshrrev_b32_e32 v93, 24, v136
	v_cvt_f32_fp8_e32 v132, v132
	v_and_b32_e32 v97, 0xff, v6
	v_cvt_f32_fp8_e32 v131, v131
	v_and_b32_e32 v14, 0xff, v136
	v_cvt_f32_fp8_e32 v136, v140
	v_cvt_f32_fp8_e32 v140, v144
	;; [unrolled: 1-line block ×3, first 2 shown]
	v_and_b32_e32 v6, 0xff, v135
	v_cvt_f32_fp8_e32 v130, v130
	v_and_b32_e32 v141, 0xff, v8
	v_bfe_u32 v8, v135, 16, 8
	v_cvt_f32_fp8_e32 v135, v139
	v_and_b32_e32 v128, 0xff, v120
	s_wait_kmcnt 0x0
	v_dual_mul_f32 v136, s68, v136 :: v_dual_and_b32 v113, 0xff, v2
	v_bfe_u32 v111, v2, 16, 8
	v_lshrrev_b32_e32 v110, 24, v2
	v_and_b32_e32 v109, 0xff, v3
	v_bfe_u32 v108, v3, 8, 8
	v_bfe_u32 v107, v3, 16, 8
	v_lshrrev_b32_e32 v106, 24, v3
	v_bfe_u32 v104, v4, 8, 8
	v_bfe_u32 v103, v4, 16, 8
	v_lshrrev_b32_e32 v102, 24, v4
	v_dual_mul_f32 v148, s68, v140 :: v_dual_and_b32 v101, 0xff, v5
	v_bfe_u32 v100, v5, 8, 8
	v_bfe_u32 v99, v5, 16, 8
	v_lshrrev_b32_e32 v98, 24, v5
	v_lshrrev_b32_e32 v129, 24, v119
	v_bfe_u32 v127, v120, 8, 8
	v_bfe_u32 v126, v120, 16, 8
	v_lshrrev_b32_e32 v125, 24, v120
	v_and_b32_e32 v2, 0xff, v134
	v_bfe_u32 v3, v134, 8, 8
	v_lshrrev_b32_e32 v5, 24, v134
	v_cvt_f32_fp8_e32 v139, v143
	v_and_b32_e32 v124, 0xff, v121
	v_cvt_f32_fp8_e32 v143, v147
	v_and_b32_e32 v105, 0xff, v4
	v_bfe_u32 v4, v134, 16, 8
	v_cvt_f32_fp8_e32 v134, v138
	v_cvt_f32_fp8_e32 v138, v142
	;; [unrolled: 1-line block ×3, first 2 shown]
	v_mul_f32_e32 v135, s68, v135
	v_cvt_f32_fp8_e32 v128, v128
	v_and_b32_e32 v145, 0xff, v118
	v_dual_mul_f32 v134, s68, v134 :: v_dual_and_b32 v117, 0xff, v1
	v_bfe_u32 v116, v1, 8, 8
	v_bfe_u32 v115, v1, 16, 8
	v_lshrrev_b32_e32 v114, 24, v1
	v_bfe_u32 v123, v121, 8, 8
	v_bfe_u32 v122, v121, 16, 8
	v_lshrrev_b32_e32 v121, 24, v121
	v_dual_mul_f32 v149, s68, v142 :: v_dual_and_b32 v120, 0xff, v133
	v_bfe_u32 v119, v133, 8, 8
	v_bfe_u32 v118, v133, 16, 8
	v_lshrrev_b32_e32 v1, 24, v133
	v_cvt_f32_fp8_e32 v133, v137
	v_cvt_f32_fp8_e32 v129, v129
	;; [unrolled: 1-line block ×5, first 2 shown]
	v_mul_f32_e32 v147, s68, v139
	v_cvt_f32_fp8_e32 v124, v124
	v_dual_mul_f32 v150, s68, v143 :: v_dual_mul_f32 v151, s68, v144
	v_mul_f32_e32 v154, s68, v130
	v_cvt_f32_fp8_e32 v137, v141
	v_mul_f32_e32 v156, s68, v128
	v_cvt_f32_fp8_e32 v141, v145
	v_cvt_f32_fp8_e32 v123, v123
	;; [unrolled: 1-line block ×6, first 2 shown]
	v_dual_mul_f32 v145, s68, v137 :: v_dual_mul_f32 v146, s68, v138
	v_dual_mul_f32 v141, s68, v141 :: v_dual_mul_f32 v152, s68, v132
	v_mul_f32_e32 v153, s68, v131
	v_dual_mul_f32 v155, s68, v129 :: v_dual_mul_f32 v158, s68, v127
	v_dual_mul_f32 v159, s68, v126 :: v_dual_mul_f32 v160, s68, v125
	;; [unrolled: 1-line block ×3, first 2 shown]
	v_bfe_u32 v143, v147, 16, 1
	v_bfe_u32 v144, v148, 16, 1
	;; [unrolled: 1-line block ×5, first 2 shown]
	v_cvt_f32_fp8_e32 v118, v118
	v_mul_f32_e32 v133, s68, v133
	v_dual_mul_f32 v163, s68, v122 :: v_dual_mul_f32 v164, s68, v121
	v_bfe_u32 v131, v134, 16, 1
	v_bfe_u32 v132, v135, 16, 1
	v_bfe_u32 v139, v136, 16, 1
	v_bfe_u32 v140, v145, 16, 1
	v_bfe_u32 v142, v146, 16, 1
	v_or_b32_e32 v123, 0x400000, v147
	v_or_b32_e32 v124, 0x400000, v148
	v_bfe_u32 v157, v141, 16, 1
	v_or_b32_e32 v126, 0x400000, v149
	v_bfe_u32 v172, v152, 16, 1
	v_bfe_u32 v173, v153, 16, 1
	v_add3_u32 v143, v143, v147, 0x7fff
	v_cmp_u_f32_e64 s8, v147, v147
	v_add3_u32 v144, v144, v148, 0x7fff
	v_cmp_u_f32_e64 s9, v148, v148
	v_bfe_u32 v177, v158, 16, 1
	v_add3_u32 v147, v165, v149, 0x7fff
	v_cmp_u_f32_e64 s11, v149, v149
	v_bfe_u32 v165, v159, 16, 1
	v_add3_u32 v148, v167, v150, 0x7fff
	v_add3_u32 v149, v169, v151, 0x7fff
	v_bfe_u32 v167, v160, 16, 1
	v_bfe_u32 v169, v161, 16, 1
	v_cvt_f32_fp8_e32 v117, v117
	v_mul_f32_e32 v166, s68, v120
	v_cvt_f32_fp8_e32 v113, v113
	v_mul_f32_e32 v168, s68, v119
	v_bfe_u32 v130, v133, 16, 1
	v_or_b32_e32 v119, 0x400000, v135
	v_or_b32_e32 v120, 0x400000, v136
	;; [unrolled: 1-line block ×6, first 2 shown]
	v_add3_u32 v137, v131, v134, 0x7fff
	v_cmp_u_f32_e64 s3, v134, v134
	v_bfe_u32 v175, v154, 16, 1
	v_add3_u32 v138, v132, v135, 0x7fff
	v_cmp_u_f32_e64 s4, v135, v135
	v_add3_u32 v139, v139, v136, 0x7fff
	v_cmp_u_f32_e64 s5, v136, v136
	v_bfe_u32 v176, v155, 16, 1
	v_add3_u32 v140, v140, v145, 0x7fff
	v_cmp_u_f32_e64 s6, v145, v145
	;; [unrolled: 5-line block ×3, first 2 shown]
	v_or_b32_e32 v135, 0x400000, v159
	v_add3_u32 v150, v172, v152, 0x7fff
	v_cmp_u_f32_e64 s14, v152, v152
	v_or_b32_e32 v136, 0x400000, v160
	v_add3_u32 v152, v173, v153, 0x7fff
	v_bfe_u32 v172, v162, 16, 1
	v_add3_u32 v157, v177, v158, 0x7fff
	v_cmp_u_f32_e64 s19, v158, v158
	v_bfe_u32 v173, v163, 16, 1
	v_cmp_u_f32_e64 s20, v159, v159
	v_cmp_u_f32_e64 s21, v160, v160
	v_mul_f32_e32 v117, s68, v117
	v_cvt_f32_fp8_e32 v115, v115
	v_mul_f32_e32 v170, s68, v118
	v_or_b32_e32 v118, 0x400000, v134
	v_or_b32_e32 v134, 0x400000, v158
	v_add3_u32 v158, v165, v159, 0x7fff
	v_add3_u32 v159, v167, v160, 0x7fff
	v_bfe_u32 v165, v164, 16, 1
	v_add3_u32 v160, v169, v161, 0x7fff
	v_bfe_u32 v167, v166, 16, 1
	v_mul_f32_e32 v113, s68, v113
	v_bfe_u32 v169, v168, 16, 1
	v_or_b32_e32 v171, 0x400000, v133
	v_or_b32_e32 v125, 0x400000, v141
	;; [unrolled: 1-line block ×3, first 2 shown]
	v_add3_u32 v174, v130, v133, 0x7fff
	v_cmp_u_f32_e64 s29, v133, v133
	v_or_b32_e32 v130, 0x400000, v153
	v_or_b32_e32 v131, 0x400000, v154
	;; [unrolled: 1-line block ×4, first 2 shown]
	v_cmp_u_f32_e64 s10, v141, v141
	v_cmp_u_f32_e64 s13, v151, v151
	v_cmp_u_f32_e64 s15, v153, v153
	v_add3_u32 v153, v175, v154, 0x7fff
	v_cmp_u_f32_e64 s16, v154, v154
	v_or_b32_e32 v141, 0x400000, v161
	v_add3_u32 v154, v176, v155, 0x7fff
	v_cmp_u_f32_e64 s17, v155, v155
	v_add3_u32 v155, v146, v156, 0x7fff
	v_cmp_u_f32_e64 s18, v156, v156
	v_or_b32_e32 v146, 0x400000, v162
	v_or_b32_e32 v151, 0x400000, v163
	v_cmp_u_f32_e64 s22, v161, v161
	v_or_b32_e32 v156, 0x400000, v164
	v_add3_u32 v161, v172, v162, 0x7fff
	v_cmp_u_f32_e64 s23, v162, v162
	v_add3_u32 v162, v173, v163, 0x7fff
	v_cmp_u_f32_e64 s24, v163, v163
	;; [unrolled: 2-line block ×3, first 2 shown]
	v_or_b32_e32 v164, 0x400000, v166
	v_add3_u32 v165, v167, v166, 0x7fff
	v_cmp_u_f32_e64 s26, v166, v166
	v_or_b32_e32 v166, 0x400000, v168
	v_add3_u32 v167, v169, v168, 0x7fff
	v_cmp_u_f32_e64 s27, v168, v168
	v_mul_f32_e32 v115, s68, v115
	v_bfe_u32 v168, v170, 16, 1
	v_or_b32_e32 v169, 0x400000, v170
	v_cmp_u_f32_e64 s28, v170, v170
	v_cvt_f32_fp8_e32 v116, v116
	v_or_b32_e32 v172, 0x400000, v117
	v_add3_u32 v168, v168, v170, 0x7fff
	v_bfe_u32 v170, v117, 16, 1
	v_cmp_u_f32_e64 s30, v117, v117
	v_cvt_f32_fp8_e32 v111, v111
	v_mul_f32_e32 v116, s68, v116
	v_cvt_f32_fp8_e32 v114, v114
	v_add3_u32 v170, v170, v117, 0x7fff
	v_cvt_f32_fp8_e32 v109, v109
	v_mul_f32_e32 v111, s68, v111
	v_cvt_f32_fp8_e32 v112, v112
	v_mul_f32_e32 v114, s68, v114
	s_wait_alu 0xf1ff
	v_cndmask_b32_e64 v117, v170, v172, s30
	v_bfe_u32 v170, v116, 16, 1
	v_or_b32_e32 v172, 0x400000, v116
	v_cmp_u_f32_e64 s30, v116, v116
	v_mul_f32_e32 v109, s68, v109
	v_cvt_f32_fp8_e32 v107, v107
	v_add3_u32 v170, v170, v116, 0x7fff
	v_mul_f32_e32 v112, s68, v112
	v_cvt_f32_fp8_e32 v110, v110
	v_cvt_f32_fp8_e32 v105, v105
	v_mul_f32_e32 v107, s68, v107
	s_wait_alu 0xf1ff
	v_cndmask_b32_e64 v116, v170, v172, s30
	v_bfe_u32 v170, v115, 16, 1
	v_or_b32_e32 v172, 0x400000, v115
	v_cmp_u_f32_e64 s30, v115, v115
	v_dual_mul_f32 v110, s68, v110 :: v_dual_mul_f32 v105, s68, v105
	s_delay_alu instid0(VALU_DEP_4)
	v_add3_u32 v170, v170, v115, 0x7fff
	v_cvt_f32_fp8_e32 v108, v108
	v_cvt_f32_fp8_e32 v103, v103
	;; [unrolled: 1-line block ×4, first 2 shown]
	s_wait_alu 0xf1ff
	v_cndmask_b32_e64 v115, v170, v172, s30
	v_bfe_u32 v170, v114, 16, 1
	v_or_b32_e32 v172, 0x400000, v114
	v_cmp_u_f32_e64 s30, v114, v114
	v_dual_mul_f32 v108, s68, v108 :: v_dual_mul_f32 v103, s68, v103
	s_delay_alu instid0(VALU_DEP_4)
	v_add3_u32 v170, v170, v114, 0x7fff
	v_dual_mul_f32 v106, s68, v106 :: v_dual_mul_f32 v101, s68, v101
	v_cvt_f32_fp8_e32 v104, v104
	v_cvt_f32_fp8_e32 v99, v99
	s_wait_alu 0xf1ff
	v_cndmask_b32_e64 v114, v170, v172, s30
	v_bfe_u32 v170, v113, 16, 1
	v_or_b32_e32 v172, 0x400000, v113
	v_cmp_u_f32_e64 s30, v113, v113
	v_dual_mul_f32 v104, s68, v104 :: v_dual_mul_f32 v99, s68, v99
	s_delay_alu instid0(VALU_DEP_4)
	v_add3_u32 v170, v170, v113, 0x7fff
	v_cvt_f32_fp8_e32 v102, v102
	v_cvt_f32_fp8_e32 v97, v97
	;; [unrolled: 1-line block ×4, first 2 shown]
	s_wait_alu 0xf1ff
	v_cndmask_b32_e64 v113, v170, v172, s30
	v_bfe_u32 v170, v112, 16, 1
	v_or_b32_e32 v172, 0x400000, v112
	v_cmp_u_f32_e64 s30, v112, v112
	v_dual_mul_f32 v102, s68, v102 :: v_dual_mul_f32 v97, s68, v97
	s_delay_alu instid0(VALU_DEP_4)
	v_add3_u32 v170, v170, v112, 0x7fff
	v_dual_mul_f32 v100, s68, v100 :: v_dual_mul_f32 v95, s68, v95
	v_cvt_f32_fp8_e32 v98, v98
	v_cvt_f32_fp8_e32 v1, v1
	s_wait_alu 0xf1ff
	v_cndmask_b32_e64 v112, v170, v172, s30
	v_bfe_u32 v170, v111, 16, 1
	v_or_b32_e32 v172, 0x400000, v111
	v_cmp_u_f32_e64 s30, v111, v111
	v_dual_mul_f32 v98, s68, v98 :: v_dual_mul_f32 v1, s68, v1
	s_delay_alu instid0(VALU_DEP_4)
	v_add3_u32 v170, v170, v111, 0x7fff
	v_cvt_f32_fp8_e32 v96, v96
	v_cvt_f32_fp8_e32 v92, v92
	;; [unrolled: 1-line block ×4, first 2 shown]
	s_wait_alu 0xf1ff
	v_cndmask_b32_e64 v111, v170, v172, s30
	v_bfe_u32 v170, v110, 16, 1
	v_or_b32_e32 v172, 0x400000, v110
	v_cmp_u_f32_e64 s30, v110, v110
	v_mul_f32_e32 v96, s68, v96
	v_cvt_f32_fp8_e32 v3, v3
	v_add3_u32 v170, v170, v110, 0x7fff
	v_cvt_f32_fp8_e32 v5, v5
	v_mul_f32_e32 v2, s68, v2
	v_cndmask_b32_e64 v118, v137, v118, s3
	v_bfe_u32 v137, v1, 16, 1
	s_wait_alu 0xf1ff
	v_cndmask_b32_e64 v110, v170, v172, s30
	v_bfe_u32 v170, v109, 16, 1
	v_or_b32_e32 v172, 0x400000, v109
	v_cmp_u_f32_e64 s30, v109, v109
	v_cvt_f32_fp8_e32 v4, v4
	v_mul_f32_e32 v3, s68, v3
	v_add3_u32 v170, v170, v109, 0x7fff
	v_mul_f32_e32 v5, s68, v5
	v_cndmask_b32_e64 v119, v138, v119, s4
	v_or_b32_e32 v138, 0x400000, v1
	v_cndmask_b32_e64 v120, v139, v120, s5
	s_wait_alu 0xf1ff
	v_cndmask_b32_e64 v109, v170, v172, s30
	v_bfe_u32 v170, v108, 16, 1
	v_or_b32_e32 v172, 0x400000, v108
	v_cmp_u_f32_e64 s30, v108, v108
	s_delay_alu instid0(VALU_DEP_4) | instskip(NEXT) | instid1(VALU_DEP_4)
	v_dual_mul_f32 v92, s68, v92 :: v_dual_and_b32 v109, 0xffff0000, v109
	v_add3_u32 v170, v170, v108, 0x7fff
	v_bfe_u32 v139, v2, 16, 1
	v_add3_u32 v137, v137, v1, 0x7fff
	v_cmp_u_f32_e64 s3, v1, v1
	v_mul_f32_e32 v109, v29, v109
	s_wait_alu 0xf1ff
	v_cndmask_b32_e64 v108, v170, v172, s30
	v_bfe_u32 v170, v107, 16, 1
	v_or_b32_e32 v172, 0x400000, v107
	v_cmp_u_f32_e64 s30, v107, v107
	v_cvt_f32_fp8_e32 v7, v7
	v_and_b32_e32 v108, 0xffff0000, v108
	v_add3_u32 v170, v170, v107, 0x7fff
	v_dual_mul_f32 v4, s68, v4 :: v_dual_and_b32 v117, 0xffff0000, v117
	s_delay_alu instid0(VALU_DEP_3) | instskip(SKIP_1) | instid1(VALU_DEP_3)
	v_dual_mul_f32 v7, s68, v7 :: v_dual_mul_f32 v108, v30, v108
	s_wait_alu 0xf1ff
	v_cndmask_b32_e64 v107, v170, v172, s30
	v_bfe_u32 v170, v106, 16, 1
	v_or_b32_e32 v172, 0x400000, v106
	v_cmp_u_f32_e64 s30, v106, v106
	v_fmac_f32_e32 v109, v19, v117
	v_cndmask_b32_e64 v121, v140, v121, s6
	v_add3_u32 v170, v170, v106, 0x7fff
	v_or_b32_e32 v140, 0x400000, v2
	v_cndmask_b32_e64 v122, v142, v122, s7
	v_bfe_u32 v142, v3, 16, 1
	v_add3_u32 v139, v139, v2, 0x7fff
	s_wait_alu 0xf1ff
	v_cndmask_b32_e64 v106, v170, v172, s30
	v_bfe_u32 v170, v105, 16, 1
	v_or_b32_e32 v172, 0x400000, v105
	v_cmp_u_f32_e64 s30, v105, v105
	v_cndmask_b32_e64 v1, v137, v138, s3
	v_cmp_u_f32_e64 s3, v2, v2
	v_add3_u32 v170, v170, v105, 0x7fff
	v_cvt_f32_fp8_e32 v6, v6
	v_cndmask_b32_e64 v123, v143, v123, s8
	v_or_b32_e32 v143, 0x400000, v3
	v_cndmask_b32_e64 v124, v144, v124, s9
	s_wait_alu 0xf1ff
	v_cndmask_b32_e64 v105, v170, v172, s30
	v_bfe_u32 v170, v104, 16, 1
	v_or_b32_e32 v172, 0x400000, v104
	v_cmp_u_f32_e64 s30, v104, v104
	v_bfe_u32 v144, v4, 16, 1
	v_add3_u32 v142, v142, v3, 0x7fff
	v_add3_u32 v170, v170, v104, 0x7fff
	v_cndmask_b32_e64 v2, v139, v140, s3
	v_cmp_u_f32_e64 s3, v3, v3
	v_cvt_f32_fp8_e32 v13, v13
	v_mul_f32_e32 v6, s68, v6
	s_wait_alu 0xf1ff
	v_cndmask_b32_e64 v104, v170, v172, s30
	v_bfe_u32 v170, v103, 16, 1
	v_or_b32_e32 v172, 0x400000, v103
	v_cmp_u_f32_e64 s30, v103, v103
	v_cndmask_b32_e64 v125, v145, v125, s10
	v_and_b32_e32 v104, 0xffff0000, v104
	v_add3_u32 v170, v170, v103, 0x7fff
	v_and_b32_e32 v115, 0xffff0000, v115
	v_or_b32_e32 v145, 0x400000, v4
	v_cndmask_b32_e64 v126, v147, v126, s11
	v_mul_f32_e32 v104, v34, v104
	s_wait_alu 0xf1ff
	v_cndmask_b32_e64 v103, v170, v172, s30
	v_bfe_u32 v170, v102, 16, 1
	v_or_b32_e32 v172, 0x400000, v102
	v_cmp_u_f32_e64 s30, v102, v102
	v_bfe_u32 v147, v5, 16, 1
	v_add3_u32 v144, v144, v4, 0x7fff
	v_add3_u32 v170, v170, v102, 0x7fff
	v_cndmask_b32_e64 v3, v142, v143, s3
	v_cmp_u_f32_e64 s3, v4, v4
	v_mul_f32_e32 v13, s68, v13
	v_cndmask_b32_e64 v127, v148, v127, s12
	s_wait_alu 0xf1ff
	v_cndmask_b32_e64 v102, v170, v172, s30
	v_bfe_u32 v170, v101, 16, 1
	v_or_b32_e32 v172, 0x400000, v101
	v_cmp_u_f32_e64 s30, v101, v101
	v_or_b32_e32 v148, 0x400000, v5
	v_and_b32_e32 v102, 0xffff0000, v102
	v_add3_u32 v170, v170, v101, 0x7fff
	v_and_b32_e32 v105, 0xffff0000, v105
	v_cndmask_b32_e64 v128, v149, v128, s13
	v_bfe_u32 v149, v6, 16, 1
	v_mul_f32_e32 v102, v36, v102
	s_wait_alu 0xf1ff
	v_cndmask_b32_e64 v101, v170, v172, s30
	v_bfe_u32 v170, v100, 16, 1
	v_or_b32_e32 v172, 0x400000, v100
	v_cmp_u_f32_e64 s30, v100, v100
	v_dual_mul_f32 v105, v33, v105 :: v_dual_and_b32 v106, 0xffff0000, v106
	s_delay_alu instid0(VALU_DEP_4) | instskip(SKIP_2) | instid1(VALU_DEP_4)
	v_add3_u32 v170, v170, v100, 0x7fff
	v_and_b32_e32 v107, 0xffff0000, v107
	v_add3_u32 v147, v147, v5, 0x7fff
	v_mul_f32_e32 v106, v32, v106
	v_and_b32_e32 v116, 0xffff0000, v116
	s_wait_alu 0xf1ff
	v_cndmask_b32_e64 v100, v170, v172, s30
	v_bfe_u32 v170, v99, 16, 1
	v_or_b32_e32 v172, 0x400000, v99
	v_cmp_u_f32_e64 s30, v99, v99
	v_and_b32_e32 v103, 0xffff0000, v103
	v_mul_f32_e32 v107, v31, v107
	v_add3_u32 v170, v170, v99, 0x7fff
	v_and_b32_e32 v112, 0xffff0000, v112
	s_delay_alu instid0(VALU_DEP_4) | instskip(NEXT) | instid1(VALU_DEP_4)
	v_dual_mul_f32 v103, v35, v103 :: v_dual_and_b32 v114, 0xffff0000, v114
	v_fmac_f32_e32 v107, v22, v115
	s_wait_alu 0xf1ff
	v_cndmask_b32_e64 v99, v170, v172, s30
	v_bfe_u32 v170, v98, 16, 1
	v_or_b32_e32 v172, 0x400000, v98
	v_cmp_u_f32_e64 s30, v98, v98
	v_dual_fmac_f32 v104, v26, v112 :: v_dual_and_b32 v111, 0xffff0000, v111
	s_delay_alu instid0(VALU_DEP_4) | instskip(SKIP_2) | instid1(VALU_DEP_4)
	v_add3_u32 v170, v170, v98, 0x7fff
	v_and_b32_e32 v110, 0xffff0000, v110
	v_dual_fmac_f32 v108, v20, v116 :: v_dual_and_b32 v113, 0xffff0000, v113
	v_fmac_f32_e32 v103, v27, v111
	s_wait_alu 0xf1ff
	v_cndmask_b32_e64 v98, v170, v172, s30
	v_bfe_u32 v170, v97, 16, 1
	v_or_b32_e32 v172, 0x400000, v97
	v_cmp_u_f32_e64 s30, v97, v97
	v_dual_fmac_f32 v102, v28, v110 :: v_dual_and_b32 v101, 0xffff0000, v101
	s_delay_alu instid0(VALU_DEP_4) | instskip(SKIP_1) | instid1(VALU_DEP_3)
	v_add3_u32 v170, v170, v97, 0x7fff
	v_and_b32_e32 v100, 0xffff0000, v100
	v_dual_fmac_f32 v106, v24, v114 :: v_dual_fmac_f32 v109, v37, v101
	v_and_b32_e32 v99, 0xffff0000, v99
	s_wait_alu 0xf1ff
	v_cndmask_b32_e64 v97, v170, v172, s30
	v_bfe_u32 v170, v96, 16, 1
	v_or_b32_e32 v172, 0x400000, v96
	v_cmp_u_f32_e64 s30, v96, v96
	v_fmac_f32_e32 v108, v38, v100
	v_dual_fmac_f32 v107, v39, v99 :: v_dual_and_b32 v98, 0xffff0000, v98
	v_add3_u32 v170, v170, v96, 0x7fff
	v_and_b32_e32 v97, 0xffff0000, v97
	s_delay_alu instid0(VALU_DEP_3)
	v_dual_fmac_f32 v105, v25, v113 :: v_dual_fmac_f32 v106, v40, v98
	v_cndmask_b32_e64 v4, v144, v145, s3
	s_wait_alu 0xf1ff
	v_cndmask_b32_e64 v96, v170, v172, s30
	v_bfe_u32 v170, v95, 16, 1
	v_or_b32_e32 v172, 0x400000, v95
	v_cmp_u_f32_e64 s30, v95, v95
	s_delay_alu instid0(VALU_DEP_4) | instskip(NEXT) | instid1(VALU_DEP_4)
	v_dual_fmac_f32 v105, v41, v97 :: v_dual_and_b32 v96, 0xffff0000, v96
	v_add3_u32 v170, v170, v95, 0x7fff
	v_cmp_u_f32_e64 s3, v5, v5
	v_cndmask_b32_e64 v129, v150, v129, s14
	v_or_b32_e32 v150, 0x400000, v6
	v_fmac_f32_e32 v104, v42, v96
	s_wait_alu 0xf1ff
	v_cndmask_b32_e64 v95, v170, v172, s30
	v_mul_f32_e32 v170, s68, v94
	v_cndmask_b32_e64 v94, v174, v171, s29
	v_add3_u32 v149, v149, v6, 0x7fff
	v_cndmask_b32_e64 v5, v147, v148, s3
	v_and_b32_e32 v95, 0xffff0000, v95
	v_bfe_u32 v171, v170, 16, 1
	v_or_b32_e32 v172, 0x400000, v170
	v_cmp_u_f32_e64 s29, v170, v170
	s_delay_alu instid0(VALU_DEP_4) | instskip(NEXT) | instid1(VALU_DEP_4)
	v_dual_fmac_f32 v103, v43, v95 :: v_dual_and_b32 v94, 0xffff0000, v94
	v_add3_u32 v171, v171, v170, 0x7fff
	v_and_b32_e32 v119, 0xffff0000, v119
	v_cmp_u_f32_e64 s3, v6, v6
	s_delay_alu instid0(VALU_DEP_4)
	v_fmac_f32_e32 v102, v44, v94
	v_and_b32_e32 v120, 0xffff0000, v120
	s_wait_alu 0xf1ff
	v_cndmask_b32_e64 v170, v171, v172, s29
	v_fmac_f32_e32 v107, v47, v119
	v_cvt_f32_fp8_e32 v8, v8
	v_cndmask_b32_e64 v134, v157, v134, s19
	s_delay_alu instid0(VALU_DEP_4)
	v_dual_fmac_f32 v106, v48, v120 :: v_dual_and_b32 v137, 0xffff0000, v170
	v_and_b32_e32 v118, 0xffff0000, v118
	v_cndmask_b32_e64 v135, v158, v135, s20
	v_cndmask_b32_e64 v141, v160, v141, s22
	;; [unrolled: 1-line block ×6, first 2 shown]
	v_dual_fmac_f32 v109, v45, v137 :: v_dual_and_b32 v126, 0xffff0000, v126
	v_dual_fmac_f32 v108, v46, v118 :: v_dual_and_b32 v121, 0xffff0000, v121
	v_and_b32_e32 v122, 0xffff0000, v122
	v_cvt_f32_fp8_e32 v91, v91
	v_mul_f32_e32 v8, s68, v8
	v_cndmask_b32_e64 v130, v152, v130, s15
	v_bfe_u32 v152, v7, 16, 1
	v_dual_fmac_f32 v108, v54, v126 :: v_dual_and_b32 v123, 0xffff0000, v123
	v_and_b32_e32 v6, 0xffff0000, v6
	v_and_b32_e32 v142, 0xffff0000, v168
	;; [unrolled: 1-line block ×4, first 2 shown]
	v_fmac_f32_e32 v105, v49, v121
	v_dual_fmac_f32 v104, v50, v122 :: v_dual_and_b32 v125, 0xffff0000, v125
	v_and_b32_e32 v1, 0xffff0000, v1
	v_and_b32_e32 v141, 0xffff0000, v166
	;; [unrolled: 1-line block ×3, first 2 shown]
	v_dual_mul_f32 v91, s68, v91 :: v_dual_and_b32 v134, 0xffff0000, v134
	v_cndmask_b32_e64 v131, v153, v131, s16
	v_or_b32_e32 v153, 0x400000, v7
	v_cndmask_b32_e64 v132, v154, v132, s17
	v_bfe_u32 v154, v8, 16, 1
	v_cndmask_b32_e64 v136, v159, v136, s21
	v_add3_u32 v152, v152, v7, 0x7fff
	v_cmp_u_f32_e64 s3, v7, v7
	v_dual_fmac_f32 v109, v53, v125 :: v_dual_and_b32 v124, 0xffff0000, v124
	v_dual_fmac_f32 v108, v62, v134 :: v_dual_and_b32 v127, 0xffff0000, v127
	v_and_b32_e32 v128, 0xffff0000, v128
	v_cndmask_b32_e64 v133, v155, v133, s18
	v_or_b32_e32 v155, 0x400000, v8
	v_bfe_u32 v157, v13, 16, 1
	v_add3_u32 v154, v154, v8, 0x7fff
	s_wait_alu 0xf1ff
	v_cndmask_b32_e64 v7, v152, v153, s3
	v_cmp_u_f32_e64 s3, v8, v8
	v_dual_fmac_f32 v102, v52, v124 :: v_dual_and_b32 v129, 0xffff0000, v129
	v_dual_fmac_f32 v107, v55, v127 :: v_dual_and_b32 v136, 0xffff0000, v136
	v_dual_fmac_f32 v106, v56, v128 :: v_dual_and_b32 v131, 0xffff0000, v131
	v_cvt_f32_fp8_e32 v14, v14
	v_or_b32_e32 v158, 0x400000, v13
	v_add3_u32 v157, v157, v13, 0x7fff
	s_wait_alu 0xf1ff
	v_cndmask_b32_e64 v8, v154, v155, s3
	v_cmp_u_f32_e64 s3, v13, v13
	v_fmac_f32_e32 v105, v57, v129
	v_dual_fmac_f32 v106, v64, v136 :: v_dual_and_b32 v133, 0xffff0000, v133
	v_and_b32_e32 v130, 0xffff0000, v130
	v_cvt_f32_fp8_e32 v93, v93
	v_mul_f32_e32 v14, s68, v14
	s_wait_alu 0xf1ff
	v_cndmask_b32_e64 v13, v157, v158, s3
	v_dual_fmac_f32 v109, v61, v133 :: v_dual_fmac_f32 v104, v58, v130
	v_fmac_f32_e32 v106, v73, v1
	v_fmac_f32_e32 v108, v71, v141
	v_fmac_f32_e32 v107, v63, v135
	v_mul_f32_e32 v93, s68, v93
	v_bfe_u32 v159, v14, 16, 1
	v_cndmask_b32_e64 v146, v161, v146, s23
	v_and_b32_e32 v13, 0xffff0000, v13
	v_and_b32_e32 v7, 0xffff0000, v7
	v_fmac_f32_e32 v107, v72, v142
	v_fmac_f32_e32 v109, v70, v140
	v_or_b32_e32 v160, 0x400000, v14
	v_bfe_u32 v161, v91, 16, 1
	v_cndmask_b32_e64 v151, v162, v151, s24
	v_cndmask_b32_e64 v156, v163, v156, s25
	v_add3_u32 v159, v159, v14, 0x7fff
	v_cmp_u_f32_e64 s3, v14, v14
	v_dual_fmac_f32 v105, v65, v138 :: v_dual_and_b32 v8, 0xffff0000, v8
	v_dual_fmac_f32 v103, v51, v123 :: v_dual_and_b32 v132, 0xffff0000, v132
	v_dual_fmac_f32 v109, v78, v6 :: v_dual_fmac_f32 v106, v81, v13
	v_dual_fmac_f32 v108, v79, v7 :: v_dual_and_b32 v139, 0xffff0000, v146
	v_or_b32_e32 v162, 0x400000, v91
	v_bfe_u32 v163, v92, 16, 1
	v_add3_u32 v161, v161, v91, 0x7fff
	s_wait_alu 0xf1ff
	v_cndmask_b32_e64 v14, v159, v160, s3
	v_cmp_u_f32_e64 s3, v91, v91
	v_dual_fmac_f32 v107, v80, v8 :: v_dual_and_b32 v2, 0xffff0000, v2
	v_and_b32_e32 v144, 0xffff0000, v156
	v_add_f32_e32 v1, v109, v108
	v_fmac_f32_e32 v103, v59, v131
	v_dual_fmac_f32 v102, v60, v132 :: v_dual_and_b32 v143, 0xffff0000, v151
	v_or_b32_e32 v165, 0x400000, v92
	v_bfe_u32 v167, v93, 16, 1
	v_add3_u32 v163, v163, v92, 0x7fff
	s_wait_alu 0xf1ff
	v_cndmask_b32_e64 v91, v161, v162, s3
	v_cmp_u_f32_e64 s3, v92, v92
	v_dual_add_f32 v1, v1, v107 :: v_dual_and_b32 v4, 0xffff0000, v4
	v_dual_fmac_f32 v103, v68, v143 :: v_dual_and_b32 v14, 0xffff0000, v14
	v_fmac_f32_e32 v104, v66, v139
	v_fmac_f32_e32 v105, v74, v2
	v_dual_fmac_f32 v102, v69, v144 :: v_dual_and_b32 v3, 0xffff0000, v3
	v_and_b32_e32 v5, 0xffff0000, v5
	v_add_nc_u32_e32 v171, v87, v86
	v_or_b32_e32 v169, 0x400000, v93
	v_add3_u32 v167, v167, v93, 0x7fff
	s_wait_alu 0xf1ff
	v_cndmask_b32_e64 v92, v163, v165, s3
	v_cmp_u_f32_e64 s3, v93, v93
	v_fmac_f32_e32 v104, v75, v3
	v_dual_fmac_f32 v102, v77, v5 :: v_dual_and_b32 v91, 0xffff0000, v91
	s_delay_alu instid0(VALU_DEP_4) | instskip(NEXT) | instid1(VALU_DEP_2)
	v_dual_fmac_f32 v105, v82, v14 :: v_dual_and_b32 v2, 0xffff0000, v92
	v_dual_add_f32 v1, v106, v1 :: v_dual_fmac_f32 v104, v83, v91
	s_wait_alu 0xf1ff
	v_cndmask_b32_e64 v93, v167, v169, s3
	v_fmac_f32_e32 v103, v76, v4
	v_cvt_f32_i32_e32 v3, v171
	v_add_f32_e32 v1, v105, v1
	s_delay_alu instid0(VALU_DEP_3) | instskip(NEXT) | instid1(VALU_DEP_2)
	v_dual_fmac_f32 v103, v84, v2 :: v_dual_and_b32 v4, 0xffff0000, v93
	v_dual_mul_f32 v2, s60, v3 :: v_dual_add_f32 v1, v104, v1
	s_delay_alu instid0(VALU_DEP_2) | instskip(NEXT) | instid1(VALU_DEP_2)
	v_fmac_f32_e32 v102, v85, v4
	v_dual_cndmask_b32 v2, 0, v2 :: v_dual_add_f32 v1, v103, v1
	s_delay_alu instid0(VALU_DEP_1) | instskip(NEXT) | instid1(VALU_DEP_1)
	v_add_f32_e32 v1, v102, v1
	v_dual_max_num_f32 v3, v67, v67 :: v_dual_fmac_f32 v2, s31, v1
	v_add_nc_u32_e32 v1, v16, v86
	s_delay_alu instid0(VALU_DEP_2) | instskip(NEXT) | instid1(VALU_DEP_2)
	v_max_num_f32_e32 v3, v3, v2
	v_cmp_gt_i32_e64 s3, s54, v1
	s_wait_alu 0xf1ff
	s_delay_alu instid0(VALU_DEP_1) | instskip(NEXT) | instid1(VALU_DEP_3)
	v_cndmask_b32_e64 v1, 0, v2, s3
	v_cndmask_b32_e64 v67, v67, v3, s3
	ds_store_b32 v88, v1
	s_branch .LBB350_11
.LBB350_16:
	s_or_b32 exec_lo, exec_lo, s65
.LBB350_17:
	s_delay_alu instid0(SALU_CYCLE_1)
	s_or_b32 exec_lo, exec_lo, s62
	v_mbcnt_lo_u32_b32 v1, -1, 0
	s_clause 0x2
	s_load_b128 s[4:7], s[0:1], 0x0
	s_load_b64 s[8:9], s[0:1], 0x10
	s_load_b64 s[12:13], s[0:1], 0x28
	v_max_num_f32_e32 v5, v67, v67
	v_xor_b32_e32 v2, 16, v1
	v_xor_b32_e32 v4, 8, v1
	s_delay_alu instid0(VALU_DEP_2) | instskip(SKIP_2) | instid1(VALU_DEP_3)
	v_cmp_gt_i32_e32 vcc_lo, 32, v2
	s_wait_alu 0xfffd
	v_cndmask_b32_e32 v2, v1, v2, vcc_lo
	v_cmp_gt_i32_e32 vcc_lo, 32, v4
	s_delay_alu instid0(VALU_DEP_2)
	v_lshlrev_b32_e32 v2, 2, v2
	s_wait_alu 0xfffd
	v_cndmask_b32_e32 v4, v1, v4, vcc_lo
	ds_bpermute_b32 v3, v2, v67
	s_wait_dscnt 0x0
	v_dual_max_num_f32 v6, v3, v3 :: v_dual_lshlrev_b32 v3, 2, v4
	s_delay_alu instid0(VALU_DEP_1)
	v_max_num_f32_e32 v4, v5, v6
	v_xor_b32_e32 v6, 4, v1
	ds_bpermute_b32 v5, v3, v4
	v_cmp_gt_i32_e32 vcc_lo, 32, v6
	s_wait_alu 0xfffd
	v_cndmask_b32_e32 v6, v1, v6, vcc_lo
	s_wait_dscnt 0x0
	v_max_num_f32_e32 v7, v5, v5
	s_delay_alu instid0(VALU_DEP_1)
	v_dual_max_num_f32 v4, v4, v7 :: v_dual_lshlrev_b32 v5, 2, v6
	v_xor_b32_e32 v7, 2, v1
	ds_bpermute_b32 v6, v5, v4
	v_cmp_gt_i32_e32 vcc_lo, 32, v7
	s_wait_dscnt 0x0
	s_wait_alu 0xfffd
	v_dual_cndmask_b32 v7, v1, v7 :: v_dual_max_num_f32 v6, v6, v6
	s_delay_alu instid0(VALU_DEP_1) | instskip(NEXT) | instid1(VALU_DEP_2)
	v_max_num_f32_e32 v4, v4, v6
	v_lshlrev_b32_e32 v20, 2, v7
	v_xor_b32_e32 v7, 1, v1
	s_delay_alu instid0(VALU_DEP_1)
	v_cmp_gt_i32_e32 vcc_lo, 32, v7
	s_wait_alu 0xfffd
	v_cndmask_b32_e32 v7, v1, v7, vcc_lo
	ds_bpermute_b32 v6, v20, v4
	v_cmp_eq_u32_e32 vcc_lo, 0, v16
	s_wait_dscnt 0x0
	v_dual_max_num_f32 v6, v6, v6 :: v_dual_lshlrev_b32 v19, 2, v7
	s_delay_alu instid0(VALU_DEP_1)
	v_dual_max_num_f32 v1, v4, v6 :: v_dual_lshlrev_b32 v6, 2, v15
	ds_bpermute_b32 v4, v19, v1
	s_and_saveexec_b32 s0, vcc_lo
	s_cbranch_execz .LBB350_19
; %bb.18:
	s_wait_dscnt 0x0
	v_dual_max_num_f32 v4, v4, v4 :: v_dual_max_num_f32 v1, v1, v1
	s_delay_alu instid0(VALU_DEP_1)
	v_max_num_f32_e32 v1, v1, v4
	ds_store_b32 v6, v1 offset:128
.LBB350_19:
	s_or_b32 exec_lo, exec_lo, s0
	v_cmp_gt_u32_e64 s0, 4, v16
	v_mov_b32_e32 v1, 0xff7fffff
	s_wait_loadcnt_dscnt 0x0
	s_barrier_signal -1
	s_barrier_wait -1
	global_inv scope:SCOPE_SE
	s_and_saveexec_b32 s1, s0
; %bb.20:
	ds_load_b32 v1, v21 offset:128
; %bb.21:
	s_or_b32 exec_lo, exec_lo, s1
	s_wait_dscnt 0x0
	ds_bpermute_b32 v4, v20, v1
	v_max_num_f32_e32 v1, v1, v1
	s_sub_co_i32 s1, s40, s61
	v_mov_b32_e32 v7, 0
	s_lshl_b32 s1, s1, 5
	s_delay_alu instid0(SALU_CYCLE_1) | instskip(NEXT) | instid1(SALU_CYCLE_1)
	s_add_co_i32 s1, s1, s58
	s_min_i32 s1, s1, s54
	s_delay_alu instid0(SALU_CYCLE_1) | instskip(SKIP_4) | instid1(VALU_DEP_1)
	s_sub_co_i32 s10, s1, s58
	s_wait_alu 0xfffe
	v_cmp_gt_i32_e64 s1, s10, v0
	s_wait_dscnt 0x0
	v_max_num_f32_e32 v4, v4, v4
	v_max_num_f32_e32 v1, v1, v4
	ds_bpermute_b32 v4, v19, v1
	s_wait_dscnt 0x0
	v_max_num_f32_e32 v4, v4, v4
	s_delay_alu instid0(VALU_DEP_1)
	v_max_num_f32_e32 v1, v1, v4
	v_lshl_add_u32 v4, v0, 2, 0xa0
	ds_bpermute_b32 v1, v7, v1
	s_and_saveexec_b32 s11, s1
	s_cbranch_execz .LBB350_25
; %bb.22:
	v_lshl_add_u32 v8, v0, 2, 0xa0
	v_mov_b32_e32 v7, 0
	v_mov_b32_e32 v9, v0
	s_mov_b32 s14, 0
.LBB350_23:                             ; =>This Inner Loop Header: Depth=1
	ds_load_b32 v10, v8
	v_add_nc_u32_e32 v9, 0x80, v9
	s_delay_alu instid0(VALU_DEP_1) | instskip(SKIP_4) | instid1(VALU_DEP_1)
	v_cmp_le_i32_e64 s3, s10, v9
	s_wait_alu 0xfffe
	s_or_b32 s14, s3, s14
	s_wait_dscnt 0x0
	v_sub_f32_e32 v10, v10, v1
	v_mul_f32_e32 v10, 0x3fb8aa3b, v10
	s_delay_alu instid0(VALU_DEP_1)
	v_exp_f32_e32 v10, v10
	ds_store_b32 v8, v10
	v_dual_add_f32 v7, v7, v10 :: v_dual_add_nc_u32 v8, 0x200, v8
	s_wait_alu 0xfffe
	s_and_not1_b32 exec_lo, exec_lo, s14
	s_cbranch_execnz .LBB350_23
; %bb.24:
	s_or_b32 exec_lo, exec_lo, s14
.LBB350_25:
	s_wait_alu 0xfffe
	s_or_b32 exec_lo, exec_lo, s11
	ds_bpermute_b32 v2, v2, v7
	s_wait_dscnt 0x0
	v_add_f32_e32 v2, v7, v2
	ds_bpermute_b32 v3, v3, v2
	s_wait_dscnt 0x0
	v_add_f32_e32 v2, v2, v3
	;; [unrolled: 3-line block ×5, first 2 shown]
	s_and_saveexec_b32 s3, vcc_lo
; %bb.26:
	ds_store_b32 v6, v2 offset:144
; %bb.27:
	s_wait_alu 0xfffe
	s_or_b32 exec_lo, exec_lo, s3
	s_wait_loadcnt_dscnt 0x0
	s_barrier_signal -1
	s_barrier_wait -1
	global_inv scope:SCOPE_SE
	s_and_saveexec_b32 s3, s0
; %bb.28:
	ds_load_b32 v2, v21 offset:144
; %bb.29:
	s_wait_alu 0xfffe
	s_or_b32 exec_lo, exec_lo, s3
	s_wait_dscnt 0x0
	ds_bpermute_b32 v3, v20, v2
	s_wait_dscnt 0x0
	v_add_f32_e32 v2, v2, v3
	ds_bpermute_b32 v3, v19, v2
	s_wait_dscnt 0x0
	v_dual_add_f32 v2, v2, v3 :: v_dual_mov_b32 v3, 0
	ds_bpermute_b32 v2, v3, v2
	s_and_saveexec_b32 s0, s1
	s_cbranch_execz .LBB350_32
; %bb.30:
	s_wait_dscnt 0x0
	v_add_f32_e32 v3, 0x358637bd, v2
	s_mov_b32 s1, 0
	s_delay_alu instid0(VALU_DEP_1) | instskip(SKIP_1) | instid1(VALU_DEP_2)
	v_div_scale_f32 v5, null, v3, v3, 1.0
	v_div_scale_f32 v8, vcc_lo, 1.0, v3, 1.0
	v_rcp_f32_e32 v6, v5
	s_delay_alu instid0(TRANS32_DEP_1) | instskip(NEXT) | instid1(VALU_DEP_1)
	v_fma_f32 v7, -v5, v6, 1.0
	v_fmac_f32_e32 v6, v7, v6
	s_delay_alu instid0(VALU_DEP_1) | instskip(NEXT) | instid1(VALU_DEP_1)
	v_mul_f32_e32 v7, v8, v6
	v_fma_f32 v9, -v5, v7, v8
	s_delay_alu instid0(VALU_DEP_1) | instskip(NEXT) | instid1(VALU_DEP_1)
	v_fmac_f32_e32 v7, v9, v6
	v_fma_f32 v5, -v5, v7, v8
	s_wait_alu 0xfffd
	s_delay_alu instid0(VALU_DEP_1) | instskip(NEXT) | instid1(VALU_DEP_1)
	v_div_fmas_f32 v5, v5, v6, v7
	v_div_fixup_f32 v3, v5, v3, 1.0
	v_mov_b32_e32 v5, v0
.LBB350_31:                             ; =>This Inner Loop Header: Depth=1
	ds_load_b32 v6, v4
	s_wait_dscnt 0x0
	v_dual_mul_f32 v6, v3, v6 :: v_dual_add_nc_u32 v5, 0x80, v5
	s_delay_alu instid0(VALU_DEP_1) | instskip(SKIP_3) | instid1(SALU_CYCLE_1)
	v_cmp_le_i32_e32 vcc_lo, s10, v5
	ds_store_b32 v4, v6
	v_add_nc_u32_e32 v4, 0x200, v4
	s_or_b32 s1, vcc_lo, s1
	s_and_not1_b32 exec_lo, exec_lo, s1
	s_cbranch_execnz .LBB350_31
.LBB350_32:
	s_or_b32 exec_lo, exec_lo, s0
	s_mul_i32 s0, s35, s56
	s_wait_loadcnt_dscnt 0x0
	s_mul_i32 s10, s0, s57
	s_mov_b32 s0, exec_lo
	s_barrier_signal -1
	s_barrier_wait -1
	global_inv scope:SCOPE_SE
	v_cmpx_eq_u32_e32 0, v0
	s_cbranch_execz .LBB350_34
; %bb.33:
	s_wait_alu 0xfffe
	s_ashr_i32 s11, s10, 31
	s_mul_i32 s14, s35, ttmp9
	s_lshl_b32 s1, s33, 2
	s_wait_alu 0xfffe
	s_lshl_b64 s[16:17], s[10:11], 2
	s_ashr_i32 s15, s14, 31
	v_mov_b32_e32 v3, s1
	s_wait_kmcnt 0x0
	s_wait_alu 0xfffe
	s_add_nc_u64 s[6:7], s[6:7], s[16:17]
	s_lshl_b64 s[14:15], s[14:15], 2
	s_add_nc_u64 s[4:5], s[4:5], s[16:17]
	s_wait_alu 0xfffe
	s_add_nc_u64 s[6:7], s[6:7], s[14:15]
	s_add_nc_u64 s[4:5], s[4:5], s[14:15]
	s_clause 0x1
	global_store_b32 v3, v1, s[6:7]
	global_store_b32 v3, v2, s[4:5]
.LBB350_34:
	s_or_b32 exec_lo, exec_lo, s0
	v_dual_mov_b32 v29, 0 :: v_dual_mov_b32 v30, 0
	v_dual_mov_b32 v28, 0 :: v_dual_and_b32 v21, 3, v0
	v_dual_mov_b32 v27, 0 :: v_dual_mov_b32 v26, 0
	v_dual_mov_b32 v25, 0 :: v_dual_mov_b32 v24, 0
	v_mov_b32_e32 v22, 0
	s_and_saveexec_b32 s1, s2
	s_cbranch_execz .LBB350_56
; %bb.35:
	s_abs_i32 s2, s42
	v_dual_mov_b32 v22, 0 :: v_dual_lshlrev_b32 v1, 3, v0
	s_wait_alu 0xfffe
	s_cvt_f32_u32 s0, s2
	s_wait_kmcnt 0x0
	s_lshl_b64 s[6:7], s[52:53], 2
	v_dual_mov_b32 v24, 0 :: v_dual_lshlrev_b32 v3, 5, v21
	s_wait_alu 0xfffe
	v_rcp_iflag_f32_e32 v2, s0
	s_add_nc_u64 s[6:7], s[50:51], s[6:7]
	s_ashr_i32 s47, s46, 31
	s_wait_alu 0xfffe
	v_add_co_u32 v9, s6, s6, v23
	s_wait_alu 0xf1ff
	v_add_co_ci_u32_e64 v10, null, s7, 0, s6
	v_dual_mov_b32 v26, 0 :: v_dual_and_b32 v23, 24, v1
	s_add_nc_u64 s[12:13], s[12:13], s[46:47]
	s_delay_alu instid0(TRANS32_DEP_1)
	v_readfirstlane_b32 s5, v2
	v_dual_mov_b32 v25, 0 :: v_dual_and_b32 v2, 0xf8, v1
	v_lshl_or_b32 v1, v15, 7, v3
	s_sub_co_i32 s0, 0, s2
	s_mul_f32 s5, s5, 0x4f7ffffe
	v_dual_mov_b32 v27, 0 :: v_dual_mov_b32 v30, 0
	s_delay_alu instid0(VALU_DEP_2)
	v_dual_mov_b32 v28, 0 :: v_dual_add_nc_u32 v31, 0xa0, v1
	s_wait_alu 0xfffe
	s_cvt_u32_f32 s6, s5
	v_add_co_u32 v11, s5, s12, v2
	s_wait_alu 0xf1ff
	v_add_co_ci_u32_e64 v12, null, s13, 0, s5
	s_wait_alu 0xfffe
	s_mul_i32 s0, s0, s6
	v_mov_b32_e32 v29, 0
	s_wait_alu 0xfffe
	s_mul_hi_u32 s0, s6, s0
	s_sub_co_i32 s3, s59, s41
	s_mov_b32 s4, s45
	s_add_co_i32 s49, s49, -1
	s_mov_b32 s5, 0
	s_wait_alu 0xfffe
	s_add_co_i32 s6, s6, s0
	s_branch .LBB350_38
.LBB350_36:                             ;   in Loop: Header=BB350_38 Depth=1
	s_wait_alu 0xfffe
	s_or_b32 exec_lo, exec_lo, s0
	s_wait_dscnt 0x1
	v_bfe_u32 v56, v5, 16, 1
	v_or_b32_e32 v57, 0x400000, v5
	v_bfe_u32 v58, v6, 16, 1
	v_cmp_u_f32_e32 vcc_lo, v5, v5
	v_bfe_u32 v59, v7, 16, 1
	v_add3_u32 v56, v56, v5, 0x7fff
	v_or_b32_e32 v60, 0x400000, v6
	v_add3_u32 v58, v58, v6, 0x7fff
	v_or_b32_e32 v61, 0x400000, v7
	v_add3_u32 v59, v59, v7, 0x7fff
	s_wait_alu 0xfffd
	v_cndmask_b32_e32 v5, v56, v57, vcc_lo
	v_cmp_u_f32_e32 vcc_lo, v6, v6
	v_bfe_u32 v56, v8, 16, 1
	s_wait_dscnt 0x0
	v_bfe_u32 v57, v1, 16, 1
	v_lshlrev_b32_e32 v90, 16, v90
	v_lshlrev_b32_e32 v88, 16, v88
	s_wait_alu 0xfffd
	v_cndmask_b32_e32 v6, v58, v60, vcc_lo
	v_cmp_u_f32_e32 vcc_lo, v7, v7
	v_add3_u32 v56, v56, v8, 0x7fff
	v_or_b32_e32 v58, 0x400000, v8
	v_add3_u32 v57, v57, v1, 0x7fff
	v_bfe_u32 v60, v2, 16, 1
	s_wait_alu 0xfffd
	v_cndmask_b32_e32 v7, v59, v61, vcc_lo
	v_cmp_u_f32_e32 vcc_lo, v8, v8
	v_or_b32_e32 v59, 0x400000, v1
	v_lshlrev_b32_e32 v64, 16, v64
	v_lshlrev_b32_e32 v44, 16, v44
	;; [unrolled: 1-line block ×3, first 2 shown]
	s_wait_alu 0xfffd
	v_cndmask_b32_e32 v8, v56, v58, vcc_lo
	v_cmp_u_f32_e32 vcc_lo, v1, v1
	v_or_b32_e32 v58, 0x400000, v2
	v_and_b32_e32 v1, 0xffff0000, v6
	v_lshlrev_b32_e32 v54, 16, v54
	v_lshlrev_b32_e32 v46, 16, v46
	s_wait_alu 0xfffd
	v_cndmask_b32_e32 v56, v57, v59, vcc_lo
	v_add3_u32 v57, v60, v2, 0x7fff
	v_bfe_u32 v59, v3, 16, 1
	v_cmp_u_f32_e32 vcc_lo, v2, v2
	v_lshlrev_b32_e32 v6, 16, v101
	v_and_b32_e32 v5, 0xffff0000, v5
	v_and_b32_e32 v7, 0xffff0000, v7
	v_add3_u32 v2, v59, v3, 0x7fff
	s_wait_alu 0xfffd
	v_cndmask_b32_e32 v57, v57, v58, vcc_lo
	v_or_b32_e32 v58, 0x400000, v3
	v_bfe_u32 v59, v4, 16, 1
	v_mul_f32_e32 v6, v1, v6
	v_cmp_u_f32_e32 vcc_lo, v3, v3
	v_dual_mul_f32 v44, v7, v44 :: v_dual_lshlrev_b32 v35, 16, v35
	s_delay_alu instid0(VALU_DEP_4)
	v_add3_u32 v3, v59, v4, 0x7fff
	v_or_b32_e32 v59, 0x400000, v4
	s_wait_alu 0xfffd
	v_cndmask_b32_e32 v58, v2, v58, vcc_lo
	v_bfe_u32 v61, v6, 16, 1
	v_cmp_u_f32_e32 vcc_lo, v4, v4
	v_dual_mul_f32 v52, v7, v52 :: v_dual_lshlrev_b32 v47, 16, v47
	v_dual_mul_f32 v46, v5, v46 :: v_dual_lshlrev_b32 v37, 16, v37
	s_wait_alu 0xfffd
	v_cndmask_b32_e32 v4, v3, v59, vcc_lo
	v_add3_u32 v3, v61, v6, 0x7fff
	v_or_b32_e32 v59, 0x400000, v6
	v_cmp_u_f32_e32 vcc_lo, v6, v6
	v_lshlrev_b32_e32 v60, 16, v100
	v_lshlrev_b32_e32 v40, 16, v40
	;; [unrolled: 1-line block ×4, first 2 shown]
	s_wait_alu 0xfffd
	v_dual_cndmask_b32 v59, v3, v59 :: v_dual_mul_f32 v60, v5, v60
	v_and_b32_e32 v3, 0xffff0000, v57
	v_lshlrev_b32_e32 v78, 16, v78
	v_lshlrev_b32_e32 v48, 16, v48
	;; [unrolled: 1-line block ×3, first 2 shown]
	v_bfe_u32 v61, v60, 16, 1
	v_cmp_u_f32_e32 vcc_lo, v60, v60
	v_mul_f32_e32 v35, v3, v35
	v_dual_mul_f32 v38, v5, v38 :: v_dual_and_b32 v59, 0xffff0000, v59
	s_delay_alu instid0(VALU_DEP_4)
	v_add3_u32 v6, v61, v60, 0x7fff
	v_or_b32_e32 v61, 0x400000, v60
	v_and_b32_e32 v2, 0xffff0000, v8
	v_lshlrev_b32_e32 v8, 16, v99
	v_lshlrev_b32_e32 v34, 16, v34
	s_wait_alu 0xfffd
	v_dual_cndmask_b32 v57, v6, v61 :: v_dual_lshlrev_b32 v14, 16, v14
	v_lshlrev_b32_e32 v82, 16, v82
	v_dual_mul_f32 v62, v2, v8 :: v_dual_lshlrev_b32 v39, 16, v39
	v_lshlrev_b32_e32 v50, 16, v50
	s_delay_alu instid0(VALU_DEP_4)
	v_and_b32_e32 v57, 0xffff0000, v57
	v_and_b32_e32 v4, 0xffff0000, v4
	v_lshlrev_b32_e32 v8, 16, v98
	v_bfe_u32 v63, v62, 16, 1
	v_or_b32_e32 v60, 0x400000, v62
	v_cmp_u_f32_e32 vcc_lo, v62, v62
	s_delay_alu instid0(VALU_DEP_4) | instskip(NEXT) | instid1(VALU_DEP_4)
	v_dual_mul_f32 v95, v4, v95 :: v_dual_mul_f32 v98, v7, v8
	v_add3_u32 v6, v63, v62, 0x7fff
	v_dual_add_f32 v57, v57, v59 :: v_dual_lshlrev_b32 v8, 16, v97
	v_mul_f32_e32 v82, v7, v82
	s_delay_alu instid0(VALU_DEP_4)
	v_bfe_u32 v61, v98, 16, 1
	s_wait_alu 0xfffd
	v_cndmask_b32_e32 v60, v6, v60, vcc_lo
	v_cmp_u_f32_e32 vcc_lo, v98, v98
	v_mul_f32_e32 v63, v3, v8
	v_mul_f32_e32 v39, v1, v39
	v_add3_u32 v6, v61, v98, 0x7fff
	v_or_b32_e32 v61, 0x400000, v98
	v_bfe_u32 v98, v95, 16, 1
	v_lshlrev_b32_e32 v65, 16, v65
	v_lshlrev_b32_e32 v41, 16, v41
	;; [unrolled: 1-line block ×3, first 2 shown]
	s_wait_alu 0xfffd
	v_dual_cndmask_b32 v61, v6, v61 :: v_dual_and_b32 v6, 0xffff0000, v58
	v_bfe_u32 v62, v63, 16, 1
	v_cmp_u_f32_e32 vcc_lo, v63, v63
	v_lshlrev_b32_e32 v51, 16, v51
	s_delay_alu instid0(VALU_DEP_4)
	v_and_b32_e32 v61, 0xffff0000, v61
	v_and_b32_e32 v60, 0xffff0000, v60
	v_add3_u32 v62, v62, v63, 0x7fff
	v_lshlrev_b32_e32 v58, 16, v94
	v_or_b32_e32 v94, 0x400000, v63
	v_add3_u32 v63, v98, v95, 0x7fff
	v_add_f32_e32 v59, v61, v60
	v_and_b32_e32 v8, 0xffff0000, v56
	v_mul_f32_e32 v48, v6, v48
	s_wait_alu 0xfffd
	v_cndmask_b32_e32 v62, v62, v94, vcc_lo
	v_dual_mul_f32 v40, v6, v40 :: v_dual_add_f32 v57, v59, v57
	v_lshlrev_b32_e32 v59, 16, v93
	v_lshlrev_b32_e32 v56, 16, v96
	s_delay_alu instid0(VALU_DEP_4) | instskip(SKIP_1) | instid1(VALU_DEP_4)
	v_and_b32_e32 v60, 0xffff0000, v62
	v_mul_f32_e32 v78, v8, v78
	v_dual_mul_f32 v59, v1, v59 :: v_dual_lshlrev_b32 v76, 16, v76
	s_delay_alu instid0(VALU_DEP_4) | instskip(SKIP_3) | instid1(VALU_DEP_4)
	v_mul_f32_e32 v56, v8, v56
	v_mul_f32_e32 v50, v8, v50
	;; [unrolled: 1-line block ×3, first 2 shown]
	v_dual_mul_f32 v34, v8, v34 :: v_dual_lshlrev_b32 v71, 16, v71
	v_bfe_u32 v96, v56, 16, 1
	v_or_b32_e32 v97, 0x400000, v56
	v_cmp_u_f32_e32 vcc_lo, v56, v56
	v_lshlrev_b32_e32 v55, 16, v55
	v_mul_f32_e32 v51, v3, v51
	v_add3_u32 v96, v96, v56, 0x7fff
	v_lshlrev_b32_e32 v49, 16, v49
	v_mul_f32_e32 v47, v1, v47
	v_mul_f32_e32 v55, v1, v55
	v_lshlrev_b32_e32 v45, 16, v45
	s_wait_alu 0xfffd
	v_cndmask_b32_e32 v56, v96, v97, vcc_lo
	v_or_b32_e32 v96, 0x400000, v95
	v_dual_mul_f32 v58, v6, v58 :: v_dual_lshlrev_b32 v43, 16, v43
	s_delay_alu instid0(VALU_DEP_3) | instskip(SKIP_1) | instid1(VALU_DEP_3)
	v_dual_mul_f32 v45, v2, v45 :: v_dual_and_b32 v56, 0xffff0000, v56
	v_mul_f32_e32 v37, v2, v37
	v_bfe_u32 v94, v58, 16, 1
	v_or_b32_e32 v97, 0x400000, v58
	v_cmp_u_f32_e32 vcc_lo, v58, v58
	v_add_f32_e32 v56, v56, v60
	v_lshlrev_b32_e32 v60, 16, v92
	v_add3_u32 v94, v94, v58, 0x7fff
	v_mul_f32_e32 v43, v3, v43
	v_lshlrev_b32_e32 v33, 16, v33
	s_delay_alu instid0(VALU_DEP_4)
	v_dual_add_f32 v56, v56, v57 :: v_dual_mul_f32 v57, v5, v60
	s_wait_alu 0xfffd
	v_cndmask_b32_e32 v58, v94, v97, vcc_lo
	v_cmp_u_f32_e32 vcc_lo, v95, v95
	v_lshlrev_b32_e32 v60, 16, v91
	v_lshlrev_b32_e32 v13, 16, v13
	v_bfe_u32 v62, v57, 16, 1
	s_wait_alu 0xfffd
	v_dual_cndmask_b32 v61, v63, v96 :: v_dual_and_b32 v58, 0xffff0000, v58
	v_cmp_u_f32_e32 vcc_lo, v59, v59
	v_or_b32_e32 v63, 0x400000, v57
	v_add3_u32 v62, v62, v57, 0x7fff
	s_delay_alu instid0(VALU_DEP_4) | instskip(NEXT) | instid1(VALU_DEP_1)
	v_and_b32_e32 v61, 0xffff0000, v61
	v_add_f32_e32 v58, v58, v61
	v_bfe_u32 v61, v59, 16, 1
	s_delay_alu instid0(VALU_DEP_2) | instskip(SKIP_1) | instid1(VALU_DEP_3)
	v_add_f32_e32 v56, v58, v56
	v_mul_f32_e32 v58, v2, v60
	v_add3_u32 v60, v61, v59, 0x7fff
	v_or_b32_e32 v61, 0x400000, v59
	s_delay_alu instid0(VALU_DEP_3) | instskip(SKIP_1) | instid1(VALU_DEP_2)
	v_bfe_u32 v91, v58, 16, 1
	s_wait_alu 0xfffd
	v_cndmask_b32_e32 v59, v60, v61, vcc_lo
	v_cmp_u_f32_e32 vcc_lo, v57, v57
	v_mul_f32_e32 v60, v7, v90
	v_add3_u32 v61, v91, v58, 0x7fff
	v_lshlrev_b32_e32 v74, 16, v74
	v_and_b32_e32 v59, 0xffff0000, v59
	s_wait_alu 0xfffd
	v_cndmask_b32_e32 v57, v62, v63, vcc_lo
	v_or_b32_e32 v62, 0x400000, v58
	v_lshlrev_b32_e32 v63, 16, v89
	v_cmp_u_f32_e32 vcc_lo, v58, v58
	v_bfe_u32 v89, v60, 16, 1
	v_dual_mul_f32 v74, v6, v74 :: v_dual_and_b32 v57, 0xffff0000, v57
	v_mul_f32_e32 v76, v4, v76
	s_wait_alu 0xfffd
	v_dual_cndmask_b32 v58, v61, v62 :: v_dual_mul_f32 v61, v3, v63
	v_mul_f32_e32 v62, v8, v88
	v_add3_u32 v63, v89, v60, 0x7fff
	v_or_b32_e32 v88, 0x400000, v60
	v_cmp_u_f32_e32 vcc_lo, v60, v60
	v_bfe_u32 v89, v61, 16, 1
	v_bfe_u32 v90, v62, 16, 1
	v_dual_add_f32 v57, v57, v59 :: v_dual_and_b32 v58, 0xffff0000, v58
	s_wait_alu 0xfffd
	v_dual_cndmask_b32 v60, v63, v88 :: v_dual_mul_f32 v63, v4, v87
	v_add3_u32 v87, v89, v61, 0x7fff
	v_or_b32_e32 v88, 0x400000, v61
	v_cmp_u_f32_e32 vcc_lo, v61, v61
	v_add3_u32 v89, v90, v62, 0x7fff
	v_or_b32_e32 v90, 0x400000, v62
	v_and_b32_e32 v60, 0xffff0000, v60
	v_bfe_u32 v91, v63, 16, 1
	s_wait_alu 0xfffd
	v_cndmask_b32_e32 v61, v87, v88, vcc_lo
	v_cmp_u_f32_e32 vcc_lo, v62, v62
	v_or_b32_e32 v88, 0x400000, v63
	v_add_f32_e32 v58, v60, v58
	v_lshlrev_b32_e32 v60, 16, v85
	s_wait_alu 0xfffd
	v_dual_cndmask_b32 v62, v89, v90 :: v_dual_and_b32 v61, 0xffff0000, v61
	v_add3_u32 v87, v91, v63, 0x7fff
	v_add_f32_e32 v57, v58, v57
	v_cmp_u_f32_e32 vcc_lo, v63, v63
	s_delay_alu instid0(VALU_DEP_4)
	v_dual_mul_f32 v58, v1, v60 :: v_dual_and_b32 v59, 0xffff0000, v62
	v_add_f32_e32 v24, v24, v56
	v_mul_f32_e32 v49, v4, v49
	s_wait_alu 0xfffd
	v_cndmask_b32_e32 v63, v87, v88, vcc_lo
	v_mul_f32_e32 v41, v4, v41
	v_add_f32_e32 v59, v59, v61
	v_mul_f32_e32 v33, v4, v33
	s_delay_alu instid0(VALU_DEP_4) | instskip(NEXT) | instid1(VALU_DEP_3)
	v_and_b32_e32 v63, 0xffff0000, v63
	v_dual_add_f32 v57, v59, v57 :: v_dual_lshlrev_b32 v60, 16, v84
	s_delay_alu instid0(VALU_DEP_1) | instskip(NEXT) | instid1(VALU_DEP_1)
	v_dual_mul_f32 v59, v5, v60 :: v_dual_lshlrev_b32 v86, 16, v86
	v_mul_f32_e32 v86, v6, v86
	s_delay_alu instid0(VALU_DEP_2) | instskip(NEXT) | instid1(VALU_DEP_2)
	v_bfe_u32 v84, v59, 16, 1
	v_bfe_u32 v87, v86, 16, 1
	v_or_b32_e32 v85, 0x400000, v86
	v_cmp_u_f32_e32 vcc_lo, v86, v86
	s_delay_alu instid0(VALU_DEP_3) | instskip(SKIP_3) | instid1(VALU_DEP_3)
	v_add3_u32 v62, v87, v86, 0x7fff
	v_bfe_u32 v87, v74, 16, 1
	v_bfe_u32 v86, v76, 16, 1
	s_wait_alu 0xfffd
	v_cndmask_b32_e32 v61, v62, v85, vcc_lo
	v_bfe_u32 v62, v58, 16, 1
	v_cmp_u_f32_e32 vcc_lo, v58, v58
	v_or_b32_e32 v85, 0x400000, v78
	s_delay_alu instid0(VALU_DEP_4) | instskip(NEXT) | instid1(VALU_DEP_4)
	v_and_b32_e32 v61, 0xffff0000, v61
	v_add3_u32 v62, v62, v58, 0x7fff
	s_delay_alu instid0(VALU_DEP_2) | instskip(SKIP_1) | instid1(VALU_DEP_2)
	v_add_f32_e32 v61, v61, v63
	v_lshlrev_b32_e32 v63, 16, v70
	v_dual_add_f32 v57, v61, v57 :: v_dual_lshlrev_b32 v60, 16, v83
	s_delay_alu instid0(VALU_DEP_2) | instskip(SKIP_2) | instid1(VALU_DEP_4)
	v_mul_f32_e32 v61, v5, v63
	v_or_b32_e32 v83, 0x400000, v58
	v_lshlrev_b32_e32 v63, 16, v68
	v_dual_add_f32 v25, v25, v57 :: v_dual_mul_f32 v60, v2, v60
	s_delay_alu instid0(VALU_DEP_4)
	v_bfe_u32 v57, v61, 16, 1
	s_wait_alu 0xfffd
	v_cndmask_b32_e32 v58, v62, v83, vcc_lo
	v_add3_u32 v62, v84, v59, 0x7fff
	v_or_b32_e32 v83, 0x400000, v59
	v_bfe_u32 v84, v60, 16, 1
	v_cmp_u_f32_e32 vcc_lo, v59, v59
	v_add3_u32 v57, v57, v61, 0x7fff
	v_lshlrev_b32_e32 v80, 16, v80
	s_wait_alu 0xfffd
	v_dual_cndmask_b32 v59, v62, v83 :: v_dual_and_b32 v58, 0xffff0000, v58
	v_add3_u32 v62, v84, v60, 0x7fff
	v_or_b32_e32 v83, 0x400000, v60
	v_bfe_u32 v84, v82, 16, 1
	v_mul_f32_e32 v80, v3, v80
	v_cmp_u_f32_e32 vcc_lo, v60, v60
	v_and_b32_e32 v59, 0xffff0000, v59
	s_wait_alu 0xfffd
	v_cndmask_b32_e32 v60, v62, v83, vcc_lo
	v_add3_u32 v62, v84, v82, 0x7fff
	v_or_b32_e32 v83, 0x400000, v82
	v_bfe_u32 v84, v80, 16, 1
	v_cmp_u_f32_e32 vcc_lo, v82, v82
	v_bfe_u32 v82, v78, 16, 1
	v_and_b32_e32 v60, 0xffff0000, v60
	v_add_f32_e32 v58, v59, v58
	s_wait_alu 0xfffd
	v_cndmask_b32_e32 v62, v62, v83, vcc_lo
	v_add3_u32 v83, v84, v80, 0x7fff
	v_or_b32_e32 v84, 0x400000, v80
	v_cmp_u_f32_e32 vcc_lo, v80, v80
	v_add3_u32 v82, v82, v78, 0x7fff
	v_and_b32_e32 v62, 0xffff0000, v62
	s_wait_alu 0xfffd
	v_cndmask_b32_e32 v80, v83, v84, vcc_lo
	v_cmp_u_f32_e32 vcc_lo, v78, v78
	v_add3_u32 v83, v87, v74, 0x7fff
	v_or_b32_e32 v84, 0x400000, v74
	v_add_f32_e32 v59, v62, v60
	v_and_b32_e32 v62, 0xffff0000, v80
	s_wait_alu 0xfffd
	v_cndmask_b32_e32 v78, v82, v85, vcc_lo
	v_cmp_u_f32_e32 vcc_lo, v74, v74
	v_add3_u32 v82, v86, v76, 0x7fff
	v_or_b32_e32 v85, 0x400000, v76
	v_add_f32_e32 v58, v59, v58
	v_and_b32_e32 v60, 0xffff0000, v78
	s_wait_alu 0xfffd
	v_cndmask_b32_e32 v74, v83, v84, vcc_lo
	v_cmp_u_f32_e32 vcc_lo, v76, v76
	s_delay_alu instid0(VALU_DEP_3) | instskip(NEXT) | instid1(VALU_DEP_3)
	v_add_f32_e32 v59, v60, v62
	v_and_b32_e32 v60, 0xffff0000, v74
	s_wait_alu 0xfffd
	v_cndmask_b32_e32 v76, v82, v85, vcc_lo
	s_delay_alu instid0(VALU_DEP_3) | instskip(NEXT) | instid1(VALU_DEP_2)
	v_add_f32_e32 v58, v59, v58
	v_and_b32_e32 v62, 0xffff0000, v76
	s_delay_alu instid0(VALU_DEP_1) | instskip(SKIP_1) | instid1(VALU_DEP_2)
	v_dual_add_f32 v59, v60, v62 :: v_dual_mul_f32 v60, v1, v71
	v_or_b32_e32 v62, 0x400000, v61
	v_add_f32_e32 v56, v59, v58
	s_delay_alu instid0(VALU_DEP_3) | instskip(SKIP_2) | instid1(VALU_DEP_4)
	v_bfe_u32 v58, v60, 16, 1
	v_lshlrev_b32_e32 v59, 16, v69
	v_cmp_u_f32_e32 vcc_lo, v60, v60
	v_add_f32_e32 v26, v26, v56
	s_delay_alu instid0(VALU_DEP_4) | instskip(SKIP_4) | instid1(VALU_DEP_3)
	v_add3_u32 v56, v58, v60, 0x7fff
	v_or_b32_e32 v58, 0x400000, v60
	v_mul_f32_e32 v59, v2, v59
	v_dual_mul_f32 v60, v7, v63 :: v_dual_lshlrev_b32 v63, 16, v66
	s_wait_alu 0xfffd
	v_cndmask_b32_e32 v56, v56, v58, vcc_lo
	s_delay_alu instid0(VALU_DEP_3)
	v_bfe_u32 v58, v59, 16, 1
	v_cmp_u_f32_e32 vcc_lo, v61, v61
	v_lshlrev_b32_e32 v61, 16, v67
	v_bfe_u32 v66, v60, 16, 1
	v_and_b32_e32 v56, 0xffff0000, v56
	v_add3_u32 v58, v58, v59, 0x7fff
	s_wait_alu 0xfffd
	v_cndmask_b32_e32 v57, v57, v62, vcc_lo
	v_or_b32_e32 v62, 0x400000, v59
	v_mul_f32_e32 v61, v3, v61
	v_cmp_u_f32_e32 vcc_lo, v59, v59
	v_mul_f32_e32 v59, v8, v63
	v_or_b32_e32 v63, 0x400000, v60
	s_wait_alu 0xfffd
	v_dual_cndmask_b32 v58, v58, v62 :: v_dual_and_b32 v57, 0xffff0000, v57
	v_add3_u32 v62, v66, v60, 0x7fff
	v_bfe_u32 v66, v61, 16, 1
	v_cmp_u_f32_e32 vcc_lo, v60, v60
	v_bfe_u32 v67, v59, 16, 1
	v_and_b32_e32 v58, 0xffff0000, v58
	v_add_f32_e32 v56, v57, v56
	s_wait_alu 0xfffd
	v_cndmask_b32_e32 v60, v62, v63, vcc_lo
	v_add3_u32 v62, v66, v61, 0x7fff
	v_mul_f32_e32 v63, v4, v65
	v_or_b32_e32 v65, 0x400000, v61
	v_cmp_u_f32_e32 vcc_lo, v61, v61
	v_add3_u32 v66, v67, v59, 0x7fff
	v_or_b32_e32 v67, 0x400000, v59
	v_bfe_u32 v68, v63, 16, 1
	s_wait_alu 0xfffd
	v_dual_cndmask_b32 v61, v62, v65 :: v_dual_and_b32 v60, 0xffff0000, v60
	v_mul_f32_e32 v62, v6, v64
	v_cmp_u_f32_e32 vcc_lo, v59, v59
	v_add3_u32 v64, v68, v63, 0x7fff
	v_or_b32_e32 v65, 0x400000, v63
	v_add_f32_e32 v57, v60, v58
	s_wait_alu 0xfffd
	v_dual_mul_f32 v4, v4, v13 :: v_dual_cndmask_b32 v59, v66, v67
	v_bfe_u32 v66, v62, 16, 1
	v_cmp_u_f32_e32 vcc_lo, v63, v63
	v_add_f32_e32 v56, v57, v56
	s_delay_alu instid0(VALU_DEP_4)
	v_and_b32_e32 v58, 0xffff0000, v59
	v_and_b32_e32 v59, 0xffff0000, v61
	s_wait_alu 0xfffd
	v_cndmask_b32_e32 v63, v64, v65, vcc_lo
	v_add3_u32 v64, v66, v62, 0x7fff
	v_or_b32_e32 v65, 0x400000, v62
	v_cmp_u_f32_e32 vcc_lo, v62, v62
	v_dual_add_f32 v57, v58, v59 :: v_dual_mul_f32 v58, v5, v54
	v_bfe_u32 v61, v55, 16, 1
	v_bfe_u32 v62, v49, 16, 1
	s_wait_alu 0xfffd
	v_cndmask_b32_e32 v60, v64, v65, vcc_lo
	v_dual_add_f32 v54, v57, v56 :: v_dual_lshlrev_b32 v57, 16, v53
	v_bfe_u32 v56, v58, 16, 1
	v_cmp_u_f32_e32 vcc_lo, v55, v55
	s_delay_alu instid0(VALU_DEP_4) | instskip(NEXT) | instid1(VALU_DEP_4)
	v_and_b32_e32 v59, 0xffff0000, v60
	v_dual_mul_f32 v57, v2, v57 :: v_dual_and_b32 v60, 0xffff0000, v63
	s_delay_alu instid0(VALU_DEP_4) | instskip(NEXT) | instid1(VALU_DEP_2)
	v_add3_u32 v56, v56, v58, 0x7fff
	v_add_f32_e32 v53, v59, v60
	v_add3_u32 v59, v61, v55, 0x7fff
	v_or_b32_e32 v60, 0x400000, v55
	v_or_b32_e32 v61, 0x400000, v58
	s_wait_alu 0xfffd
	s_delay_alu instid0(VALU_DEP_2) | instskip(SKIP_3) | instid1(VALU_DEP_4)
	v_cndmask_b32_e32 v55, v59, v60, vcc_lo
	v_bfe_u32 v59, v57, 16, 1
	v_cmp_u_f32_e32 vcc_lo, v58, v58
	v_bfe_u32 v60, v52, 16, 1
	v_and_b32_e32 v55, 0xffff0000, v55
	s_delay_alu instid0(VALU_DEP_4)
	v_add3_u32 v58, v59, v57, 0x7fff
	s_wait_alu 0xfffd
	v_cndmask_b32_e32 v56, v56, v61, vcc_lo
	v_or_b32_e32 v59, 0x400000, v57
	v_cmp_u_f32_e32 vcc_lo, v57, v57
	v_bfe_u32 v61, v50, 16, 1
	s_wait_alu 0xfffd
	s_delay_alu instid0(VALU_DEP_3)
	v_dual_cndmask_b32 v57, v58, v59 :: v_dual_and_b32 v56, 0xffff0000, v56
	v_add3_u32 v58, v60, v52, 0x7fff
	v_or_b32_e32 v59, 0x400000, v52
	v_bfe_u32 v60, v51, 16, 1
	v_cmp_u_f32_e32 vcc_lo, v52, v52
	v_and_b32_e32 v57, 0xffff0000, v57
	v_add_f32_e32 v55, v56, v55
	v_bfe_u32 v56, v45, 16, 1
	s_wait_alu 0xfffd
	v_cndmask_b32_e32 v52, v58, v59, vcc_lo
	v_add3_u32 v58, v60, v51, 0x7fff
	v_or_b32_e32 v59, 0x400000, v51
	v_cmp_u_f32_e32 vcc_lo, v51, v51
	v_add3_u32 v60, v61, v50, 0x7fff
	v_or_b32_e32 v61, 0x400000, v50
	s_wait_alu 0xfffd
	v_dual_cndmask_b32 v51, v58, v59 :: v_dual_and_b32 v52, 0xffff0000, v52
	v_cmp_u_f32_e32 vcc_lo, v50, v50
	v_add3_u32 v58, v62, v49, 0x7fff
	v_or_b32_e32 v59, 0x400000, v49
	s_delay_alu instid0(VALU_DEP_4)
	v_dual_add_f32 v52, v52, v57 :: v_dual_and_b32 v51, 0xffff0000, v51
	s_wait_alu 0xfffd
	v_cndmask_b32_e32 v50, v60, v61, vcc_lo
	v_bfe_u32 v60, v48, 16, 1
	v_cmp_u_f32_e32 vcc_lo, v49, v49
	v_add_f32_e32 v52, v52, v55
	v_or_b32_e32 v55, 0x400000, v46
	s_wait_alu 0xfffd
	v_dual_cndmask_b32 v49, v58, v59 :: v_dual_and_b32 v50, 0xffff0000, v50
	v_add3_u32 v58, v60, v48, 0x7fff
	v_or_b32_e32 v59, 0x400000, v48
	v_cmp_u_f32_e32 vcc_lo, v48, v48
	s_delay_alu instid0(VALU_DEP_4) | instskip(SKIP_3) | instid1(VALU_DEP_3)
	v_dual_add_f32 v50, v50, v51 :: v_dual_and_b32 v49, 0xffff0000, v49
	v_bfe_u32 v51, v47, 16, 1
	s_wait_alu 0xfffd
	v_cndmask_b32_e32 v48, v58, v59, vcc_lo
	v_add_f32_e32 v50, v50, v52
	v_bfe_u32 v52, v46, 16, 1
	v_cmp_u_f32_e32 vcc_lo, v47, v47
	s_delay_alu instid0(VALU_DEP_4) | instskip(NEXT) | instid1(VALU_DEP_3)
	v_and_b32_e32 v48, 0xffff0000, v48
	v_add3_u32 v52, v52, v46, 0x7fff
	s_delay_alu instid0(VALU_DEP_2) | instskip(SKIP_3) | instid1(VALU_DEP_1)
	v_add_f32_e32 v48, v48, v49
	v_add3_u32 v49, v51, v47, 0x7fff
	v_or_b32_e32 v51, 0x400000, v47
	s_wait_alu 0xfffd
	v_cndmask_b32_e32 v47, v49, v51, vcc_lo
	v_cmp_u_f32_e32 vcc_lo, v46, v46
	v_add3_u32 v49, v56, v45, 0x7fff
	v_or_b32_e32 v51, 0x400000, v45
	v_bfe_u32 v56, v41, 16, 1
	v_and_b32_e32 v47, 0xffff0000, v47
	s_wait_alu 0xfffd
	v_cndmask_b32_e32 v46, v52, v55, vcc_lo
	v_bfe_u32 v52, v44, 16, 1
	v_cmp_u_f32_e32 vcc_lo, v45, v45
	v_bfe_u32 v55, v42, 16, 1
	s_wait_alu 0xfffd
	v_dual_cndmask_b32 v45, v49, v51 :: v_dual_and_b32 v46, 0xffff0000, v46
	v_add3_u32 v49, v52, v44, 0x7fff
	v_or_b32_e32 v51, 0x400000, v44
	v_bfe_u32 v52, v43, 16, 1
	v_cmp_u_f32_e32 vcc_lo, v44, v44
	v_dual_add_f32 v46, v46, v47 :: v_dual_and_b32 v45, 0xffff0000, v45
	v_or_b32_e32 v47, 0x400000, v40
	s_wait_alu 0xfffd
	v_cndmask_b32_e32 v44, v49, v51, vcc_lo
	v_add3_u32 v49, v52, v43, 0x7fff
	v_or_b32_e32 v51, 0x400000, v43
	v_cmp_u_f32_e32 vcc_lo, v43, v43
	v_add3_u32 v52, v55, v42, 0x7fff
	v_or_b32_e32 v55, 0x400000, v42
	s_wait_alu 0xfffd
	v_dual_cndmask_b32 v43, v49, v51 :: v_dual_and_b32 v44, 0xffff0000, v44
	v_cmp_u_f32_e32 vcc_lo, v42, v42
	v_add3_u32 v49, v56, v41, 0x7fff
	v_or_b32_e32 v51, 0x400000, v41
	s_delay_alu instid0(VALU_DEP_4) | instskip(SKIP_3) | instid1(VALU_DEP_3)
	v_dual_add_f32 v44, v44, v45 :: v_dual_and_b32 v43, 0xffff0000, v43
	s_wait_alu 0xfffd
	v_cndmask_b32_e32 v42, v52, v55, vcc_lo
	v_cmp_u_f32_e32 vcc_lo, v41, v41
	v_add_f32_e32 v44, v44, v46
	v_or_b32_e32 v46, 0x400000, v37
	s_wait_alu 0xfffd
	v_dual_cndmask_b32 v41, v49, v51 :: v_dual_and_b32 v42, 0xffff0000, v42
	v_bfe_u32 v49, v40, 16, 1
	v_cmp_u_f32_e32 vcc_lo, v40, v40
	s_delay_alu instid0(VALU_DEP_3) | instskip(SKIP_1) | instid1(VALU_DEP_4)
	v_add_f32_e32 v42, v42, v43
	v_bfe_u32 v43, v39, 16, 1
	v_add3_u32 v45, v49, v40, 0x7fff
	v_and_b32_e32 v41, 0xffff0000, v41
	v_lshlrev_b32_e32 v36, 16, v36
	v_add_f32_e32 v42, v42, v44
	v_add3_u32 v43, v43, v39, 0x7fff
	s_wait_alu 0xfffd
	v_cndmask_b32_e32 v40, v45, v47, vcc_lo
	v_or_b32_e32 v44, 0x400000, v39
	v_bfe_u32 v45, v38, 16, 1
	v_cmp_u_f32_e32 vcc_lo, v39, v39
	v_mul_f32_e32 v36, v7, v36
	v_lshlrev_b32_e32 v32, 16, v32
	s_wait_alu 0xfffd
	v_cndmask_b32_e32 v39, v43, v44, vcc_lo
	v_bfe_u32 v43, v37, 16, 1
	v_add3_u32 v44, v45, v38, 0x7fff
	v_or_b32_e32 v45, 0x400000, v38
	v_cmp_u_f32_e32 vcc_lo, v38, v38
	v_mul_f32_e32 v32, v6, v32
	v_add3_u32 v43, v43, v37, 0x7fff
	v_dual_mul_f32 v6, v6, v14 :: v_dual_and_b32 v39, 0xffff0000, v39
	s_wait_alu 0xfffd
	v_cndmask_b32_e32 v38, v44, v45, vcc_lo
	v_bfe_u32 v44, v36, 16, 1
	v_cmp_u_f32_e32 vcc_lo, v37, v37
	v_or_b32_e32 v45, 0x400000, v36
	s_delay_alu instid0(VALU_DEP_4) | instskip(NEXT) | instid1(VALU_DEP_4)
	v_and_b32_e32 v38, 0xffff0000, v38
	v_add3_u32 v44, v44, v36, 0x7fff
	s_wait_alu 0xfffd
	v_cndmask_b32_e32 v37, v43, v46, vcc_lo
	v_bfe_u32 v43, v35, 16, 1
	v_cmp_u_f32_e32 vcc_lo, v36, v36
	v_or_b32_e32 v46, 0x400000, v35
	s_delay_alu instid0(VALU_DEP_4) | instskip(NEXT) | instid1(VALU_DEP_4)
	v_dual_add_f32 v38, v38, v39 :: v_dual_and_b32 v37, 0xffff0000, v37
	v_add3_u32 v43, v43, v35, 0x7fff
	s_wait_alu 0xfffd
	v_cndmask_b32_e32 v36, v44, v45, vcc_lo
	v_bfe_u32 v44, v34, 16, 1
	v_cmp_u_f32_e32 vcc_lo, v35, v35
	v_bfe_u32 v45, v33, 16, 1
	s_wait_alu 0xfffd
	v_dual_cndmask_b32 v35, v43, v46 :: v_dual_and_b32 v36, 0xffff0000, v36
	v_add3_u32 v43, v44, v34, 0x7fff
	v_or_b32_e32 v44, 0x400000, v34
	v_cmp_u_f32_e32 vcc_lo, v34, v34
	v_add3_u32 v45, v45, v33, 0x7fff
	v_or_b32_e32 v46, 0x400000, v33
	v_dual_add_f32 v36, v36, v37 :: v_dual_and_b32 v35, 0xffff0000, v35
	s_wait_alu 0xfffd
	v_cndmask_b32_e32 v34, v43, v44, vcc_lo
	v_cmp_u_f32_e32 vcc_lo, v33, v33
	v_bfe_u32 v43, v32, 16, 1
	v_lshlrev_b32_e32 v37, 16, v79
	v_or_b32_e32 v44, 0x400000, v32
	v_and_b32_e32 v34, 0xffff0000, v34
	s_wait_alu 0xfffd
	v_cndmask_b32_e32 v33, v45, v46, vcc_lo
	v_lshlrev_b32_e32 v45, 16, v81
	v_add3_u32 v43, v43, v32, 0x7fff
	v_cmp_u_f32_e32 vcc_lo, v32, v32
	v_add_f32_e32 v36, v36, v38
	s_delay_alu instid0(VALU_DEP_4) | instskip(SKIP_3) | instid1(VALU_DEP_3)
	v_dual_add_f32 v34, v34, v35 :: v_dual_mul_f32 v5, v5, v45
	v_mul_f32_e32 v1, v1, v37
	s_wait_alu 0xfffd
	v_dual_cndmask_b32 v32, v43, v44 :: v_dual_lshlrev_b32 v35, 16, v77
	v_bfe_u32 v38, v5, 16, 1
	s_delay_alu instid0(VALU_DEP_3) | instskip(NEXT) | instid1(VALU_DEP_3)
	v_bfe_u32 v39, v1, 16, 1
	v_mul_f32_e32 v7, v7, v35
	v_lshlrev_b32_e32 v35, 16, v75
	v_cmp_u_f32_e32 vcc_lo, v5, v5
	v_add3_u32 v37, v38, v5, 0x7fff
	v_or_b32_e32 v38, 0x400000, v5
	v_and_b32_e32 v32, 0xffff0000, v32
	v_dual_mul_f32 v2, v2, v35 :: v_dual_lshlrev_b32 v35, 16, v73
	s_wait_alu 0xfffd
	s_delay_alu instid0(VALU_DEP_3)
	v_cndmask_b32_e32 v5, v37, v38, vcc_lo
	v_add3_u32 v37, v39, v1, 0x7fff
	v_or_b32_e32 v38, 0x400000, v1
	v_bfe_u32 v39, v7, 16, 1
	v_cmp_u_f32_e32 vcc_lo, v1, v1
	v_dual_mul_f32 v8, v8, v35 :: v_dual_lshlrev_b32 v35, 16, v72
	v_and_b32_e32 v5, 0xffff0000, v5
	s_wait_alu 0xfffd
	v_cndmask_b32_e32 v1, v37, v38, vcc_lo
	v_add3_u32 v37, v39, v7, 0x7fff
	v_or_b32_e32 v38, 0x400000, v7
	v_bfe_u32 v39, v2, 16, 1
	v_cmp_u_f32_e32 vcc_lo, v7, v7
	v_mul_f32_e32 v3, v3, v35
	v_or_b32_e32 v13, 0x400000, v8
	v_and_b32_e32 v1, 0xffff0000, v1
	s_wait_alu 0xfffd
	v_cndmask_b32_e32 v7, v37, v38, vcc_lo
	v_add3_u32 v37, v39, v2, 0x7fff
	v_or_b32_e32 v38, 0x400000, v2
	v_bfe_u32 v39, v8, 16, 1
	v_cmp_u_f32_e32 vcc_lo, v2, v2
	v_bfe_u32 v35, v3, 16, 1
	v_and_b32_e32 v7, 0xffff0000, v7
	v_add_f32_e32 v1, v5, v1
	s_wait_alu 0xfffd
	v_cndmask_b32_e32 v2, v37, v38, vcc_lo
	v_add3_u32 v37, v39, v8, 0x7fff
	v_cmp_u_f32_e32 vcc_lo, v8, v8
	v_add3_u32 v14, v35, v3, 0x7fff
	v_or_b32_e32 v35, 0x400000, v3
	v_bfe_u32 v39, v4, 16, 1
	v_bfe_u32 v38, v6, 16, 1
	s_wait_alu 0xfffd
	v_cndmask_b32_e32 v8, v37, v13, vcc_lo
	v_cmp_u_f32_e32 vcc_lo, v3, v3
	v_and_b32_e32 v2, 0xffff0000, v2
	v_or_b32_e32 v37, 0x400000, v6
	v_add3_u32 v13, v38, v6, 0x7fff
	v_and_b32_e32 v5, 0xffff0000, v8
	s_wait_alu 0xfffd
	v_cndmask_b32_e32 v3, v14, v35, vcc_lo
	v_add3_u32 v14, v39, v4, 0x7fff
	v_or_b32_e32 v35, 0x400000, v4
	v_cmp_u_f32_e32 vcc_lo, v4, v4
	s_delay_alu instid0(VALU_DEP_4)
	v_dual_add_f32 v2, v7, v2 :: v_dual_and_b32 v3, 0xffff0000, v3
	v_and_b32_e32 v7, 0xffff0000, v33
	v_and_b32_e32 v40, 0xffff0000, v40
	s_wait_alu 0xfffd
	v_cndmask_b32_e32 v4, v14, v35, vcc_lo
	v_cmp_u_f32_e32 vcc_lo, v6, v6
	v_dual_add_f32 v1, v2, v1 :: v_dual_add_f32 v2, v5, v3
	v_add_f32_e32 v7, v32, v7
	s_wait_alu 0xfffd
	v_dual_cndmask_b32 v6, v13, v37 :: v_dual_and_b32 v3, 0xffff0000, v4
	v_add_f32_e32 v5, v40, v41
	s_delay_alu instid0(VALU_DEP_2) | instskip(NEXT) | instid1(VALU_DEP_2)
	v_dual_add_f32 v1, v2, v1 :: v_dual_and_b32 v4, 0xffff0000, v6
	v_dual_add_f32 v6, v34, v36 :: v_dual_add_f32 v5, v5, v42
	s_delay_alu instid0(VALU_DEP_2) | instskip(SKIP_1) | instid1(VALU_DEP_3)
	v_dual_add_f32 v2, v4, v3 :: v_dual_add_f32 v3, v53, v54
	v_add_f32_e32 v4, v48, v50
	v_add_f32_e32 v6, v7, v6
	s_delay_alu instid0(VALU_DEP_4) | instskip(NEXT) | instid1(VALU_DEP_4)
	v_add_f32_e32 v30, v30, v5
	v_add_f32_e32 v1, v2, v1
	s_delay_alu instid0(VALU_DEP_4) | instskip(NEXT) | instid1(VALU_DEP_2)
	v_dual_add_f32 v27, v27, v3 :: v_dual_add_f32 v28, v28, v4
	v_dual_add_f32 v29, v29, v6 :: v_dual_add_f32 v22, v22, v1
.LBB350_37:                             ;   in Loop: Header=BB350_38 Depth=1
	s_wait_alu 0xfffe
	s_or_b32 exec_lo, exec_lo, s7
	v_add_nc_u32_e32 v18, 4, v18
	v_add_co_u32 v9, s0, v9, 16
	s_wait_alu 0xf1ff
	v_add_co_ci_u32_e64 v10, null, 0, v10, s0
	s_delay_alu instid0(VALU_DEP_3)
	v_cmp_le_i32_e32 vcc_lo, s40, v18
	v_add_nc_u32_e32 v17, 0x80, v17
	v_add_nc_u32_e32 v31, 0x200, v31
	s_or_b32 s5, vcc_lo, s5
	s_wait_alu 0xfffe
	s_and_not1_b32 exec_lo, exec_lo, s5
	s_cbranch_execz .LBB350_55
.LBB350_38:                             ; =>This Inner Loop Header: Depth=1
	v_sub_nc_u32_e32 v1, 0, v17
	s_delay_alu instid0(VALU_DEP_1) | instskip(NEXT) | instid1(VALU_DEP_1)
	v_max_i32_e32 v1, v17, v1
	v_mul_hi_u32 v2, v1, s48
	s_delay_alu instid0(VALU_DEP_1) | instskip(NEXT) | instid1(VALU_DEP_1)
	v_mul_lo_u32 v3, v2, s44
	v_sub_nc_u32_e32 v1, v1, v3
	v_add_nc_u32_e32 v3, 1, v2
	s_delay_alu instid0(VALU_DEP_2) | instskip(SKIP_2) | instid1(VALU_DEP_2)
	v_subrev_nc_u32_e32 v4, s44, v1
	v_cmp_le_u32_e32 vcc_lo, s44, v1
	s_wait_alu 0xfffd
	v_dual_cndmask_b32 v2, v2, v3 :: v_dual_cndmask_b32 v1, v1, v4
	v_ashrrev_i32_e32 v3, 31, v17
	s_delay_alu instid0(VALU_DEP_2) | instskip(NEXT) | instid1(VALU_DEP_3)
	v_add_nc_u32_e32 v4, 1, v2
	v_cmp_le_u32_e32 vcc_lo, s44, v1
	s_delay_alu instid0(VALU_DEP_3) | instskip(SKIP_1) | instid1(VALU_DEP_3)
	v_xor_b32_e32 v3, s43, v3
	s_wait_alu 0xfffd
	v_cndmask_b32_e32 v1, v2, v4, vcc_lo
	s_delay_alu instid0(VALU_DEP_1) | instskip(NEXT) | instid1(VALU_DEP_1)
	v_xor_b32_e32 v1, v1, v3
	v_sub_nc_u32_e32 v1, v1, v3
	s_delay_alu instid0(VALU_DEP_1) | instskip(SKIP_1) | instid1(VALU_DEP_2)
	v_add_nc_u32_e32 v2, s55, v1
	v_cmp_lt_i32_e64 s0, s3, v1
	v_sub_nc_u32_e32 v3, 0, v2
	s_delay_alu instid0(VALU_DEP_1) | instskip(SKIP_1) | instid1(VALU_DEP_1)
	v_max_i32_e32 v3, v2, v3
	s_wait_alu 0xfffe
	v_mul_hi_u32 v4, v3, s6
	s_delay_alu instid0(VALU_DEP_1) | instskip(NEXT) | instid1(VALU_DEP_1)
	v_mul_lo_u32 v4, v4, s2
	v_sub_nc_u32_e32 v3, v3, v4
	s_delay_alu instid0(VALU_DEP_1) | instskip(SKIP_2) | instid1(VALU_DEP_2)
	v_subrev_nc_u32_e32 v4, s2, v3
	v_cmp_le_u32_e32 vcc_lo, s2, v3
	s_wait_alu 0xfffd
	v_cndmask_b32_e32 v3, v3, v4, vcc_lo
	v_ashrrev_i32_e32 v2, 31, v2
	s_delay_alu instid0(VALU_DEP_2) | instskip(SKIP_2) | instid1(VALU_DEP_2)
	v_subrev_nc_u32_e32 v4, s2, v3
	v_cmp_le_u32_e32 vcc_lo, s2, v3
	s_wait_alu 0xfffd
	v_cndmask_b32_e32 v3, v3, v4, vcc_lo
	s_delay_alu instid0(VALU_DEP_1) | instskip(NEXT) | instid1(VALU_DEP_1)
	v_xor_b32_e32 v3, v3, v2
	v_sub_nc_u32_e32 v2, v3, v2
	s_delay_alu instid0(VALU_DEP_1)
	v_cmp_eq_u32_e32 vcc_lo, 0, v2
	s_or_b32 s0, vcc_lo, s0
	s_wait_alu 0xfffe
	s_and_saveexec_b32 s7, s0
	s_cbranch_execz .LBB350_37
; %bb.39:                               ;   in Loop: Header=BB350_38 Depth=1
	global_load_b32 v1, v[9:10], off
	v_cmp_eq_u32_e32 vcc_lo, s49, v18
	s_wait_loadcnt 0x0
	v_mad_co_i64_i32 v[13:14], null, v1, s4, v[11:12]
	global_load_b64 v[32:33], v[13:14], off
	ds_load_2addr_b64 v[5:8], v31 offset1:1
	ds_load_2addr_b64 v[1:4], v31 offset0:2 offset1:3
	s_load_b32 s11, s[38:39], 0x0
	s_wait_loadcnt 0x0
	v_and_b32_e32 v34, 0xff, v32
	v_bfe_u32 v35, v32, 8, 8
	v_bfe_u32 v36, v32, 16, 8
	v_lshrrev_b32_e32 v32, 24, v32
	v_bfe_u32 v38, v33, 8, 8
	v_cvt_f32_fp8_e32 v34, v34
	v_cvt_f32_fp8_e32 v35, v35
	v_add_nc_u32_e32 v56, v23, v17
	v_cvt_f32_fp8_e32 v36, v36
	s_wait_kmcnt 0x0
	v_dual_mul_f32 v34, s11, v34 :: v_dual_and_b32 v37, 0xff, v33
	v_mul_f32_e32 v35, s11, v35
	v_add_nc_u32_e32 v61, 2, v56
	v_cvt_f32_fp8_e32 v32, v32
	v_mul_f32_e32 v36, s11, v36
	v_bfe_u32 v40, v34, 16, 1
	v_or_b32_e32 v41, 0x400000, v34
	v_bfe_u32 v42, v35, 16, 1
	v_cmp_u_f32_e64 s0, v34, v34
	v_cvt_f32_fp8_e32 v37, v37
	v_add3_u32 v40, v40, v34, 0x7fff
	v_mul_f32_e32 v32, s11, v32
	v_or_b32_e32 v43, 0x400000, v35
	v_bfe_u32 v44, v36, 16, 1
	v_add3_u32 v42, v42, v35, 0x7fff
	s_wait_alu 0xf1ff
	v_cndmask_b32_e64 v34, v40, v41, s0
	v_cmp_u_f32_e64 s0, v35, v35
	v_dual_mul_f32 v37, s11, v37 :: v_dual_add_nc_u32 v62, 1, v56
	v_bfe_u32 v39, v33, 16, 8
	v_cvt_f32_fp8_e32 v38, v38
	v_or_b32_e32 v45, 0x400000, v36
	v_bfe_u32 v46, v32, 16, 1
	v_add3_u32 v44, v44, v36, 0x7fff
	s_wait_alu 0xf1ff
	v_cndmask_b32_e64 v35, v42, v43, s0
	v_cmp_u_f32_e64 s0, v36, v36
	v_dual_mul_f32 v38, s11, v38 :: v_dual_add_nc_u32 v59, 4, v56
	v_lshrrev_b32_e32 v33, 24, v33
	v_cvt_f32_fp8_e32 v39, v39
	v_or_b32_e32 v47, 0x400000, v32
	v_bfe_u32 v48, v37, 16, 1
	v_add3_u32 v46, v46, v32, 0x7fff
	s_wait_alu 0xf1ff
	v_cndmask_b32_e64 v36, v44, v45, s0
	v_cmp_u_f32_e64 s0, v32, v32
	v_dual_mul_f32 v39, s11, v39 :: v_dual_add_nc_u32 v60, 3, v56
	v_cvt_f32_fp8_e32 v33, v33
	v_or_b32_e32 v49, 0x400000, v37
	v_bfe_u32 v50, v38, 16, 1
	v_add3_u32 v48, v48, v37, 0x7fff
	s_wait_alu 0xf1ff
	v_cndmask_b32_e64 v32, v46, v47, s0
	v_cmp_u_f32_e64 s0, v37, v37
	v_dual_mul_f32 v33, s11, v33 :: v_dual_add_nc_u32 v58, 5, v56
	v_or_b32_e32 v51, 0x400000, v38
	v_bfe_u32 v52, v39, 16, 1
	v_add3_u32 v50, v50, v38, 0x7fff
	s_wait_alu 0xf1ff
	v_cndmask_b32_e64 v40, v48, v49, s0
	v_cmp_u_f32_e64 s0, v38, v38
	v_or_b32_e32 v53, 0x400000, v39
	v_bfe_u32 v54, v33, 16, 1
	v_add3_u32 v52, v52, v39, 0x7fff
	v_or_b32_e32 v55, 0x400000, v33
	s_wait_alu 0xf1ff
	v_cndmask_b32_e64 v41, v50, v51, s0
	v_cmp_u_f32_e64 s0, v39, v39
	v_add3_u32 v54, v54, v33, 0x7fff
	v_add_nc_u32_e32 v57, 6, v56
	v_lshrrev_b32_e32 v38, 16, v34
	v_lshrrev_b32_e32 v39, 16, v35
	s_wait_alu 0xf1ff
	v_cndmask_b32_e64 v42, v52, v53, s0
	v_cmp_u_f32_e64 s0, v33, v33
	v_lshrrev_b32_e32 v36, 16, v36
	v_lshrrev_b32_e32 v37, 16, v32
	;; [unrolled: 1-line block ×4, first 2 shown]
	s_wait_alu 0xf1ff
	v_cndmask_b32_e64 v33, v54, v55, s0
	v_lshrrev_b32_e32 v32, 16, v42
	v_add_nc_u32_e32 v63, 7, v56
	s_delay_alu instid0(VALU_DEP_3)
	v_lshrrev_b32_e32 v33, 16, v33
	s_and_saveexec_b32 s12, vcc_lo
	s_cbranch_execz .LBB350_41
; %bb.40:                               ;   in Loop: Header=BB350_38 Depth=1
	v_cmp_gt_i32_e64 s0, s54, v56
	s_wait_alu 0xf1ff
	s_delay_alu instid0(VALU_DEP_1) | instskip(SKIP_2) | instid1(VALU_DEP_1)
	v_cndmask_b32_e64 v38, 0, v38, s0
	v_cmp_gt_i32_e64 s0, s54, v62
	s_wait_alu 0xf1ff
	v_cndmask_b32_e64 v39, 0, v39, s0
	v_cmp_gt_i32_e64 s0, s54, v61
	s_wait_alu 0xf1ff
	s_delay_alu instid0(VALU_DEP_1) | instskip(SKIP_2) | instid1(VALU_DEP_1)
	v_cndmask_b32_e64 v36, 0, v36, s0
	v_cmp_gt_i32_e64 s0, s54, v60
	s_wait_alu 0xf1ff
	v_cndmask_b32_e64 v37, 0, v37, s0
	;; [unrolled: 7-line block ×4, first 2 shown]
.LBB350_41:                             ;   in Loop: Header=BB350_38 Depth=1
	s_wait_alu 0xfffe
	s_or_b32 exec_lo, exec_lo, s12
	global_load_b64 v[40:41], v[13:14], off offset:256
	s_wait_loadcnt 0x0
	v_bfe_u32 v43, v40, 8, 8
	v_bfe_u32 v44, v40, 16, 8
	;; [unrolled: 1-line block ×4, first 2 shown]
	s_delay_alu instid0(VALU_DEP_4)
	v_cvt_f32_fp8_e32 v43, v43
	v_and_b32_e32 v42, 0xff, v40
	v_lshrrev_b32_e32 v40, 24, v40
	v_cvt_f32_fp8_e32 v44, v44
	v_cvt_f32_fp8_e32 v47, v47
	v_mul_f32_e32 v43, s11, v43
	v_cvt_f32_fp8_e32 v42, v42
	v_and_b32_e32 v45, 0xff, v41
	v_cvt_f32_fp8_e32 v40, v40
	v_lshrrev_b32_e32 v41, 24, v41
	v_bfe_u32 v50, v43, 16, 1
	v_mul_f32_e32 v42, s11, v42
	v_cvt_f32_fp8_e32 v45, v45
	v_mul_f32_e32 v44, s11, v44
	v_dual_mul_f32 v40, s11, v40 :: v_dual_mul_f32 v47, s11, v47
	s_delay_alu instid0(VALU_DEP_4)
	v_bfe_u32 v48, v42, 16, 1
	v_or_b32_e32 v49, 0x400000, v42
	v_cmp_u_f32_e64 s0, v42, v42
	v_mul_f32_e32 v45, s11, v45
	v_or_b32_e32 v51, 0x400000, v43
	v_add3_u32 v48, v48, v42, 0x7fff
	v_bfe_u32 v52, v44, 16, 1
	v_add3_u32 v50, v50, v43, 0x7fff
	v_cvt_f32_fp8_e32 v46, v46
	v_or_b32_e32 v53, 0x400000, v44
	s_wait_alu 0xf1ff
	v_cndmask_b32_e64 v42, v48, v49, s0
	v_cmp_u_f32_e64 s0, v43, v43
	v_bfe_u32 v54, v40, 16, 1
	v_add3_u32 v52, v52, v44, 0x7fff
	v_cvt_f32_fp8_e32 v41, v41
	v_mul_f32_e32 v46, s11, v46
	s_wait_alu 0xf1ff
	v_cndmask_b32_e64 v43, v50, v51, s0
	v_cmp_u_f32_e64 s0, v44, v44
	v_or_b32_e32 v55, 0x400000, v40
	v_bfe_u32 v64, v45, 16, 1
	v_add3_u32 v54, v54, v40, 0x7fff
	v_mul_f32_e32 v41, s11, v41
	s_wait_alu 0xf1ff
	v_cndmask_b32_e64 v44, v52, v53, s0
	v_cmp_u_f32_e64 s0, v40, v40
	v_or_b32_e32 v65, 0x400000, v45
	v_bfe_u32 v66, v46, 16, 1
	v_add3_u32 v64, v64, v45, 0x7fff
	v_or_b32_e32 v67, 0x400000, v46
	s_wait_alu 0xf1ff
	v_cndmask_b32_e64 v40, v54, v55, s0
	v_cmp_u_f32_e64 s0, v45, v45
	v_bfe_u32 v68, v47, 16, 1
	v_add3_u32 v66, v66, v46, 0x7fff
	v_or_b32_e32 v69, 0x400000, v47
	v_bfe_u32 v70, v41, 16, 1
	s_wait_alu 0xf1ff
	v_cndmask_b32_e64 v48, v64, v65, s0
	v_cmp_u_f32_e64 s0, v46, v46
	v_add3_u32 v68, v68, v47, 0x7fff
	v_or_b32_e32 v71, 0x400000, v41
	v_add3_u32 v70, v70, v41, 0x7fff
	v_lshrrev_b32_e32 v46, 16, v42
	s_wait_alu 0xf1ff
	v_cndmask_b32_e64 v49, v66, v67, s0
	v_cmp_u_f32_e64 s0, v47, v47
	v_lshrrev_b32_e32 v47, 16, v43
	v_lshrrev_b32_e32 v44, 16, v44
	;; [unrolled: 1-line block ×4, first 2 shown]
	s_wait_alu 0xf1ff
	v_cndmask_b32_e64 v50, v68, v69, s0
	v_cmp_u_f32_e64 s0, v41, v41
	v_lshrrev_b32_e32 v43, 16, v49
	s_delay_alu instid0(VALU_DEP_3) | instskip(SKIP_1) | instid1(VALU_DEP_3)
	v_lshrrev_b32_e32 v40, 16, v50
	s_wait_alu 0xf1ff
	v_cndmask_b32_e64 v41, v70, v71, s0
	s_delay_alu instid0(VALU_DEP_1)
	v_lshrrev_b32_e32 v41, 16, v41
	s_and_saveexec_b32 s12, vcc_lo
	s_cbranch_execz .LBB350_43
; %bb.42:                               ;   in Loop: Header=BB350_38 Depth=1
	v_cmp_gt_i32_e64 s0, s54, v56
	s_wait_alu 0xf1ff
	s_delay_alu instid0(VALU_DEP_1) | instskip(SKIP_2) | instid1(VALU_DEP_1)
	v_cndmask_b32_e64 v46, 0, v46, s0
	v_cmp_gt_i32_e64 s0, s54, v62
	s_wait_alu 0xf1ff
	v_cndmask_b32_e64 v47, 0, v47, s0
	v_cmp_gt_i32_e64 s0, s54, v61
	s_wait_alu 0xf1ff
	s_delay_alu instid0(VALU_DEP_1) | instskip(SKIP_2) | instid1(VALU_DEP_1)
	v_cndmask_b32_e64 v44, 0, v44, s0
	v_cmp_gt_i32_e64 s0, s54, v60
	s_wait_alu 0xf1ff
	v_cndmask_b32_e64 v45, 0, v45, s0
	;; [unrolled: 7-line block ×4, first 2 shown]
.LBB350_43:                             ;   in Loop: Header=BB350_38 Depth=1
	s_wait_alu 0xfffe
	s_or_b32 exec_lo, exec_lo, s12
	global_load_b64 v[48:49], v[13:14], off offset:512
	s_wait_loadcnt 0x0
	v_bfe_u32 v51, v48, 8, 8
	v_bfe_u32 v52, v48, 16, 8
	;; [unrolled: 1-line block ×4, first 2 shown]
	s_delay_alu instid0(VALU_DEP_4)
	v_cvt_f32_fp8_e32 v51, v51
	v_and_b32_e32 v50, 0xff, v48
	v_lshrrev_b32_e32 v48, 24, v48
	v_cvt_f32_fp8_e32 v52, v52
	v_cvt_f32_fp8_e32 v55, v55
	v_mul_f32_e32 v51, s11, v51
	v_cvt_f32_fp8_e32 v50, v50
	v_and_b32_e32 v53, 0xff, v49
	v_cvt_f32_fp8_e32 v48, v48
	v_lshrrev_b32_e32 v49, 24, v49
	v_bfe_u32 v66, v51, 16, 1
	v_mul_f32_e32 v50, s11, v50
	v_cvt_f32_fp8_e32 v53, v53
	v_mul_f32_e32 v52, s11, v52
	v_dual_mul_f32 v48, s11, v48 :: v_dual_mul_f32 v55, s11, v55
	s_delay_alu instid0(VALU_DEP_4)
	v_bfe_u32 v64, v50, 16, 1
	v_or_b32_e32 v65, 0x400000, v50
	v_cmp_u_f32_e64 s0, v50, v50
	v_mul_f32_e32 v53, s11, v53
	v_or_b32_e32 v67, 0x400000, v51
	v_add3_u32 v64, v64, v50, 0x7fff
	v_bfe_u32 v68, v52, 16, 1
	v_add3_u32 v66, v66, v51, 0x7fff
	v_cvt_f32_fp8_e32 v54, v54
	v_or_b32_e32 v69, 0x400000, v52
	s_wait_alu 0xf1ff
	v_cndmask_b32_e64 v50, v64, v65, s0
	v_cmp_u_f32_e64 s0, v51, v51
	v_bfe_u32 v70, v48, 16, 1
	v_add3_u32 v68, v68, v52, 0x7fff
	v_cvt_f32_fp8_e32 v49, v49
	v_mul_f32_e32 v54, s11, v54
	s_wait_alu 0xf1ff
	v_cndmask_b32_e64 v51, v66, v67, s0
	v_cmp_u_f32_e64 s0, v52, v52
	v_or_b32_e32 v71, 0x400000, v48
	v_bfe_u32 v72, v53, 16, 1
	v_add3_u32 v70, v70, v48, 0x7fff
	v_mul_f32_e32 v49, s11, v49
	s_wait_alu 0xf1ff
	v_cndmask_b32_e64 v52, v68, v69, s0
	v_cmp_u_f32_e64 s0, v48, v48
	v_or_b32_e32 v73, 0x400000, v53
	v_bfe_u32 v74, v54, 16, 1
	v_add3_u32 v72, v72, v53, 0x7fff
	v_or_b32_e32 v75, 0x400000, v54
	s_wait_alu 0xf1ff
	v_cndmask_b32_e64 v48, v70, v71, s0
	v_cmp_u_f32_e64 s0, v53, v53
	v_bfe_u32 v76, v55, 16, 1
	v_add3_u32 v74, v74, v54, 0x7fff
	v_or_b32_e32 v77, 0x400000, v55
	v_bfe_u32 v78, v49, 16, 1
	s_wait_alu 0xf1ff
	v_cndmask_b32_e64 v64, v72, v73, s0
	v_cmp_u_f32_e64 s0, v54, v54
	v_add3_u32 v76, v76, v55, 0x7fff
	v_or_b32_e32 v79, 0x400000, v49
	v_add3_u32 v78, v78, v49, 0x7fff
	v_lshrrev_b32_e32 v54, 16, v50
	s_wait_alu 0xf1ff
	v_cndmask_b32_e64 v65, v74, v75, s0
	v_cmp_u_f32_e64 s0, v55, v55
	v_lshrrev_b32_e32 v55, 16, v51
	v_lshrrev_b32_e32 v52, 16, v52
	;; [unrolled: 1-line block ×4, first 2 shown]
	s_wait_alu 0xf1ff
	v_cndmask_b32_e64 v66, v76, v77, s0
	v_cmp_u_f32_e64 s0, v49, v49
	v_lshrrev_b32_e32 v51, 16, v65
	s_delay_alu instid0(VALU_DEP_3) | instskip(SKIP_1) | instid1(VALU_DEP_3)
	v_lshrrev_b32_e32 v48, 16, v66
	s_wait_alu 0xf1ff
	v_cndmask_b32_e64 v49, v78, v79, s0
	s_delay_alu instid0(VALU_DEP_1)
	v_lshrrev_b32_e32 v49, 16, v49
	s_and_saveexec_b32 s12, vcc_lo
	s_cbranch_execz .LBB350_45
; %bb.44:                               ;   in Loop: Header=BB350_38 Depth=1
	v_cmp_gt_i32_e64 s0, s54, v56
	s_wait_alu 0xf1ff
	s_delay_alu instid0(VALU_DEP_1) | instskip(SKIP_2) | instid1(VALU_DEP_1)
	v_cndmask_b32_e64 v54, 0, v54, s0
	v_cmp_gt_i32_e64 s0, s54, v62
	s_wait_alu 0xf1ff
	v_cndmask_b32_e64 v55, 0, v55, s0
	v_cmp_gt_i32_e64 s0, s54, v61
	s_wait_alu 0xf1ff
	s_delay_alu instid0(VALU_DEP_1) | instskip(SKIP_2) | instid1(VALU_DEP_1)
	v_cndmask_b32_e64 v52, 0, v52, s0
	v_cmp_gt_i32_e64 s0, s54, v60
	s_wait_alu 0xf1ff
	v_cndmask_b32_e64 v53, 0, v53, s0
	;; [unrolled: 7-line block ×4, first 2 shown]
.LBB350_45:                             ;   in Loop: Header=BB350_38 Depth=1
	s_wait_alu 0xfffe
	s_or_b32 exec_lo, exec_lo, s12
	global_load_b64 v[64:65], v[13:14], off offset:768
	s_wait_loadcnt 0x0
	v_bfe_u32 v67, v64, 8, 8
	v_bfe_u32 v68, v64, 16, 8
	;; [unrolled: 1-line block ×4, first 2 shown]
	s_delay_alu instid0(VALU_DEP_4)
	v_cvt_f32_fp8_e32 v67, v67
	v_and_b32_e32 v66, 0xff, v64
	v_lshrrev_b32_e32 v64, 24, v64
	v_cvt_f32_fp8_e32 v68, v68
	v_cvt_f32_fp8_e32 v71, v71
	v_mul_f32_e32 v67, s11, v67
	v_cvt_f32_fp8_e32 v66, v66
	v_and_b32_e32 v69, 0xff, v65
	v_cvt_f32_fp8_e32 v64, v64
	v_lshrrev_b32_e32 v65, 24, v65
	v_bfe_u32 v74, v67, 16, 1
	v_mul_f32_e32 v66, s11, v66
	v_cvt_f32_fp8_e32 v69, v69
	v_mul_f32_e32 v68, s11, v68
	v_dual_mul_f32 v64, s11, v64 :: v_dual_mul_f32 v71, s11, v71
	s_delay_alu instid0(VALU_DEP_4)
	v_bfe_u32 v72, v66, 16, 1
	v_or_b32_e32 v73, 0x400000, v66
	v_cmp_u_f32_e64 s0, v66, v66
	v_mul_f32_e32 v69, s11, v69
	v_or_b32_e32 v75, 0x400000, v67
	v_add3_u32 v72, v72, v66, 0x7fff
	v_bfe_u32 v76, v68, 16, 1
	v_add3_u32 v74, v74, v67, 0x7fff
	v_cvt_f32_fp8_e32 v70, v70
	v_or_b32_e32 v77, 0x400000, v68
	s_wait_alu 0xf1ff
	v_cndmask_b32_e64 v66, v72, v73, s0
	v_cmp_u_f32_e64 s0, v67, v67
	v_bfe_u32 v78, v64, 16, 1
	v_add3_u32 v76, v76, v68, 0x7fff
	v_cvt_f32_fp8_e32 v65, v65
	v_mul_f32_e32 v70, s11, v70
	s_wait_alu 0xf1ff
	v_cndmask_b32_e64 v67, v74, v75, s0
	v_cmp_u_f32_e64 s0, v68, v68
	v_or_b32_e32 v79, 0x400000, v64
	v_bfe_u32 v80, v69, 16, 1
	v_add3_u32 v78, v78, v64, 0x7fff
	v_mul_f32_e32 v65, s11, v65
	s_wait_alu 0xf1ff
	v_cndmask_b32_e64 v68, v76, v77, s0
	v_cmp_u_f32_e64 s0, v64, v64
	v_or_b32_e32 v81, 0x400000, v69
	v_bfe_u32 v82, v70, 16, 1
	v_add3_u32 v80, v80, v69, 0x7fff
	v_or_b32_e32 v83, 0x400000, v70
	s_wait_alu 0xf1ff
	v_cndmask_b32_e64 v64, v78, v79, s0
	v_cmp_u_f32_e64 s0, v69, v69
	v_bfe_u32 v84, v71, 16, 1
	v_add3_u32 v82, v82, v70, 0x7fff
	v_or_b32_e32 v85, 0x400000, v71
	v_bfe_u32 v86, v65, 16, 1
	s_wait_alu 0xf1ff
	v_cndmask_b32_e64 v72, v80, v81, s0
	v_cmp_u_f32_e64 s0, v70, v70
	v_add3_u32 v84, v84, v71, 0x7fff
	v_or_b32_e32 v87, 0x400000, v65
	v_add3_u32 v86, v86, v65, 0x7fff
	v_lshrrev_b32_e32 v70, 16, v66
	s_wait_alu 0xf1ff
	v_cndmask_b32_e64 v73, v82, v83, s0
	v_cmp_u_f32_e64 s0, v71, v71
	v_lshrrev_b32_e32 v71, 16, v67
	v_lshrrev_b32_e32 v68, 16, v68
	;; [unrolled: 1-line block ×4, first 2 shown]
	s_wait_alu 0xf1ff
	v_cndmask_b32_e64 v74, v84, v85, s0
	v_cmp_u_f32_e64 s0, v65, v65
	v_lshrrev_b32_e32 v67, 16, v73
	s_delay_alu instid0(VALU_DEP_3) | instskip(SKIP_1) | instid1(VALU_DEP_3)
	v_lshrrev_b32_e32 v64, 16, v74
	s_wait_alu 0xf1ff
	v_cndmask_b32_e64 v65, v86, v87, s0
	s_delay_alu instid0(VALU_DEP_1)
	v_lshrrev_b32_e32 v65, 16, v65
	s_and_saveexec_b32 s12, vcc_lo
	s_cbranch_execz .LBB350_47
; %bb.46:                               ;   in Loop: Header=BB350_38 Depth=1
	v_cmp_gt_i32_e64 s0, s54, v56
	s_wait_alu 0xf1ff
	s_delay_alu instid0(VALU_DEP_1) | instskip(SKIP_2) | instid1(VALU_DEP_1)
	v_cndmask_b32_e64 v70, 0, v70, s0
	v_cmp_gt_i32_e64 s0, s54, v62
	s_wait_alu 0xf1ff
	v_cndmask_b32_e64 v71, 0, v71, s0
	v_cmp_gt_i32_e64 s0, s54, v61
	s_wait_alu 0xf1ff
	s_delay_alu instid0(VALU_DEP_1) | instskip(SKIP_2) | instid1(VALU_DEP_1)
	v_cndmask_b32_e64 v68, 0, v68, s0
	v_cmp_gt_i32_e64 s0, s54, v60
	s_wait_alu 0xf1ff
	v_cndmask_b32_e64 v69, 0, v69, s0
	;; [unrolled: 7-line block ×4, first 2 shown]
.LBB350_47:                             ;   in Loop: Header=BB350_38 Depth=1
	s_wait_alu 0xfffe
	s_or_b32 exec_lo, exec_lo, s12
	global_load_b64 v[72:73], v[13:14], off offset:1024
	s_wait_loadcnt 0x0
	v_bfe_u32 v75, v72, 8, 8
	v_bfe_u32 v76, v72, 16, 8
	;; [unrolled: 1-line block ×4, first 2 shown]
	s_delay_alu instid0(VALU_DEP_4)
	v_cvt_f32_fp8_e32 v75, v75
	v_and_b32_e32 v74, 0xff, v72
	v_lshrrev_b32_e32 v72, 24, v72
	v_cvt_f32_fp8_e32 v76, v76
	v_cvt_f32_fp8_e32 v79, v79
	v_mul_f32_e32 v75, s11, v75
	v_cvt_f32_fp8_e32 v74, v74
	v_and_b32_e32 v77, 0xff, v73
	v_cvt_f32_fp8_e32 v72, v72
	v_lshrrev_b32_e32 v73, 24, v73
	v_bfe_u32 v82, v75, 16, 1
	v_mul_f32_e32 v74, s11, v74
	v_cvt_f32_fp8_e32 v77, v77
	v_mul_f32_e32 v76, s11, v76
	v_dual_mul_f32 v72, s11, v72 :: v_dual_mul_f32 v79, s11, v79
	s_delay_alu instid0(VALU_DEP_4)
	v_bfe_u32 v80, v74, 16, 1
	v_or_b32_e32 v81, 0x400000, v74
	v_cmp_u_f32_e64 s0, v74, v74
	v_mul_f32_e32 v77, s11, v77
	v_or_b32_e32 v83, 0x400000, v75
	v_add3_u32 v80, v80, v74, 0x7fff
	v_bfe_u32 v84, v76, 16, 1
	v_add3_u32 v82, v82, v75, 0x7fff
	v_cvt_f32_fp8_e32 v78, v78
	v_or_b32_e32 v85, 0x400000, v76
	s_wait_alu 0xf1ff
	v_cndmask_b32_e64 v74, v80, v81, s0
	v_cmp_u_f32_e64 s0, v75, v75
	v_bfe_u32 v86, v72, 16, 1
	v_add3_u32 v84, v84, v76, 0x7fff
	v_cvt_f32_fp8_e32 v73, v73
	v_mul_f32_e32 v78, s11, v78
	s_wait_alu 0xf1ff
	v_cndmask_b32_e64 v75, v82, v83, s0
	v_cmp_u_f32_e64 s0, v76, v76
	v_or_b32_e32 v87, 0x400000, v72
	v_bfe_u32 v88, v77, 16, 1
	v_add3_u32 v86, v86, v72, 0x7fff
	v_mul_f32_e32 v73, s11, v73
	s_wait_alu 0xf1ff
	v_cndmask_b32_e64 v76, v84, v85, s0
	v_cmp_u_f32_e64 s0, v72, v72
	v_or_b32_e32 v89, 0x400000, v77
	v_bfe_u32 v90, v78, 16, 1
	v_add3_u32 v88, v88, v77, 0x7fff
	v_or_b32_e32 v91, 0x400000, v78
	s_wait_alu 0xf1ff
	v_cndmask_b32_e64 v72, v86, v87, s0
	v_cmp_u_f32_e64 s0, v77, v77
	v_bfe_u32 v92, v79, 16, 1
	v_add3_u32 v90, v90, v78, 0x7fff
	v_or_b32_e32 v93, 0x400000, v79
	v_bfe_u32 v94, v73, 16, 1
	s_wait_alu 0xf1ff
	v_cndmask_b32_e64 v77, v88, v89, s0
	v_cmp_u_f32_e64 s0, v78, v78
	v_add3_u32 v92, v92, v79, 0x7fff
	v_or_b32_e32 v95, 0x400000, v73
	v_add3_u32 v94, v94, v73, 0x7fff
	v_lshrrev_b32_e32 v84, 16, v74
	s_wait_alu 0xf1ff
	v_cndmask_b32_e64 v80, v90, v91, s0
	v_cmp_u_f32_e64 s0, v79, v79
	v_lshrrev_b32_e32 v85, 16, v75
	v_lshrrev_b32_e32 v82, 16, v76
	v_lshrrev_b32_e32 v83, 16, v72
	v_lshrrev_b32_e32 v78, 16, v77
	s_wait_alu 0xf1ff
	v_cndmask_b32_e64 v79, v92, v93, s0
	v_cmp_u_f32_e64 s0, v73, v73
	v_lshrrev_b32_e32 v80, 16, v80
	s_delay_alu instid0(VALU_DEP_3) | instskip(SKIP_1) | instid1(VALU_DEP_3)
	v_lshrrev_b32_e32 v74, 16, v79
	s_wait_alu 0xf1ff
	v_cndmask_b32_e64 v73, v94, v95, s0
	s_delay_alu instid0(VALU_DEP_1)
	v_lshrrev_b32_e32 v76, 16, v73
	s_and_saveexec_b32 s12, vcc_lo
	s_cbranch_execz .LBB350_49
; %bb.48:                               ;   in Loop: Header=BB350_38 Depth=1
	v_cmp_gt_i32_e64 s0, s54, v56
	s_wait_alu 0xf1ff
	s_delay_alu instid0(VALU_DEP_1) | instskip(SKIP_2) | instid1(VALU_DEP_1)
	v_cndmask_b32_e64 v84, 0, v84, s0
	v_cmp_gt_i32_e64 s0, s54, v62
	s_wait_alu 0xf1ff
	v_cndmask_b32_e64 v85, 0, v85, s0
	v_cmp_gt_i32_e64 s0, s54, v61
	s_wait_alu 0xf1ff
	s_delay_alu instid0(VALU_DEP_1) | instskip(SKIP_2) | instid1(VALU_DEP_1)
	v_cndmask_b32_e64 v82, 0, v82, s0
	v_cmp_gt_i32_e64 s0, s54, v60
	s_wait_alu 0xf1ff
	v_cndmask_b32_e64 v83, 0, v83, s0
	;; [unrolled: 7-line block ×4, first 2 shown]
.LBB350_49:                             ;   in Loop: Header=BB350_38 Depth=1
	s_wait_alu 0xfffe
	s_or_b32 exec_lo, exec_lo, s12
	global_load_b64 v[72:73], v[13:14], off offset:1280
	s_wait_loadcnt 0x0
	v_bfe_u32 v86, v73, 8, 8
	v_bfe_u32 v77, v72, 8, 8
	;; [unrolled: 1-line block ×4, first 2 shown]
	s_delay_alu instid0(VALU_DEP_4)
	v_cvt_f32_fp8_e32 v86, v86
	v_and_b32_e32 v75, 0xff, v72
	v_cvt_f32_fp8_e32 v77, v77
	v_lshrrev_b32_e32 v72, 24, v72
	v_cvt_f32_fp8_e32 v79, v79
	v_mul_f32_e32 v86, s11, v86
	v_cvt_f32_fp8_e32 v75, v75
	v_mul_f32_e32 v77, s11, v77
	v_cvt_f32_fp8_e32 v72, v72
	v_and_b32_e32 v81, 0xff, v73
	v_mul_f32_e32 v79, s11, v79
	v_mul_f32_e32 v75, s11, v75
	v_bfe_u32 v90, v77, 16, 1
	v_mul_f32_e32 v72, s11, v72
	v_cvt_f32_fp8_e32 v81, v81
	v_or_b32_e32 v91, 0x400000, v77
	v_bfe_u32 v88, v75, 16, 1
	v_or_b32_e32 v89, 0x400000, v75
	v_cmp_u_f32_e64 s0, v75, v75
	v_bfe_u32 v92, v79, 16, 1
	v_add3_u32 v90, v90, v77, 0x7fff
	v_add3_u32 v88, v88, v75, 0x7fff
	v_mul_f32_e32 v81, s11, v81
	v_or_b32_e32 v93, 0x400000, v79
	v_bfe_u32 v94, v72, 16, 1
	v_add3_u32 v92, v92, v79, 0x7fff
	s_wait_alu 0xf1ff
	v_cndmask_b32_e64 v75, v88, v89, s0
	v_cmp_u_f32_e64 s0, v77, v77
	v_lshrrev_b32_e32 v73, 24, v73
	v_cvt_f32_fp8_e32 v87, v87
	v_or_b32_e32 v95, 0x400000, v72
	v_bfe_u32 v96, v81, 16, 1
	s_wait_alu 0xf1ff
	v_cndmask_b32_e64 v77, v90, v91, s0
	v_cmp_u_f32_e64 s0, v79, v79
	v_add3_u32 v94, v94, v72, 0x7fff
	v_cvt_f32_fp8_e32 v73, v73
	v_mul_f32_e32 v87, s11, v87
	v_or_b32_e32 v97, 0x400000, v81
	s_wait_alu 0xf1ff
	v_cndmask_b32_e64 v79, v92, v93, s0
	v_cmp_u_f32_e64 s0, v72, v72
	v_bfe_u32 v98, v86, 16, 1
	v_add3_u32 v96, v96, v81, 0x7fff
	v_mul_f32_e32 v73, s11, v73
	v_or_b32_e32 v99, 0x400000, v86
	s_wait_alu 0xf1ff
	v_cndmask_b32_e64 v72, v94, v95, s0
	v_cmp_u_f32_e64 s0, v81, v81
	v_bfe_u32 v100, v87, 16, 1
	v_add3_u32 v98, v98, v86, 0x7fff
	v_or_b32_e32 v101, 0x400000, v87
	v_bfe_u32 v102, v73, 16, 1
	s_wait_alu 0xf1ff
	v_cndmask_b32_e64 v81, v96, v97, s0
	v_cmp_u_f32_e64 s0, v86, v86
	v_add3_u32 v100, v100, v87, 0x7fff
	v_or_b32_e32 v103, 0x400000, v73
	v_add3_u32 v102, v102, v73, 0x7fff
	v_lshrrev_b32_e32 v92, 16, v75
	s_wait_alu 0xf1ff
	v_cndmask_b32_e64 v86, v98, v99, s0
	v_cmp_u_f32_e64 s0, v87, v87
	v_lshrrev_b32_e32 v93, 16, v77
	v_lshrrev_b32_e32 v90, 16, v79
	;; [unrolled: 1-line block ×4, first 2 shown]
	s_wait_alu 0xf1ff
	v_cndmask_b32_e64 v87, v100, v101, s0
	v_cmp_u_f32_e64 s0, v73, v73
	v_lshrrev_b32_e32 v89, 16, v86
	s_delay_alu instid0(VALU_DEP_3) | instskip(SKIP_1) | instid1(VALU_DEP_3)
	v_lshrrev_b32_e32 v86, 16, v87
	s_wait_alu 0xf1ff
	v_cndmask_b32_e64 v73, v102, v103, s0
	s_delay_alu instid0(VALU_DEP_1)
	v_lshrrev_b32_e32 v87, 16, v73
	s_and_saveexec_b32 s12, vcc_lo
	s_cbranch_execz .LBB350_51
; %bb.50:                               ;   in Loop: Header=BB350_38 Depth=1
	v_cmp_gt_i32_e64 s0, s54, v56
	s_wait_alu 0xf1ff
	s_delay_alu instid0(VALU_DEP_1) | instskip(SKIP_2) | instid1(VALU_DEP_1)
	v_cndmask_b32_e64 v92, 0, v92, s0
	v_cmp_gt_i32_e64 s0, s54, v62
	s_wait_alu 0xf1ff
	v_cndmask_b32_e64 v93, 0, v93, s0
	v_cmp_gt_i32_e64 s0, s54, v61
	s_wait_alu 0xf1ff
	s_delay_alu instid0(VALU_DEP_1) | instskip(SKIP_2) | instid1(VALU_DEP_1)
	v_cndmask_b32_e64 v90, 0, v90, s0
	v_cmp_gt_i32_e64 s0, s54, v60
	s_wait_alu 0xf1ff
	v_cndmask_b32_e64 v91, 0, v91, s0
	;; [unrolled: 7-line block ×4, first 2 shown]
.LBB350_51:                             ;   in Loop: Header=BB350_38 Depth=1
	s_wait_alu 0xfffe
	s_or_b32 exec_lo, exec_lo, s12
	global_load_b64 v[72:73], v[13:14], off offset:1536
	s_wait_loadcnt 0x0
	v_bfe_u32 v94, v73, 8, 8
	v_bfe_u32 v77, v72, 8, 8
	v_bfe_u32 v79, v72, 16, 8
	v_bfe_u32 v95, v73, 16, 8
	s_delay_alu instid0(VALU_DEP_4)
	v_cvt_f32_fp8_e32 v94, v94
	v_and_b32_e32 v75, 0xff, v72
	v_cvt_f32_fp8_e32 v77, v77
	v_lshrrev_b32_e32 v72, 24, v72
	v_cvt_f32_fp8_e32 v79, v79
	v_mul_f32_e32 v94, s11, v94
	v_cvt_f32_fp8_e32 v75, v75
	v_mul_f32_e32 v77, s11, v77
	v_cvt_f32_fp8_e32 v72, v72
	v_and_b32_e32 v81, 0xff, v73
	v_mul_f32_e32 v79, s11, v79
	v_mul_f32_e32 v75, s11, v75
	v_bfe_u32 v98, v77, 16, 1
	v_mul_f32_e32 v72, s11, v72
	v_cvt_f32_fp8_e32 v81, v81
	v_or_b32_e32 v99, 0x400000, v77
	v_bfe_u32 v96, v75, 16, 1
	v_or_b32_e32 v97, 0x400000, v75
	v_cmp_u_f32_e64 s0, v75, v75
	v_bfe_u32 v100, v79, 16, 1
	v_add3_u32 v98, v98, v77, 0x7fff
	v_add3_u32 v96, v96, v75, 0x7fff
	v_mul_f32_e32 v81, s11, v81
	v_or_b32_e32 v101, 0x400000, v79
	v_bfe_u32 v102, v72, 16, 1
	v_add3_u32 v100, v100, v79, 0x7fff
	s_wait_alu 0xf1ff
	v_cndmask_b32_e64 v75, v96, v97, s0
	v_cmp_u_f32_e64 s0, v77, v77
	v_lshrrev_b32_e32 v73, 24, v73
	v_cvt_f32_fp8_e32 v95, v95
	v_or_b32_e32 v103, 0x400000, v72
	v_bfe_u32 v104, v81, 16, 1
	s_wait_alu 0xf1ff
	v_cndmask_b32_e64 v77, v98, v99, s0
	v_cmp_u_f32_e64 s0, v79, v79
	v_add3_u32 v102, v102, v72, 0x7fff
	v_cvt_f32_fp8_e32 v73, v73
	v_mul_f32_e32 v95, s11, v95
	v_or_b32_e32 v105, 0x400000, v81
	s_wait_alu 0xf1ff
	v_cndmask_b32_e64 v79, v100, v101, s0
	v_cmp_u_f32_e64 s0, v72, v72
	v_bfe_u32 v106, v94, 16, 1
	v_add3_u32 v104, v104, v81, 0x7fff
	v_mul_f32_e32 v73, s11, v73
	v_or_b32_e32 v107, 0x400000, v94
	s_wait_alu 0xf1ff
	v_cndmask_b32_e64 v72, v102, v103, s0
	v_cmp_u_f32_e64 s0, v81, v81
	v_bfe_u32 v108, v95, 16, 1
	v_add3_u32 v106, v106, v94, 0x7fff
	v_or_b32_e32 v109, 0x400000, v95
	v_bfe_u32 v110, v73, 16, 1
	s_wait_alu 0xf1ff
	v_cndmask_b32_e64 v81, v104, v105, s0
	v_cmp_u_f32_e64 s0, v94, v94
	v_add3_u32 v108, v108, v95, 0x7fff
	v_or_b32_e32 v111, 0x400000, v73
	v_add3_u32 v110, v110, v73, 0x7fff
	v_lshrrev_b32_e32 v100, 16, v75
	s_wait_alu 0xf1ff
	v_cndmask_b32_e64 v94, v106, v107, s0
	v_cmp_u_f32_e64 s0, v95, v95
	v_lshrrev_b32_e32 v101, 16, v77
	v_lshrrev_b32_e32 v98, 16, v79
	;; [unrolled: 1-line block ×4, first 2 shown]
	s_wait_alu 0xf1ff
	v_cndmask_b32_e64 v95, v108, v109, s0
	v_cmp_u_f32_e64 s0, v73, v73
	v_lshrrev_b32_e32 v97, 16, v94
	s_delay_alu instid0(VALU_DEP_3) | instskip(SKIP_1) | instid1(VALU_DEP_3)
	v_lshrrev_b32_e32 v94, 16, v95
	s_wait_alu 0xf1ff
	v_cndmask_b32_e64 v73, v110, v111, s0
	s_delay_alu instid0(VALU_DEP_1)
	v_lshrrev_b32_e32 v95, 16, v73
	s_and_saveexec_b32 s12, vcc_lo
	s_cbranch_execz .LBB350_53
; %bb.52:                               ;   in Loop: Header=BB350_38 Depth=1
	v_cmp_gt_i32_e64 s0, s54, v56
	s_wait_alu 0xf1ff
	s_delay_alu instid0(VALU_DEP_1) | instskip(SKIP_2) | instid1(VALU_DEP_1)
	v_cndmask_b32_e64 v100, 0, v100, s0
	v_cmp_gt_i32_e64 s0, s54, v62
	s_wait_alu 0xf1ff
	v_cndmask_b32_e64 v101, 0, v101, s0
	v_cmp_gt_i32_e64 s0, s54, v61
	s_wait_alu 0xf1ff
	s_delay_alu instid0(VALU_DEP_1) | instskip(SKIP_2) | instid1(VALU_DEP_1)
	v_cndmask_b32_e64 v98, 0, v98, s0
	v_cmp_gt_i32_e64 s0, s54, v60
	s_wait_alu 0xf1ff
	v_cndmask_b32_e64 v99, 0, v99, s0
	v_cmp_gt_i32_e64 s0, s54, v59
	s_wait_alu 0xf1ff
	s_delay_alu instid0(VALU_DEP_1) | instskip(SKIP_2) | instid1(VALU_DEP_1)
	v_cndmask_b32_e64 v96, 0, v96, s0
	v_cmp_gt_i32_e64 s0, s54, v58
	s_wait_alu 0xf1ff
	v_cndmask_b32_e64 v97, 0, v97, s0
	v_cmp_gt_i32_e64 s0, s54, v57
	s_wait_alu 0xf1ff
	s_delay_alu instid0(VALU_DEP_1) | instskip(SKIP_2) | instid1(VALU_DEP_1)
	v_cndmask_b32_e64 v94, 0, v94, s0
	v_cmp_gt_i32_e64 s0, s54, v63
	s_wait_alu 0xf1ff
	v_cndmask_b32_e64 v95, 0, v95, s0
.LBB350_53:                             ;   in Loop: Header=BB350_38 Depth=1
	s_wait_alu 0xfffe
	s_or_b32 exec_lo, exec_lo, s12
	global_load_b64 v[13:14], v[13:14], off offset:1792
	s_wait_loadcnt 0x0
	v_bfe_u32 v75, v13, 16, 8
	v_bfe_u32 v73, v13, 8, 8
	;; [unrolled: 1-line block ×4, first 2 shown]
	s_delay_alu instid0(VALU_DEP_4)
	v_cvt_f32_fp8_e32 v75, v75
	v_and_b32_e32 v72, 0xff, v13
	v_cvt_f32_fp8_e32 v73, v73
	v_lshrrev_b32_e32 v13, 24, v13
	v_cvt_f32_fp8_e32 v79, v79
	v_mul_f32_e32 v75, s11, v75
	v_cvt_f32_fp8_e32 v72, v72
	v_and_b32_e32 v77, 0xff, v14
	v_lshrrev_b32_e32 v14, 24, v14
	v_cvt_f32_fp8_e32 v13, v13
	v_bfe_u32 v106, v75, 16, 1
	v_mul_f32_e32 v72, s11, v72
	v_cvt_f32_fp8_e32 v77, v77
	v_cvt_f32_fp8_e32 v14, v14
	v_mul_f32_e32 v73, s11, v73
	v_mul_f32_e32 v13, s11, v13
	v_bfe_u32 v102, v72, 16, 1
	v_or_b32_e32 v103, 0x400000, v72
	v_mul_f32_e32 v14, s11, v14
	v_bfe_u32 v104, v73, 16, 1
	v_cmp_u_f32_e64 s0, v72, v72
	v_add3_u32 v102, v102, v72, 0x7fff
	v_or_b32_e32 v105, 0x400000, v73
	v_mul_f32_e32 v77, s11, v77
	v_add3_u32 v104, v104, v73, 0x7fff
	v_or_b32_e32 v107, 0x400000, v75
	s_wait_alu 0xf1ff
	v_cndmask_b32_e64 v72, v102, v103, s0
	v_cmp_u_f32_e64 s0, v73, v73
	v_bfe_u32 v108, v13, 16, 1
	v_add3_u32 v106, v106, v75, 0x7fff
	v_cvt_f32_fp8_e32 v81, v81
	v_mul_f32_e32 v79, s11, v79
	s_wait_alu 0xf1ff
	v_cndmask_b32_e64 v73, v104, v105, s0
	v_cmp_u_f32_e64 s0, v75, v75
	v_or_b32_e32 v109, 0x400000, v13
	v_bfe_u32 v110, v77, 16, 1
	v_add3_u32 v108, v108, v13, 0x7fff
	v_mul_f32_e32 v81, s11, v81
	s_wait_alu 0xf1ff
	v_cndmask_b32_e64 v75, v106, v107, s0
	v_cmp_u_f32_e64 s0, v13, v13
	v_or_b32_e32 v111, 0x400000, v77
	v_bfe_u32 v112, v79, 16, 1
	v_add3_u32 v110, v110, v77, 0x7fff
	v_or_b32_e32 v113, 0x400000, v79
	s_wait_alu 0xf1ff
	v_cndmask_b32_e64 v13, v108, v109, s0
	v_cmp_u_f32_e64 s0, v77, v77
	v_bfe_u32 v114, v81, 16, 1
	v_add3_u32 v112, v112, v79, 0x7fff
	v_or_b32_e32 v115, 0x400000, v81
	v_bfe_u32 v116, v14, 16, 1
	s_wait_alu 0xf1ff
	v_cndmask_b32_e64 v102, v110, v111, s0
	v_cmp_u_f32_e64 s0, v79, v79
	v_add3_u32 v114, v114, v81, 0x7fff
	v_or_b32_e32 v117, 0x400000, v14
	v_add3_u32 v116, v116, v14, 0x7fff
	v_lshrrev_b32_e32 v79, 16, v73
	s_wait_alu 0xf1ff
	v_cndmask_b32_e64 v103, v112, v113, s0
	v_cmp_u_f32_e64 s0, v81, v81
	v_lshrrev_b32_e32 v81, 16, v72
	v_lshrrev_b32_e32 v77, 16, v75
	;; [unrolled: 1-line block ×4, first 2 shown]
	s_wait_alu 0xf1ff
	v_cndmask_b32_e64 v104, v114, v115, s0
	v_cmp_u_f32_e64 s0, v14, v14
	v_lshrrev_b32_e32 v72, 16, v103
	s_delay_alu instid0(VALU_DEP_3) | instskip(SKIP_1) | instid1(VALU_DEP_3)
	v_lshrrev_b32_e32 v14, 16, v104
	s_wait_alu 0xf1ff
	v_cndmask_b32_e64 v105, v116, v117, s0
	s_delay_alu instid0(VALU_DEP_1)
	v_lshrrev_b32_e32 v13, 16, v105
	s_and_saveexec_b32 s0, vcc_lo
	s_cbranch_execz .LBB350_36
; %bb.54:                               ;   in Loop: Header=BB350_38 Depth=1
	v_cmp_gt_i32_e32 vcc_lo, s54, v56
	s_wait_alu 0xfffd
	v_cndmask_b32_e32 v81, 0, v81, vcc_lo
	v_cmp_gt_i32_e32 vcc_lo, s54, v62
	s_wait_alu 0xfffd
	v_cndmask_b32_e32 v79, 0, v79, vcc_lo
	;; [unrolled: 3-line block ×8, first 2 shown]
	s_branch .LBB350_36
.LBB350_55:
	s_or_b32 exec_lo, exec_lo, s5
.LBB350_56:
	s_wait_alu 0xfffe
	s_or_b32 exec_lo, exec_lo, s1
	ds_bpermute_b32 v1, v20, v29
	ds_bpermute_b32 v2, v20, v30
	;; [unrolled: 1-line block ×8, first 2 shown]
	v_lshrrev_b32_e32 v9, 2, v16
	s_mov_b32 s0, exec_lo
	s_wait_storecnt 0x0
	s_wait_loadcnt_dscnt 0x0
	s_barrier_signal -1
	s_barrier_wait -1
	global_inv scope:SCOPE_SE
	v_dual_add_f32 v1, v29, v1 :: v_dual_add_f32 v2, v30, v2
	v_dual_add_f32 v3, v28, v3 :: v_dual_add_f32 v4, v27, v4
	;; [unrolled: 1-line block ×4, first 2 shown]
	ds_bpermute_b32 v5, v19, v1
	ds_bpermute_b32 v6, v19, v2
	;; [unrolled: 1-line block ×8, first 2 shown]
	v_and_b32_e32 v7, 28, v16
	v_lshlrev_b32_e32 v11, 8, v15
	s_wait_dscnt 0x7
	v_dual_add_f32 v8, v1, v5 :: v_dual_and_b32 v15, 0x3c3, v0
	s_wait_dscnt 0x6
	v_dual_add_f32 v7, v2, v6 :: v_dual_add_nc_u32 v10, 0xa0, v7
	s_wait_dscnt 0x4
	v_dual_add_f32 v6, v3, v18 :: v_dual_add_f32 v5, v4, v20
	s_wait_dscnt 0x2
	v_dual_add_f32 v4, v12, v22 :: v_dual_add_f32 v3, v13, v23
	;; [unrolled: 2-line block ×3, first 2 shown]
	v_cmpx_eq_u32_e32 64, v15
	s_cbranch_execz .LBB350_58
; %bb.57:
	v_add_nc_u32_e32 v12, v10, v11
	s_delay_alu instid0(VALU_DEP_1)
	v_add_nc_u32_e32 v13, 0xfffffe00, v12
	v_add_nc_u32_e32 v14, 0xfffffe20, v12
	;; [unrolled: 1-line block ×8, first 2 shown]
	ds_store_b32 v13, v8
	ds_store_b32 v14, v7
	;; [unrolled: 1-line block ×8, first 2 shown]
.LBB350_58:
	s_wait_alu 0xfffe
	s_or_b32 exec_lo, exec_lo, s0
	v_lshlrev_b32_e32 v9, 2, v9
	s_mov_b32 s1, exec_lo
	v_cmp_eq_u32_e32 vcc_lo, 0, v21
	s_wait_loadcnt_dscnt 0x0
	s_barrier_signal -1
	v_add3_u32 v9, 0xa0, v11, v9
	s_barrier_wait -1
	global_inv scope:SCOPE_SE
	v_cmpx_gt_u32_e32 64, v0
	s_cbranch_execz .LBB350_69
; %bb.59:
	s_and_saveexec_b32 s0, vcc_lo
	s_cbranch_execnz .LBB350_85
; %bb.60:
	s_wait_alu 0xfffe
	s_or_b32 exec_lo, exec_lo, s0
	s_and_saveexec_b32 s0, vcc_lo
	s_cbranch_execnz .LBB350_86
.LBB350_61:
	s_wait_alu 0xfffe
	s_or_b32 exec_lo, exec_lo, s0
	s_and_saveexec_b32 s0, vcc_lo
	s_cbranch_execnz .LBB350_87
.LBB350_62:
	s_wait_alu 0xfffe
	s_or_b32 exec_lo, exec_lo, s0
	s_and_saveexec_b32 s0, vcc_lo
	s_cbranch_execnz .LBB350_88
.LBB350_63:
	s_wait_alu 0xfffe
	s_or_b32 exec_lo, exec_lo, s0
	s_and_saveexec_b32 s0, vcc_lo
	s_cbranch_execnz .LBB350_89
.LBB350_64:
	s_wait_alu 0xfffe
	s_or_b32 exec_lo, exec_lo, s0
	s_and_saveexec_b32 s0, vcc_lo
	s_cbranch_execnz .LBB350_90
.LBB350_65:
	s_wait_alu 0xfffe
	s_or_b32 exec_lo, exec_lo, s0
	s_and_saveexec_b32 s0, vcc_lo
	s_cbranch_execnz .LBB350_91
.LBB350_66:
	s_wait_alu 0xfffe
	s_or_b32 exec_lo, exec_lo, s0
	s_and_saveexec_b32 s0, vcc_lo
	s_cbranch_execz .LBB350_68
.LBB350_67:
	ds_load_b32 v11, v9 offset:224
	s_wait_dscnt 0x0
	v_add_f32_e32 v1, v1, v11
.LBB350_68:
	s_wait_alu 0xfffe
	s_or_b32 exec_lo, exec_lo, s0
.LBB350_69:
	s_wait_alu 0xfffe
	s_or_b32 exec_lo, exec_lo, s1
	v_and_b32_e32 v11, 0x3e3, v0
	s_mov_b32 s1, exec_lo
	s_wait_loadcnt 0x0
	s_barrier_signal -1
	s_barrier_wait -1
	global_inv scope:SCOPE_SE
	v_cmpx_eq_u32_e32 32, v11
	s_cbranch_execz .LBB350_71
; %bb.70:
	ds_store_2addr_b32 v10, v8, v7 offset1:8
	ds_store_2addr_b32 v10, v6, v5 offset0:16 offset1:24
	ds_store_2addr_b32 v10, v4, v3 offset0:32 offset1:40
	;; [unrolled: 1-line block ×3, first 2 shown]
.LBB350_71:
	s_wait_alu 0xfffe
	s_or_b32 exec_lo, exec_lo, s1
	s_delay_alu instid0(SALU_CYCLE_1)
	s_mov_b32 s1, exec_lo
	s_wait_loadcnt_dscnt 0x0
	s_barrier_signal -1
	s_barrier_wait -1
	global_inv scope:SCOPE_SE
	v_cmpx_gt_u32_e32 32, v0
	s_cbranch_execz .LBB350_82
; %bb.72:
	s_and_saveexec_b32 s0, vcc_lo
	s_cbranch_execnz .LBB350_92
; %bb.73:
	s_wait_alu 0xfffe
	s_or_b32 exec_lo, exec_lo, s0
	s_and_saveexec_b32 s0, vcc_lo
	s_cbranch_execnz .LBB350_93
.LBB350_74:
	s_wait_alu 0xfffe
	s_or_b32 exec_lo, exec_lo, s0
	s_and_saveexec_b32 s0, vcc_lo
	s_cbranch_execnz .LBB350_94
.LBB350_75:
	s_wait_alu 0xfffe
	s_or_b32 exec_lo, exec_lo, s0
	s_and_saveexec_b32 s0, vcc_lo
	s_cbranch_execnz .LBB350_95
.LBB350_76:
	s_wait_alu 0xfffe
	s_or_b32 exec_lo, exec_lo, s0
	s_and_saveexec_b32 s0, vcc_lo
	s_cbranch_execnz .LBB350_96
.LBB350_77:
	s_wait_alu 0xfffe
	s_or_b32 exec_lo, exec_lo, s0
	s_and_saveexec_b32 s0, vcc_lo
	s_cbranch_execnz .LBB350_97
.LBB350_78:
	s_wait_alu 0xfffe
	s_or_b32 exec_lo, exec_lo, s0
	s_and_saveexec_b32 s0, vcc_lo
	s_cbranch_execnz .LBB350_98
.LBB350_79:
	s_wait_alu 0xfffe
	s_or_b32 exec_lo, exec_lo, s0
	s_and_saveexec_b32 s0, vcc_lo
	s_cbranch_execz .LBB350_81
.LBB350_80:
	ds_load_b32 v9, v9 offset:224
	s_wait_dscnt 0x0
	v_add_f32_e32 v1, v1, v9
.LBB350_81:
	s_wait_alu 0xfffe
	s_or_b32 exec_lo, exec_lo, s0
.LBB350_82:
	s_wait_alu 0xfffe
	s_or_b32 exec_lo, exec_lo, s1
	s_mov_b32 s1, 0
	s_wait_loadcnt 0x0
	s_barrier_signal -1
	s_barrier_wait -1
	global_inv scope:SCOPE_SE
	s_mov_b32 s0, exec_lo
	v_cmpx_eq_u32_e32 0, v11
	s_cbranch_execz .LBB350_84
; %bb.83:
	v_bfe_u32 v9, v8, 16, 1
	v_bfe_u32 v10, v7, 16, 1
	v_or_b32_e32 v11, 0x400000, v8
	v_cmp_u_f32_e32 vcc_lo, v8, v8
	v_or_b32_e32 v12, 0x400000, v7
	v_add3_u32 v9, v9, v8, 0x7fff
	v_add3_u32 v10, v10, v7, 0x7fff
	v_bfe_u32 v13, v6, 16, 1
	s_lshl_b32 s2, s10, 6
	s_wait_kmcnt 0x0
	s_mul_i32 s4, s35, s34
	s_wait_alu 0xfffd
	v_cndmask_b32_e32 v8, v9, v11, vcc_lo
	v_cmp_u_f32_e32 vcc_lo, v7, v7
	v_bfe_u32 v9, v5, 16, 1
	v_or_b32_e32 v11, 0x400000, v6
	s_wait_alu 0xfffe
	s_ashr_i32 s3, s2, 31
	s_ashr_i32 s5, s4, 31
	s_wait_alu 0xfffd
	v_cndmask_b32_e32 v7, v10, v12, vcc_lo
	v_add3_u32 v10, v13, v6, 0x7fff
	v_cmp_u_f32_e32 vcc_lo, v6, v6
	v_bfe_u32 v12, v4, 16, 1
	v_add3_u32 v9, v9, v5, 0x7fff
	v_or_b32_e32 v13, 0x400000, v5
	s_wait_alu 0xfffe
	s_lshl_b64 s[2:3], s[2:3], 1
	s_wait_alu 0xfffd
	v_cndmask_b32_e32 v6, v10, v11, vcc_lo
	v_cmp_u_f32_e32 vcc_lo, v5, v5
	v_add3_u32 v10, v12, v4, 0x7fff
	v_or_b32_e32 v11, 0x400000, v4
	v_bfe_u32 v12, v2, 16, 1
	s_lshl_b64 s[4:5], s[4:5], 1
	s_wait_alu 0xfffd
	v_cndmask_b32_e32 v5, v9, v13, vcc_lo
	v_bfe_u32 v9, v3, 16, 1
	v_cmp_u_f32_e32 vcc_lo, v4, v4
	v_add3_u32 v12, v12, v2, 0x7fff
	v_or_b32_e32 v13, 0x400000, v2
	s_wait_alu 0xfffe
	s_add_nc_u64 s[2:3], s[8:9], s[2:3]
	v_add3_u32 v9, v9, v3, 0x7fff
	s_wait_alu 0xfffd
	v_cndmask_b32_e32 v4, v10, v11, vcc_lo
	v_or_b32_e32 v11, 0x400000, v3
	v_cmp_u_f32_e32 vcc_lo, v3, v3
	v_bfe_u32 v10, v1, 16, 1
	v_lshrrev_b32_e32 v0, 1, v0
	v_or_b32_e32 v14, 0x400000, v1
	s_wait_alu 0xfffe
	s_add_nc_u64 s[2:3], s[2:3], s[4:5]
	s_wait_alu 0xfffd
	v_cndmask_b32_e32 v3, v9, v11, vcc_lo
	v_cmp_u_f32_e32 vcc_lo, v2, v2
	v_add3_u32 v10, v10, v1, 0x7fff
	s_lshl_b32 s0, s33, 7
	s_wait_alu 0xfffe
	s_add_nc_u64 s[0:1], s[2:3], s[0:1]
	s_wait_alu 0xfffd
	v_cndmask_b32_e32 v2, v12, v13, vcc_lo
	v_cmp_u_f32_e32 vcc_lo, v1, v1
	s_wait_alu 0xfffd
	v_cndmask_b32_e32 v1, v10, v14, vcc_lo
	s_clause 0x7
	global_store_d16_hi_b16 v0, v8, s[0:1]
	global_store_d16_hi_b16 v0, v7, s[0:1] offset:16
	global_store_d16_hi_b16 v0, v6, s[0:1] offset:32
	;; [unrolled: 1-line block ×7, first 2 shown]
.LBB350_84:
	s_nop 0
	s_sendmsg sendmsg(MSG_DEALLOC_VGPRS)
	s_endpgm
.LBB350_85:
	ds_load_b32 v11, v9
	s_wait_dscnt 0x0
	v_add_f32_e32 v8, v8, v11
	s_wait_alu 0xfffe
	s_or_b32 exec_lo, exec_lo, s0
	s_and_saveexec_b32 s0, vcc_lo
	s_cbranch_execz .LBB350_61
.LBB350_86:
	ds_load_b32 v11, v9 offset:32
	s_wait_dscnt 0x0
	v_add_f32_e32 v7, v7, v11
	s_wait_alu 0xfffe
	s_or_b32 exec_lo, exec_lo, s0
	s_and_saveexec_b32 s0, vcc_lo
	s_cbranch_execz .LBB350_62
.LBB350_87:
	ds_load_b32 v11, v9 offset:64
	s_wait_dscnt 0x0
	v_add_f32_e32 v6, v6, v11
	s_wait_alu 0xfffe
	s_or_b32 exec_lo, exec_lo, s0
	s_and_saveexec_b32 s0, vcc_lo
	s_cbranch_execz .LBB350_63
.LBB350_88:
	ds_load_b32 v11, v9 offset:96
	s_wait_dscnt 0x0
	v_add_f32_e32 v5, v5, v11
	s_wait_alu 0xfffe
	s_or_b32 exec_lo, exec_lo, s0
	s_and_saveexec_b32 s0, vcc_lo
	s_cbranch_execz .LBB350_64
.LBB350_89:
	ds_load_b32 v11, v9 offset:128
	s_wait_dscnt 0x0
	v_add_f32_e32 v4, v4, v11
	s_wait_alu 0xfffe
	s_or_b32 exec_lo, exec_lo, s0
	s_and_saveexec_b32 s0, vcc_lo
	s_cbranch_execz .LBB350_65
.LBB350_90:
	ds_load_b32 v11, v9 offset:160
	s_wait_dscnt 0x0
	v_add_f32_e32 v3, v3, v11
	s_wait_alu 0xfffe
	s_or_b32 exec_lo, exec_lo, s0
	s_and_saveexec_b32 s0, vcc_lo
	s_cbranch_execz .LBB350_66
.LBB350_91:
	ds_load_b32 v11, v9 offset:192
	s_wait_dscnt 0x0
	v_add_f32_e32 v2, v2, v11
	s_wait_alu 0xfffe
	s_or_b32 exec_lo, exec_lo, s0
	s_and_saveexec_b32 s0, vcc_lo
	s_cbranch_execnz .LBB350_67
	s_branch .LBB350_68
.LBB350_92:
	ds_load_b32 v10, v9
	s_wait_dscnt 0x0
	v_add_f32_e32 v8, v8, v10
	s_wait_alu 0xfffe
	s_or_b32 exec_lo, exec_lo, s0
	s_and_saveexec_b32 s0, vcc_lo
	s_cbranch_execz .LBB350_74
.LBB350_93:
	ds_load_b32 v10, v9 offset:32
	s_wait_dscnt 0x0
	v_add_f32_e32 v7, v7, v10
	s_wait_alu 0xfffe
	s_or_b32 exec_lo, exec_lo, s0
	s_and_saveexec_b32 s0, vcc_lo
	s_cbranch_execz .LBB350_75
.LBB350_94:
	ds_load_b32 v10, v9 offset:64
	s_wait_dscnt 0x0
	v_add_f32_e32 v6, v6, v10
	s_wait_alu 0xfffe
	s_or_b32 exec_lo, exec_lo, s0
	s_and_saveexec_b32 s0, vcc_lo
	s_cbranch_execz .LBB350_76
.LBB350_95:
	ds_load_b32 v10, v9 offset:96
	s_wait_dscnt 0x0
	v_add_f32_e32 v5, v5, v10
	s_wait_alu 0xfffe
	s_or_b32 exec_lo, exec_lo, s0
	s_and_saveexec_b32 s0, vcc_lo
	s_cbranch_execz .LBB350_77
.LBB350_96:
	ds_load_b32 v10, v9 offset:128
	s_wait_dscnt 0x0
	v_add_f32_e32 v4, v4, v10
	s_wait_alu 0xfffe
	s_or_b32 exec_lo, exec_lo, s0
	s_and_saveexec_b32 s0, vcc_lo
	s_cbranch_execz .LBB350_78
.LBB350_97:
	ds_load_b32 v10, v9 offset:160
	s_wait_dscnt 0x0
	v_add_f32_e32 v3, v3, v10
	s_wait_alu 0xfffe
	s_or_b32 exec_lo, exec_lo, s0
	s_and_saveexec_b32 s0, vcc_lo
	s_cbranch_execz .LBB350_79
.LBB350_98:
	ds_load_b32 v10, v9 offset:192
	s_wait_dscnt 0x0
	v_add_f32_e32 v2, v2, v10
	s_wait_alu 0xfffe
	s_or_b32 exec_lo, exec_lo, s0
	s_and_saveexec_b32 s0, vcc_lo
	s_cbranch_execnz .LBB350_80
	s_branch .LBB350_81
	.section	.rodata,"a",@progbits
	.p2align	6, 0x0
	.amdhsa_kernel _ZN4vllm25paged_attention_v2_kernelI14__hip_bfloat16hLi64ELi32ELi128ELNS_18Fp8KVCacheDataTypeE1ELb1ELi512EEEvPfS3_PT_PKS4_PKT0_SA_ifPKiSC_iPKfiiiSE_SE_iiiii
		.amdhsa_group_segment_fixed_size 160
		.amdhsa_private_segment_fixed_size 0
		.amdhsa_kernarg_size 400
		.amdhsa_user_sgpr_count 2
		.amdhsa_user_sgpr_dispatch_ptr 0
		.amdhsa_user_sgpr_queue_ptr 0
		.amdhsa_user_sgpr_kernarg_segment_ptr 1
		.amdhsa_user_sgpr_dispatch_id 0
		.amdhsa_user_sgpr_private_segment_size 0
		.amdhsa_wavefront_size32 1
		.amdhsa_uses_dynamic_stack 0
		.amdhsa_enable_private_segment 0
		.amdhsa_system_sgpr_workgroup_id_x 1
		.amdhsa_system_sgpr_workgroup_id_y 1
		.amdhsa_system_sgpr_workgroup_id_z 1
		.amdhsa_system_sgpr_workgroup_info 0
		.amdhsa_system_vgpr_workitem_id 0
		.amdhsa_next_free_vgpr 178
		.amdhsa_next_free_sgpr 69
		.amdhsa_reserve_vcc 1
		.amdhsa_float_round_mode_32 0
		.amdhsa_float_round_mode_16_64 0
		.amdhsa_float_denorm_mode_32 3
		.amdhsa_float_denorm_mode_16_64 3
		.amdhsa_fp16_overflow 0
		.amdhsa_workgroup_processor_mode 1
		.amdhsa_memory_ordered 1
		.amdhsa_forward_progress 1
		.amdhsa_inst_pref_size 166
		.amdhsa_round_robin_scheduling 0
		.amdhsa_exception_fp_ieee_invalid_op 0
		.amdhsa_exception_fp_denorm_src 0
		.amdhsa_exception_fp_ieee_div_zero 0
		.amdhsa_exception_fp_ieee_overflow 0
		.amdhsa_exception_fp_ieee_underflow 0
		.amdhsa_exception_fp_ieee_inexact 0
		.amdhsa_exception_int_div_zero 0
	.end_amdhsa_kernel
	.section	.text._ZN4vllm25paged_attention_v2_kernelI14__hip_bfloat16hLi64ELi32ELi128ELNS_18Fp8KVCacheDataTypeE1ELb1ELi512EEEvPfS3_PT_PKS4_PKT0_SA_ifPKiSC_iPKfiiiSE_SE_iiiii,"axG",@progbits,_ZN4vllm25paged_attention_v2_kernelI14__hip_bfloat16hLi64ELi32ELi128ELNS_18Fp8KVCacheDataTypeE1ELb1ELi512EEEvPfS3_PT_PKS4_PKT0_SA_ifPKiSC_iPKfiiiSE_SE_iiiii,comdat
.Lfunc_end350:
	.size	_ZN4vllm25paged_attention_v2_kernelI14__hip_bfloat16hLi64ELi32ELi128ELNS_18Fp8KVCacheDataTypeE1ELb1ELi512EEEvPfS3_PT_PKS4_PKT0_SA_ifPKiSC_iPKfiiiSE_SE_iiiii, .Lfunc_end350-_ZN4vllm25paged_attention_v2_kernelI14__hip_bfloat16hLi64ELi32ELi128ELNS_18Fp8KVCacheDataTypeE1ELb1ELi512EEEvPfS3_PT_PKS4_PKT0_SA_ifPKiSC_iPKfiiiSE_SE_iiiii
                                        ; -- End function
	.set _ZN4vllm25paged_attention_v2_kernelI14__hip_bfloat16hLi64ELi32ELi128ELNS_18Fp8KVCacheDataTypeE1ELb1ELi512EEEvPfS3_PT_PKS4_PKT0_SA_ifPKiSC_iPKfiiiSE_SE_iiiii.num_vgpr, 178
	.set _ZN4vllm25paged_attention_v2_kernelI14__hip_bfloat16hLi64ELi32ELi128ELNS_18Fp8KVCacheDataTypeE1ELb1ELi512EEEvPfS3_PT_PKS4_PKT0_SA_ifPKiSC_iPKfiiiSE_SE_iiiii.num_agpr, 0
	.set _ZN4vllm25paged_attention_v2_kernelI14__hip_bfloat16hLi64ELi32ELi128ELNS_18Fp8KVCacheDataTypeE1ELb1ELi512EEEvPfS3_PT_PKS4_PKT0_SA_ifPKiSC_iPKfiiiSE_SE_iiiii.numbered_sgpr, 69
	.set _ZN4vllm25paged_attention_v2_kernelI14__hip_bfloat16hLi64ELi32ELi128ELNS_18Fp8KVCacheDataTypeE1ELb1ELi512EEEvPfS3_PT_PKS4_PKT0_SA_ifPKiSC_iPKfiiiSE_SE_iiiii.num_named_barrier, 0
	.set _ZN4vllm25paged_attention_v2_kernelI14__hip_bfloat16hLi64ELi32ELi128ELNS_18Fp8KVCacheDataTypeE1ELb1ELi512EEEvPfS3_PT_PKS4_PKT0_SA_ifPKiSC_iPKfiiiSE_SE_iiiii.private_seg_size, 0
	.set _ZN4vllm25paged_attention_v2_kernelI14__hip_bfloat16hLi64ELi32ELi128ELNS_18Fp8KVCacheDataTypeE1ELb1ELi512EEEvPfS3_PT_PKS4_PKT0_SA_ifPKiSC_iPKfiiiSE_SE_iiiii.uses_vcc, 1
	.set _ZN4vllm25paged_attention_v2_kernelI14__hip_bfloat16hLi64ELi32ELi128ELNS_18Fp8KVCacheDataTypeE1ELb1ELi512EEEvPfS3_PT_PKS4_PKT0_SA_ifPKiSC_iPKfiiiSE_SE_iiiii.uses_flat_scratch, 0
	.set _ZN4vllm25paged_attention_v2_kernelI14__hip_bfloat16hLi64ELi32ELi128ELNS_18Fp8KVCacheDataTypeE1ELb1ELi512EEEvPfS3_PT_PKS4_PKT0_SA_ifPKiSC_iPKfiiiSE_SE_iiiii.has_dyn_sized_stack, 0
	.set _ZN4vllm25paged_attention_v2_kernelI14__hip_bfloat16hLi64ELi32ELi128ELNS_18Fp8KVCacheDataTypeE1ELb1ELi512EEEvPfS3_PT_PKS4_PKT0_SA_ifPKiSC_iPKfiiiSE_SE_iiiii.has_recursion, 0
	.set _ZN4vllm25paged_attention_v2_kernelI14__hip_bfloat16hLi64ELi32ELi128ELNS_18Fp8KVCacheDataTypeE1ELb1ELi512EEEvPfS3_PT_PKS4_PKT0_SA_ifPKiSC_iPKfiiiSE_SE_iiiii.has_indirect_call, 0
	.section	.AMDGPU.csdata,"",@progbits
; Kernel info:
; codeLenInByte = 21176
; TotalNumSgprs: 71
; NumVgprs: 178
; ScratchSize: 0
; MemoryBound: 0
; FloatMode: 240
; IeeeMode: 1
; LDSByteSize: 160 bytes/workgroup (compile time only)
; SGPRBlocks: 0
; VGPRBlocks: 22
; NumSGPRsForWavesPerEU: 71
; NumVGPRsForWavesPerEU: 178
; Occupancy: 8
; WaveLimiterHint : 1
; COMPUTE_PGM_RSRC2:SCRATCH_EN: 0
; COMPUTE_PGM_RSRC2:USER_SGPR: 2
; COMPUTE_PGM_RSRC2:TRAP_HANDLER: 0
; COMPUTE_PGM_RSRC2:TGID_X_EN: 1
; COMPUTE_PGM_RSRC2:TGID_Y_EN: 1
; COMPUTE_PGM_RSRC2:TGID_Z_EN: 1
; COMPUTE_PGM_RSRC2:TIDIG_COMP_CNT: 0
	.section	.text._ZN4vllm25paged_attention_v2_kernelI14__hip_bfloat16hLi80ELi32ELi128ELNS_18Fp8KVCacheDataTypeE1ELb1ELi512EEEvPfS3_PT_PKS4_PKT0_SA_ifPKiSC_iPKfiiiSE_SE_iiiii,"axG",@progbits,_ZN4vllm25paged_attention_v2_kernelI14__hip_bfloat16hLi80ELi32ELi128ELNS_18Fp8KVCacheDataTypeE1ELb1ELi512EEEvPfS3_PT_PKS4_PKT0_SA_ifPKiSC_iPKfiiiSE_SE_iiiii,comdat
	.protected	_ZN4vllm25paged_attention_v2_kernelI14__hip_bfloat16hLi80ELi32ELi128ELNS_18Fp8KVCacheDataTypeE1ELb1ELi512EEEvPfS3_PT_PKS4_PKT0_SA_ifPKiSC_iPKfiiiSE_SE_iiiii ; -- Begin function _ZN4vllm25paged_attention_v2_kernelI14__hip_bfloat16hLi80ELi32ELi128ELNS_18Fp8KVCacheDataTypeE1ELb1ELi512EEEvPfS3_PT_PKS4_PKT0_SA_ifPKiSC_iPKfiiiSE_SE_iiiii
	.globl	_ZN4vllm25paged_attention_v2_kernelI14__hip_bfloat16hLi80ELi32ELi128ELNS_18Fp8KVCacheDataTypeE1ELb1ELi512EEEvPfS3_PT_PKS4_PKT0_SA_ifPKiSC_iPKfiiiSE_SE_iiiii
	.p2align	8
	.type	_ZN4vllm25paged_attention_v2_kernelI14__hip_bfloat16hLi80ELi32ELi128ELNS_18Fp8KVCacheDataTypeE1ELb1ELi512EEEvPfS3_PT_PKS4_PKT0_SA_ifPKiSC_iPKfiiiSE_SE_iiiii,@function
_ZN4vllm25paged_attention_v2_kernelI14__hip_bfloat16hLi80ELi32ELi128ELNS_18Fp8KVCacheDataTypeE1ELb1ELi512EEEvPfS3_PT_PKS4_PKT0_SA_ifPKiSC_iPKfiiiSE_SE_iiiii: ; @_ZN4vllm25paged_attention_v2_kernelI14__hip_bfloat16hLi80ELi32ELi128ELNS_18Fp8KVCacheDataTypeE1ELb1ELi512EEEvPfS3_PT_PKS4_PKT0_SA_ifPKiSC_iPKfiiiSE_SE_iiiii
; %bb.0:
	s_load_b64 s[2:3], s[0:1], 0x40
	s_and_b32 s19, ttmp7, 0xffff
	s_lshr_b32 s33, ttmp7, 16
	s_lshl_b32 s4, s19, 2
	s_lshl_b32 s37, s33, 9
	s_wait_kmcnt 0x0
	s_load_b32 s34, s[2:3], s4 offset:0x0
	s_wait_kmcnt 0x0
	s_cmp_ge_i32 s37, s34
	s_cbranch_scc1 .LBB351_92
; %bb.1:
	s_clause 0x1
	s_load_b32 s36, s[0:1], 0x90
	s_load_b64 s[12:13], s[0:1], 0x30
	s_wait_kmcnt 0x0
	s_abs_i32 s5, s36
	s_abs_i32 s2, s12
	s_delay_alu instid0(SALU_CYCLE_1) | instskip(SKIP_1) | instid1(SALU_CYCLE_2)
	s_cvt_f32_u32 s3, s2
	s_sub_co_i32 s4, 0, s2
	v_rcp_iflag_f32_e32 v1, s3
	s_delay_alu instid0(TRANS32_DEP_1) | instskip(SKIP_2) | instid1(SALU_CYCLE_2)
	v_readfirstlane_b32 s3, v1
	s_mul_f32 s3, s3, 0x4f7ffffe
	s_wait_alu 0xfffe
	s_cvt_u32_f32 s3, s3
	s_wait_alu 0xfffe
	s_delay_alu instid0(SALU_CYCLE_2) | instskip(NEXT) | instid1(SALU_CYCLE_1)
	s_mul_i32 s4, s4, s3
	s_mul_hi_u32 s4, s3, s4
	s_delay_alu instid0(SALU_CYCLE_1)
	s_add_co_i32 s3, s3, s4
	s_xor_b32 s4, s36, s12
	s_wait_alu 0xfffe
	s_mul_hi_u32 s3, s5, s3
	s_ashr_i32 s4, s4, 31
	s_wait_alu 0xfffe
	s_mul_i32 s6, s3, s2
	s_delay_alu instid0(SALU_CYCLE_1)
	s_sub_co_i32 s5, s5, s6
	s_add_co_i32 s6, s3, 1
	s_sub_co_i32 s7, s5, s2
	s_cmp_ge_u32 s5, s2
	s_cselect_b32 s3, s6, s3
	s_cselect_b32 s5, s7, s5
	s_wait_alu 0xfffe
	s_add_co_i32 s6, s3, 1
	s_cmp_ge_u32 s5, s2
	s_cselect_b32 s2, s6, s3
	s_load_b64 s[6:7], s[0:1], 0x50
	s_xor_b32 s2, s2, s4
	s_mov_b32 s3, 0
	s_wait_alu 0xfffe
	s_sub_co_i32 s11, s2, s4
	s_mov_b32 s30, s3
	s_abs_i32 s10, s11
	s_delay_alu instid0(SALU_CYCLE_1) | instskip(SKIP_1) | instid1(SALU_CYCLE_2)
	s_cvt_f32_u32 s2, s10
	s_wait_alu 0xfffe
	v_rcp_iflag_f32_e32 v1, s2
	s_delay_alu instid0(TRANS32_DEP_1) | instskip(SKIP_2) | instid1(SALU_CYCLE_2)
	v_readfirstlane_b32 s2, v1
	s_mul_f32 s2, s2, 0x4f7ffffe
	s_wait_alu 0xfffe
	s_cvt_u32_f32 s4, s2
	s_sub_co_i32 s2, 0, s10
	s_wait_alu 0xfffe
	s_delay_alu instid0(SALU_CYCLE_1)
	s_mul_i32 s2, s2, s4
	s_wait_alu 0xfffe
	s_mul_hi_u32 s5, s4, s2
	s_abs_i32 s2, ttmp9
	s_add_co_i32 s4, s4, s5
	s_mov_b32 s5, s3
	s_wait_kmcnt 0x0
	s_cmp_eq_u64 s[6:7], 0
	s_cbranch_scc1 .LBB351_3
; %bb.2:
	s_mov_b32 s8, ttmp9
	s_ashr_i32 s9, ttmp9, 31
	s_delay_alu instid0(SALU_CYCLE_1) | instskip(NEXT) | instid1(SALU_CYCLE_1)
	s_lshl_b64 s[8:9], s[8:9], 2
	s_add_nc_u64 s[6:7], s[6:7], s[8:9]
	s_load_b32 s30, s[6:7], 0x0
.LBB351_3:
	s_load_b96 s[16:18], s[0:1], 0x58
	s_mul_u64 s[8:9], s[2:3], s[4:5]
	s_ashr_i32 s3, ttmp9, 31
	s_ashr_i32 s8, s11, 31
	s_mul_i32 s20, ttmp9, 0x50
	s_mov_b32 s4, exec_lo
	v_cmpx_gt_u32_e32 10, v0
	s_cbranch_execz .LBB351_5
; %bb.4:
	s_load_b64 s[6:7], s[0:1], 0x18
	s_wait_kmcnt 0x0
	s_mul_i32 s14, s16, s19
	s_ashr_i32 s21, s20, 31
	s_ashr_i32 s15, s14, 31
	v_lshlrev_b32_e32 v5, 4, v0
	s_lshl_b64 s[14:15], s[14:15], 1
	s_delay_alu instid0(SALU_CYCLE_1) | instskip(SKIP_1) | instid1(SALU_CYCLE_1)
	s_add_nc_u64 s[6:7], s[6:7], s[14:15]
	s_lshl_b64 s[14:15], s[20:21], 1
	s_add_nc_u64 s[6:7], s[6:7], s[14:15]
	global_load_b128 v[1:4], v5, s[6:7]
	s_wait_loadcnt 0x0
	ds_store_b128 v5, v[1:4]
.LBB351_5:
	s_or_b32 exec_lo, exec_lo, s4
	s_load_b128 s[4:7], s[0:1], 0x78
	s_mul_i32 s11, s9, s10
	s_xor_b32 s3, s3, s8
	s_sub_co_i32 s2, s2, s11
	s_add_co_i32 s8, s9, 1
	s_wait_alu 0xfffe
	s_sub_co_i32 s11, s2, s10
	s_cmp_ge_u32 s2, s10
                                        ; implicit-def: $sgpr21
	s_cselect_b32 s8, s8, s9
	s_cselect_b32 s2, s11, s2
	s_add_co_i32 s9, s8, 1
	s_wait_alu 0xfffe
	s_cmp_ge_u32 s2, s10
	s_mov_b32 s10, -1
	s_cselect_b32 s2, s9, s8
	s_load_b32 s8, s[0:1], 0x88
	s_xor_b32 s2, s2, s3
	s_wait_dscnt 0x0
	s_wait_alu 0xfffe
	s_sub_co_i32 s28, s2, s3
	s_barrier_signal -1
	s_barrier_wait -1
	s_wait_kmcnt 0x0
	s_abs_i32 s16, s7
	global_inv scope:SCOPE_SE
	s_cvt_f32_u32 s9, s16
	s_delay_alu instid0(SALU_CYCLE_3) | instskip(NEXT) | instid1(TRANS32_DEP_1)
	v_rcp_iflag_f32_e32 v1, s9
	v_readfirstlane_b32 s9, v1
	s_mul_f32 s2, s9, 0x4f7ffffe
	s_add_co_i32 s9, s34, -1
	s_wait_alu 0xfffe
	s_delay_alu instid0(SALU_CYCLE_1) | instskip(SKIP_2) | instid1(SALU_CYCLE_1)
	s_cvt_u32_f32 s11, s2
	s_sub_co_i32 s2, 0, s16
	s_wait_alu 0xfffe
	s_mul_i32 s3, s2, s11
	s_abs_i32 s2, s9
	s_wait_alu 0xfffe
	s_mul_hi_u32 s14, s11, s3
	s_mov_b32 s3, 0
	s_add_co_i32 s22, s11, s14
	s_cmp_lt_i32 s8, 0
	s_wait_alu 0xfffe
	s_mov_b32 s23, s3
	s_cbranch_scc0 .LBB351_7
; %bb.6:
	s_mul_i32 s10, s4, s12
	s_delay_alu instid0(SALU_CYCLE_1) | instskip(NEXT) | instid1(SALU_CYCLE_1)
	s_add_co_i32 s10, s28, s10
	s_mul_i32 s10, s10, s8
	s_delay_alu instid0(SALU_CYCLE_1)
	s_sub_co_i32 s21, 1, s10
	s_mov_b32 s10, s3
.LBB351_7:
	s_mul_u64 s[14:15], s[2:3], s[22:23]
	s_ashr_i32 s3, s9, 31
	s_and_not1_b32 vcc_lo, exec_lo, s10
	s_ashr_i32 s23, s7, 31
	s_cbranch_vccnz .LBB351_9
; %bb.8:
	s_mul_i32 s4, s36, s4
	s_delay_alu instid0(SALU_CYCLE_1) | instskip(NEXT) | instid1(SALU_CYCLE_1)
	s_add_co_i32 s4, s4, ttmp9
	s_mul_i32 s4, s4, s8
	s_delay_alu instid0(SALU_CYCLE_1)
	s_add_co_i32 s21, s4, 1
.LBB351_9:
	s_clause 0x3
	s_load_b32 s4, s[0:1], 0x48
	s_load_b64 s[24:25], s[0:1], 0x38
	s_load_b32 s7, s[0:1], 0x98
	s_load_b128 s[8:11], s[0:1], 0x68
	s_mul_i32 s12, s15, s16
	s_xor_b32 s3, s3, s23
	s_sub_co_i32 s2, s2, s12
	s_add_co_i32 s14, s15, 1
	v_lshrrev_b32_e32 v15, 5, v0
	v_dual_mov_b32 v79, 0xff7fffff :: v_dual_and_b32 v16, 31, v0
	s_mul_i32 s28, s28, s18
	s_delay_alu instid0(VALU_DEP_2) | instskip(NEXT) | instid1(VALU_DEP_2)
	v_lshl_add_u32 v17, v15, 5, s37
	v_lshlrev_b32_e32 v12, 2, v16
	s_wait_kmcnt 0x0
	s_mul_i32 s26, s4, s19
	s_wait_alu 0xfffe
	s_sub_co_i32 s4, s2, s16
	s_ashr_i32 s27, s26, 31
	s_cmp_ge_u32 s2, s16
	s_cselect_b32 s12, s14, s15
	s_cselect_b32 s2, s4, s2
	s_add_co_i32 s4, s12, 1
	s_wait_alu 0xfffe
	s_cmp_ge_u32 s2, s16
	s_cselect_b32 s2, s4, s12
	s_add_co_i32 s4, s34, 31
	s_lshl_b32 s40, s33, 4
	s_ashr_i32 s12, s4, 31
	v_add_nc_u32_e32 v18, s40, v15
	s_lshr_b32 s12, s12, 27
	s_delay_alu instid0(SALU_CYCLE_1)
	s_add_co_i32 s4, s4, s12
	s_add_co_i32 s12, s40, 16
	s_ashr_i32 s38, s4, 5
	s_wait_alu 0xfffe
	s_xor_b32 s4, s2, s3
	s_min_i32 s35, s12, s38
	v_lshlrev_b32_e32 v11, 2, v18
	v_cmp_gt_i32_e64 s2, s35, v18
	s_sub_co_i32 s39, s4, s3
	s_and_saveexec_b32 s12, s2
	s_cbranch_execz .LBB351_17
; %bb.10:
	v_dual_mov_b32 v74, 0 :: v_dual_lshlrev_b32 v5, 4, v16
	s_load_b64 s[42:43], s[0:1], 0x20
	s_sub_co_i32 s14, s39, s5
	s_ashr_i32 s29, s28, 31
	ds_load_b128 v[1:4], v74
	ds_load_b128 v[7:10], v74 offset:16
	ds_load_b128 v[37:40], v74 offset:32
	;; [unrolled: 1-line block ×3, first 2 shown]
	s_cmp_neq_f32 s30, 0
	ds_load_b128 v[69:72], v74 offset:96
	ds_load_b128 v[76:79], v74 offset:112
	v_lshl_add_u32 v98, v15, 5, s37
	s_cselect_b32 vcc_lo, -1, 0
	s_abs_i32 s18, s6
	s_mov_b32 s15, s17
	s_sub_co_i32 s4, 0, s18
	v_dual_mov_b32 v102, v18 :: v_dual_mov_b32 v101, 0xff7fffff
	s_wait_kmcnt 0x0
	s_add_nc_u64 s[42:43], s[42:43], s[28:29]
	s_wait_dscnt 0x5
	v_lshlrev_b32_e32 v13, 16, v1
	v_and_b32_e32 v14, 0xffff0000, v1
	v_lshlrev_b32_e32 v19, 16, v2
	v_and_b32_e32 v20, 0xffff0000, v2
	;; [unrolled: 2-line block ×4, first 2 shown]
	ds_load_b128 v[1:4], v74 offset:64
	s_wait_dscnt 0x5
	v_lshlrev_b32_e32 v25, 16, v7
	v_and_b32_e32 v26, 0xffff0000, v7
	v_lshlrev_b32_e32 v27, 16, v8
	v_and_b32_e32 v28, 0xffff0000, v8
	;; [unrolled: 2-line block ×4, first 2 shown]
	ds_load_b128 v[7:10], v74 offset:80
	v_add_co_u32 v5, s3, s42, v5
	s_wait_alu 0xf1ff
	v_add_co_ci_u32_e64 v6, null, s43, 0, s3
	s_cvt_f32_u32 s3, s18
	s_lshl_b64 s[42:43], s[26:27], 2
	s_wait_dscnt 0x5
	v_lshlrev_b32_e32 v33, 16, v37
	s_wait_alu 0xfffe
	s_add_nc_u64 s[42:43], s[24:25], s[42:43]
	v_rcp_iflag_f32_e32 v88, s3
	v_and_b32_e32 v34, 0xffff0000, v37
	s_wait_dscnt 0x1
	v_lshlrev_b32_e32 v49, 16, v1
	v_and_b32_e32 v50, 0xffff0000, v1
	v_lshlrev_b32_e32 v51, 16, v2
	v_and_b32_e32 v52, 0xffff0000, v2
	;; [unrolled: 2-line block ×4, first 2 shown]
	ds_load_b128 v[1:4], v74 offset:128
	s_wait_dscnt 0x1
	v_lshlrev_b32_e32 v57, 16, v7
	v_and_b32_e32 v58, 0xffff0000, v7
	v_lshlrev_b32_e32 v59, 16, v8
	v_and_b32_e32 v60, 0xffff0000, v8
	;; [unrolled: 2-line block ×4, first 2 shown]
	ds_load_b128 v[7:10], v74 offset:144
	v_readfirstlane_b32 s3, v88
	v_lshlrev_b32_e32 v35, 16, v38
	v_and_b32_e32 v36, 0xffff0000, v38
	v_lshlrev_b32_e32 v37, 16, v39
	v_and_b32_e32 v38, 0xffff0000, v39
	s_mul_f32 s3, s3, 0x4f7ffffe
	v_lshlrev_b32_e32 v39, 16, v40
	v_and_b32_e32 v40, 0xffff0000, v40
	v_lshlrev_b32_e32 v41, 16, v45
	s_wait_alu 0xfffe
	s_cvt_u32_f32 s3, s3
	s_wait_dscnt 0x1
	v_lshlrev_b32_e32 v82, 16, v1
	v_and_b32_e32 v83, 0xffff0000, v1
	v_lshlrev_b32_e32 v84, 16, v2
	v_and_b32_e32 v85, 0xffff0000, v2
	v_subrev_nc_u32_e32 v1, s34, v16
	v_lshl_or_b32 v2, v15, 7, v12
	s_wait_alu 0xfffe
	s_mul_i32 s4, s4, s3
	v_and_b32_e32 v42, 0xffff0000, v45
	v_lshlrev_b32_e32 v43, 16, v46
	s_wait_dscnt 0x0
	v_lshlrev_b32_e32 v90, 16, v7
	v_and_b32_e32 v91, 0xffff0000, v7
	v_add_co_u32 v7, s29, s42, v11
	v_and_b32_e32 v44, 0xffff0000, v46
	v_lshlrev_b32_e32 v45, 16, v47
	v_and_b32_e32 v46, 0xffff0000, v47
	v_lshlrev_b32_e32 v47, 16, v48
	;; [unrolled: 2-line block ×15, first 2 shown]
	v_and_b32_e32 v97, 0xffff0000, v10
	v_add_co_ci_u32_e64 v8, null, s43, 0, s29
	v_add_nc_u32_e32 v99, 1, v1
	v_add_nc_u32_e32 v100, 0xc0, v2
	v_mov_b32_e32 v79, 0xff7fffff
	s_mul_hi_u32 s4, s3, s4
	s_mov_b32 s29, 0
	s_add_co_i32 s31, s3, s4
	s_branch .LBB351_12
.LBB351_11:                             ;   in Loop: Header=BB351_12 Depth=1
	s_wait_alu 0xfffe
	s_or_b32 exec_lo, exec_lo, s4
	v_add_nc_u32_e32 v102, 4, v102
	v_add_co_u32 v7, s4, v7, 16
	s_wait_alu 0xf1ff
	v_add_co_ci_u32_e64 v8, null, 0, v8, s4
	s_delay_alu instid0(VALU_DEP_3)
	v_cmp_le_i32_e64 s3, s35, v102
	v_add_nc_u32_e32 v98, 0x80, v98
	v_add_nc_u32_e32 v100, 0x200, v100
	s_or_b32 s29, s3, s29
	s_wait_alu 0xfffe
	s_and_not1_b32 exec_lo, exec_lo, s29
	s_cbranch_execz .LBB351_16
.LBB351_12:                             ; =>This Inner Loop Header: Depth=1
	v_sub_nc_u32_e32 v1, 0, v98
	s_delay_alu instid0(VALU_DEP_1) | instskip(NEXT) | instid1(VALU_DEP_1)
	v_max_i32_e32 v1, v98, v1
	v_mul_hi_u32 v2, v1, s22
	s_delay_alu instid0(VALU_DEP_1) | instskip(NEXT) | instid1(VALU_DEP_1)
	v_mul_lo_u32 v3, v2, s16
	v_sub_nc_u32_e32 v1, v1, v3
	v_add_nc_u32_e32 v3, 1, v2
	s_delay_alu instid0(VALU_DEP_2) | instskip(SKIP_2) | instid1(VALU_DEP_1)
	v_subrev_nc_u32_e32 v4, s16, v1
	v_cmp_le_u32_e64 s3, s16, v1
	s_wait_alu 0xf1ff
	v_cndmask_b32_e64 v2, v2, v3, s3
	s_delay_alu instid0(VALU_DEP_3) | instskip(SKIP_1) | instid1(VALU_DEP_3)
	v_cndmask_b32_e64 v1, v1, v4, s3
	v_ashrrev_i32_e32 v3, 31, v98
	v_add_nc_u32_e32 v4, 1, v2
	s_delay_alu instid0(VALU_DEP_3) | instskip(NEXT) | instid1(VALU_DEP_3)
	v_cmp_le_u32_e64 s3, s16, v1
	v_xor_b32_e32 v3, s23, v3
	s_wait_alu 0xf1ff
	s_delay_alu instid0(VALU_DEP_2) | instskip(NEXT) | instid1(VALU_DEP_1)
	v_cndmask_b32_e64 v1, v2, v4, s3
	v_xor_b32_e32 v1, v1, v3
	s_delay_alu instid0(VALU_DEP_1) | instskip(NEXT) | instid1(VALU_DEP_1)
	v_sub_nc_u32_e32 v1, v1, v3
	v_add_nc_u32_e32 v2, s21, v1
	v_cmp_ge_i32_e64 s4, s14, v1
	s_delay_alu instid0(VALU_DEP_2) | instskip(NEXT) | instid1(VALU_DEP_1)
	v_sub_nc_u32_e32 v3, 0, v2
	v_max_i32_e32 v3, v2, v3
	v_ashrrev_i32_e32 v2, 31, v2
	s_delay_alu instid0(VALU_DEP_2) | instskip(NEXT) | instid1(VALU_DEP_1)
	v_mul_hi_u32 v4, v3, s31
	v_mul_lo_u32 v4, v4, s18
	s_delay_alu instid0(VALU_DEP_1) | instskip(NEXT) | instid1(VALU_DEP_1)
	v_sub_nc_u32_e32 v3, v3, v4
	v_subrev_nc_u32_e32 v4, s18, v3
	v_cmp_le_u32_e64 s3, s18, v3
	s_wait_alu 0xf1ff
	s_delay_alu instid0(VALU_DEP_1) | instskip(NEXT) | instid1(VALU_DEP_1)
	v_cndmask_b32_e64 v3, v3, v4, s3
	v_subrev_nc_u32_e32 v4, s18, v3
	v_cmp_le_u32_e64 s3, s18, v3
	s_wait_alu 0xf1ff
	s_delay_alu instid0(VALU_DEP_1) | instskip(NEXT) | instid1(VALU_DEP_1)
	v_cndmask_b32_e64 v3, v3, v4, s3
	v_xor_b32_e32 v3, v3, v2
	s_delay_alu instid0(VALU_DEP_1) | instskip(NEXT) | instid1(VALU_DEP_1)
	v_sub_nc_u32_e32 v2, v3, v2
	v_cmp_ne_u32_e64 s3, 0, v2
	s_and_b32 s3, s3, s4
	s_wait_alu 0xfffe
	s_and_saveexec_b32 s4, s3
	s_wait_alu 0xfffe
	s_xor_b32 s3, exec_lo, s4
; %bb.13:                               ;   in Loop: Header=BB351_12 Depth=1
	ds_store_b32 v100, v101
; %bb.14:                               ;   in Loop: Header=BB351_12 Depth=1
	s_wait_alu 0xfffe
	s_and_not1_saveexec_b32 s4, s3
	s_cbranch_execz .LBB351_11
; %bb.15:                               ;   in Loop: Header=BB351_12 Depth=1
	global_load_b32 v1, v[7:8], off
	s_wait_loadcnt 0x0
	v_mad_co_i64_i32 v[9:10], null, v1, s15, v[5:6]
	s_clause 0x3
	global_load_b128 v[1:4], v[9:10], off
	global_load_b128 v[107:110], v[9:10], off offset:512
	global_load_b128 v[150:153], v[9:10], off offset:1024
	;; [unrolled: 1-line block ×3, first 2 shown]
	s_load_b32 s41, s[8:9], 0x0
	s_wait_loadcnt 0x3
	v_and_b32_e32 v123, 0xff, v3
	v_bfe_u32 v121, v3, 8, 8
	v_lshrrev_b32_e32 v117, 24, v3
	v_bfe_u32 v105, v1, 8, 8
	v_bfe_u32 v106, v1, 16, 8
	v_lshrrev_b32_e32 v103, 24, v1
	v_bfe_u32 v179, v2, 8, 8
	;; [unrolled: 3-line block ×3, first 2 shown]
	v_bfe_u32 v115, v4, 8, 8
	v_bfe_u32 v116, v4, 16, 8
	v_lshrrev_b32_e32 v113, 24, v4
	v_cvt_f32_fp8_e32 v123, v123
	v_and_b32_e32 v180, 0xff, v1
	v_cvt_f32_fp8_e32 v121, v121
	v_and_b32_e32 v104, 0xff, v2
	;; [unrolled: 2-line block ×3, first 2 shown]
	global_load_b128 v[1:4], v[9:10], off offset:2048
	s_wait_loadcnt 0x3
	v_bfe_u32 v119, v107, 8, 8
	v_bfe_u32 v125, v109, 8, 8
	;; [unrolled: 1-line block ×5, first 2 shown]
	v_lshrrev_b32_e32 v111, 24, v108
	v_lshrrev_b32_e32 v128, 24, v109
	v_bfe_u32 v132, v110, 8, 8
	v_bfe_u32 v135, v110, 16, 8
	v_lshrrev_b32_e32 v136, 24, v110
	s_wait_loadcnt 0x1
	v_bfe_u32 v155, v160, 8, 8
	v_bfe_u32 v156, v160, 16, 8
	v_lshrrev_b32_e32 v157, 24, v160
	v_bfe_u32 v174, v161, 8, 8
	v_bfe_u32 v172, v161, 16, 8
	v_lshrrev_b32_e32 v170, 24, v161
	v_bfe_u32 v159, v163, 16, 8
	v_lshrrev_b32_e32 v158, 24, v163
	s_wait_kmcnt 0x0
	v_mul_f32_e32 v123, s41, v123
	v_cvt_f32_fp8_e32 v122, v122
	v_and_b32_e32 v129, 0xff, v108
	v_cvt_f32_fp8_e32 v115, v115
	v_and_b32_e32 v120, 0xff, v109
	;; [unrolled: 2-line block ×4, first 2 shown]
	v_bfe_u32 v160, v163, 8, 8
	v_cvt_f32_fp8_e32 v127, v127
	v_and_b32_e32 v176, 0xff, v161
	v_and_b32_e32 v161, 0xff, v163
	v_bfe_u32 v124, v107, 16, 8
	v_lshrrev_b32_e32 v126, 24, v107
	v_cvt_f32_fp8_e32 v113, v113
	v_dual_mul_f32 v121, s41, v121 :: v_dual_and_b32 v114, 0xff, v107
	v_bfe_u32 v139, v150, 16, 8
	v_lshrrev_b32_e32 v141, 24, v150
	v_dual_mul_f32 v122, s41, v122 :: v_dual_mul_f32 v117, s41, v117
	v_bfe_u32 v143, v151, 8, 8
	s_delay_alu instid0(VALU_DEP_4) | instskip(NEXT) | instid1(VALU_DEP_4)
	v_cvt_f32_fp8_e32 v139, v139
	v_cvt_f32_fp8_e32 v141, v141
	;; [unrolled: 1-line block ×3, first 2 shown]
	v_mul_f32_e32 v115, s41, v115
	v_cvt_f32_fp8_e32 v143, v143
	v_lshrrev_b32_e32 v145, 24, v151
	v_cvt_f32_fp8_e32 v116, v116
	v_dual_mul_f32 v118, s41, v118 :: v_dual_mul_f32 v113, s41, v113
	s_delay_alu instid0(VALU_DEP_4) | instskip(NEXT) | instid1(VALU_DEP_4)
	v_mul_f32_e32 v143, s41, v143
	v_cvt_f32_fp8_e32 v145, v145
	s_delay_alu instid0(VALU_DEP_4)
	v_mul_f32_e32 v116, s41, v116
	v_bfe_u32 v147, v152, 8, 8
	v_cvt_f32_fp8_e32 v114, v114
	v_mul_f32_e32 v119, s41, v119
	v_mul_f32_e32 v145, s41, v145
	v_lshrrev_b32_e32 v149, 24, v152
	v_cvt_f32_fp8_e32 v147, v147
	v_mul_f32_e32 v114, s41, v114
	v_cvt_f32_fp8_e32 v124, v124
	v_bfe_u32 v144, v151, 16, 8
	v_cvt_f32_fp8_e32 v149, v149
	v_mul_f32_e32 v147, s41, v147
	v_cvt_f32_fp8_e32 v126, v126
	v_mul_f32_e32 v124, s41, v124
	v_cvt_f32_fp8_e32 v129, v129
	v_and_b32_e32 v142, 0xff, v151
	v_bfe_u32 v151, v153, 8, 8
	v_mul_f32_e32 v149, s41, v149
	v_cvt_f32_fp8_e32 v131, v131
	v_dual_mul_f32 v129, s41, v129 :: v_dual_and_b32 v146, 0xff, v152
	s_delay_alu instid0(VALU_DEP_4) | instskip(NEXT) | instid1(VALU_DEP_3)
	v_cvt_f32_fp8_e32 v151, v151
	v_dual_mul_f32 v126, s41, v126 :: v_dual_mul_f32 v131, s41, v131
	v_bfe_u32 v138, v150, 8, 8
	v_bfe_u32 v148, v152, 16, 8
	s_delay_alu instid0(VALU_DEP_4)
	v_mul_f32_e32 v151, s41, v151
	v_bfe_u32 v152, v153, 16, 8
	v_cvt_f32_fp8_e32 v134, v134
	v_cvt_f32_fp8_e32 v111, v111
	;; [unrolled: 1-line block ×4, first 2 shown]
	v_mul_f32_e32 v125, s41, v125
	v_mul_f32_e32 v127, s41, v127
	v_cvt_f32_fp8_e32 v128, v128
	s_delay_alu instid0(VALU_DEP_4) | instskip(SKIP_2) | instid1(VALU_DEP_4)
	v_dual_mul_f32 v120, s41, v120 :: v_dual_mul_f32 v155, s41, v155
	v_cvt_f32_fp8_e32 v157, v157
	v_cvt_f32_fp8_e32 v130, v130
	v_mul_f32_e32 v128, s41, v128
	v_cvt_f32_fp8_e32 v132, v132
	v_cvt_f32_fp8_e32 v159, v159
	v_mul_f32_e32 v157, s41, v157
	v_cvt_f32_fp8_e32 v135, v135
	v_and_b32_e32 v168, 0xff, v162
	s_delay_alu instid0(VALU_DEP_4) | instskip(SKIP_1) | instid1(VALU_DEP_4)
	v_dual_mul_f32 v132, s41, v132 :: v_dual_mul_f32 v159, s41, v159
	v_cvt_f32_fp8_e32 v136, v136
	v_mul_f32_e32 v135, s41, v135
	v_cvt_f32_fp8_e32 v138, v138
	v_cvt_f32_fp8_e32 v142, v142
	;; [unrolled: 1-line block ×13, first 2 shown]
	v_bfe_u32 v166, v162, 8, 8
	v_bfe_u32 v164, v162, 16, 8
	v_lshrrev_b32_e32 v162, 24, v162
	v_cvt_f32_fp8_e32 v160, v160
	v_cvt_f32_fp8_e32 v158, v158
	v_cvt_f32_fp8_e32 v166, v166
	v_cvt_f32_fp8_e32 v164, v164
	v_cvt_f32_fp8_e32 v162, v162
	v_mul_f32_e32 v111, s41, v111
	v_mul_f32_e32 v139, s41, v139
	;; [unrolled: 1-line block ×3, first 2 shown]
	s_wait_loadcnt 0x0
	v_and_b32_e32 v175, 0xff, v1
	v_bfe_u32 v173, v1, 8, 8
	v_bfe_u32 v171, v1, 16, 8
	v_lshrrev_b32_e32 v169, 24, v1
	v_and_b32_e32 v167, 0xff, v2
	v_bfe_u32 v165, v2, 8, 8
	v_bfe_u32 v163, v2, 16, 8
	v_lshrrev_b32_e32 v140, 24, v2
	;; [unrolled: 4-line block ×4, first 2 shown]
	v_cvt_f32_fp8_e32 v4, v180
	v_cvt_f32_fp8_e32 v173, v173
	v_mul_f32_e32 v138, s41, v138
	v_cvt_f32_fp8_e32 v171, v171
	v_mul_f32_e32 v142, s41, v142
	s_delay_alu instid0(VALU_DEP_4) | instskip(SKIP_1) | instid1(VALU_DEP_4)
	v_dual_mul_f32 v4, s41, v4 :: v_dual_mul_f32 v173, s41, v173
	v_cvt_f32_fp8_e32 v169, v169
	v_dual_mul_f32 v171, s41, v171 :: v_dual_mul_f32 v144, s41, v144
	s_delay_alu instid0(VALU_DEP_3) | instskip(SKIP_1) | instid1(VALU_DEP_4)
	v_bfe_u32 v9, v4, 16, 1
	v_cmp_u_f32_e64 s3, v4, v4
	v_mul_f32_e32 v169, s41, v169
	v_cvt_f32_fp8_e32 v165, v165
	v_mul_f32_e32 v148, s41, v148
	v_add3_u32 v9, v9, v4, 0x7fff
	v_or_b32_e32 v4, 0x400000, v4
	v_cvt_f32_fp8_e32 v163, v163
	v_mul_f32_e32 v165, s41, v165
	v_cvt_f32_fp8_e32 v109, v109
	v_mul_f32_e32 v154, s41, v154
	s_wait_alu 0xf1ff
	v_cndmask_b32_e64 v107, v9, v4, s3
	v_cvt_f32_fp8_e32 v4, v105
	v_and_b32_e32 v137, 0xff, v150
	v_and_b32_e32 v150, 0xff, v153
	v_lshrrev_b32_e32 v153, 24, v153
	s_delay_alu instid0(VALU_DEP_4) | instskip(NEXT) | instid1(VALU_DEP_4)
	v_dual_mul_f32 v163, s41, v163 :: v_dual_mul_f32 v4, s41, v4
	v_cvt_f32_fp8_e32 v137, v137
	s_delay_alu instid0(VALU_DEP_4) | instskip(NEXT) | instid1(VALU_DEP_4)
	v_cvt_f32_fp8_e32 v150, v150
	v_cvt_f32_fp8_e32 v153, v153
	v_mul_f32_e32 v134, s41, v134
	v_bfe_u32 v9, v4, 16, 1
	v_cmp_u_f32_e64 s3, v4, v4
	v_mul_f32_e32 v137, s41, v137
	v_dual_mul_f32 v153, s41, v153 :: v_dual_mul_f32 v150, s41, v150
	s_delay_alu instid0(VALU_DEP_4)
	v_add3_u32 v9, v9, v4, 0x7fff
	v_or_b32_e32 v4, 0x400000, v4
	v_mul_f32_e32 v109, s41, v109
	v_cvt_f32_fp8_e32 v3, v3
	v_mul_f32_e32 v156, s41, v156
	v_cvt_f32_fp8_e32 v1, v1
	s_wait_alu 0xf1ff
	v_cndmask_b32_e64 v105, v9, v4, s3
	v_cvt_f32_fp8_e32 v4, v106
	v_dual_mul_f32 v3, s41, v3 :: v_dual_mul_f32 v176, s41, v176
	v_dual_mul_f32 v1, s41, v1 :: v_dual_mul_f32 v172, s41, v172
	s_delay_alu instid0(VALU_DEP_3) | instskip(SKIP_3) | instid1(VALU_DEP_4)
	v_dual_mul_f32 v4, s41, v4 :: v_dual_and_b32 v107, 0xffff0000, v107
	v_cvt_f32_fp8_e32 v161, v161
	v_mul_f32_e32 v130, s41, v130
	v_dual_mul_f32 v164, s41, v164 :: v_dual_and_b32 v105, 0xffff0000, v105
	v_bfe_u32 v9, v4, 16, 1
	v_cmp_u_f32_e64 s3, v4, v4
	v_mul_f32_e32 v161, s41, v161
	v_cvt_f32_fp8_e32 v140, v140
	v_cvt_f32_fp8_e32 v112, v112
	v_add3_u32 v9, v9, v4, 0x7fff
	v_or_b32_e32 v4, 0x400000, v4
	v_cvt_f32_fp8_e32 v110, v110
	v_cvt_f32_fp8_e32 v108, v108
	;; [unrolled: 1-line block ×3, first 2 shown]
	s_wait_alu 0xf1ff
	v_cndmask_b32_e64 v106, v9, v4, s3
	v_cvt_f32_fp8_e32 v4, v103
	s_delay_alu instid0(VALU_DEP_1) | instskip(SKIP_2) | instid1(VALU_DEP_3)
	v_mul_f32_e32 v4, s41, v4
	v_cvt_f32_fp8_e32 v175, v175
	v_mul_f32_e32 v136, s41, v136
	v_bfe_u32 v9, v4, 16, 1
	v_cmp_u_f32_e64 s3, v4, v4
	s_delay_alu instid0(VALU_DEP_4) | instskip(NEXT) | instid1(VALU_DEP_3)
	v_mul_f32_e32 v175, s41, v175
	v_add3_u32 v9, v9, v4, 0x7fff
	v_or_b32_e32 v4, 0x400000, v4
	s_wait_alu 0xf1ff
	s_delay_alu instid0(VALU_DEP_1) | instskip(SKIP_1) | instid1(VALU_DEP_2)
	v_cndmask_b32_e64 v103, v9, v4, s3
	v_cvt_f32_fp8_e32 v4, v104
	v_dual_mul_f32 v110, s41, v110 :: v_dual_and_b32 v103, 0xffff0000, v103
	s_delay_alu instid0(VALU_DEP_2) | instskip(SKIP_2) | instid1(VALU_DEP_3)
	v_mul_f32_e32 v4, s41, v4
	v_cvt_f32_fp8_e32 v167, v167
	v_mul_f32_e32 v146, s41, v146
	v_bfe_u32 v9, v4, 16, 1
	v_cmp_u_f32_e64 s3, v4, v4
	s_delay_alu instid0(VALU_DEP_4) | instskip(NEXT) | instid1(VALU_DEP_3)
	v_mul_f32_e32 v167, s41, v167
	v_add3_u32 v9, v9, v4, 0x7fff
	v_or_b32_e32 v4, 0x400000, v4
	s_wait_alu 0xf1ff
	s_delay_alu instid0(VALU_DEP_1) | instskip(SKIP_1) | instid1(VALU_DEP_2)
	v_cndmask_b32_e64 v104, v9, v4, s3
	v_cvt_f32_fp8_e32 v4, v179
	v_and_b32_e32 v104, 0xffff0000, v104
	s_delay_alu instid0(VALU_DEP_2) | instskip(SKIP_3) | instid1(VALU_DEP_4)
	v_mul_f32_e32 v4, s41, v4
	v_cvt_f32_fp8_e32 v133, v133
	v_mul_f32_e32 v152, s41, v152
	v_and_b32_e32 v106, 0xffff0000, v106
	v_bfe_u32 v9, v4, 16, 1
	v_cmp_u_f32_e64 s3, v4, v4
	v_mul_f32_e32 v133, s41, v133
	s_delay_alu instid0(VALU_DEP_3) | instskip(SKIP_2) | instid1(VALU_DEP_1)
	v_add3_u32 v9, v9, v4, 0x7fff
	v_or_b32_e32 v4, 0x400000, v4
	s_wait_alu 0xf1ff
	v_cndmask_b32_e64 v9, v9, v4, s3
	v_cvt_f32_fp8_e32 v4, v178
	s_delay_alu instid0(VALU_DEP_1) | instskip(NEXT) | instid1(VALU_DEP_1)
	v_dual_mul_f32 v4, s41, v4 :: v_dual_and_b32 v9, 0xffff0000, v9
	v_bfe_u32 v10, v4, 16, 1
	v_cmp_u_f32_e64 s3, v4, v4
	s_delay_alu instid0(VALU_DEP_2) | instskip(SKIP_2) | instid1(VALU_DEP_1)
	v_add3_u32 v10, v10, v4, 0x7fff
	v_or_b32_e32 v4, 0x400000, v4
	s_wait_alu 0xf1ff
	v_cndmask_b32_e64 v10, v10, v4, s3
	v_cvt_f32_fp8_e32 v4, v177
	s_delay_alu instid0(VALU_DEP_1) | instskip(NEXT) | instid1(VALU_DEP_1)
	v_mul_f32_e32 v4, s41, v4
	v_bfe_u32 v177, v4, 16, 1
	v_cmp_u_f32_e64 s3, v4, v4
	s_delay_alu instid0(VALU_DEP_2) | instskip(SKIP_2) | instid1(VALU_DEP_1)
	v_add3_u32 v177, v177, v4, 0x7fff
	v_or_b32_e32 v4, 0x400000, v4
	s_wait_alu 0xf1ff
	v_cndmask_b32_e64 v4, v177, v4, s3
	v_bfe_u32 v177, v123, 16, 1
	v_cmp_u_f32_e64 s3, v123, v123
	s_delay_alu instid0(VALU_DEP_2) | instskip(SKIP_2) | instid1(VALU_DEP_1)
	v_add3_u32 v177, v177, v123, 0x7fff
	v_or_b32_e32 v123, 0x400000, v123
	s_wait_alu 0xf1ff
	v_cndmask_b32_e64 v123, v177, v123, s3
	v_bfe_u32 v177, v121, 16, 1
	v_cmp_u_f32_e64 s3, v121, v121
	s_delay_alu instid0(VALU_DEP_3) | instskip(NEXT) | instid1(VALU_DEP_3)
	v_dual_mul_f32 v174, s41, v174 :: v_dual_and_b32 v123, 0xffff0000, v123
	v_add3_u32 v177, v177, v121, 0x7fff
	v_or_b32_e32 v121, 0x400000, v121
	s_delay_alu instid0(VALU_DEP_3) | instskip(SKIP_2) | instid1(VALU_DEP_3)
	v_dual_mul_f32 v170, s41, v170 :: v_dual_mul_f32 v123, v25, v123
	v_mul_f32_e32 v168, s41, v168
	s_wait_alu 0xf1ff
	v_cndmask_b32_e64 v121, v177, v121, s3
	v_bfe_u32 v177, v122, 16, 1
	v_cmp_u_f32_e64 s3, v122, v122
	v_dual_fmac_f32 v123, v13, v107 :: v_dual_mul_f32 v166, s41, v166
	s_delay_alu instid0(VALU_DEP_4) | instskip(NEXT) | instid1(VALU_DEP_4)
	v_and_b32_e32 v107, 0xffff0000, v121
	v_add3_u32 v177, v177, v122, 0x7fff
	v_or_b32_e32 v122, 0x400000, v122
	s_delay_alu instid0(VALU_DEP_3) | instskip(SKIP_2) | instid1(VALU_DEP_3)
	v_dual_mul_f32 v162, s41, v162 :: v_dual_mul_f32 v107, v26, v107
	v_mul_f32_e32 v160, s41, v160
	s_wait_alu 0xf1ff
	v_cndmask_b32_e64 v122, v177, v122, s3
	v_bfe_u32 v177, v117, 16, 1
	v_cmp_u_f32_e64 s3, v117, v117
	v_dual_fmac_f32 v107, v14, v105 :: v_dual_mul_f32 v140, s41, v140
	s_delay_alu instid0(VALU_DEP_4) | instskip(NEXT) | instid1(VALU_DEP_4)
	v_and_b32_e32 v105, 0xffff0000, v122
	v_add3_u32 v177, v177, v117, 0x7fff
	v_or_b32_e32 v117, 0x400000, v117
	v_mul_f32_e32 v158, s41, v158
	s_delay_alu instid0(VALU_DEP_4)
	v_dual_mul_f32 v105, v27, v105 :: v_dual_and_b32 v10, 0xffff0000, v10
	v_mul_f32_e32 v112, s41, v112
	s_wait_alu 0xf1ff
	v_cndmask_b32_e64 v117, v177, v117, s3
	v_bfe_u32 v177, v118, 16, 1
	v_cmp_u_f32_e64 s3, v118, v118
	s_delay_alu instid0(VALU_DEP_3) | instskip(NEXT) | instid1(VALU_DEP_3)
	v_dual_fmac_f32 v105, v19, v106 :: v_dual_and_b32 v106, 0xffff0000, v117
	v_add3_u32 v177, v177, v118, 0x7fff
	v_or_b32_e32 v118, 0x400000, v118
	s_delay_alu instid0(VALU_DEP_3) | instskip(SKIP_1) | instid1(VALU_DEP_2)
	v_mul_f32_e32 v106, v28, v106
	s_wait_alu 0xf1ff
	v_cndmask_b32_e64 v118, v177, v118, s3
	v_bfe_u32 v177, v115, 16, 1
	v_cmp_u_f32_e64 s3, v115, v115
	v_mul_f32_e32 v108, s41, v108
	s_delay_alu instid0(VALU_DEP_3) | instskip(SKIP_2) | instid1(VALU_DEP_1)
	v_add3_u32 v177, v177, v115, 0x7fff
	v_or_b32_e32 v115, 0x400000, v115
	s_wait_alu 0xf1ff
	v_cndmask_b32_e64 v115, v177, v115, s3
	v_bfe_u32 v177, v116, 16, 1
	v_cmp_u_f32_e64 s3, v116, v116
	s_delay_alu instid0(VALU_DEP_2) | instskip(SKIP_2) | instid1(VALU_DEP_1)
	v_add3_u32 v177, v177, v116, 0x7fff
	v_or_b32_e32 v116, 0x400000, v116
	s_wait_alu 0xf1ff
	v_cndmask_b32_e64 v116, v177, v116, s3
	v_bfe_u32 v177, v113, 16, 1
	v_cmp_u_f32_e64 s3, v113, v113
	v_dual_fmac_f32 v106, v20, v103 :: v_dual_and_b32 v103, 0xffff0000, v118
	v_mul_f32_e32 v2, s41, v2
	s_delay_alu instid0(VALU_DEP_4) | instskip(SKIP_1) | instid1(VALU_DEP_4)
	v_add3_u32 v177, v177, v113, 0x7fff
	v_or_b32_e32 v113, 0x400000, v113
	v_mul_f32_e32 v103, v29, v103
	s_wait_alu 0xf1ff
	s_delay_alu instid0(VALU_DEP_2) | instskip(SKIP_3) | instid1(VALU_DEP_3)
	v_cndmask_b32_e64 v113, v177, v113, s3
	v_bfe_u32 v177, v114, 16, 1
	v_cmp_u_f32_e64 s3, v114, v114
	v_dual_fmac_f32 v103, v21, v104 :: v_dual_and_b32 v104, 0xffff0000, v115
	v_add3_u32 v177, v177, v114, 0x7fff
	v_or_b32_e32 v114, 0x400000, v114
	s_wait_alu 0xf1ff
	s_delay_alu instid0(VALU_DEP_1) | instskip(SKIP_2) | instid1(VALU_DEP_2)
	v_cndmask_b32_e64 v114, v177, v114, s3
	v_bfe_u32 v177, v119, 16, 1
	v_cmp_u_f32_e64 s3, v119, v119
	v_add3_u32 v177, v177, v119, 0x7fff
	v_or_b32_e32 v119, 0x400000, v119
	s_wait_alu 0xf1ff
	s_delay_alu instid0(VALU_DEP_1) | instskip(SKIP_2) | instid1(VALU_DEP_2)
	v_cndmask_b32_e64 v119, v177, v119, s3
	v_bfe_u32 v177, v124, 16, 1
	v_cmp_u_f32_e64 s3, v124, v124
	;; [unrolled: 7-line block ×5, first 2 shown]
	v_add3_u32 v177, v177, v131, 0x7fff
	v_or_b32_e32 v131, 0x400000, v131
	s_wait_alu 0xf1ff
	s_delay_alu instid0(VALU_DEP_1) | instskip(SKIP_3) | instid1(VALU_DEP_3)
	v_cndmask_b32_e64 v131, v177, v131, s3
	v_bfe_u32 v177, v134, 16, 1
	v_cmp_u_f32_e64 s3, v134, v134
	v_mul_f32_e32 v104, v30, v104
	v_add3_u32 v177, v177, v134, 0x7fff
	v_or_b32_e32 v134, 0x400000, v134
	s_delay_alu instid0(VALU_DEP_3) | instskip(SKIP_1) | instid1(VALU_DEP_2)
	v_dual_fmac_f32 v104, v22, v9 :: v_dual_and_b32 v9, 0xffff0000, v116
	s_wait_alu 0xf1ff
	v_cndmask_b32_e64 v134, v177, v134, s3
	v_bfe_u32 v177, v111, 16, 1
	v_cmp_u_f32_e64 s3, v111, v111
	v_mul_f32_e32 v9, v31, v9
	s_delay_alu instid0(VALU_DEP_3) | instskip(SKIP_1) | instid1(VALU_DEP_3)
	v_add3_u32 v177, v177, v111, 0x7fff
	v_or_b32_e32 v111, 0x400000, v111
	v_dual_fmac_f32 v9, v23, v10 :: v_dual_and_b32 v10, 0xffff0000, v113
	v_and_b32_e32 v4, 0xffff0000, v4
	v_and_b32_e32 v113, 0xffff0000, v131
	s_wait_alu 0xf1ff
	v_cndmask_b32_e64 v111, v177, v111, s3
	v_bfe_u32 v177, v120, 16, 1
	v_cmp_u_f32_e64 s3, v120, v120
	s_delay_alu instid0(VALU_DEP_2) | instskip(SKIP_2) | instid1(VALU_DEP_1)
	v_add3_u32 v177, v177, v120, 0x7fff
	v_or_b32_e32 v120, 0x400000, v120
	s_wait_alu 0xf1ff
	v_cndmask_b32_e64 v120, v177, v120, s3
	v_bfe_u32 v177, v125, 16, 1
	v_cmp_u_f32_e64 s3, v125, v125
	v_mul_f32_e32 v10, v32, v10
	s_delay_alu instid0(VALU_DEP_3) | instskip(SKIP_2) | instid1(VALU_DEP_1)
	v_add3_u32 v177, v177, v125, 0x7fff
	v_or_b32_e32 v125, 0x400000, v125
	s_wait_alu 0xf1ff
	v_cndmask_b32_e64 v125, v177, v125, s3
	v_bfe_u32 v177, v127, 16, 1
	v_cmp_u_f32_e64 s3, v127, v127
	v_fmac_f32_e32 v10, v24, v4
	v_and_b32_e32 v4, 0xffff0000, v114
	v_and_b32_e32 v114, 0xffff0000, v134
	v_add3_u32 v177, v177, v127, 0x7fff
	v_or_b32_e32 v127, 0x400000, v127
	s_delay_alu instid0(VALU_DEP_4) | instskip(NEXT) | instid1(VALU_DEP_4)
	v_dual_fmac_f32 v123, v33, v4 :: v_dual_and_b32 v4, 0xffff0000, v119
	v_fmac_f32_e32 v9, v39, v114
	s_wait_alu 0xf1ff
	s_delay_alu instid0(VALU_DEP_3) | instskip(SKIP_2) | instid1(VALU_DEP_3)
	v_cndmask_b32_e64 v127, v177, v127, s3
	v_bfe_u32 v177, v128, 16, 1
	v_cmp_u_f32_e64 s3, v128, v128
	v_dual_fmac_f32 v107, v34, v4 :: v_dual_and_b32 v114, 0xffff0000, v127
	s_delay_alu instid0(VALU_DEP_3) | instskip(SKIP_3) | instid1(VALU_DEP_2)
	v_add3_u32 v177, v177, v128, 0x7fff
	v_or_b32_e32 v128, 0x400000, v128
	v_and_b32_e32 v4, 0xffff0000, v124
	s_wait_alu 0xf1ff
	v_cndmask_b32_e64 v128, v177, v128, s3
	v_bfe_u32 v177, v130, 16, 1
	v_cmp_u_f32_e64 s3, v130, v130
	v_dual_fmac_f32 v105, v35, v4 :: v_dual_and_b32 v4, 0xffff0000, v126
	s_delay_alu instid0(VALU_DEP_3) | instskip(SKIP_1) | instid1(VALU_DEP_3)
	v_add3_u32 v177, v177, v130, 0x7fff
	v_or_b32_e32 v130, 0x400000, v130
	v_fmac_f32_e32 v105, v43, v114
	s_wait_alu 0xf1ff
	s_delay_alu instid0(VALU_DEP_2) | instskip(SKIP_3) | instid1(VALU_DEP_3)
	v_cndmask_b32_e64 v130, v177, v130, s3
	v_bfe_u32 v177, v132, 16, 1
	v_cmp_u_f32_e64 s3, v132, v132
	v_fmac_f32_e32 v106, v36, v4
	v_add3_u32 v177, v177, v132, 0x7fff
	v_or_b32_e32 v132, 0x400000, v132
	s_wait_alu 0xf1ff
	s_delay_alu instid0(VALU_DEP_1) | instskip(SKIP_4) | instid1(VALU_DEP_4)
	v_cndmask_b32_e64 v132, v177, v132, s3
	v_bfe_u32 v177, v135, 16, 1
	v_cmp_u_f32_e64 s3, v135, v135
	v_fmac_f32_e32 v104, v38, v113
	v_and_b32_e32 v113, 0xffff0000, v125
	v_add3_u32 v177, v177, v135, 0x7fff
	v_or_b32_e32 v135, 0x400000, v135
	s_delay_alu instid0(VALU_DEP_3) | instskip(SKIP_2) | instid1(VALU_DEP_3)
	v_fmac_f32_e32 v107, v42, v113
	v_and_b32_e32 v113, 0xffff0000, v132
	s_wait_alu 0xf1ff
	v_cndmask_b32_e64 v135, v177, v135, s3
	v_bfe_u32 v177, v136, 16, 1
	v_cmp_u_f32_e64 s3, v136, v136
	s_delay_alu instid0(VALU_DEP_3) | instskip(NEXT) | instid1(VALU_DEP_3)
	v_and_b32_e32 v114, 0xffff0000, v135
	v_add3_u32 v177, v177, v136, 0x7fff
	v_or_b32_e32 v136, 0x400000, v136
	s_delay_alu instid0(VALU_DEP_3) | instskip(SKIP_1) | instid1(VALU_DEP_2)
	v_dual_fmac_f32 v9, v47, v114 :: v_dual_and_b32 v4, 0xffff0000, v129
	s_wait_alu 0xf1ff
	v_cndmask_b32_e64 v136, v177, v136, s3
	v_bfe_u32 v177, v137, 16, 1
	v_cmp_u_f32_e64 s3, v137, v137
	v_fmac_f32_e32 v103, v37, v4
	s_delay_alu instid0(VALU_DEP_3) | instskip(SKIP_2) | instid1(VALU_DEP_1)
	v_add3_u32 v177, v177, v137, 0x7fff
	v_or_b32_e32 v137, 0x400000, v137
	s_wait_alu 0xf1ff
	v_cndmask_b32_e64 v137, v177, v137, s3
	v_bfe_u32 v177, v138, 16, 1
	v_cmp_u_f32_e64 s3, v138, v138
	s_delay_alu instid0(VALU_DEP_2) | instskip(SKIP_2) | instid1(VALU_DEP_1)
	v_add3_u32 v177, v177, v138, 0x7fff
	v_or_b32_e32 v138, 0x400000, v138
	s_wait_alu 0xf1ff
	v_cndmask_b32_e64 v138, v177, v138, s3
	v_bfe_u32 v177, v139, 16, 1
	v_cmp_u_f32_e64 s3, v139, v139
	s_delay_alu instid0(VALU_DEP_2) | instskip(SKIP_2) | instid1(VALU_DEP_1)
	v_add3_u32 v177, v177, v139, 0x7fff
	v_or_b32_e32 v139, 0x400000, v139
	s_wait_alu 0xf1ff
	v_cndmask_b32_e64 v139, v177, v139, s3
	v_bfe_u32 v177, v141, 16, 1
	v_cmp_u_f32_e64 s3, v141, v141
	s_delay_alu instid0(VALU_DEP_3) | instskip(NEXT) | instid1(VALU_DEP_3)
	v_dual_fmac_f32 v104, v46, v113 :: v_dual_and_b32 v113, 0xffff0000, v139
	v_add3_u32 v177, v177, v141, 0x7fff
	v_or_b32_e32 v141, 0x400000, v141
	v_and_b32_e32 v4, 0xffff0000, v111
	v_and_b32_e32 v111, 0xffff0000, v120
	v_fmac_f32_e32 v105, v51, v113
	s_wait_alu 0xf1ff
	v_cndmask_b32_e64 v141, v177, v141, s3
	v_bfe_u32 v177, v142, 16, 1
	v_cmp_u_f32_e64 s3, v142, v142
	v_fmac_f32_e32 v123, v41, v111
	v_dual_fmac_f32 v10, v40, v4 :: v_dual_and_b32 v111, 0xffff0000, v130
	s_delay_alu instid0(VALU_DEP_4) | instskip(SKIP_1) | instid1(VALU_DEP_3)
	v_add3_u32 v177, v177, v142, 0x7fff
	v_or_b32_e32 v142, 0x400000, v142
	v_fmac_f32_e32 v103, v45, v111
	v_and_b32_e32 v111, 0xffff0000, v137
	s_wait_alu 0xf1ff
	s_delay_alu instid0(VALU_DEP_3) | instskip(SKIP_3) | instid1(VALU_DEP_4)
	v_cndmask_b32_e64 v142, v177, v142, s3
	v_bfe_u32 v177, v143, 16, 1
	v_cmp_u_f32_e64 s3, v143, v143
	v_fmac_f32_e32 v123, v49, v111
	v_and_b32_e32 v111, 0xffff0000, v142
	s_delay_alu instid0(VALU_DEP_4) | instskip(SKIP_1) | instid1(VALU_DEP_3)
	v_add3_u32 v177, v177, v143, 0x7fff
	v_or_b32_e32 v143, 0x400000, v143
	v_dual_fmac_f32 v103, v53, v111 :: v_dual_and_b32 v4, 0xffff0000, v128
	s_wait_alu 0xf1ff
	s_delay_alu instid0(VALU_DEP_2) | instskip(SKIP_2) | instid1(VALU_DEP_2)
	v_cndmask_b32_e64 v143, v177, v143, s3
	v_bfe_u32 v177, v144, 16, 1
	v_cmp_u_f32_e64 s3, v144, v144
	v_add3_u32 v177, v177, v144, 0x7fff
	v_or_b32_e32 v144, 0x400000, v144
	s_wait_alu 0xf1ff
	s_delay_alu instid0(VALU_DEP_1) | instskip(SKIP_2) | instid1(VALU_DEP_2)
	v_cndmask_b32_e64 v144, v177, v144, s3
	v_bfe_u32 v177, v145, 16, 1
	v_cmp_u_f32_e64 s3, v145, v145
	v_add3_u32 v177, v177, v145, 0x7fff
	v_or_b32_e32 v145, 0x400000, v145
	s_wait_alu 0xf1ff
	s_delay_alu instid0(VALU_DEP_1) | instskip(SKIP_2) | instid1(VALU_DEP_3)
	v_cndmask_b32_e64 v145, v177, v145, s3
	v_bfe_u32 v177, v146, 16, 1
	v_cmp_u_f32_e64 s3, v146, v146
	v_dual_fmac_f32 v106, v44, v4 :: v_dual_and_b32 v113, 0xffff0000, v145
	s_delay_alu instid0(VALU_DEP_3) | instskip(SKIP_4) | instid1(VALU_DEP_3)
	v_add3_u32 v177, v177, v146, 0x7fff
	v_or_b32_e32 v146, 0x400000, v146
	v_and_b32_e32 v111, 0xffff0000, v144
	v_and_b32_e32 v4, 0xffff0000, v136
	s_wait_alu 0xf1ff
	v_cndmask_b32_e64 v146, v177, v146, s3
	v_bfe_u32 v177, v147, 16, 1
	v_cmp_u_f32_e64 s3, v147, v147
	v_dual_fmac_f32 v9, v55, v111 :: v_dual_and_b32 v114, 0xffff0000, v141
	s_delay_alu instid0(VALU_DEP_3) | instskip(SKIP_2) | instid1(VALU_DEP_1)
	v_add3_u32 v177, v177, v147, 0x7fff
	v_or_b32_e32 v147, 0x400000, v147
	s_wait_alu 0xf1ff
	v_cndmask_b32_e64 v147, v177, v147, s3
	v_bfe_u32 v177, v148, 16, 1
	v_cmp_u_f32_e64 s3, v148, v148
	s_delay_alu instid0(VALU_DEP_2) | instskip(SKIP_2) | instid1(VALU_DEP_1)
	v_add3_u32 v177, v177, v148, 0x7fff
	v_or_b32_e32 v148, 0x400000, v148
	s_wait_alu 0xf1ff
	v_cndmask_b32_e64 v148, v177, v148, s3
	v_bfe_u32 v177, v149, 16, 1
	v_cmp_u_f32_e64 s3, v149, v149
	v_fmac_f32_e32 v106, v52, v114
	v_and_b32_e32 v114, 0xffff0000, v146
	v_fmac_f32_e32 v10, v48, v4
	v_add3_u32 v177, v177, v149, 0x7fff
	v_or_b32_e32 v149, 0x400000, v149
	v_and_b32_e32 v111, 0xffff0000, v148
	v_and_b32_e32 v4, 0xffff0000, v138
	v_dual_fmac_f32 v123, v57, v114 :: v_dual_fmac_f32 v10, v56, v113
	s_wait_alu 0xf1ff
	v_cndmask_b32_e64 v149, v177, v149, s3
	v_bfe_u32 v177, v150, 16, 1
	v_cmp_u_f32_e64 s3, v150, v150
	v_fmac_f32_e32 v105, v59, v111
	v_fmac_f32_e32 v107, v50, v4
	s_delay_alu instid0(VALU_DEP_4) | instskip(SKIP_2) | instid1(VALU_DEP_1)
	v_add3_u32 v177, v177, v150, 0x7fff
	v_or_b32_e32 v150, 0x400000, v150
	s_wait_alu 0xf1ff
	v_cndmask_b32_e64 v150, v177, v150, s3
	v_bfe_u32 v177, v151, 16, 1
	v_cmp_u_f32_e64 s3, v151, v151
	s_delay_alu instid0(VALU_DEP_3) | instskip(NEXT) | instid1(VALU_DEP_3)
	v_and_b32_e32 v113, 0xffff0000, v150
	v_add3_u32 v177, v177, v151, 0x7fff
	v_or_b32_e32 v151, 0x400000, v151
	s_delay_alu instid0(VALU_DEP_3) | instskip(SKIP_1) | instid1(VALU_DEP_2)
	v_dual_fmac_f32 v103, v61, v113 :: v_dual_and_b32 v4, 0xffff0000, v143
	s_wait_alu 0xf1ff
	v_cndmask_b32_e64 v151, v177, v151, s3
	v_bfe_u32 v177, v152, 16, 1
	v_cmp_u_f32_e64 s3, v152, v152
	v_fmac_f32_e32 v104, v54, v4
	s_delay_alu instid0(VALU_DEP_3) | instskip(SKIP_2) | instid1(VALU_DEP_1)
	v_add3_u32 v177, v177, v152, 0x7fff
	v_or_b32_e32 v152, 0x400000, v152
	s_wait_alu 0xf1ff
	v_cndmask_b32_e64 v152, v177, v152, s3
	v_bfe_u32 v177, v153, 16, 1
	v_cmp_u_f32_e64 s3, v153, v153
	s_delay_alu instid0(VALU_DEP_3) | instskip(NEXT) | instid1(VALU_DEP_3)
	v_and_b32_e32 v111, 0xffff0000, v152
	v_add3_u32 v177, v177, v153, 0x7fff
	v_or_b32_e32 v153, 0x400000, v153
	s_delay_alu instid0(VALU_DEP_3) | instskip(SKIP_1) | instid1(VALU_DEP_2)
	v_fmac_f32_e32 v9, v63, v111
	s_wait_alu 0xf1ff
	v_cndmask_b32_e64 v153, v177, v153, s3
	v_bfe_u32 v177, v154, 16, 1
	v_cmp_u_f32_e64 s3, v154, v154
	s_delay_alu instid0(VALU_DEP_2) | instskip(SKIP_2) | instid1(VALU_DEP_1)
	v_add3_u32 v177, v177, v154, 0x7fff
	v_or_b32_e32 v154, 0x400000, v154
	s_wait_alu 0xf1ff
	v_cndmask_b32_e64 v154, v177, v154, s3
	v_bfe_u32 v177, v155, 16, 1
	v_cmp_u_f32_e64 s3, v155, v155
	s_delay_alu instid0(VALU_DEP_3) | instskip(NEXT) | instid1(VALU_DEP_3)
	v_and_b32_e32 v111, 0xffff0000, v154
	v_add3_u32 v177, v177, v155, 0x7fff
	v_or_b32_e32 v155, 0x400000, v155
	s_delay_alu instid0(VALU_DEP_3) | instskip(SKIP_1) | instid1(VALU_DEP_2)
	v_fmac_f32_e32 v123, v65, v111
	s_wait_alu 0xf1ff
	v_cndmask_b32_e64 v155, v177, v155, s3
	v_bfe_u32 v177, v156, 16, 1
	v_cmp_u_f32_e64 s3, v156, v156
	s_delay_alu instid0(VALU_DEP_3) | instskip(NEXT) | instid1(VALU_DEP_3)
	v_and_b32_e32 v113, 0xffff0000, v155
	v_add3_u32 v177, v177, v156, 0x7fff
	v_or_b32_e32 v156, 0x400000, v156
	v_and_b32_e32 v4, 0xffff0000, v147
	s_wait_alu 0xf1ff
	s_delay_alu instid0(VALU_DEP_2) | instskip(SKIP_3) | instid1(VALU_DEP_3)
	v_cndmask_b32_e64 v156, v177, v156, s3
	v_bfe_u32 v177, v157, 16, 1
	v_cmp_u_f32_e64 s3, v157, v157
	v_fmac_f32_e32 v107, v58, v4
	v_add3_u32 v177, v177, v157, 0x7fff
	v_or_b32_e32 v157, 0x400000, v157
	s_delay_alu instid0(VALU_DEP_3) | instskip(SKIP_1) | instid1(VALU_DEP_2)
	v_fmac_f32_e32 v107, v66, v113
	s_wait_alu 0xf1ff
	v_cndmask_b32_e64 v157, v177, v157, s3
	v_bfe_u32 v177, v176, 16, 1
	v_cmp_u_f32_e64 s3, v176, v176
	s_delay_alu instid0(VALU_DEP_2) | instskip(SKIP_2) | instid1(VALU_DEP_1)
	v_add3_u32 v177, v177, v176, 0x7fff
	v_or_b32_e32 v176, 0x400000, v176
	s_wait_alu 0xf1ff
	v_cndmask_b32_e64 v176, v177, v176, s3
	v_bfe_u32 v177, v174, 16, 1
	v_cmp_u_f32_e64 s3, v174, v174
	s_delay_alu instid0(VALU_DEP_2) | instskip(SKIP_2) | instid1(VALU_DEP_1)
	v_add3_u32 v177, v177, v174, 0x7fff
	v_or_b32_e32 v174, 0x400000, v174
	s_wait_alu 0xf1ff
	v_cndmask_b32_e64 v174, v177, v174, s3
	v_bfe_u32 v177, v172, 16, 1
	v_cmp_u_f32_e64 s3, v172, v172
	s_delay_alu instid0(VALU_DEP_2) | instskip(SKIP_2) | instid1(VALU_DEP_1)
	v_add3_u32 v177, v177, v172, 0x7fff
	v_or_b32_e32 v172, 0x400000, v172
	s_wait_alu 0xf1ff
	v_cndmask_b32_e64 v172, v177, v172, s3
	v_bfe_u32 v177, v170, 16, 1
	v_cmp_u_f32_e64 s3, v170, v170
	s_delay_alu instid0(VALU_DEP_3) | instskip(NEXT) | instid1(VALU_DEP_3)
	v_and_b32_e32 v113, 0xffff0000, v172
	v_add3_u32 v177, v177, v170, 0x7fff
	v_or_b32_e32 v170, 0x400000, v170
	s_delay_alu instid0(VALU_DEP_3) | instskip(SKIP_1) | instid1(VALU_DEP_2)
	v_dual_fmac_f32 v9, v71, v113 :: v_dual_and_b32 v114, 0xffff0000, v151
	s_wait_alu 0xf1ff
	v_cndmask_b32_e64 v170, v177, v170, s3
	v_bfe_u32 v177, v168, 16, 1
	v_cmp_u_f32_e64 s3, v168, v168
	v_fmac_f32_e32 v104, v62, v114
	v_and_b32_e32 v114, 0xffff0000, v156
	v_and_b32_e32 v4, 0xffff0000, v149
	v_add3_u32 v177, v177, v168, 0x7fff
	v_or_b32_e32 v168, 0x400000, v168
	s_delay_alu instid0(VALU_DEP_4)
	v_fmac_f32_e32 v105, v67, v114
	v_and_b32_e32 v114, 0xffff0000, v170
	v_and_b32_e32 v111, 0xffff0000, v176
	s_wait_alu 0xf1ff
	v_cndmask_b32_e64 v168, v177, v168, s3
	v_bfe_u32 v177, v166, 16, 1
	v_cmp_u_f32_e64 s3, v166, v166
	v_fmac_f32_e32 v106, v60, v4
	v_dual_fmac_f32 v103, v69, v111 :: v_dual_and_b32 v4, 0xffff0000, v153
	s_delay_alu instid0(VALU_DEP_4) | instskip(SKIP_1) | instid1(VALU_DEP_3)
	v_add3_u32 v177, v177, v166, 0x7fff
	v_or_b32_e32 v166, 0x400000, v166
	v_fmac_f32_e32 v10, v64, v4
	s_wait_alu 0xf1ff
	s_delay_alu instid0(VALU_DEP_2) | instskip(SKIP_2) | instid1(VALU_DEP_2)
	v_cndmask_b32_e64 v166, v177, v166, s3
	v_bfe_u32 v177, v164, 16, 1
	v_cmp_u_f32_e64 s3, v164, v164
	v_add3_u32 v177, v177, v164, 0x7fff
	v_or_b32_e32 v164, 0x400000, v164
	s_wait_alu 0xf1ff
	s_delay_alu instid0(VALU_DEP_1) | instskip(SKIP_2) | instid1(VALU_DEP_2)
	v_cndmask_b32_e64 v164, v177, v164, s3
	v_bfe_u32 v177, v162, 16, 1
	v_cmp_u_f32_e64 s3, v162, v162
	v_add3_u32 v177, v177, v162, 0x7fff
	v_or_b32_e32 v162, 0x400000, v162
	s_wait_alu 0xf1ff
	s_delay_alu instid0(VALU_DEP_1) | instskip(SKIP_2) | instid1(VALU_DEP_3)
	v_cndmask_b32_e64 v162, v177, v162, s3
	v_bfe_u32 v177, v161, 16, 1
	v_cmp_u_f32_e64 s3, v161, v161
	v_and_b32_e32 v113, 0xffff0000, v162
	s_delay_alu instid0(VALU_DEP_3) | instskip(SKIP_3) | instid1(VALU_DEP_2)
	v_add3_u32 v177, v177, v161, 0x7fff
	v_or_b32_e32 v161, 0x400000, v161
	v_and_b32_e32 v111, 0xffff0000, v168
	s_wait_alu 0xf1ff
	v_cndmask_b32_e64 v161, v177, v161, s3
	v_bfe_u32 v177, v160, 16, 1
	v_cmp_u_f32_e64 s3, v160, v160
	v_fmac_f32_e32 v123, v73, v111
	s_delay_alu instid0(VALU_DEP_3) | instskip(SKIP_2) | instid1(VALU_DEP_1)
	v_add3_u32 v177, v177, v160, 0x7fff
	v_or_b32_e32 v160, 0x400000, v160
	s_wait_alu 0xf1ff
	v_cndmask_b32_e64 v160, v177, v160, s3
	v_bfe_u32 v177, v159, 16, 1
	v_cmp_u_f32_e64 s3, v159, v159
	s_delay_alu instid0(VALU_DEP_2) | instskip(SKIP_2) | instid1(VALU_DEP_1)
	v_add3_u32 v177, v177, v159, 0x7fff
	v_or_b32_e32 v159, 0x400000, v159
	s_wait_alu 0xf1ff
	v_cndmask_b32_e64 v159, v177, v159, s3
	v_bfe_u32 v177, v158, 16, 1
	v_cmp_u_f32_e64 s3, v158, v158
	s_delay_alu instid0(VALU_DEP_2) | instskip(SKIP_2) | instid1(VALU_DEP_1)
	;; [unrolled: 7-line block ×16, first 2 shown]
	v_add3_u32 v177, v177, v3, 0x7fff
	v_or_b32_e32 v3, 0x400000, v3
	s_wait_alu 0xf1ff
	v_cndmask_b32_e64 v3, v177, v3, s3
	v_bfe_u32 v177, v2, 16, 1
	v_cmp_u_f32_e64 s3, v2, v2
	s_delay_alu instid0(VALU_DEP_3)
	v_and_b32_e32 v3, 0xffff0000, v3
	v_and_b32_e32 v109, 0xffff0000, v109
	;; [unrolled: 1-line block ×4, first 2 shown]
	v_add3_u32 v177, v177, v2, 0x7fff
	v_or_b32_e32 v2, 0x400000, v2
	s_delay_alu instid0(VALU_DEP_3)
	v_dual_fmac_f32 v105, v75, v111 :: v_dual_fmac_f32 v106, v68, v4
	v_and_b32_e32 v111, 0xffff0000, v159
	v_and_b32_e32 v4, 0xffff0000, v174
	s_wait_alu 0xf1ff
	v_cndmask_b32_e64 v2, v177, v2, s3
	v_bfe_u32 v177, v1, 16, 1
	v_dual_fmac_f32 v106, v76, v113 :: v_dual_and_b32 v113, 0xffff0000, v175
	v_dual_fmac_f32 v9, v80, v111 :: v_dual_fmac_f32 v104, v70, v4
	v_and_b32_e32 v4, 0xffff0000, v166
	v_and_b32_e32 v111, 0xffff0000, v173
	s_delay_alu instid0(VALU_DEP_4) | instskip(SKIP_1) | instid1(VALU_DEP_4)
	v_dual_fmac_f32 v123, v82, v113 :: v_dual_and_b32 v2, 0xffff0000, v2
	v_and_b32_e32 v108, 0xffff0000, v108
	v_dual_fmac_f32 v107, v74, v4 :: v_dual_fmac_f32 v10, v72, v114
	v_and_b32_e32 v114, 0xffff0000, v161
	v_cmp_u_f32_e64 s3, v1, v1
	v_add3_u32 v177, v177, v1, 0x7fff
	s_delay_alu instid0(VALU_DEP_4) | instskip(SKIP_3) | instid1(VALU_DEP_2)
	v_fmac_f32_e32 v107, v83, v111
	v_and_b32_e32 v111, 0xffff0000, v112
	v_dual_fmac_f32 v103, v77, v114 :: v_dual_and_b32 v112, 0xffff0000, v169
	v_or_b32_e32 v1, 0x400000, v1
	v_dual_fmac_f32 v107, v91, v111 :: v_dual_fmac_f32 v106, v85, v112
	s_wait_alu 0xf1ff
	s_delay_alu instid0(VALU_DEP_2) | instskip(NEXT) | instid1(VALU_DEP_2)
	v_cndmask_b32_e64 v1, v177, v1, s3
	v_fmac_f32_e32 v106, v93, v109
	v_and_b32_e32 v113, 0xffff0000, v133
	s_delay_alu instid0(VALU_DEP_1) | instskip(NEXT) | instid1(VALU_DEP_1)
	v_dual_fmac_f32 v123, v90, v113 :: v_dual_and_b32 v4, 0xffff0000, v160
	v_fmac_f32_e32 v104, v78, v4
	v_and_b32_e32 v4, 0xffff0000, v158
	s_delay_alu instid0(VALU_DEP_1) | instskip(SKIP_1) | instid1(VALU_DEP_1)
	v_fmac_f32_e32 v10, v81, v4
	v_and_b32_e32 v4, 0xffff0000, v171
	v_dual_fmac_f32 v105, v84, v4 :: v_dual_add_nc_u32 v114, v99, v98
	v_and_b32_e32 v4, 0xffff0000, v110
	v_and_b32_e32 v110, 0xffff0000, v167
	s_delay_alu instid0(VALU_DEP_1) | instskip(NEXT) | instid1(VALU_DEP_1)
	v_fmac_f32_e32 v103, v86, v110
	v_fmac_f32_e32 v103, v94, v108
	s_delay_alu instid0(VALU_DEP_4) | instskip(NEXT) | instid1(VALU_DEP_1)
	v_dual_fmac_f32 v105, v92, v4 :: v_dual_add_f32 v4, v123, v107
	v_add_f32_e32 v4, v4, v105
	s_delay_alu instid0(VALU_DEP_1) | instskip(SKIP_1) | instid1(VALU_DEP_1)
	v_add_f32_e32 v4, v106, v4
	v_and_b32_e32 v106, 0xffff0000, v140
	v_dual_fmac_f32 v10, v89, v106 :: v_dual_and_b32 v107, 0xffff0000, v165
	s_delay_alu instid0(VALU_DEP_1) | instskip(NEXT) | instid1(VALU_DEP_1)
	v_fmac_f32_e32 v104, v87, v107
	v_fmac_f32_e32 v104, v95, v3
	v_add_f32_e32 v3, v103, v4
	v_and_b32_e32 v1, 0xffff0000, v1
	v_and_b32_e32 v105, 0xffff0000, v163
	v_cvt_f32_i32_e32 v4, v114
	s_delay_alu instid0(VALU_DEP_3) | instskip(NEXT) | instid1(VALU_DEP_3)
	v_fmac_f32_e32 v10, v97, v1
	v_fmac_f32_e32 v9, v88, v105
	s_delay_alu instid0(VALU_DEP_1) | instskip(NEXT) | instid1(VALU_DEP_4)
	v_fmac_f32_e32 v9, v96, v2
	v_dual_add_f32 v2, v104, v3 :: v_dual_mul_f32 v3, s30, v4
	s_delay_alu instid0(VALU_DEP_1) | instskip(SKIP_1) | instid1(VALU_DEP_2)
	v_dual_add_f32 v1, v9, v2 :: v_dual_cndmask_b32 v2, 0, v3
	v_max_num_f32_e32 v3, v79, v79
	v_add_f32_e32 v1, v10, v1
	s_delay_alu instid0(VALU_DEP_1) | instskip(NEXT) | instid1(VALU_DEP_1)
	v_dual_fmac_f32 v2, s13, v1 :: v_dual_add_nc_u32 v1, v16, v98
	v_cmp_gt_i32_e64 s3, s34, v1
	s_delay_alu instid0(VALU_DEP_2) | instskip(SKIP_1) | instid1(VALU_DEP_2)
	v_max_num_f32_e32 v1, v3, v2
	s_wait_alu 0xf1ff
	v_cndmask_b32_e64 v2, 0, v2, s3
	s_delay_alu instid0(VALU_DEP_2)
	v_cndmask_b32_e64 v79, v79, v1, s3
	ds_store_b32 v100, v2
	s_branch .LBB351_11
.LBB351_16:
	s_or_b32 exec_lo, exec_lo, s29
.LBB351_17:
	s_delay_alu instid0(SALU_CYCLE_1)
	s_or_b32 exec_lo, exec_lo, s12
	v_mbcnt_lo_u32_b32 v1, -1, 0
	s_clause 0x2
	s_load_b128 s[12:15], s[0:1], 0x0
	s_load_b64 s[8:9], s[0:1], 0x10
	s_load_b64 s[30:31], s[0:1], 0x28
	v_max_num_f32_e32 v5, v79, v79
	v_xor_b32_e32 v2, 16, v1
	v_xor_b32_e32 v4, 8, v1
	s_delay_alu instid0(VALU_DEP_2) | instskip(SKIP_2) | instid1(VALU_DEP_3)
	v_cmp_gt_i32_e32 vcc_lo, 32, v2
	s_wait_alu 0xfffd
	v_cndmask_b32_e32 v2, v1, v2, vcc_lo
	v_cmp_gt_i32_e32 vcc_lo, 32, v4
	s_delay_alu instid0(VALU_DEP_2)
	v_lshlrev_b32_e32 v2, 2, v2
	s_wait_alu 0xfffd
	v_cndmask_b32_e32 v4, v1, v4, vcc_lo
	ds_bpermute_b32 v3, v2, v79
	s_wait_dscnt 0x0
	v_dual_max_num_f32 v6, v3, v3 :: v_dual_lshlrev_b32 v3, 2, v4
	s_delay_alu instid0(VALU_DEP_1)
	v_max_num_f32_e32 v4, v5, v6
	v_xor_b32_e32 v6, 4, v1
	ds_bpermute_b32 v5, v3, v4
	v_cmp_gt_i32_e32 vcc_lo, 32, v6
	s_wait_alu 0xfffd
	v_cndmask_b32_e32 v6, v1, v6, vcc_lo
	s_wait_dscnt 0x0
	v_max_num_f32_e32 v7, v5, v5
	s_delay_alu instid0(VALU_DEP_1)
	v_dual_max_num_f32 v4, v4, v7 :: v_dual_lshlrev_b32 v5, 2, v6
	v_xor_b32_e32 v7, 2, v1
	ds_bpermute_b32 v6, v5, v4
	v_cmp_gt_i32_e32 vcc_lo, 32, v7
	s_wait_dscnt 0x0
	s_wait_alu 0xfffd
	v_dual_cndmask_b32 v7, v1, v7 :: v_dual_max_num_f32 v6, v6, v6
	s_delay_alu instid0(VALU_DEP_1) | instskip(NEXT) | instid1(VALU_DEP_2)
	v_max_num_f32_e32 v4, v4, v6
	v_lshlrev_b32_e32 v20, 2, v7
	v_xor_b32_e32 v7, 1, v1
	s_delay_alu instid0(VALU_DEP_1)
	v_cmp_gt_i32_e32 vcc_lo, 32, v7
	s_wait_alu 0xfffd
	v_cndmask_b32_e32 v7, v1, v7, vcc_lo
	ds_bpermute_b32 v6, v20, v4
	v_cmp_eq_u32_e32 vcc_lo, 0, v16
	s_wait_dscnt 0x0
	v_dual_max_num_f32 v6, v6, v6 :: v_dual_lshlrev_b32 v19, 2, v7
	s_delay_alu instid0(VALU_DEP_1)
	v_dual_max_num_f32 v1, v4, v6 :: v_dual_lshlrev_b32 v6, 2, v15
	ds_bpermute_b32 v4, v19, v1
	s_and_saveexec_b32 s0, vcc_lo
	s_cbranch_execz .LBB351_19
; %bb.18:
	s_wait_dscnt 0x0
	v_dual_max_num_f32 v4, v4, v4 :: v_dual_max_num_f32 v1, v1, v1
	s_delay_alu instid0(VALU_DEP_1)
	v_max_num_f32_e32 v1, v1, v4
	ds_store_b32 v6, v1 offset:160
.LBB351_19:
	s_or_b32 exec_lo, exec_lo, s0
	v_cmp_gt_u32_e64 s0, 4, v16
	v_mov_b32_e32 v1, 0xff7fffff
	s_wait_loadcnt_dscnt 0x0
	s_barrier_signal -1
	s_barrier_wait -1
	global_inv scope:SCOPE_SE
	s_and_saveexec_b32 s1, s0
; %bb.20:
	ds_load_b32 v1, v12 offset:160
; %bb.21:
	s_or_b32 exec_lo, exec_lo, s1
	s_wait_dscnt 0x0
	ds_bpermute_b32 v4, v20, v1
	v_max_num_f32_e32 v1, v1, v1
	s_sub_co_i32 s1, s35, s40
	v_mov_b32_e32 v7, 0
	s_lshl_b32 s1, s1, 5
	s_delay_alu instid0(SALU_CYCLE_1) | instskip(NEXT) | instid1(SALU_CYCLE_1)
	s_add_co_i32 s1, s1, s37
	s_min_i32 s1, s1, s34
	s_delay_alu instid0(SALU_CYCLE_1) | instskip(SKIP_4) | instid1(VALU_DEP_1)
	s_sub_co_i32 s4, s1, s37
	s_wait_alu 0xfffe
	v_cmp_gt_i32_e64 s1, s4, v0
	s_wait_dscnt 0x0
	v_max_num_f32_e32 v4, v4, v4
	v_max_num_f32_e32 v1, v1, v4
	ds_bpermute_b32 v4, v19, v1
	s_wait_dscnt 0x0
	v_max_num_f32_e32 v4, v4, v4
	s_delay_alu instid0(VALU_DEP_1)
	v_max_num_f32_e32 v1, v1, v4
	v_lshl_add_u32 v4, v0, 2, 0xc0
	ds_bpermute_b32 v1, v7, v1
	s_and_saveexec_b32 s18, s1
	s_cbranch_execz .LBB351_25
; %bb.22:
	v_lshl_add_u32 v8, v0, 2, 0xc0
	v_mov_b32_e32 v7, 0
	v_mov_b32_e32 v9, v0
	s_mov_b32 s29, 0
.LBB351_23:                             ; =>This Inner Loop Header: Depth=1
	ds_load_b32 v10, v8
	v_add_nc_u32_e32 v9, 0x80, v9
	s_delay_alu instid0(VALU_DEP_1) | instskip(SKIP_4) | instid1(VALU_DEP_1)
	v_cmp_le_i32_e64 s3, s4, v9
	s_wait_alu 0xfffe
	s_or_b32 s29, s3, s29
	s_wait_dscnt 0x0
	v_sub_f32_e32 v10, v10, v1
	v_mul_f32_e32 v10, 0x3fb8aa3b, v10
	s_delay_alu instid0(VALU_DEP_1)
	v_exp_f32_e32 v10, v10
	ds_store_b32 v8, v10
	v_dual_add_f32 v7, v7, v10 :: v_dual_add_nc_u32 v8, 0x200, v8
	s_wait_alu 0xfffe
	s_and_not1_b32 exec_lo, exec_lo, s29
	s_cbranch_execnz .LBB351_23
; %bb.24:
	s_or_b32 exec_lo, exec_lo, s29
.LBB351_25:
	s_wait_alu 0xfffe
	s_or_b32 exec_lo, exec_lo, s18
	ds_bpermute_b32 v2, v2, v7
	s_wait_dscnt 0x0
	v_add_f32_e32 v2, v7, v2
	ds_bpermute_b32 v3, v3, v2
	s_wait_dscnt 0x0
	v_add_f32_e32 v2, v2, v3
	;; [unrolled: 3-line block ×5, first 2 shown]
	s_and_saveexec_b32 s3, vcc_lo
; %bb.26:
	ds_store_b32 v6, v2 offset:176
; %bb.27:
	s_wait_alu 0xfffe
	s_or_b32 exec_lo, exec_lo, s3
	s_wait_loadcnt_dscnt 0x0
	s_barrier_signal -1
	s_barrier_wait -1
	global_inv scope:SCOPE_SE
	s_and_saveexec_b32 s3, s0
; %bb.28:
	ds_load_b32 v2, v12 offset:176
; %bb.29:
	s_wait_alu 0xfffe
	s_or_b32 exec_lo, exec_lo, s3
	s_wait_dscnt 0x0
	ds_bpermute_b32 v3, v20, v2
	s_wait_dscnt 0x0
	v_add_f32_e32 v2, v2, v3
	ds_bpermute_b32 v3, v19, v2
	s_wait_dscnt 0x0
	v_dual_add_f32 v2, v2, v3 :: v_dual_mov_b32 v3, 0
	ds_bpermute_b32 v2, v3, v2
	s_and_saveexec_b32 s0, s1
	s_cbranch_execz .LBB351_32
; %bb.30:
	s_wait_dscnt 0x0
	v_add_f32_e32 v3, 0x358637bd, v2
	s_mov_b32 s1, 0
	s_delay_alu instid0(VALU_DEP_1) | instskip(SKIP_1) | instid1(VALU_DEP_2)
	v_div_scale_f32 v5, null, v3, v3, 1.0
	v_div_scale_f32 v8, vcc_lo, 1.0, v3, 1.0
	v_rcp_f32_e32 v6, v5
	s_delay_alu instid0(TRANS32_DEP_1) | instskip(NEXT) | instid1(VALU_DEP_1)
	v_fma_f32 v7, -v5, v6, 1.0
	v_fmac_f32_e32 v6, v7, v6
	s_delay_alu instid0(VALU_DEP_1) | instskip(NEXT) | instid1(VALU_DEP_1)
	v_mul_f32_e32 v7, v8, v6
	v_fma_f32 v9, -v5, v7, v8
	s_delay_alu instid0(VALU_DEP_1) | instskip(NEXT) | instid1(VALU_DEP_1)
	v_fmac_f32_e32 v7, v9, v6
	v_fma_f32 v5, -v5, v7, v8
	s_wait_alu 0xfffd
	s_delay_alu instid0(VALU_DEP_1) | instskip(NEXT) | instid1(VALU_DEP_1)
	v_div_fmas_f32 v5, v5, v6, v7
	v_div_fixup_f32 v3, v5, v3, 1.0
	v_mov_b32_e32 v5, v0
.LBB351_31:                             ; =>This Inner Loop Header: Depth=1
	ds_load_b32 v6, v4
	s_wait_dscnt 0x0
	v_dual_mul_f32 v6, v3, v6 :: v_dual_add_nc_u32 v5, 0x80, v5
	s_delay_alu instid0(VALU_DEP_1) | instskip(SKIP_3) | instid1(SALU_CYCLE_1)
	v_cmp_le_i32_e32 vcc_lo, s4, v5
	ds_store_b32 v4, v6
	v_add_nc_u32_e32 v4, 0x200, v4
	s_or_b32 s1, vcc_lo, s1
	s_and_not1_b32 exec_lo, exec_lo, s1
	s_cbranch_execnz .LBB351_31
.LBB351_32:
	s_or_b32 exec_lo, exec_lo, s0
	s_mul_i32 s0, s7, s19
	s_wait_loadcnt_dscnt 0x0
	s_mul_i32 s18, s0, s36
	s_mov_b32 s0, exec_lo
	s_barrier_signal -1
	s_barrier_wait -1
	global_inv scope:SCOPE_SE
	v_cmpx_eq_u32_e32 0, v0
	s_cbranch_execz .LBB351_34
; %bb.33:
	s_wait_alu 0xfffe
	s_ashr_i32 s19, s18, 31
	s_mul_i32 s36, s7, ttmp9
	s_lshl_b32 s1, s33, 2
	s_wait_alu 0xfffe
	s_lshl_b64 s[40:41], s[18:19], 2
	s_ashr_i32 s37, s36, 31
	v_mov_b32_e32 v3, s1
	s_wait_kmcnt 0x0
	s_wait_alu 0xfffe
	s_add_nc_u64 s[14:15], s[14:15], s[40:41]
	s_lshl_b64 s[36:37], s[36:37], 2
	s_add_nc_u64 s[12:13], s[12:13], s[40:41]
	s_wait_alu 0xfffe
	s_add_nc_u64 s[14:15], s[14:15], s[36:37]
	s_add_nc_u64 s[12:13], s[12:13], s[36:37]
	s_clause 0x1
	global_store_b32 v3, v1, s[14:15]
	global_store_b32 v3, v2, s[12:13]
.LBB351_34:
	s_or_b32 exec_lo, exec_lo, s0
	v_dual_mov_b32 v30, 0 :: v_dual_and_b32 v21, 3, v0
	v_dual_mov_b32 v31, 0 :: v_dual_mov_b32 v28, 0
	v_dual_mov_b32 v29, 0 :: v_dual_mov_b32 v26, 0
	;; [unrolled: 1-line block ×4, first 2 shown]
	v_mov_b32_e32 v23, 0
	s_and_saveexec_b32 s1, s2
	s_cbranch_execz .LBB351_60
; %bb.35:
	s_abs_i32 s2, s6
	s_sub_co_i32 s3, s39, s5
	s_wait_alu 0xfffe
	s_cvt_f32_u32 s0, s2
	v_dual_mov_b32 v22, 0 :: v_dual_lshlrev_b32 v1, 3, v0
	s_wait_kmcnt 0x0
	s_lshl_b64 s[12:13], s[26:27], 2
	s_wait_alu 0xfffe
	v_rcp_iflag_f32_e32 v2, s0
	v_dual_mov_b32 v24, 0 :: v_dual_lshlrev_b32 v3, 5, v21
	s_add_nc_u64 s[12:13], s[24:25], s[12:13]
	s_ashr_i32 s29, s28, 31
	s_wait_alu 0xfffe
	v_add_co_u32 v9, s6, s12, v11
	s_delay_alu instid0(VALU_DEP_1) | instskip(SKIP_1) | instid1(TRANS32_DEP_1)
	v_add_co_ci_u32_e64 v10, null, s13, 0, s6
	v_dual_mov_b32 v25, 0 :: v_dual_and_b32 v32, 24, v1
	v_readfirstlane_b32 s5, v2
	v_dual_mov_b32 v23, 0 :: v_dual_and_b32 v2, 0xf8, v1
	v_lshl_or_b32 v1, v15, 7, v3
	s_add_nc_u64 s[14:15], s[30:31], s[28:29]
	s_mul_f32 s5, s5, 0x4f7ffffe
	s_sub_co_i32 s0, 0, s2
	s_delay_alu instid0(VALU_DEP_1)
	v_dual_mov_b32 v26, 0 :: v_dual_add_nc_u32 v33, 0xc0, v1
	s_wait_alu 0xfffe
	s_cvt_u32_f32 s6, s5
	v_add_co_u32 v11, s5, s14, v2
	s_wait_alu 0xf1ff
	v_add_co_ci_u32_e64 v12, null, s15, 0, s5
	s_wait_alu 0xfffe
	s_mul_i32 s0, s0, s6
	v_dual_mov_b32 v27, 0 :: v_dual_mov_b32 v28, 0
	v_dual_mov_b32 v29, 0 :: v_dual_mov_b32 v30, 0
	v_mov_b32_e32 v31, 0
	s_wait_alu 0xfffe
	s_mul_hi_u32 s0, s6, s0
	s_mov_b32 s4, s17
	s_add_co_i32 s38, s38, -1
	s_mov_b32 s5, 0
	s_wait_alu 0xfffe
	s_add_co_i32 s6, s6, s0
	s_branch .LBB351_38
.LBB351_36:                             ;   in Loop: Header=BB351_38 Depth=1
	s_wait_alu 0xfffe
	s_or_b32 exec_lo, exec_lo, s0
	s_wait_dscnt 0x1
	v_bfe_u32 v64, v5, 16, 1
	v_or_b32_e32 v67, 0x400000, v5
	v_bfe_u32 v68, v6, 16, 1
	v_cmp_u_f32_e32 vcc_lo, v5, v5
	v_bfe_u32 v69, v7, 16, 1
	v_add3_u32 v64, v64, v5, 0x7fff
	v_or_b32_e32 v70, 0x400000, v6
	v_add3_u32 v68, v68, v6, 0x7fff
	v_or_b32_e32 v71, 0x400000, v7
	v_add3_u32 v69, v69, v7, 0x7fff
	s_wait_alu 0xfffd
	v_cndmask_b32_e32 v5, v64, v67, vcc_lo
	v_cmp_u_f32_e32 vcc_lo, v6, v6
	v_bfe_u32 v64, v8, 16, 1
	s_wait_dscnt 0x0
	v_bfe_u32 v67, v1, 16, 1
	v_lshlrev_b32_e32 v99, 16, v99
	s_wait_alu 0xfffd
	v_dual_cndmask_b32 v6, v68, v70 :: v_dual_lshlrev_b32 v83, 16, v83
	v_cmp_u_f32_e32 vcc_lo, v7, v7
	v_add3_u32 v64, v64, v8, 0x7fff
	v_or_b32_e32 v68, 0x400000, v8
	v_add3_u32 v67, v67, v1, 0x7fff
	v_bfe_u32 v70, v2, 16, 1
	s_wait_alu 0xfffd
	v_cndmask_b32_e32 v7, v69, v71, vcc_lo
	v_cmp_u_f32_e32 vcc_lo, v8, v8
	v_or_b32_e32 v69, 0x400000, v1
	v_lshlrev_b32_e32 v74, 16, v74
	v_lshlrev_b32_e32 v65, 16, v65
	;; [unrolled: 1-line block ×3, first 2 shown]
	s_wait_alu 0xfffd
	v_cndmask_b32_e32 v8, v64, v68, vcc_lo
	v_cmp_u_f32_e32 vcc_lo, v1, v1
	v_or_b32_e32 v68, 0x400000, v2
	v_and_b32_e32 v1, 0xffff0000, v6
	v_lshlrev_b32_e32 v54, 16, v54
	v_lshlrev_b32_e32 v60, 16, v60
	s_wait_alu 0xfffd
	v_cndmask_b32_e32 v64, v67, v69, vcc_lo
	v_add3_u32 v67, v70, v2, 0x7fff
	v_bfe_u32 v69, v3, 16, 1
	v_cmp_u_f32_e32 vcc_lo, v2, v2
	v_lshlrev_b32_e32 v6, 16, v119
	v_lshlrev_b32_e32 v46, 16, v46
	;; [unrolled: 1-line block ×3, first 2 shown]
	v_add3_u32 v2, v69, v3, 0x7fff
	s_wait_alu 0xfffd
	v_cndmask_b32_e32 v67, v67, v68, vcc_lo
	v_or_b32_e32 v68, 0x400000, v3
	v_bfe_u32 v69, v4, 16, 1
	v_mul_f32_e32 v70, v1, v6
	v_and_b32_e32 v6, 0xffff0000, v5
	v_cmp_u_f32_e32 vcc_lo, v3, v3
	v_lshlrev_b32_e32 v5, 16, v118
	v_add3_u32 v3, v69, v4, 0x7fff
	v_or_b32_e32 v69, 0x400000, v4
	s_wait_alu 0xfffd
	v_dual_cndmask_b32 v68, v2, v68 :: v_dual_and_b32 v7, 0xffff0000, v7
	v_mul_f32_e32 v5, v6, v5
	v_bfe_u32 v71, v70, 16, 1
	v_cmp_u_f32_e32 vcc_lo, v4, v4
	s_delay_alu instid0(VALU_DEP_4)
	v_dual_mul_f32 v62, v7, v62 :: v_dual_lshlrev_b32 v57, 16, v57
	v_dual_mul_f32 v54, v7, v54 :: v_dual_lshlrev_b32 v49, 16, v49
	s_wait_alu 0xfffd
	v_cndmask_b32_e32 v4, v3, v69, vcc_lo
	v_add3_u32 v3, v71, v70, 0x7fff
	v_or_b32_e32 v69, 0x400000, v70
	v_cmp_u_f32_e32 vcc_lo, v70, v70
	v_and_b32_e32 v2, 0xffff0000, v8
	v_lshlrev_b32_e32 v8, 16, v117
	v_bfe_u32 v71, v5, 16, 1
	s_wait_alu 0xfffd
	v_dual_cndmask_b32 v69, v3, v69 :: v_dual_and_b32 v4, 0xffff0000, v4
	s_delay_alu instid0(VALU_DEP_3) | instskip(NEXT) | instid1(VALU_DEP_3)
	v_dual_mul_f32 v72, v2, v8 :: v_dual_and_b32 v3, 0xffff0000, v67
	v_add3_u32 v70, v71, v5, 0x7fff
	v_or_b32_e32 v71, 0x400000, v5
	v_cmp_u_f32_e32 vcc_lo, v5, v5
	v_lshlrev_b32_e32 v113, 16, v113
	v_bfe_u32 v73, v72, 16, 1
	v_lshlrev_b32_e32 v8, 16, v116
	v_and_b32_e32 v69, 0xffff0000, v69
	s_wait_alu 0xfffd
	v_cndmask_b32_e32 v67, v70, v71, vcc_lo
	v_or_b32_e32 v70, 0x400000, v72
	v_add3_u32 v5, v73, v72, 0x7fff
	v_cmp_u_f32_e32 vcc_lo, v72, v72
	v_dual_mul_f32 v113, v4, v113 :: v_dual_mul_f32 v116, v7, v8
	v_and_b32_e32 v67, 0xffff0000, v67
	v_lshlrev_b32_e32 v8, 16, v115
	s_wait_alu 0xfffd
	v_cndmask_b32_e32 v70, v5, v70, vcc_lo
	v_dual_mul_f32 v99, v3, v99 :: v_dual_lshlrev_b32 v100, 16, v100
	v_bfe_u32 v71, v116, 16, 1
	v_or_b32_e32 v72, 0x400000, v116
	v_cmp_u_f32_e32 vcc_lo, v116, v116
	v_dual_add_f32 v67, v67, v69 :: v_dual_and_b32 v70, 0xffff0000, v70
	s_delay_alu instid0(VALU_DEP_4)
	v_add3_u32 v71, v71, v116, 0x7fff
	v_mul_f32_e32 v73, v3, v8
	v_bfe_u32 v116, v113, 16, 1
	v_dual_mul_f32 v49, v1, v49 :: v_dual_lshlrev_b32 v56, 16, v56
	s_wait_alu 0xfffd
	v_cndmask_b32_e32 v71, v71, v72, vcc_lo
	v_dual_mul_f32 v46, v7, v46 :: v_dual_lshlrev_b32 v37, 16, v37
	v_lshlrev_b32_e32 v48, 16, v48
	v_lshlrev_b32_e32 v41, 16, v41
	s_delay_alu instid0(VALU_DEP_4) | instskip(SKIP_4) | instid1(VALU_DEP_4)
	v_and_b32_e32 v71, 0xffff0000, v71
	v_and_b32_e32 v8, 0xffff0000, v64
	v_lshlrev_b32_e32 v64, 16, v114
	v_bfe_u32 v114, v73, 16, 1
	v_cmp_u_f32_e32 vcc_lo, v73, v73
	v_dual_add_f32 v69, v71, v70 :: v_dual_mul_f32 v60, v8, v60
	s_delay_alu instid0(VALU_DEP_4) | instskip(NEXT) | instid1(VALU_DEP_2)
	v_dual_mul_f32 v64, v8, v64 :: v_dual_mul_f32 v37, v3, v37
	v_dual_mul_f32 v48, v6, v48 :: v_dual_add_f32 v67, v69, v67
	v_mul_f32_e32 v44, v8, v44
	s_delay_alu instid0(VALU_DEP_3)
	v_bfe_u32 v72, v64, 16, 1
	v_or_b32_e32 v115, 0x400000, v64
	v_lshlrev_b32_e32 v42, 16, v42
	v_lshlrev_b32_e32 v40, 16, v40
	;; [unrolled: 1-line block ×3, first 2 shown]
	v_add3_u32 v72, v72, v64, 0x7fff
	v_and_b32_e32 v5, 0xffff0000, v68
	v_lshlrev_b32_e32 v68, 16, v112
	v_add3_u32 v112, v114, v73, 0x7fff
	v_or_b32_e32 v114, 0x400000, v73
	v_dual_mul_f32 v40, v6, v40 :: v_dual_lshlrev_b32 v13, 16, v13
	v_lshlrev_b32_e32 v38, 16, v38
	s_wait_alu 0xfffd
	s_delay_alu instid0(VALU_DEP_3) | instskip(SKIP_1) | instid1(VALU_DEP_3)
	v_dual_cndmask_b32 v73, v112, v114 :: v_dual_lshlrev_b32 v36, 16, v36
	v_cmp_u_f32_e32 vcc_lo, v64, v64
	v_dual_mul_f32 v38, v7, v38 :: v_dual_lshlrev_b32 v77, 16, v77
	s_delay_alu instid0(VALU_DEP_3) | instskip(NEXT) | instid1(VALU_DEP_4)
	v_mul_f32_e32 v36, v8, v36
	v_and_b32_e32 v70, 0xffff0000, v73
	s_wait_alu 0xfffd
	v_cndmask_b32_e32 v64, v72, v115, vcc_lo
	v_mul_f32_e32 v68, v5, v68
	v_add3_u32 v72, v116, v113, 0x7fff
	v_or_b32_e32 v115, 0x400000, v113
	v_lshlrev_b32_e32 v73, 16, v108
	v_and_b32_e32 v64, 0xffff0000, v64
	v_bfe_u32 v117, v68, 16, 1
	v_or_b32_e32 v114, 0x400000, v68
	v_cmp_u_f32_e32 vcc_lo, v68, v68
	v_dual_mul_f32 v74, v5, v74 :: v_dual_lshlrev_b32 v75, 16, v75
	s_delay_alu instid0(VALU_DEP_4)
	v_add3_u32 v112, v117, v68, 0x7fff
	v_add_f32_e32 v64, v64, v70
	v_lshlrev_b32_e32 v70, 16, v111
	v_dual_mul_f32 v42, v5, v42 :: v_dual_lshlrev_b32 v105, 16, v105
	s_wait_alu 0xfffd
	v_cndmask_b32_e32 v68, v112, v114, vcc_lo
	v_cmp_u_f32_e32 vcc_lo, v113, v113
	v_add_f32_e32 v64, v64, v67
	v_lshlrev_b32_e32 v104, 16, v104
	v_mul_f32_e32 v100, v7, v100
	s_wait_alu 0xfffd
	v_dual_cndmask_b32 v71, v72, v115 :: v_dual_and_b32 v68, 0xffff0000, v68
	v_dual_mul_f32 v75, v4, v75 :: v_dual_lshlrev_b32 v78, 16, v78
	v_lshlrev_b32_e32 v96, 16, v96
	v_lshlrev_b32_e32 v97, 16, v97
	s_delay_alu instid0(VALU_DEP_4) | instskip(SKIP_3) | instid1(VALU_DEP_4)
	v_and_b32_e32 v69, 0xffff0000, v71
	v_lshlrev_b32_e32 v71, 16, v110
	v_mul_f32_e32 v78, v7, v78
	v_mul_f32_e32 v96, v5, v96
	v_dual_add_f32 v67, v68, v69 :: v_dual_lshlrev_b32 v86, 16, v86
	s_delay_alu instid0(VALU_DEP_4) | instskip(SKIP_2) | instid1(VALU_DEP_4)
	v_dual_mul_f32 v68, v1, v70 :: v_dual_mul_f32 v69, v6, v71
	v_lshlrev_b32_e32 v71, 16, v109
	v_lshlrev_b32_e32 v84, 16, v84
	v_add_f32_e32 v64, v67, v64
	s_delay_alu instid0(VALU_DEP_4)
	v_bfe_u32 v67, v68, 16, 1
	v_bfe_u32 v70, v69, 16, 1
	v_cmp_u_f32_e32 vcc_lo, v68, v68
	v_mul_f32_e32 v71, v2, v71
	v_add_f32_e32 v23, v23, v64
	v_add3_u32 v64, v67, v68, 0x7fff
	v_or_b32_e32 v67, 0x400000, v68
	v_add3_u32 v70, v70, v69, 0x7fff
	v_or_b32_e32 v72, 0x400000, v69
	v_dual_mul_f32 v77, v3, v77 :: v_dual_lshlrev_b32 v82, 16, v82
	s_wait_alu 0xfffd
	v_cndmask_b32_e32 v64, v64, v67, vcc_lo
	v_cmp_u_f32_e32 vcc_lo, v69, v69
	v_bfe_u32 v67, v71, 16, 1
	v_mul_f32_e32 v69, v7, v73
	v_lshlrev_b32_e32 v73, 16, v106
	v_mul_f32_e32 v82, v5, v82
	s_wait_alu 0xfffd
	v_cndmask_b32_e32 v68, v70, v72, vcc_lo
	v_lshlrev_b32_e32 v70, 16, v107
	v_add3_u32 v67, v67, v71, 0x7fff
	v_or_b32_e32 v72, 0x400000, v71
	v_bfe_u32 v106, v69, 16, 1
	v_cmp_u_f32_e32 vcc_lo, v71, v71
	v_dual_mul_f32 v71, v8, v73 :: v_dual_mul_f32 v70, v3, v70
	v_or_b32_e32 v73, 0x400000, v69
	v_mul_f32_e32 v65, v6, v65
	s_wait_alu 0xfffd
	v_cndmask_b32_e32 v67, v67, v72, vcc_lo
	v_add3_u32 v72, v106, v69, 0x7fff
	v_bfe_u32 v106, v70, 16, 1
	v_cmp_u_f32_e32 vcc_lo, v69, v69
	v_bfe_u32 v107, v71, 16, 1
	v_lshlrev_b32_e32 v59, 16, v59
	v_lshlrev_b32_e32 v63, 16, v63
	;; [unrolled: 1-line block ×3, first 2 shown]
	s_wait_alu 0xfffd
	v_cndmask_b32_e32 v69, v72, v73, vcc_lo
	v_add3_u32 v72, v106, v70, 0x7fff
	v_mul_f32_e32 v73, v4, v105
	v_or_b32_e32 v105, 0x400000, v70
	v_cmp_u_f32_e32 vcc_lo, v70, v70
	v_add3_u32 v106, v107, v71, 0x7fff
	v_or_b32_e32 v107, 0x400000, v71
	v_mul_f32_e32 v63, v2, v63
	v_mul_f32_e32 v61, v3, v61
	s_wait_alu 0xfffd
	v_cndmask_b32_e32 v70, v72, v105, vcc_lo
	v_mul_f32_e32 v72, v5, v104
	v_bfe_u32 v108, v73, 16, 1
	v_cmp_u_f32_e32 vcc_lo, v71, v71
	v_or_b32_e32 v105, 0x400000, v73
	v_mul_f32_e32 v59, v4, v59
	v_mul_f32_e32 v57, v1, v57
	v_add3_u32 v104, v108, v73, 0x7fff
	s_wait_alu 0xfffd
	v_cndmask_b32_e32 v71, v106, v107, vcc_lo
	v_cmp_u_f32_e32 vcc_lo, v73, v73
	v_bfe_u32 v106, v72, 16, 1
	v_and_b32_e32 v68, 0xffff0000, v68
	v_and_b32_e32 v70, 0xffff0000, v70
	v_and_b32_e32 v67, 0xffff0000, v67
	s_wait_alu 0xfffd
	v_cndmask_b32_e32 v73, v104, v105, vcc_lo
	v_and_b32_e32 v69, 0xffff0000, v69
	v_and_b32_e32 v64, 0xffff0000, v64
	v_add3_u32 v104, v106, v72, 0x7fff
	v_or_b32_e32 v105, 0x400000, v72
	v_cmp_u_f32_e32 vcc_lo, v72, v72
	s_delay_alu instid0(VALU_DEP_4)
	v_dual_add_f32 v67, v69, v67 :: v_dual_add_f32 v64, v68, v64
	v_and_b32_e32 v68, 0xffff0000, v71
	v_lshlrev_b32_e32 v69, 16, v103
	s_wait_alu 0xfffd
	v_cndmask_b32_e32 v71, v104, v105, vcc_lo
	v_dual_add_f32 v64, v67, v64 :: v_dual_lshlrev_b32 v53, 16, v53
	v_lshlrev_b32_e32 v51, 16, v51
	v_dual_mul_f32 v67, v1, v69 :: v_dual_add_f32 v68, v68, v70
	v_lshlrev_b32_e32 v69, 16, v102
	v_lshlrev_b32_e32 v47, 16, v47
	s_delay_alu instid0(VALU_DEP_4) | instskip(NEXT) | instid1(VALU_DEP_4)
	v_mul_f32_e32 v51, v4, v51
	v_bfe_u32 v72, v67, 16, 1
	v_add_f32_e32 v64, v68, v64
	v_cmp_u_f32_e32 vcc_lo, v67, v67
	v_mul_f32_e32 v68, v6, v69
	v_lshlrev_b32_e32 v69, 16, v101
	v_and_b32_e32 v70, 0xffff0000, v71
	v_and_b32_e32 v71, 0xffff0000, v73
	v_lshlrev_b32_e32 v45, 16, v45
	s_delay_alu instid0(VALU_DEP_4) | instskip(NEXT) | instid1(VALU_DEP_3)
	v_dual_mul_f32 v69, v2, v69 :: v_dual_lshlrev_b32 v52, 16, v52
	v_dual_mul_f32 v53, v3, v53 :: v_dual_add_f32 v70, v70, v71
	v_add3_u32 v71, v72, v67, 0x7fff
	v_or_b32_e32 v72, 0x400000, v67
	s_delay_alu instid0(VALU_DEP_4) | instskip(NEXT) | instid1(VALU_DEP_4)
	v_dual_mul_f32 v45, v3, v45 :: v_dual_mul_f32 v52, v8, v52
	v_add_f32_e32 v64, v70, v64
	v_mul_f32_e32 v47, v2, v47
	s_wait_alu 0xfffd
	v_cndmask_b32_e32 v67, v71, v72, vcc_lo
	v_bfe_u32 v73, v68, 16, 1
	v_or_b32_e32 v72, 0x400000, v68
	v_cmp_u_f32_e32 vcc_lo, v68, v68
	v_dual_add_f32 v24, v24, v64 :: v_dual_lshlrev_b32 v43, 16, v43
	s_delay_alu instid0(VALU_DEP_4) | instskip(SKIP_3) | instid1(VALU_DEP_3)
	v_add3_u32 v71, v73, v68, 0x7fff
	v_bfe_u32 v73, v69, 16, 1
	v_dual_mul_f32 v41, v1, v41 :: v_dual_lshlrev_b32 v50, 16, v50
	s_wait_alu 0xfffd
	v_dual_mul_f32 v43, v4, v43 :: v_dual_cndmask_b32 v68, v71, v72
	s_delay_alu instid0(VALU_DEP_3)
	v_add3_u32 v71, v73, v69, 0x7fff
	v_or_b32_e32 v72, 0x400000, v69
	v_bfe_u32 v73, v100, 16, 1
	v_cmp_u_f32_e32 vcc_lo, v69, v69
	v_lshlrev_b32_e32 v98, 16, v98
	v_and_b32_e32 v68, 0xffff0000, v68
	v_dual_mul_f32 v50, v5, v50 :: v_dual_lshlrev_b32 v39, 16, v39
	s_wait_alu 0xfffd
	v_cndmask_b32_e32 v69, v71, v72, vcc_lo
	v_add3_u32 v71, v73, v100, 0x7fff
	v_or_b32_e32 v72, 0x400000, v100
	v_mul_f32_e32 v73, v8, v98
	v_bfe_u32 v98, v99, 16, 1
	v_cmp_u_f32_e32 vcc_lo, v100, v100
	v_or_b32_e32 v100, 0x400000, v99
	v_and_b32_e32 v69, 0xffff0000, v69
	v_or_b32_e32 v101, 0x400000, v73
	v_add3_u32 v98, v98, v99, 0x7fff
	s_wait_alu 0xfffd
	v_cndmask_b32_e32 v71, v71, v72, vcc_lo
	v_bfe_u32 v72, v73, 16, 1
	v_cmp_u_f32_e32 vcc_lo, v99, v99
	v_mul_f32_e32 v97, v4, v97
	v_bfe_u32 v99, v96, 16, 1
	v_mul_f32_e32 v39, v2, v39
	v_add3_u32 v72, v72, v73, 0x7fff
	s_wait_alu 0xfffd
	v_cndmask_b32_e32 v98, v98, v100, vcc_lo
	v_cmp_u_f32_e32 vcc_lo, v73, v73
	v_add3_u32 v99, v99, v96, 0x7fff
	v_bfe_u32 v102, v97, 16, 1
	v_or_b32_e32 v100, 0x400000, v97
	s_wait_alu 0xfffd
	v_dual_cndmask_b32 v72, v72, v101 :: v_dual_lshlrev_b32 v35, 16, v35
	v_or_b32_e32 v101, 0x400000, v96
	v_cmp_u_f32_e32 vcc_lo, v96, v96
	v_and_b32_e32 v71, 0xffff0000, v71
	v_and_b32_e32 v67, 0xffff0000, v67
	v_add3_u32 v73, v102, v97, 0x7fff
	v_mul_f32_e32 v35, v4, v35
	s_delay_alu instid0(VALU_DEP_3)
	v_dual_add_f32 v67, v68, v67 :: v_dual_add_f32 v68, v71, v69
	v_and_b32_e32 v69, 0xffff0000, v72
	s_wait_alu 0xfffd
	v_dual_cndmask_b32 v72, v99, v101 :: v_dual_and_b32 v71, 0xffff0000, v98
	v_cmp_u_f32_e32 vcc_lo, v97, v97
	v_add_f32_e32 v67, v68, v67
	s_delay_alu instid0(VALU_DEP_3) | instskip(SKIP_3) | instid1(VALU_DEP_2)
	v_dual_add_f32 v68, v69, v71 :: v_dual_and_b32 v71, 0xffff0000, v72
	s_wait_alu 0xfffd
	v_dual_cndmask_b32 v73, v73, v100 :: v_dual_lshlrev_b32 v72, 16, v90
	v_lshlrev_b32_e32 v69, 16, v91
	v_dual_add_f32 v67, v68, v67 :: v_dual_mul_f32 v68, v6, v72
	s_delay_alu instid0(VALU_DEP_3) | instskip(NEXT) | instid1(VALU_DEP_3)
	v_and_b32_e32 v73, 0xffff0000, v73
	v_mul_f32_e32 v69, v1, v69
	s_delay_alu instid0(VALU_DEP_3) | instskip(NEXT) | instid1(VALU_DEP_3)
	v_bfe_u32 v64, v68, 16, 1
	v_add_f32_e32 v70, v71, v73
	s_delay_alu instid0(VALU_DEP_3)
	v_bfe_u32 v72, v69, 16, 1
	v_or_b32_e32 v73, 0x400000, v68
	v_cmp_u_f32_e32 vcc_lo, v69, v69
	v_add3_u32 v64, v64, v68, 0x7fff
	v_lshlrev_b32_e32 v71, 16, v88
	v_add_f32_e32 v67, v70, v67
	s_delay_alu instid0(VALU_DEP_2) | instskip(SKIP_2) | instid1(VALU_DEP_3)
	v_mul_f32_e32 v70, v2, v71
	v_add3_u32 v71, v72, v69, 0x7fff
	v_or_b32_e32 v72, 0x400000, v69
	v_bfe_u32 v88, v70, 16, 1
	s_wait_alu 0xfffd
	s_delay_alu instid0(VALU_DEP_2)
	v_cndmask_b32_e32 v69, v71, v72, vcc_lo
	v_cmp_u_f32_e32 vcc_lo, v68, v68
	v_mul_f32_e32 v68, v7, v86
	v_add3_u32 v71, v88, v70, 0x7fff
	v_or_b32_e32 v72, 0x400000, v70
	s_wait_alu 0xfffd
	v_cndmask_b32_e32 v64, v64, v73, vcc_lo
	v_lshlrev_b32_e32 v73, 16, v85
	v_bfe_u32 v85, v68, 16, 1
	v_cmp_u_f32_e32 vcc_lo, v70, v70
	s_wait_alu 0xfffd
	v_cndmask_b32_e32 v70, v71, v72, vcc_lo
	v_mul_f32_e32 v72, v8, v84
	v_or_b32_e32 v84, 0x400000, v68
	v_cmp_u_f32_e32 vcc_lo, v68, v68
	v_mul_f32_e32 v71, v3, v73
	v_add3_u32 v73, v85, v68, 0x7fff
	v_bfe_u32 v86, v72, 16, 1
	v_dual_add_f32 v25, v25, v67 :: v_dual_and_b32 v70, 0xffff0000, v70
	s_wait_alu 0xfffd
	s_delay_alu instid0(VALU_DEP_3)
	v_cndmask_b32_e32 v68, v73, v84, vcc_lo
	v_bfe_u32 v85, v71, 16, 1
	v_mul_f32_e32 v73, v4, v83
	v_or_b32_e32 v84, 0x400000, v71
	v_cmp_u_f32_e32 vcc_lo, v71, v71
	v_mul_f32_e32 v4, v4, v13
	v_add3_u32 v83, v85, v71, 0x7fff
	v_add3_u32 v85, v86, v72, 0x7fff
	v_or_b32_e32 v86, 0x400000, v72
	v_bfe_u32 v88, v73, 16, 1
	s_wait_alu 0xfffd
	v_cndmask_b32_e32 v71, v83, v84, vcc_lo
	v_cmp_u_f32_e32 vcc_lo, v72, v72
	v_or_b32_e32 v84, 0x400000, v73
	v_add3_u32 v83, v88, v73, 0x7fff
	s_wait_alu 0xfffd
	v_dual_cndmask_b32 v72, v85, v86 :: v_dual_and_b32 v71, 0xffff0000, v71
	v_cmp_u_f32_e32 vcc_lo, v73, v73
	v_and_b32_e32 v64, 0xffff0000, v64
	s_wait_alu 0xfffd
	v_cndmask_b32_e32 v73, v83, v84, vcc_lo
	v_cmp_u_f32_e32 vcc_lo, v82, v82
	v_and_b32_e32 v68, 0xffff0000, v68
	v_and_b32_e32 v69, 0xffff0000, v69
	v_bfe_u32 v83, v82, 16, 1
	s_delay_alu instid0(VALU_DEP_3) | instskip(NEXT) | instid1(VALU_DEP_3)
	v_add_f32_e32 v68, v68, v70
	v_add_f32_e32 v64, v64, v69
	v_lshlrev_b32_e32 v70, 16, v81
	v_and_b32_e32 v69, 0xffff0000, v72
	v_add3_u32 v72, v83, v82, 0x7fff
	v_or_b32_e32 v81, 0x400000, v82
	v_add_f32_e32 v64, v68, v64
	v_mul_f32_e32 v68, v1, v70
	v_dual_add_f32 v69, v69, v71 :: v_dual_lshlrev_b32 v70, 16, v80
	s_wait_alu 0xfffd
	v_cndmask_b32_e32 v71, v72, v81, vcc_lo
	v_and_b32_e32 v73, 0xffff0000, v73
	v_bfe_u32 v72, v68, 16, 1
	v_dual_add_f32 v64, v69, v64 :: v_dual_mul_f32 v69, v6, v70
	v_lshlrev_b32_e32 v70, 16, v79
	v_and_b32_e32 v71, 0xffff0000, v71
	s_delay_alu instid0(VALU_DEP_4)
	v_add3_u32 v72, v72, v68, 0x7fff
	v_or_b32_e32 v79, 0x400000, v68
	v_bfe_u32 v80, v69, 16, 1
	v_mul_f32_e32 v70, v2, v70
	v_cmp_u_f32_e32 vcc_lo, v68, v68
	v_bfe_u32 v83, v74, 16, 1
	v_bfe_u32 v82, v75, 16, 1
	s_wait_alu 0xfffd
	v_dual_add_f32 v71, v71, v73 :: v_dual_cndmask_b32 v68, v72, v79
	v_add3_u32 v72, v80, v69, 0x7fff
	v_or_b32_e32 v79, 0x400000, v69
	v_bfe_u32 v80, v70, 16, 1
	v_cmp_u_f32_e32 vcc_lo, v69, v69
	s_wait_alu 0xfffd
	s_delay_alu instid0(VALU_DEP_3) | instskip(NEXT) | instid1(VALU_DEP_3)
	v_dual_add_f32 v64, v71, v64 :: v_dual_cndmask_b32 v69, v72, v79
	v_add3_u32 v72, v80, v70, 0x7fff
	v_or_b32_e32 v79, 0x400000, v70
	v_bfe_u32 v80, v78, 16, 1
	v_cmp_u_f32_e32 vcc_lo, v70, v70
	v_and_b32_e32 v69, 0xffff0000, v69
	v_and_b32_e32 v68, 0xffff0000, v68
	v_add_f32_e32 v26, v26, v64
	v_bfe_u32 v64, v65, 16, 1
	s_wait_alu 0xfffd
	v_cndmask_b32_e32 v70, v72, v79, vcc_lo
	v_add3_u32 v72, v80, v78, 0x7fff
	v_or_b32_e32 v79, 0x400000, v78
	v_cmp_u_f32_e32 vcc_lo, v78, v78
	v_bfe_u32 v80, v77, 16, 1
	v_and_b32_e32 v70, 0xffff0000, v70
	v_add_f32_e32 v68, v69, v68
	v_add3_u32 v64, v64, v65, 0x7fff
	s_wait_alu 0xfffd
	v_cndmask_b32_e32 v72, v72, v79, vcc_lo
	v_add3_u32 v79, v80, v77, 0x7fff
	v_or_b32_e32 v80, 0x400000, v77
	v_cmp_u_f32_e32 vcc_lo, v77, v77
	s_delay_alu instid0(VALU_DEP_4)
	v_and_b32_e32 v72, 0xffff0000, v72
	v_lshlrev_b32_e32 v76, 16, v76
	s_wait_alu 0xfffd
	v_cndmask_b32_e32 v77, v79, v80, vcc_lo
	v_add3_u32 v79, v83, v74, 0x7fff
	v_add_f32_e32 v69, v72, v70
	v_mul_f32_e32 v76, v8, v76
	v_or_b32_e32 v80, 0x400000, v74
	v_and_b32_e32 v72, 0xffff0000, v77
	s_delay_alu instid0(VALU_DEP_4) | instskip(NEXT) | instid1(VALU_DEP_4)
	v_add_f32_e32 v68, v69, v68
	v_bfe_u32 v78, v76, 16, 1
	v_or_b32_e32 v81, 0x400000, v76
	v_cmp_u_f32_e32 vcc_lo, v76, v76
	s_delay_alu instid0(VALU_DEP_3) | instskip(SKIP_1) | instid1(VALU_DEP_1)
	v_add3_u32 v78, v78, v76, 0x7fff
	s_wait_alu 0xfffd
	v_cndmask_b32_e32 v76, v78, v81, vcc_lo
	v_cmp_u_f32_e32 vcc_lo, v74, v74
	v_add3_u32 v78, v82, v75, 0x7fff
	v_or_b32_e32 v81, 0x400000, v75
	s_delay_alu instid0(VALU_DEP_4) | instskip(SKIP_3) | instid1(VALU_DEP_2)
	v_and_b32_e32 v70, 0xffff0000, v76
	s_wait_alu 0xfffd
	v_cndmask_b32_e32 v74, v79, v80, vcc_lo
	v_cmp_u_f32_e32 vcc_lo, v75, v75
	v_dual_add_f32 v69, v70, v72 :: v_dual_and_b32 v70, 0xffff0000, v74
	s_wait_alu 0xfffd
	s_delay_alu instid0(VALU_DEP_1) | instskip(NEXT) | instid1(VALU_DEP_1)
	v_dual_cndmask_b32 v75, v78, v81 :: v_dual_add_f32 v68, v69, v68
	v_and_b32_e32 v72, 0xffff0000, v75
	s_delay_alu instid0(VALU_DEP_1) | instskip(NEXT) | instid1(VALU_DEP_1)
	v_dual_add_f32 v69, v70, v72 :: v_dual_lshlrev_b32 v66, 16, v66
	v_mul_f32_e32 v66, v1, v66
	v_bfe_u32 v70, v59, 16, 1
	s_delay_alu instid0(VALU_DEP_3) | instskip(NEXT) | instid1(VALU_DEP_3)
	v_add_f32_e32 v67, v69, v68
	v_bfe_u32 v68, v66, 16, 1
	v_cmp_u_f32_e32 vcc_lo, v66, v66
	v_or_b32_e32 v69, 0x400000, v65
	s_delay_alu instid0(VALU_DEP_4) | instskip(NEXT) | instid1(VALU_DEP_4)
	v_add_f32_e32 v27, v27, v67
	v_add3_u32 v67, v68, v66, 0x7fff
	v_or_b32_e32 v68, 0x400000, v66
	s_wait_alu 0xfffd
	s_delay_alu instid0(VALU_DEP_1) | instskip(SKIP_3) | instid1(VALU_DEP_3)
	v_cndmask_b32_e32 v66, v67, v68, vcc_lo
	v_bfe_u32 v67, v63, 16, 1
	v_cmp_u_f32_e32 vcc_lo, v65, v65
	v_bfe_u32 v68, v62, 16, 1
	v_add3_u32 v65, v67, v63, 0x7fff
	s_wait_alu 0xfffd
	v_cndmask_b32_e32 v64, v64, v69, vcc_lo
	v_or_b32_e32 v67, 0x400000, v63
	v_cmp_u_f32_e32 vcc_lo, v63, v63
	v_bfe_u32 v69, v60, 16, 1
	s_wait_alu 0xfffd
	s_delay_alu instid0(VALU_DEP_3)
	v_cndmask_b32_e32 v63, v65, v67, vcc_lo
	v_add3_u32 v65, v68, v62, 0x7fff
	v_or_b32_e32 v67, 0x400000, v62
	v_bfe_u32 v68, v61, 16, 1
	v_cmp_u_f32_e32 vcc_lo, v62, v62
	v_and_b32_e32 v63, 0xffff0000, v63
	s_wait_alu 0xfffd
	v_cndmask_b32_e32 v62, v65, v67, vcc_lo
	v_add3_u32 v65, v68, v61, 0x7fff
	v_or_b32_e32 v67, 0x400000, v61
	v_cmp_u_f32_e32 vcc_lo, v61, v61
	v_add3_u32 v68, v69, v60, 0x7fff
	v_or_b32_e32 v69, 0x400000, v60
	s_wait_alu 0xfffd
	v_dual_cndmask_b32 v61, v65, v67 :: v_dual_and_b32 v62, 0xffff0000, v62
	v_cmp_u_f32_e32 vcc_lo, v60, v60
	v_add3_u32 v65, v70, v59, 0x7fff
	s_delay_alu instid0(VALU_DEP_3)
	v_add_f32_e32 v62, v62, v63
	v_or_b32_e32 v67, 0x400000, v59
	v_and_b32_e32 v61, 0xffff0000, v61
	s_wait_alu 0xfffd
	v_cndmask_b32_e32 v60, v68, v69, vcc_lo
	v_and_b32_e32 v66, 0xffff0000, v66
	v_cmp_u_f32_e32 vcc_lo, v59, v59
	v_bfe_u32 v63, v57, 16, 1
	s_wait_alu 0xfffd
	v_dual_cndmask_b32 v59, v65, v67 :: v_dual_and_b32 v60, 0xffff0000, v60
	s_delay_alu instid0(VALU_DEP_1) | instskip(SKIP_1) | instid1(VALU_DEP_1)
	v_dual_add_f32 v60, v60, v61 :: v_dual_mul_f32 v61, v6, v56
	v_and_b32_e32 v64, 0xffff0000, v64
	v_dual_add_f32 v64, v64, v66 :: v_dual_and_b32 v59, 0xffff0000, v59
	s_delay_alu instid0(VALU_DEP_1) | instskip(SKIP_1) | instid1(VALU_DEP_2)
	v_add_f32_e32 v62, v62, v64
	v_bfe_u32 v64, v51, 16, 1
	v_add_f32_e32 v56, v60, v62
	v_bfe_u32 v60, v61, 16, 1
	v_lshlrev_b32_e32 v62, 16, v55
	s_delay_alu instid0(VALU_DEP_2) | instskip(SKIP_1) | instid1(VALU_DEP_3)
	v_add3_u32 v60, v60, v61, 0x7fff
	v_lshlrev_b32_e32 v58, 16, v58
	v_mul_f32_e32 v62, v2, v62
	s_delay_alu instid0(VALU_DEP_2) | instskip(NEXT) | instid1(VALU_DEP_1)
	v_mul_f32_e32 v58, v5, v58
	v_bfe_u32 v68, v58, 16, 1
	v_or_b32_e32 v67, 0x400000, v58
	v_cmp_u_f32_e32 vcc_lo, v58, v58
	s_delay_alu instid0(VALU_DEP_3) | instskip(SKIP_1) | instid1(VALU_DEP_1)
	v_add3_u32 v65, v68, v58, 0x7fff
	s_wait_alu 0xfffd
	v_cndmask_b32_e32 v58, v65, v67, vcc_lo
	v_cmp_u_f32_e32 vcc_lo, v57, v57
	s_delay_alu instid0(VALU_DEP_2) | instskip(NEXT) | instid1(VALU_DEP_1)
	v_and_b32_e32 v58, 0xffff0000, v58
	v_add_f32_e32 v55, v58, v59
	v_add3_u32 v58, v63, v57, 0x7fff
	v_or_b32_e32 v59, 0x400000, v57
	v_or_b32_e32 v63, 0x400000, v61
	s_wait_alu 0xfffd
	s_delay_alu instid0(VALU_DEP_2) | instskip(SKIP_3) | instid1(VALU_DEP_4)
	v_cndmask_b32_e32 v57, v58, v59, vcc_lo
	v_bfe_u32 v58, v62, 16, 1
	v_cmp_u_f32_e32 vcc_lo, v61, v61
	v_bfe_u32 v61, v54, 16, 1
	v_and_b32_e32 v57, 0xffff0000, v57
	s_delay_alu instid0(VALU_DEP_4)
	v_add3_u32 v58, v58, v62, 0x7fff
	s_wait_alu 0xfffd
	v_cndmask_b32_e32 v59, v60, v63, vcc_lo
	v_or_b32_e32 v60, 0x400000, v62
	v_cmp_u_f32_e32 vcc_lo, v62, v62
	v_bfe_u32 v62, v53, 16, 1
	v_bfe_u32 v63, v52, 16, 1
	s_wait_alu 0xfffd
	v_dual_cndmask_b32 v58, v58, v60 :: v_dual_and_b32 v59, 0xffff0000, v59
	v_add3_u32 v60, v61, v54, 0x7fff
	v_or_b32_e32 v61, 0x400000, v54
	v_cmp_u_f32_e32 vcc_lo, v54, v54
	s_delay_alu instid0(VALU_DEP_4) | instskip(SKIP_1) | instid1(VALU_DEP_3)
	v_dual_add_f32 v57, v59, v57 :: v_dual_and_b32 v58, 0xffff0000, v58
	s_wait_alu 0xfffd
	v_cndmask_b32_e32 v54, v60, v61, vcc_lo
	v_add3_u32 v60, v62, v53, 0x7fff
	v_or_b32_e32 v61, 0x400000, v53
	v_cmp_u_f32_e32 vcc_lo, v53, v53
	v_add3_u32 v62, v63, v52, 0x7fff
	v_or_b32_e32 v63, 0x400000, v52
	s_wait_alu 0xfffd
	v_dual_cndmask_b32 v53, v60, v61 :: v_dual_and_b32 v54, 0xffff0000, v54
	v_cmp_u_f32_e32 vcc_lo, v52, v52
	v_add3_u32 v60, v64, v51, 0x7fff
	v_or_b32_e32 v61, 0x400000, v51
	s_delay_alu instid0(VALU_DEP_4)
	v_dual_add_f32 v54, v54, v58 :: v_dual_and_b32 v53, 0xffff0000, v53
	s_wait_alu 0xfffd
	v_cndmask_b32_e32 v52, v62, v63, vcc_lo
	v_bfe_u32 v62, v50, 16, 1
	v_cmp_u_f32_e32 vcc_lo, v51, v51
	v_add_f32_e32 v54, v54, v57
	v_or_b32_e32 v57, 0x400000, v48
	v_and_b32_e32 v52, 0xffff0000, v52
	v_bfe_u32 v58, v47, 16, 1
	s_wait_alu 0xfffd
	v_cndmask_b32_e32 v51, v60, v61, vcc_lo
	v_add3_u32 v60, v62, v50, 0x7fff
	v_or_b32_e32 v61, 0x400000, v50
	v_cmp_u_f32_e32 vcc_lo, v50, v50
	s_delay_alu instid0(VALU_DEP_4) | instskip(SKIP_3) | instid1(VALU_DEP_3)
	v_dual_add_f32 v52, v52, v53 :: v_dual_and_b32 v51, 0xffff0000, v51
	v_bfe_u32 v53, v49, 16, 1
	s_wait_alu 0xfffd
	v_cndmask_b32_e32 v50, v60, v61, vcc_lo
	v_add_f32_e32 v52, v52, v54
	v_bfe_u32 v54, v48, 16, 1
	v_cmp_u_f32_e32 vcc_lo, v49, v49
	s_delay_alu instid0(VALU_DEP_4) | instskip(NEXT) | instid1(VALU_DEP_3)
	v_and_b32_e32 v50, 0xffff0000, v50
	v_add3_u32 v54, v54, v48, 0x7fff
	s_delay_alu instid0(VALU_DEP_2) | instskip(SKIP_3) | instid1(VALU_DEP_1)
	v_add_f32_e32 v50, v50, v51
	v_add3_u32 v51, v53, v49, 0x7fff
	v_or_b32_e32 v53, 0x400000, v49
	s_wait_alu 0xfffd
	v_cndmask_b32_e32 v49, v51, v53, vcc_lo
	v_cmp_u_f32_e32 vcc_lo, v48, v48
	v_add3_u32 v51, v58, v47, 0x7fff
	v_or_b32_e32 v53, 0x400000, v47
	v_bfe_u32 v58, v43, 16, 1
	v_and_b32_e32 v49, 0xffff0000, v49
	s_wait_alu 0xfffd
	v_cndmask_b32_e32 v48, v54, v57, vcc_lo
	v_bfe_u32 v54, v46, 16, 1
	v_cmp_u_f32_e32 vcc_lo, v47, v47
	v_bfe_u32 v57, v44, 16, 1
	s_wait_alu 0xfffd
	v_dual_cndmask_b32 v47, v51, v53 :: v_dual_and_b32 v48, 0xffff0000, v48
	v_add3_u32 v51, v54, v46, 0x7fff
	v_or_b32_e32 v53, 0x400000, v46
	v_bfe_u32 v54, v45, 16, 1
	v_cmp_u_f32_e32 vcc_lo, v46, v46
	v_dual_add_f32 v48, v48, v49 :: v_dual_and_b32 v47, 0xffff0000, v47
	v_or_b32_e32 v49, 0x400000, v42
	s_wait_alu 0xfffd
	v_cndmask_b32_e32 v46, v51, v53, vcc_lo
	v_add3_u32 v51, v54, v45, 0x7fff
	v_or_b32_e32 v53, 0x400000, v45
	v_cmp_u_f32_e32 vcc_lo, v45, v45
	v_add3_u32 v54, v57, v44, 0x7fff
	v_or_b32_e32 v57, 0x400000, v44
	s_wait_alu 0xfffd
	v_dual_cndmask_b32 v45, v51, v53 :: v_dual_and_b32 v46, 0xffff0000, v46
	v_cmp_u_f32_e32 vcc_lo, v44, v44
	v_add3_u32 v51, v58, v43, 0x7fff
	v_or_b32_e32 v53, 0x400000, v43
	s_delay_alu instid0(VALU_DEP_4) | instskip(SKIP_3) | instid1(VALU_DEP_3)
	v_dual_add_f32 v46, v46, v47 :: v_dual_and_b32 v45, 0xffff0000, v45
	s_wait_alu 0xfffd
	v_cndmask_b32_e32 v44, v54, v57, vcc_lo
	v_cmp_u_f32_e32 vcc_lo, v43, v43
	v_add_f32_e32 v46, v46, v48
	v_or_b32_e32 v48, 0x400000, v39
	s_wait_alu 0xfffd
	v_dual_cndmask_b32 v43, v51, v53 :: v_dual_and_b32 v44, 0xffff0000, v44
	v_bfe_u32 v51, v42, 16, 1
	v_cmp_u_f32_e32 vcc_lo, v42, v42
	s_delay_alu instid0(VALU_DEP_3) | instskip(SKIP_1) | instid1(VALU_DEP_4)
	v_and_b32_e32 v43, 0xffff0000, v43
	v_lshlrev_b32_e32 v34, 16, v34
	v_add3_u32 v47, v51, v42, 0x7fff
	s_delay_alu instid0(VALU_DEP_2)
	v_mul_f32_e32 v34, v5, v34
	v_dual_mul_f32 v5, v5, v14 :: v_dual_add_f32 v44, v44, v45
	v_bfe_u32 v45, v41, 16, 1
	s_wait_alu 0xfffd
	v_cndmask_b32_e32 v42, v47, v49, vcc_lo
	v_bfe_u32 v47, v40, 16, 1
	v_cmp_u_f32_e32 vcc_lo, v41, v41
	v_add_f32_e32 v44, v44, v46
	v_add3_u32 v45, v45, v41, 0x7fff
	v_or_b32_e32 v46, 0x400000, v41
	s_wait_alu 0xfffd
	s_delay_alu instid0(VALU_DEP_1)
	v_cndmask_b32_e32 v41, v45, v46, vcc_lo
	v_bfe_u32 v45, v39, 16, 1
	v_add3_u32 v46, v47, v40, 0x7fff
	v_or_b32_e32 v47, 0x400000, v40
	v_cmp_u_f32_e32 vcc_lo, v40, v40
	v_and_b32_e32 v41, 0xffff0000, v41
	v_add3_u32 v45, v45, v39, 0x7fff
	s_wait_alu 0xfffd
	v_cndmask_b32_e32 v40, v46, v47, vcc_lo
	v_bfe_u32 v46, v38, 16, 1
	v_cmp_u_f32_e32 vcc_lo, v39, v39
	v_or_b32_e32 v47, 0x400000, v38
	s_delay_alu instid0(VALU_DEP_4) | instskip(NEXT) | instid1(VALU_DEP_4)
	v_and_b32_e32 v40, 0xffff0000, v40
	v_add3_u32 v46, v46, v38, 0x7fff
	s_wait_alu 0xfffd
	v_cndmask_b32_e32 v39, v45, v48, vcc_lo
	v_bfe_u32 v45, v37, 16, 1
	v_cmp_u_f32_e32 vcc_lo, v38, v38
	v_or_b32_e32 v48, 0x400000, v37
	s_delay_alu instid0(VALU_DEP_4) | instskip(NEXT) | instid1(VALU_DEP_4)
	v_dual_add_f32 v40, v40, v41 :: v_dual_and_b32 v39, 0xffff0000, v39
	v_add3_u32 v45, v45, v37, 0x7fff
	s_wait_alu 0xfffd
	v_cndmask_b32_e32 v38, v46, v47, vcc_lo
	v_bfe_u32 v46, v36, 16, 1
	v_cmp_u_f32_e32 vcc_lo, v37, v37
	v_bfe_u32 v47, v35, 16, 1
	s_wait_alu 0xfffd
	v_dual_cndmask_b32 v37, v45, v48 :: v_dual_and_b32 v38, 0xffff0000, v38
	v_add3_u32 v45, v46, v36, 0x7fff
	v_or_b32_e32 v46, 0x400000, v36
	v_cmp_u_f32_e32 vcc_lo, v36, v36
	v_add3_u32 v47, v47, v35, 0x7fff
	v_or_b32_e32 v48, 0x400000, v35
	v_dual_add_f32 v38, v38, v39 :: v_dual_and_b32 v37, 0xffff0000, v37
	s_wait_alu 0xfffd
	v_cndmask_b32_e32 v36, v45, v46, vcc_lo
	v_cmp_u_f32_e32 vcc_lo, v35, v35
	v_bfe_u32 v45, v34, 16, 1
	v_lshlrev_b32_e32 v39, 16, v94
	v_or_b32_e32 v46, 0x400000, v34
	v_and_b32_e32 v36, 0xffff0000, v36
	s_wait_alu 0xfffd
	v_cndmask_b32_e32 v35, v47, v48, vcc_lo
	v_lshlrev_b32_e32 v47, 16, v95
	v_add3_u32 v45, v45, v34, 0x7fff
	v_cmp_u_f32_e32 vcc_lo, v34, v34
	v_add_f32_e32 v38, v38, v40
	v_add_f32_e32 v36, v36, v37
	v_mul_f32_e32 v6, v6, v47
	v_mul_f32_e32 v1, v1, v39
	s_wait_alu 0xfffd
	v_dual_cndmask_b32 v34, v45, v46 :: v_dual_lshlrev_b32 v37, 16, v93
	s_delay_alu instid0(VALU_DEP_3) | instskip(NEXT) | instid1(VALU_DEP_3)
	v_bfe_u32 v40, v6, 16, 1
	v_bfe_u32 v41, v1, 16, 1
	s_delay_alu instid0(VALU_DEP_3)
	v_mul_f32_e32 v7, v7, v37
	v_lshlrev_b32_e32 v37, 16, v92
	v_cmp_u_f32_e32 vcc_lo, v6, v6
	v_add3_u32 v39, v40, v6, 0x7fff
	v_or_b32_e32 v40, 0x400000, v6
	v_and_b32_e32 v34, 0xffff0000, v34
	v_mul_f32_e32 v2, v2, v37
	s_wait_alu 0xfffd
	s_delay_alu instid0(VALU_DEP_3)
	v_dual_cndmask_b32 v6, v39, v40 :: v_dual_lshlrev_b32 v37, 16, v89
	v_add3_u32 v39, v41, v1, 0x7fff
	v_or_b32_e32 v40, 0x400000, v1
	v_bfe_u32 v41, v7, 16, 1
	v_cmp_u_f32_e32 vcc_lo, v1, v1
	v_dual_mul_f32 v8, v8, v37 :: v_dual_lshlrev_b32 v37, 16, v87
	s_wait_alu 0xfffd
	v_dual_cndmask_b32 v1, v39, v40 :: v_dual_and_b32 v6, 0xffff0000, v6
	v_add3_u32 v39, v41, v7, 0x7fff
	v_or_b32_e32 v40, 0x400000, v7
	v_bfe_u32 v41, v2, 16, 1
	v_cmp_u_f32_e32 vcc_lo, v7, v7
	v_mul_f32_e32 v3, v3, v37
	v_or_b32_e32 v13, 0x400000, v8
	v_and_b32_e32 v1, 0xffff0000, v1
	s_wait_alu 0xfffd
	v_cndmask_b32_e32 v7, v39, v40, vcc_lo
	v_add3_u32 v39, v41, v2, 0x7fff
	v_or_b32_e32 v40, 0x400000, v2
	v_bfe_u32 v41, v8, 16, 1
	v_cmp_u_f32_e32 vcc_lo, v2, v2
	v_bfe_u32 v37, v3, 16, 1
	v_and_b32_e32 v7, 0xffff0000, v7
	v_dual_add_f32 v1, v6, v1 :: v_dual_and_b32 v42, 0xffff0000, v42
	s_wait_alu 0xfffd
	v_cndmask_b32_e32 v2, v39, v40, vcc_lo
	v_add3_u32 v39, v41, v8, 0x7fff
	v_cmp_u_f32_e32 vcc_lo, v8, v8
	v_add3_u32 v14, v37, v3, 0x7fff
	v_or_b32_e32 v37, 0x400000, v3
	v_bfe_u32 v41, v4, 16, 1
	v_bfe_u32 v40, v5, 16, 1
	s_wait_alu 0xfffd
	v_cndmask_b32_e32 v8, v39, v13, vcc_lo
	v_cmp_u_f32_e32 vcc_lo, v3, v3
	v_and_b32_e32 v2, 0xffff0000, v2
	v_or_b32_e32 v39, 0x400000, v5
	v_add3_u32 v13, v40, v5, 0x7fff
	s_wait_alu 0xfffd
	v_dual_cndmask_b32 v3, v14, v37 :: v_dual_and_b32 v6, 0xffff0000, v8
	v_add3_u32 v14, v41, v4, 0x7fff
	v_or_b32_e32 v37, 0x400000, v4
	v_cmp_u_f32_e32 vcc_lo, v4, v4
	s_delay_alu instid0(VALU_DEP_4) | instskip(SKIP_1) | instid1(VALU_DEP_3)
	v_dual_add_f32 v2, v7, v2 :: v_dual_and_b32 v3, 0xffff0000, v3
	s_wait_alu 0xfffd
	v_dual_cndmask_b32 v4, v14, v37 :: v_dual_and_b32 v7, 0xffff0000, v35
	v_cmp_u_f32_e32 vcc_lo, v5, v5
	s_delay_alu instid0(VALU_DEP_3) | instskip(SKIP_1) | instid1(VALU_DEP_4)
	v_add_f32_e32 v1, v2, v1
	v_add_f32_e32 v2, v6, v3
	v_dual_add_f32 v6, v36, v38 :: v_dual_and_b32 v3, 0xffff0000, v4
	s_wait_alu 0xfffd
	v_cndmask_b32_e32 v5, v13, v39, vcc_lo
	v_add_f32_e32 v7, v34, v7
	v_add_f32_e32 v1, v2, v1
	s_delay_alu instid0(VALU_DEP_3) | instskip(NEXT) | instid1(VALU_DEP_3)
	v_dual_add_f32 v5, v42, v43 :: v_dual_and_b32 v4, 0xffff0000, v5
	v_add_f32_e32 v6, v7, v6
	s_delay_alu instid0(VALU_DEP_2) | instskip(SKIP_1) | instid1(VALU_DEP_3)
	v_dual_add_f32 v2, v4, v3 :: v_dual_add_f32 v3, v55, v56
	v_add_f32_e32 v4, v50, v52
	v_dual_add_f32 v5, v5, v44 :: v_dual_add_f32 v30, v30, v6
	s_delay_alu instid0(VALU_DEP_3) | instskip(NEXT) | instid1(VALU_DEP_3)
	v_dual_add_f32 v1, v2, v1 :: v_dual_add_f32 v28, v28, v3
	v_add_f32_e32 v29, v29, v4
	s_delay_alu instid0(VALU_DEP_3) | instskip(NEXT) | instid1(VALU_DEP_3)
	v_add_f32_e32 v31, v31, v5
	v_add_f32_e32 v22, v22, v1
.LBB351_37:                             ;   in Loop: Header=BB351_38 Depth=1
	s_wait_alu 0xfffe
	s_or_b32 exec_lo, exec_lo, s12
	v_add_nc_u32_e32 v18, 4, v18
	v_add_co_u32 v9, s0, v9, 16
	s_wait_alu 0xf1ff
	v_add_co_ci_u32_e64 v10, null, 0, v10, s0
	s_delay_alu instid0(VALU_DEP_3)
	v_cmp_le_i32_e32 vcc_lo, s35, v18
	v_add_nc_u32_e32 v17, 0x80, v17
	v_add_nc_u32_e32 v33, 0x200, v33
	s_or_b32 s5, vcc_lo, s5
	s_wait_alu 0xfffe
	s_and_not1_b32 exec_lo, exec_lo, s5
	s_cbranch_execz .LBB351_59
.LBB351_38:                             ; =>This Inner Loop Header: Depth=1
	v_sub_nc_u32_e32 v1, 0, v17
	s_delay_alu instid0(VALU_DEP_1) | instskip(NEXT) | instid1(VALU_DEP_1)
	v_max_i32_e32 v1, v17, v1
	v_mul_hi_u32 v2, v1, s22
	s_delay_alu instid0(VALU_DEP_1) | instskip(NEXT) | instid1(VALU_DEP_1)
	v_mul_lo_u32 v3, v2, s16
	v_sub_nc_u32_e32 v1, v1, v3
	v_add_nc_u32_e32 v3, 1, v2
	s_delay_alu instid0(VALU_DEP_2) | instskip(SKIP_2) | instid1(VALU_DEP_2)
	v_subrev_nc_u32_e32 v4, s16, v1
	v_cmp_le_u32_e32 vcc_lo, s16, v1
	s_wait_alu 0xfffd
	v_dual_cndmask_b32 v2, v2, v3 :: v_dual_cndmask_b32 v1, v1, v4
	v_ashrrev_i32_e32 v3, 31, v17
	s_delay_alu instid0(VALU_DEP_2) | instskip(NEXT) | instid1(VALU_DEP_3)
	v_add_nc_u32_e32 v4, 1, v2
	v_cmp_le_u32_e32 vcc_lo, s16, v1
	s_delay_alu instid0(VALU_DEP_3) | instskip(SKIP_1) | instid1(VALU_DEP_3)
	v_xor_b32_e32 v3, s23, v3
	s_wait_alu 0xfffd
	v_cndmask_b32_e32 v1, v2, v4, vcc_lo
	s_delay_alu instid0(VALU_DEP_1) | instskip(NEXT) | instid1(VALU_DEP_1)
	v_xor_b32_e32 v1, v1, v3
	v_sub_nc_u32_e32 v1, v1, v3
	s_delay_alu instid0(VALU_DEP_1) | instskip(SKIP_1) | instid1(VALU_DEP_2)
	v_add_nc_u32_e32 v2, s21, v1
	v_cmp_lt_i32_e64 s0, s3, v1
	v_sub_nc_u32_e32 v3, 0, v2
	s_delay_alu instid0(VALU_DEP_1) | instskip(SKIP_1) | instid1(VALU_DEP_1)
	v_max_i32_e32 v3, v2, v3
	s_wait_alu 0xfffe
	v_mul_hi_u32 v4, v3, s6
	s_delay_alu instid0(VALU_DEP_1) | instskip(NEXT) | instid1(VALU_DEP_1)
	v_mul_lo_u32 v4, v4, s2
	v_sub_nc_u32_e32 v3, v3, v4
	s_delay_alu instid0(VALU_DEP_1) | instskip(SKIP_2) | instid1(VALU_DEP_2)
	v_subrev_nc_u32_e32 v4, s2, v3
	v_cmp_le_u32_e32 vcc_lo, s2, v3
	s_wait_alu 0xfffd
	v_cndmask_b32_e32 v3, v3, v4, vcc_lo
	v_ashrrev_i32_e32 v2, 31, v2
	s_delay_alu instid0(VALU_DEP_2) | instskip(SKIP_2) | instid1(VALU_DEP_2)
	v_subrev_nc_u32_e32 v4, s2, v3
	v_cmp_le_u32_e32 vcc_lo, s2, v3
	s_wait_alu 0xfffd
	v_cndmask_b32_e32 v3, v3, v4, vcc_lo
	s_delay_alu instid0(VALU_DEP_1) | instskip(NEXT) | instid1(VALU_DEP_1)
	v_xor_b32_e32 v3, v3, v2
	v_sub_nc_u32_e32 v2, v3, v2
	s_delay_alu instid0(VALU_DEP_1)
	v_cmp_eq_u32_e32 vcc_lo, 0, v2
	s_or_b32 s0, vcc_lo, s0
	s_wait_alu 0xfffe
	s_and_saveexec_b32 s12, s0
	s_cbranch_execz .LBB351_37
; %bb.39:                               ;   in Loop: Header=BB351_38 Depth=1
	global_load_b32 v1, v[9:10], off
	v_cmp_eq_u32_e32 vcc_lo, s38, v18
	s_wait_loadcnt 0x0
	v_mad_co_i64_i32 v[13:14], null, v1, s4, v[11:12]
	global_load_b64 v[34:35], v[13:14], off
	ds_load_2addr_b64 v[5:8], v33 offset1:1
	ds_load_2addr_b64 v[1:4], v33 offset0:2 offset1:3
	s_load_b32 s13, s[10:11], 0x0
	s_wait_loadcnt 0x0
	v_and_b32_e32 v36, 0xff, v34
	v_bfe_u32 v37, v34, 8, 8
	v_bfe_u32 v38, v34, 16, 8
	v_lshrrev_b32_e32 v34, 24, v34
	v_bfe_u32 v40, v35, 8, 8
	v_cvt_f32_fp8_e32 v36, v36
	v_and_b32_e32 v39, 0xff, v35
	v_cvt_f32_fp8_e32 v37, v37
	v_cvt_f32_fp8_e32 v38, v38
	v_cvt_f32_fp8_e32 v34, v34
	s_wait_kmcnt 0x0
	v_mul_f32_e32 v36, s13, v36
	v_cvt_f32_fp8_e32 v39, v39
	v_add_nc_u32_e32 v64, v32, v17
	v_bfe_u32 v41, v35, 16, 8
	v_cvt_f32_fp8_e32 v40, v40
	v_mul_f32_e32 v37, s13, v37
	s_delay_alu instid0(VALU_DEP_4) | instskip(SKIP_4) | instid1(VALU_DEP_4)
	v_dual_mul_f32 v39, s13, v39 :: v_dual_add_nc_u32 v72, 1, v64
	v_bfe_u32 v42, v36, 16, 1
	v_dual_mul_f32 v38, s13, v38 :: v_dual_add_nc_u32 v71, 2, v64
	v_or_b32_e32 v43, 0x400000, v36
	v_bfe_u32 v44, v37, 16, 1
	v_add3_u32 v42, v42, v36, 0x7fff
	v_cmp_u_f32_e64 s0, v36, v36
	v_dual_mul_f32 v34, s13, v34 :: v_dual_add_nc_u32 v69, 4, v64
	v_or_b32_e32 v45, 0x400000, v37
	v_bfe_u32 v46, v38, 16, 1
	v_add3_u32 v44, v44, v37, 0x7fff
	s_wait_alu 0xf1ff
	v_cndmask_b32_e64 v36, v42, v43, s0
	v_cmp_u_f32_e64 s0, v37, v37
	v_or_b32_e32 v47, 0x400000, v38
	v_bfe_u32 v48, v34, 16, 1
	v_add3_u32 v46, v46, v38, 0x7fff
	v_lshrrev_b32_e32 v35, 24, v35
	s_wait_alu 0xf1ff
	v_cndmask_b32_e64 v37, v44, v45, s0
	v_cmp_u_f32_e64 s0, v38, v38
	v_cvt_f32_fp8_e32 v41, v41
	v_mul_f32_e32 v40, s13, v40
	v_or_b32_e32 v49, 0x400000, v34
	v_bfe_u32 v50, v39, 16, 1
	v_add3_u32 v48, v48, v34, 0x7fff
	s_wait_alu 0xf1ff
	v_cndmask_b32_e64 v38, v46, v47, s0
	v_cmp_u_f32_e64 s0, v34, v34
	v_dual_mul_f32 v41, s13, v41 :: v_dual_add_nc_u32 v70, 3, v64
	v_cvt_f32_fp8_e32 v35, v35
	v_or_b32_e32 v51, 0x400000, v39
	v_bfe_u32 v52, v40, 16, 1
	v_add3_u32 v50, v50, v39, 0x7fff
	s_wait_alu 0xf1ff
	v_cndmask_b32_e64 v34, v48, v49, s0
	v_cmp_u_f32_e64 s0, v39, v39
	v_dual_mul_f32 v35, s13, v35 :: v_dual_add_nc_u32 v68, 5, v64
	v_or_b32_e32 v53, 0x400000, v40
	v_bfe_u32 v54, v41, 16, 1
	v_add3_u32 v52, v52, v40, 0x7fff
	s_wait_alu 0xf1ff
	v_cndmask_b32_e64 v42, v50, v51, s0
	v_cmp_u_f32_e64 s0, v40, v40
	v_or_b32_e32 v55, 0x400000, v41
	v_bfe_u32 v56, v35, 16, 1
	v_add3_u32 v54, v54, v41, 0x7fff
	v_or_b32_e32 v57, 0x400000, v35
	s_wait_alu 0xf1ff
	v_cndmask_b32_e64 v43, v52, v53, s0
	v_cmp_u_f32_e64 s0, v41, v41
	v_add3_u32 v56, v56, v35, 0x7fff
	v_add_nc_u32_e32 v67, 6, v64
	v_lshrrev_b32_e32 v40, 16, v36
	v_lshrrev_b32_e32 v41, 16, v37
	s_wait_alu 0xf1ff
	v_cndmask_b32_e64 v44, v54, v55, s0
	v_cmp_u_f32_e64 s0, v35, v35
	v_lshrrev_b32_e32 v38, 16, v38
	v_lshrrev_b32_e32 v39, 16, v34
	;; [unrolled: 1-line block ×4, first 2 shown]
	s_wait_alu 0xf1ff
	v_cndmask_b32_e64 v35, v56, v57, s0
	v_lshrrev_b32_e32 v34, 16, v44
	v_add_nc_u32_e32 v73, 7, v64
	s_delay_alu instid0(VALU_DEP_3)
	v_lshrrev_b32_e32 v35, 16, v35
	s_and_saveexec_b32 s14, vcc_lo
	s_cbranch_execz .LBB351_41
; %bb.40:                               ;   in Loop: Header=BB351_38 Depth=1
	v_cmp_gt_i32_e64 s0, s34, v64
	s_wait_alu 0xf1ff
	s_delay_alu instid0(VALU_DEP_1) | instskip(SKIP_2) | instid1(VALU_DEP_1)
	v_cndmask_b32_e64 v40, 0, v40, s0
	v_cmp_gt_i32_e64 s0, s34, v72
	s_wait_alu 0xf1ff
	v_cndmask_b32_e64 v41, 0, v41, s0
	v_cmp_gt_i32_e64 s0, s34, v71
	s_wait_alu 0xf1ff
	s_delay_alu instid0(VALU_DEP_1) | instskip(SKIP_2) | instid1(VALU_DEP_1)
	v_cndmask_b32_e64 v38, 0, v38, s0
	v_cmp_gt_i32_e64 s0, s34, v70
	s_wait_alu 0xf1ff
	v_cndmask_b32_e64 v39, 0, v39, s0
	;; [unrolled: 7-line block ×4, first 2 shown]
.LBB351_41:                             ;   in Loop: Header=BB351_38 Depth=1
	s_wait_alu 0xfffe
	s_or_b32 exec_lo, exec_lo, s14
	global_load_b64 v[42:43], v[13:14], off offset:256
	s_wait_loadcnt 0x0
	v_bfe_u32 v45, v42, 8, 8
	v_bfe_u32 v46, v42, 16, 8
	;; [unrolled: 1-line block ×4, first 2 shown]
	s_delay_alu instid0(VALU_DEP_4)
	v_cvt_f32_fp8_e32 v45, v45
	v_and_b32_e32 v44, 0xff, v42
	v_lshrrev_b32_e32 v42, 24, v42
	v_cvt_f32_fp8_e32 v46, v46
	v_cvt_f32_fp8_e32 v49, v49
	v_mul_f32_e32 v45, s13, v45
	v_cvt_f32_fp8_e32 v44, v44
	v_and_b32_e32 v47, 0xff, v43
	v_cvt_f32_fp8_e32 v42, v42
	v_lshrrev_b32_e32 v43, 24, v43
	v_bfe_u32 v52, v45, 16, 1
	v_mul_f32_e32 v44, s13, v44
	v_cvt_f32_fp8_e32 v47, v47
	v_mul_f32_e32 v46, s13, v46
	v_dual_mul_f32 v42, s13, v42 :: v_dual_mul_f32 v49, s13, v49
	s_delay_alu instid0(VALU_DEP_4)
	v_bfe_u32 v50, v44, 16, 1
	v_or_b32_e32 v51, 0x400000, v44
	v_cmp_u_f32_e64 s0, v44, v44
	v_mul_f32_e32 v47, s13, v47
	v_or_b32_e32 v53, 0x400000, v45
	v_add3_u32 v50, v50, v44, 0x7fff
	v_bfe_u32 v54, v46, 16, 1
	v_add3_u32 v52, v52, v45, 0x7fff
	v_cvt_f32_fp8_e32 v48, v48
	v_or_b32_e32 v55, 0x400000, v46
	s_wait_alu 0xf1ff
	v_cndmask_b32_e64 v44, v50, v51, s0
	v_cmp_u_f32_e64 s0, v45, v45
	v_bfe_u32 v56, v42, 16, 1
	v_add3_u32 v54, v54, v46, 0x7fff
	v_cvt_f32_fp8_e32 v43, v43
	v_mul_f32_e32 v48, s13, v48
	s_wait_alu 0xf1ff
	v_cndmask_b32_e64 v45, v52, v53, s0
	v_cmp_u_f32_e64 s0, v46, v46
	v_or_b32_e32 v57, 0x400000, v42
	v_bfe_u32 v58, v47, 16, 1
	v_add3_u32 v56, v56, v42, 0x7fff
	v_mul_f32_e32 v43, s13, v43
	s_wait_alu 0xf1ff
	v_cndmask_b32_e64 v46, v54, v55, s0
	v_cmp_u_f32_e64 s0, v42, v42
	v_or_b32_e32 v59, 0x400000, v47
	v_bfe_u32 v60, v48, 16, 1
	v_add3_u32 v58, v58, v47, 0x7fff
	v_or_b32_e32 v61, 0x400000, v48
	s_wait_alu 0xf1ff
	v_cndmask_b32_e64 v42, v56, v57, s0
	v_cmp_u_f32_e64 s0, v47, v47
	v_bfe_u32 v62, v49, 16, 1
	v_add3_u32 v60, v60, v48, 0x7fff
	v_or_b32_e32 v63, 0x400000, v49
	v_bfe_u32 v65, v43, 16, 1
	s_wait_alu 0xf1ff
	v_cndmask_b32_e64 v50, v58, v59, s0
	v_cmp_u_f32_e64 s0, v48, v48
	v_add3_u32 v62, v62, v49, 0x7fff
	v_or_b32_e32 v66, 0x400000, v43
	v_add3_u32 v65, v65, v43, 0x7fff
	v_lshrrev_b32_e32 v48, 16, v44
	s_wait_alu 0xf1ff
	v_cndmask_b32_e64 v51, v60, v61, s0
	v_cmp_u_f32_e64 s0, v49, v49
	v_lshrrev_b32_e32 v49, 16, v45
	v_lshrrev_b32_e32 v46, 16, v46
	;; [unrolled: 1-line block ×4, first 2 shown]
	s_wait_alu 0xf1ff
	v_cndmask_b32_e64 v52, v62, v63, s0
	v_cmp_u_f32_e64 s0, v43, v43
	v_lshrrev_b32_e32 v45, 16, v51
	s_delay_alu instid0(VALU_DEP_3) | instskip(SKIP_1) | instid1(VALU_DEP_3)
	v_lshrrev_b32_e32 v42, 16, v52
	s_wait_alu 0xf1ff
	v_cndmask_b32_e64 v43, v65, v66, s0
	s_delay_alu instid0(VALU_DEP_1)
	v_lshrrev_b32_e32 v43, 16, v43
	s_and_saveexec_b32 s14, vcc_lo
	s_cbranch_execz .LBB351_43
; %bb.42:                               ;   in Loop: Header=BB351_38 Depth=1
	v_cmp_gt_i32_e64 s0, s34, v64
	s_wait_alu 0xf1ff
	s_delay_alu instid0(VALU_DEP_1) | instskip(SKIP_2) | instid1(VALU_DEP_1)
	v_cndmask_b32_e64 v48, 0, v48, s0
	v_cmp_gt_i32_e64 s0, s34, v72
	s_wait_alu 0xf1ff
	v_cndmask_b32_e64 v49, 0, v49, s0
	v_cmp_gt_i32_e64 s0, s34, v71
	s_wait_alu 0xf1ff
	s_delay_alu instid0(VALU_DEP_1) | instskip(SKIP_2) | instid1(VALU_DEP_1)
	v_cndmask_b32_e64 v46, 0, v46, s0
	v_cmp_gt_i32_e64 s0, s34, v70
	s_wait_alu 0xf1ff
	v_cndmask_b32_e64 v47, 0, v47, s0
	v_cmp_gt_i32_e64 s0, s34, v69
	s_wait_alu 0xf1ff
	s_delay_alu instid0(VALU_DEP_1) | instskip(SKIP_2) | instid1(VALU_DEP_1)
	v_cndmask_b32_e64 v44, 0, v44, s0
	v_cmp_gt_i32_e64 s0, s34, v68
	s_wait_alu 0xf1ff
	v_cndmask_b32_e64 v45, 0, v45, s0
	v_cmp_gt_i32_e64 s0, s34, v67
	s_wait_alu 0xf1ff
	s_delay_alu instid0(VALU_DEP_1) | instskip(SKIP_2) | instid1(VALU_DEP_1)
	v_cndmask_b32_e64 v42, 0, v42, s0
	v_cmp_gt_i32_e64 s0, s34, v73
	s_wait_alu 0xf1ff
	v_cndmask_b32_e64 v43, 0, v43, s0
.LBB351_43:                             ;   in Loop: Header=BB351_38 Depth=1
	s_wait_alu 0xfffe
	s_or_b32 exec_lo, exec_lo, s14
	global_load_b64 v[50:51], v[13:14], off offset:512
	s_wait_loadcnt 0x0
	v_bfe_u32 v53, v50, 8, 8
	v_bfe_u32 v54, v50, 16, 8
	;; [unrolled: 1-line block ×4, first 2 shown]
	s_delay_alu instid0(VALU_DEP_4)
	v_cvt_f32_fp8_e32 v53, v53
	v_and_b32_e32 v52, 0xff, v50
	v_lshrrev_b32_e32 v50, 24, v50
	v_cvt_f32_fp8_e32 v54, v54
	v_cvt_f32_fp8_e32 v57, v57
	v_mul_f32_e32 v53, s13, v53
	v_cvt_f32_fp8_e32 v52, v52
	v_and_b32_e32 v55, 0xff, v51
	v_cvt_f32_fp8_e32 v50, v50
	v_lshrrev_b32_e32 v51, 24, v51
	v_bfe_u32 v60, v53, 16, 1
	v_mul_f32_e32 v52, s13, v52
	v_cvt_f32_fp8_e32 v55, v55
	v_mul_f32_e32 v54, s13, v54
	v_dual_mul_f32 v50, s13, v50 :: v_dual_mul_f32 v57, s13, v57
	s_delay_alu instid0(VALU_DEP_4)
	v_bfe_u32 v58, v52, 16, 1
	v_or_b32_e32 v59, 0x400000, v52
	v_cmp_u_f32_e64 s0, v52, v52
	v_mul_f32_e32 v55, s13, v55
	v_or_b32_e32 v61, 0x400000, v53
	v_add3_u32 v58, v58, v52, 0x7fff
	v_bfe_u32 v62, v54, 16, 1
	v_add3_u32 v60, v60, v53, 0x7fff
	v_cvt_f32_fp8_e32 v56, v56
	v_or_b32_e32 v63, 0x400000, v54
	s_wait_alu 0xf1ff
	v_cndmask_b32_e64 v52, v58, v59, s0
	v_cmp_u_f32_e64 s0, v53, v53
	v_bfe_u32 v65, v50, 16, 1
	v_add3_u32 v62, v62, v54, 0x7fff
	v_cvt_f32_fp8_e32 v51, v51
	v_mul_f32_e32 v56, s13, v56
	s_wait_alu 0xf1ff
	v_cndmask_b32_e64 v53, v60, v61, s0
	v_cmp_u_f32_e64 s0, v54, v54
	v_or_b32_e32 v66, 0x400000, v50
	v_bfe_u32 v74, v55, 16, 1
	v_add3_u32 v65, v65, v50, 0x7fff
	v_mul_f32_e32 v51, s13, v51
	s_wait_alu 0xf1ff
	v_cndmask_b32_e64 v54, v62, v63, s0
	v_cmp_u_f32_e64 s0, v50, v50
	v_or_b32_e32 v75, 0x400000, v55
	v_bfe_u32 v76, v56, 16, 1
	v_add3_u32 v74, v74, v55, 0x7fff
	v_or_b32_e32 v77, 0x400000, v56
	s_wait_alu 0xf1ff
	v_cndmask_b32_e64 v50, v65, v66, s0
	v_cmp_u_f32_e64 s0, v55, v55
	v_bfe_u32 v78, v57, 16, 1
	v_add3_u32 v76, v76, v56, 0x7fff
	v_or_b32_e32 v79, 0x400000, v57
	v_bfe_u32 v80, v51, 16, 1
	s_wait_alu 0xf1ff
	v_cndmask_b32_e64 v58, v74, v75, s0
	v_cmp_u_f32_e64 s0, v56, v56
	v_add3_u32 v78, v78, v57, 0x7fff
	v_or_b32_e32 v81, 0x400000, v51
	v_add3_u32 v80, v80, v51, 0x7fff
	v_lshrrev_b32_e32 v56, 16, v52
	s_wait_alu 0xf1ff
	v_cndmask_b32_e64 v59, v76, v77, s0
	v_cmp_u_f32_e64 s0, v57, v57
	v_lshrrev_b32_e32 v57, 16, v53
	v_lshrrev_b32_e32 v54, 16, v54
	;; [unrolled: 1-line block ×4, first 2 shown]
	s_wait_alu 0xf1ff
	v_cndmask_b32_e64 v60, v78, v79, s0
	v_cmp_u_f32_e64 s0, v51, v51
	v_lshrrev_b32_e32 v53, 16, v59
	s_delay_alu instid0(VALU_DEP_3) | instskip(SKIP_1) | instid1(VALU_DEP_3)
	v_lshrrev_b32_e32 v50, 16, v60
	s_wait_alu 0xf1ff
	v_cndmask_b32_e64 v51, v80, v81, s0
	s_delay_alu instid0(VALU_DEP_1)
	v_lshrrev_b32_e32 v51, 16, v51
	s_and_saveexec_b32 s14, vcc_lo
	s_cbranch_execz .LBB351_45
; %bb.44:                               ;   in Loop: Header=BB351_38 Depth=1
	v_cmp_gt_i32_e64 s0, s34, v64
	s_wait_alu 0xf1ff
	s_delay_alu instid0(VALU_DEP_1) | instskip(SKIP_2) | instid1(VALU_DEP_1)
	v_cndmask_b32_e64 v56, 0, v56, s0
	v_cmp_gt_i32_e64 s0, s34, v72
	s_wait_alu 0xf1ff
	v_cndmask_b32_e64 v57, 0, v57, s0
	v_cmp_gt_i32_e64 s0, s34, v71
	s_wait_alu 0xf1ff
	s_delay_alu instid0(VALU_DEP_1) | instskip(SKIP_2) | instid1(VALU_DEP_1)
	v_cndmask_b32_e64 v54, 0, v54, s0
	v_cmp_gt_i32_e64 s0, s34, v70
	s_wait_alu 0xf1ff
	v_cndmask_b32_e64 v55, 0, v55, s0
	;; [unrolled: 7-line block ×4, first 2 shown]
.LBB351_45:                             ;   in Loop: Header=BB351_38 Depth=1
	s_wait_alu 0xfffe
	s_or_b32 exec_lo, exec_lo, s14
	global_load_b64 v[58:59], v[13:14], off offset:768
	s_wait_loadcnt 0x0
	v_bfe_u32 v61, v58, 8, 8
	v_bfe_u32 v62, v58, 16, 8
	;; [unrolled: 1-line block ×4, first 2 shown]
	s_delay_alu instid0(VALU_DEP_4)
	v_cvt_f32_fp8_e32 v61, v61
	v_and_b32_e32 v60, 0xff, v58
	v_lshrrev_b32_e32 v58, 24, v58
	v_cvt_f32_fp8_e32 v62, v62
	v_cvt_f32_fp8_e32 v65, v65
	v_mul_f32_e32 v61, s13, v61
	v_cvt_f32_fp8_e32 v60, v60
	v_and_b32_e32 v63, 0xff, v59
	v_cvt_f32_fp8_e32 v58, v58
	v_lshrrev_b32_e32 v59, 24, v59
	v_bfe_u32 v76, v61, 16, 1
	v_mul_f32_e32 v60, s13, v60
	v_cvt_f32_fp8_e32 v63, v63
	v_mul_f32_e32 v62, s13, v62
	v_dual_mul_f32 v58, s13, v58 :: v_dual_mul_f32 v65, s13, v65
	s_delay_alu instid0(VALU_DEP_4)
	v_bfe_u32 v74, v60, 16, 1
	v_or_b32_e32 v75, 0x400000, v60
	v_cmp_u_f32_e64 s0, v60, v60
	v_mul_f32_e32 v63, s13, v63
	v_or_b32_e32 v77, 0x400000, v61
	v_add3_u32 v74, v74, v60, 0x7fff
	v_bfe_u32 v78, v62, 16, 1
	v_add3_u32 v76, v76, v61, 0x7fff
	v_or_b32_e32 v79, 0x400000, v62
	v_bfe_u32 v80, v58, 16, 1
	s_wait_alu 0xf1ff
	v_cndmask_b32_e64 v60, v74, v75, s0
	v_cmp_u_f32_e64 s0, v61, v61
	v_add3_u32 v78, v78, v62, 0x7fff
	v_cvt_f32_fp8_e32 v66, v66
	v_or_b32_e32 v81, 0x400000, v58
	v_bfe_u32 v82, v63, 16, 1
	s_wait_alu 0xf1ff
	v_cndmask_b32_e64 v61, v76, v77, s0
	v_cmp_u_f32_e64 s0, v62, v62
	v_add3_u32 v80, v80, v58, 0x7fff
	v_cvt_f32_fp8_e32 v59, v59
	v_mul_f32_e32 v66, s13, v66
	v_or_b32_e32 v83, 0x400000, v63
	s_wait_alu 0xf1ff
	v_cndmask_b32_e64 v62, v78, v79, s0
	v_cmp_u_f32_e64 s0, v58, v58
	v_bfe_u32 v84, v65, 16, 1
	v_add3_u32 v82, v82, v63, 0x7fff
	v_mul_f32_e32 v59, s13, v59
	v_or_b32_e32 v85, 0x400000, v65
	s_wait_alu 0xf1ff
	v_cndmask_b32_e64 v58, v80, v81, s0
	v_cmp_u_f32_e64 s0, v63, v63
	v_bfe_u32 v86, v66, 16, 1
	v_add3_u32 v84, v84, v65, 0x7fff
	v_or_b32_e32 v87, 0x400000, v66
	v_bfe_u32 v88, v59, 16, 1
	s_wait_alu 0xf1ff
	v_cndmask_b32_e64 v74, v82, v83, s0
	v_cmp_u_f32_e64 s0, v65, v65
	v_add3_u32 v86, v86, v66, 0x7fff
	v_or_b32_e32 v89, 0x400000, v59
	v_add3_u32 v88, v88, v59, 0x7fff
	v_lshrrev_b32_e32 v65, 16, v60
	s_wait_alu 0xf1ff
	v_cndmask_b32_e64 v75, v84, v85, s0
	v_cmp_u_f32_e64 s0, v66, v66
	v_lshrrev_b32_e32 v66, 16, v61
	v_lshrrev_b32_e32 v62, 16, v62
	v_lshrrev_b32_e32 v63, 16, v58
	v_lshrrev_b32_e32 v60, 16, v74
	s_wait_alu 0xf1ff
	v_cndmask_b32_e64 v76, v86, v87, s0
	v_cmp_u_f32_e64 s0, v59, v59
	v_lshrrev_b32_e32 v61, 16, v75
	s_delay_alu instid0(VALU_DEP_3) | instskip(SKIP_1) | instid1(VALU_DEP_3)
	v_lshrrev_b32_e32 v58, 16, v76
	s_wait_alu 0xf1ff
	v_cndmask_b32_e64 v59, v88, v89, s0
	s_delay_alu instid0(VALU_DEP_1)
	v_lshrrev_b32_e32 v59, 16, v59
	s_and_saveexec_b32 s14, vcc_lo
	s_cbranch_execz .LBB351_47
; %bb.46:                               ;   in Loop: Header=BB351_38 Depth=1
	v_cmp_gt_i32_e64 s0, s34, v64
	s_wait_alu 0xf1ff
	s_delay_alu instid0(VALU_DEP_1) | instskip(SKIP_2) | instid1(VALU_DEP_1)
	v_cndmask_b32_e64 v65, 0, v65, s0
	v_cmp_gt_i32_e64 s0, s34, v72
	s_wait_alu 0xf1ff
	v_cndmask_b32_e64 v66, 0, v66, s0
	v_cmp_gt_i32_e64 s0, s34, v71
	s_wait_alu 0xf1ff
	s_delay_alu instid0(VALU_DEP_1) | instskip(SKIP_2) | instid1(VALU_DEP_1)
	v_cndmask_b32_e64 v62, 0, v62, s0
	v_cmp_gt_i32_e64 s0, s34, v70
	s_wait_alu 0xf1ff
	v_cndmask_b32_e64 v63, 0, v63, s0
	;; [unrolled: 7-line block ×4, first 2 shown]
.LBB351_47:                             ;   in Loop: Header=BB351_38 Depth=1
	s_wait_alu 0xfffe
	s_or_b32 exec_lo, exec_lo, s14
	global_load_b64 v[74:75], v[13:14], off offset:1024
	s_wait_loadcnt 0x0
	v_bfe_u32 v77, v74, 8, 8
	v_bfe_u32 v78, v74, 16, 8
	;; [unrolled: 1-line block ×4, first 2 shown]
	s_delay_alu instid0(VALU_DEP_4)
	v_cvt_f32_fp8_e32 v77, v77
	v_and_b32_e32 v76, 0xff, v74
	v_lshrrev_b32_e32 v74, 24, v74
	v_cvt_f32_fp8_e32 v78, v78
	v_cvt_f32_fp8_e32 v81, v81
	v_mul_f32_e32 v77, s13, v77
	v_cvt_f32_fp8_e32 v76, v76
	v_and_b32_e32 v79, 0xff, v75
	v_cvt_f32_fp8_e32 v74, v74
	v_lshrrev_b32_e32 v75, 24, v75
	v_bfe_u32 v84, v77, 16, 1
	v_mul_f32_e32 v76, s13, v76
	v_cvt_f32_fp8_e32 v79, v79
	v_mul_f32_e32 v78, s13, v78
	v_dual_mul_f32 v74, s13, v74 :: v_dual_mul_f32 v81, s13, v81
	s_delay_alu instid0(VALU_DEP_4)
	v_bfe_u32 v82, v76, 16, 1
	v_or_b32_e32 v83, 0x400000, v76
	v_cmp_u_f32_e64 s0, v76, v76
	v_mul_f32_e32 v79, s13, v79
	v_or_b32_e32 v85, 0x400000, v77
	v_add3_u32 v82, v82, v76, 0x7fff
	v_bfe_u32 v86, v78, 16, 1
	v_add3_u32 v84, v84, v77, 0x7fff
	v_cvt_f32_fp8_e32 v80, v80
	v_or_b32_e32 v87, 0x400000, v78
	s_wait_alu 0xf1ff
	v_cndmask_b32_e64 v76, v82, v83, s0
	v_cmp_u_f32_e64 s0, v77, v77
	v_bfe_u32 v88, v74, 16, 1
	v_add3_u32 v86, v86, v78, 0x7fff
	v_cvt_f32_fp8_e32 v75, v75
	v_mul_f32_e32 v80, s13, v80
	s_wait_alu 0xf1ff
	v_cndmask_b32_e64 v77, v84, v85, s0
	v_cmp_u_f32_e64 s0, v78, v78
	v_or_b32_e32 v89, 0x400000, v74
	v_bfe_u32 v90, v79, 16, 1
	v_add3_u32 v88, v88, v74, 0x7fff
	v_mul_f32_e32 v75, s13, v75
	s_wait_alu 0xf1ff
	v_cndmask_b32_e64 v78, v86, v87, s0
	v_cmp_u_f32_e64 s0, v74, v74
	v_or_b32_e32 v91, 0x400000, v79
	v_bfe_u32 v92, v80, 16, 1
	v_add3_u32 v90, v90, v79, 0x7fff
	v_or_b32_e32 v93, 0x400000, v80
	s_wait_alu 0xf1ff
	v_cndmask_b32_e64 v74, v88, v89, s0
	v_cmp_u_f32_e64 s0, v79, v79
	v_bfe_u32 v94, v81, 16, 1
	v_add3_u32 v92, v92, v80, 0x7fff
	v_or_b32_e32 v95, 0x400000, v81
	v_bfe_u32 v96, v75, 16, 1
	s_wait_alu 0xf1ff
	v_cndmask_b32_e64 v82, v90, v91, s0
	v_cmp_u_f32_e64 s0, v80, v80
	v_add3_u32 v94, v94, v81, 0x7fff
	v_or_b32_e32 v97, 0x400000, v75
	v_add3_u32 v96, v96, v75, 0x7fff
	v_lshrrev_b32_e32 v80, 16, v76
	s_wait_alu 0xf1ff
	v_cndmask_b32_e64 v83, v92, v93, s0
	v_cmp_u_f32_e64 s0, v81, v81
	v_lshrrev_b32_e32 v81, 16, v77
	v_lshrrev_b32_e32 v78, 16, v78
	;; [unrolled: 1-line block ×4, first 2 shown]
	s_wait_alu 0xf1ff
	v_cndmask_b32_e64 v84, v94, v95, s0
	v_cmp_u_f32_e64 s0, v75, v75
	v_lshrrev_b32_e32 v77, 16, v83
	s_delay_alu instid0(VALU_DEP_3) | instskip(SKIP_1) | instid1(VALU_DEP_3)
	v_lshrrev_b32_e32 v74, 16, v84
	s_wait_alu 0xf1ff
	v_cndmask_b32_e64 v75, v96, v97, s0
	s_delay_alu instid0(VALU_DEP_1)
	v_lshrrev_b32_e32 v75, 16, v75
	s_and_saveexec_b32 s14, vcc_lo
	s_cbranch_execz .LBB351_49
; %bb.48:                               ;   in Loop: Header=BB351_38 Depth=1
	v_cmp_gt_i32_e64 s0, s34, v64
	s_wait_alu 0xf1ff
	s_delay_alu instid0(VALU_DEP_1) | instskip(SKIP_2) | instid1(VALU_DEP_1)
	v_cndmask_b32_e64 v80, 0, v80, s0
	v_cmp_gt_i32_e64 s0, s34, v72
	s_wait_alu 0xf1ff
	v_cndmask_b32_e64 v81, 0, v81, s0
	v_cmp_gt_i32_e64 s0, s34, v71
	s_wait_alu 0xf1ff
	s_delay_alu instid0(VALU_DEP_1) | instskip(SKIP_2) | instid1(VALU_DEP_1)
	v_cndmask_b32_e64 v78, 0, v78, s0
	v_cmp_gt_i32_e64 s0, s34, v70
	s_wait_alu 0xf1ff
	v_cndmask_b32_e64 v79, 0, v79, s0
	v_cmp_gt_i32_e64 s0, s34, v69
	s_wait_alu 0xf1ff
	s_delay_alu instid0(VALU_DEP_1) | instskip(SKIP_2) | instid1(VALU_DEP_1)
	v_cndmask_b32_e64 v76, 0, v76, s0
	v_cmp_gt_i32_e64 s0, s34, v68
	s_wait_alu 0xf1ff
	v_cndmask_b32_e64 v77, 0, v77, s0
	v_cmp_gt_i32_e64 s0, s34, v67
	s_wait_alu 0xf1ff
	s_delay_alu instid0(VALU_DEP_1) | instskip(SKIP_2) | instid1(VALU_DEP_1)
	v_cndmask_b32_e64 v74, 0, v74, s0
	v_cmp_gt_i32_e64 s0, s34, v73
	s_wait_alu 0xf1ff
	v_cndmask_b32_e64 v75, 0, v75, s0
.LBB351_49:                             ;   in Loop: Header=BB351_38 Depth=1
	s_wait_alu 0xfffe
	s_or_b32 exec_lo, exec_lo, s14
	global_load_b64 v[82:83], v[13:14], off offset:1280
	s_wait_loadcnt 0x0
	v_bfe_u32 v85, v82, 8, 8
	v_bfe_u32 v86, v82, 16, 8
	;; [unrolled: 1-line block ×4, first 2 shown]
	s_delay_alu instid0(VALU_DEP_4)
	v_cvt_f32_fp8_e32 v85, v85
	v_and_b32_e32 v84, 0xff, v82
	v_lshrrev_b32_e32 v82, 24, v82
	v_cvt_f32_fp8_e32 v86, v86
	v_cvt_f32_fp8_e32 v89, v89
	v_mul_f32_e32 v85, s13, v85
	v_cvt_f32_fp8_e32 v84, v84
	v_and_b32_e32 v87, 0xff, v83
	v_cvt_f32_fp8_e32 v82, v82
	v_lshrrev_b32_e32 v83, 24, v83
	v_bfe_u32 v92, v85, 16, 1
	v_mul_f32_e32 v84, s13, v84
	v_cvt_f32_fp8_e32 v87, v87
	v_mul_f32_e32 v86, s13, v86
	v_dual_mul_f32 v82, s13, v82 :: v_dual_mul_f32 v89, s13, v89
	s_delay_alu instid0(VALU_DEP_4)
	v_bfe_u32 v90, v84, 16, 1
	v_or_b32_e32 v91, 0x400000, v84
	v_cmp_u_f32_e64 s0, v84, v84
	v_mul_f32_e32 v87, s13, v87
	v_or_b32_e32 v93, 0x400000, v85
	v_add3_u32 v90, v90, v84, 0x7fff
	v_bfe_u32 v94, v86, 16, 1
	v_add3_u32 v92, v92, v85, 0x7fff
	v_cvt_f32_fp8_e32 v88, v88
	v_or_b32_e32 v95, 0x400000, v86
	s_wait_alu 0xf1ff
	v_cndmask_b32_e64 v84, v90, v91, s0
	v_cmp_u_f32_e64 s0, v85, v85
	v_bfe_u32 v96, v82, 16, 1
	v_add3_u32 v94, v94, v86, 0x7fff
	v_cvt_f32_fp8_e32 v83, v83
	v_mul_f32_e32 v88, s13, v88
	s_wait_alu 0xf1ff
	v_cndmask_b32_e64 v85, v92, v93, s0
	v_cmp_u_f32_e64 s0, v86, v86
	v_or_b32_e32 v97, 0x400000, v82
	v_bfe_u32 v98, v87, 16, 1
	v_add3_u32 v96, v96, v82, 0x7fff
	v_mul_f32_e32 v83, s13, v83
	s_wait_alu 0xf1ff
	v_cndmask_b32_e64 v86, v94, v95, s0
	v_cmp_u_f32_e64 s0, v82, v82
	v_or_b32_e32 v99, 0x400000, v87
	v_bfe_u32 v100, v88, 16, 1
	v_add3_u32 v98, v98, v87, 0x7fff
	v_or_b32_e32 v101, 0x400000, v88
	s_wait_alu 0xf1ff
	v_cndmask_b32_e64 v82, v96, v97, s0
	v_cmp_u_f32_e64 s0, v87, v87
	v_bfe_u32 v102, v89, 16, 1
	v_add3_u32 v100, v100, v88, 0x7fff
	v_or_b32_e32 v103, 0x400000, v89
	v_bfe_u32 v104, v83, 16, 1
	s_wait_alu 0xf1ff
	v_cndmask_b32_e64 v87, v98, v99, s0
	v_cmp_u_f32_e64 s0, v88, v88
	v_add3_u32 v102, v102, v89, 0x7fff
	v_or_b32_e32 v105, 0x400000, v83
	v_add3_u32 v104, v104, v83, 0x7fff
	v_lshrrev_b32_e32 v90, 16, v84
	s_wait_alu 0xf1ff
	v_cndmask_b32_e64 v92, v100, v101, s0
	v_cmp_u_f32_e64 s0, v89, v89
	v_lshrrev_b32_e32 v91, 16, v85
	v_lshrrev_b32_e32 v86, 16, v86
	;; [unrolled: 1-line block ×4, first 2 shown]
	s_wait_alu 0xf1ff
	v_cndmask_b32_e64 v89, v102, v103, s0
	v_cmp_u_f32_e64 s0, v83, v83
	v_lshrrev_b32_e32 v85, 16, v92
	s_delay_alu instid0(VALU_DEP_3) | instskip(SKIP_1) | instid1(VALU_DEP_3)
	v_lshrrev_b32_e32 v82, 16, v89
	s_wait_alu 0xf1ff
	v_cndmask_b32_e64 v83, v104, v105, s0
	s_delay_alu instid0(VALU_DEP_1)
	v_lshrrev_b32_e32 v83, 16, v83
	s_and_saveexec_b32 s14, vcc_lo
	s_cbranch_execz .LBB351_51
; %bb.50:                               ;   in Loop: Header=BB351_38 Depth=1
	v_cmp_gt_i32_e64 s0, s34, v64
	s_wait_alu 0xf1ff
	s_delay_alu instid0(VALU_DEP_1) | instskip(SKIP_2) | instid1(VALU_DEP_1)
	v_cndmask_b32_e64 v90, 0, v90, s0
	v_cmp_gt_i32_e64 s0, s34, v72
	s_wait_alu 0xf1ff
	v_cndmask_b32_e64 v91, 0, v91, s0
	v_cmp_gt_i32_e64 s0, s34, v71
	s_wait_alu 0xf1ff
	s_delay_alu instid0(VALU_DEP_1) | instskip(SKIP_2) | instid1(VALU_DEP_1)
	v_cndmask_b32_e64 v86, 0, v86, s0
	v_cmp_gt_i32_e64 s0, s34, v70
	s_wait_alu 0xf1ff
	v_cndmask_b32_e64 v88, 0, v88, s0
	;; [unrolled: 7-line block ×4, first 2 shown]
.LBB351_51:                             ;   in Loop: Header=BB351_38 Depth=1
	s_wait_alu 0xfffe
	s_or_b32 exec_lo, exec_lo, s14
	global_load_b64 v[92:93], v[13:14], off offset:1536
	s_wait_loadcnt 0x0
	v_bfe_u32 v94, v92, 16, 8
	v_bfe_u32 v89, v92, 8, 8
	v_bfe_u32 v96, v93, 8, 8
	v_bfe_u32 v97, v93, 16, 8
	s_delay_alu instid0(VALU_DEP_4)
	v_cvt_f32_fp8_e32 v94, v94
	v_and_b32_e32 v87, 0xff, v92
	v_cvt_f32_fp8_e32 v89, v89
	v_cvt_f32_fp8_e32 v96, v96
	v_lshrrev_b32_e32 v92, 24, v92
	v_mul_f32_e32 v94, s13, v94
	v_cvt_f32_fp8_e32 v87, v87
	v_mul_f32_e32 v89, s13, v89
	v_cvt_f32_fp8_e32 v97, v97
	v_cvt_f32_fp8_e32 v92, v92
	s_delay_alu instid0(VALU_DEP_4) | instskip(SKIP_2) | instid1(VALU_DEP_4)
	v_dual_mul_f32 v96, s13, v96 :: v_dual_mul_f32 v87, s13, v87
	v_and_b32_e32 v95, 0xff, v93
	v_bfe_u32 v100, v89, 16, 1
	v_mul_f32_e32 v92, s13, v92
	v_or_b32_e32 v101, 0x400000, v89
	v_bfe_u32 v98, v87, 16, 1
	v_or_b32_e32 v99, 0x400000, v87
	v_cmp_u_f32_e64 s0, v87, v87
	v_cvt_f32_fp8_e32 v95, v95
	v_bfe_u32 v102, v94, 16, 1
	v_add3_u32 v98, v98, v87, 0x7fff
	v_add3_u32 v100, v100, v89, 0x7fff
	v_or_b32_e32 v103, 0x400000, v94
	v_mul_f32_e32 v95, s13, v95
	v_bfe_u32 v104, v92, 16, 1
	s_wait_alu 0xf1ff
	v_cndmask_b32_e64 v87, v98, v99, s0
	v_cmp_u_f32_e64 s0, v89, v89
	v_add3_u32 v102, v102, v94, 0x7fff
	v_lshrrev_b32_e32 v93, 24, v93
	v_or_b32_e32 v105, 0x400000, v92
	v_bfe_u32 v106, v95, 16, 1
	s_wait_alu 0xf1ff
	v_cndmask_b32_e64 v89, v100, v101, s0
	v_cmp_u_f32_e64 s0, v94, v94
	v_add3_u32 v104, v104, v92, 0x7fff
	v_cvt_f32_fp8_e32 v93, v93
	v_mul_f32_e32 v97, s13, v97
	v_or_b32_e32 v107, 0x400000, v95
	s_wait_alu 0xf1ff
	v_cndmask_b32_e64 v94, v102, v103, s0
	v_cmp_u_f32_e64 s0, v92, v92
	v_bfe_u32 v108, v96, 16, 1
	v_add3_u32 v106, v106, v95, 0x7fff
	v_mul_f32_e32 v93, s13, v93
	v_or_b32_e32 v109, 0x400000, v96
	s_wait_alu 0xf1ff
	v_cndmask_b32_e64 v92, v104, v105, s0
	v_cmp_u_f32_e64 s0, v95, v95
	v_bfe_u32 v110, v97, 16, 1
	v_add3_u32 v108, v108, v96, 0x7fff
	v_or_b32_e32 v111, 0x400000, v97
	v_bfe_u32 v112, v93, 16, 1
	s_wait_alu 0xf1ff
	v_cndmask_b32_e64 v95, v106, v107, s0
	v_cmp_u_f32_e64 s0, v96, v96
	v_add3_u32 v110, v110, v97, 0x7fff
	v_or_b32_e32 v113, 0x400000, v93
	v_add3_u32 v112, v112, v93, 0x7fff
	v_lshrrev_b32_e32 v102, 16, v87
	s_wait_alu 0xf1ff
	v_cndmask_b32_e64 v96, v108, v109, s0
	v_cmp_u_f32_e64 s0, v97, v97
	v_lshrrev_b32_e32 v103, 16, v89
	v_lshrrev_b32_e32 v100, 16, v94
	;; [unrolled: 1-line block ×4, first 2 shown]
	s_wait_alu 0xf1ff
	v_cndmask_b32_e64 v97, v110, v111, s0
	v_cmp_u_f32_e64 s0, v93, v93
	v_lshrrev_b32_e32 v99, 16, v96
	s_delay_alu instid0(VALU_DEP_3) | instskip(SKIP_1) | instid1(VALU_DEP_3)
	v_lshrrev_b32_e32 v96, 16, v97
	s_wait_alu 0xf1ff
	v_cndmask_b32_e64 v93, v112, v113, s0
	s_delay_alu instid0(VALU_DEP_1)
	v_lshrrev_b32_e32 v97, 16, v93
	s_and_saveexec_b32 s14, vcc_lo
	s_cbranch_execz .LBB351_53
; %bb.52:                               ;   in Loop: Header=BB351_38 Depth=1
	v_cmp_gt_i32_e64 s0, s34, v64
	s_wait_alu 0xf1ff
	s_delay_alu instid0(VALU_DEP_1) | instskip(SKIP_2) | instid1(VALU_DEP_1)
	v_cndmask_b32_e64 v102, 0, v102, s0
	v_cmp_gt_i32_e64 s0, s34, v72
	s_wait_alu 0xf1ff
	v_cndmask_b32_e64 v103, 0, v103, s0
	v_cmp_gt_i32_e64 s0, s34, v71
	s_wait_alu 0xf1ff
	s_delay_alu instid0(VALU_DEP_1) | instskip(SKIP_2) | instid1(VALU_DEP_1)
	v_cndmask_b32_e64 v100, 0, v100, s0
	v_cmp_gt_i32_e64 s0, s34, v70
	s_wait_alu 0xf1ff
	v_cndmask_b32_e64 v101, 0, v101, s0
	;; [unrolled: 7-line block ×4, first 2 shown]
.LBB351_53:                             ;   in Loop: Header=BB351_38 Depth=1
	s_wait_alu 0xfffe
	s_or_b32 exec_lo, exec_lo, s14
	global_load_b64 v[92:93], v[13:14], off offset:1792
	s_wait_loadcnt 0x0
	v_bfe_u32 v94, v92, 16, 8
	v_bfe_u32 v89, v92, 8, 8
	;; [unrolled: 1-line block ×4, first 2 shown]
	s_delay_alu instid0(VALU_DEP_4)
	v_cvt_f32_fp8_e32 v94, v94
	v_and_b32_e32 v87, 0xff, v92
	v_cvt_f32_fp8_e32 v89, v89
	v_cvt_f32_fp8_e32 v104, v104
	v_lshrrev_b32_e32 v92, 24, v92
	v_mul_f32_e32 v94, s13, v94
	v_cvt_f32_fp8_e32 v87, v87
	v_mul_f32_e32 v89, s13, v89
	v_cvt_f32_fp8_e32 v105, v105
	v_cvt_f32_fp8_e32 v92, v92
	s_delay_alu instid0(VALU_DEP_4) | instskip(SKIP_2) | instid1(VALU_DEP_4)
	v_dual_mul_f32 v104, s13, v104 :: v_dual_mul_f32 v87, s13, v87
	v_and_b32_e32 v95, 0xff, v93
	v_bfe_u32 v108, v89, 16, 1
	v_mul_f32_e32 v92, s13, v92
	v_or_b32_e32 v109, 0x400000, v89
	v_bfe_u32 v106, v87, 16, 1
	v_or_b32_e32 v107, 0x400000, v87
	v_cmp_u_f32_e64 s0, v87, v87
	v_cvt_f32_fp8_e32 v95, v95
	v_bfe_u32 v110, v94, 16, 1
	v_add3_u32 v106, v106, v87, 0x7fff
	v_add3_u32 v108, v108, v89, 0x7fff
	v_or_b32_e32 v111, 0x400000, v94
	v_mul_f32_e32 v95, s13, v95
	v_bfe_u32 v112, v92, 16, 1
	s_wait_alu 0xf1ff
	v_cndmask_b32_e64 v87, v106, v107, s0
	v_cmp_u_f32_e64 s0, v89, v89
	v_add3_u32 v110, v110, v94, 0x7fff
	v_lshrrev_b32_e32 v93, 24, v93
	v_or_b32_e32 v113, 0x400000, v92
	v_bfe_u32 v114, v95, 16, 1
	s_wait_alu 0xf1ff
	v_cndmask_b32_e64 v89, v108, v109, s0
	v_cmp_u_f32_e64 s0, v94, v94
	v_add3_u32 v112, v112, v92, 0x7fff
	v_cvt_f32_fp8_e32 v93, v93
	v_mul_f32_e32 v105, s13, v105
	v_or_b32_e32 v115, 0x400000, v95
	s_wait_alu 0xf1ff
	v_cndmask_b32_e64 v94, v110, v111, s0
	v_cmp_u_f32_e64 s0, v92, v92
	v_bfe_u32 v116, v104, 16, 1
	v_add3_u32 v114, v114, v95, 0x7fff
	v_mul_f32_e32 v93, s13, v93
	v_or_b32_e32 v117, 0x400000, v104
	s_wait_alu 0xf1ff
	v_cndmask_b32_e64 v92, v112, v113, s0
	v_cmp_u_f32_e64 s0, v95, v95
	v_bfe_u32 v118, v105, 16, 1
	v_add3_u32 v116, v116, v104, 0x7fff
	v_or_b32_e32 v119, 0x400000, v105
	v_bfe_u32 v120, v93, 16, 1
	s_wait_alu 0xf1ff
	v_cndmask_b32_e64 v95, v114, v115, s0
	v_cmp_u_f32_e64 s0, v104, v104
	v_add3_u32 v118, v118, v105, 0x7fff
	v_or_b32_e32 v121, 0x400000, v93
	v_add3_u32 v120, v120, v93, 0x7fff
	v_lshrrev_b32_e32 v110, 16, v87
	s_wait_alu 0xf1ff
	v_cndmask_b32_e64 v104, v116, v117, s0
	v_cmp_u_f32_e64 s0, v105, v105
	v_lshrrev_b32_e32 v111, 16, v89
	v_lshrrev_b32_e32 v108, 16, v94
	;; [unrolled: 1-line block ×4, first 2 shown]
	s_wait_alu 0xf1ff
	v_cndmask_b32_e64 v105, v118, v119, s0
	v_cmp_u_f32_e64 s0, v93, v93
	v_lshrrev_b32_e32 v107, 16, v104
	s_delay_alu instid0(VALU_DEP_3) | instskip(SKIP_1) | instid1(VALU_DEP_3)
	v_lshrrev_b32_e32 v104, 16, v105
	s_wait_alu 0xf1ff
	v_cndmask_b32_e64 v93, v120, v121, s0
	s_delay_alu instid0(VALU_DEP_1)
	v_lshrrev_b32_e32 v105, 16, v93
	s_and_saveexec_b32 s14, vcc_lo
	s_cbranch_execz .LBB351_55
; %bb.54:                               ;   in Loop: Header=BB351_38 Depth=1
	v_cmp_gt_i32_e64 s0, s34, v64
	s_wait_alu 0xf1ff
	s_delay_alu instid0(VALU_DEP_1) | instskip(SKIP_2) | instid1(VALU_DEP_1)
	v_cndmask_b32_e64 v110, 0, v110, s0
	v_cmp_gt_i32_e64 s0, s34, v72
	s_wait_alu 0xf1ff
	v_cndmask_b32_e64 v111, 0, v111, s0
	v_cmp_gt_i32_e64 s0, s34, v71
	s_wait_alu 0xf1ff
	s_delay_alu instid0(VALU_DEP_1) | instskip(SKIP_2) | instid1(VALU_DEP_1)
	v_cndmask_b32_e64 v108, 0, v108, s0
	v_cmp_gt_i32_e64 s0, s34, v70
	s_wait_alu 0xf1ff
	v_cndmask_b32_e64 v109, 0, v109, s0
	;; [unrolled: 7-line block ×4, first 2 shown]
.LBB351_55:                             ;   in Loop: Header=BB351_38 Depth=1
	s_wait_alu 0xfffe
	s_or_b32 exec_lo, exec_lo, s14
	global_load_b64 v[92:93], v[13:14], off offset:2048
	s_wait_loadcnt 0x0
	v_bfe_u32 v94, v92, 16, 8
	v_bfe_u32 v89, v92, 8, 8
	;; [unrolled: 1-line block ×4, first 2 shown]
	s_delay_alu instid0(VALU_DEP_4)
	v_cvt_f32_fp8_e32 v94, v94
	v_and_b32_e32 v87, 0xff, v92
	v_cvt_f32_fp8_e32 v89, v89
	v_cvt_f32_fp8_e32 v112, v112
	v_lshrrev_b32_e32 v92, 24, v92
	v_mul_f32_e32 v94, s13, v94
	v_cvt_f32_fp8_e32 v87, v87
	v_mul_f32_e32 v89, s13, v89
	v_cvt_f32_fp8_e32 v113, v113
	v_cvt_f32_fp8_e32 v92, v92
	s_delay_alu instid0(VALU_DEP_4) | instskip(SKIP_2) | instid1(VALU_DEP_4)
	v_dual_mul_f32 v112, s13, v112 :: v_dual_mul_f32 v87, s13, v87
	v_and_b32_e32 v95, 0xff, v93
	v_bfe_u32 v116, v89, 16, 1
	v_mul_f32_e32 v92, s13, v92
	v_or_b32_e32 v117, 0x400000, v89
	v_bfe_u32 v114, v87, 16, 1
	v_or_b32_e32 v115, 0x400000, v87
	v_cmp_u_f32_e64 s0, v87, v87
	v_cvt_f32_fp8_e32 v95, v95
	v_bfe_u32 v118, v94, 16, 1
	v_add3_u32 v114, v114, v87, 0x7fff
	v_add3_u32 v116, v116, v89, 0x7fff
	v_or_b32_e32 v119, 0x400000, v94
	v_mul_f32_e32 v95, s13, v95
	v_bfe_u32 v120, v92, 16, 1
	s_wait_alu 0xf1ff
	v_cndmask_b32_e64 v87, v114, v115, s0
	v_cmp_u_f32_e64 s0, v89, v89
	v_add3_u32 v118, v118, v94, 0x7fff
	v_lshrrev_b32_e32 v93, 24, v93
	v_or_b32_e32 v121, 0x400000, v92
	v_bfe_u32 v122, v95, 16, 1
	s_wait_alu 0xf1ff
	v_cndmask_b32_e64 v89, v116, v117, s0
	v_cmp_u_f32_e64 s0, v94, v94
	v_add3_u32 v120, v120, v92, 0x7fff
	v_cvt_f32_fp8_e32 v93, v93
	v_mul_f32_e32 v113, s13, v113
	v_or_b32_e32 v123, 0x400000, v95
	s_wait_alu 0xf1ff
	v_cndmask_b32_e64 v94, v118, v119, s0
	v_cmp_u_f32_e64 s0, v92, v92
	v_bfe_u32 v124, v112, 16, 1
	v_add3_u32 v122, v122, v95, 0x7fff
	v_mul_f32_e32 v93, s13, v93
	v_or_b32_e32 v125, 0x400000, v112
	s_wait_alu 0xf1ff
	v_cndmask_b32_e64 v92, v120, v121, s0
	v_cmp_u_f32_e64 s0, v95, v95
	v_bfe_u32 v126, v113, 16, 1
	v_add3_u32 v124, v124, v112, 0x7fff
	v_or_b32_e32 v127, 0x400000, v113
	v_bfe_u32 v128, v93, 16, 1
	s_wait_alu 0xf1ff
	v_cndmask_b32_e64 v95, v122, v123, s0
	v_cmp_u_f32_e64 s0, v112, v112
	v_add3_u32 v126, v126, v113, 0x7fff
	v_or_b32_e32 v129, 0x400000, v93
	v_add3_u32 v128, v128, v93, 0x7fff
	v_lshrrev_b32_e32 v118, 16, v87
	s_wait_alu 0xf1ff
	v_cndmask_b32_e64 v112, v124, v125, s0
	v_cmp_u_f32_e64 s0, v113, v113
	v_lshrrev_b32_e32 v119, 16, v89
	v_lshrrev_b32_e32 v116, 16, v94
	;; [unrolled: 1-line block ×4, first 2 shown]
	s_wait_alu 0xf1ff
	v_cndmask_b32_e64 v113, v126, v127, s0
	v_cmp_u_f32_e64 s0, v93, v93
	v_lshrrev_b32_e32 v115, 16, v112
	s_delay_alu instid0(VALU_DEP_3) | instskip(SKIP_1) | instid1(VALU_DEP_3)
	v_lshrrev_b32_e32 v112, 16, v113
	s_wait_alu 0xf1ff
	v_cndmask_b32_e64 v93, v128, v129, s0
	s_delay_alu instid0(VALU_DEP_1)
	v_lshrrev_b32_e32 v113, 16, v93
	s_and_saveexec_b32 s14, vcc_lo
	s_cbranch_execz .LBB351_57
; %bb.56:                               ;   in Loop: Header=BB351_38 Depth=1
	v_cmp_gt_i32_e64 s0, s34, v64
	s_wait_alu 0xf1ff
	s_delay_alu instid0(VALU_DEP_1) | instskip(SKIP_2) | instid1(VALU_DEP_1)
	v_cndmask_b32_e64 v118, 0, v118, s0
	v_cmp_gt_i32_e64 s0, s34, v72
	s_wait_alu 0xf1ff
	v_cndmask_b32_e64 v119, 0, v119, s0
	v_cmp_gt_i32_e64 s0, s34, v71
	s_wait_alu 0xf1ff
	s_delay_alu instid0(VALU_DEP_1) | instskip(SKIP_2) | instid1(VALU_DEP_1)
	v_cndmask_b32_e64 v116, 0, v116, s0
	v_cmp_gt_i32_e64 s0, s34, v70
	s_wait_alu 0xf1ff
	v_cndmask_b32_e64 v117, 0, v117, s0
	;; [unrolled: 7-line block ×4, first 2 shown]
.LBB351_57:                             ;   in Loop: Header=BB351_38 Depth=1
	s_wait_alu 0xfffe
	s_or_b32 exec_lo, exec_lo, s14
	global_load_b64 v[13:14], v[13:14], off offset:2304
	s_wait_loadcnt 0x0
	v_bfe_u32 v92, v13, 16, 8
	v_bfe_u32 v89, v13, 8, 8
	;; [unrolled: 1-line block ×3, first 2 shown]
	v_and_b32_e32 v93, 0xff, v14
	v_bfe_u32 v95, v14, 16, 8
	v_cvt_f32_fp8_e32 v92, v92
	v_and_b32_e32 v87, 0xff, v13
	v_lshrrev_b32_e32 v14, 24, v14
	v_cvt_f32_fp8_e32 v89, v89
	v_cvt_f32_fp8_e32 v94, v94
	v_mul_f32_e32 v92, s13, v92
	v_cvt_f32_fp8_e32 v87, v87
	v_lshrrev_b32_e32 v13, 24, v13
	v_cvt_f32_fp8_e32 v14, v14
	v_dual_mul_f32 v89, s13, v89 :: v_dual_mul_f32 v94, s13, v94
	s_delay_alu instid0(VALU_DEP_4) | instskip(NEXT) | instid1(VALU_DEP_4)
	v_mul_f32_e32 v87, s13, v87
	v_cvt_f32_fp8_e32 v13, v13
	s_delay_alu instid0(VALU_DEP_4) | instskip(NEXT) | instid1(VALU_DEP_4)
	v_mul_f32_e32 v14, s13, v14
	v_bfe_u32 v122, v89, 16, 1
	v_cvt_f32_fp8_e32 v93, v93
	v_bfe_u32 v120, v87, 16, 1
	v_or_b32_e32 v121, 0x400000, v87
	v_cmp_u_f32_e64 s0, v87, v87
	v_mul_f32_e32 v13, s13, v13
	v_or_b32_e32 v123, 0x400000, v89
	v_add3_u32 v120, v120, v87, 0x7fff
	v_bfe_u32 v124, v92, 16, 1
	v_add3_u32 v122, v122, v89, 0x7fff
	v_mul_f32_e32 v93, s13, v93
	v_or_b32_e32 v125, 0x400000, v92
	s_wait_alu 0xf1ff
	v_cndmask_b32_e64 v87, v120, v121, s0
	v_cmp_u_f32_e64 s0, v89, v89
	v_bfe_u32 v126, v13, 16, 1
	v_add3_u32 v124, v124, v92, 0x7fff
	v_cvt_f32_fp8_e32 v95, v95
	v_or_b32_e32 v127, 0x400000, v13
	s_wait_alu 0xf1ff
	v_cndmask_b32_e64 v89, v122, v123, s0
	v_cmp_u_f32_e64 s0, v92, v92
	v_bfe_u32 v128, v93, 16, 1
	v_add3_u32 v126, v126, v13, 0x7fff
	v_mul_f32_e32 v95, s13, v95
	v_or_b32_e32 v129, 0x400000, v93
	s_wait_alu 0xf1ff
	v_cndmask_b32_e64 v92, v124, v125, s0
	v_cmp_u_f32_e64 s0, v13, v13
	v_bfe_u32 v130, v94, 16, 1
	v_add3_u32 v128, v128, v93, 0x7fff
	v_or_b32_e32 v131, 0x400000, v94
	v_bfe_u32 v132, v95, 16, 1
	s_wait_alu 0xf1ff
	v_cndmask_b32_e64 v13, v126, v127, s0
	v_cmp_u_f32_e64 s0, v93, v93
	v_add3_u32 v130, v130, v94, 0x7fff
	v_or_b32_e32 v133, 0x400000, v95
	v_bfe_u32 v134, v14, 16, 1
	v_add3_u32 v132, v132, v95, 0x7fff
	s_wait_alu 0xf1ff
	v_cndmask_b32_e64 v120, v128, v129, s0
	v_cmp_u_f32_e64 s0, v94, v94
	v_or_b32_e32 v135, 0x400000, v14
	v_add3_u32 v134, v134, v14, 0x7fff
	v_lshrrev_b32_e32 v94, 16, v89
	v_lshrrev_b32_e32 v93, 16, v92
	s_wait_alu 0xf1ff
	v_cndmask_b32_e64 v121, v130, v131, s0
	v_cmp_u_f32_e64 s0, v95, v95
	v_lshrrev_b32_e32 v95, 16, v87
	v_lshrrev_b32_e32 v92, 16, v13
	;; [unrolled: 1-line block ×4, first 2 shown]
	s_wait_alu 0xf1ff
	v_cndmask_b32_e64 v122, v132, v133, s0
	v_cmp_u_f32_e64 s0, v14, v14
	s_delay_alu instid0(VALU_DEP_2) | instskip(SKIP_1) | instid1(VALU_DEP_2)
	v_lshrrev_b32_e32 v14, 16, v122
	s_wait_alu 0xf1ff
	v_cndmask_b32_e64 v123, v134, v135, s0
	s_delay_alu instid0(VALU_DEP_1)
	v_lshrrev_b32_e32 v13, 16, v123
	s_and_saveexec_b32 s0, vcc_lo
	s_cbranch_execz .LBB351_36
; %bb.58:                               ;   in Loop: Header=BB351_38 Depth=1
	v_cmp_gt_i32_e32 vcc_lo, s34, v64
	s_wait_alu 0xfffd
	v_cndmask_b32_e32 v95, 0, v95, vcc_lo
	v_cmp_gt_i32_e32 vcc_lo, s34, v72
	s_wait_alu 0xfffd
	v_cndmask_b32_e32 v94, 0, v94, vcc_lo
	;; [unrolled: 3-line block ×8, first 2 shown]
	s_branch .LBB351_36
.LBB351_59:
	s_or_b32 exec_lo, exec_lo, s5
.LBB351_60:
	s_wait_alu 0xfffe
	s_or_b32 exec_lo, exec_lo, s1
	ds_bpermute_b32 v1, v20, v30
	ds_bpermute_b32 v2, v20, v31
	;; [unrolled: 1-line block ×10, first 2 shown]
	v_mul_u32_u24_e32 v13, 0x140, v15
	v_lshrrev_b32_e32 v11, 2, v16
	s_mov_b32 s0, exec_lo
	s_wait_storecnt 0x0
	s_wait_loadcnt_dscnt 0x0
	s_barrier_signal -1
	s_barrier_wait -1
	global_inv scope:SCOPE_SE
	v_and_b32_e32 v15, 0x3c3, v0
	v_dual_add_f32 v1, v30, v1 :: v_dual_add_f32 v2, v31, v2
	v_dual_add_f32 v3, v29, v3 :: v_dual_add_f32 v4, v28, v4
	;; [unrolled: 1-line block ×4, first 2 shown]
	v_dual_add_f32 v20, v23, v9 :: v_dual_and_b32 v9, 28, v16
	v_add_f32_e32 v22, v22, v10
	ds_bpermute_b32 v6, v19, v1
	ds_bpermute_b32 v7, v19, v2
	;; [unrolled: 1-line block ×10, first 2 shown]
	v_add_nc_u32_e32 v12, 0xc0, v9
	s_wait_dscnt 0x8
	v_dual_add_f32 v10, v1, v6 :: v_dual_add_f32 v9, v2, v7
	s_wait_dscnt 0x6
	v_dual_add_f32 v8, v3, v8 :: v_dual_add_f32 v7, v4, v23
	s_wait_dscnt 0x4
	v_dual_add_f32 v6, v5, v24 :: v_dual_add_f32 v5, v14, v25
	s_wait_dscnt 0x2
	v_dual_add_f32 v4, v17, v26 :: v_dual_add_f32 v3, v18, v27
	s_wait_dscnt 0x0
	v_dual_add_f32 v2, v20, v28 :: v_dual_add_f32 v1, v22, v19
	v_cmpx_eq_u32_e32 64, v15
	s_cbranch_execz .LBB351_62
; %bb.61:
	v_add_nc_u32_e32 v14, v12, v13
	s_delay_alu instid0(VALU_DEP_1)
	v_add_nc_u32_e32 v15, 0xfffffd80, v14
	v_add_nc_u32_e32 v16, 0xfffffda0, v14
	;; [unrolled: 1-line block ×10, first 2 shown]
	ds_store_b32 v15, v10
	ds_store_b32 v16, v9
	;; [unrolled: 1-line block ×10, first 2 shown]
.LBB351_62:
	s_wait_alu 0xfffe
	s_or_b32 exec_lo, exec_lo, s0
	v_lshlrev_b32_e32 v11, 2, v11
	s_mov_b32 s1, exec_lo
	v_cmp_eq_u32_e32 vcc_lo, 0, v21
	s_wait_loadcnt_dscnt 0x0
	s_barrier_signal -1
	v_add3_u32 v11, 0xc0, v13, v11
	s_barrier_wait -1
	global_inv scope:SCOPE_SE
	v_cmpx_gt_u32_e32 64, v0
	s_cbranch_execz .LBB351_75
; %bb.63:
	s_and_saveexec_b32 s0, vcc_lo
	s_cbranch_execnz .LBB351_93
; %bb.64:
	s_wait_alu 0xfffe
	s_or_b32 exec_lo, exec_lo, s0
	s_and_saveexec_b32 s0, vcc_lo
	s_cbranch_execnz .LBB351_94
.LBB351_65:
	s_wait_alu 0xfffe
	s_or_b32 exec_lo, exec_lo, s0
	s_and_saveexec_b32 s0, vcc_lo
	s_cbranch_execnz .LBB351_95
.LBB351_66:
	s_wait_alu 0xfffe
	s_or_b32 exec_lo, exec_lo, s0
	s_and_saveexec_b32 s0, vcc_lo
	s_cbranch_execnz .LBB351_96
.LBB351_67:
	s_wait_alu 0xfffe
	s_or_b32 exec_lo, exec_lo, s0
	s_and_saveexec_b32 s0, vcc_lo
	s_cbranch_execnz .LBB351_97
.LBB351_68:
	s_wait_alu 0xfffe
	s_or_b32 exec_lo, exec_lo, s0
	s_and_saveexec_b32 s0, vcc_lo
	s_cbranch_execnz .LBB351_98
.LBB351_69:
	s_wait_alu 0xfffe
	s_or_b32 exec_lo, exec_lo, s0
	s_and_saveexec_b32 s0, vcc_lo
	s_cbranch_execnz .LBB351_99
.LBB351_70:
	s_wait_alu 0xfffe
	s_or_b32 exec_lo, exec_lo, s0
	s_and_saveexec_b32 s0, vcc_lo
	s_cbranch_execnz .LBB351_100
.LBB351_71:
	s_wait_alu 0xfffe
	s_or_b32 exec_lo, exec_lo, s0
	s_and_saveexec_b32 s0, vcc_lo
	s_cbranch_execnz .LBB351_101
.LBB351_72:
	s_wait_alu 0xfffe
	s_or_b32 exec_lo, exec_lo, s0
	s_and_saveexec_b32 s0, vcc_lo
	s_cbranch_execz .LBB351_74
.LBB351_73:
	ds_load_b32 v13, v11 offset:288
	s_wait_dscnt 0x0
	v_add_f32_e32 v1, v1, v13
.LBB351_74:
	s_wait_alu 0xfffe
	s_or_b32 exec_lo, exec_lo, s0
.LBB351_75:
	s_wait_alu 0xfffe
	s_or_b32 exec_lo, exec_lo, s1
	v_and_b32_e32 v13, 0x3e3, v0
	s_mov_b32 s1, exec_lo
	s_wait_loadcnt 0x0
	s_barrier_signal -1
	s_barrier_wait -1
	global_inv scope:SCOPE_SE
	v_cmpx_eq_u32_e32 32, v13
	s_cbranch_execz .LBB351_77
; %bb.76:
	ds_store_2addr_b32 v12, v10, v9 offset1:8
	ds_store_2addr_b32 v12, v8, v7 offset0:16 offset1:24
	ds_store_2addr_b32 v12, v6, v5 offset0:32 offset1:40
	;; [unrolled: 1-line block ×4, first 2 shown]
.LBB351_77:
	s_wait_alu 0xfffe
	s_or_b32 exec_lo, exec_lo, s1
	s_delay_alu instid0(SALU_CYCLE_1)
	s_mov_b32 s1, exec_lo
	s_wait_loadcnt_dscnt 0x0
	s_barrier_signal -1
	s_barrier_wait -1
	global_inv scope:SCOPE_SE
	v_cmpx_gt_u32_e32 32, v0
	s_cbranch_execz .LBB351_90
; %bb.78:
	s_and_saveexec_b32 s0, vcc_lo
	s_cbranch_execnz .LBB351_102
; %bb.79:
	s_wait_alu 0xfffe
	s_or_b32 exec_lo, exec_lo, s0
	s_and_saveexec_b32 s0, vcc_lo
	s_cbranch_execnz .LBB351_103
.LBB351_80:
	s_wait_alu 0xfffe
	s_or_b32 exec_lo, exec_lo, s0
	s_and_saveexec_b32 s0, vcc_lo
	s_cbranch_execnz .LBB351_104
.LBB351_81:
	s_wait_alu 0xfffe
	s_or_b32 exec_lo, exec_lo, s0
	s_and_saveexec_b32 s0, vcc_lo
	s_cbranch_execnz .LBB351_105
.LBB351_82:
	s_wait_alu 0xfffe
	s_or_b32 exec_lo, exec_lo, s0
	s_and_saveexec_b32 s0, vcc_lo
	s_cbranch_execnz .LBB351_106
.LBB351_83:
	s_wait_alu 0xfffe
	s_or_b32 exec_lo, exec_lo, s0
	s_and_saveexec_b32 s0, vcc_lo
	s_cbranch_execnz .LBB351_107
.LBB351_84:
	s_wait_alu 0xfffe
	s_or_b32 exec_lo, exec_lo, s0
	s_and_saveexec_b32 s0, vcc_lo
	s_cbranch_execnz .LBB351_108
.LBB351_85:
	s_wait_alu 0xfffe
	s_or_b32 exec_lo, exec_lo, s0
	s_and_saveexec_b32 s0, vcc_lo
	s_cbranch_execnz .LBB351_109
.LBB351_86:
	s_wait_alu 0xfffe
	s_or_b32 exec_lo, exec_lo, s0
	s_and_saveexec_b32 s0, vcc_lo
	s_cbranch_execnz .LBB351_110
.LBB351_87:
	s_wait_alu 0xfffe
	s_or_b32 exec_lo, exec_lo, s0
	s_and_saveexec_b32 s0, vcc_lo
	s_cbranch_execz .LBB351_89
.LBB351_88:
	ds_load_b32 v11, v11 offset:288
	s_wait_dscnt 0x0
	v_add_f32_e32 v1, v1, v11
.LBB351_89:
	s_wait_alu 0xfffe
	s_or_b32 exec_lo, exec_lo, s0
.LBB351_90:
	s_wait_alu 0xfffe
	s_or_b32 exec_lo, exec_lo, s1
	s_mov_b32 s1, 0
	s_wait_loadcnt 0x0
	s_barrier_signal -1
	s_barrier_wait -1
	global_inv scope:SCOPE_SE
	s_mov_b32 s0, exec_lo
	v_cmpx_eq_u32_e32 0, v13
	s_cbranch_execz .LBB351_92
; %bb.91:
	v_bfe_u32 v11, v10, 16, 1
	v_bfe_u32 v12, v9, 16, 1
	v_or_b32_e32 v13, 0x400000, v10
	v_cmp_u_f32_e32 vcc_lo, v10, v10
	v_or_b32_e32 v14, 0x400000, v9
	v_add3_u32 v11, v11, v10, 0x7fff
	v_add3_u32 v12, v12, v9, 0x7fff
	v_bfe_u32 v15, v8, 16, 1
	s_mul_i32 s2, s18, 0x50
	s_mul_i32 s4, s7, s20
	s_wait_alu 0xfffd
	v_cndmask_b32_e32 v10, v11, v13, vcc_lo
	v_cmp_u_f32_e32 vcc_lo, v9, v9
	v_bfe_u32 v11, v7, 16, 1
	v_or_b32_e32 v13, 0x400000, v8
	s_wait_alu 0xfffe
	s_ashr_i32 s3, s2, 31
	s_ashr_i32 s5, s4, 31
	s_wait_alu 0xfffd
	v_cndmask_b32_e32 v9, v12, v14, vcc_lo
	v_add3_u32 v12, v15, v8, 0x7fff
	v_cmp_u_f32_e32 vcc_lo, v8, v8
	v_add3_u32 v11, v11, v7, 0x7fff
	v_or_b32_e32 v14, 0x400000, v7
	v_bfe_u32 v15, v6, 16, 1
	s_wait_alu 0xfffe
	s_lshl_b64 s[2:3], s[2:3], 1
	s_wait_alu 0xfffd
	v_cndmask_b32_e32 v8, v12, v13, vcc_lo
	v_cmp_u_f32_e32 vcc_lo, v7, v7
	v_bfe_u32 v12, v5, 16, 1
	v_or_b32_e32 v13, 0x400000, v6
	s_lshl_b64 s[4:5], s[4:5], 1
	s_wait_kmcnt 0x0
	s_wait_alu 0xfffe
	s_add_nc_u64 s[2:3], s[8:9], s[2:3]
	s_wait_alu 0xfffd
	v_cndmask_b32_e32 v7, v11, v14, vcc_lo
	v_add3_u32 v11, v15, v6, 0x7fff
	v_cmp_u_f32_e32 vcc_lo, v6, v6
	v_bfe_u32 v14, v4, 16, 1
	v_add3_u32 v12, v12, v5, 0x7fff
	v_or_b32_e32 v15, 0x400000, v5
	v_lshrrev_b32_e32 v0, 1, v0
	s_wait_alu 0xfffd
	v_cndmask_b32_e32 v6, v11, v13, vcc_lo
	v_cmp_u_f32_e32 vcc_lo, v5, v5
	v_add3_u32 v11, v14, v4, 0x7fff
	v_or_b32_e32 v13, 0x400000, v4
	v_bfe_u32 v14, v2, 16, 1
	v_or_b32_e32 v16, 0x400000, v1
	s_wait_alu 0xfffd
	v_cndmask_b32_e32 v5, v12, v15, vcc_lo
	v_bfe_u32 v12, v3, 16, 1
	v_cmp_u_f32_e32 vcc_lo, v4, v4
	v_add3_u32 v14, v14, v2, 0x7fff
	v_or_b32_e32 v15, 0x400000, v2
	s_wait_alu 0xfffe
	s_add_nc_u64 s[2:3], s[2:3], s[4:5]
	v_add3_u32 v12, v12, v3, 0x7fff
	s_wait_alu 0xfffd
	v_cndmask_b32_e32 v4, v11, v13, vcc_lo
	v_or_b32_e32 v13, 0x400000, v3
	v_cmp_u_f32_e32 vcc_lo, v3, v3
	v_bfe_u32 v11, v1, 16, 1
	s_mul_i32 s0, s33, 0xa0
	s_wait_alu 0xfffe
	s_add_nc_u64 s[0:1], s[2:3], s[0:1]
	s_wait_alu 0xfffd
	v_cndmask_b32_e32 v3, v12, v13, vcc_lo
	v_cmp_u_f32_e32 vcc_lo, v2, v2
	v_add3_u32 v11, v11, v1, 0x7fff
	s_wait_alu 0xfffd
	v_cndmask_b32_e32 v2, v14, v15, vcc_lo
	v_cmp_u_f32_e32 vcc_lo, v1, v1
	s_wait_alu 0xfffd
	v_cndmask_b32_e32 v1, v11, v16, vcc_lo
	s_clause 0x9
	global_store_d16_hi_b16 v0, v10, s[0:1]
	global_store_d16_hi_b16 v0, v9, s[0:1] offset:16
	global_store_d16_hi_b16 v0, v8, s[0:1] offset:32
	;; [unrolled: 1-line block ×9, first 2 shown]
.LBB351_92:
	s_nop 0
	s_sendmsg sendmsg(MSG_DEALLOC_VGPRS)
	s_endpgm
.LBB351_93:
	ds_load_b32 v13, v11
	s_wait_dscnt 0x0
	v_add_f32_e32 v10, v10, v13
	s_wait_alu 0xfffe
	s_or_b32 exec_lo, exec_lo, s0
	s_and_saveexec_b32 s0, vcc_lo
	s_cbranch_execz .LBB351_65
.LBB351_94:
	ds_load_b32 v13, v11 offset:32
	s_wait_dscnt 0x0
	v_add_f32_e32 v9, v9, v13
	s_wait_alu 0xfffe
	s_or_b32 exec_lo, exec_lo, s0
	s_and_saveexec_b32 s0, vcc_lo
	s_cbranch_execz .LBB351_66
.LBB351_95:
	ds_load_b32 v13, v11 offset:64
	s_wait_dscnt 0x0
	v_add_f32_e32 v8, v8, v13
	s_wait_alu 0xfffe
	s_or_b32 exec_lo, exec_lo, s0
	s_and_saveexec_b32 s0, vcc_lo
	s_cbranch_execz .LBB351_67
.LBB351_96:
	ds_load_b32 v13, v11 offset:96
	s_wait_dscnt 0x0
	v_add_f32_e32 v7, v7, v13
	s_wait_alu 0xfffe
	s_or_b32 exec_lo, exec_lo, s0
	s_and_saveexec_b32 s0, vcc_lo
	s_cbranch_execz .LBB351_68
.LBB351_97:
	ds_load_b32 v13, v11 offset:128
	s_wait_dscnt 0x0
	v_add_f32_e32 v6, v6, v13
	s_wait_alu 0xfffe
	s_or_b32 exec_lo, exec_lo, s0
	s_and_saveexec_b32 s0, vcc_lo
	s_cbranch_execz .LBB351_69
.LBB351_98:
	ds_load_b32 v13, v11 offset:160
	s_wait_dscnt 0x0
	v_add_f32_e32 v5, v5, v13
	s_wait_alu 0xfffe
	s_or_b32 exec_lo, exec_lo, s0
	s_and_saveexec_b32 s0, vcc_lo
	s_cbranch_execz .LBB351_70
.LBB351_99:
	ds_load_b32 v13, v11 offset:192
	s_wait_dscnt 0x0
	v_add_f32_e32 v4, v4, v13
	s_wait_alu 0xfffe
	s_or_b32 exec_lo, exec_lo, s0
	s_and_saveexec_b32 s0, vcc_lo
	s_cbranch_execz .LBB351_71
.LBB351_100:
	ds_load_b32 v13, v11 offset:224
	s_wait_dscnt 0x0
	v_add_f32_e32 v3, v3, v13
	s_wait_alu 0xfffe
	s_or_b32 exec_lo, exec_lo, s0
	s_and_saveexec_b32 s0, vcc_lo
	s_cbranch_execz .LBB351_72
.LBB351_101:
	ds_load_b32 v13, v11 offset:256
	s_wait_dscnt 0x0
	v_add_f32_e32 v2, v2, v13
	s_wait_alu 0xfffe
	s_or_b32 exec_lo, exec_lo, s0
	s_and_saveexec_b32 s0, vcc_lo
	s_cbranch_execnz .LBB351_73
	s_branch .LBB351_74
.LBB351_102:
	ds_load_b32 v12, v11
	s_wait_dscnt 0x0
	v_add_f32_e32 v10, v10, v12
	s_wait_alu 0xfffe
	s_or_b32 exec_lo, exec_lo, s0
	s_and_saveexec_b32 s0, vcc_lo
	s_cbranch_execz .LBB351_80
.LBB351_103:
	ds_load_b32 v12, v11 offset:32
	s_wait_dscnt 0x0
	v_add_f32_e32 v9, v9, v12
	s_wait_alu 0xfffe
	s_or_b32 exec_lo, exec_lo, s0
	s_and_saveexec_b32 s0, vcc_lo
	s_cbranch_execz .LBB351_81
.LBB351_104:
	ds_load_b32 v12, v11 offset:64
	s_wait_dscnt 0x0
	v_add_f32_e32 v8, v8, v12
	s_wait_alu 0xfffe
	s_or_b32 exec_lo, exec_lo, s0
	s_and_saveexec_b32 s0, vcc_lo
	s_cbranch_execz .LBB351_82
.LBB351_105:
	ds_load_b32 v12, v11 offset:96
	s_wait_dscnt 0x0
	v_add_f32_e32 v7, v7, v12
	s_wait_alu 0xfffe
	s_or_b32 exec_lo, exec_lo, s0
	s_and_saveexec_b32 s0, vcc_lo
	s_cbranch_execz .LBB351_83
.LBB351_106:
	ds_load_b32 v12, v11 offset:128
	s_wait_dscnt 0x0
	v_add_f32_e32 v6, v6, v12
	s_wait_alu 0xfffe
	s_or_b32 exec_lo, exec_lo, s0
	s_and_saveexec_b32 s0, vcc_lo
	s_cbranch_execz .LBB351_84
.LBB351_107:
	ds_load_b32 v12, v11 offset:160
	s_wait_dscnt 0x0
	v_add_f32_e32 v5, v5, v12
	s_wait_alu 0xfffe
	s_or_b32 exec_lo, exec_lo, s0
	s_and_saveexec_b32 s0, vcc_lo
	s_cbranch_execz .LBB351_85
.LBB351_108:
	ds_load_b32 v12, v11 offset:192
	s_wait_dscnt 0x0
	v_add_f32_e32 v4, v4, v12
	s_wait_alu 0xfffe
	s_or_b32 exec_lo, exec_lo, s0
	s_and_saveexec_b32 s0, vcc_lo
	s_cbranch_execz .LBB351_86
.LBB351_109:
	ds_load_b32 v12, v11 offset:224
	s_wait_dscnt 0x0
	v_add_f32_e32 v3, v3, v12
	s_wait_alu 0xfffe
	s_or_b32 exec_lo, exec_lo, s0
	s_and_saveexec_b32 s0, vcc_lo
	s_cbranch_execz .LBB351_87
.LBB351_110:
	ds_load_b32 v12, v11 offset:256
	s_wait_dscnt 0x0
	v_add_f32_e32 v2, v2, v12
	s_wait_alu 0xfffe
	s_or_b32 exec_lo, exec_lo, s0
	s_and_saveexec_b32 s0, vcc_lo
	s_cbranch_execnz .LBB351_88
	s_branch .LBB351_89
	.section	.rodata,"a",@progbits
	.p2align	6, 0x0
	.amdhsa_kernel _ZN4vllm25paged_attention_v2_kernelI14__hip_bfloat16hLi80ELi32ELi128ELNS_18Fp8KVCacheDataTypeE1ELb1ELi512EEEvPfS3_PT_PKS4_PKT0_SA_ifPKiSC_iPKfiiiSE_SE_iiiii
		.amdhsa_group_segment_fixed_size 192
		.amdhsa_private_segment_fixed_size 0
		.amdhsa_kernarg_size 400
		.amdhsa_user_sgpr_count 2
		.amdhsa_user_sgpr_dispatch_ptr 0
		.amdhsa_user_sgpr_queue_ptr 0
		.amdhsa_user_sgpr_kernarg_segment_ptr 1
		.amdhsa_user_sgpr_dispatch_id 0
		.amdhsa_user_sgpr_private_segment_size 0
		.amdhsa_wavefront_size32 1
		.amdhsa_uses_dynamic_stack 0
		.amdhsa_enable_private_segment 0
		.amdhsa_system_sgpr_workgroup_id_x 1
		.amdhsa_system_sgpr_workgroup_id_y 1
		.amdhsa_system_sgpr_workgroup_id_z 1
		.amdhsa_system_sgpr_workgroup_info 0
		.amdhsa_system_vgpr_workitem_id 0
		.amdhsa_next_free_vgpr 181
		.amdhsa_next_free_sgpr 44
		.amdhsa_reserve_vcc 1
		.amdhsa_float_round_mode_32 0
		.amdhsa_float_round_mode_16_64 0
		.amdhsa_float_denorm_mode_32 3
		.amdhsa_float_denorm_mode_16_64 3
		.amdhsa_fp16_overflow 0
		.amdhsa_workgroup_processor_mode 1
		.amdhsa_memory_ordered 1
		.amdhsa_forward_progress 1
		.amdhsa_inst_pref_size 203
		.amdhsa_round_robin_scheduling 0
		.amdhsa_exception_fp_ieee_invalid_op 0
		.amdhsa_exception_fp_denorm_src 0
		.amdhsa_exception_fp_ieee_div_zero 0
		.amdhsa_exception_fp_ieee_overflow 0
		.amdhsa_exception_fp_ieee_underflow 0
		.amdhsa_exception_fp_ieee_inexact 0
		.amdhsa_exception_int_div_zero 0
	.end_amdhsa_kernel
	.section	.text._ZN4vllm25paged_attention_v2_kernelI14__hip_bfloat16hLi80ELi32ELi128ELNS_18Fp8KVCacheDataTypeE1ELb1ELi512EEEvPfS3_PT_PKS4_PKT0_SA_ifPKiSC_iPKfiiiSE_SE_iiiii,"axG",@progbits,_ZN4vllm25paged_attention_v2_kernelI14__hip_bfloat16hLi80ELi32ELi128ELNS_18Fp8KVCacheDataTypeE1ELb1ELi512EEEvPfS3_PT_PKS4_PKT0_SA_ifPKiSC_iPKfiiiSE_SE_iiiii,comdat
.Lfunc_end351:
	.size	_ZN4vllm25paged_attention_v2_kernelI14__hip_bfloat16hLi80ELi32ELi128ELNS_18Fp8KVCacheDataTypeE1ELb1ELi512EEEvPfS3_PT_PKS4_PKT0_SA_ifPKiSC_iPKfiiiSE_SE_iiiii, .Lfunc_end351-_ZN4vllm25paged_attention_v2_kernelI14__hip_bfloat16hLi80ELi32ELi128ELNS_18Fp8KVCacheDataTypeE1ELb1ELi512EEEvPfS3_PT_PKS4_PKT0_SA_ifPKiSC_iPKfiiiSE_SE_iiiii
                                        ; -- End function
	.set _ZN4vllm25paged_attention_v2_kernelI14__hip_bfloat16hLi80ELi32ELi128ELNS_18Fp8KVCacheDataTypeE1ELb1ELi512EEEvPfS3_PT_PKS4_PKT0_SA_ifPKiSC_iPKfiiiSE_SE_iiiii.num_vgpr, 181
	.set _ZN4vllm25paged_attention_v2_kernelI14__hip_bfloat16hLi80ELi32ELi128ELNS_18Fp8KVCacheDataTypeE1ELb1ELi512EEEvPfS3_PT_PKS4_PKT0_SA_ifPKiSC_iPKfiiiSE_SE_iiiii.num_agpr, 0
	.set _ZN4vllm25paged_attention_v2_kernelI14__hip_bfloat16hLi80ELi32ELi128ELNS_18Fp8KVCacheDataTypeE1ELb1ELi512EEEvPfS3_PT_PKS4_PKT0_SA_ifPKiSC_iPKfiiiSE_SE_iiiii.numbered_sgpr, 44
	.set _ZN4vllm25paged_attention_v2_kernelI14__hip_bfloat16hLi80ELi32ELi128ELNS_18Fp8KVCacheDataTypeE1ELb1ELi512EEEvPfS3_PT_PKS4_PKT0_SA_ifPKiSC_iPKfiiiSE_SE_iiiii.num_named_barrier, 0
	.set _ZN4vllm25paged_attention_v2_kernelI14__hip_bfloat16hLi80ELi32ELi128ELNS_18Fp8KVCacheDataTypeE1ELb1ELi512EEEvPfS3_PT_PKS4_PKT0_SA_ifPKiSC_iPKfiiiSE_SE_iiiii.private_seg_size, 0
	.set _ZN4vllm25paged_attention_v2_kernelI14__hip_bfloat16hLi80ELi32ELi128ELNS_18Fp8KVCacheDataTypeE1ELb1ELi512EEEvPfS3_PT_PKS4_PKT0_SA_ifPKiSC_iPKfiiiSE_SE_iiiii.uses_vcc, 1
	.set _ZN4vllm25paged_attention_v2_kernelI14__hip_bfloat16hLi80ELi32ELi128ELNS_18Fp8KVCacheDataTypeE1ELb1ELi512EEEvPfS3_PT_PKS4_PKT0_SA_ifPKiSC_iPKfiiiSE_SE_iiiii.uses_flat_scratch, 0
	.set _ZN4vllm25paged_attention_v2_kernelI14__hip_bfloat16hLi80ELi32ELi128ELNS_18Fp8KVCacheDataTypeE1ELb1ELi512EEEvPfS3_PT_PKS4_PKT0_SA_ifPKiSC_iPKfiiiSE_SE_iiiii.has_dyn_sized_stack, 0
	.set _ZN4vllm25paged_attention_v2_kernelI14__hip_bfloat16hLi80ELi32ELi128ELNS_18Fp8KVCacheDataTypeE1ELb1ELi512EEEvPfS3_PT_PKS4_PKT0_SA_ifPKiSC_iPKfiiiSE_SE_iiiii.has_recursion, 0
	.set _ZN4vllm25paged_attention_v2_kernelI14__hip_bfloat16hLi80ELi32ELi128ELNS_18Fp8KVCacheDataTypeE1ELb1ELi512EEEvPfS3_PT_PKS4_PKT0_SA_ifPKiSC_iPKfiiiSE_SE_iiiii.has_indirect_call, 0
	.section	.AMDGPU.csdata,"",@progbits
; Kernel info:
; codeLenInByte = 25984
; TotalNumSgprs: 46
; NumVgprs: 181
; ScratchSize: 0
; MemoryBound: 0
; FloatMode: 240
; IeeeMode: 1
; LDSByteSize: 192 bytes/workgroup (compile time only)
; SGPRBlocks: 0
; VGPRBlocks: 22
; NumSGPRsForWavesPerEU: 46
; NumVGPRsForWavesPerEU: 181
; Occupancy: 8
; WaveLimiterHint : 1
; COMPUTE_PGM_RSRC2:SCRATCH_EN: 0
; COMPUTE_PGM_RSRC2:USER_SGPR: 2
; COMPUTE_PGM_RSRC2:TRAP_HANDLER: 0
; COMPUTE_PGM_RSRC2:TGID_X_EN: 1
; COMPUTE_PGM_RSRC2:TGID_Y_EN: 1
; COMPUTE_PGM_RSRC2:TGID_Z_EN: 1
; COMPUTE_PGM_RSRC2:TIDIG_COMP_CNT: 0
	.section	.text._ZN4vllm25paged_attention_v2_kernelI14__hip_bfloat16hLi96ELi32ELi128ELNS_18Fp8KVCacheDataTypeE1ELb1ELi512EEEvPfS3_PT_PKS4_PKT0_SA_ifPKiSC_iPKfiiiSE_SE_iiiii,"axG",@progbits,_ZN4vllm25paged_attention_v2_kernelI14__hip_bfloat16hLi96ELi32ELi128ELNS_18Fp8KVCacheDataTypeE1ELb1ELi512EEEvPfS3_PT_PKS4_PKT0_SA_ifPKiSC_iPKfiiiSE_SE_iiiii,comdat
	.protected	_ZN4vllm25paged_attention_v2_kernelI14__hip_bfloat16hLi96ELi32ELi128ELNS_18Fp8KVCacheDataTypeE1ELb1ELi512EEEvPfS3_PT_PKS4_PKT0_SA_ifPKiSC_iPKfiiiSE_SE_iiiii ; -- Begin function _ZN4vllm25paged_attention_v2_kernelI14__hip_bfloat16hLi96ELi32ELi128ELNS_18Fp8KVCacheDataTypeE1ELb1ELi512EEEvPfS3_PT_PKS4_PKT0_SA_ifPKiSC_iPKfiiiSE_SE_iiiii
	.globl	_ZN4vllm25paged_attention_v2_kernelI14__hip_bfloat16hLi96ELi32ELi128ELNS_18Fp8KVCacheDataTypeE1ELb1ELi512EEEvPfS3_PT_PKS4_PKT0_SA_ifPKiSC_iPKfiiiSE_SE_iiiii
	.p2align	8
	.type	_ZN4vllm25paged_attention_v2_kernelI14__hip_bfloat16hLi96ELi32ELi128ELNS_18Fp8KVCacheDataTypeE1ELb1ELi512EEEvPfS3_PT_PKS4_PKT0_SA_ifPKiSC_iPKfiiiSE_SE_iiiii,@function
_ZN4vllm25paged_attention_v2_kernelI14__hip_bfloat16hLi96ELi32ELi128ELNS_18Fp8KVCacheDataTypeE1ELb1ELi512EEEvPfS3_PT_PKS4_PKT0_SA_ifPKiSC_iPKfiiiSE_SE_iiiii: ; @_ZN4vllm25paged_attention_v2_kernelI14__hip_bfloat16hLi96ELi32ELi128ELNS_18Fp8KVCacheDataTypeE1ELb1ELi512EEEvPfS3_PT_PKS4_PKT0_SA_ifPKiSC_iPKfiiiSE_SE_iiiii
; %bb.0:
	s_load_b64 s[2:3], s[0:1], 0x40
	s_and_b32 s19, ttmp7, 0xffff
	s_lshr_b32 s33, ttmp7, 16
	s_lshl_b32 s4, s19, 2
	s_lshl_b32 s37, s33, 9
	s_wait_kmcnt 0x0
	s_load_b32 s34, s[2:3], s4 offset:0x0
	s_wait_kmcnt 0x0
	s_cmp_ge_i32 s37, s34
	s_cbranch_scc1 .LBB352_100
; %bb.1:
	s_clause 0x1
	s_load_b32 s36, s[0:1], 0x90
	s_load_b64 s[12:13], s[0:1], 0x30
	v_mov_b32_e32 v34, v0
	s_wait_kmcnt 0x0
	s_abs_i32 s5, s36
	s_abs_i32 s2, s12
	s_delay_alu instid0(SALU_CYCLE_1) | instskip(SKIP_1) | instid1(SALU_CYCLE_2)
	s_cvt_f32_u32 s3, s2
	s_sub_co_i32 s4, 0, s2
	v_rcp_iflag_f32_e32 v0, s3
	s_delay_alu instid0(TRANS32_DEP_1) | instskip(SKIP_2) | instid1(SALU_CYCLE_2)
	v_readfirstlane_b32 s3, v0
	s_mul_f32 s3, s3, 0x4f7ffffe
	s_wait_alu 0xfffe
	s_cvt_u32_f32 s3, s3
	s_wait_alu 0xfffe
	s_delay_alu instid0(SALU_CYCLE_2) | instskip(NEXT) | instid1(SALU_CYCLE_1)
	s_mul_i32 s4, s4, s3
	s_mul_hi_u32 s4, s3, s4
	s_delay_alu instid0(SALU_CYCLE_1)
	s_add_co_i32 s3, s3, s4
	s_xor_b32 s4, s36, s12
	s_wait_alu 0xfffe
	s_mul_hi_u32 s3, s5, s3
	s_ashr_i32 s4, s4, 31
	s_wait_alu 0xfffe
	s_mul_i32 s6, s3, s2
	s_delay_alu instid0(SALU_CYCLE_1)
	s_sub_co_i32 s5, s5, s6
	s_add_co_i32 s6, s3, 1
	s_sub_co_i32 s7, s5, s2
	s_cmp_ge_u32 s5, s2
	s_cselect_b32 s3, s6, s3
	s_cselect_b32 s5, s7, s5
	s_wait_alu 0xfffe
	s_add_co_i32 s6, s3, 1
	s_cmp_ge_u32 s5, s2
	s_cselect_b32 s2, s6, s3
	s_load_b64 s[6:7], s[0:1], 0x50
	s_xor_b32 s2, s2, s4
	s_mov_b32 s3, 0
	s_wait_alu 0xfffe
	s_sub_co_i32 s11, s2, s4
	s_mov_b32 s30, s3
	s_abs_i32 s10, s11
	s_delay_alu instid0(SALU_CYCLE_1) | instskip(SKIP_1) | instid1(SALU_CYCLE_2)
	s_cvt_f32_u32 s2, s10
	s_wait_alu 0xfffe
	v_rcp_iflag_f32_e32 v0, s2
	s_delay_alu instid0(TRANS32_DEP_1) | instskip(SKIP_2) | instid1(SALU_CYCLE_2)
	v_readfirstlane_b32 s2, v0
	s_mul_f32 s2, s2, 0x4f7ffffe
	s_wait_alu 0xfffe
	s_cvt_u32_f32 s4, s2
	s_sub_co_i32 s2, 0, s10
	s_wait_alu 0xfffe
	s_delay_alu instid0(SALU_CYCLE_1)
	s_mul_i32 s2, s2, s4
	s_wait_alu 0xfffe
	s_mul_hi_u32 s5, s4, s2
	s_abs_i32 s2, ttmp9
	s_add_co_i32 s4, s4, s5
	s_mov_b32 s5, s3
	s_wait_kmcnt 0x0
	s_cmp_eq_u64 s[6:7], 0
	s_cbranch_scc1 .LBB352_3
; %bb.2:
	s_mov_b32 s8, ttmp9
	s_ashr_i32 s9, ttmp9, 31
	s_delay_alu instid0(SALU_CYCLE_1) | instskip(NEXT) | instid1(SALU_CYCLE_1)
	s_lshl_b64 s[8:9], s[8:9], 2
	s_add_nc_u64 s[6:7], s[6:7], s[8:9]
	s_load_b32 s30, s[6:7], 0x0
.LBB352_3:
	s_load_b96 s[16:18], s[0:1], 0x58
	s_mul_u64 s[8:9], s[2:3], s[4:5]
	s_ashr_i32 s3, ttmp9, 31
	s_ashr_i32 s8, s11, 31
	s_mul_i32 s20, ttmp9, 0x60
	s_mov_b32 s4, exec_lo
	v_cmpx_gt_u32_e32 12, v34
	s_cbranch_execz .LBB352_5
; %bb.4:
	s_load_b64 s[6:7], s[0:1], 0x18
	s_wait_kmcnt 0x0
	s_mul_i32 s14, s16, s19
	s_ashr_i32 s21, s20, 31
	s_ashr_i32 s15, s14, 31
	v_lshlrev_b32_e32 v4, 4, v34
	s_lshl_b64 s[14:15], s[14:15], 1
	s_delay_alu instid0(SALU_CYCLE_1) | instskip(SKIP_1) | instid1(SALU_CYCLE_1)
	s_add_nc_u64 s[6:7], s[6:7], s[14:15]
	s_lshl_b64 s[14:15], s[20:21], 1
	s_add_nc_u64 s[6:7], s[6:7], s[14:15]
	global_load_b128 v[0:3], v4, s[6:7]
	s_wait_loadcnt 0x0
	ds_store_b128 v4, v[0:3]
.LBB352_5:
	s_or_b32 exec_lo, exec_lo, s4
	s_load_b128 s[4:7], s[0:1], 0x78
	s_mul_i32 s11, s9, s10
	s_xor_b32 s3, s3, s8
	s_sub_co_i32 s2, s2, s11
	s_add_co_i32 s8, s9, 1
	s_wait_alu 0xfffe
	s_sub_co_i32 s11, s2, s10
	s_cmp_ge_u32 s2, s10
                                        ; implicit-def: $sgpr21
	s_cselect_b32 s8, s8, s9
	s_cselect_b32 s2, s11, s2
	s_add_co_i32 s9, s8, 1
	s_wait_alu 0xfffe
	s_cmp_ge_u32 s2, s10
	s_mov_b32 s10, -1
	s_cselect_b32 s2, s9, s8
	s_load_b32 s8, s[0:1], 0x88
	s_xor_b32 s2, s2, s3
	s_wait_dscnt 0x0
	s_wait_alu 0xfffe
	s_sub_co_i32 s28, s2, s3
	s_barrier_signal -1
	s_barrier_wait -1
	s_wait_kmcnt 0x0
	s_abs_i32 s16, s7
	global_inv scope:SCOPE_SE
	s_cvt_f32_u32 s9, s16
	s_delay_alu instid0(SALU_CYCLE_3) | instskip(NEXT) | instid1(TRANS32_DEP_1)
	v_rcp_iflag_f32_e32 v0, s9
	v_readfirstlane_b32 s9, v0
	s_mul_f32 s2, s9, 0x4f7ffffe
	s_add_co_i32 s9, s34, -1
	s_wait_alu 0xfffe
	s_delay_alu instid0(SALU_CYCLE_1) | instskip(SKIP_2) | instid1(SALU_CYCLE_1)
	s_cvt_u32_f32 s11, s2
	s_sub_co_i32 s2, 0, s16
	s_wait_alu 0xfffe
	s_mul_i32 s3, s2, s11
	s_abs_i32 s2, s9
	s_wait_alu 0xfffe
	s_mul_hi_u32 s14, s11, s3
	s_mov_b32 s3, 0
	s_add_co_i32 s22, s11, s14
	s_cmp_lt_i32 s8, 0
	s_wait_alu 0xfffe
	s_mov_b32 s23, s3
	s_cbranch_scc0 .LBB352_7
; %bb.6:
	s_mul_i32 s10, s4, s12
	s_delay_alu instid0(SALU_CYCLE_1) | instskip(NEXT) | instid1(SALU_CYCLE_1)
	s_add_co_i32 s10, s28, s10
	s_mul_i32 s10, s10, s8
	s_delay_alu instid0(SALU_CYCLE_1)
	s_sub_co_i32 s21, 1, s10
	s_mov_b32 s10, s3
.LBB352_7:
	s_mul_u64 s[14:15], s[2:3], s[22:23]
	s_ashr_i32 s3, s9, 31
	s_and_not1_b32 vcc_lo, exec_lo, s10
	s_ashr_i32 s23, s7, 31
	s_cbranch_vccnz .LBB352_9
; %bb.8:
	s_mul_i32 s4, s36, s4
	s_delay_alu instid0(SALU_CYCLE_1) | instskip(NEXT) | instid1(SALU_CYCLE_1)
	s_add_co_i32 s4, s4, ttmp9
	s_mul_i32 s4, s4, s8
	s_delay_alu instid0(SALU_CYCLE_1)
	s_add_co_i32 s21, s4, 1
.LBB352_9:
	s_clause 0x3
	s_load_b32 s4, s[0:1], 0x48
	s_load_b64 s[24:25], s[0:1], 0x38
	s_load_b32 s7, s[0:1], 0x98
	s_load_b128 s[8:11], s[0:1], 0x68
	s_mul_i32 s12, s15, s16
	s_xor_b32 s3, s3, s23
	s_sub_co_i32 s2, s2, s12
	s_add_co_i32 s14, s15, 1
	v_lshrrev_b32_e32 v35, 5, v34
	v_and_b32_e32 v0, 31, v34
	v_mov_b32_e32 v100, 0xff7fffff
	s_mul_i32 s28, s28, s18
	s_delay_alu instid0(VALU_DEP_3) | instskip(NEXT) | instid1(VALU_DEP_3)
	v_lshl_add_u32 v17, v35, 5, s37
	v_lshlrev_b32_e32 v24, 2, v0
	scratch_store_b32 off, v0, off          ; 4-byte Folded Spill
	s_wait_kmcnt 0x0
	s_mul_i32 s26, s4, s19
	s_wait_alu 0xfffe
	s_sub_co_i32 s4, s2, s16
	s_ashr_i32 s27, s26, 31
	s_cmp_ge_u32 s2, s16
	s_cselect_b32 s12, s14, s15
	s_cselect_b32 s2, s4, s2
	s_add_co_i32 s4, s12, 1
	s_wait_alu 0xfffe
	s_cmp_ge_u32 s2, s16
	s_cselect_b32 s2, s4, s12
	s_add_co_i32 s4, s34, 31
	s_lshl_b32 s40, s33, 4
	s_ashr_i32 s12, s4, 31
	v_add_nc_u32_e32 v18, s40, v35
	s_lshr_b32 s12, s12, 27
	s_delay_alu instid0(SALU_CYCLE_1)
	s_add_co_i32 s4, s4, s12
	s_add_co_i32 s12, s40, 16
	s_ashr_i32 s38, s4, 5
	s_wait_alu 0xfffe
	s_xor_b32 s4, s2, s3
	s_min_i32 s35, s12, s38
	v_lshlrev_b32_e32 v110, 2, v18
	v_cmp_gt_i32_e64 s2, s35, v18
	s_sub_co_i32 s39, s4, s3
	s_and_saveexec_b32 s12, s2
	s_cbranch_execz .LBB352_17
; %bb.10:
	v_mov_b32_e32 v16, 0
	scratch_store_b32 off, v34, off offset:84 ; 4-byte Folded Spill
	s_sub_co_i32 s14, s39, s5
	s_ashr_i32 s29, s28, 31
	s_cmp_neq_f32 s30, 0
	ds_load_b128 v[0:3], v16
	ds_load_b128 v[4:7], v16 offset:16
	ds_load_b128 v[8:11], v16 offset:32
	;; [unrolled: 1-line block ×4, first 2 shown]
	s_load_b64 s[42:43], s[0:1], 0x20
	s_mov_b32 s18, s17
	s_cselect_b32 vcc_lo, -1, 0
	s_abs_i32 s15, s6
	s_lshl_b64 s[44:45], s[26:27], 2
	s_cvt_f32_u32 s3, s15
	s_sub_co_i32 s4, 0, s15
	v_dual_mov_b32 v100, 0xff7fffff :: v_dual_mov_b32 v113, v18
	scratch_store_b32 off, v24, off offset:92 ; 4-byte Folded Spill
	s_wait_dscnt 0x4
	v_lshlrev_b32_e32 v23, 16, v0
	v_and_b32_e32 v0, 0xffff0000, v0
	s_wait_dscnt 0x2
	v_lshlrev_b32_e32 v33, 16, v10
	v_and_b32_e32 v34, 0xffff0000, v10
	v_and_b32_e32 v36, 0xffff0000, v11
	scratch_store_b32 off, v23, off offset:4 ; 4-byte Folded Spill
	v_mov_b32_e32 v23, v35
	scratch_store_b32 off, v0, off offset:8 ; 4-byte Folded Spill
	v_lshlrev_b32_e32 v0, 16, v1
	v_lshlrev_b32_e32 v35, 16, v11
	s_wait_dscnt 0x1
	v_lshlrev_b32_e32 v37, 16, v12
	v_and_b32_e32 v38, 0xffff0000, v12
	v_lshlrev_b32_e32 v39, 16, v13
	scratch_store_b32 off, v0, off offset:12 ; 4-byte Folded Spill
	v_and_b32_e32 v0, 0xffff0000, v1
	v_and_b32_e32 v40, 0xffff0000, v13
	v_lshlrev_b32_e32 v41, 16, v14
	v_and_b32_e32 v42, 0xffff0000, v14
	v_lshlrev_b32_e32 v43, 16, v15
	scratch_store_b32 off, v0, off offset:16 ; 4-byte Folded Spill
	v_lshlrev_b32_e32 v0, 16, v2
	v_and_b32_e32 v44, 0xffff0000, v15
	s_wait_kmcnt 0x0
	s_add_nc_u64 s[42:43], s[42:43], s[28:29]
	s_wait_dscnt 0x0
	v_lshlrev_b32_e32 v45, 16, v19
	v_and_b32_e32 v46, 0xffff0000, v19
	scratch_store_b32 off, v0, off offset:20 ; 4-byte Folded Spill
	v_and_b32_e32 v0, 0xffff0000, v2
	v_lshlrev_b32_e32 v47, 16, v20
	v_and_b32_e32 v48, 0xffff0000, v20
	v_lshlrev_b32_e32 v49, 16, v21
	v_and_b32_e32 v50, 0xffff0000, v21
	scratch_store_b32 off, v0, off offset:24 ; 4-byte Folded Spill
	v_lshlrev_b32_e32 v0, 16, v3
	v_lshlrev_b32_e32 v51, 16, v22
	v_and_b32_e32 v52, 0xffff0000, v22
	v_lshl_add_u32 v112, v23, 5, s37
	s_clause 0x1
	scratch_store_b32 off, v23, off offset:88
	scratch_store_b32 off, v0, off offset:28
	v_and_b32_e32 v0, 0xffff0000, v3
	ds_load_b128 v[12:15], v16 offset:128
	scratch_store_b32 off, v0, off offset:32 ; 4-byte Folded Spill
	v_lshlrev_b32_e32 v0, 16, v4
	scratch_store_b32 off, v0, off offset:36 ; 4-byte Folded Spill
	v_and_b32_e32 v0, 0xffff0000, v4
	scratch_store_b32 off, v0, off offset:40 ; 4-byte Folded Spill
	v_lshlrev_b32_e32 v0, 16, v5
	s_wait_dscnt 0x0
	v_lshlrev_b32_e32 v77, 16, v12
	v_and_b32_e32 v78, 0xffff0000, v12
	scratch_store_b32 off, v0, off offset:44 ; 4-byte Folded Spill
	v_and_b32_e32 v0, 0xffff0000, v5
	v_lshlrev_b32_e32 v79, 16, v13
	v_and_b32_e32 v80, 0xffff0000, v13
	v_lshlrev_b32_e32 v81, 16, v14
	v_and_b32_e32 v82, 0xffff0000, v14
	scratch_store_b32 off, v0, off offset:48 ; 4-byte Folded Spill
	v_lshlrev_b32_e32 v0, 16, v6
	v_lshlrev_b32_e32 v83, 16, v15
	v_and_b32_e32 v84, 0xffff0000, v15
	scratch_store_b32 off, v0, off offset:52 ; 4-byte Folded Spill
	v_and_b32_e32 v0, 0xffff0000, v6
	scratch_store_b32 off, v0, off offset:56 ; 4-byte Folded Spill
	v_lshlrev_b32_e32 v0, 16, v7
	scratch_store_b32 off, v0, off offset:60 ; 4-byte Folded Spill
	v_and_b32_e32 v0, 0xffff0000, v7
	ds_load_b128 v[4:7], v16 offset:96
	scratch_store_b32 off, v0, off offset:64 ; 4-byte Folded Spill
	v_lshlrev_b32_e32 v0, 16, v8
	scratch_store_b32 off, v0, off offset:68 ; 4-byte Folded Spill
	v_and_b32_e32 v0, 0xffff0000, v8
	scratch_store_b32 off, v0, off offset:72 ; 4-byte Folded Spill
	v_lshlrev_b32_e32 v0, 16, v9
	s_wait_dscnt 0x0
	v_lshlrev_b32_e32 v61, 16, v4
	v_and_b32_e32 v62, 0xffff0000, v4
	scratch_store_b32 off, v0, off offset:76 ; 4-byte Folded Spill
	v_and_b32_e32 v0, 0xffff0000, v9
	v_lshlrev_b32_e32 v63, 16, v5
	v_and_b32_e32 v64, 0xffff0000, v5
	v_lshlrev_b32_e32 v65, 16, v6
	v_and_b32_e32 v66, 0xffff0000, v6
	scratch_store_b32 off, v0, off offset:80 ; 4-byte Folded Spill
	ds_load_b128 v[0:3], v16 offset:80
	v_lshlrev_b32_e32 v67, 16, v7
	v_and_b32_e32 v68, 0xffff0000, v7
	ds_load_b128 v[4:7], v16 offset:160
	ds_load_b128 v[8:11], v16 offset:112
	s_wait_dscnt 0x2
	v_lshlrev_b32_e32 v53, 16, v0
	v_and_b32_e32 v54, 0xffff0000, v0
	v_lshlrev_b32_e32 v55, 16, v1
	v_and_b32_e32 v56, 0xffff0000, v1
	;; [unrolled: 2-line block ×4, first 2 shown]
	ds_load_b128 v[0:3], v16 offset:144
	s_wait_dscnt 0x1
	v_lshlrev_b32_e32 v69, 16, v8
	v_and_b32_e32 v70, 0xffff0000, v8
	v_lshlrev_b32_e32 v71, 16, v9
	v_and_b32_e32 v72, 0xffff0000, v9
	;; [unrolled: 2-line block ×4, first 2 shown]
	ds_load_b128 v[8:11], v16 offset:176
	v_lshlrev_b32_e32 v95, 16, v5
	v_and_b32_e32 v96, 0xffff0000, v5
	v_lshl_or_b32 v5, v23, 7, v24
	v_lshlrev_b32_e32 v93, 16, v4
	v_and_b32_e32 v94, 0xffff0000, v4
	v_lshlrev_b32_e32 v97, 16, v6
	v_and_b32_e32 v98, 0xffff0000, v6
	;; [unrolled: 2-line block ×3, first 2 shown]
	v_add_nc_u32_e32 v111, 0xe0, v5
	s_wait_dscnt 0x1
	v_lshlrev_b32_e32 v91, 16, v3
	v_and_b32_e32 v92, 0xffff0000, v3
	scratch_load_b32 v3, off, off           ; 4-byte Folded Reload
	v_lshlrev_b32_e32 v85, 16, v0
	v_and_b32_e32 v86, 0xffff0000, v0
	s_wait_alu 0xfffe
	v_rcp_iflag_f32_e32 v0, s3
	v_lshlrev_b32_e32 v87, 16, v1
	v_and_b32_e32 v88, 0xffff0000, v1
	v_lshlrev_b32_e32 v89, 16, v2
	v_and_b32_e32 v90, 0xffff0000, v2
	s_wait_dscnt 0x0
	v_lshlrev_b32_e32 v102, 16, v8
	v_and_b32_e32 v103, 0xffff0000, v8
	v_lshlrev_b32_e32 v104, 16, v9
	v_and_b32_e32 v105, 0xffff0000, v9
	v_lshlrev_b32_e32 v106, 16, v10
	v_readfirstlane_b32 s3, v0
	v_and_b32_e32 v107, 0xffff0000, v10
	v_lshlrev_b32_e32 v108, 16, v11
	v_and_b32_e32 v109, 0xffff0000, v11
	s_mul_f32 s3, s3, 0x4f7ffffe
	s_wait_alu 0xfffe
	s_delay_alu instid0(SALU_CYCLE_2) | instskip(SKIP_1) | instid1(SALU_CYCLE_2)
	s_cvt_u32_f32 s3, s3
	s_wait_alu 0xfffe
	s_mul_i32 s4, s4, s3
	s_delay_alu instid0(SALU_CYCLE_1) | instskip(NEXT) | instid1(SALU_CYCLE_1)
	s_mul_hi_u32 s4, s3, s4
	s_add_co_i32 s31, s3, s4
	s_wait_loadcnt 0x0
	v_lshlrev_b32_e32 v0, 4, v3
	s_delay_alu instid0(VALU_DEP_1)
	v_add_co_u32 v1, s29, s42, v0
	v_subrev_nc_u32_e32 v0, s34, v3
	v_add_co_ci_u32_e64 v2, null, s43, 0, s29
	s_add_nc_u64 s[42:43], s[24:25], s[44:45]
	s_wait_alu 0xfffe
	v_add_co_u32 v3, s29, s42, v110
	s_wait_alu 0xf1ff
	v_add_co_ci_u32_e64 v4, null, s43, 0, s29
	v_add_nc_u32_e32 v110, 1, v0
	s_mov_b32 s29, 0
	s_branch .LBB352_12
.LBB352_11:                             ;   in Loop: Header=BB352_12 Depth=1
	s_wait_alu 0xfffe
	s_or_b32 exec_lo, exec_lo, s4
	v_add_nc_u32_e32 v113, 4, v113
	v_add_co_u32 v3, s4, v3, 16
	s_wait_alu 0xf1ff
	v_add_co_ci_u32_e64 v4, null, 0, v4, s4
	s_delay_alu instid0(VALU_DEP_3)
	v_cmp_le_i32_e64 s3, s35, v113
	v_add_nc_u32_e32 v112, 0x80, v112
	v_add_nc_u32_e32 v111, 0x200, v111
	s_or_b32 s29, s3, s29
	s_wait_alu 0xfffe
	s_and_not1_b32 exec_lo, exec_lo, s29
	s_cbranch_execz .LBB352_16
.LBB352_12:                             ; =>This Inner Loop Header: Depth=1
	v_sub_nc_u32_e32 v0, 0, v112
	s_delay_alu instid0(VALU_DEP_1) | instskip(NEXT) | instid1(VALU_DEP_1)
	v_max_i32_e32 v0, v112, v0
	v_mul_hi_u32 v5, v0, s22
	s_delay_alu instid0(VALU_DEP_1) | instskip(NEXT) | instid1(VALU_DEP_1)
	v_mul_lo_u32 v6, v5, s16
	v_sub_nc_u32_e32 v0, v0, v6
	v_add_nc_u32_e32 v6, 1, v5
	s_delay_alu instid0(VALU_DEP_2) | instskip(SKIP_2) | instid1(VALU_DEP_1)
	v_subrev_nc_u32_e32 v7, s16, v0
	v_cmp_le_u32_e64 s3, s16, v0
	s_wait_alu 0xf1ff
	v_cndmask_b32_e64 v5, v5, v6, s3
	s_delay_alu instid0(VALU_DEP_3) | instskip(SKIP_1) | instid1(VALU_DEP_3)
	v_cndmask_b32_e64 v0, v0, v7, s3
	v_ashrrev_i32_e32 v6, 31, v112
	v_add_nc_u32_e32 v7, 1, v5
	s_delay_alu instid0(VALU_DEP_3) | instskip(NEXT) | instid1(VALU_DEP_3)
	v_cmp_le_u32_e64 s3, s16, v0
	v_xor_b32_e32 v6, s23, v6
	s_wait_alu 0xf1ff
	s_delay_alu instid0(VALU_DEP_2) | instskip(NEXT) | instid1(VALU_DEP_1)
	v_cndmask_b32_e64 v0, v5, v7, s3
	v_xor_b32_e32 v0, v0, v6
	s_delay_alu instid0(VALU_DEP_1) | instskip(NEXT) | instid1(VALU_DEP_1)
	v_sub_nc_u32_e32 v0, v0, v6
	v_add_nc_u32_e32 v5, s21, v0
	v_cmp_ge_i32_e64 s4, s14, v0
	s_delay_alu instid0(VALU_DEP_2) | instskip(NEXT) | instid1(VALU_DEP_1)
	v_sub_nc_u32_e32 v6, 0, v5
	v_max_i32_e32 v6, v5, v6
	v_ashrrev_i32_e32 v5, 31, v5
	s_delay_alu instid0(VALU_DEP_2) | instskip(NEXT) | instid1(VALU_DEP_1)
	v_mul_hi_u32 v7, v6, s31
	v_mul_lo_u32 v7, v7, s15
	s_delay_alu instid0(VALU_DEP_1) | instskip(NEXT) | instid1(VALU_DEP_1)
	v_sub_nc_u32_e32 v6, v6, v7
	v_subrev_nc_u32_e32 v7, s15, v6
	v_cmp_le_u32_e64 s3, s15, v6
	s_wait_alu 0xf1ff
	s_delay_alu instid0(VALU_DEP_1) | instskip(NEXT) | instid1(VALU_DEP_1)
	v_cndmask_b32_e64 v6, v6, v7, s3
	v_subrev_nc_u32_e32 v7, s15, v6
	v_cmp_le_u32_e64 s3, s15, v6
	s_wait_alu 0xf1ff
	s_delay_alu instid0(VALU_DEP_1) | instskip(NEXT) | instid1(VALU_DEP_1)
	v_cndmask_b32_e64 v6, v6, v7, s3
	v_xor_b32_e32 v6, v6, v5
	s_delay_alu instid0(VALU_DEP_1) | instskip(NEXT) | instid1(VALU_DEP_1)
	v_sub_nc_u32_e32 v5, v6, v5
	v_cmp_ne_u32_e64 s3, 0, v5
	s_and_b32 s3, s3, s4
	s_wait_alu 0xfffe
	s_and_saveexec_b32 s4, s3
	s_wait_alu 0xfffe
	s_xor_b32 s3, exec_lo, s4
; %bb.13:                               ;   in Loop: Header=BB352_12 Depth=1
	v_mov_b32_e32 v0, 0xff7fffff
	ds_store_b32 v111, v0
; %bb.14:                               ;   in Loop: Header=BB352_12 Depth=1
	s_wait_alu 0xfffe
	s_and_not1_saveexec_b32 s4, s3
	s_cbranch_execz .LBB352_11
; %bb.15:                               ;   in Loop: Header=BB352_12 Depth=1
	global_load_b32 v0, v[3:4], off
	s_load_b32 s41, s[8:9], 0x0
	s_wait_loadcnt 0x0
	v_mad_co_i64_i32 v[5:6], null, v0, s18, v[1:2]
	s_clause 0x2
	global_load_b128 v[19:22], v[5:6], off
	global_load_b128 v[114:117], v[5:6], off offset:512
	global_load_b128 v[29:32], v[5:6], off offset:2048
	s_wait_loadcnt 0x2
	v_bfe_u32 v10, v20, 16, 8
	v_and_b32_e32 v138, 0xff, v19
	v_bfe_u32 v125, v19, 8, 8
	v_bfe_u32 v129, v19, 16, 8
	v_lshrrev_b32_e32 v134, 24, v19
	v_bfe_u32 v13, v20, 8, 8
	v_lshrrev_b32_e32 v16, 24, v20
	v_cvt_f32_fp8_e32 v10, v10
	v_and_b32_e32 v19, 0xff, v20
	s_wait_loadcnt 0x1
	v_bfe_u32 v20, v116, 8, 8
	v_bfe_u32 v176, v22, 8, 8
	;; [unrolled: 1-line block ×3, first 2 shown]
	v_lshrrev_b32_e32 v164, 24, v22
	v_lshrrev_b32_e32 v12, 24, v116
	v_cvt_f32_fp8_e32 v20, v20
	v_and_b32_e32 v181, 0xff, v22
	v_bfe_u32 v22, v115, 16, 8
	v_and_b32_e32 v7, 0xff, v21
	v_bfe_u32 v171, v21, 8, 8
	v_bfe_u32 v174, v21, 16, 8
	v_lshrrev_b32_e32 v178, 24, v21
	v_bfe_u32 v28, v114, 8, 8
	v_bfe_u32 v27, v114, 16, 8
	v_lshrrev_b32_e32 v26, 24, v114
	v_and_b32_e32 v25, 0xff, v115
	v_bfe_u32 v24, v115, 8, 8
	v_lshrrev_b32_e32 v23, 24, v115
	v_and_b32_e32 v21, 0xff, v116
	v_bfe_u32 v14, v116, 16, 8
	v_bfe_u32 v0, v117, 8, 8
	;; [unrolled: 1-line block ×3, first 2 shown]
	v_lshrrev_b32_e32 v15, 24, v117
	v_cvt_f32_fp8_e32 v22, v22
	v_and_b32_e32 v11, 0xff, v117
	v_cvt_f32_fp8_e32 v12, v12
	v_and_b32_e32 v191, 0xff, v114
	global_load_b128 v[114:117], v[5:6], off offset:1024
	s_wait_kmcnt 0x0
	v_mul_f32_e32 v10, s41, v10
	v_cvt_f32_fp8_e32 v19, v19
	v_cvt_f32_fp8_e32 v14, v14
	v_cvt_f32_fp8_e32 v0, v0
	v_cvt_f32_fp8_e32 v13, v13
	v_mul_f32_e32 v20, s41, v20
	v_mul_f32_e32 v12, s41, v12
	;; [unrolled: 1-line block ×3, first 2 shown]
	v_cvt_f32_fp8_e32 v23, v23
	v_cvt_f32_fp8_e32 v11, v11
	;; [unrolled: 1-line block ×4, first 2 shown]
	s_wait_loadcnt 0x1
	v_and_b32_e32 v158, 0xff, v29
	v_bfe_u32 v156, v29, 8, 8
	v_bfe_u32 v150, v29, 16, 8
	v_lshrrev_b32_e32 v144, 24, v29
	v_and_b32_e32 v136, 0xff, v30
	v_bfe_u32 v130, v30, 8, 8
	v_bfe_u32 v124, v30, 16, 8
	v_lshrrev_b32_e32 v122, 24, v30
	;; [unrolled: 4-line block ×3, first 2 shown]
	v_mul_f32_e32 v19, s41, v19
	v_dual_mul_f32 v23, s41, v23 :: v_dual_mul_f32 v14, s41, v14
	v_mul_f32_e32 v11, s41, v11
	v_dual_mul_f32 v15, s41, v15 :: v_dual_mul_f32 v0, s41, v0
	s_wait_loadcnt 0x0
	v_dual_mul_f32 v13, s41, v13 :: v_dual_and_b32 v8, 0xff, v114
	v_bfe_u32 v190, v114, 8, 8
	v_bfe_u32 v186, v114, 16, 8
	v_lshrrev_b32_e32 v183, 24, v114
	v_and_b32_e32 v179, 0xff, v115
	v_bfe_u32 v173, v115, 8, 8
	v_bfe_u32 v168, v115, 16, 8
	v_lshrrev_b32_e32 v163, 24, v115
	v_and_b32_e32 v159, 0xff, v116
	;; [unrolled: 4-line block ×3, first 2 shown]
	v_bfe_u32 v132, v117, 8, 8
	v_bfe_u32 v126, v117, 16, 8
	v_lshrrev_b32_e32 v123, 24, v117
	global_load_b128 v[114:117], v[5:6], off offset:1536
	s_wait_loadcnt 0x0
	v_and_b32_e32 v189, 0xff, v114
	v_bfe_u32 v188, v114, 8, 8
	v_bfe_u32 v187, v114, 16, 8
	v_lshrrev_b32_e32 v185, 24, v114
	v_and_b32_e32 v184, 0xff, v115
	v_bfe_u32 v182, v115, 8, 8
	v_bfe_u32 v180, v115, 16, 8
	v_lshrrev_b32_e32 v177, 24, v115
	;; [unrolled: 4-line block ×5, first 2 shown]
	global_load_b128 v[29:32], v[5:6], off offset:2560
	v_cvt_f32_fp8_e32 v5, v138
	s_delay_alu instid0(VALU_DEP_1) | instskip(NEXT) | instid1(VALU_DEP_1)
	v_mul_f32_e32 v5, s41, v5
	v_cmp_u_f32_e64 s3, v5, v5
	s_wait_loadcnt 0x0
	v_and_b32_e32 v155, 0xff, v29
	v_bfe_u32 v154, v29, 8, 8
	v_bfe_u32 v152, v29, 16, 8
	v_lshrrev_b32_e32 v149, 24, v29
	v_bfe_u32 v29, v5, 16, 1
	v_and_b32_e32 v148, 0xff, v30
	v_bfe_u32 v145, v30, 8, 8
	v_bfe_u32 v143, v30, 16, 8
	v_lshrrev_b32_e32 v141, 24, v30
	v_add3_u32 v29, v29, v5, 0x7fff
	v_or_b32_e32 v5, 0x400000, v5
	v_bfe_u32 v128, v32, 8, 8
	v_lshrrev_b32_e32 v6, 24, v32
	v_and_b32_e32 v139, 0xff, v31
	v_bfe_u32 v137, v31, 8, 8
	s_wait_alu 0xf1ff
	v_cndmask_b32_e64 v5, v29, v5, s3
	v_cvt_f32_fp8_e32 v29, v125
	v_cvt_f32_fp8_e32 v128, v128
	;; [unrolled: 1-line block ×3, first 2 shown]
	v_bfe_u32 v135, v31, 16, 8
	v_lshrrev_b32_e32 v133, 24, v31
	v_mul_f32_e32 v29, s41, v29
	v_cvt_f32_fp8_e32 v8, v8
	v_dual_mul_f32 v6, s41, v6 :: v_dual_and_b32 v131, 0xff, v32
	v_bfe_u32 v127, v32, 16, 8
	s_delay_alu instid0(VALU_DEP_4) | instskip(SKIP_2) | instid1(VALU_DEP_4)
	v_bfe_u32 v30, v29, 16, 1
	v_cmp_u_f32_e64 s3, v29, v29
	v_dual_mul_f32 v8, s41, v8 :: v_dual_and_b32 v5, 0xffff0000, v5
	v_cvt_f32_fp8_e32 v127, v127
	s_delay_alu instid0(VALU_DEP_4) | instskip(SKIP_3) | instid1(VALU_DEP_2)
	v_add3_u32 v30, v30, v29, 0x7fff
	v_or_b32_e32 v29, 0x400000, v29
	v_mul_f32_e32 v128, s41, v128
	s_wait_alu 0xf1ff
	v_cndmask_b32_e64 v125, v30, v29, s3
	v_cvt_f32_fp8_e32 v29, v129
	s_delay_alu instid0(VALU_DEP_2) | instskip(NEXT) | instid1(VALU_DEP_2)
	v_and_b32_e32 v125, 0xffff0000, v125
	v_mul_f32_e32 v29, s41, v29
	s_delay_alu instid0(VALU_DEP_1) | instskip(SKIP_1) | instid1(VALU_DEP_2)
	v_bfe_u32 v30, v29, 16, 1
	v_cmp_u_f32_e64 s3, v29, v29
	v_add3_u32 v30, v30, v29, 0x7fff
	v_or_b32_e32 v29, 0x400000, v29
	s_wait_alu 0xf1ff
	s_delay_alu instid0(VALU_DEP_1) | instskip(SKIP_1) | instid1(VALU_DEP_2)
	v_cndmask_b32_e64 v129, v30, v29, s3
	v_cvt_f32_fp8_e32 v29, v134
	v_and_b32_e32 v129, 0xffff0000, v129
	s_delay_alu instid0(VALU_DEP_2) | instskip(NEXT) | instid1(VALU_DEP_1)
	v_mul_f32_e32 v29, s41, v29
	v_bfe_u32 v30, v29, 16, 1
	v_cmp_u_f32_e64 s3, v29, v29
	s_delay_alu instid0(VALU_DEP_2) | instskip(SKIP_2) | instid1(VALU_DEP_1)
	v_add3_u32 v30, v30, v29, 0x7fff
	v_or_b32_e32 v29, 0x400000, v29
	s_wait_alu 0xf1ff
	v_cndmask_b32_e64 v134, v30, v29, s3
	v_bfe_u32 v29, v19, 16, 1
	v_cmp_u_f32_e64 s3, v19, v19
	s_delay_alu instid0(VALU_DEP_2) | instskip(SKIP_2) | instid1(VALU_DEP_1)
	v_add3_u32 v29, v29, v19, 0x7fff
	v_or_b32_e32 v19, 0x400000, v19
	s_wait_alu 0xf1ff
	v_cndmask_b32_e64 v138, v29, v19, s3
	;; [unrolled: 7-line block ×4, first 2 shown]
	v_cvt_f32_fp8_e32 v10, v16
	s_delay_alu instid0(VALU_DEP_1) | instskip(SKIP_1) | instid1(VALU_DEP_2)
	v_mul_f32_e32 v10, s41, v10
	v_cvt_f32_fp8_e32 v7, v7
	v_bfe_u32 v13, v10, 16, 1
	v_cmp_u_f32_e64 s3, v10, v10
	s_delay_alu instid0(VALU_DEP_3) | instskip(NEXT) | instid1(VALU_DEP_3)
	v_mul_f32_e32 v7, s41, v7
	v_add3_u32 v13, v13, v10, 0x7fff
	v_or_b32_e32 v10, 0x400000, v10
	s_wait_alu 0xf1ff
	s_delay_alu instid0(VALU_DEP_1) | instskip(SKIP_2) | instid1(VALU_DEP_2)
	v_cndmask_b32_e64 v151, v13, v10, s3
	v_bfe_u32 v10, v7, 16, 1
	v_cmp_u_f32_e64 s3, v7, v7
	v_add3_u32 v10, v10, v7, 0x7fff
	v_or_b32_e32 v7, 0x400000, v7
	s_wait_alu 0xf1ff
	s_delay_alu instid0(VALU_DEP_1) | instskip(SKIP_1) | instid1(VALU_DEP_1)
	v_cndmask_b32_e64 v167, v10, v7, s3
	v_cvt_f32_fp8_e32 v7, v171
	v_mul_f32_e32 v7, s41, v7
	s_delay_alu instid0(VALU_DEP_1) | instskip(SKIP_1) | instid1(VALU_DEP_2)
	v_bfe_u32 v10, v7, 16, 1
	v_cmp_u_f32_e64 s3, v7, v7
	v_add3_u32 v10, v10, v7, 0x7fff
	v_or_b32_e32 v7, 0x400000, v7
	s_wait_alu 0xf1ff
	s_delay_alu instid0(VALU_DEP_1) | instskip(SKIP_1) | instid1(VALU_DEP_1)
	v_cndmask_b32_e64 v171, v10, v7, s3
	v_cvt_f32_fp8_e32 v7, v174
	v_mul_f32_e32 v7, s41, v7
	s_delay_alu instid0(VALU_DEP_1) | instskip(SKIP_1) | instid1(VALU_DEP_2)
	;; [unrolled: 10-line block ×8, first 2 shown]
	v_bfe_u32 v10, v7, 16, 1
	v_cmp_u_f32_e64 s3, v7, v7
	v_add3_u32 v10, v10, v7, 0x7fff
	v_or_b32_e32 v7, 0x400000, v7
	s_wait_alu 0xf1ff
	s_delay_alu instid0(VALU_DEP_1) | instskip(SKIP_2) | instid1(VALU_DEP_2)
	v_cndmask_b32_e64 v191, v10, v7, s3
	v_cvt_f32_fp8_e32 v7, v28
	v_mul_f32_e32 v9, s41, v9
	v_mul_f32_e32 v7, s41, v7
	s_delay_alu instid0(VALU_DEP_1) | instskip(SKIP_1) | instid1(VALU_DEP_2)
	v_bfe_u32 v10, v7, 16, 1
	v_cmp_u_f32_e64 s3, v7, v7
	v_add3_u32 v10, v10, v7, 0x7fff
	v_or_b32_e32 v7, 0x400000, v7
	s_wait_alu 0xf1ff
	s_delay_alu instid0(VALU_DEP_1) | instskip(SKIP_1) | instid1(VALU_DEP_1)
	v_cndmask_b32_e64 v7, v10, v7, s3
	v_cvt_f32_fp8_e32 v10, v27
	v_dual_mul_f32 v10, s41, v10 :: v_dual_and_b32 v7, 0xffff0000, v7
	s_delay_alu instid0(VALU_DEP_1) | instskip(SKIP_1) | instid1(VALU_DEP_2)
	v_bfe_u32 v13, v10, 16, 1
	v_cmp_u_f32_e64 s3, v10, v10
	v_add3_u32 v13, v13, v10, 0x7fff
	v_or_b32_e32 v10, 0x400000, v10
	s_wait_alu 0xf1ff
	s_delay_alu instid0(VALU_DEP_1) | instskip(SKIP_1) | instid1(VALU_DEP_1)
	v_cndmask_b32_e64 v16, v13, v10, s3
	v_cvt_f32_fp8_e32 v10, v26
	v_mul_f32_e32 v10, s41, v10
	v_cvt_f32_fp8_e32 v21, v21
	s_delay_alu instid0(VALU_DEP_2) | instskip(SKIP_1) | instid1(VALU_DEP_3)
	v_bfe_u32 v13, v10, 16, 1
	v_cmp_u_f32_e64 s3, v10, v10
	v_mul_f32_e32 v21, s41, v21
	s_delay_alu instid0(VALU_DEP_3) | instskip(SKIP_2) | instid1(VALU_DEP_1)
	v_add3_u32 v13, v13, v10, 0x7fff
	v_or_b32_e32 v10, 0x400000, v10
	s_wait_alu 0xf1ff
	v_cndmask_b32_e64 v10, v13, v10, s3
	v_cvt_f32_fp8_e32 v13, v25
	s_delay_alu instid0(VALU_DEP_1) | instskip(NEXT) | instid1(VALU_DEP_1)
	v_mul_f32_e32 v13, s41, v13
	v_bfe_u32 v19, v13, 16, 1
	v_cmp_u_f32_e64 s3, v13, v13
	s_delay_alu instid0(VALU_DEP_2) | instskip(SKIP_2) | instid1(VALU_DEP_1)
	v_add3_u32 v19, v19, v13, 0x7fff
	v_or_b32_e32 v13, 0x400000, v13
	s_wait_alu 0xf1ff
	v_cndmask_b32_e64 v13, v19, v13, s3
	v_cvt_f32_fp8_e32 v19, v24
	s_delay_alu instid0(VALU_DEP_1) | instskip(NEXT) | instid1(VALU_DEP_1)
	v_mul_f32_e32 v19, s41, v19
	v_bfe_u32 v24, v19, 16, 1
	v_cmp_u_f32_e64 s3, v19, v19
	s_delay_alu instid0(VALU_DEP_2) | instskip(SKIP_2) | instid1(VALU_DEP_1)
	v_add3_u32 v24, v24, v19, 0x7fff
	v_or_b32_e32 v19, 0x400000, v19
	s_wait_alu 0xf1ff
	v_cndmask_b32_e64 v19, v24, v19, s3
	v_bfe_u32 v24, v22, 16, 1
	v_cmp_u_f32_e64 s3, v22, v22
	s_delay_alu instid0(VALU_DEP_2) | instskip(SKIP_2) | instid1(VALU_DEP_1)
	v_add3_u32 v24, v24, v22, 0x7fff
	v_or_b32_e32 v22, 0x400000, v22
	s_wait_alu 0xf1ff
	v_cndmask_b32_e64 v22, v24, v22, s3
	;; [unrolled: 7-line block ×9, first 2 shown]
	v_bfe_u32 v24, v9, 16, 1
	v_cmp_u_f32_e64 s3, v9, v9
	s_delay_alu instid0(VALU_DEP_3) | instskip(NEXT) | instid1(VALU_DEP_3)
	v_and_b32_e32 v0, 0xffff0000, v0
	v_add3_u32 v24, v24, v9, 0x7fff
	v_or_b32_e32 v9, 0x400000, v9
	s_wait_alu 0xf1ff
	s_delay_alu instid0(VALU_DEP_1) | instskip(SKIP_2) | instid1(VALU_DEP_2)
	v_cndmask_b32_e64 v9, v24, v9, s3
	v_bfe_u32 v24, v15, 16, 1
	v_cmp_u_f32_e64 s3, v15, v15
	v_add3_u32 v24, v24, v15, 0x7fff
	v_or_b32_e32 v15, 0x400000, v15
	s_wait_alu 0xf1ff
	s_delay_alu instid0(VALU_DEP_1) | instskip(SKIP_2) | instid1(VALU_DEP_2)
	v_cndmask_b32_e64 v15, v24, v15, s3
	v_bfe_u32 v24, v8, 16, 1
	v_cmp_u_f32_e64 s3, v8, v8
	v_add3_u32 v24, v24, v8, 0x7fff
	v_or_b32_e32 v8, 0x400000, v8
	s_wait_alu 0xf1ff
	s_delay_alu instid0(VALU_DEP_1) | instskip(SKIP_1) | instid1(VALU_DEP_1)
	v_cndmask_b32_e64 v8, v24, v8, s3
	v_cvt_f32_fp8_e32 v24, v190
	v_mul_f32_e32 v24, s41, v24
	s_delay_alu instid0(VALU_DEP_1) | instskip(SKIP_1) | instid1(VALU_DEP_2)
	v_bfe_u32 v25, v24, 16, 1
	v_cmp_u_f32_e64 s3, v24, v24
	v_add3_u32 v25, v25, v24, 0x7fff
	v_or_b32_e32 v24, 0x400000, v24
	s_wait_alu 0xf1ff
	s_delay_alu instid0(VALU_DEP_1) | instskip(SKIP_1) | instid1(VALU_DEP_1)
	v_cndmask_b32_e64 v24, v25, v24, s3
	v_cvt_f32_fp8_e32 v25, v186
	v_mul_f32_e32 v25, s41, v25
	s_delay_alu instid0(VALU_DEP_1) | instskip(SKIP_1) | instid1(VALU_DEP_2)
	;; [unrolled: 10-line block ×16, first 2 shown]
	v_bfe_u32 v30, v29, 16, 1
	v_cmp_u_f32_e64 s3, v29, v29
	v_add3_u32 v30, v30, v29, 0x7fff
	v_or_b32_e32 v29, 0x400000, v29
	s_wait_alu 0xf1ff
	s_delay_alu instid0(VALU_DEP_1) | instskip(SKIP_2) | instid1(VALU_DEP_2)
	v_cndmask_b32_e64 v173, v30, v29, s3
	v_cvt_f32_fp8_e32 v29, v188
	v_mul_f32_e32 v127, s41, v127
	v_mul_f32_e32 v29, s41, v29
	s_delay_alu instid0(VALU_DEP_1) | instskip(SKIP_1) | instid1(VALU_DEP_2)
	v_bfe_u32 v30, v29, 16, 1
	v_cmp_u_f32_e64 s3, v29, v29
	v_add3_u32 v30, v30, v29, 0x7fff
	v_or_b32_e32 v29, 0x400000, v29
	s_wait_alu 0xf1ff
	s_delay_alu instid0(VALU_DEP_1) | instskip(SKIP_1) | instid1(VALU_DEP_1)
	v_cndmask_b32_e64 v179, v30, v29, s3
	v_cvt_f32_fp8_e32 v29, v187
	v_mul_f32_e32 v29, s41, v29
	s_delay_alu instid0(VALU_DEP_1) | instskip(SKIP_1) | instid1(VALU_DEP_2)
	v_bfe_u32 v30, v29, 16, 1
	v_cmp_u_f32_e64 s3, v29, v29
	v_add3_u32 v30, v30, v29, 0x7fff
	v_or_b32_e32 v29, 0x400000, v29
	s_wait_alu 0xf1ff
	s_delay_alu instid0(VALU_DEP_1) | instskip(SKIP_1) | instid1(VALU_DEP_1)
	v_cndmask_b32_e64 v183, v30, v29, s3
	v_cvt_f32_fp8_e32 v29, v185
	;; [unrolled: 10-line block ×39, first 2 shown]
	v_mul_f32_e32 v29, s41, v29
	s_delay_alu instid0(VALU_DEP_1) | instskip(SKIP_1) | instid1(VALU_DEP_2)
	v_bfe_u32 v30, v29, 16, 1
	v_cmp_u_f32_e64 s3, v29, v29
	v_add3_u32 v30, v30, v29, 0x7fff
	v_or_b32_e32 v29, 0x400000, v29
	s_wait_alu 0xf1ff
	s_delay_alu instid0(VALU_DEP_1) | instskip(SKIP_3) | instid1(VALU_DEP_1)
	v_cndmask_b32_e64 v139, v30, v29, s3
	v_cvt_f32_fp8_e32 v29, v137
	scratch_load_b32 v137, off, off offset:56 ; 4-byte Folded Reload
	v_mul_f32_e32 v29, s41, v29
	v_bfe_u32 v30, v29, 16, 1
	v_cmp_u_f32_e64 s3, v29, v29
	s_delay_alu instid0(VALU_DEP_2) | instskip(SKIP_2) | instid1(VALU_DEP_1)
	v_add3_u32 v30, v30, v29, 0x7fff
	v_or_b32_e32 v29, 0x400000, v29
	s_wait_alu 0xf1ff
	v_cndmask_b32_e64 v29, v30, v29, s3
	v_cvt_f32_fp8_e32 v30, v135
	scratch_load_b32 v135, off, off offset:52 ; 4-byte Folded Reload
	v_mul_f32_e32 v30, s41, v30
	s_delay_alu instid0(VALU_DEP_1) | instskip(SKIP_1) | instid1(VALU_DEP_2)
	v_bfe_u32 v31, v30, 16, 1
	v_cmp_u_f32_e64 s3, v30, v30
	v_add3_u32 v31, v31, v30, 0x7fff
	v_or_b32_e32 v30, 0x400000, v30
	s_wait_alu 0xf1ff
	s_delay_alu instid0(VALU_DEP_1) | instskip(SKIP_3) | instid1(VALU_DEP_1)
	v_cndmask_b32_e64 v30, v31, v30, s3
	v_cvt_f32_fp8_e32 v31, v133
	scratch_load_b32 v133, off, off offset:36 ; 4-byte Folded Reload
	v_mul_f32_e32 v31, s41, v31
	v_bfe_u32 v32, v31, 16, 1
	v_cmp_u_f32_e64 s3, v31, v31
	s_delay_alu instid0(VALU_DEP_2) | instskip(SKIP_2) | instid1(VALU_DEP_1)
	v_add3_u32 v32, v32, v31, 0x7fff
	v_or_b32_e32 v31, 0x400000, v31
	s_wait_alu 0xf1ff
	v_cndmask_b32_e64 v31, v32, v31, s3
	v_cvt_f32_fp8_e32 v32, v131
	s_delay_alu instid0(VALU_DEP_1) | instskip(NEXT) | instid1(VALU_DEP_1)
	v_mul_f32_e32 v32, s41, v32
	v_bfe_u32 v131, v32, 16, 1
	v_cmp_u_f32_e64 s3, v32, v32
	s_delay_alu instid0(VALU_DEP_2) | instskip(SKIP_2) | instid1(VALU_DEP_1)
	v_add3_u32 v131, v131, v32, 0x7fff
	v_or_b32_e32 v32, 0x400000, v32
	s_wait_alu 0xf1ff
	v_cndmask_b32_e64 v32, v131, v32, s3
	v_bfe_u32 v131, v128, 16, 1
	v_cmp_u_f32_e64 s3, v128, v128
	s_delay_alu instid0(VALU_DEP_2) | instskip(SKIP_2) | instid1(VALU_DEP_1)
	v_add3_u32 v131, v131, v128, 0x7fff
	v_or_b32_e32 v128, 0x400000, v128
	s_wait_alu 0xf1ff
	v_cndmask_b32_e64 v128, v131, v128, s3
	;; [unrolled: 7-line block ×4, first 2 shown]
	v_and_b32_e32 v131, 0xffff0000, v167
	s_wait_loadcnt 0x0
	s_delay_alu instid0(VALU_DEP_1)
	v_mul_f32_e32 v131, v133, v131
	scratch_load_b32 v133, off, off offset:4 ; 4-byte Folded Reload
	s_wait_loadcnt 0x0
	v_fmac_f32_e32 v131, v133, v5
	scratch_load_b32 v133, off, off offset:40 ; 4-byte Folded Reload
	v_and_b32_e32 v5, 0xffff0000, v171
	s_wait_loadcnt 0x0
	s_delay_alu instid0(VALU_DEP_1)
	v_mul_f32_e32 v5, v133, v5
	scratch_load_b32 v133, off, off offset:8 ; 4-byte Folded Reload
	s_wait_loadcnt 0x0
	v_fmac_f32_e32 v5, v133, v125
	scratch_load_b32 v133, off, off offset:44 ; 4-byte Folded Reload
	v_and_b32_e32 v125, 0xffff0000, v174
	s_wait_loadcnt 0x0
	s_delay_alu instid0(VALU_DEP_1)
	v_mul_f32_e32 v125, v133, v125
	scratch_load_b32 v133, off, off offset:12 ; 4-byte Folded Reload
	s_wait_loadcnt 0x0
	v_fmac_f32_e32 v125, v133, v129
	v_and_b32_e32 v133, 0xffff0000, v134
	scratch_load_b32 v134, off, off offset:48 ; 4-byte Folded Reload
	v_and_b32_e32 v129, 0xffff0000, v178
	s_wait_loadcnt 0x0
	s_delay_alu instid0(VALU_DEP_1)
	v_mul_f32_e32 v129, v134, v129
	scratch_load_b32 v134, off, off offset:16 ; 4-byte Folded Reload
	s_wait_loadcnt 0x0
	v_fmac_f32_e32 v129, v134, v133
	v_and_b32_e32 v133, 0xffff0000, v181
	v_and_b32_e32 v134, 0xffff0000, v138
	scratch_load_b32 v138, off, off offset:60 ; 4-byte Folded Reload
	v_mul_f32_e32 v133, v135, v133
	scratch_load_b32 v135, off, off offset:20 ; 4-byte Folded Reload
	s_wait_loadcnt 0x0
	v_dual_fmac_f32 v133, v135, v134 :: v_dual_and_b32 v134, 0xffff0000, v176
	v_and_b32_e32 v135, 0xffff0000, v142
	scratch_load_b32 v142, off, off offset:64 ; 4-byte Folded Reload
	v_mul_f32_e32 v134, v137, v134
	scratch_load_b32 v137, off, off offset:24 ; 4-byte Folded Reload
	s_wait_loadcnt 0x0
	v_dual_fmac_f32 v134, v137, v135 :: v_dual_and_b32 v135, 0xffff0000, v170
	v_and_b32_e32 v137, 0xffff0000, v147
	s_delay_alu instid0(VALU_DEP_2) | instskip(SKIP_4) | instid1(VALU_DEP_1)
	v_mul_f32_e32 v135, v138, v135
	scratch_load_b32 v138, off, off offset:28 ; 4-byte Folded Reload
	s_wait_loadcnt 0x0
	v_fmac_f32_e32 v135, v138, v137
	v_and_b32_e32 v137, 0xffff0000, v164
	v_dual_mul_f32 v137, v142, v137 :: v_dual_and_b32 v138, 0xffff0000, v151
	scratch_load_b32 v142, off, off offset:32 ; 4-byte Folded Reload
	s_wait_loadcnt 0x0
	v_fmac_f32_e32 v137, v142, v138
	scratch_load_b32 v142, off, off offset:68 ; 4-byte Folded Reload
	v_and_b32_e32 v138, 0xffff0000, v191
	s_wait_loadcnt 0x0
	s_delay_alu instid0(VALU_DEP_1)
	v_fmac_f32_e32 v131, v142, v138
	scratch_load_b32 v138, off, off offset:72 ; 4-byte Folded Reload
	s_wait_loadcnt 0x0
	v_fmac_f32_e32 v5, v138, v7
	v_and_b32_e32 v7, 0xffff0000, v16
	scratch_load_b32 v16, off, off offset:76 ; 4-byte Folded Reload
	s_wait_loadcnt 0x0
	v_fmac_f32_e32 v125, v16, v7
	v_and_b32_e32 v7, 0xffff0000, v10
	;; [unrolled: 4-line block ×3, first 2 shown]
	s_delay_alu instid0(VALU_DEP_1) | instskip(SKIP_1) | instid1(VALU_DEP_1)
	v_fmac_f32_e32 v133, v33, v7
	v_and_b32_e32 v7, 0xffff0000, v19
	v_dual_fmac_f32 v134, v34, v7 :: v_dual_and_b32 v7, 0xffff0000, v22
	s_delay_alu instid0(VALU_DEP_1) | instskip(SKIP_1) | instid1(VALU_DEP_1)
	v_dual_fmac_f32 v134, v42, v0 :: v_dual_fmac_f32 v135, v35, v7
	v_and_b32_e32 v7, 0xffff0000, v23
	v_dual_fmac_f32 v137, v36, v7 :: v_dual_and_b32 v0, 0xffff0000, v9
	v_and_b32_e32 v7, 0xffff0000, v21
	s_delay_alu instid0(VALU_DEP_2) | instskip(NEXT) | instid1(VALU_DEP_2)
	v_dual_fmac_f32 v135, v43, v0 :: v_dual_and_b32 v0, 0xffff0000, v15
	v_fmac_f32_e32 v131, v37, v7
	v_and_b32_e32 v7, 0xffff0000, v20
	s_delay_alu instid0(VALU_DEP_3) | instskip(NEXT) | instid1(VALU_DEP_2)
	v_fmac_f32_e32 v137, v44, v0
	v_dual_fmac_f32 v5, v38, v7 :: v_dual_and_b32 v0, 0xffff0000, v8
	v_and_b32_e32 v7, 0xffff0000, v14
	s_delay_alu instid0(VALU_DEP_2) | instskip(NEXT) | instid1(VALU_DEP_2)
	v_fmac_f32_e32 v131, v45, v0
	v_dual_fmac_f32 v125, v39, v7 :: v_dual_and_b32 v0, 0xffff0000, v24
	v_and_b32_e32 v7, 0xffff0000, v12
	s_delay_alu instid0(VALU_DEP_2) | instskip(NEXT) | instid1(VALU_DEP_2)
	v_dual_fmac_f32 v5, v46, v0 :: v_dual_and_b32 v0, 0xffff0000, v25
	v_fmac_f32_e32 v129, v40, v7
	v_and_b32_e32 v7, 0xffff0000, v11
	s_delay_alu instid0(VALU_DEP_3) | instskip(NEXT) | instid1(VALU_DEP_2)
	v_dual_fmac_f32 v125, v47, v0 :: v_dual_and_b32 v0, 0xffff0000, v26
	v_fmac_f32_e32 v133, v41, v7
	s_delay_alu instid0(VALU_DEP_2) | instskip(NEXT) | instid1(VALU_DEP_1)
	v_dual_fmac_f32 v129, v48, v0 :: v_dual_and_b32 v0, 0xffff0000, v27
	v_fmac_f32_e32 v133, v49, v0
	v_and_b32_e32 v0, 0xffff0000, v28
	s_delay_alu instid0(VALU_DEP_1) | instskip(SKIP_1) | instid1(VALU_DEP_1)
	v_fmac_f32_e32 v134, v50, v0
	v_and_b32_e32 v0, 0xffff0000, v168
	v_dual_fmac_f32 v135, v51, v0 :: v_dual_and_b32 v0, 0xffff0000, v163
	s_delay_alu instid0(VALU_DEP_1) | instskip(NEXT) | instid1(VALU_DEP_1)
	v_dual_fmac_f32 v137, v52, v0 :: v_dual_and_b32 v0, 0xffff0000, v159
	v_dual_fmac_f32 v131, v53, v0 :: v_dual_and_b32 v0, 0xffff0000, v157
	s_delay_alu instid0(VALU_DEP_1) | instskip(NEXT) | instid1(VALU_DEP_1)
	v_dual_fmac_f32 v5, v54, v0 :: v_dual_and_b32 v0, 0xffff0000, v153
	v_dual_fmac_f32 v125, v55, v0 :: v_dual_and_b32 v0, 0xffff0000, v146
	s_delay_alu instid0(VALU_DEP_1) | instskip(SKIP_1) | instid1(VALU_DEP_1)
	v_fmac_f32_e32 v129, v56, v0
	v_and_b32_e32 v0, 0xffff0000, v140
	v_fmac_f32_e32 v133, v57, v0
	v_and_b32_e32 v0, 0xffff0000, v132
	s_delay_alu instid0(VALU_DEP_1) | instskip(SKIP_1) | instid1(VALU_DEP_1)
	v_fmac_f32_e32 v134, v58, v0
	v_and_b32_e32 v0, 0xffff0000, v126
	v_dual_fmac_f32 v135, v59, v0 :: v_dual_and_b32 v0, 0xffff0000, v123
	s_delay_alu instid0(VALU_DEP_1) | instskip(NEXT) | instid1(VALU_DEP_1)
	v_dual_fmac_f32 v137, v60, v0 :: v_dual_and_b32 v0, 0xffff0000, v173
	v_dual_fmac_f32 v131, v61, v0 :: v_dual_and_b32 v0, 0xffff0000, v179
	s_delay_alu instid0(VALU_DEP_1) | instskip(NEXT) | instid1(VALU_DEP_1)
	v_dual_fmac_f32 v5, v62, v0 :: v_dual_and_b32 v0, 0xffff0000, v183
	v_dual_fmac_f32 v125, v63, v0 :: v_dual_and_b32 v0, 0xffff0000, v185
	s_delay_alu instid0(VALU_DEP_1) | instskip(SKIP_1) | instid1(VALU_DEP_1)
	v_fmac_f32_e32 v129, v64, v0
	v_and_b32_e32 v0, 0xffff0000, v184
	v_dual_fmac_f32 v133, v65, v0 :: v_dual_and_b32 v0, 0xffff0000, v182
	s_delay_alu instid0(VALU_DEP_1) | instskip(SKIP_1) | instid1(VALU_DEP_1)
	v_fmac_f32_e32 v134, v66, v0
	v_and_b32_e32 v0, 0xffff0000, v180
	v_dual_fmac_f32 v135, v67, v0 :: v_dual_and_b32 v0, 0xffff0000, v177
	s_delay_alu instid0(VALU_DEP_1) | instskip(NEXT) | instid1(VALU_DEP_1)
	v_dual_fmac_f32 v137, v68, v0 :: v_dual_and_b32 v0, 0xffff0000, v175
	v_fmac_f32_e32 v131, v69, v0
	v_and_b32_e32 v0, 0xffff0000, v172
	s_delay_alu instid0(VALU_DEP_1) | instskip(NEXT) | instid1(VALU_DEP_1)
	v_dual_fmac_f32 v5, v70, v0 :: v_dual_and_b32 v0, 0xffff0000, v169
	v_dual_fmac_f32 v125, v71, v0 :: v_dual_and_b32 v0, 0xffff0000, v166
	s_delay_alu instid0(VALU_DEP_1) | instskip(NEXT) | instid1(VALU_DEP_1)
	v_dual_fmac_f32 v129, v72, v0 :: v_dual_and_b32 v0, 0xffff0000, v165
	v_dual_fmac_f32 v133, v73, v0 :: v_dual_and_b32 v0, 0xffff0000, v162
	s_delay_alu instid0(VALU_DEP_1) | instskip(SKIP_1) | instid1(VALU_DEP_1)
	v_fmac_f32_e32 v134, v74, v0
	v_and_b32_e32 v0, 0xffff0000, v161
	v_fmac_f32_e32 v135, v75, v0
	v_and_b32_e32 v0, 0xffff0000, v160
	s_delay_alu instid0(VALU_DEP_1) | instskip(NEXT) | instid1(VALU_DEP_1)
	v_dual_fmac_f32 v137, v76, v0 :: v_dual_and_b32 v0, 0xffff0000, v158
	v_fmac_f32_e32 v131, v77, v0
	v_and_b32_e32 v0, 0xffff0000, v156
	s_delay_alu instid0(VALU_DEP_1) | instskip(NEXT) | instid1(VALU_DEP_1)
	v_dual_fmac_f32 v5, v78, v0 :: v_dual_and_b32 v0, 0xffff0000, v150
	v_fmac_f32_e32 v125, v79, v0
	v_and_b32_e32 v0, 0xffff0000, v144
	s_delay_alu instid0(VALU_DEP_1) | instskip(SKIP_1) | instid1(VALU_DEP_1)
	v_fmac_f32_e32 v129, v80, v0
	v_and_b32_e32 v0, 0xffff0000, v136
	v_dual_fmac_f32 v133, v81, v0 :: v_dual_and_b32 v0, 0xffff0000, v130
	s_delay_alu instid0(VALU_DEP_1) | instskip(SKIP_1) | instid1(VALU_DEP_1)
	v_fmac_f32_e32 v134, v82, v0
	v_and_b32_e32 v0, 0xffff0000, v124
	v_dual_fmac_f32 v135, v83, v0 :: v_dual_and_b32 v0, 0xffff0000, v122
	s_delay_alu instid0(VALU_DEP_1) | instskip(NEXT) | instid1(VALU_DEP_1)
	v_dual_fmac_f32 v137, v84, v0 :: v_dual_and_b32 v0, 0xffff0000, v121
	v_fmac_f32_e32 v131, v85, v0
	v_and_b32_e32 v0, 0xffff0000, v120
	s_delay_alu instid0(VALU_DEP_1) | instskip(NEXT) | instid1(VALU_DEP_1)
	v_dual_fmac_f32 v5, v86, v0 :: v_dual_and_b32 v0, 0xffff0000, v119
	v_dual_fmac_f32 v125, v87, v0 :: v_dual_and_b32 v0, 0xffff0000, v118
	s_delay_alu instid0(VALU_DEP_1) | instskip(NEXT) | instid1(VALU_DEP_1)
	v_dual_fmac_f32 v129, v88, v0 :: v_dual_and_b32 v0, 0xffff0000, v117
	v_fmac_f32_e32 v133, v89, v0
	v_and_b32_e32 v0, 0xffff0000, v116
	s_delay_alu instid0(VALU_DEP_1) | instskip(SKIP_1) | instid1(VALU_DEP_1)
	v_fmac_f32_e32 v134, v90, v0
	v_and_b32_e32 v0, 0xffff0000, v115
	v_dual_fmac_f32 v135, v91, v0 :: v_dual_and_b32 v0, 0xffff0000, v114
	s_delay_alu instid0(VALU_DEP_1) | instskip(NEXT) | instid1(VALU_DEP_1)
	v_dual_fmac_f32 v137, v92, v0 :: v_dual_and_b32 v0, 0xffff0000, v155
	v_dual_fmac_f32 v131, v93, v0 :: v_dual_and_b32 v0, 0xffff0000, v154
	s_delay_alu instid0(VALU_DEP_1) | instskip(SKIP_1) | instid1(VALU_DEP_1)
	v_fmac_f32_e32 v5, v94, v0
	v_and_b32_e32 v0, 0xffff0000, v152
	v_dual_fmac_f32 v125, v95, v0 :: v_dual_and_b32 v0, 0xffff0000, v149
	s_delay_alu instid0(VALU_DEP_1) | instskip(SKIP_1) | instid1(VALU_DEP_1)
	v_fmac_f32_e32 v129, v96, v0
	v_and_b32_e32 v0, 0xffff0000, v148
	;; [unrolled: 4-line block ×3, first 2 shown]
	v_dual_fmac_f32 v131, v102, v0 :: v_dual_and_b32 v0, 0xffff0000, v29
	s_delay_alu instid0(VALU_DEP_1) | instskip(NEXT) | instid1(VALU_DEP_1)
	v_dual_fmac_f32 v5, v103, v0 :: v_dual_and_b32 v0, 0xffff0000, v30
	v_dual_fmac_f32 v125, v104, v0 :: v_dual_add_f32 v0, v131, v5
	s_delay_alu instid0(VALU_DEP_1) | instskip(NEXT) | instid1(VALU_DEP_1)
	v_dual_add_f32 v0, v0, v125 :: v_dual_and_b32 v5, 0xffff0000, v31
	v_fmac_f32_e32 v129, v105, v5
	v_and_b32_e32 v5, 0xffff0000, v32
	s_delay_alu instid0(VALU_DEP_1) | instskip(NEXT) | instid1(VALU_DEP_1)
	v_dual_add_f32 v0, v129, v0 :: v_dual_fmac_f32 v133, v106, v5
	v_dual_add_f32 v0, v133, v0 :: v_dual_and_b32 v5, 0xffff0000, v143
	s_delay_alu instid0(VALU_DEP_1) | instskip(SKIP_1) | instid1(VALU_DEP_1)
	v_fmac_f32_e32 v135, v99, v5
	v_and_b32_e32 v5, 0xffff0000, v128
	v_fmac_f32_e32 v134, v107, v5
	s_delay_alu instid0(VALU_DEP_1) | instskip(NEXT) | instid1(VALU_DEP_1)
	v_dual_add_f32 v0, v134, v0 :: v_dual_and_b32 v5, 0xffff0000, v141
	v_fmac_f32_e32 v137, v101, v5
	v_and_b32_e32 v5, 0xffff0000, v127
	s_delay_alu instid0(VALU_DEP_1) | instskip(NEXT) | instid1(VALU_DEP_1)
	v_fmac_f32_e32 v135, v108, v5
	v_dual_add_f32 v0, v135, v0 :: v_dual_and_b32 v5, 0xffff0000, v6
	s_delay_alu instid0(VALU_DEP_1) | instskip(SKIP_1) | instid1(VALU_DEP_2)
	v_fmac_f32_e32 v137, v109, v5
	v_add_nc_u32_e32 v5, v110, v112
	v_add_f32_e32 v0, v137, v0
	s_delay_alu instid0(VALU_DEP_2) | instskip(NEXT) | instid1(VALU_DEP_1)
	v_cvt_f32_i32_e32 v5, v5
	v_mul_f32_e32 v5, s30, v5
	s_delay_alu instid0(VALU_DEP_1) | instskip(NEXT) | instid1(VALU_DEP_1)
	v_cndmask_b32_e32 v5, 0, v5, vcc_lo
	v_fmac_f32_e32 v5, s13, v0
	scratch_load_b32 v0, off, off           ; 4-byte Folded Reload
	s_wait_loadcnt 0x0
	v_add_nc_u32_e32 v0, v0, v112
	s_delay_alu instid0(VALU_DEP_1) | instskip(SKIP_1) | instid1(VALU_DEP_1)
	v_cmp_gt_i32_e64 s3, s34, v0
	v_max_num_f32_e32 v0, v100, v100
	v_max_num_f32_e32 v0, v0, v5
	s_wait_alu 0xf1ff
	s_delay_alu instid0(VALU_DEP_1)
	v_cndmask_b32_e64 v100, v100, v0, s3
	v_cndmask_b32_e64 v0, 0, v5, s3
	ds_store_b32 v111, v0
	s_branch .LBB352_11
.LBB352_16:
	s_or_b32 exec_lo, exec_lo, s29
	s_clause 0x2
	scratch_load_b32 v34, off, off offset:84
	scratch_load_b32 v35, off, off offset:88
	;; [unrolled: 1-line block ×3, first 2 shown]
	v_lshlrev_b32_e32 v110, 2, v18
.LBB352_17:
	s_or_b32 exec_lo, exec_lo, s12
	v_mbcnt_lo_u32_b32 v0, -1, 0
	s_clause 0x2
	s_load_b128 s[12:15], s[0:1], 0x0
	s_load_b64 s[8:9], s[0:1], 0x10
	s_load_b64 s[30:31], s[0:1], 0x28
	v_max_num_f32_e32 v4, v100, v100
	v_xor_b32_e32 v1, 16, v0
	v_xor_b32_e32 v3, 8, v0
	s_delay_alu instid0(VALU_DEP_2) | instskip(SKIP_2) | instid1(VALU_DEP_3)
	v_cmp_gt_i32_e32 vcc_lo, 32, v1
	s_wait_alu 0xfffd
	v_cndmask_b32_e32 v1, v0, v1, vcc_lo
	v_cmp_gt_i32_e32 vcc_lo, 32, v3
	s_delay_alu instid0(VALU_DEP_2)
	v_lshlrev_b32_e32 v1, 2, v1
	s_wait_alu 0xfffd
	v_cndmask_b32_e32 v3, v0, v3, vcc_lo
	ds_bpermute_b32 v2, v1, v100
	s_wait_dscnt 0x0
	v_dual_max_num_f32 v5, v2, v2 :: v_dual_lshlrev_b32 v2, 2, v3
	s_delay_alu instid0(VALU_DEP_1)
	v_max_num_f32_e32 v3, v4, v5
	v_xor_b32_e32 v5, 4, v0
	ds_bpermute_b32 v4, v2, v3
	v_cmp_gt_i32_e32 vcc_lo, 32, v5
	s_wait_alu 0xfffd
	v_cndmask_b32_e32 v5, v0, v5, vcc_lo
	s_wait_dscnt 0x0
	v_max_num_f32_e32 v6, v4, v4
	s_delay_alu instid0(VALU_DEP_1)
	v_dual_max_num_f32 v3, v3, v6 :: v_dual_lshlrev_b32 v4, 2, v5
	v_xor_b32_e32 v6, 2, v0
	ds_bpermute_b32 v5, v4, v3
	v_cmp_gt_i32_e32 vcc_lo, 32, v6
	s_wait_dscnt 0x0
	s_wait_alu 0xfffd
	v_dual_cndmask_b32 v6, v0, v6 :: v_dual_max_num_f32 v5, v5, v5
	s_delay_alu instid0(VALU_DEP_1) | instskip(SKIP_1) | instid1(VALU_DEP_1)
	v_lshlrev_b32_e32 v20, 2, v6
	v_xor_b32_e32 v6, 1, v0
	v_cmp_gt_i32_e32 vcc_lo, 32, v6
	s_wait_alu 0xfffd
	v_dual_max_num_f32 v3, v3, v5 :: v_dual_cndmask_b32 v6, v0, v6
	ds_bpermute_b32 v5, v20, v3
	v_lshlrev_b32_e32 v19, 2, v6
	s_wait_dscnt 0x0
	v_max_num_f32_e32 v5, v5, v5
	s_delay_alu instid0(VALU_DEP_1)
	v_max_num_f32_e32 v0, v3, v5
	scratch_load_b32 v5, off, off           ; 4-byte Folded Reload
	ds_bpermute_b32 v3, v19, v0
	s_wait_loadcnt 0x0
	v_cmp_eq_u32_e32 vcc_lo, 0, v5
	v_lshlrev_b32_e32 v5, 2, v35
	s_and_saveexec_b32 s0, vcc_lo
	s_cbranch_execz .LBB352_19
; %bb.18:
	s_wait_dscnt 0x0
	v_dual_max_num_f32 v3, v3, v3 :: v_dual_max_num_f32 v0, v0, v0
	s_delay_alu instid0(VALU_DEP_1)
	v_max_num_f32_e32 v0, v0, v3
	ds_store_b32 v5, v0 offset:192
.LBB352_19:
	s_or_b32 exec_lo, exec_lo, s0
	scratch_load_b32 v0, off, off           ; 4-byte Folded Reload
	s_wait_storecnt 0x0
	s_wait_loadcnt_dscnt 0x0
	s_barrier_signal -1
	s_barrier_wait -1
	global_inv scope:SCOPE_SE
	v_cmp_gt_u32_e64 s0, 4, v0
	v_mov_b32_e32 v0, 0xff7fffff
	s_and_saveexec_b32 s1, s0
; %bb.20:
	ds_load_b32 v0, v24 offset:192
; %bb.21:
	s_or_b32 exec_lo, exec_lo, s1
	s_wait_dscnt 0x0
	ds_bpermute_b32 v3, v20, v0
	v_max_num_f32_e32 v0, v0, v0
	s_sub_co_i32 s1, s35, s40
	v_mov_b32_e32 v6, 0
	s_lshl_b32 s1, s1, 5
	s_delay_alu instid0(SALU_CYCLE_1) | instskip(NEXT) | instid1(SALU_CYCLE_1)
	s_add_co_i32 s1, s1, s37
	s_min_i32 s1, s1, s34
	s_delay_alu instid0(SALU_CYCLE_1) | instskip(SKIP_4) | instid1(VALU_DEP_1)
	s_sub_co_i32 s4, s1, s37
	s_wait_alu 0xfffe
	v_cmp_gt_i32_e64 s1, s4, v34
	s_wait_dscnt 0x0
	v_max_num_f32_e32 v3, v3, v3
	v_max_num_f32_e32 v0, v0, v3
	ds_bpermute_b32 v3, v19, v0
	s_wait_dscnt 0x0
	v_max_num_f32_e32 v3, v3, v3
	s_delay_alu instid0(VALU_DEP_1)
	v_max_num_f32_e32 v0, v0, v3
	v_lshl_add_u32 v3, v34, 2, 0xe0
	ds_bpermute_b32 v0, v6, v0
	s_and_saveexec_b32 s18, s1
	s_cbranch_execz .LBB352_25
; %bb.22:
	v_lshl_add_u32 v7, v34, 2, 0xe0
	v_mov_b32_e32 v6, 0
	v_mov_b32_e32 v8, v34
	s_mov_b32 s29, 0
.LBB352_23:                             ; =>This Inner Loop Header: Depth=1
	ds_load_b32 v9, v7
	v_add_nc_u32_e32 v8, 0x80, v8
	s_delay_alu instid0(VALU_DEP_1) | instskip(SKIP_4) | instid1(VALU_DEP_1)
	v_cmp_le_i32_e64 s3, s4, v8
	s_wait_alu 0xfffe
	s_or_b32 s29, s3, s29
	s_wait_dscnt 0x0
	v_sub_f32_e32 v9, v9, v0
	v_mul_f32_e32 v9, 0x3fb8aa3b, v9
	s_delay_alu instid0(VALU_DEP_1)
	v_exp_f32_e32 v9, v9
	ds_store_b32 v7, v9
	v_dual_add_f32 v6, v6, v9 :: v_dual_add_nc_u32 v7, 0x200, v7
	s_wait_alu 0xfffe
	s_and_not1_b32 exec_lo, exec_lo, s29
	s_cbranch_execnz .LBB352_23
; %bb.24:
	s_or_b32 exec_lo, exec_lo, s29
.LBB352_25:
	s_wait_alu 0xfffe
	s_or_b32 exec_lo, exec_lo, s18
	ds_bpermute_b32 v1, v1, v6
	s_wait_dscnt 0x0
	v_add_f32_e32 v1, v6, v1
	ds_bpermute_b32 v2, v2, v1
	s_wait_dscnt 0x0
	v_add_f32_e32 v1, v1, v2
	;; [unrolled: 3-line block ×5, first 2 shown]
	s_and_saveexec_b32 s3, vcc_lo
; %bb.26:
	ds_store_b32 v5, v1 offset:208
; %bb.27:
	s_wait_alu 0xfffe
	s_or_b32 exec_lo, exec_lo, s3
	s_wait_loadcnt_dscnt 0x0
	s_barrier_signal -1
	s_barrier_wait -1
	global_inv scope:SCOPE_SE
	s_and_saveexec_b32 s3, s0
; %bb.28:
	ds_load_b32 v1, v24 offset:208
; %bb.29:
	s_wait_alu 0xfffe
	s_or_b32 exec_lo, exec_lo, s3
	s_wait_dscnt 0x0
	ds_bpermute_b32 v2, v20, v1
	s_wait_dscnt 0x0
	v_add_f32_e32 v1, v1, v2
	ds_bpermute_b32 v2, v19, v1
	s_wait_dscnt 0x0
	v_dual_add_f32 v1, v1, v2 :: v_dual_mov_b32 v2, 0
	ds_bpermute_b32 v1, v2, v1
	s_and_saveexec_b32 s0, s1
	s_cbranch_execz .LBB352_32
; %bb.30:
	s_wait_dscnt 0x0
	v_add_f32_e32 v2, 0x358637bd, v1
	s_mov_b32 s1, 0
	s_delay_alu instid0(VALU_DEP_1) | instskip(SKIP_1) | instid1(VALU_DEP_2)
	v_div_scale_f32 v4, null, v2, v2, 1.0
	v_div_scale_f32 v7, vcc_lo, 1.0, v2, 1.0
	v_rcp_f32_e32 v5, v4
	s_delay_alu instid0(TRANS32_DEP_1) | instskip(NEXT) | instid1(VALU_DEP_1)
	v_fma_f32 v6, -v4, v5, 1.0
	v_fmac_f32_e32 v5, v6, v5
	s_delay_alu instid0(VALU_DEP_1) | instskip(NEXT) | instid1(VALU_DEP_1)
	v_mul_f32_e32 v6, v7, v5
	v_fma_f32 v8, -v4, v6, v7
	s_delay_alu instid0(VALU_DEP_1) | instskip(NEXT) | instid1(VALU_DEP_1)
	v_fmac_f32_e32 v6, v8, v5
	v_fma_f32 v4, -v4, v6, v7
	s_wait_alu 0xfffd
	s_delay_alu instid0(VALU_DEP_1) | instskip(NEXT) | instid1(VALU_DEP_1)
	v_div_fmas_f32 v4, v4, v5, v6
	v_div_fixup_f32 v2, v4, v2, 1.0
	v_mov_b32_e32 v4, v34
.LBB352_31:                             ; =>This Inner Loop Header: Depth=1
	ds_load_b32 v5, v3
	s_wait_dscnt 0x0
	v_dual_mul_f32 v5, v2, v5 :: v_dual_add_nc_u32 v4, 0x80, v4
	s_delay_alu instid0(VALU_DEP_1) | instskip(SKIP_3) | instid1(SALU_CYCLE_1)
	v_cmp_le_i32_e32 vcc_lo, s4, v4
	ds_store_b32 v3, v5
	v_add_nc_u32_e32 v3, 0x200, v3
	s_or_b32 s1, vcc_lo, s1
	s_and_not1_b32 exec_lo, exec_lo, s1
	s_cbranch_execnz .LBB352_31
.LBB352_32:
	s_or_b32 exec_lo, exec_lo, s0
	s_mul_i32 s0, s7, s19
	s_wait_loadcnt_dscnt 0x0
	s_mul_i32 s18, s0, s36
	s_mov_b32 s0, exec_lo
	s_barrier_signal -1
	s_barrier_wait -1
	global_inv scope:SCOPE_SE
	v_cmpx_eq_u32_e32 0, v34
	s_cbranch_execz .LBB352_34
; %bb.33:
	s_wait_alu 0xfffe
	s_ashr_i32 s19, s18, 31
	s_mul_i32 s36, s7, ttmp9
	s_lshl_b32 s1, s33, 2
	s_wait_alu 0xfffe
	s_lshl_b64 s[40:41], s[18:19], 2
	s_ashr_i32 s37, s36, 31
	v_mov_b32_e32 v2, s1
	s_wait_kmcnt 0x0
	s_wait_alu 0xfffe
	s_add_nc_u64 s[14:15], s[14:15], s[40:41]
	s_lshl_b64 s[36:37], s[36:37], 2
	s_add_nc_u64 s[12:13], s[12:13], s[40:41]
	s_wait_alu 0xfffe
	s_add_nc_u64 s[14:15], s[14:15], s[36:37]
	s_add_nc_u64 s[12:13], s[12:13], s[36:37]
	s_clause 0x1
	global_store_b32 v2, v0, s[14:15]
	global_store_b32 v2, v1, s[12:13]
.LBB352_34:
	s_or_b32 exec_lo, exec_lo, s0
	v_dual_mov_b32 v32, 0 :: v_dual_and_b32 v21, 3, v34
	v_dual_mov_b32 v33, 0 :: v_dual_mov_b32 v30, 0
	v_dual_mov_b32 v31, 0 :: v_dual_mov_b32 v28, 0
	;; [unrolled: 1-line block ×5, first 2 shown]
	v_mov_b32_e32 v23, 0
	s_and_saveexec_b32 s1, s2
	s_cbranch_execz .LBB352_64
; %bb.35:
	s_abs_i32 s2, s6
	v_dual_mov_b32 v151, v34 :: v_dual_lshlrev_b32 v0, 3, v34
	s_wait_alu 0xfffe
	s_cvt_f32_u32 s0, s2
	s_wait_kmcnt 0x0
	s_lshl_b64 s[12:13], s[26:27], 2
	v_dual_mov_b32 v23, 0 :: v_dual_lshlrev_b32 v2, 5, v21
	s_wait_alu 0xfffe
	v_rcp_iflag_f32_e32 v1, s0
	s_add_nc_u64 s[12:13], s[24:25], s[12:13]
	v_mov_b32_e32 v22, 0
	s_wait_alu 0xfffe
	v_add_co_u32 v9, s12, s12, v110
	s_ashr_i32 s29, s28, 31
	v_add_co_ci_u32_e64 v10, null, s13, 0, s12
	v_dual_mov_b32 v25, 0 :: v_dual_and_b32 v34, 24, v0
	s_delay_alu instid0(TRANS32_DEP_1)
	v_readfirstlane_b32 s6, v1
	v_and_b32_e32 v1, 0xf8, v0
	v_lshl_or_b32 v0, v35, 7, v2
	s_wait_alu 0xfffe
	s_add_nc_u64 s[14:15], s[30:31], s[28:29]
	s_sub_co_i32 s0, 0, s2
	s_mul_f32 s6, s6, 0x4f7ffffe
	v_dual_mov_b32 v152, v35 :: v_dual_add_nc_u32 v35, 0xe0, v0
	v_dual_mov_b32 v24, 0 :: v_dual_mov_b32 v27, 0
	s_delay_alu instid0(SALU_CYCLE_1) | instskip(SKIP_2) | instid1(VALU_DEP_1)
	s_cvt_u32_f32 s12, s6
	s_wait_alu 0xfffe
	v_add_co_u32 v11, s6, s14, v1
	v_add_co_ci_u32_e64 v12, null, s15, 0, s6
	s_mul_i32 s0, s0, s12
	v_dual_mov_b32 v26, 0 :: v_dual_mov_b32 v29, 0
	v_dual_mov_b32 v28, 0 :: v_dual_mov_b32 v31, 0
	;; [unrolled: 1-line block ×3, first 2 shown]
	v_mov_b32_e32 v32, 0
	s_wait_alu 0xfffe
	s_mul_hi_u32 s0, s12, s0
	s_sub_co_i32 s3, s39, s5
	s_mov_b32 s4, s17
	s_add_co_i32 s5, s38, -1
	s_mov_b32 s6, 0
	s_wait_alu 0xfffe
	s_add_co_i32 s12, s12, s0
	s_branch .LBB352_38
.LBB352_36:                             ;   in Loop: Header=BB352_38 Depth=1
	s_wait_alu 0xfffe
	s_or_b32 exec_lo, exec_lo, s0
	s_wait_dscnt 0x1
	v_bfe_u32 v68, v5, 16, 1
	v_or_b32_e32 v76, 0x400000, v5
	v_bfe_u32 v77, v6, 16, 1
	v_cmp_u_f32_e32 vcc_lo, v5, v5
	v_bfe_u32 v78, v7, 16, 1
	v_add3_u32 v68, v68, v5, 0x7fff
	v_or_b32_e32 v79, 0x400000, v6
	v_add3_u32 v77, v77, v6, 0x7fff
	v_or_b32_e32 v80, 0x400000, v7
	v_add3_u32 v78, v78, v7, 0x7fff
	s_wait_alu 0xfffd
	v_cndmask_b32_e32 v5, v68, v76, vcc_lo
	v_cmp_u_f32_e32 vcc_lo, v6, v6
	v_bfe_u32 v68, v8, 16, 1
	s_wait_dscnt 0x0
	v_bfe_u32 v76, v1, 16, 1
	v_lshlrev_b32_e32 v123, 16, v123
	v_lshlrev_b32_e32 v16, 16, v16
	s_wait_alu 0xfffd
	v_cndmask_b32_e32 v6, v77, v79, vcc_lo
	v_cmp_u_f32_e32 vcc_lo, v7, v7
	v_add3_u32 v68, v68, v8, 0x7fff
	v_or_b32_e32 v77, 0x400000, v8
	v_add3_u32 v76, v76, v1, 0x7fff
	v_bfe_u32 v79, v2, 16, 1
	s_wait_alu 0xfffd
	v_cndmask_b32_e32 v7, v78, v80, vcc_lo
	v_cmp_u_f32_e32 vcc_lo, v8, v8
	v_or_b32_e32 v78, 0x400000, v1
	v_lshlrev_b32_e32 v0, 16, v0
	v_lshlrev_b32_e32 v92, 16, v92
	;; [unrolled: 1-line block ×3, first 2 shown]
	s_wait_alu 0xfffd
	v_cndmask_b32_e32 v8, v68, v77, vcc_lo
	v_cmp_u_f32_e32 vcc_lo, v1, v1
	v_or_b32_e32 v77, 0x400000, v2
	v_and_b32_e32 v5, 0xffff0000, v5
	v_lshlrev_b32_e32 v71, 16, v71
	v_lshlrev_b32_e32 v62, 16, v62
	s_wait_alu 0xfffd
	v_cndmask_b32_e32 v68, v76, v78, vcc_lo
	v_add3_u32 v76, v79, v2, 0x7fff
	v_bfe_u32 v78, v3, 16, 1
	v_cmp_u_f32_e32 vcc_lo, v2, v2
	v_and_b32_e32 v1, 0xffff0000, v6
	v_lshlrev_b32_e32 v60, 16, v60
	v_lshlrev_b32_e32 v79, 16, v133
	v_add3_u32 v2, v78, v3, 0x7fff
	s_wait_alu 0xfffd
	v_cndmask_b32_e32 v76, v76, v77, vcc_lo
	v_or_b32_e32 v77, 0x400000, v3
	v_cmp_u_f32_e32 vcc_lo, v3, v3
	v_lshlrev_b32_e32 v6, 16, v134
	v_bfe_u32 v78, v4, 16, 1
	v_dual_mul_f32 v79, v5, v79 :: v_dual_lshlrev_b32 v120, 16, v120
	s_wait_alu 0xfffd
	s_delay_alu instid0(VALU_DEP_3) | instskip(NEXT) | instid1(VALU_DEP_3)
	v_dual_cndmask_b32 v77, v2, v77 :: v_dual_mul_f32 v6, v1, v6
	v_add3_u32 v3, v78, v4, 0x7fff
	v_or_b32_e32 v78, 0x400000, v4
	v_and_b32_e32 v2, 0xffff0000, v8
	v_lshlrev_b32_e32 v8, 16, v132
	v_bfe_u32 v80, v6, 16, 1
	v_cmp_u_f32_e32 vcc_lo, v4, v4
	s_delay_alu instid0(VALU_DEP_4) | instskip(NEXT) | instid1(VALU_DEP_4)
	v_dual_mul_f32 v74, v2, v74 :: v_dual_lshlrev_b32 v73, 16, v73
	v_dual_mul_f32 v81, v2, v8 :: v_dual_lshlrev_b32 v8, 16, v131
	s_wait_alu 0xfffd
	v_cndmask_b32_e32 v4, v3, v78, vcc_lo
	v_add3_u32 v3, v80, v6, 0x7fff
	v_or_b32_e32 v78, 0x400000, v6
	v_bfe_u32 v80, v79, 16, 1
	v_cmp_u_f32_e32 vcc_lo, v6, v6
	v_and_b32_e32 v7, 0xffff0000, v7
	v_bfe_u32 v83, v81, 16, 1
	v_lshlrev_b32_e32 v56, 16, v56
	v_add3_u32 v6, v80, v79, 0x7fff
	s_wait_alu 0xfffd
	v_cndmask_b32_e32 v78, v3, v78, vcc_lo
	v_or_b32_e32 v80, 0x400000, v79
	v_dual_mul_f32 v131, v7, v8 :: v_dual_lshlrev_b32 v8, 16, v130
	v_and_b32_e32 v3, 0xffff0000, v76
	v_cmp_u_f32_e32 vcc_lo, v79, v79
	v_or_b32_e32 v79, 0x400000, v81
	v_and_b32_e32 v78, 0xffff0000, v78
	v_lshlrev_b32_e32 v15, 16, v15
	s_wait_alu 0xfffd
	v_dual_cndmask_b32 v76, v6, v80 :: v_dual_lshlrev_b32 v39, 16, v39
	v_add3_u32 v6, v83, v81, 0x7fff
	v_bfe_u32 v80, v131, 16, 1
	v_mul_f32_e32 v83, v3, v8
	v_cmp_u_f32_e32 vcc_lo, v81, v81
	v_and_b32_e32 v8, 0xffff0000, v68
	v_lshlrev_b32_e32 v68, 16, v129
	v_mul_f32_e32 v56, v7, v56
	v_bfe_u32 v81, v83, 16, 1
	s_wait_alu 0xfffd
	v_cndmask_b32_e32 v79, v6, v79, vcc_lo
	v_add3_u32 v6, v80, v131, 0x7fff
	v_or_b32_e32 v80, 0x400000, v131
	v_cmp_u_f32_e32 vcc_lo, v131, v131
	v_add3_u32 v81, v81, v83, 0x7fff
	v_and_b32_e32 v79, 0xffff0000, v79
	v_lshlrev_b32_e32 v41, 16, v41
	v_lshlrev_b32_e32 v66, 16, v66
	s_wait_alu 0xfffd
	v_cndmask_b32_e32 v80, v6, v80, vcc_lo
	v_and_b32_e32 v6, 0xffff0000, v77
	v_lshlrev_b32_e32 v77, 16, v127
	v_or_b32_e32 v127, 0x400000, v83
	v_cmp_u_f32_e32 vcc_lo, v83, v83
	v_and_b32_e32 v76, 0xffff0000, v76
	v_lshlrev_b32_e32 v119, 16, v119
	v_mul_f32_e32 v77, v6, v77
	v_lshlrev_b32_e32 v47, 16, v47
	s_wait_alu 0xfffd
	v_dual_cndmask_b32 v81, v81, v127 :: v_dual_mul_f32 v68, v8, v68
	v_add_f32_e32 v76, v76, v78
	v_bfe_u32 v127, v77, 16, 1
	v_mul_f32_e32 v16, v8, v16
	v_mul_f32_e32 v62, v8, v62
	v_bfe_u32 v129, v68, 16, 1
	v_or_b32_e32 v130, 0x400000, v68
	v_cmp_u_f32_e32 vcc_lo, v68, v68
	v_add3_u32 v127, v127, v77, 0x7fff
	v_mul_f32_e32 v41, v2, v41
	v_add3_u32 v129, v129, v68, 0x7fff
	v_mul_f32_e32 v66, v5, v66
	v_lshlrev_b32_e32 v54, 16, v54
	v_lshlrev_b32_e32 v52, 16, v52
	;; [unrolled: 1-line block ×3, first 2 shown]
	s_wait_alu 0xfffd
	v_dual_cndmask_b32 v68, v129, v130 :: v_dual_lshlrev_b32 v121, 16, v121
	v_and_b32_e32 v80, 0xffff0000, v80
	v_or_b32_e32 v130, 0x400000, v77
	v_cmp_u_f32_e32 vcc_lo, v77, v77
	s_delay_alu instid0(VALU_DEP_4)
	v_and_b32_e32 v68, 0xffff0000, v68
	v_and_b32_e32 v4, 0xffff0000, v4
	v_dual_add_f32 v78, v80, v79 :: v_dual_and_b32 v79, 0xffff0000, v81
	s_wait_alu 0xfffd
	v_dual_cndmask_b32 v77, v127, v130 :: v_dual_lshlrev_b32 v64, 16, v64
	v_dual_mul_f32 v39, v3, v39 :: v_dual_lshlrev_b32 v58, 16, v58
	s_delay_alu instid0(VALU_DEP_3) | instskip(NEXT) | instid1(VALU_DEP_3)
	v_dual_add_f32 v68, v68, v79 :: v_dual_lshlrev_b32 v79, 16, v125
	v_dual_add_f32 v76, v78, v76 :: v_dual_and_b32 v77, 0xffff0000, v77
	v_lshlrev_b32_e32 v78, 16, v126
	v_mul_f32_e32 v64, v7, v64
	v_mul_f32_e32 v54, v8, v54
	s_delay_alu instid0(VALU_DEP_4) | instskip(SKIP_4) | instid1(VALU_DEP_4)
	v_add_f32_e32 v68, v68, v76
	v_dual_mul_f32 v76, v5, v79 :: v_dual_lshlrev_b32 v79, 16, v124
	v_lshlrev_b32_e32 v128, 16, v128
	v_mul_f32_e32 v50, v5, v50
	v_lshlrev_b32_e32 v48, 16, v48
	v_bfe_u32 v81, v76, 16, 1
	v_lshlrev_b32_e32 v46, 16, v46
	v_mul_f32_e32 v128, v4, v128
	v_lshlrev_b32_e32 v44, 16, v44
	v_mul_f32_e32 v48, v7, v48
	v_add3_u32 v81, v81, v76, 0x7fff
	v_mul_f32_e32 v46, v8, v46
	v_bfe_u32 v131, v128, 16, 1
	v_or_b32_e32 v129, 0x400000, v128
	v_cmp_u_f32_e32 vcc_lo, v128, v128
	v_lshlrev_b32_e32 v42, 16, v42
	v_lshlrev_b32_e32 v40, 16, v40
	v_add3_u32 v83, v131, v128, 0x7fff
	v_lshlrev_b32_e32 v38, 16, v38
	v_lshlrev_b32_e32 v36, 16, v36
	v_mul_f32_e32 v42, v5, v42
	v_mul_f32_e32 v40, v7, v40
	s_wait_alu 0xfffd
	v_cndmask_b32_e32 v80, v83, v129, vcc_lo
	v_or_b32_e32 v83, 0x400000, v76
	v_mul_f32_e32 v38, v8, v38
	v_lshlrev_b32_e32 v14, 16, v14
	v_lshlrev_b32_e32 v115, 16, v115
	v_dual_mul_f32 v15, v4, v15 :: v_dual_and_b32 v80, 0xffff0000, v80
	v_lshlrev_b32_e32 v93, 16, v93
	v_mul_f32_e32 v73, v7, v73
	s_delay_alu instid0(VALU_DEP_4) | instskip(NEXT) | instid1(VALU_DEP_4)
	v_mul_f32_e32 v115, v7, v115
	v_add_f32_e32 v77, v77, v80
	v_dual_mul_f32 v78, v1, v78 :: v_dual_mul_f32 v119, v6, v119
	v_mul_f32_e32 v92, v6, v92
	v_mul_f32_e32 v52, v6, v52
	s_delay_alu instid0(VALU_DEP_4) | instskip(NEXT) | instid1(VALU_DEP_4)
	v_add_f32_e32 v68, v77, v68
	v_bfe_u32 v80, v78, 16, 1
	v_mul_f32_e32 v77, v2, v79
	v_cmp_u_f32_e32 vcc_lo, v78, v78
	v_mul_f32_e32 v44, v6, v44
	v_mul_f32_e32 v36, v6, v36
	v_add3_u32 v79, v80, v78, 0x7fff
	v_or_b32_e32 v80, 0x400000, v78
	v_bfe_u32 v124, v77, 16, 1
	v_mul_f32_e32 v71, v8, v71
	v_lshlrev_b32_e32 v75, 16, v75
	s_wait_alu 0xfffd
	v_dual_cndmask_b32 v78, v79, v80 :: v_dual_lshlrev_b32 v69, 16, v69
	v_cmp_u_f32_e32 vcc_lo, v76, v76
	v_mul_f32_e32 v79, v7, v123
	v_add3_u32 v80, v124, v77, 0x7fff
	s_delay_alu instid0(VALU_DEP_4)
	v_dual_mul_f32 v69, v6, v69 :: v_dual_and_b32 v78, 0xffff0000, v78
	s_wait_alu 0xfffd
	v_cndmask_b32_e32 v76, v81, v83, vcc_lo
	v_or_b32_e32 v81, 0x400000, v77
	v_lshlrev_b32_e32 v83, 16, v122
	v_bfe_u32 v122, v79, 16, 1
	v_cmp_u_f32_e32 vcc_lo, v77, v77
	v_lshlrev_b32_e32 v67, 16, v67
	v_lshlrev_b32_e32 v65, 16, v65
	;; [unrolled: 1-line block ×4, first 2 shown]
	s_wait_alu 0xfffd
	v_dual_cndmask_b32 v77, v80, v81 :: v_dual_mul_f32 v80, v3, v83
	v_mul_f32_e32 v81, v8, v121
	v_add3_u32 v83, v122, v79, 0x7fff
	v_or_b32_e32 v121, 0x400000, v79
	v_cmp_u_f32_e32 vcc_lo, v79, v79
	v_and_b32_e32 v77, 0xffff0000, v77
	v_bfe_u32 v122, v80, 16, 1
	v_bfe_u32 v123, v81, 16, 1
	v_mul_f32_e32 v67, v1, v67
	s_wait_alu 0xfffd
	v_cndmask_b32_e32 v79, v83, v121, vcc_lo
	v_or_b32_e32 v121, 0x400000, v80
	v_cmp_u_f32_e32 vcc_lo, v80, v80
	v_mul_f32_e32 v65, v2, v65
	v_mul_f32_e32 v63, v3, v63
	v_and_b32_e32 v79, 0xffff0000, v79
	v_mul_f32_e32 v61, v4, v61
	v_lshlrev_b32_e32 v59, 16, v59
	v_lshlrev_b32_e32 v57, 16, v57
	;; [unrolled: 1-line block ×3, first 2 shown]
	v_add_f32_e32 v77, v79, v77
	v_lshlrev_b32_e32 v79, 16, v118
	v_and_b32_e32 v76, 0xffff0000, v76
	v_or_b32_e32 v118, 0x400000, v119
	v_add_f32_e32 v23, v23, v68
	v_mul_f32_e32 v59, v1, v59
	s_delay_alu instid0(VALU_DEP_4) | instskip(SKIP_3) | instid1(VALU_DEP_4)
	v_dual_mul_f32 v57, v2, v57 :: v_dual_add_f32 v76, v76, v78
	v_mul_f32_e32 v55, v3, v55
	v_lshlrev_b32_e32 v53, 16, v53
	v_dual_mul_f32 v47, v3, v47 :: v_dual_lshlrev_b32 v72, 16, v72
	v_add_f32_e32 v76, v77, v76
	v_mul_f32_e32 v77, v1, v79
	v_mul_f32_e32 v83, v4, v120
	v_add3_u32 v120, v122, v80, 0x7fff
	v_add3_u32 v122, v123, v81, 0x7fff
	v_or_b32_e32 v123, 0x400000, v81
	v_lshlrev_b32_e32 v79, 16, v117
	v_bfe_u32 v124, v83, 16, 1
	s_wait_alu 0xfffd
	v_cndmask_b32_e32 v80, v120, v121, vcc_lo
	v_cmp_u_f32_e32 vcc_lo, v81, v81
	v_or_b32_e32 v121, 0x400000, v83
	v_mul_f32_e32 v53, v4, v53
	v_add3_u32 v120, v124, v83, 0x7fff
	s_wait_alu 0xfffd
	v_dual_cndmask_b32 v81, v122, v123 :: v_dual_and_b32 v80, 0xffff0000, v80
	v_cmp_u_f32_e32 vcc_lo, v83, v83
	v_dual_mul_f32 v72, v3, v72 :: v_dual_lshlrev_b32 v51, 16, v51
	v_lshlrev_b32_e32 v70, 16, v70
	s_delay_alu instid0(VALU_DEP_4)
	v_and_b32_e32 v78, 0xffff0000, v81
	s_wait_alu 0xfffd
	v_cndmask_b32_e32 v83, v120, v121, vcc_lo
	v_bfe_u32 v120, v119, 16, 1
	v_cmp_u_f32_e32 vcc_lo, v119, v119
	v_mul_f32_e32 v0, v6, v0
	v_dual_add_f32 v78, v78, v80 :: v_dual_mul_f32 v51, v1, v51
	s_delay_alu instid0(VALU_DEP_4) | instskip(SKIP_1) | instid1(VALU_DEP_4)
	v_add3_u32 v81, v120, v119, 0x7fff
	v_bfe_u32 v119, v15, 16, 1
	v_bfe_u32 v120, v0, 16, 1
	s_delay_alu instid0(VALU_DEP_4)
	v_add_f32_e32 v76, v78, v76
	v_mul_f32_e32 v78, v5, v79
	s_wait_alu 0xfffd
	v_cndmask_b32_e32 v80, v81, v118, vcc_lo
	v_bfe_u32 v81, v77, 16, 1
	v_lshlrev_b32_e32 v79, 16, v116
	v_or_b32_e32 v116, 0x400000, v77
	v_bfe_u32 v117, v78, 16, 1
	v_cmp_u_f32_e32 vcc_lo, v77, v77
	v_add3_u32 v81, v81, v77, 0x7fff
	v_mul_f32_e32 v79, v2, v79
	v_or_b32_e32 v118, 0x400000, v16
	v_dual_mul_f32 v70, v4, v70 :: v_dual_lshlrev_b32 v49, 16, v49
	s_wait_alu 0xfffd
	v_cndmask_b32_e32 v77, v81, v116, vcc_lo
	v_add3_u32 v81, v117, v78, 0x7fff
	v_or_b32_e32 v116, 0x400000, v78
	v_bfe_u32 v117, v79, 16, 1
	v_cmp_u_f32_e32 vcc_lo, v78, v78
	v_and_b32_e32 v77, 0xffff0000, v77
	v_mul_f32_e32 v49, v2, v49
	v_lshlrev_b32_e32 v45, 16, v45
	s_wait_alu 0xfffd
	v_dual_cndmask_b32 v78, v81, v116 :: v_dual_lshlrev_b32 v43, 16, v43
	v_add3_u32 v81, v117, v79, 0x7fff
	v_or_b32_e32 v116, 0x400000, v79
	v_bfe_u32 v117, v115, 16, 1
	v_cmp_u_f32_e32 vcc_lo, v79, v79
	v_dual_mul_f32 v45, v4, v45 :: v_dual_lshlrev_b32 v114, 16, v114
	v_mul_f32_e32 v43, v1, v43
	v_lshlrev_b32_e32 v37, 16, v37
	s_wait_alu 0xfffd
	v_cndmask_b32_e32 v79, v81, v116, vcc_lo
	v_add3_u32 v81, v117, v115, 0x7fff
	v_or_b32_e32 v116, 0x400000, v115
	v_cmp_u_f32_e32 vcc_lo, v115, v115
	v_mul_f32_e32 v114, v3, v114
	v_bfe_u32 v115, v16, 16, 1
	v_dual_mul_f32 v60, v6, v60 :: v_dual_and_b32 v79, 0xffff0000, v79
	v_mul_f32_e32 v37, v4, v37
	s_wait_alu 0xfffd
	v_cndmask_b32_e32 v81, v81, v116, vcc_lo
	v_bfe_u32 v117, v114, 16, 1
	v_cmp_u_f32_e32 vcc_lo, v114, v114
	v_add3_u32 v115, v115, v16, 0x7fff
	v_lshlrev_b32_e32 v13, 16, v13
	v_and_b32_e32 v81, 0xffff0000, v81
	v_add3_u32 v116, v117, v114, 0x7fff
	v_or_b32_e32 v117, 0x400000, v114
	s_wait_alu 0xfffd
	s_delay_alu instid0(VALU_DEP_1)
	v_cndmask_b32_e32 v114, v116, v117, vcc_lo
	v_cmp_u_f32_e32 vcc_lo, v16, v16
	v_add3_u32 v116, v120, v0, 0x7fff
	v_or_b32_e32 v117, 0x400000, v0
	s_wait_alu 0xfffd
	v_cndmask_b32_e32 v16, v115, v118, vcc_lo
	v_cmp_u_f32_e32 vcc_lo, v0, v0
	v_add3_u32 v115, v119, v15, 0x7fff
	v_or_b32_e32 v118, 0x400000, v15
	s_delay_alu instid0(VALU_DEP_4) | instskip(SKIP_4) | instid1(VALU_DEP_2)
	v_and_b32_e32 v16, 0xffff0000, v16
	s_wait_alu 0xfffd
	v_cndmask_b32_e32 v0, v116, v117, vcc_lo
	v_cmp_u_f32_e32 vcc_lo, v15, v15
	s_wait_alu 0xfffd
	v_dual_cndmask_b32 v15, v115, v118 :: v_dual_and_b32 v0, 0xffff0000, v0
	v_and_b32_e32 v78, 0xffff0000, v78
	v_and_b32_e32 v80, 0xffff0000, v80
	s_delay_alu instid0(VALU_DEP_3) | instskip(NEXT) | instid1(VALU_DEP_3)
	v_and_b32_e32 v15, 0xffff0000, v15
	v_dual_add_f32 v77, v78, v77 :: v_dual_add_f32 v78, v81, v79
	v_and_b32_e32 v79, 0xffff0000, v114
	v_and_b32_e32 v81, 0xffff0000, v83
	s_delay_alu instid0(VALU_DEP_4) | instskip(NEXT) | instid1(VALU_DEP_3)
	v_add_f32_e32 v0, v0, v15
	v_add_f32_e32 v16, v16, v79
	s_delay_alu instid0(VALU_DEP_3) | instskip(SKIP_2) | instid1(VALU_DEP_3)
	v_add_f32_e32 v79, v80, v81
	v_lshlrev_b32_e32 v81, 16, v107
	v_lshlrev_b32_e32 v80, 16, v112
	v_dual_add_f32 v76, v79, v76 :: v_dual_lshlrev_b32 v79, 16, v110
	v_add_f32_e32 v77, v78, v77
	v_lshlrev_b32_e32 v78, 16, v113
	s_delay_alu instid0(VALU_DEP_3) | instskip(SKIP_1) | instid1(VALU_DEP_3)
	v_add_f32_e32 v24, v24, v76
	v_lshlrev_b32_e32 v76, 16, v111
	v_dual_add_f32 v16, v16, v77 :: v_dual_mul_f32 v15, v1, v78
	v_mul_f32_e32 v77, v5, v80
	s_delay_alu instid0(VALU_DEP_3) | instskip(NEXT) | instid1(VALU_DEP_3)
	v_mul_f32_e32 v76, v2, v76
	v_add_f32_e32 v0, v0, v16
	s_delay_alu instid0(VALU_DEP_4) | instskip(NEXT) | instid1(VALU_DEP_4)
	v_bfe_u32 v16, v15, 16, 1
	v_bfe_u32 v68, v77, 16, 1
	v_cmp_u_f32_e32 vcc_lo, v15, v15
	v_or_b32_e32 v78, 0x400000, v77
	v_add_f32_e32 v25, v25, v0
	v_add3_u32 v0, v16, v15, 0x7fff
	v_or_b32_e32 v16, 0x400000, v15
	v_add3_u32 v68, v68, v77, 0x7fff
	v_bfe_u32 v15, v76, 16, 1
	s_wait_alu 0xfffd
	s_delay_alu instid0(VALU_DEP_3) | instskip(SKIP_3) | instid1(VALU_DEP_4)
	v_cndmask_b32_e32 v0, v0, v16, vcc_lo
	v_cmp_u_f32_e32 vcc_lo, v77, v77
	v_lshlrev_b32_e32 v77, 16, v109
	v_add3_u32 v15, v15, v76, 0x7fff
	v_and_b32_e32 v0, 0xffff0000, v0
	s_wait_alu 0xfffd
	v_cndmask_b32_e32 v16, v68, v78, vcc_lo
	v_dual_mul_f32 v68, v7, v79 :: v_dual_lshlrev_b32 v79, 16, v108
	v_or_b32_e32 v78, 0x400000, v76
	v_mul_f32_e32 v77, v3, v77
	v_cmp_u_f32_e32 vcc_lo, v76, v76
	s_delay_alu instid0(VALU_DEP_4)
	v_bfe_u32 v80, v68, 16, 1
	v_mul_f32_e32 v76, v8, v79
	v_or_b32_e32 v79, 0x400000, v68
	s_wait_alu 0xfffd
	v_cndmask_b32_e32 v15, v15, v78, vcc_lo
	v_add3_u32 v78, v80, v68, 0x7fff
	v_bfe_u32 v80, v77, 16, 1
	v_bfe_u32 v83, v76, 16, 1
	v_cmp_u_f32_e32 vcc_lo, v68, v68
	v_and_b32_e32 v15, 0xffff0000, v15
	s_wait_alu 0xfffd
	v_cndmask_b32_e32 v68, v78, v79, vcc_lo
	v_add3_u32 v78, v80, v77, 0x7fff
	v_mul_f32_e32 v79, v4, v81
	v_or_b32_e32 v80, 0x400000, v77
	v_add3_u32 v81, v83, v76, 0x7fff
	v_lshlrev_b32_e32 v83, 16, v106
	v_cmp_u_f32_e32 vcc_lo, v77, v77
	v_or_b32_e32 v106, 0x400000, v76
	v_bfe_u32 v107, v79, 16, 1
	s_wait_alu 0xfffd
	v_cndmask_b32_e32 v77, v78, v80, vcc_lo
	v_mul_f32_e32 v78, v6, v83
	v_cmp_u_f32_e32 vcc_lo, v76, v76
	v_add3_u32 v80, v107, v79, 0x7fff
	s_delay_alu instid0(VALU_DEP_3)
	v_bfe_u32 v83, v78, 16, 1
	s_wait_alu 0xfffd
	v_cndmask_b32_e32 v76, v81, v106, vcc_lo
	v_or_b32_e32 v81, 0x400000, v79
	v_cmp_u_f32_e32 vcc_lo, v79, v79
	s_wait_alu 0xfffd
	s_delay_alu instid0(VALU_DEP_2)
	v_cndmask_b32_e32 v79, v80, v81, vcc_lo
	v_add3_u32 v80, v83, v78, 0x7fff
	v_lshlrev_b32_e32 v83, 16, v94
	v_and_b32_e32 v16, 0xffff0000, v16
	v_or_b32_e32 v81, 0x400000, v78
	v_cmp_u_f32_e32 vcc_lo, v78, v78
	s_delay_alu instid0(VALU_DEP_3)
	v_add_f32_e32 v0, v16, v0
	v_and_b32_e32 v16, 0xffff0000, v76
	v_and_b32_e32 v76, 0xffff0000, v77
	s_wait_alu 0xfffd
	v_cndmask_b32_e32 v77, v80, v81, vcc_lo
	v_lshlrev_b32_e32 v81, 16, v95
	v_lshlrev_b32_e32 v80, 16, v96
	v_add_f32_e32 v16, v16, v76
	s_delay_alu instid0(VALU_DEP_4) | instskip(NEXT) | instid1(VALU_DEP_4)
	v_and_b32_e32 v76, 0xffff0000, v77
	v_dual_mul_f32 v81, v3, v81 :: v_dual_and_b32 v68, 0xffff0000, v68
	s_delay_alu instid0(VALU_DEP_4) | instskip(NEXT) | instid1(VALU_DEP_2)
	v_dual_mul_f32 v80, v7, v80 :: v_dual_and_b32 v77, 0xffff0000, v79
	v_add_f32_e32 v15, v68, v15
	v_lshlrev_b32_e32 v68, 16, v99
	s_delay_alu instid0(VALU_DEP_3) | instskip(NEXT) | instid1(VALU_DEP_3)
	v_add_f32_e32 v76, v76, v77
	v_add_f32_e32 v0, v15, v0
	s_delay_alu instid0(VALU_DEP_3) | instskip(NEXT) | instid1(VALU_DEP_1)
	v_dual_mul_f32 v15, v1, v68 :: v_dual_lshlrev_b32 v68, 16, v98
	v_bfe_u32 v78, v15, 16, 1
	v_cmp_u_f32_e32 vcc_lo, v15, v15
	s_delay_alu instid0(VALU_DEP_2) | instskip(SKIP_2) | instid1(VALU_DEP_1)
	v_add3_u32 v77, v78, v15, 0x7fff
	v_or_b32_e32 v78, 0x400000, v15
	s_wait_alu 0xfffd
	v_cndmask_b32_e32 v15, v77, v78, vcc_lo
	s_delay_alu instid0(VALU_DEP_1) | instskip(SKIP_2) | instid1(VALU_DEP_2)
	v_dual_add_f32 v0, v16, v0 :: v_dual_and_b32 v15, 0xffff0000, v15
	v_mul_f32_e32 v16, v5, v68
	v_lshlrev_b32_e32 v68, 16, v97
	v_bfe_u32 v79, v16, 16, 1
	s_delay_alu instid0(VALU_DEP_2) | instskip(SKIP_2) | instid1(VALU_DEP_4)
	v_mul_f32_e32 v68, v2, v68
	v_or_b32_e32 v78, 0x400000, v16
	v_cmp_u_f32_e32 vcc_lo, v16, v16
	v_add3_u32 v77, v79, v16, 0x7fff
	s_delay_alu instid0(VALU_DEP_4) | instskip(SKIP_1) | instid1(VALU_DEP_2)
	v_bfe_u32 v79, v68, 16, 1
	s_wait_alu 0xfffd
	v_cndmask_b32_e32 v16, v77, v78, vcc_lo
	s_delay_alu instid0(VALU_DEP_2)
	v_add3_u32 v77, v79, v68, 0x7fff
	v_or_b32_e32 v78, 0x400000, v68
	v_bfe_u32 v79, v80, 16, 1
	v_cmp_u_f32_e32 vcc_lo, v68, v68
	v_and_b32_e32 v16, 0xffff0000, v16
	s_wait_alu 0xfffd
	v_cndmask_b32_e32 v68, v77, v78, vcc_lo
	v_add3_u32 v77, v79, v80, 0x7fff
	v_or_b32_e32 v78, 0x400000, v80
	v_mul_f32_e32 v79, v8, v83
	v_bfe_u32 v83, v81, 16, 1
	v_cmp_u_f32_e32 vcc_lo, v80, v80
	v_dual_add_f32 v15, v16, v15 :: v_dual_and_b32 v68, 0xffff0000, v68
	s_delay_alu instid0(VALU_DEP_4) | instskip(NEXT) | instid1(VALU_DEP_4)
	v_or_b32_e32 v94, 0x400000, v79
	v_add3_u32 v80, v83, v81, 0x7fff
	s_wait_alu 0xfffd
	v_cndmask_b32_e32 v77, v77, v78, vcc_lo
	v_bfe_u32 v78, v79, 16, 1
	v_mul_f32_e32 v83, v4, v93
	v_or_b32_e32 v93, 0x400000, v81
	v_cmp_u_f32_e32 vcc_lo, v81, v81
	v_bfe_u32 v81, v92, 16, 1
	v_add3_u32 v78, v78, v79, 0x7fff
	v_bfe_u32 v95, v83, 16, 1
	v_and_b32_e32 v77, 0xffff0000, v77
	s_wait_alu 0xfffd
	v_cndmask_b32_e32 v80, v80, v93, vcc_lo
	v_cmp_u_f32_e32 vcc_lo, v79, v79
	v_add3_u32 v81, v81, v92, 0x7fff
	v_add3_u32 v79, v95, v83, 0x7fff
	v_or_b32_e32 v93, 0x400000, v83
	v_add_f32_e32 v16, v77, v68
	s_wait_alu 0xfffd
	v_cndmask_b32_e32 v78, v78, v94, vcc_lo
	v_or_b32_e32 v94, 0x400000, v92
	v_cmp_u_f32_e32 vcc_lo, v92, v92
	v_and_b32_e32 v77, 0xffff0000, v80
	s_delay_alu instid0(VALU_DEP_4) | instskip(SKIP_3) | instid1(VALU_DEP_3)
	v_dual_add_f32 v15, v16, v15 :: v_dual_and_b32 v68, 0xffff0000, v78
	s_wait_alu 0xfffd
	v_cndmask_b32_e32 v78, v81, v94, vcc_lo
	v_cmp_u_f32_e32 vcc_lo, v83, v83
	v_dual_add_f32 v16, v68, v77 :: v_dual_lshlrev_b32 v81, 16, v88
	v_lshlrev_b32_e32 v68, 16, v91
	s_delay_alu instid0(VALU_DEP_4) | instskip(SKIP_4) | instid1(VALU_DEP_3)
	v_and_b32_e32 v77, 0xffff0000, v78
	s_wait_alu 0xfffd
	v_dual_cndmask_b32 v79, v79, v93 :: v_dual_lshlrev_b32 v78, 16, v90
	v_add_f32_e32 v0, v76, v0
	v_dual_mul_f32 v68, v1, v68 :: v_dual_add_f32 v15, v16, v15
	v_dual_mul_f32 v16, v5, v78 :: v_dual_and_b32 v79, 0xffff0000, v79
	s_delay_alu instid0(VALU_DEP_3) | instskip(NEXT) | instid1(VALU_DEP_3)
	v_add_f32_e32 v26, v26, v0
	v_bfe_u32 v78, v68, 16, 1
	v_cmp_u_f32_e32 vcc_lo, v68, v68
	s_delay_alu instid0(VALU_DEP_4) | instskip(SKIP_2) | instid1(VALU_DEP_3)
	v_dual_add_f32 v76, v77, v79 :: v_dual_lshlrev_b32 v77, 16, v89
	v_bfe_u32 v0, v16, 16, 1
	v_or_b32_e32 v79, 0x400000, v16
	v_dual_add_f32 v15, v76, v15 :: v_dual_mul_f32 v76, v2, v77
	v_add3_u32 v77, v78, v68, 0x7fff
	v_or_b32_e32 v78, 0x400000, v68
	v_add3_u32 v0, v0, v16, 0x7fff
	s_delay_alu instid0(VALU_DEP_4)
	v_add_f32_e32 v27, v27, v15
	v_bfe_u32 v80, v76, 16, 1
	s_wait_alu 0xfffd
	v_cndmask_b32_e32 v68, v77, v78, vcc_lo
	v_cmp_u_f32_e32 vcc_lo, v16, v16
	v_mul_f32_e32 v16, v7, v81
	v_add3_u32 v77, v80, v76, 0x7fff
	v_or_b32_e32 v78, 0x400000, v76
	v_lshlrev_b32_e32 v80, 16, v86
	s_wait_alu 0xfffd
	v_cndmask_b32_e32 v0, v0, v79, vcc_lo
	v_lshlrev_b32_e32 v79, 16, v87
	v_cmp_u_f32_e32 vcc_lo, v76, v76
	v_bfe_u32 v81, v16, 16, 1
	v_and_b32_e32 v68, 0xffff0000, v68
	v_and_b32_e32 v0, 0xffff0000, v0
	s_wait_alu 0xfffd
	v_dual_cndmask_b32 v76, v77, v78 :: v_dual_mul_f32 v77, v3, v79
	v_mul_f32_e32 v78, v8, v80
	v_add3_u32 v79, v81, v16, 0x7fff
	v_or_b32_e32 v80, 0x400000, v16
	v_lshlrev_b32_e32 v81, 16, v85
	v_bfe_u32 v83, v77, 16, 1
	v_cmp_u_f32_e32 vcc_lo, v16, v16
	v_bfe_u32 v85, v78, 16, 1
	v_add_f32_e32 v0, v0, v68
	v_and_b32_e32 v76, 0xffff0000, v76
	s_wait_alu 0xfffd
	v_dual_cndmask_b32 v16, v79, v80 :: v_dual_mul_f32 v79, v4, v81
	v_add3_u32 v80, v83, v77, 0x7fff
	v_or_b32_e32 v81, 0x400000, v77
	v_cmp_u_f32_e32 vcc_lo, v77, v77
	v_add3_u32 v83, v85, v78, 0x7fff
	v_or_b32_e32 v85, 0x400000, v78
	v_bfe_u32 v86, v79, 16, 1
	s_wait_alu 0xfffd
	v_dual_cndmask_b32 v77, v80, v81 :: v_dual_and_b32 v16, 0xffff0000, v16
	v_lshlrev_b32_e32 v80, 16, v84
	v_cmp_u_f32_e32 vcc_lo, v78, v78
	v_add3_u32 v81, v86, v79, 0x7fff
	s_delay_alu instid0(VALU_DEP_4) | instskip(NEXT) | instid1(VALU_DEP_4)
	v_dual_add_f32 v16, v16, v76 :: v_dual_and_b32 v77, 0xffff0000, v77
	v_mul_f32_e32 v80, v6, v80
	s_wait_alu 0xfffd
	v_cndmask_b32_e32 v78, v83, v85, vcc_lo
	v_or_b32_e32 v83, 0x400000, v79
	v_cmp_u_f32_e32 vcc_lo, v79, v79
	v_lshlrev_b32_e32 v76, 16, v82
	v_add_f32_e32 v0, v16, v0
	v_and_b32_e32 v68, 0xffff0000, v78
	v_bfe_u32 v82, v69, 16, 1
	s_wait_alu 0xfffd
	v_cndmask_b32_e32 v79, v81, v83, vcc_lo
	v_bfe_u32 v81, v80, 16, 1
	v_mul_f32_e32 v16, v1, v76
	v_add_f32_e32 v68, v68, v77
	v_cmp_u_f32_e32 vcc_lo, v80, v80
	v_mul_f32_e32 v6, v6, v14
	v_add3_u32 v78, v81, v80, 0x7fff
	v_or_b32_e32 v81, 0x400000, v80
	v_bfe_u32 v77, v16, 16, 1
	v_add_f32_e32 v0, v68, v0
	v_mul_f32_e32 v68, v5, v75
	v_or_b32_e32 v80, 0x400000, v71
	s_wait_alu 0xfffd
	v_cndmask_b32_e32 v76, v78, v81, vcc_lo
	v_cmp_u_f32_e32 vcc_lo, v16, v16
	v_bfe_u32 v81, v70, 16, 1
	v_bfe_u32 v78, v68, 16, 1
	s_delay_alu instid0(VALU_DEP_4) | instskip(SKIP_3) | instid1(VALU_DEP_1)
	v_dual_mul_f32 v4, v4, v13 :: v_dual_and_b32 v75, 0xffff0000, v76
	v_add3_u32 v76, v77, v16, 0x7fff
	v_or_b32_e32 v77, 0x400000, v16
	s_wait_alu 0xfffd
	v_cndmask_b32_e32 v16, v76, v77, vcc_lo
	v_add3_u32 v76, v78, v68, 0x7fff
	v_or_b32_e32 v77, 0x400000, v68
	v_bfe_u32 v78, v74, 16, 1
	v_cmp_u_f32_e32 vcc_lo, v68, v68
	v_and_b32_e32 v16, 0xffff0000, v16
	s_wait_alu 0xfffd
	v_cndmask_b32_e32 v68, v76, v77, vcc_lo
	v_add3_u32 v76, v78, v74, 0x7fff
	v_or_b32_e32 v77, 0x400000, v74
	v_bfe_u32 v78, v73, 16, 1
	v_cmp_u_f32_e32 vcc_lo, v74, v74
	v_and_b32_e32 v68, 0xffff0000, v68
	;; [unrolled: 7-line block ×3, first 2 shown]
	v_add_f32_e32 v16, v68, v16
	s_wait_alu 0xfffd
	v_cndmask_b32_e32 v73, v76, v77, vcc_lo
	v_add3_u32 v77, v78, v72, 0x7fff
	v_or_b32_e32 v78, 0x400000, v72
	v_cmp_u_f32_e32 vcc_lo, v72, v72
	v_bfe_u32 v76, v71, 16, 1
	s_wait_alu 0xfffd
	s_delay_alu instid0(VALU_DEP_3) | instskip(NEXT) | instid1(VALU_DEP_2)
	v_dual_cndmask_b32 v72, v77, v78 :: v_dual_and_b32 v73, 0xffff0000, v73
	v_add3_u32 v76, v76, v71, 0x7fff
	v_cmp_u_f32_e32 vcc_lo, v71, v71
	v_add3_u32 v77, v82, v69, 0x7fff
	v_or_b32_e32 v78, 0x400000, v69
	v_add_f32_e32 v68, v73, v74
	v_and_b32_e32 v72, 0xffff0000, v72
	s_wait_alu 0xfffd
	v_cndmask_b32_e32 v71, v76, v80, vcc_lo
	v_cmp_u_f32_e32 vcc_lo, v69, v69
	v_add3_u32 v76, v81, v70, 0x7fff
	v_or_b32_e32 v80, 0x400000, v70
	v_and_b32_e32 v73, 0xffff0000, v79
	v_and_b32_e32 v71, 0xffff0000, v71
	s_wait_alu 0xfffd
	v_cndmask_b32_e32 v69, v77, v78, vcc_lo
	v_cmp_u_f32_e32 vcc_lo, v70, v70
	v_add_f32_e32 v16, v68, v16
	v_add_f32_e32 v68, v71, v72
	s_wait_alu 0xfffd
	v_dual_add_f32 v71, v75, v73 :: v_dual_cndmask_b32 v70, v76, v80
	v_and_b32_e32 v69, 0xffff0000, v69
	v_cmp_u_f32_e32 vcc_lo, v67, v67
	v_add_f32_e32 v16, v68, v16
	s_delay_alu instid0(VALU_DEP_4) | instskip(SKIP_1) | instid1(VALU_DEP_2)
	v_add_f32_e32 v0, v71, v0
	v_and_b32_e32 v70, 0xffff0000, v70
	v_add_f32_e32 v28, v28, v0
	s_delay_alu instid0(VALU_DEP_2) | instskip(SKIP_2) | instid1(VALU_DEP_3)
	v_add_f32_e32 v68, v69, v70
	v_bfe_u32 v0, v66, 16, 1
	v_bfe_u32 v69, v61, 16, 1
	v_add_f32_e32 v15, v68, v16
	v_bfe_u32 v16, v67, 16, 1
	s_delay_alu instid0(VALU_DEP_4) | instskip(SKIP_1) | instid1(VALU_DEP_4)
	v_add3_u32 v0, v0, v66, 0x7fff
	v_or_b32_e32 v68, 0x400000, v66
	v_add_f32_e32 v29, v29, v15
	s_delay_alu instid0(VALU_DEP_4) | instskip(SKIP_3) | instid1(VALU_DEP_2)
	v_add3_u32 v15, v16, v67, 0x7fff
	v_or_b32_e32 v16, 0x400000, v67
	v_bfe_u32 v67, v64, 16, 1
	s_wait_alu 0xfffd
	v_cndmask_b32_e32 v15, v15, v16, vcc_lo
	v_bfe_u32 v16, v65, 16, 1
	v_cmp_u_f32_e32 vcc_lo, v66, v66
	v_or_b32_e32 v66, 0x400000, v65
	s_delay_alu instid0(VALU_DEP_4) | instskip(NEXT) | instid1(VALU_DEP_4)
	v_and_b32_e32 v15, 0xffff0000, v15
	v_add3_u32 v16, v16, v65, 0x7fff
	s_wait_alu 0xfffd
	v_cndmask_b32_e32 v0, v0, v68, vcc_lo
	v_cmp_u_f32_e32 vcc_lo, v65, v65
	v_add3_u32 v65, v67, v64, 0x7fff
	v_bfe_u32 v67, v63, 16, 1
	v_bfe_u32 v68, v62, 16, 1
	v_and_b32_e32 v0, 0xffff0000, v0
	s_wait_alu 0xfffd
	v_cndmask_b32_e32 v16, v16, v66, vcc_lo
	v_or_b32_e32 v66, 0x400000, v64
	v_cmp_u_f32_e32 vcc_lo, v64, v64
	v_add_f32_e32 v0, v0, v15
	s_delay_alu instid0(VALU_DEP_4)
	v_and_b32_e32 v16, 0xffff0000, v16
	s_wait_alu 0xfffd
	v_cndmask_b32_e32 v64, v65, v66, vcc_lo
	v_add3_u32 v65, v67, v63, 0x7fff
	v_or_b32_e32 v66, 0x400000, v63
	v_cmp_u_f32_e32 vcc_lo, v63, v63
	v_add3_u32 v67, v68, v62, 0x7fff
	v_or_b32_e32 v68, 0x400000, v62
	s_wait_alu 0xfffd
	v_dual_cndmask_b32 v63, v65, v66 :: v_dual_and_b32 v64, 0xffff0000, v64
	v_cmp_u_f32_e32 vcc_lo, v62, v62
	v_add3_u32 v65, v69, v61, 0x7fff
	v_or_b32_e32 v66, 0x400000, v61
	s_delay_alu instid0(VALU_DEP_4)
	v_add_f32_e32 v15, v64, v16
	s_wait_alu 0xfffd
	v_cndmask_b32_e32 v62, v67, v68, vcc_lo
	v_bfe_u32 v67, v60, 16, 1
	v_cmp_u_f32_e32 vcc_lo, v61, v61
	v_add_f32_e32 v0, v15, v0
	s_delay_alu instid0(VALU_DEP_4)
	v_and_b32_e32 v16, 0xffff0000, v62
	s_wait_alu 0xfffd
	v_dual_cndmask_b32 v61, v65, v66 :: v_dual_and_b32 v62, 0xffff0000, v63
	v_add3_u32 v65, v67, v60, 0x7fff
	v_or_b32_e32 v66, 0x400000, v60
	v_cmp_u_f32_e32 vcc_lo, v60, v60
	s_delay_alu instid0(VALU_DEP_4)
	v_add_f32_e32 v15, v16, v62
	v_mul_f32_e32 v16, v5, v58
	v_bfe_u32 v63, v53, 16, 1
	s_wait_alu 0xfffd
	v_cndmask_b32_e32 v60, v65, v66, vcc_lo
	v_add_f32_e32 v0, v15, v0
	v_bfe_u32 v62, v16, 16, 1
	v_cmp_u_f32_e32 vcc_lo, v59, v59
	s_delay_alu instid0(VALU_DEP_4) | instskip(SKIP_2) | instid1(VALU_DEP_2)
	v_and_b32_e32 v58, 0xffff0000, v60
	v_and_b32_e32 v60, 0xffff0000, v61
	v_bfe_u32 v61, v59, 16, 1
	v_add_f32_e32 v15, v58, v60
	s_delay_alu instid0(VALU_DEP_2)
	v_add3_u32 v58, v61, v59, 0x7fff
	v_or_b32_e32 v60, 0x400000, v59
	v_add3_u32 v61, v62, v16, 0x7fff
	v_or_b32_e32 v62, 0x400000, v16
	v_bfe_u32 v59, v57, 16, 1
	s_wait_alu 0xfffd
	v_cndmask_b32_e32 v58, v58, v60, vcc_lo
	v_cmp_u_f32_e32 vcc_lo, v16, v16
	v_or_b32_e32 v60, 0x400000, v57
	v_add3_u32 v59, v59, v57, 0x7fff
	s_delay_alu instid0(VALU_DEP_4)
	v_and_b32_e32 v58, 0xffff0000, v58
	s_wait_alu 0xfffd
	v_cndmask_b32_e32 v16, v61, v62, vcc_lo
	v_bfe_u32 v61, v56, 16, 1
	v_cmp_u_f32_e32 vcc_lo, v57, v57
	v_bfe_u32 v62, v54, 16, 1
	s_delay_alu instid0(VALU_DEP_4)
	v_and_b32_e32 v16, 0xffff0000, v16
	s_wait_alu 0xfffd
	v_cndmask_b32_e32 v57, v59, v60, vcc_lo
	v_add3_u32 v59, v61, v56, 0x7fff
	v_or_b32_e32 v60, 0x400000, v56
	v_bfe_u32 v61, v55, 16, 1
	v_cmp_u_f32_e32 vcc_lo, v56, v56
	v_dual_add_f32 v16, v16, v58 :: v_dual_and_b32 v57, 0xffff0000, v57
	s_wait_alu 0xfffd
	v_cndmask_b32_e32 v56, v59, v60, vcc_lo
	v_add3_u32 v59, v61, v55, 0x7fff
	v_or_b32_e32 v60, 0x400000, v55
	v_cmp_u_f32_e32 vcc_lo, v55, v55
	v_add3_u32 v61, v62, v54, 0x7fff
	v_or_b32_e32 v62, 0x400000, v54
	v_and_b32_e32 v56, 0xffff0000, v56
	s_wait_alu 0xfffd
	v_cndmask_b32_e32 v55, v59, v60, vcc_lo
	v_cmp_u_f32_e32 vcc_lo, v54, v54
	v_add3_u32 v59, v63, v53, 0x7fff
	v_or_b32_e32 v60, 0x400000, v53
	s_delay_alu instid0(VALU_DEP_4)
	v_dual_add_f32 v56, v56, v57 :: v_dual_and_b32 v55, 0xffff0000, v55
	s_wait_alu 0xfffd
	v_cndmask_b32_e32 v54, v61, v62, vcc_lo
	v_bfe_u32 v61, v52, 16, 1
	v_cmp_u_f32_e32 vcc_lo, v53, v53
	v_add_f32_e32 v16, v56, v16
	v_or_b32_e32 v56, 0x400000, v50
	v_bfe_u32 v57, v49, 16, 1
	s_wait_alu 0xfffd
	v_cndmask_b32_e32 v53, v59, v60, vcc_lo
	v_add3_u32 v59, v61, v52, 0x7fff
	v_or_b32_e32 v60, 0x400000, v52
	v_cmp_u_f32_e32 vcc_lo, v52, v52
	s_wait_alu 0xfffd
	s_delay_alu instid0(VALU_DEP_2) | instskip(SKIP_1) | instid1(VALU_DEP_2)
	v_dual_cndmask_b32 v52, v59, v60 :: v_dual_and_b32 v53, 0xffff0000, v53
	v_cmp_u_f32_e32 vcc_lo, v51, v51
	v_and_b32_e32 v52, 0xffff0000, v52
	s_delay_alu instid0(VALU_DEP_1) | instskip(SKIP_1) | instid1(VALU_DEP_1)
	v_add_f32_e32 v52, v52, v53
	v_and_b32_e32 v54, 0xffff0000, v54
	v_add_f32_e32 v54, v54, v55
	v_bfe_u32 v55, v51, 16, 1
	s_delay_alu instid0(VALU_DEP_2) | instskip(SKIP_1) | instid1(VALU_DEP_3)
	v_add_f32_e32 v16, v54, v16
	v_bfe_u32 v54, v50, 16, 1
	v_add3_u32 v53, v55, v51, 0x7fff
	v_or_b32_e32 v55, 0x400000, v51
	s_delay_alu instid0(VALU_DEP_3) | instskip(SKIP_1) | instid1(VALU_DEP_2)
	v_add3_u32 v54, v54, v50, 0x7fff
	s_wait_alu 0xfffd
	v_cndmask_b32_e32 v51, v53, v55, vcc_lo
	v_cmp_u_f32_e32 vcc_lo, v50, v50
	v_add3_u32 v53, v57, v49, 0x7fff
	v_bfe_u32 v55, v48, 16, 1
	v_bfe_u32 v57, v45, 16, 1
	s_wait_alu 0xfffd
	v_dual_cndmask_b32 v50, v54, v56 :: v_dual_and_b32 v51, 0xffff0000, v51
	v_or_b32_e32 v54, 0x400000, v49
	v_cmp_u_f32_e32 vcc_lo, v49, v49
	v_bfe_u32 v56, v46, 16, 1
	s_delay_alu instid0(VALU_DEP_4)
	v_and_b32_e32 v50, 0xffff0000, v50
	s_wait_alu 0xfffd
	v_cndmask_b32_e32 v49, v53, v54, vcc_lo
	v_add3_u32 v53, v55, v48, 0x7fff
	v_or_b32_e32 v54, 0x400000, v48
	v_bfe_u32 v55, v47, 16, 1
	v_cmp_u_f32_e32 vcc_lo, v48, v48
	v_dual_add_f32 v50, v50, v51 :: v_dual_and_b32 v49, 0xffff0000, v49
	v_or_b32_e32 v51, 0x400000, v44
	s_wait_alu 0xfffd
	v_cndmask_b32_e32 v48, v53, v54, vcc_lo
	v_add3_u32 v53, v55, v47, 0x7fff
	v_or_b32_e32 v54, 0x400000, v47
	v_cmp_u_f32_e32 vcc_lo, v47, v47
	v_add3_u32 v55, v56, v46, 0x7fff
	v_or_b32_e32 v56, 0x400000, v46
	s_wait_alu 0xfffd
	v_dual_cndmask_b32 v47, v53, v54 :: v_dual_and_b32 v48, 0xffff0000, v48
	v_cmp_u_f32_e32 vcc_lo, v46, v46
	v_add3_u32 v53, v57, v45, 0x7fff
	v_or_b32_e32 v54, 0x400000, v45
	s_delay_alu instid0(VALU_DEP_4) | instskip(SKIP_3) | instid1(VALU_DEP_3)
	v_dual_add_f32 v48, v48, v49 :: v_dual_and_b32 v47, 0xffff0000, v47
	s_wait_alu 0xfffd
	v_cndmask_b32_e32 v46, v55, v56, vcc_lo
	v_cmp_u_f32_e32 vcc_lo, v45, v45
	v_add_f32_e32 v48, v48, v50
	v_or_b32_e32 v50, 0x400000, v41
	s_delay_alu instid0(VALU_DEP_4)
	v_and_b32_e32 v46, 0xffff0000, v46
	s_wait_alu 0xfffd
	v_cndmask_b32_e32 v45, v53, v54, vcc_lo
	v_bfe_u32 v53, v44, 16, 1
	v_cmp_u_f32_e32 vcc_lo, v44, v44
	v_add_f32_e32 v46, v46, v47
	v_bfe_u32 v47, v43, 16, 1
	s_delay_alu instid0(VALU_DEP_4) | instskip(NEXT) | instid1(VALU_DEP_3)
	v_add3_u32 v49, v53, v44, 0x7fff
	v_dual_add_f32 v46, v46, v48 :: v_dual_and_b32 v45, 0xffff0000, v45
	s_delay_alu instid0(VALU_DEP_3) | instskip(SKIP_1) | instid1(VALU_DEP_3)
	v_add3_u32 v47, v47, v43, 0x7fff
	s_wait_alu 0xfffd
	v_cndmask_b32_e32 v44, v49, v51, vcc_lo
	v_or_b32_e32 v48, 0x400000, v43
	v_bfe_u32 v49, v42, 16, 1
	v_cmp_u_f32_e32 vcc_lo, v43, v43
	s_delay_alu instid0(VALU_DEP_4)
	v_and_b32_e32 v44, 0xffff0000, v44
	s_wait_alu 0xfffd
	v_cndmask_b32_e32 v43, v47, v48, vcc_lo
	v_bfe_u32 v47, v41, 16, 1
	v_add3_u32 v48, v49, v42, 0x7fff
	v_or_b32_e32 v49, 0x400000, v42
	v_cmp_u_f32_e32 vcc_lo, v42, v42
	v_and_b32_e32 v43, 0xffff0000, v43
	v_add3_u32 v47, v47, v41, 0x7fff
	s_wait_alu 0xfffd
	v_cndmask_b32_e32 v42, v48, v49, vcc_lo
	v_bfe_u32 v48, v40, 16, 1
	v_cmp_u_f32_e32 vcc_lo, v41, v41
	v_or_b32_e32 v49, 0x400000, v40
	s_delay_alu instid0(VALU_DEP_4) | instskip(NEXT) | instid1(VALU_DEP_4)
	v_and_b32_e32 v42, 0xffff0000, v42
	v_add3_u32 v48, v48, v40, 0x7fff
	s_wait_alu 0xfffd
	v_cndmask_b32_e32 v41, v47, v50, vcc_lo
	v_bfe_u32 v47, v39, 16, 1
	v_cmp_u_f32_e32 vcc_lo, v40, v40
	v_or_b32_e32 v50, 0x400000, v39
	s_delay_alu instid0(VALU_DEP_4) | instskip(NEXT) | instid1(VALU_DEP_4)
	v_dual_add_f32 v42, v42, v43 :: v_dual_and_b32 v41, 0xffff0000, v41
	v_add3_u32 v47, v47, v39, 0x7fff
	s_wait_alu 0xfffd
	v_cndmask_b32_e32 v40, v48, v49, vcc_lo
	v_bfe_u32 v48, v38, 16, 1
	v_cmp_u_f32_e32 vcc_lo, v39, v39
	v_bfe_u32 v49, v37, 16, 1
	s_wait_alu 0xfffd
	v_dual_cndmask_b32 v39, v47, v50 :: v_dual_and_b32 v40, 0xffff0000, v40
	v_add3_u32 v47, v48, v38, 0x7fff
	v_or_b32_e32 v48, 0x400000, v38
	v_cmp_u_f32_e32 vcc_lo, v38, v38
	v_add3_u32 v49, v49, v37, 0x7fff
	v_or_b32_e32 v50, 0x400000, v37
	v_dual_add_f32 v40, v40, v41 :: v_dual_and_b32 v39, 0xffff0000, v39
	s_wait_alu 0xfffd
	v_cndmask_b32_e32 v38, v47, v48, vcc_lo
	v_cmp_u_f32_e32 vcc_lo, v37, v37
	v_bfe_u32 v47, v36, 16, 1
	v_lshlrev_b32_e32 v41, 16, v104
	v_or_b32_e32 v48, 0x400000, v36
	v_and_b32_e32 v38, 0xffff0000, v38
	s_wait_alu 0xfffd
	v_cndmask_b32_e32 v37, v49, v50, vcc_lo
	v_lshlrev_b32_e32 v49, 16, v105
	v_add3_u32 v47, v47, v36, 0x7fff
	v_cmp_u_f32_e32 vcc_lo, v36, v36
	v_add_f32_e32 v40, v40, v42
	s_delay_alu instid0(VALU_DEP_4)
	v_dual_add_f32 v38, v38, v39 :: v_dual_mul_f32 v5, v5, v49
	v_mul_f32_e32 v1, v1, v41
	s_wait_alu 0xfffd
	v_dual_cndmask_b32 v36, v47, v48 :: v_dual_lshlrev_b32 v39, 16, v103
	v_add_f32_e32 v0, v15, v0
	v_bfe_u32 v42, v5, 16, 1
	v_bfe_u32 v43, v1, 16, 1
	s_delay_alu instid0(VALU_DEP_4)
	v_mul_f32_e32 v7, v7, v39
	v_lshlrev_b32_e32 v39, 16, v102
	v_cmp_u_f32_e32 vcc_lo, v5, v5
	v_add3_u32 v41, v42, v5, 0x7fff
	v_or_b32_e32 v42, 0x400000, v5
	v_and_b32_e32 v36, 0xffff0000, v36
	v_dual_mul_f32 v2, v2, v39 :: v_dual_lshlrev_b32 v39, 16, v101
	s_wait_alu 0xfffd
	s_delay_alu instid0(VALU_DEP_3)
	v_dual_add_f32 v30, v30, v0 :: v_dual_cndmask_b32 v5, v41, v42
	v_add3_u32 v41, v43, v1, 0x7fff
	v_or_b32_e32 v42, 0x400000, v1
	v_bfe_u32 v43, v7, 16, 1
	v_cmp_u_f32_e32 vcc_lo, v1, v1
	v_dual_mul_f32 v8, v8, v39 :: v_dual_lshlrev_b32 v39, 16, v100
	v_and_b32_e32 v5, 0xffff0000, v5
	s_wait_alu 0xfffd
	v_cndmask_b32_e32 v1, v41, v42, vcc_lo
	v_add3_u32 v41, v43, v7, 0x7fff
	v_or_b32_e32 v42, 0x400000, v7
	v_bfe_u32 v43, v2, 16, 1
	v_cmp_u_f32_e32 vcc_lo, v7, v7
	v_mul_f32_e32 v3, v3, v39
	v_or_b32_e32 v13, 0x400000, v8
	v_and_b32_e32 v1, 0xffff0000, v1
	s_wait_alu 0xfffd
	v_cndmask_b32_e32 v7, v41, v42, vcc_lo
	v_add3_u32 v41, v43, v2, 0x7fff
	v_or_b32_e32 v42, 0x400000, v2
	v_bfe_u32 v43, v8, 16, 1
	v_cmp_u_f32_e32 vcc_lo, v2, v2
	v_bfe_u32 v39, v3, 16, 1
	v_and_b32_e32 v7, 0xffff0000, v7
	v_add_f32_e32 v1, v5, v1
	s_wait_alu 0xfffd
	v_cndmask_b32_e32 v2, v41, v42, vcc_lo
	v_add3_u32 v41, v43, v8, 0x7fff
	v_cmp_u_f32_e32 vcc_lo, v8, v8
	v_add3_u32 v14, v39, v3, 0x7fff
	v_or_b32_e32 v39, 0x400000, v3
	v_bfe_u32 v43, v4, 16, 1
	v_bfe_u32 v42, v6, 16, 1
	s_wait_alu 0xfffd
	v_cndmask_b32_e32 v8, v41, v13, vcc_lo
	v_cmp_u_f32_e32 vcc_lo, v3, v3
	v_and_b32_e32 v2, 0xffff0000, v2
	v_or_b32_e32 v41, 0x400000, v6
	v_add3_u32 v13, v42, v6, 0x7fff
	v_and_b32_e32 v5, 0xffff0000, v8
	s_wait_alu 0xfffd
	v_cndmask_b32_e32 v3, v14, v39, vcc_lo
	v_add3_u32 v14, v43, v4, 0x7fff
	v_or_b32_e32 v39, 0x400000, v4
	v_cmp_u_f32_e32 vcc_lo, v4, v4
	s_delay_alu instid0(VALU_DEP_4) | instskip(SKIP_1) | instid1(VALU_DEP_3)
	v_dual_add_f32 v2, v7, v2 :: v_dual_and_b32 v3, 0xffff0000, v3
	s_wait_alu 0xfffd
	v_dual_cndmask_b32 v4, v14, v39 :: v_dual_and_b32 v7, 0xffff0000, v37
	v_cmp_u_f32_e32 vcc_lo, v6, v6
	s_delay_alu instid0(VALU_DEP_3) | instskip(SKIP_4) | instid1(VALU_DEP_2)
	v_dual_add_f32 v1, v2, v1 :: v_dual_add_f32 v2, v5, v3
	v_add_f32_e32 v5, v44, v45
	s_wait_alu 0xfffd
	v_dual_cndmask_b32 v6, v13, v41 :: v_dual_and_b32 v3, 0xffff0000, v4
	v_add_f32_e32 v7, v36, v7
	v_dual_add_f32 v1, v2, v1 :: v_dual_and_b32 v4, 0xffff0000, v6
	v_add_f32_e32 v6, v38, v40
	s_delay_alu instid0(VALU_DEP_2) | instskip(SKIP_1) | instid1(VALU_DEP_3)
	v_add_f32_e32 v2, v4, v3
	v_add_f32_e32 v4, v5, v46
	v_add_f32_e32 v5, v7, v6
	s_delay_alu instid0(VALU_DEP_3) | instskip(NEXT) | instid1(VALU_DEP_3)
	v_add_f32_e32 v1, v2, v1
	v_add_f32_e32 v33, v33, v4
	;; [unrolled: 1-line block ×3, first 2 shown]
	s_delay_alu instid0(VALU_DEP_4) | instskip(NEXT) | instid1(VALU_DEP_2)
	v_add_f32_e32 v32, v32, v5
	v_dual_add_f32 v22, v22, v1 :: v_dual_add_f32 v31, v31, v3
.LBB352_37:                             ;   in Loop: Header=BB352_38 Depth=1
	s_wait_alu 0xfffe
	s_or_b32 exec_lo, exec_lo, s13
	v_add_nc_u32_e32 v18, 4, v18
	v_add_co_u32 v9, s0, v9, 16
	s_wait_alu 0xf1ff
	v_add_co_ci_u32_e64 v10, null, 0, v10, s0
	s_delay_alu instid0(VALU_DEP_3)
	v_cmp_le_i32_e32 vcc_lo, s35, v18
	v_add_nc_u32_e32 v17, 0x80, v17
	v_add_nc_u32_e32 v35, 0x200, v35
	s_or_b32 s6, vcc_lo, s6
	s_wait_alu 0xfffe
	s_and_not1_b32 exec_lo, exec_lo, s6
	s_cbranch_execz .LBB352_63
.LBB352_38:                             ; =>This Inner Loop Header: Depth=1
	v_sub_nc_u32_e32 v0, 0, v17
	s_delay_alu instid0(VALU_DEP_1) | instskip(NEXT) | instid1(VALU_DEP_1)
	v_max_i32_e32 v0, v17, v0
	v_mul_hi_u32 v1, v0, s22
	s_delay_alu instid0(VALU_DEP_1) | instskip(NEXT) | instid1(VALU_DEP_1)
	v_mul_lo_u32 v2, v1, s16
	v_sub_nc_u32_e32 v0, v0, v2
	v_add_nc_u32_e32 v2, 1, v1
	s_delay_alu instid0(VALU_DEP_2) | instskip(SKIP_2) | instid1(VALU_DEP_2)
	v_subrev_nc_u32_e32 v3, s16, v0
	v_cmp_le_u32_e32 vcc_lo, s16, v0
	s_wait_alu 0xfffd
	v_dual_cndmask_b32 v1, v1, v2 :: v_dual_cndmask_b32 v0, v0, v3
	v_ashrrev_i32_e32 v2, 31, v17
	s_delay_alu instid0(VALU_DEP_2) | instskip(NEXT) | instid1(VALU_DEP_3)
	v_add_nc_u32_e32 v3, 1, v1
	v_cmp_le_u32_e32 vcc_lo, s16, v0
	s_delay_alu instid0(VALU_DEP_3) | instskip(SKIP_1) | instid1(VALU_DEP_3)
	v_xor_b32_e32 v2, s23, v2
	s_wait_alu 0xfffd
	v_cndmask_b32_e32 v0, v1, v3, vcc_lo
	s_delay_alu instid0(VALU_DEP_1) | instskip(NEXT) | instid1(VALU_DEP_1)
	v_xor_b32_e32 v0, v0, v2
	v_sub_nc_u32_e32 v0, v0, v2
	s_delay_alu instid0(VALU_DEP_1) | instskip(SKIP_1) | instid1(VALU_DEP_2)
	v_add_nc_u32_e32 v1, s21, v0
	v_cmp_lt_i32_e64 s0, s3, v0
	v_sub_nc_u32_e32 v2, 0, v1
	s_delay_alu instid0(VALU_DEP_1) | instskip(SKIP_1) | instid1(VALU_DEP_1)
	v_max_i32_e32 v2, v1, v2
	s_wait_alu 0xfffe
	v_mul_hi_u32 v3, v2, s12
	s_delay_alu instid0(VALU_DEP_1) | instskip(NEXT) | instid1(VALU_DEP_1)
	v_mul_lo_u32 v3, v3, s2
	v_sub_nc_u32_e32 v2, v2, v3
	s_delay_alu instid0(VALU_DEP_1) | instskip(SKIP_2) | instid1(VALU_DEP_2)
	v_subrev_nc_u32_e32 v3, s2, v2
	v_cmp_le_u32_e32 vcc_lo, s2, v2
	s_wait_alu 0xfffd
	v_cndmask_b32_e32 v2, v2, v3, vcc_lo
	v_ashrrev_i32_e32 v1, 31, v1
	s_delay_alu instid0(VALU_DEP_2) | instskip(SKIP_2) | instid1(VALU_DEP_2)
	v_subrev_nc_u32_e32 v3, s2, v2
	v_cmp_le_u32_e32 vcc_lo, s2, v2
	s_wait_alu 0xfffd
	v_cndmask_b32_e32 v2, v2, v3, vcc_lo
	s_delay_alu instid0(VALU_DEP_1) | instskip(NEXT) | instid1(VALU_DEP_1)
	v_xor_b32_e32 v2, v2, v1
	v_sub_nc_u32_e32 v1, v2, v1
	s_delay_alu instid0(VALU_DEP_1)
	v_cmp_eq_u32_e32 vcc_lo, 0, v1
	s_or_b32 s0, vcc_lo, s0
	s_wait_alu 0xfffe
	s_and_saveexec_b32 s13, s0
	s_cbranch_execz .LBB352_37
; %bb.39:                               ;   in Loop: Header=BB352_38 Depth=1
	global_load_b32 v0, v[9:10], off
	v_cmp_eq_u32_e32 vcc_lo, s5, v18
	s_wait_loadcnt 0x0
	v_mad_co_i64_i32 v[13:14], null, v0, s4, v[11:12]
	global_load_b64 v[15:16], v[13:14], off
	ds_load_2addr_b64 v[5:8], v35 offset1:1
	ds_load_2addr_b64 v[1:4], v35 offset0:2 offset1:3
	s_load_b32 s14, s[10:11], 0x0
	s_wait_loadcnt 0x0
	v_and_b32_e32 v0, 0xff, v15
	v_bfe_u32 v36, v15, 8, 8
	v_bfe_u32 v37, v15, 16, 8
	v_lshrrev_b32_e32 v15, 24, v15
	v_and_b32_e32 v38, 0xff, v16
	v_cvt_f32_fp8_e32 v0, v0
	v_cvt_f32_fp8_e32 v36, v36
	;; [unrolled: 1-line block ×4, first 2 shown]
	v_add_nc_u32_e32 v68, v34, v17
	s_wait_kmcnt 0x0
	v_mul_f32_e32 v0, s14, v0
	v_dual_mul_f32 v36, s14, v36 :: v_dual_mul_f32 v37, s14, v37
	s_delay_alu instid0(VALU_DEP_3) | instskip(NEXT) | instid1(VALU_DEP_3)
	v_dual_mul_f32 v15, s14, v15 :: v_dual_add_nc_u32 v80, 2, v68
	v_bfe_u32 v41, v0, 16, 1
	v_or_b32_e32 v42, 0x400000, v0
	s_delay_alu instid0(VALU_DEP_4)
	v_bfe_u32 v43, v36, 16, 1
	v_cmp_u_f32_e64 s0, v0, v0
	v_bfe_u32 v39, v16, 8, 8
	v_add3_u32 v41, v41, v0, 0x7fff
	v_cvt_f32_fp8_e32 v38, v38
	v_or_b32_e32 v44, 0x400000, v36
	v_bfe_u32 v45, v37, 16, 1
	v_add3_u32 v43, v43, v36, 0x7fff
	s_wait_alu 0xf1ff
	v_cndmask_b32_e64 v0, v41, v42, s0
	v_cmp_u_f32_e64 s0, v36, v36
	v_dual_mul_f32 v38, s14, v38 :: v_dual_add_nc_u32 v81, 1, v68
	v_bfe_u32 v40, v16, 16, 8
	v_cvt_f32_fp8_e32 v39, v39
	v_or_b32_e32 v46, 0x400000, v37
	v_bfe_u32 v47, v15, 16, 1
	v_add3_u32 v45, v45, v37, 0x7fff
	s_wait_alu 0xf1ff
	v_cndmask_b32_e64 v36, v43, v44, s0
	v_cmp_u_f32_e64 s0, v37, v37
	v_dual_mul_f32 v39, s14, v39 :: v_dual_add_nc_u32 v78, 4, v68
	v_lshrrev_b32_e32 v16, 24, v16
	v_cvt_f32_fp8_e32 v40, v40
	v_or_b32_e32 v48, 0x400000, v15
	v_bfe_u32 v49, v38, 16, 1
	v_add3_u32 v47, v47, v15, 0x7fff
	s_wait_alu 0xf1ff
	v_cndmask_b32_e64 v37, v45, v46, s0
	v_cmp_u_f32_e64 s0, v15, v15
	v_cvt_f32_fp8_e32 v16, v16
	v_mul_f32_e32 v40, s14, v40
	v_or_b32_e32 v50, 0x400000, v38
	v_bfe_u32 v51, v39, 16, 1
	v_add3_u32 v49, v49, v38, 0x7fff
	s_wait_alu 0xf1ff
	v_cndmask_b32_e64 v15, v47, v48, s0
	v_cmp_u_f32_e64 s0, v38, v38
	v_mul_f32_e32 v16, s14, v16
	v_or_b32_e32 v52, 0x400000, v39
	v_bfe_u32 v53, v40, 16, 1
	v_add3_u32 v51, v51, v39, 0x7fff
	s_wait_alu 0xf1ff
	v_cndmask_b32_e64 v38, v49, v50, s0
	v_cmp_u_f32_e64 s0, v39, v39
	v_or_b32_e32 v54, 0x400000, v40
	v_bfe_u32 v55, v16, 16, 1
	v_add3_u32 v53, v53, v40, 0x7fff
	v_or_b32_e32 v56, 0x400000, v16
	s_wait_alu 0xf1ff
	v_cndmask_b32_e64 v39, v51, v52, s0
	v_cmp_u_f32_e64 s0, v40, v40
	v_add3_u32 v55, v55, v16, 0x7fff
	v_add_nc_u32_e32 v79, 3, v68
	v_add_nc_u32_e32 v77, 5, v68
	;; [unrolled: 1-line block ×3, first 2 shown]
	s_wait_alu 0xf1ff
	v_cndmask_b32_e64 v44, v53, v54, s0
	v_cmp_u_f32_e64 s0, v16, v16
	v_lshrrev_b32_e32 v42, 16, v0
	v_lshrrev_b32_e32 v43, 16, v36
	;; [unrolled: 1-line block ×4, first 2 shown]
	s_wait_alu 0xf1ff
	v_cndmask_b32_e64 v16, v55, v56, s0
	v_lshrrev_b32_e32 v38, 16, v38
	v_lshrrev_b32_e32 v39, 16, v39
	;; [unrolled: 1-line block ×3, first 2 shown]
	v_add_nc_u32_e32 v83, 7, v68
	v_lshrrev_b32_e32 v37, 16, v16
	s_and_saveexec_b32 s15, vcc_lo
	s_cbranch_execz .LBB352_41
; %bb.40:                               ;   in Loop: Header=BB352_38 Depth=1
	v_cmp_gt_i32_e64 s0, s34, v68
	s_wait_alu 0xf1ff
	s_delay_alu instid0(VALU_DEP_1) | instskip(SKIP_2) | instid1(VALU_DEP_1)
	v_cndmask_b32_e64 v42, 0, v42, s0
	v_cmp_gt_i32_e64 s0, s34, v81
	s_wait_alu 0xf1ff
	v_cndmask_b32_e64 v43, 0, v43, s0
	v_cmp_gt_i32_e64 s0, s34, v80
	s_wait_alu 0xf1ff
	s_delay_alu instid0(VALU_DEP_1) | instskip(SKIP_2) | instid1(VALU_DEP_1)
	v_cndmask_b32_e64 v40, 0, v40, s0
	v_cmp_gt_i32_e64 s0, s34, v79
	s_wait_alu 0xf1ff
	v_cndmask_b32_e64 v41, 0, v41, s0
	;; [unrolled: 7-line block ×4, first 2 shown]
.LBB352_41:                             ;   in Loop: Header=BB352_38 Depth=1
	s_wait_alu 0xfffe
	s_or_b32 exec_lo, exec_lo, s15
	global_load_b64 v[15:16], v[13:14], off offset:256
	s_wait_loadcnt 0x0
	v_bfe_u32 v45, v15, 16, 8
	v_bfe_u32 v44, v15, 8, 8
	;; [unrolled: 1-line block ×4, first 2 shown]
	s_delay_alu instid0(VALU_DEP_4)
	v_cvt_f32_fp8_e32 v45, v45
	v_and_b32_e32 v0, 0xff, v15
	v_cvt_f32_fp8_e32 v44, v44
	v_cvt_f32_fp8_e32 v47, v47
	v_lshrrev_b32_e32 v15, 24, v15
	v_mul_f32_e32 v45, s14, v45
	v_cvt_f32_fp8_e32 v0, v0
	v_mul_f32_e32 v44, s14, v44
	v_cvt_f32_fp8_e32 v48, v48
	v_cvt_f32_fp8_e32 v15, v15
	s_delay_alu instid0(VALU_DEP_4) | instskip(SKIP_2) | instid1(VALU_DEP_4)
	v_dual_mul_f32 v47, s14, v47 :: v_dual_mul_f32 v0, s14, v0
	v_and_b32_e32 v46, 0xff, v16
	v_bfe_u32 v51, v44, 16, 1
	v_mul_f32_e32 v15, s14, v15
	v_or_b32_e32 v52, 0x400000, v44
	v_bfe_u32 v49, v0, 16, 1
	v_or_b32_e32 v50, 0x400000, v0
	v_cmp_u_f32_e64 s0, v0, v0
	v_cvt_f32_fp8_e32 v46, v46
	v_bfe_u32 v53, v45, 16, 1
	v_add3_u32 v49, v49, v0, 0x7fff
	v_add3_u32 v51, v51, v44, 0x7fff
	v_or_b32_e32 v54, 0x400000, v45
	v_mul_f32_e32 v46, s14, v46
	v_bfe_u32 v55, v15, 16, 1
	s_wait_alu 0xf1ff
	v_cndmask_b32_e64 v0, v49, v50, s0
	v_cmp_u_f32_e64 s0, v44, v44
	v_add3_u32 v53, v53, v45, 0x7fff
	v_lshrrev_b32_e32 v16, 24, v16
	v_or_b32_e32 v56, 0x400000, v15
	v_bfe_u32 v57, v46, 16, 1
	s_wait_alu 0xf1ff
	v_cndmask_b32_e64 v44, v51, v52, s0
	v_cmp_u_f32_e64 s0, v45, v45
	v_add3_u32 v55, v55, v15, 0x7fff
	v_cvt_f32_fp8_e32 v16, v16
	v_mul_f32_e32 v48, s14, v48
	v_or_b32_e32 v58, 0x400000, v46
	s_wait_alu 0xf1ff
	v_cndmask_b32_e64 v45, v53, v54, s0
	v_cmp_u_f32_e64 s0, v15, v15
	v_bfe_u32 v59, v47, 16, 1
	v_add3_u32 v57, v57, v46, 0x7fff
	v_mul_f32_e32 v16, s14, v16
	v_or_b32_e32 v60, 0x400000, v47
	s_wait_alu 0xf1ff
	v_cndmask_b32_e64 v15, v55, v56, s0
	v_cmp_u_f32_e64 s0, v46, v46
	v_bfe_u32 v61, v48, 16, 1
	v_add3_u32 v59, v59, v47, 0x7fff
	v_or_b32_e32 v62, 0x400000, v48
	v_bfe_u32 v63, v16, 16, 1
	s_wait_alu 0xf1ff
	v_cndmask_b32_e64 v46, v57, v58, s0
	v_cmp_u_f32_e64 s0, v47, v47
	v_add3_u32 v61, v61, v48, 0x7fff
	v_or_b32_e32 v64, 0x400000, v16
	v_add3_u32 v63, v63, v16, 0x7fff
	v_lshrrev_b32_e32 v50, 16, v0
	s_wait_alu 0xf1ff
	v_cndmask_b32_e64 v47, v59, v60, s0
	v_cmp_u_f32_e64 s0, v48, v48
	v_lshrrev_b32_e32 v51, 16, v44
	v_lshrrev_b32_e32 v48, 16, v45
	;; [unrolled: 1-line block ×4, first 2 shown]
	s_wait_alu 0xf1ff
	v_cndmask_b32_e64 v52, v61, v62, s0
	v_cmp_u_f32_e64 s0, v16, v16
	v_lshrrev_b32_e32 v47, 16, v47
	s_delay_alu instid0(VALU_DEP_3) | instskip(SKIP_1) | instid1(VALU_DEP_3)
	v_lshrrev_b32_e32 v44, 16, v52
	s_wait_alu 0xf1ff
	v_cndmask_b32_e64 v16, v63, v64, s0
	s_delay_alu instid0(VALU_DEP_1)
	v_lshrrev_b32_e32 v45, 16, v16
	s_and_saveexec_b32 s15, vcc_lo
	s_cbranch_execz .LBB352_43
; %bb.42:                               ;   in Loop: Header=BB352_38 Depth=1
	v_cmp_gt_i32_e64 s0, s34, v68
	s_wait_alu 0xf1ff
	s_delay_alu instid0(VALU_DEP_1) | instskip(SKIP_2) | instid1(VALU_DEP_1)
	v_cndmask_b32_e64 v50, 0, v50, s0
	v_cmp_gt_i32_e64 s0, s34, v81
	s_wait_alu 0xf1ff
	v_cndmask_b32_e64 v51, 0, v51, s0
	v_cmp_gt_i32_e64 s0, s34, v80
	s_wait_alu 0xf1ff
	s_delay_alu instid0(VALU_DEP_1) | instskip(SKIP_2) | instid1(VALU_DEP_1)
	v_cndmask_b32_e64 v48, 0, v48, s0
	v_cmp_gt_i32_e64 s0, s34, v79
	s_wait_alu 0xf1ff
	v_cndmask_b32_e64 v49, 0, v49, s0
	;; [unrolled: 7-line block ×4, first 2 shown]
.LBB352_43:                             ;   in Loop: Header=BB352_38 Depth=1
	s_wait_alu 0xfffe
	s_or_b32 exec_lo, exec_lo, s15
	global_load_b64 v[15:16], v[13:14], off offset:512
	s_wait_loadcnt 0x0
	v_bfe_u32 v53, v15, 16, 8
	v_bfe_u32 v52, v15, 8, 8
	;; [unrolled: 1-line block ×4, first 2 shown]
	s_delay_alu instid0(VALU_DEP_4)
	v_cvt_f32_fp8_e32 v53, v53
	v_and_b32_e32 v0, 0xff, v15
	v_cvt_f32_fp8_e32 v52, v52
	v_cvt_f32_fp8_e32 v55, v55
	v_lshrrev_b32_e32 v15, 24, v15
	v_mul_f32_e32 v53, s14, v53
	v_cvt_f32_fp8_e32 v0, v0
	v_mul_f32_e32 v52, s14, v52
	v_cvt_f32_fp8_e32 v56, v56
	v_cvt_f32_fp8_e32 v15, v15
	s_delay_alu instid0(VALU_DEP_4) | instskip(SKIP_2) | instid1(VALU_DEP_4)
	v_dual_mul_f32 v55, s14, v55 :: v_dual_mul_f32 v0, s14, v0
	v_and_b32_e32 v54, 0xff, v16
	v_bfe_u32 v59, v52, 16, 1
	v_mul_f32_e32 v15, s14, v15
	v_or_b32_e32 v60, 0x400000, v52
	v_bfe_u32 v57, v0, 16, 1
	v_or_b32_e32 v58, 0x400000, v0
	v_cmp_u_f32_e64 s0, v0, v0
	v_cvt_f32_fp8_e32 v54, v54
	v_bfe_u32 v61, v53, 16, 1
	v_add3_u32 v57, v57, v0, 0x7fff
	v_add3_u32 v59, v59, v52, 0x7fff
	v_or_b32_e32 v62, 0x400000, v53
	v_mul_f32_e32 v54, s14, v54
	v_bfe_u32 v63, v15, 16, 1
	s_wait_alu 0xf1ff
	v_cndmask_b32_e64 v0, v57, v58, s0
	v_cmp_u_f32_e64 s0, v52, v52
	v_add3_u32 v61, v61, v53, 0x7fff
	v_lshrrev_b32_e32 v16, 24, v16
	v_or_b32_e32 v64, 0x400000, v15
	v_bfe_u32 v65, v54, 16, 1
	s_wait_alu 0xf1ff
	v_cndmask_b32_e64 v52, v59, v60, s0
	v_cmp_u_f32_e64 s0, v53, v53
	v_add3_u32 v63, v63, v15, 0x7fff
	v_cvt_f32_fp8_e32 v16, v16
	v_mul_f32_e32 v56, s14, v56
	v_or_b32_e32 v66, 0x400000, v54
	s_wait_alu 0xf1ff
	v_cndmask_b32_e64 v53, v61, v62, s0
	v_cmp_u_f32_e64 s0, v15, v15
	v_bfe_u32 v67, v55, 16, 1
	v_add3_u32 v65, v65, v54, 0x7fff
	v_mul_f32_e32 v16, s14, v16
	v_or_b32_e32 v69, 0x400000, v55
	s_wait_alu 0xf1ff
	v_cndmask_b32_e64 v15, v63, v64, s0
	v_cmp_u_f32_e64 s0, v54, v54
	v_bfe_u32 v70, v56, 16, 1
	v_add3_u32 v67, v67, v55, 0x7fff
	v_or_b32_e32 v71, 0x400000, v56
	v_bfe_u32 v72, v16, 16, 1
	s_wait_alu 0xf1ff
	v_cndmask_b32_e64 v54, v65, v66, s0
	v_cmp_u_f32_e64 s0, v55, v55
	v_add3_u32 v70, v70, v56, 0x7fff
	v_or_b32_e32 v73, 0x400000, v16
	v_add3_u32 v72, v72, v16, 0x7fff
	v_lshrrev_b32_e32 v58, 16, v0
	s_wait_alu 0xf1ff
	v_cndmask_b32_e64 v55, v67, v69, s0
	v_cmp_u_f32_e64 s0, v56, v56
	v_lshrrev_b32_e32 v59, 16, v52
	v_lshrrev_b32_e32 v56, 16, v53
	;; [unrolled: 1-line block ×4, first 2 shown]
	s_wait_alu 0xf1ff
	v_cndmask_b32_e64 v60, v70, v71, s0
	v_cmp_u_f32_e64 s0, v16, v16
	v_lshrrev_b32_e32 v55, 16, v55
	s_delay_alu instid0(VALU_DEP_3) | instskip(SKIP_1) | instid1(VALU_DEP_3)
	v_lshrrev_b32_e32 v52, 16, v60
	s_wait_alu 0xf1ff
	v_cndmask_b32_e64 v16, v72, v73, s0
	s_delay_alu instid0(VALU_DEP_1)
	v_lshrrev_b32_e32 v53, 16, v16
	s_and_saveexec_b32 s15, vcc_lo
	s_cbranch_execz .LBB352_45
; %bb.44:                               ;   in Loop: Header=BB352_38 Depth=1
	v_cmp_gt_i32_e64 s0, s34, v68
	s_wait_alu 0xf1ff
	s_delay_alu instid0(VALU_DEP_1) | instskip(SKIP_2) | instid1(VALU_DEP_1)
	v_cndmask_b32_e64 v58, 0, v58, s0
	v_cmp_gt_i32_e64 s0, s34, v81
	s_wait_alu 0xf1ff
	v_cndmask_b32_e64 v59, 0, v59, s0
	v_cmp_gt_i32_e64 s0, s34, v80
	s_wait_alu 0xf1ff
	s_delay_alu instid0(VALU_DEP_1) | instskip(SKIP_2) | instid1(VALU_DEP_1)
	v_cndmask_b32_e64 v56, 0, v56, s0
	v_cmp_gt_i32_e64 s0, s34, v79
	s_wait_alu 0xf1ff
	v_cndmask_b32_e64 v57, 0, v57, s0
	v_cmp_gt_i32_e64 s0, s34, v78
	s_wait_alu 0xf1ff
	s_delay_alu instid0(VALU_DEP_1) | instskip(SKIP_2) | instid1(VALU_DEP_1)
	v_cndmask_b32_e64 v54, 0, v54, s0
	v_cmp_gt_i32_e64 s0, s34, v77
	s_wait_alu 0xf1ff
	v_cndmask_b32_e64 v55, 0, v55, s0
	v_cmp_gt_i32_e64 s0, s34, v76
	s_wait_alu 0xf1ff
	s_delay_alu instid0(VALU_DEP_1) | instskip(SKIP_2) | instid1(VALU_DEP_1)
	v_cndmask_b32_e64 v52, 0, v52, s0
	v_cmp_gt_i32_e64 s0, s34, v83
	s_wait_alu 0xf1ff
	v_cndmask_b32_e64 v53, 0, v53, s0
.LBB352_45:                             ;   in Loop: Header=BB352_38 Depth=1
	s_wait_alu 0xfffe
	s_or_b32 exec_lo, exec_lo, s15
	global_load_b64 v[15:16], v[13:14], off offset:768
	s_wait_loadcnt 0x0
	v_bfe_u32 v61, v15, 16, 8
	v_bfe_u32 v60, v15, 8, 8
	;; [unrolled: 1-line block ×4, first 2 shown]
	s_delay_alu instid0(VALU_DEP_4)
	v_cvt_f32_fp8_e32 v61, v61
	v_and_b32_e32 v0, 0xff, v15
	v_cvt_f32_fp8_e32 v60, v60
	v_cvt_f32_fp8_e32 v63, v63
	v_lshrrev_b32_e32 v15, 24, v15
	v_mul_f32_e32 v61, s14, v61
	v_cvt_f32_fp8_e32 v0, v0
	v_mul_f32_e32 v60, s14, v60
	v_cvt_f32_fp8_e32 v64, v64
	v_cvt_f32_fp8_e32 v15, v15
	s_delay_alu instid0(VALU_DEP_4) | instskip(SKIP_2) | instid1(VALU_DEP_4)
	v_dual_mul_f32 v63, s14, v63 :: v_dual_mul_f32 v0, s14, v0
	v_and_b32_e32 v62, 0xff, v16
	v_bfe_u32 v67, v60, 16, 1
	v_mul_f32_e32 v15, s14, v15
	v_or_b32_e32 v69, 0x400000, v60
	v_bfe_u32 v65, v0, 16, 1
	v_or_b32_e32 v66, 0x400000, v0
	v_cmp_u_f32_e64 s0, v0, v0
	v_cvt_f32_fp8_e32 v62, v62
	v_bfe_u32 v70, v61, 16, 1
	v_add3_u32 v65, v65, v0, 0x7fff
	v_add3_u32 v67, v67, v60, 0x7fff
	v_or_b32_e32 v71, 0x400000, v61
	v_mul_f32_e32 v62, s14, v62
	v_bfe_u32 v72, v15, 16, 1
	s_wait_alu 0xf1ff
	v_cndmask_b32_e64 v0, v65, v66, s0
	v_cmp_u_f32_e64 s0, v60, v60
	v_add3_u32 v70, v70, v61, 0x7fff
	v_lshrrev_b32_e32 v16, 24, v16
	v_or_b32_e32 v73, 0x400000, v15
	v_bfe_u32 v74, v62, 16, 1
	s_wait_alu 0xf1ff
	v_cndmask_b32_e64 v60, v67, v69, s0
	v_cmp_u_f32_e64 s0, v61, v61
	v_add3_u32 v72, v72, v15, 0x7fff
	v_cvt_f32_fp8_e32 v16, v16
	v_mul_f32_e32 v64, s14, v64
	v_or_b32_e32 v75, 0x400000, v62
	s_wait_alu 0xf1ff
	v_cndmask_b32_e64 v61, v70, v71, s0
	v_cmp_u_f32_e64 s0, v15, v15
	v_bfe_u32 v82, v63, 16, 1
	v_add3_u32 v74, v74, v62, 0x7fff
	v_mul_f32_e32 v16, s14, v16
	v_or_b32_e32 v84, 0x400000, v63
	s_wait_alu 0xf1ff
	v_cndmask_b32_e64 v15, v72, v73, s0
	v_cmp_u_f32_e64 s0, v62, v62
	v_bfe_u32 v85, v64, 16, 1
	v_add3_u32 v82, v82, v63, 0x7fff
	v_or_b32_e32 v86, 0x400000, v64
	v_bfe_u32 v87, v16, 16, 1
	s_wait_alu 0xf1ff
	v_cndmask_b32_e64 v62, v74, v75, s0
	v_cmp_u_f32_e64 s0, v63, v63
	v_add3_u32 v85, v85, v64, 0x7fff
	v_or_b32_e32 v88, 0x400000, v16
	v_add3_u32 v87, v87, v16, 0x7fff
	v_lshrrev_b32_e32 v66, 16, v0
	s_wait_alu 0xf1ff
	v_cndmask_b32_e64 v63, v82, v84, s0
	v_cmp_u_f32_e64 s0, v64, v64
	v_lshrrev_b32_e32 v67, 16, v60
	v_lshrrev_b32_e32 v64, 16, v61
	;; [unrolled: 1-line block ×4, first 2 shown]
	s_wait_alu 0xf1ff
	v_cndmask_b32_e64 v69, v85, v86, s0
	v_cmp_u_f32_e64 s0, v16, v16
	v_lshrrev_b32_e32 v63, 16, v63
	s_delay_alu instid0(VALU_DEP_3) | instskip(SKIP_1) | instid1(VALU_DEP_3)
	v_lshrrev_b32_e32 v60, 16, v69
	s_wait_alu 0xf1ff
	v_cndmask_b32_e64 v16, v87, v88, s0
	s_delay_alu instid0(VALU_DEP_1)
	v_lshrrev_b32_e32 v61, 16, v16
	s_and_saveexec_b32 s15, vcc_lo
	s_cbranch_execz .LBB352_47
; %bb.46:                               ;   in Loop: Header=BB352_38 Depth=1
	v_cmp_gt_i32_e64 s0, s34, v68
	s_wait_alu 0xf1ff
	s_delay_alu instid0(VALU_DEP_1) | instskip(SKIP_2) | instid1(VALU_DEP_1)
	v_cndmask_b32_e64 v66, 0, v66, s0
	v_cmp_gt_i32_e64 s0, s34, v81
	s_wait_alu 0xf1ff
	v_cndmask_b32_e64 v67, 0, v67, s0
	v_cmp_gt_i32_e64 s0, s34, v80
	s_wait_alu 0xf1ff
	s_delay_alu instid0(VALU_DEP_1) | instskip(SKIP_2) | instid1(VALU_DEP_1)
	v_cndmask_b32_e64 v64, 0, v64, s0
	v_cmp_gt_i32_e64 s0, s34, v79
	s_wait_alu 0xf1ff
	v_cndmask_b32_e64 v65, 0, v65, s0
	;; [unrolled: 7-line block ×4, first 2 shown]
.LBB352_47:                             ;   in Loop: Header=BB352_38 Depth=1
	s_wait_alu 0xfffe
	s_or_b32 exec_lo, exec_lo, s15
	global_load_b64 v[15:16], v[13:14], off offset:1024
	s_wait_loadcnt 0x0
	v_bfe_u32 v69, v15, 8, 8
	v_bfe_u32 v70, v15, 16, 8
	;; [unrolled: 1-line block ×4, first 2 shown]
	s_delay_alu instid0(VALU_DEP_4)
	v_cvt_f32_fp8_e32 v69, v69
	v_and_b32_e32 v0, 0xff, v15
	v_lshrrev_b32_e32 v15, 24, v15
	v_cvt_f32_fp8_e32 v70, v70
	v_and_b32_e32 v71, 0xff, v16
	v_mul_f32_e32 v69, s14, v69
	v_cvt_f32_fp8_e32 v0, v0
	v_cvt_f32_fp8_e32 v15, v15
	v_mul_f32_e32 v70, s14, v70
	v_cvt_f32_fp8_e32 v71, v71
	v_bfe_u32 v82, v69, 16, 1
	s_delay_alu instid0(VALU_DEP_4) | instskip(SKIP_2) | instid1(VALU_DEP_4)
	v_dual_mul_f32 v0, s14, v0 :: v_dual_mul_f32 v15, s14, v15
	v_or_b32_e32 v84, 0x400000, v69
	v_bfe_u32 v85, v70, 16, 1
	v_add3_u32 v82, v82, v69, 0x7fff
	s_delay_alu instid0(VALU_DEP_4)
	v_bfe_u32 v74, v0, 16, 1
	v_or_b32_e32 v75, 0x400000, v0
	v_cmp_u_f32_e64 s0, v0, v0
	v_cvt_f32_fp8_e32 v72, v72
	v_mul_f32_e32 v71, s14, v71
	v_add3_u32 v74, v74, v0, 0x7fff
	v_or_b32_e32 v86, 0x400000, v70
	v_bfe_u32 v87, v15, 16, 1
	v_add3_u32 v85, v85, v70, 0x7fff
	v_lshrrev_b32_e32 v16, 24, v16
	s_wait_alu 0xf1ff
	v_cndmask_b32_e64 v0, v74, v75, s0
	v_cmp_u_f32_e64 s0, v69, v69
	v_cvt_f32_fp8_e32 v73, v73
	v_mul_f32_e32 v72, s14, v72
	v_or_b32_e32 v88, 0x400000, v15
	v_bfe_u32 v89, v71, 16, 1
	s_wait_alu 0xf1ff
	v_cndmask_b32_e64 v69, v82, v84, s0
	v_cmp_u_f32_e64 s0, v70, v70
	v_add3_u32 v87, v87, v15, 0x7fff
	v_cvt_f32_fp8_e32 v16, v16
	v_mul_f32_e32 v73, s14, v73
	v_or_b32_e32 v90, 0x400000, v71
	s_wait_alu 0xf1ff
	v_cndmask_b32_e64 v70, v85, v86, s0
	v_cmp_u_f32_e64 s0, v15, v15
	v_bfe_u32 v91, v72, 16, 1
	v_add3_u32 v89, v89, v71, 0x7fff
	v_mul_f32_e32 v16, s14, v16
	v_or_b32_e32 v92, 0x400000, v72
	s_wait_alu 0xf1ff
	v_cndmask_b32_e64 v15, v87, v88, s0
	v_cmp_u_f32_e64 s0, v71, v71
	v_bfe_u32 v93, v73, 16, 1
	v_add3_u32 v91, v91, v72, 0x7fff
	v_or_b32_e32 v94, 0x400000, v73
	v_bfe_u32 v95, v16, 16, 1
	s_wait_alu 0xf1ff
	v_cndmask_b32_e64 v71, v89, v90, s0
	v_cmp_u_f32_e64 s0, v72, v72
	v_add3_u32 v93, v93, v73, 0x7fff
	v_or_b32_e32 v96, 0x400000, v16
	v_add3_u32 v95, v95, v16, 0x7fff
	v_lshrrev_b32_e32 v75, 16, v0
	s_wait_alu 0xf1ff
	v_cndmask_b32_e64 v72, v91, v92, s0
	v_cmp_u_f32_e64 s0, v73, v73
	v_lshrrev_b32_e32 v82, 16, v69
	v_lshrrev_b32_e32 v73, 16, v70
	;; [unrolled: 1-line block ×4, first 2 shown]
	s_wait_alu 0xf1ff
	v_cndmask_b32_e64 v84, v93, v94, s0
	v_cmp_u_f32_e64 s0, v16, v16
	v_lshrrev_b32_e32 v72, 16, v72
	s_delay_alu instid0(VALU_DEP_3) | instskip(SKIP_1) | instid1(VALU_DEP_3)
	v_lshrrev_b32_e32 v69, 16, v84
	s_wait_alu 0xf1ff
	v_cndmask_b32_e64 v16, v95, v96, s0
	s_delay_alu instid0(VALU_DEP_1)
	v_lshrrev_b32_e32 v70, 16, v16
	s_and_saveexec_b32 s15, vcc_lo
	s_cbranch_execz .LBB352_49
; %bb.48:                               ;   in Loop: Header=BB352_38 Depth=1
	v_cmp_gt_i32_e64 s0, s34, v68
	s_wait_alu 0xf1ff
	s_delay_alu instid0(VALU_DEP_1) | instskip(SKIP_2) | instid1(VALU_DEP_1)
	v_cndmask_b32_e64 v75, 0, v75, s0
	v_cmp_gt_i32_e64 s0, s34, v81
	s_wait_alu 0xf1ff
	v_cndmask_b32_e64 v82, 0, v82, s0
	v_cmp_gt_i32_e64 s0, s34, v80
	s_wait_alu 0xf1ff
	s_delay_alu instid0(VALU_DEP_1) | instskip(SKIP_2) | instid1(VALU_DEP_1)
	v_cndmask_b32_e64 v73, 0, v73, s0
	v_cmp_gt_i32_e64 s0, s34, v79
	s_wait_alu 0xf1ff
	v_cndmask_b32_e64 v74, 0, v74, s0
	;; [unrolled: 7-line block ×4, first 2 shown]
.LBB352_49:                             ;   in Loop: Header=BB352_38 Depth=1
	s_wait_alu 0xfffe
	s_or_b32 exec_lo, exec_lo, s15
	global_load_b64 v[15:16], v[13:14], off offset:1280
	s_wait_loadcnt 0x0
	v_bfe_u32 v85, v15, 16, 8
	v_bfe_u32 v84, v15, 8, 8
	;; [unrolled: 1-line block ×4, first 2 shown]
	s_delay_alu instid0(VALU_DEP_4)
	v_cvt_f32_fp8_e32 v85, v85
	v_and_b32_e32 v0, 0xff, v15
	v_cvt_f32_fp8_e32 v84, v84
	v_cvt_f32_fp8_e32 v87, v87
	v_lshrrev_b32_e32 v15, 24, v15
	v_mul_f32_e32 v85, s14, v85
	v_cvt_f32_fp8_e32 v0, v0
	v_mul_f32_e32 v84, s14, v84
	v_cvt_f32_fp8_e32 v88, v88
	v_cvt_f32_fp8_e32 v15, v15
	s_delay_alu instid0(VALU_DEP_4) | instskip(SKIP_2) | instid1(VALU_DEP_4)
	v_dual_mul_f32 v87, s14, v87 :: v_dual_mul_f32 v0, s14, v0
	v_and_b32_e32 v86, 0xff, v16
	v_bfe_u32 v91, v84, 16, 1
	v_mul_f32_e32 v15, s14, v15
	v_or_b32_e32 v92, 0x400000, v84
	v_bfe_u32 v89, v0, 16, 1
	v_or_b32_e32 v90, 0x400000, v0
	v_cmp_u_f32_e64 s0, v0, v0
	v_cvt_f32_fp8_e32 v86, v86
	v_bfe_u32 v93, v85, 16, 1
	v_add3_u32 v89, v89, v0, 0x7fff
	v_add3_u32 v91, v91, v84, 0x7fff
	v_or_b32_e32 v94, 0x400000, v85
	v_mul_f32_e32 v86, s14, v86
	v_bfe_u32 v95, v15, 16, 1
	s_wait_alu 0xf1ff
	v_cndmask_b32_e64 v0, v89, v90, s0
	v_cmp_u_f32_e64 s0, v84, v84
	v_add3_u32 v93, v93, v85, 0x7fff
	v_lshrrev_b32_e32 v16, 24, v16
	v_or_b32_e32 v96, 0x400000, v15
	v_bfe_u32 v97, v86, 16, 1
	s_wait_alu 0xf1ff
	v_cndmask_b32_e64 v84, v91, v92, s0
	v_cmp_u_f32_e64 s0, v85, v85
	v_add3_u32 v95, v95, v15, 0x7fff
	v_cvt_f32_fp8_e32 v16, v16
	v_mul_f32_e32 v88, s14, v88
	v_or_b32_e32 v98, 0x400000, v86
	s_wait_alu 0xf1ff
	v_cndmask_b32_e64 v85, v93, v94, s0
	v_cmp_u_f32_e64 s0, v15, v15
	v_bfe_u32 v99, v87, 16, 1
	v_add3_u32 v97, v97, v86, 0x7fff
	v_mul_f32_e32 v16, s14, v16
	v_or_b32_e32 v100, 0x400000, v87
	s_wait_alu 0xf1ff
	v_cndmask_b32_e64 v15, v95, v96, s0
	v_cmp_u_f32_e64 s0, v86, v86
	v_bfe_u32 v101, v88, 16, 1
	v_add3_u32 v99, v99, v87, 0x7fff
	v_or_b32_e32 v102, 0x400000, v88
	v_bfe_u32 v103, v16, 16, 1
	s_wait_alu 0xf1ff
	v_cndmask_b32_e64 v86, v97, v98, s0
	v_cmp_u_f32_e64 s0, v87, v87
	v_add3_u32 v101, v101, v88, 0x7fff
	v_or_b32_e32 v104, 0x400000, v16
	v_add3_u32 v103, v103, v16, 0x7fff
	v_lshrrev_b32_e32 v90, 16, v0
	s_wait_alu 0xf1ff
	v_cndmask_b32_e64 v87, v99, v100, s0
	v_cmp_u_f32_e64 s0, v88, v88
	v_lshrrev_b32_e32 v91, 16, v84
	v_lshrrev_b32_e32 v88, 16, v85
	;; [unrolled: 1-line block ×4, first 2 shown]
	s_wait_alu 0xf1ff
	v_cndmask_b32_e64 v92, v101, v102, s0
	v_cmp_u_f32_e64 s0, v16, v16
	v_lshrrev_b32_e32 v87, 16, v87
	s_delay_alu instid0(VALU_DEP_3) | instskip(SKIP_1) | instid1(VALU_DEP_3)
	v_lshrrev_b32_e32 v84, 16, v92
	s_wait_alu 0xf1ff
	v_cndmask_b32_e64 v16, v103, v104, s0
	s_delay_alu instid0(VALU_DEP_1)
	v_lshrrev_b32_e32 v85, 16, v16
	s_and_saveexec_b32 s15, vcc_lo
	s_cbranch_execz .LBB352_51
; %bb.50:                               ;   in Loop: Header=BB352_38 Depth=1
	v_cmp_gt_i32_e64 s0, s34, v68
	s_wait_alu 0xf1ff
	s_delay_alu instid0(VALU_DEP_1) | instskip(SKIP_2) | instid1(VALU_DEP_1)
	v_cndmask_b32_e64 v90, 0, v90, s0
	v_cmp_gt_i32_e64 s0, s34, v81
	s_wait_alu 0xf1ff
	v_cndmask_b32_e64 v91, 0, v91, s0
	v_cmp_gt_i32_e64 s0, s34, v80
	s_wait_alu 0xf1ff
	s_delay_alu instid0(VALU_DEP_1) | instskip(SKIP_2) | instid1(VALU_DEP_1)
	v_cndmask_b32_e64 v88, 0, v88, s0
	v_cmp_gt_i32_e64 s0, s34, v79
	s_wait_alu 0xf1ff
	v_cndmask_b32_e64 v89, 0, v89, s0
	;; [unrolled: 7-line block ×4, first 2 shown]
.LBB352_51:                             ;   in Loop: Header=BB352_38 Depth=1
	s_wait_alu 0xfffe
	s_or_b32 exec_lo, exec_lo, s15
	global_load_b64 v[15:16], v[13:14], off offset:1536
	s_wait_loadcnt 0x0
	v_bfe_u32 v93, v15, 16, 8
	v_bfe_u32 v92, v15, 8, 8
	;; [unrolled: 1-line block ×4, first 2 shown]
	s_delay_alu instid0(VALU_DEP_4)
	v_cvt_f32_fp8_e32 v93, v93
	v_and_b32_e32 v0, 0xff, v15
	v_cvt_f32_fp8_e32 v92, v92
	v_cvt_f32_fp8_e32 v95, v95
	v_lshrrev_b32_e32 v15, 24, v15
	v_mul_f32_e32 v93, s14, v93
	v_cvt_f32_fp8_e32 v0, v0
	v_mul_f32_e32 v92, s14, v92
	v_cvt_f32_fp8_e32 v96, v96
	v_cvt_f32_fp8_e32 v15, v15
	s_delay_alu instid0(VALU_DEP_4) | instskip(SKIP_2) | instid1(VALU_DEP_4)
	v_dual_mul_f32 v95, s14, v95 :: v_dual_mul_f32 v0, s14, v0
	v_and_b32_e32 v94, 0xff, v16
	v_bfe_u32 v99, v92, 16, 1
	v_mul_f32_e32 v15, s14, v15
	v_or_b32_e32 v100, 0x400000, v92
	v_bfe_u32 v97, v0, 16, 1
	v_or_b32_e32 v98, 0x400000, v0
	v_cmp_u_f32_e64 s0, v0, v0
	v_cvt_f32_fp8_e32 v94, v94
	v_bfe_u32 v101, v93, 16, 1
	v_add3_u32 v97, v97, v0, 0x7fff
	v_add3_u32 v99, v99, v92, 0x7fff
	v_or_b32_e32 v102, 0x400000, v93
	v_mul_f32_e32 v94, s14, v94
	v_bfe_u32 v103, v15, 16, 1
	s_wait_alu 0xf1ff
	v_cndmask_b32_e64 v0, v97, v98, s0
	v_cmp_u_f32_e64 s0, v92, v92
	v_add3_u32 v101, v101, v93, 0x7fff
	v_lshrrev_b32_e32 v16, 24, v16
	v_or_b32_e32 v104, 0x400000, v15
	v_bfe_u32 v105, v94, 16, 1
	s_wait_alu 0xf1ff
	v_cndmask_b32_e64 v92, v99, v100, s0
	v_cmp_u_f32_e64 s0, v93, v93
	v_add3_u32 v103, v103, v15, 0x7fff
	v_cvt_f32_fp8_e32 v16, v16
	v_mul_f32_e32 v96, s14, v96
	v_or_b32_e32 v106, 0x400000, v94
	s_wait_alu 0xf1ff
	v_cndmask_b32_e64 v93, v101, v102, s0
	v_cmp_u_f32_e64 s0, v15, v15
	v_bfe_u32 v107, v95, 16, 1
	v_add3_u32 v105, v105, v94, 0x7fff
	v_mul_f32_e32 v16, s14, v16
	v_or_b32_e32 v108, 0x400000, v95
	s_wait_alu 0xf1ff
	v_cndmask_b32_e64 v15, v103, v104, s0
	v_cmp_u_f32_e64 s0, v94, v94
	v_bfe_u32 v109, v96, 16, 1
	v_add3_u32 v107, v107, v95, 0x7fff
	v_or_b32_e32 v110, 0x400000, v96
	v_bfe_u32 v111, v16, 16, 1
	s_wait_alu 0xf1ff
	v_cndmask_b32_e64 v94, v105, v106, s0
	v_cmp_u_f32_e64 s0, v95, v95
	v_add3_u32 v109, v109, v96, 0x7fff
	v_or_b32_e32 v112, 0x400000, v16
	v_add3_u32 v111, v111, v16, 0x7fff
	v_lshrrev_b32_e32 v98, 16, v0
	s_wait_alu 0xf1ff
	v_cndmask_b32_e64 v95, v107, v108, s0
	v_cmp_u_f32_e64 s0, v96, v96
	v_lshrrev_b32_e32 v99, 16, v92
	v_lshrrev_b32_e32 v96, 16, v93
	;; [unrolled: 1-line block ×4, first 2 shown]
	s_wait_alu 0xf1ff
	v_cndmask_b32_e64 v100, v109, v110, s0
	v_cmp_u_f32_e64 s0, v16, v16
	v_lshrrev_b32_e32 v95, 16, v95
	s_delay_alu instid0(VALU_DEP_3) | instskip(SKIP_1) | instid1(VALU_DEP_3)
	v_lshrrev_b32_e32 v92, 16, v100
	s_wait_alu 0xf1ff
	v_cndmask_b32_e64 v16, v111, v112, s0
	s_delay_alu instid0(VALU_DEP_1)
	v_lshrrev_b32_e32 v93, 16, v16
	s_and_saveexec_b32 s15, vcc_lo
	s_cbranch_execz .LBB352_53
; %bb.52:                               ;   in Loop: Header=BB352_38 Depth=1
	v_cmp_gt_i32_e64 s0, s34, v68
	s_wait_alu 0xf1ff
	s_delay_alu instid0(VALU_DEP_1) | instskip(SKIP_2) | instid1(VALU_DEP_1)
	v_cndmask_b32_e64 v98, 0, v98, s0
	v_cmp_gt_i32_e64 s0, s34, v81
	s_wait_alu 0xf1ff
	v_cndmask_b32_e64 v99, 0, v99, s0
	v_cmp_gt_i32_e64 s0, s34, v80
	s_wait_alu 0xf1ff
	s_delay_alu instid0(VALU_DEP_1) | instskip(SKIP_2) | instid1(VALU_DEP_1)
	v_cndmask_b32_e64 v96, 0, v96, s0
	v_cmp_gt_i32_e64 s0, s34, v79
	s_wait_alu 0xf1ff
	v_cndmask_b32_e64 v97, 0, v97, s0
	;; [unrolled: 7-line block ×4, first 2 shown]
.LBB352_53:                             ;   in Loop: Header=BB352_38 Depth=1
	s_wait_alu 0xfffe
	s_or_b32 exec_lo, exec_lo, s15
	global_load_b64 v[15:16], v[13:14], off offset:1792
	s_wait_loadcnt 0x0
	v_bfe_u32 v101, v15, 16, 8
	v_bfe_u32 v100, v15, 8, 8
	;; [unrolled: 1-line block ×4, first 2 shown]
	s_delay_alu instid0(VALU_DEP_4)
	v_cvt_f32_fp8_e32 v101, v101
	v_and_b32_e32 v0, 0xff, v15
	v_cvt_f32_fp8_e32 v100, v100
	v_cvt_f32_fp8_e32 v103, v103
	v_lshrrev_b32_e32 v15, 24, v15
	v_mul_f32_e32 v101, s14, v101
	v_cvt_f32_fp8_e32 v0, v0
	v_mul_f32_e32 v100, s14, v100
	v_cvt_f32_fp8_e32 v104, v104
	v_cvt_f32_fp8_e32 v15, v15
	s_delay_alu instid0(VALU_DEP_4) | instskip(SKIP_2) | instid1(VALU_DEP_4)
	v_dual_mul_f32 v103, s14, v103 :: v_dual_mul_f32 v0, s14, v0
	v_and_b32_e32 v102, 0xff, v16
	v_bfe_u32 v107, v100, 16, 1
	v_mul_f32_e32 v15, s14, v15
	v_or_b32_e32 v108, 0x400000, v100
	v_bfe_u32 v105, v0, 16, 1
	v_or_b32_e32 v106, 0x400000, v0
	v_cmp_u_f32_e64 s0, v0, v0
	v_cvt_f32_fp8_e32 v102, v102
	v_bfe_u32 v109, v101, 16, 1
	v_add3_u32 v105, v105, v0, 0x7fff
	v_add3_u32 v107, v107, v100, 0x7fff
	v_or_b32_e32 v110, 0x400000, v101
	v_mul_f32_e32 v102, s14, v102
	v_bfe_u32 v111, v15, 16, 1
	s_wait_alu 0xf1ff
	v_cndmask_b32_e64 v0, v105, v106, s0
	v_cmp_u_f32_e64 s0, v100, v100
	v_add3_u32 v109, v109, v101, 0x7fff
	v_lshrrev_b32_e32 v16, 24, v16
	v_or_b32_e32 v112, 0x400000, v15
	v_bfe_u32 v113, v102, 16, 1
	s_wait_alu 0xf1ff
	v_cndmask_b32_e64 v100, v107, v108, s0
	v_cmp_u_f32_e64 s0, v101, v101
	v_add3_u32 v111, v111, v15, 0x7fff
	v_cvt_f32_fp8_e32 v16, v16
	v_mul_f32_e32 v104, s14, v104
	v_or_b32_e32 v114, 0x400000, v102
	s_wait_alu 0xf1ff
	v_cndmask_b32_e64 v101, v109, v110, s0
	v_cmp_u_f32_e64 s0, v15, v15
	v_bfe_u32 v115, v103, 16, 1
	v_add3_u32 v113, v113, v102, 0x7fff
	v_mul_f32_e32 v16, s14, v16
	v_or_b32_e32 v116, 0x400000, v103
	s_wait_alu 0xf1ff
	v_cndmask_b32_e64 v15, v111, v112, s0
	v_cmp_u_f32_e64 s0, v102, v102
	v_bfe_u32 v117, v104, 16, 1
	v_add3_u32 v115, v115, v103, 0x7fff
	v_or_b32_e32 v118, 0x400000, v104
	v_bfe_u32 v119, v16, 16, 1
	s_wait_alu 0xf1ff
	v_cndmask_b32_e64 v102, v113, v114, s0
	v_cmp_u_f32_e64 s0, v103, v103
	v_add3_u32 v117, v117, v104, 0x7fff
	v_or_b32_e32 v120, 0x400000, v16
	v_add3_u32 v119, v119, v16, 0x7fff
	v_lshrrev_b32_e32 v112, 16, v0
	s_wait_alu 0xf1ff
	v_cndmask_b32_e64 v103, v115, v116, s0
	v_cmp_u_f32_e64 s0, v104, v104
	v_lshrrev_b32_e32 v113, 16, v100
	v_lshrrev_b32_e32 v110, 16, v101
	;; [unrolled: 1-line block ×4, first 2 shown]
	s_wait_alu 0xf1ff
	v_cndmask_b32_e64 v104, v117, v118, s0
	v_cmp_u_f32_e64 s0, v16, v16
	v_lshrrev_b32_e32 v109, 16, v103
	s_delay_alu instid0(VALU_DEP_3) | instskip(SKIP_1) | instid1(VALU_DEP_3)
	v_lshrrev_b32_e32 v106, 16, v104
	s_wait_alu 0xf1ff
	v_cndmask_b32_e64 v16, v119, v120, s0
	s_delay_alu instid0(VALU_DEP_1)
	v_lshrrev_b32_e32 v107, 16, v16
	s_and_saveexec_b32 s15, vcc_lo
	s_cbranch_execz .LBB352_55
; %bb.54:                               ;   in Loop: Header=BB352_38 Depth=1
	v_cmp_gt_i32_e64 s0, s34, v68
	s_wait_alu 0xf1ff
	s_delay_alu instid0(VALU_DEP_1) | instskip(SKIP_2) | instid1(VALU_DEP_1)
	v_cndmask_b32_e64 v112, 0, v112, s0
	v_cmp_gt_i32_e64 s0, s34, v81
	s_wait_alu 0xf1ff
	v_cndmask_b32_e64 v113, 0, v113, s0
	v_cmp_gt_i32_e64 s0, s34, v80
	s_wait_alu 0xf1ff
	s_delay_alu instid0(VALU_DEP_1) | instskip(SKIP_2) | instid1(VALU_DEP_1)
	v_cndmask_b32_e64 v110, 0, v110, s0
	v_cmp_gt_i32_e64 s0, s34, v79
	s_wait_alu 0xf1ff
	v_cndmask_b32_e64 v111, 0, v111, s0
	;; [unrolled: 7-line block ×4, first 2 shown]
.LBB352_55:                             ;   in Loop: Header=BB352_38 Depth=1
	s_wait_alu 0xfffe
	s_or_b32 exec_lo, exec_lo, s15
	global_load_b64 v[15:16], v[13:14], off offset:2048
	s_wait_loadcnt 0x0
	v_bfe_u32 v101, v15, 16, 8
	v_bfe_u32 v100, v15, 8, 8
	;; [unrolled: 1-line block ×4, first 2 shown]
	s_delay_alu instid0(VALU_DEP_4)
	v_cvt_f32_fp8_e32 v101, v101
	v_and_b32_e32 v0, 0xff, v15
	v_cvt_f32_fp8_e32 v100, v100
	v_cvt_f32_fp8_e32 v103, v103
	v_lshrrev_b32_e32 v15, 24, v15
	v_mul_f32_e32 v101, s14, v101
	v_cvt_f32_fp8_e32 v0, v0
	v_mul_f32_e32 v100, s14, v100
	v_cvt_f32_fp8_e32 v104, v104
	v_cvt_f32_fp8_e32 v15, v15
	s_delay_alu instid0(VALU_DEP_4) | instskip(SKIP_2) | instid1(VALU_DEP_4)
	v_dual_mul_f32 v103, s14, v103 :: v_dual_mul_f32 v0, s14, v0
	v_and_b32_e32 v102, 0xff, v16
	v_bfe_u32 v115, v100, 16, 1
	v_mul_f32_e32 v15, s14, v15
	v_or_b32_e32 v116, 0x400000, v100
	v_bfe_u32 v105, v0, 16, 1
	v_or_b32_e32 v114, 0x400000, v0
	v_cmp_u_f32_e64 s0, v0, v0
	v_cvt_f32_fp8_e32 v102, v102
	v_bfe_u32 v117, v101, 16, 1
	v_add3_u32 v105, v105, v0, 0x7fff
	v_add3_u32 v115, v115, v100, 0x7fff
	v_or_b32_e32 v118, 0x400000, v101
	v_mul_f32_e32 v102, s14, v102
	v_bfe_u32 v119, v15, 16, 1
	s_wait_alu 0xf1ff
	v_cndmask_b32_e64 v0, v105, v114, s0
	v_cmp_u_f32_e64 s0, v100, v100
	v_add3_u32 v117, v117, v101, 0x7fff
	v_lshrrev_b32_e32 v16, 24, v16
	v_or_b32_e32 v120, 0x400000, v15
	v_bfe_u32 v121, v102, 16, 1
	s_wait_alu 0xf1ff
	v_cndmask_b32_e64 v100, v115, v116, s0
	v_cmp_u_f32_e64 s0, v101, v101
	v_add3_u32 v119, v119, v15, 0x7fff
	v_cvt_f32_fp8_e32 v16, v16
	v_mul_f32_e32 v104, s14, v104
	v_or_b32_e32 v122, 0x400000, v102
	s_wait_alu 0xf1ff
	v_cndmask_b32_e64 v101, v117, v118, s0
	v_cmp_u_f32_e64 s0, v15, v15
	v_bfe_u32 v123, v103, 16, 1
	v_add3_u32 v121, v121, v102, 0x7fff
	v_mul_f32_e32 v16, s14, v16
	v_or_b32_e32 v124, 0x400000, v103
	s_wait_alu 0xf1ff
	v_cndmask_b32_e64 v15, v119, v120, s0
	v_cmp_u_f32_e64 s0, v102, v102
	v_bfe_u32 v125, v104, 16, 1
	v_add3_u32 v123, v123, v103, 0x7fff
	v_or_b32_e32 v126, 0x400000, v104
	v_bfe_u32 v127, v16, 16, 1
	s_wait_alu 0xf1ff
	v_cndmask_b32_e64 v102, v121, v122, s0
	v_cmp_u_f32_e64 s0, v103, v103
	v_add3_u32 v125, v125, v104, 0x7fff
	v_or_b32_e32 v128, 0x400000, v16
	v_add3_u32 v127, v127, v16, 0x7fff
	v_lshrrev_b32_e32 v117, 16, v0
	s_wait_alu 0xf1ff
	v_cndmask_b32_e64 v103, v123, v124, s0
	v_cmp_u_f32_e64 s0, v104, v104
	v_lshrrev_b32_e32 v118, 16, v100
	v_lshrrev_b32_e32 v115, 16, v101
	;; [unrolled: 1-line block ×4, first 2 shown]
	s_wait_alu 0xf1ff
	v_cndmask_b32_e64 v104, v125, v126, s0
	v_cmp_u_f32_e64 s0, v16, v16
	v_lshrrev_b32_e32 v16, 16, v102
	s_delay_alu instid0(VALU_DEP_3) | instskip(SKIP_1) | instid1(VALU_DEP_3)
	v_lshrrev_b32_e32 v0, 16, v104
	s_wait_alu 0xf1ff
	v_cndmask_b32_e64 v105, v127, v128, s0
	s_delay_alu instid0(VALU_DEP_1)
	v_lshrrev_b32_e32 v15, 16, v105
	s_and_saveexec_b32 s15, vcc_lo
	s_cbranch_execz .LBB352_57
; %bb.56:                               ;   in Loop: Header=BB352_38 Depth=1
	v_cmp_gt_i32_e64 s0, s34, v68
	s_wait_alu 0xf1ff
	s_delay_alu instid0(VALU_DEP_1) | instskip(SKIP_2) | instid1(VALU_DEP_1)
	v_cndmask_b32_e64 v117, 0, v117, s0
	v_cmp_gt_i32_e64 s0, s34, v81
	s_wait_alu 0xf1ff
	v_cndmask_b32_e64 v118, 0, v118, s0
	v_cmp_gt_i32_e64 s0, s34, v80
	s_wait_alu 0xf1ff
	s_delay_alu instid0(VALU_DEP_1) | instskip(SKIP_2) | instid1(VALU_DEP_1)
	v_cndmask_b32_e64 v115, 0, v115, s0
	v_cmp_gt_i32_e64 s0, s34, v79
	s_wait_alu 0xf1ff
	v_cndmask_b32_e64 v116, 0, v116, s0
	;; [unrolled: 7-line block ×4, first 2 shown]
.LBB352_57:                             ;   in Loop: Header=BB352_38 Depth=1
	s_wait_alu 0xfffe
	s_or_b32 exec_lo, exec_lo, s15
	global_load_b64 v[100:101], v[13:14], off offset:2304
	s_wait_loadcnt 0x0
	v_bfe_u32 v103, v100, 8, 8
	v_bfe_u32 v104, v100, 16, 8
	;; [unrolled: 1-line block ×4, first 2 shown]
	s_delay_alu instid0(VALU_DEP_4)
	v_cvt_f32_fp8_e32 v103, v103
	v_and_b32_e32 v102, 0xff, v100
	v_lshrrev_b32_e32 v100, 24, v100
	v_cvt_f32_fp8_e32 v104, v104
	v_cvt_f32_fp8_e32 v119, v119
	v_mul_f32_e32 v103, s14, v103
	v_cvt_f32_fp8_e32 v102, v102
	v_and_b32_e32 v105, 0xff, v101
	v_cvt_f32_fp8_e32 v100, v100
	v_lshrrev_b32_e32 v101, 24, v101
	v_bfe_u32 v123, v103, 16, 1
	v_mul_f32_e32 v102, s14, v102
	v_cvt_f32_fp8_e32 v105, v105
	v_mul_f32_e32 v104, s14, v104
	v_dual_mul_f32 v100, s14, v100 :: v_dual_mul_f32 v119, s14, v119
	s_delay_alu instid0(VALU_DEP_4)
	v_bfe_u32 v121, v102, 16, 1
	v_or_b32_e32 v122, 0x400000, v102
	v_cmp_u_f32_e64 s0, v102, v102
	v_mul_f32_e32 v105, s14, v105
	v_or_b32_e32 v124, 0x400000, v103
	v_add3_u32 v121, v121, v102, 0x7fff
	v_bfe_u32 v125, v104, 16, 1
	v_add3_u32 v123, v123, v103, 0x7fff
	v_or_b32_e32 v126, 0x400000, v104
	v_bfe_u32 v127, v100, 16, 1
	s_wait_alu 0xf1ff
	v_cndmask_b32_e64 v102, v121, v122, s0
	v_cmp_u_f32_e64 s0, v103, v103
	v_add3_u32 v125, v125, v104, 0x7fff
	v_cvt_f32_fp8_e32 v120, v120
	v_or_b32_e32 v128, 0x400000, v100
	v_bfe_u32 v129, v105, 16, 1
	s_wait_alu 0xf1ff
	v_cndmask_b32_e64 v103, v123, v124, s0
	v_cmp_u_f32_e64 s0, v104, v104
	v_add3_u32 v127, v127, v100, 0x7fff
	v_cvt_f32_fp8_e32 v101, v101
	v_mul_f32_e32 v120, s14, v120
	v_or_b32_e32 v130, 0x400000, v105
	s_wait_alu 0xf1ff
	v_cndmask_b32_e64 v104, v125, v126, s0
	v_cmp_u_f32_e64 s0, v100, v100
	v_bfe_u32 v131, v119, 16, 1
	v_add3_u32 v129, v129, v105, 0x7fff
	v_mul_f32_e32 v101, s14, v101
	v_or_b32_e32 v132, 0x400000, v119
	s_wait_alu 0xf1ff
	v_cndmask_b32_e64 v100, v127, v128, s0
	v_cmp_u_f32_e64 s0, v105, v105
	v_bfe_u32 v133, v120, 16, 1
	v_add3_u32 v131, v131, v119, 0x7fff
	v_or_b32_e32 v134, 0x400000, v120
	v_bfe_u32 v135, v101, 16, 1
	s_wait_alu 0xf1ff
	v_cndmask_b32_e64 v105, v129, v130, s0
	v_cmp_u_f32_e64 s0, v119, v119
	v_add3_u32 v133, v133, v120, 0x7fff
	v_or_b32_e32 v136, 0x400000, v101
	v_add3_u32 v135, v135, v101, 0x7fff
	v_lshrrev_b32_e32 v125, 16, v102
	s_wait_alu 0xf1ff
	v_cndmask_b32_e64 v119, v131, v132, s0
	v_cmp_u_f32_e64 s0, v120, v120
	v_lshrrev_b32_e32 v126, 16, v103
	v_lshrrev_b32_e32 v123, 16, v104
	;; [unrolled: 1-line block ×4, first 2 shown]
	s_wait_alu 0xf1ff
	v_cndmask_b32_e64 v120, v133, v134, s0
	v_cmp_u_f32_e64 s0, v101, v101
	v_lshrrev_b32_e32 v122, 16, v119
	s_delay_alu instid0(VALU_DEP_3) | instskip(SKIP_1) | instid1(VALU_DEP_3)
	v_lshrrev_b32_e32 v119, 16, v120
	s_wait_alu 0xf1ff
	v_cndmask_b32_e64 v101, v135, v136, s0
	s_delay_alu instid0(VALU_DEP_1)
	v_lshrrev_b32_e32 v120, 16, v101
	s_and_saveexec_b32 s15, vcc_lo
	s_cbranch_execz .LBB352_59
; %bb.58:                               ;   in Loop: Header=BB352_38 Depth=1
	v_cmp_gt_i32_e64 s0, s34, v68
	s_wait_alu 0xf1ff
	s_delay_alu instid0(VALU_DEP_1) | instskip(SKIP_2) | instid1(VALU_DEP_1)
	v_cndmask_b32_e64 v125, 0, v125, s0
	v_cmp_gt_i32_e64 s0, s34, v81
	s_wait_alu 0xf1ff
	v_cndmask_b32_e64 v126, 0, v126, s0
	v_cmp_gt_i32_e64 s0, s34, v80
	s_wait_alu 0xf1ff
	s_delay_alu instid0(VALU_DEP_1) | instskip(SKIP_2) | instid1(VALU_DEP_1)
	v_cndmask_b32_e64 v123, 0, v123, s0
	v_cmp_gt_i32_e64 s0, s34, v79
	s_wait_alu 0xf1ff
	v_cndmask_b32_e64 v124, 0, v124, s0
	;; [unrolled: 7-line block ×4, first 2 shown]
.LBB352_59:                             ;   in Loop: Header=BB352_38 Depth=1
	s_wait_alu 0xfffe
	s_or_b32 exec_lo, exec_lo, s15
	global_load_b64 v[100:101], v[13:14], off offset:2560
	s_wait_loadcnt 0x0
	v_bfe_u32 v103, v100, 8, 8
	v_bfe_u32 v104, v100, 16, 8
	;; [unrolled: 1-line block ×4, first 2 shown]
	s_delay_alu instid0(VALU_DEP_4)
	v_cvt_f32_fp8_e32 v103, v103
	v_and_b32_e32 v102, 0xff, v100
	v_lshrrev_b32_e32 v100, 24, v100
	v_cvt_f32_fp8_e32 v104, v104
	v_cvt_f32_fp8_e32 v127, v127
	v_mul_f32_e32 v103, s14, v103
	v_cvt_f32_fp8_e32 v102, v102
	v_and_b32_e32 v105, 0xff, v101
	v_cvt_f32_fp8_e32 v100, v100
	v_lshrrev_b32_e32 v101, 24, v101
	v_bfe_u32 v131, v103, 16, 1
	v_mul_f32_e32 v102, s14, v102
	v_cvt_f32_fp8_e32 v105, v105
	v_mul_f32_e32 v104, s14, v104
	v_dual_mul_f32 v100, s14, v100 :: v_dual_mul_f32 v127, s14, v127
	s_delay_alu instid0(VALU_DEP_4)
	v_bfe_u32 v129, v102, 16, 1
	v_or_b32_e32 v130, 0x400000, v102
	v_cmp_u_f32_e64 s0, v102, v102
	v_mul_f32_e32 v105, s14, v105
	v_or_b32_e32 v132, 0x400000, v103
	v_add3_u32 v129, v129, v102, 0x7fff
	v_bfe_u32 v133, v104, 16, 1
	v_add3_u32 v131, v131, v103, 0x7fff
	v_or_b32_e32 v134, 0x400000, v104
	v_bfe_u32 v135, v100, 16, 1
	s_wait_alu 0xf1ff
	v_cndmask_b32_e64 v102, v129, v130, s0
	v_cmp_u_f32_e64 s0, v103, v103
	v_add3_u32 v133, v133, v104, 0x7fff
	v_cvt_f32_fp8_e32 v128, v128
	v_or_b32_e32 v136, 0x400000, v100
	v_bfe_u32 v137, v105, 16, 1
	s_wait_alu 0xf1ff
	v_cndmask_b32_e64 v103, v131, v132, s0
	v_cmp_u_f32_e64 s0, v104, v104
	v_add3_u32 v135, v135, v100, 0x7fff
	v_cvt_f32_fp8_e32 v101, v101
	v_mul_f32_e32 v128, s14, v128
	v_or_b32_e32 v138, 0x400000, v105
	s_wait_alu 0xf1ff
	v_cndmask_b32_e64 v104, v133, v134, s0
	v_cmp_u_f32_e64 s0, v100, v100
	v_bfe_u32 v139, v127, 16, 1
	v_add3_u32 v137, v137, v105, 0x7fff
	v_mul_f32_e32 v101, s14, v101
	v_or_b32_e32 v140, 0x400000, v127
	s_wait_alu 0xf1ff
	v_cndmask_b32_e64 v100, v135, v136, s0
	v_cmp_u_f32_e64 s0, v105, v105
	v_bfe_u32 v141, v128, 16, 1
	v_add3_u32 v139, v139, v127, 0x7fff
	v_or_b32_e32 v142, 0x400000, v128
	v_bfe_u32 v143, v101, 16, 1
	s_wait_alu 0xf1ff
	v_cndmask_b32_e64 v105, v137, v138, s0
	v_cmp_u_f32_e64 s0, v127, v127
	v_add3_u32 v141, v141, v128, 0x7fff
	v_or_b32_e32 v144, 0x400000, v101
	v_add3_u32 v143, v143, v101, 0x7fff
	v_lshrrev_b32_e32 v133, 16, v102
	s_wait_alu 0xf1ff
	v_cndmask_b32_e64 v127, v139, v140, s0
	v_cmp_u_f32_e64 s0, v128, v128
	v_lshrrev_b32_e32 v134, 16, v103
	v_lshrrev_b32_e32 v131, 16, v104
	v_lshrrev_b32_e32 v132, 16, v100
	v_lshrrev_b32_e32 v129, 16, v105
	s_wait_alu 0xf1ff
	v_cndmask_b32_e64 v128, v141, v142, s0
	v_cmp_u_f32_e64 s0, v101, v101
	v_lshrrev_b32_e32 v130, 16, v127
	s_delay_alu instid0(VALU_DEP_3) | instskip(SKIP_1) | instid1(VALU_DEP_3)
	v_lshrrev_b32_e32 v127, 16, v128
	s_wait_alu 0xf1ff
	v_cndmask_b32_e64 v101, v143, v144, s0
	s_delay_alu instid0(VALU_DEP_1)
	v_lshrrev_b32_e32 v128, 16, v101
	s_and_saveexec_b32 s15, vcc_lo
	s_cbranch_execz .LBB352_61
; %bb.60:                               ;   in Loop: Header=BB352_38 Depth=1
	v_cmp_gt_i32_e64 s0, s34, v68
	s_wait_alu 0xf1ff
	s_delay_alu instid0(VALU_DEP_1) | instskip(SKIP_2) | instid1(VALU_DEP_1)
	v_cndmask_b32_e64 v133, 0, v133, s0
	v_cmp_gt_i32_e64 s0, s34, v81
	s_wait_alu 0xf1ff
	v_cndmask_b32_e64 v134, 0, v134, s0
	v_cmp_gt_i32_e64 s0, s34, v80
	s_wait_alu 0xf1ff
	s_delay_alu instid0(VALU_DEP_1) | instskip(SKIP_2) | instid1(VALU_DEP_1)
	v_cndmask_b32_e64 v131, 0, v131, s0
	v_cmp_gt_i32_e64 s0, s34, v79
	s_wait_alu 0xf1ff
	v_cndmask_b32_e64 v132, 0, v132, s0
	;; [unrolled: 7-line block ×4, first 2 shown]
.LBB352_61:                             ;   in Loop: Header=BB352_38 Depth=1
	s_wait_alu 0xfffe
	s_or_b32 exec_lo, exec_lo, s15
	global_load_b64 v[13:14], v[13:14], off offset:2816
	s_wait_loadcnt 0x0
	v_and_b32_e32 v103, 0xff, v14
	v_bfe_u32 v101, v13, 8, 8
	v_bfe_u32 v102, v13, 16, 8
	;; [unrolled: 1-line block ×4, first 2 shown]
	v_cvt_f32_fp8_e32 v103, v103
	v_and_b32_e32 v100, 0xff, v13
	v_cvt_f32_fp8_e32 v101, v101
	v_lshrrev_b32_e32 v13, 24, v13
	v_cvt_f32_fp8_e32 v102, v102
	v_mul_f32_e32 v103, s14, v103
	v_cvt_f32_fp8_e32 v100, v100
	v_mul_f32_e32 v101, s14, v101
	;; [unrolled: 2-line block ×4, first 2 shown]
	v_bfe_u32 v137, v101, 16, 1
	v_mul_f32_e32 v13, s14, v13
	v_or_b32_e32 v138, 0x400000, v101
	v_bfe_u32 v139, v102, 16, 1
	v_bfe_u32 v135, v100, 16, 1
	v_or_b32_e32 v136, 0x400000, v100
	v_cmp_u_f32_e64 s0, v100, v100
	v_add3_u32 v137, v137, v101, 0x7fff
	v_mul_f32_e32 v104, s14, v104
	v_add3_u32 v135, v135, v100, 0x7fff
	v_or_b32_e32 v140, 0x400000, v102
	v_bfe_u32 v141, v13, 16, 1
	v_add3_u32 v139, v139, v102, 0x7fff
	v_lshrrev_b32_e32 v14, 24, v14
	s_wait_alu 0xf1ff
	v_cndmask_b32_e64 v100, v135, v136, s0
	v_cmp_u_f32_e64 s0, v101, v101
	v_cvt_f32_fp8_e32 v105, v105
	v_or_b32_e32 v142, 0x400000, v13
	v_bfe_u32 v143, v103, 16, 1
	v_add3_u32 v141, v141, v13, 0x7fff
	s_wait_alu 0xf1ff
	v_cndmask_b32_e64 v101, v137, v138, s0
	v_cmp_u_f32_e64 s0, v102, v102
	v_cvt_f32_fp8_e32 v14, v14
	v_mul_f32_e32 v105, s14, v105
	v_or_b32_e32 v144, 0x400000, v103
	v_bfe_u32 v145, v104, 16, 1
	s_wait_alu 0xf1ff
	v_cndmask_b32_e64 v102, v139, v140, s0
	v_cmp_u_f32_e64 s0, v13, v13
	v_add3_u32 v143, v143, v103, 0x7fff
	v_mul_f32_e32 v14, s14, v14
	v_or_b32_e32 v146, 0x400000, v104
	v_bfe_u32 v147, v105, 16, 1
	s_wait_alu 0xf1ff
	v_cndmask_b32_e64 v13, v141, v142, s0
	v_cmp_u_f32_e64 s0, v103, v103
	v_add3_u32 v145, v145, v104, 0x7fff
	v_or_b32_e32 v148, 0x400000, v105
	v_bfe_u32 v149, v14, 16, 1
	v_add3_u32 v147, v147, v105, 0x7fff
	s_wait_alu 0xf1ff
	v_cndmask_b32_e64 v135, v143, v144, s0
	v_cmp_u_f32_e64 s0, v104, v104
	v_or_b32_e32 v150, 0x400000, v14
	v_add3_u32 v149, v149, v14, 0x7fff
	v_lshrrev_b32_e32 v104, 16, v101
	v_lshrrev_b32_e32 v103, 16, v102
	s_wait_alu 0xf1ff
	v_cndmask_b32_e64 v136, v145, v146, s0
	v_cmp_u_f32_e64 s0, v105, v105
	v_lshrrev_b32_e32 v105, 16, v100
	v_lshrrev_b32_e32 v102, 16, v13
	;; [unrolled: 1-line block ×4, first 2 shown]
	s_wait_alu 0xf1ff
	v_cndmask_b32_e64 v137, v147, v148, s0
	v_cmp_u_f32_e64 s0, v14, v14
	s_delay_alu instid0(VALU_DEP_2) | instskip(SKIP_1) | instid1(VALU_DEP_2)
	v_lshrrev_b32_e32 v14, 16, v137
	s_wait_alu 0xf1ff
	v_cndmask_b32_e64 v138, v149, v150, s0
	s_delay_alu instid0(VALU_DEP_1)
	v_lshrrev_b32_e32 v13, 16, v138
	s_and_saveexec_b32 s0, vcc_lo
	s_cbranch_execz .LBB352_36
; %bb.62:                               ;   in Loop: Header=BB352_38 Depth=1
	v_cmp_gt_i32_e32 vcc_lo, s34, v68
	s_wait_alu 0xfffd
	v_cndmask_b32_e32 v105, 0, v105, vcc_lo
	v_cmp_gt_i32_e32 vcc_lo, s34, v81
	s_wait_alu 0xfffd
	v_cndmask_b32_e32 v104, 0, v104, vcc_lo
	;; [unrolled: 3-line block ×8, first 2 shown]
	s_branch .LBB352_36
.LBB352_63:
	s_or_b32 exec_lo, exec_lo, s6
	v_dual_mov_b32 v34, v151 :: v_dual_mov_b32 v35, v152
.LBB352_64:
	s_wait_alu 0xfffe
	s_or_b32 exec_lo, exec_lo, s1
	ds_bpermute_b32 v0, v20, v32
	ds_bpermute_b32 v1, v20, v33
	;; [unrolled: 1-line block ×12, first 2 shown]
	s_mov_b32 s0, exec_lo
	s_wait_dscnt 0xa
	v_dual_add_f32 v0, v32, v0 :: v_dual_add_f32 v1, v33, v1
	s_wait_dscnt 0x8
	v_dual_add_f32 v4, v29, v4 :: v_dual_add_f32 v5, v28, v5
	;; [unrolled: 2-line block ×4, first 2 shown]
	ds_bpermute_b32 v6, v19, v0
	ds_bpermute_b32 v7, v19, v1
	;; [unrolled: 1-line block ×5, first 2 shown]
	s_wait_dscnt 0x5
	v_dual_add_f32 v14, v25, v8 :: v_dual_add_f32 v15, v24, v9
	ds_bpermute_b32 v24, v19, v13
	v_dual_add_f32 v2, v31, v2 :: v_dual_add_f32 v3, v30, v3
	ds_bpermute_b32 v25, v19, v14
	ds_bpermute_b32 v26, v19, v15
	;; [unrolled: 1-line block ×6, first 2 shown]
	s_wait_dscnt 0xa
	v_dual_add_f32 v11, v0, v6 :: v_dual_add_f32 v10, v1, v7
	s_wait_dscnt 0x8
	v_dual_add_f32 v7, v4, v20 :: v_dual_add_f32 v6, v5, v22
	s_wait_dscnt 0x7
	v_add_f32_e32 v5, v12, v23
	scratch_load_b32 v12, off, off th:TH_LOAD_LU ; 4-byte Folded Reload
	s_wait_storecnt 0x0
	s_wait_loadcnt_dscnt 0x0
	v_add_f32_e32 v4, v13, v24
	s_barrier_signal -1
	s_barrier_wait -1
	global_inv scope:SCOPE_SE
	v_dual_add_f32 v0, v15, v26 :: v_dual_add_f32 v1, v16, v27
	v_dual_add_f32 v9, v2, v8 :: v_dual_add_f32 v8, v3, v18
	v_add_f32_e32 v3, v14, v25
	v_and_b32_e32 v15, 0x3c3, v34
	v_mul_u32_u24_e32 v14, 0x180, v35
	v_dual_add_f32 v2, v17, v19 :: v_dual_and_b32 v13, 28, v12
	v_lshrrev_b32_e32 v12, 2, v12
	s_delay_alu instid0(VALU_DEP_2)
	v_add_nc_u32_e32 v13, 0xe0, v13
	v_cmpx_eq_u32_e32 64, v15
	s_cbranch_execz .LBB352_66
; %bb.65:
	s_delay_alu instid0(VALU_DEP_2) | instskip(NEXT) | instid1(VALU_DEP_1)
	v_add_nc_u32_e32 v15, v13, v14
	v_add_nc_u32_e32 v16, 0xfffffd00, v15
	;; [unrolled: 1-line block ×13, first 2 shown]
	ds_store_b32 v16, v11
	ds_store_b32 v17, v10
	;; [unrolled: 1-line block ×12, first 2 shown]
.LBB352_66:
	s_wait_alu 0xfffe
	s_or_b32 exec_lo, exec_lo, s0
	v_lshlrev_b32_e32 v12, 2, v12
	s_mov_b32 s1, exec_lo
	v_cmp_eq_u32_e32 vcc_lo, 0, v21
	s_wait_loadcnt_dscnt 0x0
	s_barrier_signal -1
	v_add3_u32 v12, 0xe0, v14, v12
	s_barrier_wait -1
	global_inv scope:SCOPE_SE
	v_cmpx_gt_u32_e32 64, v34
	s_cbranch_execz .LBB352_81
; %bb.67:
	s_and_saveexec_b32 s0, vcc_lo
	s_cbranch_execnz .LBB352_101
; %bb.68:
	s_wait_alu 0xfffe
	s_or_b32 exec_lo, exec_lo, s0
	s_and_saveexec_b32 s0, vcc_lo
	s_cbranch_execnz .LBB352_102
.LBB352_69:
	s_wait_alu 0xfffe
	s_or_b32 exec_lo, exec_lo, s0
	s_and_saveexec_b32 s0, vcc_lo
	s_cbranch_execnz .LBB352_103
.LBB352_70:
	s_wait_alu 0xfffe
	s_or_b32 exec_lo, exec_lo, s0
	s_and_saveexec_b32 s0, vcc_lo
	s_cbranch_execnz .LBB352_104
.LBB352_71:
	s_wait_alu 0xfffe
	s_or_b32 exec_lo, exec_lo, s0
	s_and_saveexec_b32 s0, vcc_lo
	s_cbranch_execnz .LBB352_105
.LBB352_72:
	s_wait_alu 0xfffe
	s_or_b32 exec_lo, exec_lo, s0
	s_and_saveexec_b32 s0, vcc_lo
	s_cbranch_execnz .LBB352_106
.LBB352_73:
	s_wait_alu 0xfffe
	s_or_b32 exec_lo, exec_lo, s0
	s_and_saveexec_b32 s0, vcc_lo
	s_cbranch_execnz .LBB352_107
.LBB352_74:
	s_wait_alu 0xfffe
	s_or_b32 exec_lo, exec_lo, s0
	s_and_saveexec_b32 s0, vcc_lo
	s_cbranch_execnz .LBB352_108
.LBB352_75:
	s_wait_alu 0xfffe
	s_or_b32 exec_lo, exec_lo, s0
	s_and_saveexec_b32 s0, vcc_lo
	s_cbranch_execnz .LBB352_109
.LBB352_76:
	s_wait_alu 0xfffe
	s_or_b32 exec_lo, exec_lo, s0
	s_and_saveexec_b32 s0, vcc_lo
	s_cbranch_execnz .LBB352_110
.LBB352_77:
	s_wait_alu 0xfffe
	s_or_b32 exec_lo, exec_lo, s0
	s_and_saveexec_b32 s0, vcc_lo
	s_cbranch_execnz .LBB352_111
.LBB352_78:
	s_wait_alu 0xfffe
	s_or_b32 exec_lo, exec_lo, s0
	s_and_saveexec_b32 s0, vcc_lo
	s_cbranch_execz .LBB352_80
.LBB352_79:
	ds_load_b32 v14, v12 offset:352
	s_wait_dscnt 0x0
	v_add_f32_e32 v2, v2, v14
.LBB352_80:
	s_wait_alu 0xfffe
	s_or_b32 exec_lo, exec_lo, s0
.LBB352_81:
	s_wait_alu 0xfffe
	s_or_b32 exec_lo, exec_lo, s1
	v_and_b32_e32 v14, 0x3e3, v34
	s_mov_b32 s1, exec_lo
	s_wait_loadcnt 0x0
	s_barrier_signal -1
	s_barrier_wait -1
	global_inv scope:SCOPE_SE
	v_cmpx_eq_u32_e32 32, v14
	s_cbranch_execz .LBB352_83
; %bb.82:
	ds_store_2addr_b32 v13, v11, v10 offset1:8
	ds_store_2addr_b32 v13, v9, v8 offset0:16 offset1:24
	ds_store_2addr_b32 v13, v7, v6 offset0:32 offset1:40
	;; [unrolled: 1-line block ×5, first 2 shown]
.LBB352_83:
	s_wait_alu 0xfffe
	s_or_b32 exec_lo, exec_lo, s1
	s_delay_alu instid0(SALU_CYCLE_1)
	s_mov_b32 s1, exec_lo
	s_wait_loadcnt_dscnt 0x0
	s_barrier_signal -1
	s_barrier_wait -1
	global_inv scope:SCOPE_SE
	v_cmpx_gt_u32_e32 32, v34
	s_cbranch_execz .LBB352_98
; %bb.84:
	s_and_saveexec_b32 s0, vcc_lo
	s_cbranch_execnz .LBB352_112
; %bb.85:
	s_wait_alu 0xfffe
	s_or_b32 exec_lo, exec_lo, s0
	s_and_saveexec_b32 s0, vcc_lo
	s_cbranch_execnz .LBB352_113
.LBB352_86:
	s_wait_alu 0xfffe
	s_or_b32 exec_lo, exec_lo, s0
	s_and_saveexec_b32 s0, vcc_lo
	s_cbranch_execnz .LBB352_114
.LBB352_87:
	s_wait_alu 0xfffe
	s_or_b32 exec_lo, exec_lo, s0
	s_and_saveexec_b32 s0, vcc_lo
	s_cbranch_execnz .LBB352_115
.LBB352_88:
	s_wait_alu 0xfffe
	s_or_b32 exec_lo, exec_lo, s0
	s_and_saveexec_b32 s0, vcc_lo
	s_cbranch_execnz .LBB352_116
.LBB352_89:
	s_wait_alu 0xfffe
	s_or_b32 exec_lo, exec_lo, s0
	s_and_saveexec_b32 s0, vcc_lo
	s_cbranch_execnz .LBB352_117
.LBB352_90:
	s_wait_alu 0xfffe
	s_or_b32 exec_lo, exec_lo, s0
	s_and_saveexec_b32 s0, vcc_lo
	s_cbranch_execnz .LBB352_118
.LBB352_91:
	s_wait_alu 0xfffe
	s_or_b32 exec_lo, exec_lo, s0
	s_and_saveexec_b32 s0, vcc_lo
	s_cbranch_execnz .LBB352_119
.LBB352_92:
	s_wait_alu 0xfffe
	s_or_b32 exec_lo, exec_lo, s0
	s_and_saveexec_b32 s0, vcc_lo
	s_cbranch_execnz .LBB352_120
.LBB352_93:
	s_wait_alu 0xfffe
	s_or_b32 exec_lo, exec_lo, s0
	s_and_saveexec_b32 s0, vcc_lo
	s_cbranch_execnz .LBB352_121
.LBB352_94:
	s_wait_alu 0xfffe
	s_or_b32 exec_lo, exec_lo, s0
	s_and_saveexec_b32 s0, vcc_lo
	s_cbranch_execnz .LBB352_122
.LBB352_95:
	s_wait_alu 0xfffe
	s_or_b32 exec_lo, exec_lo, s0
	s_and_saveexec_b32 s0, vcc_lo
	s_cbranch_execz .LBB352_97
.LBB352_96:
	ds_load_b32 v12, v12 offset:352
	s_wait_dscnt 0x0
	v_add_f32_e32 v2, v2, v12
.LBB352_97:
	s_wait_alu 0xfffe
	s_or_b32 exec_lo, exec_lo, s0
.LBB352_98:
	s_wait_alu 0xfffe
	s_or_b32 exec_lo, exec_lo, s1
	s_mov_b32 s1, 0
	s_wait_loadcnt 0x0
	s_barrier_signal -1
	s_barrier_wait -1
	global_inv scope:SCOPE_SE
	s_mov_b32 s0, exec_lo
	v_cmpx_eq_u32_e32 0, v14
	s_cbranch_execz .LBB352_100
; %bb.99:
	v_bfe_u32 v12, v11, 16, 1
	v_bfe_u32 v13, v10, 16, 1
	v_or_b32_e32 v15, 0x400000, v11
	v_cmp_u_f32_e32 vcc_lo, v11, v11
	v_or_b32_e32 v16, 0x400000, v10
	v_add3_u32 v12, v12, v11, 0x7fff
	v_add3_u32 v13, v13, v10, 0x7fff
	v_bfe_u32 v17, v9, 16, 1
	s_mul_i32 s2, s18, 0x60
	s_mul_i32 s4, s7, s20
	s_wait_alu 0xfffd
	v_cndmask_b32_e32 v11, v12, v15, vcc_lo
	v_cmp_u_f32_e32 vcc_lo, v10, v10
	v_bfe_u32 v12, v8, 16, 1
	v_or_b32_e32 v15, 0x400000, v9
	s_wait_alu 0xfffe
	s_ashr_i32 s3, s2, 31
	s_ashr_i32 s5, s4, 31
	s_wait_alu 0xfffd
	v_cndmask_b32_e32 v10, v13, v16, vcc_lo
	v_add3_u32 v13, v17, v9, 0x7fff
	v_cmp_u_f32_e32 vcc_lo, v9, v9
	v_add3_u32 v12, v12, v8, 0x7fff
	v_or_b32_e32 v16, 0x400000, v8
	v_bfe_u32 v17, v7, 16, 1
	s_wait_alu 0xfffe
	s_lshl_b64 s[2:3], s[2:3], 1
	s_wait_alu 0xfffd
	v_cndmask_b32_e32 v9, v13, v15, vcc_lo
	v_cmp_u_f32_e32 vcc_lo, v8, v8
	v_bfe_u32 v13, v6, 16, 1
	v_or_b32_e32 v15, 0x400000, v7
	s_lshl_b64 s[4:5], s[4:5], 1
	s_wait_kmcnt 0x0
	s_wait_alu 0xfffe
	s_add_nc_u64 s[2:3], s[8:9], s[2:3]
	s_wait_alu 0xfffd
	v_cndmask_b32_e32 v8, v12, v16, vcc_lo
	v_add3_u32 v12, v17, v7, 0x7fff
	v_cmp_u_f32_e32 vcc_lo, v7, v7
	v_add3_u32 v13, v13, v6, 0x7fff
	v_or_b32_e32 v16, 0x400000, v6
	v_bfe_u32 v17, v5, 16, 1
	v_lshrrev_b32_e32 v14, 1, v34
	s_wait_alu 0xfffd
	v_cndmask_b32_e32 v7, v12, v15, vcc_lo
	v_cmp_u_f32_e32 vcc_lo, v6, v6
	v_bfe_u32 v12, v4, 16, 1
	v_or_b32_e32 v15, 0x400000, v5
	v_or_b32_e32 v18, 0x400000, v2
	s_wait_alu 0xfffe
	s_add_nc_u64 s[2:3], s[2:3], s[4:5]
	s_wait_alu 0xfffd
	v_cndmask_b32_e32 v6, v13, v16, vcc_lo
	v_add3_u32 v13, v17, v5, 0x7fff
	v_cmp_u_f32_e32 vcc_lo, v5, v5
	v_bfe_u32 v16, v3, 16, 1
	v_add3_u32 v12, v12, v4, 0x7fff
	v_or_b32_e32 v17, 0x400000, v4
	s_mul_i32 s0, s33, 0xc0
	s_wait_alu 0xfffd
	v_cndmask_b32_e32 v5, v13, v15, vcc_lo
	v_cmp_u_f32_e32 vcc_lo, v4, v4
	v_add3_u32 v13, v16, v3, 0x7fff
	v_or_b32_e32 v15, 0x400000, v3
	v_bfe_u32 v16, v1, 16, 1
	s_wait_alu 0xfffe
	s_add_nc_u64 s[0:1], s[2:3], s[0:1]
	s_wait_alu 0xfffd
	v_cndmask_b32_e32 v4, v12, v17, vcc_lo
	v_bfe_u32 v12, v0, 16, 1
	v_cmp_u_f32_e32 vcc_lo, v3, v3
	v_add3_u32 v16, v16, v1, 0x7fff
	v_or_b32_e32 v17, 0x400000, v1
	s_delay_alu instid0(VALU_DEP_4)
	v_add3_u32 v12, v12, v0, 0x7fff
	s_wait_alu 0xfffd
	v_cndmask_b32_e32 v3, v13, v15, vcc_lo
	v_or_b32_e32 v15, 0x400000, v0
	v_cmp_u_f32_e32 vcc_lo, v0, v0
	v_bfe_u32 v13, v2, 16, 1
	s_wait_alu 0xfffd
	s_delay_alu instid0(VALU_DEP_3) | instskip(SKIP_1) | instid1(VALU_DEP_3)
	v_cndmask_b32_e32 v0, v12, v15, vcc_lo
	v_cmp_u_f32_e32 vcc_lo, v1, v1
	v_add3_u32 v13, v13, v2, 0x7fff
	s_wait_alu 0xfffd
	v_cndmask_b32_e32 v1, v16, v17, vcc_lo
	v_cmp_u_f32_e32 vcc_lo, v2, v2
	s_wait_alu 0xfffd
	v_cndmask_b32_e32 v2, v13, v18, vcc_lo
	s_clause 0xb
	global_store_d16_hi_b16 v14, v11, s[0:1]
	global_store_d16_hi_b16 v14, v10, s[0:1] offset:16
	global_store_d16_hi_b16 v14, v9, s[0:1] offset:32
	;; [unrolled: 1-line block ×11, first 2 shown]
.LBB352_100:
	s_nop 0
	s_sendmsg sendmsg(MSG_DEALLOC_VGPRS)
	s_endpgm
.LBB352_101:
	ds_load_b32 v14, v12
	s_wait_dscnt 0x0
	v_add_f32_e32 v11, v11, v14
	s_wait_alu 0xfffe
	s_or_b32 exec_lo, exec_lo, s0
	s_and_saveexec_b32 s0, vcc_lo
	s_cbranch_execz .LBB352_69
.LBB352_102:
	ds_load_b32 v14, v12 offset:32
	s_wait_dscnt 0x0
	v_add_f32_e32 v10, v10, v14
	s_wait_alu 0xfffe
	s_or_b32 exec_lo, exec_lo, s0
	s_and_saveexec_b32 s0, vcc_lo
	s_cbranch_execz .LBB352_70
.LBB352_103:
	ds_load_b32 v14, v12 offset:64
	s_wait_dscnt 0x0
	v_add_f32_e32 v9, v9, v14
	s_wait_alu 0xfffe
	s_or_b32 exec_lo, exec_lo, s0
	s_and_saveexec_b32 s0, vcc_lo
	s_cbranch_execz .LBB352_71
.LBB352_104:
	ds_load_b32 v14, v12 offset:96
	s_wait_dscnt 0x0
	v_add_f32_e32 v8, v8, v14
	s_wait_alu 0xfffe
	s_or_b32 exec_lo, exec_lo, s0
	s_and_saveexec_b32 s0, vcc_lo
	s_cbranch_execz .LBB352_72
.LBB352_105:
	ds_load_b32 v14, v12 offset:128
	s_wait_dscnt 0x0
	v_add_f32_e32 v7, v7, v14
	s_wait_alu 0xfffe
	s_or_b32 exec_lo, exec_lo, s0
	s_and_saveexec_b32 s0, vcc_lo
	s_cbranch_execz .LBB352_73
.LBB352_106:
	ds_load_b32 v14, v12 offset:160
	s_wait_dscnt 0x0
	v_add_f32_e32 v6, v6, v14
	s_wait_alu 0xfffe
	s_or_b32 exec_lo, exec_lo, s0
	s_and_saveexec_b32 s0, vcc_lo
	s_cbranch_execz .LBB352_74
.LBB352_107:
	ds_load_b32 v14, v12 offset:192
	s_wait_dscnt 0x0
	v_add_f32_e32 v5, v5, v14
	s_wait_alu 0xfffe
	s_or_b32 exec_lo, exec_lo, s0
	s_and_saveexec_b32 s0, vcc_lo
	s_cbranch_execz .LBB352_75
.LBB352_108:
	ds_load_b32 v14, v12 offset:224
	s_wait_dscnt 0x0
	v_add_f32_e32 v4, v4, v14
	s_wait_alu 0xfffe
	s_or_b32 exec_lo, exec_lo, s0
	s_and_saveexec_b32 s0, vcc_lo
	s_cbranch_execz .LBB352_76
.LBB352_109:
	ds_load_b32 v14, v12 offset:256
	s_wait_dscnt 0x0
	v_add_f32_e32 v3, v3, v14
	s_wait_alu 0xfffe
	s_or_b32 exec_lo, exec_lo, s0
	s_and_saveexec_b32 s0, vcc_lo
	s_cbranch_execz .LBB352_77
.LBB352_110:
	ds_load_b32 v14, v12 offset:288
	s_wait_dscnt 0x0
	v_add_f32_e32 v0, v0, v14
	s_wait_alu 0xfffe
	s_or_b32 exec_lo, exec_lo, s0
	s_and_saveexec_b32 s0, vcc_lo
	s_cbranch_execz .LBB352_78
.LBB352_111:
	ds_load_b32 v14, v12 offset:320
	s_wait_dscnt 0x0
	v_add_f32_e32 v1, v1, v14
	s_wait_alu 0xfffe
	s_or_b32 exec_lo, exec_lo, s0
	s_and_saveexec_b32 s0, vcc_lo
	s_cbranch_execnz .LBB352_79
	s_branch .LBB352_80
.LBB352_112:
	ds_load_b32 v13, v12
	s_wait_dscnt 0x0
	v_add_f32_e32 v11, v11, v13
	s_wait_alu 0xfffe
	s_or_b32 exec_lo, exec_lo, s0
	s_and_saveexec_b32 s0, vcc_lo
	s_cbranch_execz .LBB352_86
.LBB352_113:
	ds_load_b32 v13, v12 offset:32
	s_wait_dscnt 0x0
	v_add_f32_e32 v10, v10, v13
	s_wait_alu 0xfffe
	s_or_b32 exec_lo, exec_lo, s0
	s_and_saveexec_b32 s0, vcc_lo
	s_cbranch_execz .LBB352_87
.LBB352_114:
	ds_load_b32 v13, v12 offset:64
	s_wait_dscnt 0x0
	v_add_f32_e32 v9, v9, v13
	s_wait_alu 0xfffe
	s_or_b32 exec_lo, exec_lo, s0
	s_and_saveexec_b32 s0, vcc_lo
	s_cbranch_execz .LBB352_88
.LBB352_115:
	ds_load_b32 v13, v12 offset:96
	s_wait_dscnt 0x0
	v_add_f32_e32 v8, v8, v13
	s_wait_alu 0xfffe
	s_or_b32 exec_lo, exec_lo, s0
	s_and_saveexec_b32 s0, vcc_lo
	s_cbranch_execz .LBB352_89
.LBB352_116:
	ds_load_b32 v13, v12 offset:128
	s_wait_dscnt 0x0
	v_add_f32_e32 v7, v7, v13
	s_wait_alu 0xfffe
	s_or_b32 exec_lo, exec_lo, s0
	s_and_saveexec_b32 s0, vcc_lo
	s_cbranch_execz .LBB352_90
.LBB352_117:
	ds_load_b32 v13, v12 offset:160
	s_wait_dscnt 0x0
	v_add_f32_e32 v6, v6, v13
	s_wait_alu 0xfffe
	s_or_b32 exec_lo, exec_lo, s0
	s_and_saveexec_b32 s0, vcc_lo
	s_cbranch_execz .LBB352_91
.LBB352_118:
	ds_load_b32 v13, v12 offset:192
	s_wait_dscnt 0x0
	v_add_f32_e32 v5, v5, v13
	s_wait_alu 0xfffe
	s_or_b32 exec_lo, exec_lo, s0
	s_and_saveexec_b32 s0, vcc_lo
	s_cbranch_execz .LBB352_92
.LBB352_119:
	ds_load_b32 v13, v12 offset:224
	s_wait_dscnt 0x0
	v_add_f32_e32 v4, v4, v13
	s_wait_alu 0xfffe
	s_or_b32 exec_lo, exec_lo, s0
	s_and_saveexec_b32 s0, vcc_lo
	s_cbranch_execz .LBB352_93
.LBB352_120:
	ds_load_b32 v13, v12 offset:256
	s_wait_dscnt 0x0
	v_add_f32_e32 v3, v3, v13
	s_wait_alu 0xfffe
	s_or_b32 exec_lo, exec_lo, s0
	s_and_saveexec_b32 s0, vcc_lo
	s_cbranch_execz .LBB352_94
.LBB352_121:
	ds_load_b32 v13, v12 offset:288
	s_wait_dscnt 0x0
	v_add_f32_e32 v0, v0, v13
	s_wait_alu 0xfffe
	s_or_b32 exec_lo, exec_lo, s0
	s_and_saveexec_b32 s0, vcc_lo
	s_cbranch_execz .LBB352_95
.LBB352_122:
	ds_load_b32 v13, v12 offset:320
	s_wait_dscnt 0x0
	v_add_f32_e32 v1, v1, v13
	s_wait_alu 0xfffe
	s_or_b32 exec_lo, exec_lo, s0
	s_and_saveexec_b32 s0, vcc_lo
	s_cbranch_execnz .LBB352_96
	s_branch .LBB352_97
	.section	.rodata,"a",@progbits
	.p2align	6, 0x0
	.amdhsa_kernel _ZN4vllm25paged_attention_v2_kernelI14__hip_bfloat16hLi96ELi32ELi128ELNS_18Fp8KVCacheDataTypeE1ELb1ELi512EEEvPfS3_PT_PKS4_PKT0_SA_ifPKiSC_iPKfiiiSE_SE_iiiii
		.amdhsa_group_segment_fixed_size 224
		.amdhsa_private_segment_fixed_size 100
		.amdhsa_kernarg_size 400
		.amdhsa_user_sgpr_count 2
		.amdhsa_user_sgpr_dispatch_ptr 0
		.amdhsa_user_sgpr_queue_ptr 0
		.amdhsa_user_sgpr_kernarg_segment_ptr 1
		.amdhsa_user_sgpr_dispatch_id 0
		.amdhsa_user_sgpr_private_segment_size 0
		.amdhsa_wavefront_size32 1
		.amdhsa_uses_dynamic_stack 0
		.amdhsa_enable_private_segment 1
		.amdhsa_system_sgpr_workgroup_id_x 1
		.amdhsa_system_sgpr_workgroup_id_y 1
		.amdhsa_system_sgpr_workgroup_id_z 1
		.amdhsa_system_sgpr_workgroup_info 0
		.amdhsa_system_vgpr_workitem_id 0
		.amdhsa_next_free_vgpr 192
		.amdhsa_next_free_sgpr 46
		.amdhsa_reserve_vcc 1
		.amdhsa_float_round_mode_32 0
		.amdhsa_float_round_mode_16_64 0
		.amdhsa_float_denorm_mode_32 3
		.amdhsa_float_denorm_mode_16_64 3
		.amdhsa_fp16_overflow 0
		.amdhsa_workgroup_processor_mode 1
		.amdhsa_memory_ordered 1
		.amdhsa_forward_progress 1
		.amdhsa_inst_pref_size 246
		.amdhsa_round_robin_scheduling 0
		.amdhsa_exception_fp_ieee_invalid_op 0
		.amdhsa_exception_fp_denorm_src 0
		.amdhsa_exception_fp_ieee_div_zero 0
		.amdhsa_exception_fp_ieee_overflow 0
		.amdhsa_exception_fp_ieee_underflow 0
		.amdhsa_exception_fp_ieee_inexact 0
		.amdhsa_exception_int_div_zero 0
	.end_amdhsa_kernel
	.section	.text._ZN4vllm25paged_attention_v2_kernelI14__hip_bfloat16hLi96ELi32ELi128ELNS_18Fp8KVCacheDataTypeE1ELb1ELi512EEEvPfS3_PT_PKS4_PKT0_SA_ifPKiSC_iPKfiiiSE_SE_iiiii,"axG",@progbits,_ZN4vllm25paged_attention_v2_kernelI14__hip_bfloat16hLi96ELi32ELi128ELNS_18Fp8KVCacheDataTypeE1ELb1ELi512EEEvPfS3_PT_PKS4_PKT0_SA_ifPKiSC_iPKfiiiSE_SE_iiiii,comdat
.Lfunc_end352:
	.size	_ZN4vllm25paged_attention_v2_kernelI14__hip_bfloat16hLi96ELi32ELi128ELNS_18Fp8KVCacheDataTypeE1ELb1ELi512EEEvPfS3_PT_PKS4_PKT0_SA_ifPKiSC_iPKfiiiSE_SE_iiiii, .Lfunc_end352-_ZN4vllm25paged_attention_v2_kernelI14__hip_bfloat16hLi96ELi32ELi128ELNS_18Fp8KVCacheDataTypeE1ELb1ELi512EEEvPfS3_PT_PKS4_PKT0_SA_ifPKiSC_iPKfiiiSE_SE_iiiii
                                        ; -- End function
	.set _ZN4vllm25paged_attention_v2_kernelI14__hip_bfloat16hLi96ELi32ELi128ELNS_18Fp8KVCacheDataTypeE1ELb1ELi512EEEvPfS3_PT_PKS4_PKT0_SA_ifPKiSC_iPKfiiiSE_SE_iiiii.num_vgpr, 192
	.set _ZN4vllm25paged_attention_v2_kernelI14__hip_bfloat16hLi96ELi32ELi128ELNS_18Fp8KVCacheDataTypeE1ELb1ELi512EEEvPfS3_PT_PKS4_PKT0_SA_ifPKiSC_iPKfiiiSE_SE_iiiii.num_agpr, 0
	.set _ZN4vllm25paged_attention_v2_kernelI14__hip_bfloat16hLi96ELi32ELi128ELNS_18Fp8KVCacheDataTypeE1ELb1ELi512EEEvPfS3_PT_PKS4_PKT0_SA_ifPKiSC_iPKfiiiSE_SE_iiiii.numbered_sgpr, 46
	.set _ZN4vllm25paged_attention_v2_kernelI14__hip_bfloat16hLi96ELi32ELi128ELNS_18Fp8KVCacheDataTypeE1ELb1ELi512EEEvPfS3_PT_PKS4_PKT0_SA_ifPKiSC_iPKfiiiSE_SE_iiiii.num_named_barrier, 0
	.set _ZN4vllm25paged_attention_v2_kernelI14__hip_bfloat16hLi96ELi32ELi128ELNS_18Fp8KVCacheDataTypeE1ELb1ELi512EEEvPfS3_PT_PKS4_PKT0_SA_ifPKiSC_iPKfiiiSE_SE_iiiii.private_seg_size, 100
	.set _ZN4vllm25paged_attention_v2_kernelI14__hip_bfloat16hLi96ELi32ELi128ELNS_18Fp8KVCacheDataTypeE1ELb1ELi512EEEvPfS3_PT_PKS4_PKT0_SA_ifPKiSC_iPKfiiiSE_SE_iiiii.uses_vcc, 1
	.set _ZN4vllm25paged_attention_v2_kernelI14__hip_bfloat16hLi96ELi32ELi128ELNS_18Fp8KVCacheDataTypeE1ELb1ELi512EEEvPfS3_PT_PKS4_PKT0_SA_ifPKiSC_iPKfiiiSE_SE_iiiii.uses_flat_scratch, 1
	.set _ZN4vllm25paged_attention_v2_kernelI14__hip_bfloat16hLi96ELi32ELi128ELNS_18Fp8KVCacheDataTypeE1ELb1ELi512EEEvPfS3_PT_PKS4_PKT0_SA_ifPKiSC_iPKfiiiSE_SE_iiiii.has_dyn_sized_stack, 0
	.set _ZN4vllm25paged_attention_v2_kernelI14__hip_bfloat16hLi96ELi32ELi128ELNS_18Fp8KVCacheDataTypeE1ELb1ELi512EEEvPfS3_PT_PKS4_PKT0_SA_ifPKiSC_iPKfiiiSE_SE_iiiii.has_recursion, 0
	.set _ZN4vllm25paged_attention_v2_kernelI14__hip_bfloat16hLi96ELi32ELi128ELNS_18Fp8KVCacheDataTypeE1ELb1ELi512EEEvPfS3_PT_PKS4_PKT0_SA_ifPKiSC_iPKfiiiSE_SE_iiiii.has_indirect_call, 0
	.section	.AMDGPU.csdata,"",@progbits
; Kernel info:
; codeLenInByte = 31396
; TotalNumSgprs: 48
; NumVgprs: 192
; ScratchSize: 100
; MemoryBound: 0
; FloatMode: 240
; IeeeMode: 1
; LDSByteSize: 224 bytes/workgroup (compile time only)
; SGPRBlocks: 0
; VGPRBlocks: 23
; NumSGPRsForWavesPerEU: 48
; NumVGPRsForWavesPerEU: 192
; Occupancy: 8
; WaveLimiterHint : 1
; COMPUTE_PGM_RSRC2:SCRATCH_EN: 1
; COMPUTE_PGM_RSRC2:USER_SGPR: 2
; COMPUTE_PGM_RSRC2:TRAP_HANDLER: 0
; COMPUTE_PGM_RSRC2:TGID_X_EN: 1
; COMPUTE_PGM_RSRC2:TGID_Y_EN: 1
; COMPUTE_PGM_RSRC2:TGID_Z_EN: 1
; COMPUTE_PGM_RSRC2:TIDIG_COMP_CNT: 0
	.section	.text._ZN4vllm25paged_attention_v2_kernelI14__hip_bfloat16hLi112ELi32ELi128ELNS_18Fp8KVCacheDataTypeE1ELb1ELi512EEEvPfS3_PT_PKS4_PKT0_SA_ifPKiSC_iPKfiiiSE_SE_iiiii,"axG",@progbits,_ZN4vllm25paged_attention_v2_kernelI14__hip_bfloat16hLi112ELi32ELi128ELNS_18Fp8KVCacheDataTypeE1ELb1ELi512EEEvPfS3_PT_PKS4_PKT0_SA_ifPKiSC_iPKfiiiSE_SE_iiiii,comdat
	.protected	_ZN4vllm25paged_attention_v2_kernelI14__hip_bfloat16hLi112ELi32ELi128ELNS_18Fp8KVCacheDataTypeE1ELb1ELi512EEEvPfS3_PT_PKS4_PKT0_SA_ifPKiSC_iPKfiiiSE_SE_iiiii ; -- Begin function _ZN4vllm25paged_attention_v2_kernelI14__hip_bfloat16hLi112ELi32ELi128ELNS_18Fp8KVCacheDataTypeE1ELb1ELi512EEEvPfS3_PT_PKS4_PKT0_SA_ifPKiSC_iPKfiiiSE_SE_iiiii
	.globl	_ZN4vllm25paged_attention_v2_kernelI14__hip_bfloat16hLi112ELi32ELi128ELNS_18Fp8KVCacheDataTypeE1ELb1ELi512EEEvPfS3_PT_PKS4_PKT0_SA_ifPKiSC_iPKfiiiSE_SE_iiiii
	.p2align	8
	.type	_ZN4vllm25paged_attention_v2_kernelI14__hip_bfloat16hLi112ELi32ELi128ELNS_18Fp8KVCacheDataTypeE1ELb1ELi512EEEvPfS3_PT_PKS4_PKT0_SA_ifPKiSC_iPKfiiiSE_SE_iiiii,@function
_ZN4vllm25paged_attention_v2_kernelI14__hip_bfloat16hLi112ELi32ELi128ELNS_18Fp8KVCacheDataTypeE1ELb1ELi512EEEvPfS3_PT_PKS4_PKT0_SA_ifPKiSC_iPKfiiiSE_SE_iiiii: ; @_ZN4vllm25paged_attention_v2_kernelI14__hip_bfloat16hLi112ELi32ELi128ELNS_18Fp8KVCacheDataTypeE1ELb1ELi512EEEvPfS3_PT_PKS4_PKT0_SA_ifPKiSC_iPKfiiiSE_SE_iiiii
; %bb.0:
	s_load_b64 s[2:3], s[0:1], 0x40
	s_and_b32 s19, ttmp7, 0xffff
	s_lshr_b32 s33, ttmp7, 16
	s_lshl_b32 s4, s19, 2
	s_lshl_b32 s37, s33, 9
	s_wait_kmcnt 0x0
	s_load_b32 s34, s[2:3], s4 offset:0x0
	s_wait_kmcnt 0x0
	s_cmp_ge_i32 s37, s34
	s_cbranch_scc1 .LBB353_108
; %bb.1:
	s_clause 0x1
	s_load_b32 s36, s[0:1], 0x90
	s_load_b64 s[12:13], s[0:1], 0x30
	v_mov_b32_e32 v10, v0
	s_wait_kmcnt 0x0
	s_abs_i32 s5, s36
	s_abs_i32 s2, s12
	s_delay_alu instid0(SALU_CYCLE_1) | instskip(SKIP_1) | instid1(SALU_CYCLE_2)
	s_cvt_f32_u32 s3, s2
	s_sub_co_i32 s4, 0, s2
	v_rcp_iflag_f32_e32 v0, s3
	s_delay_alu instid0(TRANS32_DEP_1) | instskip(SKIP_2) | instid1(SALU_CYCLE_2)
	v_readfirstlane_b32 s3, v0
	s_mul_f32 s3, s3, 0x4f7ffffe
	s_wait_alu 0xfffe
	s_cvt_u32_f32 s3, s3
	s_wait_alu 0xfffe
	s_delay_alu instid0(SALU_CYCLE_2) | instskip(NEXT) | instid1(SALU_CYCLE_1)
	s_mul_i32 s4, s4, s3
	s_mul_hi_u32 s4, s3, s4
	s_delay_alu instid0(SALU_CYCLE_1)
	s_add_co_i32 s3, s3, s4
	s_xor_b32 s4, s36, s12
	s_wait_alu 0xfffe
	s_mul_hi_u32 s3, s5, s3
	s_ashr_i32 s4, s4, 31
	s_wait_alu 0xfffe
	s_mul_i32 s6, s3, s2
	s_delay_alu instid0(SALU_CYCLE_1)
	s_sub_co_i32 s5, s5, s6
	s_add_co_i32 s6, s3, 1
	s_sub_co_i32 s7, s5, s2
	s_cmp_ge_u32 s5, s2
	s_cselect_b32 s3, s6, s3
	s_cselect_b32 s5, s7, s5
	s_wait_alu 0xfffe
	s_add_co_i32 s6, s3, 1
	s_cmp_ge_u32 s5, s2
	s_cselect_b32 s2, s6, s3
	s_load_b64 s[6:7], s[0:1], 0x50
	s_xor_b32 s2, s2, s4
	s_mov_b32 s3, 0
	s_wait_alu 0xfffe
	s_sub_co_i32 s11, s2, s4
	s_mov_b32 s30, s3
	s_abs_i32 s10, s11
	s_delay_alu instid0(SALU_CYCLE_1) | instskip(SKIP_1) | instid1(SALU_CYCLE_2)
	s_cvt_f32_u32 s2, s10
	s_wait_alu 0xfffe
	v_rcp_iflag_f32_e32 v0, s2
	s_delay_alu instid0(TRANS32_DEP_1) | instskip(SKIP_2) | instid1(SALU_CYCLE_2)
	v_readfirstlane_b32 s2, v0
	s_mul_f32 s2, s2, 0x4f7ffffe
	s_wait_alu 0xfffe
	s_cvt_u32_f32 s4, s2
	s_sub_co_i32 s2, 0, s10
	s_wait_alu 0xfffe
	s_delay_alu instid0(SALU_CYCLE_1)
	s_mul_i32 s2, s2, s4
	s_wait_alu 0xfffe
	s_mul_hi_u32 s5, s4, s2
	s_abs_i32 s2, ttmp9
	s_add_co_i32 s4, s4, s5
	s_mov_b32 s5, s3
	s_wait_kmcnt 0x0
	s_cmp_eq_u64 s[6:7], 0
	s_cbranch_scc1 .LBB353_3
; %bb.2:
	s_mov_b32 s8, ttmp9
	s_ashr_i32 s9, ttmp9, 31
	s_delay_alu instid0(SALU_CYCLE_1) | instskip(NEXT) | instid1(SALU_CYCLE_1)
	s_lshl_b64 s[8:9], s[8:9], 2
	s_add_nc_u64 s[6:7], s[6:7], s[8:9]
	s_load_b32 s30, s[6:7], 0x0
.LBB353_3:
	s_load_b96 s[16:18], s[0:1], 0x58
	s_mul_u64 s[8:9], s[2:3], s[4:5]
	s_ashr_i32 s3, ttmp9, 31
	s_ashr_i32 s8, s11, 31
	s_mul_i32 s20, ttmp9, 0x70
	s_mov_b32 s4, exec_lo
	v_cmpx_gt_u32_e32 14, v10
	s_cbranch_execz .LBB353_5
; %bb.4:
	s_load_b64 s[6:7], s[0:1], 0x18
	s_wait_kmcnt 0x0
	s_mul_i32 s14, s16, s19
	s_ashr_i32 s21, s20, 31
	s_ashr_i32 s15, s14, 31
	v_lshlrev_b32_e32 v4, 4, v10
	s_lshl_b64 s[14:15], s[14:15], 1
	s_delay_alu instid0(SALU_CYCLE_1) | instskip(SKIP_1) | instid1(SALU_CYCLE_1)
	s_add_nc_u64 s[6:7], s[6:7], s[14:15]
	s_lshl_b64 s[14:15], s[20:21], 1
	s_add_nc_u64 s[6:7], s[6:7], s[14:15]
	global_load_b128 v[0:3], v4, s[6:7]
	s_wait_loadcnt 0x0
	ds_store_b128 v4, v[0:3]
.LBB353_5:
	s_or_b32 exec_lo, exec_lo, s4
	s_load_b128 s[4:7], s[0:1], 0x78
	s_mul_i32 s11, s9, s10
	s_xor_b32 s3, s3, s8
	s_sub_co_i32 s2, s2, s11
	s_add_co_i32 s8, s9, 1
	s_wait_alu 0xfffe
	s_sub_co_i32 s11, s2, s10
	s_cmp_ge_u32 s2, s10
                                        ; implicit-def: $sgpr21
	s_cselect_b32 s8, s8, s9
	s_cselect_b32 s2, s11, s2
	s_add_co_i32 s9, s8, 1
	s_wait_alu 0xfffe
	s_cmp_ge_u32 s2, s10
	s_mov_b32 s10, -1
	s_cselect_b32 s2, s9, s8
	s_load_b32 s8, s[0:1], 0x88
	s_xor_b32 s2, s2, s3
	s_wait_dscnt 0x0
	s_wait_alu 0xfffe
	s_sub_co_i32 s28, s2, s3
	s_barrier_signal -1
	s_barrier_wait -1
	s_wait_kmcnt 0x0
	s_abs_i32 s16, s7
	global_inv scope:SCOPE_SE
	s_cvt_f32_u32 s9, s16
	s_delay_alu instid0(SALU_CYCLE_3) | instskip(NEXT) | instid1(TRANS32_DEP_1)
	v_rcp_iflag_f32_e32 v0, s9
	v_readfirstlane_b32 s9, v0
	s_mul_f32 s2, s9, 0x4f7ffffe
	s_add_co_i32 s9, s34, -1
	s_wait_alu 0xfffe
	s_delay_alu instid0(SALU_CYCLE_1) | instskip(SKIP_2) | instid1(SALU_CYCLE_1)
	s_cvt_u32_f32 s11, s2
	s_sub_co_i32 s2, 0, s16
	s_wait_alu 0xfffe
	s_mul_i32 s3, s2, s11
	s_abs_i32 s2, s9
	s_wait_alu 0xfffe
	s_mul_hi_u32 s14, s11, s3
	s_mov_b32 s3, 0
	s_add_co_i32 s22, s11, s14
	s_cmp_lt_i32 s8, 0
	s_wait_alu 0xfffe
	s_mov_b32 s23, s3
	s_cbranch_scc0 .LBB353_7
; %bb.6:
	s_mul_i32 s10, s4, s12
	s_delay_alu instid0(SALU_CYCLE_1) | instskip(NEXT) | instid1(SALU_CYCLE_1)
	s_add_co_i32 s10, s28, s10
	s_mul_i32 s10, s10, s8
	s_delay_alu instid0(SALU_CYCLE_1)
	s_sub_co_i32 s21, 1, s10
	s_mov_b32 s10, s3
.LBB353_7:
	s_mul_u64 s[14:15], s[2:3], s[22:23]
	s_ashr_i32 s3, s9, 31
	s_and_not1_b32 vcc_lo, exec_lo, s10
	s_ashr_i32 s23, s7, 31
	s_cbranch_vccnz .LBB353_9
; %bb.8:
	s_mul_i32 s4, s36, s4
	s_delay_alu instid0(SALU_CYCLE_1) | instskip(NEXT) | instid1(SALU_CYCLE_1)
	s_add_co_i32 s4, s4, ttmp9
	s_mul_i32 s4, s4, s8
	s_delay_alu instid0(SALU_CYCLE_1)
	s_add_co_i32 s21, s4, 1
.LBB353_9:
	s_clause 0x3
	s_load_b32 s4, s[0:1], 0x48
	s_load_b64 s[24:25], s[0:1], 0x38
	s_load_b32 s7, s[0:1], 0x98
	s_load_b128 s[8:11], s[0:1], 0x68
	s_mul_i32 s12, s15, s16
	s_xor_b32 s3, s3, s23
	s_sub_co_i32 s2, s2, s12
	s_add_co_i32 s14, s15, 1
	v_lshrrev_b32_e32 v0, 5, v10
	v_dual_mov_b32 v116, 0xff7fffff :: v_dual_and_b32 v1, 31, v10
	s_mul_i32 s28, s28, s18
	s_delay_alu instid0(VALU_DEP_2) | instskip(NEXT) | instid1(VALU_DEP_2)
	v_lshl_add_u32 v17, v0, 5, s37
	v_lshlrev_b32_e32 v23, 2, v1
	s_clause 0x1
	scratch_store_b32 off, v0, off offset:220
	scratch_store_b32 off, v1, off
	s_wait_kmcnt 0x0
	s_mul_i32 s26, s4, s19
	s_wait_alu 0xfffe
	s_sub_co_i32 s4, s2, s16
	s_ashr_i32 s27, s26, 31
	s_cmp_ge_u32 s2, s16
	s_cselect_b32 s12, s14, s15
	s_cselect_b32 s2, s4, s2
	s_add_co_i32 s4, s12, 1
	s_wait_alu 0xfffe
	s_cmp_ge_u32 s2, s16
	s_cselect_b32 s2, s4, s12
	s_add_co_i32 s4, s34, 31
	s_lshl_b32 s40, s33, 4
	s_ashr_i32 s12, s4, 31
	v_add_nc_u32_e32 v18, s40, v0
	s_lshr_b32 s12, s12, 27
	s_delay_alu instid0(SALU_CYCLE_1)
	s_add_co_i32 s4, s4, s12
	s_add_co_i32 s12, s40, 16
	s_ashr_i32 s38, s4, 5
	s_wait_alu 0xfffe
	s_xor_b32 s4, s2, s3
	s_min_i32 s35, s12, s38
	v_lshlrev_b32_e32 v36, 2, v18
	v_cmp_gt_i32_e64 s2, s35, v18
	s_sub_co_i32 s39, s4, s3
	s_and_saveexec_b32 s12, s2
	s_cbranch_execz .LBB353_17
; %bb.10:
	v_mov_b32_e32 v16, 0
	scratch_store_b32 off, v10, off offset:224 ; 4-byte Folded Spill
	s_sub_co_i32 s14, s39, s5
	s_ashr_i32 s29, s28, 31
	s_cmp_neq_f32 s30, 0
	ds_load_b128 v[0:3], v16
	ds_load_b128 v[4:7], v16 offset:16
	ds_load_b128 v[8:11], v16 offset:32
	;; [unrolled: 1-line block ×4, first 2 shown]
	s_load_b64 s[42:43], s[0:1], 0x20
	s_mov_b32 s18, s17
	s_cselect_b32 vcc_lo, -1, 0
	s_abs_i32 s15, s6
	s_lshl_b64 s[44:45], s[26:27], 2
	s_cvt_f32_u32 s3, s15
	s_sub_co_i32 s4, 0, s15
	v_mov_b32_e32 v129, v18
	scratch_store_b32 off, v23, off offset:228 ; 4-byte Folded Spill
	v_mov_b32_e32 v116, 0xff7fffff
	s_wait_dscnt 0x4
	v_lshlrev_b32_e32 v24, 16, v0
	v_and_b32_e32 v0, 0xffff0000, v0
	s_clause 0x1
	scratch_store_b32 off, v24, off offset:4
	scratch_store_b32 off, v0, off offset:8
	v_lshlrev_b32_e32 v0, 16, v1
	s_wait_kmcnt 0x0
	s_add_nc_u64 s[42:43], s[42:43], s[28:29]
	scratch_store_b32 off, v0, off offset:12 ; 4-byte Folded Spill
	v_and_b32_e32 v0, 0xffff0000, v1
	scratch_store_b32 off, v0, off offset:16 ; 4-byte Folded Spill
	v_lshlrev_b32_e32 v0, 16, v2
	scratch_store_b32 off, v0, off offset:20 ; 4-byte Folded Spill
	v_and_b32_e32 v0, 0xffff0000, v2
	scratch_store_b32 off, v0, off offset:24 ; 4-byte Folded Spill
	v_lshlrev_b32_e32 v0, 16, v3
	scratch_store_b32 off, v0, off offset:28 ; 4-byte Folded Spill
	v_and_b32_e32 v0, 0xffff0000, v3
	scratch_store_b32 off, v0, off offset:32 ; 4-byte Folded Spill
	s_wait_dscnt 0x3
	v_lshlrev_b32_e32 v0, 16, v4
	scratch_store_b32 off, v0, off offset:36 ; 4-byte Folded Spill
	v_and_b32_e32 v0, 0xffff0000, v4
	s_wait_dscnt 0x2
	v_and_b32_e32 v4, 0xffff0000, v11
	s_clause 0x1
	scratch_store_b32 off, v0, off offset:40
	scratch_store_b32 off, v4, off offset:96
	v_lshlrev_b32_e32 v0, 16, v5
	s_wait_dscnt 0x1
	v_lshlrev_b32_e32 v4, 16, v12
	s_clause 0x1
	scratch_store_b32 off, v0, off offset:44
	scratch_store_b32 off, v4, off offset:100
	v_and_b32_e32 v0, 0xffff0000, v5
	v_and_b32_e32 v4, 0xffff0000, v12
	s_wait_dscnt 0x0
	v_and_b32_e32 v12, 0xffff0000, v22
	s_clause 0x2
	scratch_store_b32 off, v0, off offset:48
	scratch_store_b32 off, v4, off offset:104
	scratch_store_b32 off, v12, off offset:160
	v_lshlrev_b32_e32 v0, 16, v6
	v_lshlrev_b32_e32 v4, 16, v13
	s_clause 0x1
	scratch_store_b32 off, v0, off offset:52
	scratch_store_b32 off, v4, off offset:108
	v_and_b32_e32 v0, 0xffff0000, v6
	v_and_b32_e32 v4, 0xffff0000, v13
	s_clause 0x1
	scratch_store_b32 off, v0, off offset:56
	scratch_store_b32 off, v4, off offset:112
	v_lshlrev_b32_e32 v0, 16, v7
	v_lshlrev_b32_e32 v4, 16, v14
	s_clause 0x1
	scratch_store_b32 off, v0, off offset:60
	scratch_store_b32 off, v4, off offset:116
	v_and_b32_e32 v0, 0xffff0000, v7
	v_and_b32_e32 v4, 0xffff0000, v14
	s_clause 0x1
	scratch_store_b32 off, v0, off offset:64
	scratch_store_b32 off, v4, off offset:120
	v_lshlrev_b32_e32 v0, 16, v8
	v_lshlrev_b32_e32 v4, 16, v15
	scratch_store_b32 off, v0, off offset:68 ; 4-byte Folded Spill
	v_and_b32_e32 v0, 0xffff0000, v8
	v_and_b32_e32 v8, 0xffff0000, v15
	s_clause 0x1
	scratch_store_b32 off, v0, off offset:72
	scratch_store_b32 off, v8, off offset:128
	v_lshlrev_b32_e32 v0, 16, v9
	v_lshlrev_b32_e32 v8, 16, v19
	s_clause 0x1
	scratch_store_b32 off, v0, off offset:76
	scratch_store_b32 off, v8, off offset:132
	v_and_b32_e32 v0, 0xffff0000, v9
	v_and_b32_e32 v8, 0xffff0000, v19
	s_clause 0x1
	scratch_store_b32 off, v0, off offset:80
	scratch_store_b32 off, v8, off offset:136
	v_lshlrev_b32_e32 v0, 16, v10
	v_lshlrev_b32_e32 v8, 16, v20
	s_clause 0x1
	scratch_store_b32 off, v0, off offset:84
	scratch_store_b32 off, v8, off offset:140
	;; [unrolled: 10-line block ×3, first 2 shown]
	ds_load_b128 v[0:3], v16 offset:80
	v_and_b32_e32 v8, 0xffff0000, v21
	scratch_store_b32 off, v4, off offset:124 ; 4-byte Folded Spill
	ds_load_b128 v[4:7], v16 offset:96
	s_wait_dscnt 0x1
	v_lshlrev_b32_e32 v12, 16, v0
	scratch_store_b32 off, v8, off offset:152 ; 4-byte Folded Spill
	v_lshlrev_b32_e32 v8, 16, v22
	v_and_b32_e32 v0, 0xffff0000, v0
	s_wait_dscnt 0x0
	v_lshlrev_b32_e32 v67, 16, v7
	v_and_b32_e32 v68, 0xffff0000, v7
	s_clause 0x1
	scratch_store_b32 off, v8, off offset:156
	scratch_store_b32 off, v0, off offset:168
	v_lshlrev_b32_e32 v0, 16, v1
	scratch_store_b32 off, v12, off offset:164 ; 4-byte Folded Spill
	ds_load_b128 v[8:11], v16 offset:112
	ds_load_b128 v[12:15], v16 offset:128
	scratch_store_b32 off, v0, off offset:172 ; 4-byte Folded Spill
	v_and_b32_e32 v0, 0xffff0000, v1
	scratch_store_b32 off, v0, off offset:176 ; 4-byte Folded Spill
	v_lshlrev_b32_e32 v0, 16, v2
	scratch_store_b32 off, v0, off offset:180 ; 4-byte Folded Spill
	v_and_b32_e32 v0, 0xffff0000, v2
	s_wait_dscnt 0x1
	v_lshlrev_b32_e32 v69, 16, v8
	scratch_store_b32 off, v0, off offset:184 ; 4-byte Folded Spill
	v_lshlrev_b32_e32 v0, 16, v3
	v_and_b32_e32 v70, 0xffff0000, v8
	v_lshlrev_b32_e32 v71, 16, v9
	v_and_b32_e32 v72, 0xffff0000, v9
	v_lshlrev_b32_e32 v73, 16, v10
	scratch_store_b32 off, v0, off offset:188 ; 4-byte Folded Spill
	v_and_b32_e32 v0, 0xffff0000, v3
	v_and_b32_e32 v74, 0xffff0000, v10
	v_lshlrev_b32_e32 v75, 16, v11
	v_and_b32_e32 v76, 0xffff0000, v11
	ds_load_b128 v[8:11], v16 offset:176
	scratch_store_b32 off, v0, off offset:192 ; 4-byte Folded Spill
	v_lshlrev_b32_e32 v0, 16, v4
	s_wait_dscnt 0x1
	v_lshlrev_b32_e32 v77, 16, v12
	v_and_b32_e32 v78, 0xffff0000, v12
	v_lshlrev_b32_e32 v79, 16, v13
	v_and_b32_e32 v80, 0xffff0000, v13
	scratch_store_b32 off, v0, off offset:196 ; 4-byte Folded Spill
	v_and_b32_e32 v0, 0xffff0000, v4
	v_and_b32_e32 v4, 0xffff0000, v6
	v_lshlrev_b32_e32 v81, 16, v14
	v_and_b32_e32 v82, 0xffff0000, v14
	v_lshlrev_b32_e32 v83, 16, v15
	s_clause 0x1
	scratch_store_b32 off, v0, off offset:200
	scratch_store_b32 off, v4, off offset:216
	v_lshlrev_b32_e32 v0, 16, v5
	v_and_b32_e32 v84, 0xffff0000, v15
	scratch_store_b32 off, v0, off offset:204 ; 4-byte Folded Spill
	v_and_b32_e32 v0, 0xffff0000, v5
	scratch_store_b32 off, v0, off offset:208 ; 4-byte Folded Spill
	v_lshlrev_b32_e32 v0, 16, v6
	ds_load_b128 v[4:7], v16 offset:160
	scratch_store_b32 off, v0, off offset:212 ; 4-byte Folded Spill
	ds_load_b128 v[0:3], v16 offset:144
	s_wait_dscnt 0x1
	v_lshlrev_b32_e32 v93, 16, v4
	v_and_b32_e32 v94, 0xffff0000, v4
	v_lshlrev_b32_e32 v95, 16, v5
	v_and_b32_e32 v96, 0xffff0000, v5
	v_lshlrev_b32_e32 v97, 16, v6
	s_wait_dscnt 0x0
	v_lshlrev_b32_e32 v85, 16, v0
	v_and_b32_e32 v86, 0xffff0000, v0
	v_lshlrev_b32_e32 v87, 16, v1
	v_and_b32_e32 v88, 0xffff0000, v1
	;; [unrolled: 2-line block ×4, first 2 shown]
	ds_load_b128 v[0:3], v16 offset:192
	v_and_b32_e32 v98, 0xffff0000, v6
	v_lshlrev_b32_e32 v99, 16, v7
	v_and_b32_e32 v100, 0xffff0000, v7
	ds_load_b128 v[4:7], v16 offset:208
	v_lshlrev_b32_e32 v101, 16, v8
	v_and_b32_e32 v102, 0xffff0000, v8
	v_lshlrev_b32_e32 v103, 16, v9
	v_and_b32_e32 v104, 0xffff0000, v9
	;; [unrolled: 2-line block ×4, first 2 shown]
	s_wait_dscnt 0x1
	v_lshlrev_b32_e32 v115, 16, v3
	v_and_b32_e32 v117, 0xffff0000, v3
	scratch_load_b32 v3, off, off           ; 4-byte Folded Reload
	v_lshlrev_b32_e32 v109, 16, v0
	s_wait_dscnt 0x0
	v_lshlrev_b32_e32 v122, 16, v6
	v_and_b32_e32 v123, 0xffff0000, v6
	scratch_load_b32 v6, off, off offset:220 ; 4-byte Folded Reload
	v_and_b32_e32 v110, 0xffff0000, v0
	s_wait_alu 0xfffe
	v_rcp_iflag_f32_e32 v0, s3
	v_lshlrev_b32_e32 v111, 16, v1
	v_and_b32_e32 v112, 0xffff0000, v1
	v_lshlrev_b32_e32 v120, 16, v5
	v_and_b32_e32 v121, 0xffff0000, v5
	;; [unrolled: 2-line block ×4, first 2 shown]
	v_lshlrev_b32_e32 v124, 16, v7
	v_readfirstlane_b32 s3, v0
	v_and_b32_e32 v125, 0xffff0000, v7
	s_mul_f32 s3, s3, 0x4f7ffffe
	s_wait_alu 0xfffe
	s_delay_alu instid0(SALU_CYCLE_2) | instskip(SKIP_1) | instid1(SALU_CYCLE_2)
	s_cvt_u32_f32 s3, s3
	s_wait_alu 0xfffe
	s_mul_i32 s4, s4, s3
	s_delay_alu instid0(SALU_CYCLE_1) | instskip(NEXT) | instid1(SALU_CYCLE_1)
	s_mul_hi_u32 s4, s3, s4
	s_add_co_i32 s31, s3, s4
	s_wait_loadcnt 0x1
	v_lshlrev_b32_e32 v0, 4, v3
	s_wait_loadcnt 0x0
	v_lshl_or_b32 v5, v6, 7, v23
	s_delay_alu instid0(VALU_DEP_2)
	v_add_co_u32 v1, s29, s42, v0
	v_subrev_nc_u32_e32 v0, s34, v3
	v_add_co_ci_u32_e64 v2, null, s43, 0, s29
	s_add_nc_u64 s[42:43], s[24:25], s[44:45]
	v_add_nc_u32_e32 v127, 0x100, v5
	s_wait_alu 0xfffe
	v_add_co_u32 v3, s29, s42, v36
	s_wait_alu 0xf1ff
	v_add_co_ci_u32_e64 v4, null, s43, 0, s29
	v_add_nc_u32_e32 v126, 1, v0
	v_lshl_add_u32 v128, v6, 5, s37
	s_mov_b32 s29, 0
	s_branch .LBB353_12
.LBB353_11:                             ;   in Loop: Header=BB353_12 Depth=1
	s_wait_alu 0xfffe
	s_or_b32 exec_lo, exec_lo, s4
	v_add_nc_u32_e32 v129, 4, v129
	v_add_co_u32 v3, s4, v3, 16
	s_wait_alu 0xf1ff
	v_add_co_ci_u32_e64 v4, null, 0, v4, s4
	s_delay_alu instid0(VALU_DEP_3)
	v_cmp_le_i32_e64 s3, s35, v129
	v_add_nc_u32_e32 v128, 0x80, v128
	v_add_nc_u32_e32 v127, 0x200, v127
	s_or_b32 s29, s3, s29
	s_wait_alu 0xfffe
	s_and_not1_b32 exec_lo, exec_lo, s29
	s_cbranch_execz .LBB353_16
.LBB353_12:                             ; =>This Inner Loop Header: Depth=1
	s_delay_alu instid0(VALU_DEP_1) | instskip(NEXT) | instid1(VALU_DEP_1)
	v_sub_nc_u32_e32 v0, 0, v128
	v_max_i32_e32 v0, v128, v0
	s_delay_alu instid0(VALU_DEP_1) | instskip(NEXT) | instid1(VALU_DEP_1)
	v_mul_hi_u32 v5, v0, s22
	v_mul_lo_u32 v6, v5, s16
	s_delay_alu instid0(VALU_DEP_1) | instskip(SKIP_1) | instid1(VALU_DEP_2)
	v_sub_nc_u32_e32 v0, v0, v6
	v_add_nc_u32_e32 v6, 1, v5
	v_subrev_nc_u32_e32 v7, s16, v0
	v_cmp_le_u32_e64 s3, s16, v0
	s_wait_alu 0xf1ff
	s_delay_alu instid0(VALU_DEP_1) | instskip(NEXT) | instid1(VALU_DEP_3)
	v_cndmask_b32_e64 v5, v5, v6, s3
	v_cndmask_b32_e64 v0, v0, v7, s3
	v_ashrrev_i32_e32 v6, 31, v128
	s_delay_alu instid0(VALU_DEP_3) | instskip(NEXT) | instid1(VALU_DEP_3)
	v_add_nc_u32_e32 v7, 1, v5
	v_cmp_le_u32_e64 s3, s16, v0
	s_delay_alu instid0(VALU_DEP_3) | instskip(SKIP_1) | instid1(VALU_DEP_2)
	v_xor_b32_e32 v6, s23, v6
	s_wait_alu 0xf1ff
	v_cndmask_b32_e64 v0, v5, v7, s3
	s_delay_alu instid0(VALU_DEP_1) | instskip(NEXT) | instid1(VALU_DEP_1)
	v_xor_b32_e32 v0, v0, v6
	v_sub_nc_u32_e32 v0, v0, v6
	s_delay_alu instid0(VALU_DEP_1) | instskip(SKIP_1) | instid1(VALU_DEP_2)
	v_add_nc_u32_e32 v5, s21, v0
	v_cmp_ge_i32_e64 s4, s14, v0
	v_sub_nc_u32_e32 v6, 0, v5
	s_delay_alu instid0(VALU_DEP_1) | instskip(SKIP_1) | instid1(VALU_DEP_2)
	v_max_i32_e32 v6, v5, v6
	v_ashrrev_i32_e32 v5, 31, v5
	v_mul_hi_u32 v7, v6, s31
	s_delay_alu instid0(VALU_DEP_1) | instskip(NEXT) | instid1(VALU_DEP_1)
	v_mul_lo_u32 v7, v7, s15
	v_sub_nc_u32_e32 v6, v6, v7
	s_delay_alu instid0(VALU_DEP_1) | instskip(SKIP_2) | instid1(VALU_DEP_1)
	v_subrev_nc_u32_e32 v7, s15, v6
	v_cmp_le_u32_e64 s3, s15, v6
	s_wait_alu 0xf1ff
	v_cndmask_b32_e64 v6, v6, v7, s3
	s_delay_alu instid0(VALU_DEP_1) | instskip(SKIP_2) | instid1(VALU_DEP_1)
	v_subrev_nc_u32_e32 v7, s15, v6
	v_cmp_le_u32_e64 s3, s15, v6
	s_wait_alu 0xf1ff
	v_cndmask_b32_e64 v6, v6, v7, s3
	s_delay_alu instid0(VALU_DEP_1) | instskip(NEXT) | instid1(VALU_DEP_1)
	v_xor_b32_e32 v6, v6, v5
	v_sub_nc_u32_e32 v5, v6, v5
	s_delay_alu instid0(VALU_DEP_1)
	v_cmp_ne_u32_e64 s3, 0, v5
	s_and_b32 s3, s3, s4
	s_wait_alu 0xfffe
	s_and_saveexec_b32 s4, s3
	s_wait_alu 0xfffe
	s_xor_b32 s3, exec_lo, s4
; %bb.13:                               ;   in Loop: Header=BB353_12 Depth=1
	v_mov_b32_e32 v0, 0xff7fffff
	ds_store_b32 v127, v0
; %bb.14:                               ;   in Loop: Header=BB353_12 Depth=1
	s_wait_alu 0xfffe
	s_and_not1_saveexec_b32 s4, s3
	s_cbranch_execz .LBB353_11
; %bb.15:                               ;   in Loop: Header=BB353_12 Depth=1
	global_load_b32 v0, v[3:4], off
	s_load_b32 s41, s[8:9], 0x0
	s_wait_loadcnt 0x0
	v_mad_co_i64_i32 v[5:6], null, v0, s18, v[1:2]
	s_clause 0x4
	global_load_b128 v[7:10], v[5:6], off
	global_load_b128 v[20:23], v[5:6], off offset:512
	global_load_b128 v[130:133], v[5:6], off offset:1024
	;; [unrolled: 1-line block ×4, first 2 shown]
	s_wait_loadcnt 0x4
	v_bfe_u32 v42, v8, 8, 8
	v_bfe_u32 v38, v8, 16, 8
	v_lshrrev_b32_e32 v19, 24, v10
	s_wait_loadcnt 0x3
	v_lshrrev_b32_e32 v47, 24, v21
	v_bfe_u32 v53, v22, 8, 8
	v_cvt_f32_fp8_e32 v42, v42
	v_and_b32_e32 v45, 0xff, v8
	v_and_b32_e32 v146, 0xff, v7
	v_bfe_u32 v135, v7, 8, 8
	v_bfe_u32 v139, v7, 16, 8
	v_lshrrev_b32_e32 v142, 24, v7
	v_lshrrev_b32_e32 v34, 24, v8
	v_and_b32_e32 v32, 0xff, v9
	v_bfe_u32 v28, v9, 8, 8
	v_bfe_u32 v24, v9, 16, 8
	v_lshrrev_b32_e32 v8, 24, v9
	v_bfe_u32 v55, v22, 16, 8
	v_lshrrev_b32_e32 v54, 24, v22
	s_wait_loadcnt 0x2
	v_bfe_u32 v44, v130, 8, 8
	v_bfe_u32 v39, v130, 16, 8
	v_lshrrev_b32_e32 v35, 24, v130
	v_bfe_u32 v26, v131, 8, 8
	v_lshrrev_b32_e32 v13, 24, v131
	v_bfe_u32 v7, v132, 8, 8
	v_bfe_u32 v186, v132, 16, 8
	v_lshrrev_b32_e32 v179, 24, v132
	v_bfe_u32 v168, v133, 8, 8
	v_bfe_u32 v163, v133, 16, 8
	v_lshrrev_b32_e32 v157, 24, v133
	s_wait_kmcnt 0x0
	v_mul_f32_e32 v42, s41, v42
	v_cvt_f32_fp8_e32 v45, v45
	v_and_b32_e32 v50, 0xff, v22
	v_bfe_u32 v22, v131, 16, 8
	v_cvt_f32_fp8_e32 v38, v38
	v_and_b32_e32 v9, 0xff, v132
	v_cvt_f32_fp8_e32 v19, v19
	v_and_b32_e32 v46, 0xff, v130
	;; [unrolled: 2-line block ×4, first 2 shown]
	global_load_b128 v[130:133], v[5:6], off offset:1536
	v_bfe_u32 v11, v10, 8, 8
	v_bfe_u32 v14, v10, 16, 8
	;; [unrolled: 1-line block ×4, first 2 shown]
	v_and_b32_e32 v16, 0xff, v10
	v_and_b32_e32 v62, 0xff, v20
	v_bfe_u32 v61, v20, 8, 8
	v_bfe_u32 v60, v20, 16, 8
	v_lshrrev_b32_e32 v59, 24, v20
	v_bfe_u32 v57, v21, 8, 8
	v_bfe_u32 v56, v21, 16, 8
	v_and_b32_e32 v52, 0xff, v23
	v_lshrrev_b32_e32 v48, 24, v23
	s_wait_loadcnt 0x2
	v_bfe_u32 v166, v148, 8, 8
	v_bfe_u32 v161, v148, 16, 8
	v_lshrrev_b32_e32 v154, 24, v148
	v_bfe_u32 v143, v149, 8, 8
	v_bfe_u32 v137, v149, 16, 8
	v_lshrrev_b32_e32 v134, 24, v149
	v_cvt_f32_fp8_e32 v34, v34
	v_cvt_f32_fp8_e32 v24, v24
	;; [unrolled: 1-line block ×3, first 2 shown]
	v_and_b32_e32 v58, 0xff, v21
	v_cvt_f32_fp8_e32 v14, v14
	v_and_b32_e32 v171, 0xff, v148
	v_cvt_f32_fp8_e32 v55, v55
	v_cvt_f32_fp8_e32 v51, v51
	v_and_b32_e32 v148, 0xff, v149
	v_cvt_f32_fp8_e32 v49, v49
	v_cvt_f32_fp8_e32 v13, v13
	v_cvt_f32_fp8_e32 v8, v8
	v_dual_mul_f32 v45, s41, v45 :: v_dual_mul_f32 v38, s41, v38
	v_cvt_f32_fp8_e32 v39, v39
	v_cvt_f32_fp8_e32 v28, v28
	v_and_b32_e32 v15, 0xff, v147
	v_dual_mul_f32 v11, s41, v11 :: v_dual_mul_f32 v14, s41, v14
	s_delay_alu instid0(VALU_DEP_3)
	v_dual_mul_f32 v19, s41, v19 :: v_dual_mul_f32 v28, s41, v28
	v_bfe_u32 v189, v147, 8, 8
	v_bfe_u32 v183, v147, 16, 8
	v_lshrrev_b32_e32 v177, 24, v147
	v_cvt_f32_fp8_e32 v9, v9
	v_cvt_f32_fp8_e32 v7, v7
	v_mul_f32_e32 v47, s41, v47
	v_cvt_f32_fp8_e32 v50, v50
	v_mul_f32_e32 v53, s41, v53
	v_cvt_f32_fp8_e32 v54, v54
	v_mul_f32_e32 v51, s41, v51
	v_cvt_f32_fp8_e32 v48, v48
	v_mul_f32_e32 v50, s41, v50
	v_cvt_f32_fp8_e32 v46, v46
	v_mul_f32_e32 v54, s41, v54
	v_cvt_f32_fp8_e32 v44, v44
	v_cvt_f32_fp8_e32 v35, v35
	;; [unrolled: 1-line block ×6, first 2 shown]
	s_wait_loadcnt 0x1
	v_dual_mul_f32 v13, s41, v13 :: v_dual_and_b32 v162, 0xff, v63
	v_bfe_u32 v160, v63, 8, 8
	v_bfe_u32 v159, v63, 16, 8
	v_lshrrev_b32_e32 v156, 24, v63
	v_dual_mul_f32 v34, s41, v34 :: v_dual_and_b32 v155, 0xff, v64
	v_dual_mul_f32 v24, s41, v24 :: v_dual_mul_f32 v55, s41, v55
	v_dual_mul_f32 v49, s41, v49 :: v_dual_and_b32 v140, 0xff, v66
	v_mul_f32_e32 v35, s41, v35
	v_bfe_u32 v145, v65, 8, 8
	v_bfe_u32 v144, v65, 16, 8
	v_lshrrev_b32_e32 v141, 24, v65
	v_bfe_u32 v138, v66, 8, 8
	v_bfe_u32 v136, v66, 16, 8
	v_dual_mul_f32 v15, s41, v15 :: v_dual_mul_f32 v8, s41, v8
	v_mul_f32_e32 v39, s41, v39
	v_mul_f32_e32 v9, s41, v9
	;; [unrolled: 1-line block ×3, first 2 shown]
	s_wait_loadcnt 0x0
	v_and_b32_e32 v43, 0xff, v130
	v_bfe_u32 v41, v130, 8, 8
	v_bfe_u32 v40, v130, 16, 8
	v_lshrrev_b32_e32 v37, 24, v130
	v_and_b32_e32 v36, 0xff, v131
	v_bfe_u32 v33, v131, 8, 8
	v_bfe_u32 v31, v131, 16, 8
	v_lshrrev_b32_e32 v29, 24, v131
	v_and_b32_e32 v27, 0xff, v132
	v_bfe_u32 v25, v132, 8, 8
	v_bfe_u32 v23, v132, 16, 8
	v_lshrrev_b32_e32 v21, 24, v132
	v_and_b32_e32 v20, 0xff, v133
	v_bfe_u32 v12, v133, 8, 8
	v_bfe_u32 v10, v133, 16, 8
	v_lshrrev_b32_e32 v0, 24, v133
	v_and_b32_e32 v133, 0xff, v150
	v_bfe_u32 v132, v150, 8, 8
	v_bfe_u32 v131, v150, 16, 8
	v_lshrrev_b32_e32 v130, 24, v150
	global_load_b128 v[149:152], v[5:6], off offset:2560
	v_cvt_f32_fp8_e32 v5, v146
	v_cvt_f32_fp8_e32 v41, v41
	v_mul_f32_e32 v48, s41, v48
	v_cvt_f32_fp8_e32 v37, v37
	s_delay_alu instid0(VALU_DEP_4) | instskip(NEXT) | instid1(VALU_DEP_4)
	v_dual_mul_f32 v46, s41, v46 :: v_dual_mul_f32 v5, s41, v5
	v_mul_f32_e32 v41, s41, v41
	v_cvt_f32_fp8_e32 v33, v33
	s_delay_alu instid0(VALU_DEP_4) | instskip(NEXT) | instid1(VALU_DEP_4)
	v_dual_mul_f32 v37, s41, v37 :: v_dual_mul_f32 v44, s41, v44
	v_bfe_u32 v63, v5, 16, 1
	v_cmp_u_f32_e64 s3, v5, v5
	s_delay_alu instid0(VALU_DEP_4)
	v_mul_f32_e32 v33, s41, v33
	v_cvt_f32_fp8_e32 v31, v31
	v_mul_f32_e32 v30, s41, v30
	v_add3_u32 v63, v63, v5, 0x7fff
	v_or_b32_e32 v5, 0x400000, v5
	v_cvt_f32_fp8_e32 v29, v29
	v_dual_mul_f32 v31, s41, v31 :: v_dual_mul_f32 v26, s41, v26
	v_cvt_f32_fp8_e32 v27, v27
	s_wait_alu 0xf1ff
	v_cndmask_b32_e64 v5, v63, v5, s3
	v_cvt_f32_fp8_e32 v63, v135
	v_dual_mul_f32 v29, s41, v29 :: v_dual_mul_f32 v22, s41, v22
	v_mul_f32_e32 v27, s41, v27
	v_cvt_f32_fp8_e32 v25, v25
	s_delay_alu instid0(VALU_DEP_4)
	v_mul_f32_e32 v63, s41, v63
	v_cvt_f32_fp8_e32 v32, v32
	v_cvt_f32_fp8_e32 v23, v23
	;; [unrolled: 1-line block ×4, first 2 shown]
	v_cmp_u_f32_e64 s3, v63, v63
	v_mul_f32_e32 v32, s41, v32
	v_cvt_f32_fp8_e32 v43, v43
	v_cvt_f32_fp8_e32 v36, v36
	v_mul_f32_e32 v40, s41, v40
	v_cvt_f32_fp8_e32 v20, v20
	v_cvt_f32_fp8_e32 v12, v12
	;; [unrolled: 1-line block ×3, first 2 shown]
	v_mul_f32_e32 v36, s41, v36
	v_cvt_f32_fp8_e32 v0, v0
	v_mul_f32_e32 v20, s41, v20
	v_mul_f32_e32 v12, s41, v12
	;; [unrolled: 1-line block ×3, first 2 shown]
	v_lshrrev_b32_e32 v6, 24, v66
	v_dual_mul_f32 v0, s41, v0 :: v_dual_mul_f32 v43, s41, v43
	v_mul_f32_e32 v25, s41, v25
	v_mul_f32_e32 v23, s41, v23
	s_delay_alu instid0(VALU_DEP_4)
	v_cvt_f32_fp8_e32 v6, v6
	v_mul_f32_e32 v21, s41, v21
	scratch_load_b32 v66, off, off offset:44 ; 4-byte Folded Reload
	s_wait_loadcnt 0x1
	v_dual_mul_f32 v6, s41, v6 :: v_dual_and_b32 v191, 0xff, v149
	v_bfe_u32 v188, v149, 8, 8
	v_bfe_u32 v187, v149, 16, 8
	v_lshrrev_b32_e32 v184, 24, v149
	v_and_b32_e32 v175, 0xff, v151
	v_bfe_u32 v173, v151, 8, 8
	v_bfe_u32 v172, v151, 16, 8
	v_lshrrev_b32_e32 v170, 24, v151
	v_and_b32_e32 v169, 0xff, v152
	v_bfe_u32 v167, v152, 8, 8
	v_bfe_u32 v165, v152, 16, 8
	v_lshrrev_b32_e32 v164, 24, v152
	v_bfe_u32 v152, v64, 8, 8
	v_bfe_u32 v151, v64, 16, 8
	v_lshrrev_b32_e32 v149, 24, v64
	v_bfe_u32 v64, v63, 16, 1
	v_and_b32_e32 v182, 0xff, v150
	v_bfe_u32 v180, v150, 8, 8
	v_bfe_u32 v178, v150, 16, 8
	v_lshrrev_b32_e32 v176, 24, v150
	v_add3_u32 v64, v64, v63, 0x7fff
	v_or_b32_e32 v63, 0x400000, v63
	s_wait_alu 0xf1ff
	s_delay_alu instid0(VALU_DEP_1) | instskip(SKIP_1) | instid1(VALU_DEP_1)
	v_cndmask_b32_e64 v135, v64, v63, s3
	v_cvt_f32_fp8_e32 v63, v139
	v_mul_f32_e32 v63, s41, v63
	v_cvt_f32_fp8_e32 v16, v16
	s_delay_alu instid0(VALU_DEP_2) | instskip(SKIP_1) | instid1(VALU_DEP_3)
	v_bfe_u32 v64, v63, 16, 1
	v_cmp_u_f32_e64 s3, v63, v63
	v_mul_f32_e32 v16, s41, v16
	s_delay_alu instid0(VALU_DEP_3) | instskip(SKIP_2) | instid1(VALU_DEP_1)
	v_add3_u32 v64, v64, v63, 0x7fff
	v_or_b32_e32 v63, 0x400000, v63
	s_wait_alu 0xf1ff
	v_cndmask_b32_e64 v139, v64, v63, s3
	v_cvt_f32_fp8_e32 v63, v142
	s_delay_alu instid0(VALU_DEP_1) | instskip(NEXT) | instid1(VALU_DEP_1)
	v_mul_f32_e32 v63, s41, v63
	v_bfe_u32 v64, v63, 16, 1
	v_cmp_u_f32_e64 s3, v63, v63
	s_delay_alu instid0(VALU_DEP_2) | instskip(SKIP_2) | instid1(VALU_DEP_1)
	v_add3_u32 v64, v64, v63, 0x7fff
	v_or_b32_e32 v63, 0x400000, v63
	s_wait_alu 0xf1ff
	v_cndmask_b32_e64 v142, v64, v63, s3
	v_bfe_u32 v63, v45, 16, 1
	v_cmp_u_f32_e64 s3, v45, v45
	s_delay_alu instid0(VALU_DEP_2) | instskip(SKIP_2) | instid1(VALU_DEP_1)
	v_add3_u32 v63, v63, v45, 0x7fff
	v_or_b32_e32 v45, 0x400000, v45
	s_wait_alu 0xf1ff
	v_cndmask_b32_e64 v146, v63, v45, s3
	;; [unrolled: 7-line block ×9, first 2 shown]
	v_bfe_u32 v24, v16, 16, 1
	v_cmp_u_f32_e64 s3, v16, v16
	s_delay_alu instid0(VALU_DEP_3) | instskip(NEXT) | instid1(VALU_DEP_3)
	v_and_b32_e32 v8, 0xffff0000, v8
	v_add3_u32 v24, v24, v16, 0x7fff
	v_or_b32_e32 v16, 0x400000, v16
	s_wait_alu 0xf1ff
	s_delay_alu instid0(VALU_DEP_1) | instskip(SKIP_2) | instid1(VALU_DEP_3)
	v_cndmask_b32_e64 v16, v24, v16, s3
	v_bfe_u32 v24, v11, 16, 1
	v_cmp_u_f32_e64 s3, v11, v11
	v_and_b32_e32 v16, 0xffff0000, v16
	s_delay_alu instid0(VALU_DEP_3) | instskip(SKIP_2) | instid1(VALU_DEP_1)
	v_add3_u32 v24, v24, v11, 0x7fff
	v_or_b32_e32 v11, 0x400000, v11
	s_wait_alu 0xf1ff
	v_cndmask_b32_e64 v11, v24, v11, s3
	v_bfe_u32 v24, v14, 16, 1
	v_cmp_u_f32_e64 s3, v14, v14
	s_delay_alu instid0(VALU_DEP_3) | instskip(NEXT) | instid1(VALU_DEP_3)
	v_and_b32_e32 v11, 0xffff0000, v11
	v_add3_u32 v24, v24, v14, 0x7fff
	v_or_b32_e32 v14, 0x400000, v14
	s_wait_alu 0xf1ff
	s_delay_alu instid0(VALU_DEP_1) | instskip(SKIP_2) | instid1(VALU_DEP_3)
	v_cndmask_b32_e64 v14, v24, v14, s3
	v_bfe_u32 v24, v19, 16, 1
	v_cmp_u_f32_e64 s3, v19, v19
	v_and_b32_e32 v14, 0xffff0000, v14
	s_delay_alu instid0(VALU_DEP_3) | instskip(SKIP_2) | instid1(VALU_DEP_1)
	v_add3_u32 v24, v24, v19, 0x7fff
	v_or_b32_e32 v19, 0x400000, v19
	s_wait_alu 0xf1ff
	v_cndmask_b32_e64 v19, v24, v19, s3
	v_cvt_f32_fp8_e32 v24, v62
	v_and_b32_e32 v147, 0xff, v65
	scratch_load_b32 v65, off, off offset:40 ; 4-byte Folded Reload
	v_dual_mul_f32 v24, s41, v24 :: v_dual_and_b32 v19, 0xffff0000, v19
	s_delay_alu instid0(VALU_DEP_1) | instskip(SKIP_1) | instid1(VALU_DEP_2)
	v_bfe_u32 v28, v24, 16, 1
	v_cmp_u_f32_e64 s3, v24, v24
	v_add3_u32 v28, v28, v24, 0x7fff
	v_or_b32_e32 v24, 0x400000, v24
	s_wait_alu 0xf1ff
	s_delay_alu instid0(VALU_DEP_1) | instskip(SKIP_1) | instid1(VALU_DEP_2)
	v_cndmask_b32_e64 v24, v28, v24, s3
	v_cvt_f32_fp8_e32 v28, v61
	v_and_b32_e32 v24, 0xffff0000, v24
	s_delay_alu instid0(VALU_DEP_2) | instskip(NEXT) | instid1(VALU_DEP_1)
	v_mul_f32_e32 v28, s41, v28
	v_bfe_u32 v32, v28, 16, 1
	v_cmp_u_f32_e64 s3, v28, v28
	s_delay_alu instid0(VALU_DEP_2) | instskip(SKIP_2) | instid1(VALU_DEP_1)
	v_add3_u32 v32, v32, v28, 0x7fff
	v_or_b32_e32 v28, 0x400000, v28
	s_wait_alu 0xf1ff
	v_cndmask_b32_e64 v28, v32, v28, s3
	v_cvt_f32_fp8_e32 v32, v60
	s_delay_alu instid0(VALU_DEP_1) | instskip(NEXT) | instid1(VALU_DEP_1)
	v_mul_f32_e32 v32, s41, v32
	v_bfe_u32 v34, v32, 16, 1
	v_cmp_u_f32_e64 s3, v32, v32
	s_delay_alu instid0(VALU_DEP_2) | instskip(SKIP_2) | instid1(VALU_DEP_1)
	v_add3_u32 v34, v34, v32, 0x7fff
	v_or_b32_e32 v32, 0x400000, v32
	s_wait_alu 0xf1ff
	v_cndmask_b32_e64 v32, v34, v32, s3
	v_cvt_f32_fp8_e32 v34, v59
	s_delay_alu instid0(VALU_DEP_1) | instskip(NEXT) | instid1(VALU_DEP_1)
	;; [unrolled: 10-line block ×4, first 2 shown]
	v_mul_f32_e32 v42, s41, v42
	v_bfe_u32 v45, v42, 16, 1
	v_cmp_u_f32_e64 s3, v42, v42
	s_delay_alu instid0(VALU_DEP_2) | instskip(SKIP_2) | instid1(VALU_DEP_1)
	v_add3_u32 v45, v45, v42, 0x7fff
	v_or_b32_e32 v42, 0x400000, v42
	s_wait_alu 0xf1ff
	v_cndmask_b32_e64 v42, v45, v42, s3
	v_cvt_f32_fp8_e32 v45, v56
	s_delay_alu instid0(VALU_DEP_1) | instskip(SKIP_1) | instid1(VALU_DEP_2)
	v_mul_f32_e32 v45, s41, v45
	v_cvt_f32_fp8_e32 v52, v52
	v_bfe_u32 v56, v45, 16, 1
	v_cmp_u_f32_e64 s3, v45, v45
	s_delay_alu instid0(VALU_DEP_3) | instskip(NEXT) | instid1(VALU_DEP_3)
	v_mul_f32_e32 v52, s41, v52
	v_add3_u32 v56, v56, v45, 0x7fff
	v_or_b32_e32 v45, 0x400000, v45
	s_wait_alu 0xf1ff
	s_delay_alu instid0(VALU_DEP_1) | instskip(SKIP_2) | instid1(VALU_DEP_2)
	v_cndmask_b32_e64 v45, v56, v45, s3
	v_bfe_u32 v56, v47, 16, 1
	v_cmp_u_f32_e64 s3, v47, v47
	v_add3_u32 v56, v56, v47, 0x7fff
	v_or_b32_e32 v47, 0x400000, v47
	s_wait_alu 0xf1ff
	s_delay_alu instid0(VALU_DEP_1) | instskip(SKIP_2) | instid1(VALU_DEP_2)
	v_cndmask_b32_e64 v47, v56, v47, s3
	v_bfe_u32 v56, v50, 16, 1
	v_cmp_u_f32_e64 s3, v50, v50
	;; [unrolled: 7-line block ×17, first 2 shown]
	v_add3_u32 v56, v56, v13, 0x7fff
	v_or_b32_e32 v13, 0x400000, v13
	s_wait_alu 0xf1ff
	s_delay_alu instid0(VALU_DEP_1) | instskip(SKIP_2) | instid1(VALU_DEP_3)
	v_cndmask_b32_e64 v13, v56, v13, s3
	v_bfe_u32 v56, v9, 16, 1
	v_cmp_u_f32_e64 s3, v9, v9
	v_and_b32_e32 v13, 0xffff0000, v13
	s_delay_alu instid0(VALU_DEP_3) | instskip(SKIP_2) | instid1(VALU_DEP_1)
	v_add3_u32 v56, v56, v9, 0x7fff
	v_or_b32_e32 v9, 0x400000, v9
	s_wait_alu 0xf1ff
	v_cndmask_b32_e64 v9, v56, v9, s3
	v_bfe_u32 v56, v7, 16, 1
	v_cmp_u_f32_e64 s3, v7, v7
	s_delay_alu instid0(VALU_DEP_3) | instskip(NEXT) | instid1(VALU_DEP_3)
	v_and_b32_e32 v9, 0xffff0000, v9
	v_add3_u32 v56, v56, v7, 0x7fff
	v_or_b32_e32 v7, 0x400000, v7
	v_and_b32_e32 v22, 0xffff0000, v22
	v_and_b32_e32 v5, 0xffff0000, v5
	s_wait_alu 0xf1ff
	s_delay_alu instid0(VALU_DEP_3) | instskip(SKIP_1) | instid1(VALU_DEP_1)
	v_cndmask_b32_e64 v7, v56, v7, s3
	v_cvt_f32_fp8_e32 v56, v186
	v_dual_mul_f32 v56, s41, v56 :: v_dual_and_b32 v7, 0xffff0000, v7
	s_delay_alu instid0(VALU_DEP_1) | instskip(SKIP_1) | instid1(VALU_DEP_2)
	v_bfe_u32 v57, v56, 16, 1
	v_cmp_u_f32_e64 s3, v56, v56
	v_add3_u32 v57, v57, v56, 0x7fff
	v_or_b32_e32 v56, 0x400000, v56
	s_wait_alu 0xf1ff
	s_delay_alu instid0(VALU_DEP_1) | instskip(SKIP_1) | instid1(VALU_DEP_1)
	v_cndmask_b32_e64 v56, v57, v56, s3
	v_cvt_f32_fp8_e32 v57, v179
	v_mul_f32_e32 v57, s41, v57
	s_delay_alu instid0(VALU_DEP_1) | instskip(SKIP_1) | instid1(VALU_DEP_2)
	v_bfe_u32 v58, v57, 16, 1
	v_cmp_u_f32_e64 s3, v57, v57
	v_add3_u32 v58, v58, v57, 0x7fff
	v_or_b32_e32 v57, 0x400000, v57
	s_wait_alu 0xf1ff
	s_delay_alu instid0(VALU_DEP_1) | instskip(SKIP_1) | instid1(VALU_DEP_1)
	v_cndmask_b32_e64 v57, v58, v57, s3
	v_cvt_f32_fp8_e32 v58, v174
	v_mul_f32_e32 v58, s41, v58
	;; [unrolled: 10-line block ×5, first 2 shown]
	s_delay_alu instid0(VALU_DEP_1) | instskip(SKIP_1) | instid1(VALU_DEP_2)
	v_bfe_u32 v62, v61, 16, 1
	v_cmp_u_f32_e64 s3, v61, v61
	v_add3_u32 v62, v62, v61, 0x7fff
	v_or_b32_e32 v61, 0x400000, v61
	s_wait_alu 0xf1ff
	s_delay_alu instid0(VALU_DEP_1) | instskip(SKIP_2) | instid1(VALU_DEP_2)
	v_cndmask_b32_e64 v61, v62, v61, s3
	v_bfe_u32 v62, v43, 16, 1
	v_cmp_u_f32_e64 s3, v43, v43
	v_add3_u32 v62, v62, v43, 0x7fff
	v_or_b32_e32 v43, 0x400000, v43
	s_wait_alu 0xf1ff
	s_delay_alu instid0(VALU_DEP_1) | instskip(SKIP_2) | instid1(VALU_DEP_2)
	v_cndmask_b32_e64 v43, v62, v43, s3
	;; [unrolled: 7-line block ×16, first 2 shown]
	v_bfe_u32 v62, v0, 16, 1
	v_cmp_u_f32_e64 s3, v0, v0
	v_add3_u32 v62, v62, v0, 0x7fff
	v_or_b32_e32 v0, 0x400000, v0
	s_wait_alu 0xf1ff
	s_delay_alu instid0(VALU_DEP_1) | instskip(SKIP_2) | instid1(VALU_DEP_3)
	v_cndmask_b32_e64 v0, v62, v0, s3
	v_bfe_u32 v62, v15, 16, 1
	v_cmp_u_f32_e64 s3, v15, v15
	v_and_b32_e32 v0, 0xffff0000, v0
	s_delay_alu instid0(VALU_DEP_3) | instskip(SKIP_2) | instid1(VALU_DEP_1)
	v_add3_u32 v62, v62, v15, 0x7fff
	v_or_b32_e32 v15, 0x400000, v15
	s_wait_alu 0xf1ff
	v_cndmask_b32_e64 v15, v62, v15, s3
	v_cvt_f32_fp8_e32 v62, v189
	s_delay_alu instid0(VALU_DEP_1) | instskip(NEXT) | instid1(VALU_DEP_1)
	v_mul_f32_e32 v62, s41, v62
	v_bfe_u32 v63, v62, 16, 1
	v_cmp_u_f32_e64 s3, v62, v62
	s_delay_alu instid0(VALU_DEP_2) | instskip(SKIP_2) | instid1(VALU_DEP_1)
	v_add3_u32 v63, v63, v62, 0x7fff
	v_or_b32_e32 v62, 0x400000, v62
	s_wait_alu 0xf1ff
	v_cndmask_b32_e64 v62, v63, v62, s3
	v_cvt_f32_fp8_e32 v63, v183
	s_delay_alu instid0(VALU_DEP_1) | instskip(NEXT) | instid1(VALU_DEP_1)
	v_mul_f32_e32 v63, s41, v63
	v_bfe_u32 v64, v63, 16, 1
	v_cmp_u_f32_e64 s3, v63, v63
	s_delay_alu instid0(VALU_DEP_2) | instskip(SKIP_2) | instid1(VALU_DEP_1)
	;; [unrolled: 10-line block ×46, first 2 shown]
	v_add3_u32 v64, v64, v63, 0x7fff
	v_or_b32_e32 v63, 0x400000, v63
	s_wait_alu 0xf1ff
	v_cndmask_b32_e64 v136, v64, v63, s3
	scratch_load_b32 v64, off, off offset:36 ; 4-byte Folded Reload
	v_bfe_u32 v63, v6, 16, 1
	v_cmp_u_f32_e64 s3, v6, v6
	s_delay_alu instid0(VALU_DEP_2) | instskip(SKIP_2) | instid1(VALU_DEP_1)
	v_add3_u32 v63, v63, v6, 0x7fff
	v_or_b32_e32 v6, 0x400000, v6
	s_wait_alu 0xf1ff
	v_cndmask_b32_e64 v6, v63, v6, s3
	v_and_b32_e32 v63, 0xffff0000, v181
	s_wait_loadcnt 0x0
	s_delay_alu instid0(VALU_DEP_1) | instskip(SKIP_4) | instid1(VALU_DEP_1)
	v_mul_f32_e32 v63, v64, v63
	scratch_load_b32 v64, off, off offset:4 ; 4-byte Folded Reload
	s_wait_loadcnt 0x0
	v_dual_fmac_f32 v63, v64, v5 :: v_dual_and_b32 v64, 0xffff0000, v135
	v_and_b32_e32 v5, 0xffff0000, v185
	v_mul_f32_e32 v5, v65, v5
	scratch_load_b32 v65, off, off offset:8 ; 4-byte Folded Reload
	s_wait_loadcnt 0x0
	v_dual_fmac_f32 v5, v65, v64 :: v_dual_and_b32 v64, 0xffff0000, v190
	s_delay_alu instid0(VALU_DEP_1)
	v_dual_mul_f32 v64, v66, v64 :: v_dual_and_b32 v65, 0xffff0000, v139
	scratch_load_b32 v66, off, off offset:12 ; 4-byte Folded Reload
	s_wait_loadcnt 0x0
	v_fmac_f32_e32 v64, v66, v65
	scratch_load_b32 v66, off, off offset:48 ; 4-byte Folded Reload
	s_wait_loadcnt 0x0
	v_dual_mul_f32 v8, v66, v8 :: v_dual_and_b32 v65, 0xffff0000, v142
	scratch_load_b32 v66, off, off offset:16 ; 4-byte Folded Reload
	s_wait_loadcnt 0x0
	v_fmac_f32_e32 v8, v66, v65
	scratch_load_b32 v66, off, off offset:52 ; 4-byte Folded Reload
	s_wait_loadcnt 0x0
	v_dual_mul_f32 v16, v66, v16 :: v_dual_and_b32 v65, 0xffff0000, v146
	scratch_load_b32 v66, off, off offset:20 ; 4-byte Folded Reload
	s_wait_loadcnt 0x0
	v_fmac_f32_e32 v16, v66, v65
	scratch_load_b32 v66, off, off offset:56 ; 4-byte Folded Reload
	v_and_b32_e32 v65, 0xffff0000, v150
	s_wait_loadcnt 0x0
	v_mul_f32_e32 v11, v66, v11
	scratch_load_b32 v66, off, off offset:24 ; 4-byte Folded Reload
	s_wait_loadcnt 0x0
	v_fmac_f32_e32 v11, v66, v65
	scratch_load_b32 v66, off, off offset:60 ; 4-byte Folded Reload
	s_wait_loadcnt 0x0
	v_dual_mul_f32 v14, v66, v14 :: v_dual_and_b32 v65, 0xffff0000, v153
	scratch_load_b32 v66, off, off offset:28 ; 4-byte Folded Reload
	s_wait_loadcnt 0x0
	v_fmac_f32_e32 v14, v66, v65
	scratch_load_b32 v66, off, off offset:64 ; 4-byte Folded Reload
	v_and_b32_e32 v65, 0xffff0000, v158
	s_wait_loadcnt 0x0
	v_mul_f32_e32 v19, v66, v19
	scratch_load_b32 v66, off, off offset:32 ; 4-byte Folded Reload
	s_wait_loadcnt 0x0
	v_fmac_f32_e32 v19, v66, v65
	scratch_load_b32 v65, off, off offset:68 ; 4-byte Folded Reload
	s_wait_loadcnt 0x0
	v_fmac_f32_e32 v63, v65, v24
	v_and_b32_e32 v24, 0xffff0000, v28
	scratch_load_b32 v28, off, off offset:72 ; 4-byte Folded Reload
	s_wait_loadcnt 0x0
	v_fmac_f32_e32 v5, v28, v24
	scratch_load_b32 v28, off, off offset:76 ; 4-byte Folded Reload
	v_and_b32_e32 v24, 0xffff0000, v32
	s_wait_loadcnt 0x0
	s_delay_alu instid0(VALU_DEP_1) | instskip(SKIP_3) | instid1(VALU_DEP_1)
	v_fmac_f32_e32 v64, v28, v24
	scratch_load_b32 v28, off, off offset:80 ; 4-byte Folded Reload
	v_and_b32_e32 v24, 0xffff0000, v34
	s_wait_loadcnt 0x0
	v_fmac_f32_e32 v8, v28, v24
	scratch_load_b32 v28, off, off offset:84 ; 4-byte Folded Reload
	v_and_b32_e32 v24, 0xffff0000, v38
	s_wait_loadcnt 0x0
	s_delay_alu instid0(VALU_DEP_1) | instskip(SKIP_3) | instid1(VALU_DEP_1)
	v_fmac_f32_e32 v16, v28, v24
	scratch_load_b32 v28, off, off offset:88 ; 4-byte Folded Reload
	v_and_b32_e32 v24, 0xffff0000, v42
	;; [unrolled: 9-line block ×9, first 2 shown]
	s_wait_loadcnt 0x0
	v_fmac_f32_e32 v8, v28, v24
	scratch_load_b32 v28, off, off offset:148 ; 4-byte Folded Reload
	v_and_b32_e32 v24, 0xffff0000, v30
	s_wait_loadcnt 0x0
	s_delay_alu instid0(VALU_DEP_1)
	v_fmac_f32_e32 v16, v28, v24
	v_and_b32_e32 v24, 0xffff0000, v26
	scratch_load_b32 v26, off, off offset:152 ; 4-byte Folded Reload
	s_wait_loadcnt 0x0
	v_fmac_f32_e32 v11, v26, v24
	scratch_load_b32 v24, off, off offset:156 ; 4-byte Folded Reload
	s_wait_loadcnt 0x0
	v_fmac_f32_e32 v14, v24, v22
	;; [unrolled: 3-line block ×5, first 2 shown]
	scratch_load_b32 v9, off, off offset:172 ; 4-byte Folded Reload
	v_and_b32_e32 v7, 0xffff0000, v56
	s_wait_loadcnt 0x0
	s_delay_alu instid0(VALU_DEP_1) | instskip(SKIP_3) | instid1(VALU_DEP_1)
	v_fmac_f32_e32 v64, v9, v7
	scratch_load_b32 v9, off, off offset:176 ; 4-byte Folded Reload
	v_and_b32_e32 v7, 0xffff0000, v57
	s_wait_loadcnt 0x0
	v_fmac_f32_e32 v8, v9, v7
	scratch_load_b32 v9, off, off offset:180 ; 4-byte Folded Reload
	v_and_b32_e32 v7, 0xffff0000, v58
	s_wait_loadcnt 0x0
	s_delay_alu instid0(VALU_DEP_1) | instskip(SKIP_3) | instid1(VALU_DEP_1)
	v_fmac_f32_e32 v16, v9, v7
	scratch_load_b32 v9, off, off offset:184 ; 4-byte Folded Reload
	v_and_b32_e32 v7, 0xffff0000, v59
	s_wait_loadcnt 0x0
	v_fmac_f32_e32 v11, v9, v7
	;; [unrolled: 9-line block ×6, first 2 shown]
	v_and_b32_e32 v7, 0xffff0000, v31
	s_delay_alu instid0(VALU_DEP_1) | instskip(NEXT) | instid1(VALU_DEP_1)
	v_dual_fmac_f32 v14, v67, v7 :: v_dual_and_b32 v7, 0xffff0000, v29
	v_fmac_f32_e32 v19, v68, v7
	v_and_b32_e32 v7, 0xffff0000, v27
	s_delay_alu instid0(VALU_DEP_2) | instskip(NEXT) | instid1(VALU_DEP_2)
	v_fmac_f32_e32 v19, v76, v0
	v_fmac_f32_e32 v63, v69, v7
	v_and_b32_e32 v7, 0xffff0000, v25
	v_and_b32_e32 v0, 0xffff0000, v15
	s_delay_alu instid0(VALU_DEP_2) | instskip(SKIP_1) | instid1(VALU_DEP_3)
	v_fmac_f32_e32 v5, v70, v7
	v_and_b32_e32 v7, 0xffff0000, v23
	v_dual_fmac_f32 v63, v77, v0 :: v_dual_and_b32 v0, 0xffff0000, v62
	s_delay_alu instid0(VALU_DEP_2) | instskip(NEXT) | instid1(VALU_DEP_2)
	v_dual_fmac_f32 v64, v71, v7 :: v_dual_and_b32 v7, 0xffff0000, v21
	v_dual_fmac_f32 v5, v78, v0 :: v_dual_and_b32 v0, 0xffff0000, v157
	s_delay_alu instid0(VALU_DEP_2) | instskip(NEXT) | instid1(VALU_DEP_2)
	v_dual_fmac_f32 v8, v72, v7 :: v_dual_and_b32 v7, 0xffff0000, v20
	v_fmac_f32_e32 v64, v79, v0
	v_and_b32_e32 v0, 0xffff0000, v163
	s_delay_alu instid0(VALU_DEP_3) | instskip(NEXT) | instid1(VALU_DEP_2)
	v_dual_fmac_f32 v16, v73, v7 :: v_dual_and_b32 v7, 0xffff0000, v12
	v_fmac_f32_e32 v8, v80, v0
	s_delay_alu instid0(VALU_DEP_2) | instskip(NEXT) | instid1(VALU_DEP_1)
	v_dual_fmac_f32 v11, v74, v7 :: v_dual_and_b32 v0, 0xffff0000, v168
	v_dual_fmac_f32 v16, v81, v0 :: v_dual_and_b32 v7, 0xffff0000, v10
	v_and_b32_e32 v0, 0xffff0000, v166
	s_delay_alu instid0(VALU_DEP_1) | instskip(SKIP_1) | instid1(VALU_DEP_1)
	v_dual_fmac_f32 v14, v75, v7 :: v_dual_fmac_f32 v11, v82, v0
	v_and_b32_e32 v0, 0xffff0000, v161
	v_fmac_f32_e32 v14, v83, v0
	v_and_b32_e32 v0, 0xffff0000, v154
	s_delay_alu instid0(VALU_DEP_1) | instskip(SKIP_1) | instid1(VALU_DEP_1)
	v_fmac_f32_e32 v19, v84, v0
	v_and_b32_e32 v0, 0xffff0000, v148
	v_dual_fmac_f32 v63, v85, v0 :: v_dual_and_b32 v0, 0xffff0000, v143
	s_delay_alu instid0(VALU_DEP_1) | instskip(NEXT) | instid1(VALU_DEP_1)
	v_dual_fmac_f32 v5, v86, v0 :: v_dual_and_b32 v0, 0xffff0000, v137
	v_fmac_f32_e32 v64, v87, v0
	v_and_b32_e32 v0, 0xffff0000, v134
	s_delay_alu instid0(VALU_DEP_1) | instskip(SKIP_1) | instid1(VALU_DEP_1)
	v_fmac_f32_e32 v8, v88, v0
	v_and_b32_e32 v0, 0xffff0000, v133
	v_fmac_f32_e32 v16, v89, v0
	v_and_b32_e32 v0, 0xffff0000, v132
	s_delay_alu instid0(VALU_DEP_1) | instskip(NEXT) | instid1(VALU_DEP_1)
	v_dual_fmac_f32 v11, v90, v0 :: v_dual_and_b32 v0, 0xffff0000, v131
	v_fmac_f32_e32 v14, v91, v0
	v_and_b32_e32 v0, 0xffff0000, v130
	s_delay_alu instid0(VALU_DEP_1) | instskip(NEXT) | instid1(VALU_DEP_1)
	v_dual_fmac_f32 v19, v92, v0 :: v_dual_and_b32 v0, 0xffff0000, v171
	v_dual_fmac_f32 v63, v93, v0 :: v_dual_and_b32 v0, 0xffff0000, v174
	s_delay_alu instid0(VALU_DEP_1) | instskip(NEXT) | instid1(VALU_DEP_1)
	v_dual_fmac_f32 v5, v94, v0 :: v_dual_and_b32 v0, 0xffff0000, v177
	v_fmac_f32_e32 v64, v95, v0
	v_and_b32_e32 v0, 0xffff0000, v179
	s_delay_alu instid0(VALU_DEP_1) | instskip(SKIP_1) | instid1(VALU_DEP_1)
	v_fmac_f32_e32 v8, v96, v0
	v_and_b32_e32 v0, 0xffff0000, v182
	v_fmac_f32_e32 v16, v97, v0
	v_and_b32_e32 v0, 0xffff0000, v180
	s_delay_alu instid0(VALU_DEP_1) | instskip(NEXT) | instid1(VALU_DEP_1)
	v_dual_fmac_f32 v11, v98, v0 :: v_dual_and_b32 v0, 0xffff0000, v178
	v_fmac_f32_e32 v14, v99, v0
	v_and_b32_e32 v0, 0xffff0000, v176
	s_delay_alu instid0(VALU_DEP_1) | instskip(NEXT) | instid1(VALU_DEP_1)
	v_dual_fmac_f32 v19, v100, v0 :: v_dual_and_b32 v0, 0xffff0000, v175
	v_dual_fmac_f32 v63, v101, v0 :: v_dual_and_b32 v0, 0xffff0000, v173
	s_delay_alu instid0(VALU_DEP_1) | instskip(SKIP_1) | instid1(VALU_DEP_1)
	v_fmac_f32_e32 v5, v102, v0
	v_and_b32_e32 v0, 0xffff0000, v172
	v_fmac_f32_e32 v64, v103, v0
	v_and_b32_e32 v0, 0xffff0000, v170
	s_delay_alu instid0(VALU_DEP_1) | instskip(SKIP_1) | instid1(VALU_DEP_1)
	v_fmac_f32_e32 v8, v104, v0
	v_and_b32_e32 v0, 0xffff0000, v169
	v_fmac_f32_e32 v16, v105, v0
	v_and_b32_e32 v0, 0xffff0000, v167
	s_delay_alu instid0(VALU_DEP_1) | instskip(NEXT) | instid1(VALU_DEP_1)
	v_dual_fmac_f32 v11, v106, v0 :: v_dual_and_b32 v0, 0xffff0000, v165
	v_fmac_f32_e32 v14, v107, v0
	v_and_b32_e32 v0, 0xffff0000, v164
	s_delay_alu instid0(VALU_DEP_1) | instskip(NEXT) | instid1(VALU_DEP_1)
	v_dual_fmac_f32 v19, v108, v0 :: v_dual_and_b32 v0, 0xffff0000, v162
	;; [unrolled: 4-line block ×3, first 2 shown]
	v_fmac_f32_e32 v64, v111, v0
	v_and_b32_e32 v0, 0xffff0000, v156
	s_delay_alu instid0(VALU_DEP_1) | instskip(SKIP_1) | instid1(VALU_DEP_1)
	v_fmac_f32_e32 v8, v112, v0
	v_and_b32_e32 v0, 0xffff0000, v147
	v_dual_fmac_f32 v63, v118, v0 :: v_dual_and_b32 v0, 0xffff0000, v145
	s_delay_alu instid0(VALU_DEP_1) | instskip(SKIP_1) | instid1(VALU_DEP_1)
	v_fmac_f32_e32 v5, v119, v0
	v_and_b32_e32 v0, 0xffff0000, v144
	v_fmac_f32_e32 v64, v120, v0
	s_delay_alu instid0(VALU_DEP_3) | instskip(NEXT) | instid1(VALU_DEP_1)
	v_dual_add_f32 v0, v63, v5 :: v_dual_and_b32 v5, 0xffff0000, v155
	v_add_f32_e32 v0, v0, v64
	s_delay_alu instid0(VALU_DEP_2) | instskip(SKIP_1) | instid1(VALU_DEP_1)
	v_fmac_f32_e32 v16, v113, v5
	v_and_b32_e32 v5, 0xffff0000, v141
	v_dual_fmac_f32 v8, v121, v5 :: v_dual_and_b32 v5, 0xffff0000, v152
	s_delay_alu instid0(VALU_DEP_1) | instskip(SKIP_1) | instid1(VALU_DEP_1)
	v_dual_add_f32 v0, v8, v0 :: v_dual_fmac_f32 v11, v114, v5
	v_and_b32_e32 v5, 0xffff0000, v140
	v_dual_fmac_f32 v16, v122, v5 :: v_dual_and_b32 v5, 0xffff0000, v151
	s_delay_alu instid0(VALU_DEP_1) | instskip(NEXT) | instid1(VALU_DEP_2)
	v_add_f32_e32 v0, v16, v0
	v_dual_fmac_f32 v14, v115, v5 :: v_dual_and_b32 v5, 0xffff0000, v138
	s_delay_alu instid0(VALU_DEP_1) | instskip(NEXT) | instid1(VALU_DEP_1)
	v_fmac_f32_e32 v11, v123, v5
	v_dual_add_f32 v0, v11, v0 :: v_dual_and_b32 v5, 0xffff0000, v149
	s_delay_alu instid0(VALU_DEP_1) | instskip(SKIP_1) | instid1(VALU_DEP_1)
	v_fmac_f32_e32 v19, v117, v5
	v_and_b32_e32 v5, 0xffff0000, v136
	v_dual_fmac_f32 v14, v124, v5 :: v_dual_and_b32 v5, 0xffff0000, v6
	s_delay_alu instid0(VALU_DEP_1) | instskip(SKIP_1) | instid1(VALU_DEP_2)
	v_dual_add_f32 v0, v14, v0 :: v_dual_fmac_f32 v19, v125, v5
	v_add_nc_u32_e32 v5, v126, v128
	v_add_f32_e32 v0, v19, v0
	s_delay_alu instid0(VALU_DEP_2) | instskip(NEXT) | instid1(VALU_DEP_1)
	v_cvt_f32_i32_e32 v5, v5
	v_mul_f32_e32 v5, s30, v5
	s_delay_alu instid0(VALU_DEP_1) | instskip(NEXT) | instid1(VALU_DEP_1)
	v_cndmask_b32_e32 v5, 0, v5, vcc_lo
	v_fmac_f32_e32 v5, s13, v0
	scratch_load_b32 v0, off, off           ; 4-byte Folded Reload
	s_wait_loadcnt 0x0
	v_add_nc_u32_e32 v0, v0, v128
	s_delay_alu instid0(VALU_DEP_1) | instskip(SKIP_1) | instid1(VALU_DEP_1)
	v_cmp_gt_i32_e64 s3, s34, v0
	v_max_num_f32_e32 v0, v116, v116
	v_max_num_f32_e32 v0, v0, v5
	s_wait_alu 0xf1ff
	s_delay_alu instid0(VALU_DEP_1)
	v_cndmask_b32_e64 v116, v116, v0, s3
	v_cndmask_b32_e64 v0, 0, v5, s3
	ds_store_b32 v127, v0
	s_branch .LBB353_11
.LBB353_16:
	s_or_b32 exec_lo, exec_lo, s29
	s_clause 0x1
	scratch_load_b32 v10, off, off offset:224
	scratch_load_b32 v23, off, off offset:228
	v_lshlrev_b32_e32 v36, 2, v18
.LBB353_17:
	s_or_b32 exec_lo, exec_lo, s12
	v_mbcnt_lo_u32_b32 v0, -1, 0
	s_clause 0x2
	s_load_b128 s[12:15], s[0:1], 0x0
	s_load_b64 s[8:9], s[0:1], 0x10
	s_load_b64 s[30:31], s[0:1], 0x28
	v_max_num_f32_e32 v4, v116, v116
	v_xor_b32_e32 v1, 16, v0
	v_xor_b32_e32 v3, 8, v0
	s_delay_alu instid0(VALU_DEP_2) | instskip(SKIP_2) | instid1(VALU_DEP_3)
	v_cmp_gt_i32_e32 vcc_lo, 32, v1
	s_wait_alu 0xfffd
	v_cndmask_b32_e32 v1, v0, v1, vcc_lo
	v_cmp_gt_i32_e32 vcc_lo, 32, v3
	s_delay_alu instid0(VALU_DEP_2)
	v_lshlrev_b32_e32 v1, 2, v1
	s_wait_alu 0xfffd
	v_cndmask_b32_e32 v3, v0, v3, vcc_lo
	ds_bpermute_b32 v2, v1, v116
	s_wait_dscnt 0x0
	v_dual_max_num_f32 v5, v2, v2 :: v_dual_lshlrev_b32 v2, 2, v3
	s_delay_alu instid0(VALU_DEP_1)
	v_max_num_f32_e32 v3, v4, v5
	v_xor_b32_e32 v5, 4, v0
	ds_bpermute_b32 v4, v2, v3
	v_cmp_gt_i32_e32 vcc_lo, 32, v5
	s_wait_alu 0xfffd
	v_cndmask_b32_e32 v5, v0, v5, vcc_lo
	s_wait_dscnt 0x0
	v_max_num_f32_e32 v6, v4, v4
	s_delay_alu instid0(VALU_DEP_1)
	v_dual_max_num_f32 v3, v3, v6 :: v_dual_lshlrev_b32 v4, 2, v5
	v_xor_b32_e32 v6, 2, v0
	ds_bpermute_b32 v5, v4, v3
	v_cmp_gt_i32_e32 vcc_lo, 32, v6
	s_wait_dscnt 0x0
	s_wait_alu 0xfffd
	v_dual_cndmask_b32 v6, v0, v6 :: v_dual_max_num_f32 v5, v5, v5
	s_delay_alu instid0(VALU_DEP_1) | instskip(SKIP_1) | instid1(VALU_DEP_1)
	v_lshlrev_b32_e32 v20, 2, v6
	v_xor_b32_e32 v6, 1, v0
	v_cmp_gt_i32_e32 vcc_lo, 32, v6
	s_wait_alu 0xfffd
	v_dual_max_num_f32 v3, v3, v5 :: v_dual_cndmask_b32 v6, v0, v6
	ds_bpermute_b32 v5, v20, v3
	v_lshlrev_b32_e32 v19, 2, v6
	s_wait_dscnt 0x0
	v_max_num_f32_e32 v5, v5, v5
	s_delay_alu instid0(VALU_DEP_1)
	v_max_num_f32_e32 v0, v3, v5
	scratch_load_b32 v5, off, off           ; 4-byte Folded Reload
	ds_bpermute_b32 v3, v19, v0
	s_wait_loadcnt 0x0
	v_cmp_eq_u32_e32 vcc_lo, 0, v5
	scratch_load_b32 v5, off, off offset:220 ; 4-byte Folded Reload
	s_wait_loadcnt 0x0
	v_lshlrev_b32_e32 v5, 2, v5
	s_and_saveexec_b32 s0, vcc_lo
	s_cbranch_execz .LBB353_19
; %bb.18:
	s_wait_dscnt 0x0
	v_dual_max_num_f32 v3, v3, v3 :: v_dual_max_num_f32 v0, v0, v0
	s_delay_alu instid0(VALU_DEP_1)
	v_max_num_f32_e32 v0, v0, v3
	ds_store_b32 v5, v0 offset:224
.LBB353_19:
	s_or_b32 exec_lo, exec_lo, s0
	scratch_load_b32 v0, off, off           ; 4-byte Folded Reload
	s_wait_storecnt 0x0
	s_wait_loadcnt_dscnt 0x0
	s_barrier_signal -1
	s_barrier_wait -1
	global_inv scope:SCOPE_SE
	v_cmp_gt_u32_e64 s0, 4, v0
	v_mov_b32_e32 v0, 0xff7fffff
	s_and_saveexec_b32 s1, s0
; %bb.20:
	ds_load_b32 v0, v23 offset:224
; %bb.21:
	s_or_b32 exec_lo, exec_lo, s1
	s_wait_dscnt 0x0
	ds_bpermute_b32 v3, v20, v0
	v_max_num_f32_e32 v0, v0, v0
	s_sub_co_i32 s1, s35, s40
	v_mov_b32_e32 v6, 0
	s_lshl_b32 s1, s1, 5
	s_delay_alu instid0(SALU_CYCLE_1) | instskip(NEXT) | instid1(SALU_CYCLE_1)
	s_add_co_i32 s1, s1, s37
	s_min_i32 s1, s1, s34
	s_delay_alu instid0(SALU_CYCLE_1) | instskip(SKIP_4) | instid1(VALU_DEP_1)
	s_sub_co_i32 s4, s1, s37
	s_wait_alu 0xfffe
	v_cmp_gt_i32_e64 s1, s4, v10
	s_wait_dscnt 0x0
	v_max_num_f32_e32 v3, v3, v3
	v_max_num_f32_e32 v0, v0, v3
	ds_bpermute_b32 v3, v19, v0
	s_wait_dscnt 0x0
	v_max_num_f32_e32 v3, v3, v3
	s_delay_alu instid0(VALU_DEP_1)
	v_max_num_f32_e32 v0, v0, v3
	v_lshl_add_u32 v3, v10, 2, 0x100
	ds_bpermute_b32 v0, v6, v0
	s_and_saveexec_b32 s18, s1
	s_cbranch_execz .LBB353_25
; %bb.22:
	v_lshl_add_u32 v7, v10, 2, 0x100
	v_mov_b32_e32 v6, 0
	v_mov_b32_e32 v8, v10
	s_mov_b32 s29, 0
.LBB353_23:                             ; =>This Inner Loop Header: Depth=1
	ds_load_b32 v9, v7
	v_add_nc_u32_e32 v8, 0x80, v8
	s_delay_alu instid0(VALU_DEP_1) | instskip(SKIP_4) | instid1(VALU_DEP_1)
	v_cmp_le_i32_e64 s3, s4, v8
	s_wait_alu 0xfffe
	s_or_b32 s29, s3, s29
	s_wait_dscnt 0x0
	v_sub_f32_e32 v9, v9, v0
	v_mul_f32_e32 v9, 0x3fb8aa3b, v9
	s_delay_alu instid0(VALU_DEP_1)
	v_exp_f32_e32 v9, v9
	ds_store_b32 v7, v9
	v_dual_add_f32 v6, v6, v9 :: v_dual_add_nc_u32 v7, 0x200, v7
	s_wait_alu 0xfffe
	s_and_not1_b32 exec_lo, exec_lo, s29
	s_cbranch_execnz .LBB353_23
; %bb.24:
	s_or_b32 exec_lo, exec_lo, s29
.LBB353_25:
	s_wait_alu 0xfffe
	s_or_b32 exec_lo, exec_lo, s18
	ds_bpermute_b32 v1, v1, v6
	s_wait_dscnt 0x0
	v_add_f32_e32 v1, v6, v1
	ds_bpermute_b32 v2, v2, v1
	s_wait_dscnt 0x0
	v_add_f32_e32 v1, v1, v2
	;; [unrolled: 3-line block ×5, first 2 shown]
	s_and_saveexec_b32 s3, vcc_lo
; %bb.26:
	ds_store_b32 v5, v1 offset:240
; %bb.27:
	s_wait_alu 0xfffe
	s_or_b32 exec_lo, exec_lo, s3
	s_wait_loadcnt_dscnt 0x0
	s_barrier_signal -1
	s_barrier_wait -1
	global_inv scope:SCOPE_SE
	s_and_saveexec_b32 s3, s0
; %bb.28:
	ds_load_b32 v1, v23 offset:240
; %bb.29:
	s_wait_alu 0xfffe
	s_or_b32 exec_lo, exec_lo, s3
	s_wait_dscnt 0x0
	ds_bpermute_b32 v2, v20, v1
	s_wait_dscnt 0x0
	v_add_f32_e32 v1, v1, v2
	ds_bpermute_b32 v2, v19, v1
	s_wait_dscnt 0x0
	v_dual_add_f32 v1, v1, v2 :: v_dual_mov_b32 v2, 0
	ds_bpermute_b32 v1, v2, v1
	s_and_saveexec_b32 s0, s1
	s_cbranch_execz .LBB353_32
; %bb.30:
	s_wait_dscnt 0x0
	v_add_f32_e32 v2, 0x358637bd, v1
	s_mov_b32 s1, 0
	s_delay_alu instid0(VALU_DEP_1) | instskip(SKIP_1) | instid1(VALU_DEP_2)
	v_div_scale_f32 v4, null, v2, v2, 1.0
	v_div_scale_f32 v7, vcc_lo, 1.0, v2, 1.0
	v_rcp_f32_e32 v5, v4
	s_delay_alu instid0(TRANS32_DEP_1) | instskip(NEXT) | instid1(VALU_DEP_1)
	v_fma_f32 v6, -v4, v5, 1.0
	v_fmac_f32_e32 v5, v6, v5
	s_delay_alu instid0(VALU_DEP_1) | instskip(NEXT) | instid1(VALU_DEP_1)
	v_mul_f32_e32 v6, v7, v5
	v_fma_f32 v8, -v4, v6, v7
	s_delay_alu instid0(VALU_DEP_1) | instskip(NEXT) | instid1(VALU_DEP_1)
	v_fmac_f32_e32 v6, v8, v5
	v_fma_f32 v4, -v4, v6, v7
	s_wait_alu 0xfffd
	s_delay_alu instid0(VALU_DEP_1) | instskip(NEXT) | instid1(VALU_DEP_1)
	v_div_fmas_f32 v4, v4, v5, v6
	v_div_fixup_f32 v2, v4, v2, 1.0
	v_mov_b32_e32 v4, v10
.LBB353_31:                             ; =>This Inner Loop Header: Depth=1
	ds_load_b32 v5, v3
	s_wait_dscnt 0x0
	v_dual_mul_f32 v5, v2, v5 :: v_dual_add_nc_u32 v4, 0x80, v4
	s_delay_alu instid0(VALU_DEP_1) | instskip(SKIP_3) | instid1(SALU_CYCLE_1)
	v_cmp_le_i32_e32 vcc_lo, s4, v4
	ds_store_b32 v3, v5
	v_add_nc_u32_e32 v3, 0x200, v3
	s_or_b32 s1, vcc_lo, s1
	s_and_not1_b32 exec_lo, exec_lo, s1
	s_cbranch_execnz .LBB353_31
.LBB353_32:
	s_or_b32 exec_lo, exec_lo, s0
	s_mul_i32 s0, s7, s19
	s_wait_loadcnt_dscnt 0x0
	s_mul_i32 s18, s0, s36
	s_mov_b32 s0, exec_lo
	s_barrier_signal -1
	s_barrier_wait -1
	global_inv scope:SCOPE_SE
	v_cmpx_eq_u32_e32 0, v10
	s_cbranch_execz .LBB353_34
; %bb.33:
	s_wait_alu 0xfffe
	s_ashr_i32 s19, s18, 31
	s_mul_i32 s36, s7, ttmp9
	s_lshl_b32 s1, s33, 2
	s_wait_alu 0xfffe
	s_lshl_b64 s[40:41], s[18:19], 2
	s_ashr_i32 s37, s36, 31
	v_mov_b32_e32 v2, s1
	s_wait_kmcnt 0x0
	s_wait_alu 0xfffe
	s_add_nc_u64 s[14:15], s[14:15], s[40:41]
	s_lshl_b64 s[36:37], s[36:37], 2
	s_add_nc_u64 s[12:13], s[12:13], s[40:41]
	s_wait_alu 0xfffe
	s_add_nc_u64 s[14:15], s[14:15], s[36:37]
	s_add_nc_u64 s[12:13], s[12:13], s[36:37]
	s_clause 0x1
	global_store_b32 v2, v0, s[14:15]
	global_store_b32 v2, v1, s[12:13]
.LBB353_34:
	s_or_b32 exec_lo, exec_lo, s0
	v_dual_mov_b32 v34, 0 :: v_dual_mov_b32 v169, v10
	v_dual_mov_b32 v32, 0 :: v_dual_and_b32 v21, 3, v10
	v_dual_mov_b32 v35, 0 :: v_dual_mov_b32 v30, 0
	v_dual_mov_b32 v33, 0 :: v_dual_mov_b32 v28, 0
	;; [unrolled: 1-line block ×5, first 2 shown]
	v_mov_b32_e32 v25, 0
	v_mov_b32_e32 v23, 0
	s_and_saveexec_b32 s1, s2
	s_cbranch_execz .LBB353_68
; %bb.35:
	s_abs_i32 s2, s6
	v_dual_mov_b32 v23, 0 :: v_dual_lshlrev_b32 v0, 3, v169
	s_wait_alu 0xfffe
	s_cvt_f32_u32 s0, s2
	s_wait_kmcnt 0x0
	s_lshl_b64 s[12:13], s[26:27], 2
	v_mov_b32_e32 v22, 0
	s_wait_alu 0xfffe
	s_add_nc_u64 s[12:13], s[24:25], s[12:13]
	v_rcp_iflag_f32_e32 v1, s0
	s_wait_alu 0xfffe
	v_add_co_u32 v9, s12, s12, v36
	v_dual_mov_b32 v27, 0 :: v_dual_and_b32 v36, 24, v0
	v_dual_mov_b32 v25, 0 :: v_dual_lshlrev_b32 v2, 5, v21
	s_ashr_i32 s29, s28, 31
	v_add_co_ci_u32_e64 v10, null, s13, 0, s12
	s_delay_alu instid0(TRANS32_DEP_1)
	v_readfirstlane_b32 s6, v1
	v_and_b32_e32 v1, 0xf8, v0
	scratch_load_b32 v0, off, off offset:220 ; 4-byte Folded Reload
	s_wait_alu 0xfffe
	s_add_nc_u64 s[14:15], s[30:31], s[28:29]
	s_sub_co_i32 s0, 0, s2
	s_mul_f32 s6, s6, 0x4f7ffffe
	v_dual_mov_b32 v26, 0 :: v_dual_mov_b32 v29, 0
	v_dual_mov_b32 v28, 0 :: v_dual_mov_b32 v31, 0
	s_delay_alu instid0(SALU_CYCLE_1) | instskip(SKIP_2) | instid1(VALU_DEP_1)
	s_cvt_u32_f32 s12, s6
	s_wait_alu 0xfffe
	v_add_co_u32 v11, s6, s14, v1
	v_add_co_ci_u32_e64 v12, null, s15, 0, s6
	s_mul_i32 s0, s0, s12
	v_dual_mov_b32 v30, 0 :: v_dual_mov_b32 v33, 0
	v_dual_mov_b32 v32, 0 :: v_dual_mov_b32 v35, 0
	v_mov_b32_e32 v34, 0
	s_wait_alu 0xfffe
	s_mul_hi_u32 s0, s12, s0
	s_sub_co_i32 s3, s39, s5
	s_mov_b32 s4, s17
	s_add_co_i32 s5, s38, -1
	s_mov_b32 s6, 0
	s_wait_alu 0xfffe
	s_add_co_i32 s12, s12, s0
	v_mov_b32_e32 v24, 0
	s_wait_loadcnt 0x0
	v_lshl_or_b32 v0, v0, 7, v2
	s_delay_alu instid0(VALU_DEP_1)
	v_add_nc_u32_e32 v37, 0x100, v0
	s_branch .LBB353_38
.LBB353_36:                             ;   in Loop: Header=BB353_38 Depth=1
	s_wait_alu 0xfffe
	s_or_b32 exec_lo, exec_lo, s0
	s_wait_dscnt 0x1
	v_bfe_u32 v78, v5, 16, 1
	v_or_b32_e32 v80, 0x400000, v5
	v_bfe_u32 v81, v6, 16, 1
	v_cmp_u_f32_e32 vcc_lo, v5, v5
	v_bfe_u32 v82, v7, 16, 1
	v_add3_u32 v78, v78, v5, 0x7fff
	v_or_b32_e32 v83, 0x400000, v6
	v_add3_u32 v81, v81, v6, 0x7fff
	v_or_b32_e32 v84, 0x400000, v7
	v_add3_u32 v82, v82, v7, 0x7fff
	s_wait_alu 0xfffd
	v_cndmask_b32_e32 v5, v78, v80, vcc_lo
	v_cmp_u_f32_e32 vcc_lo, v6, v6
	v_bfe_u32 v78, v8, 16, 1
	s_wait_dscnt 0x0
	v_bfe_u32 v80, v1, 16, 1
	v_lshlrev_b32_e32 v132, 16, v132
	v_lshlrev_b32_e32 v130, 16, v130
	s_wait_alu 0xfffd
	v_cndmask_b32_e32 v6, v81, v83, vcc_lo
	v_cmp_u_f32_e32 vcc_lo, v7, v7
	v_add3_u32 v78, v78, v8, 0x7fff
	v_or_b32_e32 v81, 0x400000, v8
	v_add3_u32 v80, v80, v1, 0x7fff
	v_bfe_u32 v83, v2, 16, 1
	s_wait_alu 0xfffd
	v_cndmask_b32_e32 v7, v82, v84, vcc_lo
	v_cmp_u_f32_e32 vcc_lo, v8, v8
	v_or_b32_e32 v82, 0x400000, v1
	v_lshlrev_b32_e32 v118, 16, v118
	v_lshlrev_b32_e32 v74, 16, v74
	;; [unrolled: 1-line block ×3, first 2 shown]
	s_wait_alu 0xfffd
	v_cndmask_b32_e32 v8, v78, v81, vcc_lo
	v_cmp_u_f32_e32 vcc_lo, v1, v1
	v_or_b32_e32 v81, 0x400000, v2
	v_and_b32_e32 v1, 0xffff0000, v6
	v_lshlrev_b32_e32 v16, 16, v16
	v_lshlrev_b32_e32 v62, 16, v62
	s_wait_alu 0xfffd
	v_cndmask_b32_e32 v78, v80, v82, vcc_lo
	v_add3_u32 v80, v83, v2, 0x7fff
	v_bfe_u32 v82, v3, 16, 1
	v_cmp_u_f32_e32 vcc_lo, v2, v2
	v_lshlrev_b32_e32 v54, 16, v54
	v_lshlrev_b32_e32 v46, 16, v46
	;; [unrolled: 1-line block ×3, first 2 shown]
	v_add3_u32 v2, v82, v3, 0x7fff
	s_wait_alu 0xfffd
	v_cndmask_b32_e32 v80, v80, v81, vcc_lo
	v_or_b32_e32 v81, 0x400000, v3
	v_cmp_u_f32_e32 vcc_lo, v3, v3
	v_lshlrev_b32_e32 v6, 16, v152
	v_bfe_u32 v82, v4, 16, 1
	v_lshlrev_b32_e32 v14, 16, v14
	s_wait_alu 0xfffd
	v_dual_cndmask_b32 v81, v2, v81 :: v_dual_lshlrev_b32 v72, 16, v72
	v_mul_f32_e32 v83, v1, v6
	v_add3_u32 v3, v82, v4, 0x7fff
	v_or_b32_e32 v82, 0x400000, v4
	v_and_b32_e32 v2, 0xffff0000, v8
	v_lshlrev_b32_e32 v8, 16, v150
	v_and_b32_e32 v6, 0xffff0000, v5
	v_bfe_u32 v84, v83, 16, 1
	v_cmp_u_f32_e32 vcc_lo, v4, v4
	v_lshlrev_b32_e32 v5, 16, v151
	v_dual_mul_f32 v85, v2, v8 :: v_dual_lshlrev_b32 v8, 16, v149
	v_lshlrev_b32_e32 v138, 16, v138
	s_wait_alu 0xfffd
	v_cndmask_b32_e32 v4, v3, v82, vcc_lo
	v_add3_u32 v3, v84, v83, 0x7fff
	v_or_b32_e32 v82, 0x400000, v83
	v_cmp_u_f32_e32 vcc_lo, v83, v83
	v_mul_f32_e32 v5, v6, v5
	v_bfe_u32 v92, v85, 16, 1
	v_and_b32_e32 v4, 0xffff0000, v4
	s_wait_alu 0xfffd
	v_dual_cndmask_b32 v82, v3, v82 :: v_dual_lshlrev_b32 v63, 16, v63
	v_bfe_u32 v84, v5, 16, 1
	v_cmp_u_f32_e32 vcc_lo, v5, v5
	v_and_b32_e32 v3, 0xffff0000, v80
	v_lshlrev_b32_e32 v68, 16, v68
	v_lshlrev_b32_e32 v117, 16, v117
	v_add3_u32 v83, v84, v5, 0x7fff
	v_or_b32_e32 v84, 0x400000, v5
	v_and_b32_e32 v7, 0xffff0000, v7
	v_add3_u32 v5, v92, v85, 0x7fff
	v_dual_mul_f32 v68, v6, v68 :: v_dual_lshlrev_b32 v95, 16, v95
	s_wait_alu 0xfffd
	v_cndmask_b32_e32 v80, v83, v84, vcc_lo
	v_mul_f32_e32 v149, v7, v8
	v_lshlrev_b32_e32 v8, 16, v148
	v_or_b32_e32 v83, 0x400000, v85
	v_cmp_u_f32_e32 vcc_lo, v85, v85
	v_and_b32_e32 v80, 0xffff0000, v80
	v_mul_f32_e32 v74, v7, v74
	v_mul_f32_e32 v92, v3, v8
	v_and_b32_e32 v8, 0xffff0000, v78
	v_bfe_u32 v84, v149, 16, 1
	v_lshlrev_b32_e32 v78, 16, v147
	s_wait_alu 0xfffd
	v_cndmask_b32_e32 v83, v5, v83, vcc_lo
	v_or_b32_e32 v85, 0x400000, v149
	v_and_b32_e32 v5, 0xffff0000, v81
	v_add3_u32 v84, v84, v149, 0x7fff
	v_bfe_u32 v147, v92, 16, 1
	v_mul_f32_e32 v78, v8, v78
	v_lshlrev_b32_e32 v146, 16, v146
	v_lshlrev_b32_e32 v81, 16, v145
	v_cmp_u_f32_e32 vcc_lo, v149, v149
	v_add3_u32 v145, v147, v92, 0x7fff
	v_or_b32_e32 v147, 0x400000, v92
	s_delay_alu instid0(VALU_DEP_4)
	v_dual_mul_f32 v146, v4, v146 :: v_dual_mul_f32 v81, v5, v81
	s_wait_alu 0xfffd
	v_dual_cndmask_b32 v84, v84, v85 :: v_dual_and_b32 v83, 0xffff0000, v83
	v_bfe_u32 v85, v78, 16, 1
	v_cmp_u_f32_e32 vcc_lo, v92, v92
	v_or_b32_e32 v148, 0x400000, v78
	v_bfe_u32 v150, v81, 16, 1
	v_bfe_u32 v149, v146, 16, 1
	v_add3_u32 v85, v85, v78, 0x7fff
	s_wait_alu 0xfffd
	v_cndmask_b32_e32 v92, v145, v147, vcc_lo
	v_cmp_u_f32_e32 vcc_lo, v78, v78
	v_add3_u32 v145, v150, v81, 0x7fff
	v_or_b32_e32 v147, 0x400000, v81
	v_and_b32_e32 v84, 0xffff0000, v84
	s_wait_alu 0xfffd
	v_dual_cndmask_b32 v78, v85, v148 :: v_dual_lshlrev_b32 v137, 16, v137
	v_cmp_u_f32_e32 vcc_lo, v81, v81
	v_and_b32_e32 v82, 0xffff0000, v82
	v_add3_u32 v85, v149, v146, 0x7fff
	v_or_b32_e32 v148, 0x400000, v146
	s_wait_alu 0xfffd
	v_dual_cndmask_b32 v81, v145, v147 :: v_dual_and_b32 v78, 0xffff0000, v78
	v_cmp_u_f32_e32 vcc_lo, v146, v146
	v_dual_mul_f32 v132, v3, v132 :: v_dual_lshlrev_b32 v133, 16, v133
	v_lshlrev_b32_e32 v129, 16, v129
	s_delay_alu instid0(VALU_DEP_4) | instskip(SKIP_4) | instid1(VALU_DEP_3)
	v_dual_add_f32 v80, v80, v82 :: v_dual_and_b32 v81, 0xffff0000, v81
	v_dual_add_f32 v82, v84, v83 :: v_dual_and_b32 v83, 0xffff0000, v92
	s_wait_alu 0xfffd
	v_dual_cndmask_b32 v84, v85, v148 :: v_dual_mul_f32 v133, v7, v133
	v_lshlrev_b32_e32 v92, 16, v141
	v_dual_mul_f32 v129, v5, v129 :: v_dual_add_f32 v78, v78, v83
	v_lshlrev_b32_e32 v83, 16, v144
	v_add_f32_e32 v80, v82, v80
	v_and_b32_e32 v82, 0xffff0000, v84
	v_lshlrev_b32_e32 v84, 16, v143
	v_lshlrev_b32_e32 v131, 16, v131
	s_delay_alu instid0(VALU_DEP_4) | instskip(NEXT) | instid1(VALU_DEP_4)
	v_dual_add_f32 v78, v78, v80 :: v_dual_lshlrev_b32 v15, 16, v15
	v_add_f32_e32 v80, v81, v82
	s_delay_alu instid0(VALU_DEP_4) | instskip(SKIP_2) | instid1(VALU_DEP_4)
	v_dual_mul_f32 v81, v1, v83 :: v_dual_mul_f32 v82, v6, v84
	v_lshlrev_b32_e32 v84, 16, v142
	v_mul_f32_e32 v16, v8, v16
	v_add_f32_e32 v78, v80, v78
	s_delay_alu instid0(VALU_DEP_4) | instskip(SKIP_2) | instid1(VALU_DEP_4)
	v_bfe_u32 v80, v81, 16, 1
	v_cmp_u_f32_e32 vcc_lo, v81, v81
	v_bfe_u32 v83, v82, 16, 1
	v_dual_mul_f32 v84, v2, v84 :: v_dual_add_f32 v23, v23, v78
	s_delay_alu instid0(VALU_DEP_4) | instskip(SKIP_1) | instid1(VALU_DEP_4)
	v_add3_u32 v78, v80, v81, 0x7fff
	v_or_b32_e32 v80, 0x400000, v81
	v_add3_u32 v83, v83, v82, 0x7fff
	v_or_b32_e32 v85, 0x400000, v82
	v_mul_f32_e32 v130, v4, v130
	v_lshlrev_b32_e32 v0, 16, v0
	s_wait_alu 0xfffd
	v_cndmask_b32_e32 v78, v78, v80, vcc_lo
	v_cmp_u_f32_e32 vcc_lo, v82, v82
	v_bfe_u32 v80, v84, 16, 1
	v_mul_f32_e32 v82, v7, v92
	v_lshlrev_b32_e32 v92, 16, v139
	s_wait_alu 0xfffd
	v_dual_cndmask_b32 v81, v83, v85 :: v_dual_and_b32 v78, 0xffff0000, v78
	v_lshlrev_b32_e32 v83, 16, v140
	v_add3_u32 v80, v80, v84, 0x7fff
	v_or_b32_e32 v85, 0x400000, v84
	v_bfe_u32 v139, v82, 16, 1
	v_cmp_u_f32_e32 vcc_lo, v84, v84
	v_dual_mul_f32 v83, v3, v83 :: v_dual_mul_f32 v84, v8, v92
	v_or_b32_e32 v92, 0x400000, v82
	v_and_b32_e32 v81, 0xffff0000, v81
	s_wait_alu 0xfffd
	v_cndmask_b32_e32 v80, v80, v85, vcc_lo
	v_add3_u32 v85, v139, v82, 0x7fff
	v_bfe_u32 v139, v83, 16, 1
	v_cmp_u_f32_e32 vcc_lo, v82, v82
	v_bfe_u32 v140, v84, 16, 1
	v_and_b32_e32 v80, 0xffff0000, v80
	v_dual_add_f32 v78, v81, v78 :: v_dual_lshlrev_b32 v125, 16, v125
	s_wait_alu 0xfffd
	v_cndmask_b32_e32 v82, v85, v92, vcc_lo
	v_add3_u32 v85, v139, v83, 0x7fff
	v_mul_f32_e32 v92, v4, v138
	v_or_b32_e32 v138, 0x400000, v83
	v_cmp_u_f32_e32 vcc_lo, v83, v83
	v_add3_u32 v139, v140, v84, 0x7fff
	v_or_b32_e32 v140, 0x400000, v84
	v_bfe_u32 v141, v92, 16, 1
	v_and_b32_e32 v82, 0xffff0000, v82
	s_wait_alu 0xfffd
	v_cndmask_b32_e32 v83, v85, v138, vcc_lo
	v_mul_f32_e32 v85, v5, v137
	v_cmp_u_f32_e32 vcc_lo, v84, v84
	v_add3_u32 v137, v141, v92, 0x7fff
	v_or_b32_e32 v138, 0x400000, v92
	v_dual_add_f32 v80, v82, v80 :: v_dual_mul_f32 v15, v4, v15
	s_wait_alu 0xfffd
	v_cndmask_b32_e32 v84, v139, v140, vcc_lo
	v_bfe_u32 v139, v85, 16, 1
	v_cmp_u_f32_e32 vcc_lo, v92, v92
	v_lshlrev_b32_e32 v82, 16, v136
	v_and_b32_e32 v83, 0xffff0000, v83
	v_dual_add_f32 v78, v80, v78 :: v_dual_and_b32 v81, 0xffff0000, v84
	s_wait_alu 0xfffd
	v_cndmask_b32_e32 v92, v137, v138, vcc_lo
	v_add3_u32 v137, v139, v85, 0x7fff
	v_or_b32_e32 v138, 0x400000, v85
	v_cmp_u_f32_e32 vcc_lo, v85, v85
	v_mul_f32_e32 v80, v1, v82
	v_add_f32_e32 v81, v81, v83
	v_lshlrev_b32_e32 v82, 16, v135
	s_wait_alu 0xfffd
	v_dual_cndmask_b32 v84, v137, v138 :: v_dual_lshlrev_b32 v119, 16, v119
	v_bfe_u32 v85, v80, 16, 1
	v_add_f32_e32 v78, v81, v78
	v_mul_f32_e32 v81, v6, v82
	v_lshlrev_b32_e32 v82, 16, v134
	v_and_b32_e32 v83, 0xffff0000, v84
	v_and_b32_e32 v84, 0xffff0000, v92
	v_cmp_u_f32_e32 vcc_lo, v80, v80
	v_bfe_u32 v92, v81, 16, 1
	v_mul_f32_e32 v82, v2, v82
	v_bfe_u32 v135, v130, 16, 1
	v_add_f32_e32 v83, v83, v84
	v_add3_u32 v84, v85, v80, 0x7fff
	v_or_b32_e32 v85, 0x400000, v80
	v_dual_mul_f32 v119, v3, v119 :: v_dual_mul_f32 v0, v5, v0
	s_delay_alu instid0(VALU_DEP_4)
	v_add_f32_e32 v78, v83, v78
	v_mul_f32_e32 v118, v8, v118
	s_wait_alu 0xfffd
	v_cndmask_b32_e32 v80, v84, v85, vcc_lo
	v_add3_u32 v84, v92, v81, 0x7fff
	v_or_b32_e32 v85, 0x400000, v81
	v_bfe_u32 v92, v82, 16, 1
	v_cmp_u_f32_e32 vcc_lo, v81, v81
	v_and_b32_e32 v80, 0xffff0000, v80
	v_add_f32_e32 v24, v24, v78
	v_lshlrev_b32_e32 v76, 16, v76
	s_wait_alu 0xfffd
	v_dual_mul_f32 v70, v5, v70 :: v_dual_cndmask_b32 v81, v84, v85
	v_add3_u32 v84, v92, v82, 0x7fff
	v_or_b32_e32 v85, 0x400000, v82
	v_bfe_u32 v92, v133, 16, 1
	v_cmp_u_f32_e32 vcc_lo, v82, v82
	v_dual_mul_f32 v62, v5, v62 :: v_dual_and_b32 v81, 0xffff0000, v81
	v_mul_f32_e32 v54, v5, v54
	v_mul_f32_e32 v46, v5, v46
	s_wait_alu 0xfffd
	v_cndmask_b32_e32 v82, v84, v85, vcc_lo
	v_add3_u32 v84, v92, v133, 0x7fff
	v_or_b32_e32 v85, 0x400000, v133
	v_mul_f32_e32 v92, v8, v131
	v_bfe_u32 v131, v132, 16, 1
	v_cmp_u_f32_e32 vcc_lo, v133, v133
	v_or_b32_e32 v133, 0x400000, v132
	v_and_b32_e32 v82, 0xffff0000, v82
	v_or_b32_e32 v134, 0x400000, v92
	v_add3_u32 v131, v131, v132, 0x7fff
	s_wait_alu 0xfffd
	v_cndmask_b32_e32 v84, v84, v85, vcc_lo
	v_bfe_u32 v85, v92, 16, 1
	v_cmp_u_f32_e32 vcc_lo, v132, v132
	v_bfe_u32 v132, v129, 16, 1
	v_add_f32_e32 v80, v81, v80
	v_and_b32_e32 v84, 0xffff0000, v84
	v_add3_u32 v85, v85, v92, 0x7fff
	s_wait_alu 0xfffd
	v_cndmask_b32_e32 v131, v131, v133, vcc_lo
	v_cmp_u_f32_e32 vcc_lo, v92, v92
	v_add3_u32 v132, v132, v129, 0x7fff
	v_add3_u32 v92, v135, v130, 0x7fff
	v_or_b32_e32 v133, 0x400000, v130
	v_add_f32_e32 v81, v84, v82
	s_wait_alu 0xfffd
	v_cndmask_b32_e32 v85, v85, v134, vcc_lo
	v_or_b32_e32 v134, 0x400000, v129
	v_cmp_u_f32_e32 vcc_lo, v129, v129
	v_and_b32_e32 v84, 0xffff0000, v131
	v_add_f32_e32 v80, v81, v80
	v_and_b32_e32 v82, 0xffff0000, v85
	v_mul_f32_e32 v38, v5, v38
	s_wait_alu 0xfffd
	v_cndmask_b32_e32 v85, v132, v134, vcc_lo
	v_cmp_u_f32_e32 vcc_lo, v130, v130
	v_mul_f32_e32 v72, v8, v72
	v_add_f32_e32 v81, v82, v84
	v_lshlrev_b32_e32 v82, 16, v128
	v_and_b32_e32 v84, 0xffff0000, v85
	s_wait_alu 0xfffd
	v_dual_cndmask_b32 v92, v92, v133 :: v_dual_lshlrev_b32 v85, 16, v127
	v_add_f32_e32 v80, v81, v80
	v_mul_f32_e32 v82, v1, v82
	v_lshlrev_b32_e32 v66, 16, v66
	s_delay_alu instid0(VALU_DEP_4) | instskip(SKIP_1) | instid1(VALU_DEP_4)
	v_dual_mul_f32 v81, v6, v85 :: v_dual_and_b32 v92, 0xffff0000, v92
	v_lshlrev_b32_e32 v64, 16, v64
	v_bfe_u32 v85, v82, 16, 1
	v_cmp_u_f32_e32 vcc_lo, v82, v82
	s_delay_alu instid0(VALU_DEP_4) | instskip(SKIP_2) | instid1(VALU_DEP_3)
	v_dual_add_f32 v83, v84, v92 :: v_dual_lshlrev_b32 v84, 16, v126
	v_bfe_u32 v78, v81, 16, 1
	v_or_b32_e32 v92, 0x400000, v81
	v_dual_add_f32 v80, v83, v80 :: v_dual_lshlrev_b32 v75, 16, v75
	s_delay_alu instid0(VALU_DEP_4)
	v_mul_f32_e32 v83, v2, v84
	v_add3_u32 v84, v85, v82, 0x7fff
	v_or_b32_e32 v85, 0x400000, v82
	v_add3_u32 v78, v78, v81, 0x7fff
	v_lshlrev_b32_e32 v79, 16, v79
	v_bfe_u32 v126, v83, 16, 1
	v_lshlrev_b32_e32 v116, 16, v116
	s_wait_alu 0xfffd
	v_cndmask_b32_e32 v82, v84, v85, vcc_lo
	v_cmp_u_f32_e32 vcc_lo, v81, v81
	v_mul_f32_e32 v81, v7, v125
	v_add3_u32 v84, v126, v83, 0x7fff
	v_or_b32_e32 v85, 0x400000, v83
	v_bfe_u32 v125, v16, 16, 1
	s_wait_alu 0xfffd
	v_cndmask_b32_e32 v78, v78, v92, vcc_lo
	v_lshlrev_b32_e32 v92, 16, v124
	v_cmp_u_f32_e32 vcc_lo, v83, v83
	v_bfe_u32 v124, v81, 16, 1
	v_bfe_u32 v126, v15, 16, 1
	v_and_b32_e32 v78, 0xffff0000, v78
	s_wait_alu 0xfffd
	v_dual_cndmask_b32 v83, v84, v85 :: v_dual_and_b32 v82, 0xffff0000, v82
	v_mul_f32_e32 v84, v3, v92
	v_add3_u32 v85, v124, v81, 0x7fff
	v_or_b32_e32 v92, 0x400000, v81
	v_cmp_u_f32_e32 vcc_lo, v81, v81
	v_and_b32_e32 v83, 0xffff0000, v83
	v_bfe_u32 v124, v84, 16, 1
	v_add_f32_e32 v78, v78, v82
	s_wait_alu 0xfffd
	v_dual_cndmask_b32 v81, v85, v92 :: v_dual_lshlrev_b32 v82, 16, v123
	v_or_b32_e32 v92, 0x400000, v84
	v_add3_u32 v85, v124, v84, 0x7fff
	v_cmp_u_f32_e32 vcc_lo, v84, v84
	v_add3_u32 v124, v125, v16, 0x7fff
	v_or_b32_e32 v125, 0x400000, v16
	v_and_b32_e32 v81, 0xffff0000, v81
	v_mul_f32_e32 v79, v5, v79
	s_wait_alu 0xfffd
	v_cndmask_b32_e32 v84, v85, v92, vcc_lo
	v_cmp_u_f32_e32 vcc_lo, v16, v16
	v_add3_u32 v85, v126, v15, 0x7fff
	v_or_b32_e32 v92, 0x400000, v15
	v_add_f32_e32 v81, v81, v83
	s_wait_alu 0xfffd
	v_dual_cndmask_b32 v16, v124, v125 :: v_dual_and_b32 v83, 0xffff0000, v84
	v_cmp_u_f32_e32 vcc_lo, v15, v15
	v_mul_f32_e32 v116, v5, v116
	v_add_f32_e32 v78, v81, v78
	s_delay_alu instid0(VALU_DEP_4)
	v_dual_mul_f32 v81, v1, v82 :: v_dual_and_b32 v16, 0xffff0000, v16
	s_wait_alu 0xfffd
	v_cndmask_b32_e32 v15, v85, v92, vcc_lo
	v_bfe_u32 v85, v0, 16, 1
	v_lshlrev_b32_e32 v82, 16, v122
	v_cmp_u_f32_e32 vcc_lo, v0, v0
	v_add_f32_e32 v16, v16, v83
	v_bfe_u32 v83, v81, 16, 1
	v_add3_u32 v84, v85, v0, 0x7fff
	v_or_b32_e32 v85, 0x400000, v0
	v_lshlrev_b32_e32 v92, 16, v120
	v_add_f32_e32 v16, v16, v78
	v_mul_f32_e32 v78, v6, v82
	v_lshlrev_b32_e32 v82, 16, v121
	s_wait_alu 0xfffd
	v_cndmask_b32_e32 v0, v84, v85, vcc_lo
	v_add3_u32 v83, v83, v81, 0x7fff
	v_or_b32_e32 v84, 0x400000, v81
	v_bfe_u32 v85, v78, 16, 1
	v_mul_f32_e32 v82, v2, v82
	v_cmp_u_f32_e32 vcc_lo, v81, v81
	v_mul_f32_e32 v92, v7, v92
	v_and_b32_e32 v0, 0xffff0000, v0
	v_or_b32_e32 v120, 0x400000, v118
	v_bfe_u32 v122, v116, 16, 1
	s_wait_alu 0xfffd
	v_cndmask_b32_e32 v81, v83, v84, vcc_lo
	v_add3_u32 v83, v85, v78, 0x7fff
	v_or_b32_e32 v84, 0x400000, v78
	v_bfe_u32 v85, v82, 16, 1
	v_cmp_u_f32_e32 vcc_lo, v78, v78
	v_and_b32_e32 v15, 0xffff0000, v15
	v_and_b32_e32 v81, 0xffff0000, v81
	v_lshlrev_b32_e32 v73, 16, v73
	s_wait_alu 0xfffd
	v_dual_cndmask_b32 v78, v83, v84 :: v_dual_lshlrev_b32 v77, 16, v77
	v_add3_u32 v83, v85, v82, 0x7fff
	v_or_b32_e32 v84, 0x400000, v82
	v_bfe_u32 v85, v92, 16, 1
	v_cmp_u_f32_e32 vcc_lo, v82, v82
	v_add_f32_e32 v0, v0, v15
	v_dual_mul_f32 v75, v2, v75 :: v_dual_and_b32 v78, 0xffff0000, v78
	v_mul_f32_e32 v73, v3, v73
	s_wait_alu 0xfffd
	v_cndmask_b32_e32 v82, v83, v84, vcc_lo
	v_add3_u32 v83, v85, v92, 0x7fff
	v_or_b32_e32 v84, 0x400000, v92
	v_bfe_u32 v85, v119, 16, 1
	v_cmp_u_f32_e32 vcc_lo, v92, v92
	v_mul_f32_e32 v92, v4, v117
	v_or_b32_e32 v117, 0x400000, v119
	v_and_b32_e32 v82, 0xffff0000, v82
	v_add3_u32 v85, v85, v119, 0x7fff
	s_wait_alu 0xfffd
	v_cndmask_b32_e32 v83, v83, v84, vcc_lo
	v_bfe_u32 v84, v118, 16, 1
	v_cmp_u_f32_e32 vcc_lo, v119, v119
	v_bfe_u32 v121, v92, 16, 1
	v_or_b32_e32 v119, 0x400000, v116
	v_and_b32_e32 v83, 0xffff0000, v83
	v_add3_u32 v84, v84, v118, 0x7fff
	s_wait_alu 0xfffd
	v_cndmask_b32_e32 v85, v85, v117, vcc_lo
	v_cmp_u_f32_e32 vcc_lo, v118, v118
	v_add3_u32 v118, v122, v116, 0x7fff
	v_add3_u32 v117, v121, v92, 0x7fff
	v_add_f32_e32 v0, v0, v16
	v_dual_add_f32 v78, v78, v81 :: v_dual_lshlrev_b32 v71, 16, v71
	s_wait_alu 0xfffd
	v_cndmask_b32_e32 v84, v84, v120, vcc_lo
	v_cmp_u_f32_e32 vcc_lo, v116, v116
	v_or_b32_e32 v120, 0x400000, v92
	v_add_f32_e32 v81, v83, v82
	v_and_b32_e32 v83, 0xffff0000, v85
	v_and_b32_e32 v82, 0xffff0000, v84
	s_wait_alu 0xfffd
	v_cndmask_b32_e32 v116, v118, v119, vcc_lo
	v_cmp_u_f32_e32 vcc_lo, v92, v92
	v_dual_add_f32 v78, v81, v78 :: v_dual_mul_f32 v71, v4, v71
	s_delay_alu instid0(VALU_DEP_3)
	v_dual_add_f32 v81, v82, v83 :: v_dual_and_b32 v82, 0xffff0000, v116
	s_wait_alu 0xfffd
	v_cndmask_b32_e32 v84, v117, v120, vcc_lo
	v_lshlrev_b32_e32 v15, 16, v108
	v_add_f32_e32 v25, v25, v80
	v_add_f32_e32 v78, v81, v78
	;; [unrolled: 1-line block ×3, first 2 shown]
	v_and_b32_e32 v83, 0xffff0000, v84
	v_dual_mul_f32 v15, v6, v15 :: v_dual_lshlrev_b32 v84, 16, v109
	v_lshlrev_b32_e32 v69, 16, v69
	v_lshlrev_b32_e32 v80, 16, v107
	s_delay_alu instid0(VALU_DEP_3) | instskip(NEXT) | instid1(VALU_DEP_4)
	v_dual_add_f32 v81, v82, v83 :: v_dual_mul_f32 v82, v1, v84
	v_bfe_u32 v0, v15, 16, 1
	v_lshlrev_b32_e32 v83, 16, v106
	v_mul_f32_e32 v69, v1, v69
	s_delay_alu instid0(VALU_DEP_4)
	v_add_f32_e32 v16, v81, v78
	v_bfe_u32 v78, v82, 16, 1
	v_cmp_u_f32_e32 vcc_lo, v82, v82
	v_add3_u32 v0, v0, v15, 0x7fff
	v_mul_f32_e32 v80, v2, v80
	v_add_f32_e32 v27, v27, v16
	v_add3_u32 v16, v78, v82, 0x7fff
	v_or_b32_e32 v78, 0x400000, v82
	v_or_b32_e32 v81, 0x400000, v15
	v_or_b32_e32 v82, 0x400000, v80
	v_lshlrev_b32_e32 v85, 16, v103
	s_wait_alu 0xfffd
	v_dual_cndmask_b32 v16, v16, v78 :: v_dual_lshlrev_b32 v67, 16, v67
	v_cmp_u_f32_e32 vcc_lo, v15, v15
	v_bfe_u32 v78, v80, 16, 1
	v_mul_f32_e32 v15, v7, v83
	v_lshlrev_b32_e32 v83, 16, v104
	v_dual_mul_f32 v63, v4, v63 :: v_dual_and_b32 v16, 0xffff0000, v16
	s_wait_alu 0xfffd
	v_cndmask_b32_e32 v0, v0, v81, vcc_lo
	v_lshlrev_b32_e32 v81, 16, v105
	v_add3_u32 v78, v78, v80, 0x7fff
	v_bfe_u32 v84, v15, 16, 1
	v_cmp_u_f32_e32 vcc_lo, v80, v80
	s_delay_alu instid0(VALU_DEP_4)
	v_dual_mul_f32 v80, v8, v83 :: v_dual_mul_f32 v81, v3, v81
	v_or_b32_e32 v83, 0x400000, v15
	s_wait_alu 0xfffd
	v_dual_cndmask_b32 v78, v78, v82 :: v_dual_lshlrev_b32 v65, 16, v65
	v_add3_u32 v82, v84, v15, 0x7fff
	v_bfe_u32 v84, v81, 16, 1
	v_cmp_u_f32_e32 vcc_lo, v15, v15
	v_bfe_u32 v92, v80, 16, 1
	v_dual_mul_f32 v65, v3, v65 :: v_dual_and_b32 v0, 0xffff0000, v0
	s_wait_alu 0xfffd
	v_dual_cndmask_b32 v15, v82, v83 :: v_dual_and_b32 v78, 0xffff0000, v78
	v_add3_u32 v82, v84, v81, 0x7fff
	v_or_b32_e32 v84, 0x400000, v81
	v_cmp_u_f32_e32 vcc_lo, v81, v81
	v_mul_f32_e32 v83, v4, v85
	v_add3_u32 v85, v92, v80, 0x7fff
	v_lshlrev_b32_e32 v92, 16, v102
	v_or_b32_e32 v102, 0x400000, v80
	s_wait_alu 0xfffd
	v_cndmask_b32_e32 v81, v82, v84, vcc_lo
	v_cmp_u_f32_e32 vcc_lo, v80, v80
	v_bfe_u32 v103, v83, 16, 1
	v_dual_mul_f32 v82, v5, v92 :: v_dual_mul_f32 v67, v2, v67
	s_wait_alu 0xfffd
	v_dual_cndmask_b32 v80, v85, v102 :: v_dual_and_b32 v15, 0xffff0000, v15
	s_delay_alu instid0(VALU_DEP_3)
	v_add3_u32 v84, v103, v83, 0x7fff
	v_or_b32_e32 v85, 0x400000, v83
	v_bfe_u32 v92, v82, 16, 1
	v_cmp_u_f32_e32 vcc_lo, v83, v83
	v_dual_add_f32 v0, v0, v16 :: v_dual_add_f32 v15, v15, v78
	v_lshlrev_b32_e32 v78, 16, v101
	v_lshlrev_b32_e32 v61, 16, v61
	s_wait_alu 0xfffd
	v_cndmask_b32_e32 v83, v84, v85, vcc_lo
	v_add3_u32 v84, v92, v82, 0x7fff
	v_or_b32_e32 v85, 0x400000, v82
	v_dual_mul_f32 v61, v1, v61 :: v_dual_and_b32 v16, 0xffff0000, v80
	v_and_b32_e32 v80, 0xffff0000, v81
	v_cmp_u_f32_e32 vcc_lo, v82, v82
	v_dual_add_f32 v0, v15, v0 :: v_dual_mul_f32 v15, v1, v78
	v_lshlrev_b32_e32 v78, 16, v100
	s_delay_alu instid0(VALU_DEP_4) | instskip(SKIP_3) | instid1(VALU_DEP_3)
	v_dual_add_f32 v16, v16, v80 :: v_dual_lshlrev_b32 v59, 16, v59
	s_wait_alu 0xfffd
	v_cndmask_b32_e32 v81, v84, v85, vcc_lo
	v_bfe_u32 v82, v15, 16, 1
	v_dual_add_f32 v0, v16, v0 :: v_dual_lshlrev_b32 v57, 16, v57
	s_delay_alu instid0(VALU_DEP_3) | instskip(SKIP_1) | instid1(VALU_DEP_3)
	v_dual_mul_f32 v59, v2, v59 :: v_dual_and_b32 v80, 0xffff0000, v81
	v_dual_mul_f32 v16, v6, v78 :: v_dual_and_b32 v81, 0xffff0000, v83
	v_dual_mul_f32 v57, v3, v57 :: v_dual_lshlrev_b32 v78, 16, v99
	v_cmp_u_f32_e32 vcc_lo, v15, v15
	s_delay_alu instid0(VALU_DEP_3)
	v_add_f32_e32 v80, v80, v81
	v_add3_u32 v81, v82, v15, 0x7fff
	v_or_b32_e32 v82, 0x400000, v15
	v_bfe_u32 v83, v16, 16, 1
	v_dual_mul_f32 v78, v2, v78 :: v_dual_lshlrev_b32 v55, 16, v55
	v_lshlrev_b32_e32 v84, 16, v98
	s_wait_alu 0xfffd
	v_cndmask_b32_e32 v15, v81, v82, vcc_lo
	v_add3_u32 v81, v83, v16, 0x7fff
	v_or_b32_e32 v82, 0x400000, v16
	v_bfe_u32 v83, v78, 16, 1
	v_lshlrev_b32_e32 v85, 16, v97
	v_cmp_u_f32_e32 vcc_lo, v16, v16
	v_dual_mul_f32 v55, v4, v55 :: v_dual_mul_f32 v84, v7, v84
	s_delay_alu instid0(VALU_DEP_3)
	v_dual_mul_f32 v85, v3, v85 :: v_dual_lshlrev_b32 v92, 16, v96
	s_wait_alu 0xfffd
	v_cndmask_b32_e32 v16, v81, v82, vcc_lo
	v_add3_u32 v81, v83, v78, 0x7fff
	v_or_b32_e32 v82, 0x400000, v78
	v_bfe_u32 v83, v84, 16, 1
	v_cmp_u_f32_e32 vcc_lo, v78, v78
	v_lshlrev_b32_e32 v53, 16, v53
	v_lshlrev_b32_e32 v94, 16, v94
	v_and_b32_e32 v15, 0xffff0000, v15
	s_wait_alu 0xfffd
	v_dual_cndmask_b32 v78, v81, v82 :: v_dual_lshlrev_b32 v51, 16, v51
	v_add3_u32 v81, v83, v84, 0x7fff
	v_mul_f32_e32 v83, v8, v92
	v_bfe_u32 v92, v85, 16, 1
	v_or_b32_e32 v82, 0x400000, v84
	v_cmp_u_f32_e32 vcc_lo, v84, v84
	v_mul_f32_e32 v53, v1, v53
	v_mul_f32_e32 v94, v5, v94
	v_add3_u32 v84, v92, v85, 0x7fff
	s_wait_alu 0xfffd
	v_dual_mul_f32 v92, v4, v95 :: v_dual_cndmask_b32 v81, v81, v82
	v_bfe_u32 v82, v83, 16, 1
	v_or_b32_e32 v95, 0x400000, v85
	v_cmp_u_f32_e32 vcc_lo, v85, v85
	v_or_b32_e32 v96, 0x400000, v83
	v_bfe_u32 v85, v94, 16, 1
	v_add3_u32 v82, v82, v83, 0x7fff
	v_bfe_u32 v97, v92, 16, 1
	s_wait_alu 0xfffd
	v_cndmask_b32_e32 v84, v84, v95, vcc_lo
	v_cmp_u_f32_e32 vcc_lo, v83, v83
	v_dual_mul_f32 v51, v2, v51 :: v_dual_and_b32 v16, 0xffff0000, v16
	v_and_b32_e32 v81, 0xffff0000, v81
	v_and_b32_e32 v78, 0xffff0000, v78
	s_wait_alu 0xfffd
	v_cndmask_b32_e32 v82, v82, v96, vcc_lo
	v_add3_u32 v85, v85, v94, 0x7fff
	v_or_b32_e32 v96, 0x400000, v94
	v_cmp_u_f32_e32 vcc_lo, v94, v94
	v_add3_u32 v83, v97, v92, 0x7fff
	v_or_b32_e32 v95, 0x400000, v92
	v_dual_add_f32 v15, v16, v15 :: v_dual_add_f32 v16, v81, v78
	v_lshlrev_b32_e32 v49, 16, v49
	v_and_b32_e32 v78, 0xffff0000, v82
	v_and_b32_e32 v81, 0xffff0000, v84
	s_wait_alu 0xfffd
	v_dual_cndmask_b32 v82, v85, v96 :: v_dual_lshlrev_b32 v47, 16, v47
	v_cmp_u_f32_e32 vcc_lo, v92, v92
	v_add_f32_e32 v15, v16, v15
	v_mul_f32_e32 v49, v3, v49
	s_delay_alu instid0(VALU_DEP_4) | instskip(SKIP_4) | instid1(VALU_DEP_3)
	v_dual_add_f32 v16, v78, v81 :: v_dual_mul_f32 v47, v4, v47
	s_wait_alu 0xfffd
	v_dual_cndmask_b32 v83, v83, v95 :: v_dual_lshlrev_b32 v78, 16, v93
	v_and_b32_e32 v81, 0xffff0000, v82
	v_lshlrev_b32_e32 v82, 16, v91
	v_dual_add_f32 v0, v80, v0 :: v_dual_and_b32 v83, 0xffff0000, v83
	s_delay_alu instid0(VALU_DEP_4) | instskip(NEXT) | instid1(VALU_DEP_3)
	v_dual_mul_f32 v78, v1, v78 :: v_dual_add_f32 v15, v16, v15
	v_dual_mul_f32 v16, v6, v82 :: v_dual_lshlrev_b32 v45, 16, v45
	s_delay_alu instid0(VALU_DEP_3) | instskip(NEXT) | instid1(VALU_DEP_3)
	v_dual_add_f32 v80, v81, v83 :: v_dual_lshlrev_b32 v81, 16, v90
	v_bfe_u32 v82, v78, 16, 1
	s_delay_alu instid0(VALU_DEP_3) | instskip(NEXT) | instid1(VALU_DEP_4)
	v_dual_add_f32 v28, v28, v0 :: v_dual_mul_f32 v45, v1, v45
	v_bfe_u32 v0, v16, 16, 1
	s_delay_alu instid0(VALU_DEP_4)
	v_dual_add_f32 v15, v80, v15 :: v_dual_mul_f32 v80, v2, v81
	v_lshlrev_b32_e32 v43, 16, v43
	v_add3_u32 v81, v82, v78, 0x7fff
	v_or_b32_e32 v82, 0x400000, v78
	v_cmp_u_f32_e32 vcc_lo, v78, v78
	v_add3_u32 v0, v0, v16, 0x7fff
	v_or_b32_e32 v83, 0x400000, v16
	v_bfe_u32 v84, v80, 16, 1
	s_wait_alu 0xfffd
	v_dual_cndmask_b32 v78, v81, v82 :: v_dual_lshlrev_b32 v85, 16, v89
	v_mul_f32_e32 v43, v2, v43
	v_cmp_u_f32_e32 vcc_lo, v16, v16
	v_add3_u32 v81, v84, v80, 0x7fff
	s_delay_alu instid0(VALU_DEP_4)
	v_mul_f32_e32 v16, v7, v85
	v_or_b32_e32 v82, 0x400000, v80
	s_wait_alu 0xfffd
	v_dual_cndmask_b32 v0, v0, v83 :: v_dual_lshlrev_b32 v41, 16, v41
	v_lshlrev_b32_e32 v83, 16, v88
	v_cmp_u_f32_e32 vcc_lo, v80, v80
	s_delay_alu instid0(VALU_DEP_3) | instskip(SKIP_3) | instid1(VALU_DEP_3)
	v_dual_mul_f32 v41, v3, v41 :: v_dual_lshlrev_b32 v84, 16, v87
	v_bfe_u32 v85, v16, 16, 1
	s_wait_alu 0xfffd
	v_dual_cndmask_b32 v80, v81, v82 :: v_dual_lshlrev_b32 v39, 16, v39
	v_dual_mul_f32 v81, v3, v83 :: v_dual_mul_f32 v82, v8, v84
	s_delay_alu instid0(VALU_DEP_3) | instskip(SKIP_2) | instid1(VALU_DEP_4)
	v_add3_u32 v83, v85, v16, 0x7fff
	v_or_b32_e32 v84, 0x400000, v16
	v_lshlrev_b32_e32 v85, 16, v86
	v_bfe_u32 v86, v81, 16, 1
	v_cmp_u_f32_e32 vcc_lo, v16, v16
	v_bfe_u32 v87, v82, 16, 1
	v_and_b32_e32 v0, 0xffff0000, v0
	v_and_b32_e32 v78, 0xffff0000, v78
	v_and_b32_e32 v80, 0xffff0000, v80
	s_wait_alu 0xfffd
	v_dual_cndmask_b32 v16, v83, v84 :: v_dual_mul_f32 v39, v4, v39
	v_mul_f32_e32 v83, v4, v85
	v_add3_u32 v84, v86, v81, 0x7fff
	v_or_b32_e32 v85, 0x400000, v81
	v_cmp_u_f32_e32 vcc_lo, v81, v81
	v_add3_u32 v86, v87, v82, 0x7fff
	v_or_b32_e32 v87, 0x400000, v82
	v_bfe_u32 v88, v83, 16, 1
	s_wait_alu 0xfffd
	v_dual_cndmask_b32 v81, v84, v85 :: v_dual_and_b32 v16, 0xffff0000, v16
	v_cmp_u_f32_e32 vcc_lo, v82, v82
	v_or_b32_e32 v85, 0x400000, v83
	v_add3_u32 v84, v88, v83, 0x7fff
	v_add_f32_e32 v0, v0, v78
	v_add_f32_e32 v16, v16, v80
	s_wait_alu 0xfffd
	v_cndmask_b32_e32 v82, v86, v87, vcc_lo
	v_cmp_u_f32_e32 vcc_lo, v83, v83
	v_dual_mul_f32 v5, v5, v14 :: v_dual_and_b32 v80, 0xffff0000, v81
	v_add_f32_e32 v0, v16, v0
	s_wait_alu 0xfffd
	v_dual_cndmask_b32 v83, v84, v85 :: v_dual_and_b32 v78, 0xffff0000, v82
	v_bfe_u32 v84, v79, 16, 1
	v_or_b32_e32 v82, 0x400000, v79
	v_mul_f32_e32 v16, v1, v77
	v_cmp_u_f32_e32 vcc_lo, v79, v79
	v_add_f32_e32 v77, v78, v80
	v_add3_u32 v81, v84, v79, 0x7fff
	v_mul_f32_e32 v76, v6, v76
	v_bfe_u32 v79, v16, 16, 1
	v_bfe_u32 v84, v70, 16, 1
	v_add_f32_e32 v0, v77, v0
	s_wait_alu 0xfffd
	v_cndmask_b32_e32 v78, v81, v82, vcc_lo
	v_bfe_u32 v80, v76, 16, 1
	v_cmp_u_f32_e32 vcc_lo, v16, v16
	v_or_b32_e32 v81, 0x400000, v72
	v_bfe_u32 v82, v71, 16, 1
	v_and_b32_e32 v77, 0xffff0000, v78
	v_add3_u32 v78, v79, v16, 0x7fff
	v_or_b32_e32 v79, 0x400000, v16
	v_lshlrev_b32_e32 v13, 16, v13
	v_dual_add_f32 v29, v29, v15 :: v_dual_mul_f32 v66, v7, v66
	v_mul_f32_e32 v64, v8, v64
	s_wait_alu 0xfffd
	v_cndmask_b32_e32 v16, v78, v79, vcc_lo
	v_add3_u32 v78, v80, v76, 0x7fff
	v_or_b32_e32 v79, 0x400000, v76
	v_bfe_u32 v80, v75, 16, 1
	v_cmp_u_f32_e32 vcc_lo, v76, v76
	v_and_b32_e32 v16, 0xffff0000, v16
	v_lshlrev_b32_e32 v60, 16, v60
	v_lshlrev_b32_e32 v58, 16, v58
	;; [unrolled: 1-line block ×3, first 2 shown]
	s_wait_alu 0xfffd
	v_cndmask_b32_e32 v76, v78, v79, vcc_lo
	v_add3_u32 v78, v80, v75, 0x7fff
	v_or_b32_e32 v79, 0x400000, v75
	v_bfe_u32 v80, v74, 16, 1
	v_cmp_u_f32_e32 vcc_lo, v75, v75
	v_and_b32_e32 v76, 0xffff0000, v76
	v_mul_f32_e32 v58, v7, v58
	v_mul_f32_e32 v56, v8, v56
	s_wait_alu 0xfffd
	v_dual_cndmask_b32 v75, v78, v79 :: v_dual_lshlrev_b32 v52, 16, v52
	v_add3_u32 v78, v80, v74, 0x7fff
	v_or_b32_e32 v79, 0x400000, v74
	v_bfe_u32 v80, v73, 16, 1
	v_cmp_u_f32_e32 vcc_lo, v74, v74
	v_dual_add_f32 v16, v76, v16 :: v_dual_and_b32 v75, 0xffff0000, v75
	v_mul_f32_e32 v52, v6, v52
	v_lshlrev_b32_e32 v50, 16, v50
	s_wait_alu 0xfffd
	v_cndmask_b32_e32 v74, v78, v79, vcc_lo
	v_bfe_u32 v78, v72, 16, 1
	v_add3_u32 v79, v80, v73, 0x7fff
	v_or_b32_e32 v80, 0x400000, v73
	v_cmp_u_f32_e32 vcc_lo, v73, v73
	v_and_b32_e32 v74, 0xffff0000, v74
	v_add3_u32 v78, v78, v72, 0x7fff
	v_mul_f32_e32 v50, v7, v50
	v_lshlrev_b32_e32 v48, 16, v48
	s_wait_alu 0xfffd
	v_cndmask_b32_e32 v73, v79, v80, vcc_lo
	v_cmp_u_f32_e32 vcc_lo, v72, v72
	v_add3_u32 v79, v84, v70, 0x7fff
	v_or_b32_e32 v80, 0x400000, v70
	s_delay_alu instid0(VALU_DEP_4)
	v_dual_add_f32 v74, v74, v75 :: v_dual_and_b32 v73, 0xffff0000, v73
	s_wait_alu 0xfffd
	v_cndmask_b32_e32 v72, v78, v81, vcc_lo
	v_cmp_u_f32_e32 vcc_lo, v70, v70
	v_add3_u32 v78, v82, v71, 0x7fff
	v_or_b32_e32 v81, 0x400000, v71
	v_and_b32_e32 v75, 0xffff0000, v83
	v_and_b32_e32 v72, 0xffff0000, v72
	s_wait_alu 0xfffd
	v_cndmask_b32_e32 v70, v79, v80, vcc_lo
	v_cmp_u_f32_e32 vcc_lo, v71, v71
	v_add_f32_e32 v16, v74, v16
	v_mul_f32_e32 v48, v8, v48
	v_add_f32_e32 v72, v72, v73
	s_wait_alu 0xfffd
	v_dual_cndmask_b32 v71, v78, v81 :: v_dual_and_b32 v70, 0xffff0000, v70
	v_add_f32_e32 v73, v77, v75
	v_cmp_u_f32_e32 vcc_lo, v69, v69
	v_add_f32_e32 v16, v72, v16
	v_lshlrev_b32_e32 v44, 16, v44
	s_delay_alu instid0(VALU_DEP_4) | instskip(SKIP_2) | instid1(VALU_DEP_4)
	v_dual_add_f32 v0, v73, v0 :: v_dual_and_b32 v71, 0xffff0000, v71
	v_lshlrev_b32_e32 v42, 16, v42
	v_lshlrev_b32_e32 v40, 16, v40
	v_mul_f32_e32 v44, v6, v44
	s_delay_alu instid0(VALU_DEP_4) | instskip(SKIP_3) | instid1(VALU_DEP_4)
	v_add_f32_e32 v70, v70, v71
	v_add_f32_e32 v30, v30, v0
	v_bfe_u32 v0, v68, 16, 1
	v_bfe_u32 v71, v63, 16, 1
	v_dual_mul_f32 v42, v7, v42 :: v_dual_add_f32 v15, v70, v16
	v_bfe_u32 v16, v69, 16, 1
	s_delay_alu instid0(VALU_DEP_4) | instskip(SKIP_1) | instid1(VALU_DEP_4)
	v_add3_u32 v0, v0, v68, 0x7fff
	v_or_b32_e32 v70, 0x400000, v68
	v_dual_mul_f32 v40, v8, v40 :: v_dual_add_f32 v31, v31, v15
	s_delay_alu instid0(VALU_DEP_4) | instskip(SKIP_3) | instid1(VALU_DEP_2)
	v_add3_u32 v15, v16, v69, 0x7fff
	v_or_b32_e32 v16, 0x400000, v69
	v_bfe_u32 v69, v66, 16, 1
	s_wait_alu 0xfffd
	v_dual_mul_f32 v4, v4, v13 :: v_dual_cndmask_b32 v15, v15, v16
	v_bfe_u32 v16, v67, 16, 1
	v_cmp_u_f32_e32 vcc_lo, v68, v68
	v_or_b32_e32 v68, 0x400000, v67
	s_delay_alu instid0(VALU_DEP_4) | instskip(NEXT) | instid1(VALU_DEP_4)
	v_and_b32_e32 v15, 0xffff0000, v15
	v_add3_u32 v16, v16, v67, 0x7fff
	s_wait_alu 0xfffd
	v_cndmask_b32_e32 v0, v0, v70, vcc_lo
	v_cmp_u_f32_e32 vcc_lo, v67, v67
	v_add3_u32 v67, v69, v66, 0x7fff
	v_bfe_u32 v69, v65, 16, 1
	v_bfe_u32 v70, v64, 16, 1
	v_and_b32_e32 v0, 0xffff0000, v0
	s_wait_alu 0xfffd
	v_cndmask_b32_e32 v16, v16, v68, vcc_lo
	v_or_b32_e32 v68, 0x400000, v66
	v_cmp_u_f32_e32 vcc_lo, v66, v66
	v_add_f32_e32 v0, v0, v15
	s_delay_alu instid0(VALU_DEP_4)
	v_and_b32_e32 v16, 0xffff0000, v16
	s_wait_alu 0xfffd
	v_cndmask_b32_e32 v66, v67, v68, vcc_lo
	v_add3_u32 v67, v69, v65, 0x7fff
	v_or_b32_e32 v68, 0x400000, v65
	v_cmp_u_f32_e32 vcc_lo, v65, v65
	v_add3_u32 v69, v70, v64, 0x7fff
	v_or_b32_e32 v70, 0x400000, v64
	s_wait_alu 0xfffd
	v_dual_cndmask_b32 v65, v67, v68 :: v_dual_and_b32 v66, 0xffff0000, v66
	v_cmp_u_f32_e32 vcc_lo, v64, v64
	v_add3_u32 v67, v71, v63, 0x7fff
	v_or_b32_e32 v68, 0x400000, v63
	s_wait_alu 0xfffd
	v_dual_add_f32 v15, v66, v16 :: v_dual_cndmask_b32 v64, v69, v70
	v_bfe_u32 v69, v62, 16, 1
	v_cmp_u_f32_e32 vcc_lo, v63, v63
	s_delay_alu instid0(VALU_DEP_3) | instskip(NEXT) | instid1(VALU_DEP_4)
	v_add_f32_e32 v0, v15, v0
	v_and_b32_e32 v16, 0xffff0000, v64
	s_wait_alu 0xfffd
	v_dual_cndmask_b32 v63, v67, v68 :: v_dual_and_b32 v64, 0xffff0000, v65
	v_add3_u32 v67, v69, v62, 0x7fff
	v_or_b32_e32 v68, 0x400000, v62
	v_cmp_u_f32_e32 vcc_lo, v62, v62
	s_delay_alu instid0(VALU_DEP_4)
	v_add_f32_e32 v15, v16, v64
	v_mul_f32_e32 v16, v6, v60
	v_bfe_u32 v65, v55, 16, 1
	s_wait_alu 0xfffd
	v_cndmask_b32_e32 v62, v67, v68, vcc_lo
	v_add_f32_e32 v0, v15, v0
	v_bfe_u32 v64, v16, 16, 1
	v_cmp_u_f32_e32 vcc_lo, v61, v61
	s_delay_alu instid0(VALU_DEP_4) | instskip(SKIP_2) | instid1(VALU_DEP_2)
	v_and_b32_e32 v60, 0xffff0000, v62
	v_and_b32_e32 v62, 0xffff0000, v63
	v_bfe_u32 v63, v61, 16, 1
	v_add_f32_e32 v15, v60, v62
	s_delay_alu instid0(VALU_DEP_2)
	v_add3_u32 v60, v63, v61, 0x7fff
	v_or_b32_e32 v62, 0x400000, v61
	v_add3_u32 v63, v64, v16, 0x7fff
	v_or_b32_e32 v64, 0x400000, v16
	v_bfe_u32 v61, v59, 16, 1
	v_add_f32_e32 v0, v15, v0
	s_wait_alu 0xfffd
	v_cndmask_b32_e32 v60, v60, v62, vcc_lo
	v_cmp_u_f32_e32 vcc_lo, v16, v16
	v_or_b32_e32 v62, 0x400000, v59
	v_add3_u32 v61, v61, v59, 0x7fff
	v_add_f32_e32 v32, v32, v0
	v_and_b32_e32 v60, 0xffff0000, v60
	s_wait_alu 0xfffd
	v_cndmask_b32_e32 v16, v63, v64, vcc_lo
	v_bfe_u32 v63, v58, 16, 1
	v_cmp_u_f32_e32 vcc_lo, v59, v59
	v_bfe_u32 v64, v56, 16, 1
	s_wait_alu 0xfffd
	v_dual_cndmask_b32 v59, v61, v62 :: v_dual_and_b32 v16, 0xffff0000, v16
	v_add3_u32 v61, v63, v58, 0x7fff
	v_or_b32_e32 v62, 0x400000, v58
	v_bfe_u32 v63, v57, 16, 1
	v_cmp_u_f32_e32 vcc_lo, v58, v58
	v_dual_add_f32 v16, v16, v60 :: v_dual_and_b32 v59, 0xffff0000, v59
	s_wait_alu 0xfffd
	v_cndmask_b32_e32 v58, v61, v62, vcc_lo
	v_add3_u32 v61, v63, v57, 0x7fff
	v_or_b32_e32 v62, 0x400000, v57
	v_cmp_u_f32_e32 vcc_lo, v57, v57
	v_add3_u32 v63, v64, v56, 0x7fff
	v_or_b32_e32 v64, 0x400000, v56
	v_and_b32_e32 v58, 0xffff0000, v58
	s_wait_alu 0xfffd
	v_cndmask_b32_e32 v57, v61, v62, vcc_lo
	v_cmp_u_f32_e32 vcc_lo, v56, v56
	v_add3_u32 v61, v65, v55, 0x7fff
	v_or_b32_e32 v62, 0x400000, v55
	s_delay_alu instid0(VALU_DEP_4)
	v_dual_add_f32 v58, v58, v59 :: v_dual_and_b32 v57, 0xffff0000, v57
	s_wait_alu 0xfffd
	v_cndmask_b32_e32 v56, v63, v64, vcc_lo
	v_bfe_u32 v63, v54, 16, 1
	v_cmp_u_f32_e32 vcc_lo, v55, v55
	v_add_f32_e32 v16, v58, v16
	v_or_b32_e32 v58, 0x400000, v52
	v_and_b32_e32 v56, 0xffff0000, v56
	v_bfe_u32 v59, v51, 16, 1
	s_wait_alu 0xfffd
	v_cndmask_b32_e32 v55, v61, v62, vcc_lo
	v_add3_u32 v61, v63, v54, 0x7fff
	v_or_b32_e32 v62, 0x400000, v54
	v_cmp_u_f32_e32 vcc_lo, v54, v54
	s_delay_alu instid0(VALU_DEP_4) | instskip(SKIP_3) | instid1(VALU_DEP_3)
	v_dual_add_f32 v56, v56, v57 :: v_dual_and_b32 v55, 0xffff0000, v55
	v_bfe_u32 v57, v53, 16, 1
	s_wait_alu 0xfffd
	v_cndmask_b32_e32 v54, v61, v62, vcc_lo
	v_add_f32_e32 v16, v56, v16
	v_bfe_u32 v56, v52, 16, 1
	v_cmp_u_f32_e32 vcc_lo, v53, v53
	s_delay_alu instid0(VALU_DEP_4) | instskip(NEXT) | instid1(VALU_DEP_3)
	v_and_b32_e32 v54, 0xffff0000, v54
	v_add3_u32 v56, v56, v52, 0x7fff
	s_delay_alu instid0(VALU_DEP_2) | instskip(SKIP_3) | instid1(VALU_DEP_1)
	v_add_f32_e32 v54, v54, v55
	v_add3_u32 v55, v57, v53, 0x7fff
	v_or_b32_e32 v57, 0x400000, v53
	s_wait_alu 0xfffd
	v_cndmask_b32_e32 v53, v55, v57, vcc_lo
	v_cmp_u_f32_e32 vcc_lo, v52, v52
	v_add3_u32 v55, v59, v51, 0x7fff
	v_bfe_u32 v57, v50, 16, 1
	v_bfe_u32 v59, v47, 16, 1
	s_wait_alu 0xfffd
	v_dual_cndmask_b32 v52, v56, v58 :: v_dual_and_b32 v53, 0xffff0000, v53
	v_or_b32_e32 v56, 0x400000, v51
	v_cmp_u_f32_e32 vcc_lo, v51, v51
	v_bfe_u32 v58, v48, 16, 1
	s_delay_alu instid0(VALU_DEP_4)
	v_and_b32_e32 v52, 0xffff0000, v52
	s_wait_alu 0xfffd
	v_cndmask_b32_e32 v51, v55, v56, vcc_lo
	v_add3_u32 v55, v57, v50, 0x7fff
	v_or_b32_e32 v56, 0x400000, v50
	v_bfe_u32 v57, v49, 16, 1
	v_cmp_u_f32_e32 vcc_lo, v50, v50
	v_dual_add_f32 v52, v52, v53 :: v_dual_and_b32 v51, 0xffff0000, v51
	v_or_b32_e32 v53, 0x400000, v46
	s_wait_alu 0xfffd
	v_cndmask_b32_e32 v50, v55, v56, vcc_lo
	v_add3_u32 v55, v57, v49, 0x7fff
	v_or_b32_e32 v56, 0x400000, v49
	v_cmp_u_f32_e32 vcc_lo, v49, v49
	v_add3_u32 v57, v58, v48, 0x7fff
	v_or_b32_e32 v58, 0x400000, v48
	s_wait_alu 0xfffd
	v_dual_cndmask_b32 v49, v55, v56 :: v_dual_and_b32 v50, 0xffff0000, v50
	v_cmp_u_f32_e32 vcc_lo, v48, v48
	v_add3_u32 v55, v59, v47, 0x7fff
	v_or_b32_e32 v56, 0x400000, v47
	s_delay_alu instid0(VALU_DEP_4) | instskip(SKIP_3) | instid1(VALU_DEP_3)
	v_dual_add_f32 v50, v50, v51 :: v_dual_and_b32 v49, 0xffff0000, v49
	s_wait_alu 0xfffd
	v_cndmask_b32_e32 v48, v57, v58, vcc_lo
	v_cmp_u_f32_e32 vcc_lo, v47, v47
	v_add_f32_e32 v50, v50, v52
	v_or_b32_e32 v52, 0x400000, v43
	s_delay_alu instid0(VALU_DEP_4)
	v_and_b32_e32 v48, 0xffff0000, v48
	s_wait_alu 0xfffd
	v_cndmask_b32_e32 v47, v55, v56, vcc_lo
	v_bfe_u32 v55, v46, 16, 1
	v_cmp_u_f32_e32 vcc_lo, v46, v46
	v_add_f32_e32 v48, v48, v49
	v_bfe_u32 v49, v45, 16, 1
	s_delay_alu instid0(VALU_DEP_4) | instskip(NEXT) | instid1(VALU_DEP_3)
	v_add3_u32 v51, v55, v46, 0x7fff
	v_dual_add_f32 v48, v48, v50 :: v_dual_and_b32 v47, 0xffff0000, v47
	s_delay_alu instid0(VALU_DEP_3) | instskip(SKIP_1) | instid1(VALU_DEP_3)
	v_add3_u32 v49, v49, v45, 0x7fff
	s_wait_alu 0xfffd
	v_cndmask_b32_e32 v46, v51, v53, vcc_lo
	v_or_b32_e32 v50, 0x400000, v45
	v_bfe_u32 v51, v44, 16, 1
	v_cmp_u_f32_e32 vcc_lo, v45, v45
	s_delay_alu instid0(VALU_DEP_4)
	v_and_b32_e32 v46, 0xffff0000, v46
	s_wait_alu 0xfffd
	v_cndmask_b32_e32 v45, v49, v50, vcc_lo
	v_bfe_u32 v49, v43, 16, 1
	v_add3_u32 v50, v51, v44, 0x7fff
	v_or_b32_e32 v51, 0x400000, v44
	v_cmp_u_f32_e32 vcc_lo, v44, v44
	v_and_b32_e32 v45, 0xffff0000, v45
	v_add3_u32 v49, v49, v43, 0x7fff
	s_wait_alu 0xfffd
	v_cndmask_b32_e32 v44, v50, v51, vcc_lo
	v_bfe_u32 v50, v42, 16, 1
	v_cmp_u_f32_e32 vcc_lo, v43, v43
	v_or_b32_e32 v51, 0x400000, v42
	s_delay_alu instid0(VALU_DEP_4) | instskip(NEXT) | instid1(VALU_DEP_4)
	v_and_b32_e32 v44, 0xffff0000, v44
	v_add3_u32 v50, v50, v42, 0x7fff
	s_wait_alu 0xfffd
	v_cndmask_b32_e32 v43, v49, v52, vcc_lo
	v_bfe_u32 v49, v41, 16, 1
	v_cmp_u_f32_e32 vcc_lo, v42, v42
	v_or_b32_e32 v52, 0x400000, v41
	s_delay_alu instid0(VALU_DEP_4) | instskip(NEXT) | instid1(VALU_DEP_4)
	v_dual_add_f32 v44, v44, v45 :: v_dual_and_b32 v43, 0xffff0000, v43
	v_add3_u32 v49, v49, v41, 0x7fff
	s_wait_alu 0xfffd
	v_cndmask_b32_e32 v42, v50, v51, vcc_lo
	v_bfe_u32 v50, v40, 16, 1
	v_cmp_u_f32_e32 vcc_lo, v41, v41
	v_bfe_u32 v51, v39, 16, 1
	s_wait_alu 0xfffd
	v_dual_cndmask_b32 v41, v49, v52 :: v_dual_and_b32 v42, 0xffff0000, v42
	v_add3_u32 v49, v50, v40, 0x7fff
	v_or_b32_e32 v50, 0x400000, v40
	v_cmp_u_f32_e32 vcc_lo, v40, v40
	v_add3_u32 v51, v51, v39, 0x7fff
	v_or_b32_e32 v52, 0x400000, v39
	v_dual_add_f32 v42, v42, v43 :: v_dual_and_b32 v41, 0xffff0000, v41
	s_wait_alu 0xfffd
	v_cndmask_b32_e32 v40, v49, v50, vcc_lo
	v_cmp_u_f32_e32 vcc_lo, v39, v39
	v_bfe_u32 v49, v38, 16, 1
	v_lshlrev_b32_e32 v43, 16, v114
	v_or_b32_e32 v50, 0x400000, v38
	v_and_b32_e32 v40, 0xffff0000, v40
	s_wait_alu 0xfffd
	v_cndmask_b32_e32 v39, v51, v52, vcc_lo
	v_lshlrev_b32_e32 v51, 16, v115
	v_add3_u32 v49, v49, v38, 0x7fff
	v_cmp_u_f32_e32 vcc_lo, v38, v38
	v_add_f32_e32 v42, v42, v44
	v_add_f32_e32 v40, v40, v41
	v_mul_f32_e32 v6, v6, v51
	v_mul_f32_e32 v1, v1, v43
	s_wait_alu 0xfffd
	v_dual_cndmask_b32 v38, v49, v50 :: v_dual_lshlrev_b32 v41, 16, v113
	s_delay_alu instid0(VALU_DEP_3) | instskip(NEXT) | instid1(VALU_DEP_3)
	v_bfe_u32 v44, v6, 16, 1
	v_bfe_u32 v45, v1, 16, 1
	s_delay_alu instid0(VALU_DEP_3)
	v_mul_f32_e32 v7, v7, v41
	v_lshlrev_b32_e32 v41, 16, v112
	v_cmp_u_f32_e32 vcc_lo, v6, v6
	v_add3_u32 v43, v44, v6, 0x7fff
	v_or_b32_e32 v44, 0x400000, v6
	v_and_b32_e32 v38, 0xffff0000, v38
	v_dual_mul_f32 v2, v2, v41 :: v_dual_lshlrev_b32 v41, 16, v111
	s_wait_alu 0xfffd
	s_delay_alu instid0(VALU_DEP_3)
	v_cndmask_b32_e32 v6, v43, v44, vcc_lo
	v_add3_u32 v43, v45, v1, 0x7fff
	v_or_b32_e32 v44, 0x400000, v1
	v_bfe_u32 v45, v7, 16, 1
	v_cmp_u_f32_e32 vcc_lo, v1, v1
	v_dual_mul_f32 v8, v8, v41 :: v_dual_lshlrev_b32 v41, 16, v110
	s_wait_alu 0xfffd
	v_dual_cndmask_b32 v1, v43, v44 :: v_dual_and_b32 v6, 0xffff0000, v6
	v_add3_u32 v43, v45, v7, 0x7fff
	v_or_b32_e32 v44, 0x400000, v7
	v_bfe_u32 v45, v2, 16, 1
	v_cmp_u_f32_e32 vcc_lo, v7, v7
	v_mul_f32_e32 v3, v3, v41
	v_or_b32_e32 v13, 0x400000, v8
	v_and_b32_e32 v1, 0xffff0000, v1
	s_wait_alu 0xfffd
	v_cndmask_b32_e32 v7, v43, v44, vcc_lo
	v_add3_u32 v43, v45, v2, 0x7fff
	v_or_b32_e32 v44, 0x400000, v2
	v_bfe_u32 v45, v8, 16, 1
	v_cmp_u_f32_e32 vcc_lo, v2, v2
	v_bfe_u32 v41, v3, 16, 1
	v_and_b32_e32 v7, 0xffff0000, v7
	s_wait_alu 0xfffd
	v_dual_add_f32 v1, v6, v1 :: v_dual_cndmask_b32 v2, v43, v44
	v_add3_u32 v43, v45, v8, 0x7fff
	v_cmp_u_f32_e32 vcc_lo, v8, v8
	v_add3_u32 v14, v41, v3, 0x7fff
	v_or_b32_e32 v41, 0x400000, v3
	v_bfe_u32 v45, v4, 16, 1
	v_bfe_u32 v44, v5, 16, 1
	s_wait_alu 0xfffd
	v_cndmask_b32_e32 v8, v43, v13, vcc_lo
	v_cmp_u_f32_e32 vcc_lo, v3, v3
	v_and_b32_e32 v2, 0xffff0000, v2
	v_or_b32_e32 v43, 0x400000, v5
	v_add3_u32 v13, v44, v5, 0x7fff
	s_wait_alu 0xfffd
	v_dual_cndmask_b32 v3, v14, v41 :: v_dual_and_b32 v6, 0xffff0000, v8
	v_add3_u32 v14, v45, v4, 0x7fff
	v_or_b32_e32 v41, 0x400000, v4
	v_cmp_u_f32_e32 vcc_lo, v4, v4
	s_delay_alu instid0(VALU_DEP_4) | instskip(SKIP_1) | instid1(VALU_DEP_3)
	v_dual_add_f32 v2, v7, v2 :: v_dual_and_b32 v3, 0xffff0000, v3
	s_wait_alu 0xfffd
	v_dual_cndmask_b32 v4, v14, v41 :: v_dual_and_b32 v7, 0xffff0000, v39
	v_cmp_u_f32_e32 vcc_lo, v5, v5
	s_delay_alu instid0(VALU_DEP_3) | instskip(SKIP_1) | instid1(VALU_DEP_4)
	v_add_f32_e32 v1, v2, v1
	v_add_f32_e32 v2, v6, v3
	v_dual_add_f32 v6, v40, v42 :: v_dual_and_b32 v3, 0xffff0000, v4
	s_wait_alu 0xfffd
	v_cndmask_b32_e32 v5, v13, v43, vcc_lo
	v_add_f32_e32 v7, v38, v7
	v_add_f32_e32 v1, v2, v1
	s_delay_alu instid0(VALU_DEP_3) | instskip(NEXT) | instid1(VALU_DEP_1)
	v_dual_add_f32 v5, v46, v47 :: v_dual_and_b32 v4, 0xffff0000, v5
	v_dual_add_f32 v2, v4, v3 :: v_dual_add_f32 v3, v54, v16
	s_delay_alu instid0(VALU_DEP_2) | instskip(NEXT) | instid1(VALU_DEP_2)
	v_dual_add_f32 v4, v5, v48 :: v_dual_add_f32 v5, v7, v6
	v_add_f32_e32 v1, v2, v1
	s_delay_alu instid0(VALU_DEP_3) | instskip(NEXT) | instid1(VALU_DEP_3)
	v_add_f32_e32 v33, v33, v3
	v_dual_add_f32 v35, v35, v4 :: v_dual_add_f32 v34, v34, v5
	s_delay_alu instid0(VALU_DEP_3)
	v_add_f32_e32 v22, v22, v1
.LBB353_37:                             ;   in Loop: Header=BB353_38 Depth=1
	s_wait_alu 0xfffe
	s_or_b32 exec_lo, exec_lo, s13
	v_add_nc_u32_e32 v18, 4, v18
	v_add_co_u32 v9, s0, v9, 16
	s_wait_alu 0xf1ff
	v_add_co_ci_u32_e64 v10, null, 0, v10, s0
	s_delay_alu instid0(VALU_DEP_3)
	v_cmp_le_i32_e32 vcc_lo, s35, v18
	v_add_nc_u32_e32 v17, 0x80, v17
	v_add_nc_u32_e32 v37, 0x200, v37
	s_or_b32 s6, vcc_lo, s6
	s_wait_alu 0xfffe
	s_and_not1_b32 exec_lo, exec_lo, s6
	s_cbranch_execz .LBB353_67
.LBB353_38:                             ; =>This Inner Loop Header: Depth=1
	v_sub_nc_u32_e32 v0, 0, v17
	s_delay_alu instid0(VALU_DEP_1) | instskip(NEXT) | instid1(VALU_DEP_1)
	v_max_i32_e32 v0, v17, v0
	v_mul_hi_u32 v1, v0, s22
	s_delay_alu instid0(VALU_DEP_1) | instskip(NEXT) | instid1(VALU_DEP_1)
	v_mul_lo_u32 v2, v1, s16
	v_sub_nc_u32_e32 v0, v0, v2
	v_add_nc_u32_e32 v2, 1, v1
	s_delay_alu instid0(VALU_DEP_2) | instskip(SKIP_2) | instid1(VALU_DEP_2)
	v_subrev_nc_u32_e32 v3, s16, v0
	v_cmp_le_u32_e32 vcc_lo, s16, v0
	s_wait_alu 0xfffd
	v_dual_cndmask_b32 v1, v1, v2 :: v_dual_cndmask_b32 v0, v0, v3
	v_ashrrev_i32_e32 v2, 31, v17
	s_delay_alu instid0(VALU_DEP_2) | instskip(NEXT) | instid1(VALU_DEP_3)
	v_add_nc_u32_e32 v3, 1, v1
	v_cmp_le_u32_e32 vcc_lo, s16, v0
	s_delay_alu instid0(VALU_DEP_3) | instskip(SKIP_1) | instid1(VALU_DEP_3)
	v_xor_b32_e32 v2, s23, v2
	s_wait_alu 0xfffd
	v_cndmask_b32_e32 v0, v1, v3, vcc_lo
	s_delay_alu instid0(VALU_DEP_1) | instskip(NEXT) | instid1(VALU_DEP_1)
	v_xor_b32_e32 v0, v0, v2
	v_sub_nc_u32_e32 v0, v0, v2
	s_delay_alu instid0(VALU_DEP_1) | instskip(SKIP_1) | instid1(VALU_DEP_2)
	v_add_nc_u32_e32 v1, s21, v0
	v_cmp_lt_i32_e64 s0, s3, v0
	v_sub_nc_u32_e32 v2, 0, v1
	s_delay_alu instid0(VALU_DEP_1) | instskip(SKIP_1) | instid1(VALU_DEP_1)
	v_max_i32_e32 v2, v1, v2
	s_wait_alu 0xfffe
	v_mul_hi_u32 v3, v2, s12
	s_delay_alu instid0(VALU_DEP_1) | instskip(NEXT) | instid1(VALU_DEP_1)
	v_mul_lo_u32 v3, v3, s2
	v_sub_nc_u32_e32 v2, v2, v3
	s_delay_alu instid0(VALU_DEP_1) | instskip(SKIP_2) | instid1(VALU_DEP_2)
	v_subrev_nc_u32_e32 v3, s2, v2
	v_cmp_le_u32_e32 vcc_lo, s2, v2
	s_wait_alu 0xfffd
	v_cndmask_b32_e32 v2, v2, v3, vcc_lo
	v_ashrrev_i32_e32 v1, 31, v1
	s_delay_alu instid0(VALU_DEP_2) | instskip(SKIP_2) | instid1(VALU_DEP_2)
	v_subrev_nc_u32_e32 v3, s2, v2
	v_cmp_le_u32_e32 vcc_lo, s2, v2
	s_wait_alu 0xfffd
	v_cndmask_b32_e32 v2, v2, v3, vcc_lo
	s_delay_alu instid0(VALU_DEP_1) | instskip(NEXT) | instid1(VALU_DEP_1)
	v_xor_b32_e32 v2, v2, v1
	v_sub_nc_u32_e32 v1, v2, v1
	s_delay_alu instid0(VALU_DEP_1)
	v_cmp_eq_u32_e32 vcc_lo, 0, v1
	s_or_b32 s0, vcc_lo, s0
	s_wait_alu 0xfffe
	s_and_saveexec_b32 s13, s0
	s_cbranch_execz .LBB353_37
; %bb.39:                               ;   in Loop: Header=BB353_38 Depth=1
	global_load_b32 v0, v[9:10], off
	v_cmp_eq_u32_e32 vcc_lo, s5, v18
	s_wait_loadcnt 0x0
	v_mad_co_i64_i32 v[13:14], null, v0, s4, v[11:12]
	global_load_b64 v[15:16], v[13:14], off
	ds_load_2addr_b64 v[5:8], v37 offset1:1
	ds_load_2addr_b64 v[1:4], v37 offset0:2 offset1:3
	s_load_b32 s14, s[10:11], 0x0
	s_wait_loadcnt 0x0
	v_and_b32_e32 v0, 0xff, v15
	v_bfe_u32 v39, v15, 16, 8
	v_bfe_u32 v38, v15, 8, 8
	v_lshrrev_b32_e32 v15, 24, v15
	v_and_b32_e32 v40, 0xff, v16
	v_cvt_f32_fp8_e32 v0, v0
	v_cvt_f32_fp8_e32 v39, v39
	v_add_nc_u32_e32 v78, v36, v17
	v_cvt_f32_fp8_e32 v38, v38
	v_cvt_f32_fp8_e32 v15, v15
	s_wait_kmcnt 0x0
	v_dual_mul_f32 v0, s14, v0 :: v_dual_mul_f32 v39, s14, v39
	v_add_nc_u32_e32 v85, 1, v78
	v_mul_f32_e32 v38, s14, v38
	v_dual_mul_f32 v15, s14, v15 :: v_dual_add_nc_u32 v84, 2, v78
	s_delay_alu instid0(VALU_DEP_4) | instskip(SKIP_1) | instid1(VALU_DEP_4)
	v_bfe_u32 v43, v0, 16, 1
	v_or_b32_e32 v44, 0x400000, v0
	v_bfe_u32 v45, v38, 16, 1
	v_cmp_u_f32_e64 s0, v0, v0
	v_bfe_u32 v41, v16, 8, 8
	v_add3_u32 v43, v43, v0, 0x7fff
	v_cvt_f32_fp8_e32 v40, v40
	v_or_b32_e32 v46, 0x400000, v38
	v_bfe_u32 v47, v39, 16, 1
	v_add3_u32 v45, v45, v38, 0x7fff
	s_wait_alu 0xf1ff
	v_cndmask_b32_e64 v0, v43, v44, s0
	v_cmp_u_f32_e64 s0, v38, v38
	v_dual_mul_f32 v40, s14, v40 :: v_dual_add_nc_u32 v83, 3, v78
	v_bfe_u32 v42, v16, 16, 8
	v_cvt_f32_fp8_e32 v41, v41
	v_or_b32_e32 v48, 0x400000, v39
	v_bfe_u32 v49, v15, 16, 1
	v_add3_u32 v47, v47, v39, 0x7fff
	s_wait_alu 0xf1ff
	v_cndmask_b32_e64 v38, v45, v46, s0
	v_cmp_u_f32_e64 s0, v39, v39
	v_dual_mul_f32 v41, s14, v41 :: v_dual_add_nc_u32 v82, 4, v78
	v_lshrrev_b32_e32 v16, 24, v16
	v_cvt_f32_fp8_e32 v42, v42
	v_or_b32_e32 v50, 0x400000, v15
	v_bfe_u32 v51, v40, 16, 1
	v_add3_u32 v49, v49, v15, 0x7fff
	s_wait_alu 0xf1ff
	v_cndmask_b32_e64 v39, v47, v48, s0
	v_cmp_u_f32_e64 s0, v15, v15
	v_cvt_f32_fp8_e32 v16, v16
	v_mul_f32_e32 v42, s14, v42
	v_or_b32_e32 v52, 0x400000, v40
	v_bfe_u32 v53, v41, 16, 1
	v_add3_u32 v51, v51, v40, 0x7fff
	s_wait_alu 0xf1ff
	v_cndmask_b32_e64 v15, v49, v50, s0
	v_cmp_u_f32_e64 s0, v40, v40
	v_dual_mul_f32 v16, s14, v16 :: v_dual_add_nc_u32 v81, 5, v78
	v_or_b32_e32 v54, 0x400000, v41
	v_bfe_u32 v55, v42, 16, 1
	v_add3_u32 v53, v53, v41, 0x7fff
	s_wait_alu 0xf1ff
	v_cndmask_b32_e64 v40, v51, v52, s0
	v_cmp_u_f32_e64 s0, v41, v41
	v_or_b32_e32 v56, 0x400000, v42
	v_bfe_u32 v57, v16, 16, 1
	v_add3_u32 v55, v55, v42, 0x7fff
	v_or_b32_e32 v58, 0x400000, v16
	s_wait_alu 0xf1ff
	v_cndmask_b32_e64 v41, v53, v54, s0
	v_cmp_u_f32_e64 s0, v42, v42
	v_add3_u32 v57, v57, v16, 0x7fff
	v_add_nc_u32_e32 v80, 6, v78
	v_lshrrev_b32_e32 v44, 16, v0
	v_lshrrev_b32_e32 v45, 16, v38
	s_wait_alu 0xf1ff
	v_cndmask_b32_e64 v46, v55, v56, s0
	v_cmp_u_f32_e64 s0, v16, v16
	v_lshrrev_b32_e32 v42, 16, v39
	v_lshrrev_b32_e32 v43, 16, v15
	;; [unrolled: 1-line block ×4, first 2 shown]
	s_wait_alu 0xf1ff
	v_cndmask_b32_e64 v16, v57, v58, s0
	v_lshrrev_b32_e32 v38, 16, v46
	v_add_nc_u32_e32 v92, 7, v78
	s_delay_alu instid0(VALU_DEP_3)
	v_lshrrev_b32_e32 v39, 16, v16
	s_and_saveexec_b32 s15, vcc_lo
	s_cbranch_execz .LBB353_41
; %bb.40:                               ;   in Loop: Header=BB353_38 Depth=1
	v_cmp_gt_i32_e64 s0, s34, v78
	s_wait_alu 0xf1ff
	s_delay_alu instid0(VALU_DEP_1) | instskip(SKIP_2) | instid1(VALU_DEP_1)
	v_cndmask_b32_e64 v44, 0, v44, s0
	v_cmp_gt_i32_e64 s0, s34, v85
	s_wait_alu 0xf1ff
	v_cndmask_b32_e64 v45, 0, v45, s0
	v_cmp_gt_i32_e64 s0, s34, v84
	s_wait_alu 0xf1ff
	s_delay_alu instid0(VALU_DEP_1) | instskip(SKIP_2) | instid1(VALU_DEP_1)
	v_cndmask_b32_e64 v42, 0, v42, s0
	v_cmp_gt_i32_e64 s0, s34, v83
	s_wait_alu 0xf1ff
	v_cndmask_b32_e64 v43, 0, v43, s0
	;; [unrolled: 7-line block ×4, first 2 shown]
.LBB353_41:                             ;   in Loop: Header=BB353_38 Depth=1
	s_wait_alu 0xfffe
	s_or_b32 exec_lo, exec_lo, s15
	global_load_b64 v[15:16], v[13:14], off offset:256
	s_wait_loadcnt 0x0
	v_bfe_u32 v49, v16, 8, 8
	v_bfe_u32 v46, v15, 8, 8
	;; [unrolled: 1-line block ×4, first 2 shown]
	s_delay_alu instid0(VALU_DEP_4)
	v_cvt_f32_fp8_e32 v49, v49
	v_and_b32_e32 v0, 0xff, v15
	v_lshrrev_b32_e32 v15, 24, v15
	v_cvt_f32_fp8_e32 v46, v46
	v_cvt_f32_fp8_e32 v47, v47
	v_mul_f32_e32 v49, s14, v49
	v_cvt_f32_fp8_e32 v0, v0
	v_cvt_f32_fp8_e32 v15, v15
	v_mul_f32_e32 v46, s14, v46
	v_dual_mul_f32 v47, s14, v47 :: v_dual_and_b32 v48, 0xff, v16
	s_delay_alu instid0(VALU_DEP_3) | instskip(NEXT) | instid1(VALU_DEP_3)
	v_dual_mul_f32 v0, s14, v0 :: v_dual_mul_f32 v15, s14, v15
	v_bfe_u32 v53, v46, 16, 1
	s_delay_alu instid0(VALU_DEP_3) | instskip(SKIP_1) | instid1(VALU_DEP_4)
	v_cvt_f32_fp8_e32 v48, v48
	v_or_b32_e32 v54, 0x400000, v46
	v_bfe_u32 v51, v0, 16, 1
	v_or_b32_e32 v52, 0x400000, v0
	v_cmp_u_f32_e64 s0, v0, v0
	v_bfe_u32 v55, v47, 16, 1
	v_add3_u32 v53, v53, v46, 0x7fff
	v_add3_u32 v51, v51, v0, 0x7fff
	v_mul_f32_e32 v48, s14, v48
	v_or_b32_e32 v56, 0x400000, v47
	v_bfe_u32 v57, v15, 16, 1
	v_add3_u32 v55, v55, v47, 0x7fff
	s_wait_alu 0xf1ff
	v_cndmask_b32_e64 v0, v51, v52, s0
	v_cmp_u_f32_e64 s0, v46, v46
	v_lshrrev_b32_e32 v16, 24, v16
	v_cvt_f32_fp8_e32 v50, v50
	v_or_b32_e32 v58, 0x400000, v15
	v_bfe_u32 v59, v48, 16, 1
	s_wait_alu 0xf1ff
	v_cndmask_b32_e64 v46, v53, v54, s0
	v_cmp_u_f32_e64 s0, v47, v47
	v_add3_u32 v57, v57, v15, 0x7fff
	v_cvt_f32_fp8_e32 v16, v16
	v_mul_f32_e32 v50, s14, v50
	v_or_b32_e32 v60, 0x400000, v48
	s_wait_alu 0xf1ff
	v_cndmask_b32_e64 v47, v55, v56, s0
	v_cmp_u_f32_e64 s0, v15, v15
	v_bfe_u32 v61, v49, 16, 1
	v_add3_u32 v59, v59, v48, 0x7fff
	v_mul_f32_e32 v16, s14, v16
	v_or_b32_e32 v62, 0x400000, v49
	s_wait_alu 0xf1ff
	v_cndmask_b32_e64 v15, v57, v58, s0
	v_cmp_u_f32_e64 s0, v48, v48
	v_bfe_u32 v63, v50, 16, 1
	v_add3_u32 v61, v61, v49, 0x7fff
	v_or_b32_e32 v64, 0x400000, v50
	v_bfe_u32 v65, v16, 16, 1
	s_wait_alu 0xf1ff
	v_cndmask_b32_e64 v48, v59, v60, s0
	v_cmp_u_f32_e64 s0, v49, v49
	v_add3_u32 v63, v63, v50, 0x7fff
	v_or_b32_e32 v66, 0x400000, v16
	v_add3_u32 v65, v65, v16, 0x7fff
	v_lshrrev_b32_e32 v52, 16, v0
	s_wait_alu 0xf1ff
	v_cndmask_b32_e64 v49, v61, v62, s0
	v_cmp_u_f32_e64 s0, v50, v50
	v_lshrrev_b32_e32 v53, 16, v46
	v_lshrrev_b32_e32 v50, 16, v47
	;; [unrolled: 1-line block ×4, first 2 shown]
	s_wait_alu 0xf1ff
	v_cndmask_b32_e64 v54, v63, v64, s0
	v_cmp_u_f32_e64 s0, v16, v16
	v_lshrrev_b32_e32 v49, 16, v49
	s_delay_alu instid0(VALU_DEP_3) | instskip(SKIP_1) | instid1(VALU_DEP_3)
	v_lshrrev_b32_e32 v46, 16, v54
	s_wait_alu 0xf1ff
	v_cndmask_b32_e64 v16, v65, v66, s0
	s_delay_alu instid0(VALU_DEP_1)
	v_lshrrev_b32_e32 v47, 16, v16
	s_and_saveexec_b32 s15, vcc_lo
	s_cbranch_execz .LBB353_43
; %bb.42:                               ;   in Loop: Header=BB353_38 Depth=1
	v_cmp_gt_i32_e64 s0, s34, v78
	s_wait_alu 0xf1ff
	s_delay_alu instid0(VALU_DEP_1) | instskip(SKIP_2) | instid1(VALU_DEP_1)
	v_cndmask_b32_e64 v52, 0, v52, s0
	v_cmp_gt_i32_e64 s0, s34, v85
	s_wait_alu 0xf1ff
	v_cndmask_b32_e64 v53, 0, v53, s0
	v_cmp_gt_i32_e64 s0, s34, v84
	s_wait_alu 0xf1ff
	s_delay_alu instid0(VALU_DEP_1) | instskip(SKIP_2) | instid1(VALU_DEP_1)
	v_cndmask_b32_e64 v50, 0, v50, s0
	v_cmp_gt_i32_e64 s0, s34, v83
	s_wait_alu 0xf1ff
	v_cndmask_b32_e64 v51, 0, v51, s0
	;; [unrolled: 7-line block ×4, first 2 shown]
.LBB353_43:                             ;   in Loop: Header=BB353_38 Depth=1
	s_wait_alu 0xfffe
	s_or_b32 exec_lo, exec_lo, s15
	global_load_b64 v[15:16], v[13:14], off offset:512
	s_wait_loadcnt 0x0
	v_bfe_u32 v57, v16, 8, 8
	v_bfe_u32 v54, v15, 8, 8
	;; [unrolled: 1-line block ×4, first 2 shown]
	s_delay_alu instid0(VALU_DEP_4)
	v_cvt_f32_fp8_e32 v57, v57
	v_and_b32_e32 v0, 0xff, v15
	v_lshrrev_b32_e32 v15, 24, v15
	v_cvt_f32_fp8_e32 v54, v54
	v_cvt_f32_fp8_e32 v55, v55
	v_mul_f32_e32 v57, s14, v57
	v_cvt_f32_fp8_e32 v0, v0
	v_cvt_f32_fp8_e32 v15, v15
	v_mul_f32_e32 v54, s14, v54
	v_dual_mul_f32 v55, s14, v55 :: v_dual_and_b32 v56, 0xff, v16
	s_delay_alu instid0(VALU_DEP_3) | instskip(NEXT) | instid1(VALU_DEP_3)
	v_dual_mul_f32 v0, s14, v0 :: v_dual_mul_f32 v15, s14, v15
	v_bfe_u32 v61, v54, 16, 1
	s_delay_alu instid0(VALU_DEP_3) | instskip(SKIP_1) | instid1(VALU_DEP_4)
	v_cvt_f32_fp8_e32 v56, v56
	v_or_b32_e32 v62, 0x400000, v54
	v_bfe_u32 v59, v0, 16, 1
	v_or_b32_e32 v60, 0x400000, v0
	v_cmp_u_f32_e64 s0, v0, v0
	v_bfe_u32 v63, v55, 16, 1
	v_add3_u32 v61, v61, v54, 0x7fff
	v_add3_u32 v59, v59, v0, 0x7fff
	v_mul_f32_e32 v56, s14, v56
	v_or_b32_e32 v64, 0x400000, v55
	v_bfe_u32 v65, v15, 16, 1
	v_add3_u32 v63, v63, v55, 0x7fff
	s_wait_alu 0xf1ff
	v_cndmask_b32_e64 v0, v59, v60, s0
	v_cmp_u_f32_e64 s0, v54, v54
	v_lshrrev_b32_e32 v16, 24, v16
	v_cvt_f32_fp8_e32 v58, v58
	v_or_b32_e32 v66, 0x400000, v15
	v_bfe_u32 v67, v56, 16, 1
	s_wait_alu 0xf1ff
	v_cndmask_b32_e64 v54, v61, v62, s0
	v_cmp_u_f32_e64 s0, v55, v55
	v_add3_u32 v65, v65, v15, 0x7fff
	v_cvt_f32_fp8_e32 v16, v16
	v_mul_f32_e32 v58, s14, v58
	v_or_b32_e32 v68, 0x400000, v56
	s_wait_alu 0xf1ff
	v_cndmask_b32_e64 v55, v63, v64, s0
	v_cmp_u_f32_e64 s0, v15, v15
	v_bfe_u32 v69, v57, 16, 1
	v_add3_u32 v67, v67, v56, 0x7fff
	v_mul_f32_e32 v16, s14, v16
	v_or_b32_e32 v70, 0x400000, v57
	s_wait_alu 0xf1ff
	v_cndmask_b32_e64 v15, v65, v66, s0
	v_cmp_u_f32_e64 s0, v56, v56
	v_bfe_u32 v71, v58, 16, 1
	v_add3_u32 v69, v69, v57, 0x7fff
	v_or_b32_e32 v72, 0x400000, v58
	v_bfe_u32 v73, v16, 16, 1
	s_wait_alu 0xf1ff
	v_cndmask_b32_e64 v56, v67, v68, s0
	v_cmp_u_f32_e64 s0, v57, v57
	v_add3_u32 v71, v71, v58, 0x7fff
	v_or_b32_e32 v74, 0x400000, v16
	v_add3_u32 v73, v73, v16, 0x7fff
	v_lshrrev_b32_e32 v60, 16, v0
	s_wait_alu 0xf1ff
	v_cndmask_b32_e64 v57, v69, v70, s0
	v_cmp_u_f32_e64 s0, v58, v58
	v_lshrrev_b32_e32 v61, 16, v54
	v_lshrrev_b32_e32 v58, 16, v55
	;; [unrolled: 1-line block ×4, first 2 shown]
	s_wait_alu 0xf1ff
	v_cndmask_b32_e64 v62, v71, v72, s0
	v_cmp_u_f32_e64 s0, v16, v16
	v_lshrrev_b32_e32 v57, 16, v57
	s_delay_alu instid0(VALU_DEP_3) | instskip(SKIP_1) | instid1(VALU_DEP_3)
	v_lshrrev_b32_e32 v54, 16, v62
	s_wait_alu 0xf1ff
	v_cndmask_b32_e64 v16, v73, v74, s0
	s_delay_alu instid0(VALU_DEP_1)
	v_lshrrev_b32_e32 v55, 16, v16
	s_and_saveexec_b32 s15, vcc_lo
	s_cbranch_execz .LBB353_45
; %bb.44:                               ;   in Loop: Header=BB353_38 Depth=1
	v_cmp_gt_i32_e64 s0, s34, v78
	s_wait_alu 0xf1ff
	s_delay_alu instid0(VALU_DEP_1) | instskip(SKIP_2) | instid1(VALU_DEP_1)
	v_cndmask_b32_e64 v60, 0, v60, s0
	v_cmp_gt_i32_e64 s0, s34, v85
	s_wait_alu 0xf1ff
	v_cndmask_b32_e64 v61, 0, v61, s0
	v_cmp_gt_i32_e64 s0, s34, v84
	s_wait_alu 0xf1ff
	s_delay_alu instid0(VALU_DEP_1) | instskip(SKIP_2) | instid1(VALU_DEP_1)
	v_cndmask_b32_e64 v58, 0, v58, s0
	v_cmp_gt_i32_e64 s0, s34, v83
	s_wait_alu 0xf1ff
	v_cndmask_b32_e64 v59, 0, v59, s0
	;; [unrolled: 7-line block ×4, first 2 shown]
.LBB353_45:                             ;   in Loop: Header=BB353_38 Depth=1
	s_wait_alu 0xfffe
	s_or_b32 exec_lo, exec_lo, s15
	global_load_b64 v[15:16], v[13:14], off offset:768
	s_wait_loadcnt 0x0
	v_bfe_u32 v65, v16, 8, 8
	v_bfe_u32 v62, v15, 8, 8
	v_bfe_u32 v63, v15, 16, 8
	v_bfe_u32 v66, v16, 16, 8
	s_delay_alu instid0(VALU_DEP_4)
	v_cvt_f32_fp8_e32 v65, v65
	v_and_b32_e32 v0, 0xff, v15
	v_lshrrev_b32_e32 v15, 24, v15
	v_cvt_f32_fp8_e32 v62, v62
	v_cvt_f32_fp8_e32 v63, v63
	v_mul_f32_e32 v65, s14, v65
	v_cvt_f32_fp8_e32 v0, v0
	v_cvt_f32_fp8_e32 v15, v15
	v_mul_f32_e32 v62, s14, v62
	v_dual_mul_f32 v63, s14, v63 :: v_dual_and_b32 v64, 0xff, v16
	s_delay_alu instid0(VALU_DEP_3) | instskip(NEXT) | instid1(VALU_DEP_3)
	v_dual_mul_f32 v0, s14, v0 :: v_dual_mul_f32 v15, s14, v15
	v_bfe_u32 v69, v62, 16, 1
	s_delay_alu instid0(VALU_DEP_3) | instskip(SKIP_1) | instid1(VALU_DEP_4)
	v_cvt_f32_fp8_e32 v64, v64
	v_or_b32_e32 v70, 0x400000, v62
	v_bfe_u32 v67, v0, 16, 1
	v_or_b32_e32 v68, 0x400000, v0
	v_cmp_u_f32_e64 s0, v0, v0
	v_bfe_u32 v71, v63, 16, 1
	v_add3_u32 v69, v69, v62, 0x7fff
	v_add3_u32 v67, v67, v0, 0x7fff
	v_mul_f32_e32 v64, s14, v64
	v_or_b32_e32 v72, 0x400000, v63
	v_bfe_u32 v73, v15, 16, 1
	v_add3_u32 v71, v71, v63, 0x7fff
	s_wait_alu 0xf1ff
	v_cndmask_b32_e64 v0, v67, v68, s0
	v_cmp_u_f32_e64 s0, v62, v62
	v_lshrrev_b32_e32 v16, 24, v16
	v_cvt_f32_fp8_e32 v66, v66
	v_or_b32_e32 v74, 0x400000, v15
	v_bfe_u32 v75, v64, 16, 1
	s_wait_alu 0xf1ff
	v_cndmask_b32_e64 v62, v69, v70, s0
	v_cmp_u_f32_e64 s0, v63, v63
	v_add3_u32 v73, v73, v15, 0x7fff
	v_cvt_f32_fp8_e32 v16, v16
	v_mul_f32_e32 v66, s14, v66
	v_or_b32_e32 v76, 0x400000, v64
	s_wait_alu 0xf1ff
	v_cndmask_b32_e64 v63, v71, v72, s0
	v_cmp_u_f32_e64 s0, v15, v15
	v_bfe_u32 v77, v65, 16, 1
	v_add3_u32 v75, v75, v64, 0x7fff
	v_mul_f32_e32 v16, s14, v16
	v_or_b32_e32 v79, 0x400000, v65
	s_wait_alu 0xf1ff
	v_cndmask_b32_e64 v15, v73, v74, s0
	v_cmp_u_f32_e64 s0, v64, v64
	v_bfe_u32 v86, v66, 16, 1
	v_add3_u32 v77, v77, v65, 0x7fff
	v_or_b32_e32 v87, 0x400000, v66
	v_bfe_u32 v88, v16, 16, 1
	s_wait_alu 0xf1ff
	v_cndmask_b32_e64 v64, v75, v76, s0
	v_cmp_u_f32_e64 s0, v65, v65
	v_add3_u32 v86, v86, v66, 0x7fff
	v_or_b32_e32 v89, 0x400000, v16
	v_add3_u32 v88, v88, v16, 0x7fff
	v_lshrrev_b32_e32 v68, 16, v0
	s_wait_alu 0xf1ff
	v_cndmask_b32_e64 v65, v77, v79, s0
	v_cmp_u_f32_e64 s0, v66, v66
	v_lshrrev_b32_e32 v69, 16, v62
	v_lshrrev_b32_e32 v66, 16, v63
	;; [unrolled: 1-line block ×4, first 2 shown]
	s_wait_alu 0xf1ff
	v_cndmask_b32_e64 v70, v86, v87, s0
	v_cmp_u_f32_e64 s0, v16, v16
	v_lshrrev_b32_e32 v65, 16, v65
	s_delay_alu instid0(VALU_DEP_3) | instskip(SKIP_1) | instid1(VALU_DEP_3)
	v_lshrrev_b32_e32 v62, 16, v70
	s_wait_alu 0xf1ff
	v_cndmask_b32_e64 v16, v88, v89, s0
	s_delay_alu instid0(VALU_DEP_1)
	v_lshrrev_b32_e32 v63, 16, v16
	s_and_saveexec_b32 s15, vcc_lo
	s_cbranch_execz .LBB353_47
; %bb.46:                               ;   in Loop: Header=BB353_38 Depth=1
	v_cmp_gt_i32_e64 s0, s34, v78
	s_wait_alu 0xf1ff
	s_delay_alu instid0(VALU_DEP_1) | instskip(SKIP_2) | instid1(VALU_DEP_1)
	v_cndmask_b32_e64 v68, 0, v68, s0
	v_cmp_gt_i32_e64 s0, s34, v85
	s_wait_alu 0xf1ff
	v_cndmask_b32_e64 v69, 0, v69, s0
	v_cmp_gt_i32_e64 s0, s34, v84
	s_wait_alu 0xf1ff
	s_delay_alu instid0(VALU_DEP_1) | instskip(SKIP_2) | instid1(VALU_DEP_1)
	v_cndmask_b32_e64 v66, 0, v66, s0
	v_cmp_gt_i32_e64 s0, s34, v83
	s_wait_alu 0xf1ff
	v_cndmask_b32_e64 v67, 0, v67, s0
	;; [unrolled: 7-line block ×4, first 2 shown]
.LBB353_47:                             ;   in Loop: Header=BB353_38 Depth=1
	s_wait_alu 0xfffe
	s_or_b32 exec_lo, exec_lo, s15
	global_load_b64 v[15:16], v[13:14], off offset:1024
	s_wait_loadcnt 0x0
	v_bfe_u32 v73, v16, 8, 8
	v_bfe_u32 v70, v15, 8, 8
	v_bfe_u32 v71, v15, 16, 8
	v_bfe_u32 v74, v16, 16, 8
	s_delay_alu instid0(VALU_DEP_4)
	v_cvt_f32_fp8_e32 v73, v73
	v_and_b32_e32 v0, 0xff, v15
	v_lshrrev_b32_e32 v15, 24, v15
	v_cvt_f32_fp8_e32 v70, v70
	v_cvt_f32_fp8_e32 v71, v71
	v_mul_f32_e32 v73, s14, v73
	v_cvt_f32_fp8_e32 v0, v0
	v_cvt_f32_fp8_e32 v15, v15
	v_mul_f32_e32 v70, s14, v70
	v_dual_mul_f32 v71, s14, v71 :: v_dual_and_b32 v72, 0xff, v16
	s_delay_alu instid0(VALU_DEP_3) | instskip(NEXT) | instid1(VALU_DEP_3)
	v_dual_mul_f32 v0, s14, v0 :: v_dual_mul_f32 v15, s14, v15
	v_bfe_u32 v77, v70, 16, 1
	s_delay_alu instid0(VALU_DEP_3) | instskip(SKIP_1) | instid1(VALU_DEP_4)
	v_cvt_f32_fp8_e32 v72, v72
	v_or_b32_e32 v79, 0x400000, v70
	v_bfe_u32 v75, v0, 16, 1
	v_or_b32_e32 v76, 0x400000, v0
	v_cmp_u_f32_e64 s0, v0, v0
	v_bfe_u32 v86, v71, 16, 1
	v_add3_u32 v77, v77, v70, 0x7fff
	v_add3_u32 v75, v75, v0, 0x7fff
	v_mul_f32_e32 v72, s14, v72
	v_or_b32_e32 v87, 0x400000, v71
	v_bfe_u32 v88, v15, 16, 1
	v_add3_u32 v86, v86, v71, 0x7fff
	s_wait_alu 0xf1ff
	v_cndmask_b32_e64 v0, v75, v76, s0
	v_cmp_u_f32_e64 s0, v70, v70
	v_lshrrev_b32_e32 v16, 24, v16
	v_cvt_f32_fp8_e32 v74, v74
	v_or_b32_e32 v89, 0x400000, v15
	v_bfe_u32 v90, v72, 16, 1
	s_wait_alu 0xf1ff
	v_cndmask_b32_e64 v70, v77, v79, s0
	v_cmp_u_f32_e64 s0, v71, v71
	v_add3_u32 v88, v88, v15, 0x7fff
	v_cvt_f32_fp8_e32 v16, v16
	v_mul_f32_e32 v74, s14, v74
	v_or_b32_e32 v91, 0x400000, v72
	s_wait_alu 0xf1ff
	v_cndmask_b32_e64 v71, v86, v87, s0
	v_cmp_u_f32_e64 s0, v15, v15
	v_bfe_u32 v93, v73, 16, 1
	v_add3_u32 v90, v90, v72, 0x7fff
	v_mul_f32_e32 v16, s14, v16
	v_or_b32_e32 v94, 0x400000, v73
	s_wait_alu 0xf1ff
	v_cndmask_b32_e64 v15, v88, v89, s0
	v_cmp_u_f32_e64 s0, v72, v72
	v_bfe_u32 v95, v74, 16, 1
	v_add3_u32 v93, v93, v73, 0x7fff
	v_or_b32_e32 v96, 0x400000, v74
	v_bfe_u32 v97, v16, 16, 1
	s_wait_alu 0xf1ff
	v_cndmask_b32_e64 v72, v90, v91, s0
	v_cmp_u_f32_e64 s0, v73, v73
	v_add3_u32 v95, v95, v74, 0x7fff
	v_or_b32_e32 v98, 0x400000, v16
	v_add3_u32 v97, v97, v16, 0x7fff
	v_lshrrev_b32_e32 v76, 16, v0
	s_wait_alu 0xf1ff
	v_cndmask_b32_e64 v73, v93, v94, s0
	v_cmp_u_f32_e64 s0, v74, v74
	v_lshrrev_b32_e32 v77, 16, v70
	v_lshrrev_b32_e32 v74, 16, v71
	;; [unrolled: 1-line block ×4, first 2 shown]
	s_wait_alu 0xf1ff
	v_cndmask_b32_e64 v79, v95, v96, s0
	v_cmp_u_f32_e64 s0, v16, v16
	v_lshrrev_b32_e32 v73, 16, v73
	s_delay_alu instid0(VALU_DEP_3) | instskip(SKIP_1) | instid1(VALU_DEP_3)
	v_lshrrev_b32_e32 v70, 16, v79
	s_wait_alu 0xf1ff
	v_cndmask_b32_e64 v16, v97, v98, s0
	s_delay_alu instid0(VALU_DEP_1)
	v_lshrrev_b32_e32 v71, 16, v16
	s_and_saveexec_b32 s15, vcc_lo
	s_cbranch_execz .LBB353_49
; %bb.48:                               ;   in Loop: Header=BB353_38 Depth=1
	v_cmp_gt_i32_e64 s0, s34, v78
	s_wait_alu 0xf1ff
	s_delay_alu instid0(VALU_DEP_1) | instskip(SKIP_2) | instid1(VALU_DEP_1)
	v_cndmask_b32_e64 v76, 0, v76, s0
	v_cmp_gt_i32_e64 s0, s34, v85
	s_wait_alu 0xf1ff
	v_cndmask_b32_e64 v77, 0, v77, s0
	v_cmp_gt_i32_e64 s0, s34, v84
	s_wait_alu 0xf1ff
	s_delay_alu instid0(VALU_DEP_1) | instskip(SKIP_2) | instid1(VALU_DEP_1)
	v_cndmask_b32_e64 v74, 0, v74, s0
	v_cmp_gt_i32_e64 s0, s34, v83
	s_wait_alu 0xf1ff
	v_cndmask_b32_e64 v75, 0, v75, s0
	;; [unrolled: 7-line block ×4, first 2 shown]
.LBB353_49:                             ;   in Loop: Header=BB353_38 Depth=1
	s_wait_alu 0xfffe
	s_or_b32 exec_lo, exec_lo, s15
	global_load_b64 v[15:16], v[13:14], off offset:1280
	s_wait_loadcnt 0x0
	v_bfe_u32 v89, v16, 16, 8
	v_bfe_u32 v79, v15, 8, 8
	;; [unrolled: 1-line block ×4, first 2 shown]
	s_delay_alu instid0(VALU_DEP_4)
	v_cvt_f32_fp8_e32 v89, v89
	v_and_b32_e32 v0, 0xff, v15
	v_cvt_f32_fp8_e32 v79, v79
	v_lshrrev_b32_e32 v15, 24, v15
	v_cvt_f32_fp8_e32 v86, v86
	v_mul_f32_e32 v89, s14, v89
	v_cvt_f32_fp8_e32 v0, v0
	v_and_b32_e32 v87, 0xff, v16
	v_cvt_f32_fp8_e32 v15, v15
	v_dual_mul_f32 v86, s14, v86 :: v_dual_mul_f32 v79, s14, v79
	s_delay_alu instid0(VALU_DEP_4)
	v_mul_f32_e32 v0, s14, v0
	v_lshrrev_b32_e32 v16, 24, v16
	v_cvt_f32_fp8_e32 v87, v87
	v_cvt_f32_fp8_e32 v88, v88
	v_bfe_u32 v93, v79, 16, 1
	v_bfe_u32 v90, v0, 16, 1
	v_or_b32_e32 v91, 0x400000, v0
	v_cmp_u_f32_e64 s0, v0, v0
	v_dual_mul_f32 v15, s14, v15 :: v_dual_mul_f32 v88, s14, v88
	s_delay_alu instid0(VALU_DEP_4)
	v_add3_u32 v90, v90, v0, 0x7fff
	v_or_b32_e32 v94, 0x400000, v79
	v_bfe_u32 v95, v86, 16, 1
	v_add3_u32 v93, v93, v79, 0x7fff
	v_cvt_f32_fp8_e32 v16, v16
	s_wait_alu 0xf1ff
	v_cndmask_b32_e64 v0, v90, v91, s0
	v_cmp_u_f32_e64 s0, v79, v79
	v_mul_f32_e32 v87, s14, v87
	v_or_b32_e32 v96, 0x400000, v86
	v_bfe_u32 v97, v15, 16, 1
	v_add3_u32 v95, v95, v86, 0x7fff
	s_wait_alu 0xf1ff
	v_cndmask_b32_e64 v79, v93, v94, s0
	v_cmp_u_f32_e64 s0, v86, v86
	v_mul_f32_e32 v16, s14, v16
	v_or_b32_e32 v98, 0x400000, v15
	v_bfe_u32 v99, v87, 16, 1
	v_add3_u32 v97, v97, v15, 0x7fff
	s_wait_alu 0xf1ff
	v_cndmask_b32_e64 v86, v95, v96, s0
	v_cmp_u_f32_e64 s0, v15, v15
	v_or_b32_e32 v100, 0x400000, v87
	v_bfe_u32 v101, v88, 16, 1
	v_add3_u32 v99, v99, v87, 0x7fff
	v_or_b32_e32 v102, 0x400000, v88
	s_wait_alu 0xf1ff
	v_cndmask_b32_e64 v15, v97, v98, s0
	v_cmp_u_f32_e64 s0, v87, v87
	v_bfe_u32 v103, v89, 16, 1
	v_add3_u32 v101, v101, v88, 0x7fff
	v_or_b32_e32 v104, 0x400000, v89
	v_bfe_u32 v105, v16, 16, 1
	s_wait_alu 0xf1ff
	v_cndmask_b32_e64 v87, v99, v100, s0
	v_cmp_u_f32_e64 s0, v88, v88
	v_add3_u32 v103, v103, v89, 0x7fff
	v_or_b32_e32 v106, 0x400000, v16
	v_add3_u32 v105, v105, v16, 0x7fff
	v_lshrrev_b32_e32 v91, 16, v0
	s_wait_alu 0xf1ff
	v_cndmask_b32_e64 v88, v101, v102, s0
	v_cmp_u_f32_e64 s0, v89, v89
	v_lshrrev_b32_e32 v93, 16, v79
	v_lshrrev_b32_e32 v89, 16, v86
	;; [unrolled: 1-line block ×4, first 2 shown]
	s_wait_alu 0xf1ff
	v_cndmask_b32_e64 v94, v103, v104, s0
	v_cmp_u_f32_e64 s0, v16, v16
	v_lshrrev_b32_e32 v88, 16, v88
	s_delay_alu instid0(VALU_DEP_3) | instskip(SKIP_1) | instid1(VALU_DEP_3)
	v_lshrrev_b32_e32 v79, 16, v94
	s_wait_alu 0xf1ff
	v_cndmask_b32_e64 v16, v105, v106, s0
	s_delay_alu instid0(VALU_DEP_1)
	v_lshrrev_b32_e32 v86, 16, v16
	s_and_saveexec_b32 s15, vcc_lo
	s_cbranch_execz .LBB353_51
; %bb.50:                               ;   in Loop: Header=BB353_38 Depth=1
	v_cmp_gt_i32_e64 s0, s34, v78
	s_wait_alu 0xf1ff
	s_delay_alu instid0(VALU_DEP_1) | instskip(SKIP_2) | instid1(VALU_DEP_1)
	v_cndmask_b32_e64 v91, 0, v91, s0
	v_cmp_gt_i32_e64 s0, s34, v85
	s_wait_alu 0xf1ff
	v_cndmask_b32_e64 v93, 0, v93, s0
	v_cmp_gt_i32_e64 s0, s34, v84
	s_wait_alu 0xf1ff
	s_delay_alu instid0(VALU_DEP_1) | instskip(SKIP_2) | instid1(VALU_DEP_1)
	v_cndmask_b32_e64 v89, 0, v89, s0
	v_cmp_gt_i32_e64 s0, s34, v83
	s_wait_alu 0xf1ff
	v_cndmask_b32_e64 v90, 0, v90, s0
	;; [unrolled: 7-line block ×4, first 2 shown]
.LBB353_51:                             ;   in Loop: Header=BB353_38 Depth=1
	s_wait_alu 0xfffe
	s_or_b32 exec_lo, exec_lo, s15
	global_load_b64 v[15:16], v[13:14], off offset:1536
	s_wait_loadcnt 0x0
	v_bfe_u32 v97, v16, 8, 8
	v_bfe_u32 v94, v15, 8, 8
	;; [unrolled: 1-line block ×4, first 2 shown]
	s_delay_alu instid0(VALU_DEP_4)
	v_cvt_f32_fp8_e32 v97, v97
	v_and_b32_e32 v0, 0xff, v15
	v_lshrrev_b32_e32 v15, 24, v15
	v_cvt_f32_fp8_e32 v94, v94
	v_cvt_f32_fp8_e32 v95, v95
	v_mul_f32_e32 v97, s14, v97
	v_cvt_f32_fp8_e32 v0, v0
	v_cvt_f32_fp8_e32 v15, v15
	v_mul_f32_e32 v94, s14, v94
	v_dual_mul_f32 v95, s14, v95 :: v_dual_and_b32 v96, 0xff, v16
	s_delay_alu instid0(VALU_DEP_3) | instskip(NEXT) | instid1(VALU_DEP_3)
	v_dual_mul_f32 v0, s14, v0 :: v_dual_mul_f32 v15, s14, v15
	v_bfe_u32 v101, v94, 16, 1
	s_delay_alu instid0(VALU_DEP_3) | instskip(SKIP_1) | instid1(VALU_DEP_4)
	v_cvt_f32_fp8_e32 v96, v96
	v_or_b32_e32 v102, 0x400000, v94
	v_bfe_u32 v99, v0, 16, 1
	v_or_b32_e32 v100, 0x400000, v0
	v_cmp_u_f32_e64 s0, v0, v0
	v_bfe_u32 v103, v95, 16, 1
	v_add3_u32 v101, v101, v94, 0x7fff
	v_add3_u32 v99, v99, v0, 0x7fff
	v_mul_f32_e32 v96, s14, v96
	v_or_b32_e32 v104, 0x400000, v95
	v_bfe_u32 v105, v15, 16, 1
	v_add3_u32 v103, v103, v95, 0x7fff
	s_wait_alu 0xf1ff
	v_cndmask_b32_e64 v0, v99, v100, s0
	v_cmp_u_f32_e64 s0, v94, v94
	v_lshrrev_b32_e32 v16, 24, v16
	v_cvt_f32_fp8_e32 v98, v98
	v_or_b32_e32 v106, 0x400000, v15
	v_bfe_u32 v107, v96, 16, 1
	s_wait_alu 0xf1ff
	v_cndmask_b32_e64 v94, v101, v102, s0
	v_cmp_u_f32_e64 s0, v95, v95
	v_add3_u32 v105, v105, v15, 0x7fff
	v_cvt_f32_fp8_e32 v16, v16
	v_mul_f32_e32 v98, s14, v98
	v_or_b32_e32 v108, 0x400000, v96
	s_wait_alu 0xf1ff
	v_cndmask_b32_e64 v95, v103, v104, s0
	v_cmp_u_f32_e64 s0, v15, v15
	v_bfe_u32 v109, v97, 16, 1
	v_add3_u32 v107, v107, v96, 0x7fff
	v_mul_f32_e32 v16, s14, v16
	v_or_b32_e32 v110, 0x400000, v97
	s_wait_alu 0xf1ff
	v_cndmask_b32_e64 v15, v105, v106, s0
	v_cmp_u_f32_e64 s0, v96, v96
	v_bfe_u32 v111, v98, 16, 1
	v_add3_u32 v109, v109, v97, 0x7fff
	v_or_b32_e32 v112, 0x400000, v98
	v_bfe_u32 v113, v16, 16, 1
	s_wait_alu 0xf1ff
	v_cndmask_b32_e64 v96, v107, v108, s0
	v_cmp_u_f32_e64 s0, v97, v97
	v_add3_u32 v111, v111, v98, 0x7fff
	v_or_b32_e32 v114, 0x400000, v16
	v_add3_u32 v113, v113, v16, 0x7fff
	v_lshrrev_b32_e32 v100, 16, v0
	s_wait_alu 0xf1ff
	v_cndmask_b32_e64 v97, v109, v110, s0
	v_cmp_u_f32_e64 s0, v98, v98
	v_lshrrev_b32_e32 v101, 16, v94
	v_lshrrev_b32_e32 v98, 16, v95
	;; [unrolled: 1-line block ×4, first 2 shown]
	s_wait_alu 0xf1ff
	v_cndmask_b32_e64 v102, v111, v112, s0
	v_cmp_u_f32_e64 s0, v16, v16
	v_lshrrev_b32_e32 v97, 16, v97
	s_delay_alu instid0(VALU_DEP_3) | instskip(SKIP_1) | instid1(VALU_DEP_3)
	v_lshrrev_b32_e32 v94, 16, v102
	s_wait_alu 0xf1ff
	v_cndmask_b32_e64 v16, v113, v114, s0
	s_delay_alu instid0(VALU_DEP_1)
	v_lshrrev_b32_e32 v95, 16, v16
	s_and_saveexec_b32 s15, vcc_lo
	s_cbranch_execz .LBB353_53
; %bb.52:                               ;   in Loop: Header=BB353_38 Depth=1
	v_cmp_gt_i32_e64 s0, s34, v78
	s_wait_alu 0xf1ff
	s_delay_alu instid0(VALU_DEP_1) | instskip(SKIP_2) | instid1(VALU_DEP_1)
	v_cndmask_b32_e64 v100, 0, v100, s0
	v_cmp_gt_i32_e64 s0, s34, v85
	s_wait_alu 0xf1ff
	v_cndmask_b32_e64 v101, 0, v101, s0
	v_cmp_gt_i32_e64 s0, s34, v84
	s_wait_alu 0xf1ff
	s_delay_alu instid0(VALU_DEP_1) | instskip(SKIP_2) | instid1(VALU_DEP_1)
	v_cndmask_b32_e64 v98, 0, v98, s0
	v_cmp_gt_i32_e64 s0, s34, v83
	s_wait_alu 0xf1ff
	v_cndmask_b32_e64 v99, 0, v99, s0
	;; [unrolled: 7-line block ×4, first 2 shown]
.LBB353_53:                             ;   in Loop: Header=BB353_38 Depth=1
	s_wait_alu 0xfffe
	s_or_b32 exec_lo, exec_lo, s15
	global_load_b64 v[15:16], v[13:14], off offset:1792
	s_wait_loadcnt 0x0
	v_bfe_u32 v105, v16, 8, 8
	v_bfe_u32 v102, v15, 8, 8
	;; [unrolled: 1-line block ×4, first 2 shown]
	s_delay_alu instid0(VALU_DEP_4)
	v_cvt_f32_fp8_e32 v105, v105
	v_and_b32_e32 v0, 0xff, v15
	v_lshrrev_b32_e32 v15, 24, v15
	v_cvt_f32_fp8_e32 v102, v102
	v_cvt_f32_fp8_e32 v103, v103
	v_mul_f32_e32 v105, s14, v105
	v_cvt_f32_fp8_e32 v0, v0
	v_cvt_f32_fp8_e32 v15, v15
	v_mul_f32_e32 v102, s14, v102
	v_dual_mul_f32 v103, s14, v103 :: v_dual_and_b32 v104, 0xff, v16
	s_delay_alu instid0(VALU_DEP_3) | instskip(NEXT) | instid1(VALU_DEP_3)
	v_dual_mul_f32 v0, s14, v0 :: v_dual_mul_f32 v15, s14, v15
	v_bfe_u32 v109, v102, 16, 1
	s_delay_alu instid0(VALU_DEP_3) | instskip(SKIP_1) | instid1(VALU_DEP_4)
	v_cvt_f32_fp8_e32 v104, v104
	v_or_b32_e32 v110, 0x400000, v102
	v_bfe_u32 v107, v0, 16, 1
	v_or_b32_e32 v108, 0x400000, v0
	v_cmp_u_f32_e64 s0, v0, v0
	v_bfe_u32 v111, v103, 16, 1
	v_add3_u32 v109, v109, v102, 0x7fff
	v_add3_u32 v107, v107, v0, 0x7fff
	v_mul_f32_e32 v104, s14, v104
	v_or_b32_e32 v112, 0x400000, v103
	v_bfe_u32 v113, v15, 16, 1
	v_add3_u32 v111, v111, v103, 0x7fff
	s_wait_alu 0xf1ff
	v_cndmask_b32_e64 v0, v107, v108, s0
	v_cmp_u_f32_e64 s0, v102, v102
	v_lshrrev_b32_e32 v16, 24, v16
	v_cvt_f32_fp8_e32 v106, v106
	v_or_b32_e32 v114, 0x400000, v15
	v_bfe_u32 v115, v104, 16, 1
	s_wait_alu 0xf1ff
	v_cndmask_b32_e64 v102, v109, v110, s0
	v_cmp_u_f32_e64 s0, v103, v103
	v_add3_u32 v113, v113, v15, 0x7fff
	v_cvt_f32_fp8_e32 v16, v16
	v_mul_f32_e32 v106, s14, v106
	v_or_b32_e32 v116, 0x400000, v104
	s_wait_alu 0xf1ff
	v_cndmask_b32_e64 v103, v111, v112, s0
	v_cmp_u_f32_e64 s0, v15, v15
	v_bfe_u32 v117, v105, 16, 1
	v_add3_u32 v115, v115, v104, 0x7fff
	v_mul_f32_e32 v16, s14, v16
	v_or_b32_e32 v118, 0x400000, v105
	s_wait_alu 0xf1ff
	v_cndmask_b32_e64 v15, v113, v114, s0
	v_cmp_u_f32_e64 s0, v104, v104
	v_bfe_u32 v119, v106, 16, 1
	v_add3_u32 v117, v117, v105, 0x7fff
	v_or_b32_e32 v120, 0x400000, v106
	v_bfe_u32 v121, v16, 16, 1
	s_wait_alu 0xf1ff
	v_cndmask_b32_e64 v104, v115, v116, s0
	v_cmp_u_f32_e64 s0, v105, v105
	v_add3_u32 v119, v119, v106, 0x7fff
	v_or_b32_e32 v122, 0x400000, v16
	v_add3_u32 v121, v121, v16, 0x7fff
	v_lshrrev_b32_e32 v108, 16, v0
	s_wait_alu 0xf1ff
	v_cndmask_b32_e64 v105, v117, v118, s0
	v_cmp_u_f32_e64 s0, v106, v106
	v_lshrrev_b32_e32 v109, 16, v102
	v_lshrrev_b32_e32 v106, 16, v103
	;; [unrolled: 1-line block ×4, first 2 shown]
	s_wait_alu 0xf1ff
	v_cndmask_b32_e64 v110, v119, v120, s0
	v_cmp_u_f32_e64 s0, v16, v16
	v_lshrrev_b32_e32 v105, 16, v105
	s_delay_alu instid0(VALU_DEP_3) | instskip(SKIP_1) | instid1(VALU_DEP_3)
	v_lshrrev_b32_e32 v102, 16, v110
	s_wait_alu 0xf1ff
	v_cndmask_b32_e64 v16, v121, v122, s0
	s_delay_alu instid0(VALU_DEP_1)
	v_lshrrev_b32_e32 v103, 16, v16
	s_and_saveexec_b32 s15, vcc_lo
	s_cbranch_execz .LBB353_55
; %bb.54:                               ;   in Loop: Header=BB353_38 Depth=1
	v_cmp_gt_i32_e64 s0, s34, v78
	s_wait_alu 0xf1ff
	s_delay_alu instid0(VALU_DEP_1) | instskip(SKIP_2) | instid1(VALU_DEP_1)
	v_cndmask_b32_e64 v108, 0, v108, s0
	v_cmp_gt_i32_e64 s0, s34, v85
	s_wait_alu 0xf1ff
	v_cndmask_b32_e64 v109, 0, v109, s0
	v_cmp_gt_i32_e64 s0, s34, v84
	s_wait_alu 0xf1ff
	s_delay_alu instid0(VALU_DEP_1) | instskip(SKIP_2) | instid1(VALU_DEP_1)
	v_cndmask_b32_e64 v106, 0, v106, s0
	v_cmp_gt_i32_e64 s0, s34, v83
	s_wait_alu 0xf1ff
	v_cndmask_b32_e64 v107, 0, v107, s0
	;; [unrolled: 7-line block ×4, first 2 shown]
.LBB353_55:                             ;   in Loop: Header=BB353_38 Depth=1
	s_wait_alu 0xfffe
	s_or_b32 exec_lo, exec_lo, s15
	global_load_b64 v[15:16], v[13:14], off offset:2048
	s_wait_loadcnt 0x0
	v_bfe_u32 v113, v16, 8, 8
	v_bfe_u32 v110, v15, 8, 8
	;; [unrolled: 1-line block ×4, first 2 shown]
	s_delay_alu instid0(VALU_DEP_4)
	v_cvt_f32_fp8_e32 v113, v113
	v_and_b32_e32 v0, 0xff, v15
	v_lshrrev_b32_e32 v15, 24, v15
	v_cvt_f32_fp8_e32 v110, v110
	v_cvt_f32_fp8_e32 v111, v111
	v_mul_f32_e32 v113, s14, v113
	v_cvt_f32_fp8_e32 v0, v0
	v_cvt_f32_fp8_e32 v15, v15
	v_mul_f32_e32 v110, s14, v110
	v_dual_mul_f32 v111, s14, v111 :: v_dual_and_b32 v112, 0xff, v16
	s_delay_alu instid0(VALU_DEP_3) | instskip(NEXT) | instid1(VALU_DEP_3)
	v_dual_mul_f32 v0, s14, v0 :: v_dual_mul_f32 v15, s14, v15
	v_bfe_u32 v117, v110, 16, 1
	s_delay_alu instid0(VALU_DEP_3) | instskip(SKIP_1) | instid1(VALU_DEP_4)
	v_cvt_f32_fp8_e32 v112, v112
	v_or_b32_e32 v118, 0x400000, v110
	v_bfe_u32 v115, v0, 16, 1
	v_or_b32_e32 v116, 0x400000, v0
	v_cmp_u_f32_e64 s0, v0, v0
	v_bfe_u32 v119, v111, 16, 1
	v_add3_u32 v117, v117, v110, 0x7fff
	v_add3_u32 v115, v115, v0, 0x7fff
	v_mul_f32_e32 v112, s14, v112
	v_or_b32_e32 v120, 0x400000, v111
	v_bfe_u32 v121, v15, 16, 1
	v_add3_u32 v119, v119, v111, 0x7fff
	s_wait_alu 0xf1ff
	v_cndmask_b32_e64 v0, v115, v116, s0
	v_cmp_u_f32_e64 s0, v110, v110
	v_lshrrev_b32_e32 v16, 24, v16
	v_cvt_f32_fp8_e32 v114, v114
	v_or_b32_e32 v122, 0x400000, v15
	v_bfe_u32 v123, v112, 16, 1
	s_wait_alu 0xf1ff
	v_cndmask_b32_e64 v110, v117, v118, s0
	v_cmp_u_f32_e64 s0, v111, v111
	v_add3_u32 v121, v121, v15, 0x7fff
	v_cvt_f32_fp8_e32 v16, v16
	v_mul_f32_e32 v114, s14, v114
	v_or_b32_e32 v124, 0x400000, v112
	s_wait_alu 0xf1ff
	v_cndmask_b32_e64 v111, v119, v120, s0
	v_cmp_u_f32_e64 s0, v15, v15
	v_bfe_u32 v125, v113, 16, 1
	v_add3_u32 v123, v123, v112, 0x7fff
	v_mul_f32_e32 v16, s14, v16
	v_or_b32_e32 v126, 0x400000, v113
	s_wait_alu 0xf1ff
	v_cndmask_b32_e64 v15, v121, v122, s0
	v_cmp_u_f32_e64 s0, v112, v112
	v_bfe_u32 v127, v114, 16, 1
	v_add3_u32 v125, v125, v113, 0x7fff
	v_or_b32_e32 v128, 0x400000, v114
	v_bfe_u32 v129, v16, 16, 1
	s_wait_alu 0xf1ff
	v_cndmask_b32_e64 v112, v123, v124, s0
	v_cmp_u_f32_e64 s0, v113, v113
	v_add3_u32 v127, v127, v114, 0x7fff
	v_or_b32_e32 v130, 0x400000, v16
	v_add3_u32 v129, v129, v16, 0x7fff
	v_lshrrev_b32_e32 v122, 16, v0
	s_wait_alu 0xf1ff
	v_cndmask_b32_e64 v113, v125, v126, s0
	v_cmp_u_f32_e64 s0, v114, v114
	v_lshrrev_b32_e32 v123, 16, v110
	v_lshrrev_b32_e32 v120, 16, v111
	;; [unrolled: 1-line block ×4, first 2 shown]
	s_wait_alu 0xf1ff
	v_cndmask_b32_e64 v114, v127, v128, s0
	v_cmp_u_f32_e64 s0, v16, v16
	v_lshrrev_b32_e32 v119, 16, v113
	s_delay_alu instid0(VALU_DEP_3) | instskip(SKIP_1) | instid1(VALU_DEP_3)
	v_lshrrev_b32_e32 v116, 16, v114
	s_wait_alu 0xf1ff
	v_cndmask_b32_e64 v16, v129, v130, s0
	s_delay_alu instid0(VALU_DEP_1)
	v_lshrrev_b32_e32 v117, 16, v16
	s_and_saveexec_b32 s15, vcc_lo
	s_cbranch_execz .LBB353_57
; %bb.56:                               ;   in Loop: Header=BB353_38 Depth=1
	v_cmp_gt_i32_e64 s0, s34, v78
	s_wait_alu 0xf1ff
	s_delay_alu instid0(VALU_DEP_1) | instskip(SKIP_2) | instid1(VALU_DEP_1)
	v_cndmask_b32_e64 v122, 0, v122, s0
	v_cmp_gt_i32_e64 s0, s34, v85
	s_wait_alu 0xf1ff
	v_cndmask_b32_e64 v123, 0, v123, s0
	v_cmp_gt_i32_e64 s0, s34, v84
	s_wait_alu 0xf1ff
	s_delay_alu instid0(VALU_DEP_1) | instskip(SKIP_2) | instid1(VALU_DEP_1)
	v_cndmask_b32_e64 v120, 0, v120, s0
	v_cmp_gt_i32_e64 s0, s34, v83
	s_wait_alu 0xf1ff
	v_cndmask_b32_e64 v121, 0, v121, s0
	;; [unrolled: 7-line block ×4, first 2 shown]
.LBB353_57:                             ;   in Loop: Header=BB353_38 Depth=1
	s_wait_alu 0xfffe
	s_or_b32 exec_lo, exec_lo, s15
	global_load_b64 v[15:16], v[13:14], off offset:2304
	s_wait_loadcnt 0x0
	v_bfe_u32 v113, v16, 8, 8
	v_bfe_u32 v110, v15, 8, 8
	;; [unrolled: 1-line block ×4, first 2 shown]
	s_delay_alu instid0(VALU_DEP_4)
	v_cvt_f32_fp8_e32 v113, v113
	v_and_b32_e32 v0, 0xff, v15
	v_lshrrev_b32_e32 v15, 24, v15
	v_cvt_f32_fp8_e32 v110, v110
	v_cvt_f32_fp8_e32 v111, v111
	v_mul_f32_e32 v113, s14, v113
	v_cvt_f32_fp8_e32 v0, v0
	v_cvt_f32_fp8_e32 v15, v15
	v_mul_f32_e32 v110, s14, v110
	v_dual_mul_f32 v111, s14, v111 :: v_dual_and_b32 v112, 0xff, v16
	s_delay_alu instid0(VALU_DEP_3) | instskip(NEXT) | instid1(VALU_DEP_3)
	v_dual_mul_f32 v0, s14, v0 :: v_dual_mul_f32 v15, s14, v15
	v_bfe_u32 v125, v110, 16, 1
	s_delay_alu instid0(VALU_DEP_3) | instskip(SKIP_1) | instid1(VALU_DEP_4)
	v_cvt_f32_fp8_e32 v112, v112
	v_or_b32_e32 v126, 0x400000, v110
	v_bfe_u32 v115, v0, 16, 1
	v_or_b32_e32 v124, 0x400000, v0
	v_cmp_u_f32_e64 s0, v0, v0
	v_bfe_u32 v127, v111, 16, 1
	v_add3_u32 v125, v125, v110, 0x7fff
	v_add3_u32 v115, v115, v0, 0x7fff
	v_mul_f32_e32 v112, s14, v112
	v_or_b32_e32 v128, 0x400000, v111
	v_bfe_u32 v129, v15, 16, 1
	v_add3_u32 v127, v127, v111, 0x7fff
	s_wait_alu 0xf1ff
	v_cndmask_b32_e64 v0, v115, v124, s0
	v_cmp_u_f32_e64 s0, v110, v110
	v_lshrrev_b32_e32 v16, 24, v16
	v_cvt_f32_fp8_e32 v114, v114
	v_or_b32_e32 v130, 0x400000, v15
	v_bfe_u32 v131, v112, 16, 1
	s_wait_alu 0xf1ff
	v_cndmask_b32_e64 v110, v125, v126, s0
	v_cmp_u_f32_e64 s0, v111, v111
	v_add3_u32 v129, v129, v15, 0x7fff
	v_cvt_f32_fp8_e32 v16, v16
	v_mul_f32_e32 v114, s14, v114
	v_or_b32_e32 v132, 0x400000, v112
	s_wait_alu 0xf1ff
	v_cndmask_b32_e64 v111, v127, v128, s0
	v_cmp_u_f32_e64 s0, v15, v15
	v_bfe_u32 v133, v113, 16, 1
	v_add3_u32 v131, v131, v112, 0x7fff
	v_mul_f32_e32 v16, s14, v16
	v_or_b32_e32 v134, 0x400000, v113
	s_wait_alu 0xf1ff
	v_cndmask_b32_e64 v15, v129, v130, s0
	v_cmp_u_f32_e64 s0, v112, v112
	v_bfe_u32 v135, v114, 16, 1
	v_add3_u32 v133, v133, v113, 0x7fff
	v_or_b32_e32 v136, 0x400000, v114
	v_bfe_u32 v137, v16, 16, 1
	s_wait_alu 0xf1ff
	v_cndmask_b32_e64 v112, v131, v132, s0
	v_cmp_u_f32_e64 s0, v113, v113
	v_add3_u32 v135, v135, v114, 0x7fff
	v_or_b32_e32 v138, 0x400000, v16
	v_add3_u32 v137, v137, v16, 0x7fff
	v_lshrrev_b32_e32 v127, 16, v0
	s_wait_alu 0xf1ff
	v_cndmask_b32_e64 v113, v133, v134, s0
	v_cmp_u_f32_e64 s0, v114, v114
	v_lshrrev_b32_e32 v128, 16, v110
	v_lshrrev_b32_e32 v125, 16, v111
	;; [unrolled: 1-line block ×4, first 2 shown]
	s_wait_alu 0xf1ff
	v_cndmask_b32_e64 v114, v135, v136, s0
	v_cmp_u_f32_e64 s0, v16, v16
	v_lshrrev_b32_e32 v16, 16, v112
	s_delay_alu instid0(VALU_DEP_3) | instskip(SKIP_1) | instid1(VALU_DEP_3)
	v_lshrrev_b32_e32 v0, 16, v114
	s_wait_alu 0xf1ff
	v_cndmask_b32_e64 v115, v137, v138, s0
	s_delay_alu instid0(VALU_DEP_1)
	v_lshrrev_b32_e32 v15, 16, v115
	s_and_saveexec_b32 s15, vcc_lo
	s_cbranch_execz .LBB353_59
; %bb.58:                               ;   in Loop: Header=BB353_38 Depth=1
	v_cmp_gt_i32_e64 s0, s34, v78
	s_wait_alu 0xf1ff
	s_delay_alu instid0(VALU_DEP_1) | instskip(SKIP_2) | instid1(VALU_DEP_1)
	v_cndmask_b32_e64 v127, 0, v127, s0
	v_cmp_gt_i32_e64 s0, s34, v85
	s_wait_alu 0xf1ff
	v_cndmask_b32_e64 v128, 0, v128, s0
	v_cmp_gt_i32_e64 s0, s34, v84
	s_wait_alu 0xf1ff
	s_delay_alu instid0(VALU_DEP_1) | instskip(SKIP_2) | instid1(VALU_DEP_1)
	v_cndmask_b32_e64 v125, 0, v125, s0
	v_cmp_gt_i32_e64 s0, s34, v83
	s_wait_alu 0xf1ff
	v_cndmask_b32_e64 v126, 0, v126, s0
	;; [unrolled: 7-line block ×4, first 2 shown]
.LBB353_59:                             ;   in Loop: Header=BB353_38 Depth=1
	s_wait_alu 0xfffe
	s_or_b32 exec_lo, exec_lo, s15
	global_load_b64 v[110:111], v[13:14], off offset:2560
	s_wait_loadcnt 0x0
	v_bfe_u32 v113, v110, 8, 8
	v_bfe_u32 v114, v110, 16, 8
	;; [unrolled: 1-line block ×4, first 2 shown]
	s_delay_alu instid0(VALU_DEP_4)
	v_cvt_f32_fp8_e32 v113, v113
	v_and_b32_e32 v112, 0xff, v110
	v_lshrrev_b32_e32 v110, 24, v110
	v_cvt_f32_fp8_e32 v114, v114
	v_cvt_f32_fp8_e32 v129, v129
	v_mul_f32_e32 v113, s14, v113
	v_cvt_f32_fp8_e32 v112, v112
	v_and_b32_e32 v115, 0xff, v111
	v_cvt_f32_fp8_e32 v110, v110
	v_lshrrev_b32_e32 v111, 24, v111
	v_bfe_u32 v133, v113, 16, 1
	v_mul_f32_e32 v112, s14, v112
	v_cvt_f32_fp8_e32 v115, v115
	v_mul_f32_e32 v114, s14, v114
	v_dual_mul_f32 v110, s14, v110 :: v_dual_mul_f32 v129, s14, v129
	s_delay_alu instid0(VALU_DEP_4)
	v_bfe_u32 v131, v112, 16, 1
	v_or_b32_e32 v132, 0x400000, v112
	v_cmp_u_f32_e64 s0, v112, v112
	v_mul_f32_e32 v115, s14, v115
	v_or_b32_e32 v134, 0x400000, v113
	v_add3_u32 v131, v131, v112, 0x7fff
	v_bfe_u32 v135, v114, 16, 1
	v_add3_u32 v133, v133, v113, 0x7fff
	v_or_b32_e32 v136, 0x400000, v114
	v_bfe_u32 v137, v110, 16, 1
	s_wait_alu 0xf1ff
	v_cndmask_b32_e64 v112, v131, v132, s0
	v_cmp_u_f32_e64 s0, v113, v113
	v_add3_u32 v135, v135, v114, 0x7fff
	v_cvt_f32_fp8_e32 v130, v130
	v_or_b32_e32 v138, 0x400000, v110
	v_bfe_u32 v139, v115, 16, 1
	s_wait_alu 0xf1ff
	v_cndmask_b32_e64 v113, v133, v134, s0
	v_cmp_u_f32_e64 s0, v114, v114
	v_add3_u32 v137, v137, v110, 0x7fff
	v_cvt_f32_fp8_e32 v111, v111
	v_mul_f32_e32 v130, s14, v130
	v_or_b32_e32 v140, 0x400000, v115
	s_wait_alu 0xf1ff
	v_cndmask_b32_e64 v114, v135, v136, s0
	v_cmp_u_f32_e64 s0, v110, v110
	v_bfe_u32 v141, v129, 16, 1
	v_add3_u32 v139, v139, v115, 0x7fff
	v_mul_f32_e32 v111, s14, v111
	v_or_b32_e32 v142, 0x400000, v129
	s_wait_alu 0xf1ff
	v_cndmask_b32_e64 v110, v137, v138, s0
	v_cmp_u_f32_e64 s0, v115, v115
	v_bfe_u32 v143, v130, 16, 1
	v_add3_u32 v141, v141, v129, 0x7fff
	v_or_b32_e32 v144, 0x400000, v130
	v_bfe_u32 v145, v111, 16, 1
	s_wait_alu 0xf1ff
	v_cndmask_b32_e64 v115, v139, v140, s0
	v_cmp_u_f32_e64 s0, v129, v129
	v_add3_u32 v143, v143, v130, 0x7fff
	v_or_b32_e32 v146, 0x400000, v111
	v_add3_u32 v145, v145, v111, 0x7fff
	v_lshrrev_b32_e32 v135, 16, v112
	s_wait_alu 0xf1ff
	v_cndmask_b32_e64 v129, v141, v142, s0
	v_cmp_u_f32_e64 s0, v130, v130
	v_lshrrev_b32_e32 v136, 16, v113
	v_lshrrev_b32_e32 v133, 16, v114
	;; [unrolled: 1-line block ×4, first 2 shown]
	s_wait_alu 0xf1ff
	v_cndmask_b32_e64 v130, v143, v144, s0
	v_cmp_u_f32_e64 s0, v111, v111
	v_lshrrev_b32_e32 v132, 16, v129
	s_delay_alu instid0(VALU_DEP_3) | instskip(SKIP_1) | instid1(VALU_DEP_3)
	v_lshrrev_b32_e32 v129, 16, v130
	s_wait_alu 0xf1ff
	v_cndmask_b32_e64 v111, v145, v146, s0
	s_delay_alu instid0(VALU_DEP_1)
	v_lshrrev_b32_e32 v130, 16, v111
	s_and_saveexec_b32 s15, vcc_lo
	s_cbranch_execz .LBB353_61
; %bb.60:                               ;   in Loop: Header=BB353_38 Depth=1
	v_cmp_gt_i32_e64 s0, s34, v78
	s_wait_alu 0xf1ff
	s_delay_alu instid0(VALU_DEP_1) | instskip(SKIP_2) | instid1(VALU_DEP_1)
	v_cndmask_b32_e64 v135, 0, v135, s0
	v_cmp_gt_i32_e64 s0, s34, v85
	s_wait_alu 0xf1ff
	v_cndmask_b32_e64 v136, 0, v136, s0
	v_cmp_gt_i32_e64 s0, s34, v84
	s_wait_alu 0xf1ff
	s_delay_alu instid0(VALU_DEP_1) | instskip(SKIP_2) | instid1(VALU_DEP_1)
	v_cndmask_b32_e64 v133, 0, v133, s0
	v_cmp_gt_i32_e64 s0, s34, v83
	s_wait_alu 0xf1ff
	v_cndmask_b32_e64 v134, 0, v134, s0
	v_cmp_gt_i32_e64 s0, s34, v82
	s_wait_alu 0xf1ff
	s_delay_alu instid0(VALU_DEP_1) | instskip(SKIP_2) | instid1(VALU_DEP_1)
	v_cndmask_b32_e64 v131, 0, v131, s0
	v_cmp_gt_i32_e64 s0, s34, v81
	s_wait_alu 0xf1ff
	v_cndmask_b32_e64 v132, 0, v132, s0
	v_cmp_gt_i32_e64 s0, s34, v80
	s_wait_alu 0xf1ff
	s_delay_alu instid0(VALU_DEP_1) | instskip(SKIP_2) | instid1(VALU_DEP_1)
	v_cndmask_b32_e64 v129, 0, v129, s0
	v_cmp_gt_i32_e64 s0, s34, v92
	s_wait_alu 0xf1ff
	v_cndmask_b32_e64 v130, 0, v130, s0
.LBB353_61:                             ;   in Loop: Header=BB353_38 Depth=1
	s_wait_alu 0xfffe
	s_or_b32 exec_lo, exec_lo, s15
	global_load_b64 v[110:111], v[13:14], off offset:2816
	s_wait_loadcnt 0x0
	v_bfe_u32 v113, v110, 8, 8
	v_bfe_u32 v114, v110, 16, 8
	;; [unrolled: 1-line block ×4, first 2 shown]
	s_delay_alu instid0(VALU_DEP_4)
	v_cvt_f32_fp8_e32 v113, v113
	v_and_b32_e32 v112, 0xff, v110
	v_lshrrev_b32_e32 v110, 24, v110
	v_cvt_f32_fp8_e32 v114, v114
	v_cvt_f32_fp8_e32 v137, v137
	v_mul_f32_e32 v113, s14, v113
	v_cvt_f32_fp8_e32 v112, v112
	v_and_b32_e32 v115, 0xff, v111
	v_cvt_f32_fp8_e32 v110, v110
	v_lshrrev_b32_e32 v111, 24, v111
	v_bfe_u32 v141, v113, 16, 1
	v_mul_f32_e32 v112, s14, v112
	v_cvt_f32_fp8_e32 v115, v115
	v_mul_f32_e32 v114, s14, v114
	v_dual_mul_f32 v110, s14, v110 :: v_dual_mul_f32 v137, s14, v137
	s_delay_alu instid0(VALU_DEP_4)
	v_bfe_u32 v139, v112, 16, 1
	v_or_b32_e32 v140, 0x400000, v112
	v_cmp_u_f32_e64 s0, v112, v112
	v_mul_f32_e32 v115, s14, v115
	v_or_b32_e32 v142, 0x400000, v113
	v_add3_u32 v139, v139, v112, 0x7fff
	v_bfe_u32 v143, v114, 16, 1
	v_add3_u32 v141, v141, v113, 0x7fff
	v_or_b32_e32 v144, 0x400000, v114
	v_bfe_u32 v145, v110, 16, 1
	s_wait_alu 0xf1ff
	v_cndmask_b32_e64 v112, v139, v140, s0
	v_cmp_u_f32_e64 s0, v113, v113
	v_add3_u32 v143, v143, v114, 0x7fff
	v_cvt_f32_fp8_e32 v138, v138
	v_or_b32_e32 v146, 0x400000, v110
	v_bfe_u32 v147, v115, 16, 1
	s_wait_alu 0xf1ff
	v_cndmask_b32_e64 v113, v141, v142, s0
	v_cmp_u_f32_e64 s0, v114, v114
	v_add3_u32 v145, v145, v110, 0x7fff
	v_cvt_f32_fp8_e32 v111, v111
	v_mul_f32_e32 v138, s14, v138
	v_or_b32_e32 v148, 0x400000, v115
	s_wait_alu 0xf1ff
	v_cndmask_b32_e64 v114, v143, v144, s0
	v_cmp_u_f32_e64 s0, v110, v110
	v_bfe_u32 v149, v137, 16, 1
	v_add3_u32 v147, v147, v115, 0x7fff
	v_mul_f32_e32 v111, s14, v111
	v_or_b32_e32 v150, 0x400000, v137
	s_wait_alu 0xf1ff
	v_cndmask_b32_e64 v110, v145, v146, s0
	v_cmp_u_f32_e64 s0, v115, v115
	v_bfe_u32 v151, v138, 16, 1
	v_add3_u32 v149, v149, v137, 0x7fff
	v_or_b32_e32 v152, 0x400000, v138
	v_bfe_u32 v153, v111, 16, 1
	s_wait_alu 0xf1ff
	v_cndmask_b32_e64 v115, v147, v148, s0
	v_cmp_u_f32_e64 s0, v137, v137
	v_add3_u32 v151, v151, v138, 0x7fff
	v_or_b32_e32 v154, 0x400000, v111
	v_add3_u32 v153, v153, v111, 0x7fff
	v_lshrrev_b32_e32 v143, 16, v112
	s_wait_alu 0xf1ff
	v_cndmask_b32_e64 v137, v149, v150, s0
	v_cmp_u_f32_e64 s0, v138, v138
	v_lshrrev_b32_e32 v144, 16, v113
	v_lshrrev_b32_e32 v141, 16, v114
	;; [unrolled: 1-line block ×4, first 2 shown]
	s_wait_alu 0xf1ff
	v_cndmask_b32_e64 v138, v151, v152, s0
	v_cmp_u_f32_e64 s0, v111, v111
	v_lshrrev_b32_e32 v140, 16, v137
	s_delay_alu instid0(VALU_DEP_3) | instskip(SKIP_1) | instid1(VALU_DEP_3)
	v_lshrrev_b32_e32 v137, 16, v138
	s_wait_alu 0xf1ff
	v_cndmask_b32_e64 v111, v153, v154, s0
	s_delay_alu instid0(VALU_DEP_1)
	v_lshrrev_b32_e32 v138, 16, v111
	s_and_saveexec_b32 s15, vcc_lo
	s_cbranch_execz .LBB353_63
; %bb.62:                               ;   in Loop: Header=BB353_38 Depth=1
	v_cmp_gt_i32_e64 s0, s34, v78
	s_wait_alu 0xf1ff
	s_delay_alu instid0(VALU_DEP_1) | instskip(SKIP_2) | instid1(VALU_DEP_1)
	v_cndmask_b32_e64 v143, 0, v143, s0
	v_cmp_gt_i32_e64 s0, s34, v85
	s_wait_alu 0xf1ff
	v_cndmask_b32_e64 v144, 0, v144, s0
	v_cmp_gt_i32_e64 s0, s34, v84
	s_wait_alu 0xf1ff
	s_delay_alu instid0(VALU_DEP_1) | instskip(SKIP_2) | instid1(VALU_DEP_1)
	v_cndmask_b32_e64 v141, 0, v141, s0
	v_cmp_gt_i32_e64 s0, s34, v83
	s_wait_alu 0xf1ff
	v_cndmask_b32_e64 v142, 0, v142, s0
	;; [unrolled: 7-line block ×4, first 2 shown]
.LBB353_63:                             ;   in Loop: Header=BB353_38 Depth=1
	s_wait_alu 0xfffe
	s_or_b32 exec_lo, exec_lo, s15
	global_load_b64 v[110:111], v[13:14], off offset:3072
	s_wait_loadcnt 0x0
	v_bfe_u32 v113, v110, 8, 8
	v_bfe_u32 v114, v110, 16, 8
	;; [unrolled: 1-line block ×4, first 2 shown]
	s_delay_alu instid0(VALU_DEP_4)
	v_cvt_f32_fp8_e32 v113, v113
	v_and_b32_e32 v112, 0xff, v110
	v_lshrrev_b32_e32 v110, 24, v110
	v_cvt_f32_fp8_e32 v114, v114
	v_cvt_f32_fp8_e32 v145, v145
	v_mul_f32_e32 v113, s14, v113
	v_cvt_f32_fp8_e32 v112, v112
	v_and_b32_e32 v115, 0xff, v111
	v_cvt_f32_fp8_e32 v110, v110
	v_lshrrev_b32_e32 v111, 24, v111
	v_bfe_u32 v149, v113, 16, 1
	v_mul_f32_e32 v112, s14, v112
	v_cvt_f32_fp8_e32 v115, v115
	v_mul_f32_e32 v114, s14, v114
	v_dual_mul_f32 v110, s14, v110 :: v_dual_mul_f32 v145, s14, v145
	s_delay_alu instid0(VALU_DEP_4)
	v_bfe_u32 v147, v112, 16, 1
	v_or_b32_e32 v148, 0x400000, v112
	v_cmp_u_f32_e64 s0, v112, v112
	v_mul_f32_e32 v115, s14, v115
	v_or_b32_e32 v150, 0x400000, v113
	v_add3_u32 v147, v147, v112, 0x7fff
	v_bfe_u32 v151, v114, 16, 1
	v_add3_u32 v149, v149, v113, 0x7fff
	v_or_b32_e32 v152, 0x400000, v114
	v_bfe_u32 v153, v110, 16, 1
	s_wait_alu 0xf1ff
	v_cndmask_b32_e64 v112, v147, v148, s0
	v_cmp_u_f32_e64 s0, v113, v113
	v_add3_u32 v151, v151, v114, 0x7fff
	v_cvt_f32_fp8_e32 v146, v146
	v_or_b32_e32 v154, 0x400000, v110
	v_bfe_u32 v155, v115, 16, 1
	s_wait_alu 0xf1ff
	v_cndmask_b32_e64 v113, v149, v150, s0
	v_cmp_u_f32_e64 s0, v114, v114
	v_add3_u32 v153, v153, v110, 0x7fff
	v_cvt_f32_fp8_e32 v111, v111
	v_mul_f32_e32 v146, s14, v146
	v_or_b32_e32 v156, 0x400000, v115
	s_wait_alu 0xf1ff
	v_cndmask_b32_e64 v114, v151, v152, s0
	v_cmp_u_f32_e64 s0, v110, v110
	v_bfe_u32 v157, v145, 16, 1
	v_add3_u32 v155, v155, v115, 0x7fff
	v_mul_f32_e32 v111, s14, v111
	v_or_b32_e32 v158, 0x400000, v145
	s_wait_alu 0xf1ff
	v_cndmask_b32_e64 v110, v153, v154, s0
	v_cmp_u_f32_e64 s0, v115, v115
	v_bfe_u32 v159, v146, 16, 1
	v_add3_u32 v157, v157, v145, 0x7fff
	v_or_b32_e32 v160, 0x400000, v146
	v_bfe_u32 v161, v111, 16, 1
	s_wait_alu 0xf1ff
	v_cndmask_b32_e64 v115, v155, v156, s0
	v_cmp_u_f32_e64 s0, v145, v145
	v_add3_u32 v159, v159, v146, 0x7fff
	v_or_b32_e32 v162, 0x400000, v111
	v_add3_u32 v161, v161, v111, 0x7fff
	v_lshrrev_b32_e32 v151, 16, v112
	s_wait_alu 0xf1ff
	v_cndmask_b32_e64 v145, v157, v158, s0
	v_cmp_u_f32_e64 s0, v146, v146
	v_lshrrev_b32_e32 v152, 16, v113
	v_lshrrev_b32_e32 v149, 16, v114
	;; [unrolled: 1-line block ×4, first 2 shown]
	s_wait_alu 0xf1ff
	v_cndmask_b32_e64 v146, v159, v160, s0
	v_cmp_u_f32_e64 s0, v111, v111
	v_lshrrev_b32_e32 v148, 16, v145
	s_delay_alu instid0(VALU_DEP_3) | instskip(SKIP_1) | instid1(VALU_DEP_3)
	v_lshrrev_b32_e32 v145, 16, v146
	s_wait_alu 0xf1ff
	v_cndmask_b32_e64 v111, v161, v162, s0
	s_delay_alu instid0(VALU_DEP_1)
	v_lshrrev_b32_e32 v146, 16, v111
	s_and_saveexec_b32 s15, vcc_lo
	s_cbranch_execz .LBB353_65
; %bb.64:                               ;   in Loop: Header=BB353_38 Depth=1
	v_cmp_gt_i32_e64 s0, s34, v78
	s_wait_alu 0xf1ff
	s_delay_alu instid0(VALU_DEP_1) | instskip(SKIP_2) | instid1(VALU_DEP_1)
	v_cndmask_b32_e64 v151, 0, v151, s0
	v_cmp_gt_i32_e64 s0, s34, v85
	s_wait_alu 0xf1ff
	v_cndmask_b32_e64 v152, 0, v152, s0
	v_cmp_gt_i32_e64 s0, s34, v84
	s_wait_alu 0xf1ff
	s_delay_alu instid0(VALU_DEP_1) | instskip(SKIP_2) | instid1(VALU_DEP_1)
	v_cndmask_b32_e64 v149, 0, v149, s0
	v_cmp_gt_i32_e64 s0, s34, v83
	s_wait_alu 0xf1ff
	v_cndmask_b32_e64 v150, 0, v150, s0
	;; [unrolled: 7-line block ×4, first 2 shown]
.LBB353_65:                             ;   in Loop: Header=BB353_38 Depth=1
	s_wait_alu 0xfffe
	s_or_b32 exec_lo, exec_lo, s15
	global_load_b64 v[13:14], v[13:14], off offset:3328
	s_wait_loadcnt 0x0
	v_bfe_u32 v111, v13, 8, 8
	v_bfe_u32 v112, v13, 16, 8
	;; [unrolled: 1-line block ×4, first 2 shown]
	s_delay_alu instid0(VALU_DEP_4)
	v_cvt_f32_fp8_e32 v111, v111
	v_and_b32_e32 v110, 0xff, v13
	v_lshrrev_b32_e32 v13, 24, v13
	v_cvt_f32_fp8_e32 v112, v112
	v_and_b32_e32 v113, 0xff, v14
	v_mul_f32_e32 v111, s14, v111
	v_cvt_f32_fp8_e32 v110, v110
	v_cvt_f32_fp8_e32 v13, v13
	v_mul_f32_e32 v112, s14, v112
	v_cvt_f32_fp8_e32 v113, v113
	v_bfe_u32 v155, v111, 16, 1
	s_delay_alu instid0(VALU_DEP_4) | instskip(SKIP_2) | instid1(VALU_DEP_4)
	v_dual_mul_f32 v110, s14, v110 :: v_dual_mul_f32 v13, s14, v13
	v_or_b32_e32 v156, 0x400000, v111
	v_bfe_u32 v157, v112, 16, 1
	v_add3_u32 v155, v155, v111, 0x7fff
	s_delay_alu instid0(VALU_DEP_4)
	v_bfe_u32 v153, v110, 16, 1
	v_or_b32_e32 v154, 0x400000, v110
	v_cmp_u_f32_e64 s0, v110, v110
	v_cvt_f32_fp8_e32 v114, v114
	v_mul_f32_e32 v113, s14, v113
	v_add3_u32 v153, v153, v110, 0x7fff
	v_or_b32_e32 v158, 0x400000, v112
	v_bfe_u32 v159, v13, 16, 1
	v_add3_u32 v157, v157, v112, 0x7fff
	v_lshrrev_b32_e32 v14, 24, v14
	s_wait_alu 0xf1ff
	v_cndmask_b32_e64 v110, v153, v154, s0
	v_cmp_u_f32_e64 s0, v111, v111
	v_cvt_f32_fp8_e32 v115, v115
	v_mul_f32_e32 v114, s14, v114
	v_or_b32_e32 v160, 0x400000, v13
	v_bfe_u32 v161, v113, 16, 1
	s_wait_alu 0xf1ff
	v_cndmask_b32_e64 v111, v155, v156, s0
	v_cmp_u_f32_e64 s0, v112, v112
	v_add3_u32 v159, v159, v13, 0x7fff
	v_cvt_f32_fp8_e32 v14, v14
	v_mul_f32_e32 v115, s14, v115
	v_or_b32_e32 v162, 0x400000, v113
	s_wait_alu 0xf1ff
	v_cndmask_b32_e64 v112, v157, v158, s0
	v_cmp_u_f32_e64 s0, v13, v13
	v_bfe_u32 v163, v114, 16, 1
	v_add3_u32 v161, v161, v113, 0x7fff
	v_mul_f32_e32 v14, s14, v14
	v_or_b32_e32 v164, 0x400000, v114
	s_wait_alu 0xf1ff
	v_cndmask_b32_e64 v13, v159, v160, s0
	v_cmp_u_f32_e64 s0, v113, v113
	v_bfe_u32 v165, v115, 16, 1
	v_add3_u32 v163, v163, v114, 0x7fff
	v_or_b32_e32 v166, 0x400000, v115
	v_bfe_u32 v167, v14, 16, 1
	s_wait_alu 0xf1ff
	v_cndmask_b32_e64 v153, v161, v162, s0
	v_cmp_u_f32_e64 s0, v114, v114
	v_add3_u32 v165, v165, v115, 0x7fff
	v_or_b32_e32 v168, 0x400000, v14
	v_add3_u32 v167, v167, v14, 0x7fff
	v_lshrrev_b32_e32 v114, 16, v111
	s_wait_alu 0xf1ff
	v_cndmask_b32_e64 v154, v163, v164, s0
	v_cmp_u_f32_e64 s0, v115, v115
	v_lshrrev_b32_e32 v115, 16, v110
	v_lshrrev_b32_e32 v113, 16, v112
	;; [unrolled: 1-line block ×4, first 2 shown]
	s_wait_alu 0xf1ff
	v_cndmask_b32_e64 v155, v165, v166, s0
	v_cmp_u_f32_e64 s0, v14, v14
	v_lshrrev_b32_e32 v110, 16, v154
	s_delay_alu instid0(VALU_DEP_3) | instskip(SKIP_1) | instid1(VALU_DEP_3)
	v_lshrrev_b32_e32 v14, 16, v155
	s_wait_alu 0xf1ff
	v_cndmask_b32_e64 v156, v167, v168, s0
	s_delay_alu instid0(VALU_DEP_1)
	v_lshrrev_b32_e32 v13, 16, v156
	s_and_saveexec_b32 s0, vcc_lo
	s_cbranch_execz .LBB353_36
; %bb.66:                               ;   in Loop: Header=BB353_38 Depth=1
	v_cmp_gt_i32_e32 vcc_lo, s34, v78
	s_wait_alu 0xfffd
	v_cndmask_b32_e32 v115, 0, v115, vcc_lo
	v_cmp_gt_i32_e32 vcc_lo, s34, v85
	s_wait_alu 0xfffd
	v_cndmask_b32_e32 v114, 0, v114, vcc_lo
	;; [unrolled: 3-line block ×8, first 2 shown]
	s_branch .LBB353_36
.LBB353_67:
	s_or_b32 exec_lo, exec_lo, s6
.LBB353_68:
	s_wait_alu 0xfffe
	s_or_b32 exec_lo, exec_lo, s1
	ds_bpermute_b32 v0, v20, v34
	ds_bpermute_b32 v1, v20, v35
	;; [unrolled: 1-line block ×14, first 2 shown]
	s_mov_b32 s0, exec_lo
	s_wait_dscnt 0xc
	v_dual_add_f32 v0, v34, v0 :: v_dual_add_f32 v1, v35, v1
	s_wait_dscnt 0xa
	v_dual_add_f32 v2, v33, v2 :: v_dual_add_f32 v3, v32, v3
	ds_bpermute_b32 v14, v19, v0
	s_wait_dscnt 0xa
	v_add_f32_e32 v22, v22, v13
	ds_bpermute_b32 v16, v19, v2
	s_wait_dscnt 0xa
	v_add_f32_e32 v24, v24, v11
	s_wait_dscnt 0x7
	v_dual_add_f32 v4, v31, v4 :: v_dual_add_f32 v5, v30, v5
	v_add_f32_e32 v26, v26, v9
	s_wait_dscnt 0x4
	v_dual_add_f32 v6, v29, v6 :: v_dual_add_f32 v27, v27, v8
	ds_bpermute_b32 v15, v19, v1
	ds_bpermute_b32 v18, v19, v4
	s_wait_dscnt 0x5
	v_dual_add_f32 v20, v28, v7 :: v_dual_add_f32 v25, v25, v10
	s_wait_dscnt 0x4
	v_add_f32_e32 v23, v23, v12
	ds_bpermute_b32 v31, v19, v26
	ds_bpermute_b32 v17, v19, v3
	;; [unrolled: 1-line block ×6, first 2 shown]
	s_wait_dscnt 0x9
	v_add_f32_e32 v13, v0, v14
	scratch_load_b32 v14, off, off th:TH_LOAD_LU ; 4-byte Folded Reload
	s_wait_dscnt 0x8
	v_add_f32_e32 v11, v2, v16
	scratch_load_b32 v16, off, off offset:220 th:TH_LOAD_LU ; 4-byte Folded Reload
	ds_bpermute_b32 v32, v19, v25
	ds_bpermute_b32 v33, v19, v24
	;; [unrolled: 1-line block ×4, first 2 shown]
	s_wait_storecnt 0x0
	s_wait_loadcnt_dscnt 0x0
	v_dual_add_f32 v12, v1, v15 :: v_dual_add_f32 v9, v4, v18
	s_barrier_signal -1
	s_barrier_wait -1
	global_inv scope:SCOPE_SE
	v_add_f32_e32 v4, v26, v31
	v_add_f32_e32 v10, v3, v17
	v_dual_add_f32 v8, v5, v7 :: v_dual_add_f32 v7, v6, v28
	v_dual_add_f32 v6, v20, v29 :: v_dual_add_f32 v5, v27, v30
	v_and_b32_e32 v17, 0x3c3, v169
	v_dual_add_f32 v3, v25, v32 :: v_dual_add_f32 v0, v24, v33
	v_dual_add_f32 v1, v23, v34 :: v_dual_add_f32 v2, v22, v19
	v_and_b32_e32 v15, 28, v14
	v_lshrrev_b32_e32 v14, 2, v14
	v_mul_u32_u24_e32 v16, 0x1c0, v16
	s_delay_alu instid0(VALU_DEP_3)
	v_add_nc_u32_e32 v15, 0x100, v15
	v_cmpx_eq_u32_e32 64, v17
	s_cbranch_execz .LBB353_70
; %bb.69:
	s_delay_alu instid0(VALU_DEP_2) | instskip(NEXT) | instid1(VALU_DEP_1)
	v_add_nc_u32_e32 v17, v15, v16
	v_add_nc_u32_e32 v18, 0xfffffc80, v17
	;; [unrolled: 1-line block ×9, first 2 shown]
	ds_store_b32 v18, v13
	ds_store_b32 v19, v12
	ds_store_b32 v20, v11
	ds_store_b32 v22, v10
	ds_store_b32 v23, v9
	ds_store_b32 v24, v8
	ds_store_b32 v25, v7
	ds_store_b32 v26, v6
	v_add_nc_u32_e32 v18, 0xfffffd80, v17
	v_add_nc_u32_e32 v19, 0xfffffda0, v17
	;; [unrolled: 1-line block ×6, first 2 shown]
	ds_store_b32 v18, v5
	ds_store_b32 v19, v4
	;; [unrolled: 1-line block ×6, first 2 shown]
.LBB353_70:
	s_wait_alu 0xfffe
	s_or_b32 exec_lo, exec_lo, s0
	v_lshlrev_b32_e32 v14, 2, v14
	s_mov_b32 s1, exec_lo
	v_cmp_eq_u32_e32 vcc_lo, 0, v21
	s_wait_loadcnt_dscnt 0x0
	s_barrier_signal -1
	v_add3_u32 v14, 0x100, v16, v14
	s_barrier_wait -1
	global_inv scope:SCOPE_SE
	v_cmpx_gt_u32_e32 64, v169
	s_cbranch_execz .LBB353_87
; %bb.71:
	s_and_saveexec_b32 s0, vcc_lo
	s_cbranch_execnz .LBB353_109
; %bb.72:
	s_wait_alu 0xfffe
	s_or_b32 exec_lo, exec_lo, s0
	s_and_saveexec_b32 s0, vcc_lo
	s_cbranch_execnz .LBB353_110
.LBB353_73:
	s_wait_alu 0xfffe
	s_or_b32 exec_lo, exec_lo, s0
	s_and_saveexec_b32 s0, vcc_lo
	s_cbranch_execnz .LBB353_111
.LBB353_74:
	s_wait_alu 0xfffe
	s_or_b32 exec_lo, exec_lo, s0
	s_and_saveexec_b32 s0, vcc_lo
	s_cbranch_execnz .LBB353_112
.LBB353_75:
	s_wait_alu 0xfffe
	s_or_b32 exec_lo, exec_lo, s0
	s_and_saveexec_b32 s0, vcc_lo
	s_cbranch_execnz .LBB353_113
.LBB353_76:
	s_wait_alu 0xfffe
	s_or_b32 exec_lo, exec_lo, s0
	s_and_saveexec_b32 s0, vcc_lo
	s_cbranch_execnz .LBB353_114
.LBB353_77:
	s_wait_alu 0xfffe
	s_or_b32 exec_lo, exec_lo, s0
	s_and_saveexec_b32 s0, vcc_lo
	s_cbranch_execnz .LBB353_115
.LBB353_78:
	s_wait_alu 0xfffe
	s_or_b32 exec_lo, exec_lo, s0
	s_and_saveexec_b32 s0, vcc_lo
	s_cbranch_execnz .LBB353_116
.LBB353_79:
	s_wait_alu 0xfffe
	s_or_b32 exec_lo, exec_lo, s0
	s_and_saveexec_b32 s0, vcc_lo
	s_cbranch_execnz .LBB353_117
.LBB353_80:
	s_wait_alu 0xfffe
	s_or_b32 exec_lo, exec_lo, s0
	s_and_saveexec_b32 s0, vcc_lo
	s_cbranch_execnz .LBB353_118
.LBB353_81:
	s_wait_alu 0xfffe
	s_or_b32 exec_lo, exec_lo, s0
	s_and_saveexec_b32 s0, vcc_lo
	s_cbranch_execnz .LBB353_119
.LBB353_82:
	s_wait_alu 0xfffe
	s_or_b32 exec_lo, exec_lo, s0
	s_and_saveexec_b32 s0, vcc_lo
	s_cbranch_execnz .LBB353_120
.LBB353_83:
	s_wait_alu 0xfffe
	s_or_b32 exec_lo, exec_lo, s0
	s_and_saveexec_b32 s0, vcc_lo
	s_cbranch_execnz .LBB353_121
.LBB353_84:
	s_wait_alu 0xfffe
	s_or_b32 exec_lo, exec_lo, s0
	s_and_saveexec_b32 s0, vcc_lo
	s_cbranch_execz .LBB353_86
.LBB353_85:
	ds_load_b32 v16, v14 offset:416
	s_wait_dscnt 0x0
	v_add_f32_e32 v2, v2, v16
.LBB353_86:
	s_wait_alu 0xfffe
	s_or_b32 exec_lo, exec_lo, s0
.LBB353_87:
	s_wait_alu 0xfffe
	s_or_b32 exec_lo, exec_lo, s1
	v_and_b32_e32 v16, 0x3e3, v169
	s_mov_b32 s1, exec_lo
	s_wait_loadcnt 0x0
	s_barrier_signal -1
	s_barrier_wait -1
	global_inv scope:SCOPE_SE
	v_cmpx_eq_u32_e32 32, v16
	s_cbranch_execz .LBB353_89
; %bb.88:
	ds_store_2addr_b32 v15, v13, v12 offset1:8
	ds_store_2addr_b32 v15, v11, v10 offset0:16 offset1:24
	ds_store_2addr_b32 v15, v9, v8 offset0:32 offset1:40
	;; [unrolled: 1-line block ×6, first 2 shown]
.LBB353_89:
	s_wait_alu 0xfffe
	s_or_b32 exec_lo, exec_lo, s1
	s_delay_alu instid0(SALU_CYCLE_1)
	s_mov_b32 s1, exec_lo
	s_wait_loadcnt_dscnt 0x0
	s_barrier_signal -1
	s_barrier_wait -1
	global_inv scope:SCOPE_SE
	v_cmpx_gt_u32_e32 32, v169
	s_cbranch_execz .LBB353_106
; %bb.90:
	s_and_saveexec_b32 s0, vcc_lo
	s_cbranch_execnz .LBB353_122
; %bb.91:
	s_wait_alu 0xfffe
	s_or_b32 exec_lo, exec_lo, s0
	s_and_saveexec_b32 s0, vcc_lo
	s_cbranch_execnz .LBB353_123
.LBB353_92:
	s_wait_alu 0xfffe
	s_or_b32 exec_lo, exec_lo, s0
	s_and_saveexec_b32 s0, vcc_lo
	s_cbranch_execnz .LBB353_124
.LBB353_93:
	s_wait_alu 0xfffe
	s_or_b32 exec_lo, exec_lo, s0
	s_and_saveexec_b32 s0, vcc_lo
	s_cbranch_execnz .LBB353_125
.LBB353_94:
	s_wait_alu 0xfffe
	s_or_b32 exec_lo, exec_lo, s0
	s_and_saveexec_b32 s0, vcc_lo
	s_cbranch_execnz .LBB353_126
.LBB353_95:
	s_wait_alu 0xfffe
	s_or_b32 exec_lo, exec_lo, s0
	s_and_saveexec_b32 s0, vcc_lo
	s_cbranch_execnz .LBB353_127
.LBB353_96:
	s_wait_alu 0xfffe
	s_or_b32 exec_lo, exec_lo, s0
	s_and_saveexec_b32 s0, vcc_lo
	s_cbranch_execnz .LBB353_128
.LBB353_97:
	s_wait_alu 0xfffe
	s_or_b32 exec_lo, exec_lo, s0
	s_and_saveexec_b32 s0, vcc_lo
	s_cbranch_execnz .LBB353_129
.LBB353_98:
	s_wait_alu 0xfffe
	s_or_b32 exec_lo, exec_lo, s0
	s_and_saveexec_b32 s0, vcc_lo
	s_cbranch_execnz .LBB353_130
.LBB353_99:
	s_wait_alu 0xfffe
	s_or_b32 exec_lo, exec_lo, s0
	s_and_saveexec_b32 s0, vcc_lo
	s_cbranch_execnz .LBB353_131
.LBB353_100:
	s_wait_alu 0xfffe
	s_or_b32 exec_lo, exec_lo, s0
	s_and_saveexec_b32 s0, vcc_lo
	s_cbranch_execnz .LBB353_132
.LBB353_101:
	s_wait_alu 0xfffe
	s_or_b32 exec_lo, exec_lo, s0
	s_and_saveexec_b32 s0, vcc_lo
	s_cbranch_execnz .LBB353_133
.LBB353_102:
	s_wait_alu 0xfffe
	s_or_b32 exec_lo, exec_lo, s0
	s_and_saveexec_b32 s0, vcc_lo
	s_cbranch_execnz .LBB353_134
.LBB353_103:
	s_wait_alu 0xfffe
	s_or_b32 exec_lo, exec_lo, s0
	s_and_saveexec_b32 s0, vcc_lo
	s_cbranch_execz .LBB353_105
.LBB353_104:
	ds_load_b32 v14, v14 offset:416
	s_wait_dscnt 0x0
	v_add_f32_e32 v2, v2, v14
.LBB353_105:
	s_wait_alu 0xfffe
	s_or_b32 exec_lo, exec_lo, s0
.LBB353_106:
	s_wait_alu 0xfffe
	s_or_b32 exec_lo, exec_lo, s1
	s_mov_b32 s1, 0
	s_wait_loadcnt 0x0
	s_barrier_signal -1
	s_barrier_wait -1
	global_inv scope:SCOPE_SE
	s_mov_b32 s0, exec_lo
	v_cmpx_eq_u32_e32 0, v16
	s_cbranch_execz .LBB353_108
; %bb.107:
	v_bfe_u32 v14, v13, 16, 1
	v_bfe_u32 v15, v12, 16, 1
	v_or_b32_e32 v17, 0x400000, v13
	v_cmp_u_f32_e32 vcc_lo, v13, v13
	v_or_b32_e32 v18, 0x400000, v12
	v_add3_u32 v14, v14, v13, 0x7fff
	v_add3_u32 v15, v15, v12, 0x7fff
	v_bfe_u32 v19, v11, 16, 1
	s_mul_i32 s2, s18, 0x70
	s_mul_i32 s4, s7, s20
	s_wait_alu 0xfffd
	v_cndmask_b32_e32 v13, v14, v17, vcc_lo
	v_cmp_u_f32_e32 vcc_lo, v12, v12
	v_bfe_u32 v14, v10, 16, 1
	v_or_b32_e32 v17, 0x400000, v11
	s_wait_alu 0xfffe
	s_ashr_i32 s3, s2, 31
	s_ashr_i32 s5, s4, 31
	s_wait_alu 0xfffd
	v_cndmask_b32_e32 v12, v15, v18, vcc_lo
	v_add3_u32 v15, v19, v11, 0x7fff
	v_cmp_u_f32_e32 vcc_lo, v11, v11
	v_bfe_u32 v18, v9, 16, 1
	v_add3_u32 v14, v14, v10, 0x7fff
	v_or_b32_e32 v19, 0x400000, v10
	s_wait_alu 0xfffe
	s_lshl_b64 s[2:3], s[2:3], 1
	s_wait_alu 0xfffd
	v_cndmask_b32_e32 v11, v15, v17, vcc_lo
	v_cmp_u_f32_e32 vcc_lo, v10, v10
	v_add3_u32 v15, v18, v9, 0x7fff
	v_or_b32_e32 v17, 0x400000, v9
	v_bfe_u32 v18, v7, 16, 1
	s_lshl_b64 s[4:5], s[4:5], 1
	s_wait_alu 0xfffd
	v_cndmask_b32_e32 v10, v14, v19, vcc_lo
	v_bfe_u32 v14, v8, 16, 1
	v_cmp_u_f32_e32 vcc_lo, v9, v9
	v_add3_u32 v18, v18, v7, 0x7fff
	v_or_b32_e32 v19, 0x400000, v7
	s_wait_kmcnt 0x0
	s_wait_alu 0xfffe
	s_add_nc_u64 s[2:3], s[8:9], s[2:3]
	v_add3_u32 v14, v14, v8, 0x7fff
	s_wait_alu 0xfffd
	v_cndmask_b32_e32 v9, v15, v17, vcc_lo
	v_or_b32_e32 v17, 0x400000, v8
	v_cmp_u_f32_e32 vcc_lo, v8, v8
	v_bfe_u32 v15, v6, 16, 1
	v_or_b32_e32 v20, 0x400000, v6
	v_lshrrev_b32_e32 v16, 1, v169
	s_wait_alu 0xfffe
	s_add_nc_u64 s[2:3], s[2:3], s[4:5]
	s_wait_alu 0xfffd
	v_cndmask_b32_e32 v8, v14, v17, vcc_lo
	v_cmp_u_f32_e32 vcc_lo, v7, v7
	v_add3_u32 v15, v15, v6, 0x7fff
	v_bfe_u32 v14, v5, 16, 1
	s_mul_i32 s0, s33, 0xe0
	s_wait_alu 0xfffd
	v_cndmask_b32_e32 v7, v18, v19, vcc_lo
	v_cmp_u_f32_e32 vcc_lo, v6, v6
	s_wait_alu 0xfffe
	s_add_nc_u64 s[0:1], s[2:3], s[0:1]
	s_wait_alu 0xfffd
	v_cndmask_b32_e32 v6, v15, v20, vcc_lo
	v_bfe_u32 v15, v4, 16, 1
	s_clause 0x7
	global_store_d16_hi_b16 v16, v13, s[0:1]
	global_store_d16_hi_b16 v16, v12, s[0:1] offset:16
	global_store_d16_hi_b16 v16, v11, s[0:1] offset:32
	;; [unrolled: 1-line block ×7, first 2 shown]
	v_add3_u32 v6, v14, v5, 0x7fff
	v_or_b32_e32 v7, 0x400000, v5
	v_cmp_u_f32_e32 vcc_lo, v5, v5
	v_bfe_u32 v8, v3, 16, 1
	v_add3_u32 v9, v15, v4, 0x7fff
	v_or_b32_e32 v10, 0x400000, v4
	v_or_b32_e32 v11, 0x400000, v2
	s_wait_alu 0xfffd
	v_cndmask_b32_e32 v5, v6, v7, vcc_lo
	v_cmp_u_f32_e32 vcc_lo, v4, v4
	v_add3_u32 v6, v8, v3, 0x7fff
	v_or_b32_e32 v7, 0x400000, v3
	v_bfe_u32 v8, v0, 16, 1
	s_wait_alu 0xfffd
	v_cndmask_b32_e32 v4, v9, v10, vcc_lo
	v_cmp_u_f32_e32 vcc_lo, v3, v3
	v_bfe_u32 v9, v1, 16, 1
	v_or_b32_e32 v10, 0x400000, v1
	s_wait_alu 0xfffd
	v_cndmask_b32_e32 v3, v6, v7, vcc_lo
	v_add3_u32 v7, v8, v0, 0x7fff
	v_or_b32_e32 v8, 0x400000, v0
	v_cmp_u_f32_e32 vcc_lo, v0, v0
	v_bfe_u32 v6, v2, 16, 1
	v_add3_u32 v9, v9, v1, 0x7fff
	s_wait_alu 0xfffd
	v_cndmask_b32_e32 v0, v7, v8, vcc_lo
	v_cmp_u_f32_e32 vcc_lo, v1, v1
	v_add3_u32 v6, v6, v2, 0x7fff
	s_wait_alu 0xfffd
	v_cndmask_b32_e32 v1, v9, v10, vcc_lo
	v_cmp_u_f32_e32 vcc_lo, v2, v2
	s_wait_alu 0xfffd
	v_cndmask_b32_e32 v2, v6, v11, vcc_lo
	s_clause 0x5
	global_store_d16_hi_b16 v16, v5, s[0:1] offset:128
	global_store_d16_hi_b16 v16, v4, s[0:1] offset:144
	;; [unrolled: 1-line block ×6, first 2 shown]
.LBB353_108:
	s_nop 0
	s_sendmsg sendmsg(MSG_DEALLOC_VGPRS)
	s_endpgm
.LBB353_109:
	ds_load_b32 v16, v14
	s_wait_dscnt 0x0
	v_add_f32_e32 v13, v13, v16
	s_wait_alu 0xfffe
	s_or_b32 exec_lo, exec_lo, s0
	s_and_saveexec_b32 s0, vcc_lo
	s_cbranch_execz .LBB353_73
.LBB353_110:
	ds_load_b32 v16, v14 offset:32
	s_wait_dscnt 0x0
	v_add_f32_e32 v12, v12, v16
	s_wait_alu 0xfffe
	s_or_b32 exec_lo, exec_lo, s0
	s_and_saveexec_b32 s0, vcc_lo
	s_cbranch_execz .LBB353_74
.LBB353_111:
	ds_load_b32 v16, v14 offset:64
	s_wait_dscnt 0x0
	v_add_f32_e32 v11, v11, v16
	s_wait_alu 0xfffe
	s_or_b32 exec_lo, exec_lo, s0
	s_and_saveexec_b32 s0, vcc_lo
	s_cbranch_execz .LBB353_75
.LBB353_112:
	ds_load_b32 v16, v14 offset:96
	s_wait_dscnt 0x0
	v_add_f32_e32 v10, v10, v16
	s_wait_alu 0xfffe
	s_or_b32 exec_lo, exec_lo, s0
	s_and_saveexec_b32 s0, vcc_lo
	s_cbranch_execz .LBB353_76
.LBB353_113:
	ds_load_b32 v16, v14 offset:128
	s_wait_dscnt 0x0
	v_add_f32_e32 v9, v9, v16
	s_wait_alu 0xfffe
	s_or_b32 exec_lo, exec_lo, s0
	s_and_saveexec_b32 s0, vcc_lo
	s_cbranch_execz .LBB353_77
.LBB353_114:
	ds_load_b32 v16, v14 offset:160
	s_wait_dscnt 0x0
	v_add_f32_e32 v8, v8, v16
	s_wait_alu 0xfffe
	s_or_b32 exec_lo, exec_lo, s0
	s_and_saveexec_b32 s0, vcc_lo
	s_cbranch_execz .LBB353_78
.LBB353_115:
	ds_load_b32 v16, v14 offset:192
	s_wait_dscnt 0x0
	v_add_f32_e32 v7, v7, v16
	s_wait_alu 0xfffe
	s_or_b32 exec_lo, exec_lo, s0
	s_and_saveexec_b32 s0, vcc_lo
	s_cbranch_execz .LBB353_79
.LBB353_116:
	ds_load_b32 v16, v14 offset:224
	s_wait_dscnt 0x0
	v_add_f32_e32 v6, v6, v16
	s_wait_alu 0xfffe
	s_or_b32 exec_lo, exec_lo, s0
	s_and_saveexec_b32 s0, vcc_lo
	s_cbranch_execz .LBB353_80
.LBB353_117:
	ds_load_b32 v16, v14 offset:256
	s_wait_dscnt 0x0
	v_add_f32_e32 v5, v5, v16
	s_wait_alu 0xfffe
	s_or_b32 exec_lo, exec_lo, s0
	s_and_saveexec_b32 s0, vcc_lo
	s_cbranch_execz .LBB353_81
.LBB353_118:
	ds_load_b32 v16, v14 offset:288
	s_wait_dscnt 0x0
	v_add_f32_e32 v4, v4, v16
	s_wait_alu 0xfffe
	s_or_b32 exec_lo, exec_lo, s0
	s_and_saveexec_b32 s0, vcc_lo
	s_cbranch_execz .LBB353_82
.LBB353_119:
	ds_load_b32 v16, v14 offset:320
	s_wait_dscnt 0x0
	v_add_f32_e32 v3, v3, v16
	s_wait_alu 0xfffe
	s_or_b32 exec_lo, exec_lo, s0
	s_and_saveexec_b32 s0, vcc_lo
	s_cbranch_execz .LBB353_83
.LBB353_120:
	ds_load_b32 v16, v14 offset:352
	s_wait_dscnt 0x0
	v_add_f32_e32 v0, v0, v16
	s_wait_alu 0xfffe
	s_or_b32 exec_lo, exec_lo, s0
	s_and_saveexec_b32 s0, vcc_lo
	s_cbranch_execz .LBB353_84
.LBB353_121:
	ds_load_b32 v16, v14 offset:384
	s_wait_dscnt 0x0
	v_add_f32_e32 v1, v1, v16
	s_wait_alu 0xfffe
	s_or_b32 exec_lo, exec_lo, s0
	s_and_saveexec_b32 s0, vcc_lo
	s_cbranch_execnz .LBB353_85
	s_branch .LBB353_86
.LBB353_122:
	ds_load_b32 v15, v14
	s_wait_dscnt 0x0
	v_add_f32_e32 v13, v13, v15
	s_wait_alu 0xfffe
	s_or_b32 exec_lo, exec_lo, s0
	s_and_saveexec_b32 s0, vcc_lo
	s_cbranch_execz .LBB353_92
.LBB353_123:
	ds_load_b32 v15, v14 offset:32
	s_wait_dscnt 0x0
	v_add_f32_e32 v12, v12, v15
	s_wait_alu 0xfffe
	s_or_b32 exec_lo, exec_lo, s0
	s_and_saveexec_b32 s0, vcc_lo
	s_cbranch_execz .LBB353_93
.LBB353_124:
	ds_load_b32 v15, v14 offset:64
	s_wait_dscnt 0x0
	v_add_f32_e32 v11, v11, v15
	s_wait_alu 0xfffe
	s_or_b32 exec_lo, exec_lo, s0
	s_and_saveexec_b32 s0, vcc_lo
	s_cbranch_execz .LBB353_94
.LBB353_125:
	ds_load_b32 v15, v14 offset:96
	s_wait_dscnt 0x0
	v_add_f32_e32 v10, v10, v15
	s_wait_alu 0xfffe
	s_or_b32 exec_lo, exec_lo, s0
	s_and_saveexec_b32 s0, vcc_lo
	s_cbranch_execz .LBB353_95
.LBB353_126:
	ds_load_b32 v15, v14 offset:128
	s_wait_dscnt 0x0
	v_add_f32_e32 v9, v9, v15
	s_wait_alu 0xfffe
	s_or_b32 exec_lo, exec_lo, s0
	s_and_saveexec_b32 s0, vcc_lo
	s_cbranch_execz .LBB353_96
.LBB353_127:
	ds_load_b32 v15, v14 offset:160
	s_wait_dscnt 0x0
	v_add_f32_e32 v8, v8, v15
	s_wait_alu 0xfffe
	s_or_b32 exec_lo, exec_lo, s0
	s_and_saveexec_b32 s0, vcc_lo
	s_cbranch_execz .LBB353_97
.LBB353_128:
	ds_load_b32 v15, v14 offset:192
	s_wait_dscnt 0x0
	v_add_f32_e32 v7, v7, v15
	s_wait_alu 0xfffe
	s_or_b32 exec_lo, exec_lo, s0
	s_and_saveexec_b32 s0, vcc_lo
	s_cbranch_execz .LBB353_98
.LBB353_129:
	ds_load_b32 v15, v14 offset:224
	s_wait_dscnt 0x0
	v_add_f32_e32 v6, v6, v15
	s_wait_alu 0xfffe
	s_or_b32 exec_lo, exec_lo, s0
	s_and_saveexec_b32 s0, vcc_lo
	s_cbranch_execz .LBB353_99
.LBB353_130:
	ds_load_b32 v15, v14 offset:256
	s_wait_dscnt 0x0
	v_add_f32_e32 v5, v5, v15
	s_wait_alu 0xfffe
	s_or_b32 exec_lo, exec_lo, s0
	s_and_saveexec_b32 s0, vcc_lo
	s_cbranch_execz .LBB353_100
.LBB353_131:
	ds_load_b32 v15, v14 offset:288
	s_wait_dscnt 0x0
	v_add_f32_e32 v4, v4, v15
	s_wait_alu 0xfffe
	s_or_b32 exec_lo, exec_lo, s0
	s_and_saveexec_b32 s0, vcc_lo
	s_cbranch_execz .LBB353_101
.LBB353_132:
	ds_load_b32 v15, v14 offset:320
	s_wait_dscnt 0x0
	v_add_f32_e32 v3, v3, v15
	s_wait_alu 0xfffe
	s_or_b32 exec_lo, exec_lo, s0
	s_and_saveexec_b32 s0, vcc_lo
	s_cbranch_execz .LBB353_102
.LBB353_133:
	ds_load_b32 v15, v14 offset:352
	s_wait_dscnt 0x0
	v_add_f32_e32 v0, v0, v15
	s_wait_alu 0xfffe
	s_or_b32 exec_lo, exec_lo, s0
	s_and_saveexec_b32 s0, vcc_lo
	s_cbranch_execz .LBB353_103
.LBB353_134:
	ds_load_b32 v15, v14 offset:384
	s_wait_dscnt 0x0
	v_add_f32_e32 v1, v1, v15
	s_wait_alu 0xfffe
	s_or_b32 exec_lo, exec_lo, s0
	s_and_saveexec_b32 s0, vcc_lo
	s_cbranch_execnz .LBB353_104
	s_branch .LBB353_105
	.section	.rodata,"a",@progbits
	.p2align	6, 0x0
	.amdhsa_kernel _ZN4vllm25paged_attention_v2_kernelI14__hip_bfloat16hLi112ELi32ELi128ELNS_18Fp8KVCacheDataTypeE1ELb1ELi512EEEvPfS3_PT_PKS4_PKT0_SA_ifPKiSC_iPKfiiiSE_SE_iiiii
		.amdhsa_group_segment_fixed_size 256
		.amdhsa_private_segment_fixed_size 236
		.amdhsa_kernarg_size 400
		.amdhsa_user_sgpr_count 2
		.amdhsa_user_sgpr_dispatch_ptr 0
		.amdhsa_user_sgpr_queue_ptr 0
		.amdhsa_user_sgpr_kernarg_segment_ptr 1
		.amdhsa_user_sgpr_dispatch_id 0
		.amdhsa_user_sgpr_private_segment_size 0
		.amdhsa_wavefront_size32 1
		.amdhsa_uses_dynamic_stack 0
		.amdhsa_enable_private_segment 1
		.amdhsa_system_sgpr_workgroup_id_x 1
		.amdhsa_system_sgpr_workgroup_id_y 1
		.amdhsa_system_sgpr_workgroup_id_z 1
		.amdhsa_system_sgpr_workgroup_info 0
		.amdhsa_system_vgpr_workitem_id 0
		.amdhsa_next_free_vgpr 192
		.amdhsa_next_free_sgpr 46
		.amdhsa_reserve_vcc 1
		.amdhsa_float_round_mode_32 0
		.amdhsa_float_round_mode_16_64 0
		.amdhsa_float_denorm_mode_32 3
		.amdhsa_float_denorm_mode_16_64 3
		.amdhsa_fp16_overflow 0
		.amdhsa_workgroup_processor_mode 1
		.amdhsa_memory_ordered 1
		.amdhsa_forward_progress 1
		.amdhsa_inst_pref_size 255
		.amdhsa_round_robin_scheduling 0
		.amdhsa_exception_fp_ieee_invalid_op 0
		.amdhsa_exception_fp_denorm_src 0
		.amdhsa_exception_fp_ieee_div_zero 0
		.amdhsa_exception_fp_ieee_overflow 0
		.amdhsa_exception_fp_ieee_underflow 0
		.amdhsa_exception_fp_ieee_inexact 0
		.amdhsa_exception_int_div_zero 0
	.end_amdhsa_kernel
	.section	.text._ZN4vllm25paged_attention_v2_kernelI14__hip_bfloat16hLi112ELi32ELi128ELNS_18Fp8KVCacheDataTypeE1ELb1ELi512EEEvPfS3_PT_PKS4_PKT0_SA_ifPKiSC_iPKfiiiSE_SE_iiiii,"axG",@progbits,_ZN4vllm25paged_attention_v2_kernelI14__hip_bfloat16hLi112ELi32ELi128ELNS_18Fp8KVCacheDataTypeE1ELb1ELi512EEEvPfS3_PT_PKS4_PKT0_SA_ifPKiSC_iPKfiiiSE_SE_iiiii,comdat
.Lfunc_end353:
	.size	_ZN4vllm25paged_attention_v2_kernelI14__hip_bfloat16hLi112ELi32ELi128ELNS_18Fp8KVCacheDataTypeE1ELb1ELi512EEEvPfS3_PT_PKS4_PKT0_SA_ifPKiSC_iPKfiiiSE_SE_iiiii, .Lfunc_end353-_ZN4vllm25paged_attention_v2_kernelI14__hip_bfloat16hLi112ELi32ELi128ELNS_18Fp8KVCacheDataTypeE1ELb1ELi512EEEvPfS3_PT_PKS4_PKT0_SA_ifPKiSC_iPKfiiiSE_SE_iiiii
                                        ; -- End function
	.set _ZN4vllm25paged_attention_v2_kernelI14__hip_bfloat16hLi112ELi32ELi128ELNS_18Fp8KVCacheDataTypeE1ELb1ELi512EEEvPfS3_PT_PKS4_PKT0_SA_ifPKiSC_iPKfiiiSE_SE_iiiii.num_vgpr, 192
	.set _ZN4vllm25paged_attention_v2_kernelI14__hip_bfloat16hLi112ELi32ELi128ELNS_18Fp8KVCacheDataTypeE1ELb1ELi512EEEvPfS3_PT_PKS4_PKT0_SA_ifPKiSC_iPKfiiiSE_SE_iiiii.num_agpr, 0
	.set _ZN4vllm25paged_attention_v2_kernelI14__hip_bfloat16hLi112ELi32ELi128ELNS_18Fp8KVCacheDataTypeE1ELb1ELi512EEEvPfS3_PT_PKS4_PKT0_SA_ifPKiSC_iPKfiiiSE_SE_iiiii.numbered_sgpr, 46
	.set _ZN4vllm25paged_attention_v2_kernelI14__hip_bfloat16hLi112ELi32ELi128ELNS_18Fp8KVCacheDataTypeE1ELb1ELi512EEEvPfS3_PT_PKS4_PKT0_SA_ifPKiSC_iPKfiiiSE_SE_iiiii.num_named_barrier, 0
	.set _ZN4vllm25paged_attention_v2_kernelI14__hip_bfloat16hLi112ELi32ELi128ELNS_18Fp8KVCacheDataTypeE1ELb1ELi512EEEvPfS3_PT_PKS4_PKT0_SA_ifPKiSC_iPKfiiiSE_SE_iiiii.private_seg_size, 236
	.set _ZN4vllm25paged_attention_v2_kernelI14__hip_bfloat16hLi112ELi32ELi128ELNS_18Fp8KVCacheDataTypeE1ELb1ELi512EEEvPfS3_PT_PKS4_PKT0_SA_ifPKiSC_iPKfiiiSE_SE_iiiii.uses_vcc, 1
	.set _ZN4vllm25paged_attention_v2_kernelI14__hip_bfloat16hLi112ELi32ELi128ELNS_18Fp8KVCacheDataTypeE1ELb1ELi512EEEvPfS3_PT_PKS4_PKT0_SA_ifPKiSC_iPKfiiiSE_SE_iiiii.uses_flat_scratch, 1
	.set _ZN4vllm25paged_attention_v2_kernelI14__hip_bfloat16hLi112ELi32ELi128ELNS_18Fp8KVCacheDataTypeE1ELb1ELi512EEEvPfS3_PT_PKS4_PKT0_SA_ifPKiSC_iPKfiiiSE_SE_iiiii.has_dyn_sized_stack, 0
	.set _ZN4vllm25paged_attention_v2_kernelI14__hip_bfloat16hLi112ELi32ELi128ELNS_18Fp8KVCacheDataTypeE1ELb1ELi512EEEvPfS3_PT_PKS4_PKT0_SA_ifPKiSC_iPKfiiiSE_SE_iiiii.has_recursion, 0
	.set _ZN4vllm25paged_attention_v2_kernelI14__hip_bfloat16hLi112ELi32ELi128ELNS_18Fp8KVCacheDataTypeE1ELb1ELi512EEEvPfS3_PT_PKS4_PKT0_SA_ifPKiSC_iPKfiiiSE_SE_iiiii.has_indirect_call, 0
	.section	.AMDGPU.csdata,"",@progbits
; Kernel info:
; codeLenInByte = 36704
; TotalNumSgprs: 48
; NumVgprs: 192
; ScratchSize: 236
; MemoryBound: 0
; FloatMode: 240
; IeeeMode: 1
; LDSByteSize: 256 bytes/workgroup (compile time only)
; SGPRBlocks: 0
; VGPRBlocks: 23
; NumSGPRsForWavesPerEU: 48
; NumVGPRsForWavesPerEU: 192
; Occupancy: 8
; WaveLimiterHint : 1
; COMPUTE_PGM_RSRC2:SCRATCH_EN: 1
; COMPUTE_PGM_RSRC2:USER_SGPR: 2
; COMPUTE_PGM_RSRC2:TRAP_HANDLER: 0
; COMPUTE_PGM_RSRC2:TGID_X_EN: 1
; COMPUTE_PGM_RSRC2:TGID_Y_EN: 1
; COMPUTE_PGM_RSRC2:TGID_Z_EN: 1
; COMPUTE_PGM_RSRC2:TIDIG_COMP_CNT: 0
	.section	.text._ZN4vllm25paged_attention_v2_kernelI14__hip_bfloat16hLi120ELi32ELi128ELNS_18Fp8KVCacheDataTypeE1ELb1ELi512EEEvPfS3_PT_PKS4_PKT0_SA_ifPKiSC_iPKfiiiSE_SE_iiiii,"axG",@progbits,_ZN4vllm25paged_attention_v2_kernelI14__hip_bfloat16hLi120ELi32ELi128ELNS_18Fp8KVCacheDataTypeE1ELb1ELi512EEEvPfS3_PT_PKS4_PKT0_SA_ifPKiSC_iPKfiiiSE_SE_iiiii,comdat
	.protected	_ZN4vllm25paged_attention_v2_kernelI14__hip_bfloat16hLi120ELi32ELi128ELNS_18Fp8KVCacheDataTypeE1ELb1ELi512EEEvPfS3_PT_PKS4_PKT0_SA_ifPKiSC_iPKfiiiSE_SE_iiiii ; -- Begin function _ZN4vllm25paged_attention_v2_kernelI14__hip_bfloat16hLi120ELi32ELi128ELNS_18Fp8KVCacheDataTypeE1ELb1ELi512EEEvPfS3_PT_PKS4_PKT0_SA_ifPKiSC_iPKfiiiSE_SE_iiiii
	.globl	_ZN4vllm25paged_attention_v2_kernelI14__hip_bfloat16hLi120ELi32ELi128ELNS_18Fp8KVCacheDataTypeE1ELb1ELi512EEEvPfS3_PT_PKS4_PKT0_SA_ifPKiSC_iPKfiiiSE_SE_iiiii
	.p2align	8
	.type	_ZN4vllm25paged_attention_v2_kernelI14__hip_bfloat16hLi120ELi32ELi128ELNS_18Fp8KVCacheDataTypeE1ELb1ELi512EEEvPfS3_PT_PKS4_PKT0_SA_ifPKiSC_iPKfiiiSE_SE_iiiii,@function
_ZN4vllm25paged_attention_v2_kernelI14__hip_bfloat16hLi120ELi32ELi128ELNS_18Fp8KVCacheDataTypeE1ELb1ELi512EEEvPfS3_PT_PKS4_PKT0_SA_ifPKiSC_iPKfiiiSE_SE_iiiii: ; @_ZN4vllm25paged_attention_v2_kernelI14__hip_bfloat16hLi120ELi32ELi128ELNS_18Fp8KVCacheDataTypeE1ELb1ELi512EEEvPfS3_PT_PKS4_PKT0_SA_ifPKiSC_iPKfiiiSE_SE_iiiii
; %bb.0:
	s_load_b64 s[2:3], s[0:1], 0x40
	s_and_b32 s28, ttmp7, 0xffff
	s_lshr_b32 s33, ttmp7, 16
	s_lshl_b32 s4, s28, 2
	s_lshl_b32 s36, s33, 9
	s_wait_kmcnt 0x0
	s_load_b32 s34, s[2:3], s4 offset:0x0
	s_wait_kmcnt 0x0
	s_cmp_ge_i32 s36, s34
	s_cbranch_scc1 .LBB354_112
; %bb.1:
	s_clause 0x1
	s_load_b32 s29, s[0:1], 0x90
	s_load_b64 s[12:13], s[0:1], 0x30
	v_mov_b32_e32 v10, v0
	s_wait_kmcnt 0x0
	s_abs_i32 s5, s29
	s_abs_i32 s2, s12
	s_delay_alu instid0(SALU_CYCLE_1) | instskip(SKIP_1) | instid1(SALU_CYCLE_2)
	s_cvt_f32_u32 s3, s2
	s_sub_co_i32 s4, 0, s2
	v_rcp_iflag_f32_e32 v0, s3
	s_delay_alu instid0(TRANS32_DEP_1) | instskip(SKIP_2) | instid1(SALU_CYCLE_2)
	v_readfirstlane_b32 s3, v0
	s_mul_f32 s3, s3, 0x4f7ffffe
	s_wait_alu 0xfffe
	s_cvt_u32_f32 s3, s3
	s_wait_alu 0xfffe
	s_delay_alu instid0(SALU_CYCLE_2) | instskip(NEXT) | instid1(SALU_CYCLE_1)
	s_mul_i32 s4, s4, s3
	s_mul_hi_u32 s4, s3, s4
	s_delay_alu instid0(SALU_CYCLE_1)
	s_add_co_i32 s3, s3, s4
	s_xor_b32 s4, s29, s12
	s_wait_alu 0xfffe
	s_mul_hi_u32 s3, s5, s3
	s_ashr_i32 s4, s4, 31
	s_wait_alu 0xfffe
	s_mul_i32 s6, s3, s2
	s_delay_alu instid0(SALU_CYCLE_1)
	s_sub_co_i32 s5, s5, s6
	s_add_co_i32 s6, s3, 1
	s_sub_co_i32 s7, s5, s2
	s_cmp_ge_u32 s5, s2
	s_cselect_b32 s3, s6, s3
	s_cselect_b32 s5, s7, s5
	s_wait_alu 0xfffe
	s_add_co_i32 s6, s3, 1
	s_cmp_ge_u32 s5, s2
	s_cselect_b32 s2, s6, s3
	s_load_b64 s[6:7], s[0:1], 0x50
	s_xor_b32 s2, s2, s4
	s_mov_b32 s3, 0
	s_wait_alu 0xfffe
	s_sub_co_i32 s11, s2, s4
	s_mov_b32 s30, s3
	s_abs_i32 s10, s11
	s_delay_alu instid0(SALU_CYCLE_1) | instskip(SKIP_1) | instid1(SALU_CYCLE_2)
	s_cvt_f32_u32 s2, s10
	s_wait_alu 0xfffe
	v_rcp_iflag_f32_e32 v0, s2
	s_delay_alu instid0(TRANS32_DEP_1) | instskip(SKIP_2) | instid1(SALU_CYCLE_2)
	v_readfirstlane_b32 s2, v0
	s_mul_f32 s2, s2, 0x4f7ffffe
	s_wait_alu 0xfffe
	s_cvt_u32_f32 s4, s2
	s_sub_co_i32 s2, 0, s10
	s_wait_alu 0xfffe
	s_delay_alu instid0(SALU_CYCLE_1)
	s_mul_i32 s2, s2, s4
	s_wait_alu 0xfffe
	s_mul_hi_u32 s5, s4, s2
	s_abs_i32 s2, ttmp9
	s_add_co_i32 s4, s4, s5
	s_mov_b32 s5, s3
	s_wait_kmcnt 0x0
	s_cmp_eq_u64 s[6:7], 0
	s_cbranch_scc1 .LBB354_3
; %bb.2:
	s_mov_b32 s8, ttmp9
	s_ashr_i32 s9, ttmp9, 31
	s_delay_alu instid0(SALU_CYCLE_1) | instskip(NEXT) | instid1(SALU_CYCLE_1)
	s_lshl_b64 s[8:9], s[8:9], 2
	s_add_nc_u64 s[6:7], s[6:7], s[8:9]
	s_load_b32 s30, s[6:7], 0x0
.LBB354_3:
	s_load_b96 s[16:18], s[0:1], 0x58
	s_mul_u64 s[8:9], s[2:3], s[4:5]
	s_ashr_i32 s3, ttmp9, 31
	s_ashr_i32 s8, s11, 31
	s_mul_i32 s20, ttmp9, 0x78
	s_mov_b32 s4, exec_lo
	v_cmpx_gt_u32_e32 15, v10
	s_cbranch_execz .LBB354_5
; %bb.4:
	s_load_b64 s[6:7], s[0:1], 0x18
	s_wait_kmcnt 0x0
	s_mul_i32 s14, s16, s28
	s_ashr_i32 s21, s20, 31
	s_ashr_i32 s15, s14, 31
	v_lshlrev_b32_e32 v4, 4, v10
	s_lshl_b64 s[14:15], s[14:15], 1
	s_delay_alu instid0(SALU_CYCLE_1) | instskip(SKIP_1) | instid1(SALU_CYCLE_1)
	s_add_nc_u64 s[6:7], s[6:7], s[14:15]
	s_lshl_b64 s[14:15], s[20:21], 1
	s_add_nc_u64 s[6:7], s[6:7], s[14:15]
	global_load_b128 v[0:3], v4, s[6:7]
	s_wait_loadcnt 0x0
	ds_store_b128 v4, v[0:3]
.LBB354_5:
	s_or_b32 exec_lo, exec_lo, s4
	s_load_b128 s[4:7], s[0:1], 0x78
	s_mul_i32 s11, s9, s10
	s_xor_b32 s3, s3, s8
	s_sub_co_i32 s2, s2, s11
	s_add_co_i32 s8, s9, 1
	s_wait_alu 0xfffe
	s_sub_co_i32 s11, s2, s10
	s_cmp_ge_u32 s2, s10
                                        ; implicit-def: $sgpr21
	s_cselect_b32 s8, s8, s9
	s_cselect_b32 s2, s11, s2
	s_add_co_i32 s9, s8, 1
	s_wait_alu 0xfffe
	s_cmp_ge_u32 s2, s10
	s_mov_b32 s10, -1
	s_cselect_b32 s2, s9, s8
	s_load_b32 s8, s[0:1], 0x88
	s_xor_b32 s2, s2, s3
	s_wait_dscnt 0x0
	s_wait_alu 0xfffe
	s_sub_co_i32 s19, s2, s3
	s_barrier_signal -1
	s_barrier_wait -1
	s_wait_kmcnt 0x0
	s_abs_i32 s16, s7
	global_inv scope:SCOPE_SE
	s_cvt_f32_u32 s9, s16
	s_delay_alu instid0(SALU_CYCLE_3) | instskip(NEXT) | instid1(TRANS32_DEP_1)
	v_rcp_iflag_f32_e32 v0, s9
	v_readfirstlane_b32 s9, v0
	s_mul_f32 s2, s9, 0x4f7ffffe
	s_add_co_i32 s9, s34, -1
	s_wait_alu 0xfffe
	s_delay_alu instid0(SALU_CYCLE_1) | instskip(SKIP_2) | instid1(SALU_CYCLE_1)
	s_cvt_u32_f32 s11, s2
	s_sub_co_i32 s2, 0, s16
	s_wait_alu 0xfffe
	s_mul_i32 s3, s2, s11
	s_abs_i32 s2, s9
	s_wait_alu 0xfffe
	s_mul_hi_u32 s14, s11, s3
	s_mov_b32 s3, 0
	s_add_co_i32 s22, s11, s14
	s_cmp_lt_i32 s8, 0
	s_wait_alu 0xfffe
	s_mov_b32 s23, s3
	s_cbranch_scc0 .LBB354_7
; %bb.6:
	s_mul_i32 s10, s4, s12
	s_delay_alu instid0(SALU_CYCLE_1) | instskip(NEXT) | instid1(SALU_CYCLE_1)
	s_add_co_i32 s10, s19, s10
	s_mul_i32 s10, s10, s8
	s_delay_alu instid0(SALU_CYCLE_1)
	s_sub_co_i32 s21, 1, s10
	s_mov_b32 s10, s3
.LBB354_7:
	s_mul_u64 s[14:15], s[2:3], s[22:23]
	s_ashr_i32 s3, s9, 31
	s_and_not1_b32 vcc_lo, exec_lo, s10
	s_ashr_i32 s23, s7, 31
	s_cbranch_vccnz .LBB354_9
; %bb.8:
	s_mul_i32 s4, s29, s4
	s_delay_alu instid0(SALU_CYCLE_1) | instskip(NEXT) | instid1(SALU_CYCLE_1)
	s_add_co_i32 s4, s4, ttmp9
	s_mul_i32 s4, s4, s8
	s_delay_alu instid0(SALU_CYCLE_1)
	s_add_co_i32 s21, s4, 1
.LBB354_9:
	s_clause 0x3
	s_load_b32 s4, s[0:1], 0x48
	s_load_b64 s[24:25], s[0:1], 0x38
	s_load_b32 s7, s[0:1], 0x98
	s_load_b128 s[8:11], s[0:1], 0x68
	s_mul_i32 s12, s15, s16
	s_xor_b32 s3, s3, s23
	s_sub_co_i32 s2, s2, s12
	s_add_co_i32 s14, s15, 1
	v_lshrrev_b32_e32 v0, 5, v10
	v_dual_mov_b32 v124, 0xff7fffff :: v_dual_and_b32 v1, 31, v10
	s_mul_i32 s18, s19, s18
	s_delay_alu instid0(VALU_DEP_2) | instskip(NEXT) | instid1(VALU_DEP_2)
	v_lshl_add_u32 v17, v0, 5, s36
	v_lshlrev_b32_e32 v23, 2, v1
	s_clause 0x1
	scratch_store_b32 off, v0, off offset:408
	scratch_store_b32 off, v1, off
	s_wait_kmcnt 0x0
	s_mul_i32 s26, s4, s28
	s_wait_alu 0xfffe
	s_sub_co_i32 s4, s2, s16
	s_ashr_i32 s27, s26, 31
	s_cmp_ge_u32 s2, s16
	s_cselect_b32 s12, s14, s15
	s_cselect_b32 s2, s4, s2
	s_add_co_i32 s4, s12, 1
	s_wait_alu 0xfffe
	s_cmp_ge_u32 s2, s16
	s_cselect_b32 s2, s4, s12
	s_add_co_i32 s4, s34, 31
	s_lshl_b32 s39, s33, 4
	s_ashr_i32 s12, s4, 31
	v_add_nc_u32_e32 v18, s39, v0
	s_lshr_b32 s12, s12, 27
	s_delay_alu instid0(SALU_CYCLE_1)
	s_add_co_i32 s4, s4, s12
	s_add_co_i32 s12, s39, 16
	s_ashr_i32 s37, s4, 5
	s_wait_alu 0xfffe
	s_xor_b32 s4, s2, s3
	s_min_i32 s35, s12, s37
	v_lshlrev_b32_e32 v37, 2, v18
	v_cmp_gt_i32_e64 s2, s35, v18
	s_sub_co_i32 s38, s4, s3
	s_and_saveexec_b32 s12, s2
	s_cbranch_execz .LBB354_17
; %bb.10:
	v_mov_b32_e32 v16, 0
	scratch_store_b32 off, v10, off offset:412 ; 4-byte Folded Spill
	s_wait_alu 0xfffe
	s_sub_co_i32 s14, s38, s5
	s_ashr_i32 s19, s18, 31
	s_cmp_neq_f32 s30, 0
	ds_load_b128 v[0:3], v16
	ds_load_b128 v[4:7], v16 offset:16
	ds_load_b128 v[8:11], v16 offset:32
	ds_load_b128 v[12:15], v16 offset:48
	ds_load_b128 v[19:22], v16 offset:64
	s_load_b64 s[40:41], s[0:1], 0x20
	s_mov_b32 s31, s17
	s_cselect_b32 vcc_lo, -1, 0
	s_abs_i32 s15, s6
	s_lshl_b64 s[42:43], s[26:27], 2
	s_cvt_f32_u32 s3, s15
	s_sub_co_i32 s4, 0, s15
	v_mov_b32_e32 v137, v18
	scratch_store_b32 off, v23, off offset:416 ; 4-byte Folded Spill
	v_mov_b32_e32 v124, 0xff7fffff
	s_wait_dscnt 0x4
	v_lshlrev_b32_e32 v24, 16, v0
	v_and_b32_e32 v0, 0xffff0000, v0
	s_clause 0x1
	scratch_store_b32 off, v24, off offset:4
	scratch_store_b32 off, v0, off offset:8
	v_lshlrev_b32_e32 v0, 16, v1
	s_wait_kmcnt 0x0
	s_add_nc_u64 s[40:41], s[40:41], s[18:19]
	scratch_store_b32 off, v0, off offset:12 ; 4-byte Folded Spill
	v_and_b32_e32 v0, 0xffff0000, v1
	scratch_store_b32 off, v0, off offset:16 ; 4-byte Folded Spill
	v_lshlrev_b32_e32 v0, 16, v2
	scratch_store_b32 off, v0, off offset:20 ; 4-byte Folded Spill
	v_and_b32_e32 v0, 0xffff0000, v2
	scratch_store_b32 off, v0, off offset:24 ; 4-byte Folded Spill
	v_lshlrev_b32_e32 v0, 16, v3
	scratch_store_b32 off, v0, off offset:28 ; 4-byte Folded Spill
	v_and_b32_e32 v0, 0xffff0000, v3
	scratch_store_b32 off, v0, off offset:32 ; 4-byte Folded Spill
	s_wait_dscnt 0x3
	v_lshlrev_b32_e32 v0, 16, v4
	scratch_store_b32 off, v0, off offset:36 ; 4-byte Folded Spill
	v_and_b32_e32 v0, 0xffff0000, v4
	s_wait_dscnt 0x2
	v_and_b32_e32 v4, 0xffff0000, v11
	s_clause 0x1
	scratch_store_b32 off, v0, off offset:40
	scratch_store_b32 off, v4, off offset:96
	v_lshlrev_b32_e32 v0, 16, v5
	s_wait_dscnt 0x1
	v_lshlrev_b32_e32 v4, 16, v12
	s_clause 0x1
	scratch_store_b32 off, v0, off offset:44
	scratch_store_b32 off, v4, off offset:100
	v_and_b32_e32 v0, 0xffff0000, v5
	v_and_b32_e32 v4, 0xffff0000, v12
	s_wait_dscnt 0x0
	v_and_b32_e32 v12, 0xffff0000, v22
	s_clause 0x2
	scratch_store_b32 off, v0, off offset:48
	scratch_store_b32 off, v4, off offset:104
	;; [unrolled: 1-line block ×3, first 2 shown]
	v_lshlrev_b32_e32 v0, 16, v6
	v_lshlrev_b32_e32 v4, 16, v13
	s_clause 0x1
	scratch_store_b32 off, v0, off offset:52
	scratch_store_b32 off, v4, off offset:108
	v_and_b32_e32 v0, 0xffff0000, v6
	v_and_b32_e32 v4, 0xffff0000, v13
	s_clause 0x1
	scratch_store_b32 off, v0, off offset:56
	scratch_store_b32 off, v4, off offset:112
	v_lshlrev_b32_e32 v0, 16, v7
	v_lshlrev_b32_e32 v4, 16, v14
	s_clause 0x1
	scratch_store_b32 off, v0, off offset:60
	scratch_store_b32 off, v4, off offset:116
	v_and_b32_e32 v0, 0xffff0000, v7
	v_and_b32_e32 v4, 0xffff0000, v14
	s_clause 0x1
	scratch_store_b32 off, v0, off offset:64
	scratch_store_b32 off, v4, off offset:120
	v_lshlrev_b32_e32 v0, 16, v8
	v_lshlrev_b32_e32 v4, 16, v15
	scratch_store_b32 off, v0, off offset:68 ; 4-byte Folded Spill
	v_and_b32_e32 v0, 0xffff0000, v8
	v_and_b32_e32 v8, 0xffff0000, v15
	s_clause 0x1
	scratch_store_b32 off, v0, off offset:72
	scratch_store_b32 off, v8, off offset:128
	v_lshlrev_b32_e32 v0, 16, v9
	v_lshlrev_b32_e32 v8, 16, v19
	s_clause 0x1
	scratch_store_b32 off, v0, off offset:76
	scratch_store_b32 off, v8, off offset:132
	v_and_b32_e32 v0, 0xffff0000, v9
	v_and_b32_e32 v8, 0xffff0000, v19
	s_clause 0x1
	scratch_store_b32 off, v0, off offset:80
	scratch_store_b32 off, v8, off offset:136
	v_lshlrev_b32_e32 v0, 16, v10
	v_lshlrev_b32_e32 v8, 16, v20
	s_clause 0x1
	scratch_store_b32 off, v0, off offset:84
	scratch_store_b32 off, v8, off offset:140
	;; [unrolled: 10-line block ×3, first 2 shown]
	ds_load_b128 v[0:3], v16 offset:80
	v_and_b32_e32 v8, 0xffff0000, v21
	scratch_store_b32 off, v4, off offset:124 ; 4-byte Folded Spill
	ds_load_b128 v[4:7], v16 offset:96
	s_wait_dscnt 0x1
	v_lshlrev_b32_e32 v12, 16, v0
	scratch_store_b32 off, v8, off offset:152 ; 4-byte Folded Spill
	v_lshlrev_b32_e32 v8, 16, v22
	v_and_b32_e32 v0, 0xffff0000, v0
	s_clause 0x1
	scratch_store_b32 off, v8, off offset:156
	scratch_store_b32 off, v0, off offset:168
	v_lshlrev_b32_e32 v0, 16, v1
	scratch_store_b32 off, v12, off offset:164 ; 4-byte Folded Spill
	ds_load_b128 v[8:11], v16 offset:112
	ds_load_b128 v[12:15], v16 offset:128
	scratch_store_b32 off, v0, off offset:172 ; 4-byte Folded Spill
	v_and_b32_e32 v0, 0xffff0000, v1
	scratch_store_b32 off, v0, off offset:176 ; 4-byte Folded Spill
	v_lshlrev_b32_e32 v0, 16, v2
	scratch_store_b32 off, v0, off offset:180 ; 4-byte Folded Spill
	v_and_b32_e32 v0, 0xffff0000, v2
	scratch_store_b32 off, v0, off offset:184 ; 4-byte Folded Spill
	v_lshlrev_b32_e32 v0, 16, v3
	scratch_store_b32 off, v0, off offset:188 ; 4-byte Folded Spill
	v_and_b32_e32 v0, 0xffff0000, v3
	scratch_store_b32 off, v0, off offset:192 ; 4-byte Folded Spill
	s_wait_dscnt 0x2
	v_lshlrev_b32_e32 v0, 16, v4
	scratch_store_b32 off, v0, off offset:196 ; 4-byte Folded Spill
	v_and_b32_e32 v0, 0xffff0000, v4
	v_and_b32_e32 v4, 0xffff0000, v6
	s_clause 0x1
	scratch_store_b32 off, v0, off offset:200
	scratch_store_b32 off, v4, off offset:216
	v_lshlrev_b32_e32 v0, 16, v5
	v_lshlrev_b32_e32 v4, 16, v7
	s_clause 0x1
	scratch_store_b32 off, v0, off offset:204
	scratch_store_b32 off, v4, off offset:220
	v_and_b32_e32 v0, 0xffff0000, v5
	v_and_b32_e32 v4, 0xffff0000, v7
	s_clause 0x1
	scratch_store_b32 off, v0, off offset:208
	scratch_store_b32 off, v4, off offset:224
	v_lshlrev_b32_e32 v0, 16, v6
	s_wait_dscnt 0x1
	v_lshlrev_b32_e32 v4, 16, v8
	s_clause 0x1
	scratch_store_b32 off, v0, off offset:212
	scratch_store_b32 off, v4, off offset:228
	v_and_b32_e32 v4, 0xffff0000, v8
	v_and_b32_e32 v8, 0xffff0000, v11
	ds_load_b128 v[0:3], v16 offset:144
	s_clause 0x1
	scratch_store_b32 off, v4, off offset:232
	scratch_store_b32 off, v8, off offset:256
	v_lshlrev_b32_e32 v4, 16, v9
	s_wait_dscnt 0x1
	v_lshlrev_b32_e32 v8, 16, v12
	s_clause 0x1
	scratch_store_b32 off, v4, off offset:236
	scratch_store_b32 off, v8, off offset:260
	v_and_b32_e32 v4, 0xffff0000, v9
	v_and_b32_e32 v8, 0xffff0000, v12
	v_lshlrev_b32_e32 v12, 16, v15
	s_clause 0x2
	scratch_store_b32 off, v4, off offset:240
	scratch_store_b32 off, v8, off offset:264
	;; [unrolled: 1-line block ×3, first 2 shown]
	v_lshlrev_b32_e32 v4, 16, v10
	v_lshlrev_b32_e32 v8, 16, v13
	v_and_b32_e32 v12, 0xffff0000, v15
	s_clause 0x2
	scratch_store_b32 off, v4, off offset:244
	scratch_store_b32 off, v8, off offset:268
	scratch_store_b32 off, v12, off offset:288
	v_and_b32_e32 v4, 0xffff0000, v10
	v_and_b32_e32 v8, 0xffff0000, v13
	s_clause 0x1
	scratch_store_b32 off, v4, off offset:248
	scratch_store_b32 off, v8, off offset:272
	v_lshlrev_b32_e32 v4, 16, v11
	v_lshlrev_b32_e32 v8, 16, v14
	scratch_store_b32 off, v4, off offset:252 ; 4-byte Folded Spill
	ds_load_b128 v[4:7], v16 offset:160
	s_wait_dscnt 0x1
	v_lshlrev_b32_e32 v12, 16, v0
	scratch_store_b32 off, v8, off offset:276 ; 4-byte Folded Spill
	v_and_b32_e32 v8, 0xffff0000, v14
	v_and_b32_e32 v0, 0xffff0000, v0
	s_clause 0x1
	scratch_store_b32 off, v8, off offset:280
	scratch_store_b32 off, v0, off offset:296
	v_lshlrev_b32_e32 v0, 16, v1
	scratch_store_b32 off, v12, off offset:292 ; 4-byte Folded Spill
	ds_load_b128 v[8:11], v16 offset:176
	ds_load_b128 v[12:15], v16 offset:192
	scratch_store_b32 off, v0, off offset:300 ; 4-byte Folded Spill
	v_and_b32_e32 v0, 0xffff0000, v1
	scratch_store_b32 off, v0, off offset:304 ; 4-byte Folded Spill
	v_lshlrev_b32_e32 v0, 16, v2
	scratch_store_b32 off, v0, off offset:308 ; 4-byte Folded Spill
	v_and_b32_e32 v0, 0xffff0000, v2
	scratch_store_b32 off, v0, off offset:312 ; 4-byte Folded Spill
	v_lshlrev_b32_e32 v0, 16, v3
	s_wait_dscnt 0x0
	v_lshlrev_b32_e32 v115, 16, v15
	v_and_b32_e32 v114, 0xffff0000, v14
	v_and_b32_e32 v116, 0xffff0000, v15
	scratch_store_b32 off, v0, off offset:316 ; 4-byte Folded Spill
	v_and_b32_e32 v0, 0xffff0000, v3
	scratch_store_b32 off, v0, off offset:320 ; 4-byte Folded Spill
	v_lshlrev_b32_e32 v0, 16, v4
	scratch_store_b32 off, v0, off offset:324 ; 4-byte Folded Spill
	v_and_b32_e32 v0, 0xffff0000, v4
	v_lshlrev_b32_e32 v4, 16, v10
	s_clause 0x1
	scratch_store_b32 off, v0, off offset:328
	scratch_store_b32 off, v4, off offset:372
	v_lshlrev_b32_e32 v0, 16, v5
	v_and_b32_e32 v4, 0xffff0000, v10
	s_clause 0x1
	scratch_store_b32 off, v0, off offset:332
	scratch_store_b32 off, v4, off offset:376
	v_and_b32_e32 v0, 0xffff0000, v5
	v_lshlrev_b32_e32 v4, 16, v11
	s_clause 0x1
	scratch_store_b32 off, v0, off offset:336
	scratch_store_b32 off, v4, off offset:380
	v_lshlrev_b32_e32 v0, 16, v6
	v_and_b32_e32 v4, 0xffff0000, v11
	s_clause 0x1
	scratch_store_b32 off, v0, off offset:340
	scratch_store_b32 off, v4, off offset:384
	;; [unrolled: 10-line block ×3, first 2 shown]
	v_and_b32_e32 v0, 0xffff0000, v7
	v_lshlrev_b32_e32 v4, 16, v13
	s_clause 0x1
	scratch_store_b32 off, v0, off offset:352
	scratch_store_b32 off, v4, off offset:396
	v_lshlrev_b32_e32 v0, 16, v8
	ds_load_b128 v[4:7], v16 offset:224
	scratch_store_b32 off, v0, off offset:356 ; 4-byte Folded Spill
	v_and_b32_e32 v0, 0xffff0000, v8
	v_and_b32_e32 v8, 0xffff0000, v13
	s_clause 0x1
	scratch_store_b32 off, v0, off offset:360
	scratch_store_b32 off, v8, off offset:400
	v_lshlrev_b32_e32 v0, 16, v9
	v_lshlrev_b32_e32 v8, 16, v14
	s_clause 0x1
	scratch_store_b32 off, v0, off offset:364
	scratch_store_b32 off, v8, off offset:404
	v_and_b32_e32 v0, 0xffff0000, v9
	s_wait_dscnt 0x0
	v_lshlrev_b32_e32 v130, 16, v6
	v_and_b32_e32 v131, 0xffff0000, v6
	scratch_load_b32 v6, off, off offset:408 ; 4-byte Folded Reload
	v_lshlrev_b32_e32 v128, 16, v5
	scratch_store_b32 off, v0, off offset:368 ; 4-byte Folded Spill
	ds_load_b128 v[0:3], v16 offset:208
	v_and_b32_e32 v129, 0xffff0000, v5
	v_lshlrev_b32_e32 v126, 16, v4
	v_and_b32_e32 v127, 0xffff0000, v4
	v_lshlrev_b32_e32 v132, 16, v7
	v_and_b32_e32 v133, 0xffff0000, v7
	s_wait_dscnt 0x0
	v_lshlrev_b32_e32 v123, 16, v3
	v_and_b32_e32 v125, 0xffff0000, v3
	scratch_load_b32 v3, off, off           ; 4-byte Folded Reload
	v_lshlrev_b32_e32 v117, 16, v0
	v_and_b32_e32 v118, 0xffff0000, v0
	s_wait_alu 0xfffe
	v_rcp_iflag_f32_e32 v0, s3
	v_lshlrev_b32_e32 v119, 16, v1
	v_and_b32_e32 v120, 0xffff0000, v1
	v_lshlrev_b32_e32 v121, 16, v2
	v_and_b32_e32 v122, 0xffff0000, v2
	s_delay_alu instid0(TRANS32_DEP_1) | instskip(SKIP_2) | instid1(SALU_CYCLE_2)
	v_readfirstlane_b32 s3, v0
	s_mul_f32 s3, s3, 0x4f7ffffe
	s_wait_alu 0xfffe
	s_cvt_u32_f32 s3, s3
	s_wait_alu 0xfffe
	s_delay_alu instid0(SALU_CYCLE_2) | instskip(NEXT) | instid1(SALU_CYCLE_1)
	s_mul_i32 s4, s4, s3
	s_mul_hi_u32 s4, s3, s4
	s_wait_loadcnt 0x1
	v_lshl_or_b32 v5, v6, 7, v23
	v_lshl_add_u32 v136, v6, 5, s36
	s_delay_alu instid0(VALU_DEP_2) | instskip(SKIP_2) | instid1(VALU_DEP_1)
	v_add_nc_u32_e32 v135, 0x110, v5
	s_wait_loadcnt 0x0
	v_lshlrev_b32_e32 v0, 4, v3
	v_add_co_u32 v1, s19, s40, v0
	v_subrev_nc_u32_e32 v0, s34, v3
	v_add_co_ci_u32_e64 v2, null, s41, 0, s19
	s_add_nc_u64 s[40:41], s[24:25], s[42:43]
	s_wait_alu 0xfffe
	v_add_co_u32 v3, s19, s40, v37
	s_wait_alu 0xf1ff
	v_add_co_ci_u32_e64 v4, null, s41, 0, s19
	v_add_nc_u32_e32 v134, 1, v0
	s_mov_b32 s19, 0
	s_add_co_i32 s40, s3, s4
	s_branch .LBB354_12
.LBB354_11:                             ;   in Loop: Header=BB354_12 Depth=1
	s_wait_alu 0xfffe
	s_or_b32 exec_lo, exec_lo, s4
	v_add_nc_u32_e32 v137, 4, v137
	v_add_co_u32 v3, s4, v3, 16
	s_wait_alu 0xf1ff
	v_add_co_ci_u32_e64 v4, null, 0, v4, s4
	s_delay_alu instid0(VALU_DEP_3)
	v_cmp_le_i32_e64 s3, s35, v137
	v_add_nc_u32_e32 v136, 0x80, v136
	v_add_nc_u32_e32 v135, 0x200, v135
	s_or_b32 s19, s3, s19
	s_wait_alu 0xfffe
	s_and_not1_b32 exec_lo, exec_lo, s19
	s_cbranch_execz .LBB354_16
.LBB354_12:                             ; =>This Inner Loop Header: Depth=1
	v_sub_nc_u32_e32 v0, 0, v136
	s_delay_alu instid0(VALU_DEP_1) | instskip(NEXT) | instid1(VALU_DEP_1)
	v_max_i32_e32 v0, v136, v0
	v_mul_hi_u32 v5, v0, s22
	s_delay_alu instid0(VALU_DEP_1) | instskip(NEXT) | instid1(VALU_DEP_1)
	v_mul_lo_u32 v6, v5, s16
	v_sub_nc_u32_e32 v0, v0, v6
	v_add_nc_u32_e32 v6, 1, v5
	s_delay_alu instid0(VALU_DEP_2) | instskip(SKIP_2) | instid1(VALU_DEP_1)
	v_subrev_nc_u32_e32 v7, s16, v0
	v_cmp_le_u32_e64 s3, s16, v0
	s_wait_alu 0xf1ff
	v_cndmask_b32_e64 v5, v5, v6, s3
	s_delay_alu instid0(VALU_DEP_3) | instskip(SKIP_1) | instid1(VALU_DEP_3)
	v_cndmask_b32_e64 v0, v0, v7, s3
	v_ashrrev_i32_e32 v6, 31, v136
	v_add_nc_u32_e32 v7, 1, v5
	s_delay_alu instid0(VALU_DEP_3) | instskip(NEXT) | instid1(VALU_DEP_3)
	v_cmp_le_u32_e64 s3, s16, v0
	v_xor_b32_e32 v6, s23, v6
	s_wait_alu 0xf1ff
	s_delay_alu instid0(VALU_DEP_2) | instskip(NEXT) | instid1(VALU_DEP_1)
	v_cndmask_b32_e64 v0, v5, v7, s3
	v_xor_b32_e32 v0, v0, v6
	s_delay_alu instid0(VALU_DEP_1) | instskip(NEXT) | instid1(VALU_DEP_1)
	v_sub_nc_u32_e32 v0, v0, v6
	v_add_nc_u32_e32 v5, s21, v0
	v_cmp_ge_i32_e64 s4, s14, v0
	s_delay_alu instid0(VALU_DEP_2) | instskip(NEXT) | instid1(VALU_DEP_1)
	v_sub_nc_u32_e32 v6, 0, v5
	v_max_i32_e32 v6, v5, v6
	v_ashrrev_i32_e32 v5, 31, v5
	s_wait_alu 0xfffe
	s_delay_alu instid0(VALU_DEP_2) | instskip(NEXT) | instid1(VALU_DEP_1)
	v_mul_hi_u32 v7, v6, s40
	v_mul_lo_u32 v7, v7, s15
	s_delay_alu instid0(VALU_DEP_1) | instskip(NEXT) | instid1(VALU_DEP_1)
	v_sub_nc_u32_e32 v6, v6, v7
	v_subrev_nc_u32_e32 v7, s15, v6
	v_cmp_le_u32_e64 s3, s15, v6
	s_wait_alu 0xf1ff
	s_delay_alu instid0(VALU_DEP_1) | instskip(NEXT) | instid1(VALU_DEP_1)
	v_cndmask_b32_e64 v6, v6, v7, s3
	v_subrev_nc_u32_e32 v7, s15, v6
	v_cmp_le_u32_e64 s3, s15, v6
	s_wait_alu 0xf1ff
	s_delay_alu instid0(VALU_DEP_1) | instskip(NEXT) | instid1(VALU_DEP_1)
	v_cndmask_b32_e64 v6, v6, v7, s3
	v_xor_b32_e32 v6, v6, v5
	s_delay_alu instid0(VALU_DEP_1) | instskip(NEXT) | instid1(VALU_DEP_1)
	v_sub_nc_u32_e32 v5, v6, v5
	v_cmp_ne_u32_e64 s3, 0, v5
	s_and_b32 s3, s3, s4
	s_wait_alu 0xfffe
	s_and_saveexec_b32 s4, s3
	s_wait_alu 0xfffe
	s_xor_b32 s3, exec_lo, s4
; %bb.13:                               ;   in Loop: Header=BB354_12 Depth=1
	v_mov_b32_e32 v0, 0xff7fffff
	ds_store_b32 v135, v0
; %bb.14:                               ;   in Loop: Header=BB354_12 Depth=1
	s_wait_alu 0xfffe
	s_and_not1_saveexec_b32 s4, s3
	s_cbranch_execz .LBB354_11
; %bb.15:                               ;   in Loop: Header=BB354_12 Depth=1
	global_load_b32 v0, v[3:4], off
	s_load_b32 s41, s[8:9], 0x0
	s_wait_loadcnt 0x0
	v_mad_co_i64_i32 v[5:6], null, v0, s31, v[1:2]
	s_clause 0x3
	global_load_b128 v[24:27], v[5:6], off
	global_load_b128 v[56:59], v[5:6], off offset:1024
	global_load_b128 v[82:85], v[5:6], off offset:2048
	;; [unrolled: 1-line block ×3, first 2 shown]
	s_wait_loadcnt 0x3
	v_bfe_u32 v22, v24, 8, 8
	v_lshrrev_b32_e32 v20, 24, v24
	v_bfe_u32 v16, v25, 8, 8
	v_lshrrev_b32_e32 v14, 24, v25
	v_bfe_u32 v21, v24, 16, 8
	v_bfe_u32 v15, v25, 16, 8
	;; [unrolled: 1-line block ×4, first 2 shown]
	v_lshrrev_b32_e32 v10, 24, v26
	v_bfe_u32 v8, v27, 8, 8
	v_bfe_u32 v7, v27, 16, 8
	v_lshrrev_b32_e32 v0, 24, v27
	v_cvt_f32_fp8_e32 v22, v22
	v_and_b32_e32 v23, 0xff, v24
	v_cvt_f32_fp8_e32 v20, v20
	v_and_b32_e32 v19, 0xff, v25
	;; [unrolled: 2-line block ×4, first 2 shown]
	global_load_b128 v[24:27], v[5:6], off offset:512
	s_wait_loadcnt 0x3
	v_and_b32_e32 v55, 0xff, v56
	v_bfe_u32 v50, v56, 8, 8
	v_bfe_u32 v43, v56, 16, 8
	v_lshrrev_b32_e32 v36, 24, v56
	v_bfe_u32 v34, v57, 8, 8
	v_bfe_u32 v33, v57, 16, 8
	v_lshrrev_b32_e32 v32, 24, v57
	v_and_b32_e32 v31, 0xff, v58
	v_bfe_u32 v30, v58, 8, 8
	v_bfe_u32 v29, v58, 16, 8
	v_lshrrev_b32_e32 v28, 24, v58
	s_wait_kmcnt 0x0
	v_mul_f32_e32 v22, s41, v22
	v_cvt_f32_fp8_e32 v23, v23
	v_cvt_f32_fp8_e32 v12, v12
	;; [unrolled: 1-line block ×5, first 2 shown]
	v_and_b32_e32 v35, 0xff, v57
	s_wait_loadcnt 0x2
	v_and_b32_e32 v81, 0xff, v82
	v_bfe_u32 v76, v82, 8, 8
	v_bfe_u32 v69, v82, 16, 8
	v_lshrrev_b32_e32 v68, 24, v82
	v_and_b32_e32 v67, 0xff, v83
	v_bfe_u32 v66, v83, 8, 8
	v_bfe_u32 v65, v83, 16, 8
	v_lshrrev_b32_e32 v64, 24, v83
	;; [unrolled: 4-line block ×3, first 2 shown]
	v_cvt_f32_fp8_e32 v21, v21
	v_mul_f32_e32 v20, s41, v20
	v_cvt_f32_fp8_e32 v19, v19
	v_cvt_f32_fp8_e32 v15, v15
	v_mul_f32_e32 v23, s41, v23
	v_cvt_f32_fp8_e32 v7, v7
	v_mul_f32_e32 v16, s41, v16
	v_mul_f32_e32 v14, s41, v14
	v_cvt_f32_fp8_e32 v13, v13
	v_cvt_f32_fp8_e32 v11, v11
	;; [unrolled: 1-line block ×3, first 2 shown]
	v_mul_f32_e32 v12, s41, v12
	v_mul_f32_e32 v10, s41, v10
	;; [unrolled: 1-line block ×4, first 2 shown]
	v_cmp_u_f32_e64 s3, v23, v23
	s_wait_loadcnt 0x1
	v_dual_mul_f32 v7, s41, v7 :: v_dual_and_b32 v108, 0xff, v138
	v_bfe_u32 v101, v138, 8, 8
	v_bfe_u32 v95, v138, 16, 8
	v_lshrrev_b32_e32 v94, 24, v138
	v_bfe_u32 v138, v23, 16, 1
	v_mul_f32_e32 v21, s41, v21
	v_and_b32_e32 v93, 0xff, v139
	v_bfe_u32 v92, v139, 8, 8
	v_bfe_u32 v91, v139, 16, 8
	v_lshrrev_b32_e32 v90, 24, v139
	v_and_b32_e32 v89, 0xff, v140
	v_bfe_u32 v88, v140, 8, 8
	v_bfe_u32 v87, v140, 16, 8
	v_lshrrev_b32_e32 v86, 24, v140
	v_mul_f32_e32 v19, s41, v19
	v_mul_f32_e32 v15, s41, v15
	v_add3_u32 v138, v138, v23, 0x7fff
	v_or_b32_e32 v23, 0x400000, v23
	v_mul_f32_e32 v13, s41, v13
	v_mul_f32_e32 v11, s41, v11
	;; [unrolled: 1-line block ×3, first 2 shown]
	s_wait_alu 0xf1ff
	v_cndmask_b32_e64 v138, v138, v23, s3
	v_bfe_u32 v23, v22, 16, 1
	v_cmp_u_f32_e64 s3, v22, v22
	s_delay_alu instid0(VALU_DEP_2) | instskip(SKIP_2) | instid1(VALU_DEP_1)
	v_add3_u32 v23, v23, v22, 0x7fff
	v_or_b32_e32 v22, 0x400000, v22
	s_wait_alu 0xf1ff
	v_cndmask_b32_e64 v139, v23, v22, s3
	v_bfe_u32 v22, v21, 16, 1
	v_cmp_u_f32_e64 s3, v21, v21
	s_delay_alu instid0(VALU_DEP_2) | instskip(SKIP_2) | instid1(VALU_DEP_1)
	v_add3_u32 v22, v22, v21, 0x7fff
	v_or_b32_e32 v21, 0x400000, v21
	s_wait_alu 0xf1ff
	v_cndmask_b32_e64 v140, v22, v21, s3
	v_bfe_u32 v21, v20, 16, 1
	v_cmp_u_f32_e64 s3, v20, v20
	s_delay_alu instid0(VALU_DEP_2)
	v_add3_u32 v21, v21, v20, 0x7fff
	v_or_b32_e32 v20, 0x400000, v20
	s_wait_loadcnt 0x0
	v_and_b32_e32 v37, 0xff, v24
	v_bfe_u32 v38, v24, 8, 8
	v_bfe_u32 v39, v24, 16, 8
	v_lshrrev_b32_e32 v40, 24, v24
	v_and_b32_e32 v41, 0xff, v25
	v_bfe_u32 v42, v25, 8, 8
	v_bfe_u32 v44, v25, 16, 8
	v_lshrrev_b32_e32 v45, 24, v25
	;; [unrolled: 4-line block ×5, first 2 shown]
	global_load_b128 v[56:59], v[5:6], off offset:1536
	s_wait_loadcnt 0x0
	v_and_b32_e32 v186, 0xff, v56
	v_bfe_u32 v187, v56, 8, 8
	v_bfe_u32 v188, v56, 16, 8
	v_lshrrev_b32_e32 v189, 24, v56
	v_and_b32_e32 v190, 0xff, v57
	v_bfe_u32 v191, v57, 8, 8
	v_bfe_u32 v70, v57, 16, 8
	v_lshrrev_b32_e32 v71, 24, v57
	;; [unrolled: 4-line block ×5, first 2 shown]
	s_clause 0x1
	global_load_b128 v[82:85], v[5:6], off offset:2560
	global_load_b64 v[5:6], v[5:6], off offset:3584
	s_wait_loadcnt 0x1
	v_and_b32_e32 v96, 0xff, v82
	v_bfe_u32 v97, v82, 8, 8
	v_bfe_u32 v98, v82, 16, 8
	v_lshrrev_b32_e32 v99, 24, v82
	v_and_b32_e32 v100, 0xff, v83
	v_bfe_u32 v102, v83, 8, 8
	v_bfe_u32 v103, v83, 16, 8
	v_lshrrev_b32_e32 v104, 24, v83
	;; [unrolled: 4-line block ×5, first 2 shown]
	s_wait_alu 0xf1ff
	v_cndmask_b32_e64 v141, v21, v20, s3
	v_bfe_u32 v20, v19, 16, 1
	v_cmp_u_f32_e64 s3, v19, v19
	s_delay_alu instid0(VALU_DEP_2) | instskip(SKIP_2) | instid1(VALU_DEP_1)
	v_add3_u32 v20, v20, v19, 0x7fff
	v_or_b32_e32 v19, 0x400000, v19
	s_wait_alu 0xf1ff
	v_cndmask_b32_e64 v142, v20, v19, s3
	v_bfe_u32 v19, v16, 16, 1
	v_cmp_u_f32_e64 s3, v16, v16
	s_delay_alu instid0(VALU_DEP_2) | instskip(SKIP_2) | instid1(VALU_DEP_1)
	v_add3_u32 v19, v19, v16, 0x7fff
	v_or_b32_e32 v16, 0x400000, v16
	;; [unrolled: 7-line block ×12, first 2 shown]
	s_wait_alu 0xf1ff
	v_cndmask_b32_e64 v153, v7, v0, s3
	v_cvt_f32_fp8_e32 v0, v37
	s_delay_alu instid0(VALU_DEP_1) | instskip(NEXT) | instid1(VALU_DEP_1)
	v_mul_f32_e32 v0, s41, v0
	v_bfe_u32 v7, v0, 16, 1
	v_cmp_u_f32_e64 s3, v0, v0
	s_delay_alu instid0(VALU_DEP_2) | instskip(SKIP_2) | instid1(VALU_DEP_1)
	v_add3_u32 v7, v7, v0, 0x7fff
	v_or_b32_e32 v0, 0x400000, v0
	s_wait_alu 0xf1ff
	v_cndmask_b32_e64 v154, v7, v0, s3
	v_cvt_f32_fp8_e32 v0, v38
	s_delay_alu instid0(VALU_DEP_1) | instskip(NEXT) | instid1(VALU_DEP_1)
	v_mul_f32_e32 v0, s41, v0
	v_bfe_u32 v7, v0, 16, 1
	v_cmp_u_f32_e64 s3, v0, v0
	s_delay_alu instid0(VALU_DEP_2) | instskip(SKIP_2) | instid1(VALU_DEP_1)
	v_add3_u32 v7, v7, v0, 0x7fff
	v_or_b32_e32 v0, 0x400000, v0
	;; [unrolled: 10-line block ×39, first 2 shown]
	s_wait_alu 0xf1ff
	v_cndmask_b32_e64 v7, v7, v0, s3
	v_cvt_f32_fp8_e32 v0, v71
	s_delay_alu instid0(VALU_DEP_1) | instskip(NEXT) | instid1(VALU_DEP_1)
	v_dual_mul_f32 v0, s41, v0 :: v_dual_and_b32 v7, 0xffff0000, v7
	v_bfe_u32 v8, v0, 16, 1
	v_cmp_u_f32_e64 s3, v0, v0
	s_delay_alu instid0(VALU_DEP_2) | instskip(SKIP_2) | instid1(VALU_DEP_1)
	v_add3_u32 v8, v8, v0, 0x7fff
	v_or_b32_e32 v0, 0x400000, v0
	s_wait_alu 0xf1ff
	v_cndmask_b32_e64 v8, v8, v0, s3
	v_cvt_f32_fp8_e32 v0, v72
	s_wait_loadcnt 0x0
	v_lshrrev_b32_e32 v72, 24, v6
	s_delay_alu instid0(VALU_DEP_2) | instskip(NEXT) | instid1(VALU_DEP_1)
	v_mul_f32_e32 v0, s41, v0
	v_bfe_u32 v9, v0, 16, 1
	v_cmp_u_f32_e64 s3, v0, v0
	s_delay_alu instid0(VALU_DEP_2) | instskip(SKIP_2) | instid1(VALU_DEP_1)
	v_add3_u32 v9, v9, v0, 0x7fff
	v_or_b32_e32 v0, 0x400000, v0
	s_wait_alu 0xf1ff
	v_cndmask_b32_e64 v15, v9, v0, s3
	v_cvt_f32_fp8_e32 v0, v73
	s_delay_alu instid0(VALU_DEP_1) | instskip(NEXT) | instid1(VALU_DEP_1)
	v_dual_mul_f32 v0, s41, v0 :: v_dual_and_b32 v73, 0xffff0000, v138
	v_bfe_u32 v9, v0, 16, 1
	v_cmp_u_f32_e64 s3, v0, v0
	s_delay_alu instid0(VALU_DEP_2) | instskip(SKIP_2) | instid1(VALU_DEP_1)
	v_add3_u32 v9, v9, v0, 0x7fff
	v_or_b32_e32 v0, 0x400000, v0
	s_wait_alu 0xf1ff
	v_cndmask_b32_e64 v16, v9, v0, s3
	v_cvt_f32_fp8_e32 v0, v74
	scratch_load_b32 v74, off, off offset:36 ; 4-byte Folded Reload
	v_mul_f32_e32 v0, s41, v0
	s_delay_alu instid0(VALU_DEP_1) | instskip(SKIP_1) | instid1(VALU_DEP_2)
	v_bfe_u32 v9, v0, 16, 1
	v_cmp_u_f32_e64 s3, v0, v0
	v_add3_u32 v9, v9, v0, 0x7fff
	v_or_b32_e32 v0, 0x400000, v0
	s_wait_alu 0xf1ff
	s_delay_alu instid0(VALU_DEP_1) | instskip(SKIP_1) | instid1(VALU_DEP_1)
	v_cndmask_b32_e64 v9, v9, v0, s3
	v_cvt_f32_fp8_e32 v0, v75
	v_dual_mul_f32 v0, s41, v0 :: v_dual_and_b32 v75, 0xffff0000, v139
	s_delay_alu instid0(VALU_DEP_1) | instskip(SKIP_1) | instid1(VALU_DEP_2)
	v_bfe_u32 v10, v0, 16, 1
	v_cmp_u_f32_e64 s3, v0, v0
	v_add3_u32 v10, v10, v0, 0x7fff
	v_or_b32_e32 v0, 0x400000, v0
	s_wait_alu 0xf1ff
	s_delay_alu instid0(VALU_DEP_1) | instskip(SKIP_1) | instid1(VALU_DEP_2)
	v_cndmask_b32_e64 v0, v10, v0, s3
	v_cvt_f32_fp8_e32 v10, v77
	v_and_b32_e32 v0, 0xffff0000, v0
	s_delay_alu instid0(VALU_DEP_2) | instskip(NEXT) | instid1(VALU_DEP_1)
	v_mul_f32_e32 v10, s41, v10
	v_bfe_u32 v11, v10, 16, 1
	v_cmp_u_f32_e64 s3, v10, v10
	s_delay_alu instid0(VALU_DEP_2) | instskip(SKIP_2) | instid1(VALU_DEP_1)
	v_add3_u32 v11, v11, v10, 0x7fff
	v_or_b32_e32 v10, 0x400000, v10
	s_wait_alu 0xf1ff
	v_cndmask_b32_e64 v10, v11, v10, s3
	v_cvt_f32_fp8_e32 v11, v78
	s_delay_alu instid0(VALU_DEP_1) | instskip(NEXT) | instid1(VALU_DEP_1)
	v_mul_f32_e32 v11, s41, v11
	v_bfe_u32 v12, v11, 16, 1
	v_cmp_u_f32_e64 s3, v11, v11
	s_delay_alu instid0(VALU_DEP_2) | instskip(SKIP_2) | instid1(VALU_DEP_1)
	v_add3_u32 v12, v12, v11, 0x7fff
	v_or_b32_e32 v11, 0x400000, v11
	s_wait_alu 0xf1ff
	v_cndmask_b32_e64 v11, v12, v11, s3
	v_cvt_f32_fp8_e32 v12, v79
	scratch_load_b32 v79, off, off offset:56 ; 4-byte Folded Reload
	v_mul_f32_e32 v12, s41, v12
	s_delay_alu instid0(VALU_DEP_1) | instskip(SKIP_1) | instid1(VALU_DEP_2)
	v_bfe_u32 v13, v12, 16, 1
	v_cmp_u_f32_e64 s3, v12, v12
	v_add3_u32 v13, v13, v12, 0x7fff
	v_or_b32_e32 v12, 0x400000, v12
	s_wait_alu 0xf1ff
	s_delay_alu instid0(VALU_DEP_1) | instskip(SKIP_3) | instid1(VALU_DEP_1)
	v_cndmask_b32_e64 v12, v13, v12, s3
	v_cvt_f32_fp8_e32 v13, v80
	scratch_load_b32 v80, off, off offset:60 ; 4-byte Folded Reload
	v_mul_f32_e32 v13, s41, v13
	v_bfe_u32 v14, v13, 16, 1
	v_cmp_u_f32_e64 s3, v13, v13
	s_delay_alu instid0(VALU_DEP_2) | instskip(SKIP_2) | instid1(VALU_DEP_1)
	v_add3_u32 v14, v14, v13, 0x7fff
	v_or_b32_e32 v13, 0x400000, v13
	s_wait_alu 0xf1ff
	v_cndmask_b32_e64 v13, v14, v13, s3
	v_cvt_f32_fp8_e32 v14, v81
	scratch_load_b32 v81, off, off offset:64 ; 4-byte Folded Reload
	v_mul_f32_e32 v14, s41, v14
	s_delay_alu instid0(VALU_DEP_1) | instskip(SKIP_1) | instid1(VALU_DEP_2)
	v_bfe_u32 v19, v14, 16, 1
	v_cmp_u_f32_e64 s3, v14, v14
	v_add3_u32 v19, v19, v14, 0x7fff
	v_or_b32_e32 v14, 0x400000, v14
	s_wait_alu 0xf1ff
	s_delay_alu instid0(VALU_DEP_1) | instskip(SKIP_3) | instid1(VALU_DEP_1)
	v_cndmask_b32_e64 v14, v19, v14, s3
	v_cvt_f32_fp8_e32 v19, v76
	scratch_load_b32 v76, off, off offset:44 ; 4-byte Folded Reload
	v_mul_f32_e32 v19, s41, v19
	v_bfe_u32 v20, v19, 16, 1
	v_cmp_u_f32_e64 s3, v19, v19
	s_delay_alu instid0(VALU_DEP_2) | instskip(SKIP_2) | instid1(VALU_DEP_1)
	v_add3_u32 v20, v20, v19, 0x7fff
	v_or_b32_e32 v19, 0x400000, v19
	s_wait_alu 0xf1ff
	v_cndmask_b32_e64 v19, v20, v19, s3
	v_cvt_f32_fp8_e32 v20, v69
	s_delay_alu instid0(VALU_DEP_1) | instskip(NEXT) | instid1(VALU_DEP_1)
	v_mul_f32_e32 v20, s41, v20
	v_bfe_u32 v21, v20, 16, 1
	v_cmp_u_f32_e64 s3, v20, v20
	s_delay_alu instid0(VALU_DEP_2) | instskip(SKIP_2) | instid1(VALU_DEP_1)
	v_add3_u32 v21, v21, v20, 0x7fff
	v_or_b32_e32 v20, 0x400000, v20
	s_wait_alu 0xf1ff
	v_cndmask_b32_e64 v20, v21, v20, s3
	v_cvt_f32_fp8_e32 v21, v68
	s_delay_alu instid0(VALU_DEP_1) | instskip(NEXT) | instid1(VALU_DEP_1)
	;; [unrolled: 10-line block ×46, first 2 shown]
	v_mul_f32_e32 v53, s41, v53
	v_bfe_u32 v66, v53, 16, 1
	v_cmp_u_f32_e64 s3, v53, v53
	s_delay_alu instid0(VALU_DEP_2) | instskip(SKIP_2) | instid1(VALU_DEP_1)
	v_add3_u32 v66, v66, v53, 0x7fff
	v_or_b32_e32 v53, 0x400000, v53
	s_wait_alu 0xf1ff
	v_cndmask_b32_e64 v53, v66, v53, s3
	v_and_b32_e32 v66, 0xff, v5
	s_delay_alu instid0(VALU_DEP_1) | instskip(NEXT) | instid1(VALU_DEP_1)
	v_cvt_f32_fp8_e32 v66, v66
	v_mul_f32_e32 v66, s41, v66
	s_delay_alu instid0(VALU_DEP_1) | instskip(SKIP_1) | instid1(VALU_DEP_2)
	v_bfe_u32 v67, v66, 16, 1
	v_cmp_u_f32_e64 s3, v66, v66
	v_add3_u32 v67, v67, v66, 0x7fff
	v_or_b32_e32 v66, 0x400000, v66
	s_wait_alu 0xf1ff
	s_delay_alu instid0(VALU_DEP_1) | instskip(SKIP_1) | instid1(VALU_DEP_1)
	v_cndmask_b32_e64 v66, v67, v66, s3
	v_bfe_u32 v67, v5, 8, 8
	v_cvt_f32_fp8_e32 v67, v67
	s_delay_alu instid0(VALU_DEP_1) | instskip(NEXT) | instid1(VALU_DEP_1)
	v_mul_f32_e32 v67, s41, v67
	v_bfe_u32 v68, v67, 16, 1
	v_cmp_u_f32_e64 s3, v67, v67
	s_delay_alu instid0(VALU_DEP_2) | instskip(SKIP_2) | instid1(VALU_DEP_1)
	v_add3_u32 v68, v68, v67, 0x7fff
	v_or_b32_e32 v67, 0x400000, v67
	s_wait_alu 0xf1ff
	v_cndmask_b32_e64 v67, v68, v67, s3
	v_bfe_u32 v68, v5, 16, 8
	v_lshrrev_b32_e32 v5, 24, v5
	s_delay_alu instid0(VALU_DEP_2) | instskip(NEXT) | instid1(VALU_DEP_2)
	v_cvt_f32_fp8_e32 v68, v68
	v_cvt_f32_fp8_e32 v5, v5
	s_delay_alu instid0(VALU_DEP_1) | instskip(NEXT) | instid1(VALU_DEP_1)
	v_dual_mul_f32 v68, s41, v68 :: v_dual_mul_f32 v5, s41, v5
	v_bfe_u32 v69, v68, 16, 1
	v_cmp_u_f32_e64 s3, v68, v68
	s_delay_alu instid0(VALU_DEP_2) | instskip(SKIP_2) | instid1(VALU_DEP_1)
	v_add3_u32 v69, v69, v68, 0x7fff
	v_or_b32_e32 v68, 0x400000, v68
	s_wait_alu 0xf1ff
	v_cndmask_b32_e64 v68, v69, v68, s3
	v_bfe_u32 v69, v5, 16, 1
	v_cmp_u_f32_e64 s3, v5, v5
	s_delay_alu instid0(VALU_DEP_2) | instskip(SKIP_2) | instid1(VALU_DEP_1)
	v_add3_u32 v69, v69, v5, 0x7fff
	v_or_b32_e32 v5, 0x400000, v5
	s_wait_alu 0xf1ff
	v_cndmask_b32_e64 v5, v69, v5, s3
	v_and_b32_e32 v69, 0xff, v6
	s_delay_alu instid0(VALU_DEP_2) | instskip(NEXT) | instid1(VALU_DEP_2)
	v_and_b32_e32 v5, 0xffff0000, v5
	v_cvt_f32_fp8_e32 v69, v69
	s_delay_alu instid0(VALU_DEP_1) | instskip(NEXT) | instid1(VALU_DEP_1)
	v_mul_f32_e32 v69, s41, v69
	v_bfe_u32 v70, v69, 16, 1
	v_cmp_u_f32_e64 s3, v69, v69
	s_delay_alu instid0(VALU_DEP_2) | instskip(SKIP_2) | instid1(VALU_DEP_1)
	v_add3_u32 v70, v70, v69, 0x7fff
	v_or_b32_e32 v69, 0x400000, v69
	s_wait_alu 0xf1ff
	v_cndmask_b32_e64 v69, v70, v69, s3
	v_bfe_u32 v70, v6, 8, 8
	s_delay_alu instid0(VALU_DEP_1) | instskip(NEXT) | instid1(VALU_DEP_1)
	v_cvt_f32_fp8_e32 v70, v70
	v_mul_f32_e32 v70, s41, v70
	s_delay_alu instid0(VALU_DEP_1) | instskip(SKIP_1) | instid1(VALU_DEP_2)
	v_bfe_u32 v71, v70, 16, 1
	v_cmp_u_f32_e64 s3, v70, v70
	v_add3_u32 v71, v71, v70, 0x7fff
	v_or_b32_e32 v70, 0x400000, v70
	s_wait_alu 0xf1ff
	s_delay_alu instid0(VALU_DEP_1) | instskip(SKIP_1) | instid1(VALU_DEP_1)
	v_cndmask_b32_e64 v70, v71, v70, s3
	v_bfe_u32 v71, v6, 16, 8
	v_cvt_f32_fp8_e32 v6, v71
	s_delay_alu instid0(VALU_DEP_1) | instskip(NEXT) | instid1(VALU_DEP_1)
	v_mul_f32_e32 v6, s41, v6
	v_bfe_u32 v71, v6, 16, 1
	v_cmp_u_f32_e64 s3, v6, v6
	s_delay_alu instid0(VALU_DEP_2) | instskip(SKIP_2) | instid1(VALU_DEP_1)
	v_add3_u32 v71, v71, v6, 0x7fff
	v_or_b32_e32 v6, 0x400000, v6
	s_wait_alu 0xf1ff
	v_cndmask_b32_e64 v6, v71, v6, s3
	v_cvt_f32_fp8_e32 v71, v72
	s_delay_alu instid0(VALU_DEP_1) | instskip(NEXT) | instid1(VALU_DEP_1)
	v_mul_f32_e32 v71, s41, v71
	v_bfe_u32 v72, v71, 16, 1
	v_cmp_u_f32_e64 s3, v71, v71
	s_delay_alu instid0(VALU_DEP_2) | instskip(SKIP_2) | instid1(VALU_DEP_1)
	v_add3_u32 v72, v72, v71, 0x7fff
	v_or_b32_e32 v71, 0x400000, v71
	s_wait_alu 0xf1ff
	v_cndmask_b32_e64 v71, v72, v71, s3
	v_and_b32_e32 v72, 0xffff0000, v146
	s_wait_loadcnt 0x4
	s_delay_alu instid0(VALU_DEP_1)
	v_mul_f32_e32 v72, v74, v72
	scratch_load_b32 v74, off, off offset:4 ; 4-byte Folded Reload
	s_wait_loadcnt 0x0
	v_fmac_f32_e32 v72, v74, v73
	scratch_load_b32 v74, off, off offset:40 ; 4-byte Folded Reload
	v_and_b32_e32 v73, 0xffff0000, v147
	s_wait_loadcnt 0x0
	s_delay_alu instid0(VALU_DEP_1) | instskip(SKIP_4) | instid1(VALU_DEP_2)
	v_mul_f32_e32 v74, v74, v73
	scratch_load_b32 v73, off, off offset:8 ; 4-byte Folded Reload
	s_wait_loadcnt 0x0
	v_dual_fmac_f32 v74, v73, v75 :: v_dual_and_b32 v73, 0xffff0000, v148
	v_and_b32_e32 v75, 0xffff0000, v140
	v_mul_f32_e32 v77, v76, v73
	s_clause 0x1
	scratch_load_b32 v73, off, off offset:12
	scratch_load_b32 v76, off, off offset:48
	s_wait_loadcnt 0x1
	v_fmac_f32_e32 v77, v73, v75
	v_and_b32_e32 v73, 0xffff0000, v149
	v_and_b32_e32 v75, 0xffff0000, v141
	s_wait_loadcnt 0x0
	s_delay_alu instid0(VALU_DEP_2)
	v_mul_f32_e32 v78, v76, v73
	scratch_load_b32 v73, off, off offset:16 ; 4-byte Folded Reload
	v_and_b32_e32 v76, 0xffff0000, v142
	s_wait_loadcnt 0x0
	v_fmac_f32_e32 v78, v73, v75
	scratch_load_b32 v75, off, off offset:52 ; 4-byte Folded Reload
	v_and_b32_e32 v73, 0xffff0000, v150
	s_wait_loadcnt 0x0
	s_delay_alu instid0(VALU_DEP_1) | instskip(SKIP_4) | instid1(VALU_DEP_1)
	v_mul_f32_e32 v75, v75, v73
	scratch_load_b32 v73, off, off offset:20 ; 4-byte Folded Reload
	s_wait_loadcnt 0x0
	v_fmac_f32_e32 v75, v73, v76
	v_and_b32_e32 v73, 0xffff0000, v151
	v_dual_mul_f32 v73, v79, v73 :: v_dual_and_b32 v76, 0xffff0000, v143
	scratch_load_b32 v79, off, off offset:24 ; 4-byte Folded Reload
	s_wait_loadcnt 0x0
	v_fmac_f32_e32 v73, v79, v76
	v_and_b32_e32 v76, 0xffff0000, v152
	v_and_b32_e32 v79, 0xffff0000, v144
	s_delay_alu instid0(VALU_DEP_2) | instskip(SKIP_3) | instid1(VALU_DEP_1)
	v_mul_f32_e32 v76, v80, v76
	scratch_load_b32 v80, off, off offset:28 ; 4-byte Folded Reload
	s_wait_loadcnt 0x0
	v_dual_fmac_f32 v76, v80, v79 :: v_dual_and_b32 v79, 0xffff0000, v153
	v_dual_mul_f32 v79, v81, v79 :: v_dual_and_b32 v80, 0xffff0000, v145
	scratch_load_b32 v81, off, off offset:32 ; 4-byte Folded Reload
	s_wait_loadcnt 0x0
	v_fmac_f32_e32 v79, v81, v80
	scratch_load_b32 v81, off, off offset:68 ; 4-byte Folded Reload
	v_and_b32_e32 v80, 0xffff0000, v154
	s_wait_loadcnt 0x0
	s_delay_alu instid0(VALU_DEP_1) | instskip(SKIP_3) | instid1(VALU_DEP_1)
	v_fmac_f32_e32 v72, v81, v80
	scratch_load_b32 v81, off, off offset:72 ; 4-byte Folded Reload
	v_and_b32_e32 v80, 0xffff0000, v155
	s_wait_loadcnt 0x0
	v_fmac_f32_e32 v74, v81, v80
	scratch_load_b32 v81, off, off offset:76 ; 4-byte Folded Reload
	v_and_b32_e32 v80, 0xffff0000, v156
	s_wait_loadcnt 0x0
	s_delay_alu instid0(VALU_DEP_1) | instskip(SKIP_3) | instid1(VALU_DEP_1)
	v_fmac_f32_e32 v77, v81, v80
	scratch_load_b32 v81, off, off offset:80 ; 4-byte Folded Reload
	v_and_b32_e32 v80, 0xffff0000, v157
	;; [unrolled: 9-line block ×9, first 2 shown]
	s_wait_loadcnt 0x0
	v_fmac_f32_e32 v74, v81, v80
	scratch_load_b32 v81, off, off offset:140 ; 4-byte Folded Reload
	v_and_b32_e32 v80, 0xffff0000, v172
	s_wait_loadcnt 0x0
	s_delay_alu instid0(VALU_DEP_1)
	v_dual_fmac_f32 v77, v81, v80 :: v_dual_and_b32 v80, 0xffff0000, v173
	scratch_load_b32 v81, off, off offset:144 ; 4-byte Folded Reload
	s_wait_loadcnt 0x0
	v_fmac_f32_e32 v78, v81, v80
	scratch_load_b32 v81, off, off offset:148 ; 4-byte Folded Reload
	v_and_b32_e32 v80, 0xffff0000, v174
	s_wait_loadcnt 0x0
	s_delay_alu instid0(VALU_DEP_1)
	v_dual_fmac_f32 v75, v81, v80 :: v_dual_and_b32 v80, 0xffff0000, v175
	scratch_load_b32 v81, off, off offset:152 ; 4-byte Folded Reload
	s_wait_loadcnt 0x0
	v_fmac_f32_e32 v73, v81, v80
	scratch_load_b32 v81, off, off offset:156 ; 4-byte Folded Reload
	v_and_b32_e32 v80, 0xffff0000, v176
	s_wait_loadcnt 0x0
	s_delay_alu instid0(VALU_DEP_1) | instskip(SKIP_3) | instid1(VALU_DEP_1)
	v_fmac_f32_e32 v76, v81, v80
	scratch_load_b32 v81, off, off offset:160 ; 4-byte Folded Reload
	v_and_b32_e32 v80, 0xffff0000, v177
	s_wait_loadcnt 0x0
	v_dual_fmac_f32 v79, v81, v80 :: v_dual_and_b32 v80, 0xffff0000, v178
	scratch_load_b32 v81, off, off offset:164 ; 4-byte Folded Reload
	s_wait_loadcnt 0x0
	v_fmac_f32_e32 v72, v81, v80
	scratch_load_b32 v81, off, off offset:168 ; 4-byte Folded Reload
	v_and_b32_e32 v80, 0xffff0000, v179
	s_wait_loadcnt 0x0
	s_delay_alu instid0(VALU_DEP_1) | instskip(SKIP_3) | instid1(VALU_DEP_1)
	v_fmac_f32_e32 v74, v81, v80
	scratch_load_b32 v81, off, off offset:172 ; 4-byte Folded Reload
	v_and_b32_e32 v80, 0xffff0000, v180
	s_wait_loadcnt 0x0
	v_dual_fmac_f32 v77, v81, v80 :: v_dual_and_b32 v80, 0xffff0000, v181
	scratch_load_b32 v81, off, off offset:176 ; 4-byte Folded Reload
	s_wait_loadcnt 0x0
	v_fmac_f32_e32 v78, v81, v80
	scratch_load_b32 v81, off, off offset:180 ; 4-byte Folded Reload
	v_and_b32_e32 v80, 0xffff0000, v182
	s_wait_loadcnt 0x0
	s_delay_alu instid0(VALU_DEP_1)
	v_dual_fmac_f32 v75, v81, v80 :: v_dual_and_b32 v80, 0xffff0000, v183
	scratch_load_b32 v81, off, off offset:184 ; 4-byte Folded Reload
	s_wait_loadcnt 0x0
	v_fmac_f32_e32 v73, v81, v80
	scratch_load_b32 v81, off, off offset:188 ; 4-byte Folded Reload
	v_and_b32_e32 v80, 0xffff0000, v184
	s_wait_loadcnt 0x0
	s_delay_alu instid0(VALU_DEP_1) | instskip(SKIP_3) | instid1(VALU_DEP_1)
	v_fmac_f32_e32 v76, v81, v80
	scratch_load_b32 v81, off, off offset:192 ; 4-byte Folded Reload
	v_and_b32_e32 v80, 0xffff0000, v185
	s_wait_loadcnt 0x0
	v_dual_fmac_f32 v79, v81, v80 :: v_dual_and_b32 v80, 0xffff0000, v186
	scratch_load_b32 v81, off, off offset:196 ; 4-byte Folded Reload
	s_wait_loadcnt 0x0
	v_fmac_f32_e32 v72, v81, v80
	scratch_load_b32 v81, off, off offset:200 ; 4-byte Folded Reload
	v_and_b32_e32 v80, 0xffff0000, v187
	s_wait_loadcnt 0x0
	s_delay_alu instid0(VALU_DEP_1) | instskip(SKIP_3) | instid1(VALU_DEP_1)
	v_fmac_f32_e32 v74, v81, v80
	scratch_load_b32 v81, off, off offset:204 ; 4-byte Folded Reload
	v_and_b32_e32 v80, 0xffff0000, v188
	s_wait_loadcnt 0x0
	v_dual_fmac_f32 v77, v81, v80 :: v_dual_and_b32 v80, 0xffff0000, v189
	scratch_load_b32 v81, off, off offset:208 ; 4-byte Folded Reload
	s_wait_loadcnt 0x0
	v_fmac_f32_e32 v78, v81, v80
	scratch_load_b32 v81, off, off offset:212 ; 4-byte Folded Reload
	v_and_b32_e32 v80, 0xffff0000, v190
	s_wait_loadcnt 0x0
	s_delay_alu instid0(VALU_DEP_1)
	v_dual_fmac_f32 v75, v81, v80 :: v_dual_and_b32 v80, 0xffff0000, v191
	scratch_load_b32 v81, off, off offset:216 ; 4-byte Folded Reload
	s_wait_loadcnt 0x0
	v_fmac_f32_e32 v73, v81, v80
	scratch_load_b32 v80, off, off offset:220 ; 4-byte Folded Reload
	s_wait_loadcnt 0x0
	v_dual_fmac_f32 v76, v80, v7 :: v_dual_and_b32 v7, 0xffff0000, v8
	scratch_load_b32 v8, off, off offset:224 ; 4-byte Folded Reload
	s_wait_loadcnt 0x0
	v_fmac_f32_e32 v79, v8, v7
	scratch_load_b32 v8, off, off offset:228 ; 4-byte Folded Reload
	v_and_b32_e32 v7, 0xffff0000, v15
	s_wait_loadcnt 0x0
	s_delay_alu instid0(VALU_DEP_1) | instskip(SKIP_3) | instid1(VALU_DEP_1)
	v_fmac_f32_e32 v72, v8, v7
	scratch_load_b32 v8, off, off offset:232 ; 4-byte Folded Reload
	v_and_b32_e32 v7, 0xffff0000, v16
	s_wait_loadcnt 0x0
	v_fmac_f32_e32 v74, v8, v7
	scratch_load_b32 v8, off, off offset:236 ; 4-byte Folded Reload
	v_and_b32_e32 v7, 0xffff0000, v9
	s_wait_loadcnt 0x0
	s_delay_alu instid0(VALU_DEP_1)
	v_fmac_f32_e32 v77, v8, v7
	scratch_load_b32 v7, off, off offset:240 ; 4-byte Folded Reload
	s_wait_loadcnt 0x0
	v_fmac_f32_e32 v78, v7, v0
	scratch_load_b32 v7, off, off offset:244 ; 4-byte Folded Reload
	v_and_b32_e32 v0, 0xffff0000, v10
	s_wait_loadcnt 0x0
	s_delay_alu instid0(VALU_DEP_1) | instskip(SKIP_3) | instid1(VALU_DEP_1)
	v_fmac_f32_e32 v75, v7, v0
	scratch_load_b32 v7, off, off offset:248 ; 4-byte Folded Reload
	v_and_b32_e32 v0, 0xffff0000, v11
	s_wait_loadcnt 0x0
	v_fmac_f32_e32 v73, v7, v0
	scratch_load_b32 v7, off, off offset:252 ; 4-byte Folded Reload
	v_and_b32_e32 v0, 0xffff0000, v12
	s_wait_loadcnt 0x0
	s_delay_alu instid0(VALU_DEP_1) | instskip(SKIP_3) | instid1(VALU_DEP_1)
	v_fmac_f32_e32 v76, v7, v0
	scratch_load_b32 v7, off, off offset:256 ; 4-byte Folded Reload
	v_and_b32_e32 v0, 0xffff0000, v13
	;; [unrolled: 9-line block ×20, first 2 shown]
	s_wait_loadcnt 0x0
	v_fmac_f32_e32 v78, v7, v0
	scratch_load_b32 v7, off, off offset:404 ; 4-byte Folded Reload
	v_and_b32_e32 v0, 0xffff0000, v56
	s_wait_loadcnt 0x0
	s_delay_alu instid0(VALU_DEP_1) | instskip(NEXT) | instid1(VALU_DEP_1)
	v_dual_fmac_f32 v75, v7, v0 :: v_dual_and_b32 v0, 0xffff0000, v57
	v_dual_fmac_f32 v73, v114, v0 :: v_dual_and_b32 v0, 0xffff0000, v58
	s_delay_alu instid0(VALU_DEP_1) | instskip(SKIP_1) | instid1(VALU_DEP_1)
	v_fmac_f32_e32 v76, v115, v0
	v_and_b32_e32 v0, 0xffff0000, v59
	v_fmac_f32_e32 v79, v116, v0
	v_and_b32_e32 v0, 0xffff0000, v60
	s_delay_alu instid0(VALU_DEP_1) | instskip(SKIP_1) | instid1(VALU_DEP_1)
	v_fmac_f32_e32 v72, v117, v0
	v_and_b32_e32 v0, 0xffff0000, v61
	v_fmac_f32_e32 v74, v118, v0
	v_and_b32_e32 v0, 0xffff0000, v62
	s_delay_alu instid0(VALU_DEP_1) | instskip(NEXT) | instid1(VALU_DEP_1)
	v_dual_fmac_f32 v77, v119, v0 :: v_dual_and_b32 v0, 0xffff0000, v63
	v_fmac_f32_e32 v78, v120, v0
	v_and_b32_e32 v0, 0xffff0000, v64
	s_delay_alu instid0(VALU_DEP_2) | instskip(NEXT) | instid1(VALU_DEP_2)
	v_fmac_f32_e32 v78, v129, v5
	v_dual_fmac_f32 v75, v121, v0 :: v_dual_and_b32 v0, 0xffff0000, v65
	v_and_b32_e32 v5, 0xffff0000, v69
	s_delay_alu instid0(VALU_DEP_2) | instskip(NEXT) | instid1(VALU_DEP_2)
	v_dual_fmac_f32 v73, v122, v0 :: v_dual_and_b32 v0, 0xffff0000, v66
	v_fmac_f32_e32 v75, v130, v5
	s_delay_alu instid0(VALU_DEP_2) | instskip(SKIP_1) | instid1(VALU_DEP_2)
	v_dual_fmac_f32 v72, v126, v0 :: v_dual_and_b32 v5, 0xffff0000, v54
	v_and_b32_e32 v0, 0xffff0000, v67
	v_dual_fmac_f32 v76, v123, v5 :: v_dual_and_b32 v5, 0xffff0000, v70
	s_delay_alu instid0(VALU_DEP_2) | instskip(NEXT) | instid1(VALU_DEP_2)
	v_fmac_f32_e32 v74, v127, v0
	v_dual_fmac_f32 v73, v131, v5 :: v_dual_and_b32 v0, 0xffff0000, v68
	v_and_b32_e32 v5, 0xffff0000, v53
	s_delay_alu instid0(VALU_DEP_2) | instskip(NEXT) | instid1(VALU_DEP_2)
	v_fmac_f32_e32 v77, v128, v0
	v_dual_add_f32 v0, v72, v74 :: v_dual_fmac_f32 v79, v125, v5
	v_and_b32_e32 v5, 0xffff0000, v6
	s_delay_alu instid0(VALU_DEP_1) | instskip(NEXT) | instid1(VALU_DEP_1)
	v_dual_fmac_f32 v76, v132, v5 :: v_dual_and_b32 v5, 0xffff0000, v71
	v_fmac_f32_e32 v79, v133, v5
	s_delay_alu instid0(VALU_DEP_4) | instskip(NEXT) | instid1(VALU_DEP_1)
	v_dual_add_f32 v0, v0, v77 :: v_dual_add_nc_u32 v5, v134, v136
	v_cvt_f32_i32_e32 v5, v5
	s_delay_alu instid0(VALU_DEP_1) | instskip(NEXT) | instid1(VALU_DEP_1)
	v_dual_add_f32 v0, v78, v0 :: v_dual_mul_f32 v5, s30, v5
	v_dual_add_f32 v0, v75, v0 :: v_dual_cndmask_b32 v5, 0, v5
	s_delay_alu instid0(VALU_DEP_1) | instskip(NEXT) | instid1(VALU_DEP_1)
	v_add_f32_e32 v0, v73, v0
	v_add_f32_e32 v0, v76, v0
	s_delay_alu instid0(VALU_DEP_1) | instskip(NEXT) | instid1(VALU_DEP_1)
	v_add_f32_e32 v0, v79, v0
	v_fmac_f32_e32 v5, s13, v0
	scratch_load_b32 v0, off, off           ; 4-byte Folded Reload
	s_wait_loadcnt 0x0
	v_add_nc_u32_e32 v0, v0, v136
	s_delay_alu instid0(VALU_DEP_1) | instskip(SKIP_1) | instid1(VALU_DEP_1)
	v_cmp_gt_i32_e64 s3, s34, v0
	v_max_num_f32_e32 v0, v124, v124
	v_max_num_f32_e32 v0, v0, v5
	s_wait_alu 0xf1ff
	s_delay_alu instid0(VALU_DEP_1)
	v_cndmask_b32_e64 v124, v124, v0, s3
	v_cndmask_b32_e64 v0, 0, v5, s3
	ds_store_b32 v135, v0
	s_branch .LBB354_11
.LBB354_16:
	s_or_b32 exec_lo, exec_lo, s19
	s_clause 0x1
	scratch_load_b32 v10, off, off offset:412
	scratch_load_b32 v23, off, off offset:416
	v_lshlrev_b32_e32 v37, 2, v18
.LBB354_17:
	s_or_b32 exec_lo, exec_lo, s12
	v_mbcnt_lo_u32_b32 v0, -1, 0
	s_clause 0x2
	s_load_b128 s[12:15], s[0:1], 0x0
	s_load_b64 s[8:9], s[0:1], 0x10
	s_load_b64 s[30:31], s[0:1], 0x28
	v_max_num_f32_e32 v4, v124, v124
	v_xor_b32_e32 v1, 16, v0
	v_xor_b32_e32 v3, 8, v0
	s_delay_alu instid0(VALU_DEP_2) | instskip(SKIP_2) | instid1(VALU_DEP_3)
	v_cmp_gt_i32_e32 vcc_lo, 32, v1
	s_wait_alu 0xfffd
	v_cndmask_b32_e32 v1, v0, v1, vcc_lo
	v_cmp_gt_i32_e32 vcc_lo, 32, v3
	s_delay_alu instid0(VALU_DEP_2)
	v_lshlrev_b32_e32 v1, 2, v1
	s_wait_alu 0xfffd
	v_cndmask_b32_e32 v3, v0, v3, vcc_lo
	ds_bpermute_b32 v2, v1, v124
	s_wait_dscnt 0x0
	v_dual_max_num_f32 v5, v2, v2 :: v_dual_lshlrev_b32 v2, 2, v3
	s_delay_alu instid0(VALU_DEP_1)
	v_max_num_f32_e32 v3, v4, v5
	v_xor_b32_e32 v5, 4, v0
	ds_bpermute_b32 v4, v2, v3
	v_cmp_gt_i32_e32 vcc_lo, 32, v5
	s_wait_alu 0xfffd
	v_cndmask_b32_e32 v5, v0, v5, vcc_lo
	s_wait_dscnt 0x0
	v_max_num_f32_e32 v6, v4, v4
	s_delay_alu instid0(VALU_DEP_1)
	v_dual_max_num_f32 v3, v3, v6 :: v_dual_lshlrev_b32 v4, 2, v5
	v_xor_b32_e32 v6, 2, v0
	ds_bpermute_b32 v5, v4, v3
	v_cmp_gt_i32_e32 vcc_lo, 32, v6
	s_wait_dscnt 0x0
	s_wait_alu 0xfffd
	v_dual_cndmask_b32 v6, v0, v6 :: v_dual_max_num_f32 v5, v5, v5
	s_delay_alu instid0(VALU_DEP_1) | instskip(SKIP_1) | instid1(VALU_DEP_1)
	v_lshlrev_b32_e32 v20, 2, v6
	v_xor_b32_e32 v6, 1, v0
	v_cmp_gt_i32_e32 vcc_lo, 32, v6
	s_wait_alu 0xfffd
	v_dual_max_num_f32 v3, v3, v5 :: v_dual_cndmask_b32 v6, v0, v6
	ds_bpermute_b32 v5, v20, v3
	v_lshlrev_b32_e32 v19, 2, v6
	s_wait_dscnt 0x0
	v_max_num_f32_e32 v5, v5, v5
	s_delay_alu instid0(VALU_DEP_1)
	v_max_num_f32_e32 v0, v3, v5
	scratch_load_b32 v5, off, off           ; 4-byte Folded Reload
	ds_bpermute_b32 v3, v19, v0
	s_wait_loadcnt 0x0
	v_cmp_eq_u32_e32 vcc_lo, 0, v5
	scratch_load_b32 v5, off, off offset:408 ; 4-byte Folded Reload
	s_wait_loadcnt 0x0
	v_lshlrev_b32_e32 v5, 2, v5
	s_and_saveexec_b32 s0, vcc_lo
	s_cbranch_execz .LBB354_19
; %bb.18:
	s_wait_dscnt 0x0
	v_dual_max_num_f32 v3, v3, v3 :: v_dual_max_num_f32 v0, v0, v0
	s_delay_alu instid0(VALU_DEP_1)
	v_max_num_f32_e32 v0, v0, v3
	ds_store_b32 v5, v0 offset:240
.LBB354_19:
	s_or_b32 exec_lo, exec_lo, s0
	scratch_load_b32 v0, off, off           ; 4-byte Folded Reload
	s_wait_storecnt 0x0
	s_wait_loadcnt_dscnt 0x0
	s_barrier_signal -1
	s_barrier_wait -1
	global_inv scope:SCOPE_SE
	v_cmp_gt_u32_e64 s0, 4, v0
	v_mov_b32_e32 v0, 0xff7fffff
	s_and_saveexec_b32 s1, s0
; %bb.20:
	ds_load_b32 v0, v23 offset:240
; %bb.21:
	s_or_b32 exec_lo, exec_lo, s1
	s_wait_dscnt 0x0
	ds_bpermute_b32 v3, v20, v0
	v_max_num_f32_e32 v0, v0, v0
	s_sub_co_i32 s1, s35, s39
	v_mov_b32_e32 v6, 0
	s_lshl_b32 s1, s1, 5
	s_delay_alu instid0(SALU_CYCLE_1) | instskip(NEXT) | instid1(SALU_CYCLE_1)
	s_add_co_i32 s1, s1, s36
	s_min_i32 s1, s1, s34
	s_delay_alu instid0(SALU_CYCLE_1) | instskip(SKIP_4) | instid1(VALU_DEP_1)
	s_sub_co_i32 s4, s1, s36
	s_wait_alu 0xfffe
	v_cmp_gt_i32_e64 s1, s4, v10
	s_wait_dscnt 0x0
	v_max_num_f32_e32 v3, v3, v3
	v_max_num_f32_e32 v0, v0, v3
	ds_bpermute_b32 v3, v19, v0
	s_wait_dscnt 0x0
	v_max_num_f32_e32 v3, v3, v3
	s_delay_alu instid0(VALU_DEP_1)
	v_max_num_f32_e32 v0, v0, v3
	v_lshl_add_u32 v3, v10, 2, 0x110
	ds_bpermute_b32 v0, v6, v0
	s_and_saveexec_b32 s19, s1
	s_cbranch_execz .LBB354_25
; %bb.22:
	v_lshl_add_u32 v7, v10, 2, 0x110
	v_mov_b32_e32 v6, 0
	v_mov_b32_e32 v8, v10
	s_mov_b32 s36, 0
.LBB354_23:                             ; =>This Inner Loop Header: Depth=1
	ds_load_b32 v9, v7
	v_add_nc_u32_e32 v8, 0x80, v8
	s_delay_alu instid0(VALU_DEP_1) | instskip(SKIP_4) | instid1(VALU_DEP_1)
	v_cmp_le_i32_e64 s3, s4, v8
	s_wait_alu 0xfffe
	s_or_b32 s36, s3, s36
	s_wait_dscnt 0x0
	v_sub_f32_e32 v9, v9, v0
	v_mul_f32_e32 v9, 0x3fb8aa3b, v9
	s_delay_alu instid0(VALU_DEP_1)
	v_exp_f32_e32 v9, v9
	ds_store_b32 v7, v9
	v_dual_add_f32 v6, v6, v9 :: v_dual_add_nc_u32 v7, 0x200, v7
	s_wait_alu 0xfffe
	s_and_not1_b32 exec_lo, exec_lo, s36
	s_cbranch_execnz .LBB354_23
; %bb.24:
	s_or_b32 exec_lo, exec_lo, s36
.LBB354_25:
	s_wait_alu 0xfffe
	s_or_b32 exec_lo, exec_lo, s19
	ds_bpermute_b32 v1, v1, v6
	s_wait_dscnt 0x0
	v_add_f32_e32 v1, v6, v1
	ds_bpermute_b32 v2, v2, v1
	s_wait_dscnt 0x0
	v_add_f32_e32 v1, v1, v2
	;; [unrolled: 3-line block ×5, first 2 shown]
	s_and_saveexec_b32 s3, vcc_lo
; %bb.26:
	ds_store_b32 v5, v1 offset:256
; %bb.27:
	s_wait_alu 0xfffe
	s_or_b32 exec_lo, exec_lo, s3
	s_wait_loadcnt_dscnt 0x0
	s_barrier_signal -1
	s_barrier_wait -1
	global_inv scope:SCOPE_SE
	s_and_saveexec_b32 s3, s0
; %bb.28:
	ds_load_b32 v1, v23 offset:256
; %bb.29:
	s_wait_alu 0xfffe
	s_or_b32 exec_lo, exec_lo, s3
	s_wait_dscnt 0x0
	ds_bpermute_b32 v2, v20, v1
	s_wait_dscnt 0x0
	v_add_f32_e32 v1, v1, v2
	ds_bpermute_b32 v2, v19, v1
	s_wait_dscnt 0x0
	v_dual_add_f32 v1, v1, v2 :: v_dual_mov_b32 v2, 0
	ds_bpermute_b32 v1, v2, v1
	s_and_saveexec_b32 s0, s1
	s_cbranch_execz .LBB354_32
; %bb.30:
	s_wait_dscnt 0x0
	v_add_f32_e32 v2, 0x358637bd, v1
	s_mov_b32 s1, 0
	s_delay_alu instid0(VALU_DEP_1) | instskip(SKIP_1) | instid1(VALU_DEP_2)
	v_div_scale_f32 v4, null, v2, v2, 1.0
	v_div_scale_f32 v7, vcc_lo, 1.0, v2, 1.0
	v_rcp_f32_e32 v5, v4
	s_delay_alu instid0(TRANS32_DEP_1) | instskip(NEXT) | instid1(VALU_DEP_1)
	v_fma_f32 v6, -v4, v5, 1.0
	v_fmac_f32_e32 v5, v6, v5
	s_delay_alu instid0(VALU_DEP_1) | instskip(NEXT) | instid1(VALU_DEP_1)
	v_mul_f32_e32 v6, v7, v5
	v_fma_f32 v8, -v4, v6, v7
	s_delay_alu instid0(VALU_DEP_1) | instskip(NEXT) | instid1(VALU_DEP_1)
	v_fmac_f32_e32 v6, v8, v5
	v_fma_f32 v4, -v4, v6, v7
	s_wait_alu 0xfffd
	s_delay_alu instid0(VALU_DEP_1) | instskip(NEXT) | instid1(VALU_DEP_1)
	v_div_fmas_f32 v4, v4, v5, v6
	v_div_fixup_f32 v2, v4, v2, 1.0
	v_mov_b32_e32 v4, v10
.LBB354_31:                             ; =>This Inner Loop Header: Depth=1
	ds_load_b32 v5, v3
	s_wait_dscnt 0x0
	v_dual_mul_f32 v5, v2, v5 :: v_dual_add_nc_u32 v4, 0x80, v4
	s_delay_alu instid0(VALU_DEP_1) | instskip(SKIP_3) | instid1(SALU_CYCLE_1)
	v_cmp_le_i32_e32 vcc_lo, s4, v4
	ds_store_b32 v3, v5
	v_add_nc_u32_e32 v3, 0x200, v3
	s_or_b32 s1, vcc_lo, s1
	s_and_not1_b32 exec_lo, exec_lo, s1
	s_cbranch_execnz .LBB354_31
.LBB354_32:
	s_or_b32 exec_lo, exec_lo, s0
	s_mul_i32 s0, s7, s28
	s_wait_loadcnt_dscnt 0x0
	s_mul_i32 s28, s0, s29
	s_mov_b32 s0, exec_lo
	s_barrier_signal -1
	s_barrier_wait -1
	global_inv scope:SCOPE_SE
	v_cmpx_eq_u32_e32 0, v10
	s_cbranch_execz .LBB354_34
; %bb.33:
	s_ashr_i32 s29, s28, 31
	s_mul_i32 s40, s7, ttmp9
	s_lshl_b32 s1, s33, 2
	s_lshl_b64 s[42:43], s[28:29], 2
	s_wait_alu 0xfffe
	s_ashr_i32 s41, s40, 31
	v_mov_b32_e32 v2, s1
	s_wait_kmcnt 0x0
	s_add_nc_u64 s[14:15], s[14:15], s[42:43]
	s_wait_alu 0xfffe
	s_lshl_b64 s[40:41], s[40:41], 2
	s_add_nc_u64 s[12:13], s[12:13], s[42:43]
	s_wait_alu 0xfffe
	s_add_nc_u64 s[14:15], s[14:15], s[40:41]
	s_add_nc_u64 s[12:13], s[12:13], s[40:41]
	s_clause 0x1
	global_store_b32 v2, v0, s[14:15]
	global_store_b32 v2, v1, s[12:13]
.LBB354_34:
	s_or_b32 exec_lo, exec_lo, s0
	v_dual_mov_b32 v35, 0 :: v_dual_mov_b32 v178, v10
	v_dual_mov_b32 v36, 0 :: v_dual_and_b32 v21, 3, v10
	v_dual_mov_b32 v34, 0 :: v_dual_mov_b32 v33, 0
	v_dual_mov_b32 v32, 0 :: v_dual_mov_b32 v31, 0
	;; [unrolled: 1-line block ×6, first 2 shown]
	v_mov_b32_e32 v22, 0
	s_and_saveexec_b32 s1, s2
	s_cbranch_execz .LBB354_70
; %bb.35:
	s_abs_i32 s2, s6
	v_dual_mov_b32 v23, 0 :: v_dual_lshlrev_b32 v0, 3, v178
	s_wait_alu 0xfffe
	s_cvt_f32_u32 s0, s2
	s_wait_kmcnt 0x0
	s_lshl_b64 s[12:13], s[26:27], 2
	s_sub_co_i32 s3, s38, s5
	s_wait_alu 0xfffe
	s_add_nc_u64 s[12:13], s[24:25], s[12:13]
	v_rcp_iflag_f32_e32 v1, s0
	v_mov_b32_e32 v22, 0
	s_wait_alu 0xfffe
	v_add_co_u32 v9, s6, s12, v37
	v_dual_mov_b32 v24, 0 :: v_dual_and_b32 v37, 24, v0
	v_dual_mov_b32 v25, 0 :: v_dual_lshlrev_b32 v2, 5, v21
	s_ashr_i32 s19, s18, 31
	v_add_co_ci_u32_e64 v10, null, s13, 0, s6
	s_delay_alu instid0(TRANS32_DEP_1)
	v_readfirstlane_b32 s5, v1
	v_and_b32_e32 v1, 0xf8, v0
	scratch_load_b32 v0, off, off offset:408 ; 4-byte Folded Reload
	s_wait_alu 0xfffe
	s_add_nc_u64 s[14:15], s[30:31], s[18:19]
	s_sub_co_i32 s0, 0, s2
	s_mul_f32 s5, s5, 0x4f7ffffe
	v_dual_mov_b32 v26, 0 :: v_dual_mov_b32 v29, 0
	v_dual_mov_b32 v28, 0 :: v_dual_mov_b32 v31, 0
	s_wait_alu 0xfffe
	s_cvt_u32_f32 s6, s5
	v_add_co_u32 v11, s5, s14, v1
	s_wait_alu 0xf1ff
	v_add_co_ci_u32_e64 v12, null, s15, 0, s5
	s_wait_alu 0xfffe
	s_mul_i32 s0, s0, s6
	v_dual_mov_b32 v30, 0 :: v_dual_mov_b32 v33, 0
	v_dual_mov_b32 v32, 0 :: v_dual_mov_b32 v35, 0
	v_mov_b32_e32 v34, 0
	v_mov_b32_e32 v36, 0
	s_wait_alu 0xfffe
	s_mul_hi_u32 s0, s6, s0
	s_mov_b32 s4, s17
	s_add_co_i32 s37, s37, -1
	s_mov_b32 s5, 0
	s_wait_alu 0xfffe
	s_add_co_i32 s6, s6, s0
	v_mov_b32_e32 v27, 0
	s_wait_loadcnt 0x0
	v_lshl_or_b32 v0, v0, 7, v2
	s_delay_alu instid0(VALU_DEP_1)
	v_add_nc_u32_e32 v38, 0x110, v0
	s_branch .LBB354_38
.LBB354_36:                             ;   in Loop: Header=BB354_38 Depth=1
	s_wait_alu 0xfffe
	s_or_b32 exec_lo, exec_lo, s0
	s_wait_dscnt 0x1
	v_bfe_u32 v81, v5, 16, 1
	v_bfe_u32 v85, v6, 16, 1
	v_or_b32_e32 v86, 0x400000, v5
	v_cmp_u_f32_e32 vcc_lo, v5, v5
	v_or_b32_e32 v87, 0x400000, v6
	v_add3_u32 v81, v81, v5, 0x7fff
	v_bfe_u32 v88, v7, 16, 1
	v_add3_u32 v85, v85, v6, 0x7fff
	v_bfe_u32 v89, v8, 16, 1
	v_lshlrev_b32_e32 v149, 16, v149
	s_wait_alu 0xfffd
	v_cndmask_b32_e32 v5, v81, v86, vcc_lo
	v_cmp_u_f32_e32 vcc_lo, v6, v6
	v_add3_u32 v81, v88, v7, 0x7fff
	s_wait_dscnt 0x0
	v_bfe_u32 v86, v1, 16, 1
	v_or_b32_e32 v88, 0x400000, v8
	v_lshlrev_b32_e32 v138, 16, v138
	s_wait_alu 0xfffd
	v_cndmask_b32_e32 v6, v85, v87, vcc_lo
	v_or_b32_e32 v85, 0x400000, v7
	v_cmp_u_f32_e32 vcc_lo, v7, v7
	v_add3_u32 v87, v89, v8, 0x7fff
	v_lshlrev_b32_e32 v139, 16, v139
	v_lshlrev_b32_e32 v133, 16, v133
	;; [unrolled: 1-line block ×3, first 2 shown]
	s_wait_alu 0xfffd
	v_cndmask_b32_e32 v7, v81, v85, vcc_lo
	v_cmp_u_f32_e32 vcc_lo, v8, v8
	v_add3_u32 v81, v86, v1, 0x7fff
	v_or_b32_e32 v85, 0x400000, v1
	v_bfe_u32 v86, v2, 16, 1
	v_lshlrev_b32_e32 v112, 16, v112
	s_wait_alu 0xfffd
	v_cndmask_b32_e32 v8, v87, v88, vcc_lo
	v_cmp_u_f32_e32 vcc_lo, v1, v1
	v_or_b32_e32 v87, 0x400000, v2
	v_add3_u32 v86, v86, v2, 0x7fff
	v_or_b32_e32 v88, 0x400000, v3
	v_and_b32_e32 v5, 0xffff0000, v5
	s_wait_alu 0xfffd
	v_cndmask_b32_e32 v81, v81, v85, vcc_lo
	v_bfe_u32 v85, v3, 16, 1
	v_cmp_u_f32_e32 vcc_lo, v2, v2
	v_lshlrev_b32_e32 v123, 16, v123
	v_lshlrev_b32_e32 v107, 16, v107
	;; [unrolled: 1-line block ×3, first 2 shown]
	v_add3_u32 v85, v85, v3, 0x7fff
	s_wait_alu 0xfffd
	v_cndmask_b32_e32 v2, v86, v87, vcc_lo
	v_bfe_u32 v86, v4, 16, 1
	v_cmp_u_f32_e32 vcc_lo, v3, v3
	v_lshlrev_b32_e32 v87, 16, v160
	v_lshlrev_b32_e32 v109, 16, v109
	;; [unrolled: 1-line block ×3, first 2 shown]
	v_add3_u32 v86, v86, v4, 0x7fff
	s_wait_alu 0xfffd
	v_cndmask_b32_e32 v85, v85, v88, vcc_lo
	v_or_b32_e32 v88, 0x400000, v4
	v_cmp_u_f32_e32 vcc_lo, v4, v4
	v_and_b32_e32 v1, 0xffff0000, v6
	v_dual_mul_f32 v87, v5, v87 :: v_dual_lshlrev_b32 v6, 16, v161
	s_wait_alu 0xfffd
	v_dual_cndmask_b32 v4, v86, v88 :: v_dual_lshlrev_b32 v83, 16, v83
	s_delay_alu instid0(VALU_DEP_2) | instskip(NEXT) | instid1(VALU_DEP_3)
	v_dual_mul_f32 v6, v1, v6 :: v_dual_lshlrev_b32 v75, 16, v75
	v_bfe_u32 v88, v87, 16, 1
	v_and_b32_e32 v2, 0xffff0000, v2
	s_delay_alu instid0(VALU_DEP_3) | instskip(NEXT) | instid1(VALU_DEP_4)
	v_dual_mul_f32 v75, v1, v75 :: v_dual_lshlrev_b32 v60, 16, v60
	v_bfe_u32 v3, v6, 16, 1
	s_delay_alu instid0(VALU_DEP_4) | instskip(NEXT) | instid1(VALU_DEP_4)
	v_add3_u32 v88, v88, v87, 0x7fff
	v_dual_mul_f32 v149, v2, v149 :: v_dual_and_b32 v4, 0xffff0000, v4
	v_lshlrev_b32_e32 v148, 16, v148
	s_delay_alu instid0(VALU_DEP_4)
	v_add3_u32 v89, v3, v6, 0x7fff
	v_and_b32_e32 v3, 0xffff0000, v8
	v_or_b32_e32 v90, 0x400000, v6
	v_cmp_u_f32_e32 vcc_lo, v6, v6
	v_lshlrev_b32_e32 v8, 16, v159
	v_and_b32_e32 v6, 0xffff0000, v7
	v_mul_f32_e32 v131, v4, v131
	s_wait_alu 0xfffd
	v_dual_mul_f32 v111, v2, v111 :: v_dual_cndmask_b32 v86, v89, v90
	v_or_b32_e32 v90, 0x400000, v87
	v_cmp_u_f32_e32 vcc_lo, v87, v87
	v_mul_f32_e32 v89, v3, v8
	v_dual_mul_f32 v109, v4, v109 :: v_dual_lshlrev_b32 v96, 16, v96
	v_and_b32_e32 v86, 0xffff0000, v86
	s_wait_alu 0xfffd
	v_cndmask_b32_e32 v87, v88, v90, vcc_lo
	v_bfe_u32 v91, v89, 16, 1
	v_or_b32_e32 v90, 0x400000, v89
	v_cmp_u_f32_e32 vcc_lo, v89, v89
	v_mul_f32_e32 v93, v4, v93
	v_and_b32_e32 v87, 0xffff0000, v87
	v_lshlrev_b32_e32 v155, 16, v155
	v_lshlrev_b32_e32 v7, 16, v158
	;; [unrolled: 1-line block ×3, first 2 shown]
	v_add3_u32 v88, v91, v89, 0x7fff
	v_dual_add_f32 v86, v87, v86 :: v_dual_lshlrev_b32 v73, 16, v73
	s_delay_alu instid0(VALU_DEP_4) | instskip(NEXT) | instid1(VALU_DEP_4)
	v_mul_f32_e32 v7, v6, v7
	v_dual_mul_f32 v157, v2, v8 :: v_dual_and_b32 v8, 0xffff0000, v81
	s_wait_alu 0xfffd
	v_dual_cndmask_b32 v88, v88, v90 :: v_dual_lshlrev_b32 v81, 16, v156
	s_delay_alu instid0(VALU_DEP_3) | instskip(SKIP_2) | instid1(VALU_DEP_4)
	v_bfe_u32 v91, v7, 16, 1
	v_or_b32_e32 v90, 0x400000, v7
	v_cmp_u_f32_e32 vcc_lo, v7, v7
	v_mul_f32_e32 v81, v8, v81
	v_bfe_u32 v158, v157, 16, 1
	v_add3_u32 v89, v91, v7, 0x7fff
	v_and_b32_e32 v88, 0xffff0000, v88
	v_or_b32_e32 v156, 0x400000, v157
	v_lshlrev_b32_e32 v146, 16, v146
	v_add3_u32 v91, v158, v157, 0x7fff
	s_wait_alu 0xfffd
	v_dual_cndmask_b32 v89, v89, v90 :: v_dual_mul_f32 v90, v4, v155
	v_bfe_u32 v158, v81, 16, 1
	v_cmp_u_f32_e32 vcc_lo, v157, v157
	v_mul_f32_e32 v73, v3, v73
	s_delay_alu instid0(VALU_DEP_4) | instskip(SKIP_3) | instid1(VALU_DEP_4)
	v_and_b32_e32 v89, 0xffff0000, v89
	v_bfe_u32 v157, v90, 16, 1
	v_add3_u32 v155, v158, v81, 0x7fff
	v_dual_mul_f32 v148, v8, v148 :: v_dual_lshlrev_b32 v71, 16, v71
	v_dual_add_f32 v87, v89, v88 :: v_dual_lshlrev_b32 v88, 16, v153
	v_and_b32_e32 v7, 0xffff0000, v85
	v_lshlrev_b32_e32 v69, 16, v69
	s_delay_alu instid0(VALU_DEP_3) | instskip(NEXT) | instid1(VALU_DEP_4)
	v_dual_mul_f32 v71, v2, v71 :: v_dual_add_f32 v86, v87, v86
	v_mul_f32_e32 v87, v1, v88
	v_lshlrev_b32_e32 v88, 16, v152
	v_lshlrev_b32_e32 v85, 16, v154
	v_add3_u32 v154, v157, v90, 0x7fff
	s_wait_alu 0xfffd
	v_cndmask_b32_e32 v91, v91, v156, vcc_lo
	v_or_b32_e32 v156, 0x400000, v81
	v_cmp_u_f32_e32 vcc_lo, v81, v81
	v_mul_f32_e32 v146, v7, v146
	v_lshlrev_b32_e32 v150, 16, v150
	v_or_b32_e32 v152, 0x400000, v148
	v_dual_mul_f32 v60, v7, v60 :: v_dual_lshlrev_b32 v77, 16, v77
	s_wait_alu 0xfffd
	v_cndmask_b32_e32 v81, v155, v156, vcc_lo
	v_or_b32_e32 v155, 0x400000, v90
	v_cmp_u_f32_e32 vcc_lo, v90, v90
	v_dual_mul_f32 v150, v6, v150 :: v_dual_mul_f32 v77, v4, v77
	s_delay_alu instid0(VALU_DEP_4)
	v_and_b32_e32 v81, 0xffff0000, v81
	v_dual_mul_f32 v69, v4, v69 :: v_dual_lshlrev_b32 v56, 16, v56
	s_wait_alu 0xfffd
	v_cndmask_b32_e32 v90, v154, v155, vcc_lo
	v_and_b32_e32 v89, 0xffff0000, v91
	v_lshlrev_b32_e32 v67, 16, v67
	v_lshlrev_b32_e32 v65, 16, v65
	;; [unrolled: 1-line block ×3, first 2 shown]
	s_delay_alu instid0(VALU_DEP_4)
	v_dual_add_f32 v81, v81, v89 :: v_dual_lshlrev_b32 v52, 16, v52
	v_bfe_u32 v89, v87, 16, 1
	v_mul_f32_e32 v67, v1, v67
	v_mul_f32_e32 v65, v3, v65
	v_lshlrev_b32_e32 v61, 16, v61
	v_add_f32_e32 v81, v81, v86
	v_dual_mul_f32 v86, v5, v88 :: v_dual_mul_f32 v85, v7, v85
	v_lshlrev_b32_e32 v88, 16, v151
	v_add3_u32 v89, v89, v87, 0x7fff
	v_and_b32_e32 v90, 0xffff0000, v90
	s_delay_alu instid0(VALU_DEP_4) | instskip(SKIP_4) | instid1(VALU_DEP_4)
	v_bfe_u32 v151, v86, 16, 1
	v_bfe_u32 v154, v85, 16, 1
	v_or_b32_e32 v153, 0x400000, v85
	v_cmp_u_f32_e32 vcc_lo, v85, v85
	v_dual_mul_f32 v88, v3, v88 :: v_dual_mul_f32 v61, v4, v61
	v_add3_u32 v91, v154, v85, 0x7fff
	v_bfe_u32 v154, v146, 16, 1
	v_lshlrev_b32_e32 v55, 16, v55
	v_lshlrev_b32_e32 v44, 16, v44
	;; [unrolled: 1-line block ×3, first 2 shown]
	s_wait_alu 0xfffd
	v_cndmask_b32_e32 v85, v91, v153, vcc_lo
	v_or_b32_e32 v91, 0x400000, v87
	v_cmp_u_f32_e32 vcc_lo, v87, v87
	v_dual_mul_f32 v55, v2, v55 :: v_dual_lshlrev_b32 v46, 16, v46
	v_dual_mul_f32 v44, v7, v44 :: v_dual_mul_f32 v59, v1, v59
	s_wait_alu 0xfffd
	v_cndmask_b32_e32 v87, v89, v91, vcc_lo
	v_add3_u32 v89, v151, v86, 0x7fff
	v_or_b32_e32 v91, 0x400000, v86
	v_bfe_u32 v151, v88, 16, 1
	v_cmp_u_f32_e32 vcc_lo, v86, v86
	v_lshlrev_b32_e32 v53, 16, v53
	v_lshlrev_b32_e32 v16, 16, v16
	;; [unrolled: 1-line block ×4, first 2 shown]
	s_wait_alu 0xfffd
	v_cndmask_b32_e32 v86, v89, v91, vcc_lo
	v_add3_u32 v89, v151, v88, 0x7fff
	v_or_b32_e32 v91, 0x400000, v88
	v_bfe_u32 v151, v150, 16, 1
	v_cmp_u_f32_e32 vcc_lo, v88, v88
	v_and_b32_e32 v85, 0xffff0000, v85
	v_and_b32_e32 v86, 0xffff0000, v86
	;; [unrolled: 1-line block ×3, first 2 shown]
	s_wait_alu 0xfffd
	v_dual_mul_f32 v53, v4, v53 :: v_dual_cndmask_b32 v88, v89, v91
	v_add3_u32 v89, v151, v150, 0x7fff
	v_or_b32_e32 v91, 0x400000, v150
	v_bfe_u32 v151, v149, 16, 1
	v_cmp_u_f32_e32 vcc_lo, v150, v150
	v_and_b32_e32 v88, 0xffff0000, v88
	v_dual_add_f32 v86, v86, v87 :: v_dual_add_f32 v85, v85, v90
	s_delay_alu instid0(VALU_DEP_4)
	v_add3_u32 v150, v151, v149, 0x7fff
	s_wait_alu 0xfffd
	v_cndmask_b32_e32 v89, v89, v91, vcc_lo
	v_bfe_u32 v91, v148, 16, 1
	v_or_b32_e32 v151, 0x400000, v149
	v_cmp_u_f32_e32 vcc_lo, v149, v149
	v_lshlrev_b32_e32 v90, 16, v144
	v_and_b32_e32 v89, 0xffff0000, v89
	v_add3_u32 v91, v91, v148, 0x7fff
	v_mul_f32_e32 v51, v1, v51
	s_wait_alu 0xfffd
	v_cndmask_b32_e32 v149, v150, v151, vcc_lo
	v_cmp_u_f32_e32 vcc_lo, v148, v148
	v_add3_u32 v150, v154, v146, 0x7fff
	v_or_b32_e32 v151, 0x400000, v146
	v_dual_mul_f32 v42, v2, v42 :: v_dual_lshlrev_b32 v49, 16, v49
	s_wait_alu 0xfffd
	v_cndmask_b32_e32 v91, v91, v152, vcc_lo
	v_cmp_u_f32_e32 vcc_lo, v146, v146
	v_add_f32_e32 v87, v89, v88
	v_and_b32_e32 v89, 0xffff0000, v149
	v_dual_mul_f32 v49, v3, v49 :: v_dual_lshlrev_b32 v40, 16, v40
	v_and_b32_e32 v88, 0xffff0000, v91
	s_delay_alu instid0(VALU_DEP_4) | instskip(SKIP_2) | instid1(VALU_DEP_3)
	v_dual_add_f32 v86, v87, v86 :: v_dual_lshlrev_b32 v147, 16, v147
	s_wait_alu 0xfffd
	v_cndmask_b32_e32 v146, v150, v151, vcc_lo
	v_dual_add_f32 v87, v88, v89 :: v_dual_lshlrev_b32 v134, 16, v134
	s_delay_alu instid0(VALU_DEP_3) | instskip(NEXT) | instid1(VALU_DEP_3)
	v_dual_mul_f32 v147, v4, v147 :: v_dual_lshlrev_b32 v130, 16, v130
	v_and_b32_e32 v88, 0xffff0000, v146
	s_delay_alu instid0(VALU_DEP_3) | instskip(NEXT) | instid1(VALU_DEP_4)
	v_mul_f32_e32 v134, v6, v134
	v_add_f32_e32 v86, v87, v86
	s_delay_alu instid0(VALU_DEP_4)
	v_bfe_u32 v153, v147, 16, 1
	v_or_b32_e32 v152, 0x400000, v147
	v_cmp_u_f32_e32 vcc_lo, v147, v147
	v_lshlrev_b32_e32 v132, 16, v132
	v_dual_mul_f32 v40, v4, v40 :: v_dual_lshlrev_b32 v47, 16, v47
	v_add3_u32 v148, v153, v147, 0x7fff
	v_dual_mul_f32 v130, v7, v130 :: v_dual_lshlrev_b32 v15, 16, v15
	s_delay_alu instid0(VALU_DEP_3)
	v_mul_f32_e32 v47, v2, v47
	v_lshlrev_b32_e32 v43, 16, v43
	s_wait_alu 0xfffd
	v_cndmask_b32_e32 v91, v148, v152, vcc_lo
	v_lshlrev_b32_e32 v41, 16, v41
	v_dual_mul_f32 v15, v3, v15 :: v_dual_lshlrev_b32 v14, 16, v14
	v_mul_f32_e32 v43, v6, v43
	s_delay_alu instid0(VALU_DEP_4) | instskip(SKIP_4) | instid1(VALU_DEP_4)
	v_and_b32_e32 v89, 0xffff0000, v91
	v_lshlrev_b32_e32 v91, 16, v145
	v_mul_f32_e32 v41, v8, v41
	v_lshlrev_b32_e32 v13, 16, v13
	v_lshlrev_b32_e32 v39, 16, v39
	v_dual_add_f32 v87, v88, v89 :: v_dual_mul_f32 v88, v1, v91
	v_lshlrev_b32_e32 v89, 16, v143
	v_lshlrev_b32_e32 v91, 16, v142
	v_lshlrev_b32_e32 v126, 16, v126
	s_delay_alu instid0(VALU_DEP_4) | instskip(SKIP_3) | instid1(VALU_DEP_4)
	v_add_f32_e32 v86, v87, v86
	v_bfe_u32 v87, v88, 16, 1
	v_cmp_u_f32_e32 vcc_lo, v88, v88
	v_dual_mul_f32 v89, v3, v89 :: v_dual_lshlrev_b32 v124, 16, v124
	v_add_f32_e32 v24, v24, v86
	s_delay_alu instid0(VALU_DEP_4)
	v_add3_u32 v86, v87, v88, 0x7fff
	v_or_b32_e32 v87, 0x400000, v88
	v_lshlrev_b32_e32 v88, 16, v141
	v_dual_mul_f32 v133, v2, v133 :: v_dual_lshlrev_b32 v122, 16, v122
	v_mul_f32_e32 v112, v6, v112
	s_wait_alu 0xfffd
	v_dual_cndmask_b32 v86, v86, v87 :: v_dual_add_f32 v81, v85, v81
	v_mul_f32_e32 v85, v5, v90
	v_bfe_u32 v87, v89, 16, 1
	v_mul_f32_e32 v88, v2, v88
	s_delay_alu instid0(VALU_DEP_4) | instskip(NEXT) | instid1(VALU_DEP_4)
	v_dual_add_f32 v23, v23, v81 :: v_dual_and_b32 v86, 0xffff0000, v86
	v_bfe_u32 v81, v85, 16, 1
	v_or_b32_e32 v90, 0x400000, v85
	v_cmp_u_f32_e32 vcc_lo, v85, v85
	v_add3_u32 v87, v87, v89, 0x7fff
	v_mul_f32_e32 v122, v7, v122
	v_add3_u32 v81, v81, v85, 0x7fff
	v_mul_f32_e32 v85, v6, v91
	v_lshlrev_b32_e32 v91, 16, v140
	v_lshlrev_b32_e32 v108, 16, v108
	;; [unrolled: 1-line block ×3, first 2 shown]
	s_wait_alu 0xfffd
	v_cndmask_b32_e32 v81, v81, v90, vcc_lo
	v_or_b32_e32 v90, 0x400000, v89
	v_bfe_u32 v140, v85, 16, 1
	v_cmp_u_f32_e32 vcc_lo, v89, v89
	v_mul_f32_e32 v89, v8, v91
	v_or_b32_e32 v91, 0x400000, v85
	v_dual_mul_f32 v110, v8, v110 :: v_dual_and_b32 v81, 0xffff0000, v81
	s_wait_alu 0xfffd
	v_cndmask_b32_e32 v87, v87, v90, vcc_lo
	v_add3_u32 v90, v140, v85, 0x7fff
	v_bfe_u32 v140, v88, 16, 1
	v_cmp_u_f32_e32 vcc_lo, v85, v85
	v_bfe_u32 v141, v89, 16, 1
	v_and_b32_e32 v87, 0xffff0000, v87
	v_dual_add_f32 v81, v81, v86 :: v_dual_mul_f32 v108, v7, v108
	s_wait_alu 0xfffd
	v_cndmask_b32_e32 v85, v90, v91, vcc_lo
	v_add3_u32 v90, v140, v88, 0x7fff
	v_mul_f32_e32 v91, v4, v139
	v_or_b32_e32 v139, 0x400000, v88
	v_cmp_u_f32_e32 vcc_lo, v88, v88
	v_add3_u32 v140, v141, v89, 0x7fff
	v_or_b32_e32 v141, 0x400000, v89
	v_bfe_u32 v142, v91, 16, 1
	s_wait_alu 0xfffd
	v_dual_cndmask_b32 v88, v90, v139 :: v_dual_and_b32 v85, 0xffff0000, v85
	v_cmp_u_f32_e32 vcc_lo, v89, v89
	v_or_b32_e32 v139, 0x400000, v91
	s_delay_alu instid0(VALU_DEP_3)
	v_dual_add_f32 v85, v85, v87 :: v_dual_lshlrev_b32 v100, 16, v100
	v_lshlrev_b32_e32 v87, 16, v137
	s_wait_alu 0xfffd
	v_dual_cndmask_b32 v89, v140, v141 :: v_dual_mul_f32 v90, v7, v138
	v_add3_u32 v138, v142, v91, 0x7fff
	v_cmp_u_f32_e32 vcc_lo, v91, v91
	v_and_b32_e32 v88, 0xffff0000, v88
	s_delay_alu instid0(VALU_DEP_4)
	v_and_b32_e32 v86, 0xffff0000, v89
	v_bfe_u32 v140, v90, 16, 1
	v_add_f32_e32 v81, v85, v81
	s_wait_alu 0xfffd
	v_cndmask_b32_e32 v91, v138, v139, vcc_lo
	v_or_b32_e32 v139, 0x400000, v90
	v_cmp_u_f32_e32 vcc_lo, v90, v90
	v_add3_u32 v138, v140, v90, 0x7fff
	v_dual_mul_f32 v85, v1, v87 :: v_dual_add_f32 v86, v86, v88
	v_lshlrev_b32_e32 v87, 16, v136
	v_bfe_u32 v136, v131, 16, 1
	s_wait_alu 0xfffd
	v_cndmask_b32_e32 v89, v138, v139, vcc_lo
	v_bfe_u32 v90, v85, 16, 1
	v_dual_add_f32 v81, v86, v81 :: v_dual_mul_f32 v86, v5, v87
	v_lshlrev_b32_e32 v87, 16, v135
	s_delay_alu instid0(VALU_DEP_4) | instskip(SKIP_4) | instid1(VALU_DEP_4)
	v_and_b32_e32 v88, 0xffff0000, v89
	v_and_b32_e32 v89, 0xffff0000, v91
	v_cmp_u_f32_e32 vcc_lo, v85, v85
	v_bfe_u32 v91, v86, 16, 1
	v_dual_mul_f32 v87, v3, v87 :: v_dual_mul_f32 v96, v6, v96
	v_add_f32_e32 v88, v88, v89
	v_add3_u32 v89, v90, v85, 0x7fff
	v_or_b32_e32 v90, 0x400000, v85
	v_lshlrev_b32_e32 v94, 16, v94
	v_lshlrev_b32_e32 v92, 16, v92
	;; [unrolled: 1-line block ×3, first 2 shown]
	s_wait_alu 0xfffd
	v_dual_cndmask_b32 v85, v89, v90 :: v_dual_lshlrev_b32 v84, 16, v84
	v_add3_u32 v89, v91, v86, 0x7fff
	v_or_b32_e32 v90, 0x400000, v86
	v_bfe_u32 v91, v87, 16, 1
	v_cmp_u_f32_e32 vcc_lo, v86, v86
	v_dual_mul_f32 v92, v7, v92 :: v_dual_and_b32 v85, 0xffff0000, v85
	v_mul_f32_e32 v82, v3, v82
	v_lshlrev_b32_e32 v80, 16, v80
	s_wait_alu 0xfffd
	v_cndmask_b32_e32 v86, v89, v90, vcc_lo
	v_add3_u32 v89, v91, v87, 0x7fff
	v_or_b32_e32 v90, 0x400000, v87
	v_bfe_u32 v91, v134, 16, 1
	v_cmp_u_f32_e32 vcc_lo, v87, v87
	v_and_b32_e32 v86, 0xffff0000, v86
	v_mul_f32_e32 v84, v1, v84
	v_mul_f32_e32 v80, v6, v80
	v_lshlrev_b32_e32 v78, 16, v78
	s_wait_alu 0xfffd
	v_cndmask_b32_e32 v87, v89, v90, vcc_lo
	v_add3_u32 v89, v91, v134, 0x7fff
	v_or_b32_e32 v90, 0x400000, v134
	v_mul_f32_e32 v91, v8, v132
	v_bfe_u32 v132, v133, 16, 1
	v_cmp_u_f32_e32 vcc_lo, v134, v134
	v_or_b32_e32 v134, 0x400000, v133
	v_and_b32_e32 v87, 0xffff0000, v87
	v_or_b32_e32 v135, 0x400000, v91
	v_add3_u32 v132, v132, v133, 0x7fff
	s_wait_alu 0xfffd
	v_cndmask_b32_e32 v89, v89, v90, vcc_lo
	v_bfe_u32 v90, v91, 16, 1
	v_cmp_u_f32_e32 vcc_lo, v133, v133
	v_bfe_u32 v133, v130, 16, 1
	v_add_f32_e32 v85, v86, v85
	v_and_b32_e32 v89, 0xffff0000, v89
	v_add3_u32 v90, v90, v91, 0x7fff
	s_wait_alu 0xfffd
	v_cndmask_b32_e32 v132, v132, v134, vcc_lo
	v_cmp_u_f32_e32 vcc_lo, v91, v91
	v_add3_u32 v133, v133, v130, 0x7fff
	v_add_f32_e32 v86, v89, v87
	v_add3_u32 v91, v136, v131, 0x7fff
	v_or_b32_e32 v134, 0x400000, v131
	s_wait_alu 0xfffd
	v_cndmask_b32_e32 v90, v90, v135, vcc_lo
	v_or_b32_e32 v135, 0x400000, v130
	v_cmp_u_f32_e32 vcc_lo, v130, v130
	v_and_b32_e32 v89, 0xffff0000, v132
	v_add_f32_e32 v85, v86, v85
	v_and_b32_e32 v87, 0xffff0000, v90
	s_wait_alu 0xfffd
	v_dual_add_f32 v81, v88, v81 :: v_dual_cndmask_b32 v90, v133, v135
	v_cmp_u_f32_e32 vcc_lo, v131, v131
	v_dual_mul_f32 v78, v8, v78 :: v_dual_lshlrev_b32 v101, 16, v101
	v_add_f32_e32 v86, v87, v89
	v_lshlrev_b32_e32 v87, 16, v129
	s_wait_alu 0xfffd
	v_cndmask_b32_e32 v91, v91, v134, vcc_lo
	v_and_b32_e32 v89, 0xffff0000, v90
	v_dual_add_f32 v85, v86, v85 :: v_dual_lshlrev_b32 v90, 16, v128
	v_mul_f32_e32 v87, v1, v87
	s_delay_alu instid0(VALU_DEP_4) | instskip(SKIP_1) | instid1(VALU_DEP_4)
	v_and_b32_e32 v91, 0xffff0000, v91
	v_add_f32_e32 v25, v25, v81
	v_mul_f32_e32 v86, v5, v90
	v_lshlrev_b32_e32 v76, 16, v76
	v_bfe_u32 v90, v87, 16, 1
	v_add_f32_e32 v88, v89, v91
	v_lshlrev_b32_e32 v89, 16, v127
	v_bfe_u32 v81, v86, 16, 1
	v_cmp_u_f32_e32 vcc_lo, v87, v87
	v_or_b32_e32 v91, 0x400000, v86
	v_add_f32_e32 v85, v88, v85
	v_mul_f32_e32 v88, v3, v89
	v_add3_u32 v89, v90, v87, 0x7fff
	v_or_b32_e32 v90, 0x400000, v87
	v_add3_u32 v81, v81, v86, 0x7fff
	v_mul_f32_e32 v76, v7, v76
	v_bfe_u32 v127, v88, 16, 1
	v_lshlrev_b32_e32 v74, 16, v74
	s_wait_alu 0xfffd
	v_cndmask_b32_e32 v87, v89, v90, vcc_lo
	v_cmp_u_f32_e32 vcc_lo, v86, v86
	v_mul_f32_e32 v86, v6, v126
	v_add3_u32 v89, v127, v88, 0x7fff
	v_or_b32_e32 v90, 0x400000, v88
	v_and_b32_e32 v87, 0xffff0000, v87
	s_wait_alu 0xfffd
	v_cndmask_b32_e32 v81, v81, v91, vcc_lo
	v_lshlrev_b32_e32 v91, 16, v125
	v_cmp_u_f32_e32 vcc_lo, v88, v88
	v_bfe_u32 v125, v86, 16, 1
	s_delay_alu instid0(VALU_DEP_4)
	v_dual_mul_f32 v74, v5, v74 :: v_dual_and_b32 v81, 0xffff0000, v81
	v_lshlrev_b32_e32 v72, 16, v72
	s_wait_alu 0xfffd
	v_dual_cndmask_b32 v88, v89, v90 :: v_dual_mul_f32 v89, v2, v91
	v_mul_f32_e32 v90, v8, v124
	v_add3_u32 v91, v125, v86, 0x7fff
	v_or_b32_e32 v124, 0x400000, v86
	v_cmp_u_f32_e32 vcc_lo, v86, v86
	v_bfe_u32 v125, v89, 16, 1
	v_bfe_u32 v126, v90, 16, 1
	v_dual_add_f32 v81, v81, v87 :: v_dual_and_b32 v88, 0xffff0000, v88
	s_wait_alu 0xfffd
	v_dual_cndmask_b32 v86, v91, v124 :: v_dual_mul_f32 v91, v4, v123
	v_add3_u32 v123, v125, v89, 0x7fff
	v_or_b32_e32 v124, 0x400000, v89
	v_cmp_u_f32_e32 vcc_lo, v89, v89
	v_add3_u32 v125, v126, v90, 0x7fff
	v_or_b32_e32 v126, 0x400000, v90
	v_bfe_u32 v127, v91, 16, 1
	s_wait_alu 0xfffd
	v_dual_cndmask_b32 v89, v123, v124 :: v_dual_and_b32 v86, 0xffff0000, v86
	v_cmp_u_f32_e32 vcc_lo, v90, v90
	v_or_b32_e32 v124, 0x400000, v91
	v_add3_u32 v123, v127, v91, 0x7fff
	s_delay_alu instid0(VALU_DEP_4)
	v_add_f32_e32 v86, v86, v88
	v_lshlrev_b32_e32 v88, 16, v117
	s_wait_alu 0xfffd
	v_cndmask_b32_e32 v90, v125, v126, vcc_lo
	v_cmp_u_f32_e32 vcc_lo, v91, v91
	v_and_b32_e32 v89, 0xffff0000, v89
	v_add_f32_e32 v81, v86, v81
	v_or_b32_e32 v117, 0x400000, v122
	v_and_b32_e32 v87, 0xffff0000, v90
	s_wait_alu 0xfffd
	v_cndmask_b32_e32 v91, v123, v124, vcc_lo
	v_bfe_u32 v123, v122, 16, 1
	v_mul_f32_e32 v86, v1, v88
	v_dual_add_f32 v87, v87, v89 :: v_dual_lshlrev_b32 v88, 16, v114
	v_cmp_u_f32_e32 vcc_lo, v122, v122
	s_delay_alu instid0(VALU_DEP_4)
	v_add3_u32 v90, v123, v122, 0x7fff
	v_bfe_u32 v123, v108, 16, 1
	v_bfe_u32 v122, v109, 16, 1
	v_add_f32_e32 v81, v87, v81
	v_mul_f32_e32 v87, v5, v88
	s_wait_alu 0xfffd
	v_cndmask_b32_e32 v89, v90, v117, vcc_lo
	v_bfe_u32 v90, v86, 16, 1
	v_lshlrev_b32_e32 v88, 16, v113
	v_or_b32_e32 v113, 0x400000, v86
	v_bfe_u32 v114, v87, 16, 1
	v_cmp_u_f32_e32 vcc_lo, v86, v86
	v_add3_u32 v90, v90, v86, 0x7fff
	v_mul_f32_e32 v88, v3, v88
	v_or_b32_e32 v117, 0x400000, v110
	v_and_b32_e32 v89, 0xffff0000, v89
	v_lshlrev_b32_e32 v64, 16, v64
	s_wait_alu 0xfffd
	v_cndmask_b32_e32 v86, v90, v113, vcc_lo
	v_add3_u32 v90, v114, v87, 0x7fff
	v_or_b32_e32 v113, 0x400000, v87
	v_bfe_u32 v114, v88, 16, 1
	v_cmp_u_f32_e32 vcc_lo, v87, v87
	v_and_b32_e32 v86, 0xffff0000, v86
	v_dual_mul_f32 v64, v6, v64 :: v_dual_lshlrev_b32 v79, 16, v79
	v_mul_f32_e32 v72, v6, v72
	s_wait_alu 0xfffd
	v_cndmask_b32_e32 v87, v90, v113, vcc_lo
	v_add3_u32 v90, v114, v88, 0x7fff
	v_or_b32_e32 v113, 0x400000, v88
	v_bfe_u32 v114, v112, 16, 1
	v_cmp_u_f32_e32 vcc_lo, v88, v88
	v_and_b32_e32 v87, 0xffff0000, v87
	v_lshlrev_b32_e32 v70, 16, v70
	v_lshlrev_b32_e32 v95, 16, v95
	;; [unrolled: 1-line block ×3, first 2 shown]
	s_wait_alu 0xfffd
	v_cndmask_b32_e32 v88, v90, v113, vcc_lo
	v_add3_u32 v90, v114, v112, 0x7fff
	v_or_b32_e32 v113, 0x400000, v112
	v_bfe_u32 v114, v111, 16, 1
	v_cmp_u_f32_e32 vcc_lo, v112, v112
	v_bfe_u32 v112, v110, 16, 1
	v_and_b32_e32 v88, 0xffff0000, v88
	v_add_f32_e32 v86, v87, v86
	v_add_f32_e32 v26, v26, v85
	s_wait_alu 0xfffd
	v_cndmask_b32_e32 v90, v90, v113, vcc_lo
	v_add3_u32 v113, v114, v111, 0x7fff
	v_or_b32_e32 v114, 0x400000, v111
	v_cmp_u_f32_e32 vcc_lo, v111, v111
	v_add3_u32 v112, v112, v110, 0x7fff
	v_and_b32_e32 v90, 0xffff0000, v90
	v_dual_mul_f32 v70, v8, v70 :: v_dual_mul_f32 v95, v2, v95
	s_wait_alu 0xfffd
	v_cndmask_b32_e32 v111, v113, v114, vcc_lo
	v_cmp_u_f32_e32 vcc_lo, v110, v110
	v_add3_u32 v113, v123, v108, 0x7fff
	v_or_b32_e32 v114, 0x400000, v108
	s_delay_alu instid0(VALU_DEP_4)
	v_dual_add_f32 v87, v90, v88 :: v_dual_and_b32 v90, 0xffff0000, v111
	s_wait_alu 0xfffd
	v_cndmask_b32_e32 v110, v112, v117, vcc_lo
	v_cmp_u_f32_e32 vcc_lo, v108, v108
	v_add3_u32 v112, v122, v109, 0x7fff
	v_or_b32_e32 v117, 0x400000, v109
	v_add_f32_e32 v86, v87, v86
	v_and_b32_e32 v88, 0xffff0000, v110
	s_wait_alu 0xfffd
	v_cndmask_b32_e32 v108, v113, v114, vcc_lo
	v_cmp_u_f32_e32 vcc_lo, v109, v109
	v_mul_f32_e32 v68, v7, v68
	v_lshlrev_b32_e32 v66, 16, v66
	s_delay_alu instid0(VALU_DEP_4) | instskip(SKIP_2) | instid1(VALU_DEP_3)
	v_dual_add_f32 v87, v88, v90 :: v_dual_and_b32 v88, 0xffff0000, v108
	s_wait_alu 0xfffd
	v_dual_cndmask_b32 v109, v112, v117 :: v_dual_lshlrev_b32 v62, 16, v62
	v_mul_f32_e32 v66, v5, v66
	s_delay_alu instid0(VALU_DEP_3) | instskip(NEXT) | instid1(VALU_DEP_3)
	v_dual_add_f32 v86, v87, v86 :: v_dual_mul_f32 v79, v2, v79
	v_and_b32_e32 v90, 0xffff0000, v109
	s_delay_alu instid0(VALU_DEP_4) | instskip(SKIP_2) | instid1(VALU_DEP_4)
	v_mul_f32_e32 v62, v8, v62
	v_lshlrev_b32_e32 v58, 16, v58
	v_mul_f32_e32 v54, v8, v54
	v_dual_mul_f32 v56, v6, v56 :: v_dual_add_f32 v87, v88, v90
	v_mul_f32_e32 v88, v1, v107
	v_mul_f32_e32 v52, v7, v52
	v_lshlrev_b32_e32 v50, 16, v50
	v_lshlrev_b32_e32 v63, 16, v63
	v_add_f32_e32 v85, v87, v86
	v_bfe_u32 v86, v88, 16, 1
	v_lshlrev_b32_e32 v87, 16, v105
	v_cmp_u_f32_e32 vcc_lo, v88, v88
	v_mul_f32_e32 v50, v5, v50
	v_dual_add_f32 v28, v28, v85 :: v_dual_and_b32 v91, 0xffff0000, v91
	v_add3_u32 v85, v86, v88, 0x7fff
	v_or_b32_e32 v86, 0x400000, v88
	v_mul_f32_e32 v87, v3, v87
	v_mul_f32_e32 v63, v2, v63
	v_add_f32_e32 v89, v89, v91
	v_lshlrev_b32_e32 v91, 16, v106
	s_wait_alu 0xfffd
	v_cndmask_b32_e32 v85, v85, v86, vcc_lo
	v_bfe_u32 v86, v87, 16, 1
	v_dual_add_f32 v81, v89, v81 :: v_dual_lshlrev_b32 v48, 16, v48
	v_mul_f32_e32 v89, v5, v91
	v_lshlrev_b32_e32 v91, 16, v104
	s_delay_alu instid0(VALU_DEP_4)
	v_add3_u32 v86, v86, v87, 0x7fff
	v_and_b32_e32 v85, 0xffff0000, v85
	v_add_f32_e32 v27, v27, v81
	v_bfe_u32 v81, v89, 16, 1
	v_or_b32_e32 v90, 0x400000, v89
	v_cmp_u_f32_e32 vcc_lo, v89, v89
	v_dual_mul_f32 v88, v6, v91 :: v_dual_lshlrev_b32 v91, 16, v102
	s_delay_alu instid0(VALU_DEP_4) | instskip(SKIP_1) | instid1(VALU_DEP_3)
	v_add3_u32 v81, v81, v89, 0x7fff
	v_dual_mul_f32 v46, v8, v46 :: v_dual_lshlrev_b32 v89, 16, v103
	v_bfe_u32 v102, v88, 16, 1
	s_wait_alu 0xfffd
	s_delay_alu instid0(VALU_DEP_3)
	v_dual_mul_f32 v48, v6, v48 :: v_dual_cndmask_b32 v81, v81, v90
	v_or_b32_e32 v90, 0x400000, v87
	v_mul_f32_e32 v89, v2, v89
	v_cmp_u_f32_e32 vcc_lo, v87, v87
	v_mul_f32_e32 v87, v8, v91
	v_or_b32_e32 v91, 0x400000, v88
	v_dual_mul_f32 v16, v1, v16 :: v_dual_and_b32 v81, 0xffff0000, v81
	s_wait_alu 0xfffd
	v_cndmask_b32_e32 v86, v86, v90, vcc_lo
	v_add3_u32 v90, v102, v88, 0x7fff
	v_bfe_u32 v102, v89, 16, 1
	v_cmp_u_f32_e32 vcc_lo, v88, v88
	v_bfe_u32 v103, v87, 16, 1
	v_dual_add_f32 v81, v81, v85 :: v_dual_and_b32 v86, 0xffff0000, v86
	v_lshlrev_b32_e32 v0, 16, v0
	s_wait_alu 0xfffd
	v_cndmask_b32_e32 v88, v90, v91, vcc_lo
	v_add3_u32 v90, v102, v89, 0x7fff
	v_mul_f32_e32 v91, v4, v101
	v_or_b32_e32 v101, 0x400000, v89
	v_cmp_u_f32_e32 vcc_lo, v89, v89
	v_add3_u32 v102, v103, v87, 0x7fff
	v_or_b32_e32 v103, 0x400000, v87
	v_bfe_u32 v104, v91, 16, 1
	s_wait_alu 0xfffd
	v_dual_cndmask_b32 v89, v90, v101 :: v_dual_and_b32 v88, 0xffff0000, v88
	v_mul_f32_e32 v90, v7, v100
	v_cmp_u_f32_e32 vcc_lo, v87, v87
	v_add3_u32 v100, v104, v91, 0x7fff
	v_or_b32_e32 v101, 0x400000, v91
	v_dual_add_f32 v85, v88, v86 :: v_dual_and_b32 v88, 0xffff0000, v89
	s_wait_alu 0xfffd
	v_cndmask_b32_e32 v87, v102, v103, vcc_lo
	v_bfe_u32 v102, v90, 16, 1
	v_cmp_u_f32_e32 vcc_lo, v91, v91
	v_add_f32_e32 v81, v85, v81
	v_mul_f32_e32 v0, v5, v0
	v_and_b32_e32 v86, 0xffff0000, v87
	v_lshlrev_b32_e32 v87, 16, v99
	s_wait_alu 0xfffd
	v_cndmask_b32_e32 v91, v100, v101, vcc_lo
	v_add3_u32 v100, v102, v90, 0x7fff
	v_or_b32_e32 v101, 0x400000, v90
	v_cmp_u_f32_e32 vcc_lo, v90, v90
	v_dual_mul_f32 v85, v1, v87 :: v_dual_add_f32 v86, v86, v88
	v_lshlrev_b32_e32 v87, 16, v98
	v_bfe_u32 v98, v93, 16, 1
	s_wait_alu 0xfffd
	v_cndmask_b32_e32 v89, v100, v101, vcc_lo
	v_bfe_u32 v90, v85, 16, 1
	v_cmp_u_f32_e32 vcc_lo, v85, v85
	v_dual_add_f32 v81, v86, v81 :: v_dual_mul_f32 v86, v5, v87
	s_delay_alu instid0(VALU_DEP_4) | instskip(SKIP_2) | instid1(VALU_DEP_4)
	v_and_b32_e32 v88, 0xffff0000, v89
	v_and_b32_e32 v89, 0xffff0000, v91
	v_lshlrev_b32_e32 v87, 16, v97
	v_bfe_u32 v91, v86, 16, 1
	s_delay_alu instid0(VALU_DEP_3) | instskip(SKIP_3) | instid1(VALU_DEP_4)
	v_add_f32_e32 v88, v88, v89
	v_add3_u32 v89, v90, v85, 0x7fff
	v_or_b32_e32 v90, 0x400000, v85
	v_mul_f32_e32 v87, v3, v87
	v_add_f32_e32 v81, v88, v81
	s_wait_alu 0xfffd
	s_delay_alu instid0(VALU_DEP_3)
	v_cndmask_b32_e32 v85, v89, v90, vcc_lo
	v_add3_u32 v89, v91, v86, 0x7fff
	v_or_b32_e32 v90, 0x400000, v86
	v_bfe_u32 v91, v87, 16, 1
	v_cmp_u_f32_e32 vcc_lo, v86, v86
	v_and_b32_e32 v85, 0xffff0000, v85
	v_add_f32_e32 v29, v29, v81
	s_wait_alu 0xfffd
	v_cndmask_b32_e32 v86, v89, v90, vcc_lo
	v_add3_u32 v89, v91, v87, 0x7fff
	v_or_b32_e32 v90, 0x400000, v87
	v_bfe_u32 v91, v96, 16, 1
	v_cmp_u_f32_e32 vcc_lo, v87, v87
	v_and_b32_e32 v86, 0xffff0000, v86
	s_wait_alu 0xfffd
	v_cndmask_b32_e32 v87, v89, v90, vcc_lo
	v_add3_u32 v89, v91, v96, 0x7fff
	v_or_b32_e32 v90, 0x400000, v96
	v_mul_f32_e32 v91, v8, v94
	v_bfe_u32 v94, v95, 16, 1
	v_cmp_u_f32_e32 vcc_lo, v96, v96
	v_or_b32_e32 v96, 0x400000, v95
	v_and_b32_e32 v87, 0xffff0000, v87
	v_or_b32_e32 v97, 0x400000, v91
	v_add3_u32 v94, v94, v95, 0x7fff
	s_wait_alu 0xfffd
	v_cndmask_b32_e32 v89, v89, v90, vcc_lo
	v_bfe_u32 v90, v91, 16, 1
	v_cmp_u_f32_e32 vcc_lo, v95, v95
	v_bfe_u32 v95, v92, 16, 1
	v_add_f32_e32 v85, v86, v85
	v_and_b32_e32 v89, 0xffff0000, v89
	v_add3_u32 v90, v90, v91, 0x7fff
	s_wait_alu 0xfffd
	v_cndmask_b32_e32 v94, v94, v96, vcc_lo
	v_cmp_u_f32_e32 vcc_lo, v91, v91
	v_add3_u32 v95, v95, v92, 0x7fff
	v_add3_u32 v91, v98, v93, 0x7fff
	v_or_b32_e32 v96, 0x400000, v93
	v_add_f32_e32 v86, v89, v87
	s_wait_alu 0xfffd
	v_cndmask_b32_e32 v90, v90, v97, vcc_lo
	v_or_b32_e32 v97, 0x400000, v92
	v_cmp_u_f32_e32 vcc_lo, v92, v92
	v_and_b32_e32 v89, 0xffff0000, v94
	v_add_f32_e32 v85, v86, v85
	s_wait_alu 0xfffd
	v_dual_cndmask_b32 v90, v95, v97 :: v_dual_and_b32 v87, 0xffff0000, v90
	v_cmp_u_f32_e32 vcc_lo, v93, v93
	s_delay_alu instid0(VALU_DEP_2) | instskip(SKIP_3) | instid1(VALU_DEP_3)
	v_dual_add_f32 v86, v87, v89 :: v_dual_and_b32 v87, 0xffff0000, v90
	s_wait_alu 0xfffd
	v_cndmask_b32_e32 v91, v91, v96, vcc_lo
	v_cmp_u_f32_e32 vcc_lo, v84, v84
	v_add_f32_e32 v85, v86, v85
	s_delay_alu instid0(VALU_DEP_3) | instskip(NEXT) | instid1(VALU_DEP_1)
	v_and_b32_e32 v89, 0xffff0000, v91
	v_add_f32_e32 v86, v87, v89
	v_bfe_u32 v87, v84, 16, 1
	v_bfe_u32 v89, v82, 16, 1
	s_delay_alu instid0(VALU_DEP_3) | instskip(SKIP_1) | instid1(VALU_DEP_4)
	v_add_f32_e32 v85, v86, v85
	v_mul_f32_e32 v83, v5, v83
	v_add3_u32 v86, v87, v84, 0x7fff
	v_or_b32_e32 v87, 0x400000, v84
	s_delay_alu instid0(VALU_DEP_4) | instskip(NEXT) | instid1(VALU_DEP_4)
	v_add_f32_e32 v30, v30, v85
	v_bfe_u32 v81, v83, 16, 1
	v_or_b32_e32 v88, 0x400000, v83
	s_wait_alu 0xfffd
	v_cndmask_b32_e32 v84, v86, v87, vcc_lo
	v_cmp_u_f32_e32 vcc_lo, v83, v83
	v_or_b32_e32 v86, 0x400000, v82
	v_add3_u32 v81, v81, v83, 0x7fff
	v_add3_u32 v83, v89, v82, 0x7fff
	v_bfe_u32 v87, v80, 16, 1
	v_bfe_u32 v89, v77, 16, 1
	v_and_b32_e32 v84, 0xffff0000, v84
	s_wait_alu 0xfffd
	v_cndmask_b32_e32 v81, v81, v88, vcc_lo
	v_cmp_u_f32_e32 vcc_lo, v82, v82
	v_bfe_u32 v88, v78, 16, 1
	s_wait_alu 0xfffd
	s_delay_alu instid0(VALU_DEP_3)
	v_dual_cndmask_b32 v82, v83, v86 :: v_dual_and_b32 v81, 0xffff0000, v81
	v_add3_u32 v83, v87, v80, 0x7fff
	v_or_b32_e32 v86, 0x400000, v80
	v_bfe_u32 v87, v79, 16, 1
	v_cmp_u_f32_e32 vcc_lo, v80, v80
	v_dual_add_f32 v81, v81, v84 :: v_dual_and_b32 v82, 0xffff0000, v82
	v_bfe_u32 v84, v68, 16, 1
	s_wait_alu 0xfffd
	v_cndmask_b32_e32 v80, v83, v86, vcc_lo
	v_add3_u32 v83, v87, v79, 0x7fff
	v_or_b32_e32 v86, 0x400000, v79
	v_cmp_u_f32_e32 vcc_lo, v79, v79
	v_add3_u32 v87, v88, v78, 0x7fff
	v_or_b32_e32 v88, 0x400000, v78
	s_wait_alu 0xfffd
	v_dual_cndmask_b32 v79, v83, v86 :: v_dual_and_b32 v80, 0xffff0000, v80
	v_cmp_u_f32_e32 vcc_lo, v78, v78
	v_add3_u32 v83, v89, v77, 0x7fff
	v_or_b32_e32 v86, 0x400000, v77
	s_delay_alu instid0(VALU_DEP_4) | instskip(SKIP_3) | instid1(VALU_DEP_3)
	v_dual_add_f32 v80, v80, v82 :: v_dual_and_b32 v79, 0xffff0000, v79
	s_wait_alu 0xfffd
	v_cndmask_b32_e32 v78, v87, v88, vcc_lo
	v_cmp_u_f32_e32 vcc_lo, v77, v77
	v_add_f32_e32 v80, v80, v81
	v_bfe_u32 v81, v74, 16, 1
	s_delay_alu instid0(VALU_DEP_4)
	v_and_b32_e32 v78, 0xffff0000, v78
	s_wait_alu 0xfffd
	v_cndmask_b32_e32 v77, v83, v86, vcc_lo
	v_bfe_u32 v83, v76, 16, 1
	v_cmp_u_f32_e32 vcc_lo, v76, v76
	v_add_f32_e32 v78, v78, v79
	v_bfe_u32 v79, v75, 16, 1
	s_delay_alu instid0(VALU_DEP_4) | instskip(SKIP_1) | instid1(VALU_DEP_4)
	v_add3_u32 v82, v83, v76, 0x7fff
	v_or_b32_e32 v83, 0x400000, v76
	v_add_f32_e32 v78, v78, v80
	s_delay_alu instid0(VALU_DEP_4)
	v_add3_u32 v79, v79, v75, 0x7fff
	v_or_b32_e32 v80, 0x400000, v75
	s_wait_alu 0xfffd
	v_cndmask_b32_e32 v76, v82, v83, vcc_lo
	v_cmp_u_f32_e32 vcc_lo, v75, v75
	v_or_b32_e32 v82, 0x400000, v70
	v_bfe_u32 v83, v69, 16, 1
	s_delay_alu instid0(VALU_DEP_4)
	v_and_b32_e32 v76, 0xffff0000, v76
	s_wait_alu 0xfffd
	v_cndmask_b32_e32 v75, v79, v80, vcc_lo
	v_add3_u32 v79, v81, v74, 0x7fff
	v_or_b32_e32 v80, 0x400000, v74
	v_bfe_u32 v81, v73, 16, 1
	v_cmp_u_f32_e32 vcc_lo, v74, v74
	s_wait_alu 0xfffd
	s_delay_alu instid0(VALU_DEP_3) | instskip(NEXT) | instid1(VALU_DEP_3)
	v_dual_cndmask_b32 v74, v79, v80 :: v_dual_and_b32 v75, 0xffff0000, v75
	v_add3_u32 v79, v81, v73, 0x7fff
	v_or_b32_e32 v80, 0x400000, v73
	v_bfe_u32 v81, v72, 16, 1
	v_cmp_u_f32_e32 vcc_lo, v73, v73
	s_wait_alu 0xfffd
	s_delay_alu instid0(VALU_DEP_3) | instskip(NEXT) | instid1(VALU_DEP_3)
	v_dual_cndmask_b32 v73, v79, v80 :: v_dual_and_b32 v74, 0xffff0000, v74
	v_add3_u32 v79, v81, v72, 0x7fff
	v_or_b32_e32 v80, 0x400000, v72
	v_bfe_u32 v81, v71, 16, 1
	v_cmp_u_f32_e32 vcc_lo, v72, v72
	v_dual_add_f32 v74, v74, v75 :: v_dual_and_b32 v73, 0xffff0000, v73
	s_wait_alu 0xfffd
	v_cndmask_b32_e32 v72, v79, v80, vcc_lo
	v_bfe_u32 v79, v70, 16, 1
	v_add3_u32 v80, v81, v71, 0x7fff
	v_or_b32_e32 v81, 0x400000, v71
	v_cmp_u_f32_e32 vcc_lo, v71, v71
	v_and_b32_e32 v72, 0xffff0000, v72
	v_add3_u32 v79, v79, v70, 0x7fff
	s_wait_alu 0xfffd
	v_cndmask_b32_e32 v71, v80, v81, vcc_lo
	v_cmp_u_f32_e32 vcc_lo, v70, v70
	v_add3_u32 v80, v84, v68, 0x7fff
	v_or_b32_e32 v81, 0x400000, v68
	s_delay_alu instid0(VALU_DEP_4)
	v_dual_add_f32 v72, v72, v73 :: v_dual_and_b32 v71, 0xffff0000, v71
	s_wait_alu 0xfffd
	v_cndmask_b32_e32 v70, v79, v82, vcc_lo
	v_cmp_u_f32_e32 vcc_lo, v68, v68
	v_add3_u32 v79, v83, v69, 0x7fff
	v_or_b32_e32 v82, 0x400000, v69
	v_and_b32_e32 v73, 0xffff0000, v77
	v_and_b32_e32 v70, 0xffff0000, v70
	s_wait_alu 0xfffd
	v_cndmask_b32_e32 v68, v80, v81, vcc_lo
	v_cmp_u_f32_e32 vcc_lo, v69, v69
	v_add_f32_e32 v72, v72, v74
	v_add_f32_e32 v70, v70, v71
	s_wait_alu 0xfffd
	v_dual_cndmask_b32 v69, v79, v82 :: v_dual_and_b32 v68, 0xffff0000, v68
	v_add_f32_e32 v71, v76, v73
	v_cmp_u_f32_e32 vcc_lo, v67, v67
	v_add_f32_e32 v70, v70, v72
	v_bfe_u32 v72, v61, 16, 1
	v_and_b32_e32 v69, 0xffff0000, v69
	s_delay_alu instid0(VALU_DEP_1) | instskip(SKIP_1) | instid1(VALU_DEP_2)
	v_dual_add_f32 v68, v68, v69 :: v_dual_add_f32 v69, v71, v78
	v_or_b32_e32 v71, 0x400000, v66
	v_add_f32_e32 v68, v68, v70
	v_bfe_u32 v70, v67, 16, 1
	s_delay_alu instid0(VALU_DEP_4) | instskip(SKIP_1) | instid1(VALU_DEP_4)
	v_add_f32_e32 v31, v31, v69
	v_bfe_u32 v69, v66, 16, 1
	v_add_f32_e32 v32, v32, v68
	s_delay_alu instid0(VALU_DEP_4) | instskip(SKIP_1) | instid1(VALU_DEP_4)
	v_add3_u32 v68, v70, v67, 0x7fff
	v_or_b32_e32 v70, 0x400000, v67
	v_add3_u32 v69, v69, v66, 0x7fff
	s_wait_alu 0xfffd
	s_delay_alu instid0(VALU_DEP_2) | instskip(SKIP_3) | instid1(VALU_DEP_4)
	v_cndmask_b32_e32 v67, v68, v70, vcc_lo
	v_bfe_u32 v68, v65, 16, 1
	v_cmp_u_f32_e32 vcc_lo, v66, v66
	v_bfe_u32 v70, v64, 16, 1
	v_and_b32_e32 v67, 0xffff0000, v67
	s_delay_alu instid0(VALU_DEP_4)
	v_add3_u32 v68, v68, v65, 0x7fff
	s_wait_alu 0xfffd
	v_cndmask_b32_e32 v66, v69, v71, vcc_lo
	v_or_b32_e32 v69, 0x400000, v65
	v_cmp_u_f32_e32 vcc_lo, v65, v65
	v_bfe_u32 v71, v62, 16, 1
	s_wait_alu 0xfffd
	s_delay_alu instid0(VALU_DEP_3)
	v_dual_cndmask_b32 v65, v68, v69 :: v_dual_and_b32 v66, 0xffff0000, v66
	v_add3_u32 v68, v70, v64, 0x7fff
	v_or_b32_e32 v69, 0x400000, v64
	v_bfe_u32 v70, v63, 16, 1
	v_cmp_u_f32_e32 vcc_lo, v64, v64
	v_dual_add_f32 v66, v66, v67 :: v_dual_and_b32 v65, 0xffff0000, v65
	s_wait_alu 0xfffd
	v_cndmask_b32_e32 v64, v68, v69, vcc_lo
	v_add3_u32 v68, v70, v63, 0x7fff
	v_or_b32_e32 v69, 0x400000, v63
	v_cmp_u_f32_e32 vcc_lo, v63, v63
	v_add3_u32 v70, v71, v62, 0x7fff
	v_or_b32_e32 v71, 0x400000, v62
	s_wait_alu 0xfffd
	v_dual_cndmask_b32 v63, v68, v69 :: v_dual_and_b32 v64, 0xffff0000, v64
	v_cmp_u_f32_e32 vcc_lo, v62, v62
	v_add3_u32 v68, v72, v61, 0x7fff
	v_or_b32_e32 v69, 0x400000, v61
	s_delay_alu instid0(VALU_DEP_4)
	v_dual_add_f32 v64, v64, v65 :: v_dual_and_b32 v63, 0xffff0000, v63
	s_wait_alu 0xfffd
	v_cndmask_b32_e32 v62, v70, v71, vcc_lo
	v_bfe_u32 v70, v60, 16, 1
	v_cmp_u_f32_e32 vcc_lo, v61, v61
	v_add_f32_e32 v64, v64, v66
	v_bfe_u32 v65, v59, 16, 1
	v_and_b32_e32 v62, 0xffff0000, v62
	v_bfe_u32 v66, v53, 16, 1
	s_wait_alu 0xfffd
	v_cndmask_b32_e32 v61, v68, v69, vcc_lo
	v_add3_u32 v68, v70, v60, 0x7fff
	v_or_b32_e32 v69, 0x400000, v60
	v_cmp_u_f32_e32 vcc_lo, v60, v60
	v_dual_add_f32 v62, v62, v63 :: v_dual_mul_f32 v63, v5, v58
	v_and_b32_e32 v61, 0xffff0000, v61
	s_wait_alu 0xfffd
	v_cndmask_b32_e32 v60, v68, v69, vcc_lo
	s_delay_alu instid0(VALU_DEP_3) | instskip(SKIP_4) | instid1(VALU_DEP_4)
	v_add_f32_e32 v58, v62, v64
	v_lshlrev_b32_e32 v64, 16, v57
	v_bfe_u32 v62, v63, 16, 1
	v_cmp_u_f32_e32 vcc_lo, v59, v59
	v_and_b32_e32 v60, 0xffff0000, v60
	v_mul_f32_e32 v64, v3, v64
	s_delay_alu instid0(VALU_DEP_4) | instskip(NEXT) | instid1(VALU_DEP_3)
	v_add3_u32 v62, v62, v63, 0x7fff
	v_add_f32_e32 v57, v60, v61
	v_add3_u32 v60, v65, v59, 0x7fff
	v_or_b32_e32 v61, 0x400000, v59
	v_or_b32_e32 v65, 0x400000, v63
	s_wait_alu 0xfffd
	s_delay_alu instid0(VALU_DEP_2) | instskip(SKIP_3) | instid1(VALU_DEP_4)
	v_cndmask_b32_e32 v59, v60, v61, vcc_lo
	v_bfe_u32 v60, v64, 16, 1
	v_cmp_u_f32_e32 vcc_lo, v63, v63
	v_bfe_u32 v63, v56, 16, 1
	v_and_b32_e32 v59, 0xffff0000, v59
	s_delay_alu instid0(VALU_DEP_4)
	v_add3_u32 v60, v60, v64, 0x7fff
	s_wait_alu 0xfffd
	v_cndmask_b32_e32 v61, v62, v65, vcc_lo
	v_or_b32_e32 v62, 0x400000, v64
	v_cmp_u_f32_e32 vcc_lo, v64, v64
	v_bfe_u32 v64, v55, 16, 1
	v_bfe_u32 v65, v54, 16, 1
	s_wait_alu 0xfffd
	v_dual_cndmask_b32 v60, v60, v62 :: v_dual_and_b32 v61, 0xffff0000, v61
	v_add3_u32 v62, v63, v56, 0x7fff
	v_or_b32_e32 v63, 0x400000, v56
	v_cmp_u_f32_e32 vcc_lo, v56, v56
	s_delay_alu instid0(VALU_DEP_4) | instskip(SKIP_1) | instid1(VALU_DEP_3)
	v_dual_add_f32 v59, v61, v59 :: v_dual_and_b32 v60, 0xffff0000, v60
	s_wait_alu 0xfffd
	v_cndmask_b32_e32 v56, v62, v63, vcc_lo
	v_add3_u32 v62, v64, v55, 0x7fff
	v_or_b32_e32 v63, 0x400000, v55
	v_cmp_u_f32_e32 vcc_lo, v55, v55
	v_add3_u32 v64, v65, v54, 0x7fff
	v_or_b32_e32 v65, 0x400000, v54
	s_wait_alu 0xfffd
	v_dual_cndmask_b32 v55, v62, v63 :: v_dual_and_b32 v56, 0xffff0000, v56
	v_cmp_u_f32_e32 vcc_lo, v54, v54
	v_add3_u32 v62, v66, v53, 0x7fff
	v_or_b32_e32 v63, 0x400000, v53
	s_delay_alu instid0(VALU_DEP_4)
	v_dual_add_f32 v56, v56, v60 :: v_dual_and_b32 v55, 0xffff0000, v55
	s_wait_alu 0xfffd
	v_cndmask_b32_e32 v54, v64, v65, vcc_lo
	v_bfe_u32 v64, v52, 16, 1
	v_cmp_u_f32_e32 vcc_lo, v53, v53
	v_add_f32_e32 v56, v56, v59
	v_or_b32_e32 v59, 0x400000, v50
	v_and_b32_e32 v54, 0xffff0000, v54
	v_bfe_u32 v60, v49, 16, 1
	s_wait_alu 0xfffd
	v_cndmask_b32_e32 v53, v62, v63, vcc_lo
	v_add3_u32 v62, v64, v52, 0x7fff
	v_or_b32_e32 v63, 0x400000, v52
	v_cmp_u_f32_e32 vcc_lo, v52, v52
	s_delay_alu instid0(VALU_DEP_4) | instskip(SKIP_3) | instid1(VALU_DEP_3)
	v_dual_add_f32 v54, v54, v55 :: v_dual_and_b32 v53, 0xffff0000, v53
	v_bfe_u32 v55, v51, 16, 1
	s_wait_alu 0xfffd
	v_cndmask_b32_e32 v52, v62, v63, vcc_lo
	v_add_f32_e32 v54, v54, v56
	v_bfe_u32 v56, v50, 16, 1
	v_cmp_u_f32_e32 vcc_lo, v51, v51
	s_delay_alu instid0(VALU_DEP_4) | instskip(NEXT) | instid1(VALU_DEP_3)
	v_and_b32_e32 v52, 0xffff0000, v52
	v_add3_u32 v56, v56, v50, 0x7fff
	s_delay_alu instid0(VALU_DEP_2) | instskip(SKIP_3) | instid1(VALU_DEP_1)
	v_add_f32_e32 v52, v52, v53
	v_add3_u32 v53, v55, v51, 0x7fff
	v_or_b32_e32 v55, 0x400000, v51
	s_wait_alu 0xfffd
	v_cndmask_b32_e32 v51, v53, v55, vcc_lo
	v_cmp_u_f32_e32 vcc_lo, v50, v50
	v_add3_u32 v53, v60, v49, 0x7fff
	v_or_b32_e32 v55, 0x400000, v49
	s_delay_alu instid0(VALU_DEP_4)
	v_and_b32_e32 v51, 0xffff0000, v51
	s_wait_alu 0xfffd
	v_cndmask_b32_e32 v50, v56, v59, vcc_lo
	v_bfe_u32 v56, v48, 16, 1
	v_cmp_u_f32_e32 vcc_lo, v49, v49
	v_bfe_u32 v59, v46, 16, 1
	s_wait_alu 0xfffd
	v_dual_cndmask_b32 v49, v53, v55 :: v_dual_and_b32 v50, 0xffff0000, v50
	v_add3_u32 v53, v56, v48, 0x7fff
	v_or_b32_e32 v55, 0x400000, v48
	v_bfe_u32 v56, v47, 16, 1
	v_cmp_u_f32_e32 vcc_lo, v48, v48
	v_add_f32_e32 v50, v50, v51
	v_or_b32_e32 v51, 0x400000, v44
	v_lshlrev_b32_e32 v45, 16, v45
	s_wait_alu 0xfffd
	v_dual_cndmask_b32 v48, v53, v55 :: v_dual_and_b32 v49, 0xffff0000, v49
	v_add3_u32 v53, v56, v47, 0x7fff
	v_or_b32_e32 v55, 0x400000, v47
	v_mul_f32_e32 v45, v4, v45
	v_cmp_u_f32_e32 vcc_lo, v47, v47
	v_add3_u32 v56, v59, v46, 0x7fff
	v_or_b32_e32 v59, 0x400000, v46
	v_and_b32_e32 v48, 0xffff0000, v48
	v_bfe_u32 v60, v45, 16, 1
	s_wait_alu 0xfffd
	v_cndmask_b32_e32 v47, v53, v55, vcc_lo
	v_cmp_u_f32_e32 vcc_lo, v46, v46
	v_or_b32_e32 v55, 0x400000, v45
	v_add_f32_e32 v48, v48, v49
	v_add3_u32 v53, v60, v45, 0x7fff
	v_and_b32_e32 v47, 0xffff0000, v47
	s_wait_alu 0xfffd
	v_cndmask_b32_e32 v46, v56, v59, vcc_lo
	v_cmp_u_f32_e32 vcc_lo, v45, v45
	v_add_f32_e32 v48, v48, v50
	v_or_b32_e32 v50, 0x400000, v15
	v_mul_f32_e32 v4, v4, v13
	s_wait_alu 0xfffd
	v_dual_cndmask_b32 v45, v53, v55 :: v_dual_and_b32 v46, 0xffff0000, v46
	v_bfe_u32 v53, v44, 16, 1
	v_cmp_u_f32_e32 vcc_lo, v44, v44
	s_delay_alu instid0(VALU_DEP_3) | instskip(SKIP_1) | instid1(VALU_DEP_4)
	v_add_f32_e32 v46, v46, v47
	v_bfe_u32 v47, v16, 16, 1
	v_add3_u32 v49, v53, v44, 0x7fff
	s_delay_alu instid0(VALU_DEP_3) | instskip(NEXT) | instid1(VALU_DEP_3)
	v_add_f32_e32 v46, v46, v48
	v_add3_u32 v47, v47, v16, 0x7fff
	s_wait_alu 0xfffd
	s_delay_alu instid0(VALU_DEP_3) | instskip(SKIP_3) | instid1(VALU_DEP_4)
	v_cndmask_b32_e32 v44, v49, v51, vcc_lo
	v_or_b32_e32 v48, 0x400000, v16
	v_bfe_u32 v49, v0, 16, 1
	v_cmp_u_f32_e32 vcc_lo, v16, v16
	v_and_b32_e32 v44, 0xffff0000, v44
	s_wait_alu 0xfffd
	v_cndmask_b32_e32 v16, v47, v48, vcc_lo
	v_bfe_u32 v47, v15, 16, 1
	v_add3_u32 v48, v49, v0, 0x7fff
	v_or_b32_e32 v49, 0x400000, v0
	v_cmp_u_f32_e32 vcc_lo, v0, v0
	v_and_b32_e32 v16, 0xffff0000, v16
	v_add3_u32 v47, v47, v15, 0x7fff
	s_wait_alu 0xfffd
	v_cndmask_b32_e32 v0, v48, v49, vcc_lo
	v_bfe_u32 v48, v43, 16, 1
	v_cmp_u_f32_e32 vcc_lo, v15, v15
	v_or_b32_e32 v49, 0x400000, v43
	s_delay_alu instid0(VALU_DEP_4) | instskip(NEXT) | instid1(VALU_DEP_4)
	v_and_b32_e32 v0, 0xffff0000, v0
	v_add3_u32 v48, v48, v43, 0x7fff
	s_wait_alu 0xfffd
	v_cndmask_b32_e32 v15, v47, v50, vcc_lo
	v_bfe_u32 v47, v42, 16, 1
	v_cmp_u_f32_e32 vcc_lo, v43, v43
	v_or_b32_e32 v50, 0x400000, v42
	v_add_f32_e32 v0, v0, v16
	s_delay_alu instid0(VALU_DEP_4)
	v_add3_u32 v47, v47, v42, 0x7fff
	s_wait_alu 0xfffd
	v_cndmask_b32_e32 v43, v48, v49, vcc_lo
	v_bfe_u32 v48, v41, 16, 1
	v_cmp_u_f32_e32 vcc_lo, v42, v42
	v_bfe_u32 v49, v40, 16, 1
	s_wait_alu 0xfffd
	v_dual_cndmask_b32 v42, v47, v50 :: v_dual_and_b32 v43, 0xffff0000, v43
	v_add3_u32 v47, v48, v41, 0x7fff
	v_or_b32_e32 v48, 0x400000, v41
	v_cmp_u_f32_e32 vcc_lo, v41, v41
	v_add3_u32 v49, v49, v40, 0x7fff
	v_or_b32_e32 v50, 0x400000, v40
	s_wait_alu 0xfffd
	v_cndmask_b32_e32 v41, v47, v48, vcc_lo
	v_cmp_u_f32_e32 vcc_lo, v40, v40
	s_delay_alu instid0(VALU_DEP_2) | instskip(SKIP_4) | instid1(VALU_DEP_3)
	v_and_b32_e32 v16, 0xffff0000, v41
	v_and_b32_e32 v41, 0xffff0000, v42
	s_wait_alu 0xfffd
	v_cndmask_b32_e32 v40, v49, v50, vcc_lo
	v_lshlrev_b32_e32 v42, 16, v120
	v_dual_add_f32 v16, v16, v41 :: v_dual_lshlrev_b32 v41, 16, v119
	s_delay_alu instid0(VALU_DEP_1) | instskip(NEXT) | instid1(VALU_DEP_1)
	v_dual_mul_f32 v6, v6, v41 :: v_dual_lshlrev_b32 v41, 16, v118
	v_mul_f32_e32 v3, v3, v41
	v_lshlrev_b32_e32 v41, 16, v116
	s_delay_alu instid0(VALU_DEP_1) | instskip(NEXT) | instid1(VALU_DEP_1)
	v_dual_mul_f32 v8, v8, v41 :: v_dual_lshlrev_b32 v41, 16, v115
	v_or_b32_e32 v13, 0x400000, v8
	s_delay_alu instid0(VALU_DEP_2) | instskip(SKIP_2) | instid1(VALU_DEP_3)
	v_dual_mul_f32 v2, v2, v41 :: v_dual_and_b32 v15, 0xffff0000, v15
	v_mul_f32_e32 v39, v7, v39
	v_mul_f32_e32 v7, v7, v14
	v_add_f32_e32 v15, v43, v15
	s_delay_alu instid0(VALU_DEP_3) | instskip(SKIP_2) | instid1(VALU_DEP_4)
	v_bfe_u32 v47, v39, 16, 1
	v_or_b32_e32 v48, 0x400000, v39
	v_cmp_u_f32_e32 vcc_lo, v39, v39
	v_dual_add_f32 v0, v15, v0 :: v_dual_lshlrev_b32 v49, 16, v121
	s_delay_alu instid0(VALU_DEP_4) | instskip(NEXT) | instid1(VALU_DEP_2)
	v_add3_u32 v47, v47, v39, 0x7fff
	v_dual_add_f32 v0, v16, v0 :: v_dual_mul_f32 v5, v5, v49
	v_mul_f32_e32 v1, v1, v42
	s_wait_alu 0xfffd
	s_delay_alu instid0(VALU_DEP_3) | instskip(NEXT) | instid1(VALU_DEP_3)
	v_cndmask_b32_e32 v39, v47, v48, vcc_lo
	v_bfe_u32 v15, v5, 16, 1
	v_or_b32_e32 v42, 0x400000, v5
	v_bfe_u32 v43, v1, 16, 1
	v_cmp_u_f32_e32 vcc_lo, v5, v5
	s_delay_alu instid0(VALU_DEP_4) | instskip(SKIP_1) | instid1(VALU_DEP_1)
	v_add3_u32 v15, v15, v5, 0x7fff
	s_wait_alu 0xfffd
	v_cndmask_b32_e32 v5, v15, v42, vcc_lo
	v_add3_u32 v15, v43, v1, 0x7fff
	v_or_b32_e32 v42, 0x400000, v1
	v_bfe_u32 v43, v6, 16, 1
	v_cmp_u_f32_e32 vcc_lo, v1, v1
	v_and_b32_e32 v5, 0xffff0000, v5
	s_wait_alu 0xfffd
	v_cndmask_b32_e32 v1, v15, v42, vcc_lo
	v_add3_u32 v15, v43, v6, 0x7fff
	v_or_b32_e32 v42, 0x400000, v6
	v_bfe_u32 v43, v3, 16, 1
	v_cmp_u_f32_e32 vcc_lo, v6, v6
	v_and_b32_e32 v45, 0xffff0000, v45
	s_wait_alu 0xfffd
	v_dual_cndmask_b32 v6, v15, v42 :: v_dual_and_b32 v1, 0xffff0000, v1
	v_add3_u32 v15, v43, v3, 0x7fff
	v_or_b32_e32 v42, 0x400000, v3
	v_bfe_u32 v43, v8, 16, 1
	v_cmp_u_f32_e32 vcc_lo, v3, v3
	v_dual_add_f32 v1, v5, v1 :: v_dual_and_b32 v6, 0xffff0000, v6
	s_delay_alu instid0(VALU_DEP_3)
	v_add3_u32 v41, v43, v8, 0x7fff
	s_wait_alu 0xfffd
	v_cndmask_b32_e32 v3, v15, v42, vcc_lo
	v_bfe_u32 v15, v2, 16, 1
	v_cmp_u_f32_e32 vcc_lo, v8, v8
	v_bfe_u32 v43, v4, 16, 1
	v_bfe_u32 v42, v7, 16, 1
	v_and_b32_e32 v3, 0xffff0000, v3
	v_add3_u32 v14, v15, v2, 0x7fff
	v_or_b32_e32 v15, 0x400000, v2
	s_wait_alu 0xfffd
	v_cndmask_b32_e32 v8, v41, v13, vcc_lo
	v_cmp_u_f32_e32 vcc_lo, v2, v2
	v_add3_u32 v13, v42, v7, 0x7fff
	v_or_b32_e32 v41, 0x400000, v7
	v_add_f32_e32 v3, v6, v3
	s_wait_alu 0xfffd
	v_dual_cndmask_b32 v2, v14, v15 :: v_dual_and_b32 v5, 0xffff0000, v8
	v_add3_u32 v14, v43, v4, 0x7fff
	v_or_b32_e32 v15, 0x400000, v4
	v_cmp_u_f32_e32 vcc_lo, v4, v4
	s_delay_alu instid0(VALU_DEP_4) | instskip(SKIP_1) | instid1(VALU_DEP_3)
	v_dual_add_f32 v1, v3, v1 :: v_dual_and_b32 v2, 0xffff0000, v2
	s_wait_alu 0xfffd
	v_cndmask_b32_e32 v4, v14, v15, vcc_lo
	v_cmp_u_f32_e32 vcc_lo, v7, v7
	s_delay_alu instid0(VALU_DEP_3) | instskip(SKIP_3) | instid1(VALU_DEP_3)
	v_dual_add_f32 v2, v5, v2 :: v_dual_add_f32 v5, v44, v45
	v_and_b32_e32 v7, 0xffff0000, v40
	s_wait_alu 0xfffd
	v_dual_cndmask_b32 v6, v13, v41 :: v_dual_and_b32 v3, 0xffff0000, v4
	v_add_f32_e32 v1, v2, v1
	v_add_f32_e32 v5, v5, v46
	s_delay_alu instid0(VALU_DEP_3) | instskip(NEXT) | instid1(VALU_DEP_2)
	v_and_b32_e32 v4, 0xffff0000, v6
	v_add_f32_e32 v36, v36, v5
	s_delay_alu instid0(VALU_DEP_2) | instskip(SKIP_2) | instid1(VALU_DEP_3)
	v_add_f32_e32 v2, v4, v3
	v_dual_add_f32 v4, v52, v54 :: v_dual_and_b32 v39, 0xffff0000, v39
	v_add_f32_e32 v3, v57, v58
	v_add_f32_e32 v1, v2, v1
	s_delay_alu instid0(VALU_DEP_3) | instskip(NEXT) | instid1(VALU_DEP_4)
	v_add_f32_e32 v34, v34, v4
	v_add_f32_e32 v6, v39, v7
	s_delay_alu instid0(VALU_DEP_3) | instskip(NEXT) | instid1(VALU_DEP_2)
	v_dual_add_f32 v33, v33, v3 :: v_dual_add_f32 v22, v22, v1
	v_add_f32_e32 v0, v6, v0
	s_delay_alu instid0(VALU_DEP_1)
	v_add_f32_e32 v35, v35, v0
.LBB354_37:                             ;   in Loop: Header=BB354_38 Depth=1
	s_wait_alu 0xfffe
	s_or_b32 exec_lo, exec_lo, s12
	v_add_nc_u32_e32 v18, 4, v18
	v_add_co_u32 v9, s0, v9, 16
	s_wait_alu 0xf1ff
	v_add_co_ci_u32_e64 v10, null, 0, v10, s0
	s_delay_alu instid0(VALU_DEP_3)
	v_cmp_le_i32_e32 vcc_lo, s35, v18
	v_add_nc_u32_e32 v17, 0x80, v17
	v_add_nc_u32_e32 v38, 0x200, v38
	s_or_b32 s5, vcc_lo, s5
	s_wait_alu 0xfffe
	s_and_not1_b32 exec_lo, exec_lo, s5
	s_cbranch_execz .LBB354_69
.LBB354_38:                             ; =>This Inner Loop Header: Depth=1
	v_sub_nc_u32_e32 v0, 0, v17
	s_delay_alu instid0(VALU_DEP_1) | instskip(NEXT) | instid1(VALU_DEP_1)
	v_max_i32_e32 v0, v17, v0
	v_mul_hi_u32 v1, v0, s22
	s_delay_alu instid0(VALU_DEP_1) | instskip(NEXT) | instid1(VALU_DEP_1)
	v_mul_lo_u32 v2, v1, s16
	v_sub_nc_u32_e32 v0, v0, v2
	v_add_nc_u32_e32 v2, 1, v1
	s_delay_alu instid0(VALU_DEP_2) | instskip(SKIP_2) | instid1(VALU_DEP_2)
	v_subrev_nc_u32_e32 v3, s16, v0
	v_cmp_le_u32_e32 vcc_lo, s16, v0
	s_wait_alu 0xfffd
	v_dual_cndmask_b32 v1, v1, v2 :: v_dual_cndmask_b32 v0, v0, v3
	v_ashrrev_i32_e32 v2, 31, v17
	s_delay_alu instid0(VALU_DEP_2) | instskip(NEXT) | instid1(VALU_DEP_3)
	v_add_nc_u32_e32 v3, 1, v1
	v_cmp_le_u32_e32 vcc_lo, s16, v0
	s_delay_alu instid0(VALU_DEP_3) | instskip(SKIP_1) | instid1(VALU_DEP_3)
	v_xor_b32_e32 v2, s23, v2
	s_wait_alu 0xfffd
	v_cndmask_b32_e32 v0, v1, v3, vcc_lo
	s_delay_alu instid0(VALU_DEP_1) | instskip(NEXT) | instid1(VALU_DEP_1)
	v_xor_b32_e32 v0, v0, v2
	v_sub_nc_u32_e32 v0, v0, v2
	s_delay_alu instid0(VALU_DEP_1) | instskip(SKIP_1) | instid1(VALU_DEP_2)
	v_add_nc_u32_e32 v1, s21, v0
	v_cmp_lt_i32_e64 s0, s3, v0
	v_sub_nc_u32_e32 v2, 0, v1
	s_delay_alu instid0(VALU_DEP_1) | instskip(SKIP_1) | instid1(VALU_DEP_1)
	v_max_i32_e32 v2, v1, v2
	s_wait_alu 0xfffe
	v_mul_hi_u32 v3, v2, s6
	s_delay_alu instid0(VALU_DEP_1) | instskip(NEXT) | instid1(VALU_DEP_1)
	v_mul_lo_u32 v3, v3, s2
	v_sub_nc_u32_e32 v2, v2, v3
	s_delay_alu instid0(VALU_DEP_1) | instskip(SKIP_2) | instid1(VALU_DEP_2)
	v_subrev_nc_u32_e32 v3, s2, v2
	v_cmp_le_u32_e32 vcc_lo, s2, v2
	s_wait_alu 0xfffd
	v_cndmask_b32_e32 v2, v2, v3, vcc_lo
	v_ashrrev_i32_e32 v1, 31, v1
	s_delay_alu instid0(VALU_DEP_2) | instskip(SKIP_2) | instid1(VALU_DEP_2)
	v_subrev_nc_u32_e32 v3, s2, v2
	v_cmp_le_u32_e32 vcc_lo, s2, v2
	s_wait_alu 0xfffd
	v_cndmask_b32_e32 v2, v2, v3, vcc_lo
	s_delay_alu instid0(VALU_DEP_1) | instskip(NEXT) | instid1(VALU_DEP_1)
	v_xor_b32_e32 v2, v2, v1
	v_sub_nc_u32_e32 v1, v2, v1
	s_delay_alu instid0(VALU_DEP_1)
	v_cmp_eq_u32_e32 vcc_lo, 0, v1
	s_or_b32 s0, vcc_lo, s0
	s_wait_alu 0xfffe
	s_and_saveexec_b32 s12, s0
	s_cbranch_execz .LBB354_37
; %bb.39:                               ;   in Loop: Header=BB354_38 Depth=1
	global_load_b32 v0, v[9:10], off
	v_cmp_eq_u32_e32 vcc_lo, s37, v18
	s_wait_loadcnt 0x0
	v_mad_co_i64_i32 v[13:14], null, v0, s4, v[11:12]
	global_load_b64 v[15:16], v[13:14], off
	ds_load_2addr_b64 v[5:8], v38 offset1:1
	ds_load_2addr_b64 v[1:4], v38 offset0:2 offset1:3
	s_load_b32 s13, s[10:11], 0x0
	s_wait_loadcnt 0x0
	v_and_b32_e32 v41, 0xff, v16
	v_bfe_u32 v39, v15, 8, 8
	v_bfe_u32 v40, v15, 16, 8
	v_bfe_u32 v42, v16, 8, 8
	v_bfe_u32 v43, v16, 16, 8
	v_cvt_f32_fp8_e32 v41, v41
	v_and_b32_e32 v0, 0xff, v15
	v_cvt_f32_fp8_e32 v39, v39
	v_lshrrev_b32_e32 v15, 24, v15
	v_cvt_f32_fp8_e32 v40, v40
	s_wait_kmcnt 0x0
	v_mul_f32_e32 v41, s13, v41
	v_cvt_f32_fp8_e32 v0, v0
	v_add_nc_u32_e32 v81, v37, v17
	v_cvt_f32_fp8_e32 v15, v15
	v_cvt_f32_fp8_e32 v42, v42
	s_delay_alu instid0(VALU_DEP_4) | instskip(NEXT) | instid1(VALU_DEP_4)
	v_dual_mul_f32 v39, s13, v39 :: v_dual_mul_f32 v0, s13, v0
	v_add_nc_u32_e32 v90, 1, v81
	v_dual_mul_f32 v40, s13, v40 :: v_dual_add_nc_u32 v89, 2, v81
	s_delay_alu instid0(VALU_DEP_3) | instskip(NEXT) | instid1(VALU_DEP_4)
	v_bfe_u32 v46, v39, 16, 1
	v_bfe_u32 v44, v0, 16, 1
	v_or_b32_e32 v45, 0x400000, v0
	v_cmp_u_f32_e64 s0, v0, v0
	v_dual_mul_f32 v15, s13, v15 :: v_dual_add_nc_u32 v88, 3, v81
	s_delay_alu instid0(VALU_DEP_4)
	v_add3_u32 v44, v44, v0, 0x7fff
	v_or_b32_e32 v47, 0x400000, v39
	v_bfe_u32 v48, v40, 16, 1
	v_add3_u32 v46, v46, v39, 0x7fff
	v_or_b32_e32 v49, 0x400000, v40
	s_wait_alu 0xf1ff
	v_cndmask_b32_e64 v0, v44, v45, s0
	v_cmp_u_f32_e64 s0, v39, v39
	v_bfe_u32 v50, v15, 16, 1
	v_add3_u32 v48, v48, v40, 0x7fff
	v_dual_mul_f32 v42, s13, v42 :: v_dual_add_nc_u32 v87, 4, v81
	s_wait_alu 0xf1ff
	v_cndmask_b32_e64 v39, v46, v47, s0
	v_cmp_u_f32_e64 s0, v40, v40
	v_lshrrev_b32_e32 v16, 24, v16
	v_cvt_f32_fp8_e32 v43, v43
	v_or_b32_e32 v51, 0x400000, v15
	v_bfe_u32 v52, v41, 16, 1
	v_add3_u32 v50, v50, v15, 0x7fff
	s_wait_alu 0xf1ff
	v_cndmask_b32_e64 v40, v48, v49, s0
	v_cmp_u_f32_e64 s0, v15, v15
	v_dual_mul_f32 v43, s13, v43 :: v_dual_add_nc_u32 v86, 5, v81
	v_cvt_f32_fp8_e32 v16, v16
	v_or_b32_e32 v53, 0x400000, v41
	v_bfe_u32 v54, v42, 16, 1
	v_add3_u32 v52, v52, v41, 0x7fff
	s_wait_alu 0xf1ff
	v_cndmask_b32_e64 v15, v50, v51, s0
	v_cmp_u_f32_e64 s0, v41, v41
	v_dual_mul_f32 v16, s13, v16 :: v_dual_add_nc_u32 v85, 6, v81
	v_or_b32_e32 v55, 0x400000, v42
	v_bfe_u32 v56, v43, 16, 1
	v_add3_u32 v54, v54, v42, 0x7fff
	s_wait_alu 0xf1ff
	v_cndmask_b32_e64 v41, v52, v53, s0
	v_cmp_u_f32_e64 s0, v42, v42
	v_or_b32_e32 v57, 0x400000, v43
	v_bfe_u32 v58, v16, 16, 1
	v_add3_u32 v56, v56, v43, 0x7fff
	v_or_b32_e32 v59, 0x400000, v16
	s_wait_alu 0xf1ff
	v_cndmask_b32_e64 v42, v54, v55, s0
	v_cmp_u_f32_e64 s0, v43, v43
	v_add3_u32 v58, v58, v16, 0x7fff
	v_lshrrev_b32_e32 v0, 16, v0
	v_lshrrev_b32_e32 v43, 16, v40
	v_lshrrev_b32_e32 v15, 16, v15
	s_wait_alu 0xf1ff
	v_cndmask_b32_e64 v44, v56, v57, s0
	v_cmp_u_f32_e64 s0, v16, v16
	v_lshrrev_b32_e32 v16, 16, v39
	v_lshrrev_b32_e32 v41, 16, v41
	;; [unrolled: 1-line block ×4, first 2 shown]
	s_wait_alu 0xf1ff
	v_cndmask_b32_e64 v45, v58, v59, s0
	v_add_nc_u32_e32 v91, 7, v81
	s_delay_alu instid0(VALU_DEP_2)
	v_lshrrev_b32_e32 v40, 16, v45
	s_and_saveexec_b32 s14, vcc_lo
	s_cbranch_execz .LBB354_41
; %bb.40:                               ;   in Loop: Header=BB354_38 Depth=1
	v_cmp_gt_i32_e64 s0, s34, v81
	s_wait_alu 0xf1ff
	s_delay_alu instid0(VALU_DEP_1) | instskip(SKIP_2) | instid1(VALU_DEP_1)
	v_cndmask_b32_e64 v0, 0, v0, s0
	v_cmp_gt_i32_e64 s0, s34, v90
	s_wait_alu 0xf1ff
	v_cndmask_b32_e64 v16, 0, v16, s0
	v_cmp_gt_i32_e64 s0, s34, v89
	s_wait_alu 0xf1ff
	s_delay_alu instid0(VALU_DEP_1) | instskip(SKIP_2) | instid1(VALU_DEP_1)
	v_cndmask_b32_e64 v43, 0, v43, s0
	v_cmp_gt_i32_e64 s0, s34, v88
	s_wait_alu 0xf1ff
	v_cndmask_b32_e64 v15, 0, v15, s0
	;; [unrolled: 7-line block ×4, first 2 shown]
.LBB354_41:                             ;   in Loop: Header=BB354_38 Depth=1
	s_wait_alu 0xfffe
	s_or_b32 exec_lo, exec_lo, s14
	global_load_b64 v[44:45], v[13:14], off offset:256
	s_wait_loadcnt 0x0
	v_bfe_u32 v47, v44, 8, 8
	v_bfe_u32 v48, v44, 16, 8
	;; [unrolled: 1-line block ×4, first 2 shown]
	s_delay_alu instid0(VALU_DEP_4)
	v_cvt_f32_fp8_e32 v47, v47
	v_and_b32_e32 v46, 0xff, v44
	v_lshrrev_b32_e32 v44, 24, v44
	v_cvt_f32_fp8_e32 v48, v48
	v_cvt_f32_fp8_e32 v51, v51
	v_mul_f32_e32 v47, s13, v47
	v_cvt_f32_fp8_e32 v46, v46
	v_and_b32_e32 v49, 0xff, v45
	v_cvt_f32_fp8_e32 v44, v44
	v_lshrrev_b32_e32 v45, 24, v45
	v_bfe_u32 v54, v47, 16, 1
	v_mul_f32_e32 v46, s13, v46
	v_cvt_f32_fp8_e32 v49, v49
	v_mul_f32_e32 v48, s13, v48
	v_dual_mul_f32 v44, s13, v44 :: v_dual_mul_f32 v51, s13, v51
	s_delay_alu instid0(VALU_DEP_4)
	v_bfe_u32 v52, v46, 16, 1
	v_or_b32_e32 v53, 0x400000, v46
	v_cmp_u_f32_e64 s0, v46, v46
	v_mul_f32_e32 v49, s13, v49
	v_or_b32_e32 v55, 0x400000, v47
	v_add3_u32 v52, v52, v46, 0x7fff
	v_bfe_u32 v56, v48, 16, 1
	v_add3_u32 v54, v54, v47, 0x7fff
	v_cvt_f32_fp8_e32 v50, v50
	v_or_b32_e32 v57, 0x400000, v48
	s_wait_alu 0xf1ff
	v_cndmask_b32_e64 v46, v52, v53, s0
	v_cmp_u_f32_e64 s0, v47, v47
	v_bfe_u32 v58, v44, 16, 1
	v_add3_u32 v56, v56, v48, 0x7fff
	v_cvt_f32_fp8_e32 v45, v45
	v_mul_f32_e32 v50, s13, v50
	s_wait_alu 0xf1ff
	v_cndmask_b32_e64 v47, v54, v55, s0
	v_cmp_u_f32_e64 s0, v48, v48
	v_or_b32_e32 v59, 0x400000, v44
	v_bfe_u32 v60, v49, 16, 1
	v_add3_u32 v58, v58, v44, 0x7fff
	v_mul_f32_e32 v45, s13, v45
	s_wait_alu 0xf1ff
	v_cndmask_b32_e64 v48, v56, v57, s0
	v_cmp_u_f32_e64 s0, v44, v44
	v_or_b32_e32 v61, 0x400000, v49
	v_bfe_u32 v62, v50, 16, 1
	v_add3_u32 v60, v60, v49, 0x7fff
	v_or_b32_e32 v63, 0x400000, v50
	s_wait_alu 0xf1ff
	v_cndmask_b32_e64 v44, v58, v59, s0
	v_cmp_u_f32_e64 s0, v49, v49
	v_bfe_u32 v64, v51, 16, 1
	v_add3_u32 v62, v62, v50, 0x7fff
	v_or_b32_e32 v65, 0x400000, v51
	v_bfe_u32 v66, v45, 16, 1
	s_wait_alu 0xf1ff
	v_cndmask_b32_e64 v52, v60, v61, s0
	v_cmp_u_f32_e64 s0, v50, v50
	v_add3_u32 v64, v64, v51, 0x7fff
	v_or_b32_e32 v67, 0x400000, v45
	v_add3_u32 v66, v66, v45, 0x7fff
	v_lshrrev_b32_e32 v50, 16, v46
	s_wait_alu 0xf1ff
	v_cndmask_b32_e64 v53, v62, v63, s0
	v_cmp_u_f32_e64 s0, v51, v51
	v_lshrrev_b32_e32 v51, 16, v47
	v_lshrrev_b32_e32 v48, 16, v48
	;; [unrolled: 1-line block ×4, first 2 shown]
	s_wait_alu 0xf1ff
	v_cndmask_b32_e64 v54, v64, v65, s0
	v_cmp_u_f32_e64 s0, v45, v45
	v_lshrrev_b32_e32 v47, 16, v53
	s_delay_alu instid0(VALU_DEP_3) | instskip(SKIP_1) | instid1(VALU_DEP_3)
	v_lshrrev_b32_e32 v44, 16, v54
	s_wait_alu 0xf1ff
	v_cndmask_b32_e64 v45, v66, v67, s0
	s_delay_alu instid0(VALU_DEP_1)
	v_lshrrev_b32_e32 v45, 16, v45
	s_and_saveexec_b32 s14, vcc_lo
	s_cbranch_execz .LBB354_43
; %bb.42:                               ;   in Loop: Header=BB354_38 Depth=1
	v_cmp_gt_i32_e64 s0, s34, v81
	s_wait_alu 0xf1ff
	s_delay_alu instid0(VALU_DEP_1) | instskip(SKIP_2) | instid1(VALU_DEP_1)
	v_cndmask_b32_e64 v50, 0, v50, s0
	v_cmp_gt_i32_e64 s0, s34, v90
	s_wait_alu 0xf1ff
	v_cndmask_b32_e64 v51, 0, v51, s0
	v_cmp_gt_i32_e64 s0, s34, v89
	s_wait_alu 0xf1ff
	s_delay_alu instid0(VALU_DEP_1) | instskip(SKIP_2) | instid1(VALU_DEP_1)
	v_cndmask_b32_e64 v48, 0, v48, s0
	v_cmp_gt_i32_e64 s0, s34, v88
	s_wait_alu 0xf1ff
	v_cndmask_b32_e64 v49, 0, v49, s0
	v_cmp_gt_i32_e64 s0, s34, v87
	s_wait_alu 0xf1ff
	s_delay_alu instid0(VALU_DEP_1) | instskip(SKIP_2) | instid1(VALU_DEP_1)
	v_cndmask_b32_e64 v46, 0, v46, s0
	v_cmp_gt_i32_e64 s0, s34, v86
	s_wait_alu 0xf1ff
	v_cndmask_b32_e64 v47, 0, v47, s0
	v_cmp_gt_i32_e64 s0, s34, v85
	s_wait_alu 0xf1ff
	s_delay_alu instid0(VALU_DEP_1) | instskip(SKIP_2) | instid1(VALU_DEP_1)
	v_cndmask_b32_e64 v44, 0, v44, s0
	v_cmp_gt_i32_e64 s0, s34, v91
	s_wait_alu 0xf1ff
	v_cndmask_b32_e64 v45, 0, v45, s0
.LBB354_43:                             ;   in Loop: Header=BB354_38 Depth=1
	s_wait_alu 0xfffe
	s_or_b32 exec_lo, exec_lo, s14
	global_load_b64 v[52:53], v[13:14], off offset:512
	s_wait_loadcnt 0x0
	v_bfe_u32 v55, v52, 8, 8
	v_bfe_u32 v56, v52, 16, 8
	;; [unrolled: 1-line block ×4, first 2 shown]
	s_delay_alu instid0(VALU_DEP_4)
	v_cvt_f32_fp8_e32 v55, v55
	v_and_b32_e32 v54, 0xff, v52
	v_lshrrev_b32_e32 v52, 24, v52
	v_cvt_f32_fp8_e32 v56, v56
	v_cvt_f32_fp8_e32 v59, v59
	v_mul_f32_e32 v55, s13, v55
	v_cvt_f32_fp8_e32 v54, v54
	v_and_b32_e32 v57, 0xff, v53
	v_cvt_f32_fp8_e32 v52, v52
	v_lshrrev_b32_e32 v53, 24, v53
	v_bfe_u32 v62, v55, 16, 1
	v_mul_f32_e32 v54, s13, v54
	v_cvt_f32_fp8_e32 v57, v57
	v_mul_f32_e32 v56, s13, v56
	v_dual_mul_f32 v52, s13, v52 :: v_dual_mul_f32 v59, s13, v59
	s_delay_alu instid0(VALU_DEP_4)
	v_bfe_u32 v60, v54, 16, 1
	v_or_b32_e32 v61, 0x400000, v54
	v_cmp_u_f32_e64 s0, v54, v54
	v_mul_f32_e32 v57, s13, v57
	v_or_b32_e32 v63, 0x400000, v55
	v_add3_u32 v60, v60, v54, 0x7fff
	v_bfe_u32 v64, v56, 16, 1
	v_add3_u32 v62, v62, v55, 0x7fff
	v_cvt_f32_fp8_e32 v58, v58
	v_or_b32_e32 v65, 0x400000, v56
	s_wait_alu 0xf1ff
	v_cndmask_b32_e64 v54, v60, v61, s0
	v_cmp_u_f32_e64 s0, v55, v55
	v_bfe_u32 v66, v52, 16, 1
	v_add3_u32 v64, v64, v56, 0x7fff
	v_cvt_f32_fp8_e32 v53, v53
	v_mul_f32_e32 v58, s13, v58
	s_wait_alu 0xf1ff
	v_cndmask_b32_e64 v55, v62, v63, s0
	v_cmp_u_f32_e64 s0, v56, v56
	v_or_b32_e32 v67, 0x400000, v52
	v_bfe_u32 v68, v57, 16, 1
	v_add3_u32 v66, v66, v52, 0x7fff
	v_mul_f32_e32 v53, s13, v53
	s_wait_alu 0xf1ff
	v_cndmask_b32_e64 v56, v64, v65, s0
	v_cmp_u_f32_e64 s0, v52, v52
	v_or_b32_e32 v69, 0x400000, v57
	v_bfe_u32 v70, v58, 16, 1
	v_add3_u32 v68, v68, v57, 0x7fff
	v_or_b32_e32 v71, 0x400000, v58
	s_wait_alu 0xf1ff
	v_cndmask_b32_e64 v52, v66, v67, s0
	v_cmp_u_f32_e64 s0, v57, v57
	v_bfe_u32 v72, v59, 16, 1
	v_add3_u32 v70, v70, v58, 0x7fff
	v_or_b32_e32 v73, 0x400000, v59
	v_bfe_u32 v74, v53, 16, 1
	s_wait_alu 0xf1ff
	v_cndmask_b32_e64 v60, v68, v69, s0
	v_cmp_u_f32_e64 s0, v58, v58
	v_add3_u32 v72, v72, v59, 0x7fff
	v_or_b32_e32 v75, 0x400000, v53
	v_add3_u32 v74, v74, v53, 0x7fff
	v_lshrrev_b32_e32 v58, 16, v54
	s_wait_alu 0xf1ff
	v_cndmask_b32_e64 v61, v70, v71, s0
	v_cmp_u_f32_e64 s0, v59, v59
	v_lshrrev_b32_e32 v59, 16, v55
	v_lshrrev_b32_e32 v56, 16, v56
	;; [unrolled: 1-line block ×4, first 2 shown]
	s_wait_alu 0xf1ff
	v_cndmask_b32_e64 v62, v72, v73, s0
	v_cmp_u_f32_e64 s0, v53, v53
	v_lshrrev_b32_e32 v55, 16, v61
	s_delay_alu instid0(VALU_DEP_3) | instskip(SKIP_1) | instid1(VALU_DEP_3)
	v_lshrrev_b32_e32 v52, 16, v62
	s_wait_alu 0xf1ff
	v_cndmask_b32_e64 v53, v74, v75, s0
	s_delay_alu instid0(VALU_DEP_1)
	v_lshrrev_b32_e32 v53, 16, v53
	s_and_saveexec_b32 s14, vcc_lo
	s_cbranch_execz .LBB354_45
; %bb.44:                               ;   in Loop: Header=BB354_38 Depth=1
	v_cmp_gt_i32_e64 s0, s34, v81
	s_wait_alu 0xf1ff
	s_delay_alu instid0(VALU_DEP_1) | instskip(SKIP_2) | instid1(VALU_DEP_1)
	v_cndmask_b32_e64 v58, 0, v58, s0
	v_cmp_gt_i32_e64 s0, s34, v90
	s_wait_alu 0xf1ff
	v_cndmask_b32_e64 v59, 0, v59, s0
	v_cmp_gt_i32_e64 s0, s34, v89
	s_wait_alu 0xf1ff
	s_delay_alu instid0(VALU_DEP_1) | instskip(SKIP_2) | instid1(VALU_DEP_1)
	v_cndmask_b32_e64 v56, 0, v56, s0
	v_cmp_gt_i32_e64 s0, s34, v88
	s_wait_alu 0xf1ff
	v_cndmask_b32_e64 v57, 0, v57, s0
	;; [unrolled: 7-line block ×4, first 2 shown]
.LBB354_45:                             ;   in Loop: Header=BB354_38 Depth=1
	s_wait_alu 0xfffe
	s_or_b32 exec_lo, exec_lo, s14
	global_load_b64 v[60:61], v[13:14], off offset:768
	s_wait_loadcnt 0x0
	v_bfe_u32 v63, v60, 8, 8
	v_bfe_u32 v64, v60, 16, 8
	;; [unrolled: 1-line block ×4, first 2 shown]
	s_delay_alu instid0(VALU_DEP_4)
	v_cvt_f32_fp8_e32 v63, v63
	v_and_b32_e32 v62, 0xff, v60
	v_lshrrev_b32_e32 v60, 24, v60
	v_cvt_f32_fp8_e32 v64, v64
	v_cvt_f32_fp8_e32 v67, v67
	v_mul_f32_e32 v63, s13, v63
	v_cvt_f32_fp8_e32 v62, v62
	v_and_b32_e32 v65, 0xff, v61
	v_cvt_f32_fp8_e32 v60, v60
	v_lshrrev_b32_e32 v61, 24, v61
	v_bfe_u32 v70, v63, 16, 1
	v_mul_f32_e32 v62, s13, v62
	v_cvt_f32_fp8_e32 v65, v65
	v_mul_f32_e32 v64, s13, v64
	v_dual_mul_f32 v60, s13, v60 :: v_dual_mul_f32 v67, s13, v67
	s_delay_alu instid0(VALU_DEP_4)
	v_bfe_u32 v68, v62, 16, 1
	v_or_b32_e32 v69, 0x400000, v62
	v_cmp_u_f32_e64 s0, v62, v62
	v_mul_f32_e32 v65, s13, v65
	v_or_b32_e32 v71, 0x400000, v63
	v_add3_u32 v68, v68, v62, 0x7fff
	v_bfe_u32 v72, v64, 16, 1
	v_add3_u32 v70, v70, v63, 0x7fff
	v_cvt_f32_fp8_e32 v66, v66
	v_or_b32_e32 v73, 0x400000, v64
	s_wait_alu 0xf1ff
	v_cndmask_b32_e64 v62, v68, v69, s0
	v_cmp_u_f32_e64 s0, v63, v63
	v_bfe_u32 v74, v60, 16, 1
	v_add3_u32 v72, v72, v64, 0x7fff
	v_cvt_f32_fp8_e32 v61, v61
	v_mul_f32_e32 v66, s13, v66
	s_wait_alu 0xf1ff
	v_cndmask_b32_e64 v63, v70, v71, s0
	v_cmp_u_f32_e64 s0, v64, v64
	v_or_b32_e32 v75, 0x400000, v60
	v_bfe_u32 v76, v65, 16, 1
	v_add3_u32 v74, v74, v60, 0x7fff
	v_mul_f32_e32 v61, s13, v61
	s_wait_alu 0xf1ff
	v_cndmask_b32_e64 v64, v72, v73, s0
	v_cmp_u_f32_e64 s0, v60, v60
	v_or_b32_e32 v77, 0x400000, v65
	v_bfe_u32 v78, v66, 16, 1
	v_add3_u32 v76, v76, v65, 0x7fff
	v_or_b32_e32 v79, 0x400000, v66
	s_wait_alu 0xf1ff
	v_cndmask_b32_e64 v60, v74, v75, s0
	v_cmp_u_f32_e64 s0, v65, v65
	v_bfe_u32 v80, v67, 16, 1
	v_add3_u32 v78, v78, v66, 0x7fff
	v_or_b32_e32 v82, 0x400000, v67
	v_bfe_u32 v83, v61, 16, 1
	s_wait_alu 0xf1ff
	v_cndmask_b32_e64 v68, v76, v77, s0
	v_cmp_u_f32_e64 s0, v66, v66
	v_add3_u32 v80, v80, v67, 0x7fff
	v_or_b32_e32 v84, 0x400000, v61
	v_add3_u32 v83, v83, v61, 0x7fff
	v_lshrrev_b32_e32 v66, 16, v62
	s_wait_alu 0xf1ff
	v_cndmask_b32_e64 v69, v78, v79, s0
	v_cmp_u_f32_e64 s0, v67, v67
	v_lshrrev_b32_e32 v67, 16, v63
	v_lshrrev_b32_e32 v64, 16, v64
	;; [unrolled: 1-line block ×4, first 2 shown]
	s_wait_alu 0xf1ff
	v_cndmask_b32_e64 v70, v80, v82, s0
	v_cmp_u_f32_e64 s0, v61, v61
	v_lshrrev_b32_e32 v63, 16, v69
	s_delay_alu instid0(VALU_DEP_3) | instskip(SKIP_1) | instid1(VALU_DEP_3)
	v_lshrrev_b32_e32 v60, 16, v70
	s_wait_alu 0xf1ff
	v_cndmask_b32_e64 v61, v83, v84, s0
	s_delay_alu instid0(VALU_DEP_1)
	v_lshrrev_b32_e32 v61, 16, v61
	s_and_saveexec_b32 s14, vcc_lo
	s_cbranch_execz .LBB354_47
; %bb.46:                               ;   in Loop: Header=BB354_38 Depth=1
	v_cmp_gt_i32_e64 s0, s34, v81
	s_wait_alu 0xf1ff
	s_delay_alu instid0(VALU_DEP_1) | instskip(SKIP_2) | instid1(VALU_DEP_1)
	v_cndmask_b32_e64 v66, 0, v66, s0
	v_cmp_gt_i32_e64 s0, s34, v90
	s_wait_alu 0xf1ff
	v_cndmask_b32_e64 v67, 0, v67, s0
	v_cmp_gt_i32_e64 s0, s34, v89
	s_wait_alu 0xf1ff
	s_delay_alu instid0(VALU_DEP_1) | instskip(SKIP_2) | instid1(VALU_DEP_1)
	v_cndmask_b32_e64 v64, 0, v64, s0
	v_cmp_gt_i32_e64 s0, s34, v88
	s_wait_alu 0xf1ff
	v_cndmask_b32_e64 v65, 0, v65, s0
	v_cmp_gt_i32_e64 s0, s34, v87
	s_wait_alu 0xf1ff
	s_delay_alu instid0(VALU_DEP_1) | instskip(SKIP_2) | instid1(VALU_DEP_1)
	v_cndmask_b32_e64 v62, 0, v62, s0
	v_cmp_gt_i32_e64 s0, s34, v86
	s_wait_alu 0xf1ff
	v_cndmask_b32_e64 v63, 0, v63, s0
	v_cmp_gt_i32_e64 s0, s34, v85
	s_wait_alu 0xf1ff
	s_delay_alu instid0(VALU_DEP_1) | instskip(SKIP_2) | instid1(VALU_DEP_1)
	v_cndmask_b32_e64 v60, 0, v60, s0
	v_cmp_gt_i32_e64 s0, s34, v91
	s_wait_alu 0xf1ff
	v_cndmask_b32_e64 v61, 0, v61, s0
.LBB354_47:                             ;   in Loop: Header=BB354_38 Depth=1
	s_wait_alu 0xfffe
	s_or_b32 exec_lo, exec_lo, s14
	global_load_b64 v[68:69], v[13:14], off offset:1024
	s_wait_loadcnt 0x0
	v_bfe_u32 v71, v68, 8, 8
	v_bfe_u32 v72, v68, 16, 8
	;; [unrolled: 1-line block ×4, first 2 shown]
	s_delay_alu instid0(VALU_DEP_4)
	v_cvt_f32_fp8_e32 v71, v71
	v_and_b32_e32 v70, 0xff, v68
	v_lshrrev_b32_e32 v68, 24, v68
	v_cvt_f32_fp8_e32 v72, v72
	v_cvt_f32_fp8_e32 v75, v75
	v_mul_f32_e32 v71, s13, v71
	v_cvt_f32_fp8_e32 v70, v70
	v_and_b32_e32 v73, 0xff, v69
	v_cvt_f32_fp8_e32 v68, v68
	v_lshrrev_b32_e32 v69, 24, v69
	v_bfe_u32 v78, v71, 16, 1
	v_mul_f32_e32 v70, s13, v70
	v_cvt_f32_fp8_e32 v73, v73
	v_mul_f32_e32 v72, s13, v72
	v_dual_mul_f32 v68, s13, v68 :: v_dual_mul_f32 v75, s13, v75
	s_delay_alu instid0(VALU_DEP_4)
	v_bfe_u32 v76, v70, 16, 1
	v_or_b32_e32 v77, 0x400000, v70
	v_cmp_u_f32_e64 s0, v70, v70
	v_mul_f32_e32 v73, s13, v73
	v_or_b32_e32 v79, 0x400000, v71
	v_add3_u32 v76, v76, v70, 0x7fff
	v_bfe_u32 v80, v72, 16, 1
	v_add3_u32 v78, v78, v71, 0x7fff
	v_cvt_f32_fp8_e32 v74, v74
	v_or_b32_e32 v82, 0x400000, v72
	s_wait_alu 0xf1ff
	v_cndmask_b32_e64 v70, v76, v77, s0
	v_cmp_u_f32_e64 s0, v71, v71
	v_bfe_u32 v83, v68, 16, 1
	v_add3_u32 v80, v80, v72, 0x7fff
	v_cvt_f32_fp8_e32 v69, v69
	v_mul_f32_e32 v74, s13, v74
	s_wait_alu 0xf1ff
	v_cndmask_b32_e64 v71, v78, v79, s0
	v_cmp_u_f32_e64 s0, v72, v72
	v_or_b32_e32 v84, 0x400000, v68
	v_bfe_u32 v92, v73, 16, 1
	v_add3_u32 v83, v83, v68, 0x7fff
	v_mul_f32_e32 v69, s13, v69
	s_wait_alu 0xf1ff
	v_cndmask_b32_e64 v72, v80, v82, s0
	v_cmp_u_f32_e64 s0, v68, v68
	v_or_b32_e32 v93, 0x400000, v73
	v_bfe_u32 v94, v74, 16, 1
	v_add3_u32 v92, v92, v73, 0x7fff
	v_or_b32_e32 v95, 0x400000, v74
	s_wait_alu 0xf1ff
	v_cndmask_b32_e64 v68, v83, v84, s0
	v_cmp_u_f32_e64 s0, v73, v73
	v_bfe_u32 v96, v75, 16, 1
	v_add3_u32 v94, v94, v74, 0x7fff
	v_or_b32_e32 v97, 0x400000, v75
	v_bfe_u32 v98, v69, 16, 1
	s_wait_alu 0xf1ff
	v_cndmask_b32_e64 v76, v92, v93, s0
	v_cmp_u_f32_e64 s0, v74, v74
	v_add3_u32 v96, v96, v75, 0x7fff
	v_or_b32_e32 v99, 0x400000, v69
	v_add3_u32 v98, v98, v69, 0x7fff
	v_lshrrev_b32_e32 v74, 16, v70
	s_wait_alu 0xf1ff
	v_cndmask_b32_e64 v77, v94, v95, s0
	v_cmp_u_f32_e64 s0, v75, v75
	v_lshrrev_b32_e32 v75, 16, v71
	v_lshrrev_b32_e32 v72, 16, v72
	;; [unrolled: 1-line block ×4, first 2 shown]
	s_wait_alu 0xf1ff
	v_cndmask_b32_e64 v78, v96, v97, s0
	v_cmp_u_f32_e64 s0, v69, v69
	v_lshrrev_b32_e32 v71, 16, v77
	s_delay_alu instid0(VALU_DEP_3) | instskip(SKIP_1) | instid1(VALU_DEP_3)
	v_lshrrev_b32_e32 v68, 16, v78
	s_wait_alu 0xf1ff
	v_cndmask_b32_e64 v69, v98, v99, s0
	s_delay_alu instid0(VALU_DEP_1)
	v_lshrrev_b32_e32 v69, 16, v69
	s_and_saveexec_b32 s14, vcc_lo
	s_cbranch_execz .LBB354_49
; %bb.48:                               ;   in Loop: Header=BB354_38 Depth=1
	v_cmp_gt_i32_e64 s0, s34, v81
	s_wait_alu 0xf1ff
	s_delay_alu instid0(VALU_DEP_1) | instskip(SKIP_2) | instid1(VALU_DEP_1)
	v_cndmask_b32_e64 v74, 0, v74, s0
	v_cmp_gt_i32_e64 s0, s34, v90
	s_wait_alu 0xf1ff
	v_cndmask_b32_e64 v75, 0, v75, s0
	v_cmp_gt_i32_e64 s0, s34, v89
	s_wait_alu 0xf1ff
	s_delay_alu instid0(VALU_DEP_1) | instskip(SKIP_2) | instid1(VALU_DEP_1)
	v_cndmask_b32_e64 v72, 0, v72, s0
	v_cmp_gt_i32_e64 s0, s34, v88
	s_wait_alu 0xf1ff
	v_cndmask_b32_e64 v73, 0, v73, s0
	;; [unrolled: 7-line block ×4, first 2 shown]
.LBB354_49:                             ;   in Loop: Header=BB354_38 Depth=1
	s_wait_alu 0xfffe
	s_or_b32 exec_lo, exec_lo, s14
	global_load_b64 v[76:77], v[13:14], off offset:1280
	s_wait_loadcnt 0x0
	v_bfe_u32 v79, v76, 8, 8
	v_bfe_u32 v83, v77, 8, 8
	;; [unrolled: 1-line block ×4, first 2 shown]
	s_delay_alu instid0(VALU_DEP_4)
	v_cvt_f32_fp8_e32 v79, v79
	v_and_b32_e32 v78, 0xff, v76
	v_cvt_f32_fp8_e32 v83, v83
	v_and_b32_e32 v82, 0xff, v77
	v_lshrrev_b32_e32 v77, 24, v77
	v_mul_f32_e32 v79, s13, v79
	v_cvt_f32_fp8_e32 v78, v78
	v_lshrrev_b32_e32 v76, 24, v76
	v_cvt_f32_fp8_e32 v80, v80
	v_cvt_f32_fp8_e32 v77, v77
	v_bfe_u32 v94, v79, 16, 1
	v_mul_f32_e32 v78, s13, v78
	v_cvt_f32_fp8_e32 v76, v76
	s_delay_alu instid0(VALU_DEP_4) | instskip(SKIP_1) | instid1(VALU_DEP_4)
	v_dual_mul_f32 v80, s13, v80 :: v_dual_mul_f32 v77, s13, v77
	v_mul_f32_e32 v83, s13, v83
	v_bfe_u32 v92, v78, 16, 1
	v_or_b32_e32 v93, 0x400000, v78
	v_cmp_u_f32_e64 s0, v78, v78
	v_cvt_f32_fp8_e32 v82, v82
	v_mul_f32_e32 v76, s13, v76
	v_add3_u32 v92, v92, v78, 0x7fff
	v_or_b32_e32 v95, 0x400000, v79
	v_bfe_u32 v96, v80, 16, 1
	v_add3_u32 v94, v94, v79, 0x7fff
	v_mul_f32_e32 v82, s13, v82
	s_wait_alu 0xf1ff
	v_cndmask_b32_e64 v78, v92, v93, s0
	v_cmp_u_f32_e64 s0, v79, v79
	v_or_b32_e32 v97, 0x400000, v80
	v_bfe_u32 v98, v76, 16, 1
	v_add3_u32 v96, v96, v80, 0x7fff
	v_cvt_f32_fp8_e32 v84, v84
	s_wait_alu 0xf1ff
	v_cndmask_b32_e64 v79, v94, v95, s0
	v_cmp_u_f32_e64 s0, v80, v80
	v_or_b32_e32 v99, 0x400000, v76
	v_bfe_u32 v100, v82, 16, 1
	v_add3_u32 v98, v98, v76, 0x7fff
	v_mul_f32_e32 v84, s13, v84
	s_wait_alu 0xf1ff
	v_cndmask_b32_e64 v80, v96, v97, s0
	v_cmp_u_f32_e64 s0, v76, v76
	v_or_b32_e32 v101, 0x400000, v82
	v_bfe_u32 v102, v83, 16, 1
	v_add3_u32 v100, v100, v82, 0x7fff
	v_or_b32_e32 v103, 0x400000, v83
	s_wait_alu 0xf1ff
	v_cndmask_b32_e64 v76, v98, v99, s0
	v_cmp_u_f32_e64 s0, v82, v82
	v_bfe_u32 v104, v84, 16, 1
	v_add3_u32 v102, v102, v83, 0x7fff
	v_or_b32_e32 v105, 0x400000, v84
	v_bfe_u32 v106, v77, 16, 1
	s_wait_alu 0xf1ff
	v_cndmask_b32_e64 v92, v100, v101, s0
	v_cmp_u_f32_e64 s0, v83, v83
	v_add3_u32 v104, v104, v84, 0x7fff
	v_or_b32_e32 v107, 0x400000, v77
	v_add3_u32 v106, v106, v77, 0x7fff
	v_lshrrev_b32_e32 v83, 16, v78
	s_wait_alu 0xf1ff
	v_cndmask_b32_e64 v93, v102, v103, s0
	v_cmp_u_f32_e64 s0, v84, v84
	v_lshrrev_b32_e32 v84, 16, v79
	v_lshrrev_b32_e32 v80, 16, v80
	;; [unrolled: 1-line block ×4, first 2 shown]
	s_wait_alu 0xf1ff
	v_cndmask_b32_e64 v94, v104, v105, s0
	v_cmp_u_f32_e64 s0, v77, v77
	v_lshrrev_b32_e32 v79, 16, v93
	s_delay_alu instid0(VALU_DEP_3) | instskip(SKIP_1) | instid1(VALU_DEP_3)
	v_lshrrev_b32_e32 v76, 16, v94
	s_wait_alu 0xf1ff
	v_cndmask_b32_e64 v77, v106, v107, s0
	s_delay_alu instid0(VALU_DEP_1)
	v_lshrrev_b32_e32 v77, 16, v77
	s_and_saveexec_b32 s14, vcc_lo
	s_cbranch_execz .LBB354_51
; %bb.50:                               ;   in Loop: Header=BB354_38 Depth=1
	v_cmp_gt_i32_e64 s0, s34, v81
	s_wait_alu 0xf1ff
	s_delay_alu instid0(VALU_DEP_1) | instskip(SKIP_2) | instid1(VALU_DEP_1)
	v_cndmask_b32_e64 v83, 0, v83, s0
	v_cmp_gt_i32_e64 s0, s34, v90
	s_wait_alu 0xf1ff
	v_cndmask_b32_e64 v84, 0, v84, s0
	v_cmp_gt_i32_e64 s0, s34, v89
	s_wait_alu 0xf1ff
	s_delay_alu instid0(VALU_DEP_1) | instskip(SKIP_2) | instid1(VALU_DEP_1)
	v_cndmask_b32_e64 v80, 0, v80, s0
	v_cmp_gt_i32_e64 s0, s34, v88
	s_wait_alu 0xf1ff
	v_cndmask_b32_e64 v82, 0, v82, s0
	;; [unrolled: 7-line block ×4, first 2 shown]
.LBB354_51:                             ;   in Loop: Header=BB354_38 Depth=1
	s_wait_alu 0xfffe
	s_or_b32 exec_lo, exec_lo, s14
	global_load_b64 v[92:93], v[13:14], off offset:1536
	s_wait_loadcnt 0x0
	v_bfe_u32 v95, v92, 8, 8
	v_bfe_u32 v96, v92, 16, 8
	v_bfe_u32 v99, v93, 16, 8
	v_bfe_u32 v98, v93, 8, 8
	s_delay_alu instid0(VALU_DEP_4)
	v_cvt_f32_fp8_e32 v95, v95
	v_and_b32_e32 v94, 0xff, v92
	v_lshrrev_b32_e32 v92, 24, v92
	v_cvt_f32_fp8_e32 v96, v96
	v_cvt_f32_fp8_e32 v99, v99
	v_mul_f32_e32 v95, s13, v95
	v_cvt_f32_fp8_e32 v94, v94
	v_and_b32_e32 v97, 0xff, v93
	v_cvt_f32_fp8_e32 v92, v92
	v_lshrrev_b32_e32 v93, 24, v93
	v_bfe_u32 v102, v95, 16, 1
	v_mul_f32_e32 v94, s13, v94
	v_cvt_f32_fp8_e32 v97, v97
	v_mul_f32_e32 v96, s13, v96
	v_dual_mul_f32 v92, s13, v92 :: v_dual_mul_f32 v99, s13, v99
	s_delay_alu instid0(VALU_DEP_4)
	v_bfe_u32 v100, v94, 16, 1
	v_or_b32_e32 v101, 0x400000, v94
	v_cmp_u_f32_e64 s0, v94, v94
	v_mul_f32_e32 v97, s13, v97
	v_or_b32_e32 v103, 0x400000, v95
	v_add3_u32 v100, v100, v94, 0x7fff
	v_bfe_u32 v104, v96, 16, 1
	v_add3_u32 v102, v102, v95, 0x7fff
	v_cvt_f32_fp8_e32 v98, v98
	v_or_b32_e32 v105, 0x400000, v96
	s_wait_alu 0xf1ff
	v_cndmask_b32_e64 v94, v100, v101, s0
	v_cmp_u_f32_e64 s0, v95, v95
	v_bfe_u32 v106, v92, 16, 1
	v_add3_u32 v104, v104, v96, 0x7fff
	v_cvt_f32_fp8_e32 v93, v93
	v_mul_f32_e32 v98, s13, v98
	s_wait_alu 0xf1ff
	v_cndmask_b32_e64 v95, v102, v103, s0
	v_cmp_u_f32_e64 s0, v96, v96
	v_or_b32_e32 v107, 0x400000, v92
	v_bfe_u32 v108, v97, 16, 1
	v_add3_u32 v106, v106, v92, 0x7fff
	v_mul_f32_e32 v93, s13, v93
	s_wait_alu 0xf1ff
	v_cndmask_b32_e64 v96, v104, v105, s0
	v_cmp_u_f32_e64 s0, v92, v92
	v_or_b32_e32 v109, 0x400000, v97
	v_bfe_u32 v110, v98, 16, 1
	v_add3_u32 v108, v108, v97, 0x7fff
	v_or_b32_e32 v111, 0x400000, v98
	s_wait_alu 0xf1ff
	v_cndmask_b32_e64 v92, v106, v107, s0
	v_cmp_u_f32_e64 s0, v97, v97
	v_bfe_u32 v112, v99, 16, 1
	v_add3_u32 v110, v110, v98, 0x7fff
	v_or_b32_e32 v113, 0x400000, v99
	v_bfe_u32 v114, v93, 16, 1
	s_wait_alu 0xf1ff
	v_cndmask_b32_e64 v100, v108, v109, s0
	v_cmp_u_f32_e64 s0, v98, v98
	v_add3_u32 v112, v112, v99, 0x7fff
	v_or_b32_e32 v115, 0x400000, v93
	v_add3_u32 v114, v114, v93, 0x7fff
	v_lshrrev_b32_e32 v98, 16, v94
	s_wait_alu 0xf1ff
	v_cndmask_b32_e64 v101, v110, v111, s0
	v_cmp_u_f32_e64 s0, v99, v99
	v_lshrrev_b32_e32 v99, 16, v95
	v_lshrrev_b32_e32 v96, 16, v96
	;; [unrolled: 1-line block ×4, first 2 shown]
	s_wait_alu 0xf1ff
	v_cndmask_b32_e64 v102, v112, v113, s0
	v_cmp_u_f32_e64 s0, v93, v93
	v_lshrrev_b32_e32 v95, 16, v101
	s_delay_alu instid0(VALU_DEP_3) | instskip(SKIP_1) | instid1(VALU_DEP_3)
	v_lshrrev_b32_e32 v92, 16, v102
	s_wait_alu 0xf1ff
	v_cndmask_b32_e64 v93, v114, v115, s0
	s_delay_alu instid0(VALU_DEP_1)
	v_lshrrev_b32_e32 v93, 16, v93
	s_and_saveexec_b32 s14, vcc_lo
	s_cbranch_execz .LBB354_53
; %bb.52:                               ;   in Loop: Header=BB354_38 Depth=1
	v_cmp_gt_i32_e64 s0, s34, v81
	s_wait_alu 0xf1ff
	s_delay_alu instid0(VALU_DEP_1) | instskip(SKIP_2) | instid1(VALU_DEP_1)
	v_cndmask_b32_e64 v98, 0, v98, s0
	v_cmp_gt_i32_e64 s0, s34, v90
	s_wait_alu 0xf1ff
	v_cndmask_b32_e64 v99, 0, v99, s0
	v_cmp_gt_i32_e64 s0, s34, v89
	s_wait_alu 0xf1ff
	s_delay_alu instid0(VALU_DEP_1) | instskip(SKIP_2) | instid1(VALU_DEP_1)
	v_cndmask_b32_e64 v96, 0, v96, s0
	v_cmp_gt_i32_e64 s0, s34, v88
	s_wait_alu 0xf1ff
	v_cndmask_b32_e64 v97, 0, v97, s0
	;; [unrolled: 7-line block ×4, first 2 shown]
.LBB354_53:                             ;   in Loop: Header=BB354_38 Depth=1
	s_wait_alu 0xfffe
	s_or_b32 exec_lo, exec_lo, s14
	global_load_b64 v[100:101], v[13:14], off offset:1792
	s_wait_loadcnt 0x0
	v_bfe_u32 v103, v100, 8, 8
	v_bfe_u32 v104, v100, 16, 8
	;; [unrolled: 1-line block ×4, first 2 shown]
	s_delay_alu instid0(VALU_DEP_4)
	v_cvt_f32_fp8_e32 v103, v103
	v_and_b32_e32 v102, 0xff, v100
	v_lshrrev_b32_e32 v100, 24, v100
	v_cvt_f32_fp8_e32 v104, v104
	v_cvt_f32_fp8_e32 v107, v107
	v_mul_f32_e32 v103, s13, v103
	v_cvt_f32_fp8_e32 v102, v102
	v_and_b32_e32 v105, 0xff, v101
	v_cvt_f32_fp8_e32 v100, v100
	v_lshrrev_b32_e32 v101, 24, v101
	v_bfe_u32 v110, v103, 16, 1
	v_mul_f32_e32 v102, s13, v102
	v_cvt_f32_fp8_e32 v105, v105
	v_mul_f32_e32 v104, s13, v104
	v_dual_mul_f32 v100, s13, v100 :: v_dual_mul_f32 v107, s13, v107
	s_delay_alu instid0(VALU_DEP_4)
	v_bfe_u32 v108, v102, 16, 1
	v_or_b32_e32 v109, 0x400000, v102
	v_cmp_u_f32_e64 s0, v102, v102
	v_mul_f32_e32 v105, s13, v105
	v_or_b32_e32 v111, 0x400000, v103
	v_add3_u32 v108, v108, v102, 0x7fff
	v_bfe_u32 v112, v104, 16, 1
	v_add3_u32 v110, v110, v103, 0x7fff
	v_cvt_f32_fp8_e32 v106, v106
	v_or_b32_e32 v113, 0x400000, v104
	s_wait_alu 0xf1ff
	v_cndmask_b32_e64 v102, v108, v109, s0
	v_cmp_u_f32_e64 s0, v103, v103
	v_bfe_u32 v114, v100, 16, 1
	v_add3_u32 v112, v112, v104, 0x7fff
	v_cvt_f32_fp8_e32 v101, v101
	v_mul_f32_e32 v106, s13, v106
	s_wait_alu 0xf1ff
	v_cndmask_b32_e64 v103, v110, v111, s0
	v_cmp_u_f32_e64 s0, v104, v104
	v_or_b32_e32 v115, 0x400000, v100
	v_bfe_u32 v116, v105, 16, 1
	v_add3_u32 v114, v114, v100, 0x7fff
	v_mul_f32_e32 v101, s13, v101
	s_wait_alu 0xf1ff
	v_cndmask_b32_e64 v104, v112, v113, s0
	v_cmp_u_f32_e64 s0, v100, v100
	v_or_b32_e32 v117, 0x400000, v105
	v_bfe_u32 v118, v106, 16, 1
	v_add3_u32 v116, v116, v105, 0x7fff
	v_or_b32_e32 v119, 0x400000, v106
	s_wait_alu 0xf1ff
	v_cndmask_b32_e64 v100, v114, v115, s0
	v_cmp_u_f32_e64 s0, v105, v105
	v_bfe_u32 v120, v107, 16, 1
	v_add3_u32 v118, v118, v106, 0x7fff
	v_or_b32_e32 v121, 0x400000, v107
	v_bfe_u32 v122, v101, 16, 1
	s_wait_alu 0xf1ff
	v_cndmask_b32_e64 v108, v116, v117, s0
	v_cmp_u_f32_e64 s0, v106, v106
	v_add3_u32 v120, v120, v107, 0x7fff
	v_or_b32_e32 v123, 0x400000, v101
	v_add3_u32 v122, v122, v101, 0x7fff
	v_lshrrev_b32_e32 v106, 16, v102
	s_wait_alu 0xf1ff
	v_cndmask_b32_e64 v109, v118, v119, s0
	v_cmp_u_f32_e64 s0, v107, v107
	v_lshrrev_b32_e32 v107, 16, v103
	v_lshrrev_b32_e32 v104, 16, v104
	;; [unrolled: 1-line block ×4, first 2 shown]
	s_wait_alu 0xf1ff
	v_cndmask_b32_e64 v110, v120, v121, s0
	v_cmp_u_f32_e64 s0, v101, v101
	v_lshrrev_b32_e32 v103, 16, v109
	s_delay_alu instid0(VALU_DEP_3) | instskip(SKIP_1) | instid1(VALU_DEP_3)
	v_lshrrev_b32_e32 v100, 16, v110
	s_wait_alu 0xf1ff
	v_cndmask_b32_e64 v101, v122, v123, s0
	s_delay_alu instid0(VALU_DEP_1)
	v_lshrrev_b32_e32 v101, 16, v101
	s_and_saveexec_b32 s14, vcc_lo
	s_cbranch_execz .LBB354_55
; %bb.54:                               ;   in Loop: Header=BB354_38 Depth=1
	v_cmp_gt_i32_e64 s0, s34, v81
	s_wait_alu 0xf1ff
	s_delay_alu instid0(VALU_DEP_1) | instskip(SKIP_2) | instid1(VALU_DEP_1)
	v_cndmask_b32_e64 v106, 0, v106, s0
	v_cmp_gt_i32_e64 s0, s34, v90
	s_wait_alu 0xf1ff
	v_cndmask_b32_e64 v107, 0, v107, s0
	v_cmp_gt_i32_e64 s0, s34, v89
	s_wait_alu 0xf1ff
	s_delay_alu instid0(VALU_DEP_1) | instskip(SKIP_2) | instid1(VALU_DEP_1)
	v_cndmask_b32_e64 v104, 0, v104, s0
	v_cmp_gt_i32_e64 s0, s34, v88
	s_wait_alu 0xf1ff
	v_cndmask_b32_e64 v105, 0, v105, s0
	;; [unrolled: 7-line block ×4, first 2 shown]
.LBB354_55:                             ;   in Loop: Header=BB354_38 Depth=1
	s_wait_alu 0xfffe
	s_or_b32 exec_lo, exec_lo, s14
	global_load_b64 v[108:109], v[13:14], off offset:2048
	s_wait_loadcnt 0x0
	v_bfe_u32 v111, v108, 8, 8
	v_bfe_u32 v112, v108, 16, 8
	;; [unrolled: 1-line block ×4, first 2 shown]
	s_delay_alu instid0(VALU_DEP_4)
	v_cvt_f32_fp8_e32 v111, v111
	v_and_b32_e32 v110, 0xff, v108
	v_lshrrev_b32_e32 v108, 24, v108
	v_cvt_f32_fp8_e32 v112, v112
	v_cvt_f32_fp8_e32 v115, v115
	v_mul_f32_e32 v111, s13, v111
	v_cvt_f32_fp8_e32 v110, v110
	v_and_b32_e32 v113, 0xff, v109
	v_cvt_f32_fp8_e32 v108, v108
	v_lshrrev_b32_e32 v109, 24, v109
	v_bfe_u32 v118, v111, 16, 1
	v_mul_f32_e32 v110, s13, v110
	v_cvt_f32_fp8_e32 v113, v113
	v_mul_f32_e32 v112, s13, v112
	v_dual_mul_f32 v108, s13, v108 :: v_dual_mul_f32 v115, s13, v115
	s_delay_alu instid0(VALU_DEP_4)
	v_bfe_u32 v116, v110, 16, 1
	v_or_b32_e32 v117, 0x400000, v110
	v_cmp_u_f32_e64 s0, v110, v110
	v_mul_f32_e32 v113, s13, v113
	v_or_b32_e32 v119, 0x400000, v111
	v_add3_u32 v116, v116, v110, 0x7fff
	v_bfe_u32 v120, v112, 16, 1
	v_add3_u32 v118, v118, v111, 0x7fff
	v_cvt_f32_fp8_e32 v114, v114
	v_or_b32_e32 v121, 0x400000, v112
	s_wait_alu 0xf1ff
	v_cndmask_b32_e64 v110, v116, v117, s0
	v_cmp_u_f32_e64 s0, v111, v111
	v_bfe_u32 v122, v108, 16, 1
	v_add3_u32 v120, v120, v112, 0x7fff
	v_cvt_f32_fp8_e32 v109, v109
	v_mul_f32_e32 v114, s13, v114
	s_wait_alu 0xf1ff
	v_cndmask_b32_e64 v111, v118, v119, s0
	v_cmp_u_f32_e64 s0, v112, v112
	v_or_b32_e32 v123, 0x400000, v108
	v_bfe_u32 v124, v113, 16, 1
	v_add3_u32 v122, v122, v108, 0x7fff
	v_mul_f32_e32 v109, s13, v109
	s_wait_alu 0xf1ff
	v_cndmask_b32_e64 v112, v120, v121, s0
	v_cmp_u_f32_e64 s0, v108, v108
	v_or_b32_e32 v125, 0x400000, v113
	v_bfe_u32 v126, v114, 16, 1
	v_add3_u32 v124, v124, v113, 0x7fff
	v_or_b32_e32 v127, 0x400000, v114
	s_wait_alu 0xf1ff
	v_cndmask_b32_e64 v108, v122, v123, s0
	v_cmp_u_f32_e64 s0, v113, v113
	v_bfe_u32 v128, v115, 16, 1
	v_add3_u32 v126, v126, v114, 0x7fff
	v_or_b32_e32 v129, 0x400000, v115
	v_bfe_u32 v130, v109, 16, 1
	s_wait_alu 0xf1ff
	v_cndmask_b32_e64 v116, v124, v125, s0
	v_cmp_u_f32_e64 s0, v114, v114
	v_add3_u32 v128, v128, v115, 0x7fff
	v_or_b32_e32 v131, 0x400000, v109
	v_add3_u32 v130, v130, v109, 0x7fff
	v_lshrrev_b32_e32 v114, 16, v110
	s_wait_alu 0xf1ff
	v_cndmask_b32_e64 v118, v126, v127, s0
	v_cmp_u_f32_e64 s0, v115, v115
	v_lshrrev_b32_e32 v117, 16, v111
	v_lshrrev_b32_e32 v112, 16, v112
	;; [unrolled: 1-line block ×4, first 2 shown]
	s_wait_alu 0xf1ff
	v_cndmask_b32_e64 v115, v128, v129, s0
	v_cmp_u_f32_e64 s0, v109, v109
	v_lshrrev_b32_e32 v111, 16, v118
	s_delay_alu instid0(VALU_DEP_3) | instskip(SKIP_1) | instid1(VALU_DEP_3)
	v_lshrrev_b32_e32 v108, 16, v115
	s_wait_alu 0xf1ff
	v_cndmask_b32_e64 v109, v130, v131, s0
	s_delay_alu instid0(VALU_DEP_1)
	v_lshrrev_b32_e32 v109, 16, v109
	s_and_saveexec_b32 s14, vcc_lo
	s_cbranch_execz .LBB354_57
; %bb.56:                               ;   in Loop: Header=BB354_38 Depth=1
	v_cmp_gt_i32_e64 s0, s34, v81
	s_wait_alu 0xf1ff
	s_delay_alu instid0(VALU_DEP_1) | instskip(SKIP_2) | instid1(VALU_DEP_1)
	v_cndmask_b32_e64 v114, 0, v114, s0
	v_cmp_gt_i32_e64 s0, s34, v90
	s_wait_alu 0xf1ff
	v_cndmask_b32_e64 v117, 0, v117, s0
	v_cmp_gt_i32_e64 s0, s34, v89
	s_wait_alu 0xf1ff
	s_delay_alu instid0(VALU_DEP_1) | instskip(SKIP_2) | instid1(VALU_DEP_1)
	v_cndmask_b32_e64 v112, 0, v112, s0
	v_cmp_gt_i32_e64 s0, s34, v88
	s_wait_alu 0xf1ff
	v_cndmask_b32_e64 v113, 0, v113, s0
	v_cmp_gt_i32_e64 s0, s34, v87
	s_wait_alu 0xf1ff
	s_delay_alu instid0(VALU_DEP_1) | instskip(SKIP_2) | instid1(VALU_DEP_1)
	v_cndmask_b32_e64 v110, 0, v110, s0
	v_cmp_gt_i32_e64 s0, s34, v86
	s_wait_alu 0xf1ff
	v_cndmask_b32_e64 v111, 0, v111, s0
	v_cmp_gt_i32_e64 s0, s34, v85
	s_wait_alu 0xf1ff
	s_delay_alu instid0(VALU_DEP_1) | instskip(SKIP_2) | instid1(VALU_DEP_1)
	v_cndmask_b32_e64 v108, 0, v108, s0
	v_cmp_gt_i32_e64 s0, s34, v91
	s_wait_alu 0xf1ff
	v_cndmask_b32_e64 v109, 0, v109, s0
.LBB354_57:                             ;   in Loop: Header=BB354_38 Depth=1
	s_wait_alu 0xfffe
	s_or_b32 exec_lo, exec_lo, s14
	global_load_b64 v[115:116], v[13:14], off offset:2304
	s_wait_loadcnt 0x0
	v_and_b32_e32 v121, 0xff, v116
	v_bfe_u32 v119, v115, 8, 8
	v_bfe_u32 v120, v115, 16, 8
	;; [unrolled: 1-line block ×4, first 2 shown]
	v_cvt_f32_fp8_e32 v121, v121
	v_and_b32_e32 v118, 0xff, v115
	v_cvt_f32_fp8_e32 v119, v119
	v_lshrrev_b32_e32 v115, 24, v115
	v_cvt_f32_fp8_e32 v120, v120
	v_mul_f32_e32 v121, s13, v121
	v_cvt_f32_fp8_e32 v118, v118
	v_mul_f32_e32 v119, s13, v119
	v_cvt_f32_fp8_e32 v115, v115
	v_mul_f32_e32 v120, s13, v120
	v_cvt_f32_fp8_e32 v122, v122
	v_mul_f32_e32 v118, s13, v118
	v_bfe_u32 v126, v119, 16, 1
	v_mul_f32_e32 v115, s13, v115
	v_or_b32_e32 v127, 0x400000, v119
	v_bfe_u32 v128, v120, 16, 1
	v_bfe_u32 v124, v118, 16, 1
	v_or_b32_e32 v125, 0x400000, v118
	v_cmp_u_f32_e64 s0, v118, v118
	v_add3_u32 v126, v126, v119, 0x7fff
	v_mul_f32_e32 v122, s13, v122
	v_add3_u32 v124, v124, v118, 0x7fff
	v_or_b32_e32 v129, 0x400000, v120
	v_bfe_u32 v130, v115, 16, 1
	v_add3_u32 v128, v128, v120, 0x7fff
	v_lshrrev_b32_e32 v116, 24, v116
	s_wait_alu 0xf1ff
	v_cndmask_b32_e64 v118, v124, v125, s0
	v_cmp_u_f32_e64 s0, v119, v119
	v_cvt_f32_fp8_e32 v123, v123
	v_or_b32_e32 v131, 0x400000, v115
	v_bfe_u32 v132, v121, 16, 1
	v_add3_u32 v130, v130, v115, 0x7fff
	s_wait_alu 0xf1ff
	v_cndmask_b32_e64 v119, v126, v127, s0
	v_cmp_u_f32_e64 s0, v120, v120
	v_cvt_f32_fp8_e32 v116, v116
	v_mul_f32_e32 v123, s13, v123
	v_or_b32_e32 v133, 0x400000, v121
	v_bfe_u32 v134, v122, 16, 1
	s_wait_alu 0xf1ff
	v_cndmask_b32_e64 v120, v128, v129, s0
	v_cmp_u_f32_e64 s0, v115, v115
	v_add3_u32 v132, v132, v121, 0x7fff
	v_mul_f32_e32 v116, s13, v116
	v_or_b32_e32 v135, 0x400000, v122
	v_bfe_u32 v136, v123, 16, 1
	s_wait_alu 0xf1ff
	v_cndmask_b32_e64 v115, v130, v131, s0
	v_cmp_u_f32_e64 s0, v121, v121
	v_add3_u32 v134, v134, v122, 0x7fff
	v_or_b32_e32 v137, 0x400000, v123
	v_bfe_u32 v138, v116, 16, 1
	v_add3_u32 v136, v136, v123, 0x7fff
	s_wait_alu 0xf1ff
	v_cndmask_b32_e64 v121, v132, v133, s0
	v_cmp_u_f32_e64 s0, v122, v122
	v_or_b32_e32 v139, 0x400000, v116
	v_add3_u32 v138, v138, v116, 0x7fff
	v_lshrrev_b32_e32 v128, 16, v118
	v_lshrrev_b32_e32 v129, 16, v119
	s_wait_alu 0xf1ff
	v_cndmask_b32_e64 v122, v134, v135, s0
	v_cmp_u_f32_e64 s0, v123, v123
	v_lshrrev_b32_e32 v126, 16, v120
	v_lshrrev_b32_e32 v127, 16, v115
	;; [unrolled: 1-line block ×4, first 2 shown]
	s_wait_alu 0xf1ff
	v_cndmask_b32_e64 v123, v136, v137, s0
	v_cmp_u_f32_e64 s0, v116, v116
	s_delay_alu instid0(VALU_DEP_2) | instskip(SKIP_1) | instid1(VALU_DEP_2)
	v_lshrrev_b32_e32 v122, 16, v123
	s_wait_alu 0xf1ff
	v_cndmask_b32_e64 v116, v138, v139, s0
	s_delay_alu instid0(VALU_DEP_1)
	v_lshrrev_b32_e32 v123, 16, v116
	s_and_saveexec_b32 s14, vcc_lo
	s_cbranch_execz .LBB354_59
; %bb.58:                               ;   in Loop: Header=BB354_38 Depth=1
	v_cmp_gt_i32_e64 s0, s34, v81
	s_wait_alu 0xf1ff
	s_delay_alu instid0(VALU_DEP_1) | instskip(SKIP_2) | instid1(VALU_DEP_1)
	v_cndmask_b32_e64 v128, 0, v128, s0
	v_cmp_gt_i32_e64 s0, s34, v90
	s_wait_alu 0xf1ff
	v_cndmask_b32_e64 v129, 0, v129, s0
	v_cmp_gt_i32_e64 s0, s34, v89
	s_wait_alu 0xf1ff
	s_delay_alu instid0(VALU_DEP_1) | instskip(SKIP_2) | instid1(VALU_DEP_1)
	v_cndmask_b32_e64 v126, 0, v126, s0
	v_cmp_gt_i32_e64 s0, s34, v88
	s_wait_alu 0xf1ff
	v_cndmask_b32_e64 v127, 0, v127, s0
	;; [unrolled: 7-line block ×4, first 2 shown]
.LBB354_59:                             ;   in Loop: Header=BB354_38 Depth=1
	s_wait_alu 0xfffe
	s_or_b32 exec_lo, exec_lo, s14
	global_load_b64 v[115:116], v[13:14], off offset:2560
	s_wait_loadcnt 0x0
	v_and_b32_e32 v121, 0xff, v116
	v_bfe_u32 v119, v115, 8, 8
	v_bfe_u32 v120, v115, 16, 8
	;; [unrolled: 1-line block ×4, first 2 shown]
	v_cvt_f32_fp8_e32 v121, v121
	v_and_b32_e32 v118, 0xff, v115
	v_cvt_f32_fp8_e32 v119, v119
	v_lshrrev_b32_e32 v115, 24, v115
	v_cvt_f32_fp8_e32 v120, v120
	v_mul_f32_e32 v121, s13, v121
	v_cvt_f32_fp8_e32 v118, v118
	v_mul_f32_e32 v119, s13, v119
	;; [unrolled: 2-line block ×4, first 2 shown]
	v_bfe_u32 v134, v119, 16, 1
	v_mul_f32_e32 v115, s13, v115
	v_or_b32_e32 v135, 0x400000, v119
	v_bfe_u32 v136, v120, 16, 1
	v_bfe_u32 v132, v118, 16, 1
	v_or_b32_e32 v133, 0x400000, v118
	v_cmp_u_f32_e64 s0, v118, v118
	v_add3_u32 v134, v134, v119, 0x7fff
	v_mul_f32_e32 v130, s13, v130
	v_add3_u32 v132, v132, v118, 0x7fff
	v_or_b32_e32 v137, 0x400000, v120
	v_bfe_u32 v138, v115, 16, 1
	v_add3_u32 v136, v136, v120, 0x7fff
	v_lshrrev_b32_e32 v116, 24, v116
	s_wait_alu 0xf1ff
	v_cndmask_b32_e64 v118, v132, v133, s0
	v_cmp_u_f32_e64 s0, v119, v119
	v_cvt_f32_fp8_e32 v131, v131
	v_or_b32_e32 v139, 0x400000, v115
	v_bfe_u32 v140, v121, 16, 1
	v_add3_u32 v138, v138, v115, 0x7fff
	s_wait_alu 0xf1ff
	v_cndmask_b32_e64 v119, v134, v135, s0
	v_cmp_u_f32_e64 s0, v120, v120
	v_cvt_f32_fp8_e32 v116, v116
	v_mul_f32_e32 v131, s13, v131
	v_or_b32_e32 v141, 0x400000, v121
	v_bfe_u32 v142, v130, 16, 1
	s_wait_alu 0xf1ff
	v_cndmask_b32_e64 v120, v136, v137, s0
	v_cmp_u_f32_e64 s0, v115, v115
	v_add3_u32 v140, v140, v121, 0x7fff
	v_mul_f32_e32 v116, s13, v116
	v_or_b32_e32 v143, 0x400000, v130
	v_bfe_u32 v144, v131, 16, 1
	s_wait_alu 0xf1ff
	v_cndmask_b32_e64 v115, v138, v139, s0
	v_cmp_u_f32_e64 s0, v121, v121
	v_add3_u32 v142, v142, v130, 0x7fff
	v_or_b32_e32 v145, 0x400000, v131
	v_bfe_u32 v146, v116, 16, 1
	v_add3_u32 v144, v144, v131, 0x7fff
	s_wait_alu 0xf1ff
	v_cndmask_b32_e64 v121, v140, v141, s0
	v_cmp_u_f32_e64 s0, v130, v130
	v_or_b32_e32 v147, 0x400000, v116
	v_add3_u32 v146, v146, v116, 0x7fff
	v_lshrrev_b32_e32 v136, 16, v118
	v_lshrrev_b32_e32 v137, 16, v119
	s_wait_alu 0xf1ff
	v_cndmask_b32_e64 v130, v142, v143, s0
	v_cmp_u_f32_e64 s0, v131, v131
	v_lshrrev_b32_e32 v134, 16, v120
	v_lshrrev_b32_e32 v135, 16, v115
	;; [unrolled: 1-line block ×4, first 2 shown]
	s_wait_alu 0xf1ff
	v_cndmask_b32_e64 v131, v144, v145, s0
	v_cmp_u_f32_e64 s0, v116, v116
	s_delay_alu instid0(VALU_DEP_2) | instskip(SKIP_1) | instid1(VALU_DEP_2)
	v_lshrrev_b32_e32 v130, 16, v131
	s_wait_alu 0xf1ff
	v_cndmask_b32_e64 v116, v146, v147, s0
	s_delay_alu instid0(VALU_DEP_1)
	v_lshrrev_b32_e32 v131, 16, v116
	s_and_saveexec_b32 s14, vcc_lo
	s_cbranch_execz .LBB354_61
; %bb.60:                               ;   in Loop: Header=BB354_38 Depth=1
	v_cmp_gt_i32_e64 s0, s34, v81
	s_wait_alu 0xf1ff
	s_delay_alu instid0(VALU_DEP_1) | instskip(SKIP_2) | instid1(VALU_DEP_1)
	v_cndmask_b32_e64 v136, 0, v136, s0
	v_cmp_gt_i32_e64 s0, s34, v90
	s_wait_alu 0xf1ff
	v_cndmask_b32_e64 v137, 0, v137, s0
	v_cmp_gt_i32_e64 s0, s34, v89
	s_wait_alu 0xf1ff
	s_delay_alu instid0(VALU_DEP_1) | instskip(SKIP_2) | instid1(VALU_DEP_1)
	v_cndmask_b32_e64 v134, 0, v134, s0
	v_cmp_gt_i32_e64 s0, s34, v88
	s_wait_alu 0xf1ff
	v_cndmask_b32_e64 v135, 0, v135, s0
	;; [unrolled: 7-line block ×4, first 2 shown]
.LBB354_61:                             ;   in Loop: Header=BB354_38 Depth=1
	s_wait_alu 0xfffe
	s_or_b32 exec_lo, exec_lo, s14
	global_load_b64 v[115:116], v[13:14], off offset:2816
	s_wait_loadcnt 0x0
	v_and_b32_e32 v121, 0xff, v116
	v_bfe_u32 v119, v115, 8, 8
	v_bfe_u32 v120, v115, 16, 8
	;; [unrolled: 1-line block ×4, first 2 shown]
	v_cvt_f32_fp8_e32 v121, v121
	v_and_b32_e32 v118, 0xff, v115
	v_cvt_f32_fp8_e32 v119, v119
	v_lshrrev_b32_e32 v115, 24, v115
	v_cvt_f32_fp8_e32 v120, v120
	v_mul_f32_e32 v121, s13, v121
	v_cvt_f32_fp8_e32 v118, v118
	v_mul_f32_e32 v119, s13, v119
	;; [unrolled: 2-line block ×4, first 2 shown]
	v_bfe_u32 v142, v119, 16, 1
	v_mul_f32_e32 v115, s13, v115
	v_or_b32_e32 v143, 0x400000, v119
	v_bfe_u32 v144, v120, 16, 1
	v_bfe_u32 v140, v118, 16, 1
	v_or_b32_e32 v141, 0x400000, v118
	v_cmp_u_f32_e64 s0, v118, v118
	v_add3_u32 v142, v142, v119, 0x7fff
	v_mul_f32_e32 v138, s13, v138
	v_add3_u32 v140, v140, v118, 0x7fff
	v_or_b32_e32 v145, 0x400000, v120
	v_bfe_u32 v146, v115, 16, 1
	v_add3_u32 v144, v144, v120, 0x7fff
	v_lshrrev_b32_e32 v116, 24, v116
	s_wait_alu 0xf1ff
	v_cndmask_b32_e64 v118, v140, v141, s0
	v_cmp_u_f32_e64 s0, v119, v119
	v_cvt_f32_fp8_e32 v139, v139
	v_or_b32_e32 v147, 0x400000, v115
	v_bfe_u32 v148, v121, 16, 1
	v_add3_u32 v146, v146, v115, 0x7fff
	s_wait_alu 0xf1ff
	v_cndmask_b32_e64 v119, v142, v143, s0
	v_cmp_u_f32_e64 s0, v120, v120
	v_cvt_f32_fp8_e32 v116, v116
	v_mul_f32_e32 v139, s13, v139
	v_or_b32_e32 v149, 0x400000, v121
	v_bfe_u32 v150, v138, 16, 1
	s_wait_alu 0xf1ff
	v_cndmask_b32_e64 v120, v144, v145, s0
	v_cmp_u_f32_e64 s0, v115, v115
	v_add3_u32 v148, v148, v121, 0x7fff
	v_mul_f32_e32 v116, s13, v116
	v_or_b32_e32 v151, 0x400000, v138
	v_bfe_u32 v152, v139, 16, 1
	s_wait_alu 0xf1ff
	v_cndmask_b32_e64 v115, v146, v147, s0
	v_cmp_u_f32_e64 s0, v121, v121
	v_add3_u32 v150, v150, v138, 0x7fff
	v_or_b32_e32 v153, 0x400000, v139
	v_bfe_u32 v154, v116, 16, 1
	v_add3_u32 v152, v152, v139, 0x7fff
	s_wait_alu 0xf1ff
	v_cndmask_b32_e64 v121, v148, v149, s0
	v_cmp_u_f32_e64 s0, v138, v138
	v_or_b32_e32 v155, 0x400000, v116
	v_add3_u32 v154, v154, v116, 0x7fff
	v_lshrrev_b32_e32 v144, 16, v118
	v_lshrrev_b32_e32 v145, 16, v119
	s_wait_alu 0xf1ff
	v_cndmask_b32_e64 v138, v150, v151, s0
	v_cmp_u_f32_e64 s0, v139, v139
	v_lshrrev_b32_e32 v142, 16, v120
	v_lshrrev_b32_e32 v143, 16, v115
	;; [unrolled: 1-line block ×4, first 2 shown]
	s_wait_alu 0xf1ff
	v_cndmask_b32_e64 v139, v152, v153, s0
	v_cmp_u_f32_e64 s0, v116, v116
	s_delay_alu instid0(VALU_DEP_2) | instskip(SKIP_1) | instid1(VALU_DEP_2)
	v_lshrrev_b32_e32 v138, 16, v139
	s_wait_alu 0xf1ff
	v_cndmask_b32_e64 v116, v154, v155, s0
	s_delay_alu instid0(VALU_DEP_1)
	v_lshrrev_b32_e32 v139, 16, v116
	s_and_saveexec_b32 s14, vcc_lo
	s_cbranch_execz .LBB354_63
; %bb.62:                               ;   in Loop: Header=BB354_38 Depth=1
	v_cmp_gt_i32_e64 s0, s34, v81
	s_wait_alu 0xf1ff
	s_delay_alu instid0(VALU_DEP_1) | instskip(SKIP_2) | instid1(VALU_DEP_1)
	v_cndmask_b32_e64 v144, 0, v144, s0
	v_cmp_gt_i32_e64 s0, s34, v90
	s_wait_alu 0xf1ff
	v_cndmask_b32_e64 v145, 0, v145, s0
	v_cmp_gt_i32_e64 s0, s34, v89
	s_wait_alu 0xf1ff
	s_delay_alu instid0(VALU_DEP_1) | instskip(SKIP_2) | instid1(VALU_DEP_1)
	v_cndmask_b32_e64 v142, 0, v142, s0
	v_cmp_gt_i32_e64 s0, s34, v88
	s_wait_alu 0xf1ff
	v_cndmask_b32_e64 v143, 0, v143, s0
	;; [unrolled: 7-line block ×4, first 2 shown]
.LBB354_63:                             ;   in Loop: Header=BB354_38 Depth=1
	s_wait_alu 0xfffe
	s_or_b32 exec_lo, exec_lo, s14
	global_load_b64 v[115:116], v[13:14], off offset:3072
	s_wait_loadcnt 0x0
	v_and_b32_e32 v121, 0xff, v116
	v_bfe_u32 v119, v115, 8, 8
	v_bfe_u32 v120, v115, 16, 8
	;; [unrolled: 1-line block ×4, first 2 shown]
	v_cvt_f32_fp8_e32 v121, v121
	v_and_b32_e32 v118, 0xff, v115
	v_cvt_f32_fp8_e32 v119, v119
	v_lshrrev_b32_e32 v115, 24, v115
	v_cvt_f32_fp8_e32 v120, v120
	v_mul_f32_e32 v121, s13, v121
	v_cvt_f32_fp8_e32 v118, v118
	v_mul_f32_e32 v119, s13, v119
	;; [unrolled: 2-line block ×4, first 2 shown]
	v_bfe_u32 v150, v119, 16, 1
	v_mul_f32_e32 v115, s13, v115
	v_or_b32_e32 v151, 0x400000, v119
	v_bfe_u32 v152, v120, 16, 1
	v_bfe_u32 v148, v118, 16, 1
	v_or_b32_e32 v149, 0x400000, v118
	v_cmp_u_f32_e64 s0, v118, v118
	v_add3_u32 v150, v150, v119, 0x7fff
	v_mul_f32_e32 v146, s13, v146
	v_add3_u32 v148, v148, v118, 0x7fff
	v_or_b32_e32 v153, 0x400000, v120
	v_bfe_u32 v154, v115, 16, 1
	v_add3_u32 v152, v152, v120, 0x7fff
	v_lshrrev_b32_e32 v116, 24, v116
	s_wait_alu 0xf1ff
	v_cndmask_b32_e64 v118, v148, v149, s0
	v_cmp_u_f32_e64 s0, v119, v119
	v_cvt_f32_fp8_e32 v147, v147
	v_or_b32_e32 v155, 0x400000, v115
	v_bfe_u32 v156, v121, 16, 1
	v_add3_u32 v154, v154, v115, 0x7fff
	s_wait_alu 0xf1ff
	v_cndmask_b32_e64 v119, v150, v151, s0
	v_cmp_u_f32_e64 s0, v120, v120
	v_cvt_f32_fp8_e32 v116, v116
	v_mul_f32_e32 v147, s13, v147
	v_or_b32_e32 v157, 0x400000, v121
	v_bfe_u32 v158, v146, 16, 1
	s_wait_alu 0xf1ff
	v_cndmask_b32_e64 v120, v152, v153, s0
	v_cmp_u_f32_e64 s0, v115, v115
	v_add3_u32 v156, v156, v121, 0x7fff
	v_mul_f32_e32 v116, s13, v116
	v_or_b32_e32 v159, 0x400000, v146
	v_bfe_u32 v160, v147, 16, 1
	s_wait_alu 0xf1ff
	v_cndmask_b32_e64 v115, v154, v155, s0
	v_cmp_u_f32_e64 s0, v121, v121
	v_add3_u32 v158, v158, v146, 0x7fff
	v_or_b32_e32 v161, 0x400000, v147
	v_bfe_u32 v162, v116, 16, 1
	v_add3_u32 v160, v160, v147, 0x7fff
	s_wait_alu 0xf1ff
	v_cndmask_b32_e64 v121, v156, v157, s0
	v_cmp_u_f32_e64 s0, v146, v146
	v_or_b32_e32 v163, 0x400000, v116
	v_add3_u32 v162, v162, v116, 0x7fff
	v_lshrrev_b32_e32 v152, 16, v118
	v_lshrrev_b32_e32 v153, 16, v119
	s_wait_alu 0xf1ff
	v_cndmask_b32_e64 v146, v158, v159, s0
	v_cmp_u_f32_e64 s0, v147, v147
	v_lshrrev_b32_e32 v150, 16, v120
	v_lshrrev_b32_e32 v151, 16, v115
	;; [unrolled: 1-line block ×4, first 2 shown]
	s_wait_alu 0xf1ff
	v_cndmask_b32_e64 v147, v160, v161, s0
	v_cmp_u_f32_e64 s0, v116, v116
	s_delay_alu instid0(VALU_DEP_2) | instskip(SKIP_1) | instid1(VALU_DEP_2)
	v_lshrrev_b32_e32 v146, 16, v147
	s_wait_alu 0xf1ff
	v_cndmask_b32_e64 v116, v162, v163, s0
	s_delay_alu instid0(VALU_DEP_1)
	v_lshrrev_b32_e32 v147, 16, v116
	s_and_saveexec_b32 s14, vcc_lo
	s_cbranch_execz .LBB354_65
; %bb.64:                               ;   in Loop: Header=BB354_38 Depth=1
	v_cmp_gt_i32_e64 s0, s34, v81
	s_wait_alu 0xf1ff
	s_delay_alu instid0(VALU_DEP_1) | instskip(SKIP_2) | instid1(VALU_DEP_1)
	v_cndmask_b32_e64 v152, 0, v152, s0
	v_cmp_gt_i32_e64 s0, s34, v90
	s_wait_alu 0xf1ff
	v_cndmask_b32_e64 v153, 0, v153, s0
	v_cmp_gt_i32_e64 s0, s34, v89
	s_wait_alu 0xf1ff
	s_delay_alu instid0(VALU_DEP_1) | instskip(SKIP_2) | instid1(VALU_DEP_1)
	v_cndmask_b32_e64 v150, 0, v150, s0
	v_cmp_gt_i32_e64 s0, s34, v88
	s_wait_alu 0xf1ff
	v_cndmask_b32_e64 v151, 0, v151, s0
	;; [unrolled: 7-line block ×4, first 2 shown]
.LBB354_65:                             ;   in Loop: Header=BB354_38 Depth=1
	s_wait_alu 0xfffe
	s_or_b32 exec_lo, exec_lo, s14
	global_load_b64 v[115:116], v[13:14], off offset:3328
	s_wait_loadcnt 0x0
	v_and_b32_e32 v121, 0xff, v116
	v_bfe_u32 v119, v115, 8, 8
	v_bfe_u32 v120, v115, 16, 8
	;; [unrolled: 1-line block ×4, first 2 shown]
	v_cvt_f32_fp8_e32 v121, v121
	v_and_b32_e32 v118, 0xff, v115
	v_cvt_f32_fp8_e32 v119, v119
	v_lshrrev_b32_e32 v115, 24, v115
	v_cvt_f32_fp8_e32 v120, v120
	v_mul_f32_e32 v121, s13, v121
	v_cvt_f32_fp8_e32 v118, v118
	v_mul_f32_e32 v119, s13, v119
	;; [unrolled: 2-line block ×4, first 2 shown]
	v_bfe_u32 v158, v119, 16, 1
	v_mul_f32_e32 v115, s13, v115
	v_or_b32_e32 v159, 0x400000, v119
	v_bfe_u32 v160, v120, 16, 1
	v_bfe_u32 v156, v118, 16, 1
	v_or_b32_e32 v157, 0x400000, v118
	v_cmp_u_f32_e64 s0, v118, v118
	v_add3_u32 v158, v158, v119, 0x7fff
	v_mul_f32_e32 v154, s13, v154
	v_add3_u32 v156, v156, v118, 0x7fff
	v_or_b32_e32 v161, 0x400000, v120
	v_bfe_u32 v162, v115, 16, 1
	v_add3_u32 v160, v160, v120, 0x7fff
	v_lshrrev_b32_e32 v116, 24, v116
	s_wait_alu 0xf1ff
	v_cndmask_b32_e64 v118, v156, v157, s0
	v_cmp_u_f32_e64 s0, v119, v119
	v_cvt_f32_fp8_e32 v155, v155
	v_or_b32_e32 v163, 0x400000, v115
	v_bfe_u32 v164, v121, 16, 1
	v_add3_u32 v162, v162, v115, 0x7fff
	s_wait_alu 0xf1ff
	v_cndmask_b32_e64 v119, v158, v159, s0
	v_cmp_u_f32_e64 s0, v120, v120
	v_cvt_f32_fp8_e32 v116, v116
	v_mul_f32_e32 v155, s13, v155
	v_or_b32_e32 v165, 0x400000, v121
	v_bfe_u32 v166, v154, 16, 1
	s_wait_alu 0xf1ff
	v_cndmask_b32_e64 v120, v160, v161, s0
	v_cmp_u_f32_e64 s0, v115, v115
	v_add3_u32 v164, v164, v121, 0x7fff
	v_mul_f32_e32 v116, s13, v116
	v_or_b32_e32 v167, 0x400000, v154
	v_bfe_u32 v168, v155, 16, 1
	s_wait_alu 0xf1ff
	v_cndmask_b32_e64 v115, v162, v163, s0
	v_cmp_u_f32_e64 s0, v121, v121
	v_add3_u32 v166, v166, v154, 0x7fff
	v_or_b32_e32 v169, 0x400000, v155
	v_bfe_u32 v170, v116, 16, 1
	v_add3_u32 v168, v168, v155, 0x7fff
	s_wait_alu 0xf1ff
	v_cndmask_b32_e64 v121, v164, v165, s0
	v_cmp_u_f32_e64 s0, v154, v154
	v_or_b32_e32 v171, 0x400000, v116
	v_add3_u32 v170, v170, v116, 0x7fff
	v_lshrrev_b32_e32 v160, 16, v118
	v_lshrrev_b32_e32 v161, 16, v119
	s_wait_alu 0xf1ff
	v_cndmask_b32_e64 v154, v166, v167, s0
	v_cmp_u_f32_e64 s0, v155, v155
	v_lshrrev_b32_e32 v158, 16, v120
	v_lshrrev_b32_e32 v159, 16, v115
	;; [unrolled: 1-line block ×4, first 2 shown]
	s_wait_alu 0xf1ff
	v_cndmask_b32_e64 v155, v168, v169, s0
	v_cmp_u_f32_e64 s0, v116, v116
	s_delay_alu instid0(VALU_DEP_2) | instskip(SKIP_1) | instid1(VALU_DEP_2)
	v_lshrrev_b32_e32 v154, 16, v155
	s_wait_alu 0xf1ff
	v_cndmask_b32_e64 v116, v170, v171, s0
	s_delay_alu instid0(VALU_DEP_1)
	v_lshrrev_b32_e32 v155, 16, v116
	s_and_saveexec_b32 s14, vcc_lo
	s_cbranch_execz .LBB354_67
; %bb.66:                               ;   in Loop: Header=BB354_38 Depth=1
	v_cmp_gt_i32_e64 s0, s34, v81
	s_wait_alu 0xf1ff
	s_delay_alu instid0(VALU_DEP_1) | instskip(SKIP_2) | instid1(VALU_DEP_1)
	v_cndmask_b32_e64 v160, 0, v160, s0
	v_cmp_gt_i32_e64 s0, s34, v90
	s_wait_alu 0xf1ff
	v_cndmask_b32_e64 v161, 0, v161, s0
	v_cmp_gt_i32_e64 s0, s34, v89
	s_wait_alu 0xf1ff
	s_delay_alu instid0(VALU_DEP_1) | instskip(SKIP_2) | instid1(VALU_DEP_1)
	v_cndmask_b32_e64 v158, 0, v158, s0
	v_cmp_gt_i32_e64 s0, s34, v88
	s_wait_alu 0xf1ff
	v_cndmask_b32_e64 v159, 0, v159, s0
	;; [unrolled: 7-line block ×4, first 2 shown]
.LBB354_67:                             ;   in Loop: Header=BB354_38 Depth=1
	s_wait_alu 0xfffe
	s_or_b32 exec_lo, exec_lo, s14
	global_load_b64 v[13:14], v[13:14], off offset:3584
	s_wait_loadcnt 0x0
	v_bfe_u32 v116, v13, 8, 8
	v_bfe_u32 v118, v13, 16, 8
	;; [unrolled: 1-line block ×4, first 2 shown]
	s_delay_alu instid0(VALU_DEP_4)
	v_cvt_f32_fp8_e32 v116, v116
	v_and_b32_e32 v115, 0xff, v13
	v_cvt_f32_fp8_e32 v118, v118
	v_lshrrev_b32_e32 v13, 24, v13
	v_cvt_f32_fp8_e32 v120, v120
	v_mul_f32_e32 v116, s13, v116
	v_cvt_f32_fp8_e32 v115, v115
	v_and_b32_e32 v119, 0xff, v14
	v_lshrrev_b32_e32 v14, 24, v14
	v_cvt_f32_fp8_e32 v13, v13
	s_delay_alu instid0(VALU_DEP_4) | instskip(SKIP_1) | instid1(VALU_DEP_4)
	v_dual_mul_f32 v118, s13, v118 :: v_dual_mul_f32 v115, s13, v115
	v_bfe_u32 v164, v116, 16, 1
	v_cvt_f32_fp8_e32 v14, v14
	s_delay_alu instid0(VALU_DEP_4) | instskip(NEXT) | instid1(VALU_DEP_4)
	v_dual_mul_f32 v13, s13, v13 :: v_dual_mul_f32 v120, s13, v120
	v_bfe_u32 v162, v115, 16, 1
	v_or_b32_e32 v163, 0x400000, v115
	v_cmp_u_f32_e64 s0, v115, v115
	v_cvt_f32_fp8_e32 v119, v119
	v_or_b32_e32 v165, 0x400000, v116
	v_add3_u32 v162, v162, v115, 0x7fff
	v_bfe_u32 v166, v118, 16, 1
	v_add3_u32 v164, v164, v116, 0x7fff
	v_dual_mul_f32 v119, s13, v119 :: v_dual_mul_f32 v14, s13, v14
	s_wait_alu 0xf1ff
	v_cndmask_b32_e64 v115, v162, v163, s0
	v_cmp_u_f32_e64 s0, v116, v116
	v_or_b32_e32 v167, 0x400000, v118
	v_bfe_u32 v168, v13, 16, 1
	v_add3_u32 v166, v166, v118, 0x7fff
	v_cvt_f32_fp8_e32 v121, v121
	s_wait_alu 0xf1ff
	v_cndmask_b32_e64 v116, v164, v165, s0
	v_cmp_u_f32_e64 s0, v118, v118
	v_or_b32_e32 v169, 0x400000, v13
	v_bfe_u32 v170, v119, 16, 1
	v_add3_u32 v168, v168, v13, 0x7fff
	v_mul_f32_e32 v121, s13, v121
	s_wait_alu 0xf1ff
	v_cndmask_b32_e64 v118, v166, v167, s0
	v_cmp_u_f32_e64 s0, v13, v13
	v_or_b32_e32 v171, 0x400000, v119
	v_bfe_u32 v172, v120, 16, 1
	v_add3_u32 v170, v170, v119, 0x7fff
	v_or_b32_e32 v173, 0x400000, v120
	s_wait_alu 0xf1ff
	v_cndmask_b32_e64 v13, v168, v169, s0
	v_cmp_u_f32_e64 s0, v119, v119
	v_bfe_u32 v174, v121, 16, 1
	v_add3_u32 v172, v172, v120, 0x7fff
	v_or_b32_e32 v175, 0x400000, v121
	v_bfe_u32 v176, v14, 16, 1
	s_wait_alu 0xf1ff
	v_cndmask_b32_e64 v162, v170, v171, s0
	v_cmp_u_f32_e64 s0, v120, v120
	v_add3_u32 v174, v174, v121, 0x7fff
	v_or_b32_e32 v177, 0x400000, v14
	v_add3_u32 v176, v176, v14, 0x7fff
	v_lshrrev_b32_e32 v120, 16, v116
	s_wait_alu 0xf1ff
	v_cndmask_b32_e64 v163, v172, v173, s0
	v_cmp_u_f32_e64 s0, v121, v121
	v_lshrrev_b32_e32 v121, 16, v115
	v_lshrrev_b32_e32 v119, 16, v118
	;; [unrolled: 1-line block ×4, first 2 shown]
	s_wait_alu 0xf1ff
	v_cndmask_b32_e64 v164, v174, v175, s0
	v_cmp_u_f32_e64 s0, v14, v14
	v_lshrrev_b32_e32 v115, 16, v163
	s_delay_alu instid0(VALU_DEP_3) | instskip(SKIP_1) | instid1(VALU_DEP_3)
	v_lshrrev_b32_e32 v14, 16, v164
	s_wait_alu 0xf1ff
	v_cndmask_b32_e64 v165, v176, v177, s0
	s_delay_alu instid0(VALU_DEP_1)
	v_lshrrev_b32_e32 v13, 16, v165
	s_and_saveexec_b32 s0, vcc_lo
	s_cbranch_execz .LBB354_36
; %bb.68:                               ;   in Loop: Header=BB354_38 Depth=1
	v_cmp_gt_i32_e32 vcc_lo, s34, v81
	s_wait_alu 0xfffd
	v_cndmask_b32_e32 v121, 0, v121, vcc_lo
	v_cmp_gt_i32_e32 vcc_lo, s34, v90
	s_wait_alu 0xfffd
	v_cndmask_b32_e32 v120, 0, v120, vcc_lo
	;; [unrolled: 3-line block ×8, first 2 shown]
	s_branch .LBB354_36
.LBB354_69:
	s_or_b32 exec_lo, exec_lo, s5
.LBB354_70:
	s_wait_alu 0xfffe
	s_or_b32 exec_lo, exec_lo, s1
	ds_bpermute_b32 v0, v20, v35
	ds_bpermute_b32 v1, v20, v36
	;; [unrolled: 1-line block ×15, first 2 shown]
	s_mov_b32 s0, exec_lo
	s_wait_dscnt 0xd
	v_dual_add_f32 v0, v35, v0 :: v_dual_add_f32 v1, v36, v1
	s_wait_dscnt 0xb
	v_dual_add_f32 v2, v34, v2 :: v_dual_add_f32 v3, v33, v3
	;; [unrolled: 2-line block ×3, first 2 shown]
	ds_bpermute_b32 v15, v19, v0
	ds_bpermute_b32 v17, v19, v2
	;; [unrolled: 1-line block ×4, first 2 shown]
	s_wait_dscnt 0xc
	v_add_f32_e32 v22, v22, v14
	ds_bpermute_b32 v30, v19, v7
	s_wait_dscnt 0xb
	v_dual_add_f32 v24, v24, v12 :: v_dual_add_f32 v23, v23, v13
	s_wait_dscnt 0x9
	v_dual_add_f32 v4, v32, v4 :: v_dual_add_f32 v5, v31, v5
	;; [unrolled: 2-line block ×4, first 2 shown]
	ds_bpermute_b32 v20, v19, v4
	ds_bpermute_b32 v29, v19, v5
	;; [unrolled: 1-line block ×6, first 2 shown]
	s_wait_dscnt 0xa
	v_add_f32_e32 v14, v0, v15
	scratch_load_b32 v15, off, off th:TH_LOAD_LU ; 4-byte Folded Reload
	s_wait_dscnt 0x9
	v_add_f32_e32 v12, v2, v17
	scratch_load_b32 v17, off, off offset:408 th:TH_LOAD_LU ; 4-byte Folded Reload
	ds_bpermute_b32 v34, v19, v25
	ds_bpermute_b32 v35, v19, v24
	ds_bpermute_b32 v36, v19, v23
	s_wait_dscnt 0xb
	v_add_f32_e32 v13, v1, v16
	ds_bpermute_b32 v19, v19, v22
	s_wait_dscnt 0xb
	v_add_f32_e32 v11, v3, v18
	s_wait_dscnt 0xa
	v_add_f32_e32 v7, v7, v30
	v_and_b32_e32 v18, 0x3c3, v178
	s_wait_storecnt 0x0
	s_wait_loadcnt_dscnt 0x0
	s_barrier_signal -1
	v_dual_add_f32 v10, v4, v20 :: v_dual_add_f32 v9, v5, v29
	v_add_f32_e32 v8, v6, v8
	v_dual_add_f32 v6, v28, v31 :: v_dual_add_f32 v5, v27, v32
	v_add_f32_e32 v4, v26, v33
	s_barrier_wait -1
	global_inv scope:SCOPE_SE
	v_dual_add_f32 v3, v25, v34 :: v_dual_add_f32 v0, v24, v35
	v_dual_add_f32 v1, v23, v36 :: v_dual_add_f32 v2, v22, v19
	v_and_b32_e32 v16, 28, v15
	v_lshrrev_b32_e32 v15, 2, v15
	v_mul_u32_u24_e32 v17, 0x1e0, v17
	s_delay_alu instid0(VALU_DEP_3)
	v_add_nc_u32_e32 v16, 0x110, v16
	v_cmpx_eq_u32_e32 64, v18
	s_cbranch_execz .LBB354_72
; %bb.71:
	s_delay_alu instid0(VALU_DEP_2) | instskip(NEXT) | instid1(VALU_DEP_1)
	v_add_nc_u32_e32 v18, v16, v17
	v_add_nc_u32_e32 v19, 0xfffffc40, v18
	;; [unrolled: 1-line block ×9, first 2 shown]
	ds_store_b32 v19, v14
	ds_store_b32 v20, v13
	;; [unrolled: 1-line block ×8, first 2 shown]
	v_add_nc_u32_e32 v19, 0xfffffd40, v18
	v_add_nc_u32_e32 v20, 0xfffffd60, v18
	;; [unrolled: 1-line block ×7, first 2 shown]
	ds_store_b32 v19, v6
	ds_store_b32 v20, v5
	;; [unrolled: 1-line block ×7, first 2 shown]
.LBB354_72:
	s_wait_alu 0xfffe
	s_or_b32 exec_lo, exec_lo, s0
	v_lshlrev_b32_e32 v15, 2, v15
	s_mov_b32 s1, exec_lo
	v_cmp_eq_u32_e32 vcc_lo, 0, v21
	s_wait_loadcnt_dscnt 0x0
	s_barrier_signal -1
	v_add3_u32 v15, 0x110, v17, v15
	s_barrier_wait -1
	global_inv scope:SCOPE_SE
	v_cmpx_gt_u32_e32 64, v178
	s_cbranch_execz .LBB354_90
; %bb.73:
	s_and_saveexec_b32 s0, vcc_lo
	s_cbranch_execnz .LBB354_113
; %bb.74:
	s_wait_alu 0xfffe
	s_or_b32 exec_lo, exec_lo, s0
	s_and_saveexec_b32 s0, vcc_lo
	s_cbranch_execnz .LBB354_114
.LBB354_75:
	s_wait_alu 0xfffe
	s_or_b32 exec_lo, exec_lo, s0
	s_and_saveexec_b32 s0, vcc_lo
	s_cbranch_execnz .LBB354_115
.LBB354_76:
	s_wait_alu 0xfffe
	s_or_b32 exec_lo, exec_lo, s0
	s_and_saveexec_b32 s0, vcc_lo
	s_cbranch_execnz .LBB354_116
.LBB354_77:
	s_wait_alu 0xfffe
	s_or_b32 exec_lo, exec_lo, s0
	s_and_saveexec_b32 s0, vcc_lo
	s_cbranch_execnz .LBB354_117
.LBB354_78:
	s_wait_alu 0xfffe
	s_or_b32 exec_lo, exec_lo, s0
	s_and_saveexec_b32 s0, vcc_lo
	s_cbranch_execnz .LBB354_118
.LBB354_79:
	s_wait_alu 0xfffe
	s_or_b32 exec_lo, exec_lo, s0
	s_and_saveexec_b32 s0, vcc_lo
	s_cbranch_execnz .LBB354_119
.LBB354_80:
	s_wait_alu 0xfffe
	s_or_b32 exec_lo, exec_lo, s0
	s_and_saveexec_b32 s0, vcc_lo
	s_cbranch_execnz .LBB354_120
.LBB354_81:
	s_wait_alu 0xfffe
	s_or_b32 exec_lo, exec_lo, s0
	s_and_saveexec_b32 s0, vcc_lo
	s_cbranch_execnz .LBB354_121
.LBB354_82:
	s_wait_alu 0xfffe
	s_or_b32 exec_lo, exec_lo, s0
	s_and_saveexec_b32 s0, vcc_lo
	s_cbranch_execnz .LBB354_122
.LBB354_83:
	s_wait_alu 0xfffe
	s_or_b32 exec_lo, exec_lo, s0
	s_and_saveexec_b32 s0, vcc_lo
	s_cbranch_execnz .LBB354_123
.LBB354_84:
	s_wait_alu 0xfffe
	s_or_b32 exec_lo, exec_lo, s0
	s_and_saveexec_b32 s0, vcc_lo
	s_cbranch_execnz .LBB354_124
.LBB354_85:
	s_wait_alu 0xfffe
	s_or_b32 exec_lo, exec_lo, s0
	s_and_saveexec_b32 s0, vcc_lo
	s_cbranch_execnz .LBB354_125
.LBB354_86:
	s_wait_alu 0xfffe
	s_or_b32 exec_lo, exec_lo, s0
	s_and_saveexec_b32 s0, vcc_lo
	s_cbranch_execnz .LBB354_126
.LBB354_87:
	s_wait_alu 0xfffe
	s_or_b32 exec_lo, exec_lo, s0
	s_and_saveexec_b32 s0, vcc_lo
	s_cbranch_execz .LBB354_89
.LBB354_88:
	ds_load_b32 v17, v15 offset:448
	s_wait_dscnt 0x0
	v_add_f32_e32 v2, v2, v17
.LBB354_89:
	s_wait_alu 0xfffe
	s_or_b32 exec_lo, exec_lo, s0
.LBB354_90:
	s_wait_alu 0xfffe
	s_or_b32 exec_lo, exec_lo, s1
	v_and_b32_e32 v17, 0x3e3, v178
	s_mov_b32 s1, exec_lo
	s_wait_loadcnt 0x0
	s_barrier_signal -1
	s_barrier_wait -1
	global_inv scope:SCOPE_SE
	v_cmpx_eq_u32_e32 32, v17
	s_cbranch_execz .LBB354_92
; %bb.91:
	ds_store_2addr_b32 v16, v14, v13 offset1:8
	ds_store_2addr_b32 v16, v12, v11 offset0:16 offset1:24
	ds_store_2addr_b32 v16, v10, v9 offset0:32 offset1:40
	;; [unrolled: 1-line block ×6, first 2 shown]
	ds_store_b32 v16, v2 offset:448
.LBB354_92:
	s_wait_alu 0xfffe
	s_or_b32 exec_lo, exec_lo, s1
	s_delay_alu instid0(SALU_CYCLE_1)
	s_mov_b32 s1, exec_lo
	s_wait_loadcnt_dscnt 0x0
	s_barrier_signal -1
	s_barrier_wait -1
	global_inv scope:SCOPE_SE
	v_cmpx_gt_u32_e32 32, v178
	s_cbranch_execz .LBB354_110
; %bb.93:
	s_and_saveexec_b32 s0, vcc_lo
	s_cbranch_execnz .LBB354_127
; %bb.94:
	s_wait_alu 0xfffe
	s_or_b32 exec_lo, exec_lo, s0
	s_and_saveexec_b32 s0, vcc_lo
	s_cbranch_execnz .LBB354_128
.LBB354_95:
	s_wait_alu 0xfffe
	s_or_b32 exec_lo, exec_lo, s0
	s_and_saveexec_b32 s0, vcc_lo
	s_cbranch_execnz .LBB354_129
.LBB354_96:
	s_wait_alu 0xfffe
	s_or_b32 exec_lo, exec_lo, s0
	s_and_saveexec_b32 s0, vcc_lo
	s_cbranch_execnz .LBB354_130
.LBB354_97:
	s_wait_alu 0xfffe
	s_or_b32 exec_lo, exec_lo, s0
	s_and_saveexec_b32 s0, vcc_lo
	s_cbranch_execnz .LBB354_131
.LBB354_98:
	s_wait_alu 0xfffe
	s_or_b32 exec_lo, exec_lo, s0
	s_and_saveexec_b32 s0, vcc_lo
	s_cbranch_execnz .LBB354_132
.LBB354_99:
	s_wait_alu 0xfffe
	s_or_b32 exec_lo, exec_lo, s0
	s_and_saveexec_b32 s0, vcc_lo
	s_cbranch_execnz .LBB354_133
.LBB354_100:
	s_wait_alu 0xfffe
	s_or_b32 exec_lo, exec_lo, s0
	s_and_saveexec_b32 s0, vcc_lo
	s_cbranch_execnz .LBB354_134
.LBB354_101:
	s_wait_alu 0xfffe
	s_or_b32 exec_lo, exec_lo, s0
	s_and_saveexec_b32 s0, vcc_lo
	s_cbranch_execnz .LBB354_135
.LBB354_102:
	s_wait_alu 0xfffe
	s_or_b32 exec_lo, exec_lo, s0
	s_and_saveexec_b32 s0, vcc_lo
	s_cbranch_execnz .LBB354_136
.LBB354_103:
	s_wait_alu 0xfffe
	s_or_b32 exec_lo, exec_lo, s0
	s_and_saveexec_b32 s0, vcc_lo
	s_cbranch_execnz .LBB354_137
.LBB354_104:
	s_wait_alu 0xfffe
	s_or_b32 exec_lo, exec_lo, s0
	s_and_saveexec_b32 s0, vcc_lo
	s_cbranch_execnz .LBB354_138
.LBB354_105:
	s_wait_alu 0xfffe
	s_or_b32 exec_lo, exec_lo, s0
	s_and_saveexec_b32 s0, vcc_lo
	s_cbranch_execnz .LBB354_139
.LBB354_106:
	s_wait_alu 0xfffe
	s_or_b32 exec_lo, exec_lo, s0
	s_and_saveexec_b32 s0, vcc_lo
	s_cbranch_execnz .LBB354_140
.LBB354_107:
	s_wait_alu 0xfffe
	s_or_b32 exec_lo, exec_lo, s0
	s_and_saveexec_b32 s0, vcc_lo
	s_cbranch_execz .LBB354_109
.LBB354_108:
	ds_load_b32 v15, v15 offset:448
	s_wait_dscnt 0x0
	v_add_f32_e32 v2, v2, v15
.LBB354_109:
	s_wait_alu 0xfffe
	s_or_b32 exec_lo, exec_lo, s0
.LBB354_110:
	s_wait_alu 0xfffe
	s_or_b32 exec_lo, exec_lo, s1
	s_mov_b32 s1, 0
	s_wait_loadcnt 0x0
	s_barrier_signal -1
	s_barrier_wait -1
	global_inv scope:SCOPE_SE
	s_mov_b32 s0, exec_lo
	v_cmpx_eq_u32_e32 0, v17
	s_cbranch_execz .LBB354_112
; %bb.111:
	v_bfe_u32 v15, v14, 16, 1
	v_bfe_u32 v16, v13, 16, 1
	v_or_b32_e32 v18, 0x400000, v14
	v_cmp_u_f32_e32 vcc_lo, v14, v14
	v_or_b32_e32 v19, 0x400000, v13
	v_add3_u32 v15, v15, v14, 0x7fff
	v_add3_u32 v16, v16, v13, 0x7fff
	v_bfe_u32 v20, v12, 16, 1
	s_mul_i32 s2, s28, 0x78
	s_mul_i32 s4, s7, s20
	s_wait_alu 0xfffd
	v_cndmask_b32_e32 v14, v15, v18, vcc_lo
	v_cmp_u_f32_e32 vcc_lo, v13, v13
	v_bfe_u32 v15, v11, 16, 1
	v_or_b32_e32 v18, 0x400000, v12
	s_wait_alu 0xfffe
	s_ashr_i32 s3, s2, 31
	s_ashr_i32 s5, s4, 31
	s_wait_alu 0xfffd
	v_cndmask_b32_e32 v13, v16, v19, vcc_lo
	v_add3_u32 v16, v20, v12, 0x7fff
	v_cmp_u_f32_e32 vcc_lo, v12, v12
	v_add3_u32 v15, v15, v11, 0x7fff
	v_or_b32_e32 v19, 0x400000, v11
	v_bfe_u32 v20, v10, 16, 1
	s_wait_alu 0xfffe
	s_lshl_b64 s[2:3], s[2:3], 1
	s_wait_alu 0xfffd
	v_cndmask_b32_e32 v12, v16, v18, vcc_lo
	v_cmp_u_f32_e32 vcc_lo, v11, v11
	v_bfe_u32 v16, v9, 16, 1
	v_or_b32_e32 v18, 0x400000, v10
	s_lshl_b64 s[4:5], s[4:5], 1
	s_wait_kmcnt 0x0
	s_wait_alu 0xfffe
	s_add_nc_u64 s[2:3], s[8:9], s[2:3]
	s_wait_alu 0xfffd
	v_cndmask_b32_e32 v11, v15, v19, vcc_lo
	v_add3_u32 v15, v20, v10, 0x7fff
	v_cmp_u_f32_e32 vcc_lo, v10, v10
	v_add3_u32 v16, v16, v9, 0x7fff
	v_or_b32_e32 v19, 0x400000, v9
	v_bfe_u32 v20, v8, 16, 1
	v_lshrrev_b32_e32 v17, 1, v178
	s_wait_alu 0xfffd
	v_cndmask_b32_e32 v10, v15, v18, vcc_lo
	v_cmp_u_f32_e32 vcc_lo, v9, v9
	v_bfe_u32 v15, v7, 16, 1
	v_or_b32_e32 v18, 0x400000, v8
	s_wait_alu 0xfffe
	s_add_nc_u64 s[2:3], s[2:3], s[4:5]
	s_mul_i32 s0, s33, 0xf0
	s_wait_alu 0xfffd
	v_cndmask_b32_e32 v9, v16, v19, vcc_lo
	v_add3_u32 v16, v20, v8, 0x7fff
	v_cmp_u_f32_e32 vcc_lo, v8, v8
	v_add3_u32 v15, v15, v7, 0x7fff
	v_or_b32_e32 v19, 0x400000, v7
	v_bfe_u32 v20, v6, 16, 1
	s_wait_alu 0xfffe
	s_add_nc_u64 s[0:1], s[2:3], s[0:1]
	s_wait_alu 0xfffd
	v_cndmask_b32_e32 v8, v16, v18, vcc_lo
	v_cmp_u_f32_e32 vcc_lo, v7, v7
	v_or_b32_e32 v16, 0x400000, v6
	v_bfe_u32 v18, v5, 16, 1
	s_wait_alu 0xfffd
	v_cndmask_b32_e32 v7, v15, v19, vcc_lo
	v_add3_u32 v15, v20, v6, 0x7fff
	v_cmp_u_f32_e32 vcc_lo, v6, v6
	s_clause 0x7
	global_store_d16_hi_b16 v17, v14, s[0:1]
	global_store_d16_hi_b16 v17, v13, s[0:1] offset:16
	global_store_d16_hi_b16 v17, v12, s[0:1] offset:32
	;; [unrolled: 1-line block ×7, first 2 shown]
	v_bfe_u32 v7, v4, 16, 1
	v_add3_u32 v8, v18, v5, 0x7fff
	v_or_b32_e32 v9, 0x400000, v5
	s_wait_alu 0xfffd
	v_cndmask_b32_e32 v6, v15, v16, vcc_lo
	v_cmp_u_f32_e32 vcc_lo, v5, v5
	v_bfe_u32 v10, v3, 16, 1
	v_add3_u32 v7, v7, v4, 0x7fff
	v_or_b32_e32 v11, 0x400000, v4
	v_or_b32_e32 v12, 0x400000, v2
	s_wait_alu 0xfffd
	v_cndmask_b32_e32 v5, v8, v9, vcc_lo
	v_cmp_u_f32_e32 vcc_lo, v4, v4
	v_add3_u32 v8, v10, v3, 0x7fff
	v_or_b32_e32 v9, 0x400000, v3
	v_bfe_u32 v10, v1, 16, 1
	s_wait_alu 0xfffd
	v_cndmask_b32_e32 v4, v7, v11, vcc_lo
	v_bfe_u32 v7, v0, 16, 1
	v_cmp_u_f32_e32 vcc_lo, v3, v3
	v_add3_u32 v10, v10, v1, 0x7fff
	v_or_b32_e32 v11, 0x400000, v1
	s_delay_alu instid0(VALU_DEP_4)
	v_add3_u32 v7, v7, v0, 0x7fff
	s_wait_alu 0xfffd
	v_cndmask_b32_e32 v3, v8, v9, vcc_lo
	v_or_b32_e32 v9, 0x400000, v0
	v_cmp_u_f32_e32 vcc_lo, v0, v0
	v_bfe_u32 v8, v2, 16, 1
	s_wait_alu 0xfffd
	s_delay_alu instid0(VALU_DEP_3) | instskip(SKIP_1) | instid1(VALU_DEP_3)
	v_cndmask_b32_e32 v0, v7, v9, vcc_lo
	v_cmp_u_f32_e32 vcc_lo, v1, v1
	v_add3_u32 v8, v8, v2, 0x7fff
	s_wait_alu 0xfffd
	v_cndmask_b32_e32 v1, v10, v11, vcc_lo
	v_cmp_u_f32_e32 vcc_lo, v2, v2
	s_wait_alu 0xfffd
	v_cndmask_b32_e32 v2, v8, v12, vcc_lo
	s_clause 0x6
	global_store_d16_hi_b16 v17, v6, s[0:1] offset:128
	global_store_d16_hi_b16 v17, v5, s[0:1] offset:144
	;; [unrolled: 1-line block ×7, first 2 shown]
.LBB354_112:
	s_nop 0
	s_sendmsg sendmsg(MSG_DEALLOC_VGPRS)
	s_endpgm
.LBB354_113:
	ds_load_b32 v17, v15
	s_wait_dscnt 0x0
	v_add_f32_e32 v14, v14, v17
	s_wait_alu 0xfffe
	s_or_b32 exec_lo, exec_lo, s0
	s_and_saveexec_b32 s0, vcc_lo
	s_cbranch_execz .LBB354_75
.LBB354_114:
	ds_load_b32 v17, v15 offset:32
	s_wait_dscnt 0x0
	v_add_f32_e32 v13, v13, v17
	s_wait_alu 0xfffe
	s_or_b32 exec_lo, exec_lo, s0
	s_and_saveexec_b32 s0, vcc_lo
	s_cbranch_execz .LBB354_76
.LBB354_115:
	ds_load_b32 v17, v15 offset:64
	s_wait_dscnt 0x0
	v_add_f32_e32 v12, v12, v17
	s_wait_alu 0xfffe
	s_or_b32 exec_lo, exec_lo, s0
	s_and_saveexec_b32 s0, vcc_lo
	s_cbranch_execz .LBB354_77
.LBB354_116:
	ds_load_b32 v17, v15 offset:96
	s_wait_dscnt 0x0
	v_add_f32_e32 v11, v11, v17
	s_wait_alu 0xfffe
	s_or_b32 exec_lo, exec_lo, s0
	s_and_saveexec_b32 s0, vcc_lo
	s_cbranch_execz .LBB354_78
.LBB354_117:
	ds_load_b32 v17, v15 offset:128
	s_wait_dscnt 0x0
	v_add_f32_e32 v10, v10, v17
	s_wait_alu 0xfffe
	s_or_b32 exec_lo, exec_lo, s0
	s_and_saveexec_b32 s0, vcc_lo
	s_cbranch_execz .LBB354_79
.LBB354_118:
	ds_load_b32 v17, v15 offset:160
	s_wait_dscnt 0x0
	v_add_f32_e32 v9, v9, v17
	s_wait_alu 0xfffe
	s_or_b32 exec_lo, exec_lo, s0
	s_and_saveexec_b32 s0, vcc_lo
	s_cbranch_execz .LBB354_80
.LBB354_119:
	ds_load_b32 v17, v15 offset:192
	s_wait_dscnt 0x0
	v_add_f32_e32 v8, v8, v17
	s_wait_alu 0xfffe
	s_or_b32 exec_lo, exec_lo, s0
	s_and_saveexec_b32 s0, vcc_lo
	s_cbranch_execz .LBB354_81
.LBB354_120:
	ds_load_b32 v17, v15 offset:224
	s_wait_dscnt 0x0
	v_add_f32_e32 v7, v7, v17
	s_wait_alu 0xfffe
	s_or_b32 exec_lo, exec_lo, s0
	s_and_saveexec_b32 s0, vcc_lo
	s_cbranch_execz .LBB354_82
.LBB354_121:
	ds_load_b32 v17, v15 offset:256
	s_wait_dscnt 0x0
	v_add_f32_e32 v6, v6, v17
	s_wait_alu 0xfffe
	s_or_b32 exec_lo, exec_lo, s0
	s_and_saveexec_b32 s0, vcc_lo
	s_cbranch_execz .LBB354_83
.LBB354_122:
	ds_load_b32 v17, v15 offset:288
	s_wait_dscnt 0x0
	v_add_f32_e32 v5, v5, v17
	s_wait_alu 0xfffe
	s_or_b32 exec_lo, exec_lo, s0
	s_and_saveexec_b32 s0, vcc_lo
	s_cbranch_execz .LBB354_84
.LBB354_123:
	ds_load_b32 v17, v15 offset:320
	s_wait_dscnt 0x0
	v_add_f32_e32 v4, v4, v17
	s_wait_alu 0xfffe
	s_or_b32 exec_lo, exec_lo, s0
	s_and_saveexec_b32 s0, vcc_lo
	s_cbranch_execz .LBB354_85
.LBB354_124:
	ds_load_b32 v17, v15 offset:352
	s_wait_dscnt 0x0
	v_add_f32_e32 v3, v3, v17
	s_wait_alu 0xfffe
	s_or_b32 exec_lo, exec_lo, s0
	s_and_saveexec_b32 s0, vcc_lo
	s_cbranch_execz .LBB354_86
.LBB354_125:
	ds_load_b32 v17, v15 offset:384
	s_wait_dscnt 0x0
	v_add_f32_e32 v0, v0, v17
	s_wait_alu 0xfffe
	s_or_b32 exec_lo, exec_lo, s0
	s_and_saveexec_b32 s0, vcc_lo
	s_cbranch_execz .LBB354_87
.LBB354_126:
	ds_load_b32 v17, v15 offset:416
	s_wait_dscnt 0x0
	v_add_f32_e32 v1, v1, v17
	s_wait_alu 0xfffe
	s_or_b32 exec_lo, exec_lo, s0
	s_and_saveexec_b32 s0, vcc_lo
	s_cbranch_execnz .LBB354_88
	s_branch .LBB354_89
.LBB354_127:
	ds_load_b32 v16, v15
	s_wait_dscnt 0x0
	v_add_f32_e32 v14, v14, v16
	s_wait_alu 0xfffe
	s_or_b32 exec_lo, exec_lo, s0
	s_and_saveexec_b32 s0, vcc_lo
	s_cbranch_execz .LBB354_95
.LBB354_128:
	ds_load_b32 v16, v15 offset:32
	s_wait_dscnt 0x0
	v_add_f32_e32 v13, v13, v16
	s_wait_alu 0xfffe
	s_or_b32 exec_lo, exec_lo, s0
	s_and_saveexec_b32 s0, vcc_lo
	s_cbranch_execz .LBB354_96
.LBB354_129:
	ds_load_b32 v16, v15 offset:64
	s_wait_dscnt 0x0
	v_add_f32_e32 v12, v12, v16
	s_wait_alu 0xfffe
	s_or_b32 exec_lo, exec_lo, s0
	s_and_saveexec_b32 s0, vcc_lo
	s_cbranch_execz .LBB354_97
.LBB354_130:
	ds_load_b32 v16, v15 offset:96
	s_wait_dscnt 0x0
	v_add_f32_e32 v11, v11, v16
	s_wait_alu 0xfffe
	s_or_b32 exec_lo, exec_lo, s0
	s_and_saveexec_b32 s0, vcc_lo
	s_cbranch_execz .LBB354_98
.LBB354_131:
	ds_load_b32 v16, v15 offset:128
	s_wait_dscnt 0x0
	v_add_f32_e32 v10, v10, v16
	s_wait_alu 0xfffe
	s_or_b32 exec_lo, exec_lo, s0
	s_and_saveexec_b32 s0, vcc_lo
	s_cbranch_execz .LBB354_99
.LBB354_132:
	ds_load_b32 v16, v15 offset:160
	s_wait_dscnt 0x0
	v_add_f32_e32 v9, v9, v16
	s_wait_alu 0xfffe
	s_or_b32 exec_lo, exec_lo, s0
	s_and_saveexec_b32 s0, vcc_lo
	s_cbranch_execz .LBB354_100
.LBB354_133:
	ds_load_b32 v16, v15 offset:192
	s_wait_dscnt 0x0
	v_add_f32_e32 v8, v8, v16
	s_wait_alu 0xfffe
	s_or_b32 exec_lo, exec_lo, s0
	s_and_saveexec_b32 s0, vcc_lo
	s_cbranch_execz .LBB354_101
.LBB354_134:
	ds_load_b32 v16, v15 offset:224
	s_wait_dscnt 0x0
	v_add_f32_e32 v7, v7, v16
	s_wait_alu 0xfffe
	s_or_b32 exec_lo, exec_lo, s0
	s_and_saveexec_b32 s0, vcc_lo
	s_cbranch_execz .LBB354_102
.LBB354_135:
	ds_load_b32 v16, v15 offset:256
	s_wait_dscnt 0x0
	v_add_f32_e32 v6, v6, v16
	s_wait_alu 0xfffe
	s_or_b32 exec_lo, exec_lo, s0
	s_and_saveexec_b32 s0, vcc_lo
	s_cbranch_execz .LBB354_103
.LBB354_136:
	ds_load_b32 v16, v15 offset:288
	s_wait_dscnt 0x0
	v_add_f32_e32 v5, v5, v16
	s_wait_alu 0xfffe
	s_or_b32 exec_lo, exec_lo, s0
	s_and_saveexec_b32 s0, vcc_lo
	s_cbranch_execz .LBB354_104
.LBB354_137:
	ds_load_b32 v16, v15 offset:320
	s_wait_dscnt 0x0
	v_add_f32_e32 v4, v4, v16
	s_wait_alu 0xfffe
	s_or_b32 exec_lo, exec_lo, s0
	s_and_saveexec_b32 s0, vcc_lo
	s_cbranch_execz .LBB354_105
.LBB354_138:
	ds_load_b32 v16, v15 offset:352
	s_wait_dscnt 0x0
	v_add_f32_e32 v3, v3, v16
	s_wait_alu 0xfffe
	s_or_b32 exec_lo, exec_lo, s0
	s_and_saveexec_b32 s0, vcc_lo
	s_cbranch_execz .LBB354_106
.LBB354_139:
	ds_load_b32 v16, v15 offset:384
	s_wait_dscnt 0x0
	v_add_f32_e32 v0, v0, v16
	s_wait_alu 0xfffe
	s_or_b32 exec_lo, exec_lo, s0
	s_and_saveexec_b32 s0, vcc_lo
	s_cbranch_execz .LBB354_107
.LBB354_140:
	ds_load_b32 v16, v15 offset:416
	s_wait_dscnt 0x0
	v_add_f32_e32 v1, v1, v16
	s_wait_alu 0xfffe
	s_or_b32 exec_lo, exec_lo, s0
	s_and_saveexec_b32 s0, vcc_lo
	s_cbranch_execnz .LBB354_108
	s_branch .LBB354_109
	.section	.rodata,"a",@progbits
	.p2align	6, 0x0
	.amdhsa_kernel _ZN4vllm25paged_attention_v2_kernelI14__hip_bfloat16hLi120ELi32ELi128ELNS_18Fp8KVCacheDataTypeE1ELb1ELi512EEEvPfS3_PT_PKS4_PKT0_SA_ifPKiSC_iPKfiiiSE_SE_iiiii
		.amdhsa_group_segment_fixed_size 272
		.amdhsa_private_segment_fixed_size 424
		.amdhsa_kernarg_size 400
		.amdhsa_user_sgpr_count 2
		.amdhsa_user_sgpr_dispatch_ptr 0
		.amdhsa_user_sgpr_queue_ptr 0
		.amdhsa_user_sgpr_kernarg_segment_ptr 1
		.amdhsa_user_sgpr_dispatch_id 0
		.amdhsa_user_sgpr_private_segment_size 0
		.amdhsa_wavefront_size32 1
		.amdhsa_uses_dynamic_stack 0
		.amdhsa_enable_private_segment 1
		.amdhsa_system_sgpr_workgroup_id_x 1
		.amdhsa_system_sgpr_workgroup_id_y 1
		.amdhsa_system_sgpr_workgroup_id_z 1
		.amdhsa_system_sgpr_workgroup_info 0
		.amdhsa_system_vgpr_workitem_id 0
		.amdhsa_next_free_vgpr 192
		.amdhsa_next_free_sgpr 44
		.amdhsa_reserve_vcc 1
		.amdhsa_float_round_mode_32 0
		.amdhsa_float_round_mode_16_64 0
		.amdhsa_float_denorm_mode_32 3
		.amdhsa_float_denorm_mode_16_64 3
		.amdhsa_fp16_overflow 0
		.amdhsa_workgroup_processor_mode 1
		.amdhsa_memory_ordered 1
		.amdhsa_forward_progress 1
		.amdhsa_inst_pref_size 255
		.amdhsa_round_robin_scheduling 0
		.amdhsa_exception_fp_ieee_invalid_op 0
		.amdhsa_exception_fp_denorm_src 0
		.amdhsa_exception_fp_ieee_div_zero 0
		.amdhsa_exception_fp_ieee_overflow 0
		.amdhsa_exception_fp_ieee_underflow 0
		.amdhsa_exception_fp_ieee_inexact 0
		.amdhsa_exception_int_div_zero 0
	.end_amdhsa_kernel
	.section	.text._ZN4vllm25paged_attention_v2_kernelI14__hip_bfloat16hLi120ELi32ELi128ELNS_18Fp8KVCacheDataTypeE1ELb1ELi512EEEvPfS3_PT_PKS4_PKT0_SA_ifPKiSC_iPKfiiiSE_SE_iiiii,"axG",@progbits,_ZN4vllm25paged_attention_v2_kernelI14__hip_bfloat16hLi120ELi32ELi128ELNS_18Fp8KVCacheDataTypeE1ELb1ELi512EEEvPfS3_PT_PKS4_PKT0_SA_ifPKiSC_iPKfiiiSE_SE_iiiii,comdat
.Lfunc_end354:
	.size	_ZN4vllm25paged_attention_v2_kernelI14__hip_bfloat16hLi120ELi32ELi128ELNS_18Fp8KVCacheDataTypeE1ELb1ELi512EEEvPfS3_PT_PKS4_PKT0_SA_ifPKiSC_iPKfiiiSE_SE_iiiii, .Lfunc_end354-_ZN4vllm25paged_attention_v2_kernelI14__hip_bfloat16hLi120ELi32ELi128ELNS_18Fp8KVCacheDataTypeE1ELb1ELi512EEEvPfS3_PT_PKS4_PKT0_SA_ifPKiSC_iPKfiiiSE_SE_iiiii
                                        ; -- End function
	.set _ZN4vllm25paged_attention_v2_kernelI14__hip_bfloat16hLi120ELi32ELi128ELNS_18Fp8KVCacheDataTypeE1ELb1ELi512EEEvPfS3_PT_PKS4_PKT0_SA_ifPKiSC_iPKfiiiSE_SE_iiiii.num_vgpr, 192
	.set _ZN4vllm25paged_attention_v2_kernelI14__hip_bfloat16hLi120ELi32ELi128ELNS_18Fp8KVCacheDataTypeE1ELb1ELi512EEEvPfS3_PT_PKS4_PKT0_SA_ifPKiSC_iPKfiiiSE_SE_iiiii.num_agpr, 0
	.set _ZN4vllm25paged_attention_v2_kernelI14__hip_bfloat16hLi120ELi32ELi128ELNS_18Fp8KVCacheDataTypeE1ELb1ELi512EEEvPfS3_PT_PKS4_PKT0_SA_ifPKiSC_iPKfiiiSE_SE_iiiii.numbered_sgpr, 44
	.set _ZN4vllm25paged_attention_v2_kernelI14__hip_bfloat16hLi120ELi32ELi128ELNS_18Fp8KVCacheDataTypeE1ELb1ELi512EEEvPfS3_PT_PKS4_PKT0_SA_ifPKiSC_iPKfiiiSE_SE_iiiii.num_named_barrier, 0
	.set _ZN4vllm25paged_attention_v2_kernelI14__hip_bfloat16hLi120ELi32ELi128ELNS_18Fp8KVCacheDataTypeE1ELb1ELi512EEEvPfS3_PT_PKS4_PKT0_SA_ifPKiSC_iPKfiiiSE_SE_iiiii.private_seg_size, 424
	.set _ZN4vllm25paged_attention_v2_kernelI14__hip_bfloat16hLi120ELi32ELi128ELNS_18Fp8KVCacheDataTypeE1ELb1ELi512EEEvPfS3_PT_PKS4_PKT0_SA_ifPKiSC_iPKfiiiSE_SE_iiiii.uses_vcc, 1
	.set _ZN4vllm25paged_attention_v2_kernelI14__hip_bfloat16hLi120ELi32ELi128ELNS_18Fp8KVCacheDataTypeE1ELb1ELi512EEEvPfS3_PT_PKS4_PKT0_SA_ifPKiSC_iPKfiiiSE_SE_iiiii.uses_flat_scratch, 1
	.set _ZN4vllm25paged_attention_v2_kernelI14__hip_bfloat16hLi120ELi32ELi128ELNS_18Fp8KVCacheDataTypeE1ELb1ELi512EEEvPfS3_PT_PKS4_PKT0_SA_ifPKiSC_iPKfiiiSE_SE_iiiii.has_dyn_sized_stack, 0
	.set _ZN4vllm25paged_attention_v2_kernelI14__hip_bfloat16hLi120ELi32ELi128ELNS_18Fp8KVCacheDataTypeE1ELb1ELi512EEEvPfS3_PT_PKS4_PKT0_SA_ifPKiSC_iPKfiiiSE_SE_iiiii.has_recursion, 0
	.set _ZN4vllm25paged_attention_v2_kernelI14__hip_bfloat16hLi120ELi32ELi128ELNS_18Fp8KVCacheDataTypeE1ELb1ELi512EEEvPfS3_PT_PKS4_PKT0_SA_ifPKiSC_iPKfiiiSE_SE_iiiii.has_indirect_call, 0
	.section	.AMDGPU.csdata,"",@progbits
; Kernel info:
; codeLenInByte = 40476
; TotalNumSgprs: 46
; NumVgprs: 192
; ScratchSize: 424
; MemoryBound: 0
; FloatMode: 240
; IeeeMode: 1
; LDSByteSize: 272 bytes/workgroup (compile time only)
; SGPRBlocks: 0
; VGPRBlocks: 23
; NumSGPRsForWavesPerEU: 46
; NumVGPRsForWavesPerEU: 192
; Occupancy: 8
; WaveLimiterHint : 1
; COMPUTE_PGM_RSRC2:SCRATCH_EN: 1
; COMPUTE_PGM_RSRC2:USER_SGPR: 2
; COMPUTE_PGM_RSRC2:TRAP_HANDLER: 0
; COMPUTE_PGM_RSRC2:TGID_X_EN: 1
; COMPUTE_PGM_RSRC2:TGID_Y_EN: 1
; COMPUTE_PGM_RSRC2:TGID_Z_EN: 1
; COMPUTE_PGM_RSRC2:TIDIG_COMP_CNT: 0
	.section	.text._ZN4vllm25paged_attention_v2_kernelI14__hip_bfloat16hLi128ELi32ELi128ELNS_18Fp8KVCacheDataTypeE1ELb1ELi512EEEvPfS3_PT_PKS4_PKT0_SA_ifPKiSC_iPKfiiiSE_SE_iiiii,"axG",@progbits,_ZN4vllm25paged_attention_v2_kernelI14__hip_bfloat16hLi128ELi32ELi128ELNS_18Fp8KVCacheDataTypeE1ELb1ELi512EEEvPfS3_PT_PKS4_PKT0_SA_ifPKiSC_iPKfiiiSE_SE_iiiii,comdat
	.protected	_ZN4vllm25paged_attention_v2_kernelI14__hip_bfloat16hLi128ELi32ELi128ELNS_18Fp8KVCacheDataTypeE1ELb1ELi512EEEvPfS3_PT_PKS4_PKT0_SA_ifPKiSC_iPKfiiiSE_SE_iiiii ; -- Begin function _ZN4vllm25paged_attention_v2_kernelI14__hip_bfloat16hLi128ELi32ELi128ELNS_18Fp8KVCacheDataTypeE1ELb1ELi512EEEvPfS3_PT_PKS4_PKT0_SA_ifPKiSC_iPKfiiiSE_SE_iiiii
	.globl	_ZN4vllm25paged_attention_v2_kernelI14__hip_bfloat16hLi128ELi32ELi128ELNS_18Fp8KVCacheDataTypeE1ELb1ELi512EEEvPfS3_PT_PKS4_PKT0_SA_ifPKiSC_iPKfiiiSE_SE_iiiii
	.p2align	8
	.type	_ZN4vllm25paged_attention_v2_kernelI14__hip_bfloat16hLi128ELi32ELi128ELNS_18Fp8KVCacheDataTypeE1ELb1ELi512EEEvPfS3_PT_PKS4_PKT0_SA_ifPKiSC_iPKfiiiSE_SE_iiiii,@function
_ZN4vllm25paged_attention_v2_kernelI14__hip_bfloat16hLi128ELi32ELi128ELNS_18Fp8KVCacheDataTypeE1ELb1ELi512EEEvPfS3_PT_PKS4_PKT0_SA_ifPKiSC_iPKfiiiSE_SE_iiiii: ; @_ZN4vllm25paged_attention_v2_kernelI14__hip_bfloat16hLi128ELi32ELi128ELNS_18Fp8KVCacheDataTypeE1ELb1ELi512EEEvPfS3_PT_PKS4_PKT0_SA_ifPKiSC_iPKfiiiSE_SE_iiiii
; %bb.0:
	s_load_b64 s[2:3], s[0:1], 0x40
	s_and_b32 s19, ttmp7, 0xffff
	s_lshr_b32 s33, ttmp7, 16
	s_lshl_b32 s4, s19, 2
	s_lshl_b32 s37, s33, 9
	s_wait_kmcnt 0x0
	s_load_b32 s34, s[2:3], s4 offset:0x0
	s_wait_kmcnt 0x0
	s_cmp_ge_i32 s37, s34
	s_cbranch_scc1 .LBB355_116
; %bb.1:
	s_clause 0x1
	s_load_b32 s36, s[0:1], 0x90
	s_load_b64 s[12:13], s[0:1], 0x30
	v_mov_b32_e32 v10, v0
	s_wait_kmcnt 0x0
	s_abs_i32 s5, s36
	s_abs_i32 s2, s12
	s_delay_alu instid0(SALU_CYCLE_1) | instskip(SKIP_1) | instid1(SALU_CYCLE_2)
	s_cvt_f32_u32 s3, s2
	s_sub_co_i32 s4, 0, s2
	v_rcp_iflag_f32_e32 v0, s3
	s_delay_alu instid0(TRANS32_DEP_1) | instskip(SKIP_2) | instid1(SALU_CYCLE_2)
	v_readfirstlane_b32 s3, v0
	s_mul_f32 s3, s3, 0x4f7ffffe
	s_wait_alu 0xfffe
	s_cvt_u32_f32 s3, s3
	s_wait_alu 0xfffe
	s_delay_alu instid0(SALU_CYCLE_2) | instskip(NEXT) | instid1(SALU_CYCLE_1)
	s_mul_i32 s4, s4, s3
	s_mul_hi_u32 s4, s3, s4
	s_delay_alu instid0(SALU_CYCLE_1)
	s_add_co_i32 s3, s3, s4
	s_xor_b32 s4, s36, s12
	s_wait_alu 0xfffe
	s_mul_hi_u32 s3, s5, s3
	s_ashr_i32 s4, s4, 31
	s_wait_alu 0xfffe
	s_mul_i32 s6, s3, s2
	s_delay_alu instid0(SALU_CYCLE_1)
	s_sub_co_i32 s5, s5, s6
	s_add_co_i32 s6, s3, 1
	s_sub_co_i32 s7, s5, s2
	s_cmp_ge_u32 s5, s2
	s_cselect_b32 s3, s6, s3
	s_cselect_b32 s5, s7, s5
	s_wait_alu 0xfffe
	s_add_co_i32 s6, s3, 1
	s_cmp_ge_u32 s5, s2
	s_cselect_b32 s2, s6, s3
	s_load_b64 s[6:7], s[0:1], 0x50
	s_xor_b32 s2, s2, s4
	s_mov_b32 s3, 0
	s_wait_alu 0xfffe
	s_sub_co_i32 s11, s2, s4
	s_mov_b32 s30, s3
	s_abs_i32 s10, s11
	s_delay_alu instid0(SALU_CYCLE_1) | instskip(SKIP_1) | instid1(SALU_CYCLE_2)
	s_cvt_f32_u32 s2, s10
	s_wait_alu 0xfffe
	v_rcp_iflag_f32_e32 v0, s2
	s_delay_alu instid0(TRANS32_DEP_1) | instskip(SKIP_2) | instid1(SALU_CYCLE_2)
	v_readfirstlane_b32 s2, v0
	s_mul_f32 s2, s2, 0x4f7ffffe
	s_wait_alu 0xfffe
	s_cvt_u32_f32 s4, s2
	s_sub_co_i32 s2, 0, s10
	s_wait_alu 0xfffe
	s_delay_alu instid0(SALU_CYCLE_1)
	s_mul_i32 s2, s2, s4
	s_wait_alu 0xfffe
	s_mul_hi_u32 s5, s4, s2
	s_abs_i32 s2, ttmp9
	s_add_co_i32 s4, s4, s5
	s_mov_b32 s5, s3
	s_wait_kmcnt 0x0
	s_cmp_eq_u64 s[6:7], 0
	s_cbranch_scc1 .LBB355_3
; %bb.2:
	s_mov_b32 s8, ttmp9
	s_ashr_i32 s9, ttmp9, 31
	s_delay_alu instid0(SALU_CYCLE_1) | instskip(NEXT) | instid1(SALU_CYCLE_1)
	s_lshl_b64 s[8:9], s[8:9], 2
	s_add_nc_u64 s[6:7], s[6:7], s[8:9]
	s_load_b32 s30, s[6:7], 0x0
.LBB355_3:
	s_load_b96 s[16:18], s[0:1], 0x58
	s_mul_u64 s[8:9], s[2:3], s[4:5]
	s_ashr_i32 s3, ttmp9, 31
	s_ashr_i32 s8, s11, 31
	s_lshl_b32 s20, ttmp9, 7
	s_mov_b32 s4, exec_lo
	v_cmpx_gt_u32_e32 16, v10
	s_cbranch_execz .LBB355_5
; %bb.4:
	s_load_b64 s[6:7], s[0:1], 0x18
	s_wait_kmcnt 0x0
	s_mul_i32 s14, s16, s19
	s_ashr_i32 s21, s20, 31
	s_ashr_i32 s15, s14, 31
	v_lshlrev_b32_e32 v4, 4, v10
	s_lshl_b64 s[14:15], s[14:15], 1
	s_delay_alu instid0(SALU_CYCLE_1) | instskip(SKIP_1) | instid1(SALU_CYCLE_1)
	s_add_nc_u64 s[6:7], s[6:7], s[14:15]
	s_lshl_b64 s[14:15], s[20:21], 1
	s_add_nc_u64 s[6:7], s[6:7], s[14:15]
	global_load_b128 v[0:3], v4, s[6:7]
	s_wait_loadcnt 0x0
	ds_store_b128 v4, v[0:3]
.LBB355_5:
	s_or_b32 exec_lo, exec_lo, s4
	s_load_b128 s[4:7], s[0:1], 0x78
	s_mul_i32 s11, s9, s10
	s_xor_b32 s3, s3, s8
	s_sub_co_i32 s2, s2, s11
	s_add_co_i32 s8, s9, 1
	s_wait_alu 0xfffe
	s_sub_co_i32 s11, s2, s10
	s_cmp_ge_u32 s2, s10
                                        ; implicit-def: $sgpr21
	s_cselect_b32 s8, s8, s9
	s_cselect_b32 s2, s11, s2
	s_add_co_i32 s9, s8, 1
	s_wait_alu 0xfffe
	s_cmp_ge_u32 s2, s10
	s_mov_b32 s10, -1
	s_cselect_b32 s2, s9, s8
	s_load_b32 s8, s[0:1], 0x88
	s_xor_b32 s2, s2, s3
	s_wait_dscnt 0x0
	s_wait_alu 0xfffe
	s_sub_co_i32 s28, s2, s3
	s_barrier_signal -1
	s_barrier_wait -1
	s_wait_kmcnt 0x0
	s_abs_i32 s16, s7
	global_inv scope:SCOPE_SE
	s_cvt_f32_u32 s9, s16
	s_delay_alu instid0(SALU_CYCLE_3) | instskip(NEXT) | instid1(TRANS32_DEP_1)
	v_rcp_iflag_f32_e32 v0, s9
	v_readfirstlane_b32 s9, v0
	s_mul_f32 s2, s9, 0x4f7ffffe
	s_add_co_i32 s9, s34, -1
	s_wait_alu 0xfffe
	s_delay_alu instid0(SALU_CYCLE_1) | instskip(SKIP_2) | instid1(SALU_CYCLE_1)
	s_cvt_u32_f32 s11, s2
	s_sub_co_i32 s2, 0, s16
	s_wait_alu 0xfffe
	s_mul_i32 s3, s2, s11
	s_abs_i32 s2, s9
	s_wait_alu 0xfffe
	s_mul_hi_u32 s14, s11, s3
	s_mov_b32 s3, 0
	s_add_co_i32 s22, s11, s14
	s_cmp_lt_i32 s8, 0
	s_wait_alu 0xfffe
	s_mov_b32 s23, s3
	s_cbranch_scc0 .LBB355_7
; %bb.6:
	s_mul_i32 s10, s4, s12
	s_delay_alu instid0(SALU_CYCLE_1) | instskip(NEXT) | instid1(SALU_CYCLE_1)
	s_add_co_i32 s10, s28, s10
	s_mul_i32 s10, s10, s8
	s_delay_alu instid0(SALU_CYCLE_1)
	s_sub_co_i32 s21, 1, s10
	s_mov_b32 s10, s3
.LBB355_7:
	s_mul_u64 s[14:15], s[2:3], s[22:23]
	s_ashr_i32 s3, s9, 31
	s_and_not1_b32 vcc_lo, exec_lo, s10
	s_ashr_i32 s23, s7, 31
	s_cbranch_vccnz .LBB355_9
; %bb.8:
	s_mul_i32 s4, s36, s4
	s_delay_alu instid0(SALU_CYCLE_1) | instskip(NEXT) | instid1(SALU_CYCLE_1)
	s_add_co_i32 s4, s4, ttmp9
	s_mul_i32 s4, s4, s8
	s_delay_alu instid0(SALU_CYCLE_1)
	s_add_co_i32 s21, s4, 1
.LBB355_9:
	s_clause 0x3
	s_load_b32 s4, s[0:1], 0x48
	s_load_b64 s[24:25], s[0:1], 0x38
	s_load_b32 s7, s[0:1], 0x98
	s_load_b128 s[8:11], s[0:1], 0x68
	s_mul_i32 s12, s15, s16
	s_xor_b32 s3, s3, s23
	s_sub_co_i32 s2, s2, s12
	s_add_co_i32 s14, s15, 1
	v_lshrrev_b32_e32 v0, 5, v10
	v_dual_mov_b32 v132, 0xff7fffff :: v_dual_and_b32 v1, 31, v10
	s_mul_i32 s28, s28, s18
	s_delay_alu instid0(VALU_DEP_2) | instskip(NEXT) | instid1(VALU_DEP_2)
	v_lshl_add_u32 v17, v0, 5, s37
	v_lshlrev_b32_e32 v23, 2, v1
	s_clause 0x1
	scratch_store_b32 off, v0, off offset:336
	scratch_store_b32 off, v1, off
	s_wait_kmcnt 0x0
	s_mul_i32 s26, s4, s19
	s_wait_alu 0xfffe
	s_sub_co_i32 s4, s2, s16
	s_ashr_i32 s27, s26, 31
	s_cmp_ge_u32 s2, s16
	s_cselect_b32 s12, s14, s15
	s_cselect_b32 s2, s4, s2
	s_add_co_i32 s4, s12, 1
	s_wait_alu 0xfffe
	s_cmp_ge_u32 s2, s16
	s_cselect_b32 s2, s4, s12
	s_add_co_i32 s4, s34, 31
	s_lshl_b32 s40, s33, 4
	s_ashr_i32 s12, s4, 31
	v_add_nc_u32_e32 v18, s40, v0
	s_lshr_b32 s12, s12, 27
	s_delay_alu instid0(SALU_CYCLE_1)
	s_add_co_i32 s4, s4, s12
	s_add_co_i32 s12, s40, 16
	s_ashr_i32 s38, s4, 5
	s_wait_alu 0xfffe
	s_xor_b32 s4, s2, s3
	s_min_i32 s35, s12, s38
	v_lshlrev_b32_e32 v38, 2, v18
	v_cmp_gt_i32_e64 s2, s35, v18
	s_sub_co_i32 s39, s4, s3
	s_and_saveexec_b32 s12, s2
	s_cbranch_execz .LBB355_17
; %bb.10:
	v_mov_b32_e32 v16, 0
	scratch_store_b32 off, v10, off offset:340 ; 4-byte Folded Spill
	s_sub_co_i32 s14, s39, s5
	s_ashr_i32 s29, s28, 31
	s_cmp_neq_f32 s30, 0
	ds_load_b128 v[0:3], v16
	ds_load_b128 v[4:7], v16 offset:16
	ds_load_b128 v[8:11], v16 offset:32
	;; [unrolled: 1-line block ×4, first 2 shown]
	s_load_b64 s[42:43], s[0:1], 0x20
	s_mov_b32 s18, s17
	s_cselect_b32 vcc_lo, -1, 0
	s_abs_i32 s15, s6
	s_lshl_b64 s[44:45], s[26:27], 2
	s_cvt_f32_u32 s3, s15
	s_sub_co_i32 s4, 0, s15
	v_mov_b32_e32 v145, v18
	scratch_store_b32 off, v23, off offset:344 ; 4-byte Folded Spill
	v_mov_b32_e32 v132, 0xff7fffff
	s_wait_dscnt 0x4
	v_lshlrev_b32_e32 v24, 16, v0
	v_and_b32_e32 v0, 0xffff0000, v0
	s_clause 0x1
	scratch_store_b32 off, v24, off offset:4
	scratch_store_b32 off, v0, off offset:8
	v_lshlrev_b32_e32 v0, 16, v1
	s_wait_kmcnt 0x0
	s_add_nc_u64 s[42:43], s[42:43], s[28:29]
	scratch_store_b32 off, v0, off offset:12 ; 4-byte Folded Spill
	v_and_b32_e32 v0, 0xffff0000, v1
	scratch_store_b32 off, v0, off offset:16 ; 4-byte Folded Spill
	v_lshlrev_b32_e32 v0, 16, v2
	scratch_store_b32 off, v0, off offset:20 ; 4-byte Folded Spill
	v_and_b32_e32 v0, 0xffff0000, v2
	scratch_store_b32 off, v0, off offset:24 ; 4-byte Folded Spill
	v_lshlrev_b32_e32 v0, 16, v3
	scratch_store_b32 off, v0, off offset:28 ; 4-byte Folded Spill
	v_and_b32_e32 v0, 0xffff0000, v3
	scratch_store_b32 off, v0, off offset:32 ; 4-byte Folded Spill
	s_wait_dscnt 0x3
	v_lshlrev_b32_e32 v0, 16, v4
	scratch_store_b32 off, v0, off offset:36 ; 4-byte Folded Spill
	v_and_b32_e32 v0, 0xffff0000, v4
	s_wait_dscnt 0x2
	v_and_b32_e32 v4, 0xffff0000, v11
	s_clause 0x1
	scratch_store_b32 off, v0, off offset:40
	scratch_store_b32 off, v4, off offset:96
	v_lshlrev_b32_e32 v0, 16, v5
	s_wait_dscnt 0x1
	v_lshlrev_b32_e32 v4, 16, v12
	s_clause 0x1
	scratch_store_b32 off, v0, off offset:44
	scratch_store_b32 off, v4, off offset:100
	v_and_b32_e32 v0, 0xffff0000, v5
	v_and_b32_e32 v4, 0xffff0000, v12
	s_wait_dscnt 0x0
	v_and_b32_e32 v12, 0xffff0000, v22
	s_clause 0x2
	scratch_store_b32 off, v0, off offset:48
	scratch_store_b32 off, v4, off offset:104
	scratch_store_b32 off, v12, off offset:160
	v_lshlrev_b32_e32 v0, 16, v6
	v_lshlrev_b32_e32 v4, 16, v13
	s_clause 0x1
	scratch_store_b32 off, v0, off offset:52
	scratch_store_b32 off, v4, off offset:108
	v_and_b32_e32 v0, 0xffff0000, v6
	v_and_b32_e32 v4, 0xffff0000, v13
	s_clause 0x1
	scratch_store_b32 off, v0, off offset:56
	scratch_store_b32 off, v4, off offset:112
	v_lshlrev_b32_e32 v0, 16, v7
	v_lshlrev_b32_e32 v4, 16, v14
	s_clause 0x1
	scratch_store_b32 off, v0, off offset:60
	scratch_store_b32 off, v4, off offset:116
	v_and_b32_e32 v0, 0xffff0000, v7
	v_and_b32_e32 v4, 0xffff0000, v14
	s_clause 0x1
	scratch_store_b32 off, v0, off offset:64
	scratch_store_b32 off, v4, off offset:120
	v_lshlrev_b32_e32 v0, 16, v8
	v_lshlrev_b32_e32 v4, 16, v15
	scratch_store_b32 off, v0, off offset:68 ; 4-byte Folded Spill
	v_and_b32_e32 v0, 0xffff0000, v8
	v_and_b32_e32 v8, 0xffff0000, v15
	s_clause 0x1
	scratch_store_b32 off, v0, off offset:72
	scratch_store_b32 off, v8, off offset:128
	v_lshlrev_b32_e32 v0, 16, v9
	v_lshlrev_b32_e32 v8, 16, v19
	s_clause 0x1
	scratch_store_b32 off, v0, off offset:76
	scratch_store_b32 off, v8, off offset:132
	v_and_b32_e32 v0, 0xffff0000, v9
	v_and_b32_e32 v8, 0xffff0000, v19
	s_clause 0x1
	scratch_store_b32 off, v0, off offset:80
	scratch_store_b32 off, v8, off offset:136
	v_lshlrev_b32_e32 v0, 16, v10
	v_lshlrev_b32_e32 v8, 16, v20
	s_clause 0x1
	scratch_store_b32 off, v0, off offset:84
	scratch_store_b32 off, v8, off offset:140
	;; [unrolled: 10-line block ×3, first 2 shown]
	ds_load_b128 v[0:3], v16 offset:80
	v_and_b32_e32 v8, 0xffff0000, v21
	scratch_store_b32 off, v4, off offset:124 ; 4-byte Folded Spill
	ds_load_b128 v[4:7], v16 offset:96
	s_wait_dscnt 0x1
	v_lshlrev_b32_e32 v12, 16, v0
	scratch_store_b32 off, v8, off offset:152 ; 4-byte Folded Spill
	v_lshlrev_b32_e32 v8, 16, v22
	v_and_b32_e32 v0, 0xffff0000, v0
	s_clause 0x1
	scratch_store_b32 off, v8, off offset:156
	scratch_store_b32 off, v0, off offset:168
	v_lshlrev_b32_e32 v0, 16, v1
	scratch_store_b32 off, v12, off offset:164 ; 4-byte Folded Spill
	ds_load_b128 v[8:11], v16 offset:112
	ds_load_b128 v[12:15], v16 offset:128
	scratch_store_b32 off, v0, off offset:172 ; 4-byte Folded Spill
	v_and_b32_e32 v0, 0xffff0000, v1
	scratch_store_b32 off, v0, off offset:176 ; 4-byte Folded Spill
	v_lshlrev_b32_e32 v0, 16, v2
	scratch_store_b32 off, v0, off offset:180 ; 4-byte Folded Spill
	v_and_b32_e32 v0, 0xffff0000, v2
	scratch_store_b32 off, v0, off offset:184 ; 4-byte Folded Spill
	v_lshlrev_b32_e32 v0, 16, v3
	scratch_store_b32 off, v0, off offset:188 ; 4-byte Folded Spill
	v_and_b32_e32 v0, 0xffff0000, v3
	scratch_store_b32 off, v0, off offset:192 ; 4-byte Folded Spill
	s_wait_dscnt 0x2
	v_lshlrev_b32_e32 v0, 16, v4
	scratch_store_b32 off, v0, off offset:196 ; 4-byte Folded Spill
	v_and_b32_e32 v0, 0xffff0000, v4
	v_and_b32_e32 v4, 0xffff0000, v6
	s_clause 0x1
	scratch_store_b32 off, v0, off offset:200
	scratch_store_b32 off, v4, off offset:216
	v_lshlrev_b32_e32 v0, 16, v5
	v_lshlrev_b32_e32 v4, 16, v7
	s_clause 0x1
	scratch_store_b32 off, v0, off offset:204
	scratch_store_b32 off, v4, off offset:220
	v_and_b32_e32 v0, 0xffff0000, v5
	v_and_b32_e32 v4, 0xffff0000, v7
	s_clause 0x1
	scratch_store_b32 off, v0, off offset:208
	scratch_store_b32 off, v4, off offset:224
	v_lshlrev_b32_e32 v0, 16, v6
	s_wait_dscnt 0x1
	v_lshlrev_b32_e32 v4, 16, v8
	s_clause 0x1
	scratch_store_b32 off, v0, off offset:212
	scratch_store_b32 off, v4, off offset:228
	v_and_b32_e32 v4, 0xffff0000, v8
	v_and_b32_e32 v8, 0xffff0000, v11
	ds_load_b128 v[0:3], v16 offset:144
	s_clause 0x1
	scratch_store_b32 off, v4, off offset:232
	scratch_store_b32 off, v8, off offset:256
	v_lshlrev_b32_e32 v4, 16, v9
	s_wait_dscnt 0x1
	v_lshlrev_b32_e32 v8, 16, v12
	s_clause 0x1
	scratch_store_b32 off, v4, off offset:236
	scratch_store_b32 off, v8, off offset:260
	v_and_b32_e32 v4, 0xffff0000, v9
	v_and_b32_e32 v8, 0xffff0000, v12
	;; [unrolled: 1-line block ×3, first 2 shown]
	s_clause 0x2
	scratch_store_b32 off, v4, off offset:240
	scratch_store_b32 off, v8, off offset:264
	;; [unrolled: 1-line block ×3, first 2 shown]
	v_lshlrev_b32_e32 v4, 16, v10
	v_lshlrev_b32_e32 v8, 16, v13
	s_clause 0x1
	scratch_store_b32 off, v4, off offset:244
	scratch_store_b32 off, v8, off offset:268
	v_and_b32_e32 v4, 0xffff0000, v10
	v_and_b32_e32 v8, 0xffff0000, v13
	s_clause 0x1
	scratch_store_b32 off, v4, off offset:248
	scratch_store_b32 off, v8, off offset:272
	v_lshlrev_b32_e32 v4, 16, v11
	v_lshlrev_b32_e32 v8, 16, v14
	scratch_store_b32 off, v4, off offset:252 ; 4-byte Folded Spill
	ds_load_b128 v[4:7], v16 offset:160
	s_wait_dscnt 0x1
	v_lshlrev_b32_e32 v12, 16, v0
	scratch_store_b32 off, v8, off offset:276 ; 4-byte Folded Spill
	v_and_b32_e32 v8, 0xffff0000, v14
	v_and_b32_e32 v0, 0xffff0000, v0
	s_clause 0x1
	scratch_store_b32 off, v8, off offset:280
	scratch_store_b32 off, v0, off offset:296
	v_lshlrev_b32_e32 v8, 16, v15
	v_lshlrev_b32_e32 v0, 16, v1
	s_clause 0x1
	scratch_store_b32 off, v8, off offset:284
	scratch_store_b32 off, v0, off offset:300
	v_and_b32_e32 v0, 0xffff0000, v1
	scratch_store_b32 off, v12, off offset:292 ; 4-byte Folded Spill
	s_wait_dscnt 0x0
	v_lshlrev_b32_e32 v97, 16, v6
	v_and_b32_e32 v96, 0xffff0000, v5
	scratch_store_b32 off, v0, off offset:304 ; 4-byte Folded Spill
	v_lshlrev_b32_e32 v0, 16, v2
	v_and_b32_e32 v98, 0xffff0000, v6
	v_lshlrev_b32_e32 v99, 16, v7
	v_and_b32_e32 v100, 0xffff0000, v7
	ds_load_b128 v[8:11], v16 offset:176
	ds_load_b128 v[12:15], v16 offset:192
	scratch_store_b32 off, v0, off offset:308 ; 4-byte Folded Spill
	v_and_b32_e32 v0, 0xffff0000, v2
	scratch_store_b32 off, v0, off offset:312 ; 4-byte Folded Spill
	v_lshlrev_b32_e32 v0, 16, v3
	scratch_store_b32 off, v0, off offset:316 ; 4-byte Folded Spill
	v_and_b32_e32 v0, 0xffff0000, v3
	scratch_store_b32 off, v0, off offset:320 ; 4-byte Folded Spill
	v_lshlrev_b32_e32 v0, 16, v4
	s_wait_dscnt 0x1
	v_lshlrev_b32_e32 v101, 16, v8
	v_and_b32_e32 v102, 0xffff0000, v8
	v_lshlrev_b32_e32 v103, 16, v9
	v_and_b32_e32 v104, 0xffff0000, v9
	scratch_store_b32 off, v0, off offset:324 ; 4-byte Folded Spill
	v_and_b32_e32 v0, 0xffff0000, v4
	v_lshlrev_b32_e32 v105, 16, v10
	v_and_b32_e32 v106, 0xffff0000, v10
	v_lshlrev_b32_e32 v107, 16, v11
	v_and_b32_e32 v108, 0xffff0000, v11
	scratch_store_b32 off, v0, off offset:328 ; 4-byte Folded Spill
	v_lshlrev_b32_e32 v0, 16, v5
	ds_load_b128 v[4:7], v16 offset:224
	ds_load_b128 v[8:11], v16 offset:240
	s_wait_dscnt 0x2
	v_lshlrev_b32_e32 v109, 16, v12
	v_and_b32_e32 v110, 0xffff0000, v12
	scratch_store_b32 off, v0, off offset:332 ; 4-byte Folded Spill
	ds_load_b128 v[0:3], v16 offset:208
	v_lshlrev_b32_e32 v111, 16, v13
	v_and_b32_e32 v112, 0xffff0000, v13
	v_lshlrev_b32_e32 v113, 16, v14
	v_and_b32_e32 v114, 0xffff0000, v14
	;; [unrolled: 2-line block ×3, first 2 shown]
	s_wait_dscnt 0x2
	v_lshlrev_b32_e32 v129, 16, v6
	v_and_b32_e32 v130, 0xffff0000, v6
	scratch_load_b32 v6, off, off offset:336 ; 4-byte Folded Reload
	v_lshlrev_b32_e32 v127, 16, v5
	v_and_b32_e32 v128, 0xffff0000, v5
	s_wait_dscnt 0x0
	v_lshlrev_b32_e32 v123, 16, v3
	v_and_b32_e32 v124, 0xffff0000, v3
	scratch_load_b32 v3, off, off           ; 4-byte Folded Reload
	v_lshlrev_b32_e32 v117, 16, v0
	v_and_b32_e32 v118, 0xffff0000, v0
	s_wait_alu 0xfffe
	v_rcp_iflag_f32_e32 v0, s3
	v_lshlrev_b32_e32 v119, 16, v1
	v_and_b32_e32 v120, 0xffff0000, v1
	v_lshlrev_b32_e32 v121, 16, v2
	v_and_b32_e32 v122, 0xffff0000, v2
	;; [unrolled: 2-line block ×4, first 2 shown]
	v_lshlrev_b32_e32 v134, 16, v8
	v_readfirstlane_b32 s3, v0
	v_and_b32_e32 v135, 0xffff0000, v8
	v_lshlrev_b32_e32 v136, 16, v9
	v_and_b32_e32 v137, 0xffff0000, v9
	v_lshlrev_b32_e32 v138, 16, v10
	s_mul_f32 s3, s3, 0x4f7ffffe
	v_and_b32_e32 v139, 0xffff0000, v10
	v_lshlrev_b32_e32 v140, 16, v11
	v_and_b32_e32 v141, 0xffff0000, v11
	s_wait_alu 0xfffe
	s_cvt_u32_f32 s3, s3
	s_wait_alu 0xfffe
	s_delay_alu instid0(SALU_CYCLE_2) | instskip(NEXT) | instid1(SALU_CYCLE_1)
	s_mul_i32 s4, s4, s3
	s_mul_hi_u32 s4, s3, s4
	s_delay_alu instid0(SALU_CYCLE_1)
	s_add_co_i32 s31, s3, s4
	s_wait_loadcnt 0x1
	v_lshl_or_b32 v5, v6, 7, v23
	v_lshl_add_u32 v144, v6, 5, s37
	s_wait_loadcnt 0x0
	v_lshlrev_b32_e32 v0, 4, v3
	s_delay_alu instid0(VALU_DEP_3) | instskip(NEXT) | instid1(VALU_DEP_2)
	v_add_nc_u32_e32 v143, 0x120, v5
	v_add_co_u32 v1, s29, s42, v0
	v_subrev_nc_u32_e32 v0, s34, v3
	v_add_co_ci_u32_e64 v2, null, s43, 0, s29
	s_add_nc_u64 s[42:43], s[24:25], s[44:45]
	s_wait_alu 0xfffe
	v_add_co_u32 v3, s29, s42, v38
	s_wait_alu 0xf1ff
	v_add_co_ci_u32_e64 v4, null, s43, 0, s29
	v_add_nc_u32_e32 v142, 1, v0
	s_mov_b32 s29, 0
	s_branch .LBB355_12
.LBB355_11:                             ;   in Loop: Header=BB355_12 Depth=1
	s_wait_alu 0xfffe
	s_or_b32 exec_lo, exec_lo, s4
	v_add_nc_u32_e32 v145, 4, v145
	v_add_co_u32 v3, s4, v3, 16
	s_wait_alu 0xf1ff
	v_add_co_ci_u32_e64 v4, null, 0, v4, s4
	s_delay_alu instid0(VALU_DEP_3)
	v_cmp_le_i32_e64 s3, s35, v145
	v_add_nc_u32_e32 v144, 0x80, v144
	v_add_nc_u32_e32 v143, 0x200, v143
	s_or_b32 s29, s3, s29
	s_wait_alu 0xfffe
	s_and_not1_b32 exec_lo, exec_lo, s29
	s_cbranch_execz .LBB355_16
.LBB355_12:                             ; =>This Inner Loop Header: Depth=1
	v_sub_nc_u32_e32 v0, 0, v144
	s_delay_alu instid0(VALU_DEP_1) | instskip(NEXT) | instid1(VALU_DEP_1)
	v_max_i32_e32 v0, v144, v0
	v_mul_hi_u32 v5, v0, s22
	s_delay_alu instid0(VALU_DEP_1) | instskip(NEXT) | instid1(VALU_DEP_1)
	v_mul_lo_u32 v6, v5, s16
	v_sub_nc_u32_e32 v0, v0, v6
	v_add_nc_u32_e32 v6, 1, v5
	s_delay_alu instid0(VALU_DEP_2) | instskip(SKIP_2) | instid1(VALU_DEP_1)
	v_subrev_nc_u32_e32 v7, s16, v0
	v_cmp_le_u32_e64 s3, s16, v0
	s_wait_alu 0xf1ff
	v_cndmask_b32_e64 v5, v5, v6, s3
	s_delay_alu instid0(VALU_DEP_3) | instskip(SKIP_1) | instid1(VALU_DEP_3)
	v_cndmask_b32_e64 v0, v0, v7, s3
	v_ashrrev_i32_e32 v6, 31, v144
	v_add_nc_u32_e32 v7, 1, v5
	s_delay_alu instid0(VALU_DEP_3) | instskip(NEXT) | instid1(VALU_DEP_3)
	v_cmp_le_u32_e64 s3, s16, v0
	v_xor_b32_e32 v6, s23, v6
	s_wait_alu 0xf1ff
	s_delay_alu instid0(VALU_DEP_2) | instskip(NEXT) | instid1(VALU_DEP_1)
	v_cndmask_b32_e64 v0, v5, v7, s3
	v_xor_b32_e32 v0, v0, v6
	s_delay_alu instid0(VALU_DEP_1) | instskip(NEXT) | instid1(VALU_DEP_1)
	v_sub_nc_u32_e32 v0, v0, v6
	v_add_nc_u32_e32 v5, s21, v0
	v_cmp_ge_i32_e64 s4, s14, v0
	s_delay_alu instid0(VALU_DEP_2) | instskip(NEXT) | instid1(VALU_DEP_1)
	v_sub_nc_u32_e32 v6, 0, v5
	v_max_i32_e32 v6, v5, v6
	v_ashrrev_i32_e32 v5, 31, v5
	s_delay_alu instid0(VALU_DEP_2) | instskip(NEXT) | instid1(VALU_DEP_1)
	v_mul_hi_u32 v7, v6, s31
	v_mul_lo_u32 v7, v7, s15
	s_delay_alu instid0(VALU_DEP_1) | instskip(NEXT) | instid1(VALU_DEP_1)
	v_sub_nc_u32_e32 v6, v6, v7
	v_subrev_nc_u32_e32 v7, s15, v6
	v_cmp_le_u32_e64 s3, s15, v6
	s_wait_alu 0xf1ff
	s_delay_alu instid0(VALU_DEP_1) | instskip(NEXT) | instid1(VALU_DEP_1)
	v_cndmask_b32_e64 v6, v6, v7, s3
	v_subrev_nc_u32_e32 v7, s15, v6
	v_cmp_le_u32_e64 s3, s15, v6
	s_wait_alu 0xf1ff
	s_delay_alu instid0(VALU_DEP_1) | instskip(NEXT) | instid1(VALU_DEP_1)
	v_cndmask_b32_e64 v6, v6, v7, s3
	v_xor_b32_e32 v6, v6, v5
	s_delay_alu instid0(VALU_DEP_1) | instskip(NEXT) | instid1(VALU_DEP_1)
	v_sub_nc_u32_e32 v5, v6, v5
	v_cmp_ne_u32_e64 s3, 0, v5
	s_and_b32 s3, s3, s4
	s_wait_alu 0xfffe
	s_and_saveexec_b32 s4, s3
	s_wait_alu 0xfffe
	s_xor_b32 s3, exec_lo, s4
; %bb.13:                               ;   in Loop: Header=BB355_12 Depth=1
	v_mov_b32_e32 v0, 0xff7fffff
	ds_store_b32 v143, v0
; %bb.14:                               ;   in Loop: Header=BB355_12 Depth=1
	s_wait_alu 0xfffe
	s_and_not1_saveexec_b32 s4, s3
	s_cbranch_execz .LBB355_11
; %bb.15:                               ;   in Loop: Header=BB355_12 Depth=1
	global_load_b32 v0, v[3:4], off
	s_load_b32 s41, s[8:9], 0x0
	s_wait_loadcnt 0x0
	v_mad_co_i64_i32 v[5:6], null, v0, s18, v[1:2]
	s_clause 0x2
	global_load_b128 v[8:11], v[5:6], off
	global_load_b128 v[146:149], v[5:6], off offset:2048
	global_load_b128 v[92:95], v[5:6], off offset:3072
	s_wait_loadcnt 0x2
	v_lshrrev_b32_e32 v47, 24, v10
	v_bfe_u32 v66, v9, 8, 8
	v_bfe_u32 v62, v9, 16, 8
	v_and_b32_e32 v38, 0xff, v10
	v_bfe_u32 v40, v10, 8, 8
	v_cvt_f32_fp8_e32 v47, v47
	v_and_b32_e32 v70, 0xff, v9
	v_lshrrev_b32_e32 v9, 24, v9
	v_bfe_u32 v44, v10, 16, 8
	v_bfe_u32 v55, v11, 8, 8
	;; [unrolled: 1-line block ×3, first 2 shown]
	v_lshrrev_b32_e32 v48, 24, v11
	v_cvt_f32_fp8_e32 v9, v9
	v_and_b32_e32 v50, 0xff, v11
	global_load_b128 v[10:13], v[5:6], off offset:512
	v_cvt_f32_fp8_e32 v55, v55
	v_cvt_f32_fp8_e32 v66, v66
	s_wait_loadcnt 0x2
	v_bfe_u32 v34, v146, 8, 8
	v_bfe_u32 v28, v146, 16, 8
	v_lshrrev_b32_e32 v23, 24, v146
	v_bfe_u32 v7, v147, 8, 8
	v_bfe_u32 v183, v147, 16, 8
	v_lshrrev_b32_e32 v174, 24, v147
	;; [unrolled: 3-line block ×4, first 2 shown]
	s_wait_kmcnt 0x0
	v_mul_f32_e32 v9, s41, v9
	v_cvt_f32_fp8_e32 v40, v40
	v_and_b32_e32 v39, 0xff, v146
	v_cvt_f32_fp8_e32 v44, v44
	v_cvt_f32_fp8_e32 v50, v50
	v_and_b32_e32 v167, 0xff, v148
	v_cvt_f32_fp8_e32 v54, v54
	v_and_b32_e32 v157, 0xff, v149
	v_lshrrev_b32_e32 v72, 24, v8
	v_cvt_f32_fp8_e32 v48, v48
	v_mul_f32_e32 v47, s41, v47
	v_cvt_f32_fp8_e32 v70, v70
	v_and_b32_e32 v173, 0xff, v8
	v_cvt_f32_fp8_e32 v72, v72
	v_bfe_u32 v165, v8, 8, 8
	v_bfe_u32 v170, v8, 16, 8
	v_mul_f32_e32 v70, s41, v70
	v_cvt_f32_fp8_e32 v62, v62
	v_mul_f32_e32 v40, s41, v40
	v_mul_f32_e32 v50, s41, v50
	;; [unrolled: 1-line block ×3, first 2 shown]
	v_cvt_f32_fp8_e32 v39, v39
	v_cvt_f32_fp8_e32 v23, v23
	;; [unrolled: 1-line block ×5, first 2 shown]
	s_wait_loadcnt 0x1
	v_bfe_u32 v181, v92, 8, 8
	v_bfe_u32 v175, v92, 16, 8
	v_lshrrev_b32_e32 v169, 24, v92
	v_bfe_u32 v162, v93, 8, 8
	v_bfe_u32 v160, v93, 16, 8
	v_lshrrev_b32_e32 v158, 24, v93
	;; [unrolled: 3-line block ×3, first 2 shown]
	v_dual_mul_f32 v55, s41, v55 :: v_dual_mul_f32 v66, s41, v66
	v_mul_f32_e32 v39, s41, v39
	v_mul_f32_e32 v23, s41, v23
	v_dual_mul_f32 v7, s41, v7 :: v_dual_mul_f32 v72, s41, v72
	v_mul_f32_e32 v62, s41, v62
	v_mul_f32_e32 v44, s41, v44
	s_wait_loadcnt 0x0
	v_dual_mul_f32 v48, s41, v48 :: v_dual_and_b32 v91, 0xff, v10
	v_bfe_u32 v90, v10, 8, 8
	v_bfe_u32 v89, v10, 16, 8
	v_lshrrev_b32_e32 v88, 24, v10
	v_and_b32_e32 v75, 0xff, v11
	v_bfe_u32 v78, v11, 8, 8
	v_bfe_u32 v80, v11, 16, 8
	v_lshrrev_b32_e32 v83, 24, v11
	v_and_b32_e32 v86, 0xff, v12
	;; [unrolled: 4-line block ×3, first 2 shown]
	v_bfe_u32 v81, v13, 8, 8
	v_bfe_u32 v79, v13, 16, 8
	v_lshrrev_b32_e32 v77, 24, v13
	global_load_b128 v[10:13], v[5:6], off offset:1024
	v_cvt_f32_fp8_e32 v83, v83
	v_cvt_f32_fp8_e32 v87, v87
	;; [unrolled: 1-line block ×8, first 2 shown]
	v_mul_f32_e32 v83, s41, v83
	v_cvt_f32_fp8_e32 v86, v86
	v_mul_f32_e32 v87, s41, v87
	v_mul_f32_e32 v85, s41, v85
	v_cvt_f32_fp8_e32 v84, v84
	v_mul_f32_e32 v81, s41, v81
	v_mul_f32_e32 v79, s41, v79
	s_wait_loadcnt 0x0
	v_dual_mul_f32 v77, s41, v77 :: v_dual_and_b32 v76, 0xff, v10
	v_bfe_u32 v74, v10, 8, 8
	v_bfe_u32 v68, v10, 16, 8
	v_lshrrev_b32_e32 v64, 24, v10
	v_and_b32_e32 v60, 0xff, v11
	v_bfe_u32 v57, v11, 8, 8
	v_bfe_u32 v52, v11, 16, 8
	v_lshrrev_b32_e32 v46, 24, v11
	v_and_b32_e32 v41, 0xff, v12
	;; [unrolled: 4-line block ×3, first 2 shown]
	v_bfe_u32 v16, v13, 8, 8
	v_bfe_u32 v186, v13, 16, 8
	v_lshrrev_b32_e32 v178, 24, v13
	global_load_b128 v[10:13], v[5:6], off offset:1536
	v_cvt_f32_fp8_e32 v57, v57
	v_and_b32_e32 v188, 0xff, v92
	v_cvt_f32_fp8_e32 v41, v41
	v_and_b32_e32 v156, 0xff, v94
	v_cvt_f32_fp8_e32 v31, v31
	v_cvt_f32_fp8_e32 v25, v25
	;; [unrolled: 1-line block ×7, first 2 shown]
	v_mul_f32_e32 v57, s41, v57
	v_cvt_f32_fp8_e32 v52, v52
	v_cvt_f32_fp8_e32 v46, v46
	s_delay_alu instid0(VALU_DEP_4) | instskip(SKIP_1) | instid1(VALU_DEP_4)
	v_dual_mul_f32 v41, s41, v41 :: v_dual_mul_f32 v60, s41, v60
	v_cvt_f32_fp8_e32 v36, v36
	v_dual_mul_f32 v52, s41, v52 :: v_dual_mul_f32 v31, s41, v31
	v_cvt_f32_fp8_e32 v20, v20
	v_cvt_f32_fp8_e32 v16, v16
	s_delay_alu instid0(VALU_DEP_4) | instskip(SKIP_1) | instid1(VALU_DEP_3)
	v_dual_mul_f32 v36, s41, v36 :: v_dual_mul_f32 v25, s41, v25
	s_wait_loadcnt 0x0
	v_dual_mul_f32 v20, s41, v20 :: v_dual_and_b32 v49, 0xff, v13
	v_bfe_u32 v45, v13, 8, 8
	v_bfe_u32 v43, v13, 16, 8
	v_lshrrev_b32_e32 v42, 24, v13
	v_and_b32_e32 v13, 0xff, v147
	global_load_b128 v[146:149], v[5:6], off offset:2560
	v_bfe_u32 v71, v10, 8, 8
	v_and_b32_e32 v73, 0xff, v10
	v_bfe_u32 v69, v10, 16, 8
	v_lshrrev_b32_e32 v67, 24, v10
	v_and_b32_e32 v58, 0xff, v12
	v_bfe_u32 v56, v12, 8, 8
	v_bfe_u32 v53, v12, 16, 8
	v_lshrrev_b32_e32 v51, 24, v12
	v_cvt_f32_fp8_e32 v71, v71
	v_and_b32_e32 v164, 0xff, v93
	v_and_b32_e32 v65, 0xff, v11
	v_bfe_u32 v63, v11, 8, 8
	v_bfe_u32 v61, v11, 16, 8
	v_lshrrev_b32_e32 v59, 24, v11
	v_cvt_f32_fp8_e32 v67, v67
	v_cvt_f32_fp8_e32 v73, v73
	;; [unrolled: 1-line block ×4, first 2 shown]
	v_mul_f32_e32 v78, s41, v78
	v_cvt_f32_fp8_e32 v63, v63
	v_mul_f32_e32 v80, s41, v80
	v_cvt_f32_fp8_e32 v61, v61
	v_dual_mul_f32 v65, s41, v65 :: v_dual_mul_f32 v86, s41, v86
	s_delay_alu instid0(VALU_DEP_4) | instskip(SKIP_1) | instid1(VALU_DEP_4)
	v_mul_f32_e32 v63, s41, v63
	v_cvt_f32_fp8_e32 v59, v59
	v_dual_mul_f32 v61, s41, v61 :: v_dual_mul_f32 v84, s41, v84
	v_cvt_f32_fp8_e32 v53, v53
	v_cvt_f32_fp8_e32 v51, v51
	s_delay_alu instid0(VALU_DEP_4) | instskip(SKIP_1) | instid1(VALU_DEP_3)
	v_dual_mul_f32 v59, s41, v59 :: v_dual_mul_f32 v76, s41, v76
	v_cvt_f32_fp8_e32 v45, v45
	v_dual_mul_f32 v68, s41, v68 :: v_dual_mul_f32 v51, s41, v51
	v_cvt_f32_fp8_e32 v43, v43
	s_delay_alu instid0(VALU_DEP_3) | instskip(SKIP_1) | instid1(VALU_DEP_3)
	v_dual_mul_f32 v64, s41, v64 :: v_dual_mul_f32 v45, s41, v45
	v_cvt_f32_fp8_e32 v13, v13
	v_dual_mul_f32 v46, s41, v46 :: v_dual_mul_f32 v43, s41, v43
	v_mul_f32_e32 v71, s41, v71
	v_mul_f32_e32 v67, s41, v67
	s_delay_alu instid0(VALU_DEP_4)
	v_mul_f32_e32 v13, s41, v13
	v_cvt_f32_fp8_e32 v58, v58
	v_cvt_f32_fp8_e32 v56, v56
	;; [unrolled: 1-line block ×3, first 2 shown]
	v_mul_f32_e32 v53, s41, v53
	v_mul_f32_e32 v73, s41, v73
	;; [unrolled: 1-line block ×3, first 2 shown]
	s_wait_loadcnt 0x0
	v_and_b32_e32 v37, 0xff, v146
	v_bfe_u32 v35, v146, 8, 8
	v_bfe_u32 v33, v146, 16, 8
	v_lshrrev_b32_e32 v32, 24, v146
	v_and_b32_e32 v30, 0xff, v147
	v_bfe_u32 v29, v147, 8, 8
	v_bfe_u32 v27, v147, 16, 8
	v_lshrrev_b32_e32 v26, 24, v147
	;; [unrolled: 4-line block ×5, first 2 shown]
	global_load_b128 v[92:95], v[5:6], off offset:3584
	v_cvt_f32_fp8_e32 v5, v173
	v_cvt_f32_fp8_e32 v37, v37
	v_mul_f32_e32 v16, s41, v16
	v_cvt_f32_fp8_e32 v35, v35
	v_cvt_f32_fp8_e32 v33, v33
	v_mul_f32_e32 v5, s41, v5
	v_cvt_f32_fp8_e32 v38, v38
	v_dual_mul_f32 v37, s41, v37 :: v_dual_mul_f32 v58, s41, v58
	s_delay_alu instid0(VALU_DEP_4) | instskip(NEXT) | instid1(VALU_DEP_4)
	v_mul_f32_e32 v33, s41, v33
	v_cmp_u_f32_e64 s3, v5, v5
	s_delay_alu instid0(VALU_DEP_4)
	v_mul_f32_e32 v38, s41, v38
	v_cvt_f32_fp8_e32 v49, v49
	v_mul_f32_e32 v74, s41, v74
	v_cvt_f32_fp8_e32 v29, v29
	;; [unrolled: 2-line block ×3, first 2 shown]
	v_dual_mul_f32 v49, s41, v49 :: v_dual_mul_f32 v42, s41, v42
	s_delay_alu instid0(VALU_DEP_4) | instskip(SKIP_1) | instid1(VALU_DEP_4)
	v_mul_f32_e32 v29, s41, v29
	v_cvt_f32_fp8_e32 v21, v21
	v_dual_mul_f32 v27, s41, v27 :: v_dual_mul_f32 v34, s41, v34
	v_cvt_f32_fp8_e32 v19, v19
	s_delay_alu instid0(VALU_DEP_3) | instskip(SKIP_2) | instid1(VALU_DEP_4)
	v_dual_mul_f32 v28, s41, v28 :: v_dual_mul_f32 v21, s41, v21
	v_cvt_f32_fp8_e32 v15, v15
	v_cvt_f32_fp8_e32 v32, v32
	v_mul_f32_e32 v19, s41, v19
	v_cvt_f32_fp8_e32 v30, v30
	v_cvt_f32_fp8_e32 v26, v26
	;; [unrolled: 1-line block ×3, first 2 shown]
	v_mul_f32_e32 v32, s41, v32
	v_cvt_f32_fp8_e32 v22, v22
	v_cvt_f32_fp8_e32 v12, v12
	v_mul_f32_e32 v26, s41, v26
	v_mul_f32_e32 v24, s41, v24
	v_cvt_f32_fp8_e32 v10, v10
	v_mul_f32_e32 v35, s41, v35
	s_delay_alu instid0(VALU_DEP_2)
	v_dual_mul_f32 v15, s41, v15 :: v_dual_mul_f32 v10, s41, v10
	s_wait_loadcnt 0x0
	v_and_b32_e32 v14, 0xff, v92
	v_bfe_u32 v11, v92, 8, 8
	v_bfe_u32 v0, v92, 16, 8
	v_lshrrev_b32_e32 v8, 24, v92
	v_bfe_u32 v92, v5, 16, 1
	v_and_b32_e32 v190, 0xff, v93
	v_bfe_u32 v187, v93, 8, 8
	v_bfe_u32 v185, v93, 16, 8
	v_lshrrev_b32_e32 v182, 24, v93
	v_add3_u32 v92, v92, v5, 0x7fff
	v_or_b32_e32 v5, 0x400000, v5
	v_cvt_f32_fp8_e32 v11, v11
	v_cvt_f32_fp8_e32 v14, v14
	;; [unrolled: 1-line block ×3, first 2 shown]
	v_bfe_u32 v177, v94, 8, 8
	s_wait_alu 0xf1ff
	v_cndmask_b32_e64 v5, v92, v5, s3
	v_cvt_f32_fp8_e32 v92, v165
	v_mul_f32_e32 v14, s41, v14
	v_mul_f32_e32 v0, s41, v0
	v_bfe_u32 v176, v94, 16, 8
	v_lshrrev_b32_e32 v172, 24, v94
	v_mul_f32_e32 v92, s41, v92
	v_bfe_u32 v168, v95, 8, 8
	v_bfe_u32 v166, v95, 16, 8
	v_lshrrev_b32_e32 v6, 24, v95
	v_mul_f32_e32 v11, s41, v11
	v_bfe_u32 v93, v92, 16, 1
	v_cmp_u_f32_e64 s3, v92, v92
	v_and_b32_e32 v5, 0xffff0000, v5
	v_cvt_f32_fp8_e32 v6, v6
	s_delay_alu instid0(VALU_DEP_4) | instskip(SKIP_1) | instid1(VALU_DEP_3)
	v_add3_u32 v93, v93, v92, 0x7fff
	v_or_b32_e32 v92, 0x400000, v92
	v_mul_f32_e32 v6, s41, v6
	s_wait_alu 0xf1ff
	s_delay_alu instid0(VALU_DEP_2) | instskip(SKIP_1) | instid1(VALU_DEP_1)
	v_cndmask_b32_e64 v165, v93, v92, s3
	v_cvt_f32_fp8_e32 v92, v170
	v_mul_f32_e32 v92, s41, v92
	v_cvt_f32_fp8_e32 v75, v75
	s_delay_alu instid0(VALU_DEP_2) | instskip(SKIP_1) | instid1(VALU_DEP_3)
	v_bfe_u32 v93, v92, 16, 1
	v_cmp_u_f32_e64 s3, v92, v92
	v_mul_f32_e32 v75, s41, v75
	v_cvt_f32_fp8_e32 v82, v82
	s_delay_alu instid0(VALU_DEP_4) | instskip(SKIP_1) | instid1(VALU_DEP_3)
	v_add3_u32 v93, v93, v92, 0x7fff
	v_or_b32_e32 v92, 0x400000, v92
	v_mul_f32_e32 v82, s41, v82
	s_wait_alu 0xf1ff
	s_delay_alu instid0(VALU_DEP_2) | instskip(SKIP_2) | instid1(VALU_DEP_2)
	v_cndmask_b32_e64 v170, v93, v92, s3
	v_bfe_u32 v92, v72, 16, 1
	v_cmp_u_f32_e64 s3, v72, v72
	v_add3_u32 v92, v92, v72, 0x7fff
	v_or_b32_e32 v72, 0x400000, v72
	s_wait_alu 0xf1ff
	s_delay_alu instid0(VALU_DEP_1) | instskip(SKIP_2) | instid1(VALU_DEP_2)
	v_cndmask_b32_e64 v173, v92, v72, s3
	v_bfe_u32 v72, v70, 16, 1
	v_cmp_u_f32_e64 s3, v70, v70
	v_add3_u32 v72, v72, v70, 0x7fff
	v_or_b32_e32 v70, 0x400000, v70
	s_wait_alu 0xf1ff
	s_delay_alu instid0(VALU_DEP_1) | instskip(SKIP_2) | instid1(VALU_DEP_2)
	;; [unrolled: 7-line block ×6, first 2 shown]
	v_cndmask_b32_e64 v38, v62, v38, s3
	v_bfe_u32 v62, v40, 16, 1
	v_cmp_u_f32_e64 s3, v40, v40
	v_add3_u32 v62, v62, v40, 0x7fff
	v_or_b32_e32 v40, 0x400000, v40
	s_wait_alu 0xf1ff
	s_delay_alu instid0(VALU_DEP_1) | instskip(SKIP_3) | instid1(VALU_DEP_3)
	v_cndmask_b32_e64 v40, v62, v40, s3
	v_bfe_u32 v62, v44, 16, 1
	v_cmp_u_f32_e64 s3, v44, v44
	v_mul_f32_e32 v30, s41, v30
	v_add3_u32 v62, v62, v44, 0x7fff
	v_or_b32_e32 v44, 0x400000, v44
	s_wait_alu 0xf1ff
	s_delay_alu instid0(VALU_DEP_1) | instskip(SKIP_3) | instid1(VALU_DEP_3)
	v_cndmask_b32_e64 v44, v62, v44, s3
	v_bfe_u32 v62, v47, 16, 1
	v_cmp_u_f32_e64 s3, v47, v47
	v_mul_f32_e32 v22, s41, v22
	v_add3_u32 v62, v62, v47, 0x7fff
	v_or_b32_e32 v47, 0x400000, v47
	s_wait_alu 0xf1ff
	s_delay_alu instid0(VALU_DEP_1) | instskip(SKIP_2) | instid1(VALU_DEP_2)
	v_cndmask_b32_e64 v47, v62, v47, s3
	v_bfe_u32 v62, v50, 16, 1
	v_cmp_u_f32_e64 s3, v50, v50
	v_add3_u32 v62, v62, v50, 0x7fff
	v_or_b32_e32 v50, 0x400000, v50
	s_wait_alu 0xf1ff
	s_delay_alu instid0(VALU_DEP_1) | instskip(SKIP_2) | instid1(VALU_DEP_2)
	v_cndmask_b32_e64 v50, v62, v50, s3
	v_bfe_u32 v62, v55, 16, 1
	v_cmp_u_f32_e64 s3, v55, v55
	;; [unrolled: 7-line block ×4, first 2 shown]
	v_add3_u32 v62, v62, v48, 0x7fff
	v_or_b32_e32 v48, 0x400000, v48
	s_wait_alu 0xf1ff
	s_delay_alu instid0(VALU_DEP_1) | instskip(SKIP_1) | instid1(VALU_DEP_2)
	v_cndmask_b32_e64 v48, v62, v48, s3
	v_cvt_f32_fp8_e32 v62, v91
	v_and_b32_e32 v48, 0xffff0000, v48
	s_delay_alu instid0(VALU_DEP_2) | instskip(SKIP_1) | instid1(VALU_DEP_2)
	v_mul_f32_e32 v62, s41, v62
	v_and_b32_e32 v38, 0xffff0000, v38
	v_bfe_u32 v66, v62, 16, 1
	v_cmp_u_f32_e64 s3, v62, v62
	s_delay_alu instid0(VALU_DEP_2) | instskip(SKIP_2) | instid1(VALU_DEP_1)
	v_add3_u32 v66, v66, v62, 0x7fff
	v_or_b32_e32 v62, 0x400000, v62
	s_wait_alu 0xf1ff
	v_cndmask_b32_e64 v62, v66, v62, s3
	v_cvt_f32_fp8_e32 v66, v90
	s_delay_alu instid0(VALU_DEP_1) | instskip(NEXT) | instid1(VALU_DEP_1)
	v_dual_mul_f32 v66, s41, v66 :: v_dual_and_b32 v171, 0xff, v95
	v_bfe_u32 v70, v66, 16, 1
	v_cmp_u_f32_e64 s3, v66, v66
	s_delay_alu instid0(VALU_DEP_2) | instskip(SKIP_2) | instid1(VALU_DEP_1)
	v_add3_u32 v70, v70, v66, 0x7fff
	v_or_b32_e32 v66, 0x400000, v66
	s_wait_alu 0xf1ff
	v_cndmask_b32_e64 v66, v70, v66, s3
	v_cvt_f32_fp8_e32 v70, v89
	s_delay_alu instid0(VALU_DEP_1) | instskip(NEXT) | instid1(VALU_DEP_1)
	v_mul_f32_e32 v70, s41, v70
	v_bfe_u32 v72, v70, 16, 1
	v_cmp_u_f32_e64 s3, v70, v70
	s_delay_alu instid0(VALU_DEP_2) | instskip(SKIP_2) | instid1(VALU_DEP_1)
	v_add3_u32 v72, v72, v70, 0x7fff
	v_or_b32_e32 v70, 0x400000, v70
	s_wait_alu 0xf1ff
	v_cndmask_b32_e64 v70, v72, v70, s3
	v_cvt_f32_fp8_e32 v72, v88
	s_delay_alu instid0(VALU_DEP_1) | instskip(NEXT) | instid1(VALU_DEP_1)
	v_mul_f32_e32 v72, s41, v72
	v_bfe_u32 v88, v72, 16, 1
	v_cmp_u_f32_e64 s3, v72, v72
	s_delay_alu instid0(VALU_DEP_2) | instskip(SKIP_2) | instid1(VALU_DEP_1)
	v_add3_u32 v88, v88, v72, 0x7fff
	v_or_b32_e32 v72, 0x400000, v72
	s_wait_alu 0xf1ff
	v_cndmask_b32_e64 v72, v88, v72, s3
	v_bfe_u32 v88, v75, 16, 1
	v_cmp_u_f32_e64 s3, v75, v75
	s_delay_alu instid0(VALU_DEP_2) | instskip(SKIP_2) | instid1(VALU_DEP_1)
	v_add3_u32 v88, v88, v75, 0x7fff
	v_or_b32_e32 v75, 0x400000, v75
	s_wait_alu 0xf1ff
	v_cndmask_b32_e64 v75, v88, v75, s3
	;; [unrolled: 7-line block ×21, first 2 shown]
	v_bfe_u32 v88, v41, 16, 1
	v_cmp_u_f32_e64 s3, v41, v41
	s_delay_alu instid0(VALU_DEP_3) | instskip(NEXT) | instid1(VALU_DEP_3)
	v_and_b32_e32 v46, 0xffff0000, v46
	v_add3_u32 v88, v88, v41, 0x7fff
	v_or_b32_e32 v41, 0x400000, v41
	v_mul_f32_e32 v12, s41, v12
	s_wait_alu 0xf1ff
	s_delay_alu instid0(VALU_DEP_2) | instskip(SKIP_2) | instid1(VALU_DEP_3)
	v_cndmask_b32_e64 v41, v88, v41, s3
	v_bfe_u32 v88, v36, 16, 1
	v_cmp_u_f32_e64 s3, v36, v36
	v_and_b32_e32 v41, 0xffff0000, v41
	s_delay_alu instid0(VALU_DEP_3) | instskip(SKIP_2) | instid1(VALU_DEP_1)
	v_add3_u32 v88, v88, v36, 0x7fff
	v_or_b32_e32 v36, 0x400000, v36
	s_wait_alu 0xf1ff
	v_cndmask_b32_e64 v36, v88, v36, s3
	v_bfe_u32 v88, v31, 16, 1
	v_cmp_u_f32_e64 s3, v31, v31
	s_delay_alu instid0(VALU_DEP_3) | instskip(NEXT) | instid1(VALU_DEP_3)
	v_and_b32_e32 v36, 0xffff0000, v36
	v_add3_u32 v88, v88, v31, 0x7fff
	v_or_b32_e32 v31, 0x400000, v31
	s_wait_alu 0xf1ff
	s_delay_alu instid0(VALU_DEP_1) | instskip(SKIP_2) | instid1(VALU_DEP_3)
	v_cndmask_b32_e64 v31, v88, v31, s3
	v_bfe_u32 v88, v25, 16, 1
	v_cmp_u_f32_e64 s3, v25, v25
	v_and_b32_e32 v31, 0xffff0000, v31
	s_delay_alu instid0(VALU_DEP_3) | instskip(SKIP_2) | instid1(VALU_DEP_1)
	v_add3_u32 v88, v88, v25, 0x7fff
	v_or_b32_e32 v25, 0x400000, v25
	s_wait_alu 0xf1ff
	v_cndmask_b32_e64 v25, v88, v25, s3
	v_bfe_u32 v88, v20, 16, 1
	v_cmp_u_f32_e64 s3, v20, v20
	s_delay_alu instid0(VALU_DEP_3) | instskip(NEXT) | instid1(VALU_DEP_3)
	v_and_b32_e32 v25, 0xffff0000, v25
	v_add3_u32 v88, v88, v20, 0x7fff
	v_or_b32_e32 v20, 0x400000, v20
	s_wait_alu 0xf1ff
	s_delay_alu instid0(VALU_DEP_1) | instskip(SKIP_2) | instid1(VALU_DEP_3)
	v_cndmask_b32_e64 v20, v88, v20, s3
	v_bfe_u32 v88, v16, 16, 1
	v_cmp_u_f32_e64 s3, v16, v16
	v_and_b32_e32 v20, 0xffff0000, v20
	s_delay_alu instid0(VALU_DEP_3) | instskip(SKIP_2) | instid1(VALU_DEP_1)
	v_add3_u32 v88, v88, v16, 0x7fff
	v_or_b32_e32 v16, 0x400000, v16
	s_wait_alu 0xf1ff
	v_cndmask_b32_e64 v16, v88, v16, s3
	v_cvt_f32_fp8_e32 v88, v186
	s_delay_alu instid0(VALU_DEP_2) | instskip(NEXT) | instid1(VALU_DEP_2)
	v_and_b32_e32 v16, 0xffff0000, v16
	v_mul_f32_e32 v88, s41, v88
	s_delay_alu instid0(VALU_DEP_1) | instskip(SKIP_1) | instid1(VALU_DEP_2)
	v_bfe_u32 v89, v88, 16, 1
	v_cmp_u_f32_e64 s3, v88, v88
	v_add3_u32 v89, v89, v88, 0x7fff
	v_or_b32_e32 v88, 0x400000, v88
	s_wait_alu 0xf1ff
	s_delay_alu instid0(VALU_DEP_1) | instskip(SKIP_1) | instid1(VALU_DEP_1)
	v_cndmask_b32_e64 v88, v89, v88, s3
	v_cvt_f32_fp8_e32 v89, v178
	v_dual_mul_f32 v89, s41, v89 :: v_dual_and_b32 v180, 0xff, v94
	s_delay_alu instid0(VALU_DEP_1) | instskip(SKIP_1) | instid1(VALU_DEP_2)
	v_bfe_u32 v90, v89, 16, 1
	v_cmp_u_f32_e64 s3, v89, v89
	v_add3_u32 v90, v90, v89, 0x7fff
	v_or_b32_e32 v89, 0x400000, v89
	s_wait_alu 0xf1ff
	s_delay_alu instid0(VALU_DEP_1) | instskip(SKIP_2) | instid1(VALU_DEP_2)
	v_cndmask_b32_e64 v89, v90, v89, s3
	v_bfe_u32 v90, v73, 16, 1
	v_cmp_u_f32_e64 s3, v73, v73
	v_add3_u32 v90, v90, v73, 0x7fff
	v_or_b32_e32 v73, 0x400000, v73
	s_wait_alu 0xf1ff
	s_delay_alu instid0(VALU_DEP_1) | instskip(SKIP_2) | instid1(VALU_DEP_2)
	v_cndmask_b32_e64 v73, v90, v73, s3
	;; [unrolled: 7-line block ×21, first 2 shown]
	v_bfe_u32 v90, v13, 16, 1
	v_cmp_u_f32_e64 s3, v13, v13
	v_add3_u32 v90, v90, v13, 0x7fff
	v_or_b32_e32 v13, 0x400000, v13
	s_wait_alu 0xf1ff
	s_delay_alu instid0(VALU_DEP_1) | instskip(SKIP_2) | instid1(VALU_DEP_3)
	v_cndmask_b32_e64 v13, v90, v13, s3
	v_bfe_u32 v90, v7, 16, 1
	v_cmp_u_f32_e64 s3, v7, v7
	v_and_b32_e32 v13, 0xffff0000, v13
	s_delay_alu instid0(VALU_DEP_3) | instskip(SKIP_2) | instid1(VALU_DEP_1)
	v_add3_u32 v90, v90, v7, 0x7fff
	v_or_b32_e32 v7, 0x400000, v7
	s_wait_alu 0xf1ff
	v_cndmask_b32_e64 v7, v90, v7, s3
	v_cvt_f32_fp8_e32 v90, v183
	s_delay_alu instid0(VALU_DEP_1) | instskip(NEXT) | instid1(VALU_DEP_1)
	v_dual_mul_f32 v90, s41, v90 :: v_dual_and_b32 v7, 0xffff0000, v7
	v_bfe_u32 v91, v90, 16, 1
	v_cmp_u_f32_e64 s3, v90, v90
	s_delay_alu instid0(VALU_DEP_2) | instskip(SKIP_2) | instid1(VALU_DEP_1)
	v_add3_u32 v91, v91, v90, 0x7fff
	v_or_b32_e32 v90, 0x400000, v90
	s_wait_alu 0xf1ff
	v_cndmask_b32_e64 v90, v91, v90, s3
	v_cvt_f32_fp8_e32 v91, v174
	s_delay_alu instid0(VALU_DEP_1) | instskip(NEXT) | instid1(VALU_DEP_1)
	v_mul_f32_e32 v91, s41, v91
	v_bfe_u32 v92, v91, 16, 1
	v_cmp_u_f32_e64 s3, v91, v91
	s_delay_alu instid0(VALU_DEP_2) | instskip(SKIP_2) | instid1(VALU_DEP_1)
	v_add3_u32 v92, v92, v91, 0x7fff
	v_or_b32_e32 v91, 0x400000, v91
	s_wait_alu 0xf1ff
	v_cndmask_b32_e64 v91, v92, v91, s3
	v_cvt_f32_fp8_e32 v92, v167
	s_delay_alu instid0(VALU_DEP_1) | instskip(NEXT) | instid1(VALU_DEP_1)
	v_mul_f32_e32 v92, s41, v92
	;; [unrolled: 10-line block ×9, first 2 shown]
	v_bfe_u32 v93, v92, 16, 1
	v_cmp_u_f32_e64 s3, v92, v92
	s_delay_alu instid0(VALU_DEP_2) | instskip(SKIP_2) | instid1(VALU_DEP_1)
	v_add3_u32 v93, v93, v92, 0x7fff
	v_or_b32_e32 v92, 0x400000, v92
	s_wait_alu 0xf1ff
	v_cndmask_b32_e64 v151, v93, v92, s3
	v_bfe_u32 v92, v37, 16, 1
	v_cmp_u_f32_e64 s3, v37, v37
	s_delay_alu instid0(VALU_DEP_2) | instskip(SKIP_2) | instid1(VALU_DEP_1)
	v_add3_u32 v92, v92, v37, 0x7fff
	v_or_b32_e32 v37, 0x400000, v37
	s_wait_alu 0xf1ff
	v_cndmask_b32_e64 v37, v92, v37, s3
	;; [unrolled: 7-line block ×16, first 2 shown]
	v_cvt_f32_fp8_e32 v92, v191
	s_delay_alu instid0(VALU_DEP_1) | instskip(NEXT) | instid1(VALU_DEP_1)
	v_mul_f32_e32 v92, s41, v92
	v_bfe_u32 v93, v92, 16, 1
	v_cmp_u_f32_e64 s3, v92, v92
	s_delay_alu instid0(VALU_DEP_2) | instskip(SKIP_2) | instid1(VALU_DEP_1)
	v_add3_u32 v93, v93, v92, 0x7fff
	v_or_b32_e32 v92, 0x400000, v92
	s_wait_alu 0xf1ff
	v_cndmask_b32_e64 v174, v93, v92, s3
	v_cvt_f32_fp8_e32 v92, v188
	s_delay_alu instid0(VALU_DEP_1) | instskip(NEXT) | instid1(VALU_DEP_1)
	v_mul_f32_e32 v92, s41, v92
	v_bfe_u32 v93, v92, 16, 1
	v_cmp_u_f32_e64 s3, v92, v92
	s_delay_alu instid0(VALU_DEP_2) | instskip(SKIP_2) | instid1(VALU_DEP_1)
	v_add3_u32 v93, v93, v92, 0x7fff
	v_or_b32_e32 v92, 0x400000, v92
	s_wait_alu 0xf1ff
	v_cndmask_b32_e64 v178, v93, v92, s3
	;; [unrolled: 10-line block ×17, first 2 shown]
	v_bfe_u32 v92, v14, 16, 1
	v_cmp_u_f32_e64 s3, v14, v14
	s_delay_alu instid0(VALU_DEP_2) | instskip(SKIP_2) | instid1(VALU_DEP_1)
	v_add3_u32 v92, v92, v14, 0x7fff
	v_or_b32_e32 v14, 0x400000, v14
	s_wait_alu 0xf1ff
	v_cndmask_b32_e64 v186, v92, v14, s3
	v_bfe_u32 v14, v11, 16, 1
	v_cmp_u_f32_e64 s3, v11, v11
	s_delay_alu instid0(VALU_DEP_2) | instskip(SKIP_2) | instid1(VALU_DEP_1)
	v_add3_u32 v14, v14, v11, 0x7fff
	v_or_b32_e32 v11, 0x400000, v11
	s_wait_alu 0xf1ff
	v_cndmask_b32_e64 v188, v14, v11, s3
	;; [unrolled: 7-line block ×3, first 2 shown]
	v_cvt_f32_fp8_e32 v0, v8
	s_delay_alu instid0(VALU_DEP_1) | instskip(NEXT) | instid1(VALU_DEP_1)
	v_mul_f32_e32 v0, s41, v0
	v_bfe_u32 v8, v0, 16, 1
	v_cmp_u_f32_e64 s3, v0, v0
	s_delay_alu instid0(VALU_DEP_2) | instskip(SKIP_2) | instid1(VALU_DEP_1)
	v_add3_u32 v8, v8, v0, 0x7fff
	v_or_b32_e32 v0, 0x400000, v0
	s_wait_alu 0xf1ff
	v_cndmask_b32_e64 v14, v8, v0, s3
	v_cvt_f32_fp8_e32 v0, v190
	s_delay_alu instid0(VALU_DEP_1) | instskip(NEXT) | instid1(VALU_DEP_1)
	v_mul_f32_e32 v0, s41, v0
	v_bfe_u32 v8, v0, 16, 1
	v_cmp_u_f32_e64 s3, v0, v0
	s_delay_alu instid0(VALU_DEP_2) | instskip(SKIP_2) | instid1(VALU_DEP_1)
	v_add3_u32 v8, v8, v0, 0x7fff
	v_or_b32_e32 v0, 0x400000, v0
	s_wait_alu 0xf1ff
	v_cndmask_b32_e64 v0, v8, v0, s3
	v_cvt_f32_fp8_e32 v8, v187
	s_delay_alu instid0(VALU_DEP_2) | instskip(NEXT) | instid1(VALU_DEP_2)
	v_and_b32_e32 v0, 0xffff0000, v0
	v_mul_f32_e32 v8, s41, v8
	s_delay_alu instid0(VALU_DEP_1) | instskip(SKIP_1) | instid1(VALU_DEP_2)
	v_bfe_u32 v92, v8, 16, 1
	v_cmp_u_f32_e64 s3, v8, v8
	v_add3_u32 v92, v92, v8, 0x7fff
	v_or_b32_e32 v8, 0x400000, v8
	s_wait_alu 0xf1ff
	s_delay_alu instid0(VALU_DEP_1) | instskip(SKIP_1) | instid1(VALU_DEP_1)
	v_cndmask_b32_e64 v8, v92, v8, s3
	v_cvt_f32_fp8_e32 v92, v185
	v_mul_f32_e32 v92, s41, v92
	s_delay_alu instid0(VALU_DEP_1) | instskip(SKIP_1) | instid1(VALU_DEP_2)
	v_bfe_u32 v93, v92, 16, 1
	v_cmp_u_f32_e64 s3, v92, v92
	v_add3_u32 v93, v93, v92, 0x7fff
	v_or_b32_e32 v92, 0x400000, v92
	s_wait_alu 0xf1ff
	s_delay_alu instid0(VALU_DEP_1) | instskip(SKIP_1) | instid1(VALU_DEP_1)
	v_cndmask_b32_e64 v183, v93, v92, s3
	v_cvt_f32_fp8_e32 v92, v182
	;; [unrolled: 10-line block ×9, first 2 shown]
	v_mul_f32_e32 v92, s41, v92
	s_delay_alu instid0(VALU_DEP_1) | instskip(SKIP_1) | instid1(VALU_DEP_2)
	v_bfe_u32 v93, v92, 16, 1
	v_cmp_u_f32_e64 s3, v92, v92
	v_add3_u32 v93, v93, v92, 0x7fff
	v_or_b32_e32 v92, 0x400000, v92
	s_wait_alu 0xf1ff
	s_delay_alu instid0(VALU_DEP_1) | instskip(SKIP_2) | instid1(VALU_DEP_2)
	v_cndmask_b32_e64 v166, v93, v92, s3
	v_bfe_u32 v92, v6, 16, 1
	v_cmp_u_f32_e64 s3, v6, v6
	v_add3_u32 v92, v92, v6, 0x7fff
	v_or_b32_e32 v6, 0x400000, v6
	s_wait_alu 0xf1ff
	s_delay_alu instid0(VALU_DEP_1)
	v_cndmask_b32_e64 v6, v92, v6, s3
	scratch_load_b32 v92, off, off offset:36 ; 4-byte Folded Reload
	s_wait_loadcnt 0x0
	v_mul_f32_e32 v38, v92, v38
	scratch_load_b32 v92, off, off offset:4 ; 4-byte Folded Reload
	s_wait_loadcnt 0x0
	v_fmac_f32_e32 v38, v92, v5
	scratch_load_b32 v92, off, off offset:40 ; 4-byte Folded Reload
	v_and_b32_e32 v5, 0xffff0000, v40
	v_and_b32_e32 v40, 0xffff0000, v165
	s_wait_loadcnt 0x0
	s_delay_alu instid0(VALU_DEP_2)
	v_mul_f32_e32 v185, v92, v5
	scratch_load_b32 v5, off, off offset:8  ; 4-byte Folded Reload
	s_wait_loadcnt 0x0
	v_fmac_f32_e32 v185, v5, v40
	v_and_b32_e32 v5, 0xffff0000, v44
	scratch_load_b32 v44, off, off offset:44 ; 4-byte Folded Reload
	s_wait_loadcnt 0x0
	v_dual_mul_f32 v165, v44, v5 :: v_dual_and_b32 v40, 0xffff0000, v170
	s_clause 0x1
	scratch_load_b32 v5, off, off offset:12
	scratch_load_b32 v44, off, off offset:48
	s_wait_loadcnt 0x1
	v_fmac_f32_e32 v165, v5, v40
	v_and_b32_e32 v5, 0xffff0000, v47
	v_and_b32_e32 v40, 0xffff0000, v173
	s_wait_loadcnt 0x0
	s_delay_alu instid0(VALU_DEP_2)
	v_mul_f32_e32 v47, v44, v5
	scratch_load_b32 v5, off, off offset:16 ; 4-byte Folded Reload
	s_wait_loadcnt 0x0
	v_dual_fmac_f32 v47, v5, v40 :: v_dual_and_b32 v44, 0xffff0000, v179
	scratch_load_b32 v40, off, off offset:52 ; 4-byte Folded Reload
	v_and_b32_e32 v5, 0xffff0000, v50
	scratch_load_b32 v50, off, off offset:56 ; 4-byte Folded Reload
	s_wait_loadcnt 0x1
	v_mul_f32_e32 v40, v40, v5
	scratch_load_b32 v5, off, off offset:20 ; 4-byte Folded Reload
	s_wait_loadcnt 0x0
	v_dual_fmac_f32 v40, v5, v44 :: v_dual_and_b32 v5, 0xffff0000, v55
	s_delay_alu instid0(VALU_DEP_1)
	v_dual_mul_f32 v5, v50, v5 :: v_dual_and_b32 v44, 0xffff0000, v184
	scratch_load_b32 v50, off, off offset:24 ; 4-byte Folded Reload
	s_wait_loadcnt 0x0
	v_dual_fmac_f32 v5, v50, v44 :: v_dual_and_b32 v44, 0xffff0000, v54
	scratch_load_b32 v54, off, off offset:60 ; 4-byte Folded Reload
	v_and_b32_e32 v50, 0xffff0000, v189
	s_wait_loadcnt 0x0
	v_mul_f32_e32 v44, v54, v44
	scratch_load_b32 v54, off, off offset:28 ; 4-byte Folded Reload
	s_wait_loadcnt 0x0
	v_fmac_f32_e32 v44, v54, v50
	v_and_b32_e32 v50, 0xffff0000, v9
	scratch_load_b32 v9, off, off offset:64 ; 4-byte Folded Reload
	s_wait_loadcnt 0x0
	v_mul_f32_e32 v9, v9, v48
	scratch_load_b32 v48, off, off offset:32 ; 4-byte Folded Reload
	s_wait_loadcnt 0x0
	v_fmac_f32_e32 v9, v48, v50
	scratch_load_b32 v50, off, off offset:68 ; 4-byte Folded Reload
	v_and_b32_e32 v48, 0xffff0000, v62
	s_wait_loadcnt 0x0
	s_delay_alu instid0(VALU_DEP_1) | instskip(SKIP_3) | instid1(VALU_DEP_1)
	v_fmac_f32_e32 v38, v50, v48
	scratch_load_b32 v50, off, off offset:72 ; 4-byte Folded Reload
	v_and_b32_e32 v48, 0xffff0000, v66
	s_wait_loadcnt 0x0
	v_fmac_f32_e32 v185, v50, v48
	scratch_load_b32 v50, off, off offset:76 ; 4-byte Folded Reload
	v_and_b32_e32 v48, 0xffff0000, v70
	s_wait_loadcnt 0x0
	s_delay_alu instid0(VALU_DEP_1) | instskip(SKIP_3) | instid1(VALU_DEP_1)
	v_fmac_f32_e32 v165, v50, v48
	scratch_load_b32 v50, off, off offset:80 ; 4-byte Folded Reload
	v_and_b32_e32 v48, 0xffff0000, v72
	;; [unrolled: 9-line block ×7, first 2 shown]
	s_wait_loadcnt 0x0
	v_dual_fmac_f32 v5, v50, v48 :: v_dual_and_b32 v48, 0xffff0000, v79
	scratch_load_b32 v50, off, off offset:124 ; 4-byte Folded Reload
	s_wait_loadcnt 0x0
	v_fmac_f32_e32 v44, v50, v48
	scratch_load_b32 v50, off, off offset:128 ; 4-byte Folded Reload
	v_and_b32_e32 v48, 0xffff0000, v77
	s_wait_loadcnt 0x0
	s_delay_alu instid0(VALU_DEP_1) | instskip(SKIP_3) | instid1(VALU_DEP_1)
	v_fmac_f32_e32 v9, v50, v48
	scratch_load_b32 v50, off, off offset:132 ; 4-byte Folded Reload
	v_and_b32_e32 v48, 0xffff0000, v76
	s_wait_loadcnt 0x0
	v_fmac_f32_e32 v38, v50, v48
	scratch_load_b32 v50, off, off offset:136 ; 4-byte Folded Reload
	v_and_b32_e32 v48, 0xffff0000, v74
	s_wait_loadcnt 0x0
	s_delay_alu instid0(VALU_DEP_1) | instskip(SKIP_3) | instid1(VALU_DEP_1)
	v_fmac_f32_e32 v185, v50, v48
	scratch_load_b32 v50, off, off offset:140 ; 4-byte Folded Reload
	v_and_b32_e32 v48, 0xffff0000, v68
	;; [unrolled: 9-line block ×4, first 2 shown]
	s_wait_loadcnt 0x0
	v_fmac_f32_e32 v44, v50, v48
	scratch_load_b32 v48, off, off offset:160 ; 4-byte Folded Reload
	s_wait_loadcnt 0x0
	v_fmac_f32_e32 v9, v48, v46
	scratch_load_b32 v46, off, off offset:164 ; 4-byte Folded Reload
	;; [unrolled: 3-line block ×8, first 2 shown]
	v_and_b32_e32 v16, 0xffff0000, v88
	s_wait_loadcnt 0x0
	s_delay_alu instid0(VALU_DEP_1) | instskip(SKIP_3) | instid1(VALU_DEP_1)
	v_fmac_f32_e32 v44, v20, v16
	scratch_load_b32 v20, off, off offset:192 ; 4-byte Folded Reload
	v_and_b32_e32 v16, 0xffff0000, v89
	s_wait_loadcnt 0x0
	v_fmac_f32_e32 v9, v20, v16
	scratch_load_b32 v20, off, off offset:196 ; 4-byte Folded Reload
	v_and_b32_e32 v16, 0xffff0000, v73
	s_wait_loadcnt 0x0
	s_delay_alu instid0(VALU_DEP_1) | instskip(SKIP_3) | instid1(VALU_DEP_1)
	v_fmac_f32_e32 v38, v20, v16
	scratch_load_b32 v20, off, off offset:200 ; 4-byte Folded Reload
	v_and_b32_e32 v16, 0xffff0000, v71
	s_wait_loadcnt 0x0
	v_fmac_f32_e32 v185, v20, v16
	scratch_load_b32 v20, off, off offset:204 ; 4-byte Folded Reload
	;; [unrolled: 9-line block ×11, first 2 shown]
	s_wait_loadcnt 0x0
	v_fmac_f32_e32 v40, v16, v13
	scratch_load_b32 v13, off, off offset:280 ; 4-byte Folded Reload
	s_wait_loadcnt 0x0
	v_fmac_f32_e32 v5, v13, v7
	scratch_load_b32 v13, off, off offset:284 ; 4-byte Folded Reload
	v_and_b32_e32 v7, 0xffff0000, v90
	s_wait_loadcnt 0x0
	s_delay_alu instid0(VALU_DEP_1) | instskip(SKIP_3) | instid1(VALU_DEP_1)
	v_fmac_f32_e32 v44, v13, v7
	scratch_load_b32 v13, off, off offset:288 ; 4-byte Folded Reload
	v_and_b32_e32 v7, 0xffff0000, v91
	s_wait_loadcnt 0x0
	v_fmac_f32_e32 v9, v13, v7
	scratch_load_b32 v13, off, off offset:292 ; 4-byte Folded Reload
	v_and_b32_e32 v7, 0xffff0000, v167
	s_wait_loadcnt 0x0
	s_delay_alu instid0(VALU_DEP_1) | instskip(SKIP_3) | instid1(VALU_DEP_1)
	v_fmac_f32_e32 v38, v13, v7
	scratch_load_b32 v13, off, off offset:296 ; 4-byte Folded Reload
	v_and_b32_e32 v7, 0xffff0000, v163
	s_wait_loadcnt 0x0
	v_fmac_f32_e32 v185, v13, v7
	scratch_load_b32 v13, off, off offset:300 ; 4-byte Folded Reload
	v_and_b32_e32 v7, 0xffff0000, v161
	s_wait_loadcnt 0x0
	s_delay_alu instid0(VALU_DEP_1) | instskip(SKIP_3) | instid1(VALU_DEP_1)
	v_fmac_f32_e32 v165, v13, v7
	scratch_load_b32 v13, off, off offset:304 ; 4-byte Folded Reload
	v_and_b32_e32 v7, 0xffff0000, v159
	s_wait_loadcnt 0x0
	v_fmac_f32_e32 v47, v13, v7
	scratch_load_b32 v13, off, off offset:308 ; 4-byte Folded Reload
	v_and_b32_e32 v7, 0xffff0000, v157
	s_wait_loadcnt 0x0
	s_delay_alu instid0(VALU_DEP_1) | instskip(SKIP_3) | instid1(VALU_DEP_1)
	v_fmac_f32_e32 v40, v13, v7
	scratch_load_b32 v13, off, off offset:312 ; 4-byte Folded Reload
	v_and_b32_e32 v7, 0xffff0000, v155
	s_wait_loadcnt 0x0
	v_fmac_f32_e32 v5, v13, v7
	scratch_load_b32 v13, off, off offset:316 ; 4-byte Folded Reload
	v_and_b32_e32 v7, 0xffff0000, v153
	s_wait_loadcnt 0x0
	s_delay_alu instid0(VALU_DEP_1) | instskip(SKIP_3) | instid1(VALU_DEP_1)
	v_fmac_f32_e32 v44, v13, v7
	scratch_load_b32 v13, off, off offset:320 ; 4-byte Folded Reload
	v_and_b32_e32 v7, 0xffff0000, v151
	s_wait_loadcnt 0x0
	v_fmac_f32_e32 v9, v13, v7
	scratch_load_b32 v13, off, off offset:324 ; 4-byte Folded Reload
	v_and_b32_e32 v7, 0xffff0000, v37
	s_wait_loadcnt 0x0
	s_delay_alu instid0(VALU_DEP_1) | instskip(SKIP_3) | instid1(VALU_DEP_1)
	v_fmac_f32_e32 v38, v13, v7
	scratch_load_b32 v13, off, off offset:328 ; 4-byte Folded Reload
	v_and_b32_e32 v7, 0xffff0000, v35
	s_wait_loadcnt 0x0
	v_fmac_f32_e32 v185, v13, v7
	scratch_load_b32 v13, off, off offset:332 ; 4-byte Folded Reload
	v_and_b32_e32 v7, 0xffff0000, v33
	s_wait_loadcnt 0x0
	s_delay_alu instid0(VALU_DEP_1) | instskip(SKIP_1) | instid1(VALU_DEP_1)
	v_fmac_f32_e32 v165, v13, v7
	v_and_b32_e32 v7, 0xffff0000, v32
	v_fmac_f32_e32 v47, v96, v7
	v_and_b32_e32 v7, 0xffff0000, v30
	s_delay_alu instid0(VALU_DEP_1) | instskip(NEXT) | instid1(VALU_DEP_1)
	v_dual_fmac_f32 v40, v97, v7 :: v_dual_and_b32 v7, 0xffff0000, v29
	v_fmac_f32_e32 v5, v98, v7
	v_and_b32_e32 v7, 0xffff0000, v27
	s_delay_alu instid0(VALU_DEP_1) | instskip(NEXT) | instid1(VALU_DEP_1)
	v_dual_fmac_f32 v44, v99, v7 :: v_dual_and_b32 v7, 0xffff0000, v26
	v_fmac_f32_e32 v9, v100, v7
	v_and_b32_e32 v7, 0xffff0000, v24
	s_delay_alu instid0(VALU_DEP_1) | instskip(NEXT) | instid1(VALU_DEP_1)
	v_dual_fmac_f32 v38, v101, v7 :: v_dual_and_b32 v7, 0xffff0000, v22
	v_fmac_f32_e32 v185, v102, v7
	v_and_b32_e32 v7, 0xffff0000, v21
	s_delay_alu instid0(VALU_DEP_1) | instskip(SKIP_1) | instid1(VALU_DEP_1)
	v_fmac_f32_e32 v165, v103, v7
	v_and_b32_e32 v7, 0xffff0000, v19
	v_fmac_f32_e32 v47, v104, v7
	v_and_b32_e32 v7, 0xffff0000, v12
	s_delay_alu instid0(VALU_DEP_1) | instskip(NEXT) | instid1(VALU_DEP_1)
	v_dual_fmac_f32 v40, v105, v7 :: v_dual_and_b32 v7, 0xffff0000, v10
	v_fmac_f32_e32 v5, v106, v7
	v_and_b32_e32 v7, 0xffff0000, v15
	s_delay_alu instid0(VALU_DEP_1) | instskip(NEXT) | instid1(VALU_DEP_1)
	v_dual_fmac_f32 v44, v107, v7 :: v_dual_and_b32 v7, 0xffff0000, v174
	v_fmac_f32_e32 v9, v108, v7
	v_and_b32_e32 v7, 0xffff0000, v178
	s_delay_alu instid0(VALU_DEP_1) | instskip(NEXT) | instid1(VALU_DEP_1)
	v_dual_fmac_f32 v38, v109, v7 :: v_dual_and_b32 v7, 0xffff0000, v181
	v_fmac_f32_e32 v185, v110, v7
	v_and_b32_e32 v7, 0xffff0000, v175
	;; [unrolled: 17-line block ×3, first 2 shown]
	s_delay_alu instid0(VALU_DEP_1) | instskip(SKIP_1) | instid1(VALU_DEP_1)
	v_fmac_f32_e32 v165, v119, v7
	v_and_b32_e32 v7, 0xffff0000, v150
	v_fmac_f32_e32 v47, v120, v7
	v_and_b32_e32 v7, 0xffff0000, v149
	s_delay_alu instid0(VALU_DEP_1) | instskip(NEXT) | instid1(VALU_DEP_1)
	v_dual_fmac_f32 v40, v121, v7 :: v_dual_and_b32 v7, 0xffff0000, v148
	v_dual_fmac_f32 v40, v129, v0 :: v_dual_fmac_f32 v5, v122, v7
	v_and_b32_e32 v7, 0xffff0000, v147
	v_and_b32_e32 v0, 0xffff0000, v172
	s_delay_alu instid0(VALU_DEP_2) | instskip(NEXT) | instid1(VALU_DEP_1)
	v_dual_fmac_f32 v44, v123, v7 :: v_dual_and_b32 v7, 0xffff0000, v146
	v_fmac_f32_e32 v9, v124, v7
	v_and_b32_e32 v7, 0xffff0000, v186
	s_delay_alu instid0(VALU_DEP_1) | instskip(NEXT) | instid1(VALU_DEP_1)
	v_dual_fmac_f32 v38, v125, v7 :: v_dual_and_b32 v7, 0xffff0000, v188
	v_fmac_f32_e32 v185, v126, v7
	v_and_b32_e32 v7, 0xffff0000, v11
	s_delay_alu instid0(VALU_DEP_1) | instskip(SKIP_1) | instid1(VALU_DEP_1)
	v_fmac_f32_e32 v165, v127, v7
	v_and_b32_e32 v7, 0xffff0000, v180
	v_dual_fmac_f32 v38, v134, v7 :: v_dual_and_b32 v7, 0xffff0000, v177
	s_delay_alu instid0(VALU_DEP_1) | instskip(SKIP_1) | instid1(VALU_DEP_1)
	v_fmac_f32_e32 v185, v135, v7
	v_and_b32_e32 v7, 0xffff0000, v14
	v_fmac_f32_e32 v47, v128, v7
	v_and_b32_e32 v7, 0xffff0000, v176
	s_delay_alu instid0(VALU_DEP_2) | instskip(NEXT) | instid1(VALU_DEP_2)
	v_fmac_f32_e32 v47, v137, v0
	v_fmac_f32_e32 v165, v136, v7
	v_add_f32_e32 v7, v38, v185
	s_delay_alu instid0(VALU_DEP_1) | instskip(NEXT) | instid1(VALU_DEP_1)
	v_dual_add_f32 v0, v7, v165 :: v_dual_and_b32 v7, 0xffff0000, v8
	v_fmac_f32_e32 v5, v130, v7
	s_delay_alu instid0(VALU_DEP_2) | instskip(NEXT) | instid1(VALU_DEP_1)
	v_dual_add_f32 v0, v47, v0 :: v_dual_and_b32 v7, 0xffff0000, v171
	v_fmac_f32_e32 v40, v138, v7
	s_delay_alu instid0(VALU_DEP_1) | instskip(NEXT) | instid1(VALU_DEP_1)
	v_dual_add_f32 v0, v40, v0 :: v_dual_and_b32 v7, 0xffff0000, v183
	v_dual_fmac_f32 v44, v131, v7 :: v_dual_and_b32 v7, 0xffff0000, v168
	s_delay_alu instid0(VALU_DEP_1) | instskip(NEXT) | instid1(VALU_DEP_1)
	v_fmac_f32_e32 v5, v139, v7
	v_dual_add_f32 v0, v5, v0 :: v_dual_and_b32 v7, 0xffff0000, v182
	s_delay_alu instid0(VALU_DEP_1) | instskip(SKIP_2) | instid1(VALU_DEP_2)
	v_fmac_f32_e32 v9, v133, v7
	v_and_b32_e32 v5, 0xffff0000, v6
	v_and_b32_e32 v7, 0xffff0000, v166
	v_fmac_f32_e32 v9, v141, v5
	s_delay_alu instid0(VALU_DEP_2) | instskip(NEXT) | instid1(VALU_DEP_1)
	v_dual_fmac_f32 v44, v140, v7 :: v_dual_add_nc_u32 v5, v142, v144
	v_cvt_f32_i32_e32 v5, v5
	s_delay_alu instid0(VALU_DEP_1) | instskip(NEXT) | instid1(VALU_DEP_1)
	v_dual_add_f32 v0, v44, v0 :: v_dual_mul_f32 v5, s30, v5
	v_dual_add_f32 v0, v9, v0 :: v_dual_cndmask_b32 v5, 0, v5
	s_delay_alu instid0(VALU_DEP_1) | instskip(SKIP_3) | instid1(VALU_DEP_1)
	v_fmac_f32_e32 v5, s13, v0
	scratch_load_b32 v0, off, off           ; 4-byte Folded Reload
	s_wait_loadcnt 0x0
	v_add_nc_u32_e32 v0, v0, v144
	v_cmp_gt_i32_e64 s3, s34, v0
	v_max_num_f32_e32 v0, v132, v132
	s_delay_alu instid0(VALU_DEP_1) | instskip(SKIP_1) | instid1(VALU_DEP_1)
	v_max_num_f32_e32 v0, v0, v5
	s_wait_alu 0xf1ff
	v_cndmask_b32_e64 v132, v132, v0, s3
	v_cndmask_b32_e64 v0, 0, v5, s3
	ds_store_b32 v143, v0
	s_branch .LBB355_11
.LBB355_16:
	s_or_b32 exec_lo, exec_lo, s29
	s_clause 0x1
	scratch_load_b32 v10, off, off offset:340
	scratch_load_b32 v23, off, off offset:344
	v_lshlrev_b32_e32 v38, 2, v18
.LBB355_17:
	s_or_b32 exec_lo, exec_lo, s12
	v_mbcnt_lo_u32_b32 v0, -1, 0
	s_clause 0x2
	s_load_b128 s[12:15], s[0:1], 0x0
	s_load_b64 s[8:9], s[0:1], 0x10
	s_load_b64 s[30:31], s[0:1], 0x28
	v_max_num_f32_e32 v4, v132, v132
	v_xor_b32_e32 v1, 16, v0
	v_xor_b32_e32 v3, 8, v0
	s_delay_alu instid0(VALU_DEP_2) | instskip(SKIP_2) | instid1(VALU_DEP_3)
	v_cmp_gt_i32_e32 vcc_lo, 32, v1
	s_wait_alu 0xfffd
	v_cndmask_b32_e32 v1, v0, v1, vcc_lo
	v_cmp_gt_i32_e32 vcc_lo, 32, v3
	s_delay_alu instid0(VALU_DEP_2)
	v_lshlrev_b32_e32 v1, 2, v1
	s_wait_alu 0xfffd
	v_cndmask_b32_e32 v3, v0, v3, vcc_lo
	ds_bpermute_b32 v2, v1, v132
	s_wait_dscnt 0x0
	v_dual_max_num_f32 v5, v2, v2 :: v_dual_lshlrev_b32 v2, 2, v3
	s_delay_alu instid0(VALU_DEP_1)
	v_max_num_f32_e32 v3, v4, v5
	v_xor_b32_e32 v5, 4, v0
	ds_bpermute_b32 v4, v2, v3
	v_cmp_gt_i32_e32 vcc_lo, 32, v5
	s_wait_alu 0xfffd
	v_cndmask_b32_e32 v5, v0, v5, vcc_lo
	s_wait_dscnt 0x0
	v_max_num_f32_e32 v6, v4, v4
	s_delay_alu instid0(VALU_DEP_1)
	v_dual_max_num_f32 v3, v3, v6 :: v_dual_lshlrev_b32 v4, 2, v5
	v_xor_b32_e32 v6, 2, v0
	ds_bpermute_b32 v5, v4, v3
	v_cmp_gt_i32_e32 vcc_lo, 32, v6
	s_wait_dscnt 0x0
	s_wait_alu 0xfffd
	v_dual_cndmask_b32 v6, v0, v6 :: v_dual_max_num_f32 v5, v5, v5
	s_delay_alu instid0(VALU_DEP_1) | instskip(SKIP_1) | instid1(VALU_DEP_1)
	v_lshlrev_b32_e32 v20, 2, v6
	v_xor_b32_e32 v6, 1, v0
	v_cmp_gt_i32_e32 vcc_lo, 32, v6
	s_wait_alu 0xfffd
	v_dual_max_num_f32 v3, v3, v5 :: v_dual_cndmask_b32 v6, v0, v6
	ds_bpermute_b32 v5, v20, v3
	v_lshlrev_b32_e32 v19, 2, v6
	s_wait_dscnt 0x0
	v_max_num_f32_e32 v5, v5, v5
	s_delay_alu instid0(VALU_DEP_1)
	v_max_num_f32_e32 v0, v3, v5
	scratch_load_b32 v5, off, off           ; 4-byte Folded Reload
	ds_bpermute_b32 v3, v19, v0
	s_wait_loadcnt 0x0
	v_cmp_eq_u32_e32 vcc_lo, 0, v5
	scratch_load_b32 v5, off, off offset:336 ; 4-byte Folded Reload
	s_wait_loadcnt 0x0
	v_lshlrev_b32_e32 v5, 2, v5
	s_and_saveexec_b32 s0, vcc_lo
	s_cbranch_execz .LBB355_19
; %bb.18:
	s_wait_dscnt 0x0
	v_dual_max_num_f32 v3, v3, v3 :: v_dual_max_num_f32 v0, v0, v0
	s_delay_alu instid0(VALU_DEP_1)
	v_max_num_f32_e32 v0, v0, v3
	ds_store_b32 v5, v0 offset:256
.LBB355_19:
	s_or_b32 exec_lo, exec_lo, s0
	scratch_load_b32 v0, off, off           ; 4-byte Folded Reload
	s_wait_storecnt 0x0
	s_wait_loadcnt_dscnt 0x0
	s_barrier_signal -1
	s_barrier_wait -1
	global_inv scope:SCOPE_SE
	v_cmp_gt_u32_e64 s0, 4, v0
	v_mov_b32_e32 v0, 0xff7fffff
	s_and_saveexec_b32 s1, s0
; %bb.20:
	ds_load_b32 v0, v23 offset:256
; %bb.21:
	s_or_b32 exec_lo, exec_lo, s1
	s_wait_dscnt 0x0
	ds_bpermute_b32 v3, v20, v0
	v_max_num_f32_e32 v0, v0, v0
	s_sub_co_i32 s1, s35, s40
	v_mov_b32_e32 v6, 0
	s_lshl_b32 s1, s1, 5
	s_delay_alu instid0(SALU_CYCLE_1) | instskip(NEXT) | instid1(SALU_CYCLE_1)
	s_add_co_i32 s1, s1, s37
	s_min_i32 s1, s1, s34
	s_delay_alu instid0(SALU_CYCLE_1) | instskip(SKIP_4) | instid1(VALU_DEP_1)
	s_sub_co_i32 s4, s1, s37
	s_wait_alu 0xfffe
	v_cmp_gt_i32_e64 s1, s4, v10
	s_wait_dscnt 0x0
	v_max_num_f32_e32 v3, v3, v3
	v_max_num_f32_e32 v0, v0, v3
	ds_bpermute_b32 v3, v19, v0
	s_wait_dscnt 0x0
	v_max_num_f32_e32 v3, v3, v3
	s_delay_alu instid0(VALU_DEP_1)
	v_max_num_f32_e32 v0, v0, v3
	v_lshl_add_u32 v3, v10, 2, 0x120
	ds_bpermute_b32 v0, v6, v0
	s_and_saveexec_b32 s18, s1
	s_cbranch_execz .LBB355_25
; %bb.22:
	v_lshl_add_u32 v7, v10, 2, 0x120
	v_mov_b32_e32 v6, 0
	v_mov_b32_e32 v8, v10
	s_mov_b32 s29, 0
.LBB355_23:                             ; =>This Inner Loop Header: Depth=1
	ds_load_b32 v9, v7
	v_add_nc_u32_e32 v8, 0x80, v8
	s_delay_alu instid0(VALU_DEP_1) | instskip(SKIP_4) | instid1(VALU_DEP_1)
	v_cmp_le_i32_e64 s3, s4, v8
	s_wait_alu 0xfffe
	s_or_b32 s29, s3, s29
	s_wait_dscnt 0x0
	v_sub_f32_e32 v9, v9, v0
	v_mul_f32_e32 v9, 0x3fb8aa3b, v9
	s_delay_alu instid0(VALU_DEP_1)
	v_exp_f32_e32 v9, v9
	ds_store_b32 v7, v9
	v_dual_add_f32 v6, v6, v9 :: v_dual_add_nc_u32 v7, 0x200, v7
	s_wait_alu 0xfffe
	s_and_not1_b32 exec_lo, exec_lo, s29
	s_cbranch_execnz .LBB355_23
; %bb.24:
	s_or_b32 exec_lo, exec_lo, s29
.LBB355_25:
	s_wait_alu 0xfffe
	s_or_b32 exec_lo, exec_lo, s18
	ds_bpermute_b32 v1, v1, v6
	s_wait_dscnt 0x0
	v_add_f32_e32 v1, v6, v1
	ds_bpermute_b32 v2, v2, v1
	s_wait_dscnt 0x0
	v_add_f32_e32 v1, v1, v2
	;; [unrolled: 3-line block ×5, first 2 shown]
	s_and_saveexec_b32 s3, vcc_lo
; %bb.26:
	ds_store_b32 v5, v1 offset:272
; %bb.27:
	s_wait_alu 0xfffe
	s_or_b32 exec_lo, exec_lo, s3
	s_wait_loadcnt_dscnt 0x0
	s_barrier_signal -1
	s_barrier_wait -1
	global_inv scope:SCOPE_SE
	s_and_saveexec_b32 s3, s0
; %bb.28:
	ds_load_b32 v1, v23 offset:272
; %bb.29:
	s_wait_alu 0xfffe
	s_or_b32 exec_lo, exec_lo, s3
	s_wait_dscnt 0x0
	ds_bpermute_b32 v2, v20, v1
	s_wait_dscnt 0x0
	v_add_f32_e32 v1, v1, v2
	ds_bpermute_b32 v2, v19, v1
	s_wait_dscnt 0x0
	v_dual_add_f32 v1, v1, v2 :: v_dual_mov_b32 v2, 0
	ds_bpermute_b32 v1, v2, v1
	s_and_saveexec_b32 s0, s1
	s_cbranch_execz .LBB355_32
; %bb.30:
	s_wait_dscnt 0x0
	v_add_f32_e32 v2, 0x358637bd, v1
	s_mov_b32 s1, 0
	s_delay_alu instid0(VALU_DEP_1) | instskip(SKIP_1) | instid1(VALU_DEP_2)
	v_div_scale_f32 v4, null, v2, v2, 1.0
	v_div_scale_f32 v7, vcc_lo, 1.0, v2, 1.0
	v_rcp_f32_e32 v5, v4
	s_delay_alu instid0(TRANS32_DEP_1) | instskip(NEXT) | instid1(VALU_DEP_1)
	v_fma_f32 v6, -v4, v5, 1.0
	v_fmac_f32_e32 v5, v6, v5
	s_delay_alu instid0(VALU_DEP_1) | instskip(NEXT) | instid1(VALU_DEP_1)
	v_mul_f32_e32 v6, v7, v5
	v_fma_f32 v8, -v4, v6, v7
	s_delay_alu instid0(VALU_DEP_1) | instskip(NEXT) | instid1(VALU_DEP_1)
	v_fmac_f32_e32 v6, v8, v5
	v_fma_f32 v4, -v4, v6, v7
	s_wait_alu 0xfffd
	s_delay_alu instid0(VALU_DEP_1) | instskip(NEXT) | instid1(VALU_DEP_1)
	v_div_fmas_f32 v4, v4, v5, v6
	v_div_fixup_f32 v2, v4, v2, 1.0
	v_mov_b32_e32 v4, v10
.LBB355_31:                             ; =>This Inner Loop Header: Depth=1
	ds_load_b32 v5, v3
	s_wait_dscnt 0x0
	v_dual_mul_f32 v5, v2, v5 :: v_dual_add_nc_u32 v4, 0x80, v4
	s_delay_alu instid0(VALU_DEP_1) | instskip(SKIP_3) | instid1(SALU_CYCLE_1)
	v_cmp_le_i32_e32 vcc_lo, s4, v4
	ds_store_b32 v3, v5
	v_add_nc_u32_e32 v3, 0x200, v3
	s_or_b32 s1, vcc_lo, s1
	s_and_not1_b32 exec_lo, exec_lo, s1
	s_cbranch_execnz .LBB355_31
.LBB355_32:
	s_or_b32 exec_lo, exec_lo, s0
	s_mul_i32 s0, s7, s19
	s_wait_loadcnt_dscnt 0x0
	s_mul_i32 s18, s0, s36
	s_mov_b32 s0, exec_lo
	s_barrier_signal -1
	s_barrier_wait -1
	global_inv scope:SCOPE_SE
	v_cmpx_eq_u32_e32 0, v10
	s_cbranch_execz .LBB355_34
; %bb.33:
	s_wait_alu 0xfffe
	s_ashr_i32 s19, s18, 31
	s_mul_i32 s36, s7, ttmp9
	s_lshl_b32 s1, s33, 2
	s_wait_alu 0xfffe
	s_lshl_b64 s[40:41], s[18:19], 2
	s_ashr_i32 s37, s36, 31
	v_mov_b32_e32 v2, s1
	s_wait_kmcnt 0x0
	s_wait_alu 0xfffe
	s_add_nc_u64 s[14:15], s[14:15], s[40:41]
	s_lshl_b64 s[36:37], s[36:37], 2
	s_add_nc_u64 s[12:13], s[12:13], s[40:41]
	s_wait_alu 0xfffe
	s_add_nc_u64 s[14:15], s[14:15], s[36:37]
	s_add_nc_u64 s[12:13], s[12:13], s[36:37]
	s_clause 0x1
	global_store_b32 v2, v0, s[14:15]
	global_store_b32 v2, v1, s[12:13]
.LBB355_34:
	s_or_b32 exec_lo, exec_lo, s0
	v_dual_mov_b32 v36, 0 :: v_dual_mov_b32 v187, v10
	v_dual_mov_b32 v34, 0 :: v_dual_and_b32 v21, 3, v10
	v_dual_mov_b32 v37, 0 :: v_dual_mov_b32 v32, 0
	v_dual_mov_b32 v35, 0 :: v_dual_mov_b32 v30, 0
	;; [unrolled: 1-line block ×6, first 2 shown]
	v_mov_b32_e32 v25, 0
	v_mov_b32_e32 v23, 0
	s_and_saveexec_b32 s1, s2
	s_cbranch_execz .LBB355_72
; %bb.35:
	s_abs_i32 s2, s6
	v_dual_mov_b32 v23, 0 :: v_dual_lshlrev_b32 v0, 3, v187
	s_wait_alu 0xfffe
	s_cvt_f32_u32 s0, s2
	s_wait_kmcnt 0x0
	s_lshl_b64 s[12:13], s[26:27], 2
	v_mov_b32_e32 v22, 0
	s_wait_alu 0xfffe
	s_add_nc_u64 s[12:13], s[24:25], s[12:13]
	v_rcp_iflag_f32_e32 v1, s0
	s_wait_alu 0xfffe
	v_add_co_u32 v9, s12, s12, v38
	v_dual_mov_b32 v27, 0 :: v_dual_and_b32 v38, 24, v0
	v_dual_mov_b32 v25, 0 :: v_dual_lshlrev_b32 v2, 5, v21
	s_ashr_i32 s29, s28, 31
	v_add_co_ci_u32_e64 v10, null, s13, 0, s12
	s_delay_alu instid0(TRANS32_DEP_1)
	v_readfirstlane_b32 s6, v1
	v_and_b32_e32 v1, 0xf8, v0
	scratch_load_b32 v0, off, off offset:336 ; 4-byte Folded Reload
	s_wait_alu 0xfffe
	s_add_nc_u64 s[14:15], s[30:31], s[28:29]
	s_sub_co_i32 s0, 0, s2
	s_mul_f32 s6, s6, 0x4f7ffffe
	v_dual_mov_b32 v26, 0 :: v_dual_mov_b32 v29, 0
	v_dual_mov_b32 v28, 0 :: v_dual_mov_b32 v31, 0
	s_delay_alu instid0(SALU_CYCLE_1) | instskip(SKIP_2) | instid1(VALU_DEP_1)
	s_cvt_u32_f32 s12, s6
	s_wait_alu 0xfffe
	v_add_co_u32 v11, s6, s14, v1
	v_add_co_ci_u32_e64 v12, null, s15, 0, s6
	s_mul_i32 s0, s0, s12
	v_dual_mov_b32 v30, 0 :: v_dual_mov_b32 v33, 0
	v_dual_mov_b32 v32, 0 :: v_dual_mov_b32 v35, 0
	;; [unrolled: 1-line block ×3, first 2 shown]
	v_mov_b32_e32 v36, 0
	s_wait_alu 0xfffe
	s_mul_hi_u32 s0, s12, s0
	s_sub_co_i32 s3, s39, s5
	s_mov_b32 s4, s17
	s_add_co_i32 s5, s38, -1
	s_mov_b32 s6, 0
	s_wait_alu 0xfffe
	s_add_co_i32 s12, s12, s0
	v_mov_b32_e32 v24, 0
	s_wait_loadcnt 0x0
	v_lshl_or_b32 v0, v0, 7, v2
	s_delay_alu instid0(VALU_DEP_1)
	v_add_nc_u32_e32 v39, 0x120, v0
	s_branch .LBB355_38
.LBB355_36:                             ;   in Loop: Header=BB355_38 Depth=1
	s_wait_alu 0xfffe
	s_or_b32 exec_lo, exec_lo, s0
	s_wait_dscnt 0x1
	v_bfe_u32 v88, v5, 16, 1
	v_or_b32_e32 v89, 0x400000, v5
	v_bfe_u32 v90, v6, 16, 1
	v_cmp_u_f32_e32 vcc_lo, v5, v5
	v_bfe_u32 v91, v7, 16, 1
	v_add3_u32 v88, v88, v5, 0x7fff
	v_or_b32_e32 v92, 0x400000, v6
	v_add3_u32 v90, v90, v6, 0x7fff
	v_or_b32_e32 v93, 0x400000, v7
	v_add3_u32 v91, v91, v7, 0x7fff
	s_wait_alu 0xfffd
	v_cndmask_b32_e32 v5, v88, v89, vcc_lo
	v_cmp_u_f32_e32 vcc_lo, v6, v6
	v_bfe_u32 v88, v8, 16, 1
	s_wait_dscnt 0x0
	v_bfe_u32 v89, v1, 16, 1
	v_lshlrev_b32_e32 v164, 16, v164
	s_wait_alu 0xfffd
	v_dual_cndmask_b32 v6, v90, v92 :: v_dual_lshlrev_b32 v155, 16, v155
	v_cmp_u_f32_e32 vcc_lo, v7, v7
	v_add3_u32 v88, v88, v8, 0x7fff
	v_or_b32_e32 v90, 0x400000, v8
	v_add3_u32 v89, v89, v1, 0x7fff
	v_bfe_u32 v92, v2, 16, 1
	s_wait_alu 0xfffd
	v_cndmask_b32_e32 v7, v91, v93, vcc_lo
	v_cmp_u_f32_e32 vcc_lo, v8, v8
	v_or_b32_e32 v91, 0x400000, v1
	v_lshlrev_b32_e32 v140, 16, v140
	v_lshlrev_b32_e32 v16, 16, v16
	;; [unrolled: 1-line block ×3, first 2 shown]
	s_wait_alu 0xfffd
	v_cndmask_b32_e32 v8, v88, v90, vcc_lo
	v_cmp_u_f32_e32 vcc_lo, v1, v1
	v_or_b32_e32 v90, 0x400000, v2
	v_and_b32_e32 v1, 0xffff0000, v6
	v_lshlrev_b32_e32 v6, 16, v170
	v_lshlrev_b32_e32 v114, 16, v114
	s_wait_alu 0xfffd
	v_cndmask_b32_e32 v88, v89, v91, vcc_lo
	v_add3_u32 v89, v92, v2, 0x7fff
	v_bfe_u32 v91, v3, 16, 1
	v_cmp_u_f32_e32 vcc_lo, v2, v2
	v_dual_mul_f32 v6, v1, v6 :: v_dual_and_b32 v5, 0xffff0000, v5
	v_lshlrev_b32_e32 v92, 16, v169
	s_delay_alu instid0(VALU_DEP_4)
	v_add3_u32 v2, v91, v3, 0x7fff
	s_wait_alu 0xfffd
	v_cndmask_b32_e32 v89, v89, v90, vcc_lo
	v_or_b32_e32 v90, 0x400000, v3
	v_bfe_u32 v91, v4, 16, 1
	v_cmp_u_f32_e32 vcc_lo, v3, v3
	v_bfe_u32 v93, v6, 16, 1
	v_dual_mul_f32 v92, v5, v92 :: v_dual_and_b32 v7, 0xffff0000, v7
	s_delay_alu instid0(VALU_DEP_4)
	v_add3_u32 v3, v91, v4, 0x7fff
	s_wait_alu 0xfffd
	v_cndmask_b32_e32 v90, v2, v90, vcc_lo
	v_or_b32_e32 v91, 0x400000, v4
	v_cmp_u_f32_e32 vcc_lo, v4, v4
	v_lshlrev_b32_e32 v112, 16, v112
	v_lshlrev_b32_e32 v87, 16, v87
	;; [unrolled: 1-line block ×4, first 2 shown]
	s_wait_alu 0xfffd
	v_cndmask_b32_e32 v4, v3, v91, vcc_lo
	v_add3_u32 v3, v93, v6, 0x7fff
	v_or_b32_e32 v91, 0x400000, v6
	v_cmp_u_f32_e32 vcc_lo, v6, v6
	v_dual_mul_f32 v78, v5, v78 :: v_dual_lshlrev_b32 v47, 16, v47
	v_lshlrev_b32_e32 v82, 16, v82
	s_wait_alu 0xfffd
	v_dual_cndmask_b32 v91, v3, v91 :: v_dual_lshlrev_b32 v86, 16, v86
	v_and_b32_e32 v3, 0xffff0000, v89
	v_bfe_u32 v93, v92, 16, 1
	v_cmp_u_f32_e32 vcc_lo, v92, v92
	v_mul_f32_e32 v47, v1, v47
	v_and_b32_e32 v91, 0xffff0000, v91
	v_lshlrev_b32_e32 v76, 16, v76
	v_add3_u32 v6, v93, v92, 0x7fff
	v_or_b32_e32 v93, 0x400000, v92
	v_and_b32_e32 v2, 0xffff0000, v8
	v_lshlrev_b32_e32 v8, 16, v168
	v_dual_mul_f32 v76, v7, v76 :: v_dual_lshlrev_b32 v43, 16, v43
	s_wait_alu 0xfffd
	v_dual_cndmask_b32 v89, v6, v93 :: v_dual_lshlrev_b32 v74, 16, v74
	s_delay_alu instid0(VALU_DEP_3) | instskip(SKIP_2) | instid1(VALU_DEP_4)
	v_mul_f32_e32 v94, v2, v8
	v_lshlrev_b32_e32 v72, 16, v72
	v_lshlrev_b32_e32 v70, 16, v70
	v_and_b32_e32 v89, 0xffff0000, v89
	v_lshlrev_b32_e32 v68, 16, v68
	v_bfe_u32 v96, v94, 16, 1
	v_or_b32_e32 v92, 0x400000, v94
	v_cmp_u_f32_e32 vcc_lo, v94, v94
	v_mul_f32_e32 v70, v5, v70
	v_mul_f32_e32 v68, v7, v68
	v_add3_u32 v6, v96, v94, 0x7fff
	v_lshlrev_b32_e32 v66, 16, v66
	v_lshlrev_b32_e32 v64, 16, v64
	;; [unrolled: 1-line block ×4, first 2 shown]
	s_wait_alu 0xfffd
	v_cndmask_b32_e32 v92, v6, v92, vcc_lo
	v_lshlrev_b32_e32 v58, 16, v58
	v_lshlrev_b32_e32 v56, 16, v56
	;; [unrolled: 1-line block ×3, first 2 shown]
	v_mul_f32_e32 v60, v7, v60
	v_and_b32_e32 v92, 0xffff0000, v92
	v_lshlrev_b32_e32 v8, 16, v167
	v_add_f32_e32 v89, v89, v91
	v_mul_f32_e32 v54, v5, v54
	v_lshlrev_b32_e32 v52, 16, v52
	v_lshlrev_b32_e32 v57, 16, v57
	v_dual_mul_f32 v167, v7, v8 :: v_dual_lshlrev_b32 v8, 16, v166
	v_lshlrev_b32_e32 v50, 16, v50
	s_delay_alu instid0(VALU_DEP_4) | instskip(SKIP_1) | instid1(VALU_DEP_4)
	v_mul_f32_e32 v52, v7, v52
	v_lshlrev_b32_e32 v48, 16, v48
	v_bfe_u32 v93, v167, 16, 1
	v_cmp_u_f32_e32 vcc_lo, v167, v167
	v_lshlrev_b32_e32 v46, 16, v46
	v_lshlrev_b32_e32 v44, 16, v44
	;; [unrolled: 1-line block ×3, first 2 shown]
	v_add3_u32 v6, v93, v167, 0x7fff
	v_or_b32_e32 v93, 0x400000, v167
	v_mul_f32_e32 v46, v5, v46
	v_mul_f32_e32 v44, v7, v44
	v_lshlrev_b32_e32 v42, 16, v42
	s_wait_alu 0xfffd
	v_dual_cndmask_b32 v93, v6, v93 :: v_dual_lshlrev_b32 v40, 16, v40
	v_mul_f32_e32 v96, v3, v8
	v_and_b32_e32 v8, 0xffff0000, v88
	v_and_b32_e32 v6, 0xffff0000, v90
	v_lshlrev_b32_e32 v90, 16, v163
	v_and_b32_e32 v93, 0xffff0000, v93
	v_bfe_u32 v94, v96, 16, 1
	v_or_b32_e32 v163, 0x400000, v96
	v_cmp_u_f32_e32 vcc_lo, v96, v96
	v_mul_f32_e32 v16, v8, v16
	v_add_f32_e32 v91, v93, v92
	v_and_b32_e32 v4, 0xffff0000, v4
	v_add3_u32 v94, v94, v96, 0x7fff
	v_mul_f32_e32 v114, v8, v114
	s_delay_alu instid0(VALU_DEP_4) | instskip(NEXT) | instid1(VALU_DEP_4)
	v_dual_mul_f32 v82, v8, v82 :: v_dual_add_f32 v89, v91, v89
	v_dual_mul_f32 v164, v4, v164 :: v_dual_lshlrev_b32 v91, 16, v162
	v_lshlrev_b32_e32 v88, 16, v165
	s_wait_alu 0xfffd
	v_cndmask_b32_e32 v94, v94, v163, vcc_lo
	v_mul_f32_e32 v74, v8, v74
	v_bfe_u32 v167, v164, 16, 1
	v_dual_mul_f32 v91, v1, v91 :: v_dual_mul_f32 v88, v8, v88
	s_delay_alu instid0(VALU_DEP_4) | instskip(SKIP_1) | instid1(VALU_DEP_4)
	v_and_b32_e32 v92, 0xffff0000, v94
	v_mul_f32_e32 v66, v8, v66
	v_add3_u32 v96, v167, v164, 0x7fff
	v_mul_f32_e32 v58, v8, v58
	v_bfe_u32 v165, v88, 16, 1
	v_or_b32_e32 v166, 0x400000, v88
	v_cmp_u_f32_e32 vcc_lo, v88, v88
	v_lshlrev_b32_e32 v159, 16, v159
	v_lshlrev_b32_e32 v55, 16, v55
	v_add3_u32 v165, v165, v88, 0x7fff
	v_mul_f32_e32 v50, v8, v50
	v_mul_f32_e32 v42, v8, v42
	v_lshlrev_b32_e32 v14, 16, v14
	s_wait_alu 0xfffd
	v_dual_cndmask_b32 v88, v165, v166 :: v_dual_lshlrev_b32 v151, 16, v151
	v_or_b32_e32 v165, 0x400000, v164
	v_lshlrev_b32_e32 v147, 16, v147
	v_lshlrev_b32_e32 v149, 16, v149
	s_delay_alu instid0(VALU_DEP_4) | instskip(SKIP_2) | instid1(VALU_DEP_4)
	v_dual_mul_f32 v151, v7, v151 :: v_dual_and_b32 v88, 0xffff0000, v88
	v_lshlrev_b32_e32 v156, 16, v156
	v_lshlrev_b32_e32 v139, 16, v139
	v_mul_f32_e32 v149, v8, v149
	s_delay_alu instid0(VALU_DEP_4) | instskip(SKIP_3) | instid1(VALU_DEP_4)
	v_dual_add_f32 v88, v88, v92 :: v_dual_lshlrev_b32 v135, 16, v135
	v_lshlrev_b32_e32 v92, 16, v161
	v_lshlrev_b32_e32 v146, 16, v146
	;; [unrolled: 1-line block ×3, first 2 shown]
	v_dual_mul_f32 v135, v7, v135 :: v_dual_add_f32 v88, v88, v89
	s_delay_alu instid0(VALU_DEP_4) | instskip(SKIP_2) | instid1(VALU_DEP_3)
	v_dual_mul_f32 v89, v5, v92 :: v_dual_mul_f32 v90, v6, v90
	v_dual_mul_f32 v147, v6, v147 :: v_dual_lshlrev_b32 v92, 16, v160
	v_lshlrev_b32_e32 v134, 16, v134
	v_bfe_u32 v94, v89, 16, 1
	s_delay_alu instid0(VALU_DEP_4)
	v_bfe_u32 v163, v90, 16, 1
	v_or_b32_e32 v166, 0x400000, v90
	v_cmp_u_f32_e32 vcc_lo, v90, v90
	v_mul_f32_e32 v134, v3, v134
	v_add3_u32 v94, v94, v89, 0x7fff
	v_add3_u32 v163, v163, v90, 0x7fff
	v_mul_f32_e32 v0, v6, v0
	v_mul_f32_e32 v112, v6, v112
	;; [unrolled: 1-line block ×4, first 2 shown]
	s_wait_alu 0xfffd
	v_cndmask_b32_e32 v90, v163, v166, vcc_lo
	v_cmp_u_f32_e32 vcc_lo, v164, v164
	v_mul_f32_e32 v64, v6, v64
	v_mul_f32_e32 v56, v6, v56
	v_mul_f32_e32 v48, v6, v48
	s_wait_alu 0xfffd
	v_dual_cndmask_b32 v93, v96, v165 :: v_dual_and_b32 v90, 0xffff0000, v90
	v_cmp_u_f32_e32 vcc_lo, v91, v91
	v_or_b32_e32 v96, 0x400000, v89
	v_dual_mul_f32 v40, v6, v40 :: v_dual_mul_f32 v15, v4, v15
	s_delay_alu instid0(VALU_DEP_4)
	v_and_b32_e32 v93, 0xffff0000, v93
	v_lshlrev_b32_e32 v115, 16, v115
	v_lshlrev_b32_e32 v113, 16, v113
	;; [unrolled: 1-line block ×4, first 2 shown]
	v_add_f32_e32 v90, v90, v93
	v_bfe_u32 v93, v91, 16, 1
	v_mul_f32_e32 v115, v3, v115
	v_mul_f32_e32 v95, v6, v95
	s_delay_alu instid0(VALU_DEP_4)
	v_dual_mul_f32 v87, v1, v87 :: v_dual_add_f32 v88, v90, v88
	v_mul_f32_e32 v90, v2, v92
	v_add3_u32 v92, v93, v91, 0x7fff
	v_or_b32_e32 v93, 0x400000, v91
	v_lshlrev_b32_e32 v85, 16, v85
	v_lshlrev_b32_e32 v83, 16, v83
	v_bfe_u32 v160, v90, 16, 1
	v_lshlrev_b32_e32 v81, 16, v81
	s_wait_alu 0xfffd
	v_cndmask_b32_e32 v91, v92, v93, vcc_lo
	v_cmp_u_f32_e32 vcc_lo, v89, v89
	v_mul_f32_e32 v92, v7, v159
	v_add3_u32 v93, v160, v90, 0x7fff
	v_mul_f32_e32 v85, v2, v85
	v_and_b32_e32 v91, 0xffff0000, v91
	s_wait_alu 0xfffd
	v_cndmask_b32_e32 v89, v94, v96, vcc_lo
	v_or_b32_e32 v94, 0x400000, v90
	v_cmp_u_f32_e32 vcc_lo, v90, v90
	v_lshlrev_b32_e32 v96, 16, v158
	v_bfe_u32 v158, v92, 16, 1
	v_and_b32_e32 v89, 0xffff0000, v89
	s_wait_alu 0xfffd
	v_dual_mul_f32 v83, v3, v83 :: v_dual_cndmask_b32 v90, v93, v94
	v_dual_mul_f32 v93, v3, v96 :: v_dual_mul_f32 v94, v8, v157
	v_add3_u32 v96, v158, v92, 0x7fff
	v_or_b32_e32 v157, 0x400000, v92
	v_cmp_u_f32_e32 vcc_lo, v92, v92
	v_and_b32_e32 v90, 0xffff0000, v90
	v_bfe_u32 v158, v93, 16, 1
	v_bfe_u32 v159, v94, 16, 1
	s_wait_alu 0xfffd
	v_dual_add_f32 v89, v89, v91 :: v_dual_cndmask_b32 v92, v96, v157
	v_mul_f32_e32 v96, v4, v156
	v_add3_u32 v156, v158, v93, 0x7fff
	v_or_b32_e32 v157, 0x400000, v93
	v_cmp_u_f32_e32 vcc_lo, v93, v93
	v_and_b32_e32 v92, 0xffff0000, v92
	v_add3_u32 v158, v159, v94, 0x7fff
	v_or_b32_e32 v159, 0x400000, v94
	v_bfe_u32 v160, v96, 16, 1
	s_wait_alu 0xfffd
	v_cndmask_b32_e32 v93, v156, v157, vcc_lo
	v_add_f32_e32 v90, v92, v90
	v_cmp_u_f32_e32 vcc_lo, v94, v94
	v_or_b32_e32 v157, 0x400000, v96
	v_add3_u32 v156, v160, v96, 0x7fff
	v_and_b32_e32 v93, 0xffff0000, v93
	v_add_f32_e32 v89, v90, v89
	s_wait_alu 0xfffd
	v_cndmask_b32_e32 v94, v158, v159, vcc_lo
	v_cmp_u_f32_e32 vcc_lo, v96, v96
	v_add_f32_e32 v23, v23, v88
	v_mul_f32_e32 v81, v4, v81
	v_lshlrev_b32_e32 v77, 16, v77
	s_wait_alu 0xfffd
	v_dual_cndmask_b32 v96, v156, v157 :: v_dual_and_b32 v91, 0xffff0000, v94
	v_mul_f32_e32 v155, v6, v155
	v_lshlrev_b32_e32 v79, 16, v79
	v_mul_f32_e32 v77, v2, v77
	s_delay_alu instid0(VALU_DEP_4) | instskip(NEXT) | instid1(VALU_DEP_4)
	v_dual_add_f32 v91, v91, v93 :: v_dual_and_b32 v96, 0xffff0000, v96
	v_bfe_u32 v156, v155, 16, 1
	v_lshlrev_b32_e32 v92, 16, v154
	v_or_b32_e32 v154, 0x400000, v155
	v_cmp_u_f32_e32 vcc_lo, v155, v155
	v_add_f32_e32 v89, v91, v89
	v_add3_u32 v94, v156, v155, 0x7fff
	v_bfe_u32 v156, v147, 16, 1
	v_lshlrev_b32_e32 v75, 16, v75
	v_lshlrev_b32_e32 v73, 16, v73
	;; [unrolled: 1-line block ×3, first 2 shown]
	s_wait_alu 0xfffd
	v_cndmask_b32_e32 v93, v94, v154, vcc_lo
	v_or_b32_e32 v154, 0x400000, v149
	v_mul_f32_e32 v75, v3, v75
	v_mul_f32_e32 v73, v4, v73
	;; [unrolled: 1-line block ×3, first 2 shown]
	v_and_b32_e32 v93, 0xffff0000, v93
	v_lshlrev_b32_e32 v69, 16, v69
	v_lshlrev_b32_e32 v67, 16, v67
	v_lshlrev_b32_e32 v65, 16, v65
	v_lshlrev_b32_e32 v63, 16, v63
	v_dual_add_f32 v93, v93, v96 :: v_dual_lshlrev_b32 v96, 16, v145
	v_mul_f32_e32 v90, v1, v92
	v_lshlrev_b32_e32 v92, 16, v153
	s_delay_alu instid0(VALU_DEP_3) | instskip(NEXT) | instid1(VALU_DEP_4)
	v_dual_add_f32 v89, v93, v89 :: v_dual_lshlrev_b32 v150, 16, v150
	v_mul_f32_e32 v93, v5, v96
	s_delay_alu instid0(VALU_DEP_4) | instskip(NEXT) | instid1(VALU_DEP_4)
	v_bfe_u32 v94, v90, 16, 1
	v_mul_f32_e32 v91, v5, v92
	v_lshlrev_b32_e32 v92, 16, v152
	v_add_f32_e32 v24, v24, v89
	v_bfe_u32 v89, v93, 16, 1
	v_add3_u32 v94, v94, v90, 0x7fff
	v_or_b32_e32 v152, 0x400000, v90
	v_bfe_u32 v153, v91, 16, 1
	v_cmp_u_f32_e32 vcc_lo, v90, v90
	v_add3_u32 v89, v89, v93, 0x7fff
	v_mul_f32_e32 v92, v2, v92
	v_mul_f32_e32 v150, v3, v150
	v_lshlrev_b32_e32 v96, 16, v143
	s_wait_alu 0xfffd
	v_cndmask_b32_e32 v90, v94, v152, vcc_lo
	v_add3_u32 v94, v153, v91, 0x7fff
	v_or_b32_e32 v152, 0x400000, v91
	v_bfe_u32 v153, v92, 16, 1
	v_cmp_u_f32_e32 vcc_lo, v91, v91
	v_dual_mul_f32 v69, v2, v69 :: v_dual_and_b32 v90, 0xffff0000, v90
	v_mul_f32_e32 v67, v3, v67
	v_mul_f32_e32 v65, v4, v65
	s_wait_alu 0xfffd
	v_cndmask_b32_e32 v91, v94, v152, vcc_lo
	v_add3_u32 v94, v153, v92, 0x7fff
	v_or_b32_e32 v152, 0x400000, v92
	v_bfe_u32 v153, v151, 16, 1
	v_cmp_u_f32_e32 vcc_lo, v92, v92
	v_and_b32_e32 v91, 0xffff0000, v91
	v_mul_f32_e32 v63, v1, v63
	v_lshlrev_b32_e32 v61, 16, v61
	s_wait_alu 0xfffd
	v_dual_cndmask_b32 v92, v94, v152 :: v_dual_lshlrev_b32 v59, 16, v59
	v_add3_u32 v94, v153, v151, 0x7fff
	v_or_b32_e32 v152, 0x400000, v151
	v_bfe_u32 v153, v150, 16, 1
	v_cmp_u_f32_e32 vcc_lo, v151, v151
	v_bfe_u32 v151, v149, 16, 1
	v_and_b32_e32 v92, 0xffff0000, v92
	v_dual_add_f32 v90, v91, v90 :: v_dual_mul_f32 v61, v2, v61
	s_wait_alu 0xfffd
	v_cndmask_b32_e32 v94, v94, v152, vcc_lo
	v_add3_u32 v152, v153, v150, 0x7fff
	v_or_b32_e32 v153, 0x400000, v150
	v_cmp_u_f32_e32 vcc_lo, v150, v150
	v_add3_u32 v151, v151, v149, 0x7fff
	v_dual_mul_f32 v59, v3, v59 :: v_dual_and_b32 v94, 0xffff0000, v94
	s_wait_alu 0xfffd
	v_dual_mul_f32 v55, v1, v55 :: v_dual_cndmask_b32 v150, v152, v153
	v_cmp_u_f32_e32 vcc_lo, v149, v149
	v_add3_u32 v152, v156, v147, 0x7fff
	v_or_b32_e32 v153, 0x400000, v147
	s_delay_alu instid0(VALU_DEP_4) | instskip(SKIP_3) | instid1(VALU_DEP_3)
	v_dual_add_f32 v91, v94, v92 :: v_dual_and_b32 v94, 0xffff0000, v150
	s_wait_alu 0xfffd
	v_cndmask_b32_e32 v149, v151, v154, vcc_lo
	v_cmp_u_f32_e32 vcc_lo, v147, v147
	v_dual_mul_f32 v57, v4, v57 :: v_dual_add_f32 v90, v91, v90
	v_lshlrev_b32_e32 v53, 16, v53
	s_delay_alu instid0(VALU_DEP_4) | instskip(SKIP_4) | instid1(VALU_DEP_3)
	v_and_b32_e32 v92, 0xffff0000, v149
	s_wait_alu 0xfffd
	v_cndmask_b32_e32 v147, v152, v153, vcc_lo
	v_lshlrev_b32_e32 v51, 16, v51
	v_dual_mul_f32 v53, v2, v53 :: v_dual_lshlrev_b32 v84, 16, v84
	v_dual_add_f32 v91, v92, v94 :: v_dual_and_b32 v92, 0xffff0000, v147
	s_delay_alu instid0(VALU_DEP_3) | instskip(NEXT) | instid1(VALU_DEP_2)
	v_dual_mul_f32 v51, v3, v51 :: v_dual_lshlrev_b32 v148, 16, v148
	v_dual_add_f32 v90, v91, v90 :: v_dual_lshlrev_b32 v49, 16, v49
	s_delay_alu instid0(VALU_DEP_2) | instskip(SKIP_1) | instid1(VALU_DEP_3)
	v_dual_mul_f32 v148, v4, v148 :: v_dual_lshlrev_b32 v45, 16, v45
	v_mul_f32_e32 v43, v3, v43
	v_mul_f32_e32 v49, v4, v49
	v_lshlrev_b32_e32 v41, 16, v41
	s_delay_alu instid0(VALU_DEP_4)
	v_mul_f32_e32 v45, v2, v45
	v_bfe_u32 v155, v148, 16, 1
	v_or_b32_e32 v154, 0x400000, v148
	v_cmp_u_f32_e32 vcc_lo, v148, v148
	v_mul_f32_e32 v41, v4, v41
	v_lshlrev_b32_e32 v13, 16, v13
	v_add3_u32 v151, v155, v148, 0x7fff
	s_wait_alu 0xfffd
	s_delay_alu instid0(VALU_DEP_1) | instskip(NEXT) | instid1(VALU_DEP_1)
	v_cndmask_b32_e32 v148, v151, v154, vcc_lo
	v_and_b32_e32 v94, 0xffff0000, v148
	s_delay_alu instid0(VALU_DEP_1) | instskip(SKIP_2) | instid1(VALU_DEP_3)
	v_add_f32_e32 v91, v92, v94
	v_mul_f32_e32 v92, v1, v146
	v_or_b32_e32 v94, 0x400000, v93
	v_add_f32_e32 v88, v91, v90
	s_delay_alu instid0(VALU_DEP_3) | instskip(SKIP_2) | instid1(VALU_DEP_4)
	v_bfe_u32 v90, v92, 16, 1
	v_lshlrev_b32_e32 v91, 16, v144
	v_cmp_u_f32_e32 vcc_lo, v92, v92
	v_add_f32_e32 v25, v25, v88
	s_delay_alu instid0(VALU_DEP_4) | instskip(SKIP_4) | instid1(VALU_DEP_3)
	v_add3_u32 v88, v90, v92, 0x7fff
	v_or_b32_e32 v90, 0x400000, v92
	v_dual_mul_f32 v91, v2, v91 :: v_dual_mul_f32 v92, v7, v96
	v_lshlrev_b32_e32 v96, 16, v141
	s_wait_alu 0xfffd
	v_cndmask_b32_e32 v88, v88, v90, vcc_lo
	s_delay_alu instid0(VALU_DEP_3)
	v_bfe_u32 v90, v91, 16, 1
	v_cmp_u_f32_e32 vcc_lo, v93, v93
	v_lshlrev_b32_e32 v93, 16, v142
	v_bfe_u32 v141, v92, 16, 1
	v_and_b32_e32 v88, 0xffff0000, v88
	v_add3_u32 v90, v90, v91, 0x7fff
	s_wait_alu 0xfffd
	v_cndmask_b32_e32 v89, v89, v94, vcc_lo
	v_or_b32_e32 v94, 0x400000, v91
	v_mul_f32_e32 v93, v3, v93
	v_cmp_u_f32_e32 vcc_lo, v91, v91
	v_mul_f32_e32 v91, v8, v96
	v_or_b32_e32 v96, 0x400000, v92
	s_wait_alu 0xfffd
	v_dual_cndmask_b32 v90, v90, v94 :: v_dual_and_b32 v89, 0xffff0000, v89
	v_add3_u32 v94, v141, v92, 0x7fff
	v_bfe_u32 v141, v93, 16, 1
	v_cmp_u_f32_e32 vcc_lo, v92, v92
	v_bfe_u32 v142, v91, 16, 1
	v_and_b32_e32 v90, 0xffff0000, v90
	v_add_f32_e32 v88, v89, v88
	s_wait_alu 0xfffd
	v_cndmask_b32_e32 v92, v94, v96, vcc_lo
	v_add3_u32 v94, v141, v93, 0x7fff
	v_mul_f32_e32 v96, v4, v140
	v_or_b32_e32 v140, 0x400000, v93
	v_cmp_u_f32_e32 vcc_lo, v93, v93
	v_add3_u32 v141, v142, v91, 0x7fff
	v_or_b32_e32 v142, 0x400000, v91
	v_bfe_u32 v143, v96, 16, 1
	v_and_b32_e32 v92, 0xffff0000, v92
	s_wait_alu 0xfffd
	v_cndmask_b32_e32 v93, v94, v140, vcc_lo
	v_mul_f32_e32 v94, v6, v139
	v_cmp_u_f32_e32 vcc_lo, v91, v91
	v_add3_u32 v139, v143, v96, 0x7fff
	v_or_b32_e32 v140, 0x400000, v96
	v_dual_add_f32 v89, v92, v90 :: v_dual_and_b32 v92, 0xffff0000, v93
	s_wait_alu 0xfffd
	v_cndmask_b32_e32 v91, v141, v142, vcc_lo
	v_bfe_u32 v141, v94, 16, 1
	v_cmp_u_f32_e32 vcc_lo, v96, v96
	v_add_f32_e32 v88, v89, v88
	s_delay_alu instid0(VALU_DEP_4)
	v_and_b32_e32 v90, 0xffff0000, v91
	s_wait_alu 0xfffd
	v_dual_cndmask_b32 v96, v139, v140 :: v_dual_lshlrev_b32 v91, 16, v138
	v_add3_u32 v139, v141, v94, 0x7fff
	v_or_b32_e32 v140, 0x400000, v94
	v_cmp_u_f32_e32 vcc_lo, v94, v94
	s_delay_alu instid0(VALU_DEP_4)
	v_dual_mul_f32 v89, v1, v91 :: v_dual_add_f32 v90, v90, v92
	v_lshlrev_b32_e32 v91, 16, v137
	v_bfe_u32 v137, v15, 16, 1
	s_wait_alu 0xfffd
	v_cndmask_b32_e32 v93, v139, v140, vcc_lo
	v_bfe_u32 v94, v89, 16, 1
	v_add_f32_e32 v88, v90, v88
	v_dual_mul_f32 v90, v5, v91 :: v_dual_lshlrev_b32 v91, 16, v136
	s_delay_alu instid0(VALU_DEP_4) | instskip(SKIP_2) | instid1(VALU_DEP_4)
	v_and_b32_e32 v92, 0xffff0000, v93
	v_and_b32_e32 v93, 0xffff0000, v96
	v_cmp_u_f32_e32 vcc_lo, v89, v89
	v_bfe_u32 v96, v90, 16, 1
	v_mul_f32_e32 v91, v2, v91
	v_or_b32_e32 v136, 0x400000, v16
	v_add_f32_e32 v92, v92, v93
	v_add3_u32 v93, v94, v89, 0x7fff
	v_or_b32_e32 v94, 0x400000, v89
	s_wait_alu 0xfffd
	s_delay_alu instid0(VALU_DEP_1)
	v_cndmask_b32_e32 v89, v93, v94, vcc_lo
	v_add3_u32 v93, v96, v90, 0x7fff
	v_or_b32_e32 v94, 0x400000, v90
	v_bfe_u32 v96, v91, 16, 1
	v_cmp_u_f32_e32 vcc_lo, v90, v90
	s_wait_alu 0xfffd
	s_delay_alu instid0(VALU_DEP_3) | instskip(NEXT) | instid1(VALU_DEP_3)
	v_dual_cndmask_b32 v90, v93, v94 :: v_dual_and_b32 v89, 0xffff0000, v89
	v_add3_u32 v93, v96, v91, 0x7fff
	v_or_b32_e32 v94, 0x400000, v91
	v_bfe_u32 v96, v135, 16, 1
	v_cmp_u_f32_e32 vcc_lo, v91, v91
	v_and_b32_e32 v90, 0xffff0000, v90
	s_wait_alu 0xfffd
	v_cndmask_b32_e32 v91, v93, v94, vcc_lo
	v_add3_u32 v93, v96, v135, 0x7fff
	v_or_b32_e32 v94, 0x400000, v135
	v_bfe_u32 v96, v134, 16, 1
	v_cmp_u_f32_e32 vcc_lo, v135, v135
	v_or_b32_e32 v135, 0x400000, v134
	v_and_b32_e32 v91, 0xffff0000, v91
	v_add_f32_e32 v89, v90, v89
	v_add3_u32 v96, v96, v134, 0x7fff
	s_wait_alu 0xfffd
	v_cndmask_b32_e32 v93, v93, v94, vcc_lo
	v_bfe_u32 v94, v16, 16, 1
	v_cmp_u_f32_e32 vcc_lo, v134, v134
	v_bfe_u32 v134, v0, 16, 1
	s_delay_alu instid0(VALU_DEP_4) | instskip(NEXT) | instid1(VALU_DEP_4)
	v_and_b32_e32 v93, 0xffff0000, v93
	v_add3_u32 v94, v94, v16, 0x7fff
	s_wait_alu 0xfffd
	v_cndmask_b32_e32 v96, v96, v135, vcc_lo
	v_cmp_u_f32_e32 vcc_lo, v16, v16
	v_add3_u32 v134, v134, v0, 0x7fff
	v_or_b32_e32 v135, 0x400000, v15
	s_delay_alu instid0(VALU_DEP_4)
	v_dual_add_f32 v90, v93, v91 :: v_dual_and_b32 v91, 0xffff0000, v96
	s_wait_alu 0xfffd
	v_cndmask_b32_e32 v16, v94, v136, vcc_lo
	v_or_b32_e32 v136, 0x400000, v0
	v_cmp_u_f32_e32 vcc_lo, v0, v0
	v_add3_u32 v94, v137, v15, 0x7fff
	s_delay_alu instid0(VALU_DEP_4)
	v_dual_add_f32 v89, v90, v89 :: v_dual_and_b32 v16, 0xffff0000, v16
	v_lshlrev_b32_e32 v90, 16, v133
	s_wait_alu 0xfffd
	v_cndmask_b32_e32 v0, v134, v136, vcc_lo
	v_cmp_u_f32_e32 vcc_lo, v15, v15
	v_dual_add_f32 v16, v16, v91 :: v_dual_lshlrev_b32 v91, 16, v132
	s_wait_alu 0xfffd
	s_delay_alu instid0(VALU_DEP_3) | instskip(SKIP_1) | instid1(VALU_DEP_3)
	v_dual_cndmask_b32 v15, v94, v135 :: v_dual_and_b32 v0, 0xffff0000, v0
	v_mul_f32_e32 v90, v1, v90
	v_dual_add_f32 v16, v16, v89 :: v_dual_mul_f32 v89, v5, v91
	v_lshlrev_b32_e32 v94, 16, v130
	s_delay_alu instid0(VALU_DEP_4) | instskip(NEXT) | instid1(VALU_DEP_4)
	v_and_b32_e32 v15, 0xffff0000, v15
	v_bfe_u32 v91, v90, 16, 1
	v_cmp_u_f32_e32 vcc_lo, v90, v90
	s_delay_alu instid0(VALU_DEP_3) | instskip(NEXT) | instid1(VALU_DEP_1)
	v_add_f32_e32 v0, v0, v15
	v_dual_add_f32 v0, v0, v16 :: v_dual_lshlrev_b32 v15, 16, v131
	s_delay_alu instid0(VALU_DEP_1) | instskip(SKIP_2) | instid1(VALU_DEP_3)
	v_mul_f32_e32 v15, v2, v15
	v_add3_u32 v16, v91, v90, 0x7fff
	v_or_b32_e32 v91, 0x400000, v90
	v_bfe_u32 v93, v15, 16, 1
	s_wait_alu 0xfffd
	s_delay_alu instid0(VALU_DEP_2)
	v_cndmask_b32_e32 v16, v16, v91, vcc_lo
	v_cmp_u_f32_e32 vcc_lo, v89, v89
	v_or_b32_e32 v91, 0x400000, v15
	v_add3_u32 v90, v93, v15, 0x7fff
	v_lshlrev_b32_e32 v93, 16, v128
	v_add_f32_e32 v88, v92, v88
	v_or_b32_e32 v92, 0x400000, v89
	v_and_b32_e32 v16, 0xffff0000, v16
	s_delay_alu instid0(VALU_DEP_3) | instskip(SKIP_1) | instid1(VALU_DEP_1)
	v_add_f32_e32 v26, v26, v88
	v_bfe_u32 v88, v89, 16, 1
	v_add3_u32 v88, v88, v89, 0x7fff
	s_wait_alu 0xfffd
	s_delay_alu instid0(VALU_DEP_1) | instskip(SKIP_2) | instid1(VALU_DEP_3)
	v_dual_mul_f32 v89, v7, v94 :: v_dual_cndmask_b32 v88, v88, v92
	v_lshlrev_b32_e32 v92, 16, v129
	v_cmp_u_f32_e32 vcc_lo, v15, v15
	v_bfe_u32 v94, v89, 16, 1
	s_wait_alu 0xfffd
	v_dual_cndmask_b32 v15, v90, v91 :: v_dual_and_b32 v88, 0xffff0000, v88
	v_dual_mul_f32 v90, v3, v92 :: v_dual_mul_f32 v91, v8, v93
	s_delay_alu instid0(VALU_DEP_3) | instskip(SKIP_2) | instid1(VALU_DEP_4)
	v_add3_u32 v92, v94, v89, 0x7fff
	v_or_b32_e32 v93, 0x400000, v89
	v_lshlrev_b32_e32 v94, 16, v127
	v_bfe_u32 v96, v90, 16, 1
	v_cmp_u_f32_e32 vcc_lo, v89, v89
	v_bfe_u32 v127, v91, 16, 1
	v_dual_add_f32 v16, v88, v16 :: v_dual_and_b32 v15, 0xffff0000, v15
	s_wait_alu 0xfffd
	v_cndmask_b32_e32 v89, v92, v93, vcc_lo
	v_mul_f32_e32 v92, v4, v94
	v_add3_u32 v93, v96, v90, 0x7fff
	v_or_b32_e32 v94, 0x400000, v90
	v_cmp_u_f32_e32 vcc_lo, v90, v90
	v_add3_u32 v96, v127, v91, 0x7fff
	v_or_b32_e32 v127, 0x400000, v91
	v_bfe_u32 v128, v92, 16, 1
	s_wait_alu 0xfffd
	v_dual_cndmask_b32 v90, v93, v94 :: v_dual_and_b32 v89, 0xffff0000, v89
	v_lshlrev_b32_e32 v93, 16, v125
	v_cmp_u_f32_e32 vcc_lo, v91, v91
	v_add3_u32 v94, v128, v92, 0x7fff
	s_delay_alu instid0(VALU_DEP_4)
	v_add_f32_e32 v15, v89, v15
	v_lshlrev_b32_e32 v89, 16, v119
	v_mul_f32_e32 v93, v6, v93
	s_wait_alu 0xfffd
	v_cndmask_b32_e32 v91, v96, v127, vcc_lo
	v_or_b32_e32 v96, 0x400000, v92
	v_cmp_u_f32_e32 vcc_lo, v92, v92
	v_dual_add_f32 v15, v15, v16 :: v_dual_and_b32 v90, 0xffff0000, v90
	s_delay_alu instid0(VALU_DEP_4)
	v_and_b32_e32 v88, 0xffff0000, v91
	v_mul_f32_e32 v16, v1, v89
	s_wait_alu 0xfffd
	v_cndmask_b32_e32 v92, v94, v96, vcc_lo
	v_bfe_u32 v94, v93, 16, 1
	v_lshlrev_b32_e32 v89, 16, v118
	v_add_f32_e32 v88, v88, v90
	v_cmp_u_f32_e32 vcc_lo, v93, v93
	v_lshlrev_b32_e32 v96, 16, v116
	v_add3_u32 v91, v94, v93, 0x7fff
	v_or_b32_e32 v94, 0x400000, v93
	v_dual_add_f32 v15, v88, v15 :: v_dual_mul_f32 v88, v5, v89
	v_or_b32_e32 v93, 0x400000, v16
	s_wait_alu 0xfffd
	s_delay_alu instid0(VALU_DEP_3) | instskip(SKIP_3) | instid1(VALU_DEP_4)
	v_dual_cndmask_b32 v90, v91, v94 :: v_dual_lshlrev_b32 v89, 16, v117
	v_bfe_u32 v91, v16, 16, 1
	v_bfe_u32 v94, v88, 16, 1
	v_cmp_u_f32_e32 vcc_lo, v16, v16
	v_dual_mul_f32 v89, v2, v89 :: v_dual_mul_f32 v96, v7, v96
	s_delay_alu instid0(VALU_DEP_4)
	v_add3_u32 v91, v91, v16, 0x7fff
	v_or_b32_e32 v116, 0x400000, v114
	v_bfe_u32 v118, v112, 16, 1
	v_and_b32_e32 v90, 0xffff0000, v90
	v_and_b32_e32 v92, 0xffff0000, v92
	s_wait_alu 0xfffd
	v_cndmask_b32_e32 v16, v91, v93, vcc_lo
	v_add3_u32 v91, v94, v88, 0x7fff
	v_or_b32_e32 v93, 0x400000, v88
	v_cmp_u_f32_e32 vcc_lo, v88, v88
	v_bfe_u32 v94, v89, 16, 1
	v_and_b32_e32 v16, 0xffff0000, v16
	v_add_f32_e32 v90, v90, v92
	v_lshlrev_b32_e32 v92, 16, v110
	s_wait_alu 0xfffd
	v_cndmask_b32_e32 v88, v91, v93, vcc_lo
	v_add3_u32 v91, v94, v89, 0x7fff
	v_or_b32_e32 v93, 0x400000, v89
	v_bfe_u32 v94, v96, 16, 1
	v_cmp_u_f32_e32 vcc_lo, v89, v89
	v_dual_add_f32 v15, v90, v15 :: v_dual_and_b32 v88, 0xffff0000, v88
	v_mul_f32_e32 v90, v5, v92
	s_wait_alu 0xfffd
	v_dual_cndmask_b32 v89, v91, v93 :: v_dual_lshlrev_b32 v92, 16, v108
	v_add3_u32 v91, v94, v96, 0x7fff
	v_or_b32_e32 v93, 0x400000, v96
	v_bfe_u32 v94, v115, 16, 1
	v_cmp_u_f32_e32 vcc_lo, v96, v96
	v_mul_f32_e32 v96, v4, v113
	v_or_b32_e32 v113, 0x400000, v115
	v_and_b32_e32 v89, 0xffff0000, v89
	v_add3_u32 v94, v94, v115, 0x7fff
	s_wait_alu 0xfffd
	v_cndmask_b32_e32 v91, v91, v93, vcc_lo
	v_bfe_u32 v93, v114, 16, 1
	v_cmp_u_f32_e32 vcc_lo, v115, v115
	v_bfe_u32 v117, v96, 16, 1
	v_or_b32_e32 v115, 0x400000, v112
	v_and_b32_e32 v91, 0xffff0000, v91
	v_add3_u32 v93, v93, v114, 0x7fff
	s_wait_alu 0xfffd
	v_cndmask_b32_e32 v94, v94, v113, vcc_lo
	v_cmp_u_f32_e32 vcc_lo, v114, v114
	v_add3_u32 v114, v118, v112, 0x7fff
	v_add3_u32 v113, v117, v96, 0x7fff
	v_add_f32_e32 v16, v88, v16
	s_wait_alu 0xfffd
	v_dual_add_f32 v88, v91, v89 :: v_dual_cndmask_b32 v93, v93, v116
	v_cmp_u_f32_e32 vcc_lo, v112, v112
	v_or_b32_e32 v116, 0x400000, v96
	s_delay_alu instid0(VALU_DEP_3)
	v_dual_add_f32 v16, v88, v16 :: v_dual_and_b32 v91, 0xffff0000, v94
	s_wait_alu 0xfffd
	v_dual_cndmask_b32 v112, v114, v115 :: v_dual_and_b32 v89, 0xffff0000, v93
	v_cmp_u_f32_e32 vcc_lo, v96, v96
	v_add_f32_e32 v28, v28, v15
	v_bfe_u32 v15, v90, 16, 1
	s_delay_alu instid0(VALU_DEP_4) | instskip(SKIP_2) | instid1(VALU_DEP_3)
	v_dual_add_f32 v88, v89, v91 :: v_dual_and_b32 v89, 0xffff0000, v112
	s_wait_alu 0xfffd
	v_dual_cndmask_b32 v93, v113, v116 :: v_dual_lshlrev_b32 v94, 16, v105
	v_add3_u32 v15, v15, v90, 0x7fff
	s_delay_alu instid0(VALU_DEP_2) | instskip(SKIP_1) | instid1(VALU_DEP_2)
	v_dual_add_f32 v16, v88, v16 :: v_dual_and_b32 v91, 0xffff0000, v93
	v_lshlrev_b32_e32 v93, 16, v111
	v_dual_add_f32 v27, v27, v0 :: v_dual_add_f32 v88, v89, v91
	s_delay_alu instid0(VALU_DEP_2) | instskip(SKIP_1) | instid1(VALU_DEP_3)
	v_mul_f32_e32 v89, v1, v93
	v_or_b32_e32 v91, 0x400000, v90
	v_add_f32_e32 v0, v88, v16
	s_delay_alu instid0(VALU_DEP_3) | instskip(SKIP_2) | instid1(VALU_DEP_4)
	v_bfe_u32 v16, v89, 16, 1
	v_lshlrev_b32_e32 v88, 16, v109
	v_cmp_u_f32_e32 vcc_lo, v89, v89
	v_add_f32_e32 v29, v29, v0
	s_delay_alu instid0(VALU_DEP_4) | instskip(SKIP_4) | instid1(VALU_DEP_3)
	v_add3_u32 v0, v16, v89, 0x7fff
	v_or_b32_e32 v16, 0x400000, v89
	v_mul_f32_e32 v88, v2, v88
	v_dual_mul_f32 v89, v7, v92 :: v_dual_lshlrev_b32 v92, 16, v106
	s_wait_alu 0xfffd
	v_cndmask_b32_e32 v0, v0, v16, vcc_lo
	v_cmp_u_f32_e32 vcc_lo, v90, v90
	v_lshlrev_b32_e32 v90, 16, v107
	v_bfe_u32 v16, v88, 16, 1
	v_bfe_u32 v93, v89, 16, 1
	s_wait_alu 0xfffd
	v_dual_cndmask_b32 v15, v15, v91 :: v_dual_and_b32 v0, 0xffff0000, v0
	v_mul_f32_e32 v90, v3, v90
	v_add3_u32 v16, v16, v88, 0x7fff
	v_or_b32_e32 v91, 0x400000, v88
	v_cmp_u_f32_e32 vcc_lo, v88, v88
	v_mul_f32_e32 v88, v8, v92
	v_or_b32_e32 v92, 0x400000, v89
	v_and_b32_e32 v15, 0xffff0000, v15
	s_wait_alu 0xfffd
	v_cndmask_b32_e32 v16, v16, v91, vcc_lo
	v_add3_u32 v91, v93, v89, 0x7fff
	v_bfe_u32 v93, v90, 16, 1
	v_bfe_u32 v96, v88, 16, 1
	v_cmp_u_f32_e32 vcc_lo, v89, v89
	v_and_b32_e32 v16, 0xffff0000, v16
	v_add_f32_e32 v0, v15, v0
	s_wait_alu 0xfffd
	v_cndmask_b32_e32 v89, v91, v92, vcc_lo
	v_add3_u32 v91, v93, v90, 0x7fff
	v_mul_f32_e32 v92, v4, v94
	v_or_b32_e32 v93, 0x400000, v90
	v_add3_u32 v94, v96, v88, 0x7fff
	v_lshlrev_b32_e32 v96, 16, v104
	v_cmp_u_f32_e32 vcc_lo, v90, v90
	v_or_b32_e32 v104, 0x400000, v88
	v_bfe_u32 v105, v92, 16, 1
	v_and_b32_e32 v89, 0xffff0000, v89
	s_wait_alu 0xfffd
	v_dual_cndmask_b32 v90, v91, v93 :: v_dual_mul_f32 v91, v6, v96
	v_cmp_u_f32_e32 vcc_lo, v88, v88
	v_add3_u32 v93, v105, v92, 0x7fff
	v_add_f32_e32 v15, v89, v16
	s_delay_alu instid0(VALU_DEP_4)
	v_and_b32_e32 v89, 0xffff0000, v90
	v_bfe_u32 v96, v91, 16, 1
	s_wait_alu 0xfffd
	v_cndmask_b32_e32 v88, v94, v104, vcc_lo
	v_or_b32_e32 v94, 0x400000, v92
	v_cmp_u_f32_e32 vcc_lo, v92, v92
	v_add_f32_e32 v0, v15, v0
	v_mul_f32_e32 v6, v6, v14
	v_and_b32_e32 v16, 0xffff0000, v88
	v_lshlrev_b32_e32 v88, 16, v103
	s_wait_alu 0xfffd
	v_cndmask_b32_e32 v92, v93, v94, vcc_lo
	v_add3_u32 v93, v96, v91, 0x7fff
	v_or_b32_e32 v94, 0x400000, v91
	v_cmp_u_f32_e32 vcc_lo, v91, v91
	v_dual_mul_f32 v15, v1, v88 :: v_dual_add_f32 v16, v16, v89
	v_lshlrev_b32_e32 v88, 16, v102
	v_lshlrev_b32_e32 v96, 16, v98
	s_wait_alu 0xfffd
	v_cndmask_b32_e32 v90, v93, v94, vcc_lo
	v_bfe_u32 v91, v15, 16, 1
	v_add_f32_e32 v0, v16, v0
	v_mul_f32_e32 v16, v5, v88
	v_lshlrev_b32_e32 v88, 16, v101
	v_and_b32_e32 v89, 0xffff0000, v90
	v_and_b32_e32 v90, 0xffff0000, v92
	v_lshlrev_b32_e32 v93, 16, v100
	v_bfe_u32 v92, v16, 16, 1
	v_mul_f32_e32 v88, v2, v88
	v_cmp_u_f32_e32 vcc_lo, v15, v15
	v_add_f32_e32 v89, v89, v90
	v_add3_u32 v90, v91, v15, 0x7fff
	v_or_b32_e32 v91, 0x400000, v15
	v_dual_mul_f32 v93, v7, v93 :: v_dual_lshlrev_b32 v94, 16, v99
	s_wait_alu 0xfffd
	s_delay_alu instid0(VALU_DEP_2)
	v_dual_add_f32 v0, v89, v0 :: v_dual_cndmask_b32 v15, v90, v91
	v_add3_u32 v90, v92, v16, 0x7fff
	v_or_b32_e32 v91, 0x400000, v16
	v_bfe_u32 v92, v88, 16, 1
	v_cmp_u_f32_e32 vcc_lo, v16, v16
	v_dual_mul_f32 v94, v3, v94 :: v_dual_and_b32 v15, 0xffff0000, v15
	v_add_f32_e32 v30, v30, v0
	s_wait_alu 0xfffd
	v_cndmask_b32_e32 v16, v90, v91, vcc_lo
	v_add3_u32 v90, v92, v88, 0x7fff
	v_or_b32_e32 v91, 0x400000, v88
	v_bfe_u32 v92, v93, 16, 1
	v_cmp_u_f32_e32 vcc_lo, v88, v88
	v_and_b32_e32 v16, 0xffff0000, v16
	s_wait_alu 0xfffd
	v_cndmask_b32_e32 v88, v90, v91, vcc_lo
	v_add3_u32 v90, v92, v93, 0x7fff
	v_or_b32_e32 v91, 0x400000, v93
	v_mul_f32_e32 v92, v8, v96
	v_bfe_u32 v96, v94, 16, 1
	v_cmp_u_f32_e32 vcc_lo, v93, v93
	v_dual_add_f32 v15, v16, v15 :: v_dual_and_b32 v88, 0xffff0000, v88
	s_delay_alu instid0(VALU_DEP_4) | instskip(NEXT) | instid1(VALU_DEP_4)
	v_or_b32_e32 v98, 0x400000, v92
	v_add3_u32 v93, v96, v94, 0x7fff
	s_wait_alu 0xfffd
	v_cndmask_b32_e32 v90, v90, v91, vcc_lo
	v_bfe_u32 v91, v92, 16, 1
	v_mul_f32_e32 v96, v4, v97
	v_or_b32_e32 v97, 0x400000, v94
	v_cmp_u_f32_e32 vcc_lo, v94, v94
	v_bfe_u32 v94, v95, 16, 1
	v_add3_u32 v91, v91, v92, 0x7fff
	v_bfe_u32 v99, v96, 16, 1
	s_wait_alu 0xfffd
	v_dual_cndmask_b32 v93, v93, v97 :: v_dual_and_b32 v90, 0xffff0000, v90
	v_cmp_u_f32_e32 vcc_lo, v92, v92
	v_add3_u32 v94, v94, v95, 0x7fff
	v_add3_u32 v92, v99, v96, 0x7fff
	v_or_b32_e32 v97, 0x400000, v96
	s_wait_alu 0xfffd
	v_dual_add_f32 v16, v90, v88 :: v_dual_cndmask_b32 v91, v91, v98
	v_or_b32_e32 v98, 0x400000, v95
	v_cmp_u_f32_e32 vcc_lo, v95, v95
	s_delay_alu instid0(VALU_DEP_3) | instskip(NEXT) | instid1(VALU_DEP_4)
	v_dual_add_f32 v15, v16, v15 :: v_dual_and_b32 v90, 0xffff0000, v93
	v_and_b32_e32 v88, 0xffff0000, v91
	s_wait_alu 0xfffd
	v_dual_mul_f32 v4, v4, v13 :: v_dual_cndmask_b32 v91, v94, v98
	v_cmp_u_f32_e32 vcc_lo, v96, v96
	s_delay_alu instid0(VALU_DEP_3) | instskip(NEXT) | instid1(VALU_DEP_3)
	v_add_f32_e32 v16, v88, v90
	v_and_b32_e32 v88, 0xffff0000, v91
	s_wait_alu 0xfffd
	v_cndmask_b32_e32 v92, v92, v97, vcc_lo
	v_cmp_u_f32_e32 vcc_lo, v87, v87
	v_dual_add_f32 v15, v16, v15 :: v_dual_mul_f32 v16, v5, v86
	s_delay_alu instid0(VALU_DEP_3) | instskip(NEXT) | instid1(VALU_DEP_2)
	v_and_b32_e32 v90, 0xffff0000, v92
	v_bfe_u32 v0, v16, 16, 1
	v_or_b32_e32 v89, 0x400000, v16
	s_delay_alu instid0(VALU_DEP_3) | instskip(SKIP_3) | instid1(VALU_DEP_4)
	v_add_f32_e32 v86, v88, v90
	v_bfe_u32 v88, v87, 16, 1
	v_bfe_u32 v90, v85, 16, 1
	v_add3_u32 v0, v0, v16, 0x7fff
	v_add_f32_e32 v15, v86, v15
	s_delay_alu instid0(VALU_DEP_4) | instskip(SKIP_3) | instid1(VALU_DEP_2)
	v_add3_u32 v86, v88, v87, 0x7fff
	v_or_b32_e32 v88, 0x400000, v87
	v_or_b32_e32 v87, 0x400000, v85
	s_wait_alu 0xfffd
	v_dual_add_f32 v31, v31, v15 :: v_dual_cndmask_b32 v86, v86, v88
	v_cmp_u_f32_e32 vcc_lo, v16, v16
	v_mul_f32_e32 v16, v7, v84
	v_add3_u32 v84, v90, v85, 0x7fff
	v_bfe_u32 v90, v81, 16, 1
	v_and_b32_e32 v86, 0xffff0000, v86
	s_wait_alu 0xfffd
	v_cndmask_b32_e32 v0, v0, v89, vcc_lo
	v_bfe_u32 v88, v16, 16, 1
	v_cmp_u_f32_e32 vcc_lo, v85, v85
	v_bfe_u32 v89, v82, 16, 1
	s_delay_alu instid0(VALU_DEP_4) | instskip(NEXT) | instid1(VALU_DEP_4)
	v_and_b32_e32 v0, 0xffff0000, v0
	v_add3_u32 v85, v88, v16, 0x7fff
	s_wait_alu 0xfffd
	v_cndmask_b32_e32 v84, v84, v87, vcc_lo
	v_or_b32_e32 v87, 0x400000, v16
	v_bfe_u32 v88, v83, 16, 1
	v_cmp_u_f32_e32 vcc_lo, v16, v16
	v_add_f32_e32 v0, v0, v86
	v_and_b32_e32 v84, 0xffff0000, v84
	v_bfe_u32 v86, v72, 16, 1
	s_wait_alu 0xfffd
	v_cndmask_b32_e32 v16, v85, v87, vcc_lo
	v_add3_u32 v85, v88, v83, 0x7fff
	v_or_b32_e32 v87, 0x400000, v83
	v_cmp_u_f32_e32 vcc_lo, v83, v83
	v_add3_u32 v88, v89, v82, 0x7fff
	v_or_b32_e32 v89, 0x400000, v82
	s_wait_alu 0xfffd
	v_dual_cndmask_b32 v83, v85, v87 :: v_dual_and_b32 v16, 0xffff0000, v16
	v_cmp_u_f32_e32 vcc_lo, v82, v82
	v_add3_u32 v85, v90, v81, 0x7fff
	v_or_b32_e32 v87, 0x400000, v81
	s_delay_alu instid0(VALU_DEP_4) | instskip(SKIP_3) | instid1(VALU_DEP_3)
	v_dual_add_f32 v16, v16, v84 :: v_dual_and_b32 v83, 0xffff0000, v83
	s_wait_alu 0xfffd
	v_cndmask_b32_e32 v82, v88, v89, vcc_lo
	v_cmp_u_f32_e32 vcc_lo, v81, v81
	v_add_f32_e32 v0, v16, v0
	v_mul_f32_e32 v16, v1, v79
	s_wait_alu 0xfffd
	v_dual_cndmask_b32 v81, v85, v87 :: v_dual_and_b32 v82, 0xffff0000, v82
	v_bfe_u32 v85, v80, 16, 1
	v_cmp_u_f32_e32 vcc_lo, v80, v80
	s_delay_alu instid0(VALU_DEP_3) | instskip(SKIP_1) | instid1(VALU_DEP_4)
	v_add_f32_e32 v79, v82, v83
	v_bfe_u32 v82, v16, 16, 1
	v_add3_u32 v84, v85, v80, 0x7fff
	v_or_b32_e32 v85, 0x400000, v80
	v_bfe_u32 v83, v78, 16, 1
	v_add_f32_e32 v0, v79, v0
	s_wait_alu 0xfffd
	s_delay_alu instid0(VALU_DEP_3) | instskip(SKIP_3) | instid1(VALU_DEP_4)
	v_cndmask_b32_e32 v80, v84, v85, vcc_lo
	v_cmp_u_f32_e32 vcc_lo, v16, v16
	v_or_b32_e32 v84, 0x400000, v74
	v_bfe_u32 v85, v73, 16, 1
	v_and_b32_e32 v79, 0xffff0000, v80
	v_add3_u32 v80, v82, v16, 0x7fff
	v_or_b32_e32 v82, 0x400000, v16
	s_wait_alu 0xfffd
	s_delay_alu instid0(VALU_DEP_1)
	v_cndmask_b32_e32 v16, v80, v82, vcc_lo
	v_add3_u32 v80, v83, v78, 0x7fff
	v_or_b32_e32 v82, 0x400000, v78
	v_bfe_u32 v83, v77, 16, 1
	v_cmp_u_f32_e32 vcc_lo, v78, v78
	v_and_b32_e32 v16, 0xffff0000, v16
	s_wait_alu 0xfffd
	v_cndmask_b32_e32 v78, v80, v82, vcc_lo
	v_add3_u32 v80, v83, v77, 0x7fff
	v_or_b32_e32 v82, 0x400000, v77
	v_bfe_u32 v83, v76, 16, 1
	v_cmp_u_f32_e32 vcc_lo, v77, v77
	v_and_b32_e32 v78, 0xffff0000, v78
	s_wait_alu 0xfffd
	v_cndmask_b32_e32 v77, v80, v82, vcc_lo
	v_add3_u32 v80, v83, v76, 0x7fff
	v_or_b32_e32 v82, 0x400000, v76
	v_bfe_u32 v83, v75, 16, 1
	v_cmp_u_f32_e32 vcc_lo, v76, v76
	v_dual_add_f32 v16, v78, v16 :: v_dual_and_b32 v77, 0xffff0000, v77
	s_wait_alu 0xfffd
	v_cndmask_b32_e32 v76, v80, v82, vcc_lo
	v_bfe_u32 v80, v74, 16, 1
	v_add3_u32 v82, v83, v75, 0x7fff
	v_or_b32_e32 v83, 0x400000, v75
	v_cmp_u_f32_e32 vcc_lo, v75, v75
	v_and_b32_e32 v76, 0xffff0000, v76
	v_add3_u32 v80, v80, v74, 0x7fff
	s_wait_alu 0xfffd
	v_cndmask_b32_e32 v75, v82, v83, vcc_lo
	v_cmp_u_f32_e32 vcc_lo, v74, v74
	v_add3_u32 v82, v86, v72, 0x7fff
	v_or_b32_e32 v83, 0x400000, v72
	s_delay_alu instid0(VALU_DEP_4)
	v_dual_add_f32 v76, v76, v77 :: v_dual_and_b32 v75, 0xffff0000, v75
	s_wait_alu 0xfffd
	v_cndmask_b32_e32 v74, v80, v84, vcc_lo
	v_cmp_u_f32_e32 vcc_lo, v72, v72
	v_add3_u32 v80, v85, v73, 0x7fff
	v_or_b32_e32 v84, 0x400000, v73
	v_and_b32_e32 v77, 0xffff0000, v81
	v_and_b32_e32 v74, 0xffff0000, v74
	s_wait_alu 0xfffd
	v_cndmask_b32_e32 v72, v82, v83, vcc_lo
	v_cmp_u_f32_e32 vcc_lo, v73, v73
	v_add_f32_e32 v16, v76, v16
	v_add_f32_e32 v74, v74, v75
	s_delay_alu instid0(VALU_DEP_4) | instskip(SKIP_4) | instid1(VALU_DEP_3)
	v_and_b32_e32 v72, 0xffff0000, v72
	s_wait_alu 0xfffd
	v_cndmask_b32_e32 v73, v80, v84, vcc_lo
	v_add_f32_e32 v75, v79, v77
	v_cmp_u_f32_e32 vcc_lo, v71, v71
	v_dual_add_f32 v16, v74, v16 :: v_dual_and_b32 v73, 0xffff0000, v73
	s_delay_alu instid0(VALU_DEP_3) | instskip(NEXT) | instid1(VALU_DEP_2)
	v_add_f32_e32 v0, v75, v0
	v_add_f32_e32 v72, v72, v73
	s_delay_alu instid0(VALU_DEP_2) | instskip(SKIP_2) | instid1(VALU_DEP_4)
	v_add_f32_e32 v32, v32, v0
	v_bfe_u32 v0, v70, 16, 1
	v_bfe_u32 v73, v65, 16, 1
	v_add_f32_e32 v15, v72, v16
	v_bfe_u32 v16, v71, 16, 1
	s_delay_alu instid0(VALU_DEP_4) | instskip(SKIP_1) | instid1(VALU_DEP_4)
	v_add3_u32 v0, v0, v70, 0x7fff
	v_or_b32_e32 v72, 0x400000, v70
	v_add_f32_e32 v33, v33, v15
	s_delay_alu instid0(VALU_DEP_4) | instskip(SKIP_3) | instid1(VALU_DEP_2)
	v_add3_u32 v15, v16, v71, 0x7fff
	v_or_b32_e32 v16, 0x400000, v71
	v_bfe_u32 v71, v68, 16, 1
	s_wait_alu 0xfffd
	v_cndmask_b32_e32 v15, v15, v16, vcc_lo
	v_bfe_u32 v16, v69, 16, 1
	v_cmp_u_f32_e32 vcc_lo, v70, v70
	v_or_b32_e32 v70, 0x400000, v69
	s_delay_alu instid0(VALU_DEP_4) | instskip(NEXT) | instid1(VALU_DEP_4)
	v_and_b32_e32 v15, 0xffff0000, v15
	v_add3_u32 v16, v16, v69, 0x7fff
	s_wait_alu 0xfffd
	v_cndmask_b32_e32 v0, v0, v72, vcc_lo
	v_cmp_u_f32_e32 vcc_lo, v69, v69
	v_add3_u32 v69, v71, v68, 0x7fff
	v_bfe_u32 v71, v67, 16, 1
	v_bfe_u32 v72, v66, 16, 1
	v_and_b32_e32 v0, 0xffff0000, v0
	s_wait_alu 0xfffd
	v_cndmask_b32_e32 v16, v16, v70, vcc_lo
	v_or_b32_e32 v70, 0x400000, v68
	v_cmp_u_f32_e32 vcc_lo, v68, v68
	v_add_f32_e32 v0, v0, v15
	s_delay_alu instid0(VALU_DEP_4)
	v_and_b32_e32 v16, 0xffff0000, v16
	s_wait_alu 0xfffd
	v_cndmask_b32_e32 v68, v69, v70, vcc_lo
	v_add3_u32 v69, v71, v67, 0x7fff
	v_or_b32_e32 v70, 0x400000, v67
	v_cmp_u_f32_e32 vcc_lo, v67, v67
	v_add3_u32 v71, v72, v66, 0x7fff
	v_or_b32_e32 v72, 0x400000, v66
	s_wait_alu 0xfffd
	v_dual_cndmask_b32 v67, v69, v70 :: v_dual_and_b32 v68, 0xffff0000, v68
	v_cmp_u_f32_e32 vcc_lo, v66, v66
	v_add3_u32 v69, v73, v65, 0x7fff
	v_or_b32_e32 v70, 0x400000, v65
	s_delay_alu instid0(VALU_DEP_4)
	v_add_f32_e32 v15, v68, v16
	s_wait_alu 0xfffd
	v_cndmask_b32_e32 v66, v71, v72, vcc_lo
	v_bfe_u32 v71, v64, 16, 1
	v_cmp_u_f32_e32 vcc_lo, v65, v65
	v_add_f32_e32 v0, v15, v0
	s_delay_alu instid0(VALU_DEP_4)
	v_and_b32_e32 v16, 0xffff0000, v66
	s_wait_alu 0xfffd
	v_dual_cndmask_b32 v65, v69, v70 :: v_dual_and_b32 v66, 0xffff0000, v67
	v_add3_u32 v69, v71, v64, 0x7fff
	v_or_b32_e32 v70, 0x400000, v64
	v_cmp_u_f32_e32 vcc_lo, v64, v64
	s_delay_alu instid0(VALU_DEP_4)
	v_add_f32_e32 v15, v16, v66
	v_mul_f32_e32 v16, v5, v62
	v_bfe_u32 v67, v57, 16, 1
	s_wait_alu 0xfffd
	v_cndmask_b32_e32 v64, v69, v70, vcc_lo
	v_add_f32_e32 v0, v15, v0
	v_bfe_u32 v66, v16, 16, 1
	v_cmp_u_f32_e32 vcc_lo, v63, v63
	s_delay_alu instid0(VALU_DEP_4) | instskip(SKIP_2) | instid1(VALU_DEP_2)
	v_and_b32_e32 v62, 0xffff0000, v64
	v_and_b32_e32 v64, 0xffff0000, v65
	v_bfe_u32 v65, v63, 16, 1
	v_add_f32_e32 v15, v62, v64
	s_delay_alu instid0(VALU_DEP_2)
	v_add3_u32 v62, v65, v63, 0x7fff
	v_or_b32_e32 v64, 0x400000, v63
	v_add3_u32 v65, v66, v16, 0x7fff
	v_or_b32_e32 v66, 0x400000, v16
	v_bfe_u32 v63, v61, 16, 1
	v_add_f32_e32 v0, v15, v0
	s_wait_alu 0xfffd
	v_cndmask_b32_e32 v62, v62, v64, vcc_lo
	v_cmp_u_f32_e32 vcc_lo, v16, v16
	v_or_b32_e32 v64, 0x400000, v61
	v_add3_u32 v63, v63, v61, 0x7fff
	v_add_f32_e32 v34, v34, v0
	v_and_b32_e32 v62, 0xffff0000, v62
	s_wait_alu 0xfffd
	v_cndmask_b32_e32 v16, v65, v66, vcc_lo
	v_bfe_u32 v65, v60, 16, 1
	v_cmp_u_f32_e32 vcc_lo, v61, v61
	v_bfe_u32 v66, v58, 16, 1
	s_delay_alu instid0(VALU_DEP_4)
	v_and_b32_e32 v16, 0xffff0000, v16
	s_wait_alu 0xfffd
	v_cndmask_b32_e32 v61, v63, v64, vcc_lo
	v_add3_u32 v63, v65, v60, 0x7fff
	v_or_b32_e32 v64, 0x400000, v60
	v_bfe_u32 v65, v59, 16, 1
	v_cmp_u_f32_e32 vcc_lo, v60, v60
	v_dual_add_f32 v16, v16, v62 :: v_dual_and_b32 v61, 0xffff0000, v61
	s_wait_alu 0xfffd
	v_cndmask_b32_e32 v60, v63, v64, vcc_lo
	v_add3_u32 v63, v65, v59, 0x7fff
	v_or_b32_e32 v64, 0x400000, v59
	v_cmp_u_f32_e32 vcc_lo, v59, v59
	v_add3_u32 v65, v66, v58, 0x7fff
	v_or_b32_e32 v66, 0x400000, v58
	v_and_b32_e32 v60, 0xffff0000, v60
	s_wait_alu 0xfffd
	v_cndmask_b32_e32 v59, v63, v64, vcc_lo
	v_cmp_u_f32_e32 vcc_lo, v58, v58
	v_add3_u32 v63, v67, v57, 0x7fff
	v_or_b32_e32 v64, 0x400000, v57
	s_delay_alu instid0(VALU_DEP_4)
	v_dual_add_f32 v60, v60, v61 :: v_dual_and_b32 v59, 0xffff0000, v59
	s_wait_alu 0xfffd
	v_cndmask_b32_e32 v58, v65, v66, vcc_lo
	v_bfe_u32 v65, v56, 16, 1
	v_cmp_u_f32_e32 vcc_lo, v57, v57
	v_add_f32_e32 v16, v60, v16
	v_or_b32_e32 v60, 0x400000, v54
	v_and_b32_e32 v58, 0xffff0000, v58
	v_bfe_u32 v61, v53, 16, 1
	s_wait_alu 0xfffd
	v_cndmask_b32_e32 v57, v63, v64, vcc_lo
	v_add3_u32 v63, v65, v56, 0x7fff
	v_or_b32_e32 v64, 0x400000, v56
	v_cmp_u_f32_e32 vcc_lo, v56, v56
	s_delay_alu instid0(VALU_DEP_4) | instskip(SKIP_3) | instid1(VALU_DEP_3)
	v_dual_add_f32 v58, v58, v59 :: v_dual_and_b32 v57, 0xffff0000, v57
	v_bfe_u32 v59, v55, 16, 1
	s_wait_alu 0xfffd
	v_cndmask_b32_e32 v56, v63, v64, vcc_lo
	v_add_f32_e32 v16, v58, v16
	v_bfe_u32 v58, v54, 16, 1
	v_cmp_u_f32_e32 vcc_lo, v55, v55
	s_delay_alu instid0(VALU_DEP_4) | instskip(NEXT) | instid1(VALU_DEP_3)
	v_and_b32_e32 v56, 0xffff0000, v56
	v_add3_u32 v58, v58, v54, 0x7fff
	s_delay_alu instid0(VALU_DEP_2) | instskip(SKIP_3) | instid1(VALU_DEP_1)
	v_add_f32_e32 v56, v56, v57
	v_add3_u32 v57, v59, v55, 0x7fff
	v_or_b32_e32 v59, 0x400000, v55
	s_wait_alu 0xfffd
	v_cndmask_b32_e32 v55, v57, v59, vcc_lo
	v_cmp_u_f32_e32 vcc_lo, v54, v54
	v_add3_u32 v57, v61, v53, 0x7fff
	v_bfe_u32 v59, v52, 16, 1
	v_bfe_u32 v61, v49, 16, 1
	s_wait_alu 0xfffd
	v_dual_cndmask_b32 v54, v58, v60 :: v_dual_and_b32 v55, 0xffff0000, v55
	v_or_b32_e32 v58, 0x400000, v53
	v_cmp_u_f32_e32 vcc_lo, v53, v53
	v_bfe_u32 v60, v50, 16, 1
	s_delay_alu instid0(VALU_DEP_4)
	v_and_b32_e32 v54, 0xffff0000, v54
	s_wait_alu 0xfffd
	v_cndmask_b32_e32 v53, v57, v58, vcc_lo
	v_add3_u32 v57, v59, v52, 0x7fff
	v_or_b32_e32 v58, 0x400000, v52
	v_bfe_u32 v59, v51, 16, 1
	v_cmp_u_f32_e32 vcc_lo, v52, v52
	v_dual_add_f32 v54, v54, v55 :: v_dual_and_b32 v53, 0xffff0000, v53
	v_or_b32_e32 v55, 0x400000, v48
	s_wait_alu 0xfffd
	v_cndmask_b32_e32 v52, v57, v58, vcc_lo
	v_add3_u32 v57, v59, v51, 0x7fff
	v_or_b32_e32 v58, 0x400000, v51
	v_cmp_u_f32_e32 vcc_lo, v51, v51
	v_add3_u32 v59, v60, v50, 0x7fff
	v_or_b32_e32 v60, 0x400000, v50
	s_wait_alu 0xfffd
	v_dual_cndmask_b32 v51, v57, v58 :: v_dual_and_b32 v52, 0xffff0000, v52
	v_cmp_u_f32_e32 vcc_lo, v50, v50
	v_add3_u32 v57, v61, v49, 0x7fff
	v_or_b32_e32 v58, 0x400000, v49
	s_delay_alu instid0(VALU_DEP_4) | instskip(SKIP_3) | instid1(VALU_DEP_3)
	v_dual_add_f32 v52, v52, v53 :: v_dual_and_b32 v51, 0xffff0000, v51
	s_wait_alu 0xfffd
	v_cndmask_b32_e32 v50, v59, v60, vcc_lo
	v_cmp_u_f32_e32 vcc_lo, v49, v49
	v_add_f32_e32 v52, v52, v54
	v_or_b32_e32 v54, 0x400000, v45
	s_delay_alu instid0(VALU_DEP_4)
	v_and_b32_e32 v50, 0xffff0000, v50
	s_wait_alu 0xfffd
	v_cndmask_b32_e32 v49, v57, v58, vcc_lo
	v_bfe_u32 v57, v48, 16, 1
	v_cmp_u_f32_e32 vcc_lo, v48, v48
	v_add_f32_e32 v50, v50, v51
	v_bfe_u32 v51, v47, 16, 1
	s_delay_alu instid0(VALU_DEP_4) | instskip(NEXT) | instid1(VALU_DEP_3)
	v_add3_u32 v53, v57, v48, 0x7fff
	v_dual_add_f32 v50, v50, v52 :: v_dual_and_b32 v49, 0xffff0000, v49
	s_delay_alu instid0(VALU_DEP_3) | instskip(SKIP_1) | instid1(VALU_DEP_3)
	v_add3_u32 v51, v51, v47, 0x7fff
	s_wait_alu 0xfffd
	v_cndmask_b32_e32 v48, v53, v55, vcc_lo
	v_or_b32_e32 v52, 0x400000, v47
	v_bfe_u32 v53, v46, 16, 1
	v_cmp_u_f32_e32 vcc_lo, v47, v47
	s_delay_alu instid0(VALU_DEP_4)
	v_and_b32_e32 v48, 0xffff0000, v48
	s_wait_alu 0xfffd
	v_cndmask_b32_e32 v47, v51, v52, vcc_lo
	v_bfe_u32 v51, v45, 16, 1
	v_add3_u32 v52, v53, v46, 0x7fff
	v_or_b32_e32 v53, 0x400000, v46
	v_cmp_u_f32_e32 vcc_lo, v46, v46
	v_and_b32_e32 v47, 0xffff0000, v47
	v_add3_u32 v51, v51, v45, 0x7fff
	s_wait_alu 0xfffd
	v_cndmask_b32_e32 v46, v52, v53, vcc_lo
	v_bfe_u32 v52, v44, 16, 1
	v_cmp_u_f32_e32 vcc_lo, v45, v45
	v_or_b32_e32 v53, 0x400000, v44
	s_delay_alu instid0(VALU_DEP_4) | instskip(NEXT) | instid1(VALU_DEP_4)
	v_and_b32_e32 v46, 0xffff0000, v46
	v_add3_u32 v52, v52, v44, 0x7fff
	s_wait_alu 0xfffd
	v_cndmask_b32_e32 v45, v51, v54, vcc_lo
	v_bfe_u32 v51, v43, 16, 1
	v_cmp_u_f32_e32 vcc_lo, v44, v44
	v_or_b32_e32 v54, 0x400000, v43
	s_delay_alu instid0(VALU_DEP_4) | instskip(NEXT) | instid1(VALU_DEP_4)
	v_dual_add_f32 v46, v46, v47 :: v_dual_and_b32 v45, 0xffff0000, v45
	v_add3_u32 v51, v51, v43, 0x7fff
	s_wait_alu 0xfffd
	v_cndmask_b32_e32 v44, v52, v53, vcc_lo
	v_bfe_u32 v52, v42, 16, 1
	v_cmp_u_f32_e32 vcc_lo, v43, v43
	v_bfe_u32 v53, v41, 16, 1
	s_wait_alu 0xfffd
	v_dual_cndmask_b32 v43, v51, v54 :: v_dual_and_b32 v44, 0xffff0000, v44
	v_add3_u32 v51, v52, v42, 0x7fff
	v_or_b32_e32 v52, 0x400000, v42
	v_cmp_u_f32_e32 vcc_lo, v42, v42
	v_add3_u32 v53, v53, v41, 0x7fff
	v_or_b32_e32 v54, 0x400000, v41
	v_dual_add_f32 v44, v44, v45 :: v_dual_and_b32 v43, 0xffff0000, v43
	s_wait_alu 0xfffd
	v_cndmask_b32_e32 v42, v51, v52, vcc_lo
	v_cmp_u_f32_e32 vcc_lo, v41, v41
	v_bfe_u32 v51, v40, 16, 1
	v_lshlrev_b32_e32 v45, 16, v124
	v_or_b32_e32 v52, 0x400000, v40
	v_and_b32_e32 v42, 0xffff0000, v42
	s_wait_alu 0xfffd
	v_cndmask_b32_e32 v41, v53, v54, vcc_lo
	v_lshlrev_b32_e32 v53, 16, v126
	v_add3_u32 v51, v51, v40, 0x7fff
	v_cmp_u_f32_e32 vcc_lo, v40, v40
	v_add_f32_e32 v44, v44, v46
	s_delay_alu instid0(VALU_DEP_4) | instskip(SKIP_3) | instid1(VALU_DEP_3)
	v_dual_add_f32 v42, v42, v43 :: v_dual_mul_f32 v5, v5, v53
	v_mul_f32_e32 v1, v1, v45
	s_wait_alu 0xfffd
	v_dual_cndmask_b32 v40, v51, v52 :: v_dual_lshlrev_b32 v43, 16, v123
	v_bfe_u32 v46, v5, 16, 1
	s_delay_alu instid0(VALU_DEP_3) | instskip(NEXT) | instid1(VALU_DEP_3)
	v_bfe_u32 v47, v1, 16, 1
	v_mul_f32_e32 v7, v7, v43
	v_lshlrev_b32_e32 v43, 16, v122
	v_cmp_u_f32_e32 vcc_lo, v5, v5
	v_add3_u32 v45, v46, v5, 0x7fff
	v_or_b32_e32 v46, 0x400000, v5
	v_and_b32_e32 v40, 0xffff0000, v40
	v_dual_mul_f32 v2, v2, v43 :: v_dual_lshlrev_b32 v43, 16, v121
	s_wait_alu 0xfffd
	s_delay_alu instid0(VALU_DEP_3)
	v_cndmask_b32_e32 v5, v45, v46, vcc_lo
	v_add3_u32 v45, v47, v1, 0x7fff
	v_or_b32_e32 v46, 0x400000, v1
	v_bfe_u32 v47, v7, 16, 1
	v_cmp_u_f32_e32 vcc_lo, v1, v1
	v_dual_mul_f32 v8, v8, v43 :: v_dual_lshlrev_b32 v43, 16, v120
	v_and_b32_e32 v5, 0xffff0000, v5
	s_wait_alu 0xfffd
	v_cndmask_b32_e32 v1, v45, v46, vcc_lo
	v_add3_u32 v45, v47, v7, 0x7fff
	v_or_b32_e32 v46, 0x400000, v7
	v_bfe_u32 v47, v2, 16, 1
	v_cmp_u_f32_e32 vcc_lo, v7, v7
	v_mul_f32_e32 v3, v3, v43
	v_or_b32_e32 v13, 0x400000, v8
	v_and_b32_e32 v1, 0xffff0000, v1
	s_wait_alu 0xfffd
	v_cndmask_b32_e32 v7, v45, v46, vcc_lo
	v_add3_u32 v45, v47, v2, 0x7fff
	v_or_b32_e32 v46, 0x400000, v2
	v_bfe_u32 v47, v8, 16, 1
	v_cmp_u_f32_e32 vcc_lo, v2, v2
	v_bfe_u32 v43, v3, 16, 1
	v_and_b32_e32 v7, 0xffff0000, v7
	v_add_f32_e32 v1, v5, v1
	s_wait_alu 0xfffd
	v_cndmask_b32_e32 v2, v45, v46, vcc_lo
	v_add3_u32 v45, v47, v8, 0x7fff
	v_cmp_u_f32_e32 vcc_lo, v8, v8
	v_add3_u32 v14, v43, v3, 0x7fff
	v_or_b32_e32 v43, 0x400000, v3
	v_bfe_u32 v47, v4, 16, 1
	v_bfe_u32 v46, v6, 16, 1
	s_wait_alu 0xfffd
	v_cndmask_b32_e32 v8, v45, v13, vcc_lo
	v_cmp_u_f32_e32 vcc_lo, v3, v3
	v_and_b32_e32 v2, 0xffff0000, v2
	v_or_b32_e32 v45, 0x400000, v6
	v_add3_u32 v13, v46, v6, 0x7fff
	v_and_b32_e32 v5, 0xffff0000, v8
	s_wait_alu 0xfffd
	v_cndmask_b32_e32 v3, v14, v43, vcc_lo
	v_add3_u32 v14, v47, v4, 0x7fff
	v_or_b32_e32 v43, 0x400000, v4
	v_cmp_u_f32_e32 vcc_lo, v4, v4
	s_delay_alu instid0(VALU_DEP_4) | instskip(SKIP_1) | instid1(VALU_DEP_3)
	v_dual_add_f32 v2, v7, v2 :: v_dual_and_b32 v3, 0xffff0000, v3
	s_wait_alu 0xfffd
	v_dual_cndmask_b32 v4, v14, v43 :: v_dual_and_b32 v7, 0xffff0000, v41
	v_cmp_u_f32_e32 vcc_lo, v6, v6
	s_delay_alu instid0(VALU_DEP_3) | instskip(SKIP_4) | instid1(VALU_DEP_2)
	v_dual_add_f32 v1, v2, v1 :: v_dual_add_f32 v2, v5, v3
	v_add_f32_e32 v5, v48, v49
	s_wait_alu 0xfffd
	v_dual_cndmask_b32 v6, v13, v45 :: v_dual_and_b32 v3, 0xffff0000, v4
	v_add_f32_e32 v7, v40, v7
	v_dual_add_f32 v1, v2, v1 :: v_dual_and_b32 v4, 0xffff0000, v6
	v_add_f32_e32 v6, v42, v44
	s_delay_alu instid0(VALU_DEP_2) | instskip(SKIP_1) | instid1(VALU_DEP_3)
	v_add_f32_e32 v2, v4, v3
	v_dual_add_f32 v3, v56, v16 :: v_dual_add_f32 v4, v5, v50
	v_add_f32_e32 v5, v7, v6
	s_delay_alu instid0(VALU_DEP_3) | instskip(NEXT) | instid1(VALU_DEP_3)
	v_add_f32_e32 v1, v2, v1
	v_add_f32_e32 v35, v35, v3
	s_delay_alu instid0(VALU_DEP_3) | instskip(NEXT) | instid1(VALU_DEP_3)
	v_dual_add_f32 v37, v37, v4 :: v_dual_add_f32 v36, v36, v5
	v_add_f32_e32 v22, v22, v1
.LBB355_37:                             ;   in Loop: Header=BB355_38 Depth=1
	s_wait_alu 0xfffe
	s_or_b32 exec_lo, exec_lo, s13
	v_add_nc_u32_e32 v18, 4, v18
	v_add_co_u32 v9, s0, v9, 16
	s_wait_alu 0xf1ff
	v_add_co_ci_u32_e64 v10, null, 0, v10, s0
	s_delay_alu instid0(VALU_DEP_3)
	v_cmp_le_i32_e32 vcc_lo, s35, v18
	v_add_nc_u32_e32 v17, 0x80, v17
	v_add_nc_u32_e32 v39, 0x200, v39
	s_or_b32 s6, vcc_lo, s6
	s_wait_alu 0xfffe
	s_and_not1_b32 exec_lo, exec_lo, s6
	s_cbranch_execz .LBB355_71
.LBB355_38:                             ; =>This Inner Loop Header: Depth=1
	v_sub_nc_u32_e32 v0, 0, v17
	s_delay_alu instid0(VALU_DEP_1) | instskip(NEXT) | instid1(VALU_DEP_1)
	v_max_i32_e32 v0, v17, v0
	v_mul_hi_u32 v1, v0, s22
	s_delay_alu instid0(VALU_DEP_1) | instskip(NEXT) | instid1(VALU_DEP_1)
	v_mul_lo_u32 v2, v1, s16
	v_sub_nc_u32_e32 v0, v0, v2
	v_add_nc_u32_e32 v2, 1, v1
	s_delay_alu instid0(VALU_DEP_2) | instskip(SKIP_2) | instid1(VALU_DEP_2)
	v_subrev_nc_u32_e32 v3, s16, v0
	v_cmp_le_u32_e32 vcc_lo, s16, v0
	s_wait_alu 0xfffd
	v_dual_cndmask_b32 v1, v1, v2 :: v_dual_cndmask_b32 v0, v0, v3
	v_ashrrev_i32_e32 v2, 31, v17
	s_delay_alu instid0(VALU_DEP_2) | instskip(NEXT) | instid1(VALU_DEP_3)
	v_add_nc_u32_e32 v3, 1, v1
	v_cmp_le_u32_e32 vcc_lo, s16, v0
	s_delay_alu instid0(VALU_DEP_3) | instskip(SKIP_1) | instid1(VALU_DEP_3)
	v_xor_b32_e32 v2, s23, v2
	s_wait_alu 0xfffd
	v_cndmask_b32_e32 v0, v1, v3, vcc_lo
	s_delay_alu instid0(VALU_DEP_1) | instskip(NEXT) | instid1(VALU_DEP_1)
	v_xor_b32_e32 v0, v0, v2
	v_sub_nc_u32_e32 v0, v0, v2
	s_delay_alu instid0(VALU_DEP_1) | instskip(SKIP_1) | instid1(VALU_DEP_2)
	v_add_nc_u32_e32 v1, s21, v0
	v_cmp_lt_i32_e64 s0, s3, v0
	v_sub_nc_u32_e32 v2, 0, v1
	s_delay_alu instid0(VALU_DEP_1) | instskip(SKIP_1) | instid1(VALU_DEP_1)
	v_max_i32_e32 v2, v1, v2
	s_wait_alu 0xfffe
	v_mul_hi_u32 v3, v2, s12
	s_delay_alu instid0(VALU_DEP_1) | instskip(NEXT) | instid1(VALU_DEP_1)
	v_mul_lo_u32 v3, v3, s2
	v_sub_nc_u32_e32 v2, v2, v3
	s_delay_alu instid0(VALU_DEP_1) | instskip(SKIP_2) | instid1(VALU_DEP_2)
	v_subrev_nc_u32_e32 v3, s2, v2
	v_cmp_le_u32_e32 vcc_lo, s2, v2
	s_wait_alu 0xfffd
	v_cndmask_b32_e32 v2, v2, v3, vcc_lo
	v_ashrrev_i32_e32 v1, 31, v1
	s_delay_alu instid0(VALU_DEP_2) | instskip(SKIP_2) | instid1(VALU_DEP_2)
	v_subrev_nc_u32_e32 v3, s2, v2
	v_cmp_le_u32_e32 vcc_lo, s2, v2
	s_wait_alu 0xfffd
	v_cndmask_b32_e32 v2, v2, v3, vcc_lo
	s_delay_alu instid0(VALU_DEP_1) | instskip(NEXT) | instid1(VALU_DEP_1)
	v_xor_b32_e32 v2, v2, v1
	v_sub_nc_u32_e32 v1, v2, v1
	s_delay_alu instid0(VALU_DEP_1)
	v_cmp_eq_u32_e32 vcc_lo, 0, v1
	s_or_b32 s0, vcc_lo, s0
	s_wait_alu 0xfffe
	s_and_saveexec_b32 s13, s0
	s_cbranch_execz .LBB355_37
; %bb.39:                               ;   in Loop: Header=BB355_38 Depth=1
	global_load_b32 v0, v[9:10], off
	v_cmp_eq_u32_e32 vcc_lo, s5, v18
	s_wait_loadcnt 0x0
	v_mad_co_i64_i32 v[13:14], null, v0, s4, v[11:12]
	global_load_b64 v[15:16], v[13:14], off
	ds_load_2addr_b64 v[5:8], v39 offset1:1
	ds_load_2addr_b64 v[1:4], v39 offset0:2 offset1:3
	s_load_b32 s14, s[10:11], 0x0
	s_wait_loadcnt 0x0
	v_and_b32_e32 v0, 0xff, v15
	v_bfe_u32 v40, v15, 8, 8
	v_bfe_u32 v41, v15, 16, 8
	v_lshrrev_b32_e32 v15, 24, v15
	v_and_b32_e32 v42, 0xff, v16
	v_cvt_f32_fp8_e32 v0, v0
	v_cvt_f32_fp8_e32 v40, v40
	;; [unrolled: 1-line block ×4, first 2 shown]
	v_add_nc_u32_e32 v88, v38, v17
	s_wait_kmcnt 0x0
	v_mul_f32_e32 v0, s14, v0
	v_dual_mul_f32 v40, s14, v40 :: v_dual_mul_f32 v41, s14, v41
	s_delay_alu instid0(VALU_DEP_3) | instskip(NEXT) | instid1(VALU_DEP_3)
	v_dual_mul_f32 v15, s14, v15 :: v_dual_add_nc_u32 v94, 1, v88
	v_bfe_u32 v45, v0, 16, 1
	v_or_b32_e32 v46, 0x400000, v0
	s_delay_alu instid0(VALU_DEP_4)
	v_bfe_u32 v47, v40, 16, 1
	v_cmp_u_f32_e64 s0, v0, v0
	v_bfe_u32 v43, v16, 8, 8
	v_add3_u32 v45, v45, v0, 0x7fff
	v_cvt_f32_fp8_e32 v42, v42
	v_or_b32_e32 v48, 0x400000, v40
	v_bfe_u32 v49, v41, 16, 1
	v_add3_u32 v47, v47, v40, 0x7fff
	s_wait_alu 0xf1ff
	v_cndmask_b32_e64 v0, v45, v46, s0
	v_cmp_u_f32_e64 s0, v40, v40
	v_dual_mul_f32 v42, s14, v42 :: v_dual_add_nc_u32 v93, 2, v88
	v_bfe_u32 v44, v16, 16, 8
	v_cvt_f32_fp8_e32 v43, v43
	v_or_b32_e32 v50, 0x400000, v41
	v_bfe_u32 v51, v15, 16, 1
	v_add3_u32 v49, v49, v41, 0x7fff
	s_wait_alu 0xf1ff
	v_cndmask_b32_e64 v40, v47, v48, s0
	v_cmp_u_f32_e64 s0, v41, v41
	v_dual_mul_f32 v43, s14, v43 :: v_dual_add_nc_u32 v92, 3, v88
	v_lshrrev_b32_e32 v16, 24, v16
	v_cvt_f32_fp8_e32 v44, v44
	v_or_b32_e32 v52, 0x400000, v15
	v_bfe_u32 v53, v42, 16, 1
	v_add3_u32 v51, v51, v15, 0x7fff
	s_wait_alu 0xf1ff
	v_cndmask_b32_e64 v41, v49, v50, s0
	v_cmp_u_f32_e64 s0, v15, v15
	v_cvt_f32_fp8_e32 v16, v16
	v_mul_f32_e32 v44, s14, v44
	v_or_b32_e32 v54, 0x400000, v42
	v_bfe_u32 v55, v43, 16, 1
	v_add3_u32 v53, v53, v42, 0x7fff
	s_wait_alu 0xf1ff
	v_cndmask_b32_e64 v15, v51, v52, s0
	v_cmp_u_f32_e64 s0, v42, v42
	v_mul_f32_e32 v16, s14, v16
	v_or_b32_e32 v56, 0x400000, v43
	v_bfe_u32 v57, v44, 16, 1
	v_add3_u32 v55, v55, v43, 0x7fff
	s_wait_alu 0xf1ff
	v_cndmask_b32_e64 v42, v53, v54, s0
	v_cmp_u_f32_e64 s0, v43, v43
	v_or_b32_e32 v58, 0x400000, v44
	v_bfe_u32 v59, v16, 16, 1
	v_add3_u32 v57, v57, v44, 0x7fff
	v_or_b32_e32 v60, 0x400000, v16
	s_wait_alu 0xf1ff
	v_cndmask_b32_e64 v43, v55, v56, s0
	v_cmp_u_f32_e64 s0, v44, v44
	v_add3_u32 v59, v59, v16, 0x7fff
	v_add_nc_u32_e32 v91, 4, v88
	v_add_nc_u32_e32 v90, 5, v88
	;; [unrolled: 1-line block ×3, first 2 shown]
	s_wait_alu 0xf1ff
	v_cndmask_b32_e64 v48, v57, v58, s0
	v_cmp_u_f32_e64 s0, v16, v16
	v_lshrrev_b32_e32 v46, 16, v0
	v_lshrrev_b32_e32 v47, 16, v40
	;; [unrolled: 1-line block ×4, first 2 shown]
	s_wait_alu 0xf1ff
	v_cndmask_b32_e64 v16, v59, v60, s0
	v_lshrrev_b32_e32 v42, 16, v42
	v_lshrrev_b32_e32 v43, 16, v43
	v_lshrrev_b32_e32 v40, 16, v48
	v_add_nc_u32_e32 v96, 7, v88
	v_lshrrev_b32_e32 v41, 16, v16
	s_and_saveexec_b32 s15, vcc_lo
	s_cbranch_execz .LBB355_41
; %bb.40:                               ;   in Loop: Header=BB355_38 Depth=1
	v_cmp_gt_i32_e64 s0, s34, v88
	s_wait_alu 0xf1ff
	s_delay_alu instid0(VALU_DEP_1) | instskip(SKIP_2) | instid1(VALU_DEP_1)
	v_cndmask_b32_e64 v46, 0, v46, s0
	v_cmp_gt_i32_e64 s0, s34, v94
	s_wait_alu 0xf1ff
	v_cndmask_b32_e64 v47, 0, v47, s0
	v_cmp_gt_i32_e64 s0, s34, v93
	s_wait_alu 0xf1ff
	s_delay_alu instid0(VALU_DEP_1) | instskip(SKIP_2) | instid1(VALU_DEP_1)
	v_cndmask_b32_e64 v44, 0, v44, s0
	v_cmp_gt_i32_e64 s0, s34, v92
	s_wait_alu 0xf1ff
	v_cndmask_b32_e64 v45, 0, v45, s0
	;; [unrolled: 7-line block ×4, first 2 shown]
.LBB355_41:                             ;   in Loop: Header=BB355_38 Depth=1
	s_wait_alu 0xfffe
	s_or_b32 exec_lo, exec_lo, s15
	global_load_b64 v[15:16], v[13:14], off offset:256
	s_wait_loadcnt 0x0
	v_bfe_u32 v49, v15, 16, 8
	v_bfe_u32 v48, v15, 8, 8
	;; [unrolled: 1-line block ×4, first 2 shown]
	s_delay_alu instid0(VALU_DEP_4)
	v_cvt_f32_fp8_e32 v49, v49
	v_and_b32_e32 v0, 0xff, v15
	v_cvt_f32_fp8_e32 v48, v48
	v_cvt_f32_fp8_e32 v51, v51
	v_lshrrev_b32_e32 v15, 24, v15
	v_mul_f32_e32 v49, s14, v49
	v_cvt_f32_fp8_e32 v0, v0
	v_mul_f32_e32 v48, s14, v48
	v_cvt_f32_fp8_e32 v52, v52
	v_cvt_f32_fp8_e32 v15, v15
	s_delay_alu instid0(VALU_DEP_4) | instskip(SKIP_2) | instid1(VALU_DEP_4)
	v_dual_mul_f32 v51, s14, v51 :: v_dual_mul_f32 v0, s14, v0
	v_and_b32_e32 v50, 0xff, v16
	v_bfe_u32 v55, v48, 16, 1
	v_mul_f32_e32 v15, s14, v15
	v_or_b32_e32 v56, 0x400000, v48
	v_bfe_u32 v53, v0, 16, 1
	v_or_b32_e32 v54, 0x400000, v0
	v_cmp_u_f32_e64 s0, v0, v0
	v_cvt_f32_fp8_e32 v50, v50
	v_bfe_u32 v57, v49, 16, 1
	v_add3_u32 v53, v53, v0, 0x7fff
	v_add3_u32 v55, v55, v48, 0x7fff
	v_or_b32_e32 v58, 0x400000, v49
	v_mul_f32_e32 v50, s14, v50
	v_bfe_u32 v59, v15, 16, 1
	s_wait_alu 0xf1ff
	v_cndmask_b32_e64 v0, v53, v54, s0
	v_cmp_u_f32_e64 s0, v48, v48
	v_add3_u32 v57, v57, v49, 0x7fff
	v_lshrrev_b32_e32 v16, 24, v16
	v_or_b32_e32 v60, 0x400000, v15
	v_bfe_u32 v61, v50, 16, 1
	s_wait_alu 0xf1ff
	v_cndmask_b32_e64 v48, v55, v56, s0
	v_cmp_u_f32_e64 s0, v49, v49
	v_add3_u32 v59, v59, v15, 0x7fff
	v_cvt_f32_fp8_e32 v16, v16
	v_mul_f32_e32 v52, s14, v52
	v_or_b32_e32 v62, 0x400000, v50
	s_wait_alu 0xf1ff
	v_cndmask_b32_e64 v49, v57, v58, s0
	v_cmp_u_f32_e64 s0, v15, v15
	v_bfe_u32 v63, v51, 16, 1
	v_add3_u32 v61, v61, v50, 0x7fff
	v_mul_f32_e32 v16, s14, v16
	v_or_b32_e32 v64, 0x400000, v51
	s_wait_alu 0xf1ff
	v_cndmask_b32_e64 v15, v59, v60, s0
	v_cmp_u_f32_e64 s0, v50, v50
	v_bfe_u32 v65, v52, 16, 1
	v_add3_u32 v63, v63, v51, 0x7fff
	v_or_b32_e32 v66, 0x400000, v52
	v_bfe_u32 v67, v16, 16, 1
	s_wait_alu 0xf1ff
	v_cndmask_b32_e64 v50, v61, v62, s0
	v_cmp_u_f32_e64 s0, v51, v51
	v_add3_u32 v65, v65, v52, 0x7fff
	v_or_b32_e32 v68, 0x400000, v16
	v_add3_u32 v67, v67, v16, 0x7fff
	v_lshrrev_b32_e32 v54, 16, v0
	s_wait_alu 0xf1ff
	v_cndmask_b32_e64 v51, v63, v64, s0
	v_cmp_u_f32_e64 s0, v52, v52
	v_lshrrev_b32_e32 v55, 16, v48
	v_lshrrev_b32_e32 v52, 16, v49
	;; [unrolled: 1-line block ×4, first 2 shown]
	s_wait_alu 0xf1ff
	v_cndmask_b32_e64 v56, v65, v66, s0
	v_cmp_u_f32_e64 s0, v16, v16
	v_lshrrev_b32_e32 v51, 16, v51
	s_delay_alu instid0(VALU_DEP_3) | instskip(SKIP_1) | instid1(VALU_DEP_3)
	v_lshrrev_b32_e32 v48, 16, v56
	s_wait_alu 0xf1ff
	v_cndmask_b32_e64 v16, v67, v68, s0
	s_delay_alu instid0(VALU_DEP_1)
	v_lshrrev_b32_e32 v49, 16, v16
	s_and_saveexec_b32 s15, vcc_lo
	s_cbranch_execz .LBB355_43
; %bb.42:                               ;   in Loop: Header=BB355_38 Depth=1
	v_cmp_gt_i32_e64 s0, s34, v88
	s_wait_alu 0xf1ff
	s_delay_alu instid0(VALU_DEP_1) | instskip(SKIP_2) | instid1(VALU_DEP_1)
	v_cndmask_b32_e64 v54, 0, v54, s0
	v_cmp_gt_i32_e64 s0, s34, v94
	s_wait_alu 0xf1ff
	v_cndmask_b32_e64 v55, 0, v55, s0
	v_cmp_gt_i32_e64 s0, s34, v93
	s_wait_alu 0xf1ff
	s_delay_alu instid0(VALU_DEP_1) | instskip(SKIP_2) | instid1(VALU_DEP_1)
	v_cndmask_b32_e64 v52, 0, v52, s0
	v_cmp_gt_i32_e64 s0, s34, v92
	s_wait_alu 0xf1ff
	v_cndmask_b32_e64 v53, 0, v53, s0
	;; [unrolled: 7-line block ×4, first 2 shown]
.LBB355_43:                             ;   in Loop: Header=BB355_38 Depth=1
	s_wait_alu 0xfffe
	s_or_b32 exec_lo, exec_lo, s15
	global_load_b64 v[15:16], v[13:14], off offset:512
	s_wait_loadcnt 0x0
	v_bfe_u32 v57, v15, 16, 8
	v_bfe_u32 v56, v15, 8, 8
	;; [unrolled: 1-line block ×4, first 2 shown]
	s_delay_alu instid0(VALU_DEP_4)
	v_cvt_f32_fp8_e32 v57, v57
	v_and_b32_e32 v0, 0xff, v15
	v_cvt_f32_fp8_e32 v56, v56
	v_cvt_f32_fp8_e32 v59, v59
	v_lshrrev_b32_e32 v15, 24, v15
	v_mul_f32_e32 v57, s14, v57
	v_cvt_f32_fp8_e32 v0, v0
	v_mul_f32_e32 v56, s14, v56
	v_cvt_f32_fp8_e32 v60, v60
	v_cvt_f32_fp8_e32 v15, v15
	s_delay_alu instid0(VALU_DEP_4) | instskip(SKIP_2) | instid1(VALU_DEP_4)
	v_dual_mul_f32 v59, s14, v59 :: v_dual_mul_f32 v0, s14, v0
	v_and_b32_e32 v58, 0xff, v16
	v_bfe_u32 v63, v56, 16, 1
	v_mul_f32_e32 v15, s14, v15
	v_or_b32_e32 v64, 0x400000, v56
	v_bfe_u32 v61, v0, 16, 1
	v_or_b32_e32 v62, 0x400000, v0
	v_cmp_u_f32_e64 s0, v0, v0
	v_cvt_f32_fp8_e32 v58, v58
	v_bfe_u32 v65, v57, 16, 1
	v_add3_u32 v61, v61, v0, 0x7fff
	v_add3_u32 v63, v63, v56, 0x7fff
	v_or_b32_e32 v66, 0x400000, v57
	v_mul_f32_e32 v58, s14, v58
	v_bfe_u32 v67, v15, 16, 1
	s_wait_alu 0xf1ff
	v_cndmask_b32_e64 v0, v61, v62, s0
	v_cmp_u_f32_e64 s0, v56, v56
	v_add3_u32 v65, v65, v57, 0x7fff
	v_lshrrev_b32_e32 v16, 24, v16
	v_or_b32_e32 v68, 0x400000, v15
	v_bfe_u32 v69, v58, 16, 1
	s_wait_alu 0xf1ff
	v_cndmask_b32_e64 v56, v63, v64, s0
	v_cmp_u_f32_e64 s0, v57, v57
	v_add3_u32 v67, v67, v15, 0x7fff
	v_cvt_f32_fp8_e32 v16, v16
	v_mul_f32_e32 v60, s14, v60
	v_or_b32_e32 v70, 0x400000, v58
	s_wait_alu 0xf1ff
	v_cndmask_b32_e64 v57, v65, v66, s0
	v_cmp_u_f32_e64 s0, v15, v15
	v_bfe_u32 v71, v59, 16, 1
	v_add3_u32 v69, v69, v58, 0x7fff
	v_mul_f32_e32 v16, s14, v16
	v_or_b32_e32 v72, 0x400000, v59
	s_wait_alu 0xf1ff
	v_cndmask_b32_e64 v15, v67, v68, s0
	v_cmp_u_f32_e64 s0, v58, v58
	v_bfe_u32 v73, v60, 16, 1
	v_add3_u32 v71, v71, v59, 0x7fff
	v_or_b32_e32 v74, 0x400000, v60
	v_bfe_u32 v75, v16, 16, 1
	s_wait_alu 0xf1ff
	v_cndmask_b32_e64 v58, v69, v70, s0
	v_cmp_u_f32_e64 s0, v59, v59
	v_add3_u32 v73, v73, v60, 0x7fff
	v_or_b32_e32 v76, 0x400000, v16
	v_add3_u32 v75, v75, v16, 0x7fff
	v_lshrrev_b32_e32 v62, 16, v0
	s_wait_alu 0xf1ff
	v_cndmask_b32_e64 v59, v71, v72, s0
	v_cmp_u_f32_e64 s0, v60, v60
	v_lshrrev_b32_e32 v63, 16, v56
	v_lshrrev_b32_e32 v60, 16, v57
	;; [unrolled: 1-line block ×4, first 2 shown]
	s_wait_alu 0xf1ff
	v_cndmask_b32_e64 v64, v73, v74, s0
	v_cmp_u_f32_e64 s0, v16, v16
	v_lshrrev_b32_e32 v59, 16, v59
	s_delay_alu instid0(VALU_DEP_3) | instskip(SKIP_1) | instid1(VALU_DEP_3)
	v_lshrrev_b32_e32 v56, 16, v64
	s_wait_alu 0xf1ff
	v_cndmask_b32_e64 v16, v75, v76, s0
	s_delay_alu instid0(VALU_DEP_1)
	v_lshrrev_b32_e32 v57, 16, v16
	s_and_saveexec_b32 s15, vcc_lo
	s_cbranch_execz .LBB355_45
; %bb.44:                               ;   in Loop: Header=BB355_38 Depth=1
	v_cmp_gt_i32_e64 s0, s34, v88
	s_wait_alu 0xf1ff
	s_delay_alu instid0(VALU_DEP_1) | instskip(SKIP_2) | instid1(VALU_DEP_1)
	v_cndmask_b32_e64 v62, 0, v62, s0
	v_cmp_gt_i32_e64 s0, s34, v94
	s_wait_alu 0xf1ff
	v_cndmask_b32_e64 v63, 0, v63, s0
	v_cmp_gt_i32_e64 s0, s34, v93
	s_wait_alu 0xf1ff
	s_delay_alu instid0(VALU_DEP_1) | instskip(SKIP_2) | instid1(VALU_DEP_1)
	v_cndmask_b32_e64 v60, 0, v60, s0
	v_cmp_gt_i32_e64 s0, s34, v92
	s_wait_alu 0xf1ff
	v_cndmask_b32_e64 v61, 0, v61, s0
	;; [unrolled: 7-line block ×4, first 2 shown]
.LBB355_45:                             ;   in Loop: Header=BB355_38 Depth=1
	s_wait_alu 0xfffe
	s_or_b32 exec_lo, exec_lo, s15
	global_load_b64 v[15:16], v[13:14], off offset:768
	s_wait_loadcnt 0x0
	v_bfe_u32 v65, v15, 16, 8
	v_bfe_u32 v64, v15, 8, 8
	;; [unrolled: 1-line block ×4, first 2 shown]
	s_delay_alu instid0(VALU_DEP_4)
	v_cvt_f32_fp8_e32 v65, v65
	v_and_b32_e32 v0, 0xff, v15
	v_cvt_f32_fp8_e32 v64, v64
	v_cvt_f32_fp8_e32 v67, v67
	v_lshrrev_b32_e32 v15, 24, v15
	v_mul_f32_e32 v65, s14, v65
	v_cvt_f32_fp8_e32 v0, v0
	v_mul_f32_e32 v64, s14, v64
	v_cvt_f32_fp8_e32 v68, v68
	v_cvt_f32_fp8_e32 v15, v15
	s_delay_alu instid0(VALU_DEP_4) | instskip(SKIP_2) | instid1(VALU_DEP_4)
	v_dual_mul_f32 v67, s14, v67 :: v_dual_mul_f32 v0, s14, v0
	v_and_b32_e32 v66, 0xff, v16
	v_bfe_u32 v71, v64, 16, 1
	v_mul_f32_e32 v15, s14, v15
	v_or_b32_e32 v72, 0x400000, v64
	v_bfe_u32 v69, v0, 16, 1
	v_or_b32_e32 v70, 0x400000, v0
	v_cmp_u_f32_e64 s0, v0, v0
	v_cvt_f32_fp8_e32 v66, v66
	v_bfe_u32 v73, v65, 16, 1
	v_add3_u32 v69, v69, v0, 0x7fff
	v_add3_u32 v71, v71, v64, 0x7fff
	v_or_b32_e32 v74, 0x400000, v65
	v_mul_f32_e32 v66, s14, v66
	v_bfe_u32 v75, v15, 16, 1
	s_wait_alu 0xf1ff
	v_cndmask_b32_e64 v0, v69, v70, s0
	v_cmp_u_f32_e64 s0, v64, v64
	v_add3_u32 v73, v73, v65, 0x7fff
	v_lshrrev_b32_e32 v16, 24, v16
	v_or_b32_e32 v76, 0x400000, v15
	v_bfe_u32 v77, v66, 16, 1
	s_wait_alu 0xf1ff
	v_cndmask_b32_e64 v64, v71, v72, s0
	v_cmp_u_f32_e64 s0, v65, v65
	v_add3_u32 v75, v75, v15, 0x7fff
	v_cvt_f32_fp8_e32 v16, v16
	v_mul_f32_e32 v68, s14, v68
	v_or_b32_e32 v78, 0x400000, v66
	s_wait_alu 0xf1ff
	v_cndmask_b32_e64 v65, v73, v74, s0
	v_cmp_u_f32_e64 s0, v15, v15
	v_bfe_u32 v79, v67, 16, 1
	v_add3_u32 v77, v77, v66, 0x7fff
	v_mul_f32_e32 v16, s14, v16
	v_or_b32_e32 v80, 0x400000, v67
	s_wait_alu 0xf1ff
	v_cndmask_b32_e64 v15, v75, v76, s0
	v_cmp_u_f32_e64 s0, v66, v66
	v_bfe_u32 v81, v68, 16, 1
	v_add3_u32 v79, v79, v67, 0x7fff
	v_or_b32_e32 v82, 0x400000, v68
	v_bfe_u32 v83, v16, 16, 1
	s_wait_alu 0xf1ff
	v_cndmask_b32_e64 v66, v77, v78, s0
	v_cmp_u_f32_e64 s0, v67, v67
	v_add3_u32 v81, v81, v68, 0x7fff
	v_or_b32_e32 v84, 0x400000, v16
	v_add3_u32 v83, v83, v16, 0x7fff
	v_lshrrev_b32_e32 v70, 16, v0
	s_wait_alu 0xf1ff
	v_cndmask_b32_e64 v67, v79, v80, s0
	v_cmp_u_f32_e64 s0, v68, v68
	v_lshrrev_b32_e32 v71, 16, v64
	v_lshrrev_b32_e32 v68, 16, v65
	;; [unrolled: 1-line block ×4, first 2 shown]
	s_wait_alu 0xf1ff
	v_cndmask_b32_e64 v72, v81, v82, s0
	v_cmp_u_f32_e64 s0, v16, v16
	v_lshrrev_b32_e32 v67, 16, v67
	s_delay_alu instid0(VALU_DEP_3) | instskip(SKIP_1) | instid1(VALU_DEP_3)
	v_lshrrev_b32_e32 v64, 16, v72
	s_wait_alu 0xf1ff
	v_cndmask_b32_e64 v16, v83, v84, s0
	s_delay_alu instid0(VALU_DEP_1)
	v_lshrrev_b32_e32 v65, 16, v16
	s_and_saveexec_b32 s15, vcc_lo
	s_cbranch_execz .LBB355_47
; %bb.46:                               ;   in Loop: Header=BB355_38 Depth=1
	v_cmp_gt_i32_e64 s0, s34, v88
	s_wait_alu 0xf1ff
	s_delay_alu instid0(VALU_DEP_1) | instskip(SKIP_2) | instid1(VALU_DEP_1)
	v_cndmask_b32_e64 v70, 0, v70, s0
	v_cmp_gt_i32_e64 s0, s34, v94
	s_wait_alu 0xf1ff
	v_cndmask_b32_e64 v71, 0, v71, s0
	v_cmp_gt_i32_e64 s0, s34, v93
	s_wait_alu 0xf1ff
	s_delay_alu instid0(VALU_DEP_1) | instskip(SKIP_2) | instid1(VALU_DEP_1)
	v_cndmask_b32_e64 v68, 0, v68, s0
	v_cmp_gt_i32_e64 s0, s34, v92
	s_wait_alu 0xf1ff
	v_cndmask_b32_e64 v69, 0, v69, s0
	v_cmp_gt_i32_e64 s0, s34, v91
	s_wait_alu 0xf1ff
	s_delay_alu instid0(VALU_DEP_1) | instskip(SKIP_2) | instid1(VALU_DEP_1)
	v_cndmask_b32_e64 v66, 0, v66, s0
	v_cmp_gt_i32_e64 s0, s34, v90
	s_wait_alu 0xf1ff
	v_cndmask_b32_e64 v67, 0, v67, s0
	v_cmp_gt_i32_e64 s0, s34, v89
	s_wait_alu 0xf1ff
	s_delay_alu instid0(VALU_DEP_1) | instskip(SKIP_2) | instid1(VALU_DEP_1)
	v_cndmask_b32_e64 v64, 0, v64, s0
	v_cmp_gt_i32_e64 s0, s34, v96
	s_wait_alu 0xf1ff
	v_cndmask_b32_e64 v65, 0, v65, s0
.LBB355_47:                             ;   in Loop: Header=BB355_38 Depth=1
	s_wait_alu 0xfffe
	s_or_b32 exec_lo, exec_lo, s15
	global_load_b64 v[15:16], v[13:14], off offset:1024
	s_wait_loadcnt 0x0
	v_bfe_u32 v73, v15, 16, 8
	v_bfe_u32 v72, v15, 8, 8
	;; [unrolled: 1-line block ×4, first 2 shown]
	s_delay_alu instid0(VALU_DEP_4)
	v_cvt_f32_fp8_e32 v73, v73
	v_and_b32_e32 v0, 0xff, v15
	v_cvt_f32_fp8_e32 v72, v72
	v_cvt_f32_fp8_e32 v75, v75
	v_lshrrev_b32_e32 v15, 24, v15
	v_mul_f32_e32 v73, s14, v73
	v_cvt_f32_fp8_e32 v0, v0
	v_mul_f32_e32 v72, s14, v72
	v_cvt_f32_fp8_e32 v76, v76
	v_cvt_f32_fp8_e32 v15, v15
	s_delay_alu instid0(VALU_DEP_4) | instskip(SKIP_2) | instid1(VALU_DEP_4)
	v_dual_mul_f32 v75, s14, v75 :: v_dual_mul_f32 v0, s14, v0
	v_and_b32_e32 v74, 0xff, v16
	v_bfe_u32 v79, v72, 16, 1
	v_mul_f32_e32 v15, s14, v15
	v_or_b32_e32 v80, 0x400000, v72
	v_bfe_u32 v77, v0, 16, 1
	v_or_b32_e32 v78, 0x400000, v0
	v_cmp_u_f32_e64 s0, v0, v0
	v_cvt_f32_fp8_e32 v74, v74
	v_bfe_u32 v81, v73, 16, 1
	v_add3_u32 v77, v77, v0, 0x7fff
	v_add3_u32 v79, v79, v72, 0x7fff
	v_or_b32_e32 v82, 0x400000, v73
	v_mul_f32_e32 v74, s14, v74
	v_bfe_u32 v83, v15, 16, 1
	s_wait_alu 0xf1ff
	v_cndmask_b32_e64 v0, v77, v78, s0
	v_cmp_u_f32_e64 s0, v72, v72
	v_add3_u32 v81, v81, v73, 0x7fff
	v_lshrrev_b32_e32 v16, 24, v16
	v_or_b32_e32 v84, 0x400000, v15
	v_bfe_u32 v85, v74, 16, 1
	s_wait_alu 0xf1ff
	v_cndmask_b32_e64 v72, v79, v80, s0
	v_cmp_u_f32_e64 s0, v73, v73
	v_add3_u32 v83, v83, v15, 0x7fff
	v_cvt_f32_fp8_e32 v16, v16
	v_mul_f32_e32 v76, s14, v76
	v_or_b32_e32 v86, 0x400000, v74
	s_wait_alu 0xf1ff
	v_cndmask_b32_e64 v73, v81, v82, s0
	v_cmp_u_f32_e64 s0, v15, v15
	v_bfe_u32 v87, v75, 16, 1
	v_add3_u32 v85, v85, v74, 0x7fff
	v_mul_f32_e32 v16, s14, v16
	v_or_b32_e32 v95, 0x400000, v75
	s_wait_alu 0xf1ff
	v_cndmask_b32_e64 v15, v83, v84, s0
	v_cmp_u_f32_e64 s0, v74, v74
	v_bfe_u32 v97, v76, 16, 1
	v_add3_u32 v87, v87, v75, 0x7fff
	v_or_b32_e32 v98, 0x400000, v76
	v_bfe_u32 v99, v16, 16, 1
	s_wait_alu 0xf1ff
	v_cndmask_b32_e64 v74, v85, v86, s0
	v_cmp_u_f32_e64 s0, v75, v75
	v_add3_u32 v97, v97, v76, 0x7fff
	v_or_b32_e32 v100, 0x400000, v16
	v_add3_u32 v99, v99, v16, 0x7fff
	v_lshrrev_b32_e32 v78, 16, v0
	s_wait_alu 0xf1ff
	v_cndmask_b32_e64 v75, v87, v95, s0
	v_cmp_u_f32_e64 s0, v76, v76
	v_lshrrev_b32_e32 v79, 16, v72
	v_lshrrev_b32_e32 v76, 16, v73
	;; [unrolled: 1-line block ×4, first 2 shown]
	s_wait_alu 0xf1ff
	v_cndmask_b32_e64 v80, v97, v98, s0
	v_cmp_u_f32_e64 s0, v16, v16
	v_lshrrev_b32_e32 v75, 16, v75
	s_delay_alu instid0(VALU_DEP_3) | instskip(SKIP_1) | instid1(VALU_DEP_3)
	v_lshrrev_b32_e32 v72, 16, v80
	s_wait_alu 0xf1ff
	v_cndmask_b32_e64 v16, v99, v100, s0
	s_delay_alu instid0(VALU_DEP_1)
	v_lshrrev_b32_e32 v73, 16, v16
	s_and_saveexec_b32 s15, vcc_lo
	s_cbranch_execz .LBB355_49
; %bb.48:                               ;   in Loop: Header=BB355_38 Depth=1
	v_cmp_gt_i32_e64 s0, s34, v88
	s_wait_alu 0xf1ff
	s_delay_alu instid0(VALU_DEP_1) | instskip(SKIP_2) | instid1(VALU_DEP_1)
	v_cndmask_b32_e64 v78, 0, v78, s0
	v_cmp_gt_i32_e64 s0, s34, v94
	s_wait_alu 0xf1ff
	v_cndmask_b32_e64 v79, 0, v79, s0
	v_cmp_gt_i32_e64 s0, s34, v93
	s_wait_alu 0xf1ff
	s_delay_alu instid0(VALU_DEP_1) | instskip(SKIP_2) | instid1(VALU_DEP_1)
	v_cndmask_b32_e64 v76, 0, v76, s0
	v_cmp_gt_i32_e64 s0, s34, v92
	s_wait_alu 0xf1ff
	v_cndmask_b32_e64 v77, 0, v77, s0
	;; [unrolled: 7-line block ×4, first 2 shown]
.LBB355_49:                             ;   in Loop: Header=BB355_38 Depth=1
	s_wait_alu 0xfffe
	s_or_b32 exec_lo, exec_lo, s15
	global_load_b64 v[15:16], v[13:14], off offset:1280
	s_wait_loadcnt 0x0
	v_bfe_u32 v81, v15, 16, 8
	v_bfe_u32 v80, v15, 8, 8
	;; [unrolled: 1-line block ×4, first 2 shown]
	s_delay_alu instid0(VALU_DEP_4)
	v_cvt_f32_fp8_e32 v81, v81
	v_and_b32_e32 v0, 0xff, v15
	v_cvt_f32_fp8_e32 v80, v80
	v_cvt_f32_fp8_e32 v83, v83
	v_lshrrev_b32_e32 v15, 24, v15
	v_mul_f32_e32 v81, s14, v81
	v_cvt_f32_fp8_e32 v0, v0
	v_mul_f32_e32 v80, s14, v80
	v_cvt_f32_fp8_e32 v84, v84
	v_cvt_f32_fp8_e32 v15, v15
	s_delay_alu instid0(VALU_DEP_4) | instskip(SKIP_2) | instid1(VALU_DEP_4)
	v_dual_mul_f32 v83, s14, v83 :: v_dual_mul_f32 v0, s14, v0
	v_and_b32_e32 v82, 0xff, v16
	v_bfe_u32 v87, v80, 16, 1
	v_mul_f32_e32 v15, s14, v15
	v_or_b32_e32 v95, 0x400000, v80
	v_bfe_u32 v85, v0, 16, 1
	v_or_b32_e32 v86, 0x400000, v0
	v_cmp_u_f32_e64 s0, v0, v0
	v_cvt_f32_fp8_e32 v82, v82
	v_bfe_u32 v97, v81, 16, 1
	v_add3_u32 v85, v85, v0, 0x7fff
	v_add3_u32 v87, v87, v80, 0x7fff
	v_or_b32_e32 v98, 0x400000, v81
	v_mul_f32_e32 v82, s14, v82
	v_bfe_u32 v99, v15, 16, 1
	s_wait_alu 0xf1ff
	v_cndmask_b32_e64 v0, v85, v86, s0
	v_cmp_u_f32_e64 s0, v80, v80
	v_add3_u32 v97, v97, v81, 0x7fff
	v_lshrrev_b32_e32 v16, 24, v16
	v_or_b32_e32 v100, 0x400000, v15
	v_bfe_u32 v101, v82, 16, 1
	s_wait_alu 0xf1ff
	v_cndmask_b32_e64 v80, v87, v95, s0
	v_cmp_u_f32_e64 s0, v81, v81
	v_add3_u32 v99, v99, v15, 0x7fff
	v_cvt_f32_fp8_e32 v16, v16
	v_mul_f32_e32 v84, s14, v84
	v_or_b32_e32 v102, 0x400000, v82
	s_wait_alu 0xf1ff
	v_cndmask_b32_e64 v81, v97, v98, s0
	v_cmp_u_f32_e64 s0, v15, v15
	v_bfe_u32 v103, v83, 16, 1
	v_add3_u32 v101, v101, v82, 0x7fff
	v_mul_f32_e32 v16, s14, v16
	v_or_b32_e32 v104, 0x400000, v83
	s_wait_alu 0xf1ff
	v_cndmask_b32_e64 v15, v99, v100, s0
	v_cmp_u_f32_e64 s0, v82, v82
	v_bfe_u32 v105, v84, 16, 1
	v_add3_u32 v103, v103, v83, 0x7fff
	v_or_b32_e32 v106, 0x400000, v84
	v_bfe_u32 v107, v16, 16, 1
	s_wait_alu 0xf1ff
	v_cndmask_b32_e64 v82, v101, v102, s0
	v_cmp_u_f32_e64 s0, v83, v83
	v_add3_u32 v105, v105, v84, 0x7fff
	v_or_b32_e32 v108, 0x400000, v16
	v_add3_u32 v107, v107, v16, 0x7fff
	v_lshrrev_b32_e32 v86, 16, v0
	s_wait_alu 0xf1ff
	v_cndmask_b32_e64 v83, v103, v104, s0
	v_cmp_u_f32_e64 s0, v84, v84
	v_lshrrev_b32_e32 v87, 16, v80
	v_lshrrev_b32_e32 v84, 16, v81
	v_lshrrev_b32_e32 v85, 16, v15
	v_lshrrev_b32_e32 v82, 16, v82
	s_wait_alu 0xf1ff
	v_cndmask_b32_e64 v95, v105, v106, s0
	v_cmp_u_f32_e64 s0, v16, v16
	v_lshrrev_b32_e32 v83, 16, v83
	s_delay_alu instid0(VALU_DEP_3) | instskip(SKIP_1) | instid1(VALU_DEP_3)
	v_lshrrev_b32_e32 v80, 16, v95
	s_wait_alu 0xf1ff
	v_cndmask_b32_e64 v16, v107, v108, s0
	s_delay_alu instid0(VALU_DEP_1)
	v_lshrrev_b32_e32 v81, 16, v16
	s_and_saveexec_b32 s15, vcc_lo
	s_cbranch_execz .LBB355_51
; %bb.50:                               ;   in Loop: Header=BB355_38 Depth=1
	v_cmp_gt_i32_e64 s0, s34, v88
	s_wait_alu 0xf1ff
	s_delay_alu instid0(VALU_DEP_1) | instskip(SKIP_2) | instid1(VALU_DEP_1)
	v_cndmask_b32_e64 v86, 0, v86, s0
	v_cmp_gt_i32_e64 s0, s34, v94
	s_wait_alu 0xf1ff
	v_cndmask_b32_e64 v87, 0, v87, s0
	v_cmp_gt_i32_e64 s0, s34, v93
	s_wait_alu 0xf1ff
	s_delay_alu instid0(VALU_DEP_1) | instskip(SKIP_2) | instid1(VALU_DEP_1)
	v_cndmask_b32_e64 v84, 0, v84, s0
	v_cmp_gt_i32_e64 s0, s34, v92
	s_wait_alu 0xf1ff
	v_cndmask_b32_e64 v85, 0, v85, s0
	;; [unrolled: 7-line block ×4, first 2 shown]
.LBB355_51:                             ;   in Loop: Header=BB355_38 Depth=1
	s_wait_alu 0xfffe
	s_or_b32 exec_lo, exec_lo, s15
	global_load_b64 v[15:16], v[13:14], off offset:1536
	s_wait_loadcnt 0x0
	v_bfe_u32 v97, v15, 16, 8
	v_bfe_u32 v95, v15, 8, 8
	;; [unrolled: 1-line block ×4, first 2 shown]
	s_delay_alu instid0(VALU_DEP_4) | instskip(SKIP_3) | instid1(VALU_DEP_4)
	v_cvt_f32_fp8_e32 v97, v97
	v_and_b32_e32 v0, 0xff, v15
	v_lshrrev_b32_e32 v15, 24, v15
	v_cvt_f32_fp8_e32 v95, v95
	v_dual_mul_f32 v97, s14, v97 :: v_dual_and_b32 v98, 0xff, v16
	s_delay_alu instid0(VALU_DEP_4) | instskip(NEXT) | instid1(VALU_DEP_4)
	v_cvt_f32_fp8_e32 v0, v0
	v_cvt_f32_fp8_e32 v15, v15
	s_delay_alu instid0(VALU_DEP_4) | instskip(NEXT) | instid1(VALU_DEP_4)
	v_mul_f32_e32 v95, s14, v95
	v_cvt_f32_fp8_e32 v98, v98
	v_bfe_u32 v105, v97, 16, 1
	s_delay_alu instid0(VALU_DEP_4) | instskip(NEXT) | instid1(VALU_DEP_4)
	v_dual_mul_f32 v0, s14, v0 :: v_dual_mul_f32 v15, s14, v15
	v_bfe_u32 v103, v95, 16, 1
	v_or_b32_e32 v104, 0x400000, v95
	v_cvt_f32_fp8_e32 v99, v99
	s_delay_alu instid0(VALU_DEP_4)
	v_bfe_u32 v101, v0, 16, 1
	v_or_b32_e32 v102, 0x400000, v0
	v_cmp_u_f32_e64 s0, v0, v0
	v_add3_u32 v103, v103, v95, 0x7fff
	v_dual_mul_f32 v98, s14, v98 :: v_dual_mul_f32 v99, s14, v99
	v_add3_u32 v101, v101, v0, 0x7fff
	v_or_b32_e32 v106, 0x400000, v97
	v_bfe_u32 v107, v15, 16, 1
	v_add3_u32 v105, v105, v97, 0x7fff
	v_lshrrev_b32_e32 v16, 24, v16
	s_wait_alu 0xf1ff
	v_cndmask_b32_e64 v0, v101, v102, s0
	v_cmp_u_f32_e64 s0, v95, v95
	v_cvt_f32_fp8_e32 v100, v100
	v_or_b32_e32 v108, 0x400000, v15
	v_bfe_u32 v109, v98, 16, 1
	v_add3_u32 v107, v107, v15, 0x7fff
	s_wait_alu 0xf1ff
	v_cndmask_b32_e64 v95, v103, v104, s0
	v_cmp_u_f32_e64 s0, v97, v97
	v_cvt_f32_fp8_e32 v16, v16
	v_mul_f32_e32 v100, s14, v100
	v_or_b32_e32 v110, 0x400000, v98
	v_bfe_u32 v111, v99, 16, 1
	s_wait_alu 0xf1ff
	v_cndmask_b32_e64 v97, v105, v106, s0
	v_cmp_u_f32_e64 s0, v15, v15
	v_add3_u32 v109, v109, v98, 0x7fff
	v_mul_f32_e32 v16, s14, v16
	v_or_b32_e32 v112, 0x400000, v99
	v_bfe_u32 v113, v100, 16, 1
	s_wait_alu 0xf1ff
	v_cndmask_b32_e64 v15, v107, v108, s0
	v_cmp_u_f32_e64 s0, v98, v98
	v_add3_u32 v111, v111, v99, 0x7fff
	v_or_b32_e32 v114, 0x400000, v100
	v_bfe_u32 v115, v16, 16, 1
	v_add3_u32 v113, v113, v100, 0x7fff
	s_wait_alu 0xf1ff
	v_cndmask_b32_e64 v98, v109, v110, s0
	v_cmp_u_f32_e64 s0, v99, v99
	v_or_b32_e32 v116, 0x400000, v16
	v_add3_u32 v115, v115, v16, 0x7fff
	v_lshrrev_b32_e32 v102, 16, v0
	v_lshrrev_b32_e32 v103, 16, v95
	s_wait_alu 0xf1ff
	v_cndmask_b32_e64 v99, v111, v112, s0
	v_cmp_u_f32_e64 s0, v100, v100
	v_lshrrev_b32_e32 v100, 16, v97
	v_lshrrev_b32_e32 v101, 16, v15
	v_lshrrev_b32_e32 v98, 16, v98
	v_lshrrev_b32_e32 v99, 16, v99
	s_wait_alu 0xf1ff
	v_cndmask_b32_e64 v104, v113, v114, s0
	v_cmp_u_f32_e64 s0, v16, v16
	s_delay_alu instid0(VALU_DEP_2) | instskip(SKIP_1) | instid1(VALU_DEP_2)
	v_lshrrev_b32_e32 v95, 16, v104
	s_wait_alu 0xf1ff
	v_cndmask_b32_e64 v16, v115, v116, s0
	s_delay_alu instid0(VALU_DEP_1)
	v_lshrrev_b32_e32 v97, 16, v16
	s_and_saveexec_b32 s15, vcc_lo
	s_cbranch_execz .LBB355_53
; %bb.52:                               ;   in Loop: Header=BB355_38 Depth=1
	v_cmp_gt_i32_e64 s0, s34, v88
	s_wait_alu 0xf1ff
	s_delay_alu instid0(VALU_DEP_1) | instskip(SKIP_2) | instid1(VALU_DEP_1)
	v_cndmask_b32_e64 v102, 0, v102, s0
	v_cmp_gt_i32_e64 s0, s34, v94
	s_wait_alu 0xf1ff
	v_cndmask_b32_e64 v103, 0, v103, s0
	v_cmp_gt_i32_e64 s0, s34, v93
	s_wait_alu 0xf1ff
	s_delay_alu instid0(VALU_DEP_1) | instskip(SKIP_2) | instid1(VALU_DEP_1)
	v_cndmask_b32_e64 v100, 0, v100, s0
	v_cmp_gt_i32_e64 s0, s34, v92
	s_wait_alu 0xf1ff
	v_cndmask_b32_e64 v101, 0, v101, s0
	;; [unrolled: 7-line block ×4, first 2 shown]
.LBB355_53:                             ;   in Loop: Header=BB355_38 Depth=1
	s_wait_alu 0xfffe
	s_or_b32 exec_lo, exec_lo, s15
	global_load_b64 v[15:16], v[13:14], off offset:1792
	s_wait_loadcnt 0x0
	v_bfe_u32 v105, v15, 16, 8
	v_bfe_u32 v104, v15, 8, 8
	;; [unrolled: 1-line block ×4, first 2 shown]
	s_delay_alu instid0(VALU_DEP_4)
	v_cvt_f32_fp8_e32 v105, v105
	v_and_b32_e32 v0, 0xff, v15
	v_cvt_f32_fp8_e32 v104, v104
	v_cvt_f32_fp8_e32 v107, v107
	v_lshrrev_b32_e32 v15, 24, v15
	v_mul_f32_e32 v105, s14, v105
	v_cvt_f32_fp8_e32 v0, v0
	v_mul_f32_e32 v104, s14, v104
	v_cvt_f32_fp8_e32 v108, v108
	v_cvt_f32_fp8_e32 v15, v15
	s_delay_alu instid0(VALU_DEP_4) | instskip(SKIP_2) | instid1(VALU_DEP_4)
	v_dual_mul_f32 v107, s14, v107 :: v_dual_mul_f32 v0, s14, v0
	v_and_b32_e32 v106, 0xff, v16
	v_bfe_u32 v111, v104, 16, 1
	v_mul_f32_e32 v15, s14, v15
	v_or_b32_e32 v112, 0x400000, v104
	v_bfe_u32 v109, v0, 16, 1
	v_or_b32_e32 v110, 0x400000, v0
	v_cmp_u_f32_e64 s0, v0, v0
	v_cvt_f32_fp8_e32 v106, v106
	v_bfe_u32 v113, v105, 16, 1
	v_add3_u32 v109, v109, v0, 0x7fff
	v_add3_u32 v111, v111, v104, 0x7fff
	v_or_b32_e32 v114, 0x400000, v105
	v_mul_f32_e32 v106, s14, v106
	v_bfe_u32 v115, v15, 16, 1
	s_wait_alu 0xf1ff
	v_cndmask_b32_e64 v0, v109, v110, s0
	v_cmp_u_f32_e64 s0, v104, v104
	v_add3_u32 v113, v113, v105, 0x7fff
	v_lshrrev_b32_e32 v16, 24, v16
	v_or_b32_e32 v116, 0x400000, v15
	v_bfe_u32 v117, v106, 16, 1
	s_wait_alu 0xf1ff
	v_cndmask_b32_e64 v104, v111, v112, s0
	v_cmp_u_f32_e64 s0, v105, v105
	v_add3_u32 v115, v115, v15, 0x7fff
	v_cvt_f32_fp8_e32 v16, v16
	v_mul_f32_e32 v108, s14, v108
	v_or_b32_e32 v118, 0x400000, v106
	s_wait_alu 0xf1ff
	v_cndmask_b32_e64 v105, v113, v114, s0
	v_cmp_u_f32_e64 s0, v15, v15
	v_bfe_u32 v119, v107, 16, 1
	v_add3_u32 v117, v117, v106, 0x7fff
	v_mul_f32_e32 v16, s14, v16
	v_or_b32_e32 v120, 0x400000, v107
	s_wait_alu 0xf1ff
	v_cndmask_b32_e64 v15, v115, v116, s0
	v_cmp_u_f32_e64 s0, v106, v106
	v_bfe_u32 v121, v108, 16, 1
	v_add3_u32 v119, v119, v107, 0x7fff
	v_or_b32_e32 v122, 0x400000, v108
	v_bfe_u32 v123, v16, 16, 1
	s_wait_alu 0xf1ff
	v_cndmask_b32_e64 v106, v117, v118, s0
	v_cmp_u_f32_e64 s0, v107, v107
	v_add3_u32 v121, v121, v108, 0x7fff
	v_or_b32_e32 v124, 0x400000, v16
	v_add3_u32 v123, v123, v16, 0x7fff
	v_lshrrev_b32_e32 v110, 16, v0
	s_wait_alu 0xf1ff
	v_cndmask_b32_e64 v107, v119, v120, s0
	v_cmp_u_f32_e64 s0, v108, v108
	v_lshrrev_b32_e32 v111, 16, v104
	v_lshrrev_b32_e32 v108, 16, v105
	;; [unrolled: 1-line block ×4, first 2 shown]
	s_wait_alu 0xf1ff
	v_cndmask_b32_e64 v112, v121, v122, s0
	v_cmp_u_f32_e64 s0, v16, v16
	v_lshrrev_b32_e32 v107, 16, v107
	s_delay_alu instid0(VALU_DEP_3) | instskip(SKIP_1) | instid1(VALU_DEP_3)
	v_lshrrev_b32_e32 v104, 16, v112
	s_wait_alu 0xf1ff
	v_cndmask_b32_e64 v16, v123, v124, s0
	s_delay_alu instid0(VALU_DEP_1)
	v_lshrrev_b32_e32 v105, 16, v16
	s_and_saveexec_b32 s15, vcc_lo
	s_cbranch_execz .LBB355_55
; %bb.54:                               ;   in Loop: Header=BB355_38 Depth=1
	v_cmp_gt_i32_e64 s0, s34, v88
	s_wait_alu 0xf1ff
	s_delay_alu instid0(VALU_DEP_1) | instskip(SKIP_2) | instid1(VALU_DEP_1)
	v_cndmask_b32_e64 v110, 0, v110, s0
	v_cmp_gt_i32_e64 s0, s34, v94
	s_wait_alu 0xf1ff
	v_cndmask_b32_e64 v111, 0, v111, s0
	v_cmp_gt_i32_e64 s0, s34, v93
	s_wait_alu 0xf1ff
	s_delay_alu instid0(VALU_DEP_1) | instskip(SKIP_2) | instid1(VALU_DEP_1)
	v_cndmask_b32_e64 v108, 0, v108, s0
	v_cmp_gt_i32_e64 s0, s34, v92
	s_wait_alu 0xf1ff
	v_cndmask_b32_e64 v109, 0, v109, s0
	;; [unrolled: 7-line block ×4, first 2 shown]
.LBB355_55:                             ;   in Loop: Header=BB355_38 Depth=1
	s_wait_alu 0xfffe
	s_or_b32 exec_lo, exec_lo, s15
	global_load_b64 v[15:16], v[13:14], off offset:2048
	s_wait_loadcnt 0x0
	v_bfe_u32 v113, v15, 16, 8
	v_bfe_u32 v112, v15, 8, 8
	;; [unrolled: 1-line block ×4, first 2 shown]
	s_delay_alu instid0(VALU_DEP_4)
	v_cvt_f32_fp8_e32 v113, v113
	v_and_b32_e32 v0, 0xff, v15
	v_cvt_f32_fp8_e32 v112, v112
	v_cvt_f32_fp8_e32 v115, v115
	v_lshrrev_b32_e32 v15, 24, v15
	v_mul_f32_e32 v113, s14, v113
	v_cvt_f32_fp8_e32 v0, v0
	v_mul_f32_e32 v112, s14, v112
	v_cvt_f32_fp8_e32 v116, v116
	v_cvt_f32_fp8_e32 v15, v15
	s_delay_alu instid0(VALU_DEP_4) | instskip(SKIP_2) | instid1(VALU_DEP_4)
	v_dual_mul_f32 v115, s14, v115 :: v_dual_mul_f32 v0, s14, v0
	v_and_b32_e32 v114, 0xff, v16
	v_bfe_u32 v119, v112, 16, 1
	v_mul_f32_e32 v15, s14, v15
	v_or_b32_e32 v120, 0x400000, v112
	v_bfe_u32 v117, v0, 16, 1
	v_or_b32_e32 v118, 0x400000, v0
	v_cmp_u_f32_e64 s0, v0, v0
	v_cvt_f32_fp8_e32 v114, v114
	v_bfe_u32 v121, v113, 16, 1
	v_add3_u32 v117, v117, v0, 0x7fff
	v_add3_u32 v119, v119, v112, 0x7fff
	v_or_b32_e32 v122, 0x400000, v113
	v_mul_f32_e32 v114, s14, v114
	v_bfe_u32 v123, v15, 16, 1
	s_wait_alu 0xf1ff
	v_cndmask_b32_e64 v0, v117, v118, s0
	v_cmp_u_f32_e64 s0, v112, v112
	v_add3_u32 v121, v121, v113, 0x7fff
	v_lshrrev_b32_e32 v16, 24, v16
	v_or_b32_e32 v124, 0x400000, v15
	v_bfe_u32 v125, v114, 16, 1
	s_wait_alu 0xf1ff
	v_cndmask_b32_e64 v112, v119, v120, s0
	v_cmp_u_f32_e64 s0, v113, v113
	v_add3_u32 v123, v123, v15, 0x7fff
	v_cvt_f32_fp8_e32 v16, v16
	v_mul_f32_e32 v116, s14, v116
	v_or_b32_e32 v126, 0x400000, v114
	s_wait_alu 0xf1ff
	v_cndmask_b32_e64 v113, v121, v122, s0
	v_cmp_u_f32_e64 s0, v15, v15
	v_bfe_u32 v127, v115, 16, 1
	v_add3_u32 v125, v125, v114, 0x7fff
	v_mul_f32_e32 v16, s14, v16
	v_or_b32_e32 v128, 0x400000, v115
	s_wait_alu 0xf1ff
	v_cndmask_b32_e64 v15, v123, v124, s0
	v_cmp_u_f32_e64 s0, v114, v114
	v_bfe_u32 v129, v116, 16, 1
	v_add3_u32 v127, v127, v115, 0x7fff
	v_or_b32_e32 v130, 0x400000, v116
	v_bfe_u32 v131, v16, 16, 1
	s_wait_alu 0xf1ff
	v_cndmask_b32_e64 v114, v125, v126, s0
	v_cmp_u_f32_e64 s0, v115, v115
	v_add3_u32 v129, v129, v116, 0x7fff
	v_or_b32_e32 v132, 0x400000, v16
	v_add3_u32 v131, v131, v16, 0x7fff
	v_lshrrev_b32_e32 v118, 16, v0
	s_wait_alu 0xf1ff
	v_cndmask_b32_e64 v115, v127, v128, s0
	v_cmp_u_f32_e64 s0, v116, v116
	v_lshrrev_b32_e32 v119, 16, v112
	v_lshrrev_b32_e32 v116, 16, v113
	;; [unrolled: 1-line block ×4, first 2 shown]
	s_wait_alu 0xf1ff
	v_cndmask_b32_e64 v120, v129, v130, s0
	v_cmp_u_f32_e64 s0, v16, v16
	v_lshrrev_b32_e32 v115, 16, v115
	s_delay_alu instid0(VALU_DEP_3) | instskip(SKIP_1) | instid1(VALU_DEP_3)
	v_lshrrev_b32_e32 v112, 16, v120
	s_wait_alu 0xf1ff
	v_cndmask_b32_e64 v16, v131, v132, s0
	s_delay_alu instid0(VALU_DEP_1)
	v_lshrrev_b32_e32 v113, 16, v16
	s_and_saveexec_b32 s15, vcc_lo
	s_cbranch_execz .LBB355_57
; %bb.56:                               ;   in Loop: Header=BB355_38 Depth=1
	v_cmp_gt_i32_e64 s0, s34, v88
	s_wait_alu 0xf1ff
	s_delay_alu instid0(VALU_DEP_1) | instskip(SKIP_2) | instid1(VALU_DEP_1)
	v_cndmask_b32_e64 v118, 0, v118, s0
	v_cmp_gt_i32_e64 s0, s34, v94
	s_wait_alu 0xf1ff
	v_cndmask_b32_e64 v119, 0, v119, s0
	v_cmp_gt_i32_e64 s0, s34, v93
	s_wait_alu 0xf1ff
	s_delay_alu instid0(VALU_DEP_1) | instskip(SKIP_2) | instid1(VALU_DEP_1)
	v_cndmask_b32_e64 v116, 0, v116, s0
	v_cmp_gt_i32_e64 s0, s34, v92
	s_wait_alu 0xf1ff
	v_cndmask_b32_e64 v117, 0, v117, s0
	;; [unrolled: 7-line block ×4, first 2 shown]
.LBB355_57:                             ;   in Loop: Header=BB355_38 Depth=1
	s_wait_alu 0xfffe
	s_or_b32 exec_lo, exec_lo, s15
	global_load_b64 v[15:16], v[13:14], off offset:2304
	s_wait_loadcnt 0x0
	v_bfe_u32 v121, v15, 16, 8
	v_bfe_u32 v120, v15, 8, 8
	;; [unrolled: 1-line block ×4, first 2 shown]
	s_delay_alu instid0(VALU_DEP_4)
	v_cvt_f32_fp8_e32 v121, v121
	v_and_b32_e32 v0, 0xff, v15
	v_cvt_f32_fp8_e32 v120, v120
	v_cvt_f32_fp8_e32 v123, v123
	v_lshrrev_b32_e32 v15, 24, v15
	v_mul_f32_e32 v121, s14, v121
	v_cvt_f32_fp8_e32 v0, v0
	v_mul_f32_e32 v120, s14, v120
	v_cvt_f32_fp8_e32 v124, v124
	v_cvt_f32_fp8_e32 v15, v15
	s_delay_alu instid0(VALU_DEP_4) | instskip(SKIP_2) | instid1(VALU_DEP_4)
	v_dual_mul_f32 v123, s14, v123 :: v_dual_mul_f32 v0, s14, v0
	v_and_b32_e32 v122, 0xff, v16
	v_bfe_u32 v127, v120, 16, 1
	v_mul_f32_e32 v15, s14, v15
	v_or_b32_e32 v128, 0x400000, v120
	v_bfe_u32 v125, v0, 16, 1
	v_or_b32_e32 v126, 0x400000, v0
	v_cmp_u_f32_e64 s0, v0, v0
	v_cvt_f32_fp8_e32 v122, v122
	v_bfe_u32 v129, v121, 16, 1
	v_add3_u32 v125, v125, v0, 0x7fff
	v_add3_u32 v127, v127, v120, 0x7fff
	v_or_b32_e32 v130, 0x400000, v121
	v_mul_f32_e32 v122, s14, v122
	v_bfe_u32 v131, v15, 16, 1
	s_wait_alu 0xf1ff
	v_cndmask_b32_e64 v0, v125, v126, s0
	v_cmp_u_f32_e64 s0, v120, v120
	v_add3_u32 v129, v129, v121, 0x7fff
	v_lshrrev_b32_e32 v16, 24, v16
	v_or_b32_e32 v132, 0x400000, v15
	v_bfe_u32 v133, v122, 16, 1
	s_wait_alu 0xf1ff
	v_cndmask_b32_e64 v120, v127, v128, s0
	v_cmp_u_f32_e64 s0, v121, v121
	v_add3_u32 v131, v131, v15, 0x7fff
	v_cvt_f32_fp8_e32 v16, v16
	v_mul_f32_e32 v124, s14, v124
	v_or_b32_e32 v134, 0x400000, v122
	s_wait_alu 0xf1ff
	v_cndmask_b32_e64 v121, v129, v130, s0
	v_cmp_u_f32_e64 s0, v15, v15
	v_bfe_u32 v135, v123, 16, 1
	v_add3_u32 v133, v133, v122, 0x7fff
	v_mul_f32_e32 v16, s14, v16
	v_or_b32_e32 v136, 0x400000, v123
	s_wait_alu 0xf1ff
	v_cndmask_b32_e64 v15, v131, v132, s0
	v_cmp_u_f32_e64 s0, v122, v122
	v_bfe_u32 v137, v124, 16, 1
	v_add3_u32 v135, v135, v123, 0x7fff
	v_or_b32_e32 v138, 0x400000, v124
	v_bfe_u32 v139, v16, 16, 1
	s_wait_alu 0xf1ff
	v_cndmask_b32_e64 v122, v133, v134, s0
	v_cmp_u_f32_e64 s0, v123, v123
	v_add3_u32 v137, v137, v124, 0x7fff
	v_or_b32_e32 v140, 0x400000, v16
	v_add3_u32 v139, v139, v16, 0x7fff
	v_lshrrev_b32_e32 v132, 16, v0
	s_wait_alu 0xf1ff
	v_cndmask_b32_e64 v123, v135, v136, s0
	v_cmp_u_f32_e64 s0, v124, v124
	v_lshrrev_b32_e32 v133, 16, v120
	v_lshrrev_b32_e32 v130, 16, v121
	;; [unrolled: 1-line block ×4, first 2 shown]
	s_wait_alu 0xf1ff
	v_cndmask_b32_e64 v124, v137, v138, s0
	v_cmp_u_f32_e64 s0, v16, v16
	v_lshrrev_b32_e32 v129, 16, v123
	s_delay_alu instid0(VALU_DEP_3) | instskip(SKIP_1) | instid1(VALU_DEP_3)
	v_lshrrev_b32_e32 v125, 16, v124
	s_wait_alu 0xf1ff
	v_cndmask_b32_e64 v16, v139, v140, s0
	s_delay_alu instid0(VALU_DEP_1)
	v_lshrrev_b32_e32 v127, 16, v16
	s_and_saveexec_b32 s15, vcc_lo
	s_cbranch_execz .LBB355_59
; %bb.58:                               ;   in Loop: Header=BB355_38 Depth=1
	v_cmp_gt_i32_e64 s0, s34, v88
	s_wait_alu 0xf1ff
	s_delay_alu instid0(VALU_DEP_1) | instskip(SKIP_2) | instid1(VALU_DEP_1)
	v_cndmask_b32_e64 v132, 0, v132, s0
	v_cmp_gt_i32_e64 s0, s34, v94
	s_wait_alu 0xf1ff
	v_cndmask_b32_e64 v133, 0, v133, s0
	v_cmp_gt_i32_e64 s0, s34, v93
	s_wait_alu 0xf1ff
	s_delay_alu instid0(VALU_DEP_1) | instskip(SKIP_2) | instid1(VALU_DEP_1)
	v_cndmask_b32_e64 v130, 0, v130, s0
	v_cmp_gt_i32_e64 s0, s34, v92
	s_wait_alu 0xf1ff
	v_cndmask_b32_e64 v131, 0, v131, s0
	;; [unrolled: 7-line block ×4, first 2 shown]
.LBB355_59:                             ;   in Loop: Header=BB355_38 Depth=1
	s_wait_alu 0xfffe
	s_or_b32 exec_lo, exec_lo, s15
	global_load_b64 v[15:16], v[13:14], off offset:2560
	s_wait_loadcnt 0x0
	v_bfe_u32 v121, v15, 16, 8
	v_bfe_u32 v120, v15, 8, 8
	;; [unrolled: 1-line block ×4, first 2 shown]
	s_delay_alu instid0(VALU_DEP_4)
	v_cvt_f32_fp8_e32 v121, v121
	v_and_b32_e32 v0, 0xff, v15
	v_cvt_f32_fp8_e32 v120, v120
	v_cvt_f32_fp8_e32 v123, v123
	v_lshrrev_b32_e32 v15, 24, v15
	v_mul_f32_e32 v121, s14, v121
	v_cvt_f32_fp8_e32 v0, v0
	v_mul_f32_e32 v120, s14, v120
	v_cvt_f32_fp8_e32 v124, v124
	v_cvt_f32_fp8_e32 v15, v15
	s_delay_alu instid0(VALU_DEP_4) | instskip(SKIP_2) | instid1(VALU_DEP_4)
	v_dual_mul_f32 v123, s14, v123 :: v_dual_mul_f32 v0, s14, v0
	v_and_b32_e32 v122, 0xff, v16
	v_bfe_u32 v135, v120, 16, 1
	v_mul_f32_e32 v15, s14, v15
	v_or_b32_e32 v136, 0x400000, v120
	v_bfe_u32 v126, v0, 16, 1
	v_or_b32_e32 v134, 0x400000, v0
	v_cmp_u_f32_e64 s0, v0, v0
	v_cvt_f32_fp8_e32 v122, v122
	v_bfe_u32 v137, v121, 16, 1
	v_add3_u32 v126, v126, v0, 0x7fff
	v_add3_u32 v135, v135, v120, 0x7fff
	v_or_b32_e32 v138, 0x400000, v121
	v_mul_f32_e32 v122, s14, v122
	v_bfe_u32 v139, v15, 16, 1
	s_wait_alu 0xf1ff
	v_cndmask_b32_e64 v0, v126, v134, s0
	v_cmp_u_f32_e64 s0, v120, v120
	v_add3_u32 v137, v137, v121, 0x7fff
	v_lshrrev_b32_e32 v16, 24, v16
	v_or_b32_e32 v140, 0x400000, v15
	v_bfe_u32 v141, v122, 16, 1
	s_wait_alu 0xf1ff
	v_cndmask_b32_e64 v120, v135, v136, s0
	v_cmp_u_f32_e64 s0, v121, v121
	v_add3_u32 v139, v139, v15, 0x7fff
	v_cvt_f32_fp8_e32 v16, v16
	v_mul_f32_e32 v124, s14, v124
	v_or_b32_e32 v142, 0x400000, v122
	s_wait_alu 0xf1ff
	v_cndmask_b32_e64 v121, v137, v138, s0
	v_cmp_u_f32_e64 s0, v15, v15
	v_bfe_u32 v143, v123, 16, 1
	v_add3_u32 v141, v141, v122, 0x7fff
	v_mul_f32_e32 v16, s14, v16
	v_or_b32_e32 v144, 0x400000, v123
	s_wait_alu 0xf1ff
	v_cndmask_b32_e64 v15, v139, v140, s0
	v_cmp_u_f32_e64 s0, v122, v122
	v_bfe_u32 v145, v124, 16, 1
	v_add3_u32 v143, v143, v123, 0x7fff
	v_or_b32_e32 v146, 0x400000, v124
	v_bfe_u32 v147, v16, 16, 1
	s_wait_alu 0xf1ff
	v_cndmask_b32_e64 v122, v141, v142, s0
	v_cmp_u_f32_e64 s0, v123, v123
	v_add3_u32 v145, v145, v124, 0x7fff
	v_or_b32_e32 v148, 0x400000, v16
	v_add3_u32 v147, v147, v16, 0x7fff
	v_lshrrev_b32_e32 v137, 16, v0
	s_wait_alu 0xf1ff
	v_cndmask_b32_e64 v123, v143, v144, s0
	v_cmp_u_f32_e64 s0, v124, v124
	v_lshrrev_b32_e32 v138, 16, v120
	v_lshrrev_b32_e32 v135, 16, v121
	;; [unrolled: 1-line block ×4, first 2 shown]
	s_wait_alu 0xf1ff
	v_cndmask_b32_e64 v124, v145, v146, s0
	v_cmp_u_f32_e64 s0, v16, v16
	v_lshrrev_b32_e32 v16, 16, v122
	s_delay_alu instid0(VALU_DEP_3) | instskip(SKIP_1) | instid1(VALU_DEP_3)
	v_lshrrev_b32_e32 v0, 16, v124
	s_wait_alu 0xf1ff
	v_cndmask_b32_e64 v126, v147, v148, s0
	s_delay_alu instid0(VALU_DEP_1)
	v_lshrrev_b32_e32 v15, 16, v126
	s_and_saveexec_b32 s15, vcc_lo
	s_cbranch_execz .LBB355_61
; %bb.60:                               ;   in Loop: Header=BB355_38 Depth=1
	v_cmp_gt_i32_e64 s0, s34, v88
	s_wait_alu 0xf1ff
	s_delay_alu instid0(VALU_DEP_1) | instskip(SKIP_2) | instid1(VALU_DEP_1)
	v_cndmask_b32_e64 v137, 0, v137, s0
	v_cmp_gt_i32_e64 s0, s34, v94
	s_wait_alu 0xf1ff
	v_cndmask_b32_e64 v138, 0, v138, s0
	v_cmp_gt_i32_e64 s0, s34, v93
	s_wait_alu 0xf1ff
	s_delay_alu instid0(VALU_DEP_1) | instskip(SKIP_2) | instid1(VALU_DEP_1)
	v_cndmask_b32_e64 v135, 0, v135, s0
	v_cmp_gt_i32_e64 s0, s34, v92
	s_wait_alu 0xf1ff
	v_cndmask_b32_e64 v136, 0, v136, s0
	;; [unrolled: 7-line block ×4, first 2 shown]
.LBB355_61:                             ;   in Loop: Header=BB355_38 Depth=1
	s_wait_alu 0xfffe
	s_or_b32 exec_lo, exec_lo, s15
	global_load_b64 v[120:121], v[13:14], off offset:2816
	s_wait_loadcnt 0x0
	v_bfe_u32 v123, v120, 8, 8
	v_bfe_u32 v139, v121, 8, 8
	;; [unrolled: 1-line block ×4, first 2 shown]
	s_delay_alu instid0(VALU_DEP_4)
	v_cvt_f32_fp8_e32 v123, v123
	v_and_b32_e32 v122, 0xff, v120
	v_cvt_f32_fp8_e32 v139, v139
	v_and_b32_e32 v126, 0xff, v121
	v_lshrrev_b32_e32 v121, 24, v121
	v_mul_f32_e32 v123, s14, v123
	v_cvt_f32_fp8_e32 v122, v122
	v_lshrrev_b32_e32 v120, 24, v120
	v_cvt_f32_fp8_e32 v124, v124
	v_cvt_f32_fp8_e32 v121, v121
	v_bfe_u32 v143, v123, 16, 1
	v_mul_f32_e32 v122, s14, v122
	v_cvt_f32_fp8_e32 v120, v120
	s_delay_alu instid0(VALU_DEP_4) | instskip(SKIP_1) | instid1(VALU_DEP_4)
	v_dual_mul_f32 v124, s14, v124 :: v_dual_mul_f32 v121, s14, v121
	v_mul_f32_e32 v139, s14, v139
	v_bfe_u32 v141, v122, 16, 1
	v_or_b32_e32 v142, 0x400000, v122
	v_cmp_u_f32_e64 s0, v122, v122
	v_cvt_f32_fp8_e32 v126, v126
	v_mul_f32_e32 v120, s14, v120
	v_add3_u32 v141, v141, v122, 0x7fff
	v_or_b32_e32 v144, 0x400000, v123
	v_bfe_u32 v145, v124, 16, 1
	v_add3_u32 v143, v143, v123, 0x7fff
	v_mul_f32_e32 v126, s14, v126
	s_wait_alu 0xf1ff
	v_cndmask_b32_e64 v122, v141, v142, s0
	v_cmp_u_f32_e64 s0, v123, v123
	v_or_b32_e32 v146, 0x400000, v124
	v_bfe_u32 v147, v120, 16, 1
	v_add3_u32 v145, v145, v124, 0x7fff
	v_cvt_f32_fp8_e32 v140, v140
	s_wait_alu 0xf1ff
	v_cndmask_b32_e64 v123, v143, v144, s0
	v_cmp_u_f32_e64 s0, v124, v124
	v_or_b32_e32 v148, 0x400000, v120
	v_bfe_u32 v149, v126, 16, 1
	v_add3_u32 v147, v147, v120, 0x7fff
	v_mul_f32_e32 v140, s14, v140
	s_wait_alu 0xf1ff
	v_cndmask_b32_e64 v124, v145, v146, s0
	v_cmp_u_f32_e64 s0, v120, v120
	v_or_b32_e32 v150, 0x400000, v126
	v_bfe_u32 v151, v139, 16, 1
	v_add3_u32 v149, v149, v126, 0x7fff
	v_or_b32_e32 v152, 0x400000, v139
	s_wait_alu 0xf1ff
	v_cndmask_b32_e64 v120, v147, v148, s0
	v_cmp_u_f32_e64 s0, v126, v126
	v_bfe_u32 v153, v140, 16, 1
	v_add3_u32 v151, v151, v139, 0x7fff
	v_or_b32_e32 v154, 0x400000, v140
	v_bfe_u32 v155, v121, 16, 1
	s_wait_alu 0xf1ff
	v_cndmask_b32_e64 v126, v149, v150, s0
	v_cmp_u_f32_e64 s0, v139, v139
	v_add3_u32 v153, v153, v140, 0x7fff
	v_or_b32_e32 v156, 0x400000, v121
	v_add3_u32 v155, v155, v121, 0x7fff
	v_lshrrev_b32_e32 v145, 16, v122
	s_wait_alu 0xf1ff
	v_cndmask_b32_e64 v139, v151, v152, s0
	v_cmp_u_f32_e64 s0, v140, v140
	v_lshrrev_b32_e32 v146, 16, v123
	v_lshrrev_b32_e32 v143, 16, v124
	;; [unrolled: 1-line block ×4, first 2 shown]
	s_wait_alu 0xf1ff
	v_cndmask_b32_e64 v140, v153, v154, s0
	v_cmp_u_f32_e64 s0, v121, v121
	v_lshrrev_b32_e32 v142, 16, v139
	s_delay_alu instid0(VALU_DEP_3) | instskip(SKIP_1) | instid1(VALU_DEP_3)
	v_lshrrev_b32_e32 v139, 16, v140
	s_wait_alu 0xf1ff
	v_cndmask_b32_e64 v121, v155, v156, s0
	s_delay_alu instid0(VALU_DEP_1)
	v_lshrrev_b32_e32 v140, 16, v121
	s_and_saveexec_b32 s15, vcc_lo
	s_cbranch_execz .LBB355_63
; %bb.62:                               ;   in Loop: Header=BB355_38 Depth=1
	v_cmp_gt_i32_e64 s0, s34, v88
	s_wait_alu 0xf1ff
	s_delay_alu instid0(VALU_DEP_1) | instskip(SKIP_2) | instid1(VALU_DEP_1)
	v_cndmask_b32_e64 v145, 0, v145, s0
	v_cmp_gt_i32_e64 s0, s34, v94
	s_wait_alu 0xf1ff
	v_cndmask_b32_e64 v146, 0, v146, s0
	v_cmp_gt_i32_e64 s0, s34, v93
	s_wait_alu 0xf1ff
	s_delay_alu instid0(VALU_DEP_1) | instskip(SKIP_2) | instid1(VALU_DEP_1)
	v_cndmask_b32_e64 v143, 0, v143, s0
	v_cmp_gt_i32_e64 s0, s34, v92
	s_wait_alu 0xf1ff
	v_cndmask_b32_e64 v144, 0, v144, s0
	;; [unrolled: 7-line block ×4, first 2 shown]
.LBB355_63:                             ;   in Loop: Header=BB355_38 Depth=1
	s_wait_alu 0xfffe
	s_or_b32 exec_lo, exec_lo, s15
	global_load_b64 v[120:121], v[13:14], off offset:3072
	s_wait_loadcnt 0x0
	v_bfe_u32 v123, v120, 8, 8
	v_bfe_u32 v147, v121, 8, 8
	v_bfe_u32 v148, v121, 16, 8
	v_bfe_u32 v124, v120, 16, 8
	s_delay_alu instid0(VALU_DEP_4)
	v_cvt_f32_fp8_e32 v123, v123
	v_and_b32_e32 v122, 0xff, v120
	v_cvt_f32_fp8_e32 v147, v147
	v_and_b32_e32 v126, 0xff, v121
	v_lshrrev_b32_e32 v121, 24, v121
	v_mul_f32_e32 v123, s14, v123
	v_cvt_f32_fp8_e32 v122, v122
	v_lshrrev_b32_e32 v120, 24, v120
	v_cvt_f32_fp8_e32 v124, v124
	v_cvt_f32_fp8_e32 v121, v121
	v_bfe_u32 v151, v123, 16, 1
	v_mul_f32_e32 v122, s14, v122
	v_cvt_f32_fp8_e32 v120, v120
	s_delay_alu instid0(VALU_DEP_4) | instskip(SKIP_1) | instid1(VALU_DEP_4)
	v_dual_mul_f32 v124, s14, v124 :: v_dual_mul_f32 v121, s14, v121
	v_mul_f32_e32 v147, s14, v147
	v_bfe_u32 v149, v122, 16, 1
	v_or_b32_e32 v150, 0x400000, v122
	v_cmp_u_f32_e64 s0, v122, v122
	v_cvt_f32_fp8_e32 v126, v126
	v_mul_f32_e32 v120, s14, v120
	v_add3_u32 v149, v149, v122, 0x7fff
	v_or_b32_e32 v152, 0x400000, v123
	v_bfe_u32 v153, v124, 16, 1
	v_add3_u32 v151, v151, v123, 0x7fff
	v_mul_f32_e32 v126, s14, v126
	s_wait_alu 0xf1ff
	v_cndmask_b32_e64 v122, v149, v150, s0
	v_cmp_u_f32_e64 s0, v123, v123
	v_or_b32_e32 v154, 0x400000, v124
	v_bfe_u32 v155, v120, 16, 1
	v_add3_u32 v153, v153, v124, 0x7fff
	v_cvt_f32_fp8_e32 v148, v148
	s_wait_alu 0xf1ff
	v_cndmask_b32_e64 v123, v151, v152, s0
	v_cmp_u_f32_e64 s0, v124, v124
	v_or_b32_e32 v156, 0x400000, v120
	v_bfe_u32 v157, v126, 16, 1
	v_add3_u32 v155, v155, v120, 0x7fff
	v_mul_f32_e32 v148, s14, v148
	s_wait_alu 0xf1ff
	v_cndmask_b32_e64 v124, v153, v154, s0
	v_cmp_u_f32_e64 s0, v120, v120
	v_or_b32_e32 v158, 0x400000, v126
	v_bfe_u32 v159, v147, 16, 1
	v_add3_u32 v157, v157, v126, 0x7fff
	v_or_b32_e32 v160, 0x400000, v147
	s_wait_alu 0xf1ff
	v_cndmask_b32_e64 v120, v155, v156, s0
	v_cmp_u_f32_e64 s0, v126, v126
	v_bfe_u32 v161, v148, 16, 1
	v_add3_u32 v159, v159, v147, 0x7fff
	v_or_b32_e32 v162, 0x400000, v148
	v_bfe_u32 v163, v121, 16, 1
	s_wait_alu 0xf1ff
	v_cndmask_b32_e64 v126, v157, v158, s0
	v_cmp_u_f32_e64 s0, v147, v147
	v_add3_u32 v161, v161, v148, 0x7fff
	v_or_b32_e32 v164, 0x400000, v121
	v_add3_u32 v163, v163, v121, 0x7fff
	v_lshrrev_b32_e32 v153, 16, v122
	s_wait_alu 0xf1ff
	v_cndmask_b32_e64 v147, v159, v160, s0
	v_cmp_u_f32_e64 s0, v148, v148
	v_lshrrev_b32_e32 v154, 16, v123
	v_lshrrev_b32_e32 v151, 16, v124
	;; [unrolled: 1-line block ×4, first 2 shown]
	s_wait_alu 0xf1ff
	v_cndmask_b32_e64 v148, v161, v162, s0
	v_cmp_u_f32_e64 s0, v121, v121
	v_lshrrev_b32_e32 v150, 16, v147
	s_delay_alu instid0(VALU_DEP_3) | instskip(SKIP_1) | instid1(VALU_DEP_3)
	v_lshrrev_b32_e32 v147, 16, v148
	s_wait_alu 0xf1ff
	v_cndmask_b32_e64 v121, v163, v164, s0
	s_delay_alu instid0(VALU_DEP_1)
	v_lshrrev_b32_e32 v148, 16, v121
	s_and_saveexec_b32 s15, vcc_lo
	s_cbranch_execz .LBB355_65
; %bb.64:                               ;   in Loop: Header=BB355_38 Depth=1
	v_cmp_gt_i32_e64 s0, s34, v88
	s_wait_alu 0xf1ff
	s_delay_alu instid0(VALU_DEP_1) | instskip(SKIP_2) | instid1(VALU_DEP_1)
	v_cndmask_b32_e64 v153, 0, v153, s0
	v_cmp_gt_i32_e64 s0, s34, v94
	s_wait_alu 0xf1ff
	v_cndmask_b32_e64 v154, 0, v154, s0
	v_cmp_gt_i32_e64 s0, s34, v93
	s_wait_alu 0xf1ff
	s_delay_alu instid0(VALU_DEP_1) | instskip(SKIP_2) | instid1(VALU_DEP_1)
	v_cndmask_b32_e64 v151, 0, v151, s0
	v_cmp_gt_i32_e64 s0, s34, v92
	s_wait_alu 0xf1ff
	v_cndmask_b32_e64 v152, 0, v152, s0
	;; [unrolled: 7-line block ×4, first 2 shown]
.LBB355_65:                             ;   in Loop: Header=BB355_38 Depth=1
	s_wait_alu 0xfffe
	s_or_b32 exec_lo, exec_lo, s15
	global_load_b64 v[120:121], v[13:14], off offset:3328
	s_wait_loadcnt 0x0
	v_bfe_u32 v123, v120, 8, 8
	v_bfe_u32 v155, v121, 8, 8
	;; [unrolled: 1-line block ×4, first 2 shown]
	s_delay_alu instid0(VALU_DEP_4)
	v_cvt_f32_fp8_e32 v123, v123
	v_and_b32_e32 v122, 0xff, v120
	v_cvt_f32_fp8_e32 v155, v155
	v_and_b32_e32 v126, 0xff, v121
	v_lshrrev_b32_e32 v121, 24, v121
	v_mul_f32_e32 v123, s14, v123
	v_cvt_f32_fp8_e32 v122, v122
	v_lshrrev_b32_e32 v120, 24, v120
	v_cvt_f32_fp8_e32 v124, v124
	v_cvt_f32_fp8_e32 v121, v121
	v_bfe_u32 v159, v123, 16, 1
	v_mul_f32_e32 v122, s14, v122
	v_cvt_f32_fp8_e32 v120, v120
	s_delay_alu instid0(VALU_DEP_4) | instskip(SKIP_1) | instid1(VALU_DEP_4)
	v_dual_mul_f32 v124, s14, v124 :: v_dual_mul_f32 v121, s14, v121
	v_mul_f32_e32 v155, s14, v155
	v_bfe_u32 v157, v122, 16, 1
	v_or_b32_e32 v158, 0x400000, v122
	v_cmp_u_f32_e64 s0, v122, v122
	v_cvt_f32_fp8_e32 v126, v126
	v_mul_f32_e32 v120, s14, v120
	v_add3_u32 v157, v157, v122, 0x7fff
	v_or_b32_e32 v160, 0x400000, v123
	v_bfe_u32 v161, v124, 16, 1
	v_add3_u32 v159, v159, v123, 0x7fff
	v_mul_f32_e32 v126, s14, v126
	s_wait_alu 0xf1ff
	v_cndmask_b32_e64 v122, v157, v158, s0
	v_cmp_u_f32_e64 s0, v123, v123
	v_or_b32_e32 v162, 0x400000, v124
	v_bfe_u32 v163, v120, 16, 1
	v_add3_u32 v161, v161, v124, 0x7fff
	v_cvt_f32_fp8_e32 v156, v156
	s_wait_alu 0xf1ff
	v_cndmask_b32_e64 v123, v159, v160, s0
	v_cmp_u_f32_e64 s0, v124, v124
	v_or_b32_e32 v164, 0x400000, v120
	v_bfe_u32 v165, v126, 16, 1
	v_add3_u32 v163, v163, v120, 0x7fff
	v_mul_f32_e32 v156, s14, v156
	s_wait_alu 0xf1ff
	v_cndmask_b32_e64 v124, v161, v162, s0
	v_cmp_u_f32_e64 s0, v120, v120
	v_or_b32_e32 v166, 0x400000, v126
	v_bfe_u32 v167, v155, 16, 1
	v_add3_u32 v165, v165, v126, 0x7fff
	v_or_b32_e32 v168, 0x400000, v155
	s_wait_alu 0xf1ff
	v_cndmask_b32_e64 v120, v163, v164, s0
	v_cmp_u_f32_e64 s0, v126, v126
	v_bfe_u32 v169, v156, 16, 1
	v_add3_u32 v167, v167, v155, 0x7fff
	v_or_b32_e32 v170, 0x400000, v156
	v_bfe_u32 v171, v121, 16, 1
	s_wait_alu 0xf1ff
	v_cndmask_b32_e64 v126, v165, v166, s0
	v_cmp_u_f32_e64 s0, v155, v155
	v_add3_u32 v169, v169, v156, 0x7fff
	v_or_b32_e32 v172, 0x400000, v121
	v_add3_u32 v171, v171, v121, 0x7fff
	v_lshrrev_b32_e32 v161, 16, v122
	s_wait_alu 0xf1ff
	v_cndmask_b32_e64 v155, v167, v168, s0
	v_cmp_u_f32_e64 s0, v156, v156
	v_lshrrev_b32_e32 v162, 16, v123
	v_lshrrev_b32_e32 v159, 16, v124
	;; [unrolled: 1-line block ×4, first 2 shown]
	s_wait_alu 0xf1ff
	v_cndmask_b32_e64 v156, v169, v170, s0
	v_cmp_u_f32_e64 s0, v121, v121
	v_lshrrev_b32_e32 v158, 16, v155
	s_delay_alu instid0(VALU_DEP_3) | instskip(SKIP_1) | instid1(VALU_DEP_3)
	v_lshrrev_b32_e32 v155, 16, v156
	s_wait_alu 0xf1ff
	v_cndmask_b32_e64 v121, v171, v172, s0
	s_delay_alu instid0(VALU_DEP_1)
	v_lshrrev_b32_e32 v156, 16, v121
	s_and_saveexec_b32 s15, vcc_lo
	s_cbranch_execz .LBB355_67
; %bb.66:                               ;   in Loop: Header=BB355_38 Depth=1
	v_cmp_gt_i32_e64 s0, s34, v88
	s_wait_alu 0xf1ff
	s_delay_alu instid0(VALU_DEP_1) | instskip(SKIP_2) | instid1(VALU_DEP_1)
	v_cndmask_b32_e64 v161, 0, v161, s0
	v_cmp_gt_i32_e64 s0, s34, v94
	s_wait_alu 0xf1ff
	v_cndmask_b32_e64 v162, 0, v162, s0
	v_cmp_gt_i32_e64 s0, s34, v93
	s_wait_alu 0xf1ff
	s_delay_alu instid0(VALU_DEP_1) | instskip(SKIP_2) | instid1(VALU_DEP_1)
	v_cndmask_b32_e64 v159, 0, v159, s0
	v_cmp_gt_i32_e64 s0, s34, v92
	s_wait_alu 0xf1ff
	v_cndmask_b32_e64 v160, 0, v160, s0
	;; [unrolled: 7-line block ×4, first 2 shown]
.LBB355_67:                             ;   in Loop: Header=BB355_38 Depth=1
	s_wait_alu 0xfffe
	s_or_b32 exec_lo, exec_lo, s15
	global_load_b64 v[120:121], v[13:14], off offset:3584
	s_wait_loadcnt 0x0
	v_bfe_u32 v123, v120, 8, 8
	v_bfe_u32 v163, v121, 8, 8
	;; [unrolled: 1-line block ×4, first 2 shown]
	s_delay_alu instid0(VALU_DEP_4)
	v_cvt_f32_fp8_e32 v123, v123
	v_and_b32_e32 v122, 0xff, v120
	v_cvt_f32_fp8_e32 v163, v163
	v_and_b32_e32 v126, 0xff, v121
	v_lshrrev_b32_e32 v121, 24, v121
	v_mul_f32_e32 v123, s14, v123
	v_cvt_f32_fp8_e32 v122, v122
	v_lshrrev_b32_e32 v120, 24, v120
	v_cvt_f32_fp8_e32 v124, v124
	v_cvt_f32_fp8_e32 v121, v121
	v_bfe_u32 v167, v123, 16, 1
	v_mul_f32_e32 v122, s14, v122
	v_cvt_f32_fp8_e32 v120, v120
	s_delay_alu instid0(VALU_DEP_4) | instskip(SKIP_1) | instid1(VALU_DEP_4)
	v_dual_mul_f32 v124, s14, v124 :: v_dual_mul_f32 v121, s14, v121
	v_mul_f32_e32 v163, s14, v163
	v_bfe_u32 v165, v122, 16, 1
	v_or_b32_e32 v166, 0x400000, v122
	v_cmp_u_f32_e64 s0, v122, v122
	v_cvt_f32_fp8_e32 v126, v126
	v_mul_f32_e32 v120, s14, v120
	v_add3_u32 v165, v165, v122, 0x7fff
	v_or_b32_e32 v168, 0x400000, v123
	v_bfe_u32 v169, v124, 16, 1
	v_add3_u32 v167, v167, v123, 0x7fff
	v_mul_f32_e32 v126, s14, v126
	s_wait_alu 0xf1ff
	v_cndmask_b32_e64 v122, v165, v166, s0
	v_cmp_u_f32_e64 s0, v123, v123
	v_or_b32_e32 v170, 0x400000, v124
	v_bfe_u32 v171, v120, 16, 1
	v_add3_u32 v169, v169, v124, 0x7fff
	v_cvt_f32_fp8_e32 v164, v164
	s_wait_alu 0xf1ff
	v_cndmask_b32_e64 v123, v167, v168, s0
	v_cmp_u_f32_e64 s0, v124, v124
	v_or_b32_e32 v172, 0x400000, v120
	v_bfe_u32 v173, v126, 16, 1
	v_add3_u32 v171, v171, v120, 0x7fff
	v_mul_f32_e32 v164, s14, v164
	s_wait_alu 0xf1ff
	v_cndmask_b32_e64 v124, v169, v170, s0
	v_cmp_u_f32_e64 s0, v120, v120
	v_or_b32_e32 v174, 0x400000, v126
	v_bfe_u32 v175, v163, 16, 1
	v_add3_u32 v173, v173, v126, 0x7fff
	v_or_b32_e32 v176, 0x400000, v163
	s_wait_alu 0xf1ff
	v_cndmask_b32_e64 v120, v171, v172, s0
	v_cmp_u_f32_e64 s0, v126, v126
	v_bfe_u32 v177, v164, 16, 1
	v_add3_u32 v175, v175, v163, 0x7fff
	v_or_b32_e32 v178, 0x400000, v164
	v_bfe_u32 v179, v121, 16, 1
	s_wait_alu 0xf1ff
	v_cndmask_b32_e64 v126, v173, v174, s0
	v_cmp_u_f32_e64 s0, v163, v163
	v_add3_u32 v177, v177, v164, 0x7fff
	v_or_b32_e32 v180, 0x400000, v121
	v_add3_u32 v179, v179, v121, 0x7fff
	v_lshrrev_b32_e32 v169, 16, v122
	s_wait_alu 0xf1ff
	v_cndmask_b32_e64 v163, v175, v176, s0
	v_cmp_u_f32_e64 s0, v164, v164
	v_lshrrev_b32_e32 v170, 16, v123
	v_lshrrev_b32_e32 v167, 16, v124
	;; [unrolled: 1-line block ×4, first 2 shown]
	s_wait_alu 0xf1ff
	v_cndmask_b32_e64 v164, v177, v178, s0
	v_cmp_u_f32_e64 s0, v121, v121
	v_lshrrev_b32_e32 v166, 16, v163
	s_delay_alu instid0(VALU_DEP_3) | instskip(SKIP_1) | instid1(VALU_DEP_3)
	v_lshrrev_b32_e32 v163, 16, v164
	s_wait_alu 0xf1ff
	v_cndmask_b32_e64 v121, v179, v180, s0
	s_delay_alu instid0(VALU_DEP_1)
	v_lshrrev_b32_e32 v164, 16, v121
	s_and_saveexec_b32 s15, vcc_lo
	s_cbranch_execz .LBB355_69
; %bb.68:                               ;   in Loop: Header=BB355_38 Depth=1
	v_cmp_gt_i32_e64 s0, s34, v88
	s_wait_alu 0xf1ff
	s_delay_alu instid0(VALU_DEP_1) | instskip(SKIP_2) | instid1(VALU_DEP_1)
	v_cndmask_b32_e64 v169, 0, v169, s0
	v_cmp_gt_i32_e64 s0, s34, v94
	s_wait_alu 0xf1ff
	v_cndmask_b32_e64 v170, 0, v170, s0
	v_cmp_gt_i32_e64 s0, s34, v93
	s_wait_alu 0xf1ff
	s_delay_alu instid0(VALU_DEP_1) | instskip(SKIP_2) | instid1(VALU_DEP_1)
	v_cndmask_b32_e64 v167, 0, v167, s0
	v_cmp_gt_i32_e64 s0, s34, v92
	s_wait_alu 0xf1ff
	v_cndmask_b32_e64 v168, 0, v168, s0
	;; [unrolled: 7-line block ×4, first 2 shown]
.LBB355_69:                             ;   in Loop: Header=BB355_38 Depth=1
	s_wait_alu 0xfffe
	s_or_b32 exec_lo, exec_lo, s15
	global_load_b64 v[13:14], v[13:14], off offset:3840
	s_wait_loadcnt 0x0
	v_and_b32_e32 v123, 0xff, v14
	v_bfe_u32 v121, v13, 8, 8
	v_bfe_u32 v122, v13, 16, 8
	v_bfe_u32 v124, v14, 8, 8
	v_bfe_u32 v126, v14, 16, 8
	v_cvt_f32_fp8_e32 v123, v123
	v_and_b32_e32 v120, 0xff, v13
	v_cvt_f32_fp8_e32 v121, v121
	v_lshrrev_b32_e32 v13, 24, v13
	v_cvt_f32_fp8_e32 v122, v122
	v_mul_f32_e32 v123, s14, v123
	v_cvt_f32_fp8_e32 v120, v120
	v_mul_f32_e32 v121, s14, v121
	;; [unrolled: 2-line block ×4, first 2 shown]
	v_bfe_u32 v173, v121, 16, 1
	v_mul_f32_e32 v13, s14, v13
	v_or_b32_e32 v174, 0x400000, v121
	v_bfe_u32 v175, v122, 16, 1
	v_bfe_u32 v171, v120, 16, 1
	v_or_b32_e32 v172, 0x400000, v120
	v_cmp_u_f32_e64 s0, v120, v120
	v_add3_u32 v173, v173, v121, 0x7fff
	v_mul_f32_e32 v124, s14, v124
	v_add3_u32 v171, v171, v120, 0x7fff
	v_or_b32_e32 v176, 0x400000, v122
	v_bfe_u32 v177, v13, 16, 1
	v_add3_u32 v175, v175, v122, 0x7fff
	v_lshrrev_b32_e32 v14, 24, v14
	s_wait_alu 0xf1ff
	v_cndmask_b32_e64 v120, v171, v172, s0
	v_cmp_u_f32_e64 s0, v121, v121
	v_cvt_f32_fp8_e32 v126, v126
	v_or_b32_e32 v178, 0x400000, v13
	v_bfe_u32 v179, v123, 16, 1
	v_add3_u32 v177, v177, v13, 0x7fff
	s_wait_alu 0xf1ff
	v_cndmask_b32_e64 v121, v173, v174, s0
	v_cmp_u_f32_e64 s0, v122, v122
	v_cvt_f32_fp8_e32 v14, v14
	v_mul_f32_e32 v126, s14, v126
	v_or_b32_e32 v180, 0x400000, v123
	v_bfe_u32 v181, v124, 16, 1
	s_wait_alu 0xf1ff
	v_cndmask_b32_e64 v122, v175, v176, s0
	v_cmp_u_f32_e64 s0, v13, v13
	v_add3_u32 v179, v179, v123, 0x7fff
	v_mul_f32_e32 v14, s14, v14
	v_or_b32_e32 v182, 0x400000, v124
	v_bfe_u32 v183, v126, 16, 1
	s_wait_alu 0xf1ff
	v_cndmask_b32_e64 v13, v177, v178, s0
	v_cmp_u_f32_e64 s0, v123, v123
	v_add3_u32 v181, v181, v124, 0x7fff
	v_or_b32_e32 v184, 0x400000, v126
	v_bfe_u32 v185, v14, 16, 1
	v_add3_u32 v183, v183, v126, 0x7fff
	s_wait_alu 0xf1ff
	v_cndmask_b32_e64 v171, v179, v180, s0
	v_cmp_u_f32_e64 s0, v124, v124
	v_or_b32_e32 v186, 0x400000, v14
	v_add3_u32 v185, v185, v14, 0x7fff
	v_lshrrev_b32_e32 v124, 16, v121
	v_lshrrev_b32_e32 v123, 16, v122
	s_wait_alu 0xf1ff
	v_cndmask_b32_e64 v172, v181, v182, s0
	v_cmp_u_f32_e64 s0, v126, v126
	v_lshrrev_b32_e32 v126, 16, v120
	v_lshrrev_b32_e32 v122, 16, v13
	;; [unrolled: 1-line block ×4, first 2 shown]
	s_wait_alu 0xf1ff
	v_cndmask_b32_e64 v173, v183, v184, s0
	v_cmp_u_f32_e64 s0, v14, v14
	s_delay_alu instid0(VALU_DEP_2) | instskip(SKIP_1) | instid1(VALU_DEP_2)
	v_lshrrev_b32_e32 v14, 16, v173
	s_wait_alu 0xf1ff
	v_cndmask_b32_e64 v174, v185, v186, s0
	s_delay_alu instid0(VALU_DEP_1)
	v_lshrrev_b32_e32 v13, 16, v174
	s_and_saveexec_b32 s0, vcc_lo
	s_cbranch_execz .LBB355_36
; %bb.70:                               ;   in Loop: Header=BB355_38 Depth=1
	v_cmp_gt_i32_e32 vcc_lo, s34, v88
	s_wait_alu 0xfffd
	v_cndmask_b32_e32 v126, 0, v126, vcc_lo
	v_cmp_gt_i32_e32 vcc_lo, s34, v94
	s_wait_alu 0xfffd
	v_cndmask_b32_e32 v124, 0, v124, vcc_lo
	;; [unrolled: 3-line block ×8, first 2 shown]
	s_branch .LBB355_36
.LBB355_71:
	s_or_b32 exec_lo, exec_lo, s6
.LBB355_72:
	s_wait_alu 0xfffe
	s_or_b32 exec_lo, exec_lo, s1
	ds_bpermute_b32 v0, v20, v36
	ds_bpermute_b32 v1, v20, v37
	;; [unrolled: 1-line block ×16, first 2 shown]
	s_mov_b32 s0, exec_lo
	s_wait_dscnt 0xe
	v_dual_add_f32 v0, v36, v0 :: v_dual_add_f32 v1, v37, v1
	s_wait_dscnt 0xc
	v_dual_add_f32 v2, v35, v2 :: v_dual_add_f32 v3, v34, v3
	;; [unrolled: 2-line block ×3, first 2 shown]
	ds_bpermute_b32 v16, v19, v0
	ds_bpermute_b32 v18, v19, v2
	;; [unrolled: 1-line block ×4, first 2 shown]
	s_wait_dscnt 0xc
	v_dual_add_f32 v25, v25, v12 :: v_dual_add_f32 v24, v24, v13
	s_wait_dscnt 0xa
	v_dual_add_f32 v4, v33, v4 :: v_dual_add_f32 v5, v32, v5
	;; [unrolled: 2-line block ×5, first 2 shown]
	ds_bpermute_b32 v31, v19, v4
	ds_bpermute_b32 v30, v19, v5
	;; [unrolled: 1-line block ×6, first 2 shown]
	s_wait_dscnt 0x9
	v_add_f32_e32 v15, v0, v16
	scratch_load_b32 v16, off, off th:TH_LOAD_LU ; 4-byte Folded Reload
	s_wait_dscnt 0x6
	v_dual_add_f32 v13, v2, v18 :: v_dual_add_f32 v12, v3, v20
	scratch_load_b32 v18, off, off offset:336 th:TH_LOAD_LU ; 4-byte Folded Reload
	ds_bpermute_b32 v35, v19, v27
	ds_bpermute_b32 v36, v19, v26
	;; [unrolled: 1-line block ×6, first 2 shown]
	v_add_f32_e32 v14, v1, v17
	v_and_b32_e32 v20, 0x3c3, v187
	s_wait_storecnt 0x0
	s_wait_loadcnt_dscnt 0x0
	v_dual_add_f32 v11, v4, v31 :: v_dual_add_f32 v10, v5, v30
	v_add_f32_e32 v9, v6, v8
	v_dual_add_f32 v8, v7, v32 :: v_dual_add_f32 v7, v29, v33
	v_add_f32_e32 v6, v28, v34
	s_barrier_signal -1
	s_barrier_wait -1
	global_inv scope:SCOPE_SE
	v_dual_add_f32 v5, v27, v35 :: v_dual_add_f32 v4, v26, v36
	v_dual_add_f32 v3, v25, v37 :: v_dual_add_f32 v0, v24, v38
	v_add_f32_e32 v1, v23, v39
	v_dual_add_f32 v2, v22, v19 :: v_dual_and_b32 v17, 28, v16
	v_lshrrev_b32_e32 v16, 2, v16
	v_lshlrev_b32_e32 v18, 9, v18
	s_delay_alu instid0(VALU_DEP_3)
	v_add_nc_u32_e32 v17, 0x120, v17
	v_cmpx_eq_u32_e32 64, v20
	s_cbranch_execz .LBB355_74
; %bb.73:
	s_delay_alu instid0(VALU_DEP_2) | instskip(NEXT) | instid1(VALU_DEP_1)
	v_add_nc_u32_e32 v19, v17, v18
	v_add_nc_u32_e32 v20, 0xfffffc00, v19
	;; [unrolled: 1-line block ×9, first 2 shown]
	ds_store_b32 v20, v15
	ds_store_b32 v22, v14
	;; [unrolled: 1-line block ×8, first 2 shown]
	v_add_nc_u32_e32 v20, 0xfffffd00, v19
	v_add_nc_u32_e32 v22, 0xfffffd20, v19
	;; [unrolled: 1-line block ×8, first 2 shown]
	ds_store_b32 v20, v7
	ds_store_b32 v22, v6
	;; [unrolled: 1-line block ×8, first 2 shown]
.LBB355_74:
	s_wait_alu 0xfffe
	s_or_b32 exec_lo, exec_lo, s0
	v_lshlrev_b32_e32 v16, 2, v16
	s_mov_b32 s1, exec_lo
	v_cmp_eq_u32_e32 vcc_lo, 0, v21
	s_wait_loadcnt_dscnt 0x0
	s_barrier_signal -1
	v_add3_u32 v16, 0x120, v18, v16
	s_barrier_wait -1
	global_inv scope:SCOPE_SE
	v_cmpx_gt_u32_e32 64, v187
	s_cbranch_execz .LBB355_93
; %bb.75:
	s_and_saveexec_b32 s0, vcc_lo
	s_cbranch_execnz .LBB355_117
; %bb.76:
	s_wait_alu 0xfffe
	s_or_b32 exec_lo, exec_lo, s0
	s_and_saveexec_b32 s0, vcc_lo
	s_cbranch_execnz .LBB355_118
.LBB355_77:
	s_wait_alu 0xfffe
	s_or_b32 exec_lo, exec_lo, s0
	s_and_saveexec_b32 s0, vcc_lo
	s_cbranch_execnz .LBB355_119
.LBB355_78:
	s_wait_alu 0xfffe
	s_or_b32 exec_lo, exec_lo, s0
	s_and_saveexec_b32 s0, vcc_lo
	s_cbranch_execnz .LBB355_120
.LBB355_79:
	s_wait_alu 0xfffe
	s_or_b32 exec_lo, exec_lo, s0
	s_and_saveexec_b32 s0, vcc_lo
	s_cbranch_execnz .LBB355_121
.LBB355_80:
	s_wait_alu 0xfffe
	s_or_b32 exec_lo, exec_lo, s0
	s_and_saveexec_b32 s0, vcc_lo
	s_cbranch_execnz .LBB355_122
.LBB355_81:
	s_wait_alu 0xfffe
	s_or_b32 exec_lo, exec_lo, s0
	s_and_saveexec_b32 s0, vcc_lo
	s_cbranch_execnz .LBB355_123
.LBB355_82:
	s_wait_alu 0xfffe
	s_or_b32 exec_lo, exec_lo, s0
	s_and_saveexec_b32 s0, vcc_lo
	s_cbranch_execnz .LBB355_124
.LBB355_83:
	s_wait_alu 0xfffe
	s_or_b32 exec_lo, exec_lo, s0
	s_and_saveexec_b32 s0, vcc_lo
	s_cbranch_execnz .LBB355_125
.LBB355_84:
	s_wait_alu 0xfffe
	s_or_b32 exec_lo, exec_lo, s0
	s_and_saveexec_b32 s0, vcc_lo
	s_cbranch_execnz .LBB355_126
.LBB355_85:
	s_wait_alu 0xfffe
	s_or_b32 exec_lo, exec_lo, s0
	s_and_saveexec_b32 s0, vcc_lo
	s_cbranch_execnz .LBB355_127
.LBB355_86:
	s_wait_alu 0xfffe
	s_or_b32 exec_lo, exec_lo, s0
	s_and_saveexec_b32 s0, vcc_lo
	s_cbranch_execnz .LBB355_128
.LBB355_87:
	s_wait_alu 0xfffe
	s_or_b32 exec_lo, exec_lo, s0
	s_and_saveexec_b32 s0, vcc_lo
	s_cbranch_execnz .LBB355_129
.LBB355_88:
	s_wait_alu 0xfffe
	s_or_b32 exec_lo, exec_lo, s0
	s_and_saveexec_b32 s0, vcc_lo
	s_cbranch_execnz .LBB355_130
.LBB355_89:
	s_wait_alu 0xfffe
	s_or_b32 exec_lo, exec_lo, s0
	s_and_saveexec_b32 s0, vcc_lo
	s_cbranch_execnz .LBB355_131
.LBB355_90:
	s_wait_alu 0xfffe
	s_or_b32 exec_lo, exec_lo, s0
	s_and_saveexec_b32 s0, vcc_lo
	s_cbranch_execz .LBB355_92
.LBB355_91:
	ds_load_b32 v18, v16 offset:480
	s_wait_dscnt 0x0
	v_add_f32_e32 v2, v2, v18
.LBB355_92:
	s_wait_alu 0xfffe
	s_or_b32 exec_lo, exec_lo, s0
.LBB355_93:
	s_wait_alu 0xfffe
	s_or_b32 exec_lo, exec_lo, s1
	v_and_b32_e32 v18, 0x3e3, v187
	s_mov_b32 s1, exec_lo
	s_wait_loadcnt 0x0
	s_barrier_signal -1
	s_barrier_wait -1
	global_inv scope:SCOPE_SE
	v_cmpx_eq_u32_e32 32, v18
	s_cbranch_execz .LBB355_95
; %bb.94:
	ds_store_2addr_b32 v17, v15, v14 offset1:8
	ds_store_2addr_b32 v17, v13, v12 offset0:16 offset1:24
	ds_store_2addr_b32 v17, v11, v10 offset0:32 offset1:40
	;; [unrolled: 1-line block ×7, first 2 shown]
.LBB355_95:
	s_wait_alu 0xfffe
	s_or_b32 exec_lo, exec_lo, s1
	s_delay_alu instid0(SALU_CYCLE_1)
	s_mov_b32 s1, exec_lo
	s_wait_loadcnt_dscnt 0x0
	s_barrier_signal -1
	s_barrier_wait -1
	global_inv scope:SCOPE_SE
	v_cmpx_gt_u32_e32 32, v187
	s_cbranch_execz .LBB355_114
; %bb.96:
	s_and_saveexec_b32 s0, vcc_lo
	s_cbranch_execnz .LBB355_132
; %bb.97:
	s_wait_alu 0xfffe
	s_or_b32 exec_lo, exec_lo, s0
	s_and_saveexec_b32 s0, vcc_lo
	s_cbranch_execnz .LBB355_133
.LBB355_98:
	s_wait_alu 0xfffe
	s_or_b32 exec_lo, exec_lo, s0
	s_and_saveexec_b32 s0, vcc_lo
	s_cbranch_execnz .LBB355_134
.LBB355_99:
	s_wait_alu 0xfffe
	s_or_b32 exec_lo, exec_lo, s0
	s_and_saveexec_b32 s0, vcc_lo
	s_cbranch_execnz .LBB355_135
.LBB355_100:
	s_wait_alu 0xfffe
	s_or_b32 exec_lo, exec_lo, s0
	s_and_saveexec_b32 s0, vcc_lo
	s_cbranch_execnz .LBB355_136
.LBB355_101:
	s_wait_alu 0xfffe
	s_or_b32 exec_lo, exec_lo, s0
	s_and_saveexec_b32 s0, vcc_lo
	s_cbranch_execnz .LBB355_137
.LBB355_102:
	s_wait_alu 0xfffe
	s_or_b32 exec_lo, exec_lo, s0
	s_and_saveexec_b32 s0, vcc_lo
	s_cbranch_execnz .LBB355_138
.LBB355_103:
	s_wait_alu 0xfffe
	s_or_b32 exec_lo, exec_lo, s0
	s_and_saveexec_b32 s0, vcc_lo
	s_cbranch_execnz .LBB355_139
.LBB355_104:
	s_wait_alu 0xfffe
	s_or_b32 exec_lo, exec_lo, s0
	s_and_saveexec_b32 s0, vcc_lo
	s_cbranch_execnz .LBB355_140
.LBB355_105:
	s_wait_alu 0xfffe
	s_or_b32 exec_lo, exec_lo, s0
	s_and_saveexec_b32 s0, vcc_lo
	s_cbranch_execnz .LBB355_141
.LBB355_106:
	s_wait_alu 0xfffe
	s_or_b32 exec_lo, exec_lo, s0
	s_and_saveexec_b32 s0, vcc_lo
	s_cbranch_execnz .LBB355_142
.LBB355_107:
	s_wait_alu 0xfffe
	s_or_b32 exec_lo, exec_lo, s0
	s_and_saveexec_b32 s0, vcc_lo
	s_cbranch_execnz .LBB355_143
.LBB355_108:
	s_wait_alu 0xfffe
	s_or_b32 exec_lo, exec_lo, s0
	s_and_saveexec_b32 s0, vcc_lo
	s_cbranch_execnz .LBB355_144
.LBB355_109:
	s_wait_alu 0xfffe
	s_or_b32 exec_lo, exec_lo, s0
	s_and_saveexec_b32 s0, vcc_lo
	s_cbranch_execnz .LBB355_145
.LBB355_110:
	s_wait_alu 0xfffe
	s_or_b32 exec_lo, exec_lo, s0
	s_and_saveexec_b32 s0, vcc_lo
	s_cbranch_execnz .LBB355_146
.LBB355_111:
	s_wait_alu 0xfffe
	s_or_b32 exec_lo, exec_lo, s0
	s_and_saveexec_b32 s0, vcc_lo
	s_cbranch_execz .LBB355_113
.LBB355_112:
	ds_load_b32 v16, v16 offset:480
	s_wait_dscnt 0x0
	v_add_f32_e32 v2, v2, v16
.LBB355_113:
	s_wait_alu 0xfffe
	s_or_b32 exec_lo, exec_lo, s0
.LBB355_114:
	s_wait_alu 0xfffe
	s_or_b32 exec_lo, exec_lo, s1
	s_mov_b32 s1, 0
	s_wait_loadcnt 0x0
	s_barrier_signal -1
	s_barrier_wait -1
	global_inv scope:SCOPE_SE
	s_mov_b32 s0, exec_lo
	v_cmpx_eq_u32_e32 0, v18
	s_cbranch_execz .LBB355_116
; %bb.115:
	v_bfe_u32 v16, v15, 16, 1
	v_bfe_u32 v17, v14, 16, 1
	v_or_b32_e32 v19, 0x400000, v15
	v_cmp_u_f32_e32 vcc_lo, v15, v15
	v_or_b32_e32 v20, 0x400000, v14
	v_add3_u32 v16, v16, v15, 0x7fff
	v_add3_u32 v17, v17, v14, 0x7fff
	v_bfe_u32 v21, v13, 16, 1
	s_lshl_b32 s2, s18, 7
	s_mul_i32 s4, s7, s20
	s_wait_alu 0xfffd
	v_cndmask_b32_e32 v15, v16, v19, vcc_lo
	v_cmp_u_f32_e32 vcc_lo, v14, v14
	v_bfe_u32 v16, v12, 16, 1
	v_or_b32_e32 v19, 0x400000, v13
	s_wait_alu 0xfffe
	s_ashr_i32 s3, s2, 31
	s_ashr_i32 s5, s4, 31
	s_wait_alu 0xfffd
	v_cndmask_b32_e32 v14, v17, v20, vcc_lo
	v_add3_u32 v17, v21, v13, 0x7fff
	v_cmp_u_f32_e32 vcc_lo, v13, v13
	v_bfe_u32 v20, v11, 16, 1
	v_add3_u32 v16, v16, v12, 0x7fff
	v_or_b32_e32 v21, 0x400000, v12
	s_wait_alu 0xfffe
	s_lshl_b64 s[2:3], s[2:3], 1
	s_wait_alu 0xfffd
	v_cndmask_b32_e32 v13, v17, v19, vcc_lo
	v_cmp_u_f32_e32 vcc_lo, v12, v12
	v_add3_u32 v17, v20, v11, 0x7fff
	v_or_b32_e32 v19, 0x400000, v11
	v_bfe_u32 v20, v9, 16, 1
	s_lshl_b64 s[4:5], s[4:5], 1
	s_wait_alu 0xfffd
	v_cndmask_b32_e32 v12, v16, v21, vcc_lo
	v_bfe_u32 v16, v10, 16, 1
	v_cmp_u_f32_e32 vcc_lo, v11, v11
	v_add3_u32 v20, v20, v9, 0x7fff
	v_or_b32_e32 v21, 0x400000, v9
	s_wait_kmcnt 0x0
	s_wait_alu 0xfffe
	s_add_nc_u64 s[2:3], s[8:9], s[2:3]
	v_add3_u32 v16, v16, v10, 0x7fff
	s_wait_alu 0xfffd
	v_cndmask_b32_e32 v11, v17, v19, vcc_lo
	v_or_b32_e32 v19, 0x400000, v10
	v_cmp_u_f32_e32 vcc_lo, v10, v10
	v_bfe_u32 v17, v8, 16, 1
	v_or_b32_e32 v22, 0x400000, v8
	v_lshrrev_b32_e32 v18, 1, v187
	s_wait_alu 0xfffe
	s_add_nc_u64 s[2:3], s[2:3], s[4:5]
	s_wait_alu 0xfffd
	v_cndmask_b32_e32 v10, v16, v19, vcc_lo
	v_cmp_u_f32_e32 vcc_lo, v9, v9
	v_add3_u32 v17, v17, v8, 0x7fff
	v_bfe_u32 v16, v7, 16, 1
	s_lshl_b32 s0, s33, 8
	s_wait_alu 0xfffd
	v_cndmask_b32_e32 v9, v20, v21, vcc_lo
	v_cmp_u_f32_e32 vcc_lo, v8, v8
	s_wait_alu 0xfffe
	s_add_nc_u64 s[0:1], s[2:3], s[0:1]
	s_wait_alu 0xfffd
	v_cndmask_b32_e32 v8, v17, v22, vcc_lo
	v_bfe_u32 v17, v6, 16, 1
	s_clause 0x7
	global_store_d16_hi_b16 v18, v15, s[0:1]
	global_store_d16_hi_b16 v18, v14, s[0:1] offset:16
	global_store_d16_hi_b16 v18, v13, s[0:1] offset:32
	;; [unrolled: 1-line block ×7, first 2 shown]
	v_add3_u32 v8, v16, v7, 0x7fff
	v_or_b32_e32 v9, 0x400000, v7
	v_cmp_u_f32_e32 vcc_lo, v7, v7
	v_add3_u32 v10, v17, v6, 0x7fff
	v_or_b32_e32 v11, 0x400000, v6
	v_bfe_u32 v12, v5, 16, 1
	v_or_b32_e32 v13, 0x400000, v2
	s_wait_alu 0xfffd
	v_cndmask_b32_e32 v7, v8, v9, vcc_lo
	v_cmp_u_f32_e32 vcc_lo, v6, v6
	v_bfe_u32 v8, v4, 16, 1
	v_add3_u32 v9, v12, v5, 0x7fff
	v_or_b32_e32 v12, 0x400000, v4
	s_wait_alu 0xfffd
	v_cndmask_b32_e32 v6, v10, v11, vcc_lo
	v_or_b32_e32 v10, 0x400000, v5
	v_cmp_u_f32_e32 vcc_lo, v5, v5
	v_bfe_u32 v11, v3, 16, 1
	v_add3_u32 v8, v8, v4, 0x7fff
	s_wait_alu 0xfffd
	v_cndmask_b32_e32 v5, v9, v10, vcc_lo
	v_cmp_u_f32_e32 vcc_lo, v4, v4
	v_add3_u32 v9, v11, v3, 0x7fff
	v_or_b32_e32 v10, 0x400000, v3
	v_bfe_u32 v11, v1, 16, 1
	s_wait_alu 0xfffd
	v_cndmask_b32_e32 v4, v8, v12, vcc_lo
	v_bfe_u32 v8, v0, 16, 1
	v_cmp_u_f32_e32 vcc_lo, v3, v3
	v_add3_u32 v11, v11, v1, 0x7fff
	v_or_b32_e32 v12, 0x400000, v1
	s_delay_alu instid0(VALU_DEP_4)
	v_add3_u32 v8, v8, v0, 0x7fff
	s_wait_alu 0xfffd
	v_cndmask_b32_e32 v3, v9, v10, vcc_lo
	v_or_b32_e32 v10, 0x400000, v0
	v_cmp_u_f32_e32 vcc_lo, v0, v0
	v_bfe_u32 v9, v2, 16, 1
	s_wait_alu 0xfffd
	s_delay_alu instid0(VALU_DEP_3) | instskip(SKIP_1) | instid1(VALU_DEP_3)
	v_cndmask_b32_e32 v0, v8, v10, vcc_lo
	v_cmp_u_f32_e32 vcc_lo, v1, v1
	v_add3_u32 v9, v9, v2, 0x7fff
	s_wait_alu 0xfffd
	v_cndmask_b32_e32 v1, v11, v12, vcc_lo
	v_cmp_u_f32_e32 vcc_lo, v2, v2
	s_wait_alu 0xfffd
	v_cndmask_b32_e32 v2, v9, v13, vcc_lo
	s_clause 0x7
	global_store_d16_hi_b16 v18, v7, s[0:1] offset:128
	global_store_d16_hi_b16 v18, v6, s[0:1] offset:144
	global_store_d16_hi_b16 v18, v5, s[0:1] offset:160
	global_store_d16_hi_b16 v18, v4, s[0:1] offset:176
	global_store_d16_hi_b16 v18, v3, s[0:1] offset:192
	global_store_d16_hi_b16 v18, v0, s[0:1] offset:208
	global_store_d16_hi_b16 v18, v1, s[0:1] offset:224
	global_store_d16_hi_b16 v18, v2, s[0:1] offset:240
.LBB355_116:
	s_nop 0
	s_sendmsg sendmsg(MSG_DEALLOC_VGPRS)
	s_endpgm
.LBB355_117:
	ds_load_b32 v18, v16
	s_wait_dscnt 0x0
	v_add_f32_e32 v15, v15, v18
	s_wait_alu 0xfffe
	s_or_b32 exec_lo, exec_lo, s0
	s_and_saveexec_b32 s0, vcc_lo
	s_cbranch_execz .LBB355_77
.LBB355_118:
	ds_load_b32 v18, v16 offset:32
	s_wait_dscnt 0x0
	v_add_f32_e32 v14, v14, v18
	s_wait_alu 0xfffe
	s_or_b32 exec_lo, exec_lo, s0
	s_and_saveexec_b32 s0, vcc_lo
	s_cbranch_execz .LBB355_78
.LBB355_119:
	ds_load_b32 v18, v16 offset:64
	s_wait_dscnt 0x0
	v_add_f32_e32 v13, v13, v18
	s_wait_alu 0xfffe
	s_or_b32 exec_lo, exec_lo, s0
	s_and_saveexec_b32 s0, vcc_lo
	s_cbranch_execz .LBB355_79
.LBB355_120:
	ds_load_b32 v18, v16 offset:96
	s_wait_dscnt 0x0
	v_add_f32_e32 v12, v12, v18
	s_wait_alu 0xfffe
	s_or_b32 exec_lo, exec_lo, s0
	s_and_saveexec_b32 s0, vcc_lo
	s_cbranch_execz .LBB355_80
.LBB355_121:
	ds_load_b32 v18, v16 offset:128
	s_wait_dscnt 0x0
	v_add_f32_e32 v11, v11, v18
	s_wait_alu 0xfffe
	s_or_b32 exec_lo, exec_lo, s0
	s_and_saveexec_b32 s0, vcc_lo
	s_cbranch_execz .LBB355_81
.LBB355_122:
	ds_load_b32 v18, v16 offset:160
	s_wait_dscnt 0x0
	v_add_f32_e32 v10, v10, v18
	s_wait_alu 0xfffe
	s_or_b32 exec_lo, exec_lo, s0
	s_and_saveexec_b32 s0, vcc_lo
	s_cbranch_execz .LBB355_82
.LBB355_123:
	ds_load_b32 v18, v16 offset:192
	s_wait_dscnt 0x0
	v_add_f32_e32 v9, v9, v18
	s_wait_alu 0xfffe
	s_or_b32 exec_lo, exec_lo, s0
	s_and_saveexec_b32 s0, vcc_lo
	s_cbranch_execz .LBB355_83
.LBB355_124:
	ds_load_b32 v18, v16 offset:224
	s_wait_dscnt 0x0
	v_add_f32_e32 v8, v8, v18
	s_wait_alu 0xfffe
	s_or_b32 exec_lo, exec_lo, s0
	s_and_saveexec_b32 s0, vcc_lo
	s_cbranch_execz .LBB355_84
.LBB355_125:
	ds_load_b32 v18, v16 offset:256
	s_wait_dscnt 0x0
	v_add_f32_e32 v7, v7, v18
	s_wait_alu 0xfffe
	s_or_b32 exec_lo, exec_lo, s0
	s_and_saveexec_b32 s0, vcc_lo
	s_cbranch_execz .LBB355_85
.LBB355_126:
	ds_load_b32 v18, v16 offset:288
	s_wait_dscnt 0x0
	v_add_f32_e32 v6, v6, v18
	s_wait_alu 0xfffe
	s_or_b32 exec_lo, exec_lo, s0
	s_and_saveexec_b32 s0, vcc_lo
	s_cbranch_execz .LBB355_86
.LBB355_127:
	ds_load_b32 v18, v16 offset:320
	s_wait_dscnt 0x0
	v_add_f32_e32 v5, v5, v18
	s_wait_alu 0xfffe
	s_or_b32 exec_lo, exec_lo, s0
	s_and_saveexec_b32 s0, vcc_lo
	s_cbranch_execz .LBB355_87
.LBB355_128:
	ds_load_b32 v18, v16 offset:352
	s_wait_dscnt 0x0
	v_add_f32_e32 v4, v4, v18
	s_wait_alu 0xfffe
	s_or_b32 exec_lo, exec_lo, s0
	s_and_saveexec_b32 s0, vcc_lo
	s_cbranch_execz .LBB355_88
.LBB355_129:
	ds_load_b32 v18, v16 offset:384
	s_wait_dscnt 0x0
	v_add_f32_e32 v3, v3, v18
	s_wait_alu 0xfffe
	s_or_b32 exec_lo, exec_lo, s0
	s_and_saveexec_b32 s0, vcc_lo
	s_cbranch_execz .LBB355_89
.LBB355_130:
	ds_load_b32 v18, v16 offset:416
	s_wait_dscnt 0x0
	v_add_f32_e32 v0, v0, v18
	s_wait_alu 0xfffe
	s_or_b32 exec_lo, exec_lo, s0
	s_and_saveexec_b32 s0, vcc_lo
	s_cbranch_execz .LBB355_90
.LBB355_131:
	ds_load_b32 v18, v16 offset:448
	s_wait_dscnt 0x0
	v_add_f32_e32 v1, v1, v18
	s_wait_alu 0xfffe
	s_or_b32 exec_lo, exec_lo, s0
	s_and_saveexec_b32 s0, vcc_lo
	s_cbranch_execnz .LBB355_91
	s_branch .LBB355_92
.LBB355_132:
	ds_load_b32 v17, v16
	s_wait_dscnt 0x0
	v_add_f32_e32 v15, v15, v17
	s_wait_alu 0xfffe
	s_or_b32 exec_lo, exec_lo, s0
	s_and_saveexec_b32 s0, vcc_lo
	s_cbranch_execz .LBB355_98
.LBB355_133:
	ds_load_b32 v17, v16 offset:32
	s_wait_dscnt 0x0
	v_add_f32_e32 v14, v14, v17
	s_wait_alu 0xfffe
	s_or_b32 exec_lo, exec_lo, s0
	s_and_saveexec_b32 s0, vcc_lo
	s_cbranch_execz .LBB355_99
.LBB355_134:
	ds_load_b32 v17, v16 offset:64
	s_wait_dscnt 0x0
	v_add_f32_e32 v13, v13, v17
	s_wait_alu 0xfffe
	s_or_b32 exec_lo, exec_lo, s0
	s_and_saveexec_b32 s0, vcc_lo
	s_cbranch_execz .LBB355_100
.LBB355_135:
	ds_load_b32 v17, v16 offset:96
	s_wait_dscnt 0x0
	v_add_f32_e32 v12, v12, v17
	s_wait_alu 0xfffe
	s_or_b32 exec_lo, exec_lo, s0
	s_and_saveexec_b32 s0, vcc_lo
	s_cbranch_execz .LBB355_101
.LBB355_136:
	ds_load_b32 v17, v16 offset:128
	s_wait_dscnt 0x0
	v_add_f32_e32 v11, v11, v17
	s_wait_alu 0xfffe
	s_or_b32 exec_lo, exec_lo, s0
	s_and_saveexec_b32 s0, vcc_lo
	s_cbranch_execz .LBB355_102
.LBB355_137:
	ds_load_b32 v17, v16 offset:160
	s_wait_dscnt 0x0
	v_add_f32_e32 v10, v10, v17
	s_wait_alu 0xfffe
	s_or_b32 exec_lo, exec_lo, s0
	s_and_saveexec_b32 s0, vcc_lo
	s_cbranch_execz .LBB355_103
.LBB355_138:
	ds_load_b32 v17, v16 offset:192
	s_wait_dscnt 0x0
	v_add_f32_e32 v9, v9, v17
	s_wait_alu 0xfffe
	s_or_b32 exec_lo, exec_lo, s0
	s_and_saveexec_b32 s0, vcc_lo
	s_cbranch_execz .LBB355_104
.LBB355_139:
	ds_load_b32 v17, v16 offset:224
	s_wait_dscnt 0x0
	v_add_f32_e32 v8, v8, v17
	s_wait_alu 0xfffe
	s_or_b32 exec_lo, exec_lo, s0
	s_and_saveexec_b32 s0, vcc_lo
	s_cbranch_execz .LBB355_105
.LBB355_140:
	ds_load_b32 v17, v16 offset:256
	s_wait_dscnt 0x0
	v_add_f32_e32 v7, v7, v17
	s_wait_alu 0xfffe
	s_or_b32 exec_lo, exec_lo, s0
	s_and_saveexec_b32 s0, vcc_lo
	s_cbranch_execz .LBB355_106
.LBB355_141:
	ds_load_b32 v17, v16 offset:288
	s_wait_dscnt 0x0
	v_add_f32_e32 v6, v6, v17
	s_wait_alu 0xfffe
	s_or_b32 exec_lo, exec_lo, s0
	s_and_saveexec_b32 s0, vcc_lo
	s_cbranch_execz .LBB355_107
.LBB355_142:
	ds_load_b32 v17, v16 offset:320
	s_wait_dscnt 0x0
	v_add_f32_e32 v5, v5, v17
	s_wait_alu 0xfffe
	s_or_b32 exec_lo, exec_lo, s0
	s_and_saveexec_b32 s0, vcc_lo
	s_cbranch_execz .LBB355_108
.LBB355_143:
	ds_load_b32 v17, v16 offset:352
	s_wait_dscnt 0x0
	v_add_f32_e32 v4, v4, v17
	s_wait_alu 0xfffe
	s_or_b32 exec_lo, exec_lo, s0
	s_and_saveexec_b32 s0, vcc_lo
	s_cbranch_execz .LBB355_109
.LBB355_144:
	ds_load_b32 v17, v16 offset:384
	s_wait_dscnt 0x0
	v_add_f32_e32 v3, v3, v17
	s_wait_alu 0xfffe
	s_or_b32 exec_lo, exec_lo, s0
	s_and_saveexec_b32 s0, vcc_lo
	s_cbranch_execz .LBB355_110
.LBB355_145:
	ds_load_b32 v17, v16 offset:416
	s_wait_dscnt 0x0
	v_add_f32_e32 v0, v0, v17
	s_wait_alu 0xfffe
	s_or_b32 exec_lo, exec_lo, s0
	s_and_saveexec_b32 s0, vcc_lo
	s_cbranch_execz .LBB355_111
.LBB355_146:
	ds_load_b32 v17, v16 offset:448
	s_wait_dscnt 0x0
	v_add_f32_e32 v1, v1, v17
	s_wait_alu 0xfffe
	s_or_b32 exec_lo, exec_lo, s0
	s_and_saveexec_b32 s0, vcc_lo
	s_cbranch_execnz .LBB355_112
	s_branch .LBB355_113
	.section	.rodata,"a",@progbits
	.p2align	6, 0x0
	.amdhsa_kernel _ZN4vllm25paged_attention_v2_kernelI14__hip_bfloat16hLi128ELi32ELi128ELNS_18Fp8KVCacheDataTypeE1ELb1ELi512EEEvPfS3_PT_PKS4_PKT0_SA_ifPKiSC_iPKfiiiSE_SE_iiiii
		.amdhsa_group_segment_fixed_size 288
		.amdhsa_private_segment_fixed_size 352
		.amdhsa_kernarg_size 400
		.amdhsa_user_sgpr_count 2
		.amdhsa_user_sgpr_dispatch_ptr 0
		.amdhsa_user_sgpr_queue_ptr 0
		.amdhsa_user_sgpr_kernarg_segment_ptr 1
		.amdhsa_user_sgpr_dispatch_id 0
		.amdhsa_user_sgpr_private_segment_size 0
		.amdhsa_wavefront_size32 1
		.amdhsa_uses_dynamic_stack 0
		.amdhsa_enable_private_segment 1
		.amdhsa_system_sgpr_workgroup_id_x 1
		.amdhsa_system_sgpr_workgroup_id_y 1
		.amdhsa_system_sgpr_workgroup_id_z 1
		.amdhsa_system_sgpr_workgroup_info 0
		.amdhsa_system_vgpr_workitem_id 0
		.amdhsa_next_free_vgpr 192
		.amdhsa_next_free_sgpr 46
		.amdhsa_reserve_vcc 1
		.amdhsa_float_round_mode_32 0
		.amdhsa_float_round_mode_16_64 0
		.amdhsa_float_denorm_mode_32 3
		.amdhsa_float_denorm_mode_16_64 3
		.amdhsa_fp16_overflow 0
		.amdhsa_workgroup_processor_mode 1
		.amdhsa_memory_ordered 1
		.amdhsa_forward_progress 1
		.amdhsa_inst_pref_size 255
		.amdhsa_round_robin_scheduling 0
		.amdhsa_exception_fp_ieee_invalid_op 0
		.amdhsa_exception_fp_denorm_src 0
		.amdhsa_exception_fp_ieee_div_zero 0
		.amdhsa_exception_fp_ieee_overflow 0
		.amdhsa_exception_fp_ieee_underflow 0
		.amdhsa_exception_fp_ieee_inexact 0
		.amdhsa_exception_int_div_zero 0
	.end_amdhsa_kernel
	.section	.text._ZN4vllm25paged_attention_v2_kernelI14__hip_bfloat16hLi128ELi32ELi128ELNS_18Fp8KVCacheDataTypeE1ELb1ELi512EEEvPfS3_PT_PKS4_PKT0_SA_ifPKiSC_iPKfiiiSE_SE_iiiii,"axG",@progbits,_ZN4vllm25paged_attention_v2_kernelI14__hip_bfloat16hLi128ELi32ELi128ELNS_18Fp8KVCacheDataTypeE1ELb1ELi512EEEvPfS3_PT_PKS4_PKT0_SA_ifPKiSC_iPKfiiiSE_SE_iiiii,comdat
.Lfunc_end355:
	.size	_ZN4vllm25paged_attention_v2_kernelI14__hip_bfloat16hLi128ELi32ELi128ELNS_18Fp8KVCacheDataTypeE1ELb1ELi512EEEvPfS3_PT_PKS4_PKT0_SA_ifPKiSC_iPKfiiiSE_SE_iiiii, .Lfunc_end355-_ZN4vllm25paged_attention_v2_kernelI14__hip_bfloat16hLi128ELi32ELi128ELNS_18Fp8KVCacheDataTypeE1ELb1ELi512EEEvPfS3_PT_PKS4_PKT0_SA_ifPKiSC_iPKfiiiSE_SE_iiiii
                                        ; -- End function
	.set _ZN4vllm25paged_attention_v2_kernelI14__hip_bfloat16hLi128ELi32ELi128ELNS_18Fp8KVCacheDataTypeE1ELb1ELi512EEEvPfS3_PT_PKS4_PKT0_SA_ifPKiSC_iPKfiiiSE_SE_iiiii.num_vgpr, 192
	.set _ZN4vllm25paged_attention_v2_kernelI14__hip_bfloat16hLi128ELi32ELi128ELNS_18Fp8KVCacheDataTypeE1ELb1ELi512EEEvPfS3_PT_PKS4_PKT0_SA_ifPKiSC_iPKfiiiSE_SE_iiiii.num_agpr, 0
	.set _ZN4vllm25paged_attention_v2_kernelI14__hip_bfloat16hLi128ELi32ELi128ELNS_18Fp8KVCacheDataTypeE1ELb1ELi512EEEvPfS3_PT_PKS4_PKT0_SA_ifPKiSC_iPKfiiiSE_SE_iiiii.numbered_sgpr, 46
	.set _ZN4vllm25paged_attention_v2_kernelI14__hip_bfloat16hLi128ELi32ELi128ELNS_18Fp8KVCacheDataTypeE1ELb1ELi512EEEvPfS3_PT_PKS4_PKT0_SA_ifPKiSC_iPKfiiiSE_SE_iiiii.num_named_barrier, 0
	.set _ZN4vllm25paged_attention_v2_kernelI14__hip_bfloat16hLi128ELi32ELi128ELNS_18Fp8KVCacheDataTypeE1ELb1ELi512EEEvPfS3_PT_PKS4_PKT0_SA_ifPKiSC_iPKfiiiSE_SE_iiiii.private_seg_size, 352
	.set _ZN4vllm25paged_attention_v2_kernelI14__hip_bfloat16hLi128ELi32ELi128ELNS_18Fp8KVCacheDataTypeE1ELb1ELi512EEEvPfS3_PT_PKS4_PKT0_SA_ifPKiSC_iPKfiiiSE_SE_iiiii.uses_vcc, 1
	.set _ZN4vllm25paged_attention_v2_kernelI14__hip_bfloat16hLi128ELi32ELi128ELNS_18Fp8KVCacheDataTypeE1ELb1ELi512EEEvPfS3_PT_PKS4_PKT0_SA_ifPKiSC_iPKfiiiSE_SE_iiiii.uses_flat_scratch, 1
	.set _ZN4vllm25paged_attention_v2_kernelI14__hip_bfloat16hLi128ELi32ELi128ELNS_18Fp8KVCacheDataTypeE1ELb1ELi512EEEvPfS3_PT_PKS4_PKT0_SA_ifPKiSC_iPKfiiiSE_SE_iiiii.has_dyn_sized_stack, 0
	.set _ZN4vllm25paged_attention_v2_kernelI14__hip_bfloat16hLi128ELi32ELi128ELNS_18Fp8KVCacheDataTypeE1ELb1ELi512EEEvPfS3_PT_PKS4_PKT0_SA_ifPKiSC_iPKfiiiSE_SE_iiiii.has_recursion, 0
	.set _ZN4vllm25paged_attention_v2_kernelI14__hip_bfloat16hLi128ELi32ELi128ELNS_18Fp8KVCacheDataTypeE1ELb1ELi512EEEvPfS3_PT_PKS4_PKT0_SA_ifPKiSC_iPKfiiiSE_SE_iiiii.has_indirect_call, 0
	.section	.AMDGPU.csdata,"",@progbits
; Kernel info:
; codeLenInByte = 41944
; TotalNumSgprs: 48
; NumVgprs: 192
; ScratchSize: 352
; MemoryBound: 0
; FloatMode: 240
; IeeeMode: 1
; LDSByteSize: 288 bytes/workgroup (compile time only)
; SGPRBlocks: 0
; VGPRBlocks: 23
; NumSGPRsForWavesPerEU: 48
; NumVGPRsForWavesPerEU: 192
; Occupancy: 8
; WaveLimiterHint : 1
; COMPUTE_PGM_RSRC2:SCRATCH_EN: 1
; COMPUTE_PGM_RSRC2:USER_SGPR: 2
; COMPUTE_PGM_RSRC2:TRAP_HANDLER: 0
; COMPUTE_PGM_RSRC2:TGID_X_EN: 1
; COMPUTE_PGM_RSRC2:TGID_Y_EN: 1
; COMPUTE_PGM_RSRC2:TGID_Z_EN: 1
; COMPUTE_PGM_RSRC2:TIDIG_COMP_CNT: 0
	.section	.text._ZN4vllm25paged_attention_v2_kernelI14__hip_bfloat16hLi192ELi32ELi128ELNS_18Fp8KVCacheDataTypeE1ELb1ELi512EEEvPfS3_PT_PKS4_PKT0_SA_ifPKiSC_iPKfiiiSE_SE_iiiii,"axG",@progbits,_ZN4vllm25paged_attention_v2_kernelI14__hip_bfloat16hLi192ELi32ELi128ELNS_18Fp8KVCacheDataTypeE1ELb1ELi512EEEvPfS3_PT_PKS4_PKT0_SA_ifPKiSC_iPKfiiiSE_SE_iiiii,comdat
	.protected	_ZN4vllm25paged_attention_v2_kernelI14__hip_bfloat16hLi192ELi32ELi128ELNS_18Fp8KVCacheDataTypeE1ELb1ELi512EEEvPfS3_PT_PKS4_PKT0_SA_ifPKiSC_iPKfiiiSE_SE_iiiii ; -- Begin function _ZN4vllm25paged_attention_v2_kernelI14__hip_bfloat16hLi192ELi32ELi128ELNS_18Fp8KVCacheDataTypeE1ELb1ELi512EEEvPfS3_PT_PKS4_PKT0_SA_ifPKiSC_iPKfiiiSE_SE_iiiii
	.globl	_ZN4vllm25paged_attention_v2_kernelI14__hip_bfloat16hLi192ELi32ELi128ELNS_18Fp8KVCacheDataTypeE1ELb1ELi512EEEvPfS3_PT_PKS4_PKT0_SA_ifPKiSC_iPKfiiiSE_SE_iiiii
	.p2align	8
	.type	_ZN4vllm25paged_attention_v2_kernelI14__hip_bfloat16hLi192ELi32ELi128ELNS_18Fp8KVCacheDataTypeE1ELb1ELi512EEEvPfS3_PT_PKS4_PKT0_SA_ifPKiSC_iPKfiiiSE_SE_iiiii,@function
_ZN4vllm25paged_attention_v2_kernelI14__hip_bfloat16hLi192ELi32ELi128ELNS_18Fp8KVCacheDataTypeE1ELb1ELi512EEEvPfS3_PT_PKS4_PKT0_SA_ifPKiSC_iPKfiiiSE_SE_iiiii: ; @_ZN4vllm25paged_attention_v2_kernelI14__hip_bfloat16hLi192ELi32ELi128ELNS_18Fp8KVCacheDataTypeE1ELb1ELi512EEEvPfS3_PT_PKS4_PKT0_SA_ifPKiSC_iPKfiiiSE_SE_iiiii
; %bb.0:
	s_load_b64 s[2:3], s[0:1], 0x40
	s_and_b32 s19, ttmp7, 0xffff
	s_lshr_b32 s33, ttmp7, 16
	s_lshl_b32 s4, s19, 2
	s_lshl_b32 s36, s33, 9
	scratch_store_b32 off, v0, off offset:172 ; 4-byte Folded Spill
	s_wait_kmcnt 0x0
	s_load_b32 s34, s[2:3], s4 offset:0x0
	s_wait_kmcnt 0x0
	s_cmp_ge_i32 s36, s34
	s_cbranch_scc1 .LBB356_148
; %bb.1:
	s_clause 0x1
	s_load_b32 s37, s[0:1], 0x90
	s_load_b64 s[12:13], s[0:1], 0x30
	s_wait_kmcnt 0x0
	s_abs_i32 s5, s37
	s_abs_i32 s2, s12
	s_delay_alu instid0(SALU_CYCLE_1) | instskip(SKIP_1) | instid1(SALU_CYCLE_2)
	s_cvt_f32_u32 s3, s2
	s_sub_co_i32 s4, 0, s2
	v_rcp_iflag_f32_e32 v0, s3
	s_delay_alu instid0(TRANS32_DEP_1) | instskip(SKIP_2) | instid1(SALU_CYCLE_2)
	v_readfirstlane_b32 s3, v0
	s_mul_f32 s3, s3, 0x4f7ffffe
	s_wait_alu 0xfffe
	s_cvt_u32_f32 s3, s3
	s_wait_alu 0xfffe
	s_delay_alu instid0(SALU_CYCLE_2) | instskip(NEXT) | instid1(SALU_CYCLE_1)
	s_mul_i32 s4, s4, s3
	s_mul_hi_u32 s4, s3, s4
	s_delay_alu instid0(SALU_CYCLE_1)
	s_add_co_i32 s3, s3, s4
	s_xor_b32 s4, s37, s12
	s_wait_alu 0xfffe
	s_mul_hi_u32 s3, s5, s3
	s_ashr_i32 s4, s4, 31
	s_wait_alu 0xfffe
	s_mul_i32 s6, s3, s2
	s_delay_alu instid0(SALU_CYCLE_1)
	s_sub_co_i32 s5, s5, s6
	s_add_co_i32 s6, s3, 1
	s_sub_co_i32 s7, s5, s2
	s_cmp_ge_u32 s5, s2
	s_cselect_b32 s3, s6, s3
	s_cselect_b32 s5, s7, s5
	s_wait_alu 0xfffe
	s_add_co_i32 s6, s3, 1
	s_cmp_ge_u32 s5, s2
	s_cselect_b32 s2, s6, s3
	s_load_b64 s[6:7], s[0:1], 0x50
	s_xor_b32 s2, s2, s4
	s_mov_b32 s3, 0
	s_wait_alu 0xfffe
	s_sub_co_i32 s11, s2, s4
	s_mov_b32 s30, s3
	s_abs_i32 s10, s11
	s_delay_alu instid0(SALU_CYCLE_1) | instskip(SKIP_1) | instid1(SALU_CYCLE_2)
	s_cvt_f32_u32 s2, s10
	s_wait_alu 0xfffe
	v_rcp_iflag_f32_e32 v0, s2
	s_delay_alu instid0(TRANS32_DEP_1) | instskip(SKIP_2) | instid1(SALU_CYCLE_2)
	v_readfirstlane_b32 s2, v0
	s_mul_f32 s2, s2, 0x4f7ffffe
	s_wait_alu 0xfffe
	s_cvt_u32_f32 s4, s2
	s_sub_co_i32 s2, 0, s10
	s_wait_alu 0xfffe
	s_delay_alu instid0(SALU_CYCLE_1)
	s_mul_i32 s2, s2, s4
	s_wait_alu 0xfffe
	s_mul_hi_u32 s5, s4, s2
	s_abs_i32 s2, ttmp9
	s_add_co_i32 s4, s4, s5
	s_mov_b32 s5, s3
	s_wait_kmcnt 0x0
	s_cmp_eq_u64 s[6:7], 0
	s_cbranch_scc1 .LBB356_3
; %bb.2:
	s_mov_b32 s8, ttmp9
	s_ashr_i32 s9, ttmp9, 31
	s_delay_alu instid0(SALU_CYCLE_1) | instskip(NEXT) | instid1(SALU_CYCLE_1)
	s_lshl_b64 s[8:9], s[8:9], 2
	s_add_nc_u64 s[6:7], s[6:7], s[8:9]
	s_load_b32 s30, s[6:7], 0x0
.LBB356_3:
	scratch_load_b32 v0, off, off offset:172 ; 4-byte Folded Reload
	s_load_b96 s[16:18], s[0:1], 0x58
	s_mul_u64 s[8:9], s[2:3], s[4:5]
	s_ashr_i32 s3, ttmp9, 31
	s_ashr_i32 s8, s11, 31
	s_mul_i32 s20, ttmp9, 0xc0
	s_mov_b32 s4, exec_lo
	s_wait_loadcnt 0x0
	v_cmpx_gt_u32_e32 24, v0
	s_cbranch_execz .LBB356_5
; %bb.4:
	scratch_load_b32 v0, off, off offset:172 ; 4-byte Folded Reload
	s_load_b64 s[6:7], s[0:1], 0x18
	s_wait_kmcnt 0x0
	s_mul_i32 s14, s16, s19
	s_ashr_i32 s21, s20, 31
	s_ashr_i32 s15, s14, 31
	s_delay_alu instid0(SALU_CYCLE_1) | instskip(NEXT) | instid1(SALU_CYCLE_1)
	s_lshl_b64 s[14:15], s[14:15], 1
	s_add_nc_u64 s[6:7], s[6:7], s[14:15]
	s_lshl_b64 s[14:15], s[20:21], 1
	s_delay_alu instid0(SALU_CYCLE_1)
	s_add_nc_u64 s[6:7], s[6:7], s[14:15]
	s_wait_loadcnt 0x0
	v_lshlrev_b32_e32 v4, 4, v0
	global_load_b128 v[0:3], v4, s[6:7]
	s_wait_loadcnt 0x0
	ds_store_b128 v4, v[0:3]
.LBB356_5:
	s_or_b32 exec_lo, exec_lo, s4
	s_load_b128 s[4:7], s[0:1], 0x78
	s_mul_i32 s11, s9, s10
	s_xor_b32 s3, s3, s8
	s_sub_co_i32 s2, s2, s11
	s_add_co_i32 s8, s9, 1
	s_wait_alu 0xfffe
	s_sub_co_i32 s11, s2, s10
	s_cmp_ge_u32 s2, s10
                                        ; implicit-def: $sgpr21
	s_cselect_b32 s8, s8, s9
	s_cselect_b32 s2, s11, s2
	s_add_co_i32 s9, s8, 1
	s_wait_alu 0xfffe
	s_cmp_ge_u32 s2, s10
	s_mov_b32 s10, -1
	s_cselect_b32 s2, s9, s8
	s_load_b32 s8, s[0:1], 0x88
	s_xor_b32 s2, s2, s3
	s_wait_storecnt_dscnt 0x0
	s_wait_alu 0xfffe
	s_sub_co_i32 s28, s2, s3
	s_barrier_signal -1
	s_barrier_wait -1
	s_wait_kmcnt 0x0
	s_abs_i32 s16, s7
	global_inv scope:SCOPE_SE
	s_cvt_f32_u32 s9, s16
	s_delay_alu instid0(SALU_CYCLE_3) | instskip(NEXT) | instid1(TRANS32_DEP_1)
	v_rcp_iflag_f32_e32 v0, s9
	v_readfirstlane_b32 s9, v0
	s_mul_f32 s2, s9, 0x4f7ffffe
	s_add_co_i32 s9, s34, -1
	s_wait_alu 0xfffe
	s_delay_alu instid0(SALU_CYCLE_1) | instskip(SKIP_2) | instid1(SALU_CYCLE_1)
	s_cvt_u32_f32 s11, s2
	s_sub_co_i32 s2, 0, s16
	s_wait_alu 0xfffe
	s_mul_i32 s3, s2, s11
	s_abs_i32 s2, s9
	s_wait_alu 0xfffe
	s_mul_hi_u32 s14, s11, s3
	s_mov_b32 s3, 0
	s_add_co_i32 s22, s11, s14
	s_cmp_lt_i32 s8, 0
	s_wait_alu 0xfffe
	s_mov_b32 s23, s3
	s_cbranch_scc0 .LBB356_7
; %bb.6:
	s_mul_i32 s10, s4, s12
	s_delay_alu instid0(SALU_CYCLE_1) | instskip(NEXT) | instid1(SALU_CYCLE_1)
	s_add_co_i32 s10, s28, s10
	s_mul_i32 s10, s10, s8
	s_delay_alu instid0(SALU_CYCLE_1)
	s_sub_co_i32 s21, 1, s10
	s_mov_b32 s10, s3
.LBB356_7:
	s_mul_u64 s[14:15], s[2:3], s[22:23]
	s_ashr_i32 s3, s9, 31
	s_and_not1_b32 vcc_lo, exec_lo, s10
	s_ashr_i32 s23, s7, 31
	s_cbranch_vccnz .LBB356_9
; %bb.8:
	s_mul_i32 s4, s37, s4
	s_delay_alu instid0(SALU_CYCLE_1) | instskip(NEXT) | instid1(SALU_CYCLE_1)
	s_add_co_i32 s4, s4, ttmp9
	s_mul_i32 s4, s4, s8
	s_delay_alu instid0(SALU_CYCLE_1)
	s_add_co_i32 s21, s4, 1
.LBB356_9:
	s_mul_i32 s7, s15, s16
	s_clause 0x1
	s_load_b32 s4, s[0:1], 0x48
	s_load_b64 s[24:25], s[0:1], 0x38
	s_sub_co_i32 s2, s2, s7
	s_clause 0x1
	s_load_b32 s7, s[0:1], 0x98
	s_load_b128 s[8:11], s[0:1], 0x68
	scratch_load_b32 v0, off, off offset:172 ; 4-byte Folded Reload
	s_xor_b32 s3, s3, s23
	s_add_co_i32 s12, s15, 1
	v_mov_b32_e32 v4, 0xff7fffff
	s_mul_i32 s28, s28, s18
	s_wait_kmcnt 0x0
	s_mul_i32 s26, s4, s19
	s_sub_co_i32 s4, s2, s16
	s_ashr_i32 s27, s26, 31
	s_cmp_ge_u32 s2, s16
	s_cselect_b32 s12, s12, s15
	s_cselect_b32 s2, s4, s2
	s_add_co_i32 s4, s12, 1
	s_wait_alu 0xfffe
	s_cmp_ge_u32 s2, s16
	s_cselect_b32 s2, s4, s12
	s_add_co_i32 s4, s34, 31
	s_lshl_b32 s40, s33, 4
	s_ashr_i32 s12, s4, 31
	s_add_co_i32 s14, s40, 16
	s_lshr_b32 s12, s12, 27
	s_delay_alu instid0(SALU_CYCLE_1) | instskip(NEXT) | instid1(SALU_CYCLE_1)
	s_add_co_i32 s4, s4, s12
	s_ashr_i32 s38, s4, 5
	s_wait_alu 0xfffe
	s_xor_b32 s4, s2, s3
	s_min_i32 s35, s14, s38
	s_sub_co_i32 s39, s4, s3
	s_wait_loadcnt 0x0
	v_lshrrev_b32_e32 v1, 5, v0
	s_delay_alu instid0(VALU_DEP_1)
	v_add_nc_u32_e32 v2, s40, v1
	v_and_b32_e32 v0, 31, v0
	scratch_store_b32 off, v1, off offset:884 ; 4-byte Folded Spill
	v_mov_b32_e32 v1, v2
	v_cmp_gt_i32_e64 s2, s35, v2
	v_lshlrev_b32_e32 v10, 2, v0
	s_clause 0x1
	scratch_store_b32 off, v0, off offset:176
	scratch_store_b64 off, v[1:2], off offset:888
	s_and_saveexec_b32 s12, s2
	s_cbranch_execz .LBB356_17
; %bb.10:
	v_mov_b32_e32 v0, 0
	s_sub_co_i32 s14, s39, s5
	s_ashr_i32 s29, s28, 31
	s_cmp_neq_f32 s30, 0
	s_load_b64 s[42:43], s[0:1], 0x20
	ds_load_b128 v[1:4], v0
	ds_load_b128 v[5:8], v0 offset:16
	s_mov_b32 s18, s17
	s_cselect_b32 vcc_lo, -1, 0
	s_abs_i32 s15, s6
	s_delay_alu instid0(SALU_CYCLE_1)
	s_cvt_f32_u32 s3, s15
	s_sub_co_i32 s4, 0, s15
	s_wait_kmcnt 0x0
	s_add_nc_u64 s[42:43], s[42:43], s[28:29]
	s_wait_dscnt 0x1
	v_lshlrev_b32_e32 v9, 16, v1
	v_and_b32_e32 v1, 0xffff0000, v1
	s_mov_b32 s29, 0
	s_clause 0x1
	scratch_store_b32 off, v9, off offset:92
	scratch_store_b32 off, v1, off offset:96
	v_lshlrev_b32_e32 v1, 16, v2
	scratch_store_b32 off, v1, off offset:100 ; 4-byte Folded Spill
	v_and_b32_e32 v1, 0xffff0000, v2
	scratch_store_b32 off, v1, off offset:104 ; 4-byte Folded Spill
	v_lshlrev_b32_e32 v1, 16, v3
	scratch_store_b32 off, v1, off offset:108 ; 4-byte Folded Spill
	v_and_b32_e32 v1, 0xffff0000, v3
	scratch_store_b32 off, v1, off offset:112 ; 4-byte Folded Spill
	v_lshlrev_b32_e32 v1, 16, v4
	scratch_store_b32 off, v1, off offset:116 ; 4-byte Folded Spill
	v_and_b32_e32 v1, 0xffff0000, v4
	scratch_store_b32 off, v1, off offset:120 ; 4-byte Folded Spill
	s_wait_dscnt 0x0
	v_lshlrev_b32_e32 v1, 16, v5
	scratch_store_b32 off, v1, off offset:124 ; 4-byte Folded Spill
	v_and_b32_e32 v1, 0xffff0000, v5
	scratch_store_b32 off, v1, off offset:128 ; 4-byte Folded Spill
	v_lshlrev_b32_e32 v1, 16, v6
	scratch_store_b32 off, v1, off offset:132 ; 4-byte Folded Spill
	v_and_b32_e32 v1, 0xffff0000, v6
	scratch_store_b32 off, v1, off offset:136 ; 4-byte Folded Spill
	v_lshlrev_b32_e32 v1, 16, v7
	scratch_store_b32 off, v1, off offset:140 ; 4-byte Folded Spill
	v_and_b32_e32 v1, 0xffff0000, v7
	scratch_store_b32 off, v1, off offset:144 ; 4-byte Folded Spill
	v_lshlrev_b32_e32 v1, 16, v8
	scratch_store_b32 off, v1, off offset:148 ; 4-byte Folded Spill
	v_and_b32_e32 v1, 0xffff0000, v8
	scratch_store_b32 off, v1, off offset:152 ; 4-byte Folded Spill
	ds_load_b128 v[1:4], v0 offset:32
	ds_load_b128 v[5:8], v0 offset:48
	s_wait_dscnt 0x1
	v_lshlrev_b32_e32 v9, 16, v1
	v_and_b32_e32 v1, 0xffff0000, v1
	s_clause 0x1
	scratch_store_b32 off, v9, off offset:156
	scratch_store_b32 off, v1, off offset:160
	v_lshlrev_b32_e32 v1, 16, v2
	scratch_store_b32 off, v1, off offset:164 ; 4-byte Folded Spill
	v_and_b32_e32 v1, 0xffff0000, v2
	scratch_store_b32 off, v1, off offset:168 ; 4-byte Folded Spill
	v_lshlrev_b32_e32 v1, 16, v3
	scratch_store_b32 off, v1, off offset:180 ; 4-byte Folded Spill
	v_and_b32_e32 v1, 0xffff0000, v3
	scratch_store_b32 off, v1, off offset:184 ; 4-byte Folded Spill
	v_lshlrev_b32_e32 v1, 16, v4
	scratch_store_b32 off, v1, off offset:192 ; 4-byte Folded Spill
	v_and_b32_e32 v1, 0xffff0000, v4
	scratch_store_b32 off, v1, off offset:196 ; 4-byte Folded Spill
	s_wait_dscnt 0x0
	v_lshlrev_b32_e32 v1, 16, v5
	scratch_store_b32 off, v1, off offset:200 ; 4-byte Folded Spill
	v_and_b32_e32 v1, 0xffff0000, v5
	scratch_store_b32 off, v1, off offset:204 ; 4-byte Folded Spill
	v_lshlrev_b32_e32 v1, 16, v6
	scratch_store_b32 off, v1, off offset:208 ; 4-byte Folded Spill
	v_and_b32_e32 v1, 0xffff0000, v6
	scratch_store_b32 off, v1, off offset:212 ; 4-byte Folded Spill
	v_lshlrev_b32_e32 v1, 16, v7
	scratch_store_b32 off, v1, off offset:216 ; 4-byte Folded Spill
	v_and_b32_e32 v1, 0xffff0000, v7
	scratch_store_b32 off, v1, off offset:220 ; 4-byte Folded Spill
	v_lshlrev_b32_e32 v1, 16, v8
	scratch_store_b32 off, v1, off offset:224 ; 4-byte Folded Spill
	v_and_b32_e32 v1, 0xffff0000, v8
	scratch_store_b32 off, v1, off offset:228 ; 4-byte Folded Spill
	ds_load_b128 v[1:4], v0 offset:64
	ds_load_b128 v[5:8], v0 offset:80
	s_wait_dscnt 0x1
	v_lshlrev_b32_e32 v9, 16, v1
	v_and_b32_e32 v1, 0xffff0000, v1
	;; [unrolled: 37-line block ×10, first 2 shown]
	s_clause 0x1
	scratch_store_b32 off, v9, off offset:744
	scratch_store_b32 off, v1, off offset:748
	v_lshlrev_b32_e32 v1, 16, v2
	scratch_store_b32 off, v1, off offset:752 ; 4-byte Folded Spill
	v_and_b32_e32 v1, 0xffff0000, v2
	scratch_store_b32 off, v1, off offset:756 ; 4-byte Folded Spill
	v_lshlrev_b32_e32 v1, 16, v3
	scratch_store_b32 off, v1, off offset:760 ; 4-byte Folded Spill
	v_and_b32_e32 v1, 0xffff0000, v3
	scratch_store_b32 off, v1, off offset:764 ; 4-byte Folded Spill
	;; [unrolled: 4-line block ×3, first 2 shown]
	s_wait_dscnt 0x0
	v_lshlrev_b32_e32 v1, 16, v5
	scratch_store_b32 off, v1, off offset:776 ; 4-byte Folded Spill
	v_and_b32_e32 v1, 0xffff0000, v5
	scratch_store_b32 off, v1, off offset:780 ; 4-byte Folded Spill
	v_lshlrev_b32_e32 v1, 16, v6
	scratch_store_b32 off, v1, off offset:784 ; 4-byte Folded Spill
	v_and_b32_e32 v1, 0xffff0000, v6
	scratch_store_b32 off, v1, off offset:788 ; 4-byte Folded Spill
	;; [unrolled: 4-line block ×4, first 2 shown]
	ds_load_b128 v[1:4], v0 offset:352
	ds_load_b128 v[5:8], v0 offset:368
	scratch_store_b32 off, v10, off offset:896 ; 4-byte Folded Spill
	s_wait_dscnt 0x1
	v_lshlrev_b32_e32 v0, 16, v1
	scratch_store_b32 off, v0, off offset:808 ; 4-byte Folded Spill
	v_and_b32_e32 v0, 0xffff0000, v1
	scratch_load_b32 v1, off, off offset:176 ; 4-byte Folded Reload
	scratch_store_b32 off, v0, off offset:812 ; 4-byte Folded Spill
	v_lshlrev_b32_e32 v0, 16, v2
	scratch_store_b32 off, v0, off offset:816 ; 4-byte Folded Spill
	v_and_b32_e32 v0, 0xffff0000, v2
	scratch_store_b32 off, v0, off offset:820 ; 4-byte Folded Spill
	v_lshlrev_b32_e32 v0, 16, v3
	scratch_store_b32 off, v0, off offset:824 ; 4-byte Folded Spill
	v_and_b32_e32 v0, 0xffff0000, v3
	;; [unrolled: 4-line block ×3, first 2 shown]
	v_mov_b32_e32 v4, 0xff7fffff
	scratch_store_b32 off, v0, off offset:836 ; 4-byte Folded Spill
	s_wait_dscnt 0x0
	v_lshlrev_b32_e32 v0, 16, v5
	scratch_store_b32 off, v0, off offset:840 ; 4-byte Folded Spill
	v_and_b32_e32 v0, 0xffff0000, v5
	scratch_store_b32 off, v0, off offset:844 ; 4-byte Folded Spill
	v_lshlrev_b32_e32 v0, 16, v6
	scratch_store_b32 off, v0, off offset:848 ; 4-byte Folded Spill
	v_and_b32_e32 v0, 0xffff0000, v6
	scratch_store_b32 off, v0, off offset:852 ; 4-byte Folded Spill
	;; [unrolled: 4-line block ×4, first 2 shown]
	s_wait_alu 0xfffe
	v_rcp_iflag_f32_e32 v0, s3
	s_delay_alu instid0(TRANS32_DEP_1) | instskip(SKIP_2) | instid1(SALU_CYCLE_2)
	v_readfirstlane_b32 s3, v0
	s_mul_f32 s3, s3, 0x4f7ffffe
	s_wait_alu 0xfffe
	s_cvt_u32_f32 s3, s3
	s_wait_alu 0xfffe
	s_delay_alu instid0(SALU_CYCLE_2) | instskip(NEXT) | instid1(SALU_CYCLE_1)
	s_mul_i32 s4, s4, s3
	s_mul_hi_u32 s4, s3, s4
	s_wait_loadcnt 0x0
	v_lshlrev_b32_e32 v0, 4, v1
	s_delay_alu instid0(VALU_DEP_1) | instskip(NEXT) | instid1(VALU_DEP_1)
	v_add_co_u32 v2, s31, s42, v0
	v_add_co_ci_u32_e64 v3, null, s43, 0, s31
	s_lshl_b64 s[42:43], s[26:27], 2
	s_add_co_i32 s31, s3, s4
	s_wait_alu 0xfffe
	s_add_nc_u64 s[42:43], s[24:25], s[42:43]
	scratch_store_b64 off, v[2:3], off offset:872 ; 8-byte Folded Spill
	scratch_load_b64 v[2:3], off, off offset:888 ; 8-byte Folded Reload
	s_wait_loadcnt 0x0
	v_lshlrev_b32_e32 v0, 2, v2
	v_mov_b32_e32 v22, v2
	s_wait_alu 0xfffe
	s_delay_alu instid0(VALU_DEP_2)
	v_add_co_u32 v17, s3, s42, v0
	v_subrev_nc_u32_e32 v0, s34, v1
	scratch_load_b32 v1, off, off offset:884 ; 4-byte Folded Reload
	s_wait_alu 0xf1ff
	v_add_co_ci_u32_e64 v18, null, s43, 0, s3
	v_add_nc_u32_e32 v0, 1, v0
	scratch_store_b32 off, v0, off offset:880 ; 4-byte Folded Spill
	s_wait_loadcnt 0x0
	v_lshl_or_b32 v0, v1, 7, v10
	v_lshl_add_u32 v21, v1, 5, s36
	s_delay_alu instid0(VALU_DEP_2)
	v_add_nc_u32_e32 v20, 0x1a0, v0
	s_branch .LBB356_12
.LBB356_11:                             ;   in Loop: Header=BB356_12 Depth=1
	s_or_b32 exec_lo, exec_lo, s4
	v_add_nc_u32_e32 v22, 4, v22
	v_add_co_u32 v17, s3, v17, 16
	s_wait_alu 0xf1ff
	v_add_co_ci_u32_e64 v18, null, 0, v18, s3
	s_delay_alu instid0(VALU_DEP_3) | instskip(SKIP_3) | instid1(SALU_CYCLE_1)
	v_cmp_le_i32_e64 s3, s35, v22
	v_add_nc_u32_e32 v21, 0x80, v21
	v_add_nc_u32_e32 v20, 0x200, v20
	s_or_b32 s29, s3, s29
	s_and_not1_b32 exec_lo, exec_lo, s29
	s_cbranch_execz .LBB356_16
.LBB356_12:                             ; =>This Inner Loop Header: Depth=1
	s_delay_alu instid0(VALU_DEP_2) | instskip(NEXT) | instid1(VALU_DEP_1)
	v_sub_nc_u32_e32 v0, 0, v21
	v_max_i32_e32 v0, v21, v0
	s_delay_alu instid0(VALU_DEP_1) | instskip(NEXT) | instid1(VALU_DEP_1)
	v_mul_hi_u32 v1, v0, s22
	v_mul_lo_u32 v2, v1, s16
	s_delay_alu instid0(VALU_DEP_1) | instskip(SKIP_1) | instid1(VALU_DEP_2)
	v_sub_nc_u32_e32 v0, v0, v2
	v_add_nc_u32_e32 v2, 1, v1
	v_subrev_nc_u32_e32 v3, s16, v0
	v_cmp_le_u32_e64 s3, s16, v0
	s_wait_alu 0xf1ff
	s_delay_alu instid0(VALU_DEP_1) | instskip(NEXT) | instid1(VALU_DEP_3)
	v_cndmask_b32_e64 v1, v1, v2, s3
	v_cndmask_b32_e64 v0, v0, v3, s3
	v_ashrrev_i32_e32 v2, 31, v21
	s_delay_alu instid0(VALU_DEP_3) | instskip(NEXT) | instid1(VALU_DEP_3)
	v_add_nc_u32_e32 v3, 1, v1
	v_cmp_le_u32_e64 s3, s16, v0
	s_delay_alu instid0(VALU_DEP_3) | instskip(SKIP_1) | instid1(VALU_DEP_2)
	v_xor_b32_e32 v2, s23, v2
	s_wait_alu 0xf1ff
	v_cndmask_b32_e64 v0, v1, v3, s3
	s_delay_alu instid0(VALU_DEP_1) | instskip(NEXT) | instid1(VALU_DEP_1)
	v_xor_b32_e32 v0, v0, v2
	v_sub_nc_u32_e32 v0, v0, v2
	s_delay_alu instid0(VALU_DEP_1) | instskip(SKIP_1) | instid1(VALU_DEP_2)
	v_add_nc_u32_e32 v1, s21, v0
	v_cmp_ge_i32_e64 s4, s14, v0
	v_sub_nc_u32_e32 v2, 0, v1
	s_delay_alu instid0(VALU_DEP_1) | instskip(SKIP_1) | instid1(VALU_DEP_2)
	v_max_i32_e32 v2, v1, v2
	v_ashrrev_i32_e32 v1, 31, v1
	v_mul_hi_u32 v3, v2, s31
	s_delay_alu instid0(VALU_DEP_1) | instskip(NEXT) | instid1(VALU_DEP_1)
	v_mul_lo_u32 v3, v3, s15
	v_sub_nc_u32_e32 v2, v2, v3
	s_delay_alu instid0(VALU_DEP_1) | instskip(SKIP_2) | instid1(VALU_DEP_1)
	v_subrev_nc_u32_e32 v3, s15, v2
	v_cmp_le_u32_e64 s3, s15, v2
	s_wait_alu 0xf1ff
	v_cndmask_b32_e64 v2, v2, v3, s3
	s_delay_alu instid0(VALU_DEP_1) | instskip(SKIP_2) | instid1(VALU_DEP_1)
	v_subrev_nc_u32_e32 v3, s15, v2
	v_cmp_le_u32_e64 s3, s15, v2
	s_wait_alu 0xf1ff
	v_cndmask_b32_e64 v2, v2, v3, s3
	s_delay_alu instid0(VALU_DEP_1) | instskip(NEXT) | instid1(VALU_DEP_1)
	v_xor_b32_e32 v2, v2, v1
	v_sub_nc_u32_e32 v1, v2, v1
	s_delay_alu instid0(VALU_DEP_1) | instskip(SKIP_3) | instid1(SALU_CYCLE_1)
	v_cmp_ne_u32_e64 s3, 0, v1
	s_and_b32 s3, s3, s4
	s_wait_alu 0xfffe
	s_and_saveexec_b32 s4, s3
	s_xor_b32 s3, exec_lo, s4
; %bb.13:                               ;   in Loop: Header=BB356_12 Depth=1
	v_mov_b32_e32 v0, 0xff7fffff
	ds_store_b32 v20, v0
; %bb.14:                               ;   in Loop: Header=BB356_12 Depth=1
	s_wait_alu 0xfffe
	s_and_not1_saveexec_b32 s4, s3
	s_cbranch_execz .LBB356_11
; %bb.15:                               ;   in Loop: Header=BB356_12 Depth=1
	global_load_b32 v0, v[17:18], off
	scratch_load_b64 v[1:2], off, off offset:872 ; 8-byte Folded Reload
	s_load_b32 s41, s[8:9], 0x0
	scratch_store_b32 off, v4, off          ; 4-byte Folded Spill
	s_wait_loadcnt 0x0
	v_mad_co_i64_i32 v[5:6], null, v0, s18, v[1:2]
	s_clause 0x1
	global_load_b128 v[11:14], v[5:6], off
	global_load_b128 v[31:34], v[5:6], off offset:1024
	s_wait_loadcnt 0x1
	v_and_b32_e32 v30, 0xff, v11
	v_bfe_u32 v47, v11, 8, 8
	v_bfe_u32 v51, v11, 16, 8
	v_lshrrev_b32_e32 v57, 24, v11
	v_and_b32_e32 v11, 0xff, v12
	v_bfe_u32 v71, v12, 8, 8
	v_bfe_u32 v76, v12, 16, 8
	v_lshrrev_b32_e32 v84, 24, v12
	;; [unrolled: 4-line block ×4, first 2 shown]
	global_load_b128 v[12:15], v[5:6], off offset:512
	s_wait_loadcnt 0x1
	v_and_b32_e32 v63, 0xff, v31
	v_lshrrev_b32_e32 v25, 24, v31
	v_and_b32_e32 v28, 0xff, v32
	v_bfe_u32 v187, v32, 8, 8
	v_bfe_u32 v183, v32, 16, 8
	v_lshrrev_b32_e32 v179, 24, v32
	v_and_b32_e32 v36, 0xff, v33
	v_bfe_u32 v72, v33, 8, 8
	v_bfe_u32 v158, v33, 16, 8
	;; [unrolled: 4-line block ×3, first 2 shown]
	v_lshrrev_b32_e32 v112, 24, v34
	s_wait_loadcnt 0x0
	v_and_b32_e32 v83, 0xff, v12
	v_bfe_u32 v64, v12, 8, 8
	v_bfe_u32 v176, v12, 16, 8
	v_lshrrev_b32_e32 v181, 24, v12
	v_and_b32_e32 v184, 0xff, v13
	v_bfe_u32 v188, v13, 8, 8
	v_bfe_u32 v191, v13, 16, 8
	v_lshrrev_b32_e32 v23, 24, v13
	;; [unrolled: 4-line block ×3, first 2 shown]
	v_bfe_u32 v13, v31, 8, 8
	v_bfe_u32 v15, v31, 16, 8
	global_load_b128 v[31:34], v[5:6], off offset:1536
	v_and_b32_e32 v19, 0xff, v14
	v_bfe_u32 v9, v14, 8, 8
	v_bfe_u32 v7, v14, 16, 8
	v_lshrrev_b32_e32 v38, 24, v14
	s_wait_loadcnt 0x0
	v_and_b32_e32 v14, 0xff, v31
	v_bfe_u32 v37, v31, 8, 8
	v_bfe_u32 v16, v31, 16, 8
	v_lshrrev_b32_e32 v24, 24, v31
	v_and_b32_e32 v26, 0xff, v32
	v_bfe_u32 v27, v32, 8, 8
	v_bfe_u32 v29, v32, 16, 8
	v_lshrrev_b32_e32 v190, 24, v32
	v_and_b32_e32 v189, 0xff, v33
	v_bfe_u32 v186, v33, 8, 8
	v_bfe_u32 v185, v33, 16, 8
	v_lshrrev_b32_e32 v182, 24, v33
	v_and_b32_e32 v180, 0xff, v34
	v_bfe_u32 v178, v34, 8, 8
	v_bfe_u32 v175, v34, 16, 8
	v_lshrrev_b32_e32 v172, 24, v34
	global_load_b128 v[31:34], v[5:6], off offset:2048
	s_wait_loadcnt 0x0
	v_and_b32_e32 v168, 0xff, v31
	v_bfe_u32 v162, v31, 8, 8
	v_bfe_u32 v154, v31, 16, 8
	v_lshrrev_b32_e32 v147, 24, v31
	v_and_b32_e32 v138, 0xff, v32
	v_bfe_u32 v131, v32, 8, 8
	v_bfe_u32 v125, v32, 16, 8
	v_lshrrev_b32_e32 v116, 24, v32
	v_and_b32_e32 v107, 0xff, v33
	v_bfe_u32 v102, v33, 8, 8
	v_bfe_u32 v96, v33, 16, 8
	v_lshrrev_b32_e32 v88, 24, v33
	v_and_b32_e32 v79, 0xff, v34
	v_bfe_u32 v70, v34, 8, 8
	v_bfe_u32 v62, v34, 16, 8
	v_lshrrev_b32_e32 v54, 24, v34
	global_load_b128 v[31:34], v[5:6], off offset:2560
	;; [unrolled: 18-line block ×4, first 2 shown]
	s_wait_loadcnt 0x0
	v_and_b32_e32 v140, 0xff, v32
	v_bfe_u32 v135, v32, 8, 8
	v_bfe_u32 v134, v32, 16, 8
	v_lshrrev_b32_e32 v132, 24, v32
	v_and_b32_e32 v128, 0xff, v33
	v_bfe_u32 v127, v33, 8, 8
	v_bfe_u32 v124, v33, 16, 8
	v_lshrrev_b32_e32 v121, 24, v33
	;; [unrolled: 4-line block ×3, first 2 shown]
	global_load_b128 v[32:35], v[5:6], off offset:4096
	v_and_b32_e32 v152, 0xff, v31
	v_bfe_u32 v148, v31, 8, 8
	v_bfe_u32 v145, v31, 16, 8
	v_lshrrev_b32_e32 v142, 24, v31
	s_wait_loadcnt 0x0
	v_and_b32_e32 v0, 0xff, v35
	v_and_b32_e32 v105, 0xff, v32
	v_bfe_u32 v99, v32, 8, 8
	v_bfe_u32 v93, v32, 16, 8
	v_lshrrev_b32_e32 v86, 24, v32
	scratch_store_b32 off, v0, off offset:44 ; 4-byte Folded Spill
	v_bfe_u32 v0, v35, 8, 8
	v_and_b32_e32 v75, 0xff, v33
	v_bfe_u32 v67, v33, 8, 8
	v_bfe_u32 v60, v33, 16, 8
	v_lshrrev_b32_e32 v52, 24, v33
	scratch_store_b32 off, v0, off offset:40 ; 4-byte Folded Spill
	v_bfe_u32 v0, v35, 16, 8
	v_and_b32_e32 v45, 0xff, v34
	v_bfe_u32 v42, v34, 8, 8
	v_bfe_u32 v39, v34, 16, 8
	v_lshrrev_b32_e32 v164, 24, v34
	scratch_store_b32 off, v0, off offset:32 ; 4-byte Folded Spill
	v_lshrrev_b32_e32 v0, 24, v35
	global_load_b128 v[31:34], v[5:6], off offset:4608
	scratch_store_b32 off, v0, off offset:24 ; 4-byte Folded Spill
	global_load_b128 v[0:3], v[5:6], off offset:5120
	s_wait_loadcnt 0x1
	v_and_b32_e32 v119, 0xff, v31
	v_bfe_u32 v117, v31, 8, 8
	v_bfe_u32 v113, v31, 16, 8
	v_lshrrev_b32_e32 v110, 24, v31
	v_and_b32_e32 v98, 0xff, v33
	s_wait_loadcnt 0x0
	v_and_b32_e32 v74, 0xff, v0
	v_bfe_u32 v66, v0, 8, 8
	v_bfe_u32 v58, v0, 16, 8
	v_lshrrev_b32_e32 v50, 24, v0
	v_bfe_u32 v0, v2, 8, 8
	v_bfe_u32 v97, v33, 8, 8
	;; [unrolled: 1-line block ×3, first 2 shown]
	v_lshrrev_b32_e32 v92, 24, v33
	v_and_b32_e32 v44, 0xff, v1
	scratch_store_b32 off, v0, off offset:36 ; 4-byte Folded Spill
	v_bfe_u32 v0, v2, 16, 8
	v_bfe_u32 v41, v1, 8, 8
	;; [unrolled: 1-line block ×3, first 2 shown]
	v_lshrrev_b32_e32 v35, 24, v1
	v_and_b32_e32 v33, 0xff, v2
	scratch_store_b32 off, v0, off offset:28 ; 4-byte Folded Spill
	v_lshrrev_b32_e32 v0, 24, v2
	v_and_b32_e32 v90, 0xff, v34
	v_bfe_u32 v85, v34, 8, 8
	v_bfe_u32 v82, v34, 16, 8
	v_lshrrev_b32_e32 v80, 24, v34
	scratch_store_b32 off, v0, off offset:20 ; 4-byte Folded Spill
	v_and_b32_e32 v0, 0xff, v3
	v_and_b32_e32 v108, 0xff, v32
	v_bfe_u32 v104, v32, 8, 8
	v_bfe_u32 v103, v32, 16, 8
	v_lshrrev_b32_e32 v101, 24, v32
	scratch_store_b32 off, v0, off offset:16 ; 4-byte Folded Spill
	v_bfe_u32 v0, v3, 8, 8
	scratch_store_b32 off, v0, off offset:12 ; 4-byte Folded Spill
	v_bfe_u32 v0, v3, 16, 8
	scratch_store_b32 off, v0, off offset:8 ; 4-byte Folded Spill
	v_lshrrev_b32_e32 v0, 24, v3
	scratch_store_b32 off, v0, off offset:4 ; 4-byte Folded Spill
	global_load_b128 v[0:3], v[5:6], off offset:5632
	s_wait_loadcnt 0x0
	v_and_b32_e32 v91, 0xff, v0
	v_bfe_u32 v89, v0, 8, 8
	v_bfe_u32 v48, v0, 16, 8
	v_lshrrev_b32_e32 v81, 24, v0
	v_and_b32_e32 v0, 0xff, v3
	v_and_b32_e32 v78, 0xff, v1
	v_bfe_u32 v49, v1, 8, 8
	v_bfe_u32 v73, v1, 16, 8
	v_lshrrev_b32_e32 v68, 24, v1
	scratch_store_b32 off, v0, off offset:72 ; 4-byte Folded Spill
	v_bfe_u32 v0, v3, 8, 8
	v_bfe_u32 v65, v2, 8, 8
	;; [unrolled: 1-line block ×3, first 2 shown]
	v_lshrrev_b32_e32 v56, 24, v2
	scratch_store_b32 off, v0, off offset:64 ; 4-byte Folded Spill
	v_bfe_u32 v0, v3, 16, 8
	scratch_store_b32 off, v0, off offset:60 ; 4-byte Folded Spill
	v_lshrrev_b32_e32 v0, 24, v3
	scratch_store_b32 off, v0, off offset:52 ; 4-byte Folded Spill
	v_cvt_f32_fp8_e32 v0, v30
	s_wait_kmcnt 0x0
	s_delay_alu instid0(VALU_DEP_1) | instskip(NEXT) | instid1(VALU_DEP_1)
	v_mul_f32_e32 v0, s41, v0
	v_bfe_u32 v1, v0, 16, 1
	v_cmp_u_f32_e64 s3, v0, v0
	s_delay_alu instid0(VALU_DEP_2) | instskip(SKIP_2) | instid1(VALU_DEP_1)
	v_add3_u32 v1, v1, v0, 0x7fff
	v_or_b32_e32 v0, 0x400000, v0
	s_wait_alu 0xf1ff
	v_cndmask_b32_e64 v0, v1, v0, s3
	scratch_store_b32 off, v0, off offset:48 ; 4-byte Folded Spill
	v_cvt_f32_fp8_e32 v0, v47
	s_delay_alu instid0(VALU_DEP_1) | instskip(NEXT) | instid1(VALU_DEP_1)
	v_mul_f32_e32 v0, s41, v0
	v_bfe_u32 v1, v0, 16, 1
	v_cmp_u_f32_e64 s3, v0, v0
	s_delay_alu instid0(VALU_DEP_2) | instskip(SKIP_2) | instid1(VALU_DEP_1)
	v_add3_u32 v1, v1, v0, 0x7fff
	v_or_b32_e32 v0, 0x400000, v0
	s_wait_alu 0xf1ff
	v_cndmask_b32_e64 v0, v1, v0, s3
	scratch_store_b32 off, v0, off offset:56 ; 4-byte Folded Spill
	v_cvt_f32_fp8_e32 v0, v51
	s_delay_alu instid0(VALU_DEP_1) | instskip(NEXT) | instid1(VALU_DEP_1)
	v_mul_f32_e32 v0, s41, v0
	v_bfe_u32 v1, v0, 16, 1
	v_cmp_u_f32_e64 s3, v0, v0
	s_delay_alu instid0(VALU_DEP_2) | instskip(SKIP_2) | instid1(VALU_DEP_1)
	v_add3_u32 v1, v1, v0, 0x7fff
	v_or_b32_e32 v0, 0x400000, v0
	s_wait_alu 0xf1ff
	v_cndmask_b32_e64 v0, v1, v0, s3
	scratch_store_b32 off, v0, off offset:68 ; 4-byte Folded Spill
	v_cvt_f32_fp8_e32 v0, v57
	s_delay_alu instid0(VALU_DEP_1) | instskip(NEXT) | instid1(VALU_DEP_1)
	v_mul_f32_e32 v0, s41, v0
	v_bfe_u32 v1, v0, 16, 1
	v_cmp_u_f32_e64 s3, v0, v0
	s_delay_alu instid0(VALU_DEP_2) | instskip(SKIP_2) | instid1(VALU_DEP_1)
	v_add3_u32 v1, v1, v0, 0x7fff
	v_or_b32_e32 v0, 0x400000, v0
	s_wait_alu 0xf1ff
	v_cndmask_b32_e64 v0, v1, v0, s3
	scratch_store_b32 off, v0, off offset:76 ; 4-byte Folded Spill
	v_cvt_f32_fp8_e32 v0, v11
	s_delay_alu instid0(VALU_DEP_1) | instskip(NEXT) | instid1(VALU_DEP_1)
	v_mul_f32_e32 v0, s41, v0
	v_bfe_u32 v1, v0, 16, 1
	v_cmp_u_f32_e64 s3, v0, v0
	s_delay_alu instid0(VALU_DEP_2) | instskip(SKIP_2) | instid1(VALU_DEP_1)
	v_add3_u32 v1, v1, v0, 0x7fff
	v_or_b32_e32 v0, 0x400000, v0
	s_wait_alu 0xf1ff
	v_cndmask_b32_e64 v0, v1, v0, s3
	scratch_store_b32 off, v0, off offset:80 ; 4-byte Folded Spill
	v_cvt_f32_fp8_e32 v0, v71
	s_delay_alu instid0(VALU_DEP_1) | instskip(NEXT) | instid1(VALU_DEP_1)
	v_mul_f32_e32 v0, s41, v0
	v_bfe_u32 v1, v0, 16, 1
	v_cmp_u_f32_e64 s3, v0, v0
	s_delay_alu instid0(VALU_DEP_2) | instskip(SKIP_2) | instid1(VALU_DEP_1)
	v_add3_u32 v1, v1, v0, 0x7fff
	v_or_b32_e32 v0, 0x400000, v0
	s_wait_alu 0xf1ff
	v_cndmask_b32_e64 v0, v1, v0, s3
	scratch_store_b32 off, v0, off offset:84 ; 4-byte Folded Spill
	v_cvt_f32_fp8_e32 v0, v76
	s_delay_alu instid0(VALU_DEP_1) | instskip(NEXT) | instid1(VALU_DEP_1)
	v_mul_f32_e32 v0, s41, v0
	v_bfe_u32 v1, v0, 16, 1
	v_cmp_u_f32_e64 s3, v0, v0
	s_delay_alu instid0(VALU_DEP_2) | instskip(SKIP_2) | instid1(VALU_DEP_1)
	v_add3_u32 v1, v1, v0, 0x7fff
	v_or_b32_e32 v0, 0x400000, v0
	s_wait_alu 0xf1ff
	v_cndmask_b32_e64 v0, v1, v0, s3
	scratch_store_b32 off, v0, off offset:88 ; 4-byte Folded Spill
	v_cvt_f32_fp8_e32 v0, v84
	s_delay_alu instid0(VALU_DEP_1) | instskip(NEXT) | instid1(VALU_DEP_1)
	v_mul_f32_e32 v0, s41, v0
	v_bfe_u32 v1, v0, 16, 1
	v_cmp_u_f32_e64 s3, v0, v0
	s_delay_alu instid0(VALU_DEP_2) | instskip(SKIP_2) | instid1(VALU_DEP_1)
	v_add3_u32 v1, v1, v0, 0x7fff
	v_or_b32_e32 v0, 0x400000, v0
	s_wait_alu 0xf1ff
	v_cndmask_b32_e64 v84, v1, v0, s3
	v_cvt_f32_fp8_e32 v0, v120
	s_delay_alu instid0(VALU_DEP_1) | instskip(NEXT) | instid1(VALU_DEP_1)
	v_mul_f32_e32 v0, s41, v0
	v_bfe_u32 v1, v0, 16, 1
	v_cmp_u_f32_e64 s3, v0, v0
	s_delay_alu instid0(VALU_DEP_2) | instskip(SKIP_2) | instid1(VALU_DEP_1)
	v_add3_u32 v1, v1, v0, 0x7fff
	v_or_b32_e32 v0, 0x400000, v0
	s_wait_alu 0xf1ff
	v_cndmask_b32_e64 v120, v1, v0, s3
	v_cvt_f32_fp8_e32 v0, v126
	;; [unrolled: 10-line block ×7, first 2 shown]
	s_delay_alu instid0(VALU_DEP_1) | instskip(NEXT) | instid1(VALU_DEP_1)
	v_dual_mul_f32 v0, s41, v0 :: v_dual_and_b32 v55, 0xff, v2
	v_bfe_u32 v1, v0, 16, 1
	v_cmp_u_f32_e64 s3, v0, v0
	s_delay_alu instid0(VALU_DEP_2) | instskip(SKIP_2) | instid1(VALU_DEP_1)
	v_add3_u32 v1, v1, v0, 0x7fff
	v_or_b32_e32 v0, 0x400000, v0
	s_wait_alu 0xf1ff
	v_cndmask_b32_e64 v156, v1, v0, s3
	v_cvt_f32_fp8_e32 v0, v160
	s_delay_alu instid0(VALU_DEP_1) | instskip(NEXT) | instid1(VALU_DEP_1)
	v_mul_f32_e32 v0, s41, v0
	v_bfe_u32 v1, v0, 16, 1
	v_cmp_u_f32_e64 s3, v0, v0
	s_delay_alu instid0(VALU_DEP_2) | instskip(SKIP_2) | instid1(VALU_DEP_1)
	v_add3_u32 v1, v1, v0, 0x7fff
	v_or_b32_e32 v0, 0x400000, v0
	s_wait_alu 0xf1ff
	v_cndmask_b32_e64 v160, v1, v0, s3
	v_cvt_f32_fp8_e32 v0, v83
	s_delay_alu instid0(VALU_DEP_1) | instskip(NEXT) | instid1(VALU_DEP_1)
	v_mul_f32_e32 v0, s41, v0
	;; [unrolled: 10-line block ×125, first 2 shown]
	v_bfe_u32 v9, v0, 16, 1
	v_cmp_u_f32_e64 s3, v0, v0
	s_delay_alu instid0(VALU_DEP_2) | instskip(SKIP_2) | instid1(VALU_DEP_1)
	v_add3_u32 v9, v9, v0, 0x7fff
	v_or_b32_e32 v0, 0x400000, v0
	s_wait_alu 0xf1ff
	v_cndmask_b32_e64 v36, v9, v0, s3
	scratch_load_b32 v0, off, off offset:44 th:TH_LOAD_LU ; 4-byte Folded Reload
	s_wait_loadcnt 0x0
	v_cvt_f32_fp8_e32 v0, v0
	s_delay_alu instid0(VALU_DEP_1) | instskip(NEXT) | instid1(VALU_DEP_1)
	v_mul_f32_e32 v0, s41, v0
	v_bfe_u32 v9, v0, 16, 1
	v_cmp_u_f32_e64 s3, v0, v0
	s_delay_alu instid0(VALU_DEP_2) | instskip(SKIP_2) | instid1(VALU_DEP_1)
	v_add3_u32 v9, v9, v0, 0x7fff
	v_or_b32_e32 v0, 0x400000, v0
	s_wait_alu 0xf1ff
	v_cndmask_b32_e64 v34, v9, v0, s3
	scratch_load_b32 v0, off, off offset:40 th:TH_LOAD_LU ; 4-byte Folded Reload
	s_wait_loadcnt 0x0
	v_cvt_f32_fp8_e32 v0, v0
	s_delay_alu instid0(VALU_DEP_1) | instskip(NEXT) | instid1(VALU_DEP_1)
	v_mul_f32_e32 v0, s41, v0
	v_bfe_u32 v9, v0, 16, 1
	v_cmp_u_f32_e64 s3, v0, v0
	s_delay_alu instid0(VALU_DEP_2) | instskip(SKIP_2) | instid1(VALU_DEP_1)
	v_add3_u32 v9, v9, v0, 0x7fff
	v_or_b32_e32 v0, 0x400000, v0
	s_wait_alu 0xf1ff
	v_cndmask_b32_e64 v32, v9, v0, s3
	scratch_load_b32 v0, off, off offset:32 th:TH_LOAD_LU ; 4-byte Folded Reload
	s_wait_loadcnt 0x0
	v_cvt_f32_fp8_e32 v0, v0
	s_delay_alu instid0(VALU_DEP_1) | instskip(NEXT) | instid1(VALU_DEP_1)
	v_mul_f32_e32 v0, s41, v0
	v_bfe_u32 v9, v0, 16, 1
	v_cmp_u_f32_e64 s3, v0, v0
	s_delay_alu instid0(VALU_DEP_2) | instskip(SKIP_2) | instid1(VALU_DEP_1)
	v_add3_u32 v9, v9, v0, 0x7fff
	v_or_b32_e32 v0, 0x400000, v0
	s_wait_alu 0xf1ff
	v_cndmask_b32_e64 v189, v9, v0, s3
	scratch_load_b32 v0, off, off offset:24 th:TH_LOAD_LU ; 4-byte Folded Reload
	s_wait_loadcnt 0x0
	v_cvt_f32_fp8_e32 v0, v0
	s_delay_alu instid0(VALU_DEP_1) | instskip(NEXT) | instid1(VALU_DEP_1)
	v_mul_f32_e32 v0, s41, v0
	v_bfe_u32 v9, v0, 16, 1
	v_cmp_u_f32_e64 s3, v0, v0
	s_delay_alu instid0(VALU_DEP_2) | instskip(SKIP_2) | instid1(VALU_DEP_1)
	v_add3_u32 v9, v9, v0, 0x7fff
	v_or_b32_e32 v0, 0x400000, v0
	s_wait_alu 0xf1ff
	v_cndmask_b32_e64 v190, v9, v0, s3
	v_cvt_f32_fp8_e32 v0, v119
	s_delay_alu instid0(VALU_DEP_1) | instskip(NEXT) | instid1(VALU_DEP_1)
	v_mul_f32_e32 v0, s41, v0
	v_bfe_u32 v9, v0, 16, 1
	v_cmp_u_f32_e64 s3, v0, v0
	s_delay_alu instid0(VALU_DEP_2) | instskip(SKIP_2) | instid1(VALU_DEP_1)
	v_add3_u32 v9, v9, v0, 0x7fff
	v_or_b32_e32 v0, 0x400000, v0
	s_wait_alu 0xf1ff
	v_cndmask_b32_e64 v119, v9, v0, s3
	v_cvt_f32_fp8_e32 v0, v117
	s_delay_alu instid0(VALU_DEP_1) | instskip(NEXT) | instid1(VALU_DEP_1)
	v_mul_f32_e32 v0, s41, v0
	;; [unrolled: 10-line block ×25, first 2 shown]
	v_bfe_u32 v9, v0, 16, 1
	v_cmp_u_f32_e64 s3, v0, v0
	s_delay_alu instid0(VALU_DEP_2) | instskip(SKIP_2) | instid1(VALU_DEP_1)
	v_add3_u32 v9, v9, v0, 0x7fff
	v_or_b32_e32 v0, 0x400000, v0
	s_wait_alu 0xf1ff
	v_cndmask_b32_e64 v33, v9, v0, s3
	scratch_load_b32 v0, off, off offset:36 th:TH_LOAD_LU ; 4-byte Folded Reload
	s_wait_loadcnt 0x0
	v_cvt_f32_fp8_e32 v0, v0
	s_delay_alu instid0(VALU_DEP_1) | instskip(NEXT) | instid1(VALU_DEP_1)
	v_mul_f32_e32 v0, s41, v0
	v_bfe_u32 v9, v0, 16, 1
	v_cmp_u_f32_e64 s3, v0, v0
	s_delay_alu instid0(VALU_DEP_2) | instskip(SKIP_2) | instid1(VALU_DEP_1)
	v_add3_u32 v9, v9, v0, 0x7fff
	v_or_b32_e32 v0, 0x400000, v0
	s_wait_alu 0xf1ff
	v_cndmask_b32_e64 v31, v9, v0, s3
	scratch_load_b32 v0, off, off offset:28 th:TH_LOAD_LU ; 4-byte Folded Reload
	s_wait_loadcnt 0x0
	v_cvt_f32_fp8_e32 v0, v0
	s_delay_alu instid0(VALU_DEP_1) | instskip(NEXT) | instid1(VALU_DEP_1)
	v_mul_f32_e32 v0, s41, v0
	v_bfe_u32 v9, v0, 16, 1
	v_cmp_u_f32_e64 s3, v0, v0
	s_delay_alu instid0(VALU_DEP_2) | instskip(SKIP_2) | instid1(VALU_DEP_1)
	v_add3_u32 v9, v9, v0, 0x7fff
	v_or_b32_e32 v0, 0x400000, v0
	s_wait_alu 0xf1ff
	v_cndmask_b32_e64 v1, v9, v0, s3
	scratch_load_b32 v0, off, off offset:20 th:TH_LOAD_LU ; 4-byte Folded Reload
	s_wait_loadcnt 0x0
	v_cvt_f32_fp8_e32 v9, v0
	scratch_load_b32 v0, off, off offset:16 th:TH_LOAD_LU ; 4-byte Folded Reload
	v_mul_f32_e32 v9, s41, v9
	s_delay_alu instid0(VALU_DEP_1) | instskip(SKIP_1) | instid1(VALU_DEP_2)
	v_bfe_u32 v11, v9, 16, 1
	v_cmp_u_f32_e64 s3, v9, v9
	v_add3_u32 v11, v11, v9, 0x7fff
	v_or_b32_e32 v9, 0x400000, v9
	s_wait_alu 0xf1ff
	s_delay_alu instid0(VALU_DEP_1) | instskip(SKIP_4) | instid1(VALU_DEP_1)
	v_cndmask_b32_e64 v9, v11, v9, s3
	s_wait_loadcnt 0x0
	v_cvt_f32_fp8_e32 v11, v0
	scratch_load_b32 v0, off, off offset:12 th:TH_LOAD_LU ; 4-byte Folded Reload
	v_mul_f32_e32 v11, s41, v11
	v_bfe_u32 v29, v11, 16, 1
	v_cmp_u_f32_e64 s3, v11, v11
	s_delay_alu instid0(VALU_DEP_2) | instskip(SKIP_2) | instid1(VALU_DEP_1)
	v_add3_u32 v29, v29, v11, 0x7fff
	v_or_b32_e32 v11, 0x400000, v11
	s_wait_alu 0xf1ff
	v_cndmask_b32_e64 v72, v29, v11, s3
	s_wait_loadcnt 0x0
	v_cvt_f32_fp8_e32 v11, v0
	scratch_load_b32 v0, off, off offset:8 th:TH_LOAD_LU ; 4-byte Folded Reload
	v_mul_f32_e32 v11, s41, v11
	s_delay_alu instid0(VALU_DEP_1) | instskip(SKIP_1) | instid1(VALU_DEP_2)
	v_bfe_u32 v29, v11, 16, 1
	v_cmp_u_f32_e64 s3, v11, v11
	v_add3_u32 v29, v29, v11, 0x7fff
	v_or_b32_e32 v11, 0x400000, v11
	s_wait_alu 0xf1ff
	s_delay_alu instid0(VALU_DEP_1) | instskip(SKIP_4) | instid1(VALU_DEP_1)
	v_cndmask_b32_e64 v83, v29, v11, s3
	s_wait_loadcnt 0x0
	v_cvt_f32_fp8_e32 v11, v0
	scratch_load_b32 v0, off, off offset:4 th:TH_LOAD_LU ; 4-byte Folded Reload
	v_mul_f32_e32 v11, s41, v11
	v_bfe_u32 v29, v11, 16, 1
	v_cmp_u_f32_e64 s3, v11, v11
	s_delay_alu instid0(VALU_DEP_2) | instskip(SKIP_2) | instid1(VALU_DEP_1)
	v_add3_u32 v29, v29, v11, 0x7fff
	v_or_b32_e32 v11, 0x400000, v11
	s_wait_alu 0xf1ff
	v_cndmask_b32_e64 v63, v29, v11, s3
	s_wait_loadcnt 0x0
	v_cvt_f32_fp8_e32 v11, v0
	scratch_load_b32 v0, off, off offset:72 th:TH_LOAD_LU ; 4-byte Folded Reload
	v_mul_f32_e32 v11, s41, v11
	s_delay_alu instid0(VALU_DEP_1) | instskip(SKIP_1) | instid1(VALU_DEP_2)
	v_bfe_u32 v29, v11, 16, 1
	v_cmp_u_f32_e64 s3, v11, v11
	v_add3_u32 v29, v29, v11, 0x7fff
	v_or_b32_e32 v11, 0x400000, v11
	s_wait_alu 0xf1ff
	s_delay_alu instid0(VALU_DEP_1) | instskip(SKIP_1) | instid1(VALU_DEP_1)
	v_cndmask_b32_e64 v64, v29, v11, s3
	v_cvt_f32_fp8_e32 v11, v91
	v_mul_f32_e32 v11, s41, v11
	s_delay_alu instid0(VALU_DEP_1) | instskip(SKIP_1) | instid1(VALU_DEP_2)
	v_bfe_u32 v29, v11, 16, 1
	v_cmp_u_f32_e64 s3, v11, v11
	v_add3_u32 v29, v29, v11, 0x7fff
	v_or_b32_e32 v11, 0x400000, v11
	s_wait_alu 0xf1ff
	s_delay_alu instid0(VALU_DEP_1) | instskip(SKIP_1) | instid1(VALU_DEP_1)
	v_cndmask_b32_e64 v91, v29, v11, s3
	v_cvt_f32_fp8_e32 v11, v89
	;; [unrolled: 10-line block ×12, first 2 shown]
	v_mul_f32_e32 v11, s41, v11
	s_delay_alu instid0(VALU_DEP_1) | instskip(SKIP_1) | instid1(VALU_DEP_2)
	v_bfe_u32 v29, v11, 16, 1
	v_cmp_u_f32_e64 s3, v11, v11
	v_add3_u32 v29, v29, v11, 0x7fff
	v_or_b32_e32 v11, 0x400000, v11
	s_wait_alu 0xf1ff
	s_delay_alu instid0(VALU_DEP_1) | instskip(SKIP_4) | instid1(VALU_DEP_1)
	v_cndmask_b32_e64 v56, v29, v11, s3
	s_wait_loadcnt 0x0
	v_cvt_f32_fp8_e32 v11, v0
	scratch_load_b32 v0, off, off offset:64 th:TH_LOAD_LU ; 4-byte Folded Reload
	v_mul_f32_e32 v11, s41, v11
	v_bfe_u32 v29, v11, 16, 1
	v_cmp_u_f32_e64 s3, v11, v11
	s_delay_alu instid0(VALU_DEP_2) | instskip(SKIP_2) | instid1(VALU_DEP_1)
	v_add3_u32 v29, v29, v11, 0x7fff
	v_or_b32_e32 v11, 0x400000, v11
	s_wait_alu 0xf1ff
	v_cndmask_b32_e64 v11, v29, v11, s3
	s_wait_loadcnt 0x0
	v_cvt_f32_fp8_e32 v29, v0
	scratch_load_b32 v0, off, off offset:60 th:TH_LOAD_LU ; 4-byte Folded Reload
	v_mul_f32_e32 v29, s41, v29
	s_delay_alu instid0(VALU_DEP_1) | instskip(SKIP_1) | instid1(VALU_DEP_2)
	v_bfe_u32 v164, v29, 16, 1
	v_cmp_u_f32_e64 s3, v29, v29
	v_add3_u32 v164, v164, v29, 0x7fff
	v_or_b32_e32 v29, 0x400000, v29
	s_wait_alu 0xf1ff
	s_delay_alu instid0(VALU_DEP_1) | instskip(SKIP_4) | instid1(VALU_DEP_1)
	v_cndmask_b32_e64 v29, v164, v29, s3
	s_wait_loadcnt 0x0
	v_cvt_f32_fp8_e32 v164, v0
	scratch_load_b32 v0, off, off offset:52 th:TH_LOAD_LU ; 4-byte Folded Reload
	v_mul_f32_e32 v164, s41, v164
	v_bfe_u32 v170, v164, 16, 1
	v_cmp_u_f32_e64 s3, v164, v164
	s_delay_alu instid0(VALU_DEP_2) | instskip(SKIP_2) | instid1(VALU_DEP_1)
	v_add3_u32 v170, v170, v164, 0x7fff
	v_or_b32_e32 v164, 0x400000, v164
	s_wait_alu 0xf1ff
	v_cndmask_b32_e64 v170, v170, v164, s3
	s_wait_loadcnt 0x0
	v_cvt_f32_fp8_e32 v164, v0
	scratch_load_b32 v0, off, off offset:48 th:TH_LOAD_LU ; 4-byte Folded Reload
	v_mul_f32_e32 v164, s41, v164
	s_delay_alu instid0(VALU_DEP_1) | instskip(SKIP_1) | instid1(VALU_DEP_2)
	v_bfe_u32 v71, v164, 16, 1
	v_cmp_u_f32_e64 s3, v164, v164
	v_add3_u32 v71, v71, v164, 0x7fff
	v_or_b32_e32 v164, 0x400000, v164
	s_wait_alu 0xf1ff
	s_delay_alu instid0(VALU_DEP_1)
	v_cndmask_b32_e64 v164, v71, v164, s3
	v_and_b32_e32 v71, 0xffff0000, v120
	scratch_load_b32 v120, off, off offset:124 ; 4-byte Folded Reload
	s_wait_loadcnt 0x0
	v_mul_f32_e32 v120, v120, v71
	scratch_load_b32 v71, off, off offset:92 ; 4-byte Folded Reload
	v_and_b32_e32 v0, 0xffff0000, v0
	s_wait_loadcnt 0x0
	s_delay_alu instid0(VALU_DEP_1)
	v_fmac_f32_e32 v120, v71, v0
	v_and_b32_e32 v0, 0xffff0000, v126
	s_clause 0x1
	scratch_load_b32 v126, off, off offset:128
	scratch_load_b32 v71, off, off offset:56 th:TH_LOAD_LU
	s_wait_loadcnt 0x1
	v_mul_f32_e32 v126, v126, v0
	scratch_load_b32 v0, off, off offset:96 ; 4-byte Folded Reload
	s_wait_loadcnt 0x1
	v_and_b32_e32 v71, 0xffff0000, v71
	s_wait_loadcnt 0x0
	s_delay_alu instid0(VALU_DEP_1)
	v_fmac_f32_e32 v126, v0, v71
	v_and_b32_e32 v0, 0xffff0000, v133
	s_clause 0x1
	scratch_load_b32 v133, off, off offset:132
	scratch_load_b32 v71, off, off offset:68 th:TH_LOAD_LU
	s_wait_loadcnt 0x1
	v_mul_f32_e32 v133, v133, v0
	scratch_load_b32 v0, off, off offset:100 ; 4-byte Folded Reload
	s_wait_loadcnt 0x1
	v_and_b32_e32 v71, 0xffff0000, v71
	s_wait_loadcnt 0x0
	s_delay_alu instid0(VALU_DEP_1)
	v_dual_fmac_f32 v133, v0, v71 :: v_dual_and_b32 v0, 0xffff0000, v136
	s_clause 0x1
	scratch_load_b32 v136, off, off offset:136
	scratch_load_b32 v71, off, off offset:76 th:TH_LOAD_LU
	s_wait_loadcnt 0x1
	v_mul_f32_e32 v136, v136, v0
	scratch_load_b32 v0, off, off offset:104 ; 4-byte Folded Reload
	s_wait_loadcnt 0x1
	v_and_b32_e32 v71, 0xffff0000, v71
	s_wait_loadcnt 0x0
	s_delay_alu instid0(VALU_DEP_1)
	v_fmac_f32_e32 v136, v0, v71
	v_and_b32_e32 v0, 0xffff0000, v144
	s_clause 0x1
	scratch_load_b32 v144, off, off offset:140
	scratch_load_b32 v71, off, off offset:80 th:TH_LOAD_LU
	s_wait_loadcnt 0x1
	v_mul_f32_e32 v144, v144, v0
	scratch_load_b32 v0, off, off offset:108 ; 4-byte Folded Reload
	s_wait_loadcnt 0x1
	v_and_b32_e32 v71, 0xffff0000, v71
	s_wait_loadcnt 0x0
	s_delay_alu instid0(VALU_DEP_1)
	v_fmac_f32_e32 v144, v0, v71
	scratch_load_b32 v71, off, off offset:84 th:TH_LOAD_LU ; 4-byte Folded Reload
	v_and_b32_e32 v0, 0xffff0000, v76
	s_wait_loadcnt 0x0
	v_and_b32_e32 v76, 0xffff0000, v71
	scratch_load_b32 v71, off, off offset:144 ; 4-byte Folded Reload
	s_wait_loadcnt 0x0
	v_mul_f32_e32 v71, v71, v0
	scratch_load_b32 v0, off, off offset:112 ; 4-byte Folded Reload
	s_wait_loadcnt 0x0
	v_fmac_f32_e32 v71, v0, v76
	scratch_load_b32 v76, off, off offset:88 th:TH_LOAD_LU ; 4-byte Folded Reload
	v_and_b32_e32 v0, 0xffff0000, v156
	s_wait_loadcnt 0x0
	v_and_b32_e32 v156, 0xffff0000, v76
	scratch_load_b32 v76, off, off offset:148 ; 4-byte Folded Reload
	s_wait_loadcnt 0x0
	v_mul_f32_e32 v76, v76, v0
	scratch_load_b32 v0, off, off offset:116 ; 4-byte Folded Reload
	s_wait_loadcnt 0x0
	v_fmac_f32_e32 v76, v0, v156
	v_and_b32_e32 v156, 0xffff0000, v84
	scratch_load_b32 v84, off, off offset:152 ; 4-byte Folded Reload
	v_and_b32_e32 v0, 0xffff0000, v160
	s_wait_loadcnt 0x0
	s_delay_alu instid0(VALU_DEP_1)
	v_mul_f32_e32 v84, v84, v0
	scratch_load_b32 v0, off, off offset:120 ; 4-byte Folded Reload
	s_wait_loadcnt 0x0
	v_fmac_f32_e32 v84, v0, v156
	scratch_load_b32 v156, off, off offset:156 ; 4-byte Folded Reload
	v_and_b32_e32 v0, 0xffff0000, v165
	s_wait_loadcnt 0x0
	s_delay_alu instid0(VALU_DEP_1) | instskip(SKIP_3) | instid1(VALU_DEP_1)
	v_fmac_f32_e32 v120, v156, v0
	scratch_load_b32 v156, off, off offset:160 ; 4-byte Folded Reload
	v_and_b32_e32 v0, 0xffff0000, v171
	s_wait_loadcnt 0x0
	v_fmac_f32_e32 v126, v156, v0
	scratch_load_b32 v156, off, off offset:164 ; 4-byte Folded Reload
	v_and_b32_e32 v0, 0xffff0000, v176
	s_wait_loadcnt 0x0
	s_delay_alu instid0(VALU_DEP_1) | instskip(SKIP_3) | instid1(VALU_DEP_1)
	v_fmac_f32_e32 v133, v156, v0
	scratch_load_b32 v156, off, off offset:168 ; 4-byte Folded Reload
	v_and_b32_e32 v0, 0xffff0000, v181
	;; [unrolled: 9-line block ×3, first 2 shown]
	s_wait_loadcnt 0x0
	v_fmac_f32_e32 v71, v156, v0
	scratch_load_b32 v156, off, off offset:192 ; 4-byte Folded Reload
	v_and_b32_e32 v0, 0xffff0000, v191
	s_wait_loadcnt 0x0
	s_delay_alu instid0(VALU_DEP_1)
	v_fmac_f32_e32 v76, v156, v0
	v_and_b32_e32 v0, 0xffff0000, v151
	scratch_load_b32 v151, off, off offset:196 ; 4-byte Folded Reload
	s_wait_loadcnt 0x0
	v_fmac_f32_e32 v84, v151, v0
	v_and_b32_e32 v0, 0xffff0000, v57
	scratch_load_b32 v57, off, off offset:200 ; 4-byte Folded Reload
	s_wait_loadcnt 0x0
	;; [unrolled: 4-line block ×4, first 2 shown]
	v_dual_fmac_f32 v133, v47, v0 :: v_dual_and_b32 v0, 0xffff0000, v30
	scratch_load_b32 v30, off, off offset:212 ; 4-byte Folded Reload
	s_wait_loadcnt 0x0
	v_fmac_f32_e32 v136, v30, v0
	v_and_b32_e32 v0, 0xffff0000, v23
	scratch_load_b32 v23, off, off offset:216 ; 4-byte Folded Reload
	s_wait_loadcnt 0x0
	v_fmac_f32_e32 v144, v23, v0
	v_and_b32_e32 v0, 0xffff0000, v4
	scratch_load_b32 v4, off, off offset:220 ; 4-byte Folded Reload
	s_wait_loadcnt 0x0
	v_dual_fmac_f32 v71, v4, v0 :: v_dual_and_b32 v0, 0xffff0000, v6
	scratch_load_b32 v4, off, off offset:224 ; 4-byte Folded Reload
	s_wait_loadcnt 0x0
	v_fmac_f32_e32 v76, v4, v0
	scratch_load_b32 v4, off, off offset:228 ; 4-byte Folded Reload
	v_and_b32_e32 v0, 0xffff0000, v7
	s_wait_loadcnt 0x0
	s_delay_alu instid0(VALU_DEP_1) | instskip(SKIP_3) | instid1(VALU_DEP_1)
	v_fmac_f32_e32 v84, v4, v0
	scratch_load_b32 v4, off, off offset:232 ; 4-byte Folded Reload
	v_and_b32_e32 v0, 0xffff0000, v8
	s_wait_loadcnt 0x0
	v_fmac_f32_e32 v120, v4, v0
	scratch_load_b32 v4, off, off offset:236 ; 4-byte Folded Reload
	v_and_b32_e32 v0, 0xffff0000, v10
	s_wait_loadcnt 0x0
	s_delay_alu instid0(VALU_DEP_1) | instskip(SKIP_3) | instid1(VALU_DEP_1)
	v_fmac_f32_e32 v126, v4, v0
	scratch_load_b32 v4, off, off offset:240 ; 4-byte Folded Reload
	v_and_b32_e32 v0, 0xffff0000, v12
	s_wait_loadcnt 0x0
	v_dual_fmac_f32 v133, v4, v0 :: v_dual_and_b32 v0, 0xffff0000, v5
	scratch_load_b32 v4, off, off offset:244 ; 4-byte Folded Reload
	s_wait_loadcnt 0x0
	v_fmac_f32_e32 v136, v4, v0
	scratch_load_b32 v4, off, off offset:248 ; 4-byte Folded Reload
	v_and_b32_e32 v0, 0xffff0000, v15
	s_wait_loadcnt 0x0
	s_delay_alu instid0(VALU_DEP_1) | instskip(SKIP_3) | instid1(VALU_DEP_1)
	v_fmac_f32_e32 v144, v4, v0
	scratch_load_b32 v4, off, off offset:252 ; 4-byte Folded Reload
	v_and_b32_e32 v0, 0xffff0000, v25
	s_wait_loadcnt 0x0
	v_fmac_f32_e32 v71, v4, v0
	scratch_load_b32 v4, off, off offset:256 ; 4-byte Folded Reload
	v_and_b32_e32 v0, 0xffff0000, v28
	s_wait_loadcnt 0x0
	s_delay_alu instid0(VALU_DEP_1) | instskip(SKIP_3) | instid1(VALU_DEP_1)
	v_fmac_f32_e32 v76, v4, v0
	scratch_load_b32 v4, off, off offset:260 ; 4-byte Folded Reload
	v_and_b32_e32 v0, 0xffff0000, v179
	s_wait_loadcnt 0x0
	v_fmac_f32_e32 v84, v4, v0
	v_and_b32_e32 v0, 0xffff0000, v3
	s_clause 0x1
	scratch_load_b32 v3, off, off offset:264
	scratch_load_b32 v4, off, off th:TH_LOAD_LU
	s_wait_loadcnt 0x1
	v_fmac_f32_e32 v120, v3, v0
	v_and_b32_e32 v0, 0xffff0000, v2
	scratch_load_b32 v2, off, off offset:268 ; 4-byte Folded Reload
	s_wait_loadcnt 0x0
	v_fmac_f32_e32 v126, v2, v0
	scratch_load_b32 v2, off, off offset:272 ; 4-byte Folded Reload
	v_and_b32_e32 v0, 0xffff0000, v158
	s_wait_loadcnt 0x0
	s_delay_alu instid0(VALU_DEP_1)
	v_dual_fmac_f32 v133, v2, v0 :: v_dual_and_b32 v0, 0xffff0000, v149
	scratch_load_b32 v2, off, off offset:276 ; 4-byte Folded Reload
	s_wait_loadcnt 0x0
	v_fmac_f32_e32 v136, v2, v0
	scratch_load_b32 v2, off, off offset:280 ; 4-byte Folded Reload
	v_and_b32_e32 v0, 0xffff0000, v139
	s_wait_loadcnt 0x0
	s_delay_alu instid0(VALU_DEP_1) | instskip(SKIP_3) | instid1(VALU_DEP_1)
	v_fmac_f32_e32 v144, v2, v0
	scratch_load_b32 v2, off, off offset:284 ; 4-byte Folded Reload
	v_and_b32_e32 v0, 0xffff0000, v129
	s_wait_loadcnt 0x0
	v_dual_fmac_f32 v71, v2, v0 :: v_dual_and_b32 v0, 0xffff0000, v122
	scratch_load_b32 v2, off, off offset:288 ; 4-byte Folded Reload
	s_wait_loadcnt 0x0
	v_fmac_f32_e32 v76, v2, v0
	scratch_load_b32 v2, off, off offset:292 ; 4-byte Folded Reload
	v_and_b32_e32 v0, 0xffff0000, v112
	s_wait_loadcnt 0x0
	s_delay_alu instid0(VALU_DEP_1) | instskip(SKIP_3) | instid1(VALU_DEP_1)
	v_fmac_f32_e32 v84, v2, v0
	scratch_load_b32 v2, off, off offset:296 ; 4-byte Folded Reload
	v_and_b32_e32 v0, 0xffff0000, v13
	s_wait_loadcnt 0x0
	v_fmac_f32_e32 v120, v2, v0
	scratch_load_b32 v2, off, off offset:300 ; 4-byte Folded Reload
	v_and_b32_e32 v0, 0xffff0000, v19
	s_wait_loadcnt 0x0
	s_delay_alu instid0(VALU_DEP_1) | instskip(SKIP_3) | instid1(VALU_DEP_1)
	v_fmac_f32_e32 v126, v2, v0
	scratch_load_b32 v2, off, off offset:304 ; 4-byte Folded Reload
	v_and_b32_e32 v0, 0xffff0000, v14
	;; [unrolled: 9-line block ×3, first 2 shown]
	s_wait_loadcnt 0x0
	v_fmac_f32_e32 v144, v2, v0
	scratch_load_b32 v2, off, off offset:316 ; 4-byte Folded Reload
	v_and_b32_e32 v0, 0xffff0000, v26
	s_wait_loadcnt 0x0
	s_delay_alu instid0(VALU_DEP_1)
	v_dual_fmac_f32 v71, v2, v0 :: v_dual_and_b32 v0, 0xffff0000, v27
	scratch_load_b32 v2, off, off offset:320 ; 4-byte Folded Reload
	s_wait_loadcnt 0x0
	v_fmac_f32_e32 v76, v2, v0
	scratch_load_b32 v2, off, off offset:324 ; 4-byte Folded Reload
	v_and_b32_e32 v0, 0xffff0000, v183
	s_wait_loadcnt 0x0
	s_delay_alu instid0(VALU_DEP_1) | instskip(SKIP_3) | instid1(VALU_DEP_1)
	v_fmac_f32_e32 v84, v2, v0
	scratch_load_b32 v2, off, off offset:328 ; 4-byte Folded Reload
	v_and_b32_e32 v0, 0xffff0000, v187
	s_wait_loadcnt 0x0
	v_fmac_f32_e32 v120, v2, v0
	scratch_load_b32 v2, off, off offset:332 ; 4-byte Folded Reload
	v_and_b32_e32 v0, 0xffff0000, v186
	s_wait_loadcnt 0x0
	s_delay_alu instid0(VALU_DEP_1) | instskip(SKIP_3) | instid1(VALU_DEP_1)
	v_fmac_f32_e32 v126, v2, v0
	scratch_load_b32 v2, off, off offset:336 ; 4-byte Folded Reload
	v_and_b32_e32 v0, 0xffff0000, v185
	s_wait_loadcnt 0x0
	v_dual_fmac_f32 v133, v2, v0 :: v_dual_and_b32 v0, 0xffff0000, v182
	scratch_load_b32 v2, off, off offset:340 ; 4-byte Folded Reload
	s_wait_loadcnt 0x0
	v_fmac_f32_e32 v136, v2, v0
	scratch_load_b32 v2, off, off offset:344 ; 4-byte Folded Reload
	v_and_b32_e32 v0, 0xffff0000, v180
	s_wait_loadcnt 0x0
	s_delay_alu instid0(VALU_DEP_1) | instskip(SKIP_3) | instid1(VALU_DEP_1)
	v_fmac_f32_e32 v144, v2, v0
	scratch_load_b32 v2, off, off offset:348 ; 4-byte Folded Reload
	v_and_b32_e32 v0, 0xffff0000, v178
	s_wait_loadcnt 0x0
	v_dual_fmac_f32 v71, v2, v0 :: v_dual_and_b32 v0, 0xffff0000, v175
	scratch_load_b32 v2, off, off offset:352 ; 4-byte Folded Reload
	s_wait_loadcnt 0x0
	v_fmac_f32_e32 v76, v2, v0
	scratch_load_b32 v2, off, off offset:356 ; 4-byte Folded Reload
	v_and_b32_e32 v0, 0xffff0000, v172
	s_wait_loadcnt 0x0
	s_delay_alu instid0(VALU_DEP_1) | instskip(SKIP_3) | instid1(VALU_DEP_1)
	v_fmac_f32_e32 v84, v2, v0
	scratch_load_b32 v2, off, off offset:360 ; 4-byte Folded Reload
	v_and_b32_e32 v0, 0xffff0000, v168
	s_wait_loadcnt 0x0
	v_fmac_f32_e32 v120, v2, v0
	scratch_load_b32 v2, off, off offset:364 ; 4-byte Folded Reload
	v_and_b32_e32 v0, 0xffff0000, v162
	s_wait_loadcnt 0x0
	s_delay_alu instid0(VALU_DEP_1) | instskip(SKIP_3) | instid1(VALU_DEP_1)
	v_fmac_f32_e32 v126, v2, v0
	scratch_load_b32 v2, off, off offset:368 ; 4-byte Folded Reload
	v_and_b32_e32 v0, 0xffff0000, v154
	s_wait_loadcnt 0x0
	v_dual_fmac_f32 v133, v2, v0 :: v_dual_and_b32 v0, 0xffff0000, v147
	scratch_load_b32 v2, off, off offset:372 ; 4-byte Folded Reload
	s_wait_loadcnt 0x0
	v_fmac_f32_e32 v136, v2, v0
	scratch_load_b32 v2, off, off offset:376 ; 4-byte Folded Reload
	v_and_b32_e32 v0, 0xffff0000, v138
	s_wait_loadcnt 0x0
	s_delay_alu instid0(VALU_DEP_1) | instskip(SKIP_3) | instid1(VALU_DEP_1)
	v_fmac_f32_e32 v144, v2, v0
	scratch_load_b32 v2, off, off offset:380 ; 4-byte Folded Reload
	v_and_b32_e32 v0, 0xffff0000, v131
	s_wait_loadcnt 0x0
	v_dual_fmac_f32 v71, v2, v0 :: v_dual_and_b32 v0, 0xffff0000, v125
	scratch_load_b32 v2, off, off offset:384 ; 4-byte Folded Reload
	s_wait_loadcnt 0x0
	v_fmac_f32_e32 v76, v2, v0
	scratch_load_b32 v2, off, off offset:388 ; 4-byte Folded Reload
	v_and_b32_e32 v0, 0xffff0000, v116
	s_wait_loadcnt 0x0
	s_delay_alu instid0(VALU_DEP_1) | instskip(SKIP_3) | instid1(VALU_DEP_1)
	v_fmac_f32_e32 v84, v2, v0
	scratch_load_b32 v2, off, off offset:392 ; 4-byte Folded Reload
	v_and_b32_e32 v0, 0xffff0000, v107
	s_wait_loadcnt 0x0
	v_fmac_f32_e32 v120, v2, v0
	scratch_load_b32 v2, off, off offset:396 ; 4-byte Folded Reload
	v_and_b32_e32 v0, 0xffff0000, v102
	s_wait_loadcnt 0x0
	s_delay_alu instid0(VALU_DEP_1) | instskip(SKIP_3) | instid1(VALU_DEP_1)
	v_fmac_f32_e32 v126, v2, v0
	scratch_load_b32 v2, off, off offset:400 ; 4-byte Folded Reload
	v_and_b32_e32 v0, 0xffff0000, v96
	;; [unrolled: 9-line block ×3, first 2 shown]
	s_wait_loadcnt 0x0
	v_fmac_f32_e32 v144, v2, v0
	scratch_load_b32 v2, off, off offset:412 ; 4-byte Folded Reload
	v_and_b32_e32 v0, 0xffff0000, v70
	s_wait_loadcnt 0x0
	s_delay_alu instid0(VALU_DEP_1)
	v_dual_fmac_f32 v71, v2, v0 :: v_dual_and_b32 v0, 0xffff0000, v62
	scratch_load_b32 v2, off, off offset:416 ; 4-byte Folded Reload
	s_wait_loadcnt 0x0
	v_fmac_f32_e32 v76, v2, v0
	scratch_load_b32 v2, off, off offset:420 ; 4-byte Folded Reload
	v_and_b32_e32 v0, 0xffff0000, v54
	s_wait_loadcnt 0x0
	s_delay_alu instid0(VALU_DEP_1) | instskip(SKIP_3) | instid1(VALU_DEP_1)
	v_fmac_f32_e32 v84, v2, v0
	scratch_load_b32 v2, off, off offset:424 ; 4-byte Folded Reload
	v_and_b32_e32 v0, 0xffff0000, v177
	s_wait_loadcnt 0x0
	v_fmac_f32_e32 v120, v2, v0
	scratch_load_b32 v2, off, off offset:428 ; 4-byte Folded Reload
	v_and_b32_e32 v0, 0xffff0000, v174
	s_wait_loadcnt 0x0
	s_delay_alu instid0(VALU_DEP_1) | instskip(SKIP_3) | instid1(VALU_DEP_1)
	v_fmac_f32_e32 v126, v2, v0
	scratch_load_b32 v2, off, off offset:432 ; 4-byte Folded Reload
	v_and_b32_e32 v0, 0xffff0000, v173
	s_wait_loadcnt 0x0
	v_dual_fmac_f32 v133, v2, v0 :: v_dual_and_b32 v0, 0xffff0000, v169
	scratch_load_b32 v2, off, off offset:436 ; 4-byte Folded Reload
	s_wait_loadcnt 0x0
	v_fmac_f32_e32 v136, v2, v0
	scratch_load_b32 v2, off, off offset:440 ; 4-byte Folded Reload
	v_and_b32_e32 v0, 0xffff0000, v167
	s_wait_loadcnt 0x0
	s_delay_alu instid0(VALU_DEP_1) | instskip(SKIP_3) | instid1(VALU_DEP_1)
	v_fmac_f32_e32 v144, v2, v0
	scratch_load_b32 v2, off, off offset:444 ; 4-byte Folded Reload
	v_and_b32_e32 v0, 0xffff0000, v166
	s_wait_loadcnt 0x0
	v_dual_fmac_f32 v71, v2, v0 :: v_dual_and_b32 v0, 0xffff0000, v163
	scratch_load_b32 v2, off, off offset:448 ; 4-byte Folded Reload
	s_wait_loadcnt 0x0
	v_fmac_f32_e32 v76, v2, v0
	scratch_load_b32 v2, off, off offset:452 ; 4-byte Folded Reload
	v_and_b32_e32 v0, 0xffff0000, v161
	s_wait_loadcnt 0x0
	s_delay_alu instid0(VALU_DEP_1) | instskip(SKIP_3) | instid1(VALU_DEP_1)
	v_fmac_f32_e32 v84, v2, v0
	scratch_load_b32 v2, off, off offset:456 ; 4-byte Folded Reload
	v_and_b32_e32 v0, 0xffff0000, v159
	s_wait_loadcnt 0x0
	v_fmac_f32_e32 v120, v2, v0
	scratch_load_b32 v2, off, off offset:460 ; 4-byte Folded Reload
	v_and_b32_e32 v0, 0xffff0000, v157
	s_wait_loadcnt 0x0
	s_delay_alu instid0(VALU_DEP_1) | instskip(SKIP_3) | instid1(VALU_DEP_1)
	v_fmac_f32_e32 v126, v2, v0
	scratch_load_b32 v2, off, off offset:464 ; 4-byte Folded Reload
	v_and_b32_e32 v0, 0xffff0000, v155
	s_wait_loadcnt 0x0
	v_dual_fmac_f32 v133, v2, v0 :: v_dual_and_b32 v0, 0xffff0000, v153
	scratch_load_b32 v2, off, off offset:468 ; 4-byte Folded Reload
	s_wait_loadcnt 0x0
	v_fmac_f32_e32 v136, v2, v0
	scratch_load_b32 v2, off, off offset:472 ; 4-byte Folded Reload
	v_and_b32_e32 v0, 0xffff0000, v150
	s_wait_loadcnt 0x0
	s_delay_alu instid0(VALU_DEP_1) | instskip(SKIP_3) | instid1(VALU_DEP_1)
	v_fmac_f32_e32 v144, v2, v0
	scratch_load_b32 v2, off, off offset:476 ; 4-byte Folded Reload
	v_and_b32_e32 v0, 0xffff0000, v146
	s_wait_loadcnt 0x0
	;; [unrolled: 33-line block ×4, first 2 shown]
	v_fmac_f32_e32 v71, v2, v0
	scratch_load_b32 v2, off, off offset:544 ; 4-byte Folded Reload
	v_and_b32_e32 v0, 0xffff0000, v40
	s_wait_loadcnt 0x0
	s_delay_alu instid0(VALU_DEP_1) | instskip(SKIP_3) | instid1(VALU_DEP_1)
	v_fmac_f32_e32 v76, v2, v0
	scratch_load_b32 v2, off, off offset:548 ; 4-byte Folded Reload
	v_and_b32_e32 v0, 0xffff0000, v37
	s_wait_loadcnt 0x0
	v_fmac_f32_e32 v84, v2, v0
	scratch_load_b32 v2, off, off offset:552 ; 4-byte Folded Reload
	v_and_b32_e32 v0, 0xffff0000, v152
	s_wait_loadcnt 0x0
	s_delay_alu instid0(VALU_DEP_1) | instskip(SKIP_3) | instid1(VALU_DEP_1)
	v_fmac_f32_e32 v120, v2, v0
	scratch_load_b32 v2, off, off offset:556 ; 4-byte Folded Reload
	v_and_b32_e32 v0, 0xffff0000, v148
	s_wait_loadcnt 0x0
	v_fmac_f32_e32 v126, v2, v0
	scratch_load_b32 v2, off, off offset:560 ; 4-byte Folded Reload
	v_and_b32_e32 v0, 0xffff0000, v145
	s_wait_loadcnt 0x0
	s_delay_alu instid0(VALU_DEP_1)
	v_dual_fmac_f32 v133, v2, v0 :: v_dual_and_b32 v0, 0xffff0000, v142
	scratch_load_b32 v2, off, off offset:564 ; 4-byte Folded Reload
	s_wait_loadcnt 0x0
	v_fmac_f32_e32 v136, v2, v0
	scratch_load_b32 v2, off, off offset:568 ; 4-byte Folded Reload
	v_and_b32_e32 v0, 0xffff0000, v140
	s_wait_loadcnt 0x0
	s_delay_alu instid0(VALU_DEP_1) | instskip(SKIP_3) | instid1(VALU_DEP_1)
	v_fmac_f32_e32 v144, v2, v0
	scratch_load_b32 v2, off, off offset:572 ; 4-byte Folded Reload
	v_and_b32_e32 v0, 0xffff0000, v135
	s_wait_loadcnt 0x0
	v_dual_fmac_f32 v71, v2, v0 :: v_dual_and_b32 v0, 0xffff0000, v134
	scratch_load_b32 v2, off, off offset:576 ; 4-byte Folded Reload
	s_wait_loadcnt 0x0
	v_fmac_f32_e32 v76, v2, v0
	scratch_load_b32 v2, off, off offset:580 ; 4-byte Folded Reload
	v_and_b32_e32 v0, 0xffff0000, v132
	s_wait_loadcnt 0x0
	s_delay_alu instid0(VALU_DEP_1) | instskip(SKIP_3) | instid1(VALU_DEP_1)
	v_fmac_f32_e32 v84, v2, v0
	scratch_load_b32 v2, off, off offset:584 ; 4-byte Folded Reload
	v_and_b32_e32 v0, 0xffff0000, v128
	s_wait_loadcnt 0x0
	v_fmac_f32_e32 v120, v2, v0
	scratch_load_b32 v2, off, off offset:588 ; 4-byte Folded Reload
	v_and_b32_e32 v0, 0xffff0000, v127
	s_wait_loadcnt 0x0
	s_delay_alu instid0(VALU_DEP_1) | instskip(SKIP_3) | instid1(VALU_DEP_1)
	v_fmac_f32_e32 v126, v2, v0
	scratch_load_b32 v2, off, off offset:592 ; 4-byte Folded Reload
	v_and_b32_e32 v0, 0xffff0000, v124
	s_wait_loadcnt 0x0
	v_dual_fmac_f32 v133, v2, v0 :: v_dual_and_b32 v0, 0xffff0000, v121
	scratch_load_b32 v2, off, off offset:596 ; 4-byte Folded Reload
	s_wait_loadcnt 0x0
	v_fmac_f32_e32 v136, v2, v0
	scratch_load_b32 v2, off, off offset:600 ; 4-byte Folded Reload
	v_and_b32_e32 v0, 0xffff0000, v118
	s_wait_loadcnt 0x0
	s_delay_alu instid0(VALU_DEP_1) | instskip(SKIP_3) | instid1(VALU_DEP_1)
	v_fmac_f32_e32 v144, v2, v0
	scratch_load_b32 v2, off, off offset:604 ; 4-byte Folded Reload
	v_and_b32_e32 v0, 0xffff0000, v114
	s_wait_loadcnt 0x0
	v_dual_fmac_f32 v71, v2, v0 :: v_dual_and_b32 v0, 0xffff0000, v111
	scratch_load_b32 v2, off, off offset:608 ; 4-byte Folded Reload
	s_wait_loadcnt 0x0
	v_fmac_f32_e32 v76, v2, v0
	scratch_load_b32 v2, off, off offset:612 ; 4-byte Folded Reload
	v_and_b32_e32 v0, 0xffff0000, v109
	s_wait_loadcnt 0x0
	s_delay_alu instid0(VALU_DEP_1) | instskip(SKIP_3) | instid1(VALU_DEP_1)
	v_fmac_f32_e32 v84, v2, v0
	scratch_load_b32 v2, off, off offset:616 ; 4-byte Folded Reload
	v_and_b32_e32 v0, 0xffff0000, v105
	s_wait_loadcnt 0x0
	v_fmac_f32_e32 v120, v2, v0
	scratch_load_b32 v2, off, off offset:620 ; 4-byte Folded Reload
	v_and_b32_e32 v0, 0xffff0000, v99
	s_wait_loadcnt 0x0
	s_delay_alu instid0(VALU_DEP_1) | instskip(SKIP_3) | instid1(VALU_DEP_1)
	v_fmac_f32_e32 v126, v2, v0
	scratch_load_b32 v2, off, off offset:624 ; 4-byte Folded Reload
	v_and_b32_e32 v0, 0xffff0000, v93
	s_wait_loadcnt 0x0
	v_dual_fmac_f32 v133, v2, v0 :: v_dual_and_b32 v0, 0xffff0000, v86
	scratch_load_b32 v2, off, off offset:628 ; 4-byte Folded Reload
	s_wait_loadcnt 0x0
	v_fmac_f32_e32 v136, v2, v0
	scratch_load_b32 v2, off, off offset:632 ; 4-byte Folded Reload
	v_and_b32_e32 v0, 0xffff0000, v75
	s_wait_loadcnt 0x0
	s_delay_alu instid0(VALU_DEP_1) | instskip(SKIP_3) | instid1(VALU_DEP_1)
	v_fmac_f32_e32 v144, v2, v0
	scratch_load_b32 v2, off, off offset:636 ; 4-byte Folded Reload
	v_and_b32_e32 v0, 0xffff0000, v67
	s_wait_loadcnt 0x0
	v_fmac_f32_e32 v71, v2, v0
	scratch_load_b32 v2, off, off offset:640 ; 4-byte Folded Reload
	v_and_b32_e32 v0, 0xffff0000, v60
	s_wait_loadcnt 0x0
	s_delay_alu instid0(VALU_DEP_1) | instskip(SKIP_3) | instid1(VALU_DEP_1)
	v_fmac_f32_e32 v76, v2, v0
	scratch_load_b32 v2, off, off offset:644 ; 4-byte Folded Reload
	v_and_b32_e32 v0, 0xffff0000, v52
	;; [unrolled: 9-line block ×5, first 2 shown]
	s_wait_loadcnt 0x0
	v_dual_fmac_f32 v71, v2, v0 :: v_dual_and_b32 v0, 0xffff0000, v189
	scratch_load_b32 v2, off, off offset:672 ; 4-byte Folded Reload
	s_wait_loadcnt 0x0
	v_fmac_f32_e32 v76, v2, v0
	scratch_load_b32 v2, off, off offset:676 ; 4-byte Folded Reload
	v_and_b32_e32 v0, 0xffff0000, v190
	s_wait_loadcnt 0x0
	s_delay_alu instid0(VALU_DEP_1) | instskip(SKIP_3) | instid1(VALU_DEP_1)
	v_fmac_f32_e32 v84, v2, v0
	scratch_load_b32 v2, off, off offset:680 ; 4-byte Folded Reload
	v_and_b32_e32 v0, 0xffff0000, v119
	s_wait_loadcnt 0x0
	v_fmac_f32_e32 v120, v2, v0
	scratch_load_b32 v2, off, off offset:684 ; 4-byte Folded Reload
	v_and_b32_e32 v0, 0xffff0000, v117
	s_wait_loadcnt 0x0
	s_delay_alu instid0(VALU_DEP_1) | instskip(SKIP_3) | instid1(VALU_DEP_1)
	v_fmac_f32_e32 v126, v2, v0
	scratch_load_b32 v2, off, off offset:688 ; 4-byte Folded Reload
	v_and_b32_e32 v0, 0xffff0000, v113
	s_wait_loadcnt 0x0
	v_dual_fmac_f32 v133, v2, v0 :: v_dual_and_b32 v0, 0xffff0000, v110
	scratch_load_b32 v2, off, off offset:692 ; 4-byte Folded Reload
	s_wait_loadcnt 0x0
	v_fmac_f32_e32 v136, v2, v0
	scratch_load_b32 v2, off, off offset:696 ; 4-byte Folded Reload
	v_and_b32_e32 v0, 0xffff0000, v108
	s_wait_loadcnt 0x0
	s_delay_alu instid0(VALU_DEP_1) | instskip(SKIP_3) | instid1(VALU_DEP_1)
	v_fmac_f32_e32 v144, v2, v0
	scratch_load_b32 v2, off, off offset:700 ; 4-byte Folded Reload
	v_and_b32_e32 v0, 0xffff0000, v104
	s_wait_loadcnt 0x0
	v_dual_fmac_f32 v71, v2, v0 :: v_dual_and_b32 v0, 0xffff0000, v103
	scratch_load_b32 v2, off, off offset:704 ; 4-byte Folded Reload
	s_wait_loadcnt 0x0
	v_fmac_f32_e32 v76, v2, v0
	scratch_load_b32 v2, off, off offset:708 ; 4-byte Folded Reload
	v_and_b32_e32 v0, 0xffff0000, v101
	s_wait_loadcnt 0x0
	s_delay_alu instid0(VALU_DEP_1) | instskip(SKIP_3) | instid1(VALU_DEP_1)
	v_fmac_f32_e32 v84, v2, v0
	scratch_load_b32 v2, off, off offset:712 ; 4-byte Folded Reload
	v_and_b32_e32 v0, 0xffff0000, v98
	s_wait_loadcnt 0x0
	v_fmac_f32_e32 v120, v2, v0
	scratch_load_b32 v2, off, off offset:716 ; 4-byte Folded Reload
	v_and_b32_e32 v0, 0xffff0000, v97
	s_wait_loadcnt 0x0
	s_delay_alu instid0(VALU_DEP_1) | instskip(SKIP_3) | instid1(VALU_DEP_1)
	v_fmac_f32_e32 v126, v2, v0
	scratch_load_b32 v2, off, off offset:720 ; 4-byte Folded Reload
	v_and_b32_e32 v0, 0xffff0000, v94
	;; [unrolled: 9-line block ×3, first 2 shown]
	s_wait_loadcnt 0x0
	v_fmac_f32_e32 v144, v2, v0
	scratch_load_b32 v2, off, off offset:732 ; 4-byte Folded Reload
	v_and_b32_e32 v0, 0xffff0000, v85
	s_wait_loadcnt 0x0
	s_delay_alu instid0(VALU_DEP_1)
	v_dual_fmac_f32 v71, v2, v0 :: v_dual_and_b32 v0, 0xffff0000, v82
	scratch_load_b32 v2, off, off offset:736 ; 4-byte Folded Reload
	s_wait_loadcnt 0x0
	v_fmac_f32_e32 v76, v2, v0
	scratch_load_b32 v2, off, off offset:740 ; 4-byte Folded Reload
	v_and_b32_e32 v0, 0xffff0000, v80
	s_wait_loadcnt 0x0
	s_delay_alu instid0(VALU_DEP_1) | instskip(SKIP_3) | instid1(VALU_DEP_1)
	v_fmac_f32_e32 v84, v2, v0
	scratch_load_b32 v2, off, off offset:744 ; 4-byte Folded Reload
	v_and_b32_e32 v0, 0xffff0000, v74
	s_wait_loadcnt 0x0
	v_fmac_f32_e32 v120, v2, v0
	scratch_load_b32 v2, off, off offset:748 ; 4-byte Folded Reload
	v_and_b32_e32 v0, 0xffff0000, v66
	s_wait_loadcnt 0x0
	s_delay_alu instid0(VALU_DEP_1) | instskip(SKIP_3) | instid1(VALU_DEP_1)
	v_fmac_f32_e32 v126, v2, v0
	scratch_load_b32 v2, off, off offset:752 ; 4-byte Folded Reload
	v_and_b32_e32 v0, 0xffff0000, v58
	s_wait_loadcnt 0x0
	v_dual_fmac_f32 v133, v2, v0 :: v_dual_and_b32 v0, 0xffff0000, v50
	scratch_load_b32 v2, off, off offset:756 ; 4-byte Folded Reload
	s_wait_loadcnt 0x0
	v_fmac_f32_e32 v136, v2, v0
	scratch_load_b32 v2, off, off offset:760 ; 4-byte Folded Reload
	v_and_b32_e32 v0, 0xffff0000, v44
	s_wait_loadcnt 0x0
	s_delay_alu instid0(VALU_DEP_1) | instskip(SKIP_3) | instid1(VALU_DEP_1)
	v_fmac_f32_e32 v144, v2, v0
	scratch_load_b32 v2, off, off offset:764 ; 4-byte Folded Reload
	v_and_b32_e32 v0, 0xffff0000, v41
	s_wait_loadcnt 0x0
	v_dual_fmac_f32 v71, v2, v0 :: v_dual_and_b32 v0, 0xffff0000, v38
	scratch_load_b32 v2, off, off offset:768 ; 4-byte Folded Reload
	s_wait_loadcnt 0x0
	v_fmac_f32_e32 v76, v2, v0
	scratch_load_b32 v2, off, off offset:772 ; 4-byte Folded Reload
	v_and_b32_e32 v0, 0xffff0000, v35
	s_wait_loadcnt 0x0
	s_delay_alu instid0(VALU_DEP_1) | instskip(SKIP_3) | instid1(VALU_DEP_1)
	v_fmac_f32_e32 v84, v2, v0
	scratch_load_b32 v2, off, off offset:776 ; 4-byte Folded Reload
	v_and_b32_e32 v0, 0xffff0000, v33
	s_wait_loadcnt 0x0
	v_fmac_f32_e32 v120, v2, v0
	scratch_load_b32 v2, off, off offset:780 ; 4-byte Folded Reload
	v_and_b32_e32 v0, 0xffff0000, v31
	s_wait_loadcnt 0x0
	s_delay_alu instid0(VALU_DEP_1)
	v_fmac_f32_e32 v126, v2, v0
	v_and_b32_e32 v0, 0xffff0000, v1
	s_clause 0x1
	scratch_load_b32 v1, off, off offset:784
	scratch_load_b32 v2, off, off offset:852
	s_wait_loadcnt 0x1
	v_dual_fmac_f32 v133, v1, v0 :: v_dual_and_b32 v0, 0xffff0000, v9
	scratch_load_b32 v1, off, off offset:788 ; 4-byte Folded Reload
	s_wait_loadcnt 0x0
	v_fmac_f32_e32 v136, v1, v0
	scratch_load_b32 v1, off, off offset:792 ; 4-byte Folded Reload
	v_and_b32_e32 v0, 0xffff0000, v72
	s_wait_loadcnt 0x0
	s_delay_alu instid0(VALU_DEP_1) | instskip(SKIP_3) | instid1(VALU_DEP_1)
	v_fmac_f32_e32 v144, v1, v0
	scratch_load_b32 v1, off, off offset:796 ; 4-byte Folded Reload
	v_and_b32_e32 v0, 0xffff0000, v83
	s_wait_loadcnt 0x0
	v_dual_fmac_f32 v71, v1, v0 :: v_dual_and_b32 v0, 0xffff0000, v63
	scratch_load_b32 v1, off, off offset:800 ; 4-byte Folded Reload
	s_wait_loadcnt 0x0
	v_fmac_f32_e32 v76, v1, v0
	scratch_load_b32 v1, off, off offset:804 ; 4-byte Folded Reload
	v_and_b32_e32 v0, 0xffff0000, v64
	s_wait_loadcnt 0x0
	s_delay_alu instid0(VALU_DEP_1) | instskip(SKIP_3) | instid1(VALU_DEP_1)
	v_fmac_f32_e32 v84, v1, v0
	scratch_load_b32 v1, off, off offset:808 ; 4-byte Folded Reload
	v_and_b32_e32 v0, 0xffff0000, v91
	s_wait_loadcnt 0x0
	v_fmac_f32_e32 v120, v1, v0
	scratch_load_b32 v1, off, off offset:812 ; 4-byte Folded Reload
	v_and_b32_e32 v0, 0xffff0000, v89
	s_wait_loadcnt 0x0
	s_delay_alu instid0(VALU_DEP_1) | instskip(SKIP_3) | instid1(VALU_DEP_1)
	v_fmac_f32_e32 v126, v1, v0
	scratch_load_b32 v1, off, off offset:816 ; 4-byte Folded Reload
	v_and_b32_e32 v0, 0xffff0000, v48
	s_wait_loadcnt 0x0
	v_dual_fmac_f32 v133, v1, v0 :: v_dual_and_b32 v0, 0xffff0000, v81
	scratch_load_b32 v1, off, off offset:820 ; 4-byte Folded Reload
	s_wait_loadcnt 0x0
	v_fmac_f32_e32 v136, v1, v0
	scratch_load_b32 v1, off, off offset:824 ; 4-byte Folded Reload
	v_and_b32_e32 v0, 0xffff0000, v78
	s_wait_loadcnt 0x0
	s_delay_alu instid0(VALU_DEP_1) | instskip(SKIP_3) | instid1(VALU_DEP_1)
	v_fmac_f32_e32 v144, v1, v0
	scratch_load_b32 v1, off, off offset:828 ; 4-byte Folded Reload
	v_and_b32_e32 v0, 0xffff0000, v49
	s_wait_loadcnt 0x0
	v_dual_fmac_f32 v71, v1, v0 :: v_dual_and_b32 v0, 0xffff0000, v73
	scratch_load_b32 v1, off, off offset:832 ; 4-byte Folded Reload
	s_wait_loadcnt 0x0
	v_fmac_f32_e32 v76, v1, v0
	scratch_load_b32 v1, off, off offset:836 ; 4-byte Folded Reload
	v_and_b32_e32 v0, 0xffff0000, v68
	s_wait_loadcnt 0x0
	s_delay_alu instid0(VALU_DEP_1) | instskip(SKIP_3) | instid1(VALU_DEP_1)
	v_fmac_f32_e32 v84, v1, v0
	scratch_load_b32 v1, off, off offset:840 ; 4-byte Folded Reload
	v_and_b32_e32 v0, 0xffff0000, v55
	s_wait_loadcnt 0x0
	v_fmac_f32_e32 v120, v1, v0
	scratch_load_b32 v1, off, off offset:844 ; 4-byte Folded Reload
	v_and_b32_e32 v0, 0xffff0000, v65
	s_wait_loadcnt 0x0
	s_delay_alu instid0(VALU_DEP_1) | instskip(SKIP_3) | instid1(VALU_DEP_1)
	v_fmac_f32_e32 v126, v1, v0
	scratch_load_b32 v1, off, off offset:848 ; 4-byte Folded Reload
	v_and_b32_e32 v0, 0xffff0000, v59
	s_wait_loadcnt 0x0
	v_dual_fmac_f32 v133, v1, v0 :: v_dual_add_f32 v0, v120, v126
	v_and_b32_e32 v1, 0xffff0000, v56
	s_delay_alu instid0(VALU_DEP_1) | instskip(SKIP_3) | instid1(VALU_DEP_1)
	v_fmac_f32_e32 v136, v2, v1
	scratch_load_b32 v2, off, off offset:856 ; 4-byte Folded Reload
	v_and_b32_e32 v1, 0xffff0000, v11
	s_wait_loadcnt 0x0
	v_fmac_f32_e32 v144, v2, v1
	scratch_load_b32 v2, off, off offset:860 ; 4-byte Folded Reload
	v_and_b32_e32 v1, 0xffff0000, v29
	v_add_f32_e32 v0, v0, v133
	s_delay_alu instid0(VALU_DEP_1) | instskip(SKIP_1) | instid1(VALU_DEP_1)
	v_add_f32_e32 v0, v136, v0
	s_wait_loadcnt 0x0
	v_dual_add_f32 v0, v144, v0 :: v_dual_fmac_f32 v71, v2, v1
	scratch_load_b32 v2, off, off offset:864 ; 4-byte Folded Reload
	v_dual_add_f32 v0, v71, v0 :: v_dual_and_b32 v1, 0xffff0000, v170
	s_wait_loadcnt 0x0
	s_delay_alu instid0(VALU_DEP_1)
	v_dual_fmac_f32 v76, v2, v1 :: v_dual_and_b32 v1, 0xffff0000, v164
	scratch_load_b32 v2, off, off offset:868 ; 4-byte Folded Reload
	v_add_f32_e32 v0, v76, v0
	s_wait_loadcnt 0x0
	v_fmac_f32_e32 v84, v2, v1
	scratch_load_b32 v1, off, off offset:880 ; 4-byte Folded Reload
	s_wait_loadcnt 0x0
	v_dual_add_f32 v0, v84, v0 :: v_dual_add_nc_u32 v1, v1, v21
	s_delay_alu instid0(VALU_DEP_1) | instskip(NEXT) | instid1(VALU_DEP_1)
	v_cvt_f32_i32_e32 v1, v1
	v_mul_f32_e32 v1, s30, v1
	s_delay_alu instid0(VALU_DEP_1) | instskip(NEXT) | instid1(VALU_DEP_1)
	v_cndmask_b32_e32 v1, 0, v1, vcc_lo
	v_fmac_f32_e32 v1, s13, v0
	scratch_load_b32 v0, off, off offset:176 ; 4-byte Folded Reload
	s_wait_loadcnt 0x0
	v_add_nc_u32_e32 v0, v0, v21
	s_delay_alu instid0(VALU_DEP_1) | instskip(SKIP_1) | instid1(VALU_DEP_1)
	v_cmp_gt_i32_e64 s3, s34, v0
	v_max_num_f32_e32 v0, v4, v4
	v_max_num_f32_e32 v0, v0, v1
	s_wait_alu 0xf1ff
	s_delay_alu instid0(VALU_DEP_1)
	v_cndmask_b32_e64 v4, v4, v0, s3
	v_cndmask_b32_e64 v0, 0, v1, s3
	ds_store_b32 v20, v0
	s_branch .LBB356_11
.LBB356_16:
	s_or_b32 exec_lo, exec_lo, s29
	scratch_load_b32 v10, off, off offset:896 ; 4-byte Folded Reload
.LBB356_17:
	s_or_b32 exec_lo, exec_lo, s12
	v_mbcnt_lo_u32_b32 v0, -1, 0
	s_clause 0x2
	s_load_b128 s[12:15], s[0:1], 0x0
	s_load_b64 s[8:9], s[0:1], 0x10
	s_load_b64 s[30:31], s[0:1], 0x28
	v_xor_b32_e32 v1, 16, v0
	v_xor_b32_e32 v3, 8, v0
	s_delay_alu instid0(VALU_DEP_2) | instskip(SKIP_2) | instid1(VALU_DEP_3)
	v_cmp_gt_i32_e32 vcc_lo, 32, v1
	s_wait_alu 0xfffd
	v_cndmask_b32_e32 v1, v0, v1, vcc_lo
	v_cmp_gt_i32_e32 vcc_lo, 32, v3
	s_delay_alu instid0(VALU_DEP_2)
	v_lshlrev_b32_e32 v1, 2, v1
	s_wait_alu 0xfffd
	v_cndmask_b32_e32 v3, v0, v3, vcc_lo
	ds_bpermute_b32 v2, v1, v4
	s_wait_dscnt 0x0
	v_dual_max_num_f32 v4, v4, v4 :: v_dual_max_num_f32 v5, v2, v2
	s_delay_alu instid0(VALU_DEP_1)
	v_dual_max_num_f32 v3, v4, v5 :: v_dual_lshlrev_b32 v2, 2, v3
	v_xor_b32_e32 v5, 4, v0
	ds_bpermute_b32 v4, v2, v3
	v_cmp_gt_i32_e32 vcc_lo, 32, v5
	s_wait_alu 0xfffd
	v_cndmask_b32_e32 v5, v0, v5, vcc_lo
	s_wait_dscnt 0x0
	v_max_num_f32_e32 v6, v4, v4
	s_delay_alu instid0(VALU_DEP_1)
	v_dual_max_num_f32 v3, v3, v6 :: v_dual_lshlrev_b32 v4, 2, v5
	v_xor_b32_e32 v6, 2, v0
	ds_bpermute_b32 v5, v4, v3
	v_cmp_gt_i32_e32 vcc_lo, 32, v6
	s_wait_dscnt 0x0
	s_wait_alu 0xfffd
	v_dual_cndmask_b32 v6, v0, v6 :: v_dual_max_num_f32 v5, v5, v5
	s_delay_alu instid0(VALU_DEP_1) | instskip(SKIP_1) | instid1(VALU_DEP_1)
	v_lshlrev_b32_e32 v34, 2, v6
	v_xor_b32_e32 v6, 1, v0
	v_cmp_gt_i32_e32 vcc_lo, 32, v6
	s_wait_alu 0xfffd
	v_dual_max_num_f32 v3, v3, v5 :: v_dual_cndmask_b32 v6, v0, v6
	ds_bpermute_b32 v5, v34, v3
	v_lshlrev_b32_e32 v51, 2, v6
	s_wait_dscnt 0x0
	v_max_num_f32_e32 v5, v5, v5
	s_delay_alu instid0(VALU_DEP_1)
	v_max_num_f32_e32 v0, v3, v5
	scratch_load_b32 v5, off, off offset:176 ; 4-byte Folded Reload
	ds_bpermute_b32 v3, v51, v0
	s_wait_loadcnt 0x0
	v_cmp_eq_u32_e32 vcc_lo, 0, v5
	scratch_load_b32 v5, off, off offset:884 ; 4-byte Folded Reload
	s_wait_loadcnt 0x0
	v_lshlrev_b32_e32 v5, 2, v5
	s_and_saveexec_b32 s0, vcc_lo
	s_cbranch_execz .LBB356_19
; %bb.18:
	s_wait_dscnt 0x0
	v_dual_max_num_f32 v3, v3, v3 :: v_dual_max_num_f32 v0, v0, v0
	s_delay_alu instid0(VALU_DEP_1)
	v_max_num_f32_e32 v0, v0, v3
	ds_store_b32 v5, v0 offset:384
.LBB356_19:
	s_or_b32 exec_lo, exec_lo, s0
	scratch_load_b32 v0, off, off offset:176 ; 4-byte Folded Reload
	s_wait_storecnt 0x0
	s_wait_loadcnt_dscnt 0x0
	s_barrier_signal -1
	s_barrier_wait -1
	global_inv scope:SCOPE_SE
	v_cmp_gt_u32_e64 s0, 4, v0
	v_mov_b32_e32 v0, 0xff7fffff
	s_and_saveexec_b32 s1, s0
; %bb.20:
	ds_load_b32 v0, v10 offset:384
; %bb.21:
	s_or_b32 exec_lo, exec_lo, s1
	s_wait_dscnt 0x0
	ds_bpermute_b32 v3, v34, v0
	v_max_num_f32_e32 v0, v0, v0
	s_sub_co_i32 s1, s35, s40
	v_mov_b32_e32 v6, 0
	s_lshl_b32 s1, s1, 5
	s_delay_alu instid0(SALU_CYCLE_1) | instskip(NEXT) | instid1(SALU_CYCLE_1)
	s_add_co_i32 s1, s1, s36
	s_min_i32 s1, s1, s34
	s_delay_alu instid0(SALU_CYCLE_1) | instskip(SKIP_2) | instid1(VALU_DEP_1)
	s_sub_co_i32 s4, s1, s36
	s_wait_dscnt 0x0
	v_max_num_f32_e32 v3, v3, v3
	v_max_num_f32_e32 v0, v0, v3
	ds_bpermute_b32 v3, v51, v0
	s_wait_dscnt 0x0
	v_max_num_f32_e32 v3, v3, v3
	s_delay_alu instid0(VALU_DEP_1)
	v_max_num_f32_e32 v0, v0, v3
	scratch_load_b32 v3, off, off offset:172 ; 4-byte Folded Reload
	ds_bpermute_b32 v0, v6, v0
	s_wait_loadcnt 0x0
	v_cmp_gt_i32_e64 s1, s4, v3
	v_lshl_add_u32 v3, v3, 2, 0x1a0
	s_and_saveexec_b32 s18, s1
	s_cbranch_execz .LBB356_25
; %bb.22:
	scratch_load_b32 v8, off, off offset:172 ; 4-byte Folded Reload
	v_mov_b32_e32 v6, 0
	s_mov_b32 s29, 0
	s_wait_loadcnt 0x0
	v_lshl_add_u32 v7, v8, 2, 0x1a0
.LBB356_23:                             ; =>This Inner Loop Header: Depth=1
	ds_load_b32 v9, v7
	v_add_nc_u32_e32 v8, 0x80, v8
	s_delay_alu instid0(VALU_DEP_1) | instskip(SKIP_3) | instid1(VALU_DEP_1)
	v_cmp_le_i32_e64 s3, s4, v8
	s_or_b32 s29, s3, s29
	s_wait_dscnt 0x0
	v_sub_f32_e32 v9, v9, v0
	v_mul_f32_e32 v9, 0x3fb8aa3b, v9
	s_delay_alu instid0(VALU_DEP_1)
	v_exp_f32_e32 v9, v9
	ds_store_b32 v7, v9
	v_dual_add_f32 v6, v6, v9 :: v_dual_add_nc_u32 v7, 0x200, v7
	s_and_not1_b32 exec_lo, exec_lo, s29
	s_cbranch_execnz .LBB356_23
; %bb.24:
	s_or_b32 exec_lo, exec_lo, s29
.LBB356_25:
	s_wait_alu 0xfffe
	s_or_b32 exec_lo, exec_lo, s18
	ds_bpermute_b32 v1, v1, v6
	s_wait_dscnt 0x0
	v_add_f32_e32 v1, v6, v1
	ds_bpermute_b32 v2, v2, v1
	s_wait_dscnt 0x0
	v_add_f32_e32 v1, v1, v2
	;; [unrolled: 3-line block ×5, first 2 shown]
	s_and_saveexec_b32 s3, vcc_lo
; %bb.26:
	ds_store_b32 v5, v1 offset:400
; %bb.27:
	s_wait_alu 0xfffe
	s_or_b32 exec_lo, exec_lo, s3
	s_wait_dscnt 0x0
	s_barrier_signal -1
	s_barrier_wait -1
	global_inv scope:SCOPE_SE
	s_and_saveexec_b32 s3, s0
; %bb.28:
	ds_load_b32 v1, v10 offset:400
; %bb.29:
	s_wait_alu 0xfffe
	s_or_b32 exec_lo, exec_lo, s3
	s_wait_dscnt 0x0
	ds_bpermute_b32 v2, v34, v1
	s_wait_dscnt 0x0
	v_add_f32_e32 v1, v1, v2
	ds_bpermute_b32 v2, v51, v1
	s_wait_dscnt 0x0
	v_dual_add_f32 v1, v1, v2 :: v_dual_mov_b32 v2, 0
	ds_bpermute_b32 v1, v2, v1
	s_and_saveexec_b32 s0, s1
	s_cbranch_execz .LBB356_32
; %bb.30:
	s_wait_dscnt 0x0
	v_add_f32_e32 v2, 0x358637bd, v1
	s_mov_b32 s1, 0
	s_delay_alu instid0(VALU_DEP_1) | instskip(SKIP_1) | instid1(VALU_DEP_2)
	v_div_scale_f32 v4, null, v2, v2, 1.0
	v_div_scale_f32 v7, vcc_lo, 1.0, v2, 1.0
	v_rcp_f32_e32 v5, v4
	s_delay_alu instid0(TRANS32_DEP_1) | instskip(NEXT) | instid1(VALU_DEP_1)
	v_fma_f32 v6, -v4, v5, 1.0
	v_fmac_f32_e32 v5, v6, v5
	s_delay_alu instid0(VALU_DEP_1) | instskip(NEXT) | instid1(VALU_DEP_1)
	v_mul_f32_e32 v6, v7, v5
	v_fma_f32 v8, -v4, v6, v7
	s_delay_alu instid0(VALU_DEP_1) | instskip(NEXT) | instid1(VALU_DEP_1)
	v_fmac_f32_e32 v6, v8, v5
	v_fma_f32 v4, -v4, v6, v7
	s_wait_alu 0xfffd
	s_delay_alu instid0(VALU_DEP_1) | instskip(NEXT) | instid1(VALU_DEP_1)
	v_div_fmas_f32 v4, v4, v5, v6
	v_div_fixup_f32 v2, v4, v2, 1.0
	scratch_load_b32 v4, off, off offset:172 ; 4-byte Folded Reload
.LBB356_31:                             ; =>This Inner Loop Header: Depth=1
	ds_load_b32 v5, v3
	s_wait_loadcnt_dscnt 0x0
	v_dual_mul_f32 v5, v2, v5 :: v_dual_add_nc_u32 v4, 0x80, v4
	s_delay_alu instid0(VALU_DEP_1) | instskip(SKIP_3) | instid1(SALU_CYCLE_1)
	v_cmp_le_i32_e32 vcc_lo, s4, v4
	ds_store_b32 v3, v5
	v_add_nc_u32_e32 v3, 0x200, v3
	s_or_b32 s1, vcc_lo, s1
	s_and_not1_b32 exec_lo, exec_lo, s1
	s_cbranch_execnz .LBB356_31
.LBB356_32:
	s_or_b32 exec_lo, exec_lo, s0
	s_wait_loadcnt_dscnt 0x0
	s_barrier_signal -1
	scratch_load_b32 v2, off, off offset:172 ; 4-byte Folded Reload
	s_mul_i32 s0, s7, s19
	s_barrier_wait -1
	s_mul_i32 s18, s0, s37
	s_mov_b32 s0, exec_lo
	s_wait_loadcnt 0x0
	global_inv scope:SCOPE_SE
	v_cmpx_eq_u32_e32 0, v2
	s_cbranch_execz .LBB356_34
; %bb.33:
	s_wait_alu 0xfffe
	s_ashr_i32 s19, s18, 31
	s_mul_i32 s40, s7, ttmp9
	s_lshl_b32 s1, s33, 2
	s_wait_alu 0xfffe
	s_lshl_b64 s[42:43], s[18:19], 2
	s_ashr_i32 s41, s40, 31
	v_mov_b32_e32 v2, s1
	s_wait_kmcnt 0x0
	s_wait_alu 0xfffe
	s_add_nc_u64 s[14:15], s[14:15], s[42:43]
	s_lshl_b64 s[40:41], s[40:41], 2
	s_add_nc_u64 s[12:13], s[12:13], s[42:43]
	s_wait_alu 0xfffe
	s_add_nc_u64 s[14:15], s[14:15], s[40:41]
	s_add_nc_u64 s[12:13], s[12:13], s[40:41]
	s_clause 0x1
	global_store_b32 v2, v0, s[14:15]
	global_store_b32 v2, v1, s[12:13]
.LBB356_34:
	s_or_b32 exec_lo, exec_lo, s0
	v_dual_mov_b32 v16, 0 :: v_dual_mov_b32 v23, 0
	v_dual_mov_b32 v24, 0 :: v_dual_mov_b32 v21, 0
	;; [unrolled: 1-line block ×11, first 2 shown]
	v_mov_b32_e32 v63, 0
	v_mov_b32_e32 v49, 0
	s_and_saveexec_b32 s1, s2
	s_cbranch_execz .LBB356_88
; %bb.35:
	s_clause 0x1
	scratch_store_b32 off, v34, off offset:196
	scratch_store_b32 off, v51, off offset:192
	scratch_load_b32 v1, off, off offset:172 ; 4-byte Folded Reload
	s_abs_i32 s4, s6
	s_ashr_i32 s29, s28, 31
	s_wait_alu 0xfffe
	s_cvt_f32_u32 s0, s4
	s_wait_kmcnt 0x0
	s_add_nc_u64 s[14:15], s[30:31], s[28:29]
	s_mov_b32 s6, s17
	s_sub_co_i32 s17, 0, s4
	s_wait_alu 0xfffe
	v_rcp_iflag_f32_e32 v0, s0
	v_dual_mov_b32 v49, 0 :: v_dual_mov_b32 v44, 0
	v_dual_mov_b32 v45, 0 :: v_dual_mov_b32 v36, 0
	;; [unrolled: 1-line block ×5, first 2 shown]
	s_delay_alu instid0(TRANS32_DEP_1)
	v_readfirstlane_b32 s0, v0
	v_dual_mov_b32 v37, 0 :: v_dual_mov_b32 v30, 0
	v_dual_mov_b32 v35, 0 :: v_dual_mov_b32 v20, 0
	s_mul_f32 s0, s0, 0x4f7ffffe
	v_dual_mov_b32 v33, 0 :: v_dual_mov_b32 v24, 0
	v_dual_mov_b32 v27, 0 :: v_dual_mov_b32 v16, 0
	s_wait_alu 0xfffe
	s_cvt_u32_f32 s0, s0
	v_mov_b32_e32 v29, 0
	v_mov_b32_e32 v21, 0
	;; [unrolled: 1-line block ×3, first 2 shown]
	s_wait_alu 0xfffe
	s_mul_i32 s17, s17, s0
	s_lshl_b32 s13, s36, 2
	s_lshl_b64 s[2:3], s[26:27], 2
	s_sub_co_i32 s5, s39, s5
	s_add_co_i32 s12, s38, -1
	s_wait_alu 0xfffe
	s_sub_co_i32 s13, 0x1a0, s13
	s_add_nc_u64 s[2:3], s[24:25], s[2:3]
	v_mov_b32_e32 v46, 0
	s_wait_loadcnt 0x0
	v_dual_mov_b32 v22, 0 :: v_dual_lshlrev_b32 v1, 3, v1
	s_delay_alu instid0(VALU_DEP_1) | instskip(SKIP_1) | instid1(VALU_DEP_2)
	v_dual_mov_b32 v63, 0 :: v_dual_and_b32 v0, 0xf8, v1
	v_and_b32_e32 v1, 24, v1
	v_add_co_u32 v0, s14, s14, v0
	scratch_store_b32 off, v1, off offset:180 ; 4-byte Folded Spill
	s_wait_alu 0xf1ff
	v_add_co_ci_u32_e64 v1, null, s15, 0, s14
	s_mul_hi_u32 s15, s0, s17
	s_mov_b32 s14, 0
	s_wait_alu 0xfffe
	s_add_co_i32 s15, s0, s15
	scratch_store_b64 off, v[0:1], off offset:184 ; 8-byte Folded Spill
	scratch_load_b64 v[0:1], off, off offset:888 ; 8-byte Folded Reload
	s_branch .LBB356_38
.LBB356_36:                             ;   in Loop: Header=BB356_38 Depth=1
	s_wait_alu 0xfffe
	s_or_b32 exec_lo, exec_lo, s0
	s_wait_dscnt 0x1
	v_bfe_u32 v60, v5, 16, 1
	v_or_b32_e32 v61, 0x400000, v5
	v_cmp_u_f32_e32 vcc_lo, v5, v5
	v_lshlrev_b32_e32 v18, 16, v18
	v_lshlrev_b32_e32 v59, 16, v59
	v_add3_u32 v60, v60, v5, 0x7fff
	v_lshlrev_b32_e32 v12, 16, v12
	v_lshlrev_b32_e32 v0, 16, v0
	;; [unrolled: 1-line block ×3, first 2 shown]
	s_wait_alu 0xfffd
	v_dual_cndmask_b32 v5, v60, v61 :: v_dual_lshlrev_b32 v10, 16, v10
	v_bfe_u32 v60, v6, 16, 1
	v_or_b32_e32 v61, 0x400000, v6
	v_cmp_u_f32_e32 vcc_lo, v6, v6
	v_lshlrev_b32_e32 v11, 16, v11
	v_lshlrev_b32_e32 v21, 16, v21
	v_add3_u32 v60, v60, v6, 0x7fff
	v_lshlrev_b32_e32 v9, 16, v9
	s_wait_alu 0xfffd
	s_delay_alu instid0(VALU_DEP_2) | instskip(SKIP_3) | instid1(VALU_DEP_3)
	v_cndmask_b32_e32 v6, v60, v61, vcc_lo
	v_bfe_u32 v60, v7, 16, 1
	v_or_b32_e32 v61, 0x400000, v7
	v_cmp_u_f32_e32 vcc_lo, v7, v7
	v_add3_u32 v60, v60, v7, 0x7fff
	v_bfe_u32 v7, v8, 16, 1
	s_wait_alu 0xfffd
	s_delay_alu instid0(VALU_DEP_2) | instskip(NEXT) | instid1(VALU_DEP_2)
	v_cndmask_b32_e32 v60, v60, v61, vcc_lo
	v_add3_u32 v7, v7, v8, 0x7fff
	v_or_b32_e32 v61, 0x400000, v8
	v_cmp_u_f32_e32 vcc_lo, v8, v8
	s_wait_dscnt 0x0
	v_or_b32_e32 v8, 0x400000, v1
	s_wait_alu 0xfffd
	v_cndmask_b32_e32 v61, v7, v61, vcc_lo
	v_bfe_u32 v7, v1, 16, 1
	v_cmp_u_f32_e32 vcc_lo, v1, v1
	s_delay_alu instid0(VALU_DEP_2) | instskip(SKIP_1) | instid1(VALU_DEP_1)
	v_add3_u32 v7, v7, v1, 0x7fff
	s_wait_alu 0xfffd
	v_cndmask_b32_e32 v1, v7, v8, vcc_lo
	v_bfe_u32 v7, v2, 16, 1
	v_or_b32_e32 v8, 0x400000, v2
	v_cmp_u_f32_e32 vcc_lo, v2, v2
	s_delay_alu instid0(VALU_DEP_3) | instskip(SKIP_1) | instid1(VALU_DEP_1)
	v_add3_u32 v7, v7, v2, 0x7fff
	s_wait_alu 0xfffd
	v_cndmask_b32_e32 v2, v7, v8, vcc_lo
	v_bfe_u32 v7, v3, 16, 1
	v_or_b32_e32 v8, 0x400000, v3
	v_cmp_u_f32_e32 vcc_lo, v3, v3
	s_delay_alu instid0(VALU_DEP_4) | instskip(NEXT) | instid1(VALU_DEP_4)
	v_and_b32_e32 v2, 0xffff0000, v2
	v_add3_u32 v7, v7, v3, 0x7fff
	s_wait_alu 0xfffd
	s_delay_alu instid0(VALU_DEP_1) | instskip(SKIP_3) | instid1(VALU_DEP_3)
	v_cndmask_b32_e32 v3, v7, v8, vcc_lo
	v_bfe_u32 v7, v4, 16, 1
	v_or_b32_e32 v8, 0x400000, v4
	v_cmp_u_f32_e32 vcc_lo, v4, v4
	v_add3_u32 v7, v7, v4, 0x7fff
	s_wait_alu 0xfffd
	s_delay_alu instid0(VALU_DEP_1) | instskip(SKIP_1) | instid1(VALU_DEP_1)
	v_dual_cndmask_b32 v139, v7, v8 :: v_dual_lshlrev_b32 v4, 16, v55
	v_and_b32_e32 v7, 0xffff0000, v6
	v_mul_f32_e32 v4, v7, v4
	s_delay_alu instid0(VALU_DEP_1) | instskip(SKIP_2) | instid1(VALU_DEP_3)
	v_bfe_u32 v6, v4, 16, 1
	v_or_b32_e32 v8, 0x400000, v4
	v_cmp_u_f32_e32 vcc_lo, v4, v4
	v_add3_u32 v6, v6, v4, 0x7fff
	s_wait_alu 0xfffd
	s_delay_alu instid0(VALU_DEP_1) | instskip(SKIP_1) | instid1(VALU_DEP_1)
	v_dual_cndmask_b32 v55, v6, v8 :: v_dual_lshlrev_b32 v4, 16, v54
	v_and_b32_e32 v8, 0xffff0000, v5
	v_dual_mul_f32 v4, v8, v4 :: v_dual_and_b32 v3, 0xffff0000, v3
	s_delay_alu instid0(VALU_DEP_1) | instskip(SKIP_1) | instid1(VALU_DEP_3)
	v_mul_f32_e32 v18, v3, v18
	v_mul_f32_e32 v0, v8, v0
	v_bfe_u32 v5, v4, 16, 1
	v_or_b32_e32 v6, 0x400000, v4
	v_cmp_u_f32_e32 vcc_lo, v4, v4
	s_delay_alu instid0(VALU_DEP_3) | instskip(SKIP_2) | instid1(VALU_DEP_2)
	v_add3_u32 v5, v5, v4, 0x7fff
	v_and_b32_e32 v4, 0xffff0000, v61
	s_wait_alu 0xfffd
	v_dual_cndmask_b32 v54, v5, v6 :: v_dual_lshlrev_b32 v5, 16, v57
	s_delay_alu instid0(VALU_DEP_1) | instskip(NEXT) | instid1(VALU_DEP_1)
	v_dual_mul_f32 v5, v4, v5 :: v_dual_and_b32 v54, 0xffff0000, v54
	v_bfe_u32 v6, v5, 16, 1
	v_or_b32_e32 v57, 0x400000, v5
	v_cmp_u_f32_e32 vcc_lo, v5, v5
	s_delay_alu instid0(VALU_DEP_3) | instskip(SKIP_2) | instid1(VALU_DEP_2)
	v_add3_u32 v6, v6, v5, 0x7fff
	v_lshlrev_b32_e32 v5, 16, v56
	s_wait_alu 0xfffd
	v_dual_cndmask_b32 v57, v6, v57 :: v_dual_and_b32 v6, 0xffff0000, v60
	s_delay_alu instid0(VALU_DEP_1) | instskip(NEXT) | instid1(VALU_DEP_1)
	v_mul_f32_e32 v5, v6, v5
	v_bfe_u32 v56, v5, 16, 1
	v_or_b32_e32 v60, 0x400000, v5
	v_cmp_u_f32_e32 vcc_lo, v5, v5
	s_delay_alu instid0(VALU_DEP_3) | instskip(SKIP_1) | instid1(VALU_DEP_1)
	v_add3_u32 v56, v56, v5, 0x7fff
	s_wait_alu 0xfffd
	v_dual_cndmask_b32 v56, v56, v60 :: v_dual_lshlrev_b32 v5, 16, v17
	s_delay_alu instid0(VALU_DEP_1) | instskip(NEXT) | instid1(VALU_DEP_1)
	v_mul_f32_e32 v5, v2, v5
	v_bfe_u32 v17, v5, 16, 1
	v_or_b32_e32 v60, 0x400000, v5
	v_cmp_u_f32_e32 vcc_lo, v5, v5
	s_delay_alu instid0(VALU_DEP_3) | instskip(SKIP_1) | instid1(VALU_DEP_1)
	v_add3_u32 v17, v17, v5, 0x7fff
	s_wait_alu 0xfffd
	v_cndmask_b32_e32 v17, v17, v60, vcc_lo
	v_and_b32_e32 v55, 0xffff0000, v55
	v_and_b32_e32 v5, 0xffff0000, v1
	v_lshlrev_b32_e32 v1, 16, v58
	s_delay_alu instid0(VALU_DEP_3) | instskip(SKIP_1) | instid1(VALU_DEP_3)
	v_dual_mul_f32 v9, v4, v9 :: v_dual_add_f32 v54, v54, v55
	v_and_b32_e32 v55, 0xffff0000, v56
	v_mul_f32_e32 v1, v5, v1
	v_and_b32_e32 v56, 0xffff0000, v57
	v_dual_mul_f32 v10, v2, v10 :: v_dual_and_b32 v17, 0xffff0000, v17
	v_lshlrev_b32_e32 v20, 16, v20
	s_delay_alu instid0(VALU_DEP_4)
	v_bfe_u32 v58, v1, 16, 1
	v_or_b32_e32 v60, 0x400000, v1
	v_cmp_u_f32_e32 vcc_lo, v1, v1
	v_add_f32_e32 v55, v55, v56
	v_mul_f32_e32 v20, v2, v20
	v_add3_u32 v58, v58, v1, 0x7fff
	v_dual_mul_f32 v12, v5, v12 :: v_dual_and_b32 v1, 0xffff0000, v139
	s_delay_alu instid0(VALU_DEP_4) | instskip(SKIP_1) | instid1(VALU_DEP_2)
	v_add_f32_e32 v54, v55, v54
	s_wait_alu 0xfffd
	v_dual_cndmask_b32 v58, v58, v60 :: v_dual_mul_f32 v59, v1, v59
	v_mul_f32_e32 v11, v1, v11
	v_mul_f32_e32 v21, v1, v21
	s_delay_alu instid0(VALU_DEP_3) | instskip(NEXT) | instid1(VALU_DEP_4)
	v_and_b32_e32 v55, 0xffff0000, v58
	v_bfe_u32 v60, v59, 16, 1
	v_or_b32_e32 v61, 0x400000, v59
	v_cmp_u_f32_e32 vcc_lo, v59, v59
	s_delay_alu instid0(VALU_DEP_3) | instskip(SKIP_1) | instid1(VALU_DEP_1)
	v_add3_u32 v60, v60, v59, 0x7fff
	s_wait_alu 0xfffd
	v_cndmask_b32_e32 v59, v60, v61, vcc_lo
	v_bfe_u32 v60, v18, 16, 1
	v_or_b32_e32 v61, 0x400000, v18
	v_cmp_u_f32_e32 vcc_lo, v18, v18
	v_add_f32_e32 v17, v55, v17
	s_delay_alu instid0(VALU_DEP_4) | instskip(NEXT) | instid1(VALU_DEP_2)
	v_add3_u32 v60, v60, v18, 0x7fff
	v_dual_add_f32 v17, v17, v54 :: v_dual_and_b32 v54, 0xffff0000, v59
	s_wait_alu 0xfffd
	s_delay_alu instid0(VALU_DEP_2) | instskip(NEXT) | instid1(VALU_DEP_1)
	v_cndmask_b32_e32 v18, v60, v61, vcc_lo
	v_and_b32_e32 v18, 0xffff0000, v18
	s_delay_alu instid0(VALU_DEP_1) | instskip(NEXT) | instid1(VALU_DEP_1)
	v_add_f32_e32 v18, v18, v54
	v_add_f32_e32 v17, v18, v17
	s_delay_alu instid0(VALU_DEP_1) | instskip(SKIP_1) | instid1(VALU_DEP_1)
	v_add_f32_e32 v63, v63, v17
	v_lshlrev_b32_e32 v17, 16, v47
	v_mul_f32_e32 v17, v7, v17
	s_delay_alu instid0(VALU_DEP_1) | instskip(SKIP_2) | instid1(VALU_DEP_3)
	v_bfe_u32 v18, v17, 16, 1
	v_or_b32_e32 v47, 0x400000, v17
	v_cmp_u_f32_e32 vcc_lo, v17, v17
	v_add3_u32 v18, v18, v17, 0x7fff
	s_wait_alu 0xfffd
	s_delay_alu instid0(VALU_DEP_1) | instskip(NEXT) | instid1(VALU_DEP_1)
	v_dual_cndmask_b32 v17, v18, v47 :: v_dual_lshlrev_b32 v18, 16, v46
	v_dual_mul_f32 v18, v8, v18 :: v_dual_mul_f32 v19, v3, v19
	s_delay_alu instid0(VALU_DEP_1) | instskip(SKIP_2) | instid1(VALU_DEP_3)
	v_bfe_u32 v46, v18, 16, 1
	v_or_b32_e32 v47, 0x400000, v18
	v_cmp_u_f32_e32 vcc_lo, v18, v18
	v_add3_u32 v46, v46, v18, 0x7fff
	s_wait_alu 0xfffd
	s_delay_alu instid0(VALU_DEP_1) | instskip(SKIP_2) | instid1(VALU_DEP_3)
	v_cndmask_b32_e32 v18, v46, v47, vcc_lo
	v_lshlrev_b32_e32 v46, 16, v49
	v_and_b32_e32 v17, 0xffff0000, v17
	v_and_b32_e32 v18, 0xffff0000, v18
	s_delay_alu instid0(VALU_DEP_1) | instskip(NEXT) | instid1(VALU_DEP_1)
	v_dual_mul_f32 v46, v4, v46 :: v_dual_add_f32 v17, v18, v17
	v_bfe_u32 v47, v46, 16, 1
	v_or_b32_e32 v49, 0x400000, v46
	v_cmp_u_f32_e32 vcc_lo, v46, v46
	s_delay_alu instid0(VALU_DEP_3) | instskip(SKIP_1) | instid1(VALU_DEP_1)
	v_add3_u32 v47, v47, v46, 0x7fff
	s_wait_alu 0xfffd
	v_dual_cndmask_b32 v46, v47, v49 :: v_dual_lshlrev_b32 v47, 16, v48
	s_delay_alu instid0(VALU_DEP_1) | instskip(NEXT) | instid1(VALU_DEP_1)
	v_dual_mul_f32 v47, v6, v47 :: v_dual_and_b32 v46, 0xffff0000, v46
	v_bfe_u32 v48, v47, 16, 1
	v_or_b32_e32 v49, 0x400000, v47
	v_cmp_u_f32_e32 vcc_lo, v47, v47
	s_delay_alu instid0(VALU_DEP_3) | instskip(SKIP_1) | instid1(VALU_DEP_1)
	v_add3_u32 v48, v48, v47, 0x7fff
	s_wait_alu 0xfffd
	v_dual_cndmask_b32 v47, v48, v49 :: v_dual_lshlrev_b32 v48, 16, v51
	s_delay_alu instid0(VALU_DEP_1) | instskip(NEXT) | instid1(VALU_DEP_2)
	v_and_b32_e32 v18, 0xffff0000, v47
	v_mul_f32_e32 v48, v2, v48
	scratch_load_b32 v47, off, off offset:96 th:TH_LOAD_LU ; 4-byte Folded Reload
	v_add_f32_e32 v18, v18, v46
	v_bfe_u32 v49, v48, 16, 1
	v_or_b32_e32 v51, 0x400000, v48
	v_cmp_u_f32_e32 vcc_lo, v48, v48
	s_delay_alu instid0(VALU_DEP_3) | instskip(SKIP_1) | instid1(VALU_DEP_1)
	v_add3_u32 v49, v49, v48, 0x7fff
	s_wait_alu 0xfffd
	v_dual_cndmask_b32 v48, v49, v51 :: v_dual_lshlrev_b32 v49, 16, v50
	s_delay_alu instid0(VALU_DEP_1) | instskip(NEXT) | instid1(VALU_DEP_1)
	v_dual_mul_f32 v49, v5, v49 :: v_dual_and_b32 v46, 0xffff0000, v48
	v_bfe_u32 v50, v49, 16, 1
	v_or_b32_e32 v51, 0x400000, v49
	v_cmp_u_f32_e32 vcc_lo, v49, v49
	s_delay_alu instid0(VALU_DEP_3) | instskip(SKIP_1) | instid1(VALU_DEP_1)
	v_add3_u32 v50, v50, v49, 0x7fff
	s_wait_alu 0xfffd
	v_dual_cndmask_b32 v49, v50, v51 :: v_dual_lshlrev_b32 v50, 16, v53
	s_delay_alu instid0(VALU_DEP_1) | instskip(NEXT) | instid1(VALU_DEP_1)
	v_mul_f32_e32 v50, v1, v50
	v_bfe_u32 v51, v50, 16, 1
	v_or_b32_e32 v53, 0x400000, v50
	v_cmp_u_f32_e32 vcc_lo, v50, v50
	s_delay_alu instid0(VALU_DEP_3) | instskip(SKIP_1) | instid1(VALU_DEP_1)
	v_add3_u32 v51, v51, v50, 0x7fff
	s_wait_alu 0xfffd
	v_dual_cndmask_b32 v50, v51, v53 :: v_dual_lshlrev_b32 v51, 16, v52
	v_add_f32_e32 v17, v18, v17
	v_and_b32_e32 v18, 0xffff0000, v49
	scratch_load_b32 v49, off, off offset:80 th:TH_LOAD_LU ; 4-byte Folded Reload
	v_dual_mul_f32 v51, v3, v51 :: v_dual_add_f32 v18, v18, v46
	v_and_b32_e32 v46, 0xffff0000, v50
	s_delay_alu instid0(VALU_DEP_2) | instskip(SKIP_3) | instid1(VALU_DEP_4)
	v_bfe_u32 v52, v51, 16, 1
	v_or_b32_e32 v53, 0x400000, v51
	v_cmp_u_f32_e32 vcc_lo, v51, v51
	v_add_f32_e32 v17, v18, v17
	v_add3_u32 v52, v52, v51, 0x7fff
	s_wait_alu 0xfffd
	s_delay_alu instid0(VALU_DEP_1) | instskip(NEXT) | instid1(VALU_DEP_1)
	v_cndmask_b32_e32 v51, v52, v53, vcc_lo
	v_and_b32_e32 v18, 0xffff0000, v51
	s_delay_alu instid0(VALU_DEP_1) | instskip(SKIP_3) | instid1(VALU_DEP_1)
	v_add_f32_e32 v18, v18, v46
	scratch_load_b32 v46, off, off offset:84 th:TH_LOAD_LU ; 4-byte Folded Reload
	v_add_f32_e32 v17, v18, v17
	s_wait_loadcnt 0x0
	v_dual_add_f32 v46, v46, v17 :: v_dual_lshlrev_b32 v17, 16, v39
	s_delay_alu instid0(VALU_DEP_1) | instskip(NEXT) | instid1(VALU_DEP_1)
	v_mul_f32_e32 v17, v7, v17
	v_bfe_u32 v18, v17, 16, 1
	v_or_b32_e32 v39, 0x400000, v17
	v_cmp_u_f32_e32 vcc_lo, v17, v17
	s_delay_alu instid0(VALU_DEP_3) | instskip(SKIP_1) | instid1(VALU_DEP_1)
	v_add3_u32 v18, v18, v17, 0x7fff
	s_wait_alu 0xfffd
	v_dual_cndmask_b32 v17, v18, v39 :: v_dual_lshlrev_b32 v18, 16, v38
	s_delay_alu instid0(VALU_DEP_1) | instskip(NEXT) | instid1(VALU_DEP_1)
	v_mul_f32_e32 v18, v8, v18
	v_bfe_u32 v38, v18, 16, 1
	v_or_b32_e32 v39, 0x400000, v18
	v_cmp_u_f32_e32 vcc_lo, v18, v18
	s_delay_alu instid0(VALU_DEP_3) | instskip(SKIP_1) | instid1(VALU_DEP_1)
	v_add3_u32 v38, v38, v18, 0x7fff
	s_wait_alu 0xfffd
	v_cndmask_b32_e32 v18, v38, v39, vcc_lo
	v_lshlrev_b32_e32 v38, 16, v41
	s_delay_alu instid0(VALU_DEP_2) | instskip(NEXT) | instid1(VALU_DEP_2)
	v_and_b32_e32 v18, 0xffff0000, v18
	v_mul_f32_e32 v38, v4, v38
	s_delay_alu instid0(VALU_DEP_1) | instskip(SKIP_2) | instid1(VALU_DEP_3)
	v_bfe_u32 v39, v38, 16, 1
	v_or_b32_e32 v41, 0x400000, v38
	v_cmp_u_f32_e32 vcc_lo, v38, v38
	v_add3_u32 v39, v39, v38, 0x7fff
	s_wait_alu 0xfffd
	s_delay_alu instid0(VALU_DEP_1) | instskip(NEXT) | instid1(VALU_DEP_1)
	v_dual_cndmask_b32 v38, v39, v41 :: v_dual_lshlrev_b32 v39, 16, v40
	v_dual_mul_f32 v39, v6, v39 :: v_dual_and_b32 v38, 0xffff0000, v38
	v_and_b32_e32 v17, 0xffff0000, v17
	s_delay_alu instid0(VALU_DEP_2) | instskip(SKIP_2) | instid1(VALU_DEP_4)
	v_bfe_u32 v40, v39, 16, 1
	v_or_b32_e32 v41, 0x400000, v39
	v_cmp_u_f32_e32 vcc_lo, v39, v39
	v_add_f32_e32 v17, v18, v17
	s_delay_alu instid0(VALU_DEP_4) | instskip(SKIP_1) | instid1(VALU_DEP_1)
	v_add3_u32 v40, v40, v39, 0x7fff
	s_wait_alu 0xfffd
	v_cndmask_b32_e32 v39, v40, v41, vcc_lo
	v_bfe_u32 v40, v10, 16, 1
	v_or_b32_e32 v41, 0x400000, v10
	v_cmp_u_f32_e32 vcc_lo, v10, v10
	s_delay_alu instid0(VALU_DEP_4) | instskip(NEXT) | instid1(VALU_DEP_4)
	v_and_b32_e32 v18, 0xffff0000, v39
	v_add3_u32 v40, v40, v10, 0x7fff
	scratch_load_b32 v39, off, off offset:104 th:TH_LOAD_LU ; 4-byte Folded Reload
	v_add_f32_e32 v18, v18, v38
	s_wait_alu 0xfffd
	v_cndmask_b32_e32 v10, v40, v41, vcc_lo
	v_lshlrev_b32_e32 v40, 16, v42
	scratch_load_b32 v38, off, off offset:124 th:TH_LOAD_LU ; 4-byte Folded Reload
	v_dual_add_f32 v17, v18, v17 :: v_dual_and_b32 v10, 0xffff0000, v10
	v_mul_f32_e32 v40, v5, v40
	s_delay_alu instid0(VALU_DEP_1) | instskip(SKIP_2) | instid1(VALU_DEP_3)
	v_bfe_u32 v41, v40, 16, 1
	v_or_b32_e32 v42, 0x400000, v40
	v_cmp_u_f32_e32 vcc_lo, v40, v40
	v_add3_u32 v41, v41, v40, 0x7fff
	s_wait_alu 0xfffd
	s_delay_alu instid0(VALU_DEP_1) | instskip(NEXT) | instid1(VALU_DEP_1)
	v_dual_cndmask_b32 v40, v41, v42 :: v_dual_lshlrev_b32 v41, 16, v45
	v_mul_f32_e32 v41, v1, v41
	s_delay_alu instid0(VALU_DEP_1) | instskip(SKIP_2) | instid1(VALU_DEP_3)
	v_bfe_u32 v42, v41, 16, 1
	v_or_b32_e32 v45, 0x400000, v41
	v_cmp_u_f32_e32 vcc_lo, v41, v41
	v_add3_u32 v42, v42, v41, 0x7fff
	s_wait_alu 0xfffd
	s_delay_alu instid0(VALU_DEP_1) | instskip(SKIP_1) | instid1(VALU_DEP_2)
	v_dual_cndmask_b32 v41, v42, v45 :: v_dual_lshlrev_b32 v42, 16, v44
	v_and_b32_e32 v18, 0xffff0000, v40
	v_mul_f32_e32 v42, v3, v42
	s_delay_alu instid0(VALU_DEP_2) | instskip(NEXT) | instid1(VALU_DEP_4)
	v_add_f32_e32 v10, v18, v10
	v_and_b32_e32 v18, 0xffff0000, v41
	scratch_load_b32 v41, off, off offset:100 th:TH_LOAD_LU ; 4-byte Folded Reload
	v_bfe_u32 v44, v42, 16, 1
	v_or_b32_e32 v45, 0x400000, v42
	v_cmp_u_f32_e32 vcc_lo, v42, v42
	v_add_f32_e32 v10, v10, v17
	s_delay_alu instid0(VALU_DEP_4) | instskip(SKIP_1) | instid1(VALU_DEP_1)
	v_add3_u32 v44, v44, v42, 0x7fff
	s_wait_alu 0xfffd
	v_cndmask_b32_e32 v42, v44, v45, vcc_lo
	s_clause 0x1
	scratch_load_b32 v45, off, off offset:88 th:TH_LOAD_LU
	scratch_load_b32 v44, off, off offset:92 th:TH_LOAD_LU
	v_and_b32_e32 v17, 0xffff0000, v42
	s_delay_alu instid0(VALU_DEP_1) | instskip(NEXT) | instid1(VALU_DEP_1)
	v_add_f32_e32 v17, v17, v18
	v_add_f32_e32 v10, v17, v10
	s_wait_loadcnt 0x1
	s_delay_alu instid0(VALU_DEP_1) | instskip(NEXT) | instid1(VALU_DEP_1)
	v_dual_add_f32 v45, v45, v10 :: v_dual_lshlrev_b32 v10, 16, v31
	v_mul_f32_e32 v10, v7, v10
	s_delay_alu instid0(VALU_DEP_1) | instskip(SKIP_2) | instid1(VALU_DEP_3)
	v_bfe_u32 v17, v10, 16, 1
	v_or_b32_e32 v18, 0x400000, v10
	v_cmp_u_f32_e32 vcc_lo, v10, v10
	v_add3_u32 v17, v17, v10, 0x7fff
	s_wait_alu 0xfffd
	s_delay_alu instid0(VALU_DEP_1) | instskip(SKIP_1) | instid1(VALU_DEP_1)
	v_cndmask_b32_e32 v10, v17, v18, vcc_lo
	v_lshlrev_b32_e32 v17, 16, v30
	v_dual_mul_f32 v17, v8, v17 :: v_dual_and_b32 v10, 0xffff0000, v10
	s_delay_alu instid0(VALU_DEP_1) | instskip(SKIP_2) | instid1(VALU_DEP_3)
	v_bfe_u32 v18, v17, 16, 1
	v_or_b32_e32 v30, 0x400000, v17
	v_cmp_u_f32_e32 vcc_lo, v17, v17
	v_add3_u32 v18, v18, v17, 0x7fff
	s_wait_alu 0xfffd
	s_delay_alu instid0(VALU_DEP_1) | instskip(NEXT) | instid1(VALU_DEP_1)
	v_dual_cndmask_b32 v17, v18, v30 :: v_dual_lshlrev_b32 v18, 16, v33
	v_dual_mul_f32 v18, v4, v18 :: v_dual_and_b32 v17, 0xffff0000, v17
	s_delay_alu instid0(VALU_DEP_1) | instskip(NEXT) | instid1(VALU_DEP_2)
	v_add_f32_e32 v10, v17, v10
	v_bfe_u32 v30, v18, 16, 1
	v_or_b32_e32 v31, 0x400000, v18
	v_cmp_u_f32_e32 vcc_lo, v18, v18
	s_delay_alu instid0(VALU_DEP_3) | instskip(SKIP_1) | instid1(VALU_DEP_1)
	v_add3_u32 v30, v30, v18, 0x7fff
	s_wait_alu 0xfffd
	v_cndmask_b32_e32 v18, v30, v31, vcc_lo
	v_lshlrev_b32_e32 v30, 16, v32
	s_delay_alu instid0(VALU_DEP_1) | instskip(NEXT) | instid1(VALU_DEP_1)
	v_mul_f32_e32 v30, v6, v30
	v_bfe_u32 v31, v30, 16, 1
	v_or_b32_e32 v32, 0x400000, v30
	v_cmp_u_f32_e32 vcc_lo, v30, v30
	s_delay_alu instid0(VALU_DEP_3) | instskip(SKIP_1) | instid1(VALU_DEP_1)
	v_add3_u32 v31, v31, v30, 0x7fff
	s_wait_alu 0xfffd
	v_dual_cndmask_b32 v30, v31, v32 :: v_dual_lshlrev_b32 v31, 16, v35
	s_delay_alu instid0(VALU_DEP_1) | instskip(NEXT) | instid1(VALU_DEP_2)
	v_and_b32_e32 v17, 0xffff0000, v30
	v_dual_mul_f32 v31, v2, v31 :: v_dual_and_b32 v18, 0xffff0000, v18
	scratch_load_b32 v30, off, off offset:148 th:TH_LOAD_LU ; 4-byte Folded Reload
	v_bfe_u32 v32, v31, 16, 1
	v_or_b32_e32 v33, 0x400000, v31
	v_cmp_u_f32_e32 vcc_lo, v31, v31
	v_add_f32_e32 v17, v17, v18
	s_delay_alu instid0(VALU_DEP_4) | instskip(SKIP_1) | instid1(VALU_DEP_1)
	v_add3_u32 v32, v32, v31, 0x7fff
	s_wait_alu 0xfffd
	v_dual_add_f32 v10, v17, v10 :: v_dual_cndmask_b32 v31, v32, v33
	v_lshlrev_b32_e32 v32, 16, v34
	s_delay_alu instid0(VALU_DEP_2) | instskip(NEXT) | instid1(VALU_DEP_2)
	v_and_b32_e32 v18, 0xffff0000, v31
	v_mul_f32_e32 v32, v5, v32
	s_delay_alu instid0(VALU_DEP_1) | instskip(SKIP_2) | instid1(VALU_DEP_3)
	v_bfe_u32 v33, v32, 16, 1
	v_or_b32_e32 v34, 0x400000, v32
	v_cmp_u_f32_e32 vcc_lo, v32, v32
	v_add3_u32 v33, v33, v32, 0x7fff
	s_wait_alu 0xfffd
	s_delay_alu instid0(VALU_DEP_1) | instskip(SKIP_3) | instid1(VALU_DEP_2)
	v_dual_cndmask_b32 v32, v33, v34 :: v_dual_lshlrev_b32 v33, 16, v37
	scratch_load_b32 v37, off, off offset:108 th:TH_LOAD_LU ; 4-byte Folded Reload
	v_and_b32_e32 v17, 0xffff0000, v32
	v_mul_f32_e32 v33, v1, v33
	v_add_f32_e32 v17, v17, v18
	s_delay_alu instid0(VALU_DEP_2) | instskip(SKIP_2) | instid1(VALU_DEP_4)
	v_bfe_u32 v34, v33, 16, 1
	v_or_b32_e32 v35, 0x400000, v33
	v_cmp_u_f32_e32 vcc_lo, v33, v33
	v_add_f32_e32 v10, v17, v10
	s_delay_alu instid0(VALU_DEP_4) | instskip(SKIP_1) | instid1(VALU_DEP_1)
	v_add3_u32 v34, v34, v33, 0x7fff
	s_wait_alu 0xfffd
	v_cndmask_b32_e32 v33, v34, v35, vcc_lo
	s_delay_alu instid0(VALU_DEP_1) | instskip(SKIP_3) | instid1(VALU_DEP_1)
	v_and_b32_e32 v18, 0xffff0000, v33
	v_lshlrev_b32_e32 v34, 16, v36
	scratch_load_b32 v33, off, off offset:116 th:TH_LOAD_LU ; 4-byte Folded Reload
	v_mul_f32_e32 v34, v3, v34
	v_bfe_u32 v35, v34, 16, 1
	v_or_b32_e32 v36, 0x400000, v34
	v_cmp_u_f32_e32 vcc_lo, v34, v34
	s_delay_alu instid0(VALU_DEP_3) | instskip(SKIP_1) | instid1(VALU_DEP_1)
	v_add3_u32 v35, v35, v34, 0x7fff
	s_wait_alu 0xfffd
	v_cndmask_b32_e32 v34, v35, v36, vcc_lo
	s_clause 0x1
	scratch_load_b32 v35, off, off offset:112 th:TH_LOAD_LU
	scratch_load_b32 v36, off, off offset:120 th:TH_LOAD_LU
	v_and_b32_e32 v17, 0xffff0000, v34
	s_delay_alu instid0(VALU_DEP_1) | instskip(NEXT) | instid1(VALU_DEP_1)
	v_add_f32_e32 v17, v17, v18
	v_add_f32_e32 v10, v17, v10
	s_wait_loadcnt 0x5
	s_delay_alu instid0(VALU_DEP_1) | instskip(SKIP_1) | instid1(VALU_DEP_1)
	v_add_f32_e32 v44, v44, v10
	v_lshlrev_b32_e32 v10, 16, v23
	v_mul_f32_e32 v10, v7, v10
	s_delay_alu instid0(VALU_DEP_1) | instskip(SKIP_2) | instid1(VALU_DEP_3)
	v_bfe_u32 v17, v10, 16, 1
	v_or_b32_e32 v18, 0x400000, v10
	v_cmp_u_f32_e32 vcc_lo, v10, v10
	v_add3_u32 v17, v17, v10, 0x7fff
	s_wait_alu 0xfffd
	s_delay_alu instid0(VALU_DEP_1) | instskip(SKIP_1) | instid1(VALU_DEP_1)
	v_cndmask_b32_e32 v10, v17, v18, vcc_lo
	v_lshlrev_b32_e32 v17, 16, v22
	v_dual_mul_f32 v17, v8, v17 :: v_dual_and_b32 v10, 0xffff0000, v10
	s_delay_alu instid0(VALU_DEP_1) | instskip(SKIP_2) | instid1(VALU_DEP_3)
	v_bfe_u32 v18, v17, 16, 1
	v_or_b32_e32 v22, 0x400000, v17
	v_cmp_u_f32_e32 vcc_lo, v17, v17
	v_add3_u32 v18, v18, v17, 0x7fff
	s_wait_alu 0xfffd
	s_delay_alu instid0(VALU_DEP_1) | instskip(NEXT) | instid1(VALU_DEP_1)
	v_dual_cndmask_b32 v17, v18, v22 :: v_dual_lshlrev_b32 v18, 16, v25
	v_dual_mul_f32 v18, v4, v18 :: v_dual_and_b32 v17, 0xffff0000, v17
	s_delay_alu instid0(VALU_DEP_1) | instskip(NEXT) | instid1(VALU_DEP_2)
	v_add_f32_e32 v10, v17, v10
	v_bfe_u32 v22, v18, 16, 1
	v_or_b32_e32 v23, 0x400000, v18
	v_cmp_u_f32_e32 vcc_lo, v18, v18
	s_delay_alu instid0(VALU_DEP_3) | instskip(SKIP_1) | instid1(VALU_DEP_1)
	v_add3_u32 v22, v22, v18, 0x7fff
	s_wait_alu 0xfffd
	v_cndmask_b32_e32 v18, v22, v23, vcc_lo
	v_lshlrev_b32_e32 v22, 16, v24
	s_delay_alu instid0(VALU_DEP_1) | instskip(NEXT) | instid1(VALU_DEP_1)
	v_mul_f32_e32 v22, v6, v22
	v_bfe_u32 v23, v22, 16, 1
	v_or_b32_e32 v24, 0x400000, v22
	v_cmp_u_f32_e32 vcc_lo, v22, v22
	s_delay_alu instid0(VALU_DEP_3) | instskip(SKIP_1) | instid1(VALU_DEP_1)
	v_add3_u32 v23, v23, v22, 0x7fff
	s_wait_alu 0xfffd
	v_dual_cndmask_b32 v22, v23, v24 :: v_dual_lshlrev_b32 v23, 16, v27
	s_delay_alu instid0(VALU_DEP_1) | instskip(NEXT) | instid1(VALU_DEP_2)
	v_and_b32_e32 v17, 0xffff0000, v22
	v_dual_mul_f32 v23, v2, v23 :: v_dual_and_b32 v18, 0xffff0000, v18
	s_delay_alu instid0(VALU_DEP_1) | instskip(SKIP_2) | instid1(VALU_DEP_4)
	v_bfe_u32 v24, v23, 16, 1
	v_or_b32_e32 v25, 0x400000, v23
	v_cmp_u_f32_e32 vcc_lo, v23, v23
	v_add_f32_e32 v17, v17, v18
	s_delay_alu instid0(VALU_DEP_4) | instskip(SKIP_1) | instid1(VALU_DEP_1)
	v_add3_u32 v24, v24, v23, 0x7fff
	s_wait_alu 0xfffd
	v_dual_add_f32 v10, v17, v10 :: v_dual_cndmask_b32 v23, v24, v25
	v_lshlrev_b32_e32 v24, 16, v26
	s_delay_alu instid0(VALU_DEP_2) | instskip(NEXT) | instid1(VALU_DEP_2)
	v_and_b32_e32 v18, 0xffff0000, v23
	v_mul_f32_e32 v24, v5, v24
	s_delay_alu instid0(VALU_DEP_1) | instskip(SKIP_2) | instid1(VALU_DEP_3)
	v_bfe_u32 v25, v24, 16, 1
	v_or_b32_e32 v26, 0x400000, v24
	v_cmp_u_f32_e32 vcc_lo, v24, v24
	v_add3_u32 v25, v25, v24, 0x7fff
	s_wait_alu 0xfffd
	s_delay_alu instid0(VALU_DEP_1) | instskip(SKIP_3) | instid1(VALU_DEP_4)
	v_cndmask_b32_e32 v24, v25, v26, vcc_lo
	v_bfe_u32 v25, v11, 16, 1
	v_or_b32_e32 v26, 0x400000, v11
	v_cmp_u_f32_e32 vcc_lo, v11, v11
	v_and_b32_e32 v17, 0xffff0000, v24
	s_delay_alu instid0(VALU_DEP_4)
	v_add3_u32 v25, v25, v11, 0x7fff
	scratch_load_b32 v24, off, off offset:164 th:TH_LOAD_LU ; 4-byte Folded Reload
	v_add_f32_e32 v17, v17, v18
	s_wait_alu 0xfffd
	v_cndmask_b32_e32 v11, v25, v26, vcc_lo
	v_lshlrev_b32_e32 v25, 16, v28
	scratch_load_b32 v28, off, off offset:140 th:TH_LOAD_LU ; 4-byte Folded Reload
	v_dual_add_f32 v10, v17, v10 :: v_dual_and_b32 v11, 0xffff0000, v11
	v_mul_f32_e32 v25, v3, v25
	s_delay_alu instid0(VALU_DEP_1) | instskip(SKIP_2) | instid1(VALU_DEP_3)
	v_bfe_u32 v26, v25, 16, 1
	v_or_b32_e32 v27, 0x400000, v25
	v_cmp_u_f32_e32 vcc_lo, v25, v25
	v_add3_u32 v26, v26, v25, 0x7fff
	s_wait_alu 0xfffd
	s_delay_alu instid0(VALU_DEP_1) | instskip(SKIP_4) | instid1(VALU_DEP_1)
	v_cndmask_b32_e32 v25, v26, v27, vcc_lo
	s_clause 0x1
	scratch_load_b32 v26, off, off offset:132 th:TH_LOAD_LU
	scratch_load_b32 v27, off, off offset:136 th:TH_LOAD_LU
	v_and_b32_e32 v17, 0xffff0000, v25
	v_add_f32_e32 v11, v17, v11
	s_delay_alu instid0(VALU_DEP_1) | instskip(NEXT) | instid1(VALU_DEP_1)
	v_add_f32_e32 v10, v11, v10
	v_dual_add_f32 v47, v47, v10 :: v_dual_lshlrev_b32 v10, 16, v43
	s_delay_alu instid0(VALU_DEP_1) | instskip(NEXT) | instid1(VALU_DEP_1)
	v_mul_f32_e32 v10, v7, v10
	v_bfe_u32 v11, v10, 16, 1
	v_or_b32_e32 v17, 0x400000, v10
	v_cmp_u_f32_e32 vcc_lo, v10, v10
	s_delay_alu instid0(VALU_DEP_3) | instskip(SKIP_1) | instid1(VALU_DEP_1)
	v_add3_u32 v11, v11, v10, 0x7fff
	s_wait_alu 0xfffd
	v_dual_cndmask_b32 v10, v11, v17 :: v_dual_lshlrev_b32 v11, 16, v190
	s_delay_alu instid0(VALU_DEP_1) | instskip(NEXT) | instid1(VALU_DEP_1)
	v_mul_f32_e32 v11, v8, v11
	v_bfe_u32 v17, v11, 16, 1
	v_or_b32_e32 v18, 0x400000, v11
	v_cmp_u_f32_e32 vcc_lo, v11, v11
	s_delay_alu instid0(VALU_DEP_3) | instskip(SKIP_1) | instid1(VALU_DEP_1)
	v_add3_u32 v17, v17, v11, 0x7fff
	s_wait_alu 0xfffd
	v_cndmask_b32_e32 v11, v17, v18, vcc_lo
	v_lshlrev_b32_e32 v17, 16, v64
	s_delay_alu instid0(VALU_DEP_2) | instskip(NEXT) | instid1(VALU_DEP_2)
	v_and_b32_e32 v11, 0xffff0000, v11
	v_mul_f32_e32 v17, v4, v17
	s_delay_alu instid0(VALU_DEP_1) | instskip(SKIP_2) | instid1(VALU_DEP_3)
	v_bfe_u32 v18, v17, 16, 1
	v_or_b32_e32 v22, 0x400000, v17
	v_cmp_u_f32_e32 vcc_lo, v17, v17
	v_add3_u32 v18, v18, v17, 0x7fff
	s_wait_alu 0xfffd
	s_delay_alu instid0(VALU_DEP_1) | instskip(SKIP_1) | instid1(VALU_DEP_2)
	v_dual_cndmask_b32 v17, v18, v22 :: v_dual_lshlrev_b32 v18, 16, v191
	v_and_b32_e32 v10, 0xffff0000, v10
	v_dual_mul_f32 v18, v6, v18 :: v_dual_and_b32 v17, 0xffff0000, v17
	s_delay_alu instid0(VALU_DEP_2) | instskip(NEXT) | instid1(VALU_DEP_2)
	v_add_f32_e32 v10, v11, v10
	v_bfe_u32 v22, v18, 16, 1
	v_or_b32_e32 v23, 0x400000, v18
	v_cmp_u_f32_e32 vcc_lo, v18, v18
	s_delay_alu instid0(VALU_DEP_3) | instskip(SKIP_1) | instid1(VALU_DEP_1)
	v_add3_u32 v22, v22, v18, 0x7fff
	s_wait_alu 0xfffd
	v_cndmask_b32_e32 v18, v22, v23, vcc_lo
	v_bfe_u32 v22, v20, 16, 1
	v_or_b32_e32 v23, 0x400000, v20
	v_cmp_u_f32_e32 vcc_lo, v20, v20
	s_delay_alu instid0(VALU_DEP_4) | instskip(NEXT) | instid1(VALU_DEP_4)
	v_and_b32_e32 v11, 0xffff0000, v18
	v_add3_u32 v22, v22, v20, 0x7fff
	s_wait_alu 0xfffd
	s_delay_alu instid0(VALU_DEP_1) | instskip(SKIP_3) | instid1(VALU_DEP_4)
	v_dual_add_f32 v11, v11, v17 :: v_dual_cndmask_b32 v20, v22, v23
	v_bfe_u32 v22, v12, 16, 1
	v_or_b32_e32 v23, 0x400000, v12
	v_cmp_u_f32_e32 vcc_lo, v12, v12
	v_add_f32_e32 v10, v11, v10
	s_delay_alu instid0(VALU_DEP_4) | instskip(SKIP_1) | instid1(VALU_DEP_1)
	v_add3_u32 v22, v22, v12, 0x7fff
	s_wait_alu 0xfffd
	v_cndmask_b32_e32 v12, v22, v23, vcc_lo
	v_bfe_u32 v22, v21, 16, 1
	v_or_b32_e32 v23, 0x400000, v21
	v_cmp_u_f32_e32 vcc_lo, v21, v21
	s_delay_alu instid0(VALU_DEP_4) | instskip(NEXT) | instid1(VALU_DEP_4)
	v_and_b32_e32 v11, 0xffff0000, v12
	v_add3_u32 v22, v22, v21, 0x7fff
	s_wait_alu 0xfffd
	s_delay_alu instid0(VALU_DEP_1) | instskip(SKIP_3) | instid1(VALU_DEP_4)
	v_dual_cndmask_b32 v21, v22, v23 :: v_dual_and_b32 v12, 0xffff0000, v20
	v_bfe_u32 v22, v19, 16, 1
	v_or_b32_e32 v23, 0x400000, v19
	v_cmp_u_f32_e32 vcc_lo, v19, v19
	v_dual_add_f32 v11, v11, v12 :: v_dual_and_b32 v12, 0xffff0000, v21
	s_delay_alu instid0(VALU_DEP_4)
	v_add3_u32 v22, v22, v19, 0x7fff
	scratch_load_b32 v21, off, off offset:156 th:TH_LOAD_LU ; 4-byte Folded Reload
	s_wait_alu 0xfffd
	v_dual_add_f32 v10, v11, v10 :: v_dual_cndmask_b32 v19, v22, v23
	s_clause 0x1
	scratch_load_b32 v22, off, off offset:128 th:TH_LOAD_LU
	scratch_load_b32 v23, off, off offset:160 th:TH_LOAD_LU
	v_and_b32_e32 v11, 0xffff0000, v19
	s_delay_alu instid0(VALU_DEP_1) | instskip(NEXT) | instid1(VALU_DEP_1)
	v_add_f32_e32 v11, v11, v12
	v_add_f32_e32 v10, v11, v10
	s_delay_alu instid0(VALU_DEP_1) | instskip(NEXT) | instid1(VALU_DEP_1)
	v_dual_add_f32 v41, v41, v10 :: v_dual_lshlrev_b32 v10, 16, v16
	v_mul_f32_e32 v10, v7, v10
	s_delay_alu instid0(VALU_DEP_1) | instskip(SKIP_2) | instid1(VALU_DEP_3)
	v_bfe_u32 v11, v10, 16, 1
	v_or_b32_e32 v12, 0x400000, v10
	v_cmp_u_f32_e32 vcc_lo, v10, v10
	v_add3_u32 v11, v11, v10, 0x7fff
	s_wait_alu 0xfffd
	s_delay_alu instid0(VALU_DEP_1) | instskip(SKIP_3) | instid1(VALU_DEP_4)
	v_cndmask_b32_e32 v10, v11, v12, vcc_lo
	v_bfe_u32 v11, v0, 16, 1
	v_or_b32_e32 v12, 0x400000, v0
	v_cmp_u_f32_e32 vcc_lo, v0, v0
	v_and_b32_e32 v10, 0xffff0000, v10
	s_delay_alu instid0(VALU_DEP_4) | instskip(SKIP_1) | instid1(VALU_DEP_1)
	v_add3_u32 v11, v11, v0, 0x7fff
	s_wait_alu 0xfffd
	v_dual_cndmask_b32 v0, v11, v12 :: v_dual_lshlrev_b32 v11, 16, v186
	s_delay_alu instid0(VALU_DEP_1) | instskip(NEXT) | instid1(VALU_DEP_1)
	v_dual_mul_f32 v11, v4, v11 :: v_dual_and_b32 v0, 0xffff0000, v0
	v_add_f32_e32 v0, v0, v10
	s_delay_alu instid0(VALU_DEP_2) | instskip(SKIP_2) | instid1(VALU_DEP_3)
	v_bfe_u32 v12, v11, 16, 1
	v_or_b32_e32 v16, 0x400000, v11
	v_cmp_u_f32_e32 vcc_lo, v11, v11
	v_add3_u32 v12, v12, v11, 0x7fff
	s_wait_alu 0xfffd
	s_delay_alu instid0(VALU_DEP_1) | instskip(NEXT) | instid1(VALU_DEP_1)
	v_dual_cndmask_b32 v11, v12, v16 :: v_dual_lshlrev_b32 v12, 16, v15
	v_dual_mul_f32 v12, v6, v12 :: v_dual_and_b32 v11, 0xffff0000, v11
	s_delay_alu instid0(VALU_DEP_1) | instskip(SKIP_2) | instid1(VALU_DEP_3)
	v_bfe_u32 v15, v12, 16, 1
	v_or_b32_e32 v16, 0x400000, v12
	v_cmp_u_f32_e32 vcc_lo, v12, v12
	v_add3_u32 v15, v15, v12, 0x7fff
	s_wait_alu 0xfffd
	s_delay_alu instid0(VALU_DEP_1) | instskip(SKIP_1) | instid1(VALU_DEP_1)
	v_cndmask_b32_e32 v12, v15, v16, vcc_lo
	v_lshlrev_b32_e32 v15, 16, v188
	v_dual_mul_f32 v15, v2, v15 :: v_dual_and_b32 v10, 0xffff0000, v12
	s_delay_alu instid0(VALU_DEP_1) | instskip(NEXT) | instid1(VALU_DEP_2)
	v_add_f32_e32 v10, v10, v11
	v_bfe_u32 v16, v15, 16, 1
	v_or_b32_e32 v17, 0x400000, v15
	v_cmp_u_f32_e32 vcc_lo, v15, v15
	s_delay_alu instid0(VALU_DEP_4) | instskip(NEXT) | instid1(VALU_DEP_4)
	v_add_f32_e32 v0, v10, v0
	v_add3_u32 v16, v16, v15, 0x7fff
	s_wait_alu 0xfffd
	s_delay_alu instid0(VALU_DEP_1) | instskip(SKIP_1) | instid1(VALU_DEP_1)
	v_cndmask_b32_e32 v15, v16, v17, vcc_lo
	v_lshlrev_b32_e32 v16, 16, v185
	v_dual_mul_f32 v16, v5, v16 :: v_dual_and_b32 v11, 0xffff0000, v15
	s_delay_alu instid0(VALU_DEP_1) | instskip(SKIP_2) | instid1(VALU_DEP_3)
	v_bfe_u32 v17, v16, 16, 1
	v_or_b32_e32 v18, 0x400000, v16
	v_cmp_u_f32_e32 vcc_lo, v16, v16
	v_add3_u32 v17, v17, v16, 0x7fff
	s_wait_alu 0xfffd
	s_delay_alu instid0(VALU_DEP_1) | instskip(NEXT) | instid1(VALU_DEP_1)
	v_dual_cndmask_b32 v16, v17, v18 :: v_dual_lshlrev_b32 v17, 16, v189
	v_dual_mul_f32 v17, v1, v17 :: v_dual_and_b32 v10, 0xffff0000, v16
	s_delay_alu instid0(VALU_DEP_1) | instskip(NEXT) | instid1(VALU_DEP_2)
	v_add_f32_e32 v10, v10, v11
	v_bfe_u32 v18, v17, 16, 1
	v_or_b32_e32 v19, 0x400000, v17
	v_cmp_u_f32_e32 vcc_lo, v17, v17
	s_delay_alu instid0(VALU_DEP_4) | instskip(NEXT) | instid1(VALU_DEP_4)
	v_add_f32_e32 v0, v10, v0
	v_add3_u32 v18, v18, v17, 0x7fff
	s_wait_alu 0xfffd
	s_delay_alu instid0(VALU_DEP_1) | instskip(SKIP_1) | instid1(VALU_DEP_1)
	v_cndmask_b32_e32 v17, v18, v19, vcc_lo
	v_lshlrev_b32_e32 v18, 16, v187
	v_dual_mul_f32 v18, v3, v18 :: v_dual_and_b32 v11, 0xffff0000, v17
	s_delay_alu instid0(VALU_DEP_1) | instskip(SKIP_2) | instid1(VALU_DEP_3)
	v_bfe_u32 v19, v18, 16, 1
	v_or_b32_e32 v20, 0x400000, v18
	v_cmp_u_f32_e32 vcc_lo, v18, v18
	v_add3_u32 v19, v19, v18, 0x7fff
	s_wait_alu 0xfffd
	s_delay_alu instid0(VALU_DEP_1) | instskip(NEXT) | instid1(VALU_DEP_1)
	v_cndmask_b32_e32 v18, v19, v20, vcc_lo
	v_and_b32_e32 v10, 0xffff0000, v18
	s_delay_alu instid0(VALU_DEP_1) | instskip(NEXT) | instid1(VALU_DEP_1)
	v_add_f32_e32 v10, v10, v11
	v_add_f32_e32 v0, v10, v0
	s_delay_alu instid0(VALU_DEP_1) | instskip(NEXT) | instid1(VALU_DEP_1)
	v_dual_add_f32 v39, v39, v0 :: v_dual_lshlrev_b32 v0, 16, v179
	v_mul_f32_e32 v0, v7, v0
	s_delay_alu instid0(VALU_DEP_1) | instskip(SKIP_2) | instid1(VALU_DEP_3)
	v_bfe_u32 v10, v0, 16, 1
	v_or_b32_e32 v11, 0x400000, v0
	v_cmp_u_f32_e32 vcc_lo, v0, v0
	v_add3_u32 v10, v10, v0, 0x7fff
	s_wait_alu 0xfffd
	s_delay_alu instid0(VALU_DEP_1) | instskip(SKIP_1) | instid1(VALU_DEP_2)
	v_cndmask_b32_e32 v0, v10, v11, vcc_lo
	v_lshlrev_b32_e32 v10, 16, v177
	v_and_b32_e32 v0, 0xffff0000, v0
	s_delay_alu instid0(VALU_DEP_2) | instskip(NEXT) | instid1(VALU_DEP_1)
	v_mul_f32_e32 v10, v8, v10
	v_bfe_u32 v11, v10, 16, 1
	v_or_b32_e32 v12, 0x400000, v10
	v_cmp_u_f32_e32 vcc_lo, v10, v10
	s_delay_alu instid0(VALU_DEP_3) | instskip(SKIP_1) | instid1(VALU_DEP_1)
	v_add3_u32 v11, v11, v10, 0x7fff
	s_wait_alu 0xfffd
	v_dual_cndmask_b32 v10, v11, v12 :: v_dual_lshlrev_b32 v11, 16, v181
	s_delay_alu instid0(VALU_DEP_1) | instskip(NEXT) | instid1(VALU_DEP_1)
	v_dual_mul_f32 v11, v4, v11 :: v_dual_and_b32 v10, 0xffff0000, v10
	v_add_f32_e32 v0, v10, v0
	s_delay_alu instid0(VALU_DEP_2) | instskip(SKIP_2) | instid1(VALU_DEP_3)
	v_bfe_u32 v12, v11, 16, 1
	v_or_b32_e32 v15, 0x400000, v11
	v_cmp_u_f32_e32 vcc_lo, v11, v11
	v_add3_u32 v12, v12, v11, 0x7fff
	s_wait_alu 0xfffd
	s_delay_alu instid0(VALU_DEP_1) | instskip(NEXT) | instid1(VALU_DEP_1)
	v_dual_cndmask_b32 v11, v12, v15 :: v_dual_lshlrev_b32 v12, 16, v178
	v_dual_mul_f32 v12, v6, v12 :: v_dual_and_b32 v11, 0xffff0000, v11
	s_delay_alu instid0(VALU_DEP_1) | instskip(SKIP_2) | instid1(VALU_DEP_3)
	v_bfe_u32 v15, v12, 16, 1
	v_or_b32_e32 v16, 0x400000, v12
	v_cmp_u_f32_e32 vcc_lo, v12, v12
	v_add3_u32 v15, v15, v12, 0x7fff
	s_wait_alu 0xfffd
	s_delay_alu instid0(VALU_DEP_1) | instskip(NEXT) | instid1(VALU_DEP_1)
	v_dual_cndmask_b32 v12, v15, v16 :: v_dual_lshlrev_b32 v15, 16, v183
	v_dual_mul_f32 v15, v2, v15 :: v_dual_and_b32 v10, 0xffff0000, v12
	s_delay_alu instid0(VALU_DEP_1) | instskip(NEXT) | instid1(VALU_DEP_2)
	v_add_f32_e32 v10, v10, v11
	v_bfe_u32 v16, v15, 16, 1
	v_or_b32_e32 v17, 0x400000, v15
	v_cmp_u_f32_e32 vcc_lo, v15, v15
	s_delay_alu instid0(VALU_DEP_4) | instskip(NEXT) | instid1(VALU_DEP_4)
	v_add_f32_e32 v0, v10, v0
	v_add3_u32 v16, v16, v15, 0x7fff
	s_wait_alu 0xfffd
	s_delay_alu instid0(VALU_DEP_1) | instskip(NEXT) | instid1(VALU_DEP_1)
	v_dual_cndmask_b32 v15, v16, v17 :: v_dual_lshlrev_b32 v16, 16, v180
	v_dual_mul_f32 v16, v5, v16 :: v_dual_and_b32 v11, 0xffff0000, v15
	s_delay_alu instid0(VALU_DEP_1) | instskip(SKIP_2) | instid1(VALU_DEP_3)
	v_bfe_u32 v17, v16, 16, 1
	v_or_b32_e32 v18, 0x400000, v16
	v_cmp_u_f32_e32 vcc_lo, v16, v16
	v_add3_u32 v17, v17, v16, 0x7fff
	s_wait_alu 0xfffd
	s_delay_alu instid0(VALU_DEP_1) | instskip(NEXT) | instid1(VALU_DEP_1)
	v_dual_cndmask_b32 v16, v17, v18 :: v_dual_lshlrev_b32 v17, 16, v184
	v_dual_mul_f32 v17, v1, v17 :: v_dual_and_b32 v10, 0xffff0000, v16
	s_delay_alu instid0(VALU_DEP_1) | instskip(NEXT) | instid1(VALU_DEP_2)
	v_add_f32_e32 v10, v10, v11
	v_bfe_u32 v18, v17, 16, 1
	v_or_b32_e32 v19, 0x400000, v17
	v_cmp_u_f32_e32 vcc_lo, v17, v17
	s_delay_alu instid0(VALU_DEP_4) | instskip(NEXT) | instid1(VALU_DEP_4)
	v_add_f32_e32 v0, v10, v0
	v_add3_u32 v18, v18, v17, 0x7fff
	s_wait_alu 0xfffd
	s_delay_alu instid0(VALU_DEP_1) | instskip(NEXT) | instid1(VALU_DEP_1)
	v_dual_cndmask_b32 v17, v18, v19 :: v_dual_lshlrev_b32 v18, 16, v182
	v_dual_mul_f32 v18, v3, v18 :: v_dual_and_b32 v11, 0xffff0000, v17
	s_delay_alu instid0(VALU_DEP_1) | instskip(SKIP_2) | instid1(VALU_DEP_3)
	v_bfe_u32 v19, v18, 16, 1
	v_or_b32_e32 v20, 0x400000, v18
	v_cmp_u_f32_e32 vcc_lo, v18, v18
	v_add3_u32 v19, v19, v18, 0x7fff
	s_wait_alu 0xfffd
	s_delay_alu instid0(VALU_DEP_1) | instskip(NEXT) | instid1(VALU_DEP_1)
	v_cndmask_b32_e32 v18, v19, v20, vcc_lo
	v_and_b32_e32 v10, 0xffff0000, v18
	s_delay_alu instid0(VALU_DEP_1) | instskip(NEXT) | instid1(VALU_DEP_1)
	v_add_f32_e32 v10, v10, v11
	v_add_f32_e32 v0, v10, v0
	s_wait_loadcnt 0xa
	s_delay_alu instid0(VALU_DEP_1) | instskip(SKIP_2) | instid1(VALU_DEP_1)
	v_dual_add_f32 v37, v37, v0 :: v_dual_lshlrev_b32 v0, 16, v29
	scratch_load_b32 v29, off, off offset:144 th:TH_LOAD_LU ; 4-byte Folded Reload
	v_mul_f32_e32 v0, v7, v0
	v_bfe_u32 v10, v0, 16, 1
	v_or_b32_e32 v11, 0x400000, v0
	v_cmp_u_f32_e32 vcc_lo, v0, v0
	s_delay_alu instid0(VALU_DEP_3) | instskip(SKIP_1) | instid1(VALU_DEP_1)
	v_add3_u32 v10, v10, v0, 0x7fff
	s_wait_alu 0xfffd
	v_cndmask_b32_e32 v0, v10, v11, vcc_lo
	v_lshlrev_b32_e32 v10, 16, v169
	s_delay_alu instid0(VALU_DEP_2) | instskip(NEXT) | instid1(VALU_DEP_2)
	v_and_b32_e32 v0, 0xffff0000, v0
	v_mul_f32_e32 v10, v8, v10
	s_delay_alu instid0(VALU_DEP_1) | instskip(SKIP_2) | instid1(VALU_DEP_3)
	v_bfe_u32 v11, v10, 16, 1
	v_or_b32_e32 v12, 0x400000, v10
	v_cmp_u_f32_e32 vcc_lo, v10, v10
	v_add3_u32 v11, v11, v10, 0x7fff
	s_wait_alu 0xfffd
	s_delay_alu instid0(VALU_DEP_1) | instskip(SKIP_1) | instid1(VALU_DEP_1)
	v_cndmask_b32_e32 v10, v11, v12, vcc_lo
	v_lshlrev_b32_e32 v11, 16, v168
	v_dual_mul_f32 v11, v4, v11 :: v_dual_and_b32 v10, 0xffff0000, v10
	s_delay_alu instid0(VALU_DEP_1) | instskip(NEXT) | instid1(VALU_DEP_2)
	v_add_f32_e32 v0, v10, v0
	v_bfe_u32 v12, v11, 16, 1
	v_or_b32_e32 v15, 0x400000, v11
	v_cmp_u_f32_e32 vcc_lo, v11, v11
	s_delay_alu instid0(VALU_DEP_3) | instskip(SKIP_1) | instid1(VALU_DEP_1)
	v_add3_u32 v12, v12, v11, 0x7fff
	s_wait_alu 0xfffd
	v_cndmask_b32_e32 v11, v12, v15, vcc_lo
	v_lshlrev_b32_e32 v12, 16, v167
	s_delay_alu instid0(VALU_DEP_1) | instskip(NEXT) | instid1(VALU_DEP_1)
	v_dual_mul_f32 v12, v6, v12 :: v_dual_and_b32 v11, 0xffff0000, v11
	v_bfe_u32 v15, v12, 16, 1
	v_or_b32_e32 v16, 0x400000, v12
	v_cmp_u_f32_e32 vcc_lo, v12, v12
	s_delay_alu instid0(VALU_DEP_3) | instskip(SKIP_1) | instid1(VALU_DEP_1)
	v_add3_u32 v15, v15, v12, 0x7fff
	s_wait_alu 0xfffd
	v_dual_cndmask_b32 v12, v15, v16 :: v_dual_lshlrev_b32 v15, 16, v166
	s_delay_alu instid0(VALU_DEP_1) | instskip(NEXT) | instid1(VALU_DEP_1)
	v_dual_mul_f32 v15, v2, v15 :: v_dual_and_b32 v10, 0xffff0000, v12
	v_add_f32_e32 v10, v10, v11
	s_delay_alu instid0(VALU_DEP_2) | instskip(SKIP_2) | instid1(VALU_DEP_4)
	v_bfe_u32 v16, v15, 16, 1
	v_or_b32_e32 v17, 0x400000, v15
	v_cmp_u_f32_e32 vcc_lo, v15, v15
	v_add_f32_e32 v0, v10, v0
	s_delay_alu instid0(VALU_DEP_4) | instskip(SKIP_1) | instid1(VALU_DEP_1)
	v_add3_u32 v16, v16, v15, 0x7fff
	s_wait_alu 0xfffd
	v_dual_cndmask_b32 v15, v16, v17 :: v_dual_lshlrev_b32 v16, 16, v170
	s_delay_alu instid0(VALU_DEP_1) | instskip(NEXT) | instid1(VALU_DEP_1)
	v_dual_mul_f32 v16, v5, v16 :: v_dual_and_b32 v11, 0xffff0000, v15
	v_bfe_u32 v17, v16, 16, 1
	v_or_b32_e32 v18, 0x400000, v16
	v_cmp_u_f32_e32 vcc_lo, v16, v16
	s_delay_alu instid0(VALU_DEP_3) | instskip(SKIP_1) | instid1(VALU_DEP_1)
	v_add3_u32 v17, v17, v16, 0x7fff
	s_wait_alu 0xfffd
	v_dual_cndmask_b32 v16, v17, v18 :: v_dual_lshlrev_b32 v17, 16, v165
	s_delay_alu instid0(VALU_DEP_1) | instskip(NEXT) | instid1(VALU_DEP_1)
	v_dual_mul_f32 v17, v1, v17 :: v_dual_and_b32 v10, 0xffff0000, v16
	v_add_f32_e32 v10, v10, v11
	s_delay_alu instid0(VALU_DEP_2) | instskip(SKIP_2) | instid1(VALU_DEP_4)
	v_bfe_u32 v18, v17, 16, 1
	v_or_b32_e32 v19, 0x400000, v17
	v_cmp_u_f32_e32 vcc_lo, v17, v17
	v_add_f32_e32 v0, v10, v0
	s_delay_alu instid0(VALU_DEP_4) | instskip(SKIP_1) | instid1(VALU_DEP_1)
	v_add3_u32 v18, v18, v17, 0x7fff
	s_wait_alu 0xfffd
	v_cndmask_b32_e32 v17, v18, v19, vcc_lo
	v_lshlrev_b32_e32 v18, 16, v163
	s_delay_alu instid0(VALU_DEP_1) | instskip(NEXT) | instid1(VALU_DEP_1)
	v_dual_mul_f32 v18, v3, v18 :: v_dual_and_b32 v11, 0xffff0000, v17
	v_bfe_u32 v19, v18, 16, 1
	v_or_b32_e32 v20, 0x400000, v18
	v_cmp_u_f32_e32 vcc_lo, v18, v18
	s_delay_alu instid0(VALU_DEP_3) | instskip(SKIP_1) | instid1(VALU_DEP_1)
	v_add3_u32 v19, v19, v18, 0x7fff
	s_wait_alu 0xfffd
	v_cndmask_b32_e32 v18, v19, v20, vcc_lo
	s_delay_alu instid0(VALU_DEP_1) | instskip(NEXT) | instid1(VALU_DEP_1)
	v_and_b32_e32 v10, 0xffff0000, v18
	v_add_f32_e32 v10, v10, v11
	s_delay_alu instid0(VALU_DEP_1) | instskip(SKIP_1) | instid1(VALU_DEP_1)
	v_add_f32_e32 v0, v10, v0
	s_wait_loadcnt 0x9
	v_dual_add_f32 v35, v35, v0 :: v_dual_lshlrev_b32 v0, 16, v162
	s_delay_alu instid0(VALU_DEP_1) | instskip(NEXT) | instid1(VALU_DEP_1)
	v_mul_f32_e32 v0, v7, v0
	v_bfe_u32 v10, v0, 16, 1
	v_or_b32_e32 v11, 0x400000, v0
	v_cmp_u_f32_e32 vcc_lo, v0, v0
	s_delay_alu instid0(VALU_DEP_3) | instskip(SKIP_1) | instid1(VALU_DEP_1)
	v_add3_u32 v10, v10, v0, 0x7fff
	s_wait_alu 0xfffd
	v_cndmask_b32_e32 v0, v10, v11, vcc_lo
	v_lshlrev_b32_e32 v10, 16, v161
	s_delay_alu instid0(VALU_DEP_2) | instskip(NEXT) | instid1(VALU_DEP_2)
	v_and_b32_e32 v0, 0xffff0000, v0
	v_mul_f32_e32 v10, v8, v10
	s_delay_alu instid0(VALU_DEP_1) | instskip(SKIP_2) | instid1(VALU_DEP_3)
	v_bfe_u32 v11, v10, 16, 1
	v_or_b32_e32 v12, 0x400000, v10
	v_cmp_u_f32_e32 vcc_lo, v10, v10
	v_add3_u32 v11, v11, v10, 0x7fff
	s_wait_alu 0xfffd
	s_delay_alu instid0(VALU_DEP_1) | instskip(SKIP_1) | instid1(VALU_DEP_1)
	v_cndmask_b32_e32 v10, v11, v12, vcc_lo
	v_lshlrev_b32_e32 v11, 16, v160
	v_dual_mul_f32 v11, v4, v11 :: v_dual_and_b32 v10, 0xffff0000, v10
	s_delay_alu instid0(VALU_DEP_1) | instskip(NEXT) | instid1(VALU_DEP_2)
	v_add_f32_e32 v0, v10, v0
	v_bfe_u32 v12, v11, 16, 1
	v_or_b32_e32 v15, 0x400000, v11
	v_cmp_u_f32_e32 vcc_lo, v11, v11
	s_delay_alu instid0(VALU_DEP_3) | instskip(SKIP_1) | instid1(VALU_DEP_1)
	v_add3_u32 v12, v12, v11, 0x7fff
	s_wait_alu 0xfffd
	v_cndmask_b32_e32 v11, v12, v15, vcc_lo
	v_lshlrev_b32_e32 v12, 16, v159
	s_delay_alu instid0(VALU_DEP_1) | instskip(NEXT) | instid1(VALU_DEP_1)
	v_dual_mul_f32 v12, v6, v12 :: v_dual_and_b32 v11, 0xffff0000, v11
	v_bfe_u32 v15, v12, 16, 1
	v_or_b32_e32 v16, 0x400000, v12
	v_cmp_u_f32_e32 vcc_lo, v12, v12
	s_delay_alu instid0(VALU_DEP_3) | instskip(SKIP_1) | instid1(VALU_DEP_1)
	v_add3_u32 v15, v15, v12, 0x7fff
	s_wait_alu 0xfffd
	v_dual_cndmask_b32 v12, v15, v16 :: v_dual_lshlrev_b32 v15, 16, v158
	s_delay_alu instid0(VALU_DEP_1) | instskip(NEXT) | instid1(VALU_DEP_1)
	v_dual_mul_f32 v15, v2, v15 :: v_dual_and_b32 v10, 0xffff0000, v12
	v_add_f32_e32 v10, v10, v11
	s_delay_alu instid0(VALU_DEP_2) | instskip(SKIP_2) | instid1(VALU_DEP_4)
	v_bfe_u32 v16, v15, 16, 1
	v_or_b32_e32 v17, 0x400000, v15
	v_cmp_u_f32_e32 vcc_lo, v15, v15
	v_add_f32_e32 v0, v10, v0
	s_delay_alu instid0(VALU_DEP_4) | instskip(SKIP_1) | instid1(VALU_DEP_1)
	v_add3_u32 v16, v16, v15, 0x7fff
	s_wait_alu 0xfffd
	v_cndmask_b32_e32 v15, v16, v17, vcc_lo
	v_lshlrev_b32_e32 v16, 16, v157
	s_delay_alu instid0(VALU_DEP_1) | instskip(NEXT) | instid1(VALU_DEP_1)
	v_dual_mul_f32 v16, v5, v16 :: v_dual_and_b32 v11, 0xffff0000, v15
	v_bfe_u32 v17, v16, 16, 1
	v_or_b32_e32 v18, 0x400000, v16
	v_cmp_u_f32_e32 vcc_lo, v16, v16
	s_delay_alu instid0(VALU_DEP_3) | instskip(SKIP_1) | instid1(VALU_DEP_1)
	v_add3_u32 v17, v17, v16, 0x7fff
	s_wait_alu 0xfffd
	v_dual_cndmask_b32 v16, v17, v18 :: v_dual_lshlrev_b32 v17, 16, v156
	s_delay_alu instid0(VALU_DEP_1) | instskip(NEXT) | instid1(VALU_DEP_1)
	v_dual_mul_f32 v17, v1, v17 :: v_dual_and_b32 v10, 0xffff0000, v16
	v_add_f32_e32 v10, v10, v11
	s_delay_alu instid0(VALU_DEP_2) | instskip(SKIP_2) | instid1(VALU_DEP_4)
	v_bfe_u32 v18, v17, 16, 1
	v_or_b32_e32 v19, 0x400000, v17
	v_cmp_u_f32_e32 vcc_lo, v17, v17
	v_add_f32_e32 v0, v10, v0
	s_delay_alu instid0(VALU_DEP_4) | instskip(SKIP_1) | instid1(VALU_DEP_1)
	v_add3_u32 v18, v18, v17, 0x7fff
	s_wait_alu 0xfffd
	v_cndmask_b32_e32 v17, v18, v19, vcc_lo
	v_lshlrev_b32_e32 v18, 16, v155
	s_delay_alu instid0(VALU_DEP_1) | instskip(NEXT) | instid1(VALU_DEP_1)
	v_dual_mul_f32 v18, v3, v18 :: v_dual_and_b32 v11, 0xffff0000, v17
	v_bfe_u32 v19, v18, 16, 1
	v_or_b32_e32 v20, 0x400000, v18
	v_cmp_u_f32_e32 vcc_lo, v18, v18
	s_delay_alu instid0(VALU_DEP_3) | instskip(SKIP_1) | instid1(VALU_DEP_1)
	v_add3_u32 v19, v19, v18, 0x7fff
	s_wait_alu 0xfffd
	v_cndmask_b32_e32 v18, v19, v20, vcc_lo
	s_delay_alu instid0(VALU_DEP_1) | instskip(NEXT) | instid1(VALU_DEP_1)
	v_and_b32_e32 v10, 0xffff0000, v18
	v_add_f32_e32 v10, v10, v11
	s_delay_alu instid0(VALU_DEP_1) | instskip(NEXT) | instid1(VALU_DEP_1)
	v_add_f32_e32 v0, v10, v0
	v_dual_add_f32 v33, v33, v0 :: v_dual_lshlrev_b32 v0, 16, v154
	s_delay_alu instid0(VALU_DEP_1) | instskip(NEXT) | instid1(VALU_DEP_1)
	v_mul_f32_e32 v0, v7, v0
	v_bfe_u32 v10, v0, 16, 1
	v_or_b32_e32 v11, 0x400000, v0
	v_cmp_u_f32_e32 vcc_lo, v0, v0
	s_delay_alu instid0(VALU_DEP_3) | instskip(SKIP_1) | instid1(VALU_DEP_1)
	v_add3_u32 v10, v10, v0, 0x7fff
	s_wait_alu 0xfffd
	v_cndmask_b32_e32 v0, v10, v11, vcc_lo
	v_lshlrev_b32_e32 v10, 16, v152
	s_delay_alu instid0(VALU_DEP_2) | instskip(NEXT) | instid1(VALU_DEP_2)
	v_and_b32_e32 v0, 0xffff0000, v0
	v_mul_f32_e32 v10, v8, v10
	s_delay_alu instid0(VALU_DEP_1) | instskip(SKIP_2) | instid1(VALU_DEP_3)
	v_bfe_u32 v11, v10, 16, 1
	v_or_b32_e32 v12, 0x400000, v10
	v_cmp_u_f32_e32 vcc_lo, v10, v10
	v_add3_u32 v11, v11, v10, 0x7fff
	s_wait_alu 0xfffd
	s_delay_alu instid0(VALU_DEP_1) | instskip(NEXT) | instid1(VALU_DEP_1)
	v_dual_cndmask_b32 v10, v11, v12 :: v_dual_lshlrev_b32 v11, 16, v151
	v_dual_mul_f32 v11, v4, v11 :: v_dual_and_b32 v10, 0xffff0000, v10
	s_delay_alu instid0(VALU_DEP_1) | instskip(NEXT) | instid1(VALU_DEP_2)
	v_add_f32_e32 v0, v10, v0
	v_bfe_u32 v12, v11, 16, 1
	v_or_b32_e32 v15, 0x400000, v11
	v_cmp_u_f32_e32 vcc_lo, v11, v11
	s_delay_alu instid0(VALU_DEP_3) | instskip(SKIP_1) | instid1(VALU_DEP_1)
	v_add3_u32 v12, v12, v11, 0x7fff
	s_wait_alu 0xfffd
	v_dual_cndmask_b32 v11, v12, v15 :: v_dual_lshlrev_b32 v12, 16, v150
	s_delay_alu instid0(VALU_DEP_1) | instskip(NEXT) | instid1(VALU_DEP_1)
	v_dual_mul_f32 v12, v6, v12 :: v_dual_and_b32 v11, 0xffff0000, v11
	v_bfe_u32 v15, v12, 16, 1
	v_or_b32_e32 v16, 0x400000, v12
	v_cmp_u_f32_e32 vcc_lo, v12, v12
	s_delay_alu instid0(VALU_DEP_3) | instskip(SKIP_1) | instid1(VALU_DEP_1)
	v_add3_u32 v15, v15, v12, 0x7fff
	s_wait_alu 0xfffd
	v_dual_cndmask_b32 v12, v15, v16 :: v_dual_lshlrev_b32 v15, 16, v146
	s_delay_alu instid0(VALU_DEP_1) | instskip(NEXT) | instid1(VALU_DEP_1)
	v_dual_mul_f32 v15, v2, v15 :: v_dual_and_b32 v10, 0xffff0000, v12
	v_add_f32_e32 v10, v10, v11
	s_delay_alu instid0(VALU_DEP_2) | instskip(SKIP_2) | instid1(VALU_DEP_4)
	v_bfe_u32 v16, v15, 16, 1
	v_or_b32_e32 v17, 0x400000, v15
	v_cmp_u_f32_e32 vcc_lo, v15, v15
	v_add_f32_e32 v0, v10, v0
	s_delay_alu instid0(VALU_DEP_4) | instskip(SKIP_1) | instid1(VALU_DEP_1)
	v_add3_u32 v16, v16, v15, 0x7fff
	s_wait_alu 0xfffd
	v_dual_cndmask_b32 v15, v16, v17 :: v_dual_lshlrev_b32 v16, 16, v142
	s_delay_alu instid0(VALU_DEP_1) | instskip(NEXT) | instid1(VALU_DEP_1)
	v_dual_mul_f32 v16, v5, v16 :: v_dual_and_b32 v11, 0xffff0000, v15
	v_bfe_u32 v17, v16, 16, 1
	v_or_b32_e32 v18, 0x400000, v16
	v_cmp_u_f32_e32 vcc_lo, v16, v16
	s_delay_alu instid0(VALU_DEP_3) | instskip(SKIP_1) | instid1(VALU_DEP_1)
	v_add3_u32 v17, v17, v16, 0x7fff
	s_wait_alu 0xfffd
	v_dual_cndmask_b32 v16, v17, v18 :: v_dual_lshlrev_b32 v17, 16, v141
	s_delay_alu instid0(VALU_DEP_1) | instskip(NEXT) | instid1(VALU_DEP_1)
	v_dual_mul_f32 v17, v1, v17 :: v_dual_and_b32 v10, 0xffff0000, v16
	v_add_f32_e32 v10, v10, v11
	s_delay_alu instid0(VALU_DEP_2) | instskip(SKIP_2) | instid1(VALU_DEP_4)
	v_bfe_u32 v18, v17, 16, 1
	v_or_b32_e32 v19, 0x400000, v17
	v_cmp_u_f32_e32 vcc_lo, v17, v17
	v_add_f32_e32 v0, v10, v0
	s_delay_alu instid0(VALU_DEP_4) | instskip(SKIP_1) | instid1(VALU_DEP_1)
	v_add3_u32 v18, v18, v17, 0x7fff
	s_wait_alu 0xfffd
	v_dual_cndmask_b32 v17, v18, v19 :: v_dual_lshlrev_b32 v18, 16, v140
	s_delay_alu instid0(VALU_DEP_1) | instskip(NEXT) | instid1(VALU_DEP_1)
	v_dual_mul_f32 v18, v3, v18 :: v_dual_and_b32 v11, 0xffff0000, v17
	v_bfe_u32 v19, v18, 16, 1
	v_or_b32_e32 v20, 0x400000, v18
	v_cmp_u_f32_e32 vcc_lo, v18, v18
	s_delay_alu instid0(VALU_DEP_3) | instskip(SKIP_1) | instid1(VALU_DEP_1)
	v_add3_u32 v19, v19, v18, 0x7fff
	s_wait_alu 0xfffd
	v_cndmask_b32_e32 v18, v19, v20, vcc_lo
	s_delay_alu instid0(VALU_DEP_1) | instskip(NEXT) | instid1(VALU_DEP_1)
	v_and_b32_e32 v10, 0xffff0000, v18
	v_add_f32_e32 v10, v10, v11
	s_delay_alu instid0(VALU_DEP_1) | instskip(SKIP_1) | instid1(VALU_DEP_1)
	v_add_f32_e32 v0, v10, v0
	s_wait_loadcnt 0x8
	v_add_f32_e32 v36, v36, v0
	v_lshlrev_b32_e32 v0, 16, v138
	s_delay_alu instid0(VALU_DEP_1) | instskip(NEXT) | instid1(VALU_DEP_1)
	v_mul_f32_e32 v0, v7, v0
	v_bfe_u32 v10, v0, 16, 1
	v_or_b32_e32 v11, 0x400000, v0
	v_cmp_u_f32_e32 vcc_lo, v0, v0
	s_delay_alu instid0(VALU_DEP_3) | instskip(SKIP_1) | instid1(VALU_DEP_1)
	v_add3_u32 v10, v10, v0, 0x7fff
	s_wait_alu 0xfffd
	v_cndmask_b32_e32 v0, v10, v11, vcc_lo
	v_lshlrev_b32_e32 v10, 16, v137
	s_delay_alu instid0(VALU_DEP_2) | instskip(NEXT) | instid1(VALU_DEP_2)
	v_and_b32_e32 v0, 0xffff0000, v0
	v_mul_f32_e32 v10, v8, v10
	s_delay_alu instid0(VALU_DEP_1) | instskip(SKIP_2) | instid1(VALU_DEP_3)
	v_bfe_u32 v11, v10, 16, 1
	v_or_b32_e32 v12, 0x400000, v10
	v_cmp_u_f32_e32 vcc_lo, v10, v10
	v_add3_u32 v11, v11, v10, 0x7fff
	s_wait_alu 0xfffd
	s_delay_alu instid0(VALU_DEP_1) | instskip(SKIP_1) | instid1(VALU_DEP_1)
	v_cndmask_b32_e32 v10, v11, v12, vcc_lo
	v_lshlrev_b32_e32 v11, 16, v136
	v_dual_mul_f32 v11, v4, v11 :: v_dual_and_b32 v10, 0xffff0000, v10
	s_delay_alu instid0(VALU_DEP_1) | instskip(NEXT) | instid1(VALU_DEP_2)
	v_add_f32_e32 v0, v10, v0
	v_bfe_u32 v12, v11, 16, 1
	v_or_b32_e32 v15, 0x400000, v11
	v_cmp_u_f32_e32 vcc_lo, v11, v11
	s_delay_alu instid0(VALU_DEP_3) | instskip(SKIP_1) | instid1(VALU_DEP_1)
	v_add3_u32 v12, v12, v11, 0x7fff
	s_wait_alu 0xfffd
	v_cndmask_b32_e32 v11, v12, v15, vcc_lo
	v_lshlrev_b32_e32 v12, 16, v135
	s_delay_alu instid0(VALU_DEP_1) | instskip(NEXT) | instid1(VALU_DEP_1)
	v_dual_mul_f32 v12, v6, v12 :: v_dual_and_b32 v11, 0xffff0000, v11
	v_bfe_u32 v15, v12, 16, 1
	v_or_b32_e32 v16, 0x400000, v12
	v_cmp_u_f32_e32 vcc_lo, v12, v12
	s_delay_alu instid0(VALU_DEP_3) | instskip(SKIP_1) | instid1(VALU_DEP_1)
	v_add3_u32 v15, v15, v12, 0x7fff
	s_wait_alu 0xfffd
	v_dual_cndmask_b32 v12, v15, v16 :: v_dual_lshlrev_b32 v15, 16, v134
	s_delay_alu instid0(VALU_DEP_1) | instskip(NEXT) | instid1(VALU_DEP_1)
	v_dual_mul_f32 v15, v2, v15 :: v_dual_and_b32 v10, 0xffff0000, v12
	v_add_f32_e32 v10, v10, v11
	s_delay_alu instid0(VALU_DEP_2) | instskip(SKIP_2) | instid1(VALU_DEP_4)
	v_bfe_u32 v16, v15, 16, 1
	v_or_b32_e32 v17, 0x400000, v15
	v_cmp_u_f32_e32 vcc_lo, v15, v15
	v_add_f32_e32 v0, v10, v0
	s_delay_alu instid0(VALU_DEP_4) | instskip(SKIP_1) | instid1(VALU_DEP_1)
	v_add3_u32 v16, v16, v15, 0x7fff
	s_wait_alu 0xfffd
	v_cndmask_b32_e32 v15, v16, v17, vcc_lo
	v_lshlrev_b32_e32 v16, 16, v133
	s_delay_alu instid0(VALU_DEP_1) | instskip(NEXT) | instid1(VALU_DEP_1)
	v_dual_mul_f32 v16, v5, v16 :: v_dual_and_b32 v11, 0xffff0000, v15
	v_bfe_u32 v17, v16, 16, 1
	v_or_b32_e32 v18, 0x400000, v16
	v_cmp_u_f32_e32 vcc_lo, v16, v16
	s_delay_alu instid0(VALU_DEP_3) | instskip(SKIP_1) | instid1(VALU_DEP_1)
	v_add3_u32 v17, v17, v16, 0x7fff
	s_wait_alu 0xfffd
	v_dual_cndmask_b32 v16, v17, v18 :: v_dual_lshlrev_b32 v17, 16, v132
	s_delay_alu instid0(VALU_DEP_1) | instskip(NEXT) | instid1(VALU_DEP_1)
	v_dual_mul_f32 v17, v1, v17 :: v_dual_and_b32 v10, 0xffff0000, v16
	v_add_f32_e32 v10, v10, v11
	s_delay_alu instid0(VALU_DEP_2) | instskip(SKIP_2) | instid1(VALU_DEP_4)
	v_bfe_u32 v18, v17, 16, 1
	v_or_b32_e32 v19, 0x400000, v17
	v_cmp_u_f32_e32 vcc_lo, v17, v17
	v_add_f32_e32 v0, v10, v0
	s_delay_alu instid0(VALU_DEP_4) | instskip(SKIP_1) | instid1(VALU_DEP_1)
	v_add3_u32 v18, v18, v17, 0x7fff
	s_wait_alu 0xfffd
	v_cndmask_b32_e32 v17, v18, v19, vcc_lo
	v_lshlrev_b32_e32 v18, 16, v131
	s_delay_alu instid0(VALU_DEP_1) | instskip(NEXT) | instid1(VALU_DEP_1)
	v_dual_mul_f32 v18, v3, v18 :: v_dual_and_b32 v11, 0xffff0000, v17
	v_bfe_u32 v19, v18, 16, 1
	v_or_b32_e32 v20, 0x400000, v18
	v_cmp_u_f32_e32 vcc_lo, v18, v18
	s_delay_alu instid0(VALU_DEP_3) | instskip(SKIP_1) | instid1(VALU_DEP_1)
	v_add3_u32 v19, v19, v18, 0x7fff
	s_wait_alu 0xfffd
	v_cndmask_b32_e32 v18, v19, v20, vcc_lo
	s_delay_alu instid0(VALU_DEP_1) | instskip(NEXT) | instid1(VALU_DEP_1)
	v_and_b32_e32 v10, 0xffff0000, v18
	v_add_f32_e32 v10, v10, v11
	s_delay_alu instid0(VALU_DEP_1) | instskip(NEXT) | instid1(VALU_DEP_1)
	v_add_f32_e32 v0, v10, v0
	v_add_f32_e32 v38, v38, v0
	v_lshlrev_b32_e32 v0, 16, v130
	s_delay_alu instid0(VALU_DEP_1) | instskip(NEXT) | instid1(VALU_DEP_1)
	v_mul_f32_e32 v0, v7, v0
	v_bfe_u32 v10, v0, 16, 1
	v_or_b32_e32 v11, 0x400000, v0
	v_cmp_u_f32_e32 vcc_lo, v0, v0
	s_delay_alu instid0(VALU_DEP_3) | instskip(SKIP_1) | instid1(VALU_DEP_1)
	v_add3_u32 v10, v10, v0, 0x7fff
	s_wait_alu 0xfffd
	v_cndmask_b32_e32 v0, v10, v11, vcc_lo
	v_lshlrev_b32_e32 v10, 16, v129
	s_delay_alu instid0(VALU_DEP_2) | instskip(NEXT) | instid1(VALU_DEP_2)
	v_and_b32_e32 v0, 0xffff0000, v0
	v_mul_f32_e32 v10, v8, v10
	s_delay_alu instid0(VALU_DEP_1) | instskip(SKIP_2) | instid1(VALU_DEP_3)
	v_bfe_u32 v11, v10, 16, 1
	v_or_b32_e32 v12, 0x400000, v10
	v_cmp_u_f32_e32 vcc_lo, v10, v10
	v_add3_u32 v11, v11, v10, 0x7fff
	s_wait_alu 0xfffd
	s_delay_alu instid0(VALU_DEP_1) | instskip(SKIP_1) | instid1(VALU_DEP_1)
	v_cndmask_b32_e32 v10, v11, v12, vcc_lo
	v_lshlrev_b32_e32 v11, 16, v128
	v_dual_mul_f32 v11, v4, v11 :: v_dual_and_b32 v10, 0xffff0000, v10
	s_delay_alu instid0(VALU_DEP_1) | instskip(NEXT) | instid1(VALU_DEP_2)
	v_add_f32_e32 v0, v10, v0
	v_bfe_u32 v12, v11, 16, 1
	v_or_b32_e32 v15, 0x400000, v11
	v_cmp_u_f32_e32 vcc_lo, v11, v11
	s_delay_alu instid0(VALU_DEP_3) | instskip(SKIP_1) | instid1(VALU_DEP_1)
	v_add3_u32 v12, v12, v11, 0x7fff
	s_wait_alu 0xfffd
	v_cndmask_b32_e32 v11, v12, v15, vcc_lo
	v_lshlrev_b32_e32 v12, 16, v127
	s_delay_alu instid0(VALU_DEP_1) | instskip(NEXT) | instid1(VALU_DEP_1)
	v_dual_mul_f32 v12, v6, v12 :: v_dual_and_b32 v11, 0xffff0000, v11
	v_bfe_u32 v15, v12, 16, 1
	v_or_b32_e32 v16, 0x400000, v12
	v_cmp_u_f32_e32 vcc_lo, v12, v12
	s_delay_alu instid0(VALU_DEP_3) | instskip(SKIP_1) | instid1(VALU_DEP_1)
	v_add3_u32 v15, v15, v12, 0x7fff
	s_wait_alu 0xfffd
	v_dual_cndmask_b32 v12, v15, v16 :: v_dual_lshlrev_b32 v15, 16, v126
	s_delay_alu instid0(VALU_DEP_1) | instskip(NEXT) | instid1(VALU_DEP_1)
	v_dual_mul_f32 v15, v2, v15 :: v_dual_and_b32 v10, 0xffff0000, v12
	v_add_f32_e32 v10, v10, v11
	s_delay_alu instid0(VALU_DEP_2) | instskip(SKIP_2) | instid1(VALU_DEP_4)
	v_bfe_u32 v16, v15, 16, 1
	v_or_b32_e32 v17, 0x400000, v15
	v_cmp_u_f32_e32 vcc_lo, v15, v15
	v_add_f32_e32 v0, v10, v0
	s_delay_alu instid0(VALU_DEP_4) | instskip(SKIP_1) | instid1(VALU_DEP_1)
	v_add3_u32 v16, v16, v15, 0x7fff
	s_wait_alu 0xfffd
	v_cndmask_b32_e32 v15, v16, v17, vcc_lo
	v_lshlrev_b32_e32 v16, 16, v125
	s_delay_alu instid0(VALU_DEP_1) | instskip(NEXT) | instid1(VALU_DEP_1)
	v_dual_mul_f32 v16, v5, v16 :: v_dual_and_b32 v11, 0xffff0000, v15
	v_bfe_u32 v17, v16, 16, 1
	v_or_b32_e32 v18, 0x400000, v16
	v_cmp_u_f32_e32 vcc_lo, v16, v16
	s_delay_alu instid0(VALU_DEP_3) | instskip(SKIP_1) | instid1(VALU_DEP_1)
	v_add3_u32 v17, v17, v16, 0x7fff
	s_wait_alu 0xfffd
	v_dual_cndmask_b32 v16, v17, v18 :: v_dual_lshlrev_b32 v17, 16, v124
	s_delay_alu instid0(VALU_DEP_1) | instskip(NEXT) | instid1(VALU_DEP_1)
	v_dual_mul_f32 v17, v1, v17 :: v_dual_and_b32 v10, 0xffff0000, v16
	v_add_f32_e32 v10, v10, v11
	s_delay_alu instid0(VALU_DEP_2) | instskip(SKIP_2) | instid1(VALU_DEP_4)
	v_bfe_u32 v18, v17, 16, 1
	v_or_b32_e32 v19, 0x400000, v17
	v_cmp_u_f32_e32 vcc_lo, v17, v17
	v_add_f32_e32 v0, v10, v0
	s_delay_alu instid0(VALU_DEP_4) | instskip(SKIP_1) | instid1(VALU_DEP_1)
	v_add3_u32 v18, v18, v17, 0x7fff
	s_wait_alu 0xfffd
	v_cndmask_b32_e32 v17, v18, v19, vcc_lo
	v_lshlrev_b32_e32 v18, 16, v123
	s_delay_alu instid0(VALU_DEP_1) | instskip(NEXT) | instid1(VALU_DEP_1)
	v_dual_mul_f32 v18, v3, v18 :: v_dual_and_b32 v11, 0xffff0000, v17
	v_bfe_u32 v19, v18, 16, 1
	v_or_b32_e32 v20, 0x400000, v18
	v_cmp_u_f32_e32 vcc_lo, v18, v18
	s_delay_alu instid0(VALU_DEP_3) | instskip(SKIP_1) | instid1(VALU_DEP_1)
	v_add3_u32 v19, v19, v18, 0x7fff
	s_wait_alu 0xfffd
	v_cndmask_b32_e32 v18, v19, v20, vcc_lo
	s_delay_alu instid0(VALU_DEP_1) | instskip(NEXT) | instid1(VALU_DEP_1)
	v_and_b32_e32 v10, 0xffff0000, v18
	v_add_f32_e32 v10, v10, v11
	s_delay_alu instid0(VALU_DEP_1) | instskip(SKIP_1) | instid1(VALU_DEP_1)
	v_add_f32_e32 v0, v10, v0
	s_wait_loadcnt 0x2
	v_add_f32_e32 v22, v22, v0
	v_lshlrev_b32_e32 v0, 16, v122
	s_delay_alu instid0(VALU_DEP_1) | instskip(NEXT) | instid1(VALU_DEP_1)
	v_mul_f32_e32 v0, v7, v0
	v_bfe_u32 v10, v0, 16, 1
	v_or_b32_e32 v11, 0x400000, v0
	v_cmp_u_f32_e32 vcc_lo, v0, v0
	s_delay_alu instid0(VALU_DEP_3) | instskip(SKIP_1) | instid1(VALU_DEP_1)
	v_add3_u32 v10, v10, v0, 0x7fff
	s_wait_alu 0xfffd
	v_cndmask_b32_e32 v0, v10, v11, vcc_lo
	v_lshlrev_b32_e32 v10, 16, v121
	s_delay_alu instid0(VALU_DEP_2) | instskip(NEXT) | instid1(VALU_DEP_2)
	v_and_b32_e32 v0, 0xffff0000, v0
	v_mul_f32_e32 v10, v8, v10
	s_delay_alu instid0(VALU_DEP_1) | instskip(SKIP_2) | instid1(VALU_DEP_3)
	v_bfe_u32 v11, v10, 16, 1
	v_or_b32_e32 v12, 0x400000, v10
	v_cmp_u_f32_e32 vcc_lo, v10, v10
	v_add3_u32 v11, v11, v10, 0x7fff
	s_wait_alu 0xfffd
	s_delay_alu instid0(VALU_DEP_1) | instskip(SKIP_1) | instid1(VALU_DEP_1)
	v_cndmask_b32_e32 v10, v11, v12, vcc_lo
	v_lshlrev_b32_e32 v11, 16, v120
	v_dual_mul_f32 v11, v4, v11 :: v_dual_and_b32 v10, 0xffff0000, v10
	s_delay_alu instid0(VALU_DEP_1) | instskip(NEXT) | instid1(VALU_DEP_2)
	v_add_f32_e32 v0, v10, v0
	v_bfe_u32 v12, v11, 16, 1
	v_or_b32_e32 v15, 0x400000, v11
	v_cmp_u_f32_e32 vcc_lo, v11, v11
	s_delay_alu instid0(VALU_DEP_3) | instskip(SKIP_1) | instid1(VALU_DEP_1)
	v_add3_u32 v12, v12, v11, 0x7fff
	s_wait_alu 0xfffd
	v_cndmask_b32_e32 v11, v12, v15, vcc_lo
	v_lshlrev_b32_e32 v12, 16, v119
	s_delay_alu instid0(VALU_DEP_1) | instskip(NEXT) | instid1(VALU_DEP_1)
	v_dual_mul_f32 v12, v6, v12 :: v_dual_and_b32 v11, 0xffff0000, v11
	v_bfe_u32 v15, v12, 16, 1
	v_or_b32_e32 v16, 0x400000, v12
	v_cmp_u_f32_e32 vcc_lo, v12, v12
	s_delay_alu instid0(VALU_DEP_3) | instskip(SKIP_1) | instid1(VALU_DEP_1)
	v_add3_u32 v15, v15, v12, 0x7fff
	s_wait_alu 0xfffd
	v_dual_cndmask_b32 v12, v15, v16 :: v_dual_lshlrev_b32 v15, 16, v118
	s_delay_alu instid0(VALU_DEP_1) | instskip(NEXT) | instid1(VALU_DEP_1)
	v_dual_mul_f32 v15, v2, v15 :: v_dual_and_b32 v10, 0xffff0000, v12
	v_add_f32_e32 v10, v10, v11
	s_delay_alu instid0(VALU_DEP_2) | instskip(SKIP_2) | instid1(VALU_DEP_4)
	v_bfe_u32 v16, v15, 16, 1
	v_or_b32_e32 v17, 0x400000, v15
	v_cmp_u_f32_e32 vcc_lo, v15, v15
	v_add_f32_e32 v0, v10, v0
	s_delay_alu instid0(VALU_DEP_4) | instskip(SKIP_1) | instid1(VALU_DEP_1)
	v_add3_u32 v16, v16, v15, 0x7fff
	s_wait_alu 0xfffd
	v_cndmask_b32_e32 v15, v16, v17, vcc_lo
	v_lshlrev_b32_e32 v16, 16, v117
	s_delay_alu instid0(VALU_DEP_1) | instskip(NEXT) | instid1(VALU_DEP_1)
	v_dual_mul_f32 v16, v5, v16 :: v_dual_and_b32 v11, 0xffff0000, v15
	v_bfe_u32 v17, v16, 16, 1
	v_or_b32_e32 v18, 0x400000, v16
	v_cmp_u_f32_e32 vcc_lo, v16, v16
	s_delay_alu instid0(VALU_DEP_3) | instskip(SKIP_1) | instid1(VALU_DEP_1)
	v_add3_u32 v17, v17, v16, 0x7fff
	s_wait_alu 0xfffd
	v_dual_cndmask_b32 v16, v17, v18 :: v_dual_lshlrev_b32 v17, 16, v116
	s_delay_alu instid0(VALU_DEP_1) | instskip(NEXT) | instid1(VALU_DEP_1)
	v_dual_mul_f32 v17, v1, v17 :: v_dual_and_b32 v10, 0xffff0000, v16
	v_add_f32_e32 v10, v10, v11
	s_delay_alu instid0(VALU_DEP_2) | instskip(SKIP_2) | instid1(VALU_DEP_4)
	v_bfe_u32 v18, v17, 16, 1
	v_or_b32_e32 v19, 0x400000, v17
	v_cmp_u_f32_e32 vcc_lo, v17, v17
	v_add_f32_e32 v0, v10, v0
	s_delay_alu instid0(VALU_DEP_4) | instskip(SKIP_1) | instid1(VALU_DEP_1)
	v_add3_u32 v18, v18, v17, 0x7fff
	s_wait_alu 0xfffd
	v_cndmask_b32_e32 v17, v18, v19, vcc_lo
	v_lshlrev_b32_e32 v18, 16, v115
	s_delay_alu instid0(VALU_DEP_1) | instskip(NEXT) | instid1(VALU_DEP_1)
	v_dual_mul_f32 v18, v3, v18 :: v_dual_and_b32 v11, 0xffff0000, v17
	v_bfe_u32 v19, v18, 16, 1
	v_or_b32_e32 v20, 0x400000, v18
	v_cmp_u_f32_e32 vcc_lo, v18, v18
	s_delay_alu instid0(VALU_DEP_3) | instskip(SKIP_1) | instid1(VALU_DEP_1)
	v_add3_u32 v19, v19, v18, 0x7fff
	s_wait_alu 0xfffd
	v_cndmask_b32_e32 v18, v19, v20, vcc_lo
	s_delay_alu instid0(VALU_DEP_1) | instskip(NEXT) | instid1(VALU_DEP_1)
	v_and_b32_e32 v10, 0xffff0000, v18
	v_add_f32_e32 v10, v10, v11
	s_delay_alu instid0(VALU_DEP_1) | instskip(NEXT) | instid1(VALU_DEP_1)
	v_add_f32_e32 v0, v10, v0
	v_add_f32_e32 v26, v26, v0
	v_lshlrev_b32_e32 v0, 16, v114
	s_delay_alu instid0(VALU_DEP_1) | instskip(NEXT) | instid1(VALU_DEP_1)
	v_mul_f32_e32 v0, v7, v0
	v_bfe_u32 v10, v0, 16, 1
	v_or_b32_e32 v11, 0x400000, v0
	v_cmp_u_f32_e32 vcc_lo, v0, v0
	s_delay_alu instid0(VALU_DEP_3) | instskip(SKIP_1) | instid1(VALU_DEP_1)
	v_add3_u32 v10, v10, v0, 0x7fff
	s_wait_alu 0xfffd
	v_cndmask_b32_e32 v0, v10, v11, vcc_lo
	v_lshlrev_b32_e32 v10, 16, v113
	s_delay_alu instid0(VALU_DEP_2) | instskip(NEXT) | instid1(VALU_DEP_2)
	v_and_b32_e32 v0, 0xffff0000, v0
	v_mul_f32_e32 v10, v8, v10
	s_delay_alu instid0(VALU_DEP_1) | instskip(SKIP_2) | instid1(VALU_DEP_3)
	v_bfe_u32 v11, v10, 16, 1
	v_or_b32_e32 v12, 0x400000, v10
	v_cmp_u_f32_e32 vcc_lo, v10, v10
	v_add3_u32 v11, v11, v10, 0x7fff
	s_wait_alu 0xfffd
	s_delay_alu instid0(VALU_DEP_1) | instskip(SKIP_1) | instid1(VALU_DEP_1)
	v_cndmask_b32_e32 v10, v11, v12, vcc_lo
	v_lshlrev_b32_e32 v11, 16, v112
	v_dual_mul_f32 v11, v4, v11 :: v_dual_and_b32 v10, 0xffff0000, v10
	s_delay_alu instid0(VALU_DEP_1) | instskip(NEXT) | instid1(VALU_DEP_2)
	v_add_f32_e32 v0, v10, v0
	v_bfe_u32 v12, v11, 16, 1
	v_or_b32_e32 v15, 0x400000, v11
	v_cmp_u_f32_e32 vcc_lo, v11, v11
	s_delay_alu instid0(VALU_DEP_3) | instskip(SKIP_1) | instid1(VALU_DEP_1)
	v_add3_u32 v12, v12, v11, 0x7fff
	s_wait_alu 0xfffd
	v_cndmask_b32_e32 v11, v12, v15, vcc_lo
	v_lshlrev_b32_e32 v12, 16, v111
	s_delay_alu instid0(VALU_DEP_1) | instskip(NEXT) | instid1(VALU_DEP_1)
	v_dual_mul_f32 v12, v6, v12 :: v_dual_and_b32 v11, 0xffff0000, v11
	v_bfe_u32 v15, v12, 16, 1
	v_or_b32_e32 v16, 0x400000, v12
	v_cmp_u_f32_e32 vcc_lo, v12, v12
	s_delay_alu instid0(VALU_DEP_3) | instskip(SKIP_1) | instid1(VALU_DEP_1)
	v_add3_u32 v15, v15, v12, 0x7fff
	s_wait_alu 0xfffd
	v_dual_cndmask_b32 v12, v15, v16 :: v_dual_lshlrev_b32 v15, 16, v110
	s_delay_alu instid0(VALU_DEP_1) | instskip(NEXT) | instid1(VALU_DEP_1)
	v_dual_mul_f32 v15, v2, v15 :: v_dual_and_b32 v10, 0xffff0000, v12
	v_add_f32_e32 v10, v10, v11
	s_delay_alu instid0(VALU_DEP_2) | instskip(SKIP_2) | instid1(VALU_DEP_4)
	v_bfe_u32 v16, v15, 16, 1
	v_or_b32_e32 v17, 0x400000, v15
	v_cmp_u_f32_e32 vcc_lo, v15, v15
	v_add_f32_e32 v0, v10, v0
	s_delay_alu instid0(VALU_DEP_4) | instskip(SKIP_1) | instid1(VALU_DEP_1)
	v_add3_u32 v16, v16, v15, 0x7fff
	s_wait_alu 0xfffd
	v_cndmask_b32_e32 v15, v16, v17, vcc_lo
	v_lshlrev_b32_e32 v16, 16, v109
	s_delay_alu instid0(VALU_DEP_1) | instskip(NEXT) | instid1(VALU_DEP_1)
	v_dual_mul_f32 v16, v5, v16 :: v_dual_and_b32 v11, 0xffff0000, v15
	v_bfe_u32 v17, v16, 16, 1
	v_or_b32_e32 v18, 0x400000, v16
	v_cmp_u_f32_e32 vcc_lo, v16, v16
	s_delay_alu instid0(VALU_DEP_3) | instskip(SKIP_1) | instid1(VALU_DEP_1)
	v_add3_u32 v17, v17, v16, 0x7fff
	s_wait_alu 0xfffd
	v_dual_cndmask_b32 v16, v17, v18 :: v_dual_lshlrev_b32 v17, 16, v108
	s_delay_alu instid0(VALU_DEP_1) | instskip(NEXT) | instid1(VALU_DEP_1)
	v_dual_mul_f32 v17, v1, v17 :: v_dual_and_b32 v10, 0xffff0000, v16
	v_add_f32_e32 v10, v10, v11
	s_delay_alu instid0(VALU_DEP_2) | instskip(SKIP_2) | instid1(VALU_DEP_4)
	v_bfe_u32 v18, v17, 16, 1
	v_or_b32_e32 v19, 0x400000, v17
	v_cmp_u_f32_e32 vcc_lo, v17, v17
	v_add_f32_e32 v0, v10, v0
	s_delay_alu instid0(VALU_DEP_4) | instskip(SKIP_1) | instid1(VALU_DEP_1)
	v_add3_u32 v18, v18, v17, 0x7fff
	s_wait_alu 0xfffd
	v_cndmask_b32_e32 v17, v18, v19, vcc_lo
	v_lshlrev_b32_e32 v18, 16, v107
	s_delay_alu instid0(VALU_DEP_1) | instskip(NEXT) | instid1(VALU_DEP_1)
	v_dual_mul_f32 v18, v3, v18 :: v_dual_and_b32 v11, 0xffff0000, v17
	v_bfe_u32 v19, v18, 16, 1
	v_or_b32_e32 v20, 0x400000, v18
	v_cmp_u_f32_e32 vcc_lo, v18, v18
	s_delay_alu instid0(VALU_DEP_3) | instskip(SKIP_1) | instid1(VALU_DEP_1)
	v_add3_u32 v19, v19, v18, 0x7fff
	s_wait_alu 0xfffd
	v_cndmask_b32_e32 v18, v19, v20, vcc_lo
	s_delay_alu instid0(VALU_DEP_1) | instskip(NEXT) | instid1(VALU_DEP_1)
	v_and_b32_e32 v10, 0xffff0000, v18
	v_add_f32_e32 v10, v10, v11
	s_delay_alu instid0(VALU_DEP_1) | instskip(NEXT) | instid1(VALU_DEP_1)
	v_add_f32_e32 v0, v10, v0
	v_dual_add_f32 v27, v27, v0 :: v_dual_lshlrev_b32 v0, 16, v106
	s_delay_alu instid0(VALU_DEP_1) | instskip(NEXT) | instid1(VALU_DEP_1)
	v_mul_f32_e32 v0, v7, v0
	v_bfe_u32 v10, v0, 16, 1
	v_or_b32_e32 v11, 0x400000, v0
	v_cmp_u_f32_e32 vcc_lo, v0, v0
	s_delay_alu instid0(VALU_DEP_3) | instskip(SKIP_1) | instid1(VALU_DEP_1)
	v_add3_u32 v10, v10, v0, 0x7fff
	s_wait_alu 0xfffd
	v_cndmask_b32_e32 v0, v10, v11, vcc_lo
	v_lshlrev_b32_e32 v10, 16, v105
	s_delay_alu instid0(VALU_DEP_2) | instskip(NEXT) | instid1(VALU_DEP_2)
	v_and_b32_e32 v0, 0xffff0000, v0
	v_mul_f32_e32 v10, v8, v10
	s_delay_alu instid0(VALU_DEP_1) | instskip(SKIP_2) | instid1(VALU_DEP_3)
	v_bfe_u32 v11, v10, 16, 1
	v_or_b32_e32 v12, 0x400000, v10
	v_cmp_u_f32_e32 vcc_lo, v10, v10
	v_add3_u32 v11, v11, v10, 0x7fff
	s_wait_alu 0xfffd
	s_delay_alu instid0(VALU_DEP_1) | instskip(SKIP_1) | instid1(VALU_DEP_1)
	v_cndmask_b32_e32 v10, v11, v12, vcc_lo
	v_lshlrev_b32_e32 v11, 16, v104
	v_dual_mul_f32 v11, v4, v11 :: v_dual_and_b32 v10, 0xffff0000, v10
	s_delay_alu instid0(VALU_DEP_1) | instskip(NEXT) | instid1(VALU_DEP_2)
	v_add_f32_e32 v0, v10, v0
	v_bfe_u32 v12, v11, 16, 1
	v_or_b32_e32 v15, 0x400000, v11
	v_cmp_u_f32_e32 vcc_lo, v11, v11
	s_delay_alu instid0(VALU_DEP_3) | instskip(SKIP_1) | instid1(VALU_DEP_1)
	v_add3_u32 v12, v12, v11, 0x7fff
	s_wait_alu 0xfffd
	v_cndmask_b32_e32 v11, v12, v15, vcc_lo
	v_lshlrev_b32_e32 v12, 16, v103
	s_delay_alu instid0(VALU_DEP_1) | instskip(NEXT) | instid1(VALU_DEP_1)
	v_dual_mul_f32 v12, v6, v12 :: v_dual_and_b32 v11, 0xffff0000, v11
	v_bfe_u32 v15, v12, 16, 1
	v_or_b32_e32 v16, 0x400000, v12
	v_cmp_u_f32_e32 vcc_lo, v12, v12
	s_delay_alu instid0(VALU_DEP_3) | instskip(SKIP_1) | instid1(VALU_DEP_1)
	v_add3_u32 v15, v15, v12, 0x7fff
	s_wait_alu 0xfffd
	v_dual_cndmask_b32 v12, v15, v16 :: v_dual_lshlrev_b32 v15, 16, v102
	s_delay_alu instid0(VALU_DEP_1) | instskip(NEXT) | instid1(VALU_DEP_1)
	v_dual_mul_f32 v15, v2, v15 :: v_dual_and_b32 v10, 0xffff0000, v12
	v_add_f32_e32 v10, v10, v11
	s_delay_alu instid0(VALU_DEP_2) | instskip(SKIP_2) | instid1(VALU_DEP_4)
	v_bfe_u32 v16, v15, 16, 1
	v_or_b32_e32 v17, 0x400000, v15
	v_cmp_u_f32_e32 vcc_lo, v15, v15
	v_add_f32_e32 v0, v10, v0
	s_delay_alu instid0(VALU_DEP_4) | instskip(SKIP_1) | instid1(VALU_DEP_1)
	v_add3_u32 v16, v16, v15, 0x7fff
	s_wait_alu 0xfffd
	v_cndmask_b32_e32 v15, v16, v17, vcc_lo
	v_lshlrev_b32_e32 v16, 16, v101
	s_delay_alu instid0(VALU_DEP_1) | instskip(NEXT) | instid1(VALU_DEP_1)
	v_dual_mul_f32 v16, v5, v16 :: v_dual_and_b32 v11, 0xffff0000, v15
	v_bfe_u32 v17, v16, 16, 1
	v_or_b32_e32 v18, 0x400000, v16
	v_cmp_u_f32_e32 vcc_lo, v16, v16
	s_delay_alu instid0(VALU_DEP_3) | instskip(SKIP_1) | instid1(VALU_DEP_1)
	v_add3_u32 v17, v17, v16, 0x7fff
	s_wait_alu 0xfffd
	v_dual_cndmask_b32 v16, v17, v18 :: v_dual_lshlrev_b32 v17, 16, v100
	s_delay_alu instid0(VALU_DEP_1) | instskip(NEXT) | instid1(VALU_DEP_1)
	v_dual_mul_f32 v17, v1, v17 :: v_dual_and_b32 v10, 0xffff0000, v16
	v_add_f32_e32 v10, v10, v11
	s_delay_alu instid0(VALU_DEP_2) | instskip(SKIP_2) | instid1(VALU_DEP_4)
	v_bfe_u32 v18, v17, 16, 1
	v_or_b32_e32 v19, 0x400000, v17
	v_cmp_u_f32_e32 vcc_lo, v17, v17
	v_add_f32_e32 v0, v10, v0
	s_delay_alu instid0(VALU_DEP_4) | instskip(SKIP_1) | instid1(VALU_DEP_1)
	v_add3_u32 v18, v18, v17, 0x7fff
	s_wait_alu 0xfffd
	v_cndmask_b32_e32 v17, v18, v19, vcc_lo
	v_lshlrev_b32_e32 v18, 16, v99
	s_delay_alu instid0(VALU_DEP_1) | instskip(NEXT) | instid1(VALU_DEP_1)
	v_dual_mul_f32 v18, v3, v18 :: v_dual_and_b32 v11, 0xffff0000, v17
	v_bfe_u32 v19, v18, 16, 1
	v_or_b32_e32 v20, 0x400000, v18
	v_cmp_u_f32_e32 vcc_lo, v18, v18
	s_delay_alu instid0(VALU_DEP_3) | instskip(SKIP_1) | instid1(VALU_DEP_1)
	v_add3_u32 v19, v19, v18, 0x7fff
	s_wait_alu 0xfffd
	v_cndmask_b32_e32 v18, v19, v20, vcc_lo
	s_delay_alu instid0(VALU_DEP_1) | instskip(NEXT) | instid1(VALU_DEP_1)
	v_and_b32_e32 v10, 0xffff0000, v18
	v_add_f32_e32 v10, v10, v11
	s_delay_alu instid0(VALU_DEP_1) | instskip(NEXT) | instid1(VALU_DEP_1)
	v_add_f32_e32 v0, v10, v0
	v_add_f32_e32 v28, v28, v0
	v_lshlrev_b32_e32 v0, 16, v98
	s_delay_alu instid0(VALU_DEP_1) | instskip(NEXT) | instid1(VALU_DEP_1)
	v_mul_f32_e32 v0, v7, v0
	v_bfe_u32 v10, v0, 16, 1
	v_or_b32_e32 v11, 0x400000, v0
	v_cmp_u_f32_e32 vcc_lo, v0, v0
	s_delay_alu instid0(VALU_DEP_3) | instskip(SKIP_1) | instid1(VALU_DEP_1)
	v_add3_u32 v10, v10, v0, 0x7fff
	s_wait_alu 0xfffd
	v_cndmask_b32_e32 v0, v10, v11, vcc_lo
	v_lshlrev_b32_e32 v10, 16, v97
	s_delay_alu instid0(VALU_DEP_2) | instskip(NEXT) | instid1(VALU_DEP_2)
	v_and_b32_e32 v0, 0xffff0000, v0
	v_mul_f32_e32 v10, v8, v10
	s_delay_alu instid0(VALU_DEP_1) | instskip(SKIP_2) | instid1(VALU_DEP_3)
	v_bfe_u32 v11, v10, 16, 1
	v_or_b32_e32 v12, 0x400000, v10
	v_cmp_u_f32_e32 vcc_lo, v10, v10
	v_add3_u32 v11, v11, v10, 0x7fff
	s_wait_alu 0xfffd
	s_delay_alu instid0(VALU_DEP_1) | instskip(SKIP_1) | instid1(VALU_DEP_1)
	v_cndmask_b32_e32 v10, v11, v12, vcc_lo
	v_lshlrev_b32_e32 v11, 16, v96
	v_dual_mul_f32 v11, v4, v11 :: v_dual_and_b32 v10, 0xffff0000, v10
	s_delay_alu instid0(VALU_DEP_1) | instskip(NEXT) | instid1(VALU_DEP_2)
	v_add_f32_e32 v0, v10, v0
	v_bfe_u32 v12, v11, 16, 1
	v_or_b32_e32 v15, 0x400000, v11
	v_cmp_u_f32_e32 vcc_lo, v11, v11
	s_delay_alu instid0(VALU_DEP_3) | instskip(SKIP_1) | instid1(VALU_DEP_1)
	v_add3_u32 v12, v12, v11, 0x7fff
	s_wait_alu 0xfffd
	v_cndmask_b32_e32 v11, v12, v15, vcc_lo
	v_lshlrev_b32_e32 v12, 16, v95
	s_delay_alu instid0(VALU_DEP_1) | instskip(NEXT) | instid1(VALU_DEP_1)
	v_dual_mul_f32 v12, v6, v12 :: v_dual_and_b32 v11, 0xffff0000, v11
	v_bfe_u32 v15, v12, 16, 1
	v_or_b32_e32 v16, 0x400000, v12
	v_cmp_u_f32_e32 vcc_lo, v12, v12
	s_delay_alu instid0(VALU_DEP_3) | instskip(SKIP_1) | instid1(VALU_DEP_1)
	v_add3_u32 v15, v15, v12, 0x7fff
	s_wait_alu 0xfffd
	v_dual_cndmask_b32 v12, v15, v16 :: v_dual_lshlrev_b32 v15, 16, v94
	s_delay_alu instid0(VALU_DEP_1) | instskip(NEXT) | instid1(VALU_DEP_1)
	v_dual_mul_f32 v15, v2, v15 :: v_dual_and_b32 v10, 0xffff0000, v12
	v_add_f32_e32 v10, v10, v11
	s_delay_alu instid0(VALU_DEP_2) | instskip(SKIP_2) | instid1(VALU_DEP_4)
	v_bfe_u32 v16, v15, 16, 1
	v_or_b32_e32 v17, 0x400000, v15
	v_cmp_u_f32_e32 vcc_lo, v15, v15
	v_add_f32_e32 v0, v10, v0
	s_delay_alu instid0(VALU_DEP_4) | instskip(SKIP_1) | instid1(VALU_DEP_1)
	v_add3_u32 v16, v16, v15, 0x7fff
	s_wait_alu 0xfffd
	v_cndmask_b32_e32 v15, v16, v17, vcc_lo
	v_lshlrev_b32_e32 v16, 16, v93
	s_delay_alu instid0(VALU_DEP_1) | instskip(NEXT) | instid1(VALU_DEP_1)
	v_dual_mul_f32 v16, v5, v16 :: v_dual_and_b32 v11, 0xffff0000, v15
	v_bfe_u32 v17, v16, 16, 1
	v_or_b32_e32 v18, 0x400000, v16
	v_cmp_u_f32_e32 vcc_lo, v16, v16
	s_delay_alu instid0(VALU_DEP_3) | instskip(SKIP_1) | instid1(VALU_DEP_1)
	v_add3_u32 v17, v17, v16, 0x7fff
	s_wait_alu 0xfffd
	v_dual_cndmask_b32 v16, v17, v18 :: v_dual_lshlrev_b32 v17, 16, v92
	s_delay_alu instid0(VALU_DEP_1) | instskip(NEXT) | instid1(VALU_DEP_1)
	v_dual_mul_f32 v17, v1, v17 :: v_dual_and_b32 v10, 0xffff0000, v16
	v_add_f32_e32 v10, v10, v11
	s_delay_alu instid0(VALU_DEP_2) | instskip(SKIP_2) | instid1(VALU_DEP_4)
	v_bfe_u32 v18, v17, 16, 1
	v_or_b32_e32 v19, 0x400000, v17
	v_cmp_u_f32_e32 vcc_lo, v17, v17
	v_add_f32_e32 v0, v10, v0
	s_delay_alu instid0(VALU_DEP_4) | instskip(SKIP_1) | instid1(VALU_DEP_1)
	v_add3_u32 v18, v18, v17, 0x7fff
	s_wait_alu 0xfffd
	v_cndmask_b32_e32 v17, v18, v19, vcc_lo
	v_lshlrev_b32_e32 v18, 16, v91
	s_delay_alu instid0(VALU_DEP_1) | instskip(NEXT) | instid1(VALU_DEP_1)
	v_dual_mul_f32 v18, v3, v18 :: v_dual_and_b32 v11, 0xffff0000, v17
	v_bfe_u32 v19, v18, 16, 1
	v_or_b32_e32 v20, 0x400000, v18
	v_cmp_u_f32_e32 vcc_lo, v18, v18
	s_delay_alu instid0(VALU_DEP_3) | instskip(SKIP_1) | instid1(VALU_DEP_1)
	v_add3_u32 v19, v19, v18, 0x7fff
	s_wait_alu 0xfffd
	v_cndmask_b32_e32 v18, v19, v20, vcc_lo
	s_delay_alu instid0(VALU_DEP_1) | instskip(NEXT) | instid1(VALU_DEP_1)
	v_and_b32_e32 v10, 0xffff0000, v18
	v_add_f32_e32 v10, v10, v11
	s_delay_alu instid0(VALU_DEP_1) | instskip(SKIP_1) | instid1(VALU_DEP_1)
	v_add_f32_e32 v0, v10, v0
	s_wait_loadcnt 0x0
	v_dual_add_f32 v29, v29, v0 :: v_dual_lshlrev_b32 v0, 16, v90
	s_delay_alu instid0(VALU_DEP_1) | instskip(NEXT) | instid1(VALU_DEP_1)
	v_mul_f32_e32 v0, v7, v0
	v_bfe_u32 v10, v0, 16, 1
	v_or_b32_e32 v11, 0x400000, v0
	v_cmp_u_f32_e32 vcc_lo, v0, v0
	s_delay_alu instid0(VALU_DEP_3) | instskip(SKIP_1) | instid1(VALU_DEP_1)
	v_add3_u32 v10, v10, v0, 0x7fff
	s_wait_alu 0xfffd
	v_cndmask_b32_e32 v0, v10, v11, vcc_lo
	v_lshlrev_b32_e32 v10, 16, v89
	s_delay_alu instid0(VALU_DEP_2) | instskip(NEXT) | instid1(VALU_DEP_2)
	v_and_b32_e32 v0, 0xffff0000, v0
	v_mul_f32_e32 v10, v8, v10
	s_delay_alu instid0(VALU_DEP_1) | instskip(SKIP_2) | instid1(VALU_DEP_3)
	v_bfe_u32 v11, v10, 16, 1
	v_or_b32_e32 v12, 0x400000, v10
	v_cmp_u_f32_e32 vcc_lo, v10, v10
	v_add3_u32 v11, v11, v10, 0x7fff
	s_wait_alu 0xfffd
	s_delay_alu instid0(VALU_DEP_1) | instskip(SKIP_1) | instid1(VALU_DEP_1)
	v_cndmask_b32_e32 v10, v11, v12, vcc_lo
	v_lshlrev_b32_e32 v11, 16, v88
	v_dual_mul_f32 v11, v4, v11 :: v_dual_and_b32 v10, 0xffff0000, v10
	s_delay_alu instid0(VALU_DEP_1) | instskip(NEXT) | instid1(VALU_DEP_2)
	v_add_f32_e32 v0, v10, v0
	v_bfe_u32 v12, v11, 16, 1
	v_or_b32_e32 v15, 0x400000, v11
	v_cmp_u_f32_e32 vcc_lo, v11, v11
	s_delay_alu instid0(VALU_DEP_3) | instskip(SKIP_1) | instid1(VALU_DEP_1)
	v_add3_u32 v12, v12, v11, 0x7fff
	s_wait_alu 0xfffd
	v_cndmask_b32_e32 v11, v12, v15, vcc_lo
	v_lshlrev_b32_e32 v12, 16, v87
	s_delay_alu instid0(VALU_DEP_1) | instskip(NEXT) | instid1(VALU_DEP_1)
	v_dual_mul_f32 v12, v6, v12 :: v_dual_and_b32 v11, 0xffff0000, v11
	v_bfe_u32 v15, v12, 16, 1
	v_or_b32_e32 v16, 0x400000, v12
	v_cmp_u_f32_e32 vcc_lo, v12, v12
	s_delay_alu instid0(VALU_DEP_3) | instskip(SKIP_1) | instid1(VALU_DEP_1)
	v_add3_u32 v15, v15, v12, 0x7fff
	s_wait_alu 0xfffd
	v_dual_cndmask_b32 v12, v15, v16 :: v_dual_lshlrev_b32 v15, 16, v86
	s_delay_alu instid0(VALU_DEP_1) | instskip(NEXT) | instid1(VALU_DEP_1)
	v_dual_mul_f32 v15, v2, v15 :: v_dual_and_b32 v10, 0xffff0000, v12
	v_add_f32_e32 v10, v10, v11
	s_delay_alu instid0(VALU_DEP_2) | instskip(SKIP_2) | instid1(VALU_DEP_4)
	v_bfe_u32 v16, v15, 16, 1
	v_or_b32_e32 v17, 0x400000, v15
	v_cmp_u_f32_e32 vcc_lo, v15, v15
	v_add_f32_e32 v0, v10, v0
	s_delay_alu instid0(VALU_DEP_4) | instskip(SKIP_1) | instid1(VALU_DEP_1)
	v_add3_u32 v16, v16, v15, 0x7fff
	s_wait_alu 0xfffd
	v_cndmask_b32_e32 v15, v16, v17, vcc_lo
	v_lshlrev_b32_e32 v16, 16, v85
	s_delay_alu instid0(VALU_DEP_1) | instskip(NEXT) | instid1(VALU_DEP_1)
	v_dual_mul_f32 v16, v5, v16 :: v_dual_and_b32 v11, 0xffff0000, v15
	v_bfe_u32 v17, v16, 16, 1
	v_or_b32_e32 v18, 0x400000, v16
	v_cmp_u_f32_e32 vcc_lo, v16, v16
	s_delay_alu instid0(VALU_DEP_3) | instskip(SKIP_1) | instid1(VALU_DEP_1)
	v_add3_u32 v17, v17, v16, 0x7fff
	s_wait_alu 0xfffd
	v_dual_cndmask_b32 v16, v17, v18 :: v_dual_lshlrev_b32 v17, 16, v84
	s_delay_alu instid0(VALU_DEP_1) | instskip(NEXT) | instid1(VALU_DEP_1)
	v_dual_mul_f32 v17, v1, v17 :: v_dual_and_b32 v10, 0xffff0000, v16
	v_add_f32_e32 v10, v10, v11
	s_delay_alu instid0(VALU_DEP_2) | instskip(SKIP_2) | instid1(VALU_DEP_4)
	v_bfe_u32 v18, v17, 16, 1
	v_or_b32_e32 v19, 0x400000, v17
	v_cmp_u_f32_e32 vcc_lo, v17, v17
	v_add_f32_e32 v0, v10, v0
	s_delay_alu instid0(VALU_DEP_4) | instskip(SKIP_1) | instid1(VALU_DEP_1)
	v_add3_u32 v18, v18, v17, 0x7fff
	s_wait_alu 0xfffd
	v_dual_cndmask_b32 v17, v18, v19 :: v_dual_lshlrev_b32 v18, 16, v72
	s_delay_alu instid0(VALU_DEP_1) | instskip(NEXT) | instid1(VALU_DEP_1)
	v_dual_mul_f32 v18, v3, v18 :: v_dual_and_b32 v11, 0xffff0000, v17
	v_bfe_u32 v19, v18, 16, 1
	v_or_b32_e32 v20, 0x400000, v18
	v_cmp_u_f32_e32 vcc_lo, v18, v18
	s_delay_alu instid0(VALU_DEP_3) | instskip(SKIP_1) | instid1(VALU_DEP_1)
	v_add3_u32 v19, v19, v18, 0x7fff
	s_wait_alu 0xfffd
	v_cndmask_b32_e32 v18, v19, v20, vcc_lo
	s_delay_alu instid0(VALU_DEP_1) | instskip(NEXT) | instid1(VALU_DEP_1)
	v_and_b32_e32 v10, 0xffff0000, v18
	v_add_f32_e32 v10, v10, v11
	s_delay_alu instid0(VALU_DEP_1) | instskip(NEXT) | instid1(VALU_DEP_1)
	v_add_f32_e32 v0, v10, v0
	v_add_f32_e32 v30, v30, v0
	v_lshlrev_b32_e32 v0, 16, v82
	s_delay_alu instid0(VALU_DEP_1) | instskip(NEXT) | instid1(VALU_DEP_1)
	v_mul_f32_e32 v0, v7, v0
	v_bfe_u32 v10, v0, 16, 1
	v_or_b32_e32 v11, 0x400000, v0
	v_cmp_u_f32_e32 vcc_lo, v0, v0
	s_delay_alu instid0(VALU_DEP_3) | instskip(SKIP_1) | instid1(VALU_DEP_1)
	v_add3_u32 v10, v10, v0, 0x7fff
	s_wait_alu 0xfffd
	v_cndmask_b32_e32 v0, v10, v11, vcc_lo
	v_lshlrev_b32_e32 v10, 16, v81
	s_delay_alu instid0(VALU_DEP_2) | instskip(NEXT) | instid1(VALU_DEP_2)
	v_and_b32_e32 v0, 0xffff0000, v0
	v_mul_f32_e32 v10, v8, v10
	s_delay_alu instid0(VALU_DEP_1) | instskip(SKIP_2) | instid1(VALU_DEP_3)
	v_bfe_u32 v11, v10, 16, 1
	v_or_b32_e32 v12, 0x400000, v10
	v_cmp_u_f32_e32 vcc_lo, v10, v10
	v_add3_u32 v11, v11, v10, 0x7fff
	s_wait_alu 0xfffd
	s_delay_alu instid0(VALU_DEP_1) | instskip(SKIP_1) | instid1(VALU_DEP_1)
	v_cndmask_b32_e32 v10, v11, v12, vcc_lo
	v_lshlrev_b32_e32 v11, 16, v80
	v_dual_mul_f32 v11, v4, v11 :: v_dual_and_b32 v10, 0xffff0000, v10
	s_delay_alu instid0(VALU_DEP_1) | instskip(NEXT) | instid1(VALU_DEP_2)
	v_add_f32_e32 v0, v10, v0
	v_bfe_u32 v12, v11, 16, 1
	v_or_b32_e32 v15, 0x400000, v11
	v_cmp_u_f32_e32 vcc_lo, v11, v11
	s_delay_alu instid0(VALU_DEP_3) | instskip(SKIP_1) | instid1(VALU_DEP_1)
	v_add3_u32 v12, v12, v11, 0x7fff
	s_wait_alu 0xfffd
	v_cndmask_b32_e32 v11, v12, v15, vcc_lo
	v_lshlrev_b32_e32 v12, 16, v79
	s_delay_alu instid0(VALU_DEP_1) | instskip(NEXT) | instid1(VALU_DEP_1)
	v_dual_mul_f32 v12, v6, v12 :: v_dual_and_b32 v11, 0xffff0000, v11
	v_bfe_u32 v15, v12, 16, 1
	v_or_b32_e32 v16, 0x400000, v12
	v_cmp_u_f32_e32 vcc_lo, v12, v12
	s_delay_alu instid0(VALU_DEP_3) | instskip(SKIP_1) | instid1(VALU_DEP_1)
	v_add3_u32 v15, v15, v12, 0x7fff
	s_wait_alu 0xfffd
	v_dual_cndmask_b32 v12, v15, v16 :: v_dual_lshlrev_b32 v15, 16, v78
	s_delay_alu instid0(VALU_DEP_1) | instskip(NEXT) | instid1(VALU_DEP_1)
	v_dual_mul_f32 v15, v2, v15 :: v_dual_and_b32 v10, 0xffff0000, v12
	v_add_f32_e32 v10, v10, v11
	s_delay_alu instid0(VALU_DEP_2) | instskip(SKIP_2) | instid1(VALU_DEP_4)
	v_bfe_u32 v16, v15, 16, 1
	v_or_b32_e32 v17, 0x400000, v15
	v_cmp_u_f32_e32 vcc_lo, v15, v15
	v_add_f32_e32 v0, v10, v0
	s_delay_alu instid0(VALU_DEP_4) | instskip(SKIP_1) | instid1(VALU_DEP_1)
	v_add3_u32 v16, v16, v15, 0x7fff
	s_wait_alu 0xfffd
	v_cndmask_b32_e32 v15, v16, v17, vcc_lo
	v_lshlrev_b32_e32 v16, 16, v77
	s_delay_alu instid0(VALU_DEP_1) | instskip(NEXT) | instid1(VALU_DEP_1)
	v_dual_mul_f32 v16, v5, v16 :: v_dual_and_b32 v11, 0xffff0000, v15
	v_bfe_u32 v17, v16, 16, 1
	v_or_b32_e32 v18, 0x400000, v16
	v_cmp_u_f32_e32 vcc_lo, v16, v16
	s_delay_alu instid0(VALU_DEP_3) | instskip(SKIP_1) | instid1(VALU_DEP_1)
	v_add3_u32 v17, v17, v16, 0x7fff
	s_wait_alu 0xfffd
	v_dual_cndmask_b32 v16, v17, v18 :: v_dual_lshlrev_b32 v17, 16, v76
	s_delay_alu instid0(VALU_DEP_1) | instskip(NEXT) | instid1(VALU_DEP_1)
	v_dual_mul_f32 v17, v1, v17 :: v_dual_and_b32 v10, 0xffff0000, v16
	v_add_f32_e32 v10, v10, v11
	s_delay_alu instid0(VALU_DEP_2) | instskip(SKIP_2) | instid1(VALU_DEP_4)
	v_bfe_u32 v18, v17, 16, 1
	v_or_b32_e32 v19, 0x400000, v17
	v_cmp_u_f32_e32 vcc_lo, v17, v17
	v_add_f32_e32 v0, v10, v0
	s_delay_alu instid0(VALU_DEP_4) | instskip(SKIP_1) | instid1(VALU_DEP_1)
	v_add3_u32 v18, v18, v17, 0x7fff
	s_wait_alu 0xfffd
	v_cndmask_b32_e32 v17, v18, v19, vcc_lo
	v_lshlrev_b32_e32 v18, 16, v75
	s_delay_alu instid0(VALU_DEP_1) | instskip(NEXT) | instid1(VALU_DEP_1)
	v_dual_mul_f32 v18, v3, v18 :: v_dual_and_b32 v11, 0xffff0000, v17
	v_bfe_u32 v19, v18, 16, 1
	v_or_b32_e32 v20, 0x400000, v18
	v_cmp_u_f32_e32 vcc_lo, v18, v18
	s_delay_alu instid0(VALU_DEP_3) | instskip(SKIP_1) | instid1(VALU_DEP_1)
	v_add3_u32 v19, v19, v18, 0x7fff
	s_wait_alu 0xfffd
	v_cndmask_b32_e32 v18, v19, v20, vcc_lo
	scratch_load_b32 v20, off, off offset:152 th:TH_LOAD_LU ; 4-byte Folded Reload
	v_and_b32_e32 v10, 0xffff0000, v18
	s_delay_alu instid0(VALU_DEP_1) | instskip(NEXT) | instid1(VALU_DEP_1)
	v_add_f32_e32 v10, v10, v11
	v_add_f32_e32 v0, v10, v0
	s_wait_loadcnt 0x0
	s_delay_alu instid0(VALU_DEP_1) | instskip(SKIP_1) | instid1(VALU_DEP_1)
	v_add_f32_e32 v20, v20, v0
	v_lshlrev_b32_e32 v0, 16, v74
	v_mul_f32_e32 v0, v7, v0
	s_delay_alu instid0(VALU_DEP_1) | instskip(SKIP_2) | instid1(VALU_DEP_3)
	v_bfe_u32 v10, v0, 16, 1
	v_or_b32_e32 v11, 0x400000, v0
	v_cmp_u_f32_e32 vcc_lo, v0, v0
	v_add3_u32 v10, v10, v0, 0x7fff
	s_wait_alu 0xfffd
	s_delay_alu instid0(VALU_DEP_1) | instskip(SKIP_1) | instid1(VALU_DEP_2)
	v_cndmask_b32_e32 v0, v10, v11, vcc_lo
	v_lshlrev_b32_e32 v10, 16, v73
	v_and_b32_e32 v0, 0xffff0000, v0
	s_delay_alu instid0(VALU_DEP_2) | instskip(NEXT) | instid1(VALU_DEP_1)
	v_mul_f32_e32 v10, v8, v10
	v_bfe_u32 v11, v10, 16, 1
	v_or_b32_e32 v12, 0x400000, v10
	v_cmp_u_f32_e32 vcc_lo, v10, v10
	s_delay_alu instid0(VALU_DEP_3) | instskip(SKIP_1) | instid1(VALU_DEP_1)
	v_add3_u32 v11, v11, v10, 0x7fff
	s_wait_alu 0xfffd
	v_cndmask_b32_e32 v10, v11, v12, vcc_lo
	v_bfe_u32 v11, v9, 16, 1
	v_or_b32_e32 v12, 0x400000, v9
	v_cmp_u_f32_e32 vcc_lo, v9, v9
	s_delay_alu instid0(VALU_DEP_4) | instskip(NEXT) | instid1(VALU_DEP_4)
	v_and_b32_e32 v10, 0xffff0000, v10
	v_add3_u32 v11, v11, v9, 0x7fff
	s_delay_alu instid0(VALU_DEP_2) | instskip(SKIP_1) | instid1(VALU_DEP_2)
	v_add_f32_e32 v0, v10, v0
	s_wait_alu 0xfffd
	v_cndmask_b32_e32 v9, v11, v12, vcc_lo
	v_lshlrev_b32_e32 v11, 16, v71
	s_delay_alu instid0(VALU_DEP_2) | instskip(NEXT) | instid1(VALU_DEP_2)
	v_and_b32_e32 v9, 0xffff0000, v9
	v_mul_f32_e32 v11, v6, v11
	s_delay_alu instid0(VALU_DEP_1) | instskip(SKIP_2) | instid1(VALU_DEP_3)
	v_bfe_u32 v12, v11, 16, 1
	v_or_b32_e32 v15, 0x400000, v11
	v_cmp_u_f32_e32 vcc_lo, v11, v11
	v_add3_u32 v12, v12, v11, 0x7fff
	s_wait_alu 0xfffd
	s_delay_alu instid0(VALU_DEP_1) | instskip(NEXT) | instid1(VALU_DEP_1)
	v_dual_cndmask_b32 v11, v12, v15 :: v_dual_lshlrev_b32 v12, 16, v70
	v_and_b32_e32 v10, 0xffff0000, v11
	s_delay_alu instid0(VALU_DEP_2) | instskip(NEXT) | instid1(VALU_DEP_2)
	v_mul_f32_e32 v12, v2, v12
	v_add_f32_e32 v9, v10, v9
	s_delay_alu instid0(VALU_DEP_2) | instskip(SKIP_2) | instid1(VALU_DEP_4)
	v_bfe_u32 v15, v12, 16, 1
	v_or_b32_e32 v16, 0x400000, v12
	v_cmp_u_f32_e32 vcc_lo, v12, v12
	v_add_f32_e32 v0, v9, v0
	s_delay_alu instid0(VALU_DEP_4) | instskip(SKIP_1) | instid1(VALU_DEP_1)
	v_add3_u32 v15, v15, v12, 0x7fff
	s_wait_alu 0xfffd
	v_dual_cndmask_b32 v12, v15, v16 :: v_dual_lshlrev_b32 v15, 16, v69
	s_delay_alu instid0(VALU_DEP_1) | instskip(NEXT) | instid1(VALU_DEP_1)
	v_dual_mul_f32 v15, v5, v15 :: v_dual_and_b32 v10, 0xffff0000, v12
	v_bfe_u32 v16, v15, 16, 1
	v_or_b32_e32 v17, 0x400000, v15
	v_cmp_u_f32_e32 vcc_lo, v15, v15
	s_delay_alu instid0(VALU_DEP_3) | instskip(SKIP_1) | instid1(VALU_DEP_1)
	v_add3_u32 v16, v16, v15, 0x7fff
	s_wait_alu 0xfffd
	v_dual_cndmask_b32 v15, v16, v17 :: v_dual_lshlrev_b32 v16, 16, v68
	s_delay_alu instid0(VALU_DEP_1) | instskip(NEXT) | instid1(VALU_DEP_1)
	v_dual_mul_f32 v16, v1, v16 :: v_dual_and_b32 v9, 0xffff0000, v15
	v_add_f32_e32 v9, v9, v10
	s_delay_alu instid0(VALU_DEP_2) | instskip(SKIP_2) | instid1(VALU_DEP_4)
	v_bfe_u32 v17, v16, 16, 1
	v_or_b32_e32 v18, 0x400000, v16
	v_cmp_u_f32_e32 vcc_lo, v16, v16
	v_add_f32_e32 v0, v9, v0
	s_delay_alu instid0(VALU_DEP_4) | instskip(SKIP_1) | instid1(VALU_DEP_1)
	v_add3_u32 v17, v17, v16, 0x7fff
	s_wait_alu 0xfffd
	v_dual_cndmask_b32 v16, v17, v18 :: v_dual_lshlrev_b32 v17, 16, v67
	s_delay_alu instid0(VALU_DEP_1) | instskip(NEXT) | instid1(VALU_DEP_1)
	v_dual_mul_f32 v17, v3, v17 :: v_dual_and_b32 v10, 0xffff0000, v16
	v_bfe_u32 v18, v17, 16, 1
	v_or_b32_e32 v19, 0x400000, v17
	v_cmp_u_f32_e32 vcc_lo, v17, v17
	s_delay_alu instid0(VALU_DEP_3) | instskip(SKIP_1) | instid1(VALU_DEP_1)
	v_add3_u32 v18, v18, v17, 0x7fff
	s_wait_alu 0xfffd
	v_cndmask_b32_e32 v17, v18, v19, vcc_lo
	s_delay_alu instid0(VALU_DEP_1) | instskip(NEXT) | instid1(VALU_DEP_1)
	v_and_b32_e32 v9, 0xffff0000, v17
	v_add_f32_e32 v9, v9, v10
	s_delay_alu instid0(VALU_DEP_1) | instskip(NEXT) | instid1(VALU_DEP_1)
	v_add_f32_e32 v0, v9, v0
	v_dual_add_f32 v21, v21, v0 :: v_dual_lshlrev_b32 v0, 16, v66
	s_delay_alu instid0(VALU_DEP_1) | instskip(NEXT) | instid1(VALU_DEP_1)
	v_mul_f32_e32 v0, v7, v0
	v_bfe_u32 v9, v0, 16, 1
	v_or_b32_e32 v10, 0x400000, v0
	v_cmp_u_f32_e32 vcc_lo, v0, v0
	s_delay_alu instid0(VALU_DEP_3) | instskip(SKIP_1) | instid1(VALU_DEP_1)
	v_add3_u32 v9, v9, v0, 0x7fff
	s_wait_alu 0xfffd
	v_dual_cndmask_b32 v0, v9, v10 :: v_dual_lshlrev_b32 v9, 16, v65
	s_delay_alu instid0(VALU_DEP_1) | instskip(NEXT) | instid1(VALU_DEP_1)
	v_dual_mul_f32 v9, v8, v9 :: v_dual_and_b32 v0, 0xffff0000, v0
	v_bfe_u32 v10, v9, 16, 1
	v_or_b32_e32 v11, 0x400000, v9
	v_cmp_u_f32_e32 vcc_lo, v9, v9
	s_delay_alu instid0(VALU_DEP_3) | instskip(SKIP_1) | instid1(VALU_DEP_1)
	v_add3_u32 v10, v10, v9, 0x7fff
	s_wait_alu 0xfffd
	v_cndmask_b32_e32 v9, v10, v11, vcc_lo
	v_lshlrev_b32_e32 v10, 16, v83
	s_delay_alu instid0(VALU_DEP_1) | instskip(NEXT) | instid1(VALU_DEP_1)
	v_dual_mul_f32 v10, v4, v10 :: v_dual_and_b32 v9, 0xffff0000, v9
	v_add_f32_e32 v0, v9, v0
	s_delay_alu instid0(VALU_DEP_2) | instskip(SKIP_2) | instid1(VALU_DEP_3)
	v_bfe_u32 v11, v10, 16, 1
	v_or_b32_e32 v12, 0x400000, v10
	v_cmp_u_f32_e32 vcc_lo, v10, v10
	v_add3_u32 v11, v11, v10, 0x7fff
	s_wait_alu 0xfffd
	s_delay_alu instid0(VALU_DEP_1) | instskip(SKIP_1) | instid1(VALU_DEP_1)
	v_cndmask_b32_e32 v10, v11, v12, vcc_lo
	v_lshlrev_b32_e32 v11, 16, v164
	v_dual_mul_f32 v11, v6, v11 :: v_dual_and_b32 v10, 0xffff0000, v10
	s_delay_alu instid0(VALU_DEP_1) | instskip(SKIP_2) | instid1(VALU_DEP_3)
	v_bfe_u32 v12, v11, 16, 1
	v_or_b32_e32 v15, 0x400000, v11
	v_cmp_u_f32_e32 vcc_lo, v11, v11
	v_add3_u32 v12, v12, v11, 0x7fff
	s_wait_alu 0xfffd
	s_delay_alu instid0(VALU_DEP_1) | instskip(SKIP_2) | instid1(VALU_DEP_1)
	v_cndmask_b32_e32 v11, v12, v15, vcc_lo
	scratch_load_b32 v12, off, off offset:76 th:TH_LOAD_LU ; 4-byte Folded Reload
	v_and_b32_e32 v9, 0xffff0000, v11
	v_add_f32_e32 v9, v9, v10
	s_delay_alu instid0(VALU_DEP_1) | instskip(SKIP_2) | instid1(VALU_DEP_1)
	v_add_f32_e32 v0, v9, v0
	s_wait_loadcnt 0x0
	v_lshlrev_b32_e32 v12, 16, v12
	v_mul_f32_e32 v12, v2, v12
	s_delay_alu instid0(VALU_DEP_1) | instskip(SKIP_2) | instid1(VALU_DEP_3)
	v_bfe_u32 v15, v12, 16, 1
	v_or_b32_e32 v16, 0x400000, v12
	v_cmp_u_f32_e32 vcc_lo, v12, v12
	v_add3_u32 v15, v15, v12, 0x7fff
	s_wait_alu 0xfffd
	s_delay_alu instid0(VALU_DEP_1) | instskip(SKIP_4) | instid1(VALU_DEP_1)
	v_cndmask_b32_e32 v12, v15, v16, vcc_lo
	scratch_load_b32 v15, off, off offset:72 th:TH_LOAD_LU ; 4-byte Folded Reload
	v_and_b32_e32 v10, 0xffff0000, v12
	s_wait_loadcnt 0x0
	v_lshlrev_b32_e32 v15, 16, v15
	v_mul_f32_e32 v15, v5, v15
	s_delay_alu instid0(VALU_DEP_1) | instskip(SKIP_2) | instid1(VALU_DEP_3)
	v_bfe_u32 v16, v15, 16, 1
	v_or_b32_e32 v17, 0x400000, v15
	v_cmp_u_f32_e32 vcc_lo, v15, v15
	v_add3_u32 v16, v16, v15, 0x7fff
	s_wait_alu 0xfffd
	s_delay_alu instid0(VALU_DEP_1) | instskip(SKIP_2) | instid1(VALU_DEP_1)
	v_cndmask_b32_e32 v15, v16, v17, vcc_lo
	scratch_load_b32 v16, off, off offset:68 th:TH_LOAD_LU ; 4-byte Folded Reload
	v_and_b32_e32 v9, 0xffff0000, v15
	v_add_f32_e32 v9, v9, v10
	s_delay_alu instid0(VALU_DEP_1) | instskip(SKIP_2) | instid1(VALU_DEP_1)
	v_add_f32_e32 v0, v9, v0
	s_wait_loadcnt 0x0
	v_lshlrev_b32_e32 v16, 16, v16
	v_mul_f32_e32 v16, v1, v16
	s_delay_alu instid0(VALU_DEP_1) | instskip(SKIP_2) | instid1(VALU_DEP_3)
	v_bfe_u32 v17, v16, 16, 1
	v_or_b32_e32 v18, 0x400000, v16
	v_cmp_u_f32_e32 vcc_lo, v16, v16
	v_add3_u32 v17, v17, v16, 0x7fff
	s_wait_alu 0xfffd
	s_delay_alu instid0(VALU_DEP_1) | instskip(SKIP_4) | instid1(VALU_DEP_1)
	v_cndmask_b32_e32 v16, v17, v18, vcc_lo
	scratch_load_b32 v17, off, off offset:64 th:TH_LOAD_LU ; 4-byte Folded Reload
	v_and_b32_e32 v10, 0xffff0000, v16
	s_wait_loadcnt 0x0
	v_lshlrev_b32_e32 v17, 16, v17
	v_mul_f32_e32 v17, v3, v17
	s_delay_alu instid0(VALU_DEP_1) | instskip(SKIP_2) | instid1(VALU_DEP_3)
	v_bfe_u32 v18, v17, 16, 1
	v_or_b32_e32 v19, 0x400000, v17
	v_cmp_u_f32_e32 vcc_lo, v17, v17
	v_add3_u32 v18, v18, v17, 0x7fff
	s_wait_alu 0xfffd
	s_delay_alu instid0(VALU_DEP_1) | instskip(NEXT) | instid1(VALU_DEP_1)
	v_cndmask_b32_e32 v17, v18, v19, vcc_lo
	v_and_b32_e32 v9, 0xffff0000, v17
	s_delay_alu instid0(VALU_DEP_1) | instskip(NEXT) | instid1(VALU_DEP_1)
	v_add_f32_e32 v9, v9, v10
	v_add_f32_e32 v0, v9, v0
	s_delay_alu instid0(VALU_DEP_1) | instskip(SKIP_3) | instid1(VALU_DEP_1)
	v_add_f32_e32 v23, v23, v0
	scratch_load_b32 v0, off, off offset:60 th:TH_LOAD_LU ; 4-byte Folded Reload
	s_wait_loadcnt 0x0
	v_lshlrev_b32_e32 v0, 16, v0
	v_mul_f32_e32 v0, v7, v0
	s_delay_alu instid0(VALU_DEP_1) | instskip(SKIP_2) | instid1(VALU_DEP_3)
	v_bfe_u32 v9, v0, 16, 1
	v_or_b32_e32 v10, 0x400000, v0
	v_cmp_u_f32_e32 vcc_lo, v0, v0
	v_add3_u32 v9, v9, v0, 0x7fff
	s_wait_alu 0xfffd
	s_delay_alu instid0(VALU_DEP_1) | instskip(SKIP_4) | instid1(VALU_DEP_1)
	v_cndmask_b32_e32 v0, v9, v10, vcc_lo
	scratch_load_b32 v9, off, off offset:56 th:TH_LOAD_LU ; 4-byte Folded Reload
	v_and_b32_e32 v0, 0xffff0000, v0
	s_wait_loadcnt 0x0
	v_lshlrev_b32_e32 v9, 16, v9
	v_mul_f32_e32 v9, v8, v9
	s_delay_alu instid0(VALU_DEP_1) | instskip(SKIP_2) | instid1(VALU_DEP_3)
	v_bfe_u32 v10, v9, 16, 1
	v_or_b32_e32 v11, 0x400000, v9
	v_cmp_u_f32_e32 vcc_lo, v9, v9
	v_add3_u32 v10, v10, v9, 0x7fff
	s_wait_alu 0xfffd
	s_delay_alu instid0(VALU_DEP_1) | instskip(SKIP_2) | instid1(VALU_DEP_1)
	v_cndmask_b32_e32 v9, v10, v11, vcc_lo
	scratch_load_b32 v10, off, off offset:52 th:TH_LOAD_LU ; 4-byte Folded Reload
	v_and_b32_e32 v9, 0xffff0000, v9
	v_add_f32_e32 v0, v9, v0
	s_wait_loadcnt 0x0
	v_lshlrev_b32_e32 v10, 16, v10
	s_delay_alu instid0(VALU_DEP_1) | instskip(NEXT) | instid1(VALU_DEP_1)
	v_mul_f32_e32 v10, v4, v10
	v_bfe_u32 v11, v10, 16, 1
	v_or_b32_e32 v12, 0x400000, v10
	v_cmp_u_f32_e32 vcc_lo, v10, v10
	s_delay_alu instid0(VALU_DEP_3) | instskip(SKIP_1) | instid1(VALU_DEP_1)
	v_add3_u32 v11, v11, v10, 0x7fff
	s_wait_alu 0xfffd
	v_cndmask_b32_e32 v10, v11, v12, vcc_lo
	scratch_load_b32 v11, off, off offset:48 th:TH_LOAD_LU ; 4-byte Folded Reload
	v_and_b32_e32 v10, 0xffff0000, v10
	s_wait_loadcnt 0x0
	v_lshlrev_b32_e32 v11, 16, v11
	s_delay_alu instid0(VALU_DEP_1) | instskip(NEXT) | instid1(VALU_DEP_1)
	v_mul_f32_e32 v11, v6, v11
	v_bfe_u32 v12, v11, 16, 1
	v_or_b32_e32 v15, 0x400000, v11
	v_cmp_u_f32_e32 vcc_lo, v11, v11
	s_delay_alu instid0(VALU_DEP_3) | instskip(SKIP_1) | instid1(VALU_DEP_1)
	v_add3_u32 v12, v12, v11, 0x7fff
	s_wait_alu 0xfffd
	v_cndmask_b32_e32 v11, v12, v15, vcc_lo
	scratch_load_b32 v12, off, off offset:44 th:TH_LOAD_LU ; 4-byte Folded Reload
	v_and_b32_e32 v9, 0xffff0000, v11
	s_delay_alu instid0(VALU_DEP_1) | instskip(NEXT) | instid1(VALU_DEP_1)
	v_add_f32_e32 v9, v9, v10
	v_add_f32_e32 v0, v9, v0
	s_wait_loadcnt 0x0
	v_lshlrev_b32_e32 v12, 16, v12
	s_delay_alu instid0(VALU_DEP_1) | instskip(NEXT) | instid1(VALU_DEP_1)
	v_mul_f32_e32 v12, v2, v12
	v_bfe_u32 v15, v12, 16, 1
	v_or_b32_e32 v16, 0x400000, v12
	v_cmp_u_f32_e32 vcc_lo, v12, v12
	s_delay_alu instid0(VALU_DEP_3) | instskip(SKIP_1) | instid1(VALU_DEP_1)
	v_add3_u32 v15, v15, v12, 0x7fff
	s_wait_alu 0xfffd
	v_cndmask_b32_e32 v12, v15, v16, vcc_lo
	scratch_load_b32 v15, off, off offset:40 th:TH_LOAD_LU ; 4-byte Folded Reload
	v_and_b32_e32 v10, 0xffff0000, v12
	s_wait_loadcnt 0x0
	v_lshlrev_b32_e32 v15, 16, v15
	s_delay_alu instid0(VALU_DEP_1) | instskip(NEXT) | instid1(VALU_DEP_1)
	v_mul_f32_e32 v15, v5, v15
	v_bfe_u32 v16, v15, 16, 1
	v_or_b32_e32 v17, 0x400000, v15
	v_cmp_u_f32_e32 vcc_lo, v15, v15
	s_delay_alu instid0(VALU_DEP_3) | instskip(SKIP_1) | instid1(VALU_DEP_1)
	v_add3_u32 v16, v16, v15, 0x7fff
	s_wait_alu 0xfffd
	v_cndmask_b32_e32 v15, v16, v17, vcc_lo
	scratch_load_b32 v16, off, off offset:36 th:TH_LOAD_LU ; 4-byte Folded Reload
	v_and_b32_e32 v9, 0xffff0000, v15
	s_delay_alu instid0(VALU_DEP_1) | instskip(NEXT) | instid1(VALU_DEP_1)
	v_add_f32_e32 v9, v9, v10
	v_add_f32_e32 v0, v9, v0
	s_wait_loadcnt 0x0
	v_lshlrev_b32_e32 v16, 16, v16
	s_delay_alu instid0(VALU_DEP_1) | instskip(NEXT) | instid1(VALU_DEP_1)
	v_mul_f32_e32 v16, v1, v16
	v_bfe_u32 v17, v16, 16, 1
	v_or_b32_e32 v18, 0x400000, v16
	v_cmp_u_f32_e32 vcc_lo, v16, v16
	s_delay_alu instid0(VALU_DEP_3) | instskip(SKIP_1) | instid1(VALU_DEP_1)
	v_add3_u32 v17, v17, v16, 0x7fff
	s_wait_alu 0xfffd
	v_cndmask_b32_e32 v16, v17, v18, vcc_lo
	scratch_load_b32 v17, off, off offset:32 th:TH_LOAD_LU ; 4-byte Folded Reload
	v_and_b32_e32 v10, 0xffff0000, v16
	s_wait_loadcnt 0x0
	v_lshlrev_b32_e32 v17, 16, v17
	s_delay_alu instid0(VALU_DEP_1) | instskip(NEXT) | instid1(VALU_DEP_1)
	v_mul_f32_e32 v17, v3, v17
	v_bfe_u32 v18, v17, 16, 1
	v_or_b32_e32 v19, 0x400000, v17
	v_cmp_u_f32_e32 vcc_lo, v17, v17
	s_delay_alu instid0(VALU_DEP_3) | instskip(SKIP_1) | instid1(VALU_DEP_1)
	v_add3_u32 v18, v18, v17, 0x7fff
	s_wait_alu 0xfffd
	v_cndmask_b32_e32 v17, v18, v19, vcc_lo
	s_delay_alu instid0(VALU_DEP_1) | instskip(NEXT) | instid1(VALU_DEP_1)
	v_and_b32_e32 v9, 0xffff0000, v17
	v_add_f32_e32 v9, v9, v10
	s_delay_alu instid0(VALU_DEP_1) | instskip(NEXT) | instid1(VALU_DEP_1)
	v_add_f32_e32 v0, v9, v0
	v_add_f32_e32 v24, v24, v0
	scratch_load_b32 v0, off, off offset:28 th:TH_LOAD_LU ; 4-byte Folded Reload
	s_wait_loadcnt 0x0
	v_lshlrev_b32_e32 v0, 16, v0
	s_delay_alu instid0(VALU_DEP_1) | instskip(NEXT) | instid1(VALU_DEP_1)
	v_mul_f32_e32 v0, v7, v0
	v_bfe_u32 v9, v0, 16, 1
	v_or_b32_e32 v10, 0x400000, v0
	v_cmp_u_f32_e32 vcc_lo, v0, v0
	s_delay_alu instid0(VALU_DEP_3) | instskip(SKIP_1) | instid1(VALU_DEP_1)
	v_add3_u32 v9, v9, v0, 0x7fff
	s_wait_alu 0xfffd
	v_cndmask_b32_e32 v0, v9, v10, vcc_lo
	scratch_load_b32 v9, off, off offset:24 th:TH_LOAD_LU ; 4-byte Folded Reload
	v_and_b32_e32 v0, 0xffff0000, v0
	s_wait_loadcnt 0x0
	v_lshlrev_b32_e32 v9, 16, v9
	s_delay_alu instid0(VALU_DEP_1) | instskip(NEXT) | instid1(VALU_DEP_1)
	v_mul_f32_e32 v9, v8, v9
	v_bfe_u32 v10, v9, 16, 1
	v_or_b32_e32 v11, 0x400000, v9
	v_cmp_u_f32_e32 vcc_lo, v9, v9
	s_delay_alu instid0(VALU_DEP_3) | instskip(SKIP_1) | instid1(VALU_DEP_1)
	v_add3_u32 v10, v10, v9, 0x7fff
	s_wait_alu 0xfffd
	v_cndmask_b32_e32 v9, v10, v11, vcc_lo
	scratch_load_b32 v10, off, off offset:20 th:TH_LOAD_LU ; 4-byte Folded Reload
	v_and_b32_e32 v9, 0xffff0000, v9
	s_delay_alu instid0(VALU_DEP_1) | instskip(SKIP_2) | instid1(VALU_DEP_1)
	v_add_f32_e32 v0, v9, v0
	s_wait_loadcnt 0x0
	v_lshlrev_b32_e32 v10, 16, v10
	v_mul_f32_e32 v10, v4, v10
	s_delay_alu instid0(VALU_DEP_1) | instskip(SKIP_2) | instid1(VALU_DEP_3)
	v_bfe_u32 v11, v10, 16, 1
	v_or_b32_e32 v12, 0x400000, v10
	v_cmp_u_f32_e32 vcc_lo, v10, v10
	v_add3_u32 v11, v11, v10, 0x7fff
	s_wait_alu 0xfffd
	s_delay_alu instid0(VALU_DEP_1) | instskip(SKIP_4) | instid1(VALU_DEP_1)
	v_cndmask_b32_e32 v10, v11, v12, vcc_lo
	scratch_load_b32 v11, off, off offset:16 th:TH_LOAD_LU ; 4-byte Folded Reload
	v_and_b32_e32 v10, 0xffff0000, v10
	s_wait_loadcnt 0x0
	v_lshlrev_b32_e32 v11, 16, v11
	v_mul_f32_e32 v11, v6, v11
	s_delay_alu instid0(VALU_DEP_1) | instskip(SKIP_2) | instid1(VALU_DEP_3)
	v_bfe_u32 v12, v11, 16, 1
	v_or_b32_e32 v15, 0x400000, v11
	v_cmp_u_f32_e32 vcc_lo, v11, v11
	v_add3_u32 v12, v12, v11, 0x7fff
	s_wait_alu 0xfffd
	s_delay_alu instid0(VALU_DEP_1) | instskip(SKIP_2) | instid1(VALU_DEP_1)
	v_cndmask_b32_e32 v11, v12, v15, vcc_lo
	scratch_load_b32 v12, off, off offset:12 th:TH_LOAD_LU ; 4-byte Folded Reload
	v_and_b32_e32 v9, 0xffff0000, v11
	v_add_f32_e32 v9, v9, v10
	s_delay_alu instid0(VALU_DEP_1) | instskip(SKIP_2) | instid1(VALU_DEP_1)
	v_add_f32_e32 v0, v9, v0
	s_wait_loadcnt 0x0
	v_lshlrev_b32_e32 v12, 16, v12
	v_mul_f32_e32 v12, v2, v12
	s_delay_alu instid0(VALU_DEP_1) | instskip(SKIP_2) | instid1(VALU_DEP_3)
	v_bfe_u32 v15, v12, 16, 1
	v_or_b32_e32 v16, 0x400000, v12
	v_cmp_u_f32_e32 vcc_lo, v12, v12
	v_add3_u32 v15, v15, v12, 0x7fff
	s_wait_alu 0xfffd
	s_delay_alu instid0(VALU_DEP_1) | instskip(SKIP_4) | instid1(VALU_DEP_1)
	v_cndmask_b32_e32 v12, v15, v16, vcc_lo
	scratch_load_b32 v15, off, off offset:8 th:TH_LOAD_LU ; 4-byte Folded Reload
	v_and_b32_e32 v10, 0xffff0000, v12
	s_wait_loadcnt 0x0
	v_lshlrev_b32_e32 v15, 16, v15
	v_mul_f32_e32 v15, v5, v15
	s_delay_alu instid0(VALU_DEP_1) | instskip(SKIP_2) | instid1(VALU_DEP_3)
	v_bfe_u32 v16, v15, 16, 1
	v_or_b32_e32 v17, 0x400000, v15
	v_cmp_u_f32_e32 vcc_lo, v15, v15
	v_add3_u32 v16, v16, v15, 0x7fff
	s_wait_alu 0xfffd
	s_delay_alu instid0(VALU_DEP_1) | instskip(SKIP_2) | instid1(VALU_DEP_1)
	v_cndmask_b32_e32 v15, v16, v17, vcc_lo
	scratch_load_b32 v16, off, off offset:4 th:TH_LOAD_LU ; 4-byte Folded Reload
	v_and_b32_e32 v9, 0xffff0000, v15
	v_add_f32_e32 v9, v9, v10
	s_delay_alu instid0(VALU_DEP_1) | instskip(SKIP_2) | instid1(VALU_DEP_1)
	v_add_f32_e32 v0, v9, v0
	s_wait_loadcnt 0x0
	v_lshlrev_b32_e32 v16, 16, v16
	v_mul_f32_e32 v16, v1, v16
	s_delay_alu instid0(VALU_DEP_1) | instskip(SKIP_2) | instid1(VALU_DEP_3)
	v_bfe_u32 v17, v16, 16, 1
	v_or_b32_e32 v18, 0x400000, v16
	v_cmp_u_f32_e32 vcc_lo, v16, v16
	v_add3_u32 v17, v17, v16, 0x7fff
	s_wait_alu 0xfffd
	s_delay_alu instid0(VALU_DEP_1)
	v_cndmask_b32_e32 v16, v17, v18, vcc_lo
	scratch_load_b32 v17, off, off th:TH_LOAD_LU ; 4-byte Folded Reload
	v_and_b32_e32 v10, 0xffff0000, v16
	scratch_load_b32 v16, off, off offset:168 th:TH_LOAD_LU ; 4-byte Folded Reload
	s_wait_loadcnt 0x1
	v_lshlrev_b32_e32 v17, 16, v17
	s_delay_alu instid0(VALU_DEP_1) | instskip(NEXT) | instid1(VALU_DEP_1)
	v_mul_f32_e32 v17, v3, v17
	v_bfe_u32 v18, v17, 16, 1
	v_or_b32_e32 v19, 0x400000, v17
	v_cmp_u_f32_e32 vcc_lo, v17, v17
	s_delay_alu instid0(VALU_DEP_3) | instskip(SKIP_1) | instid1(VALU_DEP_1)
	v_add3_u32 v18, v18, v17, 0x7fff
	s_wait_alu 0xfffd
	v_cndmask_b32_e32 v17, v18, v19, vcc_lo
	s_delay_alu instid0(VALU_DEP_1) | instskip(NEXT) | instid1(VALU_DEP_1)
	v_and_b32_e32 v9, 0xffff0000, v17
	v_add_f32_e32 v9, v9, v10
	s_delay_alu instid0(VALU_DEP_1) | instskip(SKIP_1) | instid1(VALU_DEP_1)
	v_add_f32_e32 v0, v9, v0
	s_wait_loadcnt 0x0
	v_add_f32_e32 v16, v16, v0
	v_lshlrev_b32_e32 v0, 16, v175
	s_delay_alu instid0(VALU_DEP_1) | instskip(NEXT) | instid1(VALU_DEP_1)
	v_mul_f32_e32 v0, v8, v0
	v_bfe_u32 v8, v0, 16, 1
	v_or_b32_e32 v9, 0x400000, v0
	v_cmp_u_f32_e32 vcc_lo, v0, v0
	s_delay_alu instid0(VALU_DEP_3) | instskip(SKIP_1) | instid1(VALU_DEP_1)
	v_add3_u32 v8, v8, v0, 0x7fff
	s_wait_alu 0xfffd
	v_cndmask_b32_e32 v0, v8, v9, vcc_lo
	v_lshlrev_b32_e32 v8, 16, v174
	s_delay_alu instid0(VALU_DEP_2) | instskip(NEXT) | instid1(VALU_DEP_2)
	v_and_b32_e32 v0, 0xffff0000, v0
	v_mul_f32_e32 v7, v7, v8
	s_delay_alu instid0(VALU_DEP_1) | instskip(SKIP_2) | instid1(VALU_DEP_3)
	v_bfe_u32 v8, v7, 16, 1
	v_or_b32_e32 v9, 0x400000, v7
	v_cmp_u_f32_e32 vcc_lo, v7, v7
	v_add3_u32 v8, v8, v7, 0x7fff
	s_wait_alu 0xfffd
	s_delay_alu instid0(VALU_DEP_1) | instskip(SKIP_1) | instid1(VALU_DEP_1)
	v_cndmask_b32_e32 v7, v8, v9, vcc_lo
	v_lshlrev_b32_e32 v8, 16, v173
	v_dual_mul_f32 v6, v6, v8 :: v_dual_and_b32 v7, 0xffff0000, v7
	s_delay_alu instid0(VALU_DEP_1) | instskip(NEXT) | instid1(VALU_DEP_2)
	v_add_f32_e32 v0, v0, v7
	v_bfe_u32 v8, v6, 16, 1
	v_or_b32_e32 v9, 0x400000, v6
	v_cmp_u_f32_e32 vcc_lo, v6, v6
	s_delay_alu instid0(VALU_DEP_3) | instskip(SKIP_1) | instid1(VALU_DEP_1)
	v_add3_u32 v8, v8, v6, 0x7fff
	s_wait_alu 0xfffd
	v_cndmask_b32_e32 v6, v8, v9, vcc_lo
	v_lshlrev_b32_e32 v8, 16, v172
	s_delay_alu instid0(VALU_DEP_2) | instskip(NEXT) | instid1(VALU_DEP_2)
	v_and_b32_e32 v6, 0xffff0000, v6
	v_mul_f32_e32 v4, v4, v8
	s_delay_alu instid0(VALU_DEP_1) | instskip(SKIP_2) | instid1(VALU_DEP_3)
	v_bfe_u32 v8, v4, 16, 1
	v_or_b32_e32 v9, 0x400000, v4
	v_cmp_u_f32_e32 vcc_lo, v4, v4
	v_add3_u32 v8, v8, v4, 0x7fff
	s_wait_alu 0xfffd
	s_delay_alu instid0(VALU_DEP_1) | instskip(SKIP_1) | instid1(VALU_DEP_2)
	v_cndmask_b32_e32 v4, v8, v9, vcc_lo
	v_lshlrev_b32_e32 v8, 16, v171
	v_and_b32_e32 v4, 0xffff0000, v4
	s_delay_alu instid0(VALU_DEP_2) | instskip(NEXT) | instid1(VALU_DEP_2)
	v_mul_f32_e32 v5, v5, v8
	v_add_f32_e32 v4, v6, v4
	s_delay_alu instid0(VALU_DEP_2) | instskip(SKIP_2) | instid1(VALU_DEP_4)
	v_bfe_u32 v8, v5, 16, 1
	v_or_b32_e32 v9, 0x400000, v5
	v_cmp_u_f32_e32 vcc_lo, v5, v5
	v_add_f32_e32 v0, v4, v0
	s_delay_alu instid0(VALU_DEP_4) | instskip(SKIP_1) | instid1(VALU_DEP_1)
	v_add3_u32 v8, v8, v5, 0x7fff
	s_wait_alu 0xfffd
	v_dual_cndmask_b32 v5, v8, v9 :: v_dual_lshlrev_b32 v8, 16, v14
	s_delay_alu instid0(VALU_DEP_1) | instskip(NEXT) | instid1(VALU_DEP_2)
	v_and_b32_e32 v4, 0xffff0000, v5
	v_mul_f32_e32 v2, v2, v8
	s_delay_alu instid0(VALU_DEP_1) | instskip(SKIP_2) | instid1(VALU_DEP_3)
	v_bfe_u32 v8, v2, 16, 1
	v_or_b32_e32 v9, 0x400000, v2
	v_cmp_u_f32_e32 vcc_lo, v2, v2
	v_add3_u32 v8, v8, v2, 0x7fff
	s_wait_alu 0xfffd
	s_delay_alu instid0(VALU_DEP_1) | instskip(SKIP_1) | instid1(VALU_DEP_1)
	v_cndmask_b32_e32 v2, v8, v9, vcc_lo
	v_lshlrev_b32_e32 v8, 16, v13
	v_dual_mul_f32 v3, v3, v8 :: v_dual_and_b32 v2, 0xffff0000, v2
	s_delay_alu instid0(VALU_DEP_1) | instskip(NEXT) | instid1(VALU_DEP_2)
	v_add_f32_e32 v2, v4, v2
	v_bfe_u32 v8, v3, 16, 1
	v_or_b32_e32 v9, 0x400000, v3
	v_cmp_u_f32_e32 vcc_lo, v3, v3
	s_delay_alu instid0(VALU_DEP_4) | instskip(NEXT) | instid1(VALU_DEP_4)
	v_add_f32_e32 v0, v2, v0
	v_add3_u32 v8, v8, v3, 0x7fff
	s_wait_alu 0xfffd
	s_delay_alu instid0(VALU_DEP_1) | instskip(NEXT) | instid1(VALU_DEP_1)
	v_dual_cndmask_b32 v3, v8, v9 :: v_dual_lshlrev_b32 v8, 16, v176
	v_dual_mul_f32 v1, v1, v8 :: v_dual_and_b32 v2, 0xffff0000, v3
	s_delay_alu instid0(VALU_DEP_1) | instskip(SKIP_2) | instid1(VALU_DEP_3)
	v_bfe_u32 v8, v1, 16, 1
	v_or_b32_e32 v9, 0x400000, v1
	v_cmp_u_f32_e32 vcc_lo, v1, v1
	v_add3_u32 v8, v8, v1, 0x7fff
	s_wait_alu 0xfffd
	s_delay_alu instid0(VALU_DEP_1) | instskip(NEXT) | instid1(VALU_DEP_1)
	v_cndmask_b32_e32 v1, v8, v9, vcc_lo
	v_and_b32_e32 v1, 0xffff0000, v1
	s_delay_alu instid0(VALU_DEP_1) | instskip(NEXT) | instid1(VALU_DEP_1)
	v_add_f32_e32 v1, v2, v1
	v_add_f32_e32 v0, v1, v0
	s_delay_alu instid0(VALU_DEP_1)
	v_add_f32_e32 v49, v49, v0
.LBB356_37:                             ;   in Loop: Header=BB356_38 Depth=1
	s_wait_alu 0xfffe
	s_or_b32 exec_lo, exec_lo, s17
	v_mov_b32_e32 v0, v62
	s_delay_alu instid0(VALU_DEP_1) | instskip(NEXT) | instid1(VALU_DEP_1)
	v_add_nc_u32_e32 v0, 4, v0
	v_cmp_le_i32_e32 vcc_lo, s35, v0
	s_or_b32 s14, vcc_lo, s14
	s_wait_alu 0xfffe
	s_and_not1_b32 exec_lo, exec_lo, s14
	s_cbranch_execz .LBB356_87
.LBB356_38:                             ; =>This Inner Loop Header: Depth=1
	s_wait_loadcnt 0x0
	v_mov_b32_e32 v62, v0
	v_lshlrev_b32_e32 v0, 5, v0
	s_delay_alu instid0(VALU_DEP_1) | instskip(NEXT) | instid1(VALU_DEP_1)
	v_sub_nc_u32_e32 v1, 0, v0
	v_max_i32_e32 v1, v0, v1
	s_delay_alu instid0(VALU_DEP_1) | instskip(NEXT) | instid1(VALU_DEP_1)
	v_mul_hi_u32 v2, v1, s22
	v_mul_lo_u32 v3, v2, s16
	s_delay_alu instid0(VALU_DEP_1) | instskip(SKIP_1) | instid1(VALU_DEP_2)
	v_sub_nc_u32_e32 v1, v1, v3
	v_add_nc_u32_e32 v3, 1, v2
	v_subrev_nc_u32_e32 v4, s16, v1
	v_cmp_le_u32_e32 vcc_lo, s16, v1
	s_wait_alu 0xfffd
	s_delay_alu instid0(VALU_DEP_2) | instskip(SKIP_1) | instid1(VALU_DEP_2)
	v_dual_cndmask_b32 v2, v2, v3 :: v_dual_cndmask_b32 v1, v1, v4
	v_ashrrev_i32_e32 v3, 31, v0
	v_add_nc_u32_e32 v4, 1, v2
	s_delay_alu instid0(VALU_DEP_3) | instskip(NEXT) | instid1(VALU_DEP_3)
	v_cmp_le_u32_e32 vcc_lo, s16, v1
	v_xor_b32_e32 v3, s23, v3
	s_wait_alu 0xfffd
	s_delay_alu instid0(VALU_DEP_3) | instskip(NEXT) | instid1(VALU_DEP_1)
	v_cndmask_b32_e32 v1, v2, v4, vcc_lo
	v_xor_b32_e32 v1, v1, v3
	s_delay_alu instid0(VALU_DEP_1) | instskip(NEXT) | instid1(VALU_DEP_1)
	v_sub_nc_u32_e32 v1, v1, v3
	v_add_nc_u32_e32 v2, s21, v1
	v_cmp_lt_i32_e64 s0, s5, v1
	s_delay_alu instid0(VALU_DEP_2) | instskip(NEXT) | instid1(VALU_DEP_1)
	v_sub_nc_u32_e32 v3, 0, v2
	v_max_i32_e32 v3, v2, v3
	s_wait_alu 0xfffe
	s_delay_alu instid0(VALU_DEP_1) | instskip(NEXT) | instid1(VALU_DEP_1)
	v_mul_hi_u32 v4, v3, s15
	v_mul_lo_u32 v4, v4, s4
	s_delay_alu instid0(VALU_DEP_1) | instskip(NEXT) | instid1(VALU_DEP_1)
	v_sub_nc_u32_e32 v3, v3, v4
	v_subrev_nc_u32_e32 v4, s4, v3
	v_cmp_le_u32_e32 vcc_lo, s4, v3
	s_wait_alu 0xfffd
	s_delay_alu instid0(VALU_DEP_2) | instskip(SKIP_1) | instid1(VALU_DEP_2)
	v_cndmask_b32_e32 v3, v3, v4, vcc_lo
	v_ashrrev_i32_e32 v2, 31, v2
	v_subrev_nc_u32_e32 v4, s4, v3
	v_cmp_le_u32_e32 vcc_lo, s4, v3
	s_wait_alu 0xfffd
	s_delay_alu instid0(VALU_DEP_2) | instskip(NEXT) | instid1(VALU_DEP_1)
	v_cndmask_b32_e32 v3, v3, v4, vcc_lo
	v_xor_b32_e32 v3, v3, v2
	s_delay_alu instid0(VALU_DEP_1) | instskip(NEXT) | instid1(VALU_DEP_1)
	v_sub_nc_u32_e32 v2, v3, v2
	v_cmp_eq_u32_e32 vcc_lo, 0, v2
	s_or_b32 s0, vcc_lo, s0
	s_wait_alu 0xfffe
	s_and_saveexec_b32 s17, s0
	s_cbranch_execz .LBB356_37
; %bb.39:                               ;   in Loop: Header=BB356_38 Depth=1
	v_mov_b32_e32 v3, v62
	s_clause 0x16
	scratch_store_b32 off, v16, off offset:168
	scratch_store_b32 off, v24, off offset:164
	;; [unrolled: 1-line block ×23, first 2 shown]
	v_ashrrev_i32_e32 v4, 31, v3
	s_delay_alu instid0(VALU_DEP_1) | instskip(NEXT) | instid1(VALU_DEP_1)
	v_lshlrev_b64_e32 v[1:2], 2, v[3:4]
	v_add_co_u32 v1, vcc_lo, s2, v1
	s_wait_alu 0xfffd
	s_delay_alu instid0(VALU_DEP_2)
	v_add_co_ci_u32_e64 v2, null, s3, v2, vcc_lo
	v_cmp_eq_u32_e32 vcc_lo, s12, v3
	global_load_b32 v1, v[1:2], off
	scratch_load_b64 v[4:5], off, off offset:184 ; 8-byte Folded Reload
	s_wait_loadcnt 0x0
	v_mad_co_i64_i32 v[13:14], null, v1, s6, v[4:5]
	global_load_b64 v[9:10], v[13:14], off
	scratch_load_b32 v1, off, off offset:180 ; 4-byte Folded Reload
	s_load_b32 s19, s[10:11], 0x0
	s_wait_loadcnt 0x1
	v_bfe_u32 v11, v9, 8, 8
	s_wait_loadcnt 0x0
	v_or_b32_e32 v139, v0, v1
	v_bfe_u32 v12, v9, 16, 8
	v_bfe_u32 v16, v10, 8, 8
	;; [unrolled: 1-line block ×3, first 2 shown]
	v_cvt_f32_fp8_e32 v11, v11
	v_lshl_add_u32 v0, v139, 2, s13
	v_cvt_f32_fp8_e32 v12, v12
	v_cvt_f32_fp8_e32 v16, v16
	;; [unrolled: 1-line block ×3, first 2 shown]
	s_wait_kmcnt 0x0
	v_mul_f32_e32 v11, s19, v11
	ds_load_2addr_b64 v[5:8], v0 offset1:1
	ds_load_2addr_b64 v[1:4], v0 offset0:2 offset1:3
	v_and_b32_e32 v0, 0xff, v9
	v_lshrrev_b32_e32 v9, 24, v9
	v_mul_f32_e32 v12, s19, v12
	v_bfe_u32 v20, v11, 16, 1
	v_or_b32_e32 v21, 0x400000, v11
	v_cvt_f32_fp8_e32 v0, v0
	v_and_b32_e32 v15, 0xff, v10
	v_cvt_f32_fp8_e32 v9, v9
	v_lshrrev_b32_e32 v10, 24, v10
	v_bfe_u32 v22, v12, 16, 1
	v_mul_f32_e32 v0, s19, v0
	v_cvt_f32_fp8_e32 v15, v15
	v_dual_mul_f32 v9, s19, v9 :: v_dual_mul_f32 v16, s19, v16
	v_add3_u32 v20, v20, v11, 0x7fff
	s_delay_alu instid0(VALU_DEP_4)
	v_bfe_u32 v18, v0, 16, 1
	v_or_b32_e32 v19, 0x400000, v0
	v_cmp_u_f32_e64 s0, v0, v0
	v_cvt_f32_fp8_e32 v10, v10
	v_mul_f32_e32 v15, s19, v15
	v_add3_u32 v18, v18, v0, 0x7fff
	v_or_b32_e32 v23, 0x400000, v12
	v_bfe_u32 v24, v9, 16, 1
	v_add3_u32 v22, v22, v12, 0x7fff
	v_mul_f32_e32 v10, s19, v10
	s_wait_alu 0xf1ff
	v_cndmask_b32_e64 v0, v18, v19, s0
	v_cmp_u_f32_e64 s0, v11, v11
	v_or_b32_e32 v25, 0x400000, v9
	v_bfe_u32 v26, v15, 16, 1
	v_add3_u32 v24, v24, v9, 0x7fff
	v_lshrrev_b32_e32 v0, 16, v0
	s_wait_alu 0xf1ff
	v_cndmask_b32_e64 v11, v20, v21, s0
	v_cmp_u_f32_e64 s0, v12, v12
	v_mul_f32_e32 v17, s19, v17
	v_or_b32_e32 v27, 0x400000, v15
	scratch_store_b32 off, v0, off offset:24 ; 4-byte Folded Spill
	v_lshrrev_b32_e32 v0, 16, v11
	s_wait_alu 0xf1ff
	v_cndmask_b32_e64 v12, v22, v23, s0
	v_cmp_u_f32_e64 s0, v9, v9
	v_bfe_u32 v28, v16, 16, 1
	v_add3_u32 v26, v26, v15, 0x7fff
	scratch_store_b32 off, v0, off offset:28 ; 4-byte Folded Spill
	v_lshrrev_b32_e32 v0, 16, v12
	s_wait_alu 0xf1ff
	v_cndmask_b32_e64 v9, v24, v25, s0
	v_cmp_u_f32_e64 s0, v15, v15
	v_or_b32_e32 v29, 0x400000, v16
	v_bfe_u32 v30, v17, 16, 1
	v_add3_u32 v28, v28, v16, 0x7fff
	scratch_store_b32 off, v0, off offset:16 ; 4-byte Folded Spill
	s_wait_alu 0xf1ff
	v_cndmask_b32_e64 v15, v26, v27, s0
	v_cmp_u_f32_e64 s0, v16, v16
	v_lshrrev_b32_e32 v0, 16, v9
	v_or_b32_e32 v31, 0x400000, v17
	v_bfe_u32 v32, v10, 16, 1
	v_add3_u32 v30, v30, v17, 0x7fff
	s_wait_alu 0xf1ff
	v_cndmask_b32_e64 v16, v28, v29, s0
	v_cmp_u_f32_e64 s0, v17, v17
	scratch_store_b32 off, v0, off offset:20 ; 4-byte Folded Spill
	v_lshrrev_b32_e32 v0, 16, v15
	v_or_b32_e32 v33, 0x400000, v10
	v_add3_u32 v32, v32, v10, 0x7fff
	s_wait_alu 0xf1ff
	v_cndmask_b32_e64 v17, v30, v31, s0
	v_cmp_u_f32_e64 s0, v10, v10
	scratch_store_b32 off, v0, off offset:8 ; 4-byte Folded Spill
	v_lshrrev_b32_e32 v0, 16, v16
	v_or_b32_e32 v149, 1, v139
	v_or_b32_e32 v148, 2, v139
	s_wait_alu 0xf1ff
	v_cndmask_b32_e64 v10, v32, v33, s0
	v_or_b32_e32 v147, 3, v139
	scratch_store_b32 off, v0, off offset:12 ; 4-byte Folded Spill
	v_lshrrev_b32_e32 v0, 16, v17
	v_or_b32_e32 v145, 4, v139
	v_or_b32_e32 v144, 5, v139
	;; [unrolled: 1-line block ×4, first 2 shown]
	scratch_store_b32 off, v0, off          ; 4-byte Folded Spill
	v_lshrrev_b32_e32 v0, 16, v10
	scratch_store_b32 off, v0, off offset:4 ; 4-byte Folded Spill
	s_and_saveexec_b32 s24, vcc_lo
	s_cbranch_execz .LBB356_41
; %bb.40:                               ;   in Loop: Header=BB356_38 Depth=1
	scratch_load_b32 v0, off, off offset:24 ; 4-byte Folded Reload
	v_cmp_gt_i32_e64 s0, s34, v139
	s_wait_loadcnt 0x0
	s_wait_alu 0xf1ff
	s_delay_alu instid0(VALU_DEP_1)
	v_cndmask_b32_e64 v0, 0, v0, s0
	v_cmp_gt_i32_e64 s0, s34, v149
	scratch_store_b32 off, v0, off offset:24 ; 4-byte Folded Spill
	scratch_load_b32 v0, off, off offset:28 ; 4-byte Folded Reload
	s_wait_loadcnt 0x0
	s_wait_alu 0xf1ff
	v_cndmask_b32_e64 v0, 0, v0, s0
	v_cmp_gt_i32_e64 s0, s34, v148
	scratch_store_b32 off, v0, off offset:28 ; 4-byte Folded Spill
	scratch_load_b32 v0, off, off offset:16 ; 4-byte Folded Reload
	s_wait_loadcnt 0x0
	s_wait_alu 0xf1ff
	;; [unrolled: 6-line block ×3, first 2 shown]
	v_cndmask_b32_e64 v0, 0, v0, s0
	v_cmp_gt_i32_e64 s0, s34, v145
	scratch_store_b32 off, v0, off offset:20 ; 4-byte Folded Spill
	scratch_load_b32 v0, off, off offset:8  ; 4-byte Folded Reload
	s_wait_loadcnt 0x0
	s_wait_alu 0xf1ff
	v_cndmask_b32_e64 v0, 0, v0, s0
	v_cmp_gt_i32_e64 s0, s34, v144
	scratch_store_b32 off, v0, off offset:8 ; 4-byte Folded Spill
	scratch_load_b32 v0, off, off offset:12 ; 4-byte Folded Reload
	s_wait_loadcnt 0x0
	s_wait_alu 0xf1ff
	v_cndmask_b32_e64 v0, 0, v0, s0
	v_cmp_gt_i32_e64 s0, s34, v143
	scratch_store_b32 off, v0, off offset:12 ; 4-byte Folded Spill
	scratch_load_b32 v0, off, off           ; 4-byte Folded Reload
	s_wait_loadcnt 0x0
	s_wait_alu 0xf1ff
	v_cndmask_b32_e64 v0, 0, v0, s0
	v_cmp_gt_i32_e64 s0, s34, v153
	scratch_store_b32 off, v0, off          ; 4-byte Folded Spill
	scratch_load_b32 v0, off, off offset:4  ; 4-byte Folded Reload
	s_wait_loadcnt 0x0
	s_wait_alu 0xf1ff
	v_cndmask_b32_e64 v0, 0, v0, s0
	scratch_store_b32 off, v0, off offset:4 ; 4-byte Folded Spill
.LBB356_41:                             ;   in Loop: Header=BB356_38 Depth=1
	s_or_b32 exec_lo, exec_lo, s24
	global_load_b64 v[9:10], v[13:14], off offset:256
	s_wait_loadcnt 0x0
	v_bfe_u32 v11, v9, 8, 8
	v_bfe_u32 v12, v9, 16, 8
	;; [unrolled: 1-line block ×4, first 2 shown]
	s_delay_alu instid0(VALU_DEP_4)
	v_cvt_f32_fp8_e32 v11, v11
	v_and_b32_e32 v0, 0xff, v9
	v_lshrrev_b32_e32 v9, 24, v9
	v_cvt_f32_fp8_e32 v12, v12
	v_cvt_f32_fp8_e32 v16, v16
	v_mul_f32_e32 v11, s19, v11
	v_cvt_f32_fp8_e32 v0, v0
	v_and_b32_e32 v15, 0xff, v10
	v_cvt_f32_fp8_e32 v9, v9
	v_mul_f32_e32 v12, s19, v12
	v_bfe_u32 v20, v11, 16, 1
	v_mul_f32_e32 v0, s19, v0
	v_cvt_f32_fp8_e32 v15, v15
	v_mul_f32_e32 v9, s19, v9
	v_or_b32_e32 v21, 0x400000, v11
	v_bfe_u32 v22, v12, 16, 1
	v_bfe_u32 v18, v0, 16, 1
	v_or_b32_e32 v19, 0x400000, v0
	v_cmp_u_f32_e64 s0, v0, v0
	v_add3_u32 v20, v20, v11, 0x7fff
	v_dual_mul_f32 v15, s19, v15 :: v_dual_mul_f32 v16, s19, v16
	v_add3_u32 v18, v18, v0, 0x7fff
	v_or_b32_e32 v23, 0x400000, v12
	v_bfe_u32 v24, v9, 16, 1
	v_add3_u32 v22, v22, v12, 0x7fff
	v_lshrrev_b32_e32 v10, 24, v10
	s_wait_alu 0xf1ff
	v_cndmask_b32_e64 v0, v18, v19, s0
	v_cmp_u_f32_e64 s0, v11, v11
	v_cvt_f32_fp8_e32 v17, v17
	v_or_b32_e32 v25, 0x400000, v9
	v_bfe_u32 v26, v15, 16, 1
	v_lshrrev_b32_e32 v0, 16, v0
	s_wait_alu 0xf1ff
	v_cndmask_b32_e64 v11, v20, v21, s0
	v_cmp_u_f32_e64 s0, v12, v12
	v_add3_u32 v24, v24, v9, 0x7fff
	v_cvt_f32_fp8_e32 v10, v10
	scratch_store_b32 off, v0, off offset:56 ; 4-byte Folded Spill
	v_lshrrev_b32_e32 v0, 16, v11
	s_wait_alu 0xf1ff
	v_cndmask_b32_e64 v12, v22, v23, s0
	v_cmp_u_f32_e64 s0, v9, v9
	v_dual_mul_f32 v17, s19, v17 :: v_dual_mul_f32 v10, s19, v10
	v_or_b32_e32 v27, 0x400000, v15
	v_bfe_u32 v28, v16, 16, 1
	v_add3_u32 v26, v26, v15, 0x7fff
	s_wait_alu 0xf1ff
	v_cndmask_b32_e64 v9, v24, v25, s0
	v_cmp_u_f32_e64 s0, v15, v15
	scratch_store_b32 off, v0, off offset:60 ; 4-byte Folded Spill
	v_lshrrev_b32_e32 v0, 16, v12
	v_or_b32_e32 v29, 0x400000, v16
	v_bfe_u32 v30, v17, 16, 1
	v_add3_u32 v28, v28, v16, 0x7fff
	s_wait_alu 0xf1ff
	v_cndmask_b32_e64 v15, v26, v27, s0
	v_cmp_u_f32_e64 s0, v16, v16
	scratch_store_b32 off, v0, off offset:48 ; 4-byte Folded Spill
	v_lshrrev_b32_e32 v0, 16, v9
	;; [unrolled: 8-line block ×3, first 2 shown]
	v_or_b32_e32 v33, 0x400000, v10
	v_add3_u32 v32, v32, v10, 0x7fff
	s_wait_alu 0xf1ff
	v_cndmask_b32_e64 v17, v30, v31, s0
	v_cmp_u_f32_e64 s0, v10, v10
	scratch_store_b32 off, v0, off offset:40 ; 4-byte Folded Spill
	v_lshrrev_b32_e32 v0, 16, v16
	s_wait_alu 0xf1ff
	v_cndmask_b32_e64 v10, v32, v33, s0
	scratch_store_b32 off, v0, off offset:44 ; 4-byte Folded Spill
	v_lshrrev_b32_e32 v0, 16, v17
	scratch_store_b32 off, v0, off offset:32 ; 4-byte Folded Spill
	v_lshrrev_b32_e32 v0, 16, v10
	scratch_store_b32 off, v0, off offset:36 ; 4-byte Folded Spill
	s_and_saveexec_b32 s24, vcc_lo
	s_cbranch_execz .LBB356_43
; %bb.42:                               ;   in Loop: Header=BB356_38 Depth=1
	scratch_load_b32 v0, off, off offset:56 ; 4-byte Folded Reload
	v_cmp_gt_i32_e64 s0, s34, v139
	s_wait_loadcnt 0x0
	s_wait_alu 0xf1ff
	s_delay_alu instid0(VALU_DEP_1)
	v_cndmask_b32_e64 v0, 0, v0, s0
	v_cmp_gt_i32_e64 s0, s34, v149
	scratch_store_b32 off, v0, off offset:56 ; 4-byte Folded Spill
	scratch_load_b32 v0, off, off offset:60 ; 4-byte Folded Reload
	s_wait_loadcnt 0x0
	s_wait_alu 0xf1ff
	v_cndmask_b32_e64 v0, 0, v0, s0
	v_cmp_gt_i32_e64 s0, s34, v148
	scratch_store_b32 off, v0, off offset:60 ; 4-byte Folded Spill
	scratch_load_b32 v0, off, off offset:48 ; 4-byte Folded Reload
	s_wait_loadcnt 0x0
	s_wait_alu 0xf1ff
	;; [unrolled: 6-line block ×7, first 2 shown]
	v_cndmask_b32_e64 v0, 0, v0, s0
	scratch_store_b32 off, v0, off offset:36 ; 4-byte Folded Spill
.LBB356_43:                             ;   in Loop: Header=BB356_38 Depth=1
	s_or_b32 exec_lo, exec_lo, s24
	global_load_b64 v[9:10], v[13:14], off offset:512
	s_wait_loadcnt 0x0
	v_bfe_u32 v11, v9, 8, 8
	v_bfe_u32 v12, v9, 16, 8
	;; [unrolled: 1-line block ×4, first 2 shown]
	s_delay_alu instid0(VALU_DEP_4)
	v_cvt_f32_fp8_e32 v11, v11
	v_and_b32_e32 v0, 0xff, v9
	v_lshrrev_b32_e32 v9, 24, v9
	v_cvt_f32_fp8_e32 v12, v12
	v_cvt_f32_fp8_e32 v16, v16
	v_mul_f32_e32 v11, s19, v11
	v_cvt_f32_fp8_e32 v0, v0
	v_and_b32_e32 v15, 0xff, v10
	v_cvt_f32_fp8_e32 v9, v9
	v_mul_f32_e32 v12, s19, v12
	v_bfe_u32 v20, v11, 16, 1
	v_mul_f32_e32 v0, s19, v0
	v_cvt_f32_fp8_e32 v15, v15
	v_mul_f32_e32 v9, s19, v9
	v_or_b32_e32 v21, 0x400000, v11
	v_bfe_u32 v22, v12, 16, 1
	v_bfe_u32 v18, v0, 16, 1
	v_or_b32_e32 v19, 0x400000, v0
	v_cmp_u_f32_e64 s0, v0, v0
	v_add3_u32 v20, v20, v11, 0x7fff
	v_dual_mul_f32 v15, s19, v15 :: v_dual_mul_f32 v16, s19, v16
	v_add3_u32 v18, v18, v0, 0x7fff
	v_or_b32_e32 v23, 0x400000, v12
	v_bfe_u32 v24, v9, 16, 1
	v_add3_u32 v22, v22, v12, 0x7fff
	v_lshrrev_b32_e32 v10, 24, v10
	s_wait_alu 0xf1ff
	v_cndmask_b32_e64 v0, v18, v19, s0
	v_cmp_u_f32_e64 s0, v11, v11
	v_cvt_f32_fp8_e32 v17, v17
	v_or_b32_e32 v25, 0x400000, v9
	v_bfe_u32 v26, v15, 16, 1
	v_add3_u32 v24, v24, v9, 0x7fff
	s_wait_alu 0xf1ff
	v_cndmask_b32_e64 v11, v20, v21, s0
	v_cmp_u_f32_e64 s0, v12, v12
	v_cvt_f32_fp8_e32 v10, v10
	v_mul_f32_e32 v17, s19, v17
	v_or_b32_e32 v27, 0x400000, v15
	v_bfe_u32 v28, v16, 16, 1
	s_wait_alu 0xf1ff
	v_cndmask_b32_e64 v12, v22, v23, s0
	v_cmp_u_f32_e64 s0, v9, v9
	v_add3_u32 v26, v26, v15, 0x7fff
	v_mul_f32_e32 v10, s19, v10
	v_or_b32_e32 v29, 0x400000, v16
	v_bfe_u32 v30, v17, 16, 1
	s_wait_alu 0xf1ff
	v_cndmask_b32_e64 v9, v24, v25, s0
	v_cmp_u_f32_e64 s0, v15, v15
	v_add3_u32 v28, v28, v16, 0x7fff
	v_or_b32_e32 v31, 0x400000, v17
	v_bfe_u32 v32, v10, 16, 1
	v_add3_u32 v30, v30, v17, 0x7fff
	s_wait_alu 0xf1ff
	v_cndmask_b32_e64 v15, v26, v27, s0
	v_cmp_u_f32_e64 s0, v16, v16
	v_lshrrev_b32_e32 v65, 16, v0
	v_or_b32_e32 v33, 0x400000, v10
	v_add3_u32 v32, v32, v10, 0x7fff
	v_lshrrev_b32_e32 v0, 16, v15
	s_wait_alu 0xf1ff
	v_cndmask_b32_e64 v16, v28, v29, s0
	v_cmp_u_f32_e64 s0, v17, v17
	v_lshrrev_b32_e32 v66, 16, v11
	v_lshrrev_b32_e32 v164, 16, v12
	scratch_store_b32 off, v0, off offset:72 ; 4-byte Folded Spill
	v_lshrrev_b32_e32 v0, 16, v16
	s_wait_alu 0xf1ff
	v_cndmask_b32_e64 v17, v30, v31, s0
	v_cmp_u_f32_e64 s0, v10, v10
	v_lshrrev_b32_e32 v83, 16, v9
	scratch_store_b32 off, v0, off offset:76 ; 4-byte Folded Spill
	v_lshrrev_b32_e32 v0, 16, v17
	s_wait_alu 0xf1ff
	v_cndmask_b32_e64 v10, v32, v33, s0
	scratch_store_b32 off, v0, off offset:64 ; 4-byte Folded Spill
	v_lshrrev_b32_e32 v0, 16, v10
	scratch_store_b32 off, v0, off offset:68 ; 4-byte Folded Spill
	s_and_saveexec_b32 s24, vcc_lo
	s_cbranch_execz .LBB356_45
; %bb.44:                               ;   in Loop: Header=BB356_38 Depth=1
	scratch_load_b32 v0, off, off offset:72 ; 4-byte Folded Reload
	v_cmp_gt_i32_e64 s0, s34, v139
	s_wait_alu 0xf1ff
	s_delay_alu instid0(VALU_DEP_1) | instskip(SKIP_2) | instid1(VALU_DEP_1)
	v_cndmask_b32_e64 v65, 0, v65, s0
	v_cmp_gt_i32_e64 s0, s34, v149
	s_wait_alu 0xf1ff
	v_cndmask_b32_e64 v66, 0, v66, s0
	v_cmp_gt_i32_e64 s0, s34, v148
	s_wait_alu 0xf1ff
	s_delay_alu instid0(VALU_DEP_1) | instskip(SKIP_2) | instid1(VALU_DEP_1)
	v_cndmask_b32_e64 v164, 0, v164, s0
	v_cmp_gt_i32_e64 s0, s34, v147
	s_wait_alu 0xf1ff
	v_cndmask_b32_e64 v83, 0, v83, s0
	v_cmp_gt_i32_e64 s0, s34, v145
	s_wait_loadcnt 0x0
	s_wait_alu 0xf1ff
	s_delay_alu instid0(VALU_DEP_1)
	v_cndmask_b32_e64 v0, 0, v0, s0
	v_cmp_gt_i32_e64 s0, s34, v144
	scratch_store_b32 off, v0, off offset:72 ; 4-byte Folded Spill
	scratch_load_b32 v0, off, off offset:76 ; 4-byte Folded Reload
	s_wait_loadcnt 0x0
	s_wait_alu 0xf1ff
	v_cndmask_b32_e64 v0, 0, v0, s0
	v_cmp_gt_i32_e64 s0, s34, v143
	scratch_store_b32 off, v0, off offset:76 ; 4-byte Folded Spill
	scratch_load_b32 v0, off, off offset:64 ; 4-byte Folded Reload
	s_wait_loadcnt 0x0
	s_wait_alu 0xf1ff
	;; [unrolled: 6-line block ×3, first 2 shown]
	v_cndmask_b32_e64 v0, 0, v0, s0
	scratch_store_b32 off, v0, off offset:68 ; 4-byte Folded Spill
.LBB356_45:                             ;   in Loop: Header=BB356_38 Depth=1
	s_or_b32 exec_lo, exec_lo, s24
	global_load_b64 v[9:10], v[13:14], off offset:768
	s_wait_loadcnt 0x0
	v_bfe_u32 v11, v9, 8, 8
	v_bfe_u32 v12, v9, 16, 8
	;; [unrolled: 1-line block ×4, first 2 shown]
	s_delay_alu instid0(VALU_DEP_4)
	v_cvt_f32_fp8_e32 v11, v11
	v_and_b32_e32 v0, 0xff, v9
	v_lshrrev_b32_e32 v9, 24, v9
	v_cvt_f32_fp8_e32 v12, v12
	v_cvt_f32_fp8_e32 v16, v16
	v_mul_f32_e32 v11, s19, v11
	v_cvt_f32_fp8_e32 v0, v0
	v_and_b32_e32 v15, 0xff, v10
	v_cvt_f32_fp8_e32 v9, v9
	v_mul_f32_e32 v12, s19, v12
	v_bfe_u32 v20, v11, 16, 1
	v_mul_f32_e32 v0, s19, v0
	v_cvt_f32_fp8_e32 v15, v15
	v_mul_f32_e32 v9, s19, v9
	v_or_b32_e32 v21, 0x400000, v11
	v_bfe_u32 v22, v12, 16, 1
	v_bfe_u32 v18, v0, 16, 1
	v_or_b32_e32 v19, 0x400000, v0
	v_cmp_u_f32_e64 s0, v0, v0
	v_add3_u32 v20, v20, v11, 0x7fff
	v_dual_mul_f32 v15, s19, v15 :: v_dual_mul_f32 v16, s19, v16
	v_add3_u32 v18, v18, v0, 0x7fff
	v_or_b32_e32 v23, 0x400000, v12
	v_bfe_u32 v24, v9, 16, 1
	v_add3_u32 v22, v22, v12, 0x7fff
	v_lshrrev_b32_e32 v10, 24, v10
	s_wait_alu 0xf1ff
	v_cndmask_b32_e64 v0, v18, v19, s0
	v_cmp_u_f32_e64 s0, v11, v11
	v_cvt_f32_fp8_e32 v17, v17
	v_or_b32_e32 v25, 0x400000, v9
	v_bfe_u32 v26, v15, 16, 1
	v_add3_u32 v24, v24, v9, 0x7fff
	s_wait_alu 0xf1ff
	v_cndmask_b32_e64 v11, v20, v21, s0
	v_cmp_u_f32_e64 s0, v12, v12
	v_cvt_f32_fp8_e32 v10, v10
	v_mul_f32_e32 v17, s19, v17
	v_or_b32_e32 v27, 0x400000, v15
	v_bfe_u32 v28, v16, 16, 1
	s_wait_alu 0xf1ff
	v_cndmask_b32_e64 v12, v22, v23, s0
	v_cmp_u_f32_e64 s0, v9, v9
	v_add3_u32 v26, v26, v15, 0x7fff
	v_mul_f32_e32 v10, s19, v10
	v_or_b32_e32 v29, 0x400000, v16
	v_bfe_u32 v30, v17, 16, 1
	s_wait_alu 0xf1ff
	v_cndmask_b32_e64 v9, v24, v25, s0
	v_cmp_u_f32_e64 s0, v15, v15
	v_add3_u32 v28, v28, v16, 0x7fff
	v_or_b32_e32 v31, 0x400000, v17
	v_bfe_u32 v32, v10, 16, 1
	v_add3_u32 v30, v30, v17, 0x7fff
	s_wait_alu 0xf1ff
	v_cndmask_b32_e64 v15, v26, v27, s0
	v_cmp_u_f32_e64 s0, v16, v16
	v_or_b32_e32 v33, 0x400000, v10
	v_add3_u32 v32, v32, v10, 0x7fff
	v_lshrrev_b32_e32 v73, 16, v0
	v_lshrrev_b32_e32 v74, 16, v11
	s_wait_alu 0xf1ff
	v_cndmask_b32_e64 v16, v28, v29, s0
	v_cmp_u_f32_e64 s0, v17, v17
	v_lshrrev_b32_e32 v71, 16, v12
	v_lshrrev_b32_e32 v9, 16, v9
	;; [unrolled: 1-line block ×4, first 2 shown]
	s_wait_alu 0xf1ff
	v_cndmask_b32_e64 v17, v30, v31, s0
	v_cmp_u_f32_e64 s0, v10, v10
	s_delay_alu instid0(VALU_DEP_2) | instskip(SKIP_1) | instid1(VALU_DEP_2)
	v_lshrrev_b32_e32 v67, 16, v17
	s_wait_alu 0xf1ff
	v_cndmask_b32_e64 v10, v32, v33, s0
	s_delay_alu instid0(VALU_DEP_1)
	v_lshrrev_b32_e32 v68, 16, v10
	s_and_saveexec_b32 s24, vcc_lo
	s_cbranch_execz .LBB356_47
; %bb.46:                               ;   in Loop: Header=BB356_38 Depth=1
	v_cmp_gt_i32_e64 s0, s34, v139
	s_wait_alu 0xf1ff
	s_delay_alu instid0(VALU_DEP_1) | instskip(SKIP_2) | instid1(VALU_DEP_1)
	v_cndmask_b32_e64 v73, 0, v73, s0
	v_cmp_gt_i32_e64 s0, s34, v149
	s_wait_alu 0xf1ff
	v_cndmask_b32_e64 v74, 0, v74, s0
	v_cmp_gt_i32_e64 s0, s34, v148
	s_wait_alu 0xf1ff
	s_delay_alu instid0(VALU_DEP_1) | instskip(SKIP_2) | instid1(VALU_DEP_1)
	v_cndmask_b32_e64 v71, 0, v71, s0
	v_cmp_gt_i32_e64 s0, s34, v147
	s_wait_alu 0xf1ff
	v_cndmask_b32_e64 v9, 0, v9, s0
	;; [unrolled: 7-line block ×4, first 2 shown]
.LBB356_47:                             ;   in Loop: Header=BB356_38 Depth=1
	s_or_b32 exec_lo, exec_lo, s24
	global_load_b64 v[10:11], v[13:14], off offset:1024
	s_wait_loadcnt 0x0
	v_bfe_u32 v15, v10, 16, 8
	v_bfe_u32 v17, v11, 8, 8
	;; [unrolled: 1-line block ×4, first 2 shown]
	s_delay_alu instid0(VALU_DEP_4)
	v_cvt_f32_fp8_e32 v15, v15
	v_and_b32_e32 v0, 0xff, v10
	v_cvt_f32_fp8_e32 v17, v17
	v_and_b32_e32 v16, 0xff, v11
	v_lshrrev_b32_e32 v11, 24, v11
	v_mul_f32_e32 v15, s19, v15
	v_cvt_f32_fp8_e32 v0, v0
	v_cvt_f32_fp8_e32 v12, v12
	v_lshrrev_b32_e32 v10, 24, v10
	v_cvt_f32_fp8_e32 v11, v11
	s_delay_alu instid0(VALU_DEP_4) | instskip(NEXT) | instid1(VALU_DEP_4)
	v_dual_mul_f32 v17, s19, v17 :: v_dual_mul_f32 v0, s19, v0
	v_mul_f32_e32 v12, s19, v12
	s_delay_alu instid0(VALU_DEP_4) | instskip(NEXT) | instid1(VALU_DEP_4)
	v_cvt_f32_fp8_e32 v10, v10
	v_mul_f32_e32 v11, s19, v11
	v_cvt_f32_fp8_e32 v16, v16
	v_bfe_u32 v19, v0, 16, 1
	v_or_b32_e32 v20, 0x400000, v0
	v_bfe_u32 v21, v12, 16, 1
	v_cmp_u_f32_e64 s0, v0, v0
	v_mul_f32_e32 v10, s19, v10
	v_add3_u32 v19, v19, v0, 0x7fff
	v_or_b32_e32 v22, 0x400000, v12
	v_bfe_u32 v23, v15, 16, 1
	v_add3_u32 v21, v21, v12, 0x7fff
	v_mul_f32_e32 v16, s19, v16
	s_wait_alu 0xf1ff
	v_cndmask_b32_e64 v0, v19, v20, s0
	v_cmp_u_f32_e64 s0, v12, v12
	v_or_b32_e32 v24, 0x400000, v15
	v_bfe_u32 v25, v10, 16, 1
	v_add3_u32 v23, v23, v15, 0x7fff
	v_cvt_f32_fp8_e32 v18, v18
	s_wait_alu 0xf1ff
	v_cndmask_b32_e64 v12, v21, v22, s0
	v_cmp_u_f32_e64 s0, v15, v15
	v_or_b32_e32 v26, 0x400000, v10
	v_bfe_u32 v27, v16, 16, 1
	v_add3_u32 v25, v25, v10, 0x7fff
	v_mul_f32_e32 v18, s19, v18
	s_wait_alu 0xf1ff
	v_cndmask_b32_e64 v15, v23, v24, s0
	v_cmp_u_f32_e64 s0, v10, v10
	v_or_b32_e32 v28, 0x400000, v16
	v_bfe_u32 v29, v17, 16, 1
	v_add3_u32 v27, v27, v16, 0x7fff
	v_or_b32_e32 v30, 0x400000, v17
	s_wait_alu 0xf1ff
	v_cndmask_b32_e64 v10, v25, v26, s0
	v_cmp_u_f32_e64 s0, v16, v16
	v_bfe_u32 v31, v18, 16, 1
	v_add3_u32 v29, v29, v17, 0x7fff
	v_or_b32_e32 v32, 0x400000, v18
	v_bfe_u32 v33, v11, 16, 1
	s_wait_alu 0xf1ff
	v_cndmask_b32_e64 v16, v27, v28, s0
	v_cmp_u_f32_e64 s0, v17, v17
	v_add3_u32 v31, v31, v18, 0x7fff
	v_or_b32_e32 v34, 0x400000, v11
	v_add3_u32 v33, v33, v11, 0x7fff
	v_lshrrev_b32_e32 v81, 16, v0
	s_wait_alu 0xf1ff
	v_cndmask_b32_e64 v17, v29, v30, s0
	v_cmp_u_f32_e64 s0, v18, v18
	v_lshrrev_b32_e32 v82, 16, v12
	v_lshrrev_b32_e32 v79, 16, v15
	;; [unrolled: 1-line block ×4, first 2 shown]
	s_wait_alu 0xf1ff
	v_cndmask_b32_e64 v18, v31, v32, s0
	v_cmp_u_f32_e64 s0, v11, v11
	v_lshrrev_b32_e32 v78, 16, v17
	s_delay_alu instid0(VALU_DEP_3) | instskip(SKIP_1) | instid1(VALU_DEP_3)
	v_lshrrev_b32_e32 v75, 16, v18
	s_wait_alu 0xf1ff
	v_cndmask_b32_e64 v11, v33, v34, s0
	s_delay_alu instid0(VALU_DEP_1)
	v_lshrrev_b32_e32 v76, 16, v11
	s_and_saveexec_b32 s24, vcc_lo
	s_cbranch_execz .LBB356_49
; %bb.48:                               ;   in Loop: Header=BB356_38 Depth=1
	v_cmp_gt_i32_e64 s0, s34, v139
	s_wait_alu 0xf1ff
	s_delay_alu instid0(VALU_DEP_1) | instskip(SKIP_2) | instid1(VALU_DEP_1)
	v_cndmask_b32_e64 v81, 0, v81, s0
	v_cmp_gt_i32_e64 s0, s34, v149
	s_wait_alu 0xf1ff
	v_cndmask_b32_e64 v82, 0, v82, s0
	v_cmp_gt_i32_e64 s0, s34, v148
	s_wait_alu 0xf1ff
	s_delay_alu instid0(VALU_DEP_1) | instskip(SKIP_2) | instid1(VALU_DEP_1)
	v_cndmask_b32_e64 v79, 0, v79, s0
	v_cmp_gt_i32_e64 s0, s34, v147
	s_wait_alu 0xf1ff
	v_cndmask_b32_e64 v80, 0, v80, s0
	;; [unrolled: 7-line block ×4, first 2 shown]
.LBB356_49:                             ;   in Loop: Header=BB356_38 Depth=1
	s_or_b32 exec_lo, exec_lo, s24
	global_load_b64 v[10:11], v[13:14], off offset:1280
	s_wait_loadcnt 0x0
	v_bfe_u32 v15, v10, 16, 8
	v_bfe_u32 v17, v11, 8, 8
	;; [unrolled: 1-line block ×4, first 2 shown]
	s_delay_alu instid0(VALU_DEP_4)
	v_cvt_f32_fp8_e32 v15, v15
	v_and_b32_e32 v0, 0xff, v10
	v_cvt_f32_fp8_e32 v17, v17
	v_and_b32_e32 v16, 0xff, v11
	v_lshrrev_b32_e32 v11, 24, v11
	v_mul_f32_e32 v15, s19, v15
	v_cvt_f32_fp8_e32 v0, v0
	v_cvt_f32_fp8_e32 v12, v12
	v_lshrrev_b32_e32 v10, 24, v10
	v_cvt_f32_fp8_e32 v11, v11
	s_delay_alu instid0(VALU_DEP_4) | instskip(NEXT) | instid1(VALU_DEP_4)
	v_dual_mul_f32 v17, s19, v17 :: v_dual_mul_f32 v0, s19, v0
	v_mul_f32_e32 v12, s19, v12
	s_delay_alu instid0(VALU_DEP_4) | instskip(NEXT) | instid1(VALU_DEP_4)
	v_cvt_f32_fp8_e32 v10, v10
	v_mul_f32_e32 v11, s19, v11
	v_cvt_f32_fp8_e32 v16, v16
	v_bfe_u32 v19, v0, 16, 1
	v_or_b32_e32 v20, 0x400000, v0
	v_bfe_u32 v21, v12, 16, 1
	v_cmp_u_f32_e64 s0, v0, v0
	v_mul_f32_e32 v10, s19, v10
	v_add3_u32 v19, v19, v0, 0x7fff
	v_or_b32_e32 v22, 0x400000, v12
	v_bfe_u32 v23, v15, 16, 1
	v_add3_u32 v21, v21, v12, 0x7fff
	v_mul_f32_e32 v16, s19, v16
	s_wait_alu 0xf1ff
	v_cndmask_b32_e64 v0, v19, v20, s0
	v_cmp_u_f32_e64 s0, v12, v12
	v_or_b32_e32 v24, 0x400000, v15
	v_bfe_u32 v25, v10, 16, 1
	v_add3_u32 v23, v23, v15, 0x7fff
	v_cvt_f32_fp8_e32 v18, v18
	s_wait_alu 0xf1ff
	v_cndmask_b32_e64 v12, v21, v22, s0
	v_cmp_u_f32_e64 s0, v15, v15
	v_or_b32_e32 v26, 0x400000, v10
	v_bfe_u32 v27, v16, 16, 1
	v_add3_u32 v25, v25, v10, 0x7fff
	v_mul_f32_e32 v18, s19, v18
	s_wait_alu 0xf1ff
	v_cndmask_b32_e64 v15, v23, v24, s0
	v_cmp_u_f32_e64 s0, v10, v10
	v_or_b32_e32 v28, 0x400000, v16
	v_bfe_u32 v29, v17, 16, 1
	v_add3_u32 v27, v27, v16, 0x7fff
	v_or_b32_e32 v30, 0x400000, v17
	s_wait_alu 0xf1ff
	v_cndmask_b32_e64 v10, v25, v26, s0
	v_cmp_u_f32_e64 s0, v16, v16
	v_bfe_u32 v31, v18, 16, 1
	v_add3_u32 v29, v29, v17, 0x7fff
	v_or_b32_e32 v32, 0x400000, v18
	v_bfe_u32 v33, v11, 16, 1
	s_wait_alu 0xf1ff
	v_cndmask_b32_e64 v16, v27, v28, s0
	v_cmp_u_f32_e64 s0, v17, v17
	v_add3_u32 v31, v31, v18, 0x7fff
	v_or_b32_e32 v34, 0x400000, v11
	v_add3_u32 v33, v33, v11, 0x7fff
	v_lshrrev_b32_e32 v89, 16, v0
	s_wait_alu 0xf1ff
	v_cndmask_b32_e64 v17, v29, v30, s0
	v_cmp_u_f32_e64 s0, v18, v18
	v_lshrrev_b32_e32 v90, 16, v12
	v_lshrrev_b32_e32 v87, 16, v15
	;; [unrolled: 1-line block ×4, first 2 shown]
	s_wait_alu 0xf1ff
	v_cndmask_b32_e64 v18, v31, v32, s0
	v_cmp_u_f32_e64 s0, v11, v11
	v_lshrrev_b32_e32 v86, 16, v17
	s_delay_alu instid0(VALU_DEP_3) | instskip(SKIP_1) | instid1(VALU_DEP_3)
	v_lshrrev_b32_e32 v72, 16, v18
	s_wait_alu 0xf1ff
	v_cndmask_b32_e64 v11, v33, v34, s0
	s_delay_alu instid0(VALU_DEP_1)
	v_lshrrev_b32_e32 v84, 16, v11
	s_and_saveexec_b32 s24, vcc_lo
	s_cbranch_execz .LBB356_51
; %bb.50:                               ;   in Loop: Header=BB356_38 Depth=1
	v_cmp_gt_i32_e64 s0, s34, v139
	s_wait_alu 0xf1ff
	s_delay_alu instid0(VALU_DEP_1) | instskip(SKIP_2) | instid1(VALU_DEP_1)
	v_cndmask_b32_e64 v89, 0, v89, s0
	v_cmp_gt_i32_e64 s0, s34, v149
	s_wait_alu 0xf1ff
	v_cndmask_b32_e64 v90, 0, v90, s0
	v_cmp_gt_i32_e64 s0, s34, v148
	s_wait_alu 0xf1ff
	s_delay_alu instid0(VALU_DEP_1) | instskip(SKIP_2) | instid1(VALU_DEP_1)
	v_cndmask_b32_e64 v87, 0, v87, s0
	v_cmp_gt_i32_e64 s0, s34, v147
	s_wait_alu 0xf1ff
	v_cndmask_b32_e64 v88, 0, v88, s0
	;; [unrolled: 7-line block ×4, first 2 shown]
.LBB356_51:                             ;   in Loop: Header=BB356_38 Depth=1
	s_or_b32 exec_lo, exec_lo, s24
	global_load_b64 v[10:11], v[13:14], off offset:1536
	s_wait_loadcnt 0x0
	v_bfe_u32 v15, v10, 16, 8
	v_bfe_u32 v17, v11, 8, 8
	;; [unrolled: 1-line block ×4, first 2 shown]
	s_delay_alu instid0(VALU_DEP_4)
	v_cvt_f32_fp8_e32 v15, v15
	v_and_b32_e32 v0, 0xff, v10
	v_cvt_f32_fp8_e32 v17, v17
	v_and_b32_e32 v16, 0xff, v11
	v_lshrrev_b32_e32 v11, 24, v11
	v_mul_f32_e32 v15, s19, v15
	v_cvt_f32_fp8_e32 v0, v0
	v_cvt_f32_fp8_e32 v12, v12
	v_lshrrev_b32_e32 v10, 24, v10
	v_cvt_f32_fp8_e32 v11, v11
	s_delay_alu instid0(VALU_DEP_4) | instskip(NEXT) | instid1(VALU_DEP_4)
	v_dual_mul_f32 v17, s19, v17 :: v_dual_mul_f32 v0, s19, v0
	v_mul_f32_e32 v12, s19, v12
	s_delay_alu instid0(VALU_DEP_4) | instskip(NEXT) | instid1(VALU_DEP_4)
	v_cvt_f32_fp8_e32 v10, v10
	v_mul_f32_e32 v11, s19, v11
	v_cvt_f32_fp8_e32 v16, v16
	v_bfe_u32 v19, v0, 16, 1
	v_or_b32_e32 v20, 0x400000, v0
	v_bfe_u32 v21, v12, 16, 1
	v_cmp_u_f32_e64 s0, v0, v0
	v_mul_f32_e32 v10, s19, v10
	v_add3_u32 v19, v19, v0, 0x7fff
	v_or_b32_e32 v22, 0x400000, v12
	v_bfe_u32 v23, v15, 16, 1
	v_add3_u32 v21, v21, v12, 0x7fff
	v_mul_f32_e32 v16, s19, v16
	s_wait_alu 0xf1ff
	v_cndmask_b32_e64 v0, v19, v20, s0
	v_cmp_u_f32_e64 s0, v12, v12
	v_or_b32_e32 v24, 0x400000, v15
	v_bfe_u32 v25, v10, 16, 1
	v_add3_u32 v23, v23, v15, 0x7fff
	v_cvt_f32_fp8_e32 v18, v18
	s_wait_alu 0xf1ff
	v_cndmask_b32_e64 v12, v21, v22, s0
	v_cmp_u_f32_e64 s0, v15, v15
	v_or_b32_e32 v26, 0x400000, v10
	v_bfe_u32 v27, v16, 16, 1
	v_add3_u32 v25, v25, v10, 0x7fff
	v_mul_f32_e32 v18, s19, v18
	s_wait_alu 0xf1ff
	v_cndmask_b32_e64 v15, v23, v24, s0
	v_cmp_u_f32_e64 s0, v10, v10
	v_or_b32_e32 v28, 0x400000, v16
	v_bfe_u32 v29, v17, 16, 1
	v_add3_u32 v27, v27, v16, 0x7fff
	v_or_b32_e32 v30, 0x400000, v17
	s_wait_alu 0xf1ff
	v_cndmask_b32_e64 v10, v25, v26, s0
	v_cmp_u_f32_e64 s0, v16, v16
	v_bfe_u32 v31, v18, 16, 1
	v_add3_u32 v29, v29, v17, 0x7fff
	v_or_b32_e32 v32, 0x400000, v18
	v_bfe_u32 v33, v11, 16, 1
	s_wait_alu 0xf1ff
	v_cndmask_b32_e64 v16, v27, v28, s0
	v_cmp_u_f32_e64 s0, v17, v17
	v_add3_u32 v31, v31, v18, 0x7fff
	v_or_b32_e32 v34, 0x400000, v11
	v_add3_u32 v33, v33, v11, 0x7fff
	v_lshrrev_b32_e32 v97, 16, v0
	s_wait_alu 0xf1ff
	v_cndmask_b32_e64 v17, v29, v30, s0
	v_cmp_u_f32_e64 s0, v18, v18
	v_lshrrev_b32_e32 v98, 16, v12
	v_lshrrev_b32_e32 v95, 16, v15
	;; [unrolled: 1-line block ×4, first 2 shown]
	s_wait_alu 0xf1ff
	v_cndmask_b32_e64 v18, v31, v32, s0
	v_cmp_u_f32_e64 s0, v11, v11
	v_lshrrev_b32_e32 v94, 16, v17
	s_delay_alu instid0(VALU_DEP_3) | instskip(SKIP_1) | instid1(VALU_DEP_3)
	v_lshrrev_b32_e32 v91, 16, v18
	s_wait_alu 0xf1ff
	v_cndmask_b32_e64 v11, v33, v34, s0
	s_delay_alu instid0(VALU_DEP_1)
	v_lshrrev_b32_e32 v92, 16, v11
	s_and_saveexec_b32 s24, vcc_lo
	s_cbranch_execz .LBB356_53
; %bb.52:                               ;   in Loop: Header=BB356_38 Depth=1
	v_cmp_gt_i32_e64 s0, s34, v139
	s_wait_alu 0xf1ff
	s_delay_alu instid0(VALU_DEP_1) | instskip(SKIP_2) | instid1(VALU_DEP_1)
	v_cndmask_b32_e64 v97, 0, v97, s0
	v_cmp_gt_i32_e64 s0, s34, v149
	s_wait_alu 0xf1ff
	v_cndmask_b32_e64 v98, 0, v98, s0
	v_cmp_gt_i32_e64 s0, s34, v148
	s_wait_alu 0xf1ff
	s_delay_alu instid0(VALU_DEP_1) | instskip(SKIP_2) | instid1(VALU_DEP_1)
	v_cndmask_b32_e64 v95, 0, v95, s0
	v_cmp_gt_i32_e64 s0, s34, v147
	s_wait_alu 0xf1ff
	v_cndmask_b32_e64 v96, 0, v96, s0
	;; [unrolled: 7-line block ×4, first 2 shown]
.LBB356_53:                             ;   in Loop: Header=BB356_38 Depth=1
	s_or_b32 exec_lo, exec_lo, s24
	global_load_b64 v[10:11], v[13:14], off offset:1792
	s_wait_loadcnt 0x0
	v_bfe_u32 v15, v10, 16, 8
	v_bfe_u32 v17, v11, 8, 8
	;; [unrolled: 1-line block ×4, first 2 shown]
	s_delay_alu instid0(VALU_DEP_4)
	v_cvt_f32_fp8_e32 v15, v15
	v_and_b32_e32 v0, 0xff, v10
	v_cvt_f32_fp8_e32 v17, v17
	v_and_b32_e32 v16, 0xff, v11
	v_lshrrev_b32_e32 v11, 24, v11
	v_mul_f32_e32 v15, s19, v15
	v_cvt_f32_fp8_e32 v0, v0
	v_cvt_f32_fp8_e32 v12, v12
	v_lshrrev_b32_e32 v10, 24, v10
	v_cvt_f32_fp8_e32 v11, v11
	s_delay_alu instid0(VALU_DEP_4) | instskip(NEXT) | instid1(VALU_DEP_4)
	v_dual_mul_f32 v17, s19, v17 :: v_dual_mul_f32 v0, s19, v0
	v_mul_f32_e32 v12, s19, v12
	s_delay_alu instid0(VALU_DEP_4) | instskip(NEXT) | instid1(VALU_DEP_4)
	v_cvt_f32_fp8_e32 v10, v10
	v_mul_f32_e32 v11, s19, v11
	v_cvt_f32_fp8_e32 v16, v16
	v_bfe_u32 v19, v0, 16, 1
	v_or_b32_e32 v20, 0x400000, v0
	v_bfe_u32 v21, v12, 16, 1
	v_cmp_u_f32_e64 s0, v0, v0
	v_mul_f32_e32 v10, s19, v10
	v_add3_u32 v19, v19, v0, 0x7fff
	v_or_b32_e32 v22, 0x400000, v12
	v_bfe_u32 v23, v15, 16, 1
	v_add3_u32 v21, v21, v12, 0x7fff
	v_mul_f32_e32 v16, s19, v16
	s_wait_alu 0xf1ff
	v_cndmask_b32_e64 v0, v19, v20, s0
	v_cmp_u_f32_e64 s0, v12, v12
	v_or_b32_e32 v24, 0x400000, v15
	v_bfe_u32 v25, v10, 16, 1
	v_add3_u32 v23, v23, v15, 0x7fff
	v_cvt_f32_fp8_e32 v18, v18
	s_wait_alu 0xf1ff
	v_cndmask_b32_e64 v12, v21, v22, s0
	v_cmp_u_f32_e64 s0, v15, v15
	v_or_b32_e32 v26, 0x400000, v10
	v_bfe_u32 v27, v16, 16, 1
	v_add3_u32 v25, v25, v10, 0x7fff
	v_mul_f32_e32 v18, s19, v18
	s_wait_alu 0xf1ff
	v_cndmask_b32_e64 v15, v23, v24, s0
	v_cmp_u_f32_e64 s0, v10, v10
	v_or_b32_e32 v28, 0x400000, v16
	v_bfe_u32 v29, v17, 16, 1
	v_add3_u32 v27, v27, v16, 0x7fff
	v_or_b32_e32 v30, 0x400000, v17
	s_wait_alu 0xf1ff
	v_cndmask_b32_e64 v10, v25, v26, s0
	v_cmp_u_f32_e64 s0, v16, v16
	v_bfe_u32 v31, v18, 16, 1
	v_add3_u32 v29, v29, v17, 0x7fff
	v_or_b32_e32 v32, 0x400000, v18
	v_bfe_u32 v33, v11, 16, 1
	s_wait_alu 0xf1ff
	v_cndmask_b32_e64 v16, v27, v28, s0
	v_cmp_u_f32_e64 s0, v17, v17
	v_add3_u32 v31, v31, v18, 0x7fff
	v_or_b32_e32 v34, 0x400000, v11
	v_add3_u32 v33, v33, v11, 0x7fff
	v_lshrrev_b32_e32 v105, 16, v0
	s_wait_alu 0xf1ff
	v_cndmask_b32_e64 v17, v29, v30, s0
	v_cmp_u_f32_e64 s0, v18, v18
	v_lshrrev_b32_e32 v106, 16, v12
	v_lshrrev_b32_e32 v103, 16, v15
	;; [unrolled: 1-line block ×4, first 2 shown]
	s_wait_alu 0xf1ff
	v_cndmask_b32_e64 v18, v31, v32, s0
	v_cmp_u_f32_e64 s0, v11, v11
	v_lshrrev_b32_e32 v102, 16, v17
	s_delay_alu instid0(VALU_DEP_3) | instskip(SKIP_1) | instid1(VALU_DEP_3)
	v_lshrrev_b32_e32 v99, 16, v18
	s_wait_alu 0xf1ff
	v_cndmask_b32_e64 v11, v33, v34, s0
	s_delay_alu instid0(VALU_DEP_1)
	v_lshrrev_b32_e32 v100, 16, v11
	s_and_saveexec_b32 s24, vcc_lo
	s_cbranch_execz .LBB356_55
; %bb.54:                               ;   in Loop: Header=BB356_38 Depth=1
	v_cmp_gt_i32_e64 s0, s34, v139
	s_wait_alu 0xf1ff
	s_delay_alu instid0(VALU_DEP_1) | instskip(SKIP_2) | instid1(VALU_DEP_1)
	v_cndmask_b32_e64 v105, 0, v105, s0
	v_cmp_gt_i32_e64 s0, s34, v149
	s_wait_alu 0xf1ff
	v_cndmask_b32_e64 v106, 0, v106, s0
	v_cmp_gt_i32_e64 s0, s34, v148
	s_wait_alu 0xf1ff
	s_delay_alu instid0(VALU_DEP_1) | instskip(SKIP_2) | instid1(VALU_DEP_1)
	v_cndmask_b32_e64 v103, 0, v103, s0
	v_cmp_gt_i32_e64 s0, s34, v147
	s_wait_alu 0xf1ff
	v_cndmask_b32_e64 v104, 0, v104, s0
	;; [unrolled: 7-line block ×4, first 2 shown]
.LBB356_55:                             ;   in Loop: Header=BB356_38 Depth=1
	s_or_b32 exec_lo, exec_lo, s24
	global_load_b64 v[10:11], v[13:14], off offset:2048
	s_wait_loadcnt 0x0
	v_bfe_u32 v15, v10, 16, 8
	v_bfe_u32 v17, v11, 8, 8
	;; [unrolled: 1-line block ×4, first 2 shown]
	s_delay_alu instid0(VALU_DEP_4)
	v_cvt_f32_fp8_e32 v15, v15
	v_and_b32_e32 v0, 0xff, v10
	v_cvt_f32_fp8_e32 v17, v17
	v_and_b32_e32 v16, 0xff, v11
	v_lshrrev_b32_e32 v11, 24, v11
	v_mul_f32_e32 v15, s19, v15
	v_cvt_f32_fp8_e32 v0, v0
	v_cvt_f32_fp8_e32 v12, v12
	v_lshrrev_b32_e32 v10, 24, v10
	v_cvt_f32_fp8_e32 v11, v11
	s_delay_alu instid0(VALU_DEP_4) | instskip(NEXT) | instid1(VALU_DEP_4)
	v_dual_mul_f32 v17, s19, v17 :: v_dual_mul_f32 v0, s19, v0
	v_mul_f32_e32 v12, s19, v12
	s_delay_alu instid0(VALU_DEP_4) | instskip(NEXT) | instid1(VALU_DEP_4)
	v_cvt_f32_fp8_e32 v10, v10
	v_mul_f32_e32 v11, s19, v11
	v_cvt_f32_fp8_e32 v16, v16
	v_bfe_u32 v19, v0, 16, 1
	v_or_b32_e32 v20, 0x400000, v0
	v_bfe_u32 v21, v12, 16, 1
	v_cmp_u_f32_e64 s0, v0, v0
	v_mul_f32_e32 v10, s19, v10
	v_add3_u32 v19, v19, v0, 0x7fff
	v_or_b32_e32 v22, 0x400000, v12
	v_bfe_u32 v23, v15, 16, 1
	v_add3_u32 v21, v21, v12, 0x7fff
	v_mul_f32_e32 v16, s19, v16
	s_wait_alu 0xf1ff
	v_cndmask_b32_e64 v0, v19, v20, s0
	v_cmp_u_f32_e64 s0, v12, v12
	v_or_b32_e32 v24, 0x400000, v15
	v_bfe_u32 v25, v10, 16, 1
	v_add3_u32 v23, v23, v15, 0x7fff
	v_cvt_f32_fp8_e32 v18, v18
	s_wait_alu 0xf1ff
	v_cndmask_b32_e64 v12, v21, v22, s0
	v_cmp_u_f32_e64 s0, v15, v15
	v_or_b32_e32 v26, 0x400000, v10
	v_bfe_u32 v27, v16, 16, 1
	v_add3_u32 v25, v25, v10, 0x7fff
	v_mul_f32_e32 v18, s19, v18
	s_wait_alu 0xf1ff
	v_cndmask_b32_e64 v15, v23, v24, s0
	v_cmp_u_f32_e64 s0, v10, v10
	v_or_b32_e32 v28, 0x400000, v16
	v_bfe_u32 v29, v17, 16, 1
	v_add3_u32 v27, v27, v16, 0x7fff
	v_or_b32_e32 v30, 0x400000, v17
	s_wait_alu 0xf1ff
	v_cndmask_b32_e64 v10, v25, v26, s0
	v_cmp_u_f32_e64 s0, v16, v16
	v_bfe_u32 v31, v18, 16, 1
	v_add3_u32 v29, v29, v17, 0x7fff
	v_or_b32_e32 v32, 0x400000, v18
	v_bfe_u32 v33, v11, 16, 1
	s_wait_alu 0xf1ff
	v_cndmask_b32_e64 v16, v27, v28, s0
	v_cmp_u_f32_e64 s0, v17, v17
	v_add3_u32 v31, v31, v18, 0x7fff
	v_or_b32_e32 v34, 0x400000, v11
	v_add3_u32 v33, v33, v11, 0x7fff
	v_lshrrev_b32_e32 v113, 16, v0
	s_wait_alu 0xf1ff
	v_cndmask_b32_e64 v17, v29, v30, s0
	v_cmp_u_f32_e64 s0, v18, v18
	v_lshrrev_b32_e32 v114, 16, v12
	v_lshrrev_b32_e32 v111, 16, v15
	v_lshrrev_b32_e32 v112, 16, v10
	v_lshrrev_b32_e32 v109, 16, v16
	s_wait_alu 0xf1ff
	v_cndmask_b32_e64 v18, v31, v32, s0
	v_cmp_u_f32_e64 s0, v11, v11
	v_lshrrev_b32_e32 v110, 16, v17
	s_delay_alu instid0(VALU_DEP_3) | instskip(SKIP_1) | instid1(VALU_DEP_3)
	v_lshrrev_b32_e32 v107, 16, v18
	s_wait_alu 0xf1ff
	v_cndmask_b32_e64 v11, v33, v34, s0
	s_delay_alu instid0(VALU_DEP_1)
	v_lshrrev_b32_e32 v108, 16, v11
	s_and_saveexec_b32 s24, vcc_lo
	s_cbranch_execz .LBB356_57
; %bb.56:                               ;   in Loop: Header=BB356_38 Depth=1
	v_cmp_gt_i32_e64 s0, s34, v139
	s_wait_alu 0xf1ff
	s_delay_alu instid0(VALU_DEP_1) | instskip(SKIP_2) | instid1(VALU_DEP_1)
	v_cndmask_b32_e64 v113, 0, v113, s0
	v_cmp_gt_i32_e64 s0, s34, v149
	s_wait_alu 0xf1ff
	v_cndmask_b32_e64 v114, 0, v114, s0
	v_cmp_gt_i32_e64 s0, s34, v148
	s_wait_alu 0xf1ff
	s_delay_alu instid0(VALU_DEP_1) | instskip(SKIP_2) | instid1(VALU_DEP_1)
	v_cndmask_b32_e64 v111, 0, v111, s0
	v_cmp_gt_i32_e64 s0, s34, v147
	s_wait_alu 0xf1ff
	v_cndmask_b32_e64 v112, 0, v112, s0
	;; [unrolled: 7-line block ×4, first 2 shown]
.LBB356_57:                             ;   in Loop: Header=BB356_38 Depth=1
	s_or_b32 exec_lo, exec_lo, s24
	global_load_b64 v[10:11], v[13:14], off offset:2304
	s_wait_loadcnt 0x0
	v_bfe_u32 v15, v10, 16, 8
	v_bfe_u32 v17, v11, 8, 8
	v_bfe_u32 v12, v10, 8, 8
	v_bfe_u32 v18, v11, 16, 8
	s_delay_alu instid0(VALU_DEP_4)
	v_cvt_f32_fp8_e32 v15, v15
	v_and_b32_e32 v0, 0xff, v10
	v_cvt_f32_fp8_e32 v17, v17
	v_and_b32_e32 v16, 0xff, v11
	v_lshrrev_b32_e32 v11, 24, v11
	v_mul_f32_e32 v15, s19, v15
	v_cvt_f32_fp8_e32 v0, v0
	v_cvt_f32_fp8_e32 v12, v12
	v_lshrrev_b32_e32 v10, 24, v10
	v_cvt_f32_fp8_e32 v11, v11
	s_delay_alu instid0(VALU_DEP_4) | instskip(NEXT) | instid1(VALU_DEP_4)
	v_dual_mul_f32 v17, s19, v17 :: v_dual_mul_f32 v0, s19, v0
	v_mul_f32_e32 v12, s19, v12
	s_delay_alu instid0(VALU_DEP_4) | instskip(NEXT) | instid1(VALU_DEP_4)
	v_cvt_f32_fp8_e32 v10, v10
	v_mul_f32_e32 v11, s19, v11
	v_cvt_f32_fp8_e32 v16, v16
	v_bfe_u32 v19, v0, 16, 1
	v_or_b32_e32 v20, 0x400000, v0
	v_bfe_u32 v21, v12, 16, 1
	v_cmp_u_f32_e64 s0, v0, v0
	v_mul_f32_e32 v10, s19, v10
	v_add3_u32 v19, v19, v0, 0x7fff
	v_or_b32_e32 v22, 0x400000, v12
	v_bfe_u32 v23, v15, 16, 1
	v_add3_u32 v21, v21, v12, 0x7fff
	v_mul_f32_e32 v16, s19, v16
	s_wait_alu 0xf1ff
	v_cndmask_b32_e64 v0, v19, v20, s0
	v_cmp_u_f32_e64 s0, v12, v12
	v_or_b32_e32 v24, 0x400000, v15
	v_bfe_u32 v25, v10, 16, 1
	v_add3_u32 v23, v23, v15, 0x7fff
	v_cvt_f32_fp8_e32 v18, v18
	s_wait_alu 0xf1ff
	v_cndmask_b32_e64 v12, v21, v22, s0
	v_cmp_u_f32_e64 s0, v15, v15
	v_or_b32_e32 v26, 0x400000, v10
	v_bfe_u32 v27, v16, 16, 1
	v_add3_u32 v25, v25, v10, 0x7fff
	v_mul_f32_e32 v18, s19, v18
	s_wait_alu 0xf1ff
	v_cndmask_b32_e64 v15, v23, v24, s0
	v_cmp_u_f32_e64 s0, v10, v10
	v_or_b32_e32 v28, 0x400000, v16
	v_bfe_u32 v29, v17, 16, 1
	v_add3_u32 v27, v27, v16, 0x7fff
	v_or_b32_e32 v30, 0x400000, v17
	s_wait_alu 0xf1ff
	v_cndmask_b32_e64 v10, v25, v26, s0
	v_cmp_u_f32_e64 s0, v16, v16
	v_bfe_u32 v31, v18, 16, 1
	v_add3_u32 v29, v29, v17, 0x7fff
	v_or_b32_e32 v32, 0x400000, v18
	v_bfe_u32 v33, v11, 16, 1
	s_wait_alu 0xf1ff
	v_cndmask_b32_e64 v16, v27, v28, s0
	v_cmp_u_f32_e64 s0, v17, v17
	v_add3_u32 v31, v31, v18, 0x7fff
	v_or_b32_e32 v34, 0x400000, v11
	v_add3_u32 v33, v33, v11, 0x7fff
	v_lshrrev_b32_e32 v121, 16, v0
	s_wait_alu 0xf1ff
	v_cndmask_b32_e64 v17, v29, v30, s0
	v_cmp_u_f32_e64 s0, v18, v18
	v_lshrrev_b32_e32 v122, 16, v12
	v_lshrrev_b32_e32 v119, 16, v15
	;; [unrolled: 1-line block ×4, first 2 shown]
	s_wait_alu 0xf1ff
	v_cndmask_b32_e64 v18, v31, v32, s0
	v_cmp_u_f32_e64 s0, v11, v11
	v_lshrrev_b32_e32 v118, 16, v17
	s_delay_alu instid0(VALU_DEP_3) | instskip(SKIP_1) | instid1(VALU_DEP_3)
	v_lshrrev_b32_e32 v115, 16, v18
	s_wait_alu 0xf1ff
	v_cndmask_b32_e64 v11, v33, v34, s0
	s_delay_alu instid0(VALU_DEP_1)
	v_lshrrev_b32_e32 v116, 16, v11
	s_and_saveexec_b32 s24, vcc_lo
	s_cbranch_execz .LBB356_59
; %bb.58:                               ;   in Loop: Header=BB356_38 Depth=1
	v_cmp_gt_i32_e64 s0, s34, v139
	s_wait_alu 0xf1ff
	s_delay_alu instid0(VALU_DEP_1) | instskip(SKIP_2) | instid1(VALU_DEP_1)
	v_cndmask_b32_e64 v121, 0, v121, s0
	v_cmp_gt_i32_e64 s0, s34, v149
	s_wait_alu 0xf1ff
	v_cndmask_b32_e64 v122, 0, v122, s0
	v_cmp_gt_i32_e64 s0, s34, v148
	s_wait_alu 0xf1ff
	s_delay_alu instid0(VALU_DEP_1) | instskip(SKIP_2) | instid1(VALU_DEP_1)
	v_cndmask_b32_e64 v119, 0, v119, s0
	v_cmp_gt_i32_e64 s0, s34, v147
	s_wait_alu 0xf1ff
	v_cndmask_b32_e64 v120, 0, v120, s0
	;; [unrolled: 7-line block ×4, first 2 shown]
.LBB356_59:                             ;   in Loop: Header=BB356_38 Depth=1
	s_or_b32 exec_lo, exec_lo, s24
	global_load_b64 v[10:11], v[13:14], off offset:2560
	s_wait_loadcnt 0x0
	v_bfe_u32 v15, v10, 16, 8
	v_bfe_u32 v17, v11, 8, 8
	;; [unrolled: 1-line block ×4, first 2 shown]
	s_delay_alu instid0(VALU_DEP_4)
	v_cvt_f32_fp8_e32 v15, v15
	v_and_b32_e32 v0, 0xff, v10
	v_cvt_f32_fp8_e32 v17, v17
	v_and_b32_e32 v16, 0xff, v11
	v_lshrrev_b32_e32 v11, 24, v11
	v_mul_f32_e32 v15, s19, v15
	v_cvt_f32_fp8_e32 v0, v0
	v_cvt_f32_fp8_e32 v12, v12
	v_lshrrev_b32_e32 v10, 24, v10
	v_cvt_f32_fp8_e32 v11, v11
	s_delay_alu instid0(VALU_DEP_4) | instskip(NEXT) | instid1(VALU_DEP_4)
	v_dual_mul_f32 v17, s19, v17 :: v_dual_mul_f32 v0, s19, v0
	v_mul_f32_e32 v12, s19, v12
	s_delay_alu instid0(VALU_DEP_4) | instskip(NEXT) | instid1(VALU_DEP_4)
	v_cvt_f32_fp8_e32 v10, v10
	v_mul_f32_e32 v11, s19, v11
	v_cvt_f32_fp8_e32 v16, v16
	v_bfe_u32 v19, v0, 16, 1
	v_or_b32_e32 v20, 0x400000, v0
	v_bfe_u32 v21, v12, 16, 1
	v_cmp_u_f32_e64 s0, v0, v0
	v_mul_f32_e32 v10, s19, v10
	v_add3_u32 v19, v19, v0, 0x7fff
	v_or_b32_e32 v22, 0x400000, v12
	v_bfe_u32 v23, v15, 16, 1
	v_add3_u32 v21, v21, v12, 0x7fff
	v_mul_f32_e32 v16, s19, v16
	s_wait_alu 0xf1ff
	v_cndmask_b32_e64 v0, v19, v20, s0
	v_cmp_u_f32_e64 s0, v12, v12
	v_or_b32_e32 v24, 0x400000, v15
	v_bfe_u32 v25, v10, 16, 1
	v_add3_u32 v23, v23, v15, 0x7fff
	v_cvt_f32_fp8_e32 v18, v18
	s_wait_alu 0xf1ff
	v_cndmask_b32_e64 v12, v21, v22, s0
	v_cmp_u_f32_e64 s0, v15, v15
	v_or_b32_e32 v26, 0x400000, v10
	v_bfe_u32 v27, v16, 16, 1
	v_add3_u32 v25, v25, v10, 0x7fff
	v_mul_f32_e32 v18, s19, v18
	s_wait_alu 0xf1ff
	v_cndmask_b32_e64 v15, v23, v24, s0
	v_cmp_u_f32_e64 s0, v10, v10
	v_or_b32_e32 v28, 0x400000, v16
	v_bfe_u32 v29, v17, 16, 1
	v_add3_u32 v27, v27, v16, 0x7fff
	v_or_b32_e32 v30, 0x400000, v17
	s_wait_alu 0xf1ff
	v_cndmask_b32_e64 v10, v25, v26, s0
	v_cmp_u_f32_e64 s0, v16, v16
	v_bfe_u32 v31, v18, 16, 1
	v_add3_u32 v29, v29, v17, 0x7fff
	v_or_b32_e32 v32, 0x400000, v18
	v_bfe_u32 v33, v11, 16, 1
	s_wait_alu 0xf1ff
	v_cndmask_b32_e64 v16, v27, v28, s0
	v_cmp_u_f32_e64 s0, v17, v17
	v_add3_u32 v31, v31, v18, 0x7fff
	v_or_b32_e32 v34, 0x400000, v11
	v_add3_u32 v33, v33, v11, 0x7fff
	v_lshrrev_b32_e32 v129, 16, v0
	s_wait_alu 0xf1ff
	v_cndmask_b32_e64 v17, v29, v30, s0
	v_cmp_u_f32_e64 s0, v18, v18
	v_lshrrev_b32_e32 v130, 16, v12
	v_lshrrev_b32_e32 v127, 16, v15
	;; [unrolled: 1-line block ×4, first 2 shown]
	s_wait_alu 0xf1ff
	v_cndmask_b32_e64 v18, v31, v32, s0
	v_cmp_u_f32_e64 s0, v11, v11
	v_lshrrev_b32_e32 v126, 16, v17
	s_delay_alu instid0(VALU_DEP_3) | instskip(SKIP_1) | instid1(VALU_DEP_3)
	v_lshrrev_b32_e32 v123, 16, v18
	s_wait_alu 0xf1ff
	v_cndmask_b32_e64 v11, v33, v34, s0
	s_delay_alu instid0(VALU_DEP_1)
	v_lshrrev_b32_e32 v124, 16, v11
	s_and_saveexec_b32 s24, vcc_lo
	s_cbranch_execz .LBB356_61
; %bb.60:                               ;   in Loop: Header=BB356_38 Depth=1
	v_cmp_gt_i32_e64 s0, s34, v139
	s_wait_alu 0xf1ff
	s_delay_alu instid0(VALU_DEP_1) | instskip(SKIP_2) | instid1(VALU_DEP_1)
	v_cndmask_b32_e64 v129, 0, v129, s0
	v_cmp_gt_i32_e64 s0, s34, v149
	s_wait_alu 0xf1ff
	v_cndmask_b32_e64 v130, 0, v130, s0
	v_cmp_gt_i32_e64 s0, s34, v148
	s_wait_alu 0xf1ff
	s_delay_alu instid0(VALU_DEP_1) | instskip(SKIP_2) | instid1(VALU_DEP_1)
	v_cndmask_b32_e64 v127, 0, v127, s0
	v_cmp_gt_i32_e64 s0, s34, v147
	s_wait_alu 0xf1ff
	v_cndmask_b32_e64 v128, 0, v128, s0
	;; [unrolled: 7-line block ×4, first 2 shown]
.LBB356_61:                             ;   in Loop: Header=BB356_38 Depth=1
	s_or_b32 exec_lo, exec_lo, s24
	global_load_b64 v[10:11], v[13:14], off offset:2816
	s_wait_loadcnt 0x0
	v_bfe_u32 v15, v10, 16, 8
	v_bfe_u32 v17, v11, 8, 8
	;; [unrolled: 1-line block ×4, first 2 shown]
	s_delay_alu instid0(VALU_DEP_4)
	v_cvt_f32_fp8_e32 v15, v15
	v_and_b32_e32 v0, 0xff, v10
	v_cvt_f32_fp8_e32 v17, v17
	v_and_b32_e32 v16, 0xff, v11
	v_lshrrev_b32_e32 v11, 24, v11
	v_mul_f32_e32 v15, s19, v15
	v_cvt_f32_fp8_e32 v0, v0
	v_cvt_f32_fp8_e32 v12, v12
	v_lshrrev_b32_e32 v10, 24, v10
	v_cvt_f32_fp8_e32 v11, v11
	s_delay_alu instid0(VALU_DEP_4) | instskip(NEXT) | instid1(VALU_DEP_4)
	v_dual_mul_f32 v17, s19, v17 :: v_dual_mul_f32 v0, s19, v0
	v_mul_f32_e32 v12, s19, v12
	s_delay_alu instid0(VALU_DEP_4) | instskip(NEXT) | instid1(VALU_DEP_4)
	v_cvt_f32_fp8_e32 v10, v10
	v_mul_f32_e32 v11, s19, v11
	v_cvt_f32_fp8_e32 v16, v16
	v_bfe_u32 v19, v0, 16, 1
	v_or_b32_e32 v20, 0x400000, v0
	v_bfe_u32 v21, v12, 16, 1
	v_cmp_u_f32_e64 s0, v0, v0
	v_mul_f32_e32 v10, s19, v10
	v_add3_u32 v19, v19, v0, 0x7fff
	v_or_b32_e32 v22, 0x400000, v12
	v_bfe_u32 v23, v15, 16, 1
	v_add3_u32 v21, v21, v12, 0x7fff
	v_mul_f32_e32 v16, s19, v16
	s_wait_alu 0xf1ff
	v_cndmask_b32_e64 v0, v19, v20, s0
	v_cmp_u_f32_e64 s0, v12, v12
	v_or_b32_e32 v24, 0x400000, v15
	v_bfe_u32 v25, v10, 16, 1
	v_add3_u32 v23, v23, v15, 0x7fff
	v_cvt_f32_fp8_e32 v18, v18
	s_wait_alu 0xf1ff
	v_cndmask_b32_e64 v12, v21, v22, s0
	v_cmp_u_f32_e64 s0, v15, v15
	v_or_b32_e32 v26, 0x400000, v10
	v_bfe_u32 v27, v16, 16, 1
	v_add3_u32 v25, v25, v10, 0x7fff
	v_mul_f32_e32 v18, s19, v18
	s_wait_alu 0xf1ff
	v_cndmask_b32_e64 v15, v23, v24, s0
	v_cmp_u_f32_e64 s0, v10, v10
	v_or_b32_e32 v28, 0x400000, v16
	v_bfe_u32 v29, v17, 16, 1
	v_add3_u32 v27, v27, v16, 0x7fff
	v_or_b32_e32 v30, 0x400000, v17
	s_wait_alu 0xf1ff
	v_cndmask_b32_e64 v10, v25, v26, s0
	v_cmp_u_f32_e64 s0, v16, v16
	v_bfe_u32 v31, v18, 16, 1
	v_add3_u32 v29, v29, v17, 0x7fff
	v_or_b32_e32 v32, 0x400000, v18
	v_bfe_u32 v33, v11, 16, 1
	s_wait_alu 0xf1ff
	v_cndmask_b32_e64 v16, v27, v28, s0
	v_cmp_u_f32_e64 s0, v17, v17
	v_add3_u32 v31, v31, v18, 0x7fff
	v_or_b32_e32 v34, 0x400000, v11
	v_add3_u32 v33, v33, v11, 0x7fff
	v_lshrrev_b32_e32 v137, 16, v0
	s_wait_alu 0xf1ff
	v_cndmask_b32_e64 v17, v29, v30, s0
	v_cmp_u_f32_e64 s0, v18, v18
	v_lshrrev_b32_e32 v138, 16, v12
	v_lshrrev_b32_e32 v135, 16, v15
	;; [unrolled: 1-line block ×4, first 2 shown]
	s_wait_alu 0xf1ff
	v_cndmask_b32_e64 v18, v31, v32, s0
	v_cmp_u_f32_e64 s0, v11, v11
	v_lshrrev_b32_e32 v134, 16, v17
	s_delay_alu instid0(VALU_DEP_3) | instskip(SKIP_1) | instid1(VALU_DEP_3)
	v_lshrrev_b32_e32 v131, 16, v18
	s_wait_alu 0xf1ff
	v_cndmask_b32_e64 v11, v33, v34, s0
	s_delay_alu instid0(VALU_DEP_1)
	v_lshrrev_b32_e32 v132, 16, v11
	s_and_saveexec_b32 s24, vcc_lo
	s_cbranch_execz .LBB356_63
; %bb.62:                               ;   in Loop: Header=BB356_38 Depth=1
	v_cmp_gt_i32_e64 s0, s34, v139
	s_wait_alu 0xf1ff
	s_delay_alu instid0(VALU_DEP_1) | instskip(SKIP_2) | instid1(VALU_DEP_1)
	v_cndmask_b32_e64 v137, 0, v137, s0
	v_cmp_gt_i32_e64 s0, s34, v149
	s_wait_alu 0xf1ff
	v_cndmask_b32_e64 v138, 0, v138, s0
	v_cmp_gt_i32_e64 s0, s34, v148
	s_wait_alu 0xf1ff
	s_delay_alu instid0(VALU_DEP_1) | instskip(SKIP_2) | instid1(VALU_DEP_1)
	v_cndmask_b32_e64 v135, 0, v135, s0
	v_cmp_gt_i32_e64 s0, s34, v147
	s_wait_alu 0xf1ff
	v_cndmask_b32_e64 v136, 0, v136, s0
	;; [unrolled: 7-line block ×4, first 2 shown]
.LBB356_63:                             ;   in Loop: Header=BB356_38 Depth=1
	s_or_b32 exec_lo, exec_lo, s24
	global_load_b64 v[10:11], v[13:14], off offset:3072
	s_wait_loadcnt 0x0
	v_bfe_u32 v15, v10, 16, 8
	v_bfe_u32 v17, v11, 8, 8
	;; [unrolled: 1-line block ×4, first 2 shown]
	s_delay_alu instid0(VALU_DEP_4)
	v_cvt_f32_fp8_e32 v15, v15
	v_and_b32_e32 v0, 0xff, v10
	v_cvt_f32_fp8_e32 v17, v17
	v_and_b32_e32 v16, 0xff, v11
	v_lshrrev_b32_e32 v11, 24, v11
	v_mul_f32_e32 v15, s19, v15
	v_cvt_f32_fp8_e32 v0, v0
	v_cvt_f32_fp8_e32 v12, v12
	v_lshrrev_b32_e32 v10, 24, v10
	v_cvt_f32_fp8_e32 v11, v11
	s_delay_alu instid0(VALU_DEP_4) | instskip(NEXT) | instid1(VALU_DEP_4)
	v_dual_mul_f32 v17, s19, v17 :: v_dual_mul_f32 v0, s19, v0
	v_mul_f32_e32 v12, s19, v12
	s_delay_alu instid0(VALU_DEP_4) | instskip(NEXT) | instid1(VALU_DEP_4)
	v_cvt_f32_fp8_e32 v10, v10
	v_mul_f32_e32 v11, s19, v11
	v_cvt_f32_fp8_e32 v16, v16
	v_bfe_u32 v19, v0, 16, 1
	v_or_b32_e32 v20, 0x400000, v0
	v_bfe_u32 v21, v12, 16, 1
	v_cmp_u_f32_e64 s0, v0, v0
	v_mul_f32_e32 v10, s19, v10
	v_add3_u32 v19, v19, v0, 0x7fff
	v_or_b32_e32 v22, 0x400000, v12
	v_bfe_u32 v23, v15, 16, 1
	v_add3_u32 v21, v21, v12, 0x7fff
	v_mul_f32_e32 v16, s19, v16
	s_wait_alu 0xf1ff
	v_cndmask_b32_e64 v0, v19, v20, s0
	v_cmp_u_f32_e64 s0, v12, v12
	v_or_b32_e32 v24, 0x400000, v15
	v_bfe_u32 v25, v10, 16, 1
	v_add3_u32 v23, v23, v15, 0x7fff
	v_cvt_f32_fp8_e32 v18, v18
	s_wait_alu 0xf1ff
	v_cndmask_b32_e64 v12, v21, v22, s0
	v_cmp_u_f32_e64 s0, v15, v15
	v_or_b32_e32 v26, 0x400000, v10
	v_bfe_u32 v27, v16, 16, 1
	v_add3_u32 v25, v25, v10, 0x7fff
	v_mul_f32_e32 v18, s19, v18
	s_wait_alu 0xf1ff
	v_cndmask_b32_e64 v15, v23, v24, s0
	v_cmp_u_f32_e64 s0, v10, v10
	v_or_b32_e32 v28, 0x400000, v16
	v_bfe_u32 v29, v17, 16, 1
	v_add3_u32 v27, v27, v16, 0x7fff
	v_or_b32_e32 v30, 0x400000, v17
	s_wait_alu 0xf1ff
	v_cndmask_b32_e64 v10, v25, v26, s0
	v_cmp_u_f32_e64 s0, v16, v16
	v_bfe_u32 v31, v18, 16, 1
	v_add3_u32 v29, v29, v17, 0x7fff
	v_or_b32_e32 v32, 0x400000, v18
	v_bfe_u32 v33, v11, 16, 1
	s_wait_alu 0xf1ff
	v_cndmask_b32_e64 v16, v27, v28, s0
	v_cmp_u_f32_e64 s0, v17, v17
	v_add3_u32 v31, v31, v18, 0x7fff
	v_or_b32_e32 v34, 0x400000, v11
	v_add3_u32 v33, v33, v11, 0x7fff
	v_lshrrev_b32_e32 v152, 16, v0
	s_wait_alu 0xf1ff
	v_cndmask_b32_e64 v17, v29, v30, s0
	v_cmp_u_f32_e64 s0, v18, v18
	v_lshrrev_b32_e32 v154, 16, v12
	v_lshrrev_b32_e32 v150, 16, v15
	;; [unrolled: 1-line block ×4, first 2 shown]
	s_wait_alu 0xf1ff
	v_cndmask_b32_e64 v18, v31, v32, s0
	v_cmp_u_f32_e64 s0, v11, v11
	v_lshrrev_b32_e32 v146, 16, v17
	s_delay_alu instid0(VALU_DEP_3) | instskip(SKIP_1) | instid1(VALU_DEP_3)
	v_lshrrev_b32_e32 v140, 16, v18
	s_wait_alu 0xf1ff
	v_cndmask_b32_e64 v11, v33, v34, s0
	s_delay_alu instid0(VALU_DEP_1)
	v_lshrrev_b32_e32 v141, 16, v11
	s_and_saveexec_b32 s24, vcc_lo
	s_cbranch_execz .LBB356_65
; %bb.64:                               ;   in Loop: Header=BB356_38 Depth=1
	v_cmp_gt_i32_e64 s0, s34, v139
	s_wait_alu 0xf1ff
	s_delay_alu instid0(VALU_DEP_1) | instskip(SKIP_2) | instid1(VALU_DEP_1)
	v_cndmask_b32_e64 v152, 0, v152, s0
	v_cmp_gt_i32_e64 s0, s34, v149
	s_wait_alu 0xf1ff
	v_cndmask_b32_e64 v154, 0, v154, s0
	v_cmp_gt_i32_e64 s0, s34, v148
	s_wait_alu 0xf1ff
	s_delay_alu instid0(VALU_DEP_1) | instskip(SKIP_2) | instid1(VALU_DEP_1)
	v_cndmask_b32_e64 v150, 0, v150, s0
	v_cmp_gt_i32_e64 s0, s34, v147
	s_wait_alu 0xf1ff
	v_cndmask_b32_e64 v151, 0, v151, s0
	;; [unrolled: 7-line block ×4, first 2 shown]
.LBB356_65:                             ;   in Loop: Header=BB356_38 Depth=1
	s_or_b32 exec_lo, exec_lo, s24
	global_load_b64 v[10:11], v[13:14], off offset:3328
	s_wait_loadcnt 0x0
	v_bfe_u32 v15, v10, 16, 8
	v_bfe_u32 v17, v11, 8, 8
	;; [unrolled: 1-line block ×4, first 2 shown]
	s_delay_alu instid0(VALU_DEP_4)
	v_cvt_f32_fp8_e32 v15, v15
	v_and_b32_e32 v0, 0xff, v10
	v_cvt_f32_fp8_e32 v17, v17
	v_and_b32_e32 v16, 0xff, v11
	v_lshrrev_b32_e32 v11, 24, v11
	v_mul_f32_e32 v15, s19, v15
	v_cvt_f32_fp8_e32 v0, v0
	v_cvt_f32_fp8_e32 v12, v12
	v_lshrrev_b32_e32 v10, 24, v10
	v_cvt_f32_fp8_e32 v11, v11
	s_delay_alu instid0(VALU_DEP_4) | instskip(NEXT) | instid1(VALU_DEP_4)
	v_dual_mul_f32 v17, s19, v17 :: v_dual_mul_f32 v0, s19, v0
	v_mul_f32_e32 v12, s19, v12
	s_delay_alu instid0(VALU_DEP_4) | instskip(NEXT) | instid1(VALU_DEP_4)
	v_cvt_f32_fp8_e32 v10, v10
	v_mul_f32_e32 v11, s19, v11
	v_cvt_f32_fp8_e32 v16, v16
	v_bfe_u32 v19, v0, 16, 1
	v_or_b32_e32 v20, 0x400000, v0
	v_bfe_u32 v21, v12, 16, 1
	v_cmp_u_f32_e64 s0, v0, v0
	v_mul_f32_e32 v10, s19, v10
	v_add3_u32 v19, v19, v0, 0x7fff
	v_or_b32_e32 v22, 0x400000, v12
	v_bfe_u32 v23, v15, 16, 1
	v_add3_u32 v21, v21, v12, 0x7fff
	v_mul_f32_e32 v16, s19, v16
	s_wait_alu 0xf1ff
	v_cndmask_b32_e64 v0, v19, v20, s0
	v_cmp_u_f32_e64 s0, v12, v12
	v_or_b32_e32 v24, 0x400000, v15
	v_bfe_u32 v25, v10, 16, 1
	v_add3_u32 v23, v23, v15, 0x7fff
	v_cvt_f32_fp8_e32 v18, v18
	s_wait_alu 0xf1ff
	v_cndmask_b32_e64 v12, v21, v22, s0
	v_cmp_u_f32_e64 s0, v15, v15
	v_or_b32_e32 v26, 0x400000, v10
	v_bfe_u32 v27, v16, 16, 1
	v_add3_u32 v25, v25, v10, 0x7fff
	v_mul_f32_e32 v18, s19, v18
	s_wait_alu 0xf1ff
	v_cndmask_b32_e64 v15, v23, v24, s0
	v_cmp_u_f32_e64 s0, v10, v10
	v_or_b32_e32 v28, 0x400000, v16
	v_bfe_u32 v29, v17, 16, 1
	v_add3_u32 v27, v27, v16, 0x7fff
	v_or_b32_e32 v30, 0x400000, v17
	s_wait_alu 0xf1ff
	v_cndmask_b32_e64 v10, v25, v26, s0
	v_cmp_u_f32_e64 s0, v16, v16
	v_bfe_u32 v31, v18, 16, 1
	v_add3_u32 v29, v29, v17, 0x7fff
	v_or_b32_e32 v32, 0x400000, v18
	v_bfe_u32 v33, v11, 16, 1
	s_wait_alu 0xf1ff
	v_cndmask_b32_e64 v16, v27, v28, s0
	v_cmp_u_f32_e64 s0, v17, v17
	v_add3_u32 v31, v31, v18, 0x7fff
	v_or_b32_e32 v34, 0x400000, v11
	v_add3_u32 v33, v33, v11, 0x7fff
	v_lshrrev_b32_e32 v161, 16, v0
	s_wait_alu 0xf1ff
	v_cndmask_b32_e64 v17, v29, v30, s0
	v_cmp_u_f32_e64 s0, v18, v18
	v_lshrrev_b32_e32 v162, 16, v12
	v_lshrrev_b32_e32 v159, 16, v15
	;; [unrolled: 1-line block ×4, first 2 shown]
	s_wait_alu 0xf1ff
	v_cndmask_b32_e64 v18, v31, v32, s0
	v_cmp_u_f32_e64 s0, v11, v11
	v_lshrrev_b32_e32 v158, 16, v17
	s_delay_alu instid0(VALU_DEP_3) | instskip(SKIP_1) | instid1(VALU_DEP_3)
	v_lshrrev_b32_e32 v155, 16, v18
	s_wait_alu 0xf1ff
	v_cndmask_b32_e64 v11, v33, v34, s0
	s_delay_alu instid0(VALU_DEP_1)
	v_lshrrev_b32_e32 v156, 16, v11
	s_and_saveexec_b32 s24, vcc_lo
	s_cbranch_execz .LBB356_67
; %bb.66:                               ;   in Loop: Header=BB356_38 Depth=1
	v_cmp_gt_i32_e64 s0, s34, v139
	s_wait_alu 0xf1ff
	s_delay_alu instid0(VALU_DEP_1) | instskip(SKIP_2) | instid1(VALU_DEP_1)
	v_cndmask_b32_e64 v161, 0, v161, s0
	v_cmp_gt_i32_e64 s0, s34, v149
	s_wait_alu 0xf1ff
	v_cndmask_b32_e64 v162, 0, v162, s0
	v_cmp_gt_i32_e64 s0, s34, v148
	s_wait_alu 0xf1ff
	s_delay_alu instid0(VALU_DEP_1) | instskip(SKIP_2) | instid1(VALU_DEP_1)
	v_cndmask_b32_e64 v159, 0, v159, s0
	v_cmp_gt_i32_e64 s0, s34, v147
	s_wait_alu 0xf1ff
	v_cndmask_b32_e64 v160, 0, v160, s0
	;; [unrolled: 7-line block ×4, first 2 shown]
.LBB356_67:                             ;   in Loop: Header=BB356_38 Depth=1
	s_or_b32 exec_lo, exec_lo, s24
	global_load_b64 v[10:11], v[13:14], off offset:3584
	s_wait_loadcnt 0x0
	v_bfe_u32 v15, v10, 16, 8
	v_bfe_u32 v17, v11, 8, 8
	;; [unrolled: 1-line block ×4, first 2 shown]
	s_delay_alu instid0(VALU_DEP_4)
	v_cvt_f32_fp8_e32 v15, v15
	v_and_b32_e32 v0, 0xff, v10
	v_cvt_f32_fp8_e32 v17, v17
	v_and_b32_e32 v16, 0xff, v11
	v_lshrrev_b32_e32 v11, 24, v11
	v_mul_f32_e32 v15, s19, v15
	v_cvt_f32_fp8_e32 v0, v0
	v_cvt_f32_fp8_e32 v12, v12
	v_lshrrev_b32_e32 v10, 24, v10
	v_cvt_f32_fp8_e32 v11, v11
	s_delay_alu instid0(VALU_DEP_4) | instskip(NEXT) | instid1(VALU_DEP_4)
	v_dual_mul_f32 v17, s19, v17 :: v_dual_mul_f32 v0, s19, v0
	v_mul_f32_e32 v12, s19, v12
	s_delay_alu instid0(VALU_DEP_4) | instskip(NEXT) | instid1(VALU_DEP_4)
	v_cvt_f32_fp8_e32 v10, v10
	v_mul_f32_e32 v11, s19, v11
	v_cvt_f32_fp8_e32 v16, v16
	v_bfe_u32 v19, v0, 16, 1
	v_or_b32_e32 v20, 0x400000, v0
	v_bfe_u32 v21, v12, 16, 1
	v_cmp_u_f32_e64 s0, v0, v0
	v_mul_f32_e32 v10, s19, v10
	v_add3_u32 v19, v19, v0, 0x7fff
	v_or_b32_e32 v22, 0x400000, v12
	v_bfe_u32 v23, v15, 16, 1
	v_add3_u32 v21, v21, v12, 0x7fff
	v_mul_f32_e32 v16, s19, v16
	s_wait_alu 0xf1ff
	v_cndmask_b32_e64 v0, v19, v20, s0
	v_cmp_u_f32_e64 s0, v12, v12
	v_or_b32_e32 v24, 0x400000, v15
	v_bfe_u32 v25, v10, 16, 1
	v_add3_u32 v23, v23, v15, 0x7fff
	v_cvt_f32_fp8_e32 v18, v18
	s_wait_alu 0xf1ff
	v_cndmask_b32_e64 v12, v21, v22, s0
	v_cmp_u_f32_e64 s0, v15, v15
	v_or_b32_e32 v26, 0x400000, v10
	v_bfe_u32 v27, v16, 16, 1
	v_add3_u32 v25, v25, v10, 0x7fff
	v_mul_f32_e32 v18, s19, v18
	s_wait_alu 0xf1ff
	v_cndmask_b32_e64 v15, v23, v24, s0
	v_cmp_u_f32_e64 s0, v10, v10
	v_or_b32_e32 v28, 0x400000, v16
	v_bfe_u32 v29, v17, 16, 1
	v_add3_u32 v27, v27, v16, 0x7fff
	v_or_b32_e32 v30, 0x400000, v17
	s_wait_alu 0xf1ff
	v_cndmask_b32_e64 v10, v25, v26, s0
	v_cmp_u_f32_e64 s0, v16, v16
	v_bfe_u32 v31, v18, 16, 1
	v_add3_u32 v29, v29, v17, 0x7fff
	v_or_b32_e32 v32, 0x400000, v18
	v_bfe_u32 v33, v11, 16, 1
	s_wait_alu 0xf1ff
	v_cndmask_b32_e64 v16, v27, v28, s0
	v_cmp_u_f32_e64 s0, v17, v17
	v_add3_u32 v31, v31, v18, 0x7fff
	v_or_b32_e32 v34, 0x400000, v11
	v_add3_u32 v33, v33, v11, 0x7fff
	v_lshrrev_b32_e32 v169, 16, v0
	s_wait_alu 0xf1ff
	v_cndmask_b32_e64 v17, v29, v30, s0
	v_cmp_u_f32_e64 s0, v18, v18
	v_lshrrev_b32_e32 v29, 16, v12
	v_lshrrev_b32_e32 v167, 16, v15
	;; [unrolled: 1-line block ×4, first 2 shown]
	s_wait_alu 0xf1ff
	v_cndmask_b32_e64 v18, v31, v32, s0
	v_cmp_u_f32_e64 s0, v11, v11
	v_lshrrev_b32_e32 v166, 16, v17
	s_delay_alu instid0(VALU_DEP_3) | instskip(SKIP_1) | instid1(VALU_DEP_3)
	v_lshrrev_b32_e32 v163, 16, v18
	s_wait_alu 0xf1ff
	v_cndmask_b32_e64 v11, v33, v34, s0
	s_delay_alu instid0(VALU_DEP_1)
	v_lshrrev_b32_e32 v165, 16, v11
	s_and_saveexec_b32 s24, vcc_lo
	s_cbranch_execz .LBB356_69
; %bb.68:                               ;   in Loop: Header=BB356_38 Depth=1
	v_cmp_gt_i32_e64 s0, s34, v139
	s_wait_alu 0xf1ff
	s_delay_alu instid0(VALU_DEP_1) | instskip(SKIP_2) | instid1(VALU_DEP_1)
	v_cndmask_b32_e64 v169, 0, v169, s0
	v_cmp_gt_i32_e64 s0, s34, v149
	s_wait_alu 0xf1ff
	v_cndmask_b32_e64 v29, 0, v29, s0
	v_cmp_gt_i32_e64 s0, s34, v148
	s_wait_alu 0xf1ff
	s_delay_alu instid0(VALU_DEP_1) | instskip(SKIP_2) | instid1(VALU_DEP_1)
	v_cndmask_b32_e64 v167, 0, v167, s0
	v_cmp_gt_i32_e64 s0, s34, v147
	s_wait_alu 0xf1ff
	v_cndmask_b32_e64 v168, 0, v168, s0
	;; [unrolled: 7-line block ×4, first 2 shown]
.LBB356_69:                             ;   in Loop: Header=BB356_38 Depth=1
	s_or_b32 exec_lo, exec_lo, s24
	global_load_b64 v[10:11], v[13:14], off offset:3840
	s_wait_loadcnt 0x0
	v_and_b32_e32 v0, 0xff, v10
	s_delay_alu instid0(VALU_DEP_1) | instskip(NEXT) | instid1(VALU_DEP_1)
	v_cvt_f32_fp8_e32 v0, v0
	v_mul_f32_e32 v0, s19, v0
	s_delay_alu instid0(VALU_DEP_1) | instskip(SKIP_2) | instid1(VALU_DEP_3)
	v_bfe_u32 v12, v0, 16, 1
	v_or_b32_e32 v15, 0x400000, v0
	v_cmp_u_f32_e64 s0, v0, v0
	v_add3_u32 v12, v12, v0, 0x7fff
	s_wait_alu 0xf1ff
	s_delay_alu instid0(VALU_DEP_1) | instskip(NEXT) | instid1(VALU_DEP_1)
	v_cndmask_b32_e64 v0, v12, v15, s0
	v_lshrrev_b32_e32 v177, 16, v0
	v_bfe_u32 v0, v10, 8, 8
	s_delay_alu instid0(VALU_DEP_1) | instskip(NEXT) | instid1(VALU_DEP_1)
	v_cvt_f32_fp8_e32 v0, v0
	v_mul_f32_e32 v0, s19, v0
	s_delay_alu instid0(VALU_DEP_1) | instskip(SKIP_2) | instid1(VALU_DEP_3)
	v_bfe_u32 v12, v0, 16, 1
	v_or_b32_e32 v15, 0x400000, v0
	v_cmp_u_f32_e64 s0, v0, v0
	v_add3_u32 v12, v12, v0, 0x7fff
	s_wait_alu 0xf1ff
	s_delay_alu instid0(VALU_DEP_1) | instskip(NEXT) | instid1(VALU_DEP_1)
	v_cndmask_b32_e64 v0, v12, v15, s0
	v_lshrrev_b32_e32 v179, 16, v0
	v_bfe_u32 v0, v10, 16, 8
	s_delay_alu instid0(VALU_DEP_1) | instskip(NEXT) | instid1(VALU_DEP_1)
	v_cvt_f32_fp8_e32 v0, v0
	v_mul_f32_e32 v0, s19, v0
	s_delay_alu instid0(VALU_DEP_1) | instskip(SKIP_2) | instid1(VALU_DEP_3)
	v_bfe_u32 v12, v0, 16, 1
	v_or_b32_e32 v15, 0x400000, v0
	v_cmp_u_f32_e64 s0, v0, v0
	v_add3_u32 v12, v12, v0, 0x7fff
	s_wait_alu 0xf1ff
	s_delay_alu instid0(VALU_DEP_1) | instskip(NEXT) | instid1(VALU_DEP_1)
	v_cndmask_b32_e64 v0, v12, v15, s0
	v_lshrrev_b32_e32 v178, 16, v0
	v_lshrrev_b32_e32 v0, 24, v10
	s_delay_alu instid0(VALU_DEP_1) | instskip(NEXT) | instid1(VALU_DEP_1)
	v_cvt_f32_fp8_e32 v0, v0
	v_mul_f32_e32 v0, s19, v0
	s_delay_alu instid0(VALU_DEP_1) | instskip(SKIP_2) | instid1(VALU_DEP_3)
	v_bfe_u32 v10, v0, 16, 1
	v_or_b32_e32 v12, 0x400000, v0
	v_cmp_u_f32_e64 s0, v0, v0
	v_add3_u32 v10, v10, v0, 0x7fff
	s_wait_alu 0xf1ff
	s_delay_alu instid0(VALU_DEP_1) | instskip(NEXT) | instid1(VALU_DEP_1)
	v_cndmask_b32_e64 v0, v10, v12, s0
	v_lshrrev_b32_e32 v181, 16, v0
	v_and_b32_e32 v0, 0xff, v11
	s_delay_alu instid0(VALU_DEP_1) | instskip(NEXT) | instid1(VALU_DEP_1)
	v_cvt_f32_fp8_e32 v0, v0
	v_mul_f32_e32 v0, s19, v0
	s_delay_alu instid0(VALU_DEP_1) | instskip(SKIP_2) | instid1(VALU_DEP_3)
	v_bfe_u32 v10, v0, 16, 1
	v_or_b32_e32 v12, 0x400000, v0
	v_cmp_u_f32_e64 s0, v0, v0
	v_add3_u32 v10, v10, v0, 0x7fff
	s_wait_alu 0xf1ff
	s_delay_alu instid0(VALU_DEP_1) | instskip(NEXT) | instid1(VALU_DEP_1)
	v_cndmask_b32_e64 v0, v10, v12, s0
	v_lshrrev_b32_e32 v180, 16, v0
	v_bfe_u32 v0, v11, 8, 8
	s_delay_alu instid0(VALU_DEP_1) | instskip(NEXT) | instid1(VALU_DEP_1)
	v_cvt_f32_fp8_e32 v0, v0
	v_mul_f32_e32 v0, s19, v0
	s_delay_alu instid0(VALU_DEP_1) | instskip(SKIP_2) | instid1(VALU_DEP_3)
	v_bfe_u32 v10, v0, 16, 1
	v_or_b32_e32 v12, 0x400000, v0
	v_cmp_u_f32_e64 s0, v0, v0
	v_add3_u32 v10, v10, v0, 0x7fff
	s_wait_alu 0xf1ff
	s_delay_alu instid0(VALU_DEP_1) | instskip(NEXT) | instid1(VALU_DEP_1)
	v_cndmask_b32_e64 v0, v10, v12, s0
	v_lshrrev_b32_e32 v183, 16, v0
	v_bfe_u32 v0, v11, 16, 8
	s_delay_alu instid0(VALU_DEP_1) | instskip(NEXT) | instid1(VALU_DEP_1)
	v_cvt_f32_fp8_e32 v0, v0
	v_mul_f32_e32 v0, s19, v0
	s_delay_alu instid0(VALU_DEP_1) | instskip(SKIP_2) | instid1(VALU_DEP_3)
	v_bfe_u32 v10, v0, 16, 1
	v_or_b32_e32 v12, 0x400000, v0
	v_cmp_u_f32_e64 s0, v0, v0
	v_add3_u32 v10, v10, v0, 0x7fff
	s_wait_alu 0xf1ff
	s_delay_alu instid0(VALU_DEP_1) | instskip(NEXT) | instid1(VALU_DEP_1)
	v_cndmask_b32_e64 v0, v10, v12, s0
	v_lshrrev_b32_e32 v182, 16, v0
	v_lshrrev_b32_e32 v0, 24, v11
	s_delay_alu instid0(VALU_DEP_1) | instskip(NEXT) | instid1(VALU_DEP_1)
	v_cvt_f32_fp8_e32 v0, v0
	v_mul_f32_e32 v0, s19, v0
	s_delay_alu instid0(VALU_DEP_1) | instskip(SKIP_2) | instid1(VALU_DEP_3)
	v_bfe_u32 v10, v0, 16, 1
	v_or_b32_e32 v11, 0x400000, v0
	v_cmp_u_f32_e64 s0, v0, v0
	v_add3_u32 v10, v10, v0, 0x7fff
	s_wait_alu 0xf1ff
	s_delay_alu instid0(VALU_DEP_1) | instskip(NEXT) | instid1(VALU_DEP_1)
	v_cndmask_b32_e64 v0, v10, v11, s0
	v_lshrrev_b32_e32 v184, 16, v0
	s_and_saveexec_b32 s24, vcc_lo
	s_cbranch_execz .LBB356_71
; %bb.70:                               ;   in Loop: Header=BB356_38 Depth=1
	v_cmp_gt_i32_e64 s0, s34, v139
	s_wait_alu 0xf1ff
	s_delay_alu instid0(VALU_DEP_1) | instskip(SKIP_2) | instid1(VALU_DEP_1)
	v_cndmask_b32_e64 v177, 0, v177, s0
	v_cmp_gt_i32_e64 s0, s34, v149
	s_wait_alu 0xf1ff
	v_cndmask_b32_e64 v179, 0, v179, s0
	v_cmp_gt_i32_e64 s0, s34, v148
	s_wait_alu 0xf1ff
	s_delay_alu instid0(VALU_DEP_1) | instskip(SKIP_2) | instid1(VALU_DEP_1)
	v_cndmask_b32_e64 v178, 0, v178, s0
	v_cmp_gt_i32_e64 s0, s34, v147
	s_wait_alu 0xf1ff
	v_cndmask_b32_e64 v181, 0, v181, s0
	;; [unrolled: 7-line block ×4, first 2 shown]
.LBB356_71:                             ;   in Loop: Header=BB356_38 Depth=1
	s_or_b32 exec_lo, exec_lo, s24
	global_load_b64 v[10:11], v[13:14], off offset:4096
	s_wait_loadcnt 0x0
	v_and_b32_e32 v0, 0xff, v10
	s_delay_alu instid0(VALU_DEP_1) | instskip(NEXT) | instid1(VALU_DEP_1)
	v_cvt_f32_fp8_e32 v0, v0
	v_mul_f32_e32 v0, s19, v0
	s_delay_alu instid0(VALU_DEP_1) | instskip(SKIP_2) | instid1(VALU_DEP_3)
	v_bfe_u32 v12, v0, 16, 1
	v_or_b32_e32 v15, 0x400000, v0
	v_cmp_u_f32_e64 s0, v0, v0
	v_add3_u32 v12, v12, v0, 0x7fff
	s_wait_alu 0xf1ff
	s_delay_alu instid0(VALU_DEP_1) | instskip(SKIP_1) | instid1(VALU_DEP_2)
	v_cndmask_b32_e64 v0, v12, v15, s0
	v_bfe_u32 v12, v10, 8, 8
	v_lshrrev_b32_e32 v0, 16, v0
	s_delay_alu instid0(VALU_DEP_2) | instskip(NEXT) | instid1(VALU_DEP_1)
	v_cvt_f32_fp8_e32 v12, v12
	v_mul_f32_e32 v12, s19, v12
	s_delay_alu instid0(VALU_DEP_1) | instskip(SKIP_2) | instid1(VALU_DEP_3)
	v_bfe_u32 v15, v12, 16, 1
	v_or_b32_e32 v16, 0x400000, v12
	v_cmp_u_f32_e64 s0, v12, v12
	v_add3_u32 v15, v15, v12, 0x7fff
	s_wait_alu 0xf1ff
	s_delay_alu instid0(VALU_DEP_1) | instskip(NEXT) | instid1(VALU_DEP_1)
	v_cndmask_b32_e64 v12, v15, v16, s0
	v_lshrrev_b32_e32 v16, 16, v12
	v_bfe_u32 v12, v10, 16, 8
	v_lshrrev_b32_e32 v10, 24, v10
	s_delay_alu instid0(VALU_DEP_2) | instskip(NEXT) | instid1(VALU_DEP_2)
	v_cvt_f32_fp8_e32 v12, v12
	v_cvt_f32_fp8_e32 v10, v10
	s_delay_alu instid0(VALU_DEP_2) | instskip(NEXT) | instid1(VALU_DEP_2)
	v_mul_f32_e32 v12, s19, v12
	v_mul_f32_e32 v10, s19, v10
	s_delay_alu instid0(VALU_DEP_2) | instskip(SKIP_2) | instid1(VALU_DEP_3)
	v_bfe_u32 v15, v12, 16, 1
	v_or_b32_e32 v17, 0x400000, v12
	v_cmp_u_f32_e64 s0, v12, v12
	v_add3_u32 v15, v15, v12, 0x7fff
	s_wait_alu 0xf1ff
	s_delay_alu instid0(VALU_DEP_1) | instskip(SKIP_2) | instid1(VALU_DEP_3)
	v_cndmask_b32_e64 v12, v15, v17, s0
	v_or_b32_e32 v17, 0x400000, v10
	v_cmp_u_f32_e64 s0, v10, v10
	v_lshrrev_b32_e32 v15, 16, v12
	v_bfe_u32 v12, v10, 16, 1
	s_delay_alu instid0(VALU_DEP_1) | instskip(SKIP_1) | instid1(VALU_DEP_1)
	v_add3_u32 v12, v12, v10, 0x7fff
	s_wait_alu 0xf1ff
	v_cndmask_b32_e64 v10, v12, v17, s0
	s_delay_alu instid0(VALU_DEP_1) | instskip(SKIP_1) | instid1(VALU_DEP_1)
	v_lshrrev_b32_e32 v186, 16, v10
	v_and_b32_e32 v10, 0xff, v11
	v_cvt_f32_fp8_e32 v10, v10
	s_delay_alu instid0(VALU_DEP_1) | instskip(NEXT) | instid1(VALU_DEP_1)
	v_mul_f32_e32 v10, s19, v10
	v_bfe_u32 v12, v10, 16, 1
	v_or_b32_e32 v17, 0x400000, v10
	v_cmp_u_f32_e64 s0, v10, v10
	s_delay_alu instid0(VALU_DEP_3) | instskip(SKIP_1) | instid1(VALU_DEP_1)
	v_add3_u32 v12, v12, v10, 0x7fff
	s_wait_alu 0xf1ff
	v_cndmask_b32_e64 v10, v12, v17, s0
	s_delay_alu instid0(VALU_DEP_1) | instskip(SKIP_1) | instid1(VALU_DEP_1)
	v_lshrrev_b32_e32 v185, 16, v10
	v_bfe_u32 v10, v11, 8, 8
	v_cvt_f32_fp8_e32 v10, v10
	s_delay_alu instid0(VALU_DEP_1) | instskip(NEXT) | instid1(VALU_DEP_1)
	v_mul_f32_e32 v10, s19, v10
	v_bfe_u32 v12, v10, 16, 1
	v_or_b32_e32 v17, 0x400000, v10
	v_cmp_u_f32_e64 s0, v10, v10
	s_delay_alu instid0(VALU_DEP_3) | instskip(SKIP_1) | instid1(VALU_DEP_1)
	v_add3_u32 v12, v12, v10, 0x7fff
	s_wait_alu 0xf1ff
	v_cndmask_b32_e64 v10, v12, v17, s0
	s_delay_alu instid0(VALU_DEP_1) | instskip(SKIP_1) | instid1(VALU_DEP_1)
	v_lshrrev_b32_e32 v188, 16, v10
	v_bfe_u32 v10, v11, 16, 8
	v_cvt_f32_fp8_e32 v10, v10
	s_delay_alu instid0(VALU_DEP_1) | instskip(NEXT) | instid1(VALU_DEP_1)
	v_mul_f32_e32 v10, s19, v10
	v_bfe_u32 v12, v10, 16, 1
	v_or_b32_e32 v17, 0x400000, v10
	v_cmp_u_f32_e64 s0, v10, v10
	s_delay_alu instid0(VALU_DEP_3) | instskip(SKIP_1) | instid1(VALU_DEP_1)
	v_add3_u32 v12, v12, v10, 0x7fff
	s_wait_alu 0xf1ff
	v_cndmask_b32_e64 v10, v12, v17, s0
	s_delay_alu instid0(VALU_DEP_1) | instskip(SKIP_1) | instid1(VALU_DEP_1)
	v_lshrrev_b32_e32 v187, 16, v10
	v_lshrrev_b32_e32 v10, 24, v11
	v_cvt_f32_fp8_e32 v10, v10
	s_delay_alu instid0(VALU_DEP_1) | instskip(NEXT) | instid1(VALU_DEP_1)
	v_mul_f32_e32 v10, s19, v10
	v_bfe_u32 v11, v10, 16, 1
	v_or_b32_e32 v12, 0x400000, v10
	v_cmp_u_f32_e64 s0, v10, v10
	s_delay_alu instid0(VALU_DEP_3) | instskip(SKIP_1) | instid1(VALU_DEP_1)
	v_add3_u32 v11, v11, v10, 0x7fff
	s_wait_alu 0xf1ff
	v_cndmask_b32_e64 v10, v11, v12, s0
	s_delay_alu instid0(VALU_DEP_1)
	v_lshrrev_b32_e32 v189, 16, v10
	s_and_saveexec_b32 s24, vcc_lo
	s_cbranch_execz .LBB356_73
; %bb.72:                               ;   in Loop: Header=BB356_38 Depth=1
	v_cmp_gt_i32_e64 s0, s34, v139
	s_wait_alu 0xf1ff
	s_delay_alu instid0(VALU_DEP_1) | instskip(SKIP_2) | instid1(VALU_DEP_1)
	v_cndmask_b32_e64 v0, 0, v0, s0
	v_cmp_gt_i32_e64 s0, s34, v149
	s_wait_alu 0xf1ff
	v_cndmask_b32_e64 v16, 0, v16, s0
	v_cmp_gt_i32_e64 s0, s34, v148
	s_wait_alu 0xf1ff
	s_delay_alu instid0(VALU_DEP_1) | instskip(SKIP_2) | instid1(VALU_DEP_1)
	v_cndmask_b32_e64 v15, 0, v15, s0
	v_cmp_gt_i32_e64 s0, s34, v147
	s_wait_alu 0xf1ff
	v_cndmask_b32_e64 v186, 0, v186, s0
	;; [unrolled: 7-line block ×4, first 2 shown]
.LBB356_73:                             ;   in Loop: Header=BB356_38 Depth=1
	s_or_b32 exec_lo, exec_lo, s24
	global_load_b64 v[10:11], v[13:14], off offset:4352
	s_wait_loadcnt 0x0
	v_and_b32_e32 v12, 0xff, v10
	s_delay_alu instid0(VALU_DEP_1) | instskip(NEXT) | instid1(VALU_DEP_1)
	v_cvt_f32_fp8_e32 v12, v12
	v_mul_f32_e32 v12, s19, v12
	s_delay_alu instid0(VALU_DEP_1) | instskip(SKIP_2) | instid1(VALU_DEP_3)
	v_bfe_u32 v17, v12, 16, 1
	v_or_b32_e32 v18, 0x400000, v12
	v_cmp_u_f32_e64 s0, v12, v12
	v_add3_u32 v17, v17, v12, 0x7fff
	s_wait_alu 0xf1ff
	s_delay_alu instid0(VALU_DEP_1) | instskip(NEXT) | instid1(VALU_DEP_1)
	v_cndmask_b32_e64 v12, v17, v18, s0
	v_lshrrev_b32_e32 v190, 16, v12
	v_bfe_u32 v12, v10, 8, 8
	s_delay_alu instid0(VALU_DEP_1) | instskip(NEXT) | instid1(VALU_DEP_1)
	v_cvt_f32_fp8_e32 v12, v12
	v_mul_f32_e32 v12, s19, v12
	s_delay_alu instid0(VALU_DEP_1) | instskip(SKIP_2) | instid1(VALU_DEP_3)
	v_bfe_u32 v17, v12, 16, 1
	v_or_b32_e32 v18, 0x400000, v12
	v_cmp_u_f32_e64 s0, v12, v12
	v_add3_u32 v17, v17, v12, 0x7fff
	s_wait_alu 0xf1ff
	s_delay_alu instid0(VALU_DEP_1) | instskip(NEXT) | instid1(VALU_DEP_1)
	v_cndmask_b32_e64 v12, v17, v18, s0
	v_lshrrev_b32_e32 v43, 16, v12
	v_bfe_u32 v12, v10, 16, 8
	v_lshrrev_b32_e32 v10, 24, v10
	s_delay_alu instid0(VALU_DEP_2) | instskip(NEXT) | instid1(VALU_DEP_2)
	v_cvt_f32_fp8_e32 v12, v12
	v_cvt_f32_fp8_e32 v10, v10
	s_delay_alu instid0(VALU_DEP_2) | instskip(NEXT) | instid1(VALU_DEP_2)
	v_mul_f32_e32 v12, s19, v12
	v_mul_f32_e32 v10, s19, v10
	s_delay_alu instid0(VALU_DEP_2) | instskip(SKIP_2) | instid1(VALU_DEP_3)
	v_bfe_u32 v17, v12, 16, 1
	v_or_b32_e32 v18, 0x400000, v12
	v_cmp_u_f32_e64 s0, v12, v12
	v_add3_u32 v17, v17, v12, 0x7fff
	s_wait_alu 0xf1ff
	s_delay_alu instid0(VALU_DEP_1) | instskip(SKIP_2) | instid1(VALU_DEP_3)
	v_cndmask_b32_e64 v12, v17, v18, s0
	v_or_b32_e32 v17, 0x400000, v10
	v_cmp_u_f32_e64 s0, v10, v10
	v_lshrrev_b32_e32 v191, 16, v12
	v_bfe_u32 v12, v10, 16, 1
	s_delay_alu instid0(VALU_DEP_1) | instskip(SKIP_1) | instid1(VALU_DEP_1)
	v_add3_u32 v12, v12, v10, 0x7fff
	s_wait_alu 0xf1ff
	v_cndmask_b32_e64 v10, v12, v17, s0
	s_delay_alu instid0(VALU_DEP_1) | instskip(SKIP_1) | instid1(VALU_DEP_1)
	v_lshrrev_b32_e32 v64, 16, v10
	v_and_b32_e32 v10, 0xff, v11
	v_cvt_f32_fp8_e32 v10, v10
	s_delay_alu instid0(VALU_DEP_1) | instskip(NEXT) | instid1(VALU_DEP_1)
	v_mul_f32_e32 v10, s19, v10
	v_bfe_u32 v12, v10, 16, 1
	v_or_b32_e32 v17, 0x400000, v10
	v_cmp_u_f32_e64 s0, v10, v10
	s_delay_alu instid0(VALU_DEP_3) | instskip(SKIP_1) | instid1(VALU_DEP_1)
	v_add3_u32 v12, v12, v10, 0x7fff
	s_wait_alu 0xf1ff
	v_cndmask_b32_e64 v10, v12, v17, s0
	s_delay_alu instid0(VALU_DEP_1) | instskip(SKIP_1) | instid1(VALU_DEP_1)
	v_lshrrev_b32_e32 v12, 16, v10
	v_bfe_u32 v10, v11, 8, 8
	v_cvt_f32_fp8_e32 v10, v10
	s_delay_alu instid0(VALU_DEP_1) | instskip(NEXT) | instid1(VALU_DEP_1)
	v_mul_f32_e32 v10, s19, v10
	v_bfe_u32 v17, v10, 16, 1
	v_or_b32_e32 v18, 0x400000, v10
	v_cmp_u_f32_e64 s0, v10, v10
	s_delay_alu instid0(VALU_DEP_3) | instskip(SKIP_1) | instid1(VALU_DEP_1)
	v_add3_u32 v17, v17, v10, 0x7fff
	s_wait_alu 0xf1ff
	v_cndmask_b32_e64 v10, v17, v18, s0
	s_delay_alu instid0(VALU_DEP_1) | instskip(SKIP_1) | instid1(VALU_DEP_1)
	v_lshrrev_b32_e32 v20, 16, v10
	v_bfe_u32 v10, v11, 16, 8
	v_cvt_f32_fp8_e32 v10, v10
	s_delay_alu instid0(VALU_DEP_1) | instskip(NEXT) | instid1(VALU_DEP_1)
	v_mul_f32_e32 v10, s19, v10
	v_bfe_u32 v17, v10, 16, 1
	v_or_b32_e32 v18, 0x400000, v10
	v_cmp_u_f32_e64 s0, v10, v10
	s_delay_alu instid0(VALU_DEP_3) | instskip(SKIP_1) | instid1(VALU_DEP_1)
	v_add3_u32 v17, v17, v10, 0x7fff
	s_wait_alu 0xf1ff
	v_cndmask_b32_e64 v10, v17, v18, s0
	s_delay_alu instid0(VALU_DEP_1) | instskip(SKIP_1) | instid1(VALU_DEP_1)
	v_lshrrev_b32_e32 v19, 16, v10
	v_lshrrev_b32_e32 v10, 24, v11
	v_cvt_f32_fp8_e32 v10, v10
	s_delay_alu instid0(VALU_DEP_1) | instskip(NEXT) | instid1(VALU_DEP_1)
	v_mul_f32_e32 v10, s19, v10
	v_bfe_u32 v11, v10, 16, 1
	v_or_b32_e32 v17, 0x400000, v10
	v_cmp_u_f32_e64 s0, v10, v10
	s_delay_alu instid0(VALU_DEP_3) | instskip(SKIP_1) | instid1(VALU_DEP_1)
	v_add3_u32 v11, v11, v10, 0x7fff
	s_wait_alu 0xf1ff
	v_cndmask_b32_e64 v10, v11, v17, s0
	s_delay_alu instid0(VALU_DEP_1)
	v_lshrrev_b32_e32 v21, 16, v10
	s_and_saveexec_b32 s24, vcc_lo
	s_cbranch_execz .LBB356_75
; %bb.74:                               ;   in Loop: Header=BB356_38 Depth=1
	v_cmp_gt_i32_e64 s0, s34, v139
	s_wait_alu 0xf1ff
	s_delay_alu instid0(VALU_DEP_1) | instskip(SKIP_2) | instid1(VALU_DEP_1)
	v_cndmask_b32_e64 v190, 0, v190, s0
	v_cmp_gt_i32_e64 s0, s34, v149
	s_wait_alu 0xf1ff
	v_cndmask_b32_e64 v43, 0, v43, s0
	v_cmp_gt_i32_e64 s0, s34, v148
	s_wait_alu 0xf1ff
	s_delay_alu instid0(VALU_DEP_1) | instskip(SKIP_2) | instid1(VALU_DEP_1)
	v_cndmask_b32_e64 v191, 0, v191, s0
	v_cmp_gt_i32_e64 s0, s34, v147
	s_wait_alu 0xf1ff
	v_cndmask_b32_e64 v64, 0, v64, s0
	;; [unrolled: 7-line block ×4, first 2 shown]
.LBB356_75:                             ;   in Loop: Header=BB356_38 Depth=1
	s_or_b32 exec_lo, exec_lo, s24
	global_load_b64 v[10:11], v[13:14], off offset:4608
	s_wait_loadcnt 0x0
	v_and_b32_e32 v17, 0xff, v10
	s_delay_alu instid0(VALU_DEP_1) | instskip(NEXT) | instid1(VALU_DEP_1)
	v_cvt_f32_fp8_e32 v17, v17
	v_mul_f32_e32 v17, s19, v17
	s_delay_alu instid0(VALU_DEP_1) | instskip(SKIP_2) | instid1(VALU_DEP_3)
	v_bfe_u32 v18, v17, 16, 1
	v_or_b32_e32 v22, 0x400000, v17
	v_cmp_u_f32_e64 s0, v17, v17
	v_add3_u32 v18, v18, v17, 0x7fff
	s_wait_alu 0xf1ff
	s_delay_alu instid0(VALU_DEP_1) | instskip(NEXT) | instid1(VALU_DEP_1)
	v_cndmask_b32_e64 v17, v18, v22, s0
	v_lshrrev_b32_e32 v22, 16, v17
	v_bfe_u32 v17, v10, 8, 8
	s_delay_alu instid0(VALU_DEP_1) | instskip(NEXT) | instid1(VALU_DEP_1)
	v_cvt_f32_fp8_e32 v17, v17
	v_mul_f32_e32 v17, s19, v17
	s_delay_alu instid0(VALU_DEP_1) | instskip(SKIP_2) | instid1(VALU_DEP_3)
	v_bfe_u32 v18, v17, 16, 1
	v_or_b32_e32 v23, 0x400000, v17
	v_cmp_u_f32_e64 s0, v17, v17
	v_add3_u32 v18, v18, v17, 0x7fff
	s_wait_alu 0xf1ff
	s_delay_alu instid0(VALU_DEP_1) | instskip(NEXT) | instid1(VALU_DEP_1)
	v_cndmask_b32_e64 v17, v18, v23, s0
	v_lshrrev_b32_e32 v23, 16, v17
	v_bfe_u32 v17, v10, 16, 8
	v_lshrrev_b32_e32 v10, 24, v10
	s_delay_alu instid0(VALU_DEP_2) | instskip(NEXT) | instid1(VALU_DEP_2)
	v_cvt_f32_fp8_e32 v17, v17
	v_cvt_f32_fp8_e32 v10, v10
	s_delay_alu instid0(VALU_DEP_1) | instskip(NEXT) | instid1(VALU_DEP_1)
	v_dual_mul_f32 v17, s19, v17 :: v_dual_mul_f32 v10, s19, v10
	v_bfe_u32 v18, v17, 16, 1
	v_or_b32_e32 v24, 0x400000, v17
	v_cmp_u_f32_e64 s0, v17, v17
	s_delay_alu instid0(VALU_DEP_3) | instskip(SKIP_1) | instid1(VALU_DEP_1)
	v_add3_u32 v18, v18, v17, 0x7fff
	s_wait_alu 0xf1ff
	v_cndmask_b32_e64 v17, v18, v24, s0
	v_or_b32_e32 v18, 0x400000, v10
	v_cmp_u_f32_e64 s0, v10, v10
	s_delay_alu instid0(VALU_DEP_3) | instskip(SKIP_1) | instid1(VALU_DEP_1)
	v_lshrrev_b32_e32 v24, 16, v17
	v_bfe_u32 v17, v10, 16, 1
	v_add3_u32 v17, v17, v10, 0x7fff
	s_wait_alu 0xf1ff
	s_delay_alu instid0(VALU_DEP_1) | instskip(NEXT) | instid1(VALU_DEP_1)
	v_cndmask_b32_e64 v10, v17, v18, s0
	v_lshrrev_b32_e32 v25, 16, v10
	v_and_b32_e32 v10, 0xff, v11
	s_delay_alu instid0(VALU_DEP_1) | instskip(NEXT) | instid1(VALU_DEP_1)
	v_cvt_f32_fp8_e32 v10, v10
	v_mul_f32_e32 v10, s19, v10
	s_delay_alu instid0(VALU_DEP_1) | instskip(SKIP_2) | instid1(VALU_DEP_3)
	v_bfe_u32 v17, v10, 16, 1
	v_or_b32_e32 v18, 0x400000, v10
	v_cmp_u_f32_e64 s0, v10, v10
	v_add3_u32 v17, v17, v10, 0x7fff
	s_wait_alu 0xf1ff
	s_delay_alu instid0(VALU_DEP_1) | instskip(NEXT) | instid1(VALU_DEP_1)
	v_cndmask_b32_e64 v10, v17, v18, s0
	v_lshrrev_b32_e32 v26, 16, v10
	v_bfe_u32 v10, v11, 8, 8
	s_delay_alu instid0(VALU_DEP_1) | instskip(NEXT) | instid1(VALU_DEP_1)
	v_cvt_f32_fp8_e32 v10, v10
	v_mul_f32_e32 v10, s19, v10
	s_delay_alu instid0(VALU_DEP_1) | instskip(SKIP_2) | instid1(VALU_DEP_3)
	v_bfe_u32 v17, v10, 16, 1
	v_or_b32_e32 v18, 0x400000, v10
	v_cmp_u_f32_e64 s0, v10, v10
	v_add3_u32 v17, v17, v10, 0x7fff
	s_wait_alu 0xf1ff
	s_delay_alu instid0(VALU_DEP_1) | instskip(NEXT) | instid1(VALU_DEP_1)
	v_cndmask_b32_e64 v10, v17, v18, s0
	v_lshrrev_b32_e32 v27, 16, v10
	v_bfe_u32 v10, v11, 16, 8
	s_delay_alu instid0(VALU_DEP_1) | instskip(NEXT) | instid1(VALU_DEP_1)
	v_cvt_f32_fp8_e32 v10, v10
	v_mul_f32_e32 v10, s19, v10
	s_delay_alu instid0(VALU_DEP_1) | instskip(SKIP_2) | instid1(VALU_DEP_3)
	v_bfe_u32 v17, v10, 16, 1
	v_or_b32_e32 v18, 0x400000, v10
	v_cmp_u_f32_e64 s0, v10, v10
	v_add3_u32 v17, v17, v10, 0x7fff
	s_wait_alu 0xf1ff
	s_delay_alu instid0(VALU_DEP_1) | instskip(NEXT) | instid1(VALU_DEP_1)
	v_cndmask_b32_e64 v10, v17, v18, s0
	v_lshrrev_b32_e32 v28, 16, v10
	v_lshrrev_b32_e32 v10, 24, v11
	s_delay_alu instid0(VALU_DEP_1) | instskip(NEXT) | instid1(VALU_DEP_1)
	v_cvt_f32_fp8_e32 v10, v10
	v_mul_f32_e32 v10, s19, v10
	s_delay_alu instid0(VALU_DEP_1) | instskip(SKIP_2) | instid1(VALU_DEP_3)
	v_bfe_u32 v11, v10, 16, 1
	v_or_b32_e32 v17, 0x400000, v10
	v_cmp_u_f32_e64 s0, v10, v10
	v_add3_u32 v11, v11, v10, 0x7fff
	s_wait_alu 0xf1ff
	s_delay_alu instid0(VALU_DEP_1) | instskip(NEXT) | instid1(VALU_DEP_1)
	v_cndmask_b32_e64 v10, v11, v17, s0
	v_lshrrev_b32_e32 v11, 16, v10
	s_and_saveexec_b32 s24, vcc_lo
	s_cbranch_execz .LBB356_77
; %bb.76:                               ;   in Loop: Header=BB356_38 Depth=1
	v_cmp_gt_i32_e64 s0, s34, v139
	s_wait_alu 0xf1ff
	s_delay_alu instid0(VALU_DEP_1) | instskip(SKIP_2) | instid1(VALU_DEP_1)
	v_cndmask_b32_e64 v22, 0, v22, s0
	v_cmp_gt_i32_e64 s0, s34, v149
	s_wait_alu 0xf1ff
	v_cndmask_b32_e64 v23, 0, v23, s0
	v_cmp_gt_i32_e64 s0, s34, v148
	s_wait_alu 0xf1ff
	s_delay_alu instid0(VALU_DEP_1) | instskip(SKIP_2) | instid1(VALU_DEP_1)
	v_cndmask_b32_e64 v24, 0, v24, s0
	v_cmp_gt_i32_e64 s0, s34, v147
	s_wait_alu 0xf1ff
	v_cndmask_b32_e64 v25, 0, v25, s0
	;; [unrolled: 7-line block ×4, first 2 shown]
.LBB356_77:                             ;   in Loop: Header=BB356_38 Depth=1
	s_or_b32 exec_lo, exec_lo, s24
	global_load_b64 v[17:18], v[13:14], off offset:4864
	s_wait_loadcnt 0x0
	v_and_b32_e32 v10, 0xff, v17
	s_delay_alu instid0(VALU_DEP_1) | instskip(NEXT) | instid1(VALU_DEP_1)
	v_cvt_f32_fp8_e32 v10, v10
	v_mul_f32_e32 v10, s19, v10
	s_delay_alu instid0(VALU_DEP_1) | instskip(SKIP_2) | instid1(VALU_DEP_3)
	v_bfe_u32 v30, v10, 16, 1
	v_or_b32_e32 v31, 0x400000, v10
	v_cmp_u_f32_e64 s0, v10, v10
	v_add3_u32 v30, v30, v10, 0x7fff
	s_wait_alu 0xf1ff
	s_delay_alu instid0(VALU_DEP_1) | instskip(NEXT) | instid1(VALU_DEP_1)
	v_cndmask_b32_e64 v10, v30, v31, s0
	v_lshrrev_b32_e32 v30, 16, v10
	v_bfe_u32 v10, v17, 8, 8
	s_delay_alu instid0(VALU_DEP_1) | instskip(NEXT) | instid1(VALU_DEP_1)
	v_cvt_f32_fp8_e32 v10, v10
	v_mul_f32_e32 v10, s19, v10
	s_delay_alu instid0(VALU_DEP_1) | instskip(SKIP_2) | instid1(VALU_DEP_3)
	v_bfe_u32 v31, v10, 16, 1
	v_or_b32_e32 v32, 0x400000, v10
	v_cmp_u_f32_e64 s0, v10, v10
	v_add3_u32 v31, v31, v10, 0x7fff
	s_wait_alu 0xf1ff
	s_delay_alu instid0(VALU_DEP_1) | instskip(NEXT) | instid1(VALU_DEP_1)
	v_cndmask_b32_e64 v10, v31, v32, s0
	v_lshrrev_b32_e32 v31, 16, v10
	v_bfe_u32 v10, v17, 16, 8
	s_delay_alu instid0(VALU_DEP_1) | instskip(NEXT) | instid1(VALU_DEP_1)
	v_cvt_f32_fp8_e32 v10, v10
	v_mul_f32_e32 v10, s19, v10
	s_delay_alu instid0(VALU_DEP_1) | instskip(SKIP_2) | instid1(VALU_DEP_3)
	v_bfe_u32 v32, v10, 16, 1
	v_or_b32_e32 v33, 0x400000, v10
	v_cmp_u_f32_e64 s0, v10, v10
	v_add3_u32 v32, v32, v10, 0x7fff
	s_wait_alu 0xf1ff
	s_delay_alu instid0(VALU_DEP_1) | instskip(NEXT) | instid1(VALU_DEP_1)
	v_cndmask_b32_e64 v10, v32, v33, s0
	v_lshrrev_b32_e32 v32, 16, v10
	v_lshrrev_b32_e32 v10, 24, v17
	s_delay_alu instid0(VALU_DEP_1) | instskip(NEXT) | instid1(VALU_DEP_1)
	v_cvt_f32_fp8_e32 v10, v10
	v_mul_f32_e32 v10, s19, v10
	s_delay_alu instid0(VALU_DEP_1) | instskip(SKIP_2) | instid1(VALU_DEP_3)
	v_bfe_u32 v17, v10, 16, 1
	v_or_b32_e32 v33, 0x400000, v10
	v_cmp_u_f32_e64 s0, v10, v10
	v_add3_u32 v17, v17, v10, 0x7fff
	s_wait_alu 0xf1ff
	s_delay_alu instid0(VALU_DEP_1) | instskip(NEXT) | instid1(VALU_DEP_1)
	v_cndmask_b32_e64 v10, v17, v33, s0
	v_lshrrev_b32_e32 v33, 16, v10
	v_and_b32_e32 v10, 0xff, v18
	s_delay_alu instid0(VALU_DEP_1) | instskip(NEXT) | instid1(VALU_DEP_1)
	v_cvt_f32_fp8_e32 v10, v10
	v_mul_f32_e32 v10, s19, v10
	s_delay_alu instid0(VALU_DEP_1) | instskip(SKIP_2) | instid1(VALU_DEP_3)
	v_bfe_u32 v17, v10, 16, 1
	v_or_b32_e32 v34, 0x400000, v10
	v_cmp_u_f32_e64 s0, v10, v10
	v_add3_u32 v17, v17, v10, 0x7fff
	s_wait_alu 0xf1ff
	s_delay_alu instid0(VALU_DEP_1) | instskip(NEXT) | instid1(VALU_DEP_1)
	v_cndmask_b32_e64 v10, v17, v34, s0
	v_lshrrev_b32_e32 v34, 16, v10
	v_bfe_u32 v10, v18, 8, 8
	s_delay_alu instid0(VALU_DEP_1) | instskip(NEXT) | instid1(VALU_DEP_1)
	v_cvt_f32_fp8_e32 v10, v10
	v_mul_f32_e32 v10, s19, v10
	s_delay_alu instid0(VALU_DEP_1) | instskip(SKIP_2) | instid1(VALU_DEP_3)
	v_bfe_u32 v17, v10, 16, 1
	v_or_b32_e32 v35, 0x400000, v10
	v_cmp_u_f32_e64 s0, v10, v10
	v_add3_u32 v17, v17, v10, 0x7fff
	s_wait_alu 0xf1ff
	s_delay_alu instid0(VALU_DEP_1) | instskip(NEXT) | instid1(VALU_DEP_1)
	v_cndmask_b32_e64 v10, v17, v35, s0
	v_lshrrev_b32_e32 v35, 16, v10
	v_bfe_u32 v10, v18, 16, 8
	s_delay_alu instid0(VALU_DEP_1) | instskip(NEXT) | instid1(VALU_DEP_1)
	v_cvt_f32_fp8_e32 v10, v10
	v_mul_f32_e32 v10, s19, v10
	s_delay_alu instid0(VALU_DEP_1) | instskip(SKIP_2) | instid1(VALU_DEP_3)
	v_bfe_u32 v17, v10, 16, 1
	v_or_b32_e32 v36, 0x400000, v10
	v_cmp_u_f32_e64 s0, v10, v10
	v_add3_u32 v17, v17, v10, 0x7fff
	s_wait_alu 0xf1ff
	s_delay_alu instid0(VALU_DEP_1) | instskip(NEXT) | instid1(VALU_DEP_1)
	v_cndmask_b32_e64 v10, v17, v36, s0
	v_lshrrev_b32_e32 v36, 16, v10
	v_lshrrev_b32_e32 v10, 24, v18
	s_delay_alu instid0(VALU_DEP_1) | instskip(NEXT) | instid1(VALU_DEP_1)
	v_cvt_f32_fp8_e32 v10, v10
	v_mul_f32_e32 v10, s19, v10
	s_delay_alu instid0(VALU_DEP_1) | instskip(SKIP_2) | instid1(VALU_DEP_3)
	v_bfe_u32 v17, v10, 16, 1
	v_or_b32_e32 v18, 0x400000, v10
	v_cmp_u_f32_e64 s0, v10, v10
	v_add3_u32 v17, v17, v10, 0x7fff
	s_wait_alu 0xf1ff
	s_delay_alu instid0(VALU_DEP_1) | instskip(NEXT) | instid1(VALU_DEP_1)
	v_cndmask_b32_e64 v10, v17, v18, s0
	v_lshrrev_b32_e32 v37, 16, v10
	s_and_saveexec_b32 s24, vcc_lo
	s_cbranch_execz .LBB356_79
; %bb.78:                               ;   in Loop: Header=BB356_38 Depth=1
	v_cmp_gt_i32_e64 s0, s34, v139
	s_wait_alu 0xf1ff
	s_delay_alu instid0(VALU_DEP_1) | instskip(SKIP_2) | instid1(VALU_DEP_1)
	v_cndmask_b32_e64 v30, 0, v30, s0
	v_cmp_gt_i32_e64 s0, s34, v149
	s_wait_alu 0xf1ff
	v_cndmask_b32_e64 v31, 0, v31, s0
	v_cmp_gt_i32_e64 s0, s34, v148
	s_wait_alu 0xf1ff
	s_delay_alu instid0(VALU_DEP_1) | instskip(SKIP_2) | instid1(VALU_DEP_1)
	v_cndmask_b32_e64 v32, 0, v32, s0
	v_cmp_gt_i32_e64 s0, s34, v147
	s_wait_alu 0xf1ff
	v_cndmask_b32_e64 v33, 0, v33, s0
	;; [unrolled: 7-line block ×4, first 2 shown]
.LBB356_79:                             ;   in Loop: Header=BB356_38 Depth=1
	s_or_b32 exec_lo, exec_lo, s24
	global_load_b64 v[17:18], v[13:14], off offset:5120
	s_wait_loadcnt 0x0
	v_and_b32_e32 v10, 0xff, v17
	s_delay_alu instid0(VALU_DEP_1) | instskip(NEXT) | instid1(VALU_DEP_1)
	v_cvt_f32_fp8_e32 v10, v10
	v_mul_f32_e32 v10, s19, v10
	s_delay_alu instid0(VALU_DEP_1) | instskip(SKIP_2) | instid1(VALU_DEP_3)
	v_bfe_u32 v38, v10, 16, 1
	v_or_b32_e32 v39, 0x400000, v10
	v_cmp_u_f32_e64 s0, v10, v10
	v_add3_u32 v38, v38, v10, 0x7fff
	s_wait_alu 0xf1ff
	s_delay_alu instid0(VALU_DEP_1) | instskip(NEXT) | instid1(VALU_DEP_1)
	v_cndmask_b32_e64 v10, v38, v39, s0
	v_lshrrev_b32_e32 v38, 16, v10
	v_bfe_u32 v10, v17, 8, 8
	s_delay_alu instid0(VALU_DEP_1) | instskip(NEXT) | instid1(VALU_DEP_1)
	v_cvt_f32_fp8_e32 v10, v10
	v_mul_f32_e32 v10, s19, v10
	s_delay_alu instid0(VALU_DEP_1) | instskip(SKIP_2) | instid1(VALU_DEP_3)
	v_bfe_u32 v39, v10, 16, 1
	v_or_b32_e32 v40, 0x400000, v10
	v_cmp_u_f32_e64 s0, v10, v10
	v_add3_u32 v39, v39, v10, 0x7fff
	s_wait_alu 0xf1ff
	s_delay_alu instid0(VALU_DEP_1) | instskip(NEXT) | instid1(VALU_DEP_1)
	v_cndmask_b32_e64 v10, v39, v40, s0
	v_lshrrev_b32_e32 v39, 16, v10
	v_bfe_u32 v10, v17, 16, 8
	s_delay_alu instid0(VALU_DEP_1) | instskip(NEXT) | instid1(VALU_DEP_1)
	v_cvt_f32_fp8_e32 v10, v10
	v_mul_f32_e32 v10, s19, v10
	s_delay_alu instid0(VALU_DEP_1) | instskip(SKIP_2) | instid1(VALU_DEP_3)
	v_bfe_u32 v40, v10, 16, 1
	v_or_b32_e32 v41, 0x400000, v10
	v_cmp_u_f32_e64 s0, v10, v10
	v_add3_u32 v40, v40, v10, 0x7fff
	s_wait_alu 0xf1ff
	s_delay_alu instid0(VALU_DEP_1) | instskip(NEXT) | instid1(VALU_DEP_1)
	v_cndmask_b32_e64 v10, v40, v41, s0
	v_lshrrev_b32_e32 v40, 16, v10
	v_lshrrev_b32_e32 v10, 24, v17
	s_delay_alu instid0(VALU_DEP_1) | instskip(NEXT) | instid1(VALU_DEP_1)
	v_cvt_f32_fp8_e32 v10, v10
	v_mul_f32_e32 v10, s19, v10
	s_delay_alu instid0(VALU_DEP_1) | instskip(SKIP_2) | instid1(VALU_DEP_3)
	v_bfe_u32 v17, v10, 16, 1
	v_or_b32_e32 v41, 0x400000, v10
	v_cmp_u_f32_e64 s0, v10, v10
	v_add3_u32 v17, v17, v10, 0x7fff
	s_wait_alu 0xf1ff
	s_delay_alu instid0(VALU_DEP_1) | instskip(NEXT) | instid1(VALU_DEP_1)
	v_cndmask_b32_e64 v10, v17, v41, s0
	v_lshrrev_b32_e32 v41, 16, v10
	v_and_b32_e32 v10, 0xff, v18
	s_delay_alu instid0(VALU_DEP_1) | instskip(NEXT) | instid1(VALU_DEP_1)
	v_cvt_f32_fp8_e32 v10, v10
	v_mul_f32_e32 v10, s19, v10
	s_delay_alu instid0(VALU_DEP_1) | instskip(SKIP_2) | instid1(VALU_DEP_3)
	v_bfe_u32 v17, v10, 16, 1
	v_or_b32_e32 v42, 0x400000, v10
	v_cmp_u_f32_e64 s0, v10, v10
	v_add3_u32 v17, v17, v10, 0x7fff
	s_wait_alu 0xf1ff
	s_delay_alu instid0(VALU_DEP_1) | instskip(NEXT) | instid1(VALU_DEP_1)
	v_cndmask_b32_e64 v10, v17, v42, s0
	v_lshrrev_b32_e32 v42, 16, v10
	v_bfe_u32 v10, v18, 8, 8
	s_delay_alu instid0(VALU_DEP_1) | instskip(NEXT) | instid1(VALU_DEP_1)
	v_cvt_f32_fp8_e32 v10, v10
	v_mul_f32_e32 v10, s19, v10
	s_delay_alu instid0(VALU_DEP_1) | instskip(SKIP_2) | instid1(VALU_DEP_3)
	v_bfe_u32 v17, v10, 16, 1
	v_or_b32_e32 v44, 0x400000, v10
	v_cmp_u_f32_e64 s0, v10, v10
	v_add3_u32 v17, v17, v10, 0x7fff
	s_wait_alu 0xf1ff
	s_delay_alu instid0(VALU_DEP_1) | instskip(SKIP_1) | instid1(VALU_DEP_2)
	v_cndmask_b32_e64 v10, v17, v44, s0
	v_bfe_u32 v17, v18, 16, 8
	v_lshrrev_b32_e32 v10, 16, v10
	s_delay_alu instid0(VALU_DEP_2) | instskip(NEXT) | instid1(VALU_DEP_1)
	v_cvt_f32_fp8_e32 v17, v17
	v_mul_f32_e32 v17, s19, v17
	s_delay_alu instid0(VALU_DEP_1) | instskip(SKIP_2) | instid1(VALU_DEP_3)
	v_bfe_u32 v44, v17, 16, 1
	v_or_b32_e32 v45, 0x400000, v17
	v_cmp_u_f32_e64 s0, v17, v17
	v_add3_u32 v44, v44, v17, 0x7fff
	s_wait_alu 0xf1ff
	s_delay_alu instid0(VALU_DEP_1) | instskip(NEXT) | instid1(VALU_DEP_1)
	v_cndmask_b32_e64 v17, v44, v45, s0
	v_lshrrev_b32_e32 v44, 16, v17
	v_lshrrev_b32_e32 v17, 24, v18
	s_delay_alu instid0(VALU_DEP_1) | instskip(NEXT) | instid1(VALU_DEP_1)
	v_cvt_f32_fp8_e32 v17, v17
	v_mul_f32_e32 v17, s19, v17
	s_delay_alu instid0(VALU_DEP_1) | instskip(SKIP_2) | instid1(VALU_DEP_3)
	v_bfe_u32 v18, v17, 16, 1
	v_or_b32_e32 v45, 0x400000, v17
	v_cmp_u_f32_e64 s0, v17, v17
	v_add3_u32 v18, v18, v17, 0x7fff
	s_wait_alu 0xf1ff
	s_delay_alu instid0(VALU_DEP_1) | instskip(NEXT) | instid1(VALU_DEP_1)
	v_cndmask_b32_e64 v17, v18, v45, s0
	v_lshrrev_b32_e32 v45, 16, v17
	s_and_saveexec_b32 s24, vcc_lo
	s_cbranch_execz .LBB356_81
; %bb.80:                               ;   in Loop: Header=BB356_38 Depth=1
	v_cmp_gt_i32_e64 s0, s34, v139
	s_wait_alu 0xf1ff
	s_delay_alu instid0(VALU_DEP_1) | instskip(SKIP_2) | instid1(VALU_DEP_1)
	v_cndmask_b32_e64 v38, 0, v38, s0
	v_cmp_gt_i32_e64 s0, s34, v149
	s_wait_alu 0xf1ff
	v_cndmask_b32_e64 v39, 0, v39, s0
	v_cmp_gt_i32_e64 s0, s34, v148
	s_wait_alu 0xf1ff
	s_delay_alu instid0(VALU_DEP_1) | instskip(SKIP_2) | instid1(VALU_DEP_1)
	v_cndmask_b32_e64 v40, 0, v40, s0
	v_cmp_gt_i32_e64 s0, s34, v147
	s_wait_alu 0xf1ff
	v_cndmask_b32_e64 v41, 0, v41, s0
	;; [unrolled: 7-line block ×4, first 2 shown]
.LBB356_81:                             ;   in Loop: Header=BB356_38 Depth=1
	s_or_b32 exec_lo, exec_lo, s24
	global_load_b64 v[17:18], v[13:14], off offset:5376
	s_wait_loadcnt 0x0
	v_and_b32_e32 v46, 0xff, v17
	s_delay_alu instid0(VALU_DEP_1) | instskip(NEXT) | instid1(VALU_DEP_1)
	v_cvt_f32_fp8_e32 v46, v46
	v_mul_f32_e32 v46, s19, v46
	s_delay_alu instid0(VALU_DEP_1) | instskip(SKIP_2) | instid1(VALU_DEP_3)
	v_bfe_u32 v47, v46, 16, 1
	v_or_b32_e32 v48, 0x400000, v46
	v_cmp_u_f32_e64 s0, v46, v46
	v_add3_u32 v47, v47, v46, 0x7fff
	s_wait_alu 0xf1ff
	s_delay_alu instid0(VALU_DEP_1) | instskip(SKIP_1) | instid1(VALU_DEP_2)
	v_cndmask_b32_e64 v46, v47, v48, s0
	v_bfe_u32 v47, v17, 8, 8
	v_lshrrev_b32_e32 v46, 16, v46
	s_delay_alu instid0(VALU_DEP_2) | instskip(NEXT) | instid1(VALU_DEP_1)
	v_cvt_f32_fp8_e32 v47, v47
	v_mul_f32_e32 v47, s19, v47
	s_delay_alu instid0(VALU_DEP_1) | instskip(SKIP_2) | instid1(VALU_DEP_3)
	v_bfe_u32 v48, v47, 16, 1
	v_or_b32_e32 v49, 0x400000, v47
	v_cmp_u_f32_e64 s0, v47, v47
	v_add3_u32 v48, v48, v47, 0x7fff
	s_wait_alu 0xf1ff
	s_delay_alu instid0(VALU_DEP_1) | instskip(SKIP_2) | instid1(VALU_DEP_3)
	v_cndmask_b32_e64 v47, v48, v49, s0
	v_bfe_u32 v48, v17, 16, 8
	v_lshrrev_b32_e32 v17, 24, v17
	v_lshrrev_b32_e32 v47, 16, v47
	s_delay_alu instid0(VALU_DEP_3) | instskip(NEXT) | instid1(VALU_DEP_3)
	v_cvt_f32_fp8_e32 v48, v48
	v_cvt_f32_fp8_e32 v17, v17
	s_delay_alu instid0(VALU_DEP_1) | instskip(NEXT) | instid1(VALU_DEP_1)
	v_dual_mul_f32 v48, s19, v48 :: v_dual_mul_f32 v17, s19, v17
	v_bfe_u32 v49, v48, 16, 1
	v_or_b32_e32 v50, 0x400000, v48
	v_cmp_u_f32_e64 s0, v48, v48
	s_delay_alu instid0(VALU_DEP_3) | instskip(SKIP_1) | instid1(VALU_DEP_1)
	v_add3_u32 v49, v49, v48, 0x7fff
	s_wait_alu 0xf1ff
	v_cndmask_b32_e64 v48, v49, v50, s0
	v_bfe_u32 v49, v17, 16, 1
	v_or_b32_e32 v50, 0x400000, v17
	v_cmp_u_f32_e64 s0, v17, v17
	s_delay_alu instid0(VALU_DEP_4) | instskip(NEXT) | instid1(VALU_DEP_4)
	v_lshrrev_b32_e32 v48, 16, v48
	v_add3_u32 v49, v49, v17, 0x7fff
	s_wait_alu 0xf1ff
	s_delay_alu instid0(VALU_DEP_1) | instskip(NEXT) | instid1(VALU_DEP_1)
	v_cndmask_b32_e64 v17, v49, v50, s0
	v_lshrrev_b32_e32 v49, 16, v17
	v_and_b32_e32 v17, 0xff, v18
	s_delay_alu instid0(VALU_DEP_1) | instskip(NEXT) | instid1(VALU_DEP_1)
	v_cvt_f32_fp8_e32 v17, v17
	v_mul_f32_e32 v17, s19, v17
	s_delay_alu instid0(VALU_DEP_1) | instskip(SKIP_2) | instid1(VALU_DEP_3)
	v_bfe_u32 v50, v17, 16, 1
	v_or_b32_e32 v51, 0x400000, v17
	v_cmp_u_f32_e64 s0, v17, v17
	v_add3_u32 v50, v50, v17, 0x7fff
	s_wait_alu 0xf1ff
	s_delay_alu instid0(VALU_DEP_1) | instskip(NEXT) | instid1(VALU_DEP_1)
	v_cndmask_b32_e64 v17, v50, v51, s0
	v_lshrrev_b32_e32 v50, 16, v17
	v_bfe_u32 v17, v18, 8, 8
	s_delay_alu instid0(VALU_DEP_1) | instskip(NEXT) | instid1(VALU_DEP_1)
	v_cvt_f32_fp8_e32 v17, v17
	v_mul_f32_e32 v17, s19, v17
	s_delay_alu instid0(VALU_DEP_1) | instskip(SKIP_2) | instid1(VALU_DEP_3)
	v_bfe_u32 v51, v17, 16, 1
	v_or_b32_e32 v52, 0x400000, v17
	v_cmp_u_f32_e64 s0, v17, v17
	v_add3_u32 v51, v51, v17, 0x7fff
	s_wait_alu 0xf1ff
	s_delay_alu instid0(VALU_DEP_1) | instskip(NEXT) | instid1(VALU_DEP_1)
	v_cndmask_b32_e64 v17, v51, v52, s0
	v_lshrrev_b32_e32 v51, 16, v17
	v_bfe_u32 v17, v18, 16, 8
	s_delay_alu instid0(VALU_DEP_1) | instskip(NEXT) | instid1(VALU_DEP_1)
	v_cvt_f32_fp8_e32 v17, v17
	v_mul_f32_e32 v17, s19, v17
	s_delay_alu instid0(VALU_DEP_1) | instskip(SKIP_2) | instid1(VALU_DEP_3)
	v_bfe_u32 v52, v17, 16, 1
	v_or_b32_e32 v53, 0x400000, v17
	v_cmp_u_f32_e64 s0, v17, v17
	v_add3_u32 v52, v52, v17, 0x7fff
	s_wait_alu 0xf1ff
	s_delay_alu instid0(VALU_DEP_1) | instskip(NEXT) | instid1(VALU_DEP_1)
	v_cndmask_b32_e64 v17, v52, v53, s0
	v_lshrrev_b32_e32 v52, 16, v17
	v_lshrrev_b32_e32 v17, 24, v18
	s_delay_alu instid0(VALU_DEP_1) | instskip(NEXT) | instid1(VALU_DEP_1)
	v_cvt_f32_fp8_e32 v17, v17
	v_mul_f32_e32 v17, s19, v17
	s_delay_alu instid0(VALU_DEP_1) | instskip(SKIP_2) | instid1(VALU_DEP_3)
	v_bfe_u32 v18, v17, 16, 1
	v_or_b32_e32 v53, 0x400000, v17
	v_cmp_u_f32_e64 s0, v17, v17
	v_add3_u32 v18, v18, v17, 0x7fff
	s_wait_alu 0xf1ff
	s_delay_alu instid0(VALU_DEP_1) | instskip(NEXT) | instid1(VALU_DEP_1)
	v_cndmask_b32_e64 v17, v18, v53, s0
	v_lshrrev_b32_e32 v53, 16, v17
	s_and_saveexec_b32 s24, vcc_lo
	s_cbranch_execz .LBB356_83
; %bb.82:                               ;   in Loop: Header=BB356_38 Depth=1
	v_cmp_gt_i32_e64 s0, s34, v139
	s_wait_alu 0xf1ff
	s_delay_alu instid0(VALU_DEP_1) | instskip(SKIP_2) | instid1(VALU_DEP_1)
	v_cndmask_b32_e64 v46, 0, v46, s0
	v_cmp_gt_i32_e64 s0, s34, v149
	s_wait_alu 0xf1ff
	v_cndmask_b32_e64 v47, 0, v47, s0
	v_cmp_gt_i32_e64 s0, s34, v148
	s_wait_alu 0xf1ff
	s_delay_alu instid0(VALU_DEP_1) | instskip(SKIP_2) | instid1(VALU_DEP_1)
	v_cndmask_b32_e64 v48, 0, v48, s0
	v_cmp_gt_i32_e64 s0, s34, v147
	s_wait_alu 0xf1ff
	v_cndmask_b32_e64 v49, 0, v49, s0
	;; [unrolled: 7-line block ×4, first 2 shown]
.LBB356_83:                             ;   in Loop: Header=BB356_38 Depth=1
	s_or_b32 exec_lo, exec_lo, s24
	global_load_b64 v[58:59], v[13:14], off offset:5632
	s_wait_loadcnt 0x0
	v_and_b32_e32 v17, 0xff, v58
	s_delay_alu instid0(VALU_DEP_1) | instskip(NEXT) | instid1(VALU_DEP_1)
	v_cvt_f32_fp8_e32 v17, v17
	v_mul_f32_e32 v17, s19, v17
	s_delay_alu instid0(VALU_DEP_1) | instskip(SKIP_2) | instid1(VALU_DEP_3)
	v_bfe_u32 v18, v17, 16, 1
	v_or_b32_e32 v54, 0x400000, v17
	v_cmp_u_f32_e64 s0, v17, v17
	v_add3_u32 v18, v18, v17, 0x7fff
	s_wait_alu 0xf1ff
	s_delay_alu instid0(VALU_DEP_1) | instskip(NEXT) | instid1(VALU_DEP_1)
	v_cndmask_b32_e64 v17, v18, v54, s0
	v_lshrrev_b32_e32 v54, 16, v17
	v_bfe_u32 v17, v58, 8, 8
	s_delay_alu instid0(VALU_DEP_1) | instskip(NEXT) | instid1(VALU_DEP_1)
	v_cvt_f32_fp8_e32 v17, v17
	v_mul_f32_e32 v17, s19, v17
	s_delay_alu instid0(VALU_DEP_1) | instskip(SKIP_2) | instid1(VALU_DEP_3)
	v_bfe_u32 v18, v17, 16, 1
	v_or_b32_e32 v55, 0x400000, v17
	v_cmp_u_f32_e64 s0, v17, v17
	v_add3_u32 v18, v18, v17, 0x7fff
	s_wait_alu 0xf1ff
	s_delay_alu instid0(VALU_DEP_1) | instskip(NEXT) | instid1(VALU_DEP_1)
	v_cndmask_b32_e64 v17, v18, v55, s0
	v_lshrrev_b32_e32 v55, 16, v17
	v_bfe_u32 v17, v58, 16, 8
	s_delay_alu instid0(VALU_DEP_1) | instskip(NEXT) | instid1(VALU_DEP_1)
	v_cvt_f32_fp8_e32 v17, v17
	v_mul_f32_e32 v17, s19, v17
	s_delay_alu instid0(VALU_DEP_1) | instskip(SKIP_2) | instid1(VALU_DEP_3)
	v_bfe_u32 v18, v17, 16, 1
	v_or_b32_e32 v56, 0x400000, v17
	v_cmp_u_f32_e64 s0, v17, v17
	v_add3_u32 v18, v18, v17, 0x7fff
	s_wait_alu 0xf1ff
	s_delay_alu instid0(VALU_DEP_1) | instskip(NEXT) | instid1(VALU_DEP_1)
	v_cndmask_b32_e64 v17, v18, v56, s0
	v_lshrrev_b32_e32 v56, 16, v17
	v_lshrrev_b32_e32 v17, 24, v58
	s_delay_alu instid0(VALU_DEP_1) | instskip(NEXT) | instid1(VALU_DEP_1)
	v_cvt_f32_fp8_e32 v17, v17
	v_mul_f32_e32 v17, s19, v17
	s_delay_alu instid0(VALU_DEP_1) | instskip(SKIP_2) | instid1(VALU_DEP_3)
	v_bfe_u32 v18, v17, 16, 1
	v_or_b32_e32 v57, 0x400000, v17
	v_cmp_u_f32_e64 s0, v17, v17
	v_add3_u32 v18, v18, v17, 0x7fff
	s_wait_alu 0xf1ff
	s_delay_alu instid0(VALU_DEP_1) | instskip(NEXT) | instid1(VALU_DEP_1)
	v_cndmask_b32_e64 v17, v18, v57, s0
	v_lshrrev_b32_e32 v57, 16, v17
	v_and_b32_e32 v17, 0xff, v59
	s_delay_alu instid0(VALU_DEP_1) | instskip(NEXT) | instid1(VALU_DEP_1)
	v_cvt_f32_fp8_e32 v17, v17
	v_mul_f32_e32 v17, s19, v17
	s_delay_alu instid0(VALU_DEP_1) | instskip(SKIP_2) | instid1(VALU_DEP_3)
	v_bfe_u32 v18, v17, 16, 1
	v_or_b32_e32 v58, 0x400000, v17
	v_cmp_u_f32_e64 s0, v17, v17
	v_add3_u32 v18, v18, v17, 0x7fff
	s_wait_alu 0xf1ff
	s_delay_alu instid0(VALU_DEP_1) | instskip(NEXT) | instid1(VALU_DEP_1)
	v_cndmask_b32_e64 v17, v18, v58, s0
	v_lshrrev_b32_e32 v58, 16, v17
	v_bfe_u32 v17, v59, 8, 8
	s_delay_alu instid0(VALU_DEP_1) | instskip(NEXT) | instid1(VALU_DEP_1)
	v_cvt_f32_fp8_e32 v17, v17
	v_mul_f32_e32 v17, s19, v17
	s_delay_alu instid0(VALU_DEP_1) | instskip(SKIP_2) | instid1(VALU_DEP_3)
	v_bfe_u32 v18, v17, 16, 1
	v_or_b32_e32 v60, 0x400000, v17
	v_cmp_u_f32_e64 s0, v17, v17
	v_add3_u32 v18, v18, v17, 0x7fff
	s_wait_alu 0xf1ff
	s_delay_alu instid0(VALU_DEP_1) | instskip(SKIP_2) | instid1(VALU_DEP_3)
	v_cndmask_b32_e64 v17, v18, v60, s0
	v_bfe_u32 v18, v59, 16, 8
	v_lshrrev_b32_e32 v59, 24, v59
	v_lshrrev_b32_e32 v17, 16, v17
	s_delay_alu instid0(VALU_DEP_3) | instskip(NEXT) | instid1(VALU_DEP_3)
	v_cvt_f32_fp8_e32 v18, v18
	v_cvt_f32_fp8_e32 v59, v59
	s_delay_alu instid0(VALU_DEP_1) | instskip(NEXT) | instid1(VALU_DEP_1)
	v_dual_mul_f32 v18, s19, v18 :: v_dual_mul_f32 v59, s19, v59
	v_bfe_u32 v60, v18, 16, 1
	v_or_b32_e32 v61, 0x400000, v18
	v_cmp_u_f32_e64 s0, v18, v18
	s_delay_alu instid0(VALU_DEP_3) | instskip(SKIP_1) | instid1(VALU_DEP_1)
	v_add3_u32 v60, v60, v18, 0x7fff
	s_wait_alu 0xf1ff
	v_cndmask_b32_e64 v18, v60, v61, s0
	v_bfe_u32 v60, v59, 16, 1
	v_or_b32_e32 v61, 0x400000, v59
	v_cmp_u_f32_e64 s0, v59, v59
	s_delay_alu instid0(VALU_DEP_4) | instskip(NEXT) | instid1(VALU_DEP_4)
	v_lshrrev_b32_e32 v18, 16, v18
	v_add3_u32 v60, v60, v59, 0x7fff
	s_wait_alu 0xf1ff
	s_delay_alu instid0(VALU_DEP_1) | instskip(NEXT) | instid1(VALU_DEP_1)
	v_cndmask_b32_e64 v59, v60, v61, s0
	v_lshrrev_b32_e32 v59, 16, v59
	s_and_saveexec_b32 s24, vcc_lo
	s_cbranch_execz .LBB356_85
; %bb.84:                               ;   in Loop: Header=BB356_38 Depth=1
	v_cmp_gt_i32_e64 s0, s34, v139
	s_wait_alu 0xf1ff
	s_delay_alu instid0(VALU_DEP_1) | instskip(SKIP_2) | instid1(VALU_DEP_1)
	v_cndmask_b32_e64 v54, 0, v54, s0
	v_cmp_gt_i32_e64 s0, s34, v149
	s_wait_alu 0xf1ff
	v_cndmask_b32_e64 v55, 0, v55, s0
	v_cmp_gt_i32_e64 s0, s34, v148
	s_wait_alu 0xf1ff
	s_delay_alu instid0(VALU_DEP_1) | instskip(SKIP_2) | instid1(VALU_DEP_1)
	v_cndmask_b32_e64 v56, 0, v56, s0
	v_cmp_gt_i32_e64 s0, s34, v147
	s_wait_alu 0xf1ff
	v_cndmask_b32_e64 v57, 0, v57, s0
	;; [unrolled: 7-line block ×4, first 2 shown]
.LBB356_85:                             ;   in Loop: Header=BB356_38 Depth=1
	s_or_b32 exec_lo, exec_lo, s24
	global_load_b64 v[60:61], v[13:14], off offset:5888
	s_wait_loadcnt 0x0
	v_and_b32_e32 v13, 0xff, v60
	s_delay_alu instid0(VALU_DEP_1) | instskip(NEXT) | instid1(VALU_DEP_1)
	v_cvt_f32_fp8_e32 v13, v13
	v_mul_f32_e32 v13, s19, v13
	s_delay_alu instid0(VALU_DEP_1) | instskip(SKIP_2) | instid1(VALU_DEP_3)
	v_bfe_u32 v14, v13, 16, 1
	v_or_b32_e32 v171, 0x400000, v13
	v_cmp_u_f32_e64 s0, v13, v13
	v_add3_u32 v14, v14, v13, 0x7fff
	s_wait_alu 0xf1ff
	s_delay_alu instid0(VALU_DEP_1) | instskip(NEXT) | instid1(VALU_DEP_1)
	v_cndmask_b32_e64 v13, v14, v171, s0
	v_lshrrev_b32_e32 v175, 16, v13
	v_bfe_u32 v13, v60, 8, 8
	s_delay_alu instid0(VALU_DEP_1) | instskip(NEXT) | instid1(VALU_DEP_1)
	v_cvt_f32_fp8_e32 v13, v13
	v_mul_f32_e32 v13, s19, v13
	s_delay_alu instid0(VALU_DEP_1) | instskip(SKIP_2) | instid1(VALU_DEP_3)
	v_bfe_u32 v14, v13, 16, 1
	v_or_b32_e32 v171, 0x400000, v13
	v_cmp_u_f32_e64 s0, v13, v13
	v_add3_u32 v14, v14, v13, 0x7fff
	s_wait_alu 0xf1ff
	s_delay_alu instid0(VALU_DEP_1) | instskip(NEXT) | instid1(VALU_DEP_1)
	v_cndmask_b32_e64 v13, v14, v171, s0
	v_lshrrev_b32_e32 v174, 16, v13
	v_bfe_u32 v13, v60, 16, 8
	s_delay_alu instid0(VALU_DEP_1) | instskip(NEXT) | instid1(VALU_DEP_1)
	v_cvt_f32_fp8_e32 v13, v13
	v_mul_f32_e32 v13, s19, v13
	s_delay_alu instid0(VALU_DEP_1) | instskip(SKIP_2) | instid1(VALU_DEP_3)
	v_bfe_u32 v14, v13, 16, 1
	v_or_b32_e32 v171, 0x400000, v13
	v_cmp_u_f32_e64 s0, v13, v13
	v_add3_u32 v14, v14, v13, 0x7fff
	s_wait_alu 0xf1ff
	s_delay_alu instid0(VALU_DEP_1) | instskip(NEXT) | instid1(VALU_DEP_1)
	v_cndmask_b32_e64 v13, v14, v171, s0
	v_lshrrev_b32_e32 v173, 16, v13
	v_lshrrev_b32_e32 v13, 24, v60
	s_delay_alu instid0(VALU_DEP_1) | instskip(NEXT) | instid1(VALU_DEP_1)
	v_cvt_f32_fp8_e32 v13, v13
	v_mul_f32_e32 v13, s19, v13
	s_delay_alu instid0(VALU_DEP_1) | instskip(SKIP_2) | instid1(VALU_DEP_3)
	v_bfe_u32 v14, v13, 16, 1
	v_or_b32_e32 v60, 0x400000, v13
	v_cmp_u_f32_e64 s0, v13, v13
	v_add3_u32 v14, v14, v13, 0x7fff
	s_wait_alu 0xf1ff
	s_delay_alu instid0(VALU_DEP_1) | instskip(NEXT) | instid1(VALU_DEP_1)
	v_cndmask_b32_e64 v13, v14, v60, s0
	v_lshrrev_b32_e32 v172, 16, v13
	v_and_b32_e32 v13, 0xff, v61
	s_delay_alu instid0(VALU_DEP_1) | instskip(NEXT) | instid1(VALU_DEP_1)
	v_cvt_f32_fp8_e32 v13, v13
	v_mul_f32_e32 v13, s19, v13
	s_delay_alu instid0(VALU_DEP_1) | instskip(SKIP_2) | instid1(VALU_DEP_3)
	v_bfe_u32 v14, v13, 16, 1
	v_or_b32_e32 v60, 0x400000, v13
	v_cmp_u_f32_e64 s0, v13, v13
	v_add3_u32 v14, v14, v13, 0x7fff
	s_wait_alu 0xf1ff
	s_delay_alu instid0(VALU_DEP_1) | instskip(NEXT) | instid1(VALU_DEP_1)
	v_cndmask_b32_e64 v13, v14, v60, s0
	v_lshrrev_b32_e32 v171, 16, v13
	v_bfe_u32 v13, v61, 8, 8
	s_delay_alu instid0(VALU_DEP_1) | instskip(NEXT) | instid1(VALU_DEP_1)
	v_cvt_f32_fp8_e32 v13, v13
	v_mul_f32_e32 v13, s19, v13
	s_delay_alu instid0(VALU_DEP_1) | instskip(SKIP_2) | instid1(VALU_DEP_3)
	v_bfe_u32 v14, v13, 16, 1
	v_or_b32_e32 v60, 0x400000, v13
	v_cmp_u_f32_e64 s0, v13, v13
	v_add3_u32 v14, v14, v13, 0x7fff
	s_wait_alu 0xf1ff
	s_delay_alu instid0(VALU_DEP_1) | instskip(NEXT) | instid1(VALU_DEP_1)
	v_cndmask_b32_e64 v13, v14, v60, s0
	v_lshrrev_b32_e32 v14, 16, v13
	v_bfe_u32 v13, v61, 16, 8
	s_delay_alu instid0(VALU_DEP_1) | instskip(NEXT) | instid1(VALU_DEP_1)
	v_cvt_f32_fp8_e32 v13, v13
	v_mul_f32_e32 v13, s19, v13
	s_delay_alu instid0(VALU_DEP_1) | instskip(SKIP_2) | instid1(VALU_DEP_3)
	v_bfe_u32 v60, v13, 16, 1
	v_or_b32_e32 v176, 0x400000, v13
	v_cmp_u_f32_e64 s0, v13, v13
	v_add3_u32 v60, v60, v13, 0x7fff
	s_wait_alu 0xf1ff
	s_delay_alu instid0(VALU_DEP_1) | instskip(SKIP_1) | instid1(VALU_DEP_2)
	v_cndmask_b32_e64 v13, v60, v176, s0
	v_lshrrev_b32_e32 v60, 24, v61
	v_lshrrev_b32_e32 v13, 16, v13
	s_delay_alu instid0(VALU_DEP_2) | instskip(NEXT) | instid1(VALU_DEP_1)
	v_cvt_f32_fp8_e32 v60, v60
	v_mul_f32_e32 v60, s19, v60
	s_delay_alu instid0(VALU_DEP_1) | instskip(SKIP_2) | instid1(VALU_DEP_3)
	v_bfe_u32 v61, v60, 16, 1
	v_or_b32_e32 v176, 0x400000, v60
	v_cmp_u_f32_e64 s0, v60, v60
	v_add3_u32 v61, v61, v60, 0x7fff
	s_wait_alu 0xf1ff
	s_delay_alu instid0(VALU_DEP_1) | instskip(NEXT) | instid1(VALU_DEP_1)
	v_cndmask_b32_e64 v60, v61, v176, s0
	v_lshrrev_b32_e32 v176, 16, v60
	s_and_saveexec_b32 s0, vcc_lo
	s_cbranch_execz .LBB356_36
; %bb.86:                               ;   in Loop: Header=BB356_38 Depth=1
	v_cmp_gt_i32_e32 vcc_lo, s34, v139
	s_wait_alu 0xfffd
	v_cndmask_b32_e32 v175, 0, v175, vcc_lo
	v_cmp_gt_i32_e32 vcc_lo, s34, v149
	s_wait_alu 0xfffd
	v_cndmask_b32_e32 v174, 0, v174, vcc_lo
	;; [unrolled: 3-line block ×8, first 2 shown]
	s_branch .LBB356_36
.LBB356_87:
	s_or_b32 exec_lo, exec_lo, s14
	s_clause 0x1
	scratch_load_b32 v51, off, off offset:192
	scratch_load_b32 v34, off, off offset:196
.LBB356_88:
	s_wait_alu 0xfffe
	s_or_b32 exec_lo, exec_lo, s1
	s_wait_loadcnt 0x0
	ds_bpermute_b32 v0, v34, v16
	ds_bpermute_b32 v1, v34, v24
	ds_bpermute_b32 v2, v34, v23
	ds_bpermute_b32 v3, v34, v21
	ds_bpermute_b32 v4, v34, v20
	ds_bpermute_b32 v10, v34, v22
	ds_bpermute_b32 v11, v34, v38
	ds_bpermute_b32 v5, v34, v30
	ds_bpermute_b32 v8, v34, v27
	ds_bpermute_b32 v9, v34, v26
	ds_bpermute_b32 v12, v34, v36
	ds_bpermute_b32 v14, v34, v35
	ds_bpermute_b32 v15, v34, v37
	ds_bpermute_b32 v17, v34, v39
	ds_bpermute_b32 v6, v34, v29
	ds_bpermute_b32 v7, v34, v28
	ds_bpermute_b32 v13, v34, v33
	ds_bpermute_b32 v18, v34, v41
	ds_bpermute_b32 v25, v34, v44
	s_mov_b32 s0, exec_lo
	s_wait_dscnt 0x12
	v_add_f32_e32 v0, v16, v0
	s_wait_dscnt 0x10
	v_dual_add_f32 v1, v24, v1 :: v_dual_add_f32 v2, v23, v2
	s_wait_dscnt 0xf
	v_add_f32_e32 v3, v21, v3
	ds_bpermute_b32 v24, v34, v47
	ds_bpermute_b32 v16, v51, v0
	;; [unrolled: 1-line block ×5, first 2 shown]
	s_wait_dscnt 0x10
	v_dual_add_f32 v4, v20, v4 :: v_dual_add_f32 v5, v30, v5
	v_add_f32_e32 v10, v22, v10
	s_wait_dscnt 0xe
	v_dual_add_f32 v8, v27, v8 :: v_dual_add_f32 v9, v26, v9
	ds_bpermute_b32 v26, v51, v4
	ds_bpermute_b32 v27, v51, v5
	s_wait_dscnt 0xa
	v_dual_add_f32 v6, v29, v6 :: v_dual_add_f32 v7, v28, v7
	ds_bpermute_b32 v31, v51, v9
	s_wait_dscnt 0x9
	v_add_f32_e32 v41, v41, v18
	s_wait_dscnt 0x8
	v_add_f32_e32 v25, v44, v25
	ds_bpermute_b32 v28, v51, v6
	ds_bpermute_b32 v29, v51, v7
	;; [unrolled: 1-line block ×4, first 2 shown]
	s_wait_dscnt 0xa
	v_add_f32_e32 v22, v0, v16
	s_wait_dscnt 0x9
	v_dual_add_f32 v20, v1, v19 :: v_dual_add_f32 v35, v35, v14
	s_wait_dscnt 0x8
	v_add_f32_e32 v19, v2, v21
	ds_bpermute_b32 v0, v34, v45
	v_dual_add_f32 v1, v38, v11 :: v_dual_add_f32 v24, v47, v24
	ds_bpermute_b32 v2, v34, v46
	ds_bpermute_b32 v11, v34, v63
	s_wait_dscnt 0xa
	v_dual_add_f32 v16, v3, v23 :: v_dual_add_f32 v33, v33, v13
	v_add_f32_e32 v3, v36, v12
	ds_bpermute_b32 v12, v34, v49
	ds_bpermute_b32 v34, v51, v1
	v_add_f32_e32 v37, v37, v15
	v_add_f32_e32 v39, v39, v17
	ds_bpermute_b32 v36, v51, v3
	s_wait_dscnt 0xa
	v_dual_add_f32 v23, v4, v26 :: v_dual_add_f32 v14, v9, v31
	v_add_f32_e32 v18, v5, v27
	ds_bpermute_b32 v32, v51, v10
	ds_bpermute_b32 v38, v51, v33
	;; [unrolled: 1-line block ×3, first 2 shown]
	s_wait_dscnt 0xc
	v_add_f32_e32 v21, v6, v28
	s_wait_dscnt 0x8
	v_add_f32_e32 v0, v45, v0
	ds_bpermute_b32 v45, v51, v24
	ds_bpermute_b32 v43, v51, v39
	s_wait_dscnt 0x8
	v_dual_add_f32 v2, v46, v2 :: v_dual_add_f32 v47, v63, v11
	ds_bpermute_b32 v48, v51, v0
	ds_bpermute_b32 v46, v51, v25
	;; [unrolled: 1-line block ×4, first 2 shown]
	s_wait_dscnt 0xb
	v_add_f32_e32 v49, v49, v12
	s_wait_dscnt 0xa
	v_add_f32_e32 v12, v1, v34
	ds_bpermute_b32 v26, v51, v47
	s_wait_dscnt 0xa
	v_add_f32_e32 v11, v3, v36
	v_add_f32_e32 v17, v7, v29
	v_dual_add_f32 v15, v8, v30 :: v_dual_add_f32 v6, v41, v44
	s_wait_dscnt 0x8
	v_dual_add_f32 v13, v10, v32 :: v_dual_add_f32 v10, v33, v38
	s_wait_dscnt 0x6
	v_add_f32_e32 v5, v24, v45
	scratch_load_b32 v24, off, off offset:176 th:TH_LOAD_LU ; 4-byte Folded Reload
	s_wait_dscnt 0x5
	v_add_f32_e32 v7, v39, v43
	s_wait_dscnt 0x3
	v_dual_add_f32 v3, v0, v48 :: v_dual_add_f32 v4, v25, v46
	s_wait_dscnt 0x2
	v_add_f32_e32 v8, v37, v42
	s_wait_dscnt 0x1
	v_add_f32_e32 v0, v2, v50
	ds_bpermute_b32 v27, v51, v49
	v_add_f32_e32 v9, v35, v40
	s_wait_dscnt 0x1
	v_add_f32_e32 v1, v47, v26
	s_clause 0x1
	scratch_load_b32 v26, off, off offset:884 th:TH_LOAD_LU
	scratch_load_b32 v2, off, off offset:172
	s_wait_storecnt 0x0
	s_wait_loadcnt_dscnt 0x0
	s_barrier_signal -1
	s_barrier_wait -1
	global_inv scope:SCOPE_SE
	v_and_b32_e32 v25, 28, v24
	v_lshrrev_b32_e32 v24, 2, v24
	s_delay_alu instid0(VALU_DEP_2) | instskip(SKIP_3) | instid1(VALU_DEP_2)
	v_add_nc_u32_e32 v25, 0x1a0, v25
	v_mul_u32_u24_e32 v26, 0x300, v26
	v_and_b32_e32 v28, 0x3c3, v2
	v_add_f32_e32 v2, v49, v27
	v_cmpx_eq_u32_e32 64, v28
	s_cbranch_execz .LBB356_90
; %bb.89:
	v_add_nc_u32_e32 v27, v25, v26
	s_delay_alu instid0(VALU_DEP_1)
	v_add_nc_u32_e32 v28, 0xfffffa00, v27
	v_add_nc_u32_e32 v29, 0xfffffa20, v27
	v_add_nc_u32_e32 v30, 0xfffffa40, v27
	v_add_nc_u32_e32 v31, 0xfffffa60, v27
	v_add_nc_u32_e32 v32, 0xfffffa80, v27
	v_add_nc_u32_e32 v33, 0xfffffaa0, v27
	v_add_nc_u32_e32 v34, 0xfffffac0, v27
	v_add_nc_u32_e32 v35, 0xfffffae0, v27
	ds_store_b32 v28, v22
	ds_store_b32 v29, v20
	ds_store_b32 v30, v19
	ds_store_b32 v31, v16
	ds_store_b32 v32, v23
	ds_store_b32 v33, v18
	ds_store_b32 v34, v21
	ds_store_b32 v35, v17
	v_add_nc_u32_e32 v28, 0xfffffb00, v27
	v_add_nc_u32_e32 v29, 0xfffffb20, v27
	v_add_nc_u32_e32 v30, 0xfffffb40, v27
	v_add_nc_u32_e32 v31, 0xfffffb60, v27
	v_add_nc_u32_e32 v32, 0xfffffb80, v27
	v_add_nc_u32_e32 v33, 0xfffffba0, v27
	v_add_nc_u32_e32 v34, 0xfffffbc0, v27
	v_add_nc_u32_e32 v35, 0xfffffbe0, v27
	ds_store_b32 v28, v15
	ds_store_b32 v29, v14
	ds_store_b32 v30, v13
	ds_store_b32 v31, v12
	ds_store_b32 v32, v11
	ds_store_b32 v33, v10
	ds_store_b32 v34, v9
	ds_store_b32 v35, v8
	v_add_nc_u32_e32 v28, 0xfffffc00, v27
	v_add_nc_u32_e32 v29, 0xfffffc20, v27
	v_add_nc_u32_e32 v30, 0xfffffc40, v27
	v_add_nc_u32_e32 v31, 0xfffffc60, v27
	v_add_nc_u32_e32 v32, 0xfffffc80, v27
	v_add_nc_u32_e32 v33, 0xfffffca0, v27
	v_add_nc_u32_e32 v34, 0xfffffcc0, v27
	v_add_nc_u32_e32 v27, 0xfffffce0, v27
	ds_store_b32 v28, v7
	ds_store_b32 v29, v6
	ds_store_b32 v30, v5
	ds_store_b32 v31, v4
	ds_store_b32 v32, v3
	ds_store_b32 v33, v0
	ds_store_b32 v34, v1
	ds_store_b32 v27, v2
.LBB356_90:
	s_wait_alu 0xfffe
	s_or_b32 exec_lo, exec_lo, s0
	scratch_load_b32 v28, off, off offset:172 ; 4-byte Folded Reload
	v_lshlrev_b32_e32 v24, 2, v24
	s_mov_b32 s1, exec_lo
	s_wait_loadcnt_dscnt 0x0
	s_barrier_signal -1
	s_barrier_wait -1
	v_add3_u32 v24, 0x1a0, v26, v24
	global_inv scope:SCOPE_SE
	v_and_b32_e32 v27, 3, v28
	s_delay_alu instid0(VALU_DEP_1)
	v_cmp_eq_u32_e32 vcc_lo, 0, v27
	v_cmpx_gt_u32_e32 64, v28
	s_cbranch_execz .LBB356_117
; %bb.91:
	s_and_saveexec_b32 s0, vcc_lo
	s_cbranch_execnz .LBB356_149
; %bb.92:
	s_wait_alu 0xfffe
	s_or_b32 exec_lo, exec_lo, s0
	s_and_saveexec_b32 s0, vcc_lo
	s_cbranch_execnz .LBB356_150
.LBB356_93:
	s_wait_alu 0xfffe
	s_or_b32 exec_lo, exec_lo, s0
	s_and_saveexec_b32 s0, vcc_lo
	s_cbranch_execnz .LBB356_151
.LBB356_94:
	s_wait_alu 0xfffe
	s_or_b32 exec_lo, exec_lo, s0
	s_and_saveexec_b32 s0, vcc_lo
	s_cbranch_execnz .LBB356_152
.LBB356_95:
	s_wait_alu 0xfffe
	s_or_b32 exec_lo, exec_lo, s0
	s_and_saveexec_b32 s0, vcc_lo
	s_cbranch_execnz .LBB356_153
.LBB356_96:
	s_wait_alu 0xfffe
	s_or_b32 exec_lo, exec_lo, s0
	s_and_saveexec_b32 s0, vcc_lo
	s_cbranch_execnz .LBB356_154
.LBB356_97:
	s_wait_alu 0xfffe
	s_or_b32 exec_lo, exec_lo, s0
	s_and_saveexec_b32 s0, vcc_lo
	s_cbranch_execnz .LBB356_155
.LBB356_98:
	s_wait_alu 0xfffe
	s_or_b32 exec_lo, exec_lo, s0
	s_and_saveexec_b32 s0, vcc_lo
	s_cbranch_execnz .LBB356_156
.LBB356_99:
	s_wait_alu 0xfffe
	s_or_b32 exec_lo, exec_lo, s0
	s_and_saveexec_b32 s0, vcc_lo
	s_cbranch_execnz .LBB356_157
.LBB356_100:
	s_wait_alu 0xfffe
	s_or_b32 exec_lo, exec_lo, s0
	s_and_saveexec_b32 s0, vcc_lo
	s_cbranch_execnz .LBB356_158
.LBB356_101:
	s_wait_alu 0xfffe
	s_or_b32 exec_lo, exec_lo, s0
	s_and_saveexec_b32 s0, vcc_lo
	s_cbranch_execnz .LBB356_159
.LBB356_102:
	s_wait_alu 0xfffe
	s_or_b32 exec_lo, exec_lo, s0
	s_and_saveexec_b32 s0, vcc_lo
	s_cbranch_execnz .LBB356_160
.LBB356_103:
	s_wait_alu 0xfffe
	s_or_b32 exec_lo, exec_lo, s0
	s_and_saveexec_b32 s0, vcc_lo
	s_cbranch_execnz .LBB356_161
.LBB356_104:
	s_wait_alu 0xfffe
	s_or_b32 exec_lo, exec_lo, s0
	s_and_saveexec_b32 s0, vcc_lo
	s_cbranch_execnz .LBB356_162
.LBB356_105:
	s_wait_alu 0xfffe
	s_or_b32 exec_lo, exec_lo, s0
	s_and_saveexec_b32 s0, vcc_lo
	s_cbranch_execnz .LBB356_163
.LBB356_106:
	s_wait_alu 0xfffe
	s_or_b32 exec_lo, exec_lo, s0
	s_and_saveexec_b32 s0, vcc_lo
	s_cbranch_execnz .LBB356_164
.LBB356_107:
	s_wait_alu 0xfffe
	s_or_b32 exec_lo, exec_lo, s0
	s_and_saveexec_b32 s0, vcc_lo
	s_cbranch_execnz .LBB356_165
.LBB356_108:
	s_wait_alu 0xfffe
	s_or_b32 exec_lo, exec_lo, s0
	s_and_saveexec_b32 s0, vcc_lo
	s_cbranch_execnz .LBB356_166
.LBB356_109:
	s_wait_alu 0xfffe
	s_or_b32 exec_lo, exec_lo, s0
	s_and_saveexec_b32 s0, vcc_lo
	s_cbranch_execnz .LBB356_167
.LBB356_110:
	s_wait_alu 0xfffe
	s_or_b32 exec_lo, exec_lo, s0
	s_and_saveexec_b32 s0, vcc_lo
	s_cbranch_execnz .LBB356_168
.LBB356_111:
	s_wait_alu 0xfffe
	s_or_b32 exec_lo, exec_lo, s0
	s_and_saveexec_b32 s0, vcc_lo
	s_cbranch_execnz .LBB356_169
.LBB356_112:
	s_wait_alu 0xfffe
	s_or_b32 exec_lo, exec_lo, s0
	s_and_saveexec_b32 s0, vcc_lo
	s_cbranch_execnz .LBB356_170
.LBB356_113:
	s_wait_alu 0xfffe
	s_or_b32 exec_lo, exec_lo, s0
	s_and_saveexec_b32 s0, vcc_lo
	s_cbranch_execnz .LBB356_171
.LBB356_114:
	s_wait_alu 0xfffe
	s_or_b32 exec_lo, exec_lo, s0
	s_and_saveexec_b32 s0, vcc_lo
	s_cbranch_execz .LBB356_116
.LBB356_115:
	ds_load_b32 v26, v24 offset:736
	s_wait_dscnt 0x0
	v_add_f32_e32 v2, v2, v26
.LBB356_116:
	s_wait_alu 0xfffe
	s_or_b32 exec_lo, exec_lo, s0
.LBB356_117:
	s_wait_alu 0xfffe
	s_or_b32 exec_lo, exec_lo, s1
	scratch_load_b32 v26, off, off offset:172 ; 4-byte Folded Reload
	s_mov_b32 s1, exec_lo
	s_wait_loadcnt 0x0
	s_barrier_signal -1
	s_barrier_wait -1
	global_inv scope:SCOPE_SE
	v_and_b32_e32 v26, 0x3e3, v26
	s_delay_alu instid0(VALU_DEP_1)
	v_cmpx_eq_u32_e32 32, v26
	s_cbranch_execz .LBB356_119
; %bb.118:
	ds_store_2addr_b32 v25, v22, v20 offset1:8
	ds_store_2addr_b32 v25, v19, v16 offset0:16 offset1:24
	ds_store_2addr_b32 v25, v23, v18 offset0:32 offset1:40
	;; [unrolled: 1-line block ×11, first 2 shown]
.LBB356_119:
	s_wait_alu 0xfffe
	s_or_b32 exec_lo, exec_lo, s1
	scratch_load_b32 v25, off, off offset:172 ; 4-byte Folded Reload
	s_mov_b32 s1, exec_lo
	s_wait_loadcnt_dscnt 0x0
	s_barrier_signal -1
	s_barrier_wait -1
	global_inv scope:SCOPE_SE
	v_cmpx_gt_u32_e32 32, v25
	s_cbranch_execz .LBB356_146
; %bb.120:
	s_and_saveexec_b32 s0, vcc_lo
	s_cbranch_execnz .LBB356_172
; %bb.121:
	s_wait_alu 0xfffe
	s_or_b32 exec_lo, exec_lo, s0
	s_and_saveexec_b32 s0, vcc_lo
	s_cbranch_execnz .LBB356_173
.LBB356_122:
	s_wait_alu 0xfffe
	s_or_b32 exec_lo, exec_lo, s0
	s_and_saveexec_b32 s0, vcc_lo
	s_cbranch_execnz .LBB356_174
.LBB356_123:
	s_wait_alu 0xfffe
	s_or_b32 exec_lo, exec_lo, s0
	s_and_saveexec_b32 s0, vcc_lo
	s_cbranch_execnz .LBB356_175
.LBB356_124:
	s_wait_alu 0xfffe
	s_or_b32 exec_lo, exec_lo, s0
	s_and_saveexec_b32 s0, vcc_lo
	s_cbranch_execnz .LBB356_176
.LBB356_125:
	s_wait_alu 0xfffe
	s_or_b32 exec_lo, exec_lo, s0
	s_and_saveexec_b32 s0, vcc_lo
	s_cbranch_execnz .LBB356_177
.LBB356_126:
	s_wait_alu 0xfffe
	s_or_b32 exec_lo, exec_lo, s0
	s_and_saveexec_b32 s0, vcc_lo
	s_cbranch_execnz .LBB356_178
.LBB356_127:
	s_wait_alu 0xfffe
	s_or_b32 exec_lo, exec_lo, s0
	s_and_saveexec_b32 s0, vcc_lo
	s_cbranch_execnz .LBB356_179
.LBB356_128:
	s_wait_alu 0xfffe
	s_or_b32 exec_lo, exec_lo, s0
	s_and_saveexec_b32 s0, vcc_lo
	s_cbranch_execnz .LBB356_180
.LBB356_129:
	s_wait_alu 0xfffe
	s_or_b32 exec_lo, exec_lo, s0
	s_and_saveexec_b32 s0, vcc_lo
	s_cbranch_execnz .LBB356_181
.LBB356_130:
	s_wait_alu 0xfffe
	s_or_b32 exec_lo, exec_lo, s0
	s_and_saveexec_b32 s0, vcc_lo
	s_cbranch_execnz .LBB356_182
.LBB356_131:
	s_wait_alu 0xfffe
	s_or_b32 exec_lo, exec_lo, s0
	s_and_saveexec_b32 s0, vcc_lo
	s_cbranch_execnz .LBB356_183
.LBB356_132:
	s_wait_alu 0xfffe
	s_or_b32 exec_lo, exec_lo, s0
	s_and_saveexec_b32 s0, vcc_lo
	s_cbranch_execnz .LBB356_184
.LBB356_133:
	s_wait_alu 0xfffe
	s_or_b32 exec_lo, exec_lo, s0
	s_and_saveexec_b32 s0, vcc_lo
	s_cbranch_execnz .LBB356_185
.LBB356_134:
	s_wait_alu 0xfffe
	s_or_b32 exec_lo, exec_lo, s0
	s_and_saveexec_b32 s0, vcc_lo
	s_cbranch_execnz .LBB356_186
.LBB356_135:
	s_wait_alu 0xfffe
	s_or_b32 exec_lo, exec_lo, s0
	s_and_saveexec_b32 s0, vcc_lo
	s_cbranch_execnz .LBB356_187
.LBB356_136:
	s_wait_alu 0xfffe
	s_or_b32 exec_lo, exec_lo, s0
	s_and_saveexec_b32 s0, vcc_lo
	s_cbranch_execnz .LBB356_188
.LBB356_137:
	s_wait_alu 0xfffe
	s_or_b32 exec_lo, exec_lo, s0
	s_and_saveexec_b32 s0, vcc_lo
	s_cbranch_execnz .LBB356_189
.LBB356_138:
	s_wait_alu 0xfffe
	s_or_b32 exec_lo, exec_lo, s0
	s_and_saveexec_b32 s0, vcc_lo
	s_cbranch_execnz .LBB356_190
.LBB356_139:
	s_wait_alu 0xfffe
	s_or_b32 exec_lo, exec_lo, s0
	s_and_saveexec_b32 s0, vcc_lo
	s_cbranch_execnz .LBB356_191
.LBB356_140:
	s_wait_alu 0xfffe
	s_or_b32 exec_lo, exec_lo, s0
	s_and_saveexec_b32 s0, vcc_lo
	s_cbranch_execnz .LBB356_192
.LBB356_141:
	s_wait_alu 0xfffe
	s_or_b32 exec_lo, exec_lo, s0
	s_and_saveexec_b32 s0, vcc_lo
	s_cbranch_execnz .LBB356_193
.LBB356_142:
	s_wait_alu 0xfffe
	s_or_b32 exec_lo, exec_lo, s0
	s_and_saveexec_b32 s0, vcc_lo
	s_cbranch_execnz .LBB356_194
.LBB356_143:
	s_wait_alu 0xfffe
	s_or_b32 exec_lo, exec_lo, s0
	s_and_saveexec_b32 s0, vcc_lo
	s_cbranch_execz .LBB356_145
.LBB356_144:
	ds_load_b32 v24, v24 offset:736
	s_wait_dscnt 0x0
	v_add_f32_e32 v2, v2, v24
.LBB356_145:
	s_wait_alu 0xfffe
	s_or_b32 exec_lo, exec_lo, s0
.LBB356_146:
	s_wait_alu 0xfffe
	s_or_b32 exec_lo, exec_lo, s1
	s_mov_b32 s1, 0
	s_wait_loadcnt 0x0
	s_barrier_signal -1
	s_barrier_wait -1
	global_inv scope:SCOPE_SE
	s_mov_b32 s0, exec_lo
	v_cmpx_eq_u32_e32 0, v26
	s_cbranch_execz .LBB356_148
; %bb.147:
	scratch_load_b32 v26, off, off offset:172 th:TH_LOAD_LU ; 4-byte Folded Reload
	v_bfe_u32 v24, v22, 16, 1
	v_bfe_u32 v25, v20, 16, 1
	v_or_b32_e32 v27, 0x400000, v22
	v_cmp_u_f32_e32 vcc_lo, v22, v22
	v_or_b32_e32 v28, 0x400000, v20
	v_add3_u32 v24, v24, v22, 0x7fff
	v_add3_u32 v25, v25, v20, 0x7fff
	v_bfe_u32 v29, v19, 16, 1
	v_or_b32_e32 v30, 0x400000, v17
	s_mul_i32 s2, s18, 0xc0
	s_wait_alu 0xfffd
	v_cndmask_b32_e32 v22, v24, v27, vcc_lo
	v_cmp_u_f32_e32 vcc_lo, v20, v20
	v_bfe_u32 v24, v16, 16, 1
	v_or_b32_e32 v27, 0x400000, v19
	s_mul_i32 s4, s7, s20
	s_wait_alu 0xfffe
	s_ashr_i32 s3, s2, 31
	s_wait_alu 0xfffd
	v_cndmask_b32_e32 v20, v25, v28, vcc_lo
	v_add3_u32 v25, v29, v19, 0x7fff
	v_cmp_u_f32_e32 vcc_lo, v19, v19
	v_bfe_u32 v28, v23, 16, 1
	v_add3_u32 v24, v24, v16, 0x7fff
	v_or_b32_e32 v29, 0x400000, v16
	s_ashr_i32 s5, s4, 31
	s_wait_alu 0xfffd
	v_cndmask_b32_e32 v19, v25, v27, vcc_lo
	v_cmp_u_f32_e32 vcc_lo, v16, v16
	v_add3_u32 v25, v28, v23, 0x7fff
	v_or_b32_e32 v27, 0x400000, v23
	v_bfe_u32 v28, v21, 16, 1
	s_wait_alu 0xfffe
	s_lshl_b64 s[2:3], s[2:3], 1
	s_wait_alu 0xfffd
	v_cndmask_b32_e32 v16, v24, v29, vcc_lo
	v_bfe_u32 v24, v18, 16, 1
	v_cmp_u_f32_e32 vcc_lo, v23, v23
	v_add3_u32 v28, v28, v21, 0x7fff
	v_or_b32_e32 v29, 0x400000, v21
	s_lshl_b64 s[4:5], s[4:5], 1
	v_add3_u32 v24, v24, v18, 0x7fff
	s_wait_alu 0xfffd
	v_cndmask_b32_e32 v23, v25, v27, vcc_lo
	v_or_b32_e32 v27, 0x400000, v18
	v_cmp_u_f32_e32 vcc_lo, v18, v18
	v_bfe_u32 v25, v17, 16, 1
	s_wait_kmcnt 0x0
	s_wait_alu 0xfffe
	s_add_nc_u64 s[2:3], s[8:9], s[2:3]
	s_mul_i32 s0, s33, 0x180
	s_wait_alu 0xfffe
	s_add_nc_u64 s[2:3], s[2:3], s[4:5]
	s_wait_alu 0xfffd
	v_cndmask_b32_e32 v18, v24, v27, vcc_lo
	v_cmp_u_f32_e32 vcc_lo, v21, v21
	v_add3_u32 v25, v25, v17, 0x7fff
	v_bfe_u32 v24, v15, 16, 1
	s_wait_alu 0xfffe
	s_add_nc_u64 s[0:1], s[2:3], s[0:1]
	s_wait_alu 0xfffd
	v_cndmask_b32_e32 v21, v28, v29, vcc_lo
	v_cmp_u_f32_e32 vcc_lo, v17, v17
	s_wait_alu 0xfffd
	v_cndmask_b32_e32 v17, v25, v30, vcc_lo
	v_bfe_u32 v25, v14, 16, 1
	v_cmp_u_f32_e32 vcc_lo, v15, v15
	s_wait_loadcnt 0x0
	v_lshrrev_b32_e32 v26, 1, v26
	s_clause 0x7
	global_store_d16_hi_b16 v26, v22, s[0:1]
	global_store_d16_hi_b16 v26, v20, s[0:1] offset:16
	global_store_d16_hi_b16 v26, v19, s[0:1] offset:32
	;; [unrolled: 1-line block ×7, first 2 shown]
	v_add3_u32 v16, v24, v15, 0x7fff
	v_or_b32_e32 v17, 0x400000, v15
	v_add3_u32 v18, v25, v14, 0x7fff
	v_or_b32_e32 v19, 0x400000, v14
	v_bfe_u32 v20, v13, 16, 1
	v_or_b32_e32 v21, 0x400000, v8
	s_wait_alu 0xfffd
	v_cndmask_b32_e32 v15, v16, v17, vcc_lo
	v_cmp_u_f32_e32 vcc_lo, v14, v14
	v_bfe_u32 v16, v12, 16, 1
	v_add3_u32 v17, v20, v13, 0x7fff
	v_or_b32_e32 v20, 0x400000, v12
	s_wait_alu 0xfffd
	v_cndmask_b32_e32 v14, v18, v19, vcc_lo
	v_or_b32_e32 v18, 0x400000, v13
	v_cmp_u_f32_e32 vcc_lo, v13, v13
	v_bfe_u32 v19, v11, 16, 1
	v_add3_u32 v16, v16, v12, 0x7fff
	s_wait_alu 0xfffd
	v_cndmask_b32_e32 v13, v17, v18, vcc_lo
	v_cmp_u_f32_e32 vcc_lo, v12, v12
	v_add3_u32 v17, v19, v11, 0x7fff
	v_or_b32_e32 v18, 0x400000, v11
	v_bfe_u32 v19, v9, 16, 1
	s_wait_alu 0xfffd
	v_cndmask_b32_e32 v12, v16, v20, vcc_lo
	v_bfe_u32 v16, v10, 16, 1
	v_cmp_u_f32_e32 vcc_lo, v11, v11
	v_add3_u32 v19, v19, v9, 0x7fff
	v_or_b32_e32 v20, 0x400000, v9
	s_delay_alu instid0(VALU_DEP_4)
	v_add3_u32 v16, v16, v10, 0x7fff
	s_wait_alu 0xfffd
	v_cndmask_b32_e32 v11, v17, v18, vcc_lo
	v_or_b32_e32 v18, 0x400000, v10
	v_cmp_u_f32_e32 vcc_lo, v10, v10
	v_bfe_u32 v17, v8, 16, 1
	s_wait_alu 0xfffd
	s_delay_alu instid0(VALU_DEP_3) | instskip(SKIP_1) | instid1(VALU_DEP_3)
	v_cndmask_b32_e32 v10, v16, v18, vcc_lo
	v_cmp_u_f32_e32 vcc_lo, v9, v9
	v_add3_u32 v17, v17, v8, 0x7fff
	v_bfe_u32 v16, v7, 16, 1
	s_wait_alu 0xfffd
	v_cndmask_b32_e32 v9, v19, v20, vcc_lo
	v_cmp_u_f32_e32 vcc_lo, v8, v8
	s_wait_alu 0xfffd
	v_cndmask_b32_e32 v8, v17, v21, vcc_lo
	v_bfe_u32 v17, v6, 16, 1
	s_clause 0x7
	global_store_d16_hi_b16 v26, v15, s[0:1] offset:128
	global_store_d16_hi_b16 v26, v14, s[0:1] offset:144
	;; [unrolled: 1-line block ×8, first 2 shown]
	v_add3_u32 v8, v16, v7, 0x7fff
	v_or_b32_e32 v9, 0x400000, v7
	v_cmp_u_f32_e32 vcc_lo, v7, v7
	v_add3_u32 v10, v17, v6, 0x7fff
	v_or_b32_e32 v11, 0x400000, v6
	v_bfe_u32 v12, v5, 16, 1
	v_or_b32_e32 v13, 0x400000, v2
	s_wait_alu 0xfffd
	v_cndmask_b32_e32 v7, v8, v9, vcc_lo
	v_cmp_u_f32_e32 vcc_lo, v6, v6
	v_bfe_u32 v8, v4, 16, 1
	v_add3_u32 v9, v12, v5, 0x7fff
	v_or_b32_e32 v12, 0x400000, v4
	s_wait_alu 0xfffd
	v_cndmask_b32_e32 v6, v10, v11, vcc_lo
	v_or_b32_e32 v10, 0x400000, v5
	v_cmp_u_f32_e32 vcc_lo, v5, v5
	v_bfe_u32 v11, v3, 16, 1
	v_add3_u32 v8, v8, v4, 0x7fff
	s_wait_alu 0xfffd
	v_cndmask_b32_e32 v5, v9, v10, vcc_lo
	v_cmp_u_f32_e32 vcc_lo, v4, v4
	v_add3_u32 v9, v11, v3, 0x7fff
	v_or_b32_e32 v10, 0x400000, v3
	v_bfe_u32 v11, v1, 16, 1
	s_wait_alu 0xfffd
	v_cndmask_b32_e32 v4, v8, v12, vcc_lo
	v_bfe_u32 v8, v0, 16, 1
	v_cmp_u_f32_e32 vcc_lo, v3, v3
	v_add3_u32 v11, v11, v1, 0x7fff
	v_or_b32_e32 v12, 0x400000, v1
	s_delay_alu instid0(VALU_DEP_4)
	v_add3_u32 v8, v8, v0, 0x7fff
	s_wait_alu 0xfffd
	v_cndmask_b32_e32 v3, v9, v10, vcc_lo
	v_or_b32_e32 v10, 0x400000, v0
	v_cmp_u_f32_e32 vcc_lo, v0, v0
	v_bfe_u32 v9, v2, 16, 1
	s_wait_alu 0xfffd
	s_delay_alu instid0(VALU_DEP_3) | instskip(SKIP_1) | instid1(VALU_DEP_3)
	v_cndmask_b32_e32 v0, v8, v10, vcc_lo
	v_cmp_u_f32_e32 vcc_lo, v1, v1
	v_add3_u32 v9, v9, v2, 0x7fff
	s_wait_alu 0xfffd
	v_cndmask_b32_e32 v1, v11, v12, vcc_lo
	v_cmp_u_f32_e32 vcc_lo, v2, v2
	s_wait_alu 0xfffd
	v_cndmask_b32_e32 v2, v9, v13, vcc_lo
	s_clause 0x7
	global_store_d16_hi_b16 v26, v7, s[0:1] offset:256
	global_store_d16_hi_b16 v26, v6, s[0:1] offset:272
	;; [unrolled: 1-line block ×8, first 2 shown]
.LBB356_148:
	s_nop 0
	s_sendmsg sendmsg(MSG_DEALLOC_VGPRS)
	s_endpgm
.LBB356_149:
	ds_load_b32 v26, v24
	s_wait_dscnt 0x0
	v_add_f32_e32 v22, v22, v26
	s_wait_alu 0xfffe
	s_or_b32 exec_lo, exec_lo, s0
	s_and_saveexec_b32 s0, vcc_lo
	s_cbranch_execz .LBB356_93
.LBB356_150:
	ds_load_b32 v26, v24 offset:32
	s_wait_dscnt 0x0
	v_add_f32_e32 v20, v20, v26
	s_wait_alu 0xfffe
	s_or_b32 exec_lo, exec_lo, s0
	s_and_saveexec_b32 s0, vcc_lo
	s_cbranch_execz .LBB356_94
.LBB356_151:
	ds_load_b32 v26, v24 offset:64
	s_wait_dscnt 0x0
	v_add_f32_e32 v19, v19, v26
	s_wait_alu 0xfffe
	s_or_b32 exec_lo, exec_lo, s0
	s_and_saveexec_b32 s0, vcc_lo
	s_cbranch_execz .LBB356_95
.LBB356_152:
	ds_load_b32 v26, v24 offset:96
	s_wait_dscnt 0x0
	v_add_f32_e32 v16, v16, v26
	s_wait_alu 0xfffe
	s_or_b32 exec_lo, exec_lo, s0
	s_and_saveexec_b32 s0, vcc_lo
	s_cbranch_execz .LBB356_96
.LBB356_153:
	ds_load_b32 v26, v24 offset:128
	s_wait_dscnt 0x0
	v_add_f32_e32 v23, v23, v26
	s_wait_alu 0xfffe
	s_or_b32 exec_lo, exec_lo, s0
	s_and_saveexec_b32 s0, vcc_lo
	s_cbranch_execz .LBB356_97
.LBB356_154:
	ds_load_b32 v26, v24 offset:160
	s_wait_dscnt 0x0
	v_add_f32_e32 v18, v18, v26
	s_wait_alu 0xfffe
	s_or_b32 exec_lo, exec_lo, s0
	s_and_saveexec_b32 s0, vcc_lo
	s_cbranch_execz .LBB356_98
.LBB356_155:
	ds_load_b32 v26, v24 offset:192
	s_wait_dscnt 0x0
	v_add_f32_e32 v21, v21, v26
	s_wait_alu 0xfffe
	s_or_b32 exec_lo, exec_lo, s0
	s_and_saveexec_b32 s0, vcc_lo
	s_cbranch_execz .LBB356_99
.LBB356_156:
	ds_load_b32 v26, v24 offset:224
	s_wait_dscnt 0x0
	v_add_f32_e32 v17, v17, v26
	s_wait_alu 0xfffe
	s_or_b32 exec_lo, exec_lo, s0
	s_and_saveexec_b32 s0, vcc_lo
	s_cbranch_execz .LBB356_100
.LBB356_157:
	ds_load_b32 v26, v24 offset:256
	s_wait_dscnt 0x0
	v_add_f32_e32 v15, v15, v26
	s_wait_alu 0xfffe
	s_or_b32 exec_lo, exec_lo, s0
	s_and_saveexec_b32 s0, vcc_lo
	s_cbranch_execz .LBB356_101
.LBB356_158:
	ds_load_b32 v26, v24 offset:288
	s_wait_dscnt 0x0
	v_add_f32_e32 v14, v14, v26
	s_wait_alu 0xfffe
	s_or_b32 exec_lo, exec_lo, s0
	s_and_saveexec_b32 s0, vcc_lo
	s_cbranch_execz .LBB356_102
.LBB356_159:
	ds_load_b32 v26, v24 offset:320
	s_wait_dscnt 0x0
	v_add_f32_e32 v13, v13, v26
	s_wait_alu 0xfffe
	s_or_b32 exec_lo, exec_lo, s0
	s_and_saveexec_b32 s0, vcc_lo
	s_cbranch_execz .LBB356_103
.LBB356_160:
	ds_load_b32 v26, v24 offset:352
	s_wait_dscnt 0x0
	v_add_f32_e32 v12, v12, v26
	s_wait_alu 0xfffe
	s_or_b32 exec_lo, exec_lo, s0
	s_and_saveexec_b32 s0, vcc_lo
	s_cbranch_execz .LBB356_104
.LBB356_161:
	ds_load_b32 v26, v24 offset:384
	s_wait_dscnt 0x0
	v_add_f32_e32 v11, v11, v26
	s_wait_alu 0xfffe
	s_or_b32 exec_lo, exec_lo, s0
	s_and_saveexec_b32 s0, vcc_lo
	s_cbranch_execz .LBB356_105
.LBB356_162:
	ds_load_b32 v26, v24 offset:416
	s_wait_dscnt 0x0
	v_add_f32_e32 v10, v10, v26
	s_wait_alu 0xfffe
	s_or_b32 exec_lo, exec_lo, s0
	s_and_saveexec_b32 s0, vcc_lo
	s_cbranch_execz .LBB356_106
.LBB356_163:
	ds_load_b32 v26, v24 offset:448
	s_wait_dscnt 0x0
	v_add_f32_e32 v9, v9, v26
	s_wait_alu 0xfffe
	s_or_b32 exec_lo, exec_lo, s0
	s_and_saveexec_b32 s0, vcc_lo
	s_cbranch_execz .LBB356_107
.LBB356_164:
	ds_load_b32 v26, v24 offset:480
	s_wait_dscnt 0x0
	v_add_f32_e32 v8, v8, v26
	s_wait_alu 0xfffe
	s_or_b32 exec_lo, exec_lo, s0
	s_and_saveexec_b32 s0, vcc_lo
	s_cbranch_execz .LBB356_108
.LBB356_165:
	ds_load_b32 v26, v24 offset:512
	s_wait_dscnt 0x0
	v_add_f32_e32 v7, v7, v26
	s_wait_alu 0xfffe
	s_or_b32 exec_lo, exec_lo, s0
	s_and_saveexec_b32 s0, vcc_lo
	s_cbranch_execz .LBB356_109
.LBB356_166:
	ds_load_b32 v26, v24 offset:544
	s_wait_dscnt 0x0
	v_add_f32_e32 v6, v6, v26
	s_wait_alu 0xfffe
	s_or_b32 exec_lo, exec_lo, s0
	s_and_saveexec_b32 s0, vcc_lo
	s_cbranch_execz .LBB356_110
.LBB356_167:
	ds_load_b32 v26, v24 offset:576
	s_wait_dscnt 0x0
	v_add_f32_e32 v5, v5, v26
	s_wait_alu 0xfffe
	s_or_b32 exec_lo, exec_lo, s0
	s_and_saveexec_b32 s0, vcc_lo
	s_cbranch_execz .LBB356_111
.LBB356_168:
	ds_load_b32 v26, v24 offset:608
	s_wait_dscnt 0x0
	v_add_f32_e32 v4, v4, v26
	s_wait_alu 0xfffe
	s_or_b32 exec_lo, exec_lo, s0
	s_and_saveexec_b32 s0, vcc_lo
	s_cbranch_execz .LBB356_112
.LBB356_169:
	ds_load_b32 v26, v24 offset:640
	s_wait_dscnt 0x0
	v_add_f32_e32 v3, v3, v26
	s_wait_alu 0xfffe
	s_or_b32 exec_lo, exec_lo, s0
	s_and_saveexec_b32 s0, vcc_lo
	s_cbranch_execz .LBB356_113
.LBB356_170:
	ds_load_b32 v26, v24 offset:672
	s_wait_dscnt 0x0
	v_add_f32_e32 v0, v0, v26
	s_wait_alu 0xfffe
	s_or_b32 exec_lo, exec_lo, s0
	s_and_saveexec_b32 s0, vcc_lo
	s_cbranch_execz .LBB356_114
.LBB356_171:
	ds_load_b32 v26, v24 offset:704
	s_wait_dscnt 0x0
	v_add_f32_e32 v1, v1, v26
	s_wait_alu 0xfffe
	s_or_b32 exec_lo, exec_lo, s0
	s_and_saveexec_b32 s0, vcc_lo
	s_cbranch_execnz .LBB356_115
	s_branch .LBB356_116
.LBB356_172:
	ds_load_b32 v25, v24
	s_wait_dscnt 0x0
	v_add_f32_e32 v22, v22, v25
	s_wait_alu 0xfffe
	s_or_b32 exec_lo, exec_lo, s0
	s_and_saveexec_b32 s0, vcc_lo
	s_cbranch_execz .LBB356_122
.LBB356_173:
	ds_load_b32 v25, v24 offset:32
	s_wait_dscnt 0x0
	v_add_f32_e32 v20, v20, v25
	s_wait_alu 0xfffe
	s_or_b32 exec_lo, exec_lo, s0
	s_and_saveexec_b32 s0, vcc_lo
	s_cbranch_execz .LBB356_123
.LBB356_174:
	ds_load_b32 v25, v24 offset:64
	s_wait_dscnt 0x0
	v_add_f32_e32 v19, v19, v25
	s_wait_alu 0xfffe
	s_or_b32 exec_lo, exec_lo, s0
	s_and_saveexec_b32 s0, vcc_lo
	s_cbranch_execz .LBB356_124
.LBB356_175:
	ds_load_b32 v25, v24 offset:96
	s_wait_dscnt 0x0
	v_add_f32_e32 v16, v16, v25
	s_wait_alu 0xfffe
	s_or_b32 exec_lo, exec_lo, s0
	s_and_saveexec_b32 s0, vcc_lo
	s_cbranch_execz .LBB356_125
.LBB356_176:
	ds_load_b32 v25, v24 offset:128
	s_wait_dscnt 0x0
	v_add_f32_e32 v23, v23, v25
	s_wait_alu 0xfffe
	s_or_b32 exec_lo, exec_lo, s0
	s_and_saveexec_b32 s0, vcc_lo
	s_cbranch_execz .LBB356_126
.LBB356_177:
	ds_load_b32 v25, v24 offset:160
	s_wait_dscnt 0x0
	v_add_f32_e32 v18, v18, v25
	s_wait_alu 0xfffe
	s_or_b32 exec_lo, exec_lo, s0
	s_and_saveexec_b32 s0, vcc_lo
	s_cbranch_execz .LBB356_127
.LBB356_178:
	ds_load_b32 v25, v24 offset:192
	s_wait_dscnt 0x0
	v_add_f32_e32 v21, v21, v25
	s_wait_alu 0xfffe
	s_or_b32 exec_lo, exec_lo, s0
	s_and_saveexec_b32 s0, vcc_lo
	s_cbranch_execz .LBB356_128
.LBB356_179:
	ds_load_b32 v25, v24 offset:224
	s_wait_dscnt 0x0
	v_add_f32_e32 v17, v17, v25
	s_wait_alu 0xfffe
	s_or_b32 exec_lo, exec_lo, s0
	s_and_saveexec_b32 s0, vcc_lo
	s_cbranch_execz .LBB356_129
.LBB356_180:
	ds_load_b32 v25, v24 offset:256
	s_wait_dscnt 0x0
	v_add_f32_e32 v15, v15, v25
	s_wait_alu 0xfffe
	s_or_b32 exec_lo, exec_lo, s0
	s_and_saveexec_b32 s0, vcc_lo
	s_cbranch_execz .LBB356_130
.LBB356_181:
	ds_load_b32 v25, v24 offset:288
	s_wait_dscnt 0x0
	v_add_f32_e32 v14, v14, v25
	s_wait_alu 0xfffe
	s_or_b32 exec_lo, exec_lo, s0
	s_and_saveexec_b32 s0, vcc_lo
	s_cbranch_execz .LBB356_131
.LBB356_182:
	ds_load_b32 v25, v24 offset:320
	s_wait_dscnt 0x0
	v_add_f32_e32 v13, v13, v25
	s_wait_alu 0xfffe
	s_or_b32 exec_lo, exec_lo, s0
	s_and_saveexec_b32 s0, vcc_lo
	s_cbranch_execz .LBB356_132
.LBB356_183:
	ds_load_b32 v25, v24 offset:352
	s_wait_dscnt 0x0
	v_add_f32_e32 v12, v12, v25
	s_wait_alu 0xfffe
	s_or_b32 exec_lo, exec_lo, s0
	s_and_saveexec_b32 s0, vcc_lo
	s_cbranch_execz .LBB356_133
.LBB356_184:
	ds_load_b32 v25, v24 offset:384
	s_wait_dscnt 0x0
	v_add_f32_e32 v11, v11, v25
	s_wait_alu 0xfffe
	s_or_b32 exec_lo, exec_lo, s0
	s_and_saveexec_b32 s0, vcc_lo
	s_cbranch_execz .LBB356_134
.LBB356_185:
	ds_load_b32 v25, v24 offset:416
	s_wait_dscnt 0x0
	v_add_f32_e32 v10, v10, v25
	s_wait_alu 0xfffe
	s_or_b32 exec_lo, exec_lo, s0
	s_and_saveexec_b32 s0, vcc_lo
	s_cbranch_execz .LBB356_135
.LBB356_186:
	ds_load_b32 v25, v24 offset:448
	s_wait_dscnt 0x0
	v_add_f32_e32 v9, v9, v25
	s_wait_alu 0xfffe
	s_or_b32 exec_lo, exec_lo, s0
	s_and_saveexec_b32 s0, vcc_lo
	s_cbranch_execz .LBB356_136
.LBB356_187:
	ds_load_b32 v25, v24 offset:480
	s_wait_dscnt 0x0
	v_add_f32_e32 v8, v8, v25
	s_wait_alu 0xfffe
	s_or_b32 exec_lo, exec_lo, s0
	s_and_saveexec_b32 s0, vcc_lo
	s_cbranch_execz .LBB356_137
.LBB356_188:
	ds_load_b32 v25, v24 offset:512
	s_wait_dscnt 0x0
	v_add_f32_e32 v7, v7, v25
	s_wait_alu 0xfffe
	s_or_b32 exec_lo, exec_lo, s0
	s_and_saveexec_b32 s0, vcc_lo
	s_cbranch_execz .LBB356_138
.LBB356_189:
	ds_load_b32 v25, v24 offset:544
	s_wait_dscnt 0x0
	v_add_f32_e32 v6, v6, v25
	s_wait_alu 0xfffe
	s_or_b32 exec_lo, exec_lo, s0
	s_and_saveexec_b32 s0, vcc_lo
	s_cbranch_execz .LBB356_139
.LBB356_190:
	ds_load_b32 v25, v24 offset:576
	s_wait_dscnt 0x0
	v_add_f32_e32 v5, v5, v25
	s_wait_alu 0xfffe
	s_or_b32 exec_lo, exec_lo, s0
	s_and_saveexec_b32 s0, vcc_lo
	s_cbranch_execz .LBB356_140
.LBB356_191:
	ds_load_b32 v25, v24 offset:608
	s_wait_dscnt 0x0
	v_add_f32_e32 v4, v4, v25
	s_wait_alu 0xfffe
	s_or_b32 exec_lo, exec_lo, s0
	s_and_saveexec_b32 s0, vcc_lo
	s_cbranch_execz .LBB356_141
.LBB356_192:
	ds_load_b32 v25, v24 offset:640
	s_wait_dscnt 0x0
	v_add_f32_e32 v3, v3, v25
	s_wait_alu 0xfffe
	s_or_b32 exec_lo, exec_lo, s0
	s_and_saveexec_b32 s0, vcc_lo
	s_cbranch_execz .LBB356_142
.LBB356_193:
	ds_load_b32 v25, v24 offset:672
	s_wait_dscnt 0x0
	v_add_f32_e32 v0, v0, v25
	s_wait_alu 0xfffe
	s_or_b32 exec_lo, exec_lo, s0
	s_and_saveexec_b32 s0, vcc_lo
	s_cbranch_execz .LBB356_143
.LBB356_194:
	ds_load_b32 v25, v24 offset:704
	s_wait_dscnt 0x0
	v_add_f32_e32 v1, v1, v25
	s_wait_alu 0xfffe
	s_or_b32 exec_lo, exec_lo, s0
	s_and_saveexec_b32 s0, vcc_lo
	s_cbranch_execnz .LBB356_144
	s_branch .LBB356_145
	.section	.rodata,"a",@progbits
	.p2align	6, 0x0
	.amdhsa_kernel _ZN4vllm25paged_attention_v2_kernelI14__hip_bfloat16hLi192ELi32ELi128ELNS_18Fp8KVCacheDataTypeE1ELb1ELi512EEEvPfS3_PT_PKS4_PKT0_SA_ifPKiSC_iPKfiiiSE_SE_iiiii
		.amdhsa_group_segment_fixed_size 416
		.amdhsa_private_segment_fixed_size 904
		.amdhsa_kernarg_size 400
		.amdhsa_user_sgpr_count 2
		.amdhsa_user_sgpr_dispatch_ptr 0
		.amdhsa_user_sgpr_queue_ptr 0
		.amdhsa_user_sgpr_kernarg_segment_ptr 1
		.amdhsa_user_sgpr_dispatch_id 0
		.amdhsa_user_sgpr_private_segment_size 0
		.amdhsa_wavefront_size32 1
		.amdhsa_uses_dynamic_stack 0
		.amdhsa_enable_private_segment 1
		.amdhsa_system_sgpr_workgroup_id_x 1
		.amdhsa_system_sgpr_workgroup_id_y 1
		.amdhsa_system_sgpr_workgroup_id_z 1
		.amdhsa_system_sgpr_workgroup_info 0
		.amdhsa_system_vgpr_workitem_id 0
		.amdhsa_next_free_vgpr 192
		.amdhsa_next_free_sgpr 44
		.amdhsa_reserve_vcc 1
		.amdhsa_float_round_mode_32 0
		.amdhsa_float_round_mode_16_64 0
		.amdhsa_float_denorm_mode_32 3
		.amdhsa_float_denorm_mode_16_64 3
		.amdhsa_fp16_overflow 0
		.amdhsa_workgroup_processor_mode 1
		.amdhsa_memory_ordered 1
		.amdhsa_forward_progress 1
		.amdhsa_inst_pref_size 255
		.amdhsa_round_robin_scheduling 0
		.amdhsa_exception_fp_ieee_invalid_op 0
		.amdhsa_exception_fp_denorm_src 0
		.amdhsa_exception_fp_ieee_div_zero 0
		.amdhsa_exception_fp_ieee_overflow 0
		.amdhsa_exception_fp_ieee_underflow 0
		.amdhsa_exception_fp_ieee_inexact 0
		.amdhsa_exception_int_div_zero 0
	.end_amdhsa_kernel
	.section	.text._ZN4vllm25paged_attention_v2_kernelI14__hip_bfloat16hLi192ELi32ELi128ELNS_18Fp8KVCacheDataTypeE1ELb1ELi512EEEvPfS3_PT_PKS4_PKT0_SA_ifPKiSC_iPKfiiiSE_SE_iiiii,"axG",@progbits,_ZN4vllm25paged_attention_v2_kernelI14__hip_bfloat16hLi192ELi32ELi128ELNS_18Fp8KVCacheDataTypeE1ELb1ELi512EEEvPfS3_PT_PKS4_PKT0_SA_ifPKiSC_iPKfiiiSE_SE_iiiii,comdat
.Lfunc_end356:
	.size	_ZN4vllm25paged_attention_v2_kernelI14__hip_bfloat16hLi192ELi32ELi128ELNS_18Fp8KVCacheDataTypeE1ELb1ELi512EEEvPfS3_PT_PKS4_PKT0_SA_ifPKiSC_iPKfiiiSE_SE_iiiii, .Lfunc_end356-_ZN4vllm25paged_attention_v2_kernelI14__hip_bfloat16hLi192ELi32ELi128ELNS_18Fp8KVCacheDataTypeE1ELb1ELi512EEEvPfS3_PT_PKS4_PKT0_SA_ifPKiSC_iPKfiiiSE_SE_iiiii
                                        ; -- End function
	.set _ZN4vllm25paged_attention_v2_kernelI14__hip_bfloat16hLi192ELi32ELi128ELNS_18Fp8KVCacheDataTypeE1ELb1ELi512EEEvPfS3_PT_PKS4_PKT0_SA_ifPKiSC_iPKfiiiSE_SE_iiiii.num_vgpr, 192
	.set _ZN4vllm25paged_attention_v2_kernelI14__hip_bfloat16hLi192ELi32ELi128ELNS_18Fp8KVCacheDataTypeE1ELb1ELi512EEEvPfS3_PT_PKS4_PKT0_SA_ifPKiSC_iPKfiiiSE_SE_iiiii.num_agpr, 0
	.set _ZN4vllm25paged_attention_v2_kernelI14__hip_bfloat16hLi192ELi32ELi128ELNS_18Fp8KVCacheDataTypeE1ELb1ELi512EEEvPfS3_PT_PKS4_PKT0_SA_ifPKiSC_iPKfiiiSE_SE_iiiii.numbered_sgpr, 44
	.set _ZN4vllm25paged_attention_v2_kernelI14__hip_bfloat16hLi192ELi32ELi128ELNS_18Fp8KVCacheDataTypeE1ELb1ELi512EEEvPfS3_PT_PKS4_PKT0_SA_ifPKiSC_iPKfiiiSE_SE_iiiii.num_named_barrier, 0
	.set _ZN4vllm25paged_attention_v2_kernelI14__hip_bfloat16hLi192ELi32ELi128ELNS_18Fp8KVCacheDataTypeE1ELb1ELi512EEEvPfS3_PT_PKS4_PKT0_SA_ifPKiSC_iPKfiiiSE_SE_iiiii.private_seg_size, 904
	.set _ZN4vllm25paged_attention_v2_kernelI14__hip_bfloat16hLi192ELi32ELi128ELNS_18Fp8KVCacheDataTypeE1ELb1ELi512EEEvPfS3_PT_PKS4_PKT0_SA_ifPKiSC_iPKfiiiSE_SE_iiiii.uses_vcc, 1
	.set _ZN4vllm25paged_attention_v2_kernelI14__hip_bfloat16hLi192ELi32ELi128ELNS_18Fp8KVCacheDataTypeE1ELb1ELi512EEEvPfS3_PT_PKS4_PKT0_SA_ifPKiSC_iPKfiiiSE_SE_iiiii.uses_flat_scratch, 1
	.set _ZN4vllm25paged_attention_v2_kernelI14__hip_bfloat16hLi192ELi32ELi128ELNS_18Fp8KVCacheDataTypeE1ELb1ELi512EEEvPfS3_PT_PKS4_PKT0_SA_ifPKiSC_iPKfiiiSE_SE_iiiii.has_dyn_sized_stack, 0
	.set _ZN4vllm25paged_attention_v2_kernelI14__hip_bfloat16hLi192ELi32ELi128ELNS_18Fp8KVCacheDataTypeE1ELb1ELi512EEEvPfS3_PT_PKS4_PKT0_SA_ifPKiSC_iPKfiiiSE_SE_iiiii.has_recursion, 0
	.set _ZN4vllm25paged_attention_v2_kernelI14__hip_bfloat16hLi192ELi32ELi128ELNS_18Fp8KVCacheDataTypeE1ELb1ELi512EEEvPfS3_PT_PKS4_PKT0_SA_ifPKiSC_iPKfiiiSE_SE_iiiii.has_indirect_call, 0
	.section	.AMDGPU.csdata,"",@progbits
; Kernel info:
; codeLenInByte = 67644
; TotalNumSgprs: 46
; NumVgprs: 192
; ScratchSize: 904
; MemoryBound: 0
; FloatMode: 240
; IeeeMode: 1
; LDSByteSize: 416 bytes/workgroup (compile time only)
; SGPRBlocks: 0
; VGPRBlocks: 23
; NumSGPRsForWavesPerEU: 46
; NumVGPRsForWavesPerEU: 192
; Occupancy: 8
; WaveLimiterHint : 1
; COMPUTE_PGM_RSRC2:SCRATCH_EN: 1
; COMPUTE_PGM_RSRC2:USER_SGPR: 2
; COMPUTE_PGM_RSRC2:TRAP_HANDLER: 0
; COMPUTE_PGM_RSRC2:TGID_X_EN: 1
; COMPUTE_PGM_RSRC2:TGID_Y_EN: 1
; COMPUTE_PGM_RSRC2:TGID_Z_EN: 1
; COMPUTE_PGM_RSRC2:TIDIG_COMP_CNT: 0
	.section	.text._ZN4vllm25paged_attention_v2_kernelI14__hip_bfloat16hLi256ELi32ELi128ELNS_18Fp8KVCacheDataTypeE1ELb1ELi512EEEvPfS3_PT_PKS4_PKT0_SA_ifPKiSC_iPKfiiiSE_SE_iiiii,"axG",@progbits,_ZN4vllm25paged_attention_v2_kernelI14__hip_bfloat16hLi256ELi32ELi128ELNS_18Fp8KVCacheDataTypeE1ELb1ELi512EEEvPfS3_PT_PKS4_PKT0_SA_ifPKiSC_iPKfiiiSE_SE_iiiii,comdat
	.protected	_ZN4vllm25paged_attention_v2_kernelI14__hip_bfloat16hLi256ELi32ELi128ELNS_18Fp8KVCacheDataTypeE1ELb1ELi512EEEvPfS3_PT_PKS4_PKT0_SA_ifPKiSC_iPKfiiiSE_SE_iiiii ; -- Begin function _ZN4vllm25paged_attention_v2_kernelI14__hip_bfloat16hLi256ELi32ELi128ELNS_18Fp8KVCacheDataTypeE1ELb1ELi512EEEvPfS3_PT_PKS4_PKT0_SA_ifPKiSC_iPKfiiiSE_SE_iiiii
	.globl	_ZN4vllm25paged_attention_v2_kernelI14__hip_bfloat16hLi256ELi32ELi128ELNS_18Fp8KVCacheDataTypeE1ELb1ELi512EEEvPfS3_PT_PKS4_PKT0_SA_ifPKiSC_iPKfiiiSE_SE_iiiii
	.p2align	8
	.type	_ZN4vllm25paged_attention_v2_kernelI14__hip_bfloat16hLi256ELi32ELi128ELNS_18Fp8KVCacheDataTypeE1ELb1ELi512EEEvPfS3_PT_PKS4_PKT0_SA_ifPKiSC_iPKfiiiSE_SE_iiiii,@function
_ZN4vllm25paged_attention_v2_kernelI14__hip_bfloat16hLi256ELi32ELi128ELNS_18Fp8KVCacheDataTypeE1ELb1ELi512EEEvPfS3_PT_PKS4_PKT0_SA_ifPKiSC_iPKfiiiSE_SE_iiiii: ; @_ZN4vllm25paged_attention_v2_kernelI14__hip_bfloat16hLi256ELi32ELi128ELNS_18Fp8KVCacheDataTypeE1ELb1ELi512EEEvPfS3_PT_PKS4_PKT0_SA_ifPKiSC_iPKfiiiSE_SE_iiiii
; %bb.0:
	s_load_b64 s[2:3], s[0:1], 0x40
	s_and_b32 s38, ttmp7, 0xffff
	s_lshr_b32 s37, ttmp7, 16
	s_lshl_b32 s4, s38, 2
	s_lshl_b32 s6, s37, 9
	scratch_store_b32 off, v0, off offset:632 ; 4-byte Folded Spill
	s_wait_kmcnt 0x0
	s_load_b32 s7, s[2:3], s4 offset:0x0
	s_wait_kmcnt 0x0
	s_cmp_ge_i32 s6, s7
	s_cbranch_scc1 .LBB357_180
; %bb.1:
	s_clause 0x1
	s_load_b32 s39, s[0:1], 0x90
	s_load_b64 s[16:17], s[0:1], 0x30
	s_wait_kmcnt 0x0
	s_abs_i32 s5, s39
	s_abs_i32 s2, s16
	s_delay_alu instid0(SALU_CYCLE_1) | instskip(SKIP_1) | instid1(SALU_CYCLE_2)
	s_cvt_f32_u32 s3, s2
	s_sub_co_i32 s4, 0, s2
	v_rcp_iflag_f32_e32 v0, s3
	s_delay_alu instid0(TRANS32_DEP_1) | instskip(SKIP_2) | instid1(SALU_CYCLE_2)
	v_readfirstlane_b32 s3, v0
	s_mul_f32 s3, s3, 0x4f7ffffe
	s_wait_alu 0xfffe
	s_cvt_u32_f32 s3, s3
	s_wait_alu 0xfffe
	s_delay_alu instid0(SALU_CYCLE_2) | instskip(NEXT) | instid1(SALU_CYCLE_1)
	s_mul_i32 s4, s4, s3
	s_mul_hi_u32 s4, s3, s4
	s_delay_alu instid0(SALU_CYCLE_1)
	s_add_co_i32 s3, s3, s4
	s_xor_b32 s4, s39, s16
	s_wait_alu 0xfffe
	s_mul_hi_u32 s3, s5, s3
	s_ashr_i32 s4, s4, 31
	s_wait_alu 0xfffe
	s_mul_i32 s8, s3, s2
	s_delay_alu instid0(SALU_CYCLE_1)
	s_sub_co_i32 s5, s5, s8
	s_add_co_i32 s8, s3, 1
	s_sub_co_i32 s9, s5, s2
	s_cmp_ge_u32 s5, s2
	s_cselect_b32 s3, s8, s3
	s_cselect_b32 s5, s9, s5
	s_wait_alu 0xfffe
	s_add_co_i32 s8, s3, 1
	s_cmp_ge_u32 s5, s2
	s_mov_b32 s5, 0
	s_cselect_b32 s2, s8, s3
	s_load_b64 s[8:9], s[0:1], 0x50
	s_xor_b32 s2, s2, s4
	s_mov_b32 s34, s5
	s_wait_alu 0xfffe
	s_sub_co_i32 s11, s2, s4
	s_abs_i32 s4, ttmp9
	s_abs_i32 s10, s11
	s_delay_alu instid0(SALU_CYCLE_1) | instskip(SKIP_2) | instid1(SALU_CYCLE_1)
	s_cvt_f32_u32 s2, s10
	s_sub_co_i32 s3, 0, s10
	s_wait_alu 0xfffe
	v_rcp_iflag_f32_e32 v0, s2
	s_delay_alu instid0(TRANS32_DEP_1) | instskip(SKIP_2) | instid1(SALU_CYCLE_2)
	v_readfirstlane_b32 s2, v0
	s_mul_f32 s2, s2, 0x4f7ffffe
	s_wait_alu 0xfffe
	s_cvt_u32_f32 s2, s2
	s_wait_alu 0xfffe
	s_delay_alu instid0(SALU_CYCLE_2)
	s_mul_i32 s3, s3, s2
	s_wait_alu 0xfffe
	s_mul_hi_u32 s3, s2, s3
	s_wait_alu 0xfffe
	s_add_co_i32 s2, s2, s3
	s_mov_b32 s3, s5
	s_wait_kmcnt 0x0
	s_cmp_eq_u64 s[8:9], 0
	s_cbranch_scc1 .LBB357_3
; %bb.2:
	s_mov_b32 s12, ttmp9
	s_ashr_i32 s13, ttmp9, 31
	s_delay_alu instid0(SALU_CYCLE_1) | instskip(NEXT) | instid1(SALU_CYCLE_1)
	s_lshl_b64 s[12:13], s[12:13], 2
	s_add_nc_u64 s[8:9], s[8:9], s[12:13]
	s_load_b32 s34, s[8:9], 0x0
.LBB357_3:
	scratch_load_b32 v0, off, off offset:632 ; 4-byte Folded Reload
	s_load_b96 s[20:22], s[0:1], 0x58
	s_mul_u64 s[2:3], s[4:5], s[2:3]
	s_ashr_i32 s5, ttmp9, 31
	s_ashr_i32 s8, s11, 31
	s_lshl_b32 s24, ttmp9, 8
	s_wait_loadcnt 0x0
	v_cmp_gt_u32_e64 s2, 32, v0
	s_wait_alu 0xfffe
	s_and_saveexec_b32 s9, s2
	s_cbranch_execz .LBB357_5
; %bb.4:
	scratch_load_b32 v0, off, off offset:632 ; 4-byte Folded Reload
	s_load_b64 s[12:13], s[0:1], 0x18
	s_wait_kmcnt 0x0
	s_mul_i32 s14, s20, s38
	s_ashr_i32 s25, s24, 31
	s_ashr_i32 s15, s14, 31
	s_delay_alu instid0(SALU_CYCLE_1) | instskip(NEXT) | instid1(SALU_CYCLE_1)
	s_lshl_b64 s[14:15], s[14:15], 1
	s_add_nc_u64 s[12:13], s[12:13], s[14:15]
	s_lshl_b64 s[14:15], s[24:25], 1
	s_delay_alu instid0(SALU_CYCLE_1)
	s_add_nc_u64 s[12:13], s[12:13], s[14:15]
	s_wait_loadcnt 0x0
	v_lshlrev_b32_e32 v4, 4, v0
	global_load_b128 v[0:3], v4, s[12:13]
	s_wait_loadcnt 0x0
	ds_store_b128 v4, v[0:3]
.LBB357_5:
	s_or_b32 exec_lo, exec_lo, s9
	s_load_b128 s[12:15], s[0:1], 0x78
	s_mul_i32 s9, s3, s10
	s_xor_b32 s5, s5, s8
	s_sub_co_i32 s4, s4, s9
	s_add_co_i32 s8, s3, 1
	s_sub_co_i32 s9, s4, s10
	s_cmp_ge_u32 s4, s10
                                        ; implicit-def: $sgpr33
	s_cselect_b32 s3, s8, s3
	s_cselect_b32 s4, s9, s4
	s_wait_alu 0xfffe
	s_add_co_i32 s8, s3, 1
	s_cmp_ge_u32 s4, s10
	s_mov_b32 s9, -1
	s_cselect_b32 s4, s8, s3
	s_load_b32 s3, s[0:1], 0x88
	s_xor_b32 s4, s4, s5
	s_wait_storecnt_dscnt 0x0
	s_sub_co_i32 s23, s4, s5
	s_barrier_signal -1
	s_barrier_wait -1
	s_wait_kmcnt 0x0
	s_abs_i32 s25, s15
	global_inv scope:SCOPE_SE
	s_cvt_f32_u32 s8, s25
	s_delay_alu instid0(SALU_CYCLE_3) | instskip(NEXT) | instid1(TRANS32_DEP_1)
	v_rcp_iflag_f32_e32 v0, s8
	v_readfirstlane_b32 s8, v0
	s_mul_f32 s4, s8, 0x4f7ffffe
	s_add_co_i32 s8, s7, -1
	s_delay_alu instid0(SALU_CYCLE_2) | instskip(SKIP_1) | instid1(SALU_CYCLE_2)
	s_cvt_u32_f32 s10, s4
	s_sub_co_i32 s4, 0, s25
	s_mul_i32 s5, s4, s10
	s_wait_alu 0xfffe
	s_abs_i32 s4, s8
	s_mul_hi_u32 s11, s10, s5
	s_mov_b32 s5, 0
	s_add_co_i32 s26, s10, s11
	s_cmp_lt_i32 s3, 0
	s_mov_b32 s27, s5
	s_cbranch_scc0 .LBB357_7
; %bb.6:
	s_mul_i32 s9, s12, s16
	s_wait_alu 0xfffe
	s_add_co_i32 s9, s23, s9
	s_wait_alu 0xfffe
	s_mul_i32 s9, s9, s3
	s_wait_alu 0xfffe
	s_sub_co_i32 s33, 1, s9
	s_mov_b32 s9, s5
.LBB357_7:
	s_mul_u64 s[18:19], s[4:5], s[26:27]
	s_ashr_i32 s5, s8, 31
	s_wait_alu 0xfffe
	s_and_not1_b32 vcc_lo, exec_lo, s9
	s_ashr_i32 s27, s15, 31
	s_cbranch_vccnz .LBB357_9
; %bb.8:
	s_mul_i32 s8, s39, s12
	s_wait_alu 0xfffe
	s_add_co_i32 s8, s8, ttmp9
	s_wait_alu 0xfffe
	s_mul_i32 s3, s8, s3
	s_wait_alu 0xfffe
	s_add_co_i32 s33, s3, 1
.LBB357_9:
	s_mul_i32 s8, s19, s25
	s_clause 0x1
	s_load_b32 s3, s[0:1], 0x48
	s_load_b64 s[28:29], s[0:1], 0x38
	s_sub_co_i32 s4, s4, s8
	s_clause 0x1
	s_load_b32 s20, s[0:1], 0x98
	s_load_b128 s[8:11], s[0:1], 0x68
	scratch_load_b32 v0, off, off offset:632 ; 4-byte Folded Reload
	s_xor_b32 s5, s5, s27
	s_add_co_i32 s12, s19, 1
	s_mul_i32 s22, s23, s22
	s_wait_kmcnt 0x0
	s_mul_i32 s30, s3, s38
	s_sub_co_i32 s3, s4, s25
	s_ashr_i32 s31, s30, 31
	s_cmp_ge_u32 s4, s25
	s_cselect_b32 s12, s12, s19
	s_wait_alu 0xfffe
	s_cselect_b32 s3, s3, s4
	s_add_co_i32 s4, s12, 1
	s_wait_alu 0xfffe
	s_cmp_ge_u32 s3, s25
	s_cselect_b32 s3, s4, s12
	s_add_co_i32 s4, s7, 31
	s_lshl_b32 s40, s37, 4
	s_ashr_i32 s12, s4, 31
	s_add_co_i32 s15, s40, 16
	s_lshr_b32 s12, s12, 27
	s_delay_alu instid0(SALU_CYCLE_1) | instskip(NEXT) | instid1(SALU_CYCLE_1)
	s_add_co_i32 s4, s4, s12
	s_ashr_i32 s12, s4, 5
	s_wait_alu 0xfffe
	s_xor_b32 s4, s3, s5
	s_min_i32 s36, s15, s12
	s_sub_co_i32 s15, s4, s5
	s_wait_loadcnt 0x0
	v_lshrrev_b32_e32 v1, 5, v0
	s_delay_alu instid0(VALU_DEP_1)
	v_add_nc_u32_e32 v2, s40, v1
	v_and_b32_e32 v0, 31, v0
	scratch_store_b32 off, v1, off offset:1672 ; 4-byte Folded Spill
	v_dual_mov_b32 v1, v2 :: v_dual_mov_b32 v4, 0xff7fffff
	v_lshlrev_b32_e32 v17, 2, v0
	v_cmp_gt_i32_e64 s3, s36, v2
	s_clause 0x1
	scratch_store_b32 off, v0, off offset:628
	scratch_store_b64 off, v[1:2], off offset:1676
	s_and_saveexec_b32 s16, s3
	s_cbranch_execz .LBB357_17
; %bb.10:
	v_mov_b32_e32 v0, 0
	s_sub_co_i32 s18, s15, s13
	s_ashr_i32 s23, s22, 31
	s_cmp_neq_f32 s34, 0
	ds_load_b128 v[1:4], v0
	ds_load_b128 v[5:8], v0 offset:16
	ds_load_b128 v[9:12], v0 offset:32
	;; [unrolled: 1-line block ×3, first 2 shown]
	s_cselect_b32 vcc_lo, -1, 0
	s_abs_i32 s19, s14
	s_delay_alu instid0(SALU_CYCLE_1)
	s_cvt_f32_u32 s4, s19
	s_sub_co_i32 s42, 0, s19
	s_wait_dscnt 0x3
	v_lshlrev_b32_e32 v18, 16, v1
	v_and_b32_e32 v1, 0xffff0000, v1
	s_clause 0x1
	scratch_store_b32 off, v18, off offset:636
	scratch_store_b32 off, v1, off offset:640
	v_lshlrev_b32_e32 v1, 16, v2
	scratch_store_b32 off, v1, off offset:644 ; 4-byte Folded Spill
	v_and_b32_e32 v1, 0xffff0000, v2
	scratch_store_b32 off, v1, off offset:648 ; 4-byte Folded Spill
	v_lshlrev_b32_e32 v1, 16, v3
	scratch_store_b32 off, v1, off offset:652 ; 4-byte Folded Spill
	v_and_b32_e32 v1, 0xffff0000, v3
	scratch_store_b32 off, v1, off offset:656 ; 4-byte Folded Spill
	v_lshlrev_b32_e32 v1, 16, v4
	scratch_store_b32 off, v1, off offset:660 ; 4-byte Folded Spill
	v_and_b32_e32 v1, 0xffff0000, v4
	scratch_store_b32 off, v1, off offset:664 ; 4-byte Folded Spill
	s_wait_dscnt 0x2
	v_lshlrev_b32_e32 v1, 16, v5
	scratch_store_b32 off, v1, off offset:668 ; 4-byte Folded Spill
	v_and_b32_e32 v1, 0xffff0000, v5
	scratch_store_b32 off, v1, off offset:672 ; 4-byte Folded Spill
	v_lshlrev_b32_e32 v1, 16, v6
	scratch_store_b32 off, v1, off offset:676 ; 4-byte Folded Spill
	v_and_b32_e32 v1, 0xffff0000, v6
	scratch_store_b32 off, v1, off offset:680 ; 4-byte Folded Spill
	v_lshlrev_b32_e32 v1, 16, v7
	scratch_store_b32 off, v1, off offset:684 ; 4-byte Folded Spill
	v_and_b32_e32 v1, 0xffff0000, v7
	scratch_store_b32 off, v1, off offset:688 ; 4-byte Folded Spill
	v_lshlrev_b32_e32 v1, 16, v8
	scratch_store_b32 off, v1, off offset:692 ; 4-byte Folded Spill
	v_and_b32_e32 v1, 0xffff0000, v8
	scratch_store_b32 off, v1, off offset:696 ; 4-byte Folded Spill
	s_wait_dscnt 0x1
	v_lshlrev_b32_e32 v1, 16, v9
	scratch_store_b32 off, v1, off offset:700 ; 4-byte Folded Spill
	v_and_b32_e32 v1, 0xffff0000, v9
	scratch_store_b32 off, v1, off offset:704 ; 4-byte Folded Spill
	;; [unrolled: 17-line block ×3, first 2 shown]
	v_lshlrev_b32_e32 v1, 16, v14
	scratch_store_b32 off, v1, off offset:740 ; 4-byte Folded Spill
	v_and_b32_e32 v1, 0xffff0000, v14
	scratch_store_b32 off, v1, off offset:744 ; 4-byte Folded Spill
	v_lshlrev_b32_e32 v1, 16, v15
	scratch_store_b32 off, v1, off offset:748 ; 4-byte Folded Spill
	v_and_b32_e32 v1, 0xffff0000, v15
	scratch_store_b32 off, v1, off offset:752 ; 4-byte Folded Spill
	v_lshlrev_b32_e32 v1, 16, v16
	scratch_store_b32 off, v1, off offset:756 ; 4-byte Folded Spill
	v_and_b32_e32 v1, 0xffff0000, v16
	scratch_store_b32 off, v1, off offset:760 ; 4-byte Folded Spill
	ds_load_b128 v[1:4], v0 offset:64
	ds_load_b128 v[5:8], v0 offset:80
	s_wait_dscnt 0x1
	v_lshlrev_b32_e32 v9, 16, v1
	v_and_b32_e32 v1, 0xffff0000, v1
	s_clause 0x1
	scratch_store_b32 off, v9, off offset:764
	scratch_store_b32 off, v1, off offset:768
	v_lshlrev_b32_e32 v1, 16, v2
	scratch_store_b32 off, v1, off offset:772 ; 4-byte Folded Spill
	v_and_b32_e32 v1, 0xffff0000, v2
	scratch_store_b32 off, v1, off offset:776 ; 4-byte Folded Spill
	v_lshlrev_b32_e32 v1, 16, v3
	scratch_store_b32 off, v1, off offset:780 ; 4-byte Folded Spill
	v_and_b32_e32 v1, 0xffff0000, v3
	scratch_store_b32 off, v1, off offset:784 ; 4-byte Folded Spill
	v_lshlrev_b32_e32 v1, 16, v4
	scratch_store_b32 off, v1, off offset:788 ; 4-byte Folded Spill
	v_and_b32_e32 v1, 0xffff0000, v4
	scratch_store_b32 off, v1, off offset:792 ; 4-byte Folded Spill
	s_wait_dscnt 0x0
	v_lshlrev_b32_e32 v1, 16, v5
	scratch_store_b32 off, v1, off offset:796 ; 4-byte Folded Spill
	v_and_b32_e32 v1, 0xffff0000, v5
	scratch_store_b32 off, v1, off offset:800 ; 4-byte Folded Spill
	v_lshlrev_b32_e32 v1, 16, v6
	scratch_store_b32 off, v1, off offset:804 ; 4-byte Folded Spill
	v_and_b32_e32 v1, 0xffff0000, v6
	scratch_store_b32 off, v1, off offset:808 ; 4-byte Folded Spill
	v_lshlrev_b32_e32 v1, 16, v7
	scratch_store_b32 off, v1, off offset:812 ; 4-byte Folded Spill
	v_and_b32_e32 v1, 0xffff0000, v7
	scratch_store_b32 off, v1, off offset:816 ; 4-byte Folded Spill
	v_lshlrev_b32_e32 v1, 16, v8
	scratch_store_b32 off, v1, off offset:820 ; 4-byte Folded Spill
	v_and_b32_e32 v1, 0xffff0000, v8
	scratch_store_b32 off, v1, off offset:824 ; 4-byte Folded Spill
	ds_load_b128 v[1:4], v0 offset:96
	ds_load_b128 v[5:8], v0 offset:112
	s_wait_dscnt 0x1
	v_lshlrev_b32_e32 v9, 16, v1
	v_and_b32_e32 v1, 0xffff0000, v1
	s_clause 0x1
	scratch_store_b32 off, v9, off offset:828
	scratch_store_b32 off, v1, off offset:832
	v_lshlrev_b32_e32 v1, 16, v2
	scratch_store_b32 off, v1, off offset:836 ; 4-byte Folded Spill
	v_and_b32_e32 v1, 0xffff0000, v2
	scratch_store_b32 off, v1, off offset:840 ; 4-byte Folded Spill
	v_lshlrev_b32_e32 v1, 16, v3
	scratch_store_b32 off, v1, off offset:844 ; 4-byte Folded Spill
	v_and_b32_e32 v1, 0xffff0000, v3
	scratch_store_b32 off, v1, off offset:848 ; 4-byte Folded Spill
	v_lshlrev_b32_e32 v1, 16, v4
	scratch_store_b32 off, v1, off offset:852 ; 4-byte Folded Spill
	v_and_b32_e32 v1, 0xffff0000, v4
	scratch_store_b32 off, v1, off offset:856 ; 4-byte Folded Spill
	s_wait_dscnt 0x0
	v_lshlrev_b32_e32 v1, 16, v5
	scratch_store_b32 off, v1, off offset:860 ; 4-byte Folded Spill
	v_and_b32_e32 v1, 0xffff0000, v5
	scratch_store_b32 off, v1, off offset:864 ; 4-byte Folded Spill
	;; [unrolled: 37-line block ×13, first 2 shown]
	v_lshlrev_b32_e32 v1, 16, v6
	scratch_store_b32 off, v1, off offset:1572 ; 4-byte Folded Spill
	v_and_b32_e32 v1, 0xffff0000, v6
	scratch_store_b32 off, v1, off offset:1576 ; 4-byte Folded Spill
	v_lshlrev_b32_e32 v1, 16, v7
	scratch_store_b32 off, v1, off offset:1580 ; 4-byte Folded Spill
	v_and_b32_e32 v1, 0xffff0000, v7
	scratch_store_b32 off, v1, off offset:1584 ; 4-byte Folded Spill
	;; [unrolled: 4-line block ×3, first 2 shown]
	ds_load_b128 v[1:4], v0 offset:480
	ds_load_b128 v[5:8], v0 offset:496
	scratch_store_b32 off, v17, off offset:1684 ; 4-byte Folded Spill
	s_wait_dscnt 0x1
	v_lshlrev_b32_e32 v0, 16, v1
	scratch_store_b32 off, v0, off offset:1596 ; 4-byte Folded Spill
	v_and_b32_e32 v0, 0xffff0000, v1
	scratch_store_b32 off, v0, off offset:1600 ; 4-byte Folded Spill
	v_lshlrev_b32_e32 v0, 16, v2
	scratch_store_b32 off, v0, off offset:1604 ; 4-byte Folded Spill
	v_and_b32_e32 v0, 0xffff0000, v2
	scratch_load_b32 v2, off, off offset:628 ; 4-byte Folded Reload
	scratch_store_b32 off, v0, off offset:1608 ; 4-byte Folded Spill
	v_lshlrev_b32_e32 v0, 16, v3
	scratch_store_b32 off, v0, off offset:1612 ; 4-byte Folded Spill
	v_and_b32_e32 v0, 0xffff0000, v3
	scratch_store_b32 off, v0, off offset:1616 ; 4-byte Folded Spill
	v_lshlrev_b32_e32 v0, 16, v4
	scratch_store_b32 off, v0, off offset:1620 ; 4-byte Folded Spill
	v_and_b32_e32 v0, 0xffff0000, v4
	scratch_load_b64 v[3:4], off, off offset:1676 ; 8-byte Folded Reload
	scratch_store_b32 off, v0, off offset:1624 ; 4-byte Folded Spill
	s_wait_dscnt 0x0
	v_lshlrev_b32_e32 v0, 16, v5
	scratch_store_b32 off, v0, off offset:1628 ; 4-byte Folded Spill
	v_and_b32_e32 v0, 0xffff0000, v5
	scratch_store_b32 off, v0, off offset:1632 ; 4-byte Folded Spill
	v_lshlrev_b32_e32 v0, 16, v6
	scratch_store_b32 off, v0, off offset:1636 ; 4-byte Folded Spill
	v_and_b32_e32 v0, 0xffff0000, v6
	scratch_store_b32 off, v0, off offset:1640 ; 4-byte Folded Spill
	;; [unrolled: 4-line block ×4, first 2 shown]
	v_rcp_iflag_f32_e32 v0, s4
	s_load_b64 s[4:5], s[0:1], 0x20
	s_delay_alu instid0(TRANS32_DEP_1) | instskip(SKIP_3) | instid1(SALU_CYCLE_1)
	v_readfirstlane_b32 s35, v0
	s_mul_f32 s41, s35, 0x4f7ffffe
	s_mov_b32 s35, s21
	s_wait_alu 0xfffe
	s_cvt_u32_f32 s41, s41
	s_wait_kmcnt 0x0
	s_add_nc_u64 s[4:5], s[4:5], s[22:23]
	s_mov_b32 s23, 0
	s_wait_alu 0xfffe
	s_mul_i32 s42, s42, s41
	s_delay_alu instid0(SALU_CYCLE_1) | instskip(NEXT) | instid1(SALU_CYCLE_1)
	s_mul_hi_u32 s42, s41, s42
	s_add_co_i32 s41, s41, s42
	s_wait_loadcnt 0x1
	v_lshlrev_b32_e32 v0, 4, v2
	s_wait_loadcnt 0x0
	s_delay_alu instid0(VALU_DEP_1)
	v_add_co_u32 v4, s4, s4, v0
	s_wait_alu 0xf1ff
	v_add_co_ci_u32_e64 v5, null, s5, 0, s4
	s_lshl_b64 s[4:5], s[30:31], 2
	v_subrev_nc_u32_e32 v0, s7, v2
	s_wait_alu 0xfffe
	s_add_nc_u64 s[4:5], s[28:29], s[4:5]
	s_delay_alu instid0(VALU_DEP_1)
	v_add_nc_u32_e32 v0, 1, v0
	scratch_store_b64 off, v[4:5], off offset:1660 ; 8-byte Folded Spill
	v_mov_b32_e32 v4, 0xff7fffff
	scratch_store_b32 off, v0, off offset:1668 ; 4-byte Folded Spill
	v_lshlrev_b32_e32 v1, 2, v3
	v_mov_b32_e32 v83, v3
	s_wait_alu 0xfffe
	s_delay_alu instid0(VALU_DEP_2)
	v_add_co_u32 v48, s4, s4, v1
	scratch_load_b32 v1, off, off offset:1672 ; 4-byte Folded Reload
	s_wait_alu 0xf1ff
	v_add_co_ci_u32_e64 v49, null, s5, 0, s4
	s_wait_loadcnt 0x0
	v_lshl_or_b32 v0, v1, 7, v17
	v_lshl_add_u32 v82, v1, 5, s6
	s_delay_alu instid0(VALU_DEP_2)
	v_add_nc_u32_e32 v90, 0x220, v0
	s_branch .LBB357_12
.LBB357_11:                             ;   in Loop: Header=BB357_12 Depth=1
	s_wait_alu 0xfffe
	s_or_b32 exec_lo, exec_lo, s5
	v_add_nc_u32_e32 v83, 4, v83
	v_add_co_u32 v48, s4, v48, 16
	s_wait_alu 0xf1ff
	v_add_co_ci_u32_e64 v49, null, 0, v49, s4
	s_delay_alu instid0(VALU_DEP_3) | instskip(SKIP_3) | instid1(SALU_CYCLE_1)
	v_cmp_le_i32_e64 s4, s36, v83
	v_add_nc_u32_e32 v82, 0x80, v82
	v_add_nc_u32_e32 v90, 0x200, v90
	s_or_b32 s23, s4, s23
	s_and_not1_b32 exec_lo, exec_lo, s23
	s_cbranch_execz .LBB357_16
.LBB357_12:                             ; =>This Inner Loop Header: Depth=1
	s_delay_alu instid0(VALU_DEP_2) | instskip(NEXT) | instid1(VALU_DEP_1)
	v_sub_nc_u32_e32 v0, 0, v82
	v_max_i32_e32 v0, v82, v0
	s_delay_alu instid0(VALU_DEP_1) | instskip(NEXT) | instid1(VALU_DEP_1)
	v_mul_hi_u32 v1, v0, s26
	v_mul_lo_u32 v2, v1, s25
	s_delay_alu instid0(VALU_DEP_1) | instskip(SKIP_1) | instid1(VALU_DEP_2)
	v_sub_nc_u32_e32 v0, v0, v2
	v_add_nc_u32_e32 v2, 1, v1
	v_subrev_nc_u32_e32 v3, s25, v0
	v_cmp_le_u32_e64 s4, s25, v0
	s_wait_alu 0xf1ff
	s_delay_alu instid0(VALU_DEP_1) | instskip(NEXT) | instid1(VALU_DEP_3)
	v_cndmask_b32_e64 v1, v1, v2, s4
	v_cndmask_b32_e64 v0, v0, v3, s4
	v_ashrrev_i32_e32 v2, 31, v82
	s_delay_alu instid0(VALU_DEP_3) | instskip(NEXT) | instid1(VALU_DEP_3)
	v_add_nc_u32_e32 v3, 1, v1
	v_cmp_le_u32_e64 s4, s25, v0
	s_delay_alu instid0(VALU_DEP_3) | instskip(SKIP_1) | instid1(VALU_DEP_2)
	v_xor_b32_e32 v2, s27, v2
	s_wait_alu 0xf1ff
	v_cndmask_b32_e64 v0, v1, v3, s4
	s_delay_alu instid0(VALU_DEP_1) | instskip(NEXT) | instid1(VALU_DEP_1)
	v_xor_b32_e32 v0, v0, v2
	v_sub_nc_u32_e32 v0, v0, v2
	s_delay_alu instid0(VALU_DEP_1) | instskip(SKIP_1) | instid1(VALU_DEP_2)
	v_add_nc_u32_e32 v1, s33, v0
	v_cmp_ge_i32_e64 s5, s18, v0
	v_sub_nc_u32_e32 v2, 0, v1
	s_delay_alu instid0(VALU_DEP_1) | instskip(SKIP_1) | instid1(VALU_DEP_2)
	v_max_i32_e32 v2, v1, v2
	v_ashrrev_i32_e32 v1, 31, v1
	v_mul_hi_u32 v3, v2, s41
	s_delay_alu instid0(VALU_DEP_1) | instskip(NEXT) | instid1(VALU_DEP_1)
	v_mul_lo_u32 v3, v3, s19
	v_sub_nc_u32_e32 v2, v2, v3
	s_delay_alu instid0(VALU_DEP_1) | instskip(SKIP_2) | instid1(VALU_DEP_1)
	v_subrev_nc_u32_e32 v3, s19, v2
	v_cmp_le_u32_e64 s4, s19, v2
	s_wait_alu 0xf1ff
	v_cndmask_b32_e64 v2, v2, v3, s4
	s_delay_alu instid0(VALU_DEP_1) | instskip(SKIP_2) | instid1(VALU_DEP_1)
	v_subrev_nc_u32_e32 v3, s19, v2
	v_cmp_le_u32_e64 s4, s19, v2
	s_wait_alu 0xf1ff
	v_cndmask_b32_e64 v2, v2, v3, s4
	s_delay_alu instid0(VALU_DEP_1) | instskip(NEXT) | instid1(VALU_DEP_1)
	v_xor_b32_e32 v2, v2, v1
	v_sub_nc_u32_e32 v1, v2, v1
	s_delay_alu instid0(VALU_DEP_1)
	v_cmp_ne_u32_e64 s4, 0, v1
	s_and_b32 s4, s4, s5
	s_wait_alu 0xfffe
	s_and_saveexec_b32 s5, s4
	s_wait_alu 0xfffe
	s_xor_b32 s4, exec_lo, s5
; %bb.13:                               ;   in Loop: Header=BB357_12 Depth=1
	v_mov_b32_e32 v0, 0xff7fffff
	ds_store_b32 v90, v0
; %bb.14:                               ;   in Loop: Header=BB357_12 Depth=1
	s_wait_alu 0xfffe
	s_and_not1_saveexec_b32 s5, s4
	s_cbranch_execz .LBB357_11
; %bb.15:                               ;   in Loop: Header=BB357_12 Depth=1
	global_load_b32 v0, v[48:49], off
	scratch_load_b64 v[1:2], off, off offset:1660 ; 8-byte Folded Reload
	s_wait_loadcnt 0x0
	v_mad_co_i64_i32 v[15:16], null, v0, s35, v[1:2]
	s_clause 0x1
	global_load_b128 v[7:10], v[15:16], off
	global_load_b128 v[11:14], v[15:16], off offset:512
	s_wait_loadcnt 0x1
	v_and_b32_e32 v29, 0xff, v7
	v_bfe_u32 v28, v7, 8, 8
	v_bfe_u32 v27, v7, 16, 8
	v_lshrrev_b32_e32 v24, 24, v7
	v_and_b32_e32 v23, 0xff, v8
	v_bfe_u32 v22, v8, 8, 8
	v_bfe_u32 v21, v8, 16, 8
	v_lshrrev_b32_e32 v20, 24, v8
	;; [unrolled: 4-line block ×4, first 2 shown]
	s_wait_loadcnt 0x0
	v_and_b32_e32 v136, 0xff, v11
	v_bfe_u32 v138, v11, 8, 8
	v_bfe_u32 v142, v11, 16, 8
	v_lshrrev_b32_e32 v144, 24, v11
	v_and_b32_e32 v146, 0xff, v12
	v_bfe_u32 v152, v12, 8, 8
	v_bfe_u32 v154, v12, 16, 8
	v_lshrrev_b32_e32 v162, 24, v12
	;; [unrolled: 4-line block ×4, first 2 shown]
	s_clause 0x1
	global_load_b128 v[7:10], v[15:16], off offset:1024
	global_load_b128 v[11:14], v[15:16], off offset:1536
	s_wait_loadcnt 0x1
	v_and_b32_e32 v174, 0xff, v10
	v_bfe_u32 v175, v10, 8, 8
	v_bfe_u32 v177, v10, 16, 8
	v_lshrrev_b32_e32 v179, 24, v10
	s_wait_loadcnt 0x0
	v_and_b32_e32 v180, 0xff, v11
	v_bfe_u32 v181, v11, 8, 8
	v_bfe_u32 v115, v11, 16, 8
	v_lshrrev_b32_e32 v113, 24, v11
	v_and_b32_e32 v110, 0xff, v12
	v_bfe_u32 v105, v12, 8, 8
	v_bfe_u32 v103, v12, 16, 8
	v_lshrrev_b32_e32 v95, 24, v12
	;; [unrolled: 4-line block ×3, first 2 shown]
	s_clause 0x6
	global_load_b128 v[10:13], v[15:16], off offset:2048
	global_load_b128 v[42:45], v[15:16], off offset:2560
	;; [unrolled: 1-line block ×7, first 2 shown]
	v_and_b32_e32 v25, 0xff, v7
	v_bfe_u32 v122, v7, 8, 8
	v_bfe_u32 v126, v7, 16, 8
	v_lshrrev_b32_e32 v132, 24, v7
	v_and_b32_e32 v155, 0xff, v8
	v_bfe_u32 v140, v8, 8, 8
	v_bfe_u32 v148, v8, 16, 8
	v_lshrrev_b32_e32 v169, 24, v8
	v_bfe_u32 v183, v9, 8, 8
	v_bfe_u32 v168, v9, 16, 8
	v_lshrrev_b32_e32 v171, 24, v9
	;; [unrolled: 3-line block ×3, first 2 shown]
	s_wait_loadcnt 0x6
	v_bfe_u32 v77, v10, 16, 8
	v_lshrrev_b32_e32 v130, 24, v10
	s_wait_loadcnt 0x5
	v_bfe_u32 v52, v42, 8, 8
	s_wait_loadcnt 0x1
	v_and_b32_e32 v133, 0xff, v118
	v_bfe_u32 v135, v118, 8, 8
	v_bfe_u32 v139, v118, 16, 8
	v_lshrrev_b32_e32 v141, 24, v118
	v_and_b32_e32 v143, 0xff, v119
	v_bfe_u32 v147, v119, 8, 8
	v_bfe_u32 v149, v119, 16, 8
	v_lshrrev_b32_e32 v151, 24, v119
	s_wait_loadcnt 0x0
	v_and_b32_e32 v114, 0xff, v0
	v_bfe_u32 v118, v0, 8, 8
	v_bfe_u32 v119, v0, 16, 8
	v_lshrrev_b32_e32 v127, 24, v0
	v_bfe_u32 v0, v3, 8, 8
	scratch_store_b32 off, v4, off          ; 4-byte Folded Spill
	global_load_b128 v[4:7], v[15:16], off offset:5632
	v_and_b32_e32 v111, 0xff, v116
	v_bfe_u32 v112, v116, 8, 8
	scratch_store_b32 off, v0, off offset:528 ; 4-byte Folded Spill
	v_bfe_u32 v121, v116, 16, 8
	v_lshrrev_b32_e32 v170, 24, v116
	v_and_b32_e32 v150, 0xff, v117
	v_bfe_u32 v116, v117, 8, 8
	v_bfe_u32 v123, v117, 16, 8
	v_lshrrev_b32_e32 v129, 24, v117
	v_and_b32_e32 v131, 0xff, v1
	v_bfe_u32 v137, v1, 8, 8
	;; [unrolled: 4-line block ×4, first 2 shown]
	v_lshrrev_b32_e32 v173, 24, v3
	v_bfe_u32 v37, v42, 16, 8
	v_lshrrev_b32_e32 v8, 24, v42
	v_and_b32_e32 v31, 0xff, v44
	v_bfe_u32 v85, v44, 8, 8
	v_bfe_u32 v32, v44, 16, 8
	v_lshrrev_b32_e32 v125, 24, v44
	v_bfe_u32 v40, v45, 8, 8
	v_lshrrev_b32_e32 v44, 24, v45
	v_bfe_u32 v80, v11, 8, 8
	v_bfe_u32 v184, v11, 16, 8
	v_lshrrev_b32_e32 v81, 24, v11
	v_and_b32_e32 v189, 0xff, v12
	v_bfe_u32 v61, v12, 8, 8
	v_bfe_u32 v56, v12, 16, 8
	v_lshrrev_b32_e32 v54, 24, v12
	v_bfe_u32 v50, v13, 8, 8
	v_bfe_u32 v47, v13, 16, 8
	v_lshrrev_b32_e32 v41, 24, v13
	;; [unrolled: 3-line block ×3, first 2 shown]
	v_and_b32_e32 v66, 0xff, v58
	v_bfe_u32 v36, v58, 8, 8
	v_bfe_u32 v39, v58, 16, 8
	v_bfe_u32 v46, v59, 8, 8
	v_bfe_u32 v51, v59, 16, 8
	v_lshrrev_b32_e32 v191, 24, v59
	v_and_b32_e32 v178, 0xff, v60
	v_bfe_u32 v53, v60, 8, 8
	v_bfe_u32 v55, v60, 16, 8
	v_bfe_u32 v62, v73, 16, 8
	v_lshrrev_b32_e32 v63, 24, v73
	v_bfe_u32 v72, v74, 8, 8
	v_and_b32_e32 v78, 0xff, v75
	v_bfe_u32 v86, v75, 8, 8
	v_bfe_u32 v88, v75, 16, 8
	v_lshrrev_b32_e32 v89, 24, v75
	v_and_b32_e32 v91, 0xff, v76
	v_bfe_u32 v96, v76, 8, 8
	v_bfe_u32 v98, v76, 16, 8
	v_lshrrev_b32_e32 v99, 24, v76
	v_bfe_u32 v64, v106, 8, 8
	v_bfe_u32 v67, v106, 16, 8
	v_lshrrev_b32_e32 v75, 24, v106
	v_and_b32_e32 v76, 0xff, v107
	v_bfe_u32 v87, v107, 8, 8
	v_bfe_u32 v92, v107, 16, 8
	v_lshrrev_b32_e32 v97, 24, v107
	v_and_b32_e32 v100, 0xff, v108
	v_bfe_u32 v101, v108, 8, 8
	v_bfe_u32 v102, v108, 16, 8
	v_lshrrev_b32_e32 v104, 24, v108
	v_bfe_u32 v107, v109, 8, 8
	v_bfe_u32 v108, v109, 16, 8
	s_wait_loadcnt 0x0
	v_bfe_u32 v0, v4, 8, 8
	v_and_b32_e32 v176, 0xff, v4
	scratch_store_b32 off, v0, off offset:524 ; 4-byte Folded Spill
	v_bfe_u32 v0, v4, 16, 8
	scratch_store_b32 off, v0, off offset:516 ; 4-byte Folded Spill
	v_lshrrev_b32_e32 v0, 24, v4
	scratch_store_b32 off, v0, off offset:512 ; 4-byte Folded Spill
	v_and_b32_e32 v0, 0xff, v5
	scratch_store_b32 off, v0, off offset:504 ; 4-byte Folded Spill
	v_bfe_u32 v0, v5, 8, 8
	scratch_store_b32 off, v0, off offset:496 ; 4-byte Folded Spill
	v_bfe_u32 v0, v5, 16, 8
	scratch_store_b32 off, v0, off offset:488 ; 4-byte Folded Spill
	v_lshrrev_b32_e32 v0, 24, v5
	scratch_store_b32 off, v0, off offset:484 ; 4-byte Folded Spill
	v_and_b32_e32 v0, 0xff, v6
	scratch_store_b32 off, v0, off offset:480 ; 4-byte Folded Spill
	v_bfe_u32 v0, v6, 8, 8
	;; [unrolled: 8-line block ×3, first 2 shown]
	scratch_store_b32 off, v0, off offset:448 ; 4-byte Folded Spill
	v_bfe_u32 v0, v7, 16, 8
	scratch_store_b32 off, v0, off offset:444 ; 4-byte Folded Spill
	v_lshrrev_b32_e32 v0, 24, v7
	scratch_store_b32 off, v0, off offset:432 ; 4-byte Folded Spill
	s_clause 0x1
	global_load_b128 v[0:3], v[15:16], off offset:6144
	global_load_b128 v[4:7], v[15:16], off offset:6656
	s_wait_loadcnt 0x1
	v_and_b32_e32 v182, 0xff, v0
	scratch_store_b32 off, v182, off offset:520 ; 4-byte Folded Spill
	v_bfe_u32 v182, v0, 8, 8
	scratch_store_b32 off, v182, off offset:508 ; 4-byte Folded Spill
	v_bfe_u32 v182, v0, 16, 8
	v_lshrrev_b32_e32 v0, 24, v0
	scratch_store_b32 off, v0, off offset:492 ; 4-byte Folded Spill
	v_and_b32_e32 v0, 0xff, v1
	scratch_store_b32 off, v0, off offset:472 ; 4-byte Folded Spill
	v_bfe_u32 v0, v1, 8, 8
	scratch_store_b32 off, v0, off offset:468 ; 4-byte Folded Spill
	v_bfe_u32 v0, v1, 16, 8
	scratch_store_b32 off, v0, off offset:452 ; 4-byte Folded Spill
	v_lshrrev_b32_e32 v0, 24, v1
	scratch_store_b32 off, v0, off offset:440 ; 4-byte Folded Spill
	v_and_b32_e32 v0, 0xff, v2
	scratch_store_b32 off, v0, off offset:436 ; 4-byte Folded Spill
	v_bfe_u32 v0, v2, 8, 8
	scratch_store_b32 off, v0, off offset:428 ; 4-byte Folded Spill
	v_bfe_u32 v0, v2, 16, 8
	scratch_store_b32 off, v0, off offset:420 ; 4-byte Folded Spill
	;; [unrolled: 8-line block ×3, first 2 shown]
	v_lshrrev_b32_e32 v0, 24, v3
	scratch_store_b32 off, v0, off offset:368 ; 4-byte Folded Spill
	s_wait_loadcnt 0x0
	v_and_b32_e32 v0, 0xff, v4
	scratch_store_b32 off, v0, off offset:356 ; 4-byte Folded Spill
	v_bfe_u32 v0, v4, 8, 8
	scratch_store_b32 off, v0, off offset:352 ; 4-byte Folded Spill
	v_bfe_u32 v0, v4, 16, 8
	scratch_store_b32 off, v0, off offset:340 ; 4-byte Folded Spill
	v_lshrrev_b32_e32 v0, 24, v4
	scratch_store_b32 off, v0, off offset:324 ; 4-byte Folded Spill
	v_and_b32_e32 v0, 0xff, v5
	scratch_store_b32 off, v0, off offset:316 ; 4-byte Folded Spill
	v_bfe_u32 v0, v5, 8, 8
	scratch_store_b32 off, v0, off offset:312 ; 4-byte Folded Spill
	v_bfe_u32 v0, v5, 16, 8
	scratch_store_b32 off, v0, off offset:304 ; 4-byte Folded Spill
	v_lshrrev_b32_e32 v0, 24, v5
	scratch_store_b32 off, v0, off offset:296 ; 4-byte Folded Spill
	;; [unrolled: 8-line block ×3, first 2 shown]
	v_and_b32_e32 v0, 0xff, v7
	scratch_store_b32 off, v0, off offset:248 ; 4-byte Folded Spill
	v_bfe_u32 v0, v7, 8, 8
	scratch_store_b32 off, v0, off offset:232 ; 4-byte Folded Spill
	v_bfe_u32 v0, v7, 16, 8
	scratch_store_b32 off, v0, off offset:228 ; 4-byte Folded Spill
	v_lshrrev_b32_e32 v0, 24, v7
	s_clause 0x1
	scratch_store_b32 off, v182, off offset:500
	scratch_store_b32 off, v0, off offset:216
	s_clause 0x1
	global_load_b128 v[0:3], v[15:16], off offset:7168
	global_load_b128 v[4:7], v[15:16], off offset:7680
	s_load_b32 s42, s[8:9], 0x0
	v_and_b32_e32 v190, 0xff, v9
	v_bfe_u32 v9, v10, 8, 8
	v_and_b32_e32 v38, 0xff, v45
	v_and_b32_e32 v94, 0xff, v14
	;; [unrolled: 1-line block ×3, first 2 shown]
	v_bfe_u32 v13, v57, 16, 8
	v_lshrrev_b32_e32 v14, 24, v57
	s_wait_loadcnt 0x1
	v_and_b32_e32 v15, 0xff, v0
	v_bfe_u32 v16, v1, 8, 8
	scratch_store_b32 off, v15, off offset:344 ; 4-byte Folded Spill
	v_bfe_u32 v15, v0, 8, 8
	scratch_store_b32 off, v15, off offset:332 ; 4-byte Folded Spill
	v_bfe_u32 v15, v0, 16, 8
	v_lshrrev_b32_e32 v0, 24, v0
	scratch_store_b32 off, v0, off offset:288 ; 4-byte Folded Spill
	v_and_b32_e32 v0, 0xff, v1
	scratch_store_b32 off, v0, off offset:276 ; 4-byte Folded Spill
	v_lshrrev_b32_e32 v0, 24, v1
	scratch_store_b32 off, v0, off offset:220 ; 4-byte Folded Spill
	v_and_b32_e32 v0, 0xff, v2
	scratch_store_b32 off, v0, off offset:208 ; 4-byte Folded Spill
	v_bfe_u32 v0, v2, 8, 8
	scratch_store_b32 off, v0, off offset:200 ; 4-byte Folded Spill
	v_bfe_u32 v0, v2, 16, 8
	scratch_store_b32 off, v0, off offset:192 ; 4-byte Folded Spill
	v_lshrrev_b32_e32 v0, 24, v2
	scratch_store_b32 off, v0, off offset:180 ; 4-byte Folded Spill
	v_and_b32_e32 v0, 0xff, v3
	scratch_store_b32 off, v0, off offset:164 ; 4-byte Folded Spill
	v_bfe_u32 v0, v3, 8, 8
	scratch_store_b32 off, v0, off offset:156 ; 4-byte Folded Spill
	v_bfe_u32 v0, v3, 16, 8
	scratch_store_b32 off, v0, off offset:148 ; 4-byte Folded Spill
	v_lshrrev_b32_e32 v0, 24, v3
	s_wait_loadcnt 0x0
	v_bfe_u32 v3, v4, 16, 8
	scratch_store_b32 off, v0, off offset:136 ; 4-byte Folded Spill
	v_and_b32_e32 v0, 0xff, v4
	scratch_store_b32 off, v0, off offset:128 ; 4-byte Folded Spill
	v_bfe_u32 v0, v4, 8, 8
	scratch_store_b32 off, v0, off offset:112 ; 4-byte Folded Spill
	v_lshrrev_b32_e32 v0, 24, v4
	scratch_store_b32 off, v0, off offset:104 ; 4-byte Folded Spill
	v_and_b32_e32 v0, 0xff, v5
	scratch_store_b32 off, v0, off offset:96 ; 4-byte Folded Spill
	v_bfe_u32 v0, v5, 8, 8
	scratch_store_b32 off, v0, off offset:88 ; 4-byte Folded Spill
	v_bfe_u32 v0, v5, 16, 8
	scratch_store_b32 off, v0, off offset:72 ; 4-byte Folded Spill
	v_lshrrev_b32_e32 v0, 24, v5
	scratch_store_b32 off, v0, off offset:68 ; 4-byte Folded Spill
	v_and_b32_e32 v0, 0xff, v6
	scratch_store_b32 off, v0, off offset:64 ; 4-byte Folded Spill
	v_bfe_u32 v0, v6, 8, 8
	;; [unrolled: 8-line block ×3, first 2 shown]
	scratch_store_b32 off, v0, off offset:40 ; 4-byte Folded Spill
	v_bfe_u32 v0, v7, 16, 8
	scratch_store_b32 off, v0, off offset:32 ; 4-byte Folded Spill
	v_lshrrev_b32_e32 v0, 24, v7
	scratch_store_b32 off, v15, off offset:300 ; 4-byte Folded Spill
	v_bfe_u32 v15, v1, 16, 8
	scratch_store_b32 off, v0, off offset:24 ; 4-byte Folded Spill
	v_cvt_f32_fp8_e32 v0, v29
	s_wait_kmcnt 0x0
	s_delay_alu instid0(VALU_DEP_1) | instskip(NEXT) | instid1(VALU_DEP_1)
	v_mul_f32_e32 v0, s42, v0
	v_bfe_u32 v1, v0, 16, 1
	v_or_b32_e32 v2, 0x400000, v0
	v_cmp_u_f32_e64 s4, v0, v0
	s_delay_alu instid0(VALU_DEP_3) | instskip(SKIP_1) | instid1(VALU_DEP_1)
	v_add3_u32 v1, v1, v0, 0x7fff
	s_wait_alu 0xf1ff
	v_cndmask_b32_e64 v0, v1, v2, s4
	scratch_store_b32 off, v0, off offset:4 ; 4-byte Folded Spill
	v_cvt_f32_fp8_e32 v0, v28
	s_delay_alu instid0(VALU_DEP_1) | instskip(NEXT) | instid1(VALU_DEP_1)
	v_mul_f32_e32 v0, s42, v0
	v_bfe_u32 v1, v0, 16, 1
	v_or_b32_e32 v2, 0x400000, v0
	v_cmp_u_f32_e64 s4, v0, v0
	s_delay_alu instid0(VALU_DEP_3) | instskip(SKIP_1) | instid1(VALU_DEP_1)
	v_add3_u32 v1, v1, v0, 0x7fff
	s_wait_alu 0xf1ff
	v_cndmask_b32_e64 v0, v1, v2, s4
	scratch_store_b32 off, v0, off offset:8 ; 4-byte Folded Spill
	v_cvt_f32_fp8_e32 v0, v27
	;; [unrolled: 11-line block ×3, first 2 shown]
	v_and_b32_e32 v157, 0xff, v10
	v_and_b32_e32 v10, 0xff, v42
	v_bfe_u32 v42, v45, 16, 8
	s_delay_alu instid0(VALU_DEP_4) | instskip(NEXT) | instid1(VALU_DEP_1)
	v_mul_f32_e32 v0, s42, v0
	v_bfe_u32 v1, v0, 16, 1
	v_or_b32_e32 v2, 0x400000, v0
	v_cmp_u_f32_e64 s4, v0, v0
	s_delay_alu instid0(VALU_DEP_3) | instskip(SKIP_1) | instid1(VALU_DEP_1)
	v_add3_u32 v1, v1, v0, 0x7fff
	s_wait_alu 0xf1ff
	v_cndmask_b32_e64 v0, v1, v2, s4
	scratch_store_b32 off, v0, off offset:16 ; 4-byte Folded Spill
	v_cvt_f32_fp8_e32 v0, v23
	v_and_b32_e32 v71, 0xff, v11
	v_bfe_u32 v11, v57, 8, 8
	s_delay_alu instid0(VALU_DEP_3) | instskip(NEXT) | instid1(VALU_DEP_1)
	v_mul_f32_e32 v0, s42, v0
	v_bfe_u32 v1, v0, 16, 1
	v_or_b32_e32 v2, 0x400000, v0
	v_cmp_u_f32_e64 s4, v0, v0
	s_delay_alu instid0(VALU_DEP_3) | instskip(SKIP_1) | instid1(VALU_DEP_1)
	v_add3_u32 v1, v1, v0, 0x7fff
	s_wait_alu 0xf1ff
	v_cndmask_b32_e64 v0, v1, v2, s4
	scratch_store_b32 off, v0, off offset:20 ; 4-byte Folded Spill
	v_cvt_f32_fp8_e32 v0, v22
	v_and_b32_e32 v65, 0xff, v43
	v_lshrrev_b32_e32 v43, 24, v58
	v_and_b32_e32 v58, 0xff, v73
	s_delay_alu instid0(VALU_DEP_4) | instskip(NEXT) | instid1(VALU_DEP_1)
	v_mul_f32_e32 v0, s42, v0
	v_bfe_u32 v1, v0, 16, 1
	v_or_b32_e32 v2, 0x400000, v0
	v_cmp_u_f32_e64 s4, v0, v0
	s_delay_alu instid0(VALU_DEP_3) | instskip(SKIP_1) | instid1(VALU_DEP_1)
	v_add3_u32 v1, v1, v0, 0x7fff
	s_wait_alu 0xf1ff
	v_cndmask_b32_e64 v0, v1, v2, s4
	scratch_store_b32 off, v0, off offset:28 ; 4-byte Folded Spill
	v_cvt_f32_fp8_e32 v0, v21
	v_and_b32_e32 v187, 0xff, v57
	v_lshrrev_b32_e32 v57, 24, v60
	v_and_b32_e32 v60, 0xff, v106
	v_and_b32_e32 v106, 0xff, v109
	v_mul_f32_e32 v0, s42, v0
	v_lshrrev_b32_e32 v109, 24, v109
	s_delay_alu instid0(VALU_DEP_2) | instskip(SKIP_2) | instid1(VALU_DEP_3)
	v_bfe_u32 v1, v0, 16, 1
	v_or_b32_e32 v2, 0x400000, v0
	v_cmp_u_f32_e64 s4, v0, v0
	v_add3_u32 v1, v1, v0, 0x7fff
	s_wait_alu 0xf1ff
	s_delay_alu instid0(VALU_DEP_1)
	v_cndmask_b32_e64 v0, v1, v2, s4
	scratch_store_b32 off, v0, off offset:36 ; 4-byte Folded Spill
	v_cvt_f32_fp8_e32 v0, v20
	v_and_b32_e32 v45, 0xff, v59
	v_bfe_u32 v59, v73, 8, 8
	v_bfe_u32 v73, v74, 16, 8
	s_delay_alu instid0(VALU_DEP_4) | instskip(NEXT) | instid1(VALU_DEP_1)
	v_mul_f32_e32 v0, s42, v0
	v_bfe_u32 v1, v0, 16, 1
	v_or_b32_e32 v2, 0x400000, v0
	v_cmp_u_f32_e64 s4, v0, v0
	s_delay_alu instid0(VALU_DEP_3) | instskip(SKIP_1) | instid1(VALU_DEP_1)
	v_add3_u32 v1, v1, v0, 0x7fff
	s_wait_alu 0xf1ff
	v_cndmask_b32_e64 v0, v1, v2, s4
	scratch_store_b32 off, v0, off offset:48 ; 4-byte Folded Spill
	v_cvt_f32_fp8_e32 v0, v26
	v_and_b32_e32 v69, 0xff, v74
	v_lshrrev_b32_e32 v74, 24, v74
	s_delay_alu instid0(VALU_DEP_3) | instskip(NEXT) | instid1(VALU_DEP_1)
	v_mul_f32_e32 v0, s42, v0
	v_bfe_u32 v1, v0, 16, 1
	v_or_b32_e32 v2, 0x400000, v0
	v_cmp_u_f32_e64 s4, v0, v0
	s_delay_alu instid0(VALU_DEP_3) | instskip(SKIP_1) | instid1(VALU_DEP_1)
	v_add3_u32 v1, v1, v0, 0x7fff
	s_wait_alu 0xf1ff
	v_cndmask_b32_e64 v0, v1, v2, s4
	scratch_store_b32 off, v0, off offset:76 ; 4-byte Folded Spill
	v_cvt_f32_fp8_e32 v0, v17
	s_delay_alu instid0(VALU_DEP_1) | instskip(NEXT) | instid1(VALU_DEP_1)
	v_mul_f32_e32 v0, s42, v0
	v_bfe_u32 v1, v0, 16, 1
	v_or_b32_e32 v2, 0x400000, v0
	v_cmp_u_f32_e64 s4, v0, v0
	s_delay_alu instid0(VALU_DEP_3) | instskip(SKIP_1) | instid1(VALU_DEP_1)
	v_add3_u32 v1, v1, v0, 0x7fff
	s_wait_alu 0xf1ff
	v_cndmask_b32_e64 v0, v1, v2, s4
	scratch_store_b32 off, v0, off offset:80 ; 4-byte Folded Spill
	v_cvt_f32_fp8_e32 v0, v19
	s_delay_alu instid0(VALU_DEP_1) | instskip(NEXT) | instid1(VALU_DEP_1)
	;; [unrolled: 11-line block ×48, first 2 shown]
	v_mul_f32_e32 v0, s42, v0
	v_bfe_u32 v1, v0, 16, 1
	v_or_b32_e32 v2, 0x400000, v0
	v_cmp_u_f32_e64 s4, v0, v0
	s_delay_alu instid0(VALU_DEP_3) | instskip(SKIP_1) | instid1(VALU_DEP_1)
	v_add3_u32 v1, v1, v0, 0x7fff
	s_wait_alu 0xf1ff
	v_cndmask_b32_e64 v0, v1, v2, s4
	scratch_store_b32 off, v0, off offset:536 ; 4-byte Folded Spill
	v_cvt_f32_fp8_e32 v0, v35
	scratch_load_b32 v35, off, off offset:4 th:TH_LOAD_LU ; 4-byte Folded Reload
	v_mul_f32_e32 v0, s42, v0
	s_delay_alu instid0(VALU_DEP_1) | instskip(SKIP_2) | instid1(VALU_DEP_3)
	v_bfe_u32 v1, v0, 16, 1
	v_or_b32_e32 v2, 0x400000, v0
	v_cmp_u_f32_e64 s4, v0, v0
	v_add3_u32 v1, v1, v0, 0x7fff
	s_wait_alu 0xf1ff
	s_delay_alu instid0(VALU_DEP_1) | instskip(SKIP_2) | instid1(VALU_DEP_1)
	v_cndmask_b32_e64 v0, v1, v2, s4
	scratch_store_b32 off, v0, off offset:540 ; 4-byte Folded Spill
	v_cvt_f32_fp8_e32 v0, v68
	v_mul_f32_e32 v0, s42, v0
	s_delay_alu instid0(VALU_DEP_1) | instskip(SKIP_2) | instid1(VALU_DEP_3)
	v_bfe_u32 v1, v0, 16, 1
	v_or_b32_e32 v2, 0x400000, v0
	v_cmp_u_f32_e64 s4, v0, v0
	v_add3_u32 v1, v1, v0, 0x7fff
	s_wait_alu 0xf1ff
	s_delay_alu instid0(VALU_DEP_1) | instskip(SKIP_2) | instid1(VALU_DEP_1)
	v_cndmask_b32_e64 v0, v1, v2, s4
	scratch_store_b32 off, v0, off offset:544 ; 4-byte Folded Spill
	v_cvt_f32_fp8_e32 v0, v79
	;; [unrolled: 11-line block ×22, first 2 shown]
	v_mul_f32_e32 v0, s42, v0
	s_delay_alu instid0(VALU_DEP_1) | instskip(SKIP_2) | instid1(VALU_DEP_3)
	v_bfe_u32 v1, v0, 16, 1
	v_or_b32_e32 v2, 0x400000, v0
	v_cmp_u_f32_e64 s4, v0, v0
	v_add3_u32 v1, v1, v0, 0x7fff
	v_cvt_f32_fp8_e32 v0, v10
	s_wait_alu 0xf1ff
	s_delay_alu instid0(VALU_DEP_2) | instskip(NEXT) | instid1(VALU_DEP_2)
	v_cndmask_b32_e64 v190, v1, v2, s4
	v_mul_f32_e32 v0, s42, v0
	s_delay_alu instid0(VALU_DEP_1) | instskip(SKIP_2) | instid1(VALU_DEP_3)
	v_bfe_u32 v1, v0, 16, 1
	v_or_b32_e32 v2, 0x400000, v0
	v_cmp_u_f32_e64 s4, v0, v0
	v_add3_u32 v1, v1, v0, 0x7fff
	v_cvt_f32_fp8_e32 v0, v52
	s_wait_alu 0xf1ff
	s_delay_alu instid0(VALU_DEP_2) | instskip(NEXT) | instid1(VALU_DEP_2)
	v_cndmask_b32_e64 v188, v1, v2, s4
	;; [unrolled: 10-line block ×93, first 2 shown]
	v_mul_f32_e32 v0, s42, v0
	s_delay_alu instid0(VALU_DEP_1) | instskip(SKIP_2) | instid1(VALU_DEP_3)
	v_bfe_u32 v1, v0, 16, 1
	v_or_b32_e32 v2, 0x400000, v0
	v_cmp_u_f32_e64 s4, v0, v0
	v_add3_u32 v1, v1, v0, 0x7fff
	scratch_load_b32 v0, off, off offset:528 th:TH_LOAD_LU ; 4-byte Folded Reload
	s_wait_alu 0xf1ff
	v_cndmask_b32_e64 v117, v1, v2, s4
	s_wait_loadcnt 0x0
	v_cvt_f32_fp8_e32 v0, v0
	s_delay_alu instid0(VALU_DEP_1) | instskip(NEXT) | instid1(VALU_DEP_1)
	v_mul_f32_e32 v0, s42, v0
	v_bfe_u32 v1, v0, 16, 1
	v_or_b32_e32 v2, 0x400000, v0
	v_cmp_u_f32_e64 s4, v0, v0
	s_delay_alu instid0(VALU_DEP_3) | instskip(SKIP_2) | instid1(VALU_DEP_2)
	v_add3_u32 v1, v1, v0, 0x7fff
	v_cvt_f32_fp8_e32 v0, v172
	s_wait_alu 0xf1ff
	v_cndmask_b32_e64 v118, v1, v2, s4
	s_delay_alu instid0(VALU_DEP_2) | instskip(NEXT) | instid1(VALU_DEP_1)
	v_mul_f32_e32 v0, s42, v0
	v_bfe_u32 v1, v0, 16, 1
	v_or_b32_e32 v2, 0x400000, v0
	v_cmp_u_f32_e64 s4, v0, v0
	s_delay_alu instid0(VALU_DEP_3) | instskip(SKIP_2) | instid1(VALU_DEP_2)
	v_add3_u32 v1, v1, v0, 0x7fff
	v_cvt_f32_fp8_e32 v0, v173
	s_wait_alu 0xf1ff
	v_cndmask_b32_e64 v119, v1, v2, s4
	s_delay_alu instid0(VALU_DEP_2) | instskip(NEXT) | instid1(VALU_DEP_1)
	;; [unrolled: 10-line block ×3, first 2 shown]
	v_mul_f32_e32 v0, s42, v0
	v_bfe_u32 v1, v0, 16, 1
	v_or_b32_e32 v2, 0x400000, v0
	v_cmp_u_f32_e64 s4, v0, v0
	s_delay_alu instid0(VALU_DEP_3)
	v_add3_u32 v1, v1, v0, 0x7fff
	scratch_load_b32 v0, off, off offset:524 th:TH_LOAD_LU ; 4-byte Folded Reload
	s_wait_alu 0xf1ff
	v_cndmask_b32_e64 v123, v1, v2, s4
	s_wait_loadcnt 0x0
	v_cvt_f32_fp8_e32 v0, v0
	s_delay_alu instid0(VALU_DEP_1) | instskip(NEXT) | instid1(VALU_DEP_1)
	v_mul_f32_e32 v0, s42, v0
	v_bfe_u32 v1, v0, 16, 1
	v_or_b32_e32 v2, 0x400000, v0
	v_cmp_u_f32_e64 s4, v0, v0
	s_delay_alu instid0(VALU_DEP_3)
	v_add3_u32 v1, v1, v0, 0x7fff
	scratch_load_b32 v0, off, off offset:516 th:TH_LOAD_LU ; 4-byte Folded Reload
	s_wait_alu 0xf1ff
	v_cndmask_b32_e64 v125, v1, v2, s4
	s_wait_loadcnt 0x0
	v_cvt_f32_fp8_e32 v0, v0
	s_delay_alu instid0(VALU_DEP_1) | instskip(NEXT) | instid1(VALU_DEP_1)
	;; [unrolled: 12-line block ×52, first 2 shown]
	v_mul_f32_e32 v0, s42, v0
	v_bfe_u32 v1, v0, 16, 1
	v_or_b32_e32 v2, 0x400000, v0
	v_cmp_u_f32_e64 s4, v0, v0
	s_delay_alu instid0(VALU_DEP_3) | instskip(SKIP_2) | instid1(VALU_DEP_2)
	v_add3_u32 v1, v1, v0, 0x7fff
	v_cvt_f32_fp8_e32 v0, v16
	s_wait_alu 0xf1ff
	v_cndmask_b32_e64 v33, v1, v2, s4
	s_delay_alu instid0(VALU_DEP_2) | instskip(NEXT) | instid1(VALU_DEP_1)
	v_mul_f32_e32 v0, s42, v0
	v_bfe_u32 v1, v0, 16, 1
	v_or_b32_e32 v2, 0x400000, v0
	v_cmp_u_f32_e64 s4, v0, v0
	s_delay_alu instid0(VALU_DEP_3) | instskip(SKIP_2) | instid1(VALU_DEP_2)
	v_add3_u32 v1, v1, v0, 0x7fff
	v_cvt_f32_fp8_e32 v0, v15
	s_wait_alu 0xf1ff
	v_cndmask_b32_e64 v16, v1, v2, s4
	s_delay_alu instid0(VALU_DEP_2) | instskip(NEXT) | instid1(VALU_DEP_1)
	v_mul_f32_e32 v0, s42, v0
	v_bfe_u32 v1, v0, 16, 1
	v_or_b32_e32 v2, 0x400000, v0
	v_cmp_u_f32_e64 s4, v0, v0
	s_delay_alu instid0(VALU_DEP_3)
	v_add3_u32 v1, v1, v0, 0x7fff
	scratch_load_b32 v0, off, off offset:220 th:TH_LOAD_LU ; 4-byte Folded Reload
	s_wait_alu 0xf1ff
	v_cndmask_b32_e64 v15, v1, v2, s4
	s_wait_loadcnt 0x0
	v_cvt_f32_fp8_e32 v0, v0
	s_delay_alu instid0(VALU_DEP_1) | instskip(NEXT) | instid1(VALU_DEP_1)
	v_mul_f32_e32 v0, s42, v0
	v_bfe_u32 v1, v0, 16, 1
	v_or_b32_e32 v2, 0x400000, v0
	v_cmp_u_f32_e64 s4, v0, v0
	s_delay_alu instid0(VALU_DEP_3)
	v_add3_u32 v1, v1, v0, 0x7fff
	scratch_load_b32 v0, off, off offset:208 th:TH_LOAD_LU ; 4-byte Folded Reload
	s_wait_alu 0xf1ff
	v_cndmask_b32_e64 v14, v1, v2, s4
	s_wait_loadcnt 0x0
	v_cvt_f32_fp8_e32 v0, v0
	s_delay_alu instid0(VALU_DEP_1) | instskip(NEXT) | instid1(VALU_DEP_1)
	;; [unrolled: 12-line block ×11, first 2 shown]
	v_mul_f32_e32 v0, s42, v0
	v_bfe_u32 v1, v0, 16, 1
	v_or_b32_e32 v2, 0x400000, v0
	v_cmp_u_f32_e64 s4, v0, v0
	s_delay_alu instid0(VALU_DEP_3) | instskip(SKIP_2) | instid1(VALU_DEP_2)
	v_add3_u32 v1, v1, v0, 0x7fff
	v_cvt_f32_fp8_e32 v0, v3
	s_wait_alu 0xf1ff
	v_cndmask_b32_e64 v2, v1, v2, s4
	s_delay_alu instid0(VALU_DEP_2) | instskip(NEXT) | instid1(VALU_DEP_2)
	v_mul_f32_e32 v0, s42, v0
	v_and_b32_e32 v2, 0xffff0000, v2
	s_delay_alu instid0(VALU_DEP_2) | instskip(SKIP_2) | instid1(VALU_DEP_3)
	v_bfe_u32 v1, v0, 16, 1
	v_or_b32_e32 v3, 0x400000, v0
	v_cmp_u_f32_e64 s4, v0, v0
	v_add3_u32 v1, v1, v0, 0x7fff
	scratch_load_b32 v0, off, off offset:104 th:TH_LOAD_LU ; 4-byte Folded Reload
	s_wait_alu 0xf1ff
	v_cndmask_b32_e64 v1, v1, v3, s4
	s_delay_alu instid0(VALU_DEP_1) | instskip(SKIP_2) | instid1(VALU_DEP_1)
	v_and_b32_e32 v1, 0xffff0000, v1
	s_wait_loadcnt 0x0
	v_cvt_f32_fp8_e32 v0, v0
	v_mul_f32_e32 v0, s42, v0
	s_delay_alu instid0(VALU_DEP_1) | instskip(SKIP_2) | instid1(VALU_DEP_3)
	v_bfe_u32 v3, v0, 16, 1
	v_or_b32_e32 v25, 0x400000, v0
	v_cmp_u_f32_e64 s4, v0, v0
	v_add3_u32 v3, v3, v0, 0x7fff
	s_wait_alu 0xf1ff
	s_delay_alu instid0(VALU_DEP_1) | instskip(SKIP_4) | instid1(VALU_DEP_1)
	v_cndmask_b32_e64 v0, v3, v25, s4
	scratch_load_b32 v3, off, off offset:96 th:TH_LOAD_LU ; 4-byte Folded Reload
	v_and_b32_e32 v0, 0xffff0000, v0
	s_wait_loadcnt 0x0
	v_cvt_f32_fp8_e32 v3, v3
	v_mul_f32_e32 v3, s42, v3
	s_delay_alu instid0(VALU_DEP_1) | instskip(SKIP_2) | instid1(VALU_DEP_3)
	v_bfe_u32 v25, v3, 16, 1
	v_or_b32_e32 v34, 0x400000, v3
	v_cmp_u_f32_e64 s4, v3, v3
	v_add3_u32 v25, v25, v3, 0x7fff
	scratch_load_b32 v3, off, off offset:88 th:TH_LOAD_LU ; 4-byte Folded Reload
	s_wait_alu 0xf1ff
	v_cndmask_b32_e64 v81, v25, v34, s4
	s_wait_loadcnt 0x0
	v_cvt_f32_fp8_e32 v3, v3
	s_delay_alu instid0(VALU_DEP_1) | instskip(NEXT) | instid1(VALU_DEP_1)
	v_mul_f32_e32 v3, s42, v3
	v_bfe_u32 v25, v3, 16, 1
	v_or_b32_e32 v34, 0x400000, v3
	v_cmp_u_f32_e64 s4, v3, v3
	s_delay_alu instid0(VALU_DEP_3)
	v_add3_u32 v25, v25, v3, 0x7fff
	scratch_load_b32 v3, off, off offset:72 th:TH_LOAD_LU ; 4-byte Folded Reload
	s_wait_alu 0xf1ff
	v_cndmask_b32_e64 v41, v25, v34, s4
	s_wait_loadcnt 0x0
	v_cvt_f32_fp8_e32 v3, v3
	s_delay_alu instid0(VALU_DEP_1) | instskip(NEXT) | instid1(VALU_DEP_1)
	v_mul_f32_e32 v3, s42, v3
	v_bfe_u32 v25, v3, 16, 1
	v_or_b32_e32 v34, 0x400000, v3
	v_cmp_u_f32_e64 s4, v3, v3
	s_delay_alu instid0(VALU_DEP_3)
	;; [unrolled: 12-line block ×11, first 2 shown]
	v_add3_u32 v25, v25, v3, 0x7fff
	scratch_load_b32 v3, off, off offset:76 th:TH_LOAD_LU ; 4-byte Folded Reload
	s_wait_alu 0xf1ff
	v_cndmask_b32_e64 v25, v25, v68, s4
	v_and_b32_e32 v68, 0xffff0000, v35
	scratch_load_b32 v35, off, off offset:668 ; 4-byte Folded Reload
	s_wait_loadcnt 0x1
	v_and_b32_e32 v3, 0xffff0000, v3
	s_wait_loadcnt 0x0
	s_delay_alu instid0(VALU_DEP_1)
	v_mul_f32_e32 v84, v35, v3
	s_clause 0x1
	scratch_load_b32 v3, off, off offset:636
	scratch_load_b32 v35, off, off offset:8 th:TH_LOAD_LU
	s_wait_loadcnt 0x1
	v_fmac_f32_e32 v84, v3, v68
	scratch_load_b32 v3, off, off offset:80 th:TH_LOAD_LU ; 4-byte Folded Reload
	s_wait_loadcnt 0x1
	v_and_b32_e32 v68, 0xffff0000, v35
	scratch_load_b32 v35, off, off offset:672 ; 4-byte Folded Reload
	s_wait_loadcnt 0x1
	v_and_b32_e32 v3, 0xffff0000, v3
	s_wait_loadcnt 0x0
	s_delay_alu instid0(VALU_DEP_1)
	v_mul_f32_e32 v70, v35, v3
	s_clause 0x1
	scratch_load_b32 v3, off, off offset:640
	scratch_load_b32 v35, off, off offset:12 th:TH_LOAD_LU
	s_wait_loadcnt 0x1
	v_fmac_f32_e32 v70, v3, v68
	scratch_load_b32 v3, off, off offset:84 th:TH_LOAD_LU ; 4-byte Folded Reload
	s_wait_loadcnt 0x1
	;; [unrolled: 14-line block ×6, first 2 shown]
	v_and_b32_e32 v85, 0xffff0000, v35
	scratch_load_b32 v35, off, off offset:692 ; 4-byte Folded Reload
	s_wait_loadcnt 0x1
	v_and_b32_e32 v3, 0xffff0000, v3
	s_wait_loadcnt 0x0
	s_delay_alu instid0(VALU_DEP_1)
	v_mul_f32_e32 v68, v35, v3
	s_clause 0x1
	scratch_load_b32 v3, off, off offset:660
	scratch_load_b32 v35, off, off offset:48 th:TH_LOAD_LU
	s_wait_loadcnt 0x1
	v_fmac_f32_e32 v68, v3, v85
	s_clause 0x1
	scratch_load_b32 v3, off, off offset:120 th:TH_LOAD_LU
	scratch_load_b32 v85, off, off offset:696
	s_wait_loadcnt 0x2
	v_and_b32_e32 v35, 0xffff0000, v35
	s_wait_loadcnt 0x1
	v_and_b32_e32 v3, 0xffff0000, v3
	s_wait_loadcnt 0x0
	s_delay_alu instid0(VALU_DEP_1)
	v_mul_f32_e32 v85, v85, v3
	scratch_load_b32 v3, off, off offset:664 ; 4-byte Folded Reload
	s_wait_loadcnt 0x0
	v_fmac_f32_e32 v85, v3, v35
	s_clause 0x1
	scratch_load_b32 v3, off, off offset:124 th:TH_LOAD_LU
	scratch_load_b32 v35, off, off offset:700
	s_wait_loadcnt 0x1
	v_and_b32_e32 v3, 0xffff0000, v3
	s_wait_loadcnt 0x0
	s_delay_alu instid0(VALU_DEP_1)
	v_fmac_f32_e32 v84, v35, v3
	s_clause 0x1
	scratch_load_b32 v3, off, off offset:132 th:TH_LOAD_LU
	scratch_load_b32 v35, off, off offset:704
	s_wait_loadcnt 0x1
	v_and_b32_e32 v3, 0xffff0000, v3
	s_wait_loadcnt 0x0
	s_delay_alu instid0(VALU_DEP_1)
	;; [unrolled: 8-line block ×62, first 2 shown]
	v_fmac_f32_e32 v80, v35, v3
	s_clause 0x1
	scratch_load_b32 v3, off, off offset:624 th:TH_LOAD_LU
	scratch_load_b32 v35, off, off offset:948
	s_wait_loadcnt 0x1
	v_and_b32_e32 v3, 0xffff0000, v3
	s_wait_loadcnt 0x0
	s_delay_alu instid0(VALU_DEP_1) | instskip(SKIP_3) | instid1(VALU_DEP_1)
	v_fmac_f32_e32 v68, v35, v3
	scratch_load_b32 v35, off, off offset:952 ; 4-byte Folded Reload
	v_and_b32_e32 v3, 0xffff0000, v190
	s_wait_loadcnt 0x0
	v_fmac_f32_e32 v85, v35, v3
	scratch_load_b32 v35, off, off offset:956 ; 4-byte Folded Reload
	v_and_b32_e32 v3, 0xffff0000, v188
	s_wait_loadcnt 0x0
	s_delay_alu instid0(VALU_DEP_1) | instskip(SKIP_3) | instid1(VALU_DEP_1)
	v_fmac_f32_e32 v84, v35, v3
	scratch_load_b32 v35, off, off offset:960 ; 4-byte Folded Reload
	v_and_b32_e32 v3, 0xffff0000, v186
	s_wait_loadcnt 0x0
	v_fmac_f32_e32 v70, v35, v3
	scratch_load_b32 v35, off, off offset:964 ; 4-byte Folded Reload
	;; [unrolled: 9-line block ×15, first 2 shown]
	v_and_b32_e32 v3, 0xffff0000, v77
	s_wait_loadcnt 0x0
	s_delay_alu instid0(VALU_DEP_1) | instskip(SKIP_3) | instid1(VALU_DEP_1)
	v_fmac_f32_e32 v79, v35, v3
	scratch_load_b32 v35, off, off offset:1072 ; 4-byte Folded Reload
	v_and_b32_e32 v3, 0xffff0000, v71
	s_wait_loadcnt 0x0
	v_dual_fmac_f32 v80, v35, v3 :: v_dual_and_b32 v3, 0xffff0000, v29
	scratch_load_b32 v29, off, off offset:1076 ; 4-byte Folded Reload
	s_wait_loadcnt 0x0
	v_dual_fmac_f32 v68, v29, v3 :: v_dual_and_b32 v3, 0xffff0000, v28
	scratch_load_b32 v28, off, off offset:1080 ; 4-byte Folded Reload
	s_wait_loadcnt 0x0
	v_fmac_f32_e32 v85, v28, v3
	v_and_b32_e32 v3, 0xffff0000, v27
	scratch_load_b32 v27, off, off offset:1084 ; 4-byte Folded Reload
	s_wait_loadcnt 0x0
	v_dual_fmac_f32 v84, v27, v3 :: v_dual_and_b32 v3, 0xffff0000, v26
	scratch_load_b32 v26, off, off offset:1088 ; 4-byte Folded Reload
	s_wait_loadcnt 0x0
	v_dual_fmac_f32 v70, v26, v3 :: v_dual_and_b32 v3, 0xffff0000, v24
	scratch_load_b32 v24, off, off offset:1092 ; 4-byte Folded Reload
	s_wait_loadcnt 0x0
	v_fmac_f32_e32 v150, v24, v3
	v_and_b32_e32 v3, 0xffff0000, v23
	scratch_load_b32 v23, off, off offset:1096 ; 4-byte Folded Reload
	s_wait_loadcnt 0x0
	v_dual_fmac_f32 v94, v23, v3 :: v_dual_and_b32 v3, 0xffff0000, v22
	scratch_load_b32 v22, off, off offset:1100 ; 4-byte Folded Reload
	s_wait_loadcnt 0x0
	v_fmac_f32_e32 v79, v22, v3
	scratch_load_b32 v22, off, off offset:1104 ; 4-byte Folded Reload
	v_and_b32_e32 v3, 0xffff0000, v36
	s_wait_loadcnt 0x0
	s_delay_alu instid0(VALU_DEP_1) | instskip(SKIP_3) | instid1(VALU_DEP_1)
	v_fmac_f32_e32 v80, v22, v3
	scratch_load_b32 v22, off, off offset:1108 ; 4-byte Folded Reload
	v_and_b32_e32 v3, 0xffff0000, v38
	s_wait_loadcnt 0x0
	v_fmac_f32_e32 v68, v22, v3
	scratch_load_b32 v22, off, off offset:1112 ; 4-byte Folded Reload
	v_and_b32_e32 v3, 0xffff0000, v40
	s_wait_loadcnt 0x0
	s_delay_alu instid0(VALU_DEP_1)
	v_fmac_f32_e32 v85, v22, v3
	v_and_b32_e32 v3, 0xffff0000, v21
	scratch_load_b32 v21, off, off offset:1116 ; 4-byte Folded Reload
	s_wait_loadcnt 0x0
	v_fmac_f32_e32 v84, v21, v3
	scratch_load_b32 v21, off, off offset:1120 ; 4-byte Folded Reload
	v_and_b32_e32 v3, 0xffff0000, v42
	s_wait_loadcnt 0x0
	s_delay_alu instid0(VALU_DEP_1) | instskip(SKIP_3) | instid1(VALU_DEP_1)
	v_fmac_f32_e32 v70, v21, v3
	scratch_load_b32 v21, off, off offset:1124 ; 4-byte Folded Reload
	v_and_b32_e32 v3, 0xffff0000, v45
	s_wait_loadcnt 0x0
	v_fmac_f32_e32 v150, v21, v3
	scratch_load_b32 v21, off, off offset:1128 ; 4-byte Folded Reload
	v_and_b32_e32 v3, 0xffff0000, v46
	s_wait_loadcnt 0x0
	s_delay_alu instid0(VALU_DEP_1)
	v_dual_fmac_f32 v94, v21, v3 :: v_dual_and_b32 v3, 0xffff0000, v4
	scratch_load_b32 v4, off, off offset:1132 ; 4-byte Folded Reload
	s_wait_loadcnt 0x0
	v_fmac_f32_e32 v79, v4, v3
	scratch_load_b32 v4, off, off offset:1136 ; 4-byte Folded Reload
	v_and_b32_e32 v3, 0xffff0000, v20
	s_wait_loadcnt 0x0
	s_delay_alu instid0(VALU_DEP_1) | instskip(SKIP_3) | instid1(VALU_DEP_1)
	v_fmac_f32_e32 v80, v4, v3
	scratch_load_b32 v4, off, off offset:1140 ; 4-byte Folded Reload
	v_and_b32_e32 v3, 0xffff0000, v51
	s_wait_loadcnt 0x0
	v_fmac_f32_e32 v68, v4, v3
	scratch_load_b32 v4, off, off offset:1144 ; 4-byte Folded Reload
	v_and_b32_e32 v3, 0xffff0000, v57
	s_wait_loadcnt 0x0
	s_delay_alu instid0(VALU_DEP_1) | instskip(SKIP_3) | instid1(VALU_DEP_1)
	v_fmac_f32_e32 v85, v4, v3
	scratch_load_b32 v4, off, off offset:1148 ; 4-byte Folded Reload
	v_and_b32_e32 v3, 0xffff0000, v39
	s_wait_loadcnt 0x0
	v_fmac_f32_e32 v84, v4, v3
	scratch_load_b32 v4, off, off offset:1152 ; 4-byte Folded Reload
	v_and_b32_e32 v3, 0xffff0000, v43
	s_wait_loadcnt 0x0
	s_delay_alu instid0(VALU_DEP_1) | instskip(SKIP_3) | instid1(VALU_DEP_1)
	v_fmac_f32_e32 v70, v4, v3
	scratch_load_b32 v4, off, off offset:1156 ; 4-byte Folded Reload
	v_and_b32_e32 v3, 0xffff0000, v44
	s_wait_loadcnt 0x0
	v_fmac_f32_e32 v150, v4, v3
	scratch_load_b32 v4, off, off offset:1160 ; 4-byte Folded Reload
	v_and_b32_e32 v3, 0xffff0000, v53
	s_wait_loadcnt 0x0
	s_delay_alu instid0(VALU_DEP_1) | instskip(SKIP_3) | instid1(VALU_DEP_1)
	v_fmac_f32_e32 v94, v4, v3
	scratch_load_b32 v4, off, off offset:1164 ; 4-byte Folded Reload
	v_and_b32_e32 v3, 0xffff0000, v55
	s_wait_loadcnt 0x0
	v_fmac_f32_e32 v79, v4, v3
	scratch_load_b32 v4, off, off offset:1168 ; 4-byte Folded Reload
	v_and_b32_e32 v3, 0xffff0000, v58
	s_wait_loadcnt 0x0
	s_delay_alu instid0(VALU_DEP_1) | instskip(SKIP_3) | instid1(VALU_DEP_1)
	v_fmac_f32_e32 v80, v4, v3
	scratch_load_b32 v4, off, off offset:1172 ; 4-byte Folded Reload
	v_and_b32_e32 v3, 0xffff0000, v59
	s_wait_loadcnt 0x0
	v_fmac_f32_e32 v68, v4, v3
	scratch_load_b32 v4, off, off offset:1176 ; 4-byte Folded Reload
	v_and_b32_e32 v3, 0xffff0000, v60
	s_wait_loadcnt 0x0
	s_delay_alu instid0(VALU_DEP_1) | instskip(SKIP_3) | instid1(VALU_DEP_1)
	v_fmac_f32_e32 v85, v4, v3
	scratch_load_b32 v4, off, off offset:1180 ; 4-byte Folded Reload
	v_and_b32_e32 v3, 0xffff0000, v62
	s_wait_loadcnt 0x0
	v_fmac_f32_e32 v84, v4, v3
	scratch_load_b32 v4, off, off offset:1184 ; 4-byte Folded Reload
	v_and_b32_e32 v3, 0xffff0000, v63
	s_wait_loadcnt 0x0
	s_delay_alu instid0(VALU_DEP_1) | instskip(SKIP_3) | instid1(VALU_DEP_1)
	v_fmac_f32_e32 v70, v4, v3
	scratch_load_b32 v4, off, off offset:1188 ; 4-byte Folded Reload
	v_and_b32_e32 v3, 0xffff0000, v64
	s_wait_loadcnt 0x0
	v_fmac_f32_e32 v150, v4, v3
	scratch_load_b32 v4, off, off offset:1192 ; 4-byte Folded Reload
	v_and_b32_e32 v3, 0xffff0000, v67
	s_wait_loadcnt 0x0
	s_delay_alu instid0(VALU_DEP_1) | instskip(SKIP_3) | instid1(VALU_DEP_1)
	v_fmac_f32_e32 v94, v4, v3
	scratch_load_b32 v4, off, off offset:1196 ; 4-byte Folded Reload
	v_and_b32_e32 v3, 0xffff0000, v69
	s_wait_loadcnt 0x0
	v_fmac_f32_e32 v79, v4, v3
	scratch_load_b32 v4, off, off offset:1200 ; 4-byte Folded Reload
	v_and_b32_e32 v3, 0xffff0000, v72
	s_wait_loadcnt 0x0
	s_delay_alu instid0(VALU_DEP_1) | instskip(SKIP_3) | instid1(VALU_DEP_1)
	v_fmac_f32_e32 v80, v4, v3
	scratch_load_b32 v4, off, off offset:1204 ; 4-byte Folded Reload
	v_and_b32_e32 v3, 0xffff0000, v73
	s_wait_loadcnt 0x0
	v_fmac_f32_e32 v68, v4, v3
	scratch_load_b32 v4, off, off offset:1208 ; 4-byte Folded Reload
	v_and_b32_e32 v3, 0xffff0000, v74
	s_wait_loadcnt 0x0
	s_delay_alu instid0(VALU_DEP_1) | instskip(SKIP_3) | instid1(VALU_DEP_1)
	v_fmac_f32_e32 v85, v4, v3
	scratch_load_b32 v4, off, off offset:1212 ; 4-byte Folded Reload
	v_and_b32_e32 v3, 0xffff0000, v75
	s_wait_loadcnt 0x0
	v_fmac_f32_e32 v84, v4, v3
	scratch_load_b32 v4, off, off offset:1216 ; 4-byte Folded Reload
	v_and_b32_e32 v3, 0xffff0000, v76
	s_wait_loadcnt 0x0
	s_delay_alu instid0(VALU_DEP_1) | instskip(SKIP_3) | instid1(VALU_DEP_1)
	v_fmac_f32_e32 v70, v4, v3
	scratch_load_b32 v4, off, off offset:1220 ; 4-byte Folded Reload
	v_and_b32_e32 v3, 0xffff0000, v78
	s_wait_loadcnt 0x0
	v_fmac_f32_e32 v150, v4, v3
	scratch_load_b32 v4, off, off offset:1224 ; 4-byte Folded Reload
	v_and_b32_e32 v3, 0xffff0000, v86
	s_wait_loadcnt 0x0
	s_delay_alu instid0(VALU_DEP_1) | instskip(SKIP_3) | instid1(VALU_DEP_1)
	v_fmac_f32_e32 v94, v4, v3
	scratch_load_b32 v4, off, off offset:1228 ; 4-byte Folded Reload
	v_and_b32_e32 v3, 0xffff0000, v87
	s_wait_loadcnt 0x0
	v_fmac_f32_e32 v79, v4, v3
	scratch_load_b32 v4, off, off offset:1232 ; 4-byte Folded Reload
	v_and_b32_e32 v3, 0xffff0000, v88
	s_wait_loadcnt 0x0
	s_delay_alu instid0(VALU_DEP_1) | instskip(SKIP_3) | instid1(VALU_DEP_1)
	v_fmac_f32_e32 v80, v4, v3
	scratch_load_b32 v4, off, off offset:1236 ; 4-byte Folded Reload
	v_and_b32_e32 v3, 0xffff0000, v89
	s_wait_loadcnt 0x0
	v_fmac_f32_e32 v68, v4, v3
	scratch_load_b32 v4, off, off offset:1240 ; 4-byte Folded Reload
	v_and_b32_e32 v3, 0xffff0000, v91
	s_wait_loadcnt 0x0
	s_delay_alu instid0(VALU_DEP_1) | instskip(SKIP_3) | instid1(VALU_DEP_1)
	v_fmac_f32_e32 v85, v4, v3
	scratch_load_b32 v4, off, off offset:1244 ; 4-byte Folded Reload
	v_and_b32_e32 v3, 0xffff0000, v96
	s_wait_loadcnt 0x0
	v_fmac_f32_e32 v84, v4, v3
	scratch_load_b32 v4, off, off offset:1248 ; 4-byte Folded Reload
	v_and_b32_e32 v3, 0xffff0000, v97
	s_wait_loadcnt 0x0
	s_delay_alu instid0(VALU_DEP_1) | instskip(SKIP_3) | instid1(VALU_DEP_1)
	v_fmac_f32_e32 v70, v4, v3
	scratch_load_b32 v4, off, off offset:1252 ; 4-byte Folded Reload
	v_and_b32_e32 v3, 0xffff0000, v98
	s_wait_loadcnt 0x0
	v_fmac_f32_e32 v150, v4, v3
	scratch_load_b32 v4, off, off offset:1256 ; 4-byte Folded Reload
	v_and_b32_e32 v3, 0xffff0000, v100
	s_wait_loadcnt 0x0
	s_delay_alu instid0(VALU_DEP_1) | instskip(SKIP_3) | instid1(VALU_DEP_1)
	v_fmac_f32_e32 v94, v4, v3
	scratch_load_b32 v4, off, off offset:1260 ; 4-byte Folded Reload
	v_and_b32_e32 v3, 0xffff0000, v101
	s_wait_loadcnt 0x0
	v_fmac_f32_e32 v79, v4, v3
	scratch_load_b32 v4, off, off offset:1264 ; 4-byte Folded Reload
	v_and_b32_e32 v3, 0xffff0000, v106
	s_wait_loadcnt 0x0
	s_delay_alu instid0(VALU_DEP_1) | instskip(SKIP_3) | instid1(VALU_DEP_1)
	v_fmac_f32_e32 v80, v4, v3
	scratch_load_b32 v4, off, off offset:1268 ; 4-byte Folded Reload
	v_and_b32_e32 v3, 0xffff0000, v108
	s_wait_loadcnt 0x0
	v_fmac_f32_e32 v68, v4, v3
	scratch_load_b32 v4, off, off offset:1272 ; 4-byte Folded Reload
	v_and_b32_e32 v3, 0xffff0000, v92
	s_wait_loadcnt 0x0
	s_delay_alu instid0(VALU_DEP_1) | instskip(SKIP_3) | instid1(VALU_DEP_1)
	v_fmac_f32_e32 v85, v4, v3
	scratch_load_b32 v4, off, off offset:1276 ; 4-byte Folded Reload
	v_and_b32_e32 v3, 0xffff0000, v19
	s_wait_loadcnt 0x0
	v_fmac_f32_e32 v84, v4, v3
	scratch_load_b32 v4, off, off offset:1280 ; 4-byte Folded Reload
	v_and_b32_e32 v3, 0xffff0000, v99
	s_wait_loadcnt 0x0
	s_delay_alu instid0(VALU_DEP_1) | instskip(SKIP_3) | instid1(VALU_DEP_1)
	v_fmac_f32_e32 v70, v4, v3
	scratch_load_b32 v4, off, off offset:1284 ; 4-byte Folded Reload
	v_and_b32_e32 v3, 0xffff0000, v102
	s_wait_loadcnt 0x0
	v_fmac_f32_e32 v150, v4, v3
	scratch_load_b32 v4, off, off offset:1288 ; 4-byte Folded Reload
	v_and_b32_e32 v3, 0xffff0000, v104
	s_wait_loadcnt 0x0
	s_delay_alu instid0(VALU_DEP_1) | instskip(SKIP_3) | instid1(VALU_DEP_1)
	v_fmac_f32_e32 v94, v4, v3
	scratch_load_b32 v4, off, off offset:1292 ; 4-byte Folded Reload
	v_and_b32_e32 v3, 0xffff0000, v107
	s_wait_loadcnt 0x0
	v_fmac_f32_e32 v79, v4, v3
	scratch_load_b32 v4, off, off offset:1296 ; 4-byte Folded Reload
	v_and_b32_e32 v3, 0xffff0000, v109
	s_wait_loadcnt 0x0
	s_delay_alu instid0(VALU_DEP_1) | instskip(SKIP_3) | instid1(VALU_DEP_1)
	v_fmac_f32_e32 v80, v4, v3
	scratch_load_b32 v4, off, off offset:1300 ; 4-byte Folded Reload
	v_and_b32_e32 v3, 0xffff0000, v111
	s_wait_loadcnt 0x0
	v_fmac_f32_e32 v68, v4, v3
	scratch_load_b32 v4, off, off offset:1304 ; 4-byte Folded Reload
	v_and_b32_e32 v3, 0xffff0000, v112
	s_wait_loadcnt 0x0
	s_delay_alu instid0(VALU_DEP_1) | instskip(SKIP_3) | instid1(VALU_DEP_1)
	v_fmac_f32_e32 v85, v4, v3
	scratch_load_b32 v4, off, off offset:1308 ; 4-byte Folded Reload
	v_and_b32_e32 v3, 0xffff0000, v30
	s_wait_loadcnt 0x0
	v_fmac_f32_e32 v84, v4, v3
	scratch_load_b32 v4, off, off offset:1312 ; 4-byte Folded Reload
	v_and_b32_e32 v3, 0xffff0000, v114
	s_wait_loadcnt 0x0
	s_delay_alu instid0(VALU_DEP_1) | instskip(SKIP_3) | instid1(VALU_DEP_1)
	v_fmac_f32_e32 v70, v4, v3
	scratch_load_b32 v4, off, off offset:1316 ; 4-byte Folded Reload
	v_and_b32_e32 v3, 0xffff0000, v18
	s_wait_loadcnt 0x0
	v_fmac_f32_e32 v150, v4, v3
	scratch_load_b32 v4, off, off offset:1320 ; 4-byte Folded Reload
	v_and_b32_e32 v3, 0xffff0000, v116
	s_wait_loadcnt 0x0
	s_delay_alu instid0(VALU_DEP_1) | instskip(SKIP_3) | instid1(VALU_DEP_1)
	v_fmac_f32_e32 v94, v4, v3
	scratch_load_b32 v4, off, off offset:1324 ; 4-byte Folded Reload
	v_and_b32_e32 v3, 0xffff0000, v117
	s_wait_loadcnt 0x0
	v_fmac_f32_e32 v79, v4, v3
	scratch_load_b32 v4, off, off offset:1328 ; 4-byte Folded Reload
	v_and_b32_e32 v3, 0xffff0000, v118
	s_wait_loadcnt 0x0
	s_delay_alu instid0(VALU_DEP_1) | instskip(SKIP_3) | instid1(VALU_DEP_1)
	v_fmac_f32_e32 v80, v4, v3
	scratch_load_b32 v4, off, off offset:1332 ; 4-byte Folded Reload
	v_and_b32_e32 v3, 0xffff0000, v119
	s_wait_loadcnt 0x0
	v_fmac_f32_e32 v68, v4, v3
	scratch_load_b32 v4, off, off offset:1336 ; 4-byte Folded Reload
	v_and_b32_e32 v3, 0xffff0000, v121
	s_wait_loadcnt 0x0
	s_delay_alu instid0(VALU_DEP_1) | instskip(SKIP_3) | instid1(VALU_DEP_1)
	v_fmac_f32_e32 v85, v4, v3
	scratch_load_b32 v4, off, off offset:1340 ; 4-byte Folded Reload
	v_and_b32_e32 v3, 0xffff0000, v123
	s_wait_loadcnt 0x0
	v_fmac_f32_e32 v84, v4, v3
	scratch_load_b32 v4, off, off offset:1344 ; 4-byte Folded Reload
	v_and_b32_e32 v3, 0xffff0000, v125
	s_wait_loadcnt 0x0
	s_delay_alu instid0(VALU_DEP_1) | instskip(SKIP_3) | instid1(VALU_DEP_1)
	v_fmac_f32_e32 v70, v4, v3
	scratch_load_b32 v4, off, off offset:1348 ; 4-byte Folded Reload
	v_and_b32_e32 v3, 0xffff0000, v127
	s_wait_loadcnt 0x0
	v_fmac_f32_e32 v150, v4, v3
	scratch_load_b32 v4, off, off offset:1352 ; 4-byte Folded Reload
	v_and_b32_e32 v3, 0xffff0000, v128
	s_wait_loadcnt 0x0
	s_delay_alu instid0(VALU_DEP_1) | instskip(SKIP_3) | instid1(VALU_DEP_1)
	v_fmac_f32_e32 v94, v4, v3
	scratch_load_b32 v4, off, off offset:1356 ; 4-byte Folded Reload
	v_and_b32_e32 v3, 0xffff0000, v129
	s_wait_loadcnt 0x0
	v_fmac_f32_e32 v79, v4, v3
	scratch_load_b32 v4, off, off offset:1360 ; 4-byte Folded Reload
	v_and_b32_e32 v3, 0xffff0000, v131
	s_wait_loadcnt 0x0
	s_delay_alu instid0(VALU_DEP_1) | instskip(SKIP_3) | instid1(VALU_DEP_1)
	v_fmac_f32_e32 v80, v4, v3
	scratch_load_b32 v4, off, off offset:1364 ; 4-byte Folded Reload
	v_and_b32_e32 v3, 0xffff0000, v132
	s_wait_loadcnt 0x0
	v_fmac_f32_e32 v68, v4, v3
	scratch_load_b32 v4, off, off offset:1368 ; 4-byte Folded Reload
	v_and_b32_e32 v3, 0xffff0000, v133
	s_wait_loadcnt 0x0
	s_delay_alu instid0(VALU_DEP_1) | instskip(SKIP_3) | instid1(VALU_DEP_1)
	v_fmac_f32_e32 v85, v4, v3
	scratch_load_b32 v4, off, off offset:1372 ; 4-byte Folded Reload
	v_and_b32_e32 v3, 0xffff0000, v134
	s_wait_loadcnt 0x0
	v_fmac_f32_e32 v84, v4, v3
	scratch_load_b32 v4, off, off offset:1376 ; 4-byte Folded Reload
	v_and_b32_e32 v3, 0xffff0000, v135
	s_wait_loadcnt 0x0
	s_delay_alu instid0(VALU_DEP_1) | instskip(SKIP_3) | instid1(VALU_DEP_1)
	v_fmac_f32_e32 v70, v4, v3
	scratch_load_b32 v4, off, off offset:1380 ; 4-byte Folded Reload
	v_and_b32_e32 v3, 0xffff0000, v136
	s_wait_loadcnt 0x0
	v_fmac_f32_e32 v150, v4, v3
	scratch_load_b32 v4, off, off offset:1384 ; 4-byte Folded Reload
	v_and_b32_e32 v3, 0xffff0000, v137
	s_wait_loadcnt 0x0
	s_delay_alu instid0(VALU_DEP_1) | instskip(SKIP_3) | instid1(VALU_DEP_1)
	v_fmac_f32_e32 v94, v4, v3
	scratch_load_b32 v4, off, off offset:1388 ; 4-byte Folded Reload
	v_and_b32_e32 v3, 0xffff0000, v138
	s_wait_loadcnt 0x0
	v_fmac_f32_e32 v79, v4, v3
	scratch_load_b32 v4, off, off offset:1392 ; 4-byte Folded Reload
	v_and_b32_e32 v3, 0xffff0000, v139
	s_wait_loadcnt 0x0
	s_delay_alu instid0(VALU_DEP_1) | instskip(SKIP_3) | instid1(VALU_DEP_1)
	v_fmac_f32_e32 v80, v4, v3
	scratch_load_b32 v4, off, off offset:1396 ; 4-byte Folded Reload
	v_and_b32_e32 v3, 0xffff0000, v140
	s_wait_loadcnt 0x0
	v_fmac_f32_e32 v68, v4, v3
	scratch_load_b32 v4, off, off offset:1400 ; 4-byte Folded Reload
	v_and_b32_e32 v3, 0xffff0000, v141
	s_wait_loadcnt 0x0
	s_delay_alu instid0(VALU_DEP_1) | instskip(SKIP_3) | instid1(VALU_DEP_1)
	v_fmac_f32_e32 v85, v4, v3
	scratch_load_b32 v4, off, off offset:1404 ; 4-byte Folded Reload
	v_and_b32_e32 v3, 0xffff0000, v142
	s_wait_loadcnt 0x0
	v_fmac_f32_e32 v84, v4, v3
	scratch_load_b32 v4, off, off offset:1408 ; 4-byte Folded Reload
	v_and_b32_e32 v3, 0xffff0000, v143
	s_wait_loadcnt 0x0
	s_delay_alu instid0(VALU_DEP_1) | instskip(SKIP_3) | instid1(VALU_DEP_1)
	v_fmac_f32_e32 v70, v4, v3
	scratch_load_b32 v4, off, off offset:1412 ; 4-byte Folded Reload
	v_and_b32_e32 v3, 0xffff0000, v144
	s_wait_loadcnt 0x0
	v_fmac_f32_e32 v150, v4, v3
	scratch_load_b32 v4, off, off offset:1416 ; 4-byte Folded Reload
	v_and_b32_e32 v3, 0xffff0000, v145
	s_wait_loadcnt 0x0
	s_delay_alu instid0(VALU_DEP_1) | instskip(SKIP_3) | instid1(VALU_DEP_1)
	v_fmac_f32_e32 v94, v4, v3
	scratch_load_b32 v4, off, off offset:1420 ; 4-byte Folded Reload
	v_and_b32_e32 v3, 0xffff0000, v146
	s_wait_loadcnt 0x0
	v_fmac_f32_e32 v79, v4, v3
	scratch_load_b32 v4, off, off offset:1424 ; 4-byte Folded Reload
	v_and_b32_e32 v3, 0xffff0000, v147
	s_wait_loadcnt 0x0
	s_delay_alu instid0(VALU_DEP_1) | instskip(SKIP_3) | instid1(VALU_DEP_1)
	v_fmac_f32_e32 v80, v3, v4
	scratch_load_b32 v4, off, off offset:1428 ; 4-byte Folded Reload
	v_and_b32_e32 v3, 0xffff0000, v148
	s_wait_loadcnt 0x0
	v_fmac_f32_e32 v68, v3, v4
	scratch_load_b32 v4, off, off offset:1432 ; 4-byte Folded Reload
	v_and_b32_e32 v3, 0xffff0000, v149
	s_wait_loadcnt 0x0
	s_delay_alu instid0(VALU_DEP_1) | instskip(SKIP_3) | instid1(VALU_DEP_1)
	v_fmac_f32_e32 v85, v3, v4
	scratch_load_b32 v4, off, off offset:1436 ; 4-byte Folded Reload
	v_and_b32_e32 v3, 0xffff0000, v151
	s_wait_loadcnt 0x0
	v_fmac_f32_e32 v84, v3, v4
	scratch_load_b32 v4, off, off offset:1440 ; 4-byte Folded Reload
	v_and_b32_e32 v3, 0xffff0000, v152
	s_wait_loadcnt 0x0
	s_delay_alu instid0(VALU_DEP_1) | instskip(SKIP_3) | instid1(VALU_DEP_1)
	v_fmac_f32_e32 v70, v3, v4
	scratch_load_b32 v4, off, off offset:1444 ; 4-byte Folded Reload
	v_and_b32_e32 v3, 0xffff0000, v153
	s_wait_loadcnt 0x0
	v_fmac_f32_e32 v150, v3, v4
	scratch_load_b32 v4, off, off offset:1448 ; 4-byte Folded Reload
	v_and_b32_e32 v3, 0xffff0000, v154
	s_wait_loadcnt 0x0
	s_delay_alu instid0(VALU_DEP_1) | instskip(SKIP_3) | instid1(VALU_DEP_1)
	v_fmac_f32_e32 v94, v3, v4
	scratch_load_b32 v4, off, off offset:1452 ; 4-byte Folded Reload
	v_and_b32_e32 v3, 0xffff0000, v155
	s_wait_loadcnt 0x0
	v_fmac_f32_e32 v79, v3, v4
	scratch_load_b32 v4, off, off offset:1456 ; 4-byte Folded Reload
	v_and_b32_e32 v3, 0xffff0000, v156
	s_wait_loadcnt 0x0
	s_delay_alu instid0(VALU_DEP_1) | instskip(SKIP_3) | instid1(VALU_DEP_1)
	v_fmac_f32_e32 v80, v3, v4
	scratch_load_b32 v4, off, off offset:1460 ; 4-byte Folded Reload
	v_and_b32_e32 v3, 0xffff0000, v157
	s_wait_loadcnt 0x0
	v_fmac_f32_e32 v68, v3, v4
	scratch_load_b32 v4, off, off offset:1464 ; 4-byte Folded Reload
	v_and_b32_e32 v3, 0xffff0000, v158
	s_wait_loadcnt 0x0
	s_delay_alu instid0(VALU_DEP_1) | instskip(SKIP_3) | instid1(VALU_DEP_1)
	v_fmac_f32_e32 v85, v3, v4
	scratch_load_b32 v4, off, off offset:1468 ; 4-byte Folded Reload
	v_and_b32_e32 v3, 0xffff0000, v160
	s_wait_loadcnt 0x0
	v_fmac_f32_e32 v84, v3, v4
	scratch_load_b32 v4, off, off offset:1472 ; 4-byte Folded Reload
	v_and_b32_e32 v3, 0xffff0000, v162
	s_wait_loadcnt 0x0
	s_delay_alu instid0(VALU_DEP_1) | instskip(SKIP_3) | instid1(VALU_DEP_1)
	v_fmac_f32_e32 v70, v3, v4
	scratch_load_b32 v4, off, off offset:1476 ; 4-byte Folded Reload
	v_and_b32_e32 v3, 0xffff0000, v163
	s_wait_loadcnt 0x0
	v_fmac_f32_e32 v150, v3, v4
	scratch_load_b32 v4, off, off offset:1480 ; 4-byte Folded Reload
	v_and_b32_e32 v3, 0xffff0000, v165
	s_wait_loadcnt 0x0
	s_delay_alu instid0(VALU_DEP_1) | instskip(SKIP_3) | instid1(VALU_DEP_1)
	v_fmac_f32_e32 v94, v3, v4
	scratch_load_b32 v4, off, off offset:1484 ; 4-byte Folded Reload
	v_and_b32_e32 v3, 0xffff0000, v167
	s_wait_loadcnt 0x0
	v_fmac_f32_e32 v79, v3, v4
	scratch_load_b32 v4, off, off offset:1488 ; 4-byte Folded Reload
	v_and_b32_e32 v3, 0xffff0000, v169
	s_wait_loadcnt 0x0
	s_delay_alu instid0(VALU_DEP_1) | instskip(SKIP_3) | instid1(VALU_DEP_1)
	v_fmac_f32_e32 v80, v3, v4
	scratch_load_b32 v4, off, off offset:1492 ; 4-byte Folded Reload
	v_and_b32_e32 v3, 0xffff0000, v170
	s_wait_loadcnt 0x0
	v_fmac_f32_e32 v68, v3, v4
	scratch_load_b32 v4, off, off offset:1496 ; 4-byte Folded Reload
	v_and_b32_e32 v3, 0xffff0000, v172
	s_wait_loadcnt 0x0
	s_delay_alu instid0(VALU_DEP_1) | instskip(SKIP_3) | instid1(VALU_DEP_1)
	v_fmac_f32_e32 v85, v3, v4
	scratch_load_b32 v4, off, off offset:1500 ; 4-byte Folded Reload
	v_and_b32_e32 v3, 0xffff0000, v173
	s_wait_loadcnt 0x0
	v_fmac_f32_e32 v84, v3, v4
	scratch_load_b32 v4, off, off offset:1504 ; 4-byte Folded Reload
	v_and_b32_e32 v3, 0xffff0000, v176
	s_wait_loadcnt 0x0
	s_delay_alu instid0(VALU_DEP_1) | instskip(SKIP_3) | instid1(VALU_DEP_1)
	v_fmac_f32_e32 v70, v3, v4
	scratch_load_b32 v4, off, off offset:1508 ; 4-byte Folded Reload
	v_and_b32_e32 v3, 0xffff0000, v178
	s_wait_loadcnt 0x0
	v_fmac_f32_e32 v150, v3, v4
	scratch_load_b32 v4, off, off offset:1512 ; 4-byte Folded Reload
	v_and_b32_e32 v3, 0xffff0000, v182
	s_wait_loadcnt 0x0
	s_delay_alu instid0(VALU_DEP_1) | instskip(SKIP_3) | instid1(VALU_DEP_1)
	v_fmac_f32_e32 v94, v3, v4
	scratch_load_b32 v4, off, off offset:1516 ; 4-byte Folded Reload
	v_and_b32_e32 v3, 0xffff0000, v184
	s_wait_loadcnt 0x0
	v_fmac_f32_e32 v79, v3, v4
	scratch_load_b32 v4, off, off offset:1520 ; 4-byte Folded Reload
	v_and_b32_e32 v3, 0xffff0000, v187
	s_wait_loadcnt 0x0
	s_delay_alu instid0(VALU_DEP_1) | instskip(SKIP_3) | instid1(VALU_DEP_1)
	v_fmac_f32_e32 v80, v3, v4
	scratch_load_b32 v4, off, off offset:1524 ; 4-byte Folded Reload
	v_and_b32_e32 v3, 0xffff0000, v189
	s_wait_loadcnt 0x0
	v_fmac_f32_e32 v68, v3, v4
	scratch_load_b32 v4, off, off offset:1528 ; 4-byte Folded Reload
	v_and_b32_e32 v3, 0xffff0000, v191
	s_wait_loadcnt 0x0
	s_delay_alu instid0(VALU_DEP_1) | instskip(SKIP_3) | instid1(VALU_DEP_1)
	v_fmac_f32_e32 v85, v3, v4
	scratch_load_b32 v4, off, off offset:1532 ; 4-byte Folded Reload
	v_and_b32_e32 v3, 0xffff0000, v17
	s_wait_loadcnt 0x0
	v_fmac_f32_e32 v84, v3, v4
	scratch_load_b32 v4, off, off offset:1536 ; 4-byte Folded Reload
	v_and_b32_e32 v3, 0xffff0000, v65
	s_wait_loadcnt 0x0
	s_delay_alu instid0(VALU_DEP_1) | instskip(SKIP_3) | instid1(VALU_DEP_1)
	v_fmac_f32_e32 v70, v3, v4
	scratch_load_b32 v4, off, off offset:1540 ; 4-byte Folded Reload
	v_and_b32_e32 v3, 0xffff0000, v31
	s_wait_loadcnt 0x0
	v_fmac_f32_e32 v150, v3, v4
	scratch_load_b32 v4, off, off offset:1544 ; 4-byte Folded Reload
	v_and_b32_e32 v3, 0xffff0000, v32
	s_wait_loadcnt 0x0
	s_delay_alu instid0(VALU_DEP_1) | instskip(SKIP_3) | instid1(VALU_DEP_1)
	v_fmac_f32_e32 v94, v3, v4
	scratch_load_b32 v4, off, off offset:1548 ; 4-byte Folded Reload
	v_and_b32_e32 v3, 0xffff0000, v33
	s_wait_loadcnt 0x0
	v_fmac_f32_e32 v79, v3, v4
	scratch_load_b32 v4, off, off offset:1552 ; 4-byte Folded Reload
	v_and_b32_e32 v3, 0xffff0000, v16
	s_wait_loadcnt 0x0
	s_delay_alu instid0(VALU_DEP_1) | instskip(SKIP_3) | instid1(VALU_DEP_1)
	v_fmac_f32_e32 v80, v3, v4
	scratch_load_b32 v4, off, off offset:1556 ; 4-byte Folded Reload
	v_and_b32_e32 v3, 0xffff0000, v15
	s_wait_loadcnt 0x0
	v_fmac_f32_e32 v68, v3, v4
	scratch_load_b32 v4, off, off offset:1560 ; 4-byte Folded Reload
	v_and_b32_e32 v3, 0xffff0000, v14
	s_wait_loadcnt 0x0
	s_delay_alu instid0(VALU_DEP_1) | instskip(SKIP_3) | instid1(VALU_DEP_1)
	v_fmac_f32_e32 v85, v3, v4
	scratch_load_b32 v4, off, off offset:1564 ; 4-byte Folded Reload
	v_and_b32_e32 v3, 0xffff0000, v13
	s_wait_loadcnt 0x0
	v_fmac_f32_e32 v84, v3, v4
	scratch_load_b32 v4, off, off offset:1568 ; 4-byte Folded Reload
	v_and_b32_e32 v3, 0xffff0000, v12
	s_wait_loadcnt 0x0
	s_delay_alu instid0(VALU_DEP_1) | instskip(SKIP_3) | instid1(VALU_DEP_1)
	v_fmac_f32_e32 v70, v3, v4
	scratch_load_b32 v4, off, off offset:1572 ; 4-byte Folded Reload
	v_and_b32_e32 v3, 0xffff0000, v11
	s_wait_loadcnt 0x0
	v_fmac_f32_e32 v150, v3, v4
	scratch_load_b32 v4, off, off offset:1576 ; 4-byte Folded Reload
	v_and_b32_e32 v3, 0xffff0000, v10
	s_wait_loadcnt 0x0
	s_delay_alu instid0(VALU_DEP_1) | instskip(SKIP_3) | instid1(VALU_DEP_1)
	v_fmac_f32_e32 v94, v3, v4
	scratch_load_b32 v4, off, off offset:1580 ; 4-byte Folded Reload
	v_and_b32_e32 v3, 0xffff0000, v9
	s_wait_loadcnt 0x0
	v_fmac_f32_e32 v79, v3, v4
	scratch_load_b32 v4, off, off offset:1584 ; 4-byte Folded Reload
	v_and_b32_e32 v3, 0xffff0000, v8
	s_wait_loadcnt 0x0
	s_delay_alu instid0(VALU_DEP_1) | instskip(SKIP_3) | instid1(VALU_DEP_1)
	v_fmac_f32_e32 v80, v3, v4
	scratch_load_b32 v4, off, off offset:1588 ; 4-byte Folded Reload
	v_and_b32_e32 v3, 0xffff0000, v7
	s_wait_loadcnt 0x0
	v_fmac_f32_e32 v68, v3, v4
	scratch_load_b32 v4, off, off offset:1592 ; 4-byte Folded Reload
	v_and_b32_e32 v3, 0xffff0000, v6
	s_wait_loadcnt 0x0
	s_delay_alu instid0(VALU_DEP_1) | instskip(SKIP_3) | instid1(VALU_DEP_1)
	v_fmac_f32_e32 v85, v3, v4
	scratch_load_b32 v4, off, off offset:1596 ; 4-byte Folded Reload
	v_and_b32_e32 v3, 0xffff0000, v5
	s_wait_loadcnt 0x0
	v_fmac_f32_e32 v84, v3, v4
	s_clause 0x1
	scratch_load_b32 v4, off, off th:TH_LOAD_LU
	scratch_load_b32 v3, off, off offset:1600
	s_wait_loadcnt 0x0
	v_fmac_f32_e32 v70, v2, v3
	scratch_load_b32 v2, off, off offset:1604 ; 4-byte Folded Reload
	s_wait_loadcnt 0x0
	v_fmac_f32_e32 v150, v1, v2
	s_clause 0x1
	scratch_load_b32 v1, off, off offset:1608
	scratch_load_b32 v2, off, off offset:1640
	s_wait_loadcnt 0x1
	v_fmac_f32_e32 v94, v0, v1
	scratch_load_b32 v1, off, off offset:1612 ; 4-byte Folded Reload
	v_and_b32_e32 v0, 0xffff0000, v81
	s_wait_loadcnt 0x0
	s_delay_alu instid0(VALU_DEP_1) | instskip(SKIP_3) | instid1(VALU_DEP_1)
	v_fmac_f32_e32 v79, v0, v1
	scratch_load_b32 v1, off, off offset:1616 ; 4-byte Folded Reload
	v_and_b32_e32 v0, 0xffff0000, v41
	s_wait_loadcnt 0x0
	v_fmac_f32_e32 v80, v0, v1
	scratch_load_b32 v1, off, off offset:1620 ; 4-byte Folded Reload
	v_and_b32_e32 v0, 0xffff0000, v47
	s_wait_loadcnt 0x0
	s_delay_alu instid0(VALU_DEP_1) | instskip(SKIP_3) | instid1(VALU_DEP_1)
	v_fmac_f32_e32 v68, v0, v1
	scratch_load_b32 v1, off, off offset:1624 ; 4-byte Folded Reload
	v_and_b32_e32 v0, 0xffff0000, v50
	;; [unrolled: 9-line block ×3, first 2 shown]
	s_wait_loadcnt 0x0
	v_fmac_f32_e32 v70, v0, v1
	scratch_load_b32 v1, off, off offset:1636 ; 4-byte Folded Reload
	v_and_b32_e32 v0, 0xffff0000, v56
	s_wait_loadcnt 0x0
	s_delay_alu instid0(VALU_DEP_1) | instskip(SKIP_1) | instid1(VALU_DEP_2)
	v_dual_fmac_f32 v150, v0, v1 :: v_dual_and_b32 v1, 0xffff0000, v34
	v_add_f32_e32 v0, v84, v70
	v_fmac_f32_e32 v94, v1, v2
	scratch_load_b32 v2, off, off offset:1644 ; 4-byte Folded Reload
	v_and_b32_e32 v1, 0xffff0000, v54
	v_add_f32_e32 v0, v0, v150
	s_wait_loadcnt 0x0
	s_delay_alu instid0(VALU_DEP_1) | instskip(SKIP_3) | instid1(VALU_DEP_1)
	v_dual_add_f32 v0, v94, v0 :: v_dual_fmac_f32 v79, v1, v2
	scratch_load_b32 v2, off, off offset:1648 ; 4-byte Folded Reload
	v_dual_add_f32 v0, v79, v0 :: v_dual_and_b32 v1, 0xffff0000, v61
	s_wait_loadcnt 0x0
	v_fmac_f32_e32 v80, v1, v2
	scratch_load_b32 v2, off, off offset:1652 ; 4-byte Folded Reload
	v_dual_add_f32 v0, v80, v0 :: v_dual_and_b32 v1, 0xffff0000, v66
	s_wait_loadcnt 0x0
	s_delay_alu instid0(VALU_DEP_1) | instskip(SKIP_3) | instid1(VALU_DEP_1)
	v_fmac_f32_e32 v68, v1, v2
	scratch_load_b32 v2, off, off offset:1656 ; 4-byte Folded Reload
	v_dual_add_f32 v0, v68, v0 :: v_dual_and_b32 v1, 0xffff0000, v25
	s_wait_loadcnt 0x0
	v_fmac_f32_e32 v85, v1, v2
	scratch_load_b32 v1, off, off offset:1668 ; 4-byte Folded Reload
	v_add_f32_e32 v0, v85, v0
	s_wait_loadcnt 0x0
	v_add_nc_u32_e32 v1, v1, v82
	s_delay_alu instid0(VALU_DEP_1) | instskip(NEXT) | instid1(VALU_DEP_1)
	v_cvt_f32_i32_e32 v1, v1
	v_mul_f32_e32 v1, s34, v1
	s_delay_alu instid0(VALU_DEP_1) | instskip(NEXT) | instid1(VALU_DEP_1)
	v_cndmask_b32_e32 v1, 0, v1, vcc_lo
	v_fmac_f32_e32 v1, s17, v0
	scratch_load_b32 v0, off, off offset:628 ; 4-byte Folded Reload
	s_wait_loadcnt 0x0
	v_add_nc_u32_e32 v0, v0, v82
	s_delay_alu instid0(VALU_DEP_1) | instskip(SKIP_1) | instid1(VALU_DEP_1)
	v_cmp_gt_i32_e64 s4, s7, v0
	v_max_num_f32_e32 v0, v4, v4
	v_max_num_f32_e32 v0, v0, v1
	s_wait_alu 0xf1ff
	s_delay_alu instid0(VALU_DEP_3) | instskip(NEXT) | instid1(VALU_DEP_2)
	v_cndmask_b32_e64 v1, 0, v1, s4
	v_cndmask_b32_e64 v4, v4, v0, s4
	ds_store_b32 v90, v1
	s_branch .LBB357_11
.LBB357_16:
	s_or_b32 exec_lo, exec_lo, s23
	scratch_load_b32 v17, off, off offset:1684 ; 4-byte Folded Reload
.LBB357_17:
	s_or_b32 exec_lo, exec_lo, s16
	v_mbcnt_lo_u32_b32 v0, -1, 0
	s_clause 0x2
	s_load_b128 s[16:19], s[0:1], 0x0
	s_load_b64 s[8:9], s[0:1], 0x10
	s_load_b64 s[34:35], s[0:1], 0x28
	v_xor_b32_e32 v1, 16, v0
	v_xor_b32_e32 v3, 8, v0
	s_delay_alu instid0(VALU_DEP_2) | instskip(SKIP_2) | instid1(VALU_DEP_3)
	v_cmp_gt_i32_e32 vcc_lo, 32, v1
	s_wait_alu 0xfffd
	v_cndmask_b32_e32 v1, v0, v1, vcc_lo
	v_cmp_gt_i32_e32 vcc_lo, 32, v3
	s_delay_alu instid0(VALU_DEP_2)
	v_lshlrev_b32_e32 v1, 2, v1
	s_wait_alu 0xfffd
	v_cndmask_b32_e32 v3, v0, v3, vcc_lo
	ds_bpermute_b32 v2, v1, v4
	s_wait_dscnt 0x0
	v_dual_max_num_f32 v4, v4, v4 :: v_dual_max_num_f32 v5, v2, v2
	s_delay_alu instid0(VALU_DEP_1)
	v_dual_max_num_f32 v3, v4, v5 :: v_dual_lshlrev_b32 v2, 2, v3
	v_xor_b32_e32 v5, 4, v0
	ds_bpermute_b32 v4, v2, v3
	v_cmp_gt_i32_e32 vcc_lo, 32, v5
	s_wait_alu 0xfffd
	v_cndmask_b32_e32 v5, v0, v5, vcc_lo
	s_wait_dscnt 0x0
	v_max_num_f32_e32 v6, v4, v4
	s_delay_alu instid0(VALU_DEP_1)
	v_dual_max_num_f32 v3, v3, v6 :: v_dual_lshlrev_b32 v4, 2, v5
	v_xor_b32_e32 v6, 2, v0
	ds_bpermute_b32 v5, v4, v3
	v_cmp_gt_i32_e32 vcc_lo, 32, v6
	s_wait_dscnt 0x0
	s_wait_alu 0xfffd
	v_dual_cndmask_b32 v6, v0, v6 :: v_dual_max_num_f32 v5, v5, v5
	s_delay_alu instid0(VALU_DEP_1) | instskip(SKIP_1) | instid1(VALU_DEP_1)
	v_lshlrev_b32_e32 v120, 2, v6
	v_xor_b32_e32 v6, 1, v0
	v_cmp_gt_i32_e32 vcc_lo, 32, v6
	s_wait_alu 0xfffd
	v_dual_max_num_f32 v3, v3, v5 :: v_dual_cndmask_b32 v6, v0, v6
	ds_bpermute_b32 v5, v120, v3
	v_lshlrev_b32_e32 v19, 2, v6
	s_wait_dscnt 0x0
	v_max_num_f32_e32 v5, v5, v5
	s_delay_alu instid0(VALU_DEP_1)
	v_max_num_f32_e32 v0, v3, v5
	scratch_load_b32 v5, off, off offset:628 ; 4-byte Folded Reload
	ds_bpermute_b32 v3, v19, v0
	s_wait_loadcnt 0x0
	v_cmp_eq_u32_e32 vcc_lo, 0, v5
	scratch_load_b32 v5, off, off offset:1672 ; 4-byte Folded Reload
	s_wait_loadcnt 0x0
	v_lshlrev_b32_e32 v5, 2, v5
	s_and_saveexec_b32 s0, vcc_lo
	s_cbranch_execz .LBB357_19
; %bb.18:
	s_wait_dscnt 0x0
	v_dual_max_num_f32 v3, v3, v3 :: v_dual_max_num_f32 v0, v0, v0
	s_delay_alu instid0(VALU_DEP_1)
	v_max_num_f32_e32 v0, v0, v3
	ds_store_b32 v5, v0 offset:512
.LBB357_19:
	s_or_b32 exec_lo, exec_lo, s0
	scratch_load_b32 v0, off, off offset:628 ; 4-byte Folded Reload
	s_wait_storecnt 0x0
	s_wait_loadcnt_dscnt 0x0
	s_barrier_signal -1
	s_barrier_wait -1
	global_inv scope:SCOPE_SE
	v_cmp_gt_u32_e64 s0, 4, v0
	v_mov_b32_e32 v0, 0xff7fffff
	s_and_saveexec_b32 s1, s0
; %bb.20:
	ds_load_b32 v0, v17 offset:512
; %bb.21:
	s_or_b32 exec_lo, exec_lo, s1
	s_wait_dscnt 0x0
	ds_bpermute_b32 v3, v120, v0
	v_max_num_f32_e32 v0, v0, v0
	s_sub_co_i32 s1, s36, s40
	v_mov_b32_e32 v6, 0
	s_lshl_b32 s1, s1, 5
	s_delay_alu instid0(SALU_CYCLE_1) | instskip(NEXT) | instid1(SALU_CYCLE_1)
	s_add_co_i32 s1, s1, s6
	s_min_i32 s1, s1, s7
	s_delay_alu instid0(SALU_CYCLE_1) | instskip(SKIP_2) | instid1(VALU_DEP_1)
	s_sub_co_i32 s5, s1, s6
	s_wait_dscnt 0x0
	v_max_num_f32_e32 v3, v3, v3
	v_max_num_f32_e32 v0, v0, v3
	ds_bpermute_b32 v3, v19, v0
	s_wait_dscnt 0x0
	v_max_num_f32_e32 v3, v3, v3
	s_delay_alu instid0(VALU_DEP_1)
	v_max_num_f32_e32 v0, v0, v3
	scratch_load_b32 v3, off, off offset:632 ; 4-byte Folded Reload
	ds_bpermute_b32 v0, v6, v0
	s_wait_loadcnt 0x0
	s_wait_alu 0xfffe
	v_cmp_gt_i32_e64 s1, s5, v3
	v_lshl_add_u32 v3, v3, 2, 0x220
	s_and_saveexec_b32 s23, s1
	s_cbranch_execz .LBB357_25
; %bb.22:
	scratch_load_b32 v8, off, off offset:632 ; 4-byte Folded Reload
	v_mov_b32_e32 v6, 0
	s_mov_b32 s40, 0
	s_wait_loadcnt 0x0
	v_lshl_add_u32 v7, v8, 2, 0x220
.LBB357_23:                             ; =>This Inner Loop Header: Depth=1
	ds_load_b32 v9, v7
	v_add_nc_u32_e32 v8, 0x80, v8
	s_delay_alu instid0(VALU_DEP_1) | instskip(SKIP_4) | instid1(VALU_DEP_1)
	v_cmp_le_i32_e64 s4, s5, v8
	s_wait_alu 0xfffe
	s_or_b32 s40, s4, s40
	s_wait_dscnt 0x0
	v_sub_f32_e32 v9, v9, v0
	v_mul_f32_e32 v9, 0x3fb8aa3b, v9
	s_delay_alu instid0(VALU_DEP_1)
	v_exp_f32_e32 v9, v9
	ds_store_b32 v7, v9
	v_dual_add_f32 v6, v6, v9 :: v_dual_add_nc_u32 v7, 0x200, v7
	s_wait_alu 0xfffe
	s_and_not1_b32 exec_lo, exec_lo, s40
	s_cbranch_execnz .LBB357_23
; %bb.24:
	s_or_b32 exec_lo, exec_lo, s40
.LBB357_25:
	s_delay_alu instid0(SALU_CYCLE_1)
	s_or_b32 exec_lo, exec_lo, s23
	ds_bpermute_b32 v1, v1, v6
	s_wait_dscnt 0x0
	v_add_f32_e32 v1, v6, v1
	ds_bpermute_b32 v2, v2, v1
	s_wait_dscnt 0x0
	v_add_f32_e32 v1, v1, v2
	;; [unrolled: 3-line block ×5, first 2 shown]
	s_and_saveexec_b32 s4, vcc_lo
; %bb.26:
	ds_store_b32 v5, v1 offset:528
; %bb.27:
	s_wait_alu 0xfffe
	s_or_b32 exec_lo, exec_lo, s4
	s_wait_dscnt 0x0
	s_barrier_signal -1
	s_barrier_wait -1
	global_inv scope:SCOPE_SE
	s_and_saveexec_b32 s4, s0
; %bb.28:
	ds_load_b32 v1, v17 offset:528
; %bb.29:
	s_wait_alu 0xfffe
	s_or_b32 exec_lo, exec_lo, s4
	s_wait_dscnt 0x0
	ds_bpermute_b32 v2, v120, v1
	s_wait_dscnt 0x0
	v_add_f32_e32 v1, v1, v2
	ds_bpermute_b32 v2, v19, v1
	s_wait_dscnt 0x0
	v_dual_add_f32 v1, v1, v2 :: v_dual_mov_b32 v2, 0
	ds_bpermute_b32 v1, v2, v1
	s_and_saveexec_b32 s0, s1
	s_cbranch_execz .LBB357_32
; %bb.30:
	s_wait_dscnt 0x0
	v_add_f32_e32 v2, 0x358637bd, v1
	s_mov_b32 s1, 0
	s_delay_alu instid0(VALU_DEP_1) | instskip(SKIP_1) | instid1(VALU_DEP_2)
	v_div_scale_f32 v4, null, v2, v2, 1.0
	v_div_scale_f32 v7, vcc_lo, 1.0, v2, 1.0
	v_rcp_f32_e32 v5, v4
	s_delay_alu instid0(TRANS32_DEP_1) | instskip(NEXT) | instid1(VALU_DEP_1)
	v_fma_f32 v6, -v4, v5, 1.0
	v_fmac_f32_e32 v5, v6, v5
	s_delay_alu instid0(VALU_DEP_1) | instskip(NEXT) | instid1(VALU_DEP_1)
	v_mul_f32_e32 v6, v7, v5
	v_fma_f32 v8, -v4, v6, v7
	s_delay_alu instid0(VALU_DEP_1) | instskip(NEXT) | instid1(VALU_DEP_1)
	v_fmac_f32_e32 v6, v8, v5
	v_fma_f32 v4, -v4, v6, v7
	s_wait_alu 0xfffd
	s_delay_alu instid0(VALU_DEP_1) | instskip(NEXT) | instid1(VALU_DEP_1)
	v_div_fmas_f32 v4, v4, v5, v6
	v_div_fixup_f32 v2, v4, v2, 1.0
	scratch_load_b32 v4, off, off offset:632 ; 4-byte Folded Reload
.LBB357_31:                             ; =>This Inner Loop Header: Depth=1
	ds_load_b32 v5, v3
	s_wait_loadcnt_dscnt 0x0
	v_dual_mul_f32 v5, v2, v5 :: v_dual_add_nc_u32 v4, 0x80, v4
	s_delay_alu instid0(VALU_DEP_1) | instskip(SKIP_3) | instid1(SALU_CYCLE_1)
	v_cmp_le_i32_e32 vcc_lo, s5, v4
	ds_store_b32 v3, v5
	v_add_nc_u32_e32 v3, 0x200, v3
	s_or_b32 s1, vcc_lo, s1
	s_and_not1_b32 exec_lo, exec_lo, s1
	s_cbranch_execnz .LBB357_31
.LBB357_32:
	s_or_b32 exec_lo, exec_lo, s0
	s_wait_loadcnt_dscnt 0x0
	s_barrier_signal -1
	scratch_load_b32 v2, off, off offset:632 ; 4-byte Folded Reload
	s_mul_i32 s0, s20, s38
	s_barrier_wait -1
	s_mul_i32 s4, s0, s39
	s_mov_b32 s0, exec_lo
	s_wait_loadcnt 0x0
	global_inv scope:SCOPE_SE
	v_cmpx_eq_u32_e32 0, v2
	s_cbranch_execz .LBB357_34
; %bb.33:
	s_wait_alu 0xfffe
	s_ashr_i32 s5, s4, 31
	s_mul_i32 s38, s20, ttmp9
	s_lshl_b32 s1, s37, 2
	s_wait_alu 0xfffe
	s_lshl_b64 s[40:41], s[4:5], 2
	s_ashr_i32 s39, s38, 31
	v_mov_b32_e32 v2, s1
	s_wait_kmcnt 0x0
	s_wait_alu 0xfffe
	s_add_nc_u64 s[18:19], s[18:19], s[40:41]
	s_lshl_b64 s[38:39], s[38:39], 2
	s_add_nc_u64 s[16:17], s[16:17], s[40:41]
	s_wait_alu 0xfffe
	s_add_nc_u64 s[18:19], s[18:19], s[38:39]
	s_add_nc_u64 s[16:17], s[16:17], s[38:39]
	s_clause 0x1
	global_store_b32 v2, v0, s[18:19]
	global_store_b32 v2, v1, s[16:17]
.LBB357_34:
	s_or_b32 exec_lo, exec_lo, s0
	v_dual_mov_b32 v14, 0 :: v_dual_mov_b32 v33, 0
	v_dual_mov_b32 v32, 0 :: v_dual_mov_b32 v31, 0
	;; [unrolled: 1-line block ×14, first 2 shown]
	v_mov_b32_e32 v97, 0
	v_mov_b32_e32 v105, 0
	;; [unrolled: 1-line block ×4, first 2 shown]
	s_and_saveexec_b32 s1, s3
	s_cbranch_execz .LBB357_104
; %bb.35:
	scratch_load_b32 v0, off, off offset:632 ; 4-byte Folded Reload
	s_abs_i32 s3, s14
	s_wait_kmcnt 0x0
	s_add_co_i32 s17, s12, -1
	s_wait_alu 0xfffe
	s_cvt_f32_u32 s14, s3
	s_lshl_b32 s0, s6, 2
	s_sub_co_i32 s19, 0, s3
	s_wait_alu 0xfffe
	s_sub_co_i32 s18, 0x220, s0
	v_rcp_iflag_f32_e32 v1, s14
	v_dual_mov_b32 v130, 0 :: v_dual_mov_b32 v113, 0
	v_dual_mov_b32 v122, 0 :: v_dual_mov_b32 v105, 0
	;; [unrolled: 1-line block ×5, first 2 shown]
	s_delay_alu instid0(TRANS32_DEP_1)
	v_readfirstlane_b32 s12, v1
	v_dual_mov_b32 v73, 0 :: v_dual_mov_b32 v38, 0
	v_dual_mov_b32 v45, 0 :: v_dual_mov_b32 v24, 0
	s_mul_f32 s0, s12, 0x4f7ffffe
	v_dual_mov_b32 v37, 0 :: v_dual_mov_b32 v26, 0
	v_dual_mov_b32 v35, 0 :: v_dual_mov_b32 v28, 0
	s_wait_alu 0xfffe
	s_cvt_u32_f32 s0, s0
	v_dual_mov_b32 v39, 0 :: v_dual_mov_b32 v30, 0
	v_dual_mov_b32 v47, 0 :: v_dual_mov_b32 v32, 0
	s_wait_alu 0xfffe
	s_mul_i32 s19, s19, s0
	v_dual_mov_b32 v23, 0 :: v_dual_mov_b32 v14, 0
	v_mov_b32_e32 v25, 0
	v_mov_b32_e32 v27, 0
	;; [unrolled: 1-line block ×5, first 2 shown]
	s_lshl_b64 s[30:31], s[30:31], 2
	s_mov_b32 s16, s21
	s_ashr_i32 s23, s22, 31
	s_wait_alu 0xfffe
	s_mul_hi_u32 s21, s0, s19
	s_sub_co_i32 s5, s15, s13
	s_add_nc_u64 s[12:13], s[28:29], s[30:31]
	s_add_nc_u64 s[14:15], s[34:35], s[22:23]
	s_mov_b32 s19, 0
	s_add_co_i32 s21, s0, s21
	v_dual_mov_b32 v55, 0 :: v_dual_mov_b32 v40, 0
	v_mov_b32_e32 v46, 0
	s_wait_loadcnt 0x0
	v_lshlrev_b32_e32 v0, 3, v0
	s_delay_alu instid0(VALU_DEP_1)
	v_and_b32_e32 v1, 24, v0
	scratch_store_b32 off, v1, off offset:468 ; 4-byte Folded Spill
	v_and_b32_e32 v1, 0xf8, v0
	v_or_b32_e32 v0, 0x1f00, v0
	s_clause 0x1
	scratch_store_b32 off, v1, off offset:472
	scratch_store_b32 off, v0, off offset:476
	scratch_load_b64 v[0:1], off, off offset:1676 ; 8-byte Folded Reload
	s_branch .LBB357_38
.LBB357_36:                             ;   in Loop: Header=BB357_38 Depth=1
	s_wait_alu 0xfffe
	s_or_b32 exec_lo, exec_lo, s0
	s_wait_dscnt 0x1
	v_bfe_u32 v137, v5, 16, 1
	v_or_b32_e32 v138, 0x400000, v5
	v_cmp_u_f32_e32 vcc_lo, v5, v5
	v_lshlrev_b32_e32 v135, 16, v135
	v_lshlrev_b32_e32 v123, 16, v123
	v_add3_u32 v137, v137, v5, 0x7fff
	v_lshlrev_b32_e32 v127, 16, v127
	v_lshlrev_b32_e32 v15, 16, v15
	;; [unrolled: 1-line block ×4, first 2 shown]
	s_wait_alu 0xfffd
	v_cndmask_b32_e32 v5, v137, v138, vcc_lo
	v_bfe_u32 v137, v6, 16, 1
	v_or_b32_e32 v138, 0x400000, v6
	v_cmp_u_f32_e32 vcc_lo, v6, v6
	v_lshlrev_b32_e32 v28, 16, v28
	v_lshlrev_b32_e32 v116, 16, v116
	v_add3_u32 v137, v137, v6, 0x7fff
	v_lshlrev_b32_e32 v114, 16, v114
	v_lshlrev_b32_e32 v118, 16, v118
	;; [unrolled: 1-line block ×4, first 2 shown]
	s_wait_alu 0xfffd
	v_cndmask_b32_e32 v6, v137, v138, vcc_lo
	v_bfe_u32 v137, v7, 16, 1
	v_or_b32_e32 v138, 0x400000, v7
	v_cmp_u_f32_e32 vcc_lo, v7, v7
	v_lshlrev_b32_e32 v110, 16, v110
	v_lshlrev_b32_e32 v98, 16, v98
	v_add3_u32 v137, v137, v7, 0x7fff
	v_bfe_u32 v7, v8, 16, 1
	v_lshlrev_b32_e32 v100, 16, v100
	v_lshlrev_b32_e32 v102, 16, v102
	;; [unrolled: 1-line block ×3, first 2 shown]
	s_wait_alu 0xfffd
	v_cndmask_b32_e32 v137, v137, v138, vcc_lo
	v_add3_u32 v7, v7, v8, 0x7fff
	v_or_b32_e32 v138, 0x400000, v8
	v_cmp_u_f32_e32 vcc_lo, v8, v8
	s_wait_dscnt 0x0
	v_or_b32_e32 v8, 0x400000, v1
	v_lshlrev_b32_e32 v92, 16, v92
	v_lshlrev_b32_e32 v82, 16, v82
	;; [unrolled: 1-line block ×3, first 2 shown]
	s_wait_alu 0xfffd
	v_cndmask_b32_e32 v138, v7, v138, vcc_lo
	v_bfe_u32 v7, v1, 16, 1
	v_cmp_u_f32_e32 vcc_lo, v1, v1
	v_lshlrev_b32_e32 v86, 16, v86
	v_lshlrev_b32_e32 v74, 16, v74
	;; [unrolled: 1-line block ×3, first 2 shown]
	v_add3_u32 v7, v7, v1, 0x7fff
	v_lshlrev_b32_e32 v78, 16, v78
	v_lshlrev_b32_e32 v66, 16, v66
	;; [unrolled: 1-line block ×3, first 2 shown]
	s_wait_alu 0xfffd
	v_dual_cndmask_b32 v1, v7, v8 :: v_dual_lshlrev_b32 v70, 16, v70
	v_bfe_u32 v7, v2, 16, 1
	v_or_b32_e32 v8, 0x400000, v2
	v_cmp_u_f32_e32 vcc_lo, v2, v2
	v_lshlrev_b32_e32 v32, 16, v32
	v_lshlrev_b32_e32 v24, 16, v24
	v_add3_u32 v7, v7, v2, 0x7fff
	v_lshlrev_b32_e32 v0, 16, v0
	v_lshlrev_b32_e32 v18, 16, v18
	;; [unrolled: 1-line block ×4, first 2 shown]
	s_wait_alu 0xfffd
	v_cndmask_b32_e32 v2, v7, v8, vcc_lo
	v_bfe_u32 v7, v3, 16, 1
	v_or_b32_e32 v8, 0x400000, v3
	v_cmp_u_f32_e32 vcc_lo, v3, v3
	v_lshlrev_b32_e32 v16, 16, v16
	v_and_b32_e32 v2, 0xffff0000, v2
	v_add3_u32 v7, v7, v3, 0x7fff
	s_wait_alu 0xfffd
	s_delay_alu instid0(VALU_DEP_1) | instskip(SKIP_3) | instid1(VALU_DEP_3)
	v_cndmask_b32_e32 v3, v7, v8, vcc_lo
	v_bfe_u32 v7, v4, 16, 1
	v_or_b32_e32 v8, 0x400000, v4
	v_cmp_u_f32_e32 vcc_lo, v4, v4
	v_add3_u32 v7, v7, v4, 0x7fff
	s_wait_alu 0xfffd
	s_delay_alu instid0(VALU_DEP_1) | instskip(SKIP_1) | instid1(VALU_DEP_1)
	v_dual_cndmask_b32 v173, v7, v8 :: v_dual_lshlrev_b32 v4, 16, v129
	v_and_b32_e32 v7, 0xffff0000, v6
	v_mul_f32_e32 v4, v7, v4
	s_delay_alu instid0(VALU_DEP_1) | instskip(SKIP_2) | instid1(VALU_DEP_3)
	v_bfe_u32 v6, v4, 16, 1
	v_or_b32_e32 v8, 0x400000, v4
	v_cmp_u_f32_e32 vcc_lo, v4, v4
	v_add3_u32 v6, v6, v4, 0x7fff
	s_wait_alu 0xfffd
	s_delay_alu instid0(VALU_DEP_1) | instskip(SKIP_2) | instid1(VALU_DEP_2)
	v_dual_cndmask_b32 v129, v6, v8 :: v_dual_lshlrev_b32 v4, 16, v33
	v_and_b32_e32 v8, 0xffff0000, v5
	v_and_b32_e32 v3, 0xffff0000, v3
	v_dual_mul_f32 v104, v8, v104 :: v_dual_lshlrev_b32 v125, 16, v125
	s_delay_alu instid0(VALU_DEP_4) | instskip(SKIP_2) | instid1(VALU_DEP_3)
	v_mul_f32_e32 v4, v8, v4
	v_dual_mul_f32 v32, v8, v32 :: v_dual_mul_f32 v15, v7, v15
	v_dual_mul_f32 v0, v7, v0 :: v_dual_lshlrev_b32 v9, 16, v9
	v_bfe_u32 v5, v4, 16, 1
	v_or_b32_e32 v6, 0x400000, v4
	v_cmp_u_f32_e32 vcc_lo, v4, v4
	s_delay_alu instid0(VALU_DEP_3)
	v_add3_u32 v5, v5, v4, 0x7fff
	v_and_b32_e32 v4, 0xffff0000, v138
	v_lshlrev_b32_e32 v112, 16, v112
	v_and_b32_e32 v129, 0xffff0000, v129
	s_wait_alu 0xfffd
	v_cndmask_b32_e32 v33, v5, v6, vcc_lo
	s_delay_alu instid0(VALU_DEP_3) | instskip(NEXT) | instid1(VALU_DEP_2)
	v_dual_mul_f32 v112, v8, v112 :: v_dual_lshlrev_b32 v5, 16, v130
	v_and_b32_e32 v33, 0xffff0000, v33
	s_delay_alu instid0(VALU_DEP_2) | instskip(NEXT) | instid1(VALU_DEP_2)
	v_dual_mul_f32 v5, v4, v5 :: v_dual_lshlrev_b32 v134, 16, v134
	v_add_f32_e32 v33, v33, v129
	s_delay_alu instid0(VALU_DEP_2) | instskip(SKIP_3) | instid1(VALU_DEP_4)
	v_bfe_u32 v6, v5, 16, 1
	v_or_b32_e32 v130, 0x400000, v5
	v_cmp_u_f32_e32 vcc_lo, v5, v5
	v_mul_f32_e32 v134, v3, v134
	v_add3_u32 v6, v6, v5, 0x7fff
	s_wait_alu 0xfffd
	s_delay_alu instid0(VALU_DEP_1) | instskip(SKIP_1) | instid1(VALU_DEP_1)
	v_dual_cndmask_b32 v130, v6, v130 :: v_dual_lshlrev_b32 v5, 16, v132
	v_and_b32_e32 v6, 0xffff0000, v137
	v_dual_mul_f32 v5, v6, v5 :: v_dual_and_b32 v130, 0xffff0000, v130
	v_lshlrev_b32_e32 v96, 16, v96
	v_lshlrev_b32_e32 v88, 16, v88
	;; [unrolled: 1-line block ×4, first 2 shown]
	v_bfe_u32 v132, v5, 16, 1
	v_or_b32_e32 v137, 0x400000, v5
	v_cmp_u_f32_e32 vcc_lo, v5, v5
	v_mul_f32_e32 v96, v8, v96
	v_mul_f32_e32 v88, v8, v88
	v_add3_u32 v132, v132, v5, 0x7fff
	v_dual_mul_f32 v80, v8, v80 :: v_dual_lshlrev_b32 v5, 16, v133
	v_mul_f32_e32 v72, v8, v72
	v_mul_f32_e32 v14, v4, v14
	s_wait_alu 0xfffd
	v_cndmask_b32_e32 v132, v132, v137, vcc_lo
	v_mul_f32_e32 v5, v2, v5
	s_delay_alu instid0(VALU_DEP_2) | instskip(NEXT) | instid1(VALU_DEP_2)
	v_and_b32_e32 v129, 0xffff0000, v132
	v_bfe_u32 v133, v5, 16, 1
	v_or_b32_e32 v137, 0x400000, v5
	v_cmp_u_f32_e32 vcc_lo, v5, v5
	s_delay_alu instid0(VALU_DEP_4) | instskip(NEXT) | instid1(VALU_DEP_4)
	v_add_f32_e32 v129, v129, v130
	v_add3_u32 v133, v133, v5, 0x7fff
	v_and_b32_e32 v5, 0xffff0000, v1
	v_lshlrev_b32_e32 v1, 16, v131
	s_delay_alu instid0(VALU_DEP_4) | instskip(SKIP_2) | instid1(VALU_DEP_3)
	v_add_f32_e32 v33, v129, v33
	s_wait_alu 0xfffd
	v_dual_cndmask_b32 v133, v133, v137 :: v_dual_lshlrev_b32 v106, 16, v106
	v_dual_mul_f32 v1, v5, v1 :: v_dual_lshlrev_b32 v90, 16, v90
	s_delay_alu instid0(VALU_DEP_2) | instskip(NEXT) | instid1(VALU_DEP_2)
	v_and_b32_e32 v130, 0xffff0000, v133
	v_bfe_u32 v131, v1, 16, 1
	v_or_b32_e32 v137, 0x400000, v1
	v_cmp_u_f32_e32 vcc_lo, v1, v1
	s_delay_alu instid0(VALU_DEP_3) | instskip(SKIP_2) | instid1(VALU_DEP_2)
	v_add3_u32 v131, v131, v1, 0x7fff
	v_and_b32_e32 v1, 0xffff0000, v173
	s_wait_alu 0xfffd
	v_cndmask_b32_e32 v131, v131, v137, vcc_lo
	s_delay_alu instid0(VALU_DEP_2) | instskip(SKIP_2) | instid1(VALU_DEP_4)
	v_mul_f32_e32 v135, v1, v135
	v_dual_mul_f32 v114, v6, v114 :: v_dual_lshlrev_b32 v121, 16, v121
	v_mul_f32_e32 v123, v6, v123
	v_and_b32_e32 v129, 0xffff0000, v131
	s_delay_alu instid0(VALU_DEP_4)
	v_bfe_u32 v137, v135, 16, 1
	v_or_b32_e32 v138, 0x400000, v135
	v_cmp_u_f32_e32 vcc_lo, v135, v135
	v_mul_f32_e32 v121, v8, v121
	v_add_f32_e32 v129, v129, v130
	v_add3_u32 v137, v137, v135, 0x7fff
	v_mul_f32_e32 v106, v6, v106
	v_mul_f32_e32 v98, v6, v98
	s_delay_alu instid0(VALU_DEP_4)
	v_dual_mul_f32 v90, v6, v90 :: v_dual_add_f32 v33, v129, v33
	s_wait_alu 0xfffd
	v_cndmask_b32_e32 v135, v137, v138, vcc_lo
	v_bfe_u32 v137, v134, 16, 1
	v_or_b32_e32 v138, 0x400000, v134
	v_cmp_u_f32_e32 vcc_lo, v134, v134
	v_mul_f32_e32 v82, v6, v82
	v_and_b32_e32 v130, 0xffff0000, v135
	v_add3_u32 v137, v137, v134, 0x7fff
	v_mul_f32_e32 v74, v6, v74
	v_mul_f32_e32 v66, v6, v66
	;; [unrolled: 1-line block ×4, first 2 shown]
	s_wait_alu 0xfffd
	v_cndmask_b32_e32 v134, v137, v138, vcc_lo
	s_delay_alu instid0(VALU_DEP_1) | instskip(NEXT) | instid1(VALU_DEP_1)
	v_and_b32_e32 v129, 0xffff0000, v134
	v_add_f32_e32 v129, v129, v130
	scratch_load_b32 v130, off, off offset:344 th:TH_LOAD_LU ; 4-byte Folded Reload
	v_add_f32_e32 v33, v129, v33
	s_wait_loadcnt 0x0
	s_delay_alu instid0(VALU_DEP_1) | instskip(NEXT) | instid1(VALU_DEP_1)
	v_dual_add_f32 v130, v130, v33 :: v_dual_lshlrev_b32 v33, 16, v122
	v_mul_f32_e32 v33, v7, v33
	s_delay_alu instid0(VALU_DEP_1) | instskip(SKIP_2) | instid1(VALU_DEP_3)
	v_bfe_u32 v122, v33, 16, 1
	v_or_b32_e32 v129, 0x400000, v33
	v_cmp_u_f32_e32 vcc_lo, v33, v33
	v_add3_u32 v122, v122, v33, 0x7fff
	s_wait_alu 0xfffd
	s_delay_alu instid0(VALU_DEP_1) | instskip(SKIP_3) | instid1(VALU_DEP_3)
	v_cndmask_b32_e32 v33, v122, v129, vcc_lo
	v_bfe_u32 v122, v121, 16, 1
	v_or_b32_e32 v129, 0x400000, v121
	v_cmp_u_f32_e32 vcc_lo, v121, v121
	v_add3_u32 v122, v122, v121, 0x7fff
	s_wait_alu 0xfffd
	s_delay_alu instid0(VALU_DEP_1) | instskip(NEXT) | instid1(VALU_DEP_1)
	v_dual_cndmask_b32 v121, v122, v129 :: v_dual_lshlrev_b32 v122, 16, v124
	v_mul_f32_e32 v122, v4, v122
	v_dual_mul_f32 v116, v5, v116 :: v_dual_and_b32 v33, 0xffff0000, v33
	v_mul_f32_e32 v125, v5, v125
	v_mul_f32_e32 v108, v5, v108
	s_delay_alu instid0(VALU_DEP_4)
	v_bfe_u32 v124, v122, 16, 1
	v_or_b32_e32 v129, 0x400000, v122
	v_cmp_u_f32_e32 vcc_lo, v122, v122
	v_mul_f32_e32 v100, v5, v100
	v_mul_f32_e32 v92, v5, v92
	v_add3_u32 v124, v124, v122, 0x7fff
	v_mul_f32_e32 v84, v5, v84
	v_mul_f32_e32 v76, v5, v76
	v_dual_mul_f32 v68, v5, v68 :: v_dual_lshlrev_b32 v29, 16, v29
	s_wait_alu 0xfffd
	v_cndmask_b32_e32 v122, v124, v129, vcc_lo
	v_bfe_u32 v124, v123, 16, 1
	v_or_b32_e32 v129, 0x400000, v123
	v_cmp_u_f32_e32 vcc_lo, v123, v123
	s_delay_alu instid0(VALU_DEP_4) | instskip(NEXT) | instid1(VALU_DEP_4)
	v_dual_mul_f32 v29, v7, v29 :: v_dual_and_b32 v122, 0xffff0000, v122
	v_add3_u32 v124, v124, v123, 0x7fff
	v_dual_mul_f32 v28, v5, v28 :: v_dual_lshlrev_b32 v25, 16, v25
	s_wait_alu 0xfffd
	s_delay_alu instid0(VALU_DEP_2) | instskip(NEXT) | instid1(VALU_DEP_2)
	v_dual_mul_f32 v16, v5, v16 :: v_dual_cndmask_b32 v123, v124, v129
	v_dual_mul_f32 v25, v8, v25 :: v_dual_lshlrev_b32 v124, 16, v126
	s_delay_alu instid0(VALU_DEP_1) | instskip(SKIP_1) | instid1(VALU_DEP_2)
	v_dual_mul_f32 v124, v2, v124 :: v_dual_lshlrev_b32 v27, 16, v27
	v_mul_f32_e32 v23, v1, v23
	v_bfe_u32 v126, v124, 16, 1
	v_or_b32_e32 v129, 0x400000, v124
	v_cmp_u_f32_e32 vcc_lo, v124, v124
	v_mul_f32_e32 v27, v4, v27
	s_delay_alu instid0(VALU_DEP_4) | instskip(SKIP_1) | instid1(VALU_DEP_1)
	v_add3_u32 v126, v126, v124, 0x7fff
	s_wait_alu 0xfffd
	v_cndmask_b32_e32 v124, v126, v129, vcc_lo
	v_dual_mul_f32 v118, v3, v118 :: v_dual_and_b32 v121, 0xffff0000, v121
	v_bfe_u32 v126, v125, 16, 1
	v_or_b32_e32 v129, 0x400000, v125
	v_cmp_u_f32_e32 vcc_lo, v125, v125
	v_mul_f32_e32 v127, v3, v127
	v_add_f32_e32 v33, v121, v33
	v_add3_u32 v126, v126, v125, 0x7fff
	v_dual_mul_f32 v110, v3, v110 :: v_dual_and_b32 v121, 0xffff0000, v123
	v_mul_f32_e32 v102, v3, v102
	s_wait_alu 0xfffd
	s_delay_alu instid0(VALU_DEP_3) | instskip(NEXT) | instid1(VALU_DEP_3)
	v_dual_mul_f32 v94, v3, v94 :: v_dual_cndmask_b32 v125, v126, v129
	v_dual_add_f32 v121, v121, v122 :: v_dual_lshlrev_b32 v126, 16, v128
	v_and_b32_e32 v122, 0xffff0000, v124
	v_mul_f32_e32 v86, v3, v86
	v_mul_f32_e32 v78, v3, v78
	s_delay_alu instid0(VALU_DEP_4) | instskip(SKIP_3) | instid1(VALU_DEP_4)
	v_mul_f32_e32 v126, v1, v126
	v_add_f32_e32 v33, v121, v33
	v_dual_mul_f32 v70, v3, v70 :: v_dual_and_b32 v121, 0xffff0000, v125
	v_mul_f32_e32 v22, v3, v22
	v_bfe_u32 v128, v126, 16, 1
	v_or_b32_e32 v129, 0x400000, v126
	v_cmp_u_f32_e32 vcc_lo, v126, v126
	v_add_f32_e32 v121, v121, v122
	v_mul_f32_e32 v31, v3, v31
	v_add3_u32 v128, v128, v126, 0x7fff
	v_mul_f32_e32 v9, v3, v9
	s_delay_alu instid0(VALU_DEP_4) | instskip(SKIP_1) | instid1(VALU_DEP_3)
	v_add_f32_e32 v33, v121, v33
	s_wait_alu 0xfffd
	v_cndmask_b32_e32 v126, v128, v129, vcc_lo
	v_bfe_u32 v128, v127, 16, 1
	v_or_b32_e32 v129, 0x400000, v127
	v_cmp_u_f32_e32 vcc_lo, v127, v127
	s_delay_alu instid0(VALU_DEP_4) | instskip(NEXT) | instid1(VALU_DEP_4)
	v_and_b32_e32 v122, 0xffff0000, v126
	v_add3_u32 v128, v128, v127, 0x7fff
	s_wait_alu 0xfffd
	s_delay_alu instid0(VALU_DEP_1) | instskip(NEXT) | instid1(VALU_DEP_1)
	v_cndmask_b32_e32 v127, v128, v129, vcc_lo
	v_and_b32_e32 v121, 0xffff0000, v127
	s_delay_alu instid0(VALU_DEP_1) | instskip(SKIP_3) | instid1(VALU_DEP_1)
	v_add_f32_e32 v121, v121, v122
	scratch_load_b32 v122, off, off offset:348 th:TH_LOAD_LU ; 4-byte Folded Reload
	v_add_f32_e32 v33, v121, v33
	s_wait_loadcnt 0x0
	v_add_f32_e32 v122, v122, v33
	v_lshlrev_b32_e32 v33, 16, v113
	s_delay_alu instid0(VALU_DEP_1) | instskip(NEXT) | instid1(VALU_DEP_1)
	v_mul_f32_e32 v33, v7, v33
	v_bfe_u32 v113, v33, 16, 1
	v_or_b32_e32 v121, 0x400000, v33
	v_cmp_u_f32_e32 vcc_lo, v33, v33
	s_delay_alu instid0(VALU_DEP_3) | instskip(SKIP_1) | instid1(VALU_DEP_1)
	v_add3_u32 v113, v113, v33, 0x7fff
	s_wait_alu 0xfffd
	v_cndmask_b32_e32 v33, v113, v121, vcc_lo
	v_bfe_u32 v113, v112, 16, 1
	v_or_b32_e32 v121, 0x400000, v112
	v_cmp_u_f32_e32 vcc_lo, v112, v112
	s_delay_alu instid0(VALU_DEP_4) | instskip(NEXT) | instid1(VALU_DEP_4)
	v_and_b32_e32 v33, 0xffff0000, v33
	v_add3_u32 v113, v113, v112, 0x7fff
	s_wait_alu 0xfffd
	s_delay_alu instid0(VALU_DEP_1) | instskip(NEXT) | instid1(VALU_DEP_1)
	v_dual_cndmask_b32 v112, v113, v121 :: v_dual_lshlrev_b32 v113, 16, v115
	v_dual_mul_f32 v113, v4, v113 :: v_dual_and_b32 v112, 0xffff0000, v112
	s_delay_alu instid0(VALU_DEP_1) | instskip(NEXT) | instid1(VALU_DEP_2)
	v_add_f32_e32 v33, v112, v33
	v_bfe_u32 v115, v113, 16, 1
	v_or_b32_e32 v121, 0x400000, v113
	v_cmp_u_f32_e32 vcc_lo, v113, v113
	s_delay_alu instid0(VALU_DEP_3) | instskip(SKIP_1) | instid1(VALU_DEP_1)
	v_add3_u32 v115, v115, v113, 0x7fff
	s_wait_alu 0xfffd
	v_cndmask_b32_e32 v113, v115, v121, vcc_lo
	v_bfe_u32 v115, v114, 16, 1
	v_or_b32_e32 v121, 0x400000, v114
	v_cmp_u_f32_e32 vcc_lo, v114, v114
	s_delay_alu instid0(VALU_DEP_4) | instskip(NEXT) | instid1(VALU_DEP_4)
	v_and_b32_e32 v113, 0xffff0000, v113
	v_add3_u32 v115, v115, v114, 0x7fff
	s_wait_alu 0xfffd
	s_delay_alu instid0(VALU_DEP_1) | instskip(SKIP_1) | instid1(VALU_DEP_1)
	v_cndmask_b32_e32 v114, v115, v121, vcc_lo
	v_lshlrev_b32_e32 v115, 16, v117
	v_dual_mul_f32 v115, v2, v115 :: v_dual_and_b32 v112, 0xffff0000, v114
	s_delay_alu instid0(VALU_DEP_1) | instskip(NEXT) | instid1(VALU_DEP_2)
	v_add_f32_e32 v112, v112, v113
	v_bfe_u32 v117, v115, 16, 1
	v_or_b32_e32 v121, 0x400000, v115
	v_cmp_u_f32_e32 vcc_lo, v115, v115
	s_delay_alu instid0(VALU_DEP_4) | instskip(NEXT) | instid1(VALU_DEP_4)
	v_add_f32_e32 v33, v112, v33
	v_add3_u32 v117, v117, v115, 0x7fff
	s_wait_alu 0xfffd
	s_delay_alu instid0(VALU_DEP_1) | instskip(SKIP_3) | instid1(VALU_DEP_4)
	v_cndmask_b32_e32 v115, v117, v121, vcc_lo
	v_bfe_u32 v117, v116, 16, 1
	v_or_b32_e32 v121, 0x400000, v116
	v_cmp_u_f32_e32 vcc_lo, v116, v116
	v_and_b32_e32 v113, 0xffff0000, v115
	s_delay_alu instid0(VALU_DEP_4) | instskip(SKIP_1) | instid1(VALU_DEP_1)
	v_add3_u32 v117, v117, v116, 0x7fff
	s_wait_alu 0xfffd
	v_dual_cndmask_b32 v116, v117, v121 :: v_dual_lshlrev_b32 v117, 16, v119
	s_delay_alu instid0(VALU_DEP_1) | instskip(NEXT) | instid1(VALU_DEP_1)
	v_dual_mul_f32 v117, v1, v117 :: v_dual_and_b32 v112, 0xffff0000, v116
	v_add_f32_e32 v112, v112, v113
	s_delay_alu instid0(VALU_DEP_2) | instskip(SKIP_2) | instid1(VALU_DEP_4)
	v_bfe_u32 v119, v117, 16, 1
	v_or_b32_e32 v121, 0x400000, v117
	v_cmp_u_f32_e32 vcc_lo, v117, v117
	v_add_f32_e32 v33, v112, v33
	s_delay_alu instid0(VALU_DEP_4) | instskip(SKIP_1) | instid1(VALU_DEP_1)
	v_add3_u32 v119, v119, v117, 0x7fff
	s_wait_alu 0xfffd
	v_cndmask_b32_e32 v117, v119, v121, vcc_lo
	v_bfe_u32 v119, v118, 16, 1
	v_or_b32_e32 v121, 0x400000, v118
	v_cmp_u_f32_e32 vcc_lo, v118, v118
	s_delay_alu instid0(VALU_DEP_4) | instskip(NEXT) | instid1(VALU_DEP_4)
	v_and_b32_e32 v113, 0xffff0000, v117
	v_add3_u32 v119, v119, v118, 0x7fff
	s_wait_alu 0xfffd
	s_delay_alu instid0(VALU_DEP_1) | instskip(NEXT) | instid1(VALU_DEP_1)
	v_cndmask_b32_e32 v118, v119, v121, vcc_lo
	v_and_b32_e32 v112, 0xffff0000, v118
	s_delay_alu instid0(VALU_DEP_1) | instskip(SKIP_3) | instid1(VALU_DEP_1)
	v_add_f32_e32 v112, v112, v113
	scratch_load_b32 v113, off, off offset:352 th:TH_LOAD_LU ; 4-byte Folded Reload
	v_add_f32_e32 v33, v112, v33
	s_wait_loadcnt 0x0
	v_add_f32_e32 v113, v113, v33
	v_lshlrev_b32_e32 v33, 16, v105
	s_delay_alu instid0(VALU_DEP_1) | instskip(NEXT) | instid1(VALU_DEP_1)
	v_mul_f32_e32 v33, v7, v33
	v_bfe_u32 v105, v33, 16, 1
	v_or_b32_e32 v112, 0x400000, v33
	v_cmp_u_f32_e32 vcc_lo, v33, v33
	s_delay_alu instid0(VALU_DEP_3) | instskip(SKIP_1) | instid1(VALU_DEP_1)
	v_add3_u32 v105, v105, v33, 0x7fff
	s_wait_alu 0xfffd
	v_cndmask_b32_e32 v33, v105, v112, vcc_lo
	v_bfe_u32 v105, v104, 16, 1
	v_or_b32_e32 v112, 0x400000, v104
	v_cmp_u_f32_e32 vcc_lo, v104, v104
	s_delay_alu instid0(VALU_DEP_4) | instskip(NEXT) | instid1(VALU_DEP_4)
	v_and_b32_e32 v33, 0xffff0000, v33
	v_add3_u32 v105, v105, v104, 0x7fff
	s_wait_alu 0xfffd
	s_delay_alu instid0(VALU_DEP_1) | instskip(NEXT) | instid1(VALU_DEP_1)
	v_dual_cndmask_b32 v104, v105, v112 :: v_dual_lshlrev_b32 v105, 16, v107
	v_dual_mul_f32 v105, v4, v105 :: v_dual_and_b32 v104, 0xffff0000, v104
	s_delay_alu instid0(VALU_DEP_1) | instskip(NEXT) | instid1(VALU_DEP_2)
	v_add_f32_e32 v33, v104, v33
	v_bfe_u32 v107, v105, 16, 1
	v_or_b32_e32 v112, 0x400000, v105
	v_cmp_u_f32_e32 vcc_lo, v105, v105
	s_delay_alu instid0(VALU_DEP_3) | instskip(SKIP_1) | instid1(VALU_DEP_1)
	v_add3_u32 v107, v107, v105, 0x7fff
	s_wait_alu 0xfffd
	v_cndmask_b32_e32 v105, v107, v112, vcc_lo
	v_bfe_u32 v107, v106, 16, 1
	v_or_b32_e32 v112, 0x400000, v106
	v_cmp_u_f32_e32 vcc_lo, v106, v106
	s_delay_alu instid0(VALU_DEP_4) | instskip(NEXT) | instid1(VALU_DEP_4)
	v_and_b32_e32 v105, 0xffff0000, v105
	v_add3_u32 v107, v107, v106, 0x7fff
	s_wait_alu 0xfffd
	s_delay_alu instid0(VALU_DEP_1) | instskip(NEXT) | instid1(VALU_DEP_1)
	v_dual_cndmask_b32 v106, v107, v112 :: v_dual_lshlrev_b32 v107, 16, v109
	v_dual_mul_f32 v107, v2, v107 :: v_dual_and_b32 v104, 0xffff0000, v106
	s_delay_alu instid0(VALU_DEP_1) | instskip(NEXT) | instid1(VALU_DEP_2)
	v_add_f32_e32 v104, v104, v105
	v_bfe_u32 v109, v107, 16, 1
	v_or_b32_e32 v112, 0x400000, v107
	v_cmp_u_f32_e32 vcc_lo, v107, v107
	s_delay_alu instid0(VALU_DEP_4) | instskip(NEXT) | instid1(VALU_DEP_4)
	v_add_f32_e32 v33, v104, v33
	v_add3_u32 v109, v109, v107, 0x7fff
	s_wait_alu 0xfffd
	s_delay_alu instid0(VALU_DEP_1) | instskip(SKIP_3) | instid1(VALU_DEP_4)
	v_cndmask_b32_e32 v107, v109, v112, vcc_lo
	v_bfe_u32 v109, v108, 16, 1
	v_or_b32_e32 v112, 0x400000, v108
	v_cmp_u_f32_e32 vcc_lo, v108, v108
	v_and_b32_e32 v105, 0xffff0000, v107
	s_delay_alu instid0(VALU_DEP_4) | instskip(SKIP_1) | instid1(VALU_DEP_1)
	v_add3_u32 v109, v109, v108, 0x7fff
	s_wait_alu 0xfffd
	v_dual_cndmask_b32 v108, v109, v112 :: v_dual_lshlrev_b32 v109, 16, v111
	s_delay_alu instid0(VALU_DEP_1) | instskip(NEXT) | instid1(VALU_DEP_1)
	v_dual_mul_f32 v109, v1, v109 :: v_dual_and_b32 v104, 0xffff0000, v108
	v_add_f32_e32 v104, v104, v105
	s_delay_alu instid0(VALU_DEP_2) | instskip(SKIP_2) | instid1(VALU_DEP_4)
	v_bfe_u32 v111, v109, 16, 1
	v_or_b32_e32 v112, 0x400000, v109
	v_cmp_u_f32_e32 vcc_lo, v109, v109
	v_add_f32_e32 v33, v104, v33
	s_delay_alu instid0(VALU_DEP_4) | instskip(SKIP_1) | instid1(VALU_DEP_1)
	v_add3_u32 v111, v111, v109, 0x7fff
	s_wait_alu 0xfffd
	v_cndmask_b32_e32 v109, v111, v112, vcc_lo
	v_bfe_u32 v111, v110, 16, 1
	v_or_b32_e32 v112, 0x400000, v110
	v_cmp_u_f32_e32 vcc_lo, v110, v110
	s_delay_alu instid0(VALU_DEP_4) | instskip(NEXT) | instid1(VALU_DEP_4)
	v_and_b32_e32 v105, 0xffff0000, v109
	v_add3_u32 v111, v111, v110, 0x7fff
	s_wait_alu 0xfffd
	s_delay_alu instid0(VALU_DEP_1) | instskip(NEXT) | instid1(VALU_DEP_1)
	v_cndmask_b32_e32 v110, v111, v112, vcc_lo
	v_and_b32_e32 v104, 0xffff0000, v110
	s_delay_alu instid0(VALU_DEP_1) | instskip(SKIP_3) | instid1(VALU_DEP_1)
	v_add_f32_e32 v104, v104, v105
	scratch_load_b32 v105, off, off offset:356 th:TH_LOAD_LU ; 4-byte Folded Reload
	v_add_f32_e32 v33, v104, v33
	s_wait_loadcnt 0x0
	v_add_f32_e32 v105, v105, v33
	v_lshlrev_b32_e32 v33, 16, v97
	s_delay_alu instid0(VALU_DEP_1) | instskip(NEXT) | instid1(VALU_DEP_1)
	v_mul_f32_e32 v33, v7, v33
	v_bfe_u32 v97, v33, 16, 1
	v_or_b32_e32 v104, 0x400000, v33
	v_cmp_u_f32_e32 vcc_lo, v33, v33
	s_delay_alu instid0(VALU_DEP_3) | instskip(SKIP_1) | instid1(VALU_DEP_1)
	v_add3_u32 v97, v97, v33, 0x7fff
	s_wait_alu 0xfffd
	v_cndmask_b32_e32 v33, v97, v104, vcc_lo
	v_bfe_u32 v97, v96, 16, 1
	v_or_b32_e32 v104, 0x400000, v96
	v_cmp_u_f32_e32 vcc_lo, v96, v96
	s_delay_alu instid0(VALU_DEP_4) | instskip(NEXT) | instid1(VALU_DEP_4)
	v_and_b32_e32 v33, 0xffff0000, v33
	v_add3_u32 v97, v97, v96, 0x7fff
	s_wait_alu 0xfffd
	s_delay_alu instid0(VALU_DEP_1) | instskip(NEXT) | instid1(VALU_DEP_1)
	v_dual_cndmask_b32 v96, v97, v104 :: v_dual_lshlrev_b32 v97, 16, v99
	v_dual_mul_f32 v97, v4, v97 :: v_dual_and_b32 v96, 0xffff0000, v96
	s_delay_alu instid0(VALU_DEP_1) | instskip(NEXT) | instid1(VALU_DEP_2)
	v_add_f32_e32 v33, v96, v33
	v_bfe_u32 v99, v97, 16, 1
	v_or_b32_e32 v104, 0x400000, v97
	v_cmp_u_f32_e32 vcc_lo, v97, v97
	s_delay_alu instid0(VALU_DEP_3) | instskip(SKIP_1) | instid1(VALU_DEP_1)
	v_add3_u32 v99, v99, v97, 0x7fff
	s_wait_alu 0xfffd
	v_cndmask_b32_e32 v97, v99, v104, vcc_lo
	v_bfe_u32 v99, v98, 16, 1
	v_or_b32_e32 v104, 0x400000, v98
	v_cmp_u_f32_e32 vcc_lo, v98, v98
	s_delay_alu instid0(VALU_DEP_4) | instskip(NEXT) | instid1(VALU_DEP_4)
	v_and_b32_e32 v97, 0xffff0000, v97
	v_add3_u32 v99, v99, v98, 0x7fff
	s_wait_alu 0xfffd
	s_delay_alu instid0(VALU_DEP_1) | instskip(NEXT) | instid1(VALU_DEP_1)
	v_dual_cndmask_b32 v98, v99, v104 :: v_dual_lshlrev_b32 v99, 16, v101
	v_dual_mul_f32 v99, v2, v99 :: v_dual_and_b32 v96, 0xffff0000, v98
	s_delay_alu instid0(VALU_DEP_1) | instskip(NEXT) | instid1(VALU_DEP_2)
	v_add_f32_e32 v96, v96, v97
	v_bfe_u32 v101, v99, 16, 1
	v_or_b32_e32 v104, 0x400000, v99
	v_cmp_u_f32_e32 vcc_lo, v99, v99
	s_delay_alu instid0(VALU_DEP_4) | instskip(NEXT) | instid1(VALU_DEP_4)
	v_add_f32_e32 v33, v96, v33
	v_add3_u32 v101, v101, v99, 0x7fff
	s_wait_alu 0xfffd
	s_delay_alu instid0(VALU_DEP_1) | instskip(SKIP_3) | instid1(VALU_DEP_4)
	v_cndmask_b32_e32 v99, v101, v104, vcc_lo
	v_bfe_u32 v101, v100, 16, 1
	v_or_b32_e32 v104, 0x400000, v100
	v_cmp_u_f32_e32 vcc_lo, v100, v100
	v_and_b32_e32 v97, 0xffff0000, v99
	s_delay_alu instid0(VALU_DEP_4) | instskip(SKIP_1) | instid1(VALU_DEP_1)
	v_add3_u32 v101, v101, v100, 0x7fff
	s_wait_alu 0xfffd
	v_dual_cndmask_b32 v100, v101, v104 :: v_dual_lshlrev_b32 v101, 16, v103
	s_delay_alu instid0(VALU_DEP_1) | instskip(NEXT) | instid1(VALU_DEP_1)
	v_dual_mul_f32 v101, v1, v101 :: v_dual_and_b32 v96, 0xffff0000, v100
	v_add_f32_e32 v96, v96, v97
	s_delay_alu instid0(VALU_DEP_2) | instskip(SKIP_2) | instid1(VALU_DEP_4)
	v_bfe_u32 v103, v101, 16, 1
	v_or_b32_e32 v104, 0x400000, v101
	v_cmp_u_f32_e32 vcc_lo, v101, v101
	v_add_f32_e32 v33, v96, v33
	s_delay_alu instid0(VALU_DEP_4) | instskip(SKIP_1) | instid1(VALU_DEP_1)
	v_add3_u32 v103, v103, v101, 0x7fff
	s_wait_alu 0xfffd
	v_cndmask_b32_e32 v101, v103, v104, vcc_lo
	v_bfe_u32 v103, v102, 16, 1
	v_or_b32_e32 v104, 0x400000, v102
	v_cmp_u_f32_e32 vcc_lo, v102, v102
	s_delay_alu instid0(VALU_DEP_4) | instskip(NEXT) | instid1(VALU_DEP_4)
	v_and_b32_e32 v97, 0xffff0000, v101
	v_add3_u32 v103, v103, v102, 0x7fff
	s_wait_alu 0xfffd
	s_delay_alu instid0(VALU_DEP_1) | instskip(NEXT) | instid1(VALU_DEP_1)
	v_cndmask_b32_e32 v102, v103, v104, vcc_lo
	v_and_b32_e32 v96, 0xffff0000, v102
	s_delay_alu instid0(VALU_DEP_1) | instskip(SKIP_3) | instid1(VALU_DEP_1)
	v_add_f32_e32 v96, v96, v97
	scratch_load_b32 v97, off, off offset:360 th:TH_LOAD_LU ; 4-byte Folded Reload
	v_add_f32_e32 v33, v96, v33
	s_wait_loadcnt 0x0
	v_add_f32_e32 v97, v97, v33
	v_lshlrev_b32_e32 v33, 16, v89
	s_delay_alu instid0(VALU_DEP_1) | instskip(NEXT) | instid1(VALU_DEP_1)
	v_mul_f32_e32 v33, v7, v33
	v_bfe_u32 v89, v33, 16, 1
	v_or_b32_e32 v96, 0x400000, v33
	v_cmp_u_f32_e32 vcc_lo, v33, v33
	s_delay_alu instid0(VALU_DEP_3) | instskip(SKIP_1) | instid1(VALU_DEP_1)
	v_add3_u32 v89, v89, v33, 0x7fff
	s_wait_alu 0xfffd
	v_cndmask_b32_e32 v33, v89, v96, vcc_lo
	v_bfe_u32 v89, v88, 16, 1
	v_or_b32_e32 v96, 0x400000, v88
	v_cmp_u_f32_e32 vcc_lo, v88, v88
	s_delay_alu instid0(VALU_DEP_4) | instskip(NEXT) | instid1(VALU_DEP_4)
	v_and_b32_e32 v33, 0xffff0000, v33
	v_add3_u32 v89, v89, v88, 0x7fff
	s_wait_alu 0xfffd
	s_delay_alu instid0(VALU_DEP_1) | instskip(NEXT) | instid1(VALU_DEP_1)
	v_dual_cndmask_b32 v88, v89, v96 :: v_dual_lshlrev_b32 v89, 16, v91
	v_dual_mul_f32 v89, v4, v89 :: v_dual_and_b32 v88, 0xffff0000, v88
	s_delay_alu instid0(VALU_DEP_1) | instskip(NEXT) | instid1(VALU_DEP_2)
	v_add_f32_e32 v33, v88, v33
	v_bfe_u32 v91, v89, 16, 1
	v_or_b32_e32 v96, 0x400000, v89
	v_cmp_u_f32_e32 vcc_lo, v89, v89
	s_delay_alu instid0(VALU_DEP_3) | instskip(SKIP_1) | instid1(VALU_DEP_1)
	v_add3_u32 v91, v91, v89, 0x7fff
	s_wait_alu 0xfffd
	v_cndmask_b32_e32 v89, v91, v96, vcc_lo
	v_bfe_u32 v91, v90, 16, 1
	v_or_b32_e32 v96, 0x400000, v90
	v_cmp_u_f32_e32 vcc_lo, v90, v90
	s_delay_alu instid0(VALU_DEP_4) | instskip(NEXT) | instid1(VALU_DEP_4)
	v_and_b32_e32 v89, 0xffff0000, v89
	v_add3_u32 v91, v91, v90, 0x7fff
	s_wait_alu 0xfffd
	s_delay_alu instid0(VALU_DEP_1) | instskip(NEXT) | instid1(VALU_DEP_1)
	v_dual_cndmask_b32 v90, v91, v96 :: v_dual_lshlrev_b32 v91, 16, v93
	v_dual_mul_f32 v91, v2, v91 :: v_dual_and_b32 v88, 0xffff0000, v90
	s_delay_alu instid0(VALU_DEP_1) | instskip(NEXT) | instid1(VALU_DEP_2)
	v_add_f32_e32 v88, v88, v89
	v_bfe_u32 v93, v91, 16, 1
	v_or_b32_e32 v96, 0x400000, v91
	v_cmp_u_f32_e32 vcc_lo, v91, v91
	s_delay_alu instid0(VALU_DEP_4) | instskip(NEXT) | instid1(VALU_DEP_4)
	v_add_f32_e32 v33, v88, v33
	v_add3_u32 v93, v93, v91, 0x7fff
	s_wait_alu 0xfffd
	s_delay_alu instid0(VALU_DEP_1) | instskip(SKIP_3) | instid1(VALU_DEP_4)
	v_cndmask_b32_e32 v91, v93, v96, vcc_lo
	v_bfe_u32 v93, v92, 16, 1
	v_or_b32_e32 v96, 0x400000, v92
	v_cmp_u_f32_e32 vcc_lo, v92, v92
	v_and_b32_e32 v89, 0xffff0000, v91
	s_delay_alu instid0(VALU_DEP_4) | instskip(SKIP_1) | instid1(VALU_DEP_1)
	v_add3_u32 v93, v93, v92, 0x7fff
	s_wait_alu 0xfffd
	v_dual_cndmask_b32 v92, v93, v96 :: v_dual_lshlrev_b32 v93, 16, v95
	s_delay_alu instid0(VALU_DEP_1) | instskip(NEXT) | instid1(VALU_DEP_1)
	v_dual_mul_f32 v93, v1, v93 :: v_dual_and_b32 v88, 0xffff0000, v92
	v_add_f32_e32 v88, v88, v89
	s_delay_alu instid0(VALU_DEP_2) | instskip(SKIP_2) | instid1(VALU_DEP_4)
	v_bfe_u32 v95, v93, 16, 1
	v_or_b32_e32 v96, 0x400000, v93
	v_cmp_u_f32_e32 vcc_lo, v93, v93
	v_add_f32_e32 v33, v88, v33
	s_delay_alu instid0(VALU_DEP_4) | instskip(SKIP_1) | instid1(VALU_DEP_1)
	v_add3_u32 v95, v95, v93, 0x7fff
	s_wait_alu 0xfffd
	v_cndmask_b32_e32 v93, v95, v96, vcc_lo
	v_bfe_u32 v95, v94, 16, 1
	v_or_b32_e32 v96, 0x400000, v94
	v_cmp_u_f32_e32 vcc_lo, v94, v94
	s_delay_alu instid0(VALU_DEP_4) | instskip(NEXT) | instid1(VALU_DEP_4)
	v_and_b32_e32 v89, 0xffff0000, v93
	v_add3_u32 v95, v95, v94, 0x7fff
	s_wait_alu 0xfffd
	s_delay_alu instid0(VALU_DEP_1) | instskip(NEXT) | instid1(VALU_DEP_1)
	v_cndmask_b32_e32 v94, v95, v96, vcc_lo
	v_and_b32_e32 v88, 0xffff0000, v94
	s_delay_alu instid0(VALU_DEP_1) | instskip(SKIP_3) | instid1(VALU_DEP_1)
	v_add_f32_e32 v88, v88, v89
	scratch_load_b32 v89, off, off offset:364 th:TH_LOAD_LU ; 4-byte Folded Reload
	v_add_f32_e32 v33, v88, v33
	s_wait_loadcnt 0x0
	v_add_f32_e32 v89, v89, v33
	v_lshlrev_b32_e32 v33, 16, v81
	s_delay_alu instid0(VALU_DEP_1) | instskip(NEXT) | instid1(VALU_DEP_1)
	v_mul_f32_e32 v33, v7, v33
	v_bfe_u32 v81, v33, 16, 1
	v_or_b32_e32 v88, 0x400000, v33
	v_cmp_u_f32_e32 vcc_lo, v33, v33
	s_delay_alu instid0(VALU_DEP_3) | instskip(SKIP_1) | instid1(VALU_DEP_1)
	v_add3_u32 v81, v81, v33, 0x7fff
	s_wait_alu 0xfffd
	v_cndmask_b32_e32 v33, v81, v88, vcc_lo
	v_bfe_u32 v81, v80, 16, 1
	v_or_b32_e32 v88, 0x400000, v80
	v_cmp_u_f32_e32 vcc_lo, v80, v80
	s_delay_alu instid0(VALU_DEP_4) | instskip(NEXT) | instid1(VALU_DEP_4)
	v_and_b32_e32 v33, 0xffff0000, v33
	v_add3_u32 v81, v81, v80, 0x7fff
	s_wait_alu 0xfffd
	s_delay_alu instid0(VALU_DEP_1) | instskip(NEXT) | instid1(VALU_DEP_1)
	v_dual_cndmask_b32 v80, v81, v88 :: v_dual_lshlrev_b32 v81, 16, v83
	v_dual_mul_f32 v81, v4, v81 :: v_dual_and_b32 v80, 0xffff0000, v80
	s_delay_alu instid0(VALU_DEP_1) | instskip(NEXT) | instid1(VALU_DEP_2)
	v_add_f32_e32 v33, v80, v33
	v_bfe_u32 v83, v81, 16, 1
	v_or_b32_e32 v88, 0x400000, v81
	v_cmp_u_f32_e32 vcc_lo, v81, v81
	s_delay_alu instid0(VALU_DEP_3) | instskip(SKIP_1) | instid1(VALU_DEP_1)
	v_add3_u32 v83, v83, v81, 0x7fff
	s_wait_alu 0xfffd
	v_cndmask_b32_e32 v81, v83, v88, vcc_lo
	v_bfe_u32 v83, v82, 16, 1
	v_or_b32_e32 v88, 0x400000, v82
	v_cmp_u_f32_e32 vcc_lo, v82, v82
	s_delay_alu instid0(VALU_DEP_4) | instskip(NEXT) | instid1(VALU_DEP_4)
	v_and_b32_e32 v81, 0xffff0000, v81
	v_add3_u32 v83, v83, v82, 0x7fff
	s_wait_alu 0xfffd
	s_delay_alu instid0(VALU_DEP_1) | instskip(NEXT) | instid1(VALU_DEP_1)
	v_dual_cndmask_b32 v82, v83, v88 :: v_dual_lshlrev_b32 v83, 16, v85
	v_dual_mul_f32 v83, v2, v83 :: v_dual_and_b32 v80, 0xffff0000, v82
	s_delay_alu instid0(VALU_DEP_1) | instskip(NEXT) | instid1(VALU_DEP_2)
	v_add_f32_e32 v80, v80, v81
	v_bfe_u32 v85, v83, 16, 1
	v_or_b32_e32 v88, 0x400000, v83
	v_cmp_u_f32_e32 vcc_lo, v83, v83
	s_delay_alu instid0(VALU_DEP_4) | instskip(NEXT) | instid1(VALU_DEP_4)
	v_add_f32_e32 v33, v80, v33
	v_add3_u32 v85, v85, v83, 0x7fff
	s_wait_alu 0xfffd
	s_delay_alu instid0(VALU_DEP_1) | instskip(SKIP_3) | instid1(VALU_DEP_4)
	v_cndmask_b32_e32 v83, v85, v88, vcc_lo
	v_bfe_u32 v85, v84, 16, 1
	v_or_b32_e32 v88, 0x400000, v84
	v_cmp_u_f32_e32 vcc_lo, v84, v84
	v_and_b32_e32 v81, 0xffff0000, v83
	s_delay_alu instid0(VALU_DEP_4) | instskip(SKIP_1) | instid1(VALU_DEP_1)
	v_add3_u32 v85, v85, v84, 0x7fff
	s_wait_alu 0xfffd
	v_dual_cndmask_b32 v84, v85, v88 :: v_dual_lshlrev_b32 v85, 16, v87
	s_delay_alu instid0(VALU_DEP_1) | instskip(NEXT) | instid1(VALU_DEP_1)
	v_dual_mul_f32 v85, v1, v85 :: v_dual_and_b32 v80, 0xffff0000, v84
	v_add_f32_e32 v80, v80, v81
	s_delay_alu instid0(VALU_DEP_2) | instskip(SKIP_2) | instid1(VALU_DEP_4)
	v_bfe_u32 v87, v85, 16, 1
	v_or_b32_e32 v88, 0x400000, v85
	v_cmp_u_f32_e32 vcc_lo, v85, v85
	v_add_f32_e32 v33, v80, v33
	s_delay_alu instid0(VALU_DEP_4) | instskip(SKIP_1) | instid1(VALU_DEP_1)
	v_add3_u32 v87, v87, v85, 0x7fff
	s_wait_alu 0xfffd
	v_cndmask_b32_e32 v85, v87, v88, vcc_lo
	v_bfe_u32 v87, v86, 16, 1
	v_or_b32_e32 v88, 0x400000, v86
	v_cmp_u_f32_e32 vcc_lo, v86, v86
	s_delay_alu instid0(VALU_DEP_4) | instskip(NEXT) | instid1(VALU_DEP_4)
	v_and_b32_e32 v81, 0xffff0000, v85
	v_add3_u32 v87, v87, v86, 0x7fff
	s_wait_alu 0xfffd
	s_delay_alu instid0(VALU_DEP_1) | instskip(NEXT) | instid1(VALU_DEP_1)
	v_cndmask_b32_e32 v86, v87, v88, vcc_lo
	v_and_b32_e32 v80, 0xffff0000, v86
	s_delay_alu instid0(VALU_DEP_1) | instskip(SKIP_3) | instid1(VALU_DEP_1)
	v_add_f32_e32 v80, v80, v81
	scratch_load_b32 v81, off, off offset:368 th:TH_LOAD_LU ; 4-byte Folded Reload
	v_add_f32_e32 v33, v80, v33
	s_wait_loadcnt 0x0
	v_add_f32_e32 v81, v81, v33
	v_lshlrev_b32_e32 v33, 16, v73
	s_delay_alu instid0(VALU_DEP_1) | instskip(NEXT) | instid1(VALU_DEP_1)
	v_mul_f32_e32 v33, v7, v33
	v_bfe_u32 v73, v33, 16, 1
	v_or_b32_e32 v80, 0x400000, v33
	v_cmp_u_f32_e32 vcc_lo, v33, v33
	s_delay_alu instid0(VALU_DEP_3) | instskip(SKIP_1) | instid1(VALU_DEP_1)
	v_add3_u32 v73, v73, v33, 0x7fff
	s_wait_alu 0xfffd
	v_cndmask_b32_e32 v33, v73, v80, vcc_lo
	v_bfe_u32 v73, v72, 16, 1
	v_or_b32_e32 v80, 0x400000, v72
	v_cmp_u_f32_e32 vcc_lo, v72, v72
	s_delay_alu instid0(VALU_DEP_4) | instskip(NEXT) | instid1(VALU_DEP_4)
	v_and_b32_e32 v33, 0xffff0000, v33
	v_add3_u32 v73, v73, v72, 0x7fff
	s_wait_alu 0xfffd
	s_delay_alu instid0(VALU_DEP_1) | instskip(NEXT) | instid1(VALU_DEP_1)
	v_dual_cndmask_b32 v72, v73, v80 :: v_dual_lshlrev_b32 v73, 16, v75
	v_dual_mul_f32 v73, v4, v73 :: v_dual_and_b32 v72, 0xffff0000, v72
	s_delay_alu instid0(VALU_DEP_1) | instskip(NEXT) | instid1(VALU_DEP_2)
	v_add_f32_e32 v33, v72, v33
	v_bfe_u32 v75, v73, 16, 1
	v_or_b32_e32 v80, 0x400000, v73
	v_cmp_u_f32_e32 vcc_lo, v73, v73
	s_delay_alu instid0(VALU_DEP_3) | instskip(SKIP_1) | instid1(VALU_DEP_1)
	v_add3_u32 v75, v75, v73, 0x7fff
	s_wait_alu 0xfffd
	v_cndmask_b32_e32 v73, v75, v80, vcc_lo
	v_bfe_u32 v75, v74, 16, 1
	v_or_b32_e32 v80, 0x400000, v74
	v_cmp_u_f32_e32 vcc_lo, v74, v74
	s_delay_alu instid0(VALU_DEP_4) | instskip(NEXT) | instid1(VALU_DEP_4)
	v_and_b32_e32 v73, 0xffff0000, v73
	v_add3_u32 v75, v75, v74, 0x7fff
	s_wait_alu 0xfffd
	s_delay_alu instid0(VALU_DEP_1) | instskip(NEXT) | instid1(VALU_DEP_1)
	v_dual_cndmask_b32 v74, v75, v80 :: v_dual_lshlrev_b32 v75, 16, v77
	v_dual_mul_f32 v75, v2, v75 :: v_dual_and_b32 v72, 0xffff0000, v74
	s_delay_alu instid0(VALU_DEP_1) | instskip(NEXT) | instid1(VALU_DEP_2)
	v_add_f32_e32 v72, v72, v73
	v_bfe_u32 v77, v75, 16, 1
	v_or_b32_e32 v80, 0x400000, v75
	v_cmp_u_f32_e32 vcc_lo, v75, v75
	s_delay_alu instid0(VALU_DEP_4) | instskip(NEXT) | instid1(VALU_DEP_4)
	v_add_f32_e32 v33, v72, v33
	v_add3_u32 v77, v77, v75, 0x7fff
	s_wait_alu 0xfffd
	s_delay_alu instid0(VALU_DEP_1) | instskip(SKIP_3) | instid1(VALU_DEP_4)
	v_cndmask_b32_e32 v75, v77, v80, vcc_lo
	v_bfe_u32 v77, v76, 16, 1
	v_or_b32_e32 v80, 0x400000, v76
	v_cmp_u_f32_e32 vcc_lo, v76, v76
	v_and_b32_e32 v73, 0xffff0000, v75
	s_delay_alu instid0(VALU_DEP_4) | instskip(SKIP_1) | instid1(VALU_DEP_1)
	v_add3_u32 v77, v77, v76, 0x7fff
	s_wait_alu 0xfffd
	v_dual_cndmask_b32 v76, v77, v80 :: v_dual_lshlrev_b32 v77, 16, v79
	s_delay_alu instid0(VALU_DEP_1) | instskip(NEXT) | instid1(VALU_DEP_1)
	v_dual_mul_f32 v77, v1, v77 :: v_dual_and_b32 v72, 0xffff0000, v76
	v_add_f32_e32 v72, v72, v73
	s_delay_alu instid0(VALU_DEP_2) | instskip(SKIP_2) | instid1(VALU_DEP_4)
	v_bfe_u32 v79, v77, 16, 1
	v_or_b32_e32 v80, 0x400000, v77
	v_cmp_u_f32_e32 vcc_lo, v77, v77
	v_add_f32_e32 v33, v72, v33
	s_delay_alu instid0(VALU_DEP_4) | instskip(SKIP_1) | instid1(VALU_DEP_1)
	v_add3_u32 v79, v79, v77, 0x7fff
	s_wait_alu 0xfffd
	v_cndmask_b32_e32 v77, v79, v80, vcc_lo
	v_bfe_u32 v79, v78, 16, 1
	v_or_b32_e32 v80, 0x400000, v78
	v_cmp_u_f32_e32 vcc_lo, v78, v78
	s_delay_alu instid0(VALU_DEP_4) | instskip(NEXT) | instid1(VALU_DEP_4)
	v_and_b32_e32 v73, 0xffff0000, v77
	v_add3_u32 v79, v79, v78, 0x7fff
	s_wait_alu 0xfffd
	s_delay_alu instid0(VALU_DEP_1) | instskip(SKIP_1) | instid1(VALU_DEP_2)
	v_cndmask_b32_e32 v78, v79, v80, vcc_lo
	v_cmp_u_f32_e32 vcc_lo, v29, v29
	v_and_b32_e32 v72, 0xffff0000, v78
	s_delay_alu instid0(VALU_DEP_1) | instskip(SKIP_4) | instid1(VALU_DEP_2)
	v_add_f32_e32 v72, v72, v73
	scratch_load_b32 v73, off, off offset:372 th:TH_LOAD_LU ; 4-byte Folded Reload
	v_add_f32_e32 v33, v72, v33
	v_or_b32_e32 v72, 0x400000, v29
	s_wait_loadcnt 0x0
	v_add_f32_e32 v73, v73, v33
	v_bfe_u32 v33, v29, 16, 1
	s_delay_alu instid0(VALU_DEP_1) | instskip(SKIP_1) | instid1(VALU_DEP_1)
	v_add3_u32 v33, v33, v29, 0x7fff
	s_wait_alu 0xfffd
	v_cndmask_b32_e32 v29, v33, v72, vcc_lo
	v_lshlrev_b32_e32 v33, 16, v64
	s_delay_alu instid0(VALU_DEP_2) | instskip(NEXT) | instid1(VALU_DEP_2)
	v_and_b32_e32 v29, 0xffff0000, v29
	v_mul_f32_e32 v33, v8, v33
	s_delay_alu instid0(VALU_DEP_1) | instskip(SKIP_2) | instid1(VALU_DEP_3)
	v_bfe_u32 v64, v33, 16, 1
	v_or_b32_e32 v72, 0x400000, v33
	v_cmp_u_f32_e32 vcc_lo, v33, v33
	v_add3_u32 v64, v64, v33, 0x7fff
	s_wait_alu 0xfffd
	s_delay_alu instid0(VALU_DEP_1) | instskip(NEXT) | instid1(VALU_DEP_1)
	v_dual_cndmask_b32 v33, v64, v72 :: v_dual_lshlrev_b32 v64, 16, v67
	v_dual_mul_f32 v64, v4, v64 :: v_dual_and_b32 v33, 0xffff0000, v33
	s_delay_alu instid0(VALU_DEP_1) | instskip(NEXT) | instid1(VALU_DEP_2)
	v_add_f32_e32 v29, v33, v29
	v_bfe_u32 v67, v64, 16, 1
	v_or_b32_e32 v72, 0x400000, v64
	v_cmp_u_f32_e32 vcc_lo, v64, v64
	s_delay_alu instid0(VALU_DEP_3) | instskip(SKIP_1) | instid1(VALU_DEP_1)
	v_add3_u32 v67, v67, v64, 0x7fff
	s_wait_alu 0xfffd
	v_cndmask_b32_e32 v64, v67, v72, vcc_lo
	v_bfe_u32 v67, v66, 16, 1
	v_or_b32_e32 v72, 0x400000, v66
	v_cmp_u_f32_e32 vcc_lo, v66, v66
	s_delay_alu instid0(VALU_DEP_4) | instskip(NEXT) | instid1(VALU_DEP_4)
	v_and_b32_e32 v64, 0xffff0000, v64
	v_add3_u32 v67, v67, v66, 0x7fff
	s_wait_alu 0xfffd
	s_delay_alu instid0(VALU_DEP_1) | instskip(NEXT) | instid1(VALU_DEP_1)
	v_dual_cndmask_b32 v66, v67, v72 :: v_dual_lshlrev_b32 v67, 16, v69
	v_and_b32_e32 v33, 0xffff0000, v66
	s_delay_alu instid0(VALU_DEP_2) | instskip(NEXT) | instid1(VALU_DEP_2)
	v_mul_f32_e32 v67, v2, v67
	v_add_f32_e32 v33, v33, v64
	s_delay_alu instid0(VALU_DEP_2) | instskip(SKIP_2) | instid1(VALU_DEP_4)
	v_bfe_u32 v69, v67, 16, 1
	v_or_b32_e32 v72, 0x400000, v67
	v_cmp_u_f32_e32 vcc_lo, v67, v67
	v_add_f32_e32 v29, v33, v29
	s_delay_alu instid0(VALU_DEP_4) | instskip(SKIP_1) | instid1(VALU_DEP_1)
	v_add3_u32 v69, v69, v67, 0x7fff
	s_wait_alu 0xfffd
	v_cndmask_b32_e32 v67, v69, v72, vcc_lo
	v_bfe_u32 v69, v68, 16, 1
	v_or_b32_e32 v72, 0x400000, v68
	v_cmp_u_f32_e32 vcc_lo, v68, v68
	s_delay_alu instid0(VALU_DEP_4) | instskip(NEXT) | instid1(VALU_DEP_4)
	v_and_b32_e32 v64, 0xffff0000, v67
	v_add3_u32 v69, v69, v68, 0x7fff
	s_wait_alu 0xfffd
	s_delay_alu instid0(VALU_DEP_1) | instskip(NEXT) | instid1(VALU_DEP_1)
	v_dual_cndmask_b32 v68, v69, v72 :: v_dual_lshlrev_b32 v69, 16, v71
	v_and_b32_e32 v33, 0xffff0000, v68
	s_delay_alu instid0(VALU_DEP_2) | instskip(NEXT) | instid1(VALU_DEP_2)
	v_mul_f32_e32 v69, v1, v69
	v_add_f32_e32 v33, v33, v64
	s_delay_alu instid0(VALU_DEP_2) | instskip(SKIP_2) | instid1(VALU_DEP_4)
	v_bfe_u32 v71, v69, 16, 1
	v_or_b32_e32 v72, 0x400000, v69
	v_cmp_u_f32_e32 vcc_lo, v69, v69
	v_add_f32_e32 v29, v33, v29
	s_delay_alu instid0(VALU_DEP_4) | instskip(SKIP_1) | instid1(VALU_DEP_1)
	v_add3_u32 v71, v71, v69, 0x7fff
	s_wait_alu 0xfffd
	v_cndmask_b32_e32 v69, v71, v72, vcc_lo
	v_bfe_u32 v71, v70, 16, 1
	v_or_b32_e32 v72, 0x400000, v70
	v_cmp_u_f32_e32 vcc_lo, v70, v70
	s_delay_alu instid0(VALU_DEP_4) | instskip(NEXT) | instid1(VALU_DEP_4)
	v_and_b32_e32 v64, 0xffff0000, v69
	v_add3_u32 v71, v71, v70, 0x7fff
	s_wait_alu 0xfffd
	s_delay_alu instid0(VALU_DEP_1) | instskip(NEXT) | instid1(VALU_DEP_1)
	v_cndmask_b32_e32 v70, v71, v72, vcc_lo
	v_and_b32_e32 v33, 0xffff0000, v70
	s_delay_alu instid0(VALU_DEP_1) | instskip(SKIP_3) | instid1(VALU_DEP_1)
	v_add_f32_e32 v33, v33, v64
	scratch_load_b32 v64, off, off offset:376 th:TH_LOAD_LU ; 4-byte Folded Reload
	v_add_f32_e32 v29, v33, v29
	s_wait_loadcnt 0x0
	v_add_f32_e32 v64, v64, v29
	v_lshlrev_b32_e32 v29, 16, v57
	s_delay_alu instid0(VALU_DEP_1) | instskip(NEXT) | instid1(VALU_DEP_1)
	v_mul_f32_e32 v29, v7, v29
	v_bfe_u32 v33, v29, 16, 1
	v_or_b32_e32 v57, 0x400000, v29
	v_cmp_u_f32_e32 vcc_lo, v29, v29
	s_delay_alu instid0(VALU_DEP_3) | instskip(SKIP_1) | instid1(VALU_DEP_1)
	v_add3_u32 v33, v33, v29, 0x7fff
	s_wait_alu 0xfffd
	v_cndmask_b32_e32 v29, v33, v57, vcc_lo
	v_lshlrev_b32_e32 v33, 16, v56
	s_delay_alu instid0(VALU_DEP_2) | instskip(NEXT) | instid1(VALU_DEP_2)
	v_and_b32_e32 v29, 0xffff0000, v29
	v_mul_f32_e32 v33, v8, v33
	s_delay_alu instid0(VALU_DEP_1) | instskip(SKIP_2) | instid1(VALU_DEP_3)
	v_bfe_u32 v56, v33, 16, 1
	v_or_b32_e32 v57, 0x400000, v33
	v_cmp_u_f32_e32 vcc_lo, v33, v33
	v_add3_u32 v56, v56, v33, 0x7fff
	s_wait_alu 0xfffd
	s_delay_alu instid0(VALU_DEP_1) | instskip(NEXT) | instid1(VALU_DEP_1)
	v_dual_cndmask_b32 v33, v56, v57 :: v_dual_lshlrev_b32 v56, 16, v59
	v_dual_mul_f32 v56, v4, v56 :: v_dual_and_b32 v33, 0xffff0000, v33
	s_delay_alu instid0(VALU_DEP_1) | instskip(NEXT) | instid1(VALU_DEP_2)
	v_add_f32_e32 v29, v33, v29
	v_bfe_u32 v57, v56, 16, 1
	v_or_b32_e32 v59, 0x400000, v56
	v_cmp_u_f32_e32 vcc_lo, v56, v56
	s_delay_alu instid0(VALU_DEP_3) | instskip(SKIP_1) | instid1(VALU_DEP_1)
	v_add3_u32 v57, v57, v56, 0x7fff
	s_wait_alu 0xfffd
	v_dual_cndmask_b32 v56, v57, v59 :: v_dual_lshlrev_b32 v57, 16, v58
	s_delay_alu instid0(VALU_DEP_1) | instskip(NEXT) | instid1(VALU_DEP_1)
	v_dual_mul_f32 v57, v6, v57 :: v_dual_and_b32 v56, 0xffff0000, v56
	v_bfe_u32 v58, v57, 16, 1
	v_or_b32_e32 v59, 0x400000, v57
	v_cmp_u_f32_e32 vcc_lo, v57, v57
	s_delay_alu instid0(VALU_DEP_3) | instskip(SKIP_1) | instid1(VALU_DEP_1)
	v_add3_u32 v58, v58, v57, 0x7fff
	s_wait_alu 0xfffd
	v_dual_cndmask_b32 v57, v58, v59 :: v_dual_lshlrev_b32 v58, 16, v61
	s_delay_alu instid0(VALU_DEP_1) | instskip(NEXT) | instid1(VALU_DEP_1)
	v_dual_mul_f32 v58, v2, v58 :: v_dual_and_b32 v33, 0xffff0000, v57
	v_add_f32_e32 v33, v33, v56
	s_delay_alu instid0(VALU_DEP_2) | instskip(SKIP_2) | instid1(VALU_DEP_4)
	v_bfe_u32 v59, v58, 16, 1
	v_or_b32_e32 v61, 0x400000, v58
	v_cmp_u_f32_e32 vcc_lo, v58, v58
	v_add_f32_e32 v29, v33, v29
	s_delay_alu instid0(VALU_DEP_4) | instskip(SKIP_1) | instid1(VALU_DEP_1)
	v_add3_u32 v59, v59, v58, 0x7fff
	s_wait_alu 0xfffd
	v_dual_cndmask_b32 v58, v59, v61 :: v_dual_lshlrev_b32 v59, 16, v60
	s_delay_alu instid0(VALU_DEP_1) | instskip(NEXT) | instid1(VALU_DEP_1)
	v_dual_mul_f32 v59, v5, v59 :: v_dual_and_b32 v56, 0xffff0000, v58
	v_bfe_u32 v60, v59, 16, 1
	v_or_b32_e32 v61, 0x400000, v59
	v_cmp_u_f32_e32 vcc_lo, v59, v59
	s_delay_alu instid0(VALU_DEP_3) | instskip(SKIP_1) | instid1(VALU_DEP_1)
	v_add3_u32 v60, v60, v59, 0x7fff
	s_wait_alu 0xfffd
	v_dual_cndmask_b32 v59, v60, v61 :: v_dual_lshlrev_b32 v60, 16, v63
	s_delay_alu instid0(VALU_DEP_1) | instskip(NEXT) | instid1(VALU_DEP_1)
	v_dual_mul_f32 v60, v1, v60 :: v_dual_and_b32 v33, 0xffff0000, v59
	v_add_f32_e32 v33, v33, v56
	s_delay_alu instid0(VALU_DEP_2) | instskip(SKIP_2) | instid1(VALU_DEP_4)
	v_bfe_u32 v61, v60, 16, 1
	v_or_b32_e32 v63, 0x400000, v60
	v_cmp_u_f32_e32 vcc_lo, v60, v60
	v_add_f32_e32 v29, v33, v29
	s_delay_alu instid0(VALU_DEP_4) | instskip(SKIP_1) | instid1(VALU_DEP_1)
	v_add3_u32 v61, v61, v60, 0x7fff
	s_wait_alu 0xfffd
	v_dual_cndmask_b32 v60, v61, v63 :: v_dual_lshlrev_b32 v61, 16, v62
	s_delay_alu instid0(VALU_DEP_1) | instskip(NEXT) | instid1(VALU_DEP_1)
	v_dual_mul_f32 v61, v3, v61 :: v_dual_and_b32 v56, 0xffff0000, v60
	v_bfe_u32 v62, v61, 16, 1
	v_or_b32_e32 v63, 0x400000, v61
	v_cmp_u_f32_e32 vcc_lo, v61, v61
	s_delay_alu instid0(VALU_DEP_3) | instskip(SKIP_1) | instid1(VALU_DEP_1)
	v_add3_u32 v62, v62, v61, 0x7fff
	s_wait_alu 0xfffd
	v_cndmask_b32_e32 v61, v62, v63, vcc_lo
	s_delay_alu instid0(VALU_DEP_1) | instskip(NEXT) | instid1(VALU_DEP_1)
	v_and_b32_e32 v33, 0xffff0000, v61
	v_add_f32_e32 v33, v33, v56
	scratch_load_b32 v56, off, off offset:380 th:TH_LOAD_LU ; 4-byte Folded Reload
	v_add_f32_e32 v29, v33, v29
	s_wait_loadcnt 0x0
	s_delay_alu instid0(VALU_DEP_1) | instskip(NEXT) | instid1(VALU_DEP_1)
	v_dual_add_f32 v56, v56, v29 :: v_dual_lshlrev_b32 v29, 16, v46
	v_mul_f32_e32 v29, v7, v29
	s_delay_alu instid0(VALU_DEP_1) | instskip(SKIP_2) | instid1(VALU_DEP_3)
	v_bfe_u32 v33, v29, 16, 1
	v_or_b32_e32 v46, 0x400000, v29
	v_cmp_u_f32_e32 vcc_lo, v29, v29
	v_add3_u32 v33, v33, v29, 0x7fff
	s_wait_alu 0xfffd
	s_delay_alu instid0(VALU_DEP_1) | instskip(SKIP_1) | instid1(VALU_DEP_2)
	v_cndmask_b32_e32 v29, v33, v46, vcc_lo
	v_lshlrev_b32_e32 v33, 16, v45
	v_and_b32_e32 v29, 0xffff0000, v29
	s_delay_alu instid0(VALU_DEP_2) | instskip(NEXT) | instid1(VALU_DEP_1)
	v_mul_f32_e32 v33, v8, v33
	v_bfe_u32 v45, v33, 16, 1
	v_or_b32_e32 v46, 0x400000, v33
	v_cmp_u_f32_e32 vcc_lo, v33, v33
	s_delay_alu instid0(VALU_DEP_3) | instskip(SKIP_1) | instid1(VALU_DEP_1)
	v_add3_u32 v45, v45, v33, 0x7fff
	s_wait_alu 0xfffd
	v_cndmask_b32_e32 v33, v45, v46, vcc_lo
	v_lshlrev_b32_e32 v45, 16, v48
	s_delay_alu instid0(VALU_DEP_2) | instskip(NEXT) | instid1(VALU_DEP_2)
	v_and_b32_e32 v33, 0xffff0000, v33
	v_mul_f32_e32 v45, v4, v45
	s_delay_alu instid0(VALU_DEP_2) | instskip(NEXT) | instid1(VALU_DEP_2)
	v_add_f32_e32 v29, v33, v29
	v_bfe_u32 v46, v45, 16, 1
	v_or_b32_e32 v48, 0x400000, v45
	v_cmp_u_f32_e32 vcc_lo, v45, v45
	s_delay_alu instid0(VALU_DEP_3) | instskip(SKIP_1) | instid1(VALU_DEP_1)
	v_add3_u32 v46, v46, v45, 0x7fff
	s_wait_alu 0xfffd
	v_dual_cndmask_b32 v45, v46, v48 :: v_dual_lshlrev_b32 v46, 16, v47
	s_delay_alu instid0(VALU_DEP_1) | instskip(NEXT) | instid1(VALU_DEP_1)
	v_dual_mul_f32 v46, v6, v46 :: v_dual_and_b32 v45, 0xffff0000, v45
	v_bfe_u32 v47, v46, 16, 1
	v_or_b32_e32 v48, 0x400000, v46
	v_cmp_u_f32_e32 vcc_lo, v46, v46
	s_delay_alu instid0(VALU_DEP_3) | instskip(SKIP_1) | instid1(VALU_DEP_1)
	v_add3_u32 v47, v47, v46, 0x7fff
	s_wait_alu 0xfffd
	v_dual_cndmask_b32 v46, v47, v48 :: v_dual_lshlrev_b32 v47, 16, v53
	s_delay_alu instid0(VALU_DEP_1) | instskip(NEXT) | instid1(VALU_DEP_2)
	v_and_b32_e32 v33, 0xffff0000, v46
	v_mul_f32_e32 v47, v2, v47
	scratch_load_b32 v46, off, off offset:412 th:TH_LOAD_LU ; 4-byte Folded Reload
	v_add_f32_e32 v33, v33, v45
	v_bfe_u32 v48, v47, 16, 1
	v_or_b32_e32 v53, 0x400000, v47
	v_cmp_u_f32_e32 vcc_lo, v47, v47
	s_delay_alu instid0(VALU_DEP_4) | instskip(NEXT) | instid1(VALU_DEP_4)
	v_add_f32_e32 v29, v33, v29
	v_add3_u32 v48, v48, v47, 0x7fff
	s_wait_alu 0xfffd
	s_delay_alu instid0(VALU_DEP_1) | instskip(SKIP_1) | instid1(VALU_DEP_1)
	v_cndmask_b32_e32 v47, v48, v53, vcc_lo
	v_lshlrev_b32_e32 v48, 16, v49
	v_dual_mul_f32 v48, v5, v48 :: v_dual_and_b32 v45, 0xffff0000, v47
	scratch_load_b32 v47, off, off offset:416 th:TH_LOAD_LU ; 4-byte Folded Reload
	v_bfe_u32 v49, v48, 16, 1
	v_or_b32_e32 v53, 0x400000, v48
	v_cmp_u_f32_e32 vcc_lo, v48, v48
	s_delay_alu instid0(VALU_DEP_3) | instskip(SKIP_1) | instid1(VALU_DEP_1)
	v_add3_u32 v49, v49, v48, 0x7fff
	s_wait_alu 0xfffd
	v_dual_cndmask_b32 v48, v49, v53 :: v_dual_lshlrev_b32 v49, 16, v55
	s_delay_alu instid0(VALU_DEP_1) | instskip(NEXT) | instid1(VALU_DEP_2)
	v_and_b32_e32 v33, 0xffff0000, v48
	v_mul_f32_e32 v49, v1, v49
	s_delay_alu instid0(VALU_DEP_2) | instskip(NEXT) | instid1(VALU_DEP_2)
	v_add_f32_e32 v33, v33, v45
	v_bfe_u32 v53, v49, 16, 1
	v_or_b32_e32 v55, 0x400000, v49
	v_cmp_u_f32_e32 vcc_lo, v49, v49
	s_delay_alu instid0(VALU_DEP_4) | instskip(NEXT) | instid1(VALU_DEP_4)
	v_add_f32_e32 v29, v33, v29
	v_add3_u32 v53, v53, v49, 0x7fff
	s_wait_alu 0xfffd
	s_delay_alu instid0(VALU_DEP_1) | instskip(SKIP_1) | instid1(VALU_DEP_2)
	v_cndmask_b32_e32 v49, v53, v55, vcc_lo
	v_lshlrev_b32_e32 v53, 16, v54
	v_and_b32_e32 v45, 0xffff0000, v49
	s_delay_alu instid0(VALU_DEP_2) | instskip(NEXT) | instid1(VALU_DEP_1)
	v_mul_f32_e32 v53, v3, v53
	v_bfe_u32 v54, v53, 16, 1
	v_or_b32_e32 v55, 0x400000, v53
	v_cmp_u_f32_e32 vcc_lo, v53, v53
	s_delay_alu instid0(VALU_DEP_3) | instskip(SKIP_1) | instid1(VALU_DEP_1)
	v_add3_u32 v54, v54, v53, 0x7fff
	s_wait_alu 0xfffd
	v_cndmask_b32_e32 v53, v54, v55, vcc_lo
	scratch_load_b32 v55, off, off offset:340 th:TH_LOAD_LU ; 4-byte Folded Reload
	v_and_b32_e32 v33, 0xffff0000, v53
	s_delay_alu instid0(VALU_DEP_1) | instskip(SKIP_3) | instid1(VALU_DEP_1)
	v_add_f32_e32 v33, v33, v45
	scratch_load_b32 v45, off, off offset:384 th:TH_LOAD_LU ; 4-byte Folded Reload
	v_add_f32_e32 v29, v33, v29
	s_wait_loadcnt 0x0
	v_add_f32_e32 v45, v45, v29
	v_lshlrev_b32_e32 v29, 16, v34
	s_delay_alu instid0(VALU_DEP_1) | instskip(NEXT) | instid1(VALU_DEP_1)
	v_mul_f32_e32 v29, v7, v29
	v_bfe_u32 v33, v29, 16, 1
	v_or_b32_e32 v34, 0x400000, v29
	v_cmp_u_f32_e32 vcc_lo, v29, v29
	s_delay_alu instid0(VALU_DEP_3) | instskip(SKIP_1) | instid1(VALU_DEP_1)
	v_add3_u32 v33, v33, v29, 0x7fff
	s_wait_alu 0xfffd
	v_cndmask_b32_e32 v29, v33, v34, vcc_lo
	v_bfe_u32 v33, v32, 16, 1
	v_or_b32_e32 v34, 0x400000, v32
	v_cmp_u_f32_e32 vcc_lo, v32, v32
	s_delay_alu instid0(VALU_DEP_4) | instskip(NEXT) | instid1(VALU_DEP_4)
	v_and_b32_e32 v29, 0xffff0000, v29
	v_add3_u32 v33, v33, v32, 0x7fff
	s_wait_alu 0xfffd
	s_delay_alu instid0(VALU_DEP_1) | instskip(NEXT) | instid1(VALU_DEP_1)
	v_dual_cndmask_b32 v32, v33, v34 :: v_dual_lshlrev_b32 v33, 16, v36
	v_dual_mul_f32 v33, v4, v33 :: v_dual_and_b32 v32, 0xffff0000, v32
	s_delay_alu instid0(VALU_DEP_1) | instskip(NEXT) | instid1(VALU_DEP_2)
	v_add_f32_e32 v29, v32, v29
	v_bfe_u32 v34, v33, 16, 1
	v_or_b32_e32 v36, 0x400000, v33
	v_cmp_u_f32_e32 vcc_lo, v33, v33
	s_delay_alu instid0(VALU_DEP_3) | instskip(SKIP_1) | instid1(VALU_DEP_1)
	v_add3_u32 v34, v34, v33, 0x7fff
	s_wait_alu 0xfffd
	v_dual_cndmask_b32 v33, v34, v36 :: v_dual_lshlrev_b32 v34, 16, v35
	s_delay_alu instid0(VALU_DEP_1) | instskip(NEXT) | instid1(VALU_DEP_1)
	v_dual_mul_f32 v34, v6, v34 :: v_dual_and_b32 v33, 0xffff0000, v33
	v_bfe_u32 v35, v34, 16, 1
	v_or_b32_e32 v36, 0x400000, v34
	v_cmp_u_f32_e32 vcc_lo, v34, v34
	s_delay_alu instid0(VALU_DEP_3) | instskip(SKIP_1) | instid1(VALU_DEP_1)
	v_add3_u32 v35, v35, v34, 0x7fff
	s_wait_alu 0xfffd
	v_dual_cndmask_b32 v34, v35, v36 :: v_dual_lshlrev_b32 v35, 16, v38
	s_delay_alu instid0(VALU_DEP_1) | instskip(NEXT) | instid1(VALU_DEP_1)
	v_dual_mul_f32 v35, v2, v35 :: v_dual_and_b32 v32, 0xffff0000, v34
	v_add_f32_e32 v32, v32, v33
	s_delay_alu instid0(VALU_DEP_2) | instskip(SKIP_2) | instid1(VALU_DEP_4)
	v_bfe_u32 v36, v35, 16, 1
	v_or_b32_e32 v38, 0x400000, v35
	v_cmp_u_f32_e32 vcc_lo, v35, v35
	v_add_f32_e32 v29, v32, v29
	s_delay_alu instid0(VALU_DEP_4) | instskip(SKIP_1) | instid1(VALU_DEP_1)
	v_add3_u32 v36, v36, v35, 0x7fff
	s_wait_alu 0xfffd
	v_dual_cndmask_b32 v35, v36, v38 :: v_dual_lshlrev_b32 v36, 16, v37
	s_delay_alu instid0(VALU_DEP_1) | instskip(SKIP_4) | instid1(VALU_DEP_3)
	v_dual_mul_f32 v36, v5, v36 :: v_dual_and_b32 v33, 0xffff0000, v35
	scratch_load_b32 v35, off, off offset:392 th:TH_LOAD_LU ; 4-byte Folded Reload
	v_bfe_u32 v37, v36, 16, 1
	v_or_b32_e32 v38, 0x400000, v36
	v_cmp_u_f32_e32 vcc_lo, v36, v36
	v_add3_u32 v37, v37, v36, 0x7fff
	s_wait_alu 0xfffd
	s_delay_alu instid0(VALU_DEP_1) | instskip(NEXT) | instid1(VALU_DEP_1)
	v_dual_cndmask_b32 v36, v37, v38 :: v_dual_lshlrev_b32 v37, 16, v40
	v_dual_mul_f32 v37, v1, v37 :: v_dual_and_b32 v32, 0xffff0000, v36
	scratch_load_b32 v36, off, off offset:396 th:TH_LOAD_LU ; 4-byte Folded Reload
	v_add_f32_e32 v32, v32, v33
	v_bfe_u32 v38, v37, 16, 1
	v_or_b32_e32 v40, 0x400000, v37
	v_cmp_u_f32_e32 vcc_lo, v37, v37
	s_delay_alu instid0(VALU_DEP_4) | instskip(NEXT) | instid1(VALU_DEP_4)
	v_add_f32_e32 v29, v32, v29
	v_add3_u32 v38, v38, v37, 0x7fff
	s_wait_alu 0xfffd
	s_delay_alu instid0(VALU_DEP_1) | instskip(NEXT) | instid1(VALU_DEP_1)
	v_dual_cndmask_b32 v37, v38, v40 :: v_dual_lshlrev_b32 v38, 16, v39
	v_and_b32_e32 v33, 0xffff0000, v37
	scratch_load_b32 v37, off, off offset:388 th:TH_LOAD_LU ; 4-byte Folded Reload
	v_mul_f32_e32 v38, v3, v38
	s_delay_alu instid0(VALU_DEP_1) | instskip(SKIP_2) | instid1(VALU_DEP_3)
	v_bfe_u32 v39, v38, 16, 1
	v_or_b32_e32 v40, 0x400000, v38
	v_cmp_u_f32_e32 vcc_lo, v38, v38
	v_add3_u32 v39, v39, v38, 0x7fff
	s_wait_alu 0xfffd
	s_delay_alu instid0(VALU_DEP_1)
	v_cndmask_b32_e32 v38, v39, v40, vcc_lo
	s_clause 0x1
	scratch_load_b32 v39, off, off offset:404 th:TH_LOAD_LU
	scratch_load_b32 v40, off, off offset:408 th:TH_LOAD_LU
	v_cmp_u_f32_e32 vcc_lo, v15, v15
	v_and_b32_e32 v32, 0xffff0000, v38
	scratch_load_b32 v38, off, off offset:400 th:TH_LOAD_LU ; 4-byte Folded Reload
	v_add_f32_e32 v32, v32, v33
	s_delay_alu instid0(VALU_DEP_1) | instskip(SKIP_2) | instid1(VALU_DEP_2)
	v_add_f32_e32 v29, v32, v29
	v_or_b32_e32 v32, 0x400000, v15
	s_wait_loadcnt 0x3
	v_add_f32_e32 v37, v37, v29
	v_bfe_u32 v29, v15, 16, 1
	s_delay_alu instid0(VALU_DEP_1) | instskip(SKIP_1) | instid1(VALU_DEP_1)
	v_add3_u32 v29, v29, v15, 0x7fff
	s_wait_alu 0xfffd
	v_cndmask_b32_e32 v15, v29, v32, vcc_lo
	v_bfe_u32 v29, v25, 16, 1
	v_or_b32_e32 v32, 0x400000, v25
	v_cmp_u_f32_e32 vcc_lo, v25, v25
	s_delay_alu instid0(VALU_DEP_4) | instskip(NEXT) | instid1(VALU_DEP_4)
	v_and_b32_e32 v15, 0xffff0000, v15
	v_add3_u32 v29, v29, v25, 0x7fff
	s_wait_alu 0xfffd
	s_delay_alu instid0(VALU_DEP_1) | instskip(SKIP_3) | instid1(VALU_DEP_4)
	v_cndmask_b32_e32 v25, v29, v32, vcc_lo
	v_bfe_u32 v29, v27, 16, 1
	v_or_b32_e32 v32, 0x400000, v27
	v_cmp_u_f32_e32 vcc_lo, v27, v27
	v_and_b32_e32 v25, 0xffff0000, v25
	s_delay_alu instid0(VALU_DEP_4) | instskip(NEXT) | instid1(VALU_DEP_2)
	v_add3_u32 v29, v29, v27, 0x7fff
	v_add_f32_e32 v15, v25, v15
	s_wait_alu 0xfffd
	s_delay_alu instid0(VALU_DEP_2) | instskip(SKIP_3) | instid1(VALU_DEP_4)
	v_cndmask_b32_e32 v27, v29, v32, vcc_lo
	v_bfe_u32 v29, v24, 16, 1
	v_or_b32_e32 v32, 0x400000, v24
	v_cmp_u_f32_e32 vcc_lo, v24, v24
	v_and_b32_e32 v25, 0xffff0000, v27
	s_delay_alu instid0(VALU_DEP_4) | instskip(SKIP_3) | instid1(VALU_DEP_1)
	v_add3_u32 v29, v29, v24, 0x7fff
	scratch_load_b32 v27, off, off offset:436 th:TH_LOAD_LU ; 4-byte Folded Reload
	s_wait_alu 0xfffd
	v_dual_cndmask_b32 v24, v29, v32 :: v_dual_lshlrev_b32 v29, 16, v30
	v_dual_mul_f32 v29, v2, v29 :: v_dual_and_b32 v24, 0xffff0000, v24
	s_delay_alu instid0(VALU_DEP_1) | instskip(NEXT) | instid1(VALU_DEP_2)
	v_add_f32_e32 v24, v24, v25
	v_bfe_u32 v30, v29, 16, 1
	v_or_b32_e32 v32, 0x400000, v29
	v_cmp_u_f32_e32 vcc_lo, v29, v29
	s_delay_alu instid0(VALU_DEP_4) | instskip(NEXT) | instid1(VALU_DEP_4)
	v_add_f32_e32 v15, v24, v15
	v_add3_u32 v30, v30, v29, 0x7fff
	s_wait_alu 0xfffd
	s_delay_alu instid0(VALU_DEP_1) | instskip(SKIP_3) | instid1(VALU_DEP_4)
	v_cndmask_b32_e32 v29, v30, v32, vcc_lo
	v_bfe_u32 v30, v28, 16, 1
	v_or_b32_e32 v32, 0x400000, v28
	v_cmp_u_f32_e32 vcc_lo, v28, v28
	v_and_b32_e32 v25, 0xffff0000, v29
	s_delay_alu instid0(VALU_DEP_4) | instskip(SKIP_4) | instid1(VALU_DEP_2)
	v_add3_u32 v30, v30, v28, 0x7fff
	scratch_load_b32 v29, off, off offset:444 th:TH_LOAD_LU ; 4-byte Folded Reload
	s_wait_alu 0xfffd
	v_cndmask_b32_e32 v28, v30, v32, vcc_lo
	v_lshlrev_b32_e32 v30, 16, v65
	v_and_b32_e32 v24, 0xffff0000, v28
	s_delay_alu instid0(VALU_DEP_2)
	v_mul_f32_e32 v30, v1, v30
	scratch_load_b32 v28, off, off offset:440 th:TH_LOAD_LU ; 4-byte Folded Reload
	v_add_f32_e32 v24, v24, v25
	v_bfe_u32 v32, v30, 16, 1
	v_or_b32_e32 v33, 0x400000, v30
	v_cmp_u_f32_e32 vcc_lo, v30, v30
	s_delay_alu instid0(VALU_DEP_4) | instskip(NEXT) | instid1(VALU_DEP_4)
	v_add_f32_e32 v15, v24, v15
	v_add3_u32 v32, v32, v30, 0x7fff
	s_wait_alu 0xfffd
	s_delay_alu instid0(VALU_DEP_1) | instskip(SKIP_3) | instid1(VALU_DEP_4)
	v_cndmask_b32_e32 v30, v32, v33, vcc_lo
	v_bfe_u32 v32, v31, 16, 1
	v_or_b32_e32 v33, 0x400000, v31
	v_cmp_u_f32_e32 vcc_lo, v31, v31
	v_and_b32_e32 v25, 0xffff0000, v30
	s_delay_alu instid0(VALU_DEP_4)
	v_add3_u32 v32, v32, v31, 0x7fff
	scratch_load_b32 v30, off, off offset:448 th:TH_LOAD_LU ; 4-byte Folded Reload
	s_wait_alu 0xfffd
	v_cndmask_b32_e32 v31, v32, v33, vcc_lo
	v_cmp_u_f32_e32 vcc_lo, v0, v0
	s_clause 0x1
	scratch_load_b32 v32, off, off offset:456 th:TH_LOAD_LU
	scratch_load_b32 v33, off, off offset:460 th:TH_LOAD_LU
	v_and_b32_e32 v24, 0xffff0000, v31
	scratch_load_b32 v31, off, off offset:452 th:TH_LOAD_LU ; 4-byte Folded Reload
	v_add_f32_e32 v24, v24, v25
	s_delay_alu instid0(VALU_DEP_1) | instskip(SKIP_1) | instid1(VALU_DEP_2)
	v_add_f32_e32 v15, v24, v15
	v_or_b32_e32 v24, 0x400000, v0
	v_add_f32_e32 v35, v35, v15
	v_bfe_u32 v15, v0, 16, 1
	s_delay_alu instid0(VALU_DEP_1) | instskip(SKIP_1) | instid1(VALU_DEP_1)
	v_add3_u32 v15, v15, v0, 0x7fff
	s_wait_alu 0xfffd
	v_dual_cndmask_b32 v0, v15, v24 :: v_dual_lshlrev_b32 v15, 16, v17
	s_delay_alu instid0(VALU_DEP_1) | instskip(NEXT) | instid1(VALU_DEP_1)
	v_dual_mul_f32 v15, v8, v15 :: v_dual_and_b32 v0, 0xffff0000, v0
	v_bfe_u32 v17, v15, 16, 1
	v_or_b32_e32 v24, 0x400000, v15
	v_cmp_u_f32_e32 vcc_lo, v15, v15
	s_delay_alu instid0(VALU_DEP_3) | instskip(SKIP_1) | instid1(VALU_DEP_1)
	v_add3_u32 v17, v17, v15, 0x7fff
	s_wait_alu 0xfffd
	v_cndmask_b32_e32 v15, v17, v24, vcc_lo
	v_lshlrev_b32_e32 v17, 16, v20
	s_delay_alu instid0(VALU_DEP_2) | instskip(NEXT) | instid1(VALU_DEP_1)
	v_and_b32_e32 v15, 0xffff0000, v15
	v_dual_mul_f32 v17, v4, v17 :: v_dual_add_f32 v0, v15, v0
	s_delay_alu instid0(VALU_DEP_1) | instskip(SKIP_2) | instid1(VALU_DEP_3)
	v_bfe_u32 v20, v17, 16, 1
	v_or_b32_e32 v24, 0x400000, v17
	v_cmp_u_f32_e32 vcc_lo, v17, v17
	v_add3_u32 v20, v20, v17, 0x7fff
	s_wait_alu 0xfffd
	s_delay_alu instid0(VALU_DEP_1) | instskip(SKIP_3) | instid1(VALU_DEP_4)
	v_cndmask_b32_e32 v17, v20, v24, vcc_lo
	v_bfe_u32 v20, v18, 16, 1
	v_or_b32_e32 v24, 0x400000, v18
	v_cmp_u_f32_e32 vcc_lo, v18, v18
	v_and_b32_e32 v17, 0xffff0000, v17
	s_delay_alu instid0(VALU_DEP_4) | instskip(SKIP_1) | instid1(VALU_DEP_1)
	v_add3_u32 v20, v20, v18, 0x7fff
	s_wait_alu 0xfffd
	v_cndmask_b32_e32 v18, v20, v24, vcc_lo
	v_lshlrev_b32_e32 v20, 16, v21
	s_delay_alu instid0(VALU_DEP_1) | instskip(NEXT) | instid1(VALU_DEP_1)
	v_dual_mul_f32 v20, v2, v20 :: v_dual_and_b32 v15, 0xffff0000, v18
	v_add_f32_e32 v15, v15, v17
	s_delay_alu instid0(VALU_DEP_2) | instskip(SKIP_2) | instid1(VALU_DEP_4)
	v_bfe_u32 v21, v20, 16, 1
	v_or_b32_e32 v24, 0x400000, v20
	v_cmp_u_f32_e32 vcc_lo, v20, v20
	v_add_f32_e32 v0, v15, v0
	s_delay_alu instid0(VALU_DEP_4) | instskip(SKIP_1) | instid1(VALU_DEP_1)
	v_add3_u32 v21, v21, v20, 0x7fff
	s_wait_alu 0xfffd
	v_dual_cndmask_b32 v20, v21, v24 :: v_dual_lshlrev_b32 v21, 16, v26
	scratch_load_b32 v26, off, off offset:432 th:TH_LOAD_LU ; 4-byte Folded Reload
	v_and_b32_e32 v17, 0xffff0000, v20
	v_mul_f32_e32 v21, v5, v21
	s_delay_alu instid0(VALU_DEP_1) | instskip(SKIP_2) | instid1(VALU_DEP_3)
	v_bfe_u32 v24, v21, 16, 1
	v_or_b32_e32 v25, 0x400000, v21
	v_cmp_u_f32_e32 vcc_lo, v21, v21
	v_add3_u32 v24, v24, v21, 0x7fff
	s_wait_alu 0xfffd
	s_delay_alu instid0(VALU_DEP_1) | instskip(SKIP_3) | instid1(VALU_DEP_4)
	v_cndmask_b32_e32 v21, v24, v25, vcc_lo
	v_bfe_u32 v24, v23, 16, 1
	v_or_b32_e32 v25, 0x400000, v23
	v_cmp_u_f32_e32 vcc_lo, v23, v23
	v_and_b32_e32 v15, 0xffff0000, v21
	s_delay_alu instid0(VALU_DEP_4) | instskip(NEXT) | instid1(VALU_DEP_2)
	v_add3_u32 v24, v24, v23, 0x7fff
	v_add_f32_e32 v15, v15, v17
	s_wait_alu 0xfffd
	s_delay_alu instid0(VALU_DEP_2) | instskip(SKIP_3) | instid1(VALU_DEP_4)
	v_cndmask_b32_e32 v23, v24, v25, vcc_lo
	v_bfe_u32 v24, v22, 16, 1
	v_or_b32_e32 v25, 0x400000, v22
	v_cmp_u_f32_e32 vcc_lo, v22, v22
	v_dual_add_f32 v0, v15, v0 :: v_dual_and_b32 v17, 0xffff0000, v23
	s_delay_alu instid0(VALU_DEP_4) | instskip(SKIP_1) | instid1(VALU_DEP_1)
	v_add3_u32 v24, v24, v22, 0x7fff
	s_wait_alu 0xfffd
	v_cndmask_b32_e32 v22, v24, v25, vcc_lo
	s_clause 0x1
	scratch_load_b32 v24, off, off offset:424 th:TH_LOAD_LU
	scratch_load_b32 v25, off, off offset:428 th:TH_LOAD_LU
	v_and_b32_e32 v15, 0xffff0000, v22
	s_delay_alu instid0(VALU_DEP_1) | instskip(NEXT) | instid1(VALU_DEP_1)
	v_add_f32_e32 v15, v15, v17
	v_add_f32_e32 v0, v15, v0
	s_delay_alu instid0(VALU_DEP_1) | instskip(SKIP_1) | instid1(VALU_DEP_1)
	v_add_f32_e32 v36, v36, v0
	v_lshlrev_b32_e32 v0, 16, v190
	v_mul_f32_e32 v0, v7, v0
	s_delay_alu instid0(VALU_DEP_1) | instskip(SKIP_2) | instid1(VALU_DEP_3)
	v_bfe_u32 v15, v0, 16, 1
	v_or_b32_e32 v17, 0x400000, v0
	v_cmp_u_f32_e32 vcc_lo, v0, v0
	v_add3_u32 v15, v15, v0, 0x7fff
	s_wait_alu 0xfffd
	s_delay_alu instid0(VALU_DEP_1) | instskip(SKIP_1) | instid1(VALU_DEP_1)
	v_cndmask_b32_e32 v0, v15, v17, vcc_lo
	v_lshlrev_b32_e32 v15, 16, v189
	v_dual_mul_f32 v15, v8, v15 :: v_dual_and_b32 v0, 0xffff0000, v0
	s_delay_alu instid0(VALU_DEP_1) | instskip(SKIP_2) | instid1(VALU_DEP_3)
	v_bfe_u32 v17, v15, 16, 1
	v_or_b32_e32 v18, 0x400000, v15
	v_cmp_u_f32_e32 vcc_lo, v15, v15
	v_add3_u32 v17, v17, v15, 0x7fff
	s_wait_alu 0xfffd
	s_delay_alu instid0(VALU_DEP_1) | instskip(SKIP_3) | instid1(VALU_DEP_4)
	v_cndmask_b32_e32 v15, v17, v18, vcc_lo
	v_bfe_u32 v17, v14, 16, 1
	v_or_b32_e32 v18, 0x400000, v14
	v_cmp_u_f32_e32 vcc_lo, v14, v14
	v_and_b32_e32 v15, 0xffff0000, v15
	s_delay_alu instid0(VALU_DEP_4) | instskip(NEXT) | instid1(VALU_DEP_2)
	v_add3_u32 v17, v17, v14, 0x7fff
	v_add_f32_e32 v0, v15, v0
	s_wait_alu 0xfffd
	s_delay_alu instid0(VALU_DEP_2) | instskip(NEXT) | instid1(VALU_DEP_1)
	v_dual_cndmask_b32 v14, v17, v18 :: v_dual_lshlrev_b32 v17, 16, v191
	v_dual_mul_f32 v17, v6, v17 :: v_dual_and_b32 v14, 0xffff0000, v14
	s_delay_alu instid0(VALU_DEP_1) | instskip(SKIP_2) | instid1(VALU_DEP_3)
	v_bfe_u32 v18, v17, 16, 1
	v_or_b32_e32 v20, 0x400000, v17
	v_cmp_u_f32_e32 vcc_lo, v17, v17
	v_add3_u32 v18, v18, v17, 0x7fff
	s_wait_alu 0xfffd
	s_delay_alu instid0(VALU_DEP_1) | instskip(NEXT) | instid1(VALU_DEP_1)
	v_dual_cndmask_b32 v17, v18, v20 :: v_dual_lshlrev_b32 v18, 16, v50
	v_dual_mul_f32 v18, v2, v18 :: v_dual_and_b32 v15, 0xffff0000, v17
	s_delay_alu instid0(VALU_DEP_1) | instskip(NEXT) | instid1(VALU_DEP_2)
	v_add_f32_e32 v14, v15, v14
	v_bfe_u32 v20, v18, 16, 1
	v_or_b32_e32 v21, 0x400000, v18
	v_cmp_u_f32_e32 vcc_lo, v18, v18
	s_delay_alu instid0(VALU_DEP_4) | instskip(NEXT) | instid1(VALU_DEP_4)
	v_add_f32_e32 v0, v14, v0
	v_add3_u32 v20, v20, v18, 0x7fff
	s_wait_alu 0xfffd
	s_delay_alu instid0(VALU_DEP_1) | instskip(SKIP_3) | instid1(VALU_DEP_4)
	v_cndmask_b32_e32 v18, v20, v21, vcc_lo
	v_bfe_u32 v20, v16, 16, 1
	v_or_b32_e32 v21, 0x400000, v16
	v_cmp_u_f32_e32 vcc_lo, v16, v16
	v_and_b32_e32 v15, 0xffff0000, v18
	s_delay_alu instid0(VALU_DEP_4) | instskip(SKIP_1) | instid1(VALU_DEP_1)
	v_add3_u32 v20, v20, v16, 0x7fff
	s_wait_alu 0xfffd
	v_cndmask_b32_e32 v16, v20, v21, vcc_lo
	v_lshlrev_b32_e32 v20, 16, v52
	s_delay_alu instid0(VALU_DEP_2) | instskip(NEXT) | instid1(VALU_DEP_2)
	v_and_b32_e32 v14, 0xffff0000, v16
	v_mul_f32_e32 v20, v1, v20
	s_delay_alu instid0(VALU_DEP_2) | instskip(NEXT) | instid1(VALU_DEP_2)
	v_add_f32_e32 v14, v14, v15
	v_bfe_u32 v21, v20, 16, 1
	v_or_b32_e32 v22, 0x400000, v20
	v_cmp_u_f32_e32 vcc_lo, v20, v20
	s_delay_alu instid0(VALU_DEP_4) | instskip(NEXT) | instid1(VALU_DEP_4)
	v_add_f32_e32 v0, v14, v0
	v_add3_u32 v21, v21, v20, 0x7fff
	s_wait_alu 0xfffd
	s_delay_alu instid0(VALU_DEP_1) | instskip(NEXT) | instid1(VALU_DEP_1)
	v_dual_cndmask_b32 v20, v21, v22 :: v_dual_lshlrev_b32 v21, 16, v51
	v_and_b32_e32 v15, 0xffff0000, v20
	s_delay_alu instid0(VALU_DEP_2) | instskip(NEXT) | instid1(VALU_DEP_1)
	v_mul_f32_e32 v21, v3, v21
	v_bfe_u32 v22, v21, 16, 1
	v_or_b32_e32 v23, 0x400000, v21
	v_cmp_u_f32_e32 vcc_lo, v21, v21
	s_delay_alu instid0(VALU_DEP_3) | instskip(SKIP_1) | instid1(VALU_DEP_1)
	v_add3_u32 v22, v22, v21, 0x7fff
	s_wait_alu 0xfffd
	v_cndmask_b32_e32 v21, v22, v23, vcc_lo
	s_delay_alu instid0(VALU_DEP_1) | instskip(NEXT) | instid1(VALU_DEP_1)
	v_and_b32_e32 v14, 0xffff0000, v21
	v_add_f32_e32 v14, v14, v15
	s_delay_alu instid0(VALU_DEP_1) | instskip(SKIP_1) | instid1(VALU_DEP_1)
	v_add_f32_e32 v0, v14, v0
	s_wait_loadcnt 0xa
	v_add_f32_e32 v38, v38, v0
	v_lshlrev_b32_e32 v0, 16, v183
	s_delay_alu instid0(VALU_DEP_1) | instskip(NEXT) | instid1(VALU_DEP_1)
	v_mul_f32_e32 v0, v7, v0
	v_bfe_u32 v14, v0, 16, 1
	v_or_b32_e32 v15, 0x400000, v0
	v_cmp_u_f32_e32 vcc_lo, v0, v0
	s_delay_alu instid0(VALU_DEP_3) | instskip(SKIP_1) | instid1(VALU_DEP_1)
	v_add3_u32 v14, v14, v0, 0x7fff
	s_wait_alu 0xfffd
	v_cndmask_b32_e32 v0, v14, v15, vcc_lo
	v_lshlrev_b32_e32 v14, 16, v181
	s_delay_alu instid0(VALU_DEP_2) | instskip(NEXT) | instid1(VALU_DEP_2)
	v_and_b32_e32 v0, 0xffff0000, v0
	v_mul_f32_e32 v14, v8, v14
	s_delay_alu instid0(VALU_DEP_1) | instskip(SKIP_2) | instid1(VALU_DEP_3)
	v_bfe_u32 v15, v14, 16, 1
	v_or_b32_e32 v16, 0x400000, v14
	v_cmp_u_f32_e32 vcc_lo, v14, v14
	v_add3_u32 v15, v15, v14, 0x7fff
	s_wait_alu 0xfffd
	s_delay_alu instid0(VALU_DEP_1) | instskip(NEXT) | instid1(VALU_DEP_1)
	v_dual_cndmask_b32 v14, v15, v16 :: v_dual_lshlrev_b32 v15, 16, v185
	v_dual_mul_f32 v15, v4, v15 :: v_dual_and_b32 v14, 0xffff0000, v14
	s_delay_alu instid0(VALU_DEP_1) | instskip(NEXT) | instid1(VALU_DEP_2)
	v_add_f32_e32 v0, v14, v0
	v_bfe_u32 v16, v15, 16, 1
	v_or_b32_e32 v17, 0x400000, v15
	v_cmp_u_f32_e32 vcc_lo, v15, v15
	s_delay_alu instid0(VALU_DEP_3) | instskip(SKIP_1) | instid1(VALU_DEP_1)
	v_add3_u32 v16, v16, v15, 0x7fff
	s_wait_alu 0xfffd
	v_dual_cndmask_b32 v15, v16, v17 :: v_dual_lshlrev_b32 v16, 16, v182
	s_delay_alu instid0(VALU_DEP_1) | instskip(NEXT) | instid1(VALU_DEP_1)
	v_dual_mul_f32 v16, v6, v16 :: v_dual_and_b32 v15, 0xffff0000, v15
	v_bfe_u32 v17, v16, 16, 1
	v_or_b32_e32 v18, 0x400000, v16
	v_cmp_u_f32_e32 vcc_lo, v16, v16
	s_delay_alu instid0(VALU_DEP_3) | instskip(SKIP_1) | instid1(VALU_DEP_1)
	v_add3_u32 v17, v17, v16, 0x7fff
	s_wait_alu 0xfffd
	v_dual_cndmask_b32 v16, v17, v18 :: v_dual_lshlrev_b32 v17, 16, v187
	s_delay_alu instid0(VALU_DEP_1) | instskip(NEXT) | instid1(VALU_DEP_1)
	v_dual_mul_f32 v17, v2, v17 :: v_dual_and_b32 v14, 0xffff0000, v16
	v_add_f32_e32 v14, v14, v15
	s_delay_alu instid0(VALU_DEP_2) | instskip(SKIP_2) | instid1(VALU_DEP_4)
	v_bfe_u32 v18, v17, 16, 1
	v_or_b32_e32 v20, 0x400000, v17
	v_cmp_u_f32_e32 vcc_lo, v17, v17
	v_add_f32_e32 v0, v14, v0
	s_delay_alu instid0(VALU_DEP_4) | instskip(SKIP_1) | instid1(VALU_DEP_1)
	v_add3_u32 v18, v18, v17, 0x7fff
	s_wait_alu 0xfffd
	v_cndmask_b32_e32 v17, v18, v20, vcc_lo
	v_lshlrev_b32_e32 v18, 16, v184
	s_delay_alu instid0(VALU_DEP_1) | instskip(NEXT) | instid1(VALU_DEP_1)
	v_dual_mul_f32 v18, v5, v18 :: v_dual_and_b32 v15, 0xffff0000, v17
	v_bfe_u32 v20, v18, 16, 1
	v_or_b32_e32 v21, 0x400000, v18
	v_cmp_u_f32_e32 vcc_lo, v18, v18
	s_delay_alu instid0(VALU_DEP_3) | instskip(SKIP_1) | instid1(VALU_DEP_1)
	v_add3_u32 v20, v20, v18, 0x7fff
	s_wait_alu 0xfffd
	v_cndmask_b32_e32 v18, v20, v21, vcc_lo
	v_lshlrev_b32_e32 v20, 16, v188
	s_delay_alu instid0(VALU_DEP_2) | instskip(NEXT) | instid1(VALU_DEP_2)
	v_and_b32_e32 v14, 0xffff0000, v18
	v_mul_f32_e32 v20, v1, v20
	s_delay_alu instid0(VALU_DEP_2) | instskip(NEXT) | instid1(VALU_DEP_2)
	v_add_f32_e32 v14, v14, v15
	v_bfe_u32 v21, v20, 16, 1
	v_or_b32_e32 v22, 0x400000, v20
	v_cmp_u_f32_e32 vcc_lo, v20, v20
	s_delay_alu instid0(VALU_DEP_4) | instskip(NEXT) | instid1(VALU_DEP_4)
	v_add_f32_e32 v0, v14, v0
	v_add3_u32 v21, v21, v20, 0x7fff
	s_wait_alu 0xfffd
	s_delay_alu instid0(VALU_DEP_1) | instskip(SKIP_1) | instid1(VALU_DEP_2)
	v_cndmask_b32_e32 v20, v21, v22, vcc_lo
	v_lshlrev_b32_e32 v21, 16, v186
	v_and_b32_e32 v15, 0xffff0000, v20
	s_delay_alu instid0(VALU_DEP_2) | instskip(NEXT) | instid1(VALU_DEP_1)
	v_mul_f32_e32 v21, v3, v21
	v_bfe_u32 v22, v21, 16, 1
	v_or_b32_e32 v23, 0x400000, v21
	v_cmp_u_f32_e32 vcc_lo, v21, v21
	s_delay_alu instid0(VALU_DEP_3) | instskip(SKIP_1) | instid1(VALU_DEP_1)
	v_add3_u32 v22, v22, v21, 0x7fff
	s_wait_alu 0xfffd
	v_cndmask_b32_e32 v21, v22, v23, vcc_lo
	s_delay_alu instid0(VALU_DEP_1) | instskip(NEXT) | instid1(VALU_DEP_1)
	v_and_b32_e32 v14, 0xffff0000, v21
	v_add_f32_e32 v14, v14, v15
	s_delay_alu instid0(VALU_DEP_1) | instskip(NEXT) | instid1(VALU_DEP_1)
	v_add_f32_e32 v0, v14, v0
	v_dual_add_f32 v39, v39, v0 :: v_dual_lshlrev_b32 v0, 16, v167
	s_delay_alu instid0(VALU_DEP_1) | instskip(NEXT) | instid1(VALU_DEP_1)
	v_mul_f32_e32 v0, v7, v0
	v_bfe_u32 v14, v0, 16, 1
	v_or_b32_e32 v15, 0x400000, v0
	v_cmp_u_f32_e32 vcc_lo, v0, v0
	s_delay_alu instid0(VALU_DEP_3) | instskip(SKIP_1) | instid1(VALU_DEP_1)
	v_add3_u32 v14, v14, v0, 0x7fff
	s_wait_alu 0xfffd
	v_cndmask_b32_e32 v0, v14, v15, vcc_lo
	v_lshlrev_b32_e32 v14, 16, v165
	s_delay_alu instid0(VALU_DEP_2) | instskip(NEXT) | instid1(VALU_DEP_2)
	v_and_b32_e32 v0, 0xffff0000, v0
	v_mul_f32_e32 v14, v8, v14
	s_delay_alu instid0(VALU_DEP_1) | instskip(SKIP_2) | instid1(VALU_DEP_3)
	v_bfe_u32 v15, v14, 16, 1
	v_or_b32_e32 v16, 0x400000, v14
	v_cmp_u_f32_e32 vcc_lo, v14, v14
	v_add3_u32 v15, v15, v14, 0x7fff
	s_wait_alu 0xfffd
	s_delay_alu instid0(VALU_DEP_1) | instskip(NEXT) | instid1(VALU_DEP_1)
	v_dual_cndmask_b32 v14, v15, v16 :: v_dual_lshlrev_b32 v15, 16, v162
	v_dual_mul_f32 v15, v4, v15 :: v_dual_and_b32 v14, 0xffff0000, v14
	s_delay_alu instid0(VALU_DEP_1) | instskip(NEXT) | instid1(VALU_DEP_2)
	v_add_f32_e32 v0, v14, v0
	v_bfe_u32 v16, v15, 16, 1
	v_or_b32_e32 v17, 0x400000, v15
	v_cmp_u_f32_e32 vcc_lo, v15, v15
	s_delay_alu instid0(VALU_DEP_3) | instskip(SKIP_1) | instid1(VALU_DEP_1)
	v_add3_u32 v16, v16, v15, 0x7fff
	s_wait_alu 0xfffd
	v_dual_cndmask_b32 v15, v16, v17 :: v_dual_lshlrev_b32 v16, 16, v166
	s_delay_alu instid0(VALU_DEP_1) | instskip(NEXT) | instid1(VALU_DEP_1)
	v_dual_mul_f32 v16, v6, v16 :: v_dual_and_b32 v15, 0xffff0000, v15
	v_bfe_u32 v17, v16, 16, 1
	v_or_b32_e32 v18, 0x400000, v16
	v_cmp_u_f32_e32 vcc_lo, v16, v16
	s_delay_alu instid0(VALU_DEP_3) | instskip(SKIP_1) | instid1(VALU_DEP_1)
	v_add3_u32 v17, v17, v16, 0x7fff
	s_wait_alu 0xfffd
	v_dual_cndmask_b32 v16, v17, v18 :: v_dual_lshlrev_b32 v17, 16, v171
	s_delay_alu instid0(VALU_DEP_1) | instskip(NEXT) | instid1(VALU_DEP_1)
	v_dual_mul_f32 v17, v2, v17 :: v_dual_and_b32 v14, 0xffff0000, v16
	v_add_f32_e32 v14, v14, v15
	s_delay_alu instid0(VALU_DEP_2) | instskip(SKIP_2) | instid1(VALU_DEP_4)
	v_bfe_u32 v18, v17, 16, 1
	v_or_b32_e32 v20, 0x400000, v17
	v_cmp_u_f32_e32 vcc_lo, v17, v17
	v_add_f32_e32 v0, v14, v0
	s_delay_alu instid0(VALU_DEP_4) | instskip(SKIP_1) | instid1(VALU_DEP_1)
	v_add3_u32 v18, v18, v17, 0x7fff
	s_wait_alu 0xfffd
	v_cndmask_b32_e32 v17, v18, v20, vcc_lo
	v_lshlrev_b32_e32 v18, 16, v168
	s_delay_alu instid0(VALU_DEP_1) | instskip(NEXT) | instid1(VALU_DEP_1)
	v_dual_mul_f32 v18, v5, v18 :: v_dual_and_b32 v15, 0xffff0000, v17
	v_bfe_u32 v20, v18, 16, 1
	v_or_b32_e32 v21, 0x400000, v18
	v_cmp_u_f32_e32 vcc_lo, v18, v18
	s_delay_alu instid0(VALU_DEP_3) | instskip(SKIP_1) | instid1(VALU_DEP_1)
	v_add3_u32 v20, v20, v18, 0x7fff
	s_wait_alu 0xfffd
	v_cndmask_b32_e32 v18, v20, v21, vcc_lo
	v_lshlrev_b32_e32 v20, 16, v172
	s_delay_alu instid0(VALU_DEP_2) | instskip(NEXT) | instid1(VALU_DEP_2)
	v_and_b32_e32 v14, 0xffff0000, v18
	v_mul_f32_e32 v20, v1, v20
	s_delay_alu instid0(VALU_DEP_2) | instskip(NEXT) | instid1(VALU_DEP_2)
	v_add_f32_e32 v14, v14, v15
	v_bfe_u32 v21, v20, 16, 1
	v_or_b32_e32 v22, 0x400000, v20
	v_cmp_u_f32_e32 vcc_lo, v20, v20
	s_delay_alu instid0(VALU_DEP_4) | instskip(NEXT) | instid1(VALU_DEP_4)
	v_add_f32_e32 v0, v14, v0
	v_add3_u32 v21, v21, v20, 0x7fff
	s_wait_alu 0xfffd
	s_delay_alu instid0(VALU_DEP_1) | instskip(SKIP_1) | instid1(VALU_DEP_2)
	v_cndmask_b32_e32 v20, v21, v22, vcc_lo
	v_lshlrev_b32_e32 v21, 16, v170
	v_and_b32_e32 v15, 0xffff0000, v20
	s_delay_alu instid0(VALU_DEP_2) | instskip(NEXT) | instid1(VALU_DEP_1)
	v_mul_f32_e32 v21, v3, v21
	v_bfe_u32 v22, v21, 16, 1
	v_or_b32_e32 v23, 0x400000, v21
	v_cmp_u_f32_e32 vcc_lo, v21, v21
	s_delay_alu instid0(VALU_DEP_3) | instskip(SKIP_1) | instid1(VALU_DEP_1)
	v_add3_u32 v22, v22, v21, 0x7fff
	s_wait_alu 0xfffd
	v_cndmask_b32_e32 v21, v22, v23, vcc_lo
	scratch_load_b32 v23, off, off offset:420 th:TH_LOAD_LU ; 4-byte Folded Reload
	v_and_b32_e32 v14, 0xffff0000, v21
	s_delay_alu instid0(VALU_DEP_1) | instskip(NEXT) | instid1(VALU_DEP_1)
	v_add_f32_e32 v14, v14, v15
	v_add_f32_e32 v0, v14, v0
	s_delay_alu instid0(VALU_DEP_1) | instskip(SKIP_1) | instid1(VALU_DEP_1)
	v_add_f32_e32 v40, v40, v0
	v_lshlrev_b32_e32 v0, 16, v164
	v_mul_f32_e32 v0, v7, v0
	s_delay_alu instid0(VALU_DEP_1) | instskip(SKIP_2) | instid1(VALU_DEP_3)
	v_bfe_u32 v14, v0, 16, 1
	v_or_b32_e32 v15, 0x400000, v0
	v_cmp_u_f32_e32 vcc_lo, v0, v0
	v_add3_u32 v14, v14, v0, 0x7fff
	s_wait_alu 0xfffd
	s_delay_alu instid0(VALU_DEP_1) | instskip(SKIP_1) | instid1(VALU_DEP_2)
	v_cndmask_b32_e32 v0, v14, v15, vcc_lo
	v_lshlrev_b32_e32 v14, 16, v163
	v_and_b32_e32 v0, 0xffff0000, v0
	s_delay_alu instid0(VALU_DEP_2) | instskip(NEXT) | instid1(VALU_DEP_1)
	v_mul_f32_e32 v14, v8, v14
	v_bfe_u32 v15, v14, 16, 1
	v_or_b32_e32 v16, 0x400000, v14
	v_cmp_u_f32_e32 vcc_lo, v14, v14
	s_delay_alu instid0(VALU_DEP_3) | instskip(SKIP_1) | instid1(VALU_DEP_1)
	v_add3_u32 v15, v15, v14, 0x7fff
	s_wait_alu 0xfffd
	v_dual_cndmask_b32 v14, v15, v16 :: v_dual_lshlrev_b32 v15, 16, v158
	s_delay_alu instid0(VALU_DEP_1) | instskip(NEXT) | instid1(VALU_DEP_1)
	v_dual_mul_f32 v15, v4, v15 :: v_dual_and_b32 v14, 0xffff0000, v14
	v_add_f32_e32 v0, v14, v0
	s_delay_alu instid0(VALU_DEP_2) | instskip(SKIP_2) | instid1(VALU_DEP_3)
	v_bfe_u32 v16, v15, 16, 1
	v_or_b32_e32 v17, 0x400000, v15
	v_cmp_u_f32_e32 vcc_lo, v15, v15
	v_add3_u32 v16, v16, v15, 0x7fff
	s_wait_alu 0xfffd
	s_delay_alu instid0(VALU_DEP_1) | instskip(SKIP_1) | instid1(VALU_DEP_1)
	v_cndmask_b32_e32 v15, v16, v17, vcc_lo
	v_lshlrev_b32_e32 v16, 16, v161
	v_dual_mul_f32 v16, v6, v16 :: v_dual_and_b32 v15, 0xffff0000, v15
	s_delay_alu instid0(VALU_DEP_1) | instskip(SKIP_2) | instid1(VALU_DEP_3)
	v_bfe_u32 v17, v16, 16, 1
	v_or_b32_e32 v18, 0x400000, v16
	v_cmp_u_f32_e32 vcc_lo, v16, v16
	v_add3_u32 v17, v17, v16, 0x7fff
	s_wait_alu 0xfffd
	s_delay_alu instid0(VALU_DEP_1) | instskip(NEXT) | instid1(VALU_DEP_1)
	v_dual_cndmask_b32 v16, v17, v18 :: v_dual_lshlrev_b32 v17, 16, v160
	v_dual_mul_f32 v17, v2, v17 :: v_dual_and_b32 v14, 0xffff0000, v16
	s_delay_alu instid0(VALU_DEP_1) | instskip(NEXT) | instid1(VALU_DEP_2)
	v_add_f32_e32 v14, v14, v15
	v_bfe_u32 v18, v17, 16, 1
	v_or_b32_e32 v20, 0x400000, v17
	v_cmp_u_f32_e32 vcc_lo, v17, v17
	s_delay_alu instid0(VALU_DEP_4) | instskip(NEXT) | instid1(VALU_DEP_4)
	v_add_f32_e32 v0, v14, v0
	v_add3_u32 v18, v18, v17, 0x7fff
	s_wait_alu 0xfffd
	s_delay_alu instid0(VALU_DEP_1) | instskip(NEXT) | instid1(VALU_DEP_1)
	v_dual_cndmask_b32 v17, v18, v20 :: v_dual_lshlrev_b32 v18, 16, v159
	v_dual_mul_f32 v18, v5, v18 :: v_dual_and_b32 v15, 0xffff0000, v17
	s_delay_alu instid0(VALU_DEP_1) | instskip(SKIP_2) | instid1(VALU_DEP_3)
	v_bfe_u32 v20, v18, 16, 1
	v_or_b32_e32 v21, 0x400000, v18
	v_cmp_u_f32_e32 vcc_lo, v18, v18
	v_add3_u32 v20, v20, v18, 0x7fff
	s_wait_alu 0xfffd
	s_delay_alu instid0(VALU_DEP_1) | instskip(SKIP_1) | instid1(VALU_DEP_2)
	v_cndmask_b32_e32 v18, v20, v21, vcc_lo
	v_lshlrev_b32_e32 v20, 16, v157
	v_and_b32_e32 v14, 0xffff0000, v18
	s_delay_alu instid0(VALU_DEP_2) | instskip(NEXT) | instid1(VALU_DEP_2)
	v_mul_f32_e32 v20, v1, v20
	v_add_f32_e32 v14, v14, v15
	s_delay_alu instid0(VALU_DEP_2) | instskip(SKIP_2) | instid1(VALU_DEP_4)
	v_bfe_u32 v21, v20, 16, 1
	v_or_b32_e32 v22, 0x400000, v20
	v_cmp_u_f32_e32 vcc_lo, v20, v20
	v_add_f32_e32 v0, v14, v0
	s_delay_alu instid0(VALU_DEP_4) | instskip(SKIP_1) | instid1(VALU_DEP_1)
	v_add3_u32 v21, v21, v20, 0x7fff
	s_wait_alu 0xfffd
	v_cndmask_b32_e32 v20, v21, v22, vcc_lo
	v_bfe_u32 v21, v9, 16, 1
	v_or_b32_e32 v22, 0x400000, v9
	v_cmp_u_f32_e32 vcc_lo, v9, v9
	s_delay_alu instid0(VALU_DEP_4) | instskip(NEXT) | instid1(VALU_DEP_4)
	v_and_b32_e32 v14, 0xffff0000, v20
	v_add3_u32 v21, v21, v9, 0x7fff
	s_wait_alu 0xfffd
	s_delay_alu instid0(VALU_DEP_1) | instskip(NEXT) | instid1(VALU_DEP_1)
	v_cndmask_b32_e32 v9, v21, v22, vcc_lo
	v_and_b32_e32 v9, 0xffff0000, v9
	s_delay_alu instid0(VALU_DEP_1) | instskip(NEXT) | instid1(VALU_DEP_1)
	v_add_f32_e32 v9, v9, v14
	v_add_f32_e32 v0, v9, v0
	s_delay_alu instid0(VALU_DEP_1) | instskip(SKIP_1) | instid1(VALU_DEP_1)
	v_add_f32_e32 v46, v46, v0
	v_lshlrev_b32_e32 v0, 16, v156
	v_mul_f32_e32 v0, v7, v0
	s_delay_alu instid0(VALU_DEP_1) | instskip(SKIP_2) | instid1(VALU_DEP_3)
	v_bfe_u32 v9, v0, 16, 1
	v_or_b32_e32 v14, 0x400000, v0
	v_cmp_u_f32_e32 vcc_lo, v0, v0
	v_add3_u32 v9, v9, v0, 0x7fff
	s_wait_alu 0xfffd
	s_delay_alu instid0(VALU_DEP_1) | instskip(NEXT) | instid1(VALU_DEP_1)
	v_dual_cndmask_b32 v0, v9, v14 :: v_dual_lshlrev_b32 v9, 16, v169
	v_dual_mul_f32 v9, v8, v9 :: v_dual_and_b32 v0, 0xffff0000, v0
	s_delay_alu instid0(VALU_DEP_1) | instskip(SKIP_2) | instid1(VALU_DEP_3)
	v_bfe_u32 v14, v9, 16, 1
	v_or_b32_e32 v15, 0x400000, v9
	v_cmp_u_f32_e32 vcc_lo, v9, v9
	v_add3_u32 v14, v14, v9, 0x7fff
	s_wait_alu 0xfffd
	s_delay_alu instid0(VALU_DEP_1) | instskip(NEXT) | instid1(VALU_DEP_1)
	v_dual_cndmask_b32 v9, v14, v15 :: v_dual_lshlrev_b32 v14, 16, v136
	v_dual_mul_f32 v14, v4, v14 :: v_dual_and_b32 v9, 0xffff0000, v9
	s_delay_alu instid0(VALU_DEP_1) | instskip(NEXT) | instid1(VALU_DEP_2)
	v_add_f32_e32 v0, v9, v0
	v_bfe_u32 v15, v14, 16, 1
	v_or_b32_e32 v16, 0x400000, v14
	v_cmp_u_f32_e32 vcc_lo, v14, v14
	s_delay_alu instid0(VALU_DEP_3) | instskip(SKIP_1) | instid1(VALU_DEP_1)
	v_add3_u32 v15, v15, v14, 0x7fff
	s_wait_alu 0xfffd
	v_dual_cndmask_b32 v14, v15, v16 :: v_dual_lshlrev_b32 v15, 16, v154
	s_delay_alu instid0(VALU_DEP_1) | instskip(NEXT) | instid1(VALU_DEP_1)
	v_dual_mul_f32 v15, v6, v15 :: v_dual_and_b32 v14, 0xffff0000, v14
	v_bfe_u32 v16, v15, 16, 1
	v_or_b32_e32 v17, 0x400000, v15
	v_cmp_u_f32_e32 vcc_lo, v15, v15
	s_delay_alu instid0(VALU_DEP_3) | instskip(SKIP_1) | instid1(VALU_DEP_1)
	v_add3_u32 v16, v16, v15, 0x7fff
	s_wait_alu 0xfffd
	v_cndmask_b32_e32 v15, v16, v17, vcc_lo
	v_lshlrev_b32_e32 v16, 16, v153
	s_delay_alu instid0(VALU_DEP_1) | instskip(NEXT) | instid1(VALU_DEP_1)
	v_dual_mul_f32 v16, v2, v16 :: v_dual_and_b32 v9, 0xffff0000, v15
	v_add_f32_e32 v9, v9, v14
	s_delay_alu instid0(VALU_DEP_2) | instskip(SKIP_2) | instid1(VALU_DEP_4)
	v_bfe_u32 v17, v16, 16, 1
	v_or_b32_e32 v18, 0x400000, v16
	v_cmp_u_f32_e32 vcc_lo, v16, v16
	v_add_f32_e32 v0, v9, v0
	s_delay_alu instid0(VALU_DEP_4) | instskip(SKIP_1) | instid1(VALU_DEP_1)
	v_add3_u32 v17, v17, v16, 0x7fff
	s_wait_alu 0xfffd
	v_dual_cndmask_b32 v16, v17, v18 :: v_dual_lshlrev_b32 v17, 16, v151
	s_delay_alu instid0(VALU_DEP_1) | instskip(NEXT) | instid1(VALU_DEP_1)
	v_dual_mul_f32 v17, v5, v17 :: v_dual_and_b32 v14, 0xffff0000, v16
	v_bfe_u32 v18, v17, 16, 1
	v_or_b32_e32 v20, 0x400000, v17
	v_cmp_u_f32_e32 vcc_lo, v17, v17
	s_delay_alu instid0(VALU_DEP_3) | instskip(SKIP_1) | instid1(VALU_DEP_1)
	v_add3_u32 v18, v18, v17, 0x7fff
	s_wait_alu 0xfffd
	v_dual_cndmask_b32 v17, v18, v20 :: v_dual_lshlrev_b32 v18, 16, v150
	s_delay_alu instid0(VALU_DEP_1) | instskip(NEXT) | instid1(VALU_DEP_1)
	v_dual_mul_f32 v18, v1, v18 :: v_dual_and_b32 v9, 0xffff0000, v17
	v_add_f32_e32 v9, v9, v14
	s_delay_alu instid0(VALU_DEP_2) | instskip(SKIP_2) | instid1(VALU_DEP_4)
	v_bfe_u32 v20, v18, 16, 1
	v_or_b32_e32 v21, 0x400000, v18
	v_cmp_u_f32_e32 vcc_lo, v18, v18
	v_add_f32_e32 v0, v9, v0
	s_delay_alu instid0(VALU_DEP_4) | instskip(SKIP_1) | instid1(VALU_DEP_1)
	v_add3_u32 v20, v20, v18, 0x7fff
	s_wait_alu 0xfffd
	v_cndmask_b32_e32 v18, v20, v21, vcc_lo
	v_lshlrev_b32_e32 v20, 16, v152
	s_delay_alu instid0(VALU_DEP_2) | instskip(NEXT) | instid1(VALU_DEP_2)
	v_and_b32_e32 v14, 0xffff0000, v18
	v_mul_f32_e32 v20, v3, v20
	s_delay_alu instid0(VALU_DEP_1) | instskip(SKIP_2) | instid1(VALU_DEP_3)
	v_bfe_u32 v21, v20, 16, 1
	v_or_b32_e32 v22, 0x400000, v20
	v_cmp_u_f32_e32 vcc_lo, v20, v20
	v_add3_u32 v21, v21, v20, 0x7fff
	s_wait_alu 0xfffd
	s_delay_alu instid0(VALU_DEP_1) | instskip(NEXT) | instid1(VALU_DEP_1)
	v_cndmask_b32_e32 v20, v21, v22, vcc_lo
	v_and_b32_e32 v9, 0xffff0000, v20
	s_delay_alu instid0(VALU_DEP_1) | instskip(NEXT) | instid1(VALU_DEP_1)
	v_add_f32_e32 v9, v9, v14
	v_add_f32_e32 v0, v9, v0
	s_delay_alu instid0(VALU_DEP_1) | instskip(NEXT) | instid1(VALU_DEP_1)
	v_dual_add_f32 v47, v47, v0 :: v_dual_lshlrev_b32 v0, 16, v149
	v_mul_f32_e32 v0, v7, v0
	s_delay_alu instid0(VALU_DEP_1) | instskip(SKIP_2) | instid1(VALU_DEP_3)
	v_bfe_u32 v9, v0, 16, 1
	v_or_b32_e32 v14, 0x400000, v0
	v_cmp_u_f32_e32 vcc_lo, v0, v0
	v_add3_u32 v9, v9, v0, 0x7fff
	s_wait_alu 0xfffd
	s_delay_alu instid0(VALU_DEP_1) | instskip(NEXT) | instid1(VALU_DEP_1)
	v_dual_cndmask_b32 v0, v9, v14 :: v_dual_lshlrev_b32 v9, 16, v148
	v_dual_mul_f32 v9, v8, v9 :: v_dual_and_b32 v0, 0xffff0000, v0
	s_delay_alu instid0(VALU_DEP_1) | instskip(SKIP_2) | instid1(VALU_DEP_3)
	v_bfe_u32 v14, v9, 16, 1
	v_or_b32_e32 v15, 0x400000, v9
	v_cmp_u_f32_e32 vcc_lo, v9, v9
	v_add3_u32 v14, v14, v9, 0x7fff
	s_wait_alu 0xfffd
	s_delay_alu instid0(VALU_DEP_1) | instskip(SKIP_1) | instid1(VALU_DEP_1)
	v_cndmask_b32_e32 v9, v14, v15, vcc_lo
	v_lshlrev_b32_e32 v14, 16, v147
	v_dual_mul_f32 v14, v4, v14 :: v_dual_and_b32 v9, 0xffff0000, v9
	s_delay_alu instid0(VALU_DEP_1) | instskip(NEXT) | instid1(VALU_DEP_2)
	v_add_f32_e32 v0, v9, v0
	v_bfe_u32 v15, v14, 16, 1
	v_or_b32_e32 v16, 0x400000, v14
	v_cmp_u_f32_e32 vcc_lo, v14, v14
	s_delay_alu instid0(VALU_DEP_3) | instskip(SKIP_1) | instid1(VALU_DEP_1)
	v_add3_u32 v15, v15, v14, 0x7fff
	s_wait_alu 0xfffd
	v_dual_cndmask_b32 v14, v15, v16 :: v_dual_lshlrev_b32 v15, 16, v146
	s_delay_alu instid0(VALU_DEP_1) | instskip(NEXT) | instid1(VALU_DEP_1)
	v_dual_mul_f32 v15, v6, v15 :: v_dual_and_b32 v14, 0xffff0000, v14
	v_bfe_u32 v16, v15, 16, 1
	v_or_b32_e32 v17, 0x400000, v15
	v_cmp_u_f32_e32 vcc_lo, v15, v15
	s_delay_alu instid0(VALU_DEP_3) | instskip(SKIP_1) | instid1(VALU_DEP_1)
	v_add3_u32 v16, v16, v15, 0x7fff
	s_wait_alu 0xfffd
	v_cndmask_b32_e32 v15, v16, v17, vcc_lo
	v_lshlrev_b32_e32 v16, 16, v145
	s_delay_alu instid0(VALU_DEP_1) | instskip(NEXT) | instid1(VALU_DEP_1)
	v_dual_mul_f32 v16, v2, v16 :: v_dual_and_b32 v9, 0xffff0000, v15
	v_add_f32_e32 v9, v9, v14
	s_delay_alu instid0(VALU_DEP_2) | instskip(SKIP_2) | instid1(VALU_DEP_4)
	v_bfe_u32 v17, v16, 16, 1
	v_or_b32_e32 v18, 0x400000, v16
	v_cmp_u_f32_e32 vcc_lo, v16, v16
	v_add_f32_e32 v0, v9, v0
	s_delay_alu instid0(VALU_DEP_4) | instskip(SKIP_1) | instid1(VALU_DEP_1)
	v_add3_u32 v17, v17, v16, 0x7fff
	s_wait_alu 0xfffd
	v_dual_cndmask_b32 v16, v17, v18 :: v_dual_lshlrev_b32 v17, 16, v144
	s_delay_alu instid0(VALU_DEP_1) | instskip(NEXT) | instid1(VALU_DEP_1)
	v_dual_mul_f32 v17, v5, v17 :: v_dual_and_b32 v14, 0xffff0000, v16
	v_bfe_u32 v18, v17, 16, 1
	v_or_b32_e32 v20, 0x400000, v17
	v_cmp_u_f32_e32 vcc_lo, v17, v17
	s_delay_alu instid0(VALU_DEP_3) | instskip(SKIP_1) | instid1(VALU_DEP_1)
	v_add3_u32 v18, v18, v17, 0x7fff
	s_wait_alu 0xfffd
	v_dual_cndmask_b32 v17, v18, v20 :: v_dual_lshlrev_b32 v18, 16, v143
	s_delay_alu instid0(VALU_DEP_1) | instskip(NEXT) | instid1(VALU_DEP_1)
	v_dual_mul_f32 v18, v1, v18 :: v_dual_and_b32 v9, 0xffff0000, v17
	v_add_f32_e32 v9, v9, v14
	s_delay_alu instid0(VALU_DEP_2) | instskip(SKIP_2) | instid1(VALU_DEP_4)
	v_bfe_u32 v20, v18, 16, 1
	v_or_b32_e32 v21, 0x400000, v18
	v_cmp_u_f32_e32 vcc_lo, v18, v18
	v_add_f32_e32 v0, v9, v0
	s_delay_alu instid0(VALU_DEP_4) | instskip(SKIP_1) | instid1(VALU_DEP_1)
	v_add3_u32 v20, v20, v18, 0x7fff
	s_wait_alu 0xfffd
	v_cndmask_b32_e32 v18, v20, v21, vcc_lo
	v_lshlrev_b32_e32 v20, 16, v142
	s_delay_alu instid0(VALU_DEP_2) | instskip(NEXT) | instid1(VALU_DEP_2)
	v_and_b32_e32 v14, 0xffff0000, v18
	v_mul_f32_e32 v20, v3, v20
	s_delay_alu instid0(VALU_DEP_1) | instskip(SKIP_2) | instid1(VALU_DEP_3)
	v_bfe_u32 v21, v20, 16, 1
	v_or_b32_e32 v22, 0x400000, v20
	v_cmp_u_f32_e32 vcc_lo, v20, v20
	v_add3_u32 v21, v21, v20, 0x7fff
	s_wait_alu 0xfffd
	s_delay_alu instid0(VALU_DEP_1) | instskip(NEXT) | instid1(VALU_DEP_1)
	v_cndmask_b32_e32 v20, v21, v22, vcc_lo
	v_and_b32_e32 v9, 0xffff0000, v20
	s_delay_alu instid0(VALU_DEP_1) | instskip(NEXT) | instid1(VALU_DEP_1)
	v_add_f32_e32 v9, v9, v14
	v_add_f32_e32 v0, v9, v0
	s_wait_loadcnt 0x0
	s_delay_alu instid0(VALU_DEP_1) | instskip(NEXT) | instid1(VALU_DEP_1)
	v_dual_add_f32 v23, v23, v0 :: v_dual_lshlrev_b32 v0, 16, v141
	v_mul_f32_e32 v0, v7, v0
	s_delay_alu instid0(VALU_DEP_1) | instskip(SKIP_2) | instid1(VALU_DEP_3)
	v_bfe_u32 v9, v0, 16, 1
	v_or_b32_e32 v14, 0x400000, v0
	v_cmp_u_f32_e32 vcc_lo, v0, v0
	v_add3_u32 v9, v9, v0, 0x7fff
	s_wait_alu 0xfffd
	s_delay_alu instid0(VALU_DEP_1) | instskip(NEXT) | instid1(VALU_DEP_1)
	v_dual_cndmask_b32 v0, v9, v14 :: v_dual_lshlrev_b32 v9, 16, v155
	v_dual_mul_f32 v9, v8, v9 :: v_dual_and_b32 v0, 0xffff0000, v0
	s_delay_alu instid0(VALU_DEP_1) | instskip(SKIP_2) | instid1(VALU_DEP_3)
	v_bfe_u32 v14, v9, 16, 1
	v_or_b32_e32 v15, 0x400000, v9
	v_cmp_u_f32_e32 vcc_lo, v9, v9
	v_add3_u32 v14, v14, v9, 0x7fff
	s_wait_alu 0xfffd
	s_delay_alu instid0(VALU_DEP_1) | instskip(NEXT) | instid1(VALU_DEP_1)
	v_dual_cndmask_b32 v9, v14, v15 :: v_dual_lshlrev_b32 v14, 16, v140
	v_dual_mul_f32 v14, v4, v14 :: v_dual_and_b32 v9, 0xffff0000, v9
	s_delay_alu instid0(VALU_DEP_1) | instskip(NEXT) | instid1(VALU_DEP_2)
	v_add_f32_e32 v0, v9, v0
	v_bfe_u32 v15, v14, 16, 1
	v_or_b32_e32 v16, 0x400000, v14
	v_cmp_u_f32_e32 vcc_lo, v14, v14
	s_delay_alu instid0(VALU_DEP_3) | instskip(SKIP_1) | instid1(VALU_DEP_1)
	v_add3_u32 v15, v15, v14, 0x7fff
	s_wait_alu 0xfffd
	v_cndmask_b32_e32 v14, v15, v16, vcc_lo
	scratch_load_b32 v15, off, off offset:336 th:TH_LOAD_LU ; 4-byte Folded Reload
	v_and_b32_e32 v14, 0xffff0000, v14
	s_wait_loadcnt 0x0
	v_lshlrev_b32_e32 v15, 16, v15
	s_delay_alu instid0(VALU_DEP_1) | instskip(NEXT) | instid1(VALU_DEP_1)
	v_mul_f32_e32 v15, v6, v15
	v_bfe_u32 v16, v15, 16, 1
	v_or_b32_e32 v17, 0x400000, v15
	v_cmp_u_f32_e32 vcc_lo, v15, v15
	s_delay_alu instid0(VALU_DEP_3) | instskip(SKIP_1) | instid1(VALU_DEP_1)
	v_add3_u32 v16, v16, v15, 0x7fff
	s_wait_alu 0xfffd
	v_cndmask_b32_e32 v15, v16, v17, vcc_lo
	scratch_load_b32 v16, off, off offset:332 th:TH_LOAD_LU ; 4-byte Folded Reload
	v_and_b32_e32 v9, 0xffff0000, v15
	s_delay_alu instid0(VALU_DEP_1) | instskip(NEXT) | instid1(VALU_DEP_1)
	v_add_f32_e32 v9, v9, v14
	v_add_f32_e32 v0, v9, v0
	s_wait_loadcnt 0x0
	v_lshlrev_b32_e32 v16, 16, v16
	s_delay_alu instid0(VALU_DEP_1) | instskip(NEXT) | instid1(VALU_DEP_1)
	v_mul_f32_e32 v16, v2, v16
	v_bfe_u32 v17, v16, 16, 1
	v_or_b32_e32 v18, 0x400000, v16
	v_cmp_u_f32_e32 vcc_lo, v16, v16
	s_delay_alu instid0(VALU_DEP_3) | instskip(SKIP_1) | instid1(VALU_DEP_1)
	v_add3_u32 v17, v17, v16, 0x7fff
	s_wait_alu 0xfffd
	v_cndmask_b32_e32 v16, v17, v18, vcc_lo
	scratch_load_b32 v17, off, off offset:328 th:TH_LOAD_LU ; 4-byte Folded Reload
	v_and_b32_e32 v14, 0xffff0000, v16
	s_wait_loadcnt 0x0
	v_lshlrev_b32_e32 v17, 16, v17
	s_delay_alu instid0(VALU_DEP_1) | instskip(NEXT) | instid1(VALU_DEP_1)
	v_mul_f32_e32 v17, v5, v17
	v_bfe_u32 v18, v17, 16, 1
	v_or_b32_e32 v20, 0x400000, v17
	v_cmp_u_f32_e32 vcc_lo, v17, v17
	s_delay_alu instid0(VALU_DEP_3) | instskip(SKIP_1) | instid1(VALU_DEP_1)
	v_add3_u32 v18, v18, v17, 0x7fff
	s_wait_alu 0xfffd
	v_cndmask_b32_e32 v17, v18, v20, vcc_lo
	scratch_load_b32 v18, off, off offset:324 th:TH_LOAD_LU ; 4-byte Folded Reload
	v_and_b32_e32 v9, 0xffff0000, v17
	s_delay_alu instid0(VALU_DEP_1) | instskip(NEXT) | instid1(VALU_DEP_1)
	v_add_f32_e32 v9, v9, v14
	v_add_f32_e32 v0, v9, v0
	s_wait_loadcnt 0x0
	v_lshlrev_b32_e32 v18, 16, v18
	s_delay_alu instid0(VALU_DEP_1) | instskip(NEXT) | instid1(VALU_DEP_1)
	v_mul_f32_e32 v18, v1, v18
	v_bfe_u32 v20, v18, 16, 1
	v_or_b32_e32 v21, 0x400000, v18
	v_cmp_u_f32_e32 vcc_lo, v18, v18
	s_delay_alu instid0(VALU_DEP_3) | instskip(SKIP_1) | instid1(VALU_DEP_1)
	v_add3_u32 v20, v20, v18, 0x7fff
	s_wait_alu 0xfffd
	v_cndmask_b32_e32 v18, v20, v21, vcc_lo
	scratch_load_b32 v20, off, off offset:320 th:TH_LOAD_LU ; 4-byte Folded Reload
	v_and_b32_e32 v14, 0xffff0000, v18
	s_wait_loadcnt 0x0
	v_lshlrev_b32_e32 v20, 16, v20
	s_delay_alu instid0(VALU_DEP_1) | instskip(NEXT) | instid1(VALU_DEP_1)
	v_mul_f32_e32 v20, v3, v20
	v_bfe_u32 v21, v20, 16, 1
	v_or_b32_e32 v22, 0x400000, v20
	v_cmp_u_f32_e32 vcc_lo, v20, v20
	s_delay_alu instid0(VALU_DEP_3) | instskip(SKIP_1) | instid1(VALU_DEP_1)
	v_add3_u32 v21, v21, v20, 0x7fff
	s_wait_alu 0xfffd
	v_cndmask_b32_e32 v20, v21, v22, vcc_lo
	s_delay_alu instid0(VALU_DEP_1) | instskip(NEXT) | instid1(VALU_DEP_1)
	v_and_b32_e32 v9, 0xffff0000, v20
	v_add_f32_e32 v9, v9, v14
	s_delay_alu instid0(VALU_DEP_1) | instskip(NEXT) | instid1(VALU_DEP_1)
	v_add_f32_e32 v0, v9, v0
	v_add_f32_e32 v24, v24, v0
	scratch_load_b32 v0, off, off offset:316 th:TH_LOAD_LU ; 4-byte Folded Reload
	s_wait_loadcnt 0x0
	v_lshlrev_b32_e32 v0, 16, v0
	s_delay_alu instid0(VALU_DEP_1) | instskip(NEXT) | instid1(VALU_DEP_1)
	v_mul_f32_e32 v0, v7, v0
	v_bfe_u32 v9, v0, 16, 1
	v_or_b32_e32 v14, 0x400000, v0
	v_cmp_u_f32_e32 vcc_lo, v0, v0
	s_delay_alu instid0(VALU_DEP_3) | instskip(SKIP_1) | instid1(VALU_DEP_1)
	v_add3_u32 v9, v9, v0, 0x7fff
	s_wait_alu 0xfffd
	v_cndmask_b32_e32 v0, v9, v14, vcc_lo
	scratch_load_b32 v9, off, off offset:312 th:TH_LOAD_LU ; 4-byte Folded Reload
	v_and_b32_e32 v0, 0xffff0000, v0
	s_wait_loadcnt 0x0
	v_lshlrev_b32_e32 v9, 16, v9
	s_delay_alu instid0(VALU_DEP_1) | instskip(NEXT) | instid1(VALU_DEP_1)
	v_mul_f32_e32 v9, v8, v9
	v_bfe_u32 v14, v9, 16, 1
	v_or_b32_e32 v15, 0x400000, v9
	v_cmp_u_f32_e32 vcc_lo, v9, v9
	s_delay_alu instid0(VALU_DEP_3) | instskip(SKIP_1) | instid1(VALU_DEP_1)
	v_add3_u32 v14, v14, v9, 0x7fff
	s_wait_alu 0xfffd
	v_cndmask_b32_e32 v9, v14, v15, vcc_lo
	scratch_load_b32 v14, off, off offset:308 th:TH_LOAD_LU ; 4-byte Folded Reload
	v_and_b32_e32 v9, 0xffff0000, v9
	s_delay_alu instid0(VALU_DEP_1) | instskip(SKIP_2) | instid1(VALU_DEP_1)
	v_add_f32_e32 v0, v9, v0
	s_wait_loadcnt 0x0
	v_lshlrev_b32_e32 v14, 16, v14
	v_mul_f32_e32 v14, v4, v14
	s_delay_alu instid0(VALU_DEP_1) | instskip(SKIP_2) | instid1(VALU_DEP_3)
	v_bfe_u32 v15, v14, 16, 1
	v_or_b32_e32 v16, 0x400000, v14
	v_cmp_u_f32_e32 vcc_lo, v14, v14
	v_add3_u32 v15, v15, v14, 0x7fff
	s_wait_alu 0xfffd
	s_delay_alu instid0(VALU_DEP_1) | instskip(SKIP_4) | instid1(VALU_DEP_1)
	v_cndmask_b32_e32 v14, v15, v16, vcc_lo
	scratch_load_b32 v15, off, off offset:304 th:TH_LOAD_LU ; 4-byte Folded Reload
	v_and_b32_e32 v14, 0xffff0000, v14
	s_wait_loadcnt 0x0
	v_lshlrev_b32_e32 v15, 16, v15
	v_mul_f32_e32 v15, v6, v15
	s_delay_alu instid0(VALU_DEP_1) | instskip(SKIP_2) | instid1(VALU_DEP_3)
	v_bfe_u32 v16, v15, 16, 1
	v_or_b32_e32 v17, 0x400000, v15
	v_cmp_u_f32_e32 vcc_lo, v15, v15
	v_add3_u32 v16, v16, v15, 0x7fff
	s_wait_alu 0xfffd
	s_delay_alu instid0(VALU_DEP_1) | instskip(SKIP_2) | instid1(VALU_DEP_1)
	v_cndmask_b32_e32 v15, v16, v17, vcc_lo
	scratch_load_b32 v16, off, off offset:300 th:TH_LOAD_LU ; 4-byte Folded Reload
	v_and_b32_e32 v9, 0xffff0000, v15
	v_add_f32_e32 v9, v9, v14
	s_delay_alu instid0(VALU_DEP_1) | instskip(SKIP_2) | instid1(VALU_DEP_1)
	v_add_f32_e32 v0, v9, v0
	s_wait_loadcnt 0x0
	v_lshlrev_b32_e32 v16, 16, v16
	v_mul_f32_e32 v16, v2, v16
	s_delay_alu instid0(VALU_DEP_1) | instskip(SKIP_2) | instid1(VALU_DEP_3)
	v_bfe_u32 v17, v16, 16, 1
	v_or_b32_e32 v18, 0x400000, v16
	v_cmp_u_f32_e32 vcc_lo, v16, v16
	v_add3_u32 v17, v17, v16, 0x7fff
	s_wait_alu 0xfffd
	s_delay_alu instid0(VALU_DEP_1) | instskip(SKIP_4) | instid1(VALU_DEP_1)
	v_cndmask_b32_e32 v16, v17, v18, vcc_lo
	scratch_load_b32 v17, off, off offset:296 th:TH_LOAD_LU ; 4-byte Folded Reload
	v_and_b32_e32 v14, 0xffff0000, v16
	s_wait_loadcnt 0x0
	v_lshlrev_b32_e32 v17, 16, v17
	v_mul_f32_e32 v17, v5, v17
	s_delay_alu instid0(VALU_DEP_1) | instskip(SKIP_2) | instid1(VALU_DEP_3)
	v_bfe_u32 v18, v17, 16, 1
	v_or_b32_e32 v20, 0x400000, v17
	v_cmp_u_f32_e32 vcc_lo, v17, v17
	v_add3_u32 v18, v18, v17, 0x7fff
	s_wait_alu 0xfffd
	s_delay_alu instid0(VALU_DEP_1) | instskip(SKIP_2) | instid1(VALU_DEP_1)
	v_cndmask_b32_e32 v17, v18, v20, vcc_lo
	scratch_load_b32 v18, off, off offset:292 th:TH_LOAD_LU ; 4-byte Folded Reload
	v_and_b32_e32 v9, 0xffff0000, v17
	v_add_f32_e32 v9, v9, v14
	s_delay_alu instid0(VALU_DEP_1) | instskip(SKIP_2) | instid1(VALU_DEP_1)
	v_add_f32_e32 v0, v9, v0
	s_wait_loadcnt 0x0
	v_lshlrev_b32_e32 v18, 16, v18
	v_mul_f32_e32 v18, v1, v18
	s_delay_alu instid0(VALU_DEP_1) | instskip(SKIP_2) | instid1(VALU_DEP_3)
	v_bfe_u32 v20, v18, 16, 1
	v_or_b32_e32 v21, 0x400000, v18
	v_cmp_u_f32_e32 vcc_lo, v18, v18
	v_add3_u32 v20, v20, v18, 0x7fff
	s_wait_alu 0xfffd
	s_delay_alu instid0(VALU_DEP_1) | instskip(SKIP_4) | instid1(VALU_DEP_1)
	v_cndmask_b32_e32 v18, v20, v21, vcc_lo
	scratch_load_b32 v20, off, off offset:288 th:TH_LOAD_LU ; 4-byte Folded Reload
	v_and_b32_e32 v14, 0xffff0000, v18
	s_wait_loadcnt 0x0
	v_lshlrev_b32_e32 v20, 16, v20
	v_mul_f32_e32 v20, v3, v20
	s_delay_alu instid0(VALU_DEP_1) | instskip(SKIP_2) | instid1(VALU_DEP_3)
	v_bfe_u32 v21, v20, 16, 1
	v_or_b32_e32 v22, 0x400000, v20
	v_cmp_u_f32_e32 vcc_lo, v20, v20
	v_add3_u32 v21, v21, v20, 0x7fff
	s_wait_alu 0xfffd
	s_delay_alu instid0(VALU_DEP_1) | instskip(NEXT) | instid1(VALU_DEP_1)
	v_cndmask_b32_e32 v20, v21, v22, vcc_lo
	v_and_b32_e32 v9, 0xffff0000, v20
	s_delay_alu instid0(VALU_DEP_1) | instskip(NEXT) | instid1(VALU_DEP_1)
	v_add_f32_e32 v9, v9, v14
	v_add_f32_e32 v0, v9, v0
	s_delay_alu instid0(VALU_DEP_1) | instskip(SKIP_3) | instid1(VALU_DEP_1)
	v_add_f32_e32 v25, v25, v0
	scratch_load_b32 v0, off, off offset:284 th:TH_LOAD_LU ; 4-byte Folded Reload
	s_wait_loadcnt 0x0
	v_lshlrev_b32_e32 v0, 16, v0
	v_mul_f32_e32 v0, v7, v0
	s_delay_alu instid0(VALU_DEP_1) | instskip(SKIP_2) | instid1(VALU_DEP_3)
	v_bfe_u32 v9, v0, 16, 1
	v_or_b32_e32 v14, 0x400000, v0
	v_cmp_u_f32_e32 vcc_lo, v0, v0
	v_add3_u32 v9, v9, v0, 0x7fff
	s_wait_alu 0xfffd
	s_delay_alu instid0(VALU_DEP_1) | instskip(SKIP_4) | instid1(VALU_DEP_1)
	v_cndmask_b32_e32 v0, v9, v14, vcc_lo
	scratch_load_b32 v9, off, off offset:280 th:TH_LOAD_LU ; 4-byte Folded Reload
	v_and_b32_e32 v0, 0xffff0000, v0
	s_wait_loadcnt 0x0
	v_lshlrev_b32_e32 v9, 16, v9
	v_mul_f32_e32 v9, v8, v9
	s_delay_alu instid0(VALU_DEP_1) | instskip(SKIP_2) | instid1(VALU_DEP_3)
	v_bfe_u32 v14, v9, 16, 1
	v_or_b32_e32 v15, 0x400000, v9
	v_cmp_u_f32_e32 vcc_lo, v9, v9
	v_add3_u32 v14, v14, v9, 0x7fff
	s_wait_alu 0xfffd
	s_delay_alu instid0(VALU_DEP_1) | instskip(SKIP_2) | instid1(VALU_DEP_1)
	v_cndmask_b32_e32 v9, v14, v15, vcc_lo
	scratch_load_b32 v14, off, off offset:276 th:TH_LOAD_LU ; 4-byte Folded Reload
	v_and_b32_e32 v9, 0xffff0000, v9
	v_add_f32_e32 v0, v9, v0
	s_wait_loadcnt 0x0
	v_lshlrev_b32_e32 v14, 16, v14
	s_delay_alu instid0(VALU_DEP_1) | instskip(NEXT) | instid1(VALU_DEP_1)
	v_mul_f32_e32 v14, v4, v14
	v_bfe_u32 v15, v14, 16, 1
	v_or_b32_e32 v16, 0x400000, v14
	v_cmp_u_f32_e32 vcc_lo, v14, v14
	s_delay_alu instid0(VALU_DEP_3) | instskip(SKIP_1) | instid1(VALU_DEP_1)
	v_add3_u32 v15, v15, v14, 0x7fff
	s_wait_alu 0xfffd
	v_cndmask_b32_e32 v14, v15, v16, vcc_lo
	scratch_load_b32 v15, off, off offset:272 th:TH_LOAD_LU ; 4-byte Folded Reload
	v_and_b32_e32 v14, 0xffff0000, v14
	s_wait_loadcnt 0x0
	v_lshlrev_b32_e32 v15, 16, v15
	s_delay_alu instid0(VALU_DEP_1) | instskip(NEXT) | instid1(VALU_DEP_1)
	v_mul_f32_e32 v15, v6, v15
	v_bfe_u32 v16, v15, 16, 1
	v_or_b32_e32 v17, 0x400000, v15
	v_cmp_u_f32_e32 vcc_lo, v15, v15
	s_delay_alu instid0(VALU_DEP_3) | instskip(SKIP_1) | instid1(VALU_DEP_1)
	v_add3_u32 v16, v16, v15, 0x7fff
	s_wait_alu 0xfffd
	v_cndmask_b32_e32 v15, v16, v17, vcc_lo
	scratch_load_b32 v16, off, off offset:268 th:TH_LOAD_LU ; 4-byte Folded Reload
	v_and_b32_e32 v9, 0xffff0000, v15
	s_delay_alu instid0(VALU_DEP_1) | instskip(NEXT) | instid1(VALU_DEP_1)
	v_add_f32_e32 v9, v9, v14
	v_add_f32_e32 v0, v9, v0
	s_wait_loadcnt 0x0
	v_lshlrev_b32_e32 v16, 16, v16
	s_delay_alu instid0(VALU_DEP_1) | instskip(NEXT) | instid1(VALU_DEP_1)
	v_mul_f32_e32 v16, v2, v16
	v_bfe_u32 v17, v16, 16, 1
	v_or_b32_e32 v18, 0x400000, v16
	v_cmp_u_f32_e32 vcc_lo, v16, v16
	s_delay_alu instid0(VALU_DEP_3) | instskip(SKIP_1) | instid1(VALU_DEP_1)
	v_add3_u32 v17, v17, v16, 0x7fff
	s_wait_alu 0xfffd
	v_cndmask_b32_e32 v16, v17, v18, vcc_lo
	scratch_load_b32 v17, off, off offset:264 th:TH_LOAD_LU ; 4-byte Folded Reload
	v_and_b32_e32 v14, 0xffff0000, v16
	s_wait_loadcnt 0x0
	v_lshlrev_b32_e32 v17, 16, v17
	s_delay_alu instid0(VALU_DEP_1) | instskip(NEXT) | instid1(VALU_DEP_1)
	v_mul_f32_e32 v17, v5, v17
	v_bfe_u32 v18, v17, 16, 1
	v_or_b32_e32 v20, 0x400000, v17
	v_cmp_u_f32_e32 vcc_lo, v17, v17
	s_delay_alu instid0(VALU_DEP_3) | instskip(SKIP_1) | instid1(VALU_DEP_1)
	v_add3_u32 v18, v18, v17, 0x7fff
	s_wait_alu 0xfffd
	v_cndmask_b32_e32 v17, v18, v20, vcc_lo
	scratch_load_b32 v18, off, off offset:260 th:TH_LOAD_LU ; 4-byte Folded Reload
	v_and_b32_e32 v9, 0xffff0000, v17
	s_delay_alu instid0(VALU_DEP_1) | instskip(NEXT) | instid1(VALU_DEP_1)
	v_add_f32_e32 v9, v9, v14
	v_add_f32_e32 v0, v9, v0
	s_wait_loadcnt 0x0
	v_lshlrev_b32_e32 v18, 16, v18
	s_delay_alu instid0(VALU_DEP_1) | instskip(NEXT) | instid1(VALU_DEP_1)
	v_mul_f32_e32 v18, v1, v18
	v_bfe_u32 v20, v18, 16, 1
	v_or_b32_e32 v21, 0x400000, v18
	v_cmp_u_f32_e32 vcc_lo, v18, v18
	s_delay_alu instid0(VALU_DEP_3) | instskip(SKIP_1) | instid1(VALU_DEP_1)
	v_add3_u32 v20, v20, v18, 0x7fff
	s_wait_alu 0xfffd
	v_cndmask_b32_e32 v18, v20, v21, vcc_lo
	scratch_load_b32 v20, off, off offset:256 th:TH_LOAD_LU ; 4-byte Folded Reload
	v_and_b32_e32 v14, 0xffff0000, v18
	s_wait_loadcnt 0x0
	v_lshlrev_b32_e32 v20, 16, v20
	s_delay_alu instid0(VALU_DEP_1) | instskip(NEXT) | instid1(VALU_DEP_1)
	v_mul_f32_e32 v20, v3, v20
	v_bfe_u32 v21, v20, 16, 1
	v_or_b32_e32 v22, 0x400000, v20
	v_cmp_u_f32_e32 vcc_lo, v20, v20
	s_delay_alu instid0(VALU_DEP_3) | instskip(SKIP_1) | instid1(VALU_DEP_1)
	v_add3_u32 v21, v21, v20, 0x7fff
	s_wait_alu 0xfffd
	v_cndmask_b32_e32 v20, v21, v22, vcc_lo
	s_delay_alu instid0(VALU_DEP_1) | instskip(NEXT) | instid1(VALU_DEP_1)
	v_and_b32_e32 v9, 0xffff0000, v20
	v_add_f32_e32 v9, v9, v14
	s_delay_alu instid0(VALU_DEP_1) | instskip(NEXT) | instid1(VALU_DEP_1)
	v_add_f32_e32 v0, v9, v0
	v_add_f32_e32 v26, v26, v0
	scratch_load_b32 v0, off, off offset:252 th:TH_LOAD_LU ; 4-byte Folded Reload
	s_wait_loadcnt 0x0
	v_lshlrev_b32_e32 v0, 16, v0
	s_delay_alu instid0(VALU_DEP_1) | instskip(NEXT) | instid1(VALU_DEP_1)
	v_mul_f32_e32 v0, v7, v0
	v_bfe_u32 v9, v0, 16, 1
	v_or_b32_e32 v14, 0x400000, v0
	v_cmp_u_f32_e32 vcc_lo, v0, v0
	s_delay_alu instid0(VALU_DEP_3) | instskip(SKIP_1) | instid1(VALU_DEP_1)
	v_add3_u32 v9, v9, v0, 0x7fff
	s_wait_alu 0xfffd
	v_cndmask_b32_e32 v0, v9, v14, vcc_lo
	scratch_load_b32 v9, off, off offset:248 th:TH_LOAD_LU ; 4-byte Folded Reload
	v_and_b32_e32 v0, 0xffff0000, v0
	s_wait_loadcnt 0x0
	v_lshlrev_b32_e32 v9, 16, v9
	s_delay_alu instid0(VALU_DEP_1) | instskip(NEXT) | instid1(VALU_DEP_1)
	v_mul_f32_e32 v9, v8, v9
	v_bfe_u32 v14, v9, 16, 1
	v_or_b32_e32 v15, 0x400000, v9
	v_cmp_u_f32_e32 vcc_lo, v9, v9
	s_delay_alu instid0(VALU_DEP_3) | instskip(SKIP_1) | instid1(VALU_DEP_1)
	v_add3_u32 v14, v14, v9, 0x7fff
	s_wait_alu 0xfffd
	v_cndmask_b32_e32 v9, v14, v15, vcc_lo
	scratch_load_b32 v14, off, off offset:244 th:TH_LOAD_LU ; 4-byte Folded Reload
	s_wait_loadcnt 0x0
	v_lshlrev_b32_e32 v14, 16, v14
	s_delay_alu instid0(VALU_DEP_1) | instskip(NEXT) | instid1(VALU_DEP_1)
	v_mul_f32_e32 v14, v4, v14
	v_bfe_u32 v15, v14, 16, 1
	v_or_b32_e32 v16, 0x400000, v14
	v_cmp_u_f32_e32 vcc_lo, v14, v14
	s_delay_alu instid0(VALU_DEP_3) | instskip(SKIP_1) | instid1(VALU_DEP_1)
	v_add3_u32 v15, v15, v14, 0x7fff
	s_wait_alu 0xfffd
	v_cndmask_b32_e32 v14, v15, v16, vcc_lo
	scratch_load_b32 v15, off, off offset:240 th:TH_LOAD_LU ; 4-byte Folded Reload
	v_and_b32_e32 v14, 0xffff0000, v14
	v_and_b32_e32 v9, 0xffff0000, v9
	s_wait_loadcnt 0x0
	s_delay_alu instid0(VALU_DEP_1) | instskip(NEXT) | instid1(VALU_DEP_1)
	v_dual_add_f32 v0, v9, v0 :: v_dual_lshlrev_b32 v15, 16, v15
	v_mul_f32_e32 v15, v6, v15
	s_delay_alu instid0(VALU_DEP_1) | instskip(SKIP_2) | instid1(VALU_DEP_3)
	v_bfe_u32 v16, v15, 16, 1
	v_or_b32_e32 v17, 0x400000, v15
	v_cmp_u_f32_e32 vcc_lo, v15, v15
	v_add3_u32 v16, v16, v15, 0x7fff
	s_wait_alu 0xfffd
	s_delay_alu instid0(VALU_DEP_1) | instskip(SKIP_2) | instid1(VALU_DEP_1)
	v_cndmask_b32_e32 v15, v16, v17, vcc_lo
	scratch_load_b32 v16, off, off offset:236 th:TH_LOAD_LU ; 4-byte Folded Reload
	v_and_b32_e32 v9, 0xffff0000, v15
	v_add_f32_e32 v9, v9, v14
	s_delay_alu instid0(VALU_DEP_1) | instskip(SKIP_2) | instid1(VALU_DEP_1)
	v_add_f32_e32 v0, v9, v0
	s_wait_loadcnt 0x0
	v_lshlrev_b32_e32 v16, 16, v16
	v_mul_f32_e32 v16, v2, v16
	s_delay_alu instid0(VALU_DEP_1) | instskip(SKIP_2) | instid1(VALU_DEP_3)
	v_bfe_u32 v17, v16, 16, 1
	v_or_b32_e32 v18, 0x400000, v16
	v_cmp_u_f32_e32 vcc_lo, v16, v16
	v_add3_u32 v17, v17, v16, 0x7fff
	s_wait_alu 0xfffd
	s_delay_alu instid0(VALU_DEP_1) | instskip(SKIP_4) | instid1(VALU_DEP_1)
	v_cndmask_b32_e32 v16, v17, v18, vcc_lo
	scratch_load_b32 v17, off, off offset:232 th:TH_LOAD_LU ; 4-byte Folded Reload
	v_and_b32_e32 v14, 0xffff0000, v16
	s_wait_loadcnt 0x0
	v_lshlrev_b32_e32 v17, 16, v17
	v_mul_f32_e32 v17, v5, v17
	s_delay_alu instid0(VALU_DEP_1) | instskip(SKIP_2) | instid1(VALU_DEP_3)
	v_bfe_u32 v18, v17, 16, 1
	v_or_b32_e32 v20, 0x400000, v17
	v_cmp_u_f32_e32 vcc_lo, v17, v17
	v_add3_u32 v18, v18, v17, 0x7fff
	s_wait_alu 0xfffd
	s_delay_alu instid0(VALU_DEP_1) | instskip(SKIP_2) | instid1(VALU_DEP_1)
	v_cndmask_b32_e32 v17, v18, v20, vcc_lo
	scratch_load_b32 v18, off, off offset:228 th:TH_LOAD_LU ; 4-byte Folded Reload
	v_and_b32_e32 v9, 0xffff0000, v17
	v_add_f32_e32 v9, v9, v14
	s_delay_alu instid0(VALU_DEP_1) | instskip(SKIP_2) | instid1(VALU_DEP_1)
	v_add_f32_e32 v0, v9, v0
	s_wait_loadcnt 0x0
	v_lshlrev_b32_e32 v18, 16, v18
	v_mul_f32_e32 v18, v1, v18
	s_delay_alu instid0(VALU_DEP_1) | instskip(SKIP_2) | instid1(VALU_DEP_3)
	v_bfe_u32 v20, v18, 16, 1
	v_or_b32_e32 v21, 0x400000, v18
	v_cmp_u_f32_e32 vcc_lo, v18, v18
	v_add3_u32 v20, v20, v18, 0x7fff
	s_wait_alu 0xfffd
	s_delay_alu instid0(VALU_DEP_1) | instskip(SKIP_4) | instid1(VALU_DEP_1)
	v_cndmask_b32_e32 v18, v20, v21, vcc_lo
	scratch_load_b32 v20, off, off offset:224 th:TH_LOAD_LU ; 4-byte Folded Reload
	v_and_b32_e32 v14, 0xffff0000, v18
	s_wait_loadcnt 0x0
	v_lshlrev_b32_e32 v20, 16, v20
	v_mul_f32_e32 v20, v3, v20
	s_delay_alu instid0(VALU_DEP_1) | instskip(SKIP_2) | instid1(VALU_DEP_3)
	v_bfe_u32 v21, v20, 16, 1
	v_or_b32_e32 v22, 0x400000, v20
	v_cmp_u_f32_e32 vcc_lo, v20, v20
	v_add3_u32 v21, v21, v20, 0x7fff
	s_wait_alu 0xfffd
	s_delay_alu instid0(VALU_DEP_1) | instskip(NEXT) | instid1(VALU_DEP_1)
	v_cndmask_b32_e32 v20, v21, v22, vcc_lo
	v_and_b32_e32 v9, 0xffff0000, v20
	s_delay_alu instid0(VALU_DEP_1) | instskip(NEXT) | instid1(VALU_DEP_1)
	v_add_f32_e32 v9, v9, v14
	v_add_f32_e32 v0, v9, v0
	s_delay_alu instid0(VALU_DEP_1) | instskip(SKIP_3) | instid1(VALU_DEP_1)
	v_add_f32_e32 v27, v27, v0
	scratch_load_b32 v0, off, off offset:220 th:TH_LOAD_LU ; 4-byte Folded Reload
	s_wait_loadcnt 0x0
	v_lshlrev_b32_e32 v0, 16, v0
	v_mul_f32_e32 v0, v7, v0
	s_delay_alu instid0(VALU_DEP_1) | instskip(SKIP_2) | instid1(VALU_DEP_3)
	v_bfe_u32 v9, v0, 16, 1
	v_or_b32_e32 v14, 0x400000, v0
	v_cmp_u_f32_e32 vcc_lo, v0, v0
	v_add3_u32 v9, v9, v0, 0x7fff
	s_wait_alu 0xfffd
	s_delay_alu instid0(VALU_DEP_1) | instskip(SKIP_4) | instid1(VALU_DEP_1)
	v_cndmask_b32_e32 v0, v9, v14, vcc_lo
	scratch_load_b32 v9, off, off offset:216 th:TH_LOAD_LU ; 4-byte Folded Reload
	v_and_b32_e32 v0, 0xffff0000, v0
	s_wait_loadcnt 0x0
	v_lshlrev_b32_e32 v9, 16, v9
	v_mul_f32_e32 v9, v8, v9
	s_delay_alu instid0(VALU_DEP_1) | instskip(SKIP_2) | instid1(VALU_DEP_3)
	v_bfe_u32 v14, v9, 16, 1
	v_or_b32_e32 v15, 0x400000, v9
	v_cmp_u_f32_e32 vcc_lo, v9, v9
	v_add3_u32 v14, v14, v9, 0x7fff
	s_wait_alu 0xfffd
	s_delay_alu instid0(VALU_DEP_1) | instskip(SKIP_3) | instid1(VALU_DEP_1)
	v_cndmask_b32_e32 v9, v14, v15, vcc_lo
	scratch_load_b32 v14, off, off offset:212 th:TH_LOAD_LU ; 4-byte Folded Reload
	s_wait_loadcnt 0x0
	v_lshlrev_b32_e32 v14, 16, v14
	v_mul_f32_e32 v14, v4, v14
	s_delay_alu instid0(VALU_DEP_1) | instskip(SKIP_2) | instid1(VALU_DEP_3)
	v_bfe_u32 v15, v14, 16, 1
	v_or_b32_e32 v16, 0x400000, v14
	v_cmp_u_f32_e32 vcc_lo, v14, v14
	v_add3_u32 v15, v15, v14, 0x7fff
	s_wait_alu 0xfffd
	s_delay_alu instid0(VALU_DEP_1) | instskip(SKIP_4) | instid1(VALU_DEP_1)
	v_cndmask_b32_e32 v14, v15, v16, vcc_lo
	scratch_load_b32 v15, off, off offset:208 th:TH_LOAD_LU ; 4-byte Folded Reload
	v_and_b32_e32 v14, 0xffff0000, v14
	s_wait_loadcnt 0x0
	v_lshlrev_b32_e32 v15, 16, v15
	v_mul_f32_e32 v15, v6, v15
	s_delay_alu instid0(VALU_DEP_1) | instskip(SKIP_2) | instid1(VALU_DEP_3)
	v_bfe_u32 v16, v15, 16, 1
	v_or_b32_e32 v17, 0x400000, v15
	v_cmp_u_f32_e32 vcc_lo, v15, v15
	v_add3_u32 v16, v16, v15, 0x7fff
	s_wait_alu 0xfffd
	s_delay_alu instid0(VALU_DEP_1) | instskip(SKIP_3) | instid1(VALU_DEP_1)
	v_cndmask_b32_e32 v15, v16, v17, vcc_lo
	scratch_load_b32 v16, off, off offset:204 th:TH_LOAD_LU ; 4-byte Folded Reload
	s_wait_loadcnt 0x0
	v_lshlrev_b32_e32 v16, 16, v16
	v_mul_f32_e32 v16, v2, v16
	s_delay_alu instid0(VALU_DEP_1) | instskip(SKIP_2) | instid1(VALU_DEP_3)
	v_bfe_u32 v17, v16, 16, 1
	v_or_b32_e32 v18, 0x400000, v16
	v_cmp_u_f32_e32 vcc_lo, v16, v16
	v_add3_u32 v17, v17, v16, 0x7fff
	s_wait_alu 0xfffd
	s_delay_alu instid0(VALU_DEP_1) | instskip(SKIP_3) | instid1(VALU_DEP_1)
	v_cndmask_b32_e32 v16, v17, v18, vcc_lo
	scratch_load_b32 v17, off, off offset:200 th:TH_LOAD_LU ; 4-byte Folded Reload
	;; [unrolled: 12-line block ×4, first 2 shown]
	s_wait_loadcnt 0x0
	v_lshlrev_b32_e32 v20, 16, v20
	v_dual_mul_f32 v20, v3, v20 :: v_dual_and_b32 v9, 0xffff0000, v9
	s_delay_alu instid0(VALU_DEP_1) | instskip(NEXT) | instid1(VALU_DEP_2)
	v_dual_add_f32 v0, v9, v0 :: v_dual_and_b32 v9, 0xffff0000, v15
	v_bfe_u32 v21, v20, 16, 1
	v_or_b32_e32 v22, 0x400000, v20
	s_delay_alu instid0(VALU_DEP_3) | instskip(SKIP_1) | instid1(VALU_DEP_4)
	v_dual_add_f32 v9, v9, v14 :: v_dual_and_b32 v14, 0xffff0000, v16
	v_cmp_u_f32_e32 vcc_lo, v20, v20
	v_add3_u32 v21, v21, v20, 0x7fff
	s_delay_alu instid0(VALU_DEP_3) | instskip(SKIP_1) | instid1(VALU_DEP_2)
	v_dual_add_f32 v0, v9, v0 :: v_dual_and_b32 v9, 0xffff0000, v17
	s_wait_alu 0xfffd
	v_cndmask_b32_e32 v20, v21, v22, vcc_lo
	s_delay_alu instid0(VALU_DEP_2) | instskip(SKIP_1) | instid1(VALU_DEP_2)
	v_add_f32_e32 v9, v9, v14
	v_and_b32_e32 v14, 0xffff0000, v18
	v_add_f32_e32 v0, v9, v0
	s_delay_alu instid0(VALU_DEP_4) | instskip(NEXT) | instid1(VALU_DEP_1)
	v_and_b32_e32 v9, 0xffff0000, v20
	v_add_f32_e32 v9, v9, v14
	s_delay_alu instid0(VALU_DEP_1) | instskip(NEXT) | instid1(VALU_DEP_1)
	v_add_f32_e32 v0, v9, v0
	v_add_f32_e32 v28, v28, v0
	scratch_load_b32 v0, off, off offset:188 th:TH_LOAD_LU ; 4-byte Folded Reload
	s_wait_loadcnt 0x0
	v_lshlrev_b32_e32 v0, 16, v0
	s_delay_alu instid0(VALU_DEP_1) | instskip(NEXT) | instid1(VALU_DEP_1)
	v_mul_f32_e32 v0, v7, v0
	v_bfe_u32 v9, v0, 16, 1
	v_or_b32_e32 v14, 0x400000, v0
	v_cmp_u_f32_e32 vcc_lo, v0, v0
	s_delay_alu instid0(VALU_DEP_3) | instskip(SKIP_1) | instid1(VALU_DEP_1)
	v_add3_u32 v9, v9, v0, 0x7fff
	s_wait_alu 0xfffd
	v_cndmask_b32_e32 v0, v9, v14, vcc_lo
	scratch_load_b32 v9, off, off offset:184 th:TH_LOAD_LU ; 4-byte Folded Reload
	s_wait_loadcnt 0x0
	v_lshlrev_b32_e32 v9, 16, v9
	s_delay_alu instid0(VALU_DEP_1) | instskip(NEXT) | instid1(VALU_DEP_1)
	v_mul_f32_e32 v9, v8, v9
	v_bfe_u32 v14, v9, 16, 1
	v_or_b32_e32 v15, 0x400000, v9
	v_cmp_u_f32_e32 vcc_lo, v9, v9
	s_delay_alu instid0(VALU_DEP_3) | instskip(SKIP_1) | instid1(VALU_DEP_1)
	v_add3_u32 v14, v14, v9, 0x7fff
	s_wait_alu 0xfffd
	v_cndmask_b32_e32 v9, v14, v15, vcc_lo
	scratch_load_b32 v14, off, off offset:180 th:TH_LOAD_LU ; 4-byte Folded Reload
	v_and_b32_e32 v0, 0xffff0000, v0
	v_and_b32_e32 v9, 0xffff0000, v9
	s_delay_alu instid0(VALU_DEP_1) | instskip(SKIP_2) | instid1(VALU_DEP_1)
	v_add_f32_e32 v0, v9, v0
	s_wait_loadcnt 0x0
	v_lshlrev_b32_e32 v14, 16, v14
	v_mul_f32_e32 v14, v4, v14
	s_delay_alu instid0(VALU_DEP_1) | instskip(SKIP_2) | instid1(VALU_DEP_3)
	v_bfe_u32 v15, v14, 16, 1
	v_or_b32_e32 v16, 0x400000, v14
	v_cmp_u_f32_e32 vcc_lo, v14, v14
	v_add3_u32 v15, v15, v14, 0x7fff
	s_wait_alu 0xfffd
	s_delay_alu instid0(VALU_DEP_1) | instskip(SKIP_4) | instid1(VALU_DEP_1)
	v_cndmask_b32_e32 v14, v15, v16, vcc_lo
	scratch_load_b32 v15, off, off offset:176 th:TH_LOAD_LU ; 4-byte Folded Reload
	v_and_b32_e32 v14, 0xffff0000, v14
	s_wait_loadcnt 0x0
	v_lshlrev_b32_e32 v15, 16, v15
	v_mul_f32_e32 v15, v6, v15
	s_delay_alu instid0(VALU_DEP_1) | instskip(SKIP_2) | instid1(VALU_DEP_3)
	v_bfe_u32 v16, v15, 16, 1
	v_or_b32_e32 v17, 0x400000, v15
	v_cmp_u_f32_e32 vcc_lo, v15, v15
	v_add3_u32 v16, v16, v15, 0x7fff
	s_wait_alu 0xfffd
	s_delay_alu instid0(VALU_DEP_1) | instskip(SKIP_3) | instid1(VALU_DEP_1)
	v_cndmask_b32_e32 v15, v16, v17, vcc_lo
	scratch_load_b32 v16, off, off offset:172 th:TH_LOAD_LU ; 4-byte Folded Reload
	s_wait_loadcnt 0x0
	v_lshlrev_b32_e32 v16, 16, v16
	v_dual_mul_f32 v16, v2, v16 :: v_dual_and_b32 v9, 0xffff0000, v15
	s_delay_alu instid0(VALU_DEP_1) | instskip(NEXT) | instid1(VALU_DEP_2)
	v_add_f32_e32 v9, v9, v14
	v_bfe_u32 v17, v16, 16, 1
	v_or_b32_e32 v18, 0x400000, v16
	v_cmp_u_f32_e32 vcc_lo, v16, v16
	s_delay_alu instid0(VALU_DEP_4) | instskip(NEXT) | instid1(VALU_DEP_4)
	v_add_f32_e32 v0, v9, v0
	v_add3_u32 v17, v17, v16, 0x7fff
	s_wait_alu 0xfffd
	s_delay_alu instid0(VALU_DEP_1) | instskip(SKIP_3) | instid1(VALU_DEP_1)
	v_cndmask_b32_e32 v16, v17, v18, vcc_lo
	scratch_load_b32 v17, off, off offset:168 th:TH_LOAD_LU ; 4-byte Folded Reload
	s_wait_loadcnt 0x0
	v_lshlrev_b32_e32 v17, 16, v17
	v_dual_mul_f32 v17, v5, v17 :: v_dual_and_b32 v14, 0xffff0000, v16
	s_delay_alu instid0(VALU_DEP_1) | instskip(SKIP_2) | instid1(VALU_DEP_3)
	v_bfe_u32 v18, v17, 16, 1
	v_or_b32_e32 v20, 0x400000, v17
	v_cmp_u_f32_e32 vcc_lo, v17, v17
	v_add3_u32 v18, v18, v17, 0x7fff
	s_wait_alu 0xfffd
	s_delay_alu instid0(VALU_DEP_1) | instskip(SKIP_3) | instid1(VALU_DEP_1)
	v_cndmask_b32_e32 v17, v18, v20, vcc_lo
	scratch_load_b32 v18, off, off offset:164 th:TH_LOAD_LU ; 4-byte Folded Reload
	s_wait_loadcnt 0x0
	v_lshlrev_b32_e32 v18, 16, v18
	v_dual_mul_f32 v18, v1, v18 :: v_dual_and_b32 v9, 0xffff0000, v17
	s_delay_alu instid0(VALU_DEP_1) | instskip(SKIP_2) | instid1(VALU_DEP_4)
	v_bfe_u32 v20, v18, 16, 1
	v_or_b32_e32 v21, 0x400000, v18
	v_cmp_u_f32_e32 vcc_lo, v18, v18
	v_add_f32_e32 v9, v9, v14
	s_delay_alu instid0(VALU_DEP_4) | instskip(NEXT) | instid1(VALU_DEP_2)
	v_add3_u32 v20, v20, v18, 0x7fff
	v_add_f32_e32 v0, v9, v0
	s_wait_alu 0xfffd
	s_delay_alu instid0(VALU_DEP_2) | instskip(SKIP_4) | instid1(VALU_DEP_1)
	v_cndmask_b32_e32 v18, v20, v21, vcc_lo
	scratch_load_b32 v20, off, off offset:160 th:TH_LOAD_LU ; 4-byte Folded Reload
	v_and_b32_e32 v14, 0xffff0000, v18
	s_wait_loadcnt 0x0
	v_lshlrev_b32_e32 v20, 16, v20
	v_mul_f32_e32 v20, v3, v20
	s_delay_alu instid0(VALU_DEP_1) | instskip(SKIP_2) | instid1(VALU_DEP_3)
	v_bfe_u32 v21, v20, 16, 1
	v_or_b32_e32 v22, 0x400000, v20
	v_cmp_u_f32_e32 vcc_lo, v20, v20
	v_add3_u32 v21, v21, v20, 0x7fff
	s_wait_alu 0xfffd
	s_delay_alu instid0(VALU_DEP_1) | instskip(NEXT) | instid1(VALU_DEP_1)
	v_cndmask_b32_e32 v20, v21, v22, vcc_lo
	v_and_b32_e32 v9, 0xffff0000, v20
	s_delay_alu instid0(VALU_DEP_1) | instskip(NEXT) | instid1(VALU_DEP_1)
	v_add_f32_e32 v9, v9, v14
	v_add_f32_e32 v0, v9, v0
	s_delay_alu instid0(VALU_DEP_1) | instskip(SKIP_3) | instid1(VALU_DEP_1)
	v_add_f32_e32 v29, v29, v0
	scratch_load_b32 v0, off, off offset:156 th:TH_LOAD_LU ; 4-byte Folded Reload
	s_wait_loadcnt 0x0
	v_lshlrev_b32_e32 v0, 16, v0
	v_mul_f32_e32 v0, v7, v0
	s_delay_alu instid0(VALU_DEP_1) | instskip(SKIP_2) | instid1(VALU_DEP_3)
	v_bfe_u32 v9, v0, 16, 1
	v_or_b32_e32 v14, 0x400000, v0
	v_cmp_u_f32_e32 vcc_lo, v0, v0
	v_add3_u32 v9, v9, v0, 0x7fff
	s_wait_alu 0xfffd
	s_delay_alu instid0(VALU_DEP_1) | instskip(SKIP_3) | instid1(VALU_DEP_1)
	v_cndmask_b32_e32 v0, v9, v14, vcc_lo
	scratch_load_b32 v9, off, off offset:152 th:TH_LOAD_LU ; 4-byte Folded Reload
	s_wait_loadcnt 0x0
	v_lshlrev_b32_e32 v9, 16, v9
	v_mul_f32_e32 v9, v8, v9
	s_delay_alu instid0(VALU_DEP_1) | instskip(SKIP_2) | instid1(VALU_DEP_3)
	v_bfe_u32 v14, v9, 16, 1
	v_or_b32_e32 v15, 0x400000, v9
	v_cmp_u_f32_e32 vcc_lo, v9, v9
	v_add3_u32 v14, v14, v9, 0x7fff
	s_wait_alu 0xfffd
	s_delay_alu instid0(VALU_DEP_1) | instskip(SKIP_4) | instid1(VALU_DEP_1)
	v_cndmask_b32_e32 v9, v14, v15, vcc_lo
	scratch_load_b32 v14, off, off offset:148 th:TH_LOAD_LU ; 4-byte Folded Reload
	v_and_b32_e32 v9, 0xffff0000, v9
	s_wait_loadcnt 0x0
	v_lshlrev_b32_e32 v14, 16, v14
	v_mul_f32_e32 v14, v4, v14
	s_delay_alu instid0(VALU_DEP_1) | instskip(SKIP_2) | instid1(VALU_DEP_3)
	v_bfe_u32 v15, v14, 16, 1
	v_or_b32_e32 v16, 0x400000, v14
	v_cmp_u_f32_e32 vcc_lo, v14, v14
	v_add3_u32 v15, v15, v14, 0x7fff
	s_wait_alu 0xfffd
	s_delay_alu instid0(VALU_DEP_1) | instskip(SKIP_4) | instid1(VALU_DEP_1)
	v_cndmask_b32_e32 v14, v15, v16, vcc_lo
	scratch_load_b32 v15, off, off offset:144 th:TH_LOAD_LU ; 4-byte Folded Reload
	v_and_b32_e32 v14, 0xffff0000, v14
	s_wait_loadcnt 0x0
	v_lshlrev_b32_e32 v15, 16, v15
	v_mul_f32_e32 v15, v6, v15
	s_delay_alu instid0(VALU_DEP_1) | instskip(SKIP_2) | instid1(VALU_DEP_3)
	v_bfe_u32 v16, v15, 16, 1
	v_or_b32_e32 v17, 0x400000, v15
	v_cmp_u_f32_e32 vcc_lo, v15, v15
	v_add3_u32 v16, v16, v15, 0x7fff
	s_wait_alu 0xfffd
	s_delay_alu instid0(VALU_DEP_1) | instskip(SKIP_3) | instid1(VALU_DEP_1)
	v_cndmask_b32_e32 v15, v16, v17, vcc_lo
	scratch_load_b32 v16, off, off offset:140 th:TH_LOAD_LU ; 4-byte Folded Reload
	s_wait_loadcnt 0x0
	v_lshlrev_b32_e32 v16, 16, v16
	v_mul_f32_e32 v16, v2, v16
	s_delay_alu instid0(VALU_DEP_1) | instskip(SKIP_2) | instid1(VALU_DEP_3)
	v_bfe_u32 v17, v16, 16, 1
	v_or_b32_e32 v18, 0x400000, v16
	v_cmp_u_f32_e32 vcc_lo, v16, v16
	v_add3_u32 v17, v17, v16, 0x7fff
	s_wait_alu 0xfffd
	s_delay_alu instid0(VALU_DEP_1) | instskip(SKIP_3) | instid1(VALU_DEP_1)
	v_cndmask_b32_e32 v16, v17, v18, vcc_lo
	scratch_load_b32 v17, off, off offset:136 th:TH_LOAD_LU ; 4-byte Folded Reload
	s_wait_loadcnt 0x0
	v_lshlrev_b32_e32 v17, 16, v17
	v_mul_f32_e32 v17, v5, v17
	s_delay_alu instid0(VALU_DEP_1) | instskip(SKIP_2) | instid1(VALU_DEP_3)
	v_bfe_u32 v18, v17, 16, 1
	v_or_b32_e32 v20, 0x400000, v17
	v_cmp_u_f32_e32 vcc_lo, v17, v17
	v_add3_u32 v18, v18, v17, 0x7fff
	s_wait_alu 0xfffd
	s_delay_alu instid0(VALU_DEP_1) | instskip(SKIP_2) | instid1(VALU_DEP_1)
	v_cndmask_b32_e32 v17, v18, v20, vcc_lo
	scratch_load_b32 v18, off, off offset:132 th:TH_LOAD_LU ; 4-byte Folded Reload
	v_and_b32_e32 v0, 0xffff0000, v0
	v_dual_add_f32 v0, v9, v0 :: v_dual_and_b32 v9, 0xffff0000, v15
	s_delay_alu instid0(VALU_DEP_1) | instskip(NEXT) | instid1(VALU_DEP_1)
	v_add_f32_e32 v9, v9, v14
	v_dual_add_f32 v0, v9, v0 :: v_dual_and_b32 v9, 0xffff0000, v17
	v_and_b32_e32 v14, 0xffff0000, v16
	s_delay_alu instid0(VALU_DEP_1) | instskip(NEXT) | instid1(VALU_DEP_1)
	v_add_f32_e32 v9, v9, v14
	v_add_f32_e32 v0, v9, v0
	s_wait_loadcnt 0x0
	v_lshlrev_b32_e32 v18, 16, v18
	s_delay_alu instid0(VALU_DEP_1) | instskip(NEXT) | instid1(VALU_DEP_1)
	v_mul_f32_e32 v18, v1, v18
	v_bfe_u32 v20, v18, 16, 1
	v_or_b32_e32 v21, 0x400000, v18
	v_cmp_u_f32_e32 vcc_lo, v18, v18
	s_delay_alu instid0(VALU_DEP_3) | instskip(SKIP_1) | instid1(VALU_DEP_1)
	v_add3_u32 v20, v20, v18, 0x7fff
	s_wait_alu 0xfffd
	v_cndmask_b32_e32 v18, v20, v21, vcc_lo
	scratch_load_b32 v20, off, off offset:128 th:TH_LOAD_LU ; 4-byte Folded Reload
	v_and_b32_e32 v14, 0xffff0000, v18
	s_wait_loadcnt 0x0
	v_lshlrev_b32_e32 v20, 16, v20
	s_delay_alu instid0(VALU_DEP_1) | instskip(NEXT) | instid1(VALU_DEP_1)
	v_mul_f32_e32 v20, v3, v20
	v_bfe_u32 v21, v20, 16, 1
	v_or_b32_e32 v22, 0x400000, v20
	v_cmp_u_f32_e32 vcc_lo, v20, v20
	s_delay_alu instid0(VALU_DEP_3) | instskip(SKIP_1) | instid1(VALU_DEP_1)
	v_add3_u32 v21, v21, v20, 0x7fff
	s_wait_alu 0xfffd
	v_cndmask_b32_e32 v20, v21, v22, vcc_lo
	s_delay_alu instid0(VALU_DEP_1) | instskip(NEXT) | instid1(VALU_DEP_1)
	v_and_b32_e32 v9, 0xffff0000, v20
	v_add_f32_e32 v9, v9, v14
	s_delay_alu instid0(VALU_DEP_1) | instskip(NEXT) | instid1(VALU_DEP_1)
	v_add_f32_e32 v0, v9, v0
	v_add_f32_e32 v30, v30, v0
	scratch_load_b32 v0, off, off offset:124 th:TH_LOAD_LU ; 4-byte Folded Reload
	s_wait_loadcnt 0x0
	v_lshlrev_b32_e32 v0, 16, v0
	s_delay_alu instid0(VALU_DEP_1) | instskip(NEXT) | instid1(VALU_DEP_1)
	v_mul_f32_e32 v0, v7, v0
	v_bfe_u32 v9, v0, 16, 1
	v_or_b32_e32 v14, 0x400000, v0
	v_cmp_u_f32_e32 vcc_lo, v0, v0
	s_delay_alu instid0(VALU_DEP_3) | instskip(SKIP_1) | instid1(VALU_DEP_1)
	v_add3_u32 v9, v9, v0, 0x7fff
	s_wait_alu 0xfffd
	v_cndmask_b32_e32 v0, v9, v14, vcc_lo
	scratch_load_b32 v9, off, off offset:120 th:TH_LOAD_LU ; 4-byte Folded Reload
	v_and_b32_e32 v0, 0xffff0000, v0
	s_wait_loadcnt 0x0
	v_lshlrev_b32_e32 v9, 16, v9
	s_delay_alu instid0(VALU_DEP_1) | instskip(NEXT) | instid1(VALU_DEP_1)
	v_mul_f32_e32 v9, v8, v9
	v_bfe_u32 v14, v9, 16, 1
	v_or_b32_e32 v15, 0x400000, v9
	v_cmp_u_f32_e32 vcc_lo, v9, v9
	s_delay_alu instid0(VALU_DEP_3) | instskip(SKIP_1) | instid1(VALU_DEP_1)
	v_add3_u32 v14, v14, v9, 0x7fff
	s_wait_alu 0xfffd
	v_cndmask_b32_e32 v9, v14, v15, vcc_lo
	scratch_load_b32 v14, off, off offset:116 th:TH_LOAD_LU ; 4-byte Folded Reload
	v_and_b32_e32 v9, 0xffff0000, v9
	s_delay_alu instid0(VALU_DEP_1) | instskip(SKIP_2) | instid1(VALU_DEP_1)
	v_add_f32_e32 v0, v9, v0
	s_wait_loadcnt 0x0
	v_lshlrev_b32_e32 v14, 16, v14
	v_mul_f32_e32 v14, v4, v14
	s_delay_alu instid0(VALU_DEP_1) | instskip(SKIP_2) | instid1(VALU_DEP_3)
	v_bfe_u32 v15, v14, 16, 1
	v_or_b32_e32 v16, 0x400000, v14
	v_cmp_u_f32_e32 vcc_lo, v14, v14
	v_add3_u32 v15, v15, v14, 0x7fff
	s_wait_alu 0xfffd
	s_delay_alu instid0(VALU_DEP_1) | instskip(SKIP_4) | instid1(VALU_DEP_1)
	v_cndmask_b32_e32 v14, v15, v16, vcc_lo
	scratch_load_b32 v15, off, off offset:112 th:TH_LOAD_LU ; 4-byte Folded Reload
	v_and_b32_e32 v14, 0xffff0000, v14
	s_wait_loadcnt 0x0
	v_lshlrev_b32_e32 v15, 16, v15
	v_mul_f32_e32 v15, v6, v15
	s_delay_alu instid0(VALU_DEP_1) | instskip(SKIP_2) | instid1(VALU_DEP_3)
	v_bfe_u32 v16, v15, 16, 1
	v_or_b32_e32 v17, 0x400000, v15
	v_cmp_u_f32_e32 vcc_lo, v15, v15
	v_add3_u32 v16, v16, v15, 0x7fff
	s_wait_alu 0xfffd
	s_delay_alu instid0(VALU_DEP_1) | instskip(SKIP_2) | instid1(VALU_DEP_1)
	v_cndmask_b32_e32 v15, v16, v17, vcc_lo
	scratch_load_b32 v16, off, off offset:108 th:TH_LOAD_LU ; 4-byte Folded Reload
	v_and_b32_e32 v9, 0xffff0000, v15
	v_add_f32_e32 v9, v9, v14
	s_delay_alu instid0(VALU_DEP_1) | instskip(SKIP_2) | instid1(VALU_DEP_1)
	v_add_f32_e32 v0, v9, v0
	s_wait_loadcnt 0x0
	v_lshlrev_b32_e32 v16, 16, v16
	v_mul_f32_e32 v16, v2, v16
	s_delay_alu instid0(VALU_DEP_1) | instskip(SKIP_2) | instid1(VALU_DEP_3)
	v_bfe_u32 v17, v16, 16, 1
	v_or_b32_e32 v18, 0x400000, v16
	v_cmp_u_f32_e32 vcc_lo, v16, v16
	v_add3_u32 v17, v17, v16, 0x7fff
	s_wait_alu 0xfffd
	s_delay_alu instid0(VALU_DEP_1) | instskip(SKIP_4) | instid1(VALU_DEP_1)
	v_cndmask_b32_e32 v16, v17, v18, vcc_lo
	scratch_load_b32 v17, off, off offset:104 th:TH_LOAD_LU ; 4-byte Folded Reload
	v_and_b32_e32 v14, 0xffff0000, v16
	s_wait_loadcnt 0x0
	v_lshlrev_b32_e32 v17, 16, v17
	v_mul_f32_e32 v17, v5, v17
	s_delay_alu instid0(VALU_DEP_1) | instskip(SKIP_2) | instid1(VALU_DEP_3)
	v_bfe_u32 v18, v17, 16, 1
	v_or_b32_e32 v20, 0x400000, v17
	v_cmp_u_f32_e32 vcc_lo, v17, v17
	v_add3_u32 v18, v18, v17, 0x7fff
	s_wait_alu 0xfffd
	s_delay_alu instid0(VALU_DEP_1) | instskip(SKIP_2) | instid1(VALU_DEP_1)
	v_cndmask_b32_e32 v17, v18, v20, vcc_lo
	scratch_load_b32 v18, off, off offset:100 th:TH_LOAD_LU ; 4-byte Folded Reload
	v_and_b32_e32 v9, 0xffff0000, v17
	v_add_f32_e32 v9, v9, v14
	s_delay_alu instid0(VALU_DEP_1) | instskip(SKIP_2) | instid1(VALU_DEP_1)
	v_add_f32_e32 v0, v9, v0
	s_wait_loadcnt 0x0
	v_lshlrev_b32_e32 v18, 16, v18
	v_mul_f32_e32 v18, v1, v18
	s_delay_alu instid0(VALU_DEP_1) | instskip(SKIP_2) | instid1(VALU_DEP_3)
	v_bfe_u32 v20, v18, 16, 1
	v_or_b32_e32 v21, 0x400000, v18
	v_cmp_u_f32_e32 vcc_lo, v18, v18
	v_add3_u32 v20, v20, v18, 0x7fff
	s_wait_alu 0xfffd
	s_delay_alu instid0(VALU_DEP_1) | instskip(SKIP_4) | instid1(VALU_DEP_1)
	v_cndmask_b32_e32 v18, v20, v21, vcc_lo
	scratch_load_b32 v20, off, off offset:96 th:TH_LOAD_LU ; 4-byte Folded Reload
	v_and_b32_e32 v14, 0xffff0000, v18
	s_wait_loadcnt 0x0
	v_lshlrev_b32_e32 v20, 16, v20
	v_mul_f32_e32 v20, v3, v20
	s_delay_alu instid0(VALU_DEP_1) | instskip(SKIP_2) | instid1(VALU_DEP_3)
	v_bfe_u32 v21, v20, 16, 1
	v_or_b32_e32 v22, 0x400000, v20
	v_cmp_u_f32_e32 vcc_lo, v20, v20
	v_add3_u32 v21, v21, v20, 0x7fff
	s_wait_alu 0xfffd
	s_delay_alu instid0(VALU_DEP_1) | instskip(NEXT) | instid1(VALU_DEP_1)
	v_cndmask_b32_e32 v20, v21, v22, vcc_lo
	v_and_b32_e32 v9, 0xffff0000, v20
	s_delay_alu instid0(VALU_DEP_1) | instskip(NEXT) | instid1(VALU_DEP_1)
	v_add_f32_e32 v9, v9, v14
	v_add_f32_e32 v0, v9, v0
	s_delay_alu instid0(VALU_DEP_1) | instskip(SKIP_3) | instid1(VALU_DEP_1)
	v_add_f32_e32 v31, v31, v0
	scratch_load_b32 v0, off, off offset:92 th:TH_LOAD_LU ; 4-byte Folded Reload
	s_wait_loadcnt 0x0
	v_lshlrev_b32_e32 v0, 16, v0
	v_mul_f32_e32 v0, v7, v0
	s_delay_alu instid0(VALU_DEP_1) | instskip(SKIP_2) | instid1(VALU_DEP_3)
	v_bfe_u32 v9, v0, 16, 1
	v_or_b32_e32 v14, 0x400000, v0
	v_cmp_u_f32_e32 vcc_lo, v0, v0
	v_add3_u32 v9, v9, v0, 0x7fff
	s_wait_alu 0xfffd
	s_delay_alu instid0(VALU_DEP_1) | instskip(SKIP_4) | instid1(VALU_DEP_1)
	v_cndmask_b32_e32 v0, v9, v14, vcc_lo
	scratch_load_b32 v9, off, off offset:88 th:TH_LOAD_LU ; 4-byte Folded Reload
	v_and_b32_e32 v0, 0xffff0000, v0
	s_wait_loadcnt 0x0
	v_lshlrev_b32_e32 v9, 16, v9
	v_mul_f32_e32 v9, v8, v9
	s_delay_alu instid0(VALU_DEP_1) | instskip(SKIP_2) | instid1(VALU_DEP_3)
	v_bfe_u32 v14, v9, 16, 1
	v_or_b32_e32 v15, 0x400000, v9
	v_cmp_u_f32_e32 vcc_lo, v9, v9
	v_add3_u32 v14, v14, v9, 0x7fff
	s_wait_alu 0xfffd
	s_delay_alu instid0(VALU_DEP_1) | instskip(SKIP_2) | instid1(VALU_DEP_1)
	v_cndmask_b32_e32 v9, v14, v15, vcc_lo
	scratch_load_b32 v14, off, off offset:84 th:TH_LOAD_LU ; 4-byte Folded Reload
	v_and_b32_e32 v9, 0xffff0000, v9
	v_add_f32_e32 v0, v9, v0
	s_wait_loadcnt 0x0
	v_lshlrev_b32_e32 v14, 16, v14
	s_delay_alu instid0(VALU_DEP_1) | instskip(NEXT) | instid1(VALU_DEP_1)
	v_mul_f32_e32 v14, v4, v14
	v_bfe_u32 v15, v14, 16, 1
	v_or_b32_e32 v16, 0x400000, v14
	v_cmp_u_f32_e32 vcc_lo, v14, v14
	s_delay_alu instid0(VALU_DEP_3) | instskip(SKIP_1) | instid1(VALU_DEP_1)
	v_add3_u32 v15, v15, v14, 0x7fff
	s_wait_alu 0xfffd
	v_cndmask_b32_e32 v14, v15, v16, vcc_lo
	scratch_load_b32 v15, off, off offset:80 th:TH_LOAD_LU ; 4-byte Folded Reload
	v_and_b32_e32 v14, 0xffff0000, v14
	s_wait_loadcnt 0x0
	v_lshlrev_b32_e32 v15, 16, v15
	s_delay_alu instid0(VALU_DEP_1) | instskip(NEXT) | instid1(VALU_DEP_1)
	v_mul_f32_e32 v15, v6, v15
	v_bfe_u32 v16, v15, 16, 1
	v_or_b32_e32 v17, 0x400000, v15
	v_cmp_u_f32_e32 vcc_lo, v15, v15
	s_delay_alu instid0(VALU_DEP_3) | instskip(SKIP_1) | instid1(VALU_DEP_1)
	v_add3_u32 v16, v16, v15, 0x7fff
	s_wait_alu 0xfffd
	v_cndmask_b32_e32 v15, v16, v17, vcc_lo
	scratch_load_b32 v16, off, off offset:76 th:TH_LOAD_LU ; 4-byte Folded Reload
	v_and_b32_e32 v9, 0xffff0000, v15
	s_delay_alu instid0(VALU_DEP_1) | instskip(NEXT) | instid1(VALU_DEP_1)
	v_add_f32_e32 v9, v9, v14
	v_add_f32_e32 v0, v9, v0
	s_wait_loadcnt 0x0
	v_lshlrev_b32_e32 v16, 16, v16
	s_delay_alu instid0(VALU_DEP_1) | instskip(NEXT) | instid1(VALU_DEP_1)
	v_mul_f32_e32 v16, v2, v16
	v_bfe_u32 v17, v16, 16, 1
	v_or_b32_e32 v18, 0x400000, v16
	v_cmp_u_f32_e32 vcc_lo, v16, v16
	s_delay_alu instid0(VALU_DEP_3) | instskip(SKIP_1) | instid1(VALU_DEP_1)
	v_add3_u32 v17, v17, v16, 0x7fff
	s_wait_alu 0xfffd
	v_cndmask_b32_e32 v16, v17, v18, vcc_lo
	scratch_load_b32 v17, off, off offset:72 th:TH_LOAD_LU ; 4-byte Folded Reload
	v_and_b32_e32 v14, 0xffff0000, v16
	s_wait_loadcnt 0x0
	v_lshlrev_b32_e32 v17, 16, v17
	s_delay_alu instid0(VALU_DEP_1) | instskip(NEXT) | instid1(VALU_DEP_1)
	v_mul_f32_e32 v17, v5, v17
	v_bfe_u32 v18, v17, 16, 1
	v_or_b32_e32 v20, 0x400000, v17
	v_cmp_u_f32_e32 vcc_lo, v17, v17
	s_delay_alu instid0(VALU_DEP_3) | instskip(SKIP_1) | instid1(VALU_DEP_1)
	v_add3_u32 v18, v18, v17, 0x7fff
	s_wait_alu 0xfffd
	v_cndmask_b32_e32 v17, v18, v20, vcc_lo
	scratch_load_b32 v18, off, off offset:68 th:TH_LOAD_LU ; 4-byte Folded Reload
	v_and_b32_e32 v9, 0xffff0000, v17
	s_delay_alu instid0(VALU_DEP_1) | instskip(NEXT) | instid1(VALU_DEP_1)
	v_add_f32_e32 v9, v9, v14
	v_add_f32_e32 v0, v9, v0
	s_wait_loadcnt 0x0
	v_lshlrev_b32_e32 v18, 16, v18
	s_delay_alu instid0(VALU_DEP_1) | instskip(NEXT) | instid1(VALU_DEP_1)
	v_mul_f32_e32 v18, v1, v18
	v_bfe_u32 v20, v18, 16, 1
	v_or_b32_e32 v21, 0x400000, v18
	v_cmp_u_f32_e32 vcc_lo, v18, v18
	s_delay_alu instid0(VALU_DEP_3) | instskip(SKIP_1) | instid1(VALU_DEP_1)
	v_add3_u32 v20, v20, v18, 0x7fff
	s_wait_alu 0xfffd
	v_cndmask_b32_e32 v18, v20, v21, vcc_lo
	scratch_load_b32 v20, off, off offset:64 th:TH_LOAD_LU ; 4-byte Folded Reload
	v_and_b32_e32 v14, 0xffff0000, v18
	s_wait_loadcnt 0x0
	v_lshlrev_b32_e32 v20, 16, v20
	s_delay_alu instid0(VALU_DEP_1) | instskip(NEXT) | instid1(VALU_DEP_1)
	v_mul_f32_e32 v20, v3, v20
	v_bfe_u32 v21, v20, 16, 1
	v_or_b32_e32 v22, 0x400000, v20
	v_cmp_u_f32_e32 vcc_lo, v20, v20
	s_delay_alu instid0(VALU_DEP_3) | instskip(SKIP_1) | instid1(VALU_DEP_1)
	v_add3_u32 v21, v21, v20, 0x7fff
	s_wait_alu 0xfffd
	v_cndmask_b32_e32 v20, v21, v22, vcc_lo
	s_delay_alu instid0(VALU_DEP_1) | instskip(NEXT) | instid1(VALU_DEP_1)
	v_and_b32_e32 v9, 0xffff0000, v20
	v_add_f32_e32 v9, v9, v14
	s_delay_alu instid0(VALU_DEP_1) | instskip(NEXT) | instid1(VALU_DEP_1)
	v_add_f32_e32 v0, v9, v0
	v_add_f32_e32 v32, v32, v0
	scratch_load_b32 v0, off, off offset:60 th:TH_LOAD_LU ; 4-byte Folded Reload
	s_wait_loadcnt 0x0
	v_lshlrev_b32_e32 v0, 16, v0
	s_delay_alu instid0(VALU_DEP_1) | instskip(NEXT) | instid1(VALU_DEP_1)
	v_mul_f32_e32 v0, v7, v0
	v_bfe_u32 v9, v0, 16, 1
	v_or_b32_e32 v14, 0x400000, v0
	v_cmp_u_f32_e32 vcc_lo, v0, v0
	s_delay_alu instid0(VALU_DEP_3) | instskip(SKIP_1) | instid1(VALU_DEP_1)
	v_add3_u32 v9, v9, v0, 0x7fff
	s_wait_alu 0xfffd
	v_cndmask_b32_e32 v0, v9, v14, vcc_lo
	scratch_load_b32 v9, off, off offset:56 th:TH_LOAD_LU ; 4-byte Folded Reload
	v_and_b32_e32 v0, 0xffff0000, v0
	s_wait_loadcnt 0x0
	v_lshlrev_b32_e32 v9, 16, v9
	s_delay_alu instid0(VALU_DEP_1) | instskip(NEXT) | instid1(VALU_DEP_1)
	v_mul_f32_e32 v9, v8, v9
	v_bfe_u32 v14, v9, 16, 1
	v_or_b32_e32 v15, 0x400000, v9
	v_cmp_u_f32_e32 vcc_lo, v9, v9
	s_delay_alu instid0(VALU_DEP_3) | instskip(SKIP_1) | instid1(VALU_DEP_1)
	v_add3_u32 v14, v14, v9, 0x7fff
	s_wait_alu 0xfffd
	v_cndmask_b32_e32 v9, v14, v15, vcc_lo
	scratch_load_b32 v14, off, off offset:52 th:TH_LOAD_LU ; 4-byte Folded Reload
	v_and_b32_e32 v9, 0xffff0000, v9
	s_delay_alu instid0(VALU_DEP_1) | instskip(SKIP_2) | instid1(VALU_DEP_1)
	v_add_f32_e32 v0, v9, v0
	s_wait_loadcnt 0x0
	v_lshlrev_b32_e32 v14, 16, v14
	v_mul_f32_e32 v14, v4, v14
	s_delay_alu instid0(VALU_DEP_1) | instskip(SKIP_2) | instid1(VALU_DEP_3)
	v_bfe_u32 v15, v14, 16, 1
	v_or_b32_e32 v16, 0x400000, v14
	v_cmp_u_f32_e32 vcc_lo, v14, v14
	v_add3_u32 v15, v15, v14, 0x7fff
	s_wait_alu 0xfffd
	s_delay_alu instid0(VALU_DEP_1) | instskip(SKIP_4) | instid1(VALU_DEP_1)
	v_cndmask_b32_e32 v14, v15, v16, vcc_lo
	scratch_load_b32 v15, off, off offset:48 th:TH_LOAD_LU ; 4-byte Folded Reload
	v_and_b32_e32 v14, 0xffff0000, v14
	s_wait_loadcnt 0x0
	v_lshlrev_b32_e32 v15, 16, v15
	v_mul_f32_e32 v15, v6, v15
	s_delay_alu instid0(VALU_DEP_1) | instskip(SKIP_2) | instid1(VALU_DEP_3)
	v_bfe_u32 v16, v15, 16, 1
	v_or_b32_e32 v17, 0x400000, v15
	v_cmp_u_f32_e32 vcc_lo, v15, v15
	v_add3_u32 v16, v16, v15, 0x7fff
	s_wait_alu 0xfffd
	s_delay_alu instid0(VALU_DEP_1) | instskip(SKIP_2) | instid1(VALU_DEP_1)
	v_cndmask_b32_e32 v15, v16, v17, vcc_lo
	scratch_load_b32 v16, off, off offset:44 th:TH_LOAD_LU ; 4-byte Folded Reload
	v_and_b32_e32 v9, 0xffff0000, v15
	v_add_f32_e32 v9, v9, v14
	s_delay_alu instid0(VALU_DEP_1) | instskip(SKIP_2) | instid1(VALU_DEP_1)
	v_add_f32_e32 v0, v9, v0
	s_wait_loadcnt 0x0
	v_lshlrev_b32_e32 v16, 16, v16
	v_mul_f32_e32 v16, v2, v16
	s_delay_alu instid0(VALU_DEP_1) | instskip(SKIP_2) | instid1(VALU_DEP_3)
	v_bfe_u32 v17, v16, 16, 1
	v_or_b32_e32 v18, 0x400000, v16
	v_cmp_u_f32_e32 vcc_lo, v16, v16
	v_add3_u32 v17, v17, v16, 0x7fff
	s_wait_alu 0xfffd
	s_delay_alu instid0(VALU_DEP_1) | instskip(SKIP_4) | instid1(VALU_DEP_1)
	v_cndmask_b32_e32 v16, v17, v18, vcc_lo
	scratch_load_b32 v17, off, off offset:40 th:TH_LOAD_LU ; 4-byte Folded Reload
	v_and_b32_e32 v14, 0xffff0000, v16
	s_wait_loadcnt 0x0
	v_lshlrev_b32_e32 v17, 16, v17
	v_mul_f32_e32 v17, v5, v17
	s_delay_alu instid0(VALU_DEP_1) | instskip(SKIP_2) | instid1(VALU_DEP_3)
	v_bfe_u32 v18, v17, 16, 1
	v_or_b32_e32 v20, 0x400000, v17
	v_cmp_u_f32_e32 vcc_lo, v17, v17
	v_add3_u32 v18, v18, v17, 0x7fff
	s_wait_alu 0xfffd
	s_delay_alu instid0(VALU_DEP_1) | instskip(SKIP_2) | instid1(VALU_DEP_1)
	v_cndmask_b32_e32 v17, v18, v20, vcc_lo
	scratch_load_b32 v18, off, off offset:36 th:TH_LOAD_LU ; 4-byte Folded Reload
	v_and_b32_e32 v9, 0xffff0000, v17
	v_add_f32_e32 v9, v9, v14
	s_delay_alu instid0(VALU_DEP_1) | instskip(SKIP_2) | instid1(VALU_DEP_1)
	v_add_f32_e32 v0, v9, v0
	s_wait_loadcnt 0x0
	v_lshlrev_b32_e32 v18, 16, v18
	v_mul_f32_e32 v18, v1, v18
	s_delay_alu instid0(VALU_DEP_1) | instskip(SKIP_2) | instid1(VALU_DEP_3)
	v_bfe_u32 v20, v18, 16, 1
	v_or_b32_e32 v21, 0x400000, v18
	v_cmp_u_f32_e32 vcc_lo, v18, v18
	v_add3_u32 v20, v20, v18, 0x7fff
	s_wait_alu 0xfffd
	s_delay_alu instid0(VALU_DEP_1) | instskip(SKIP_4) | instid1(VALU_DEP_1)
	v_cndmask_b32_e32 v18, v20, v21, vcc_lo
	scratch_load_b32 v20, off, off offset:32 th:TH_LOAD_LU ; 4-byte Folded Reload
	v_and_b32_e32 v14, 0xffff0000, v18
	s_wait_loadcnt 0x0
	v_lshlrev_b32_e32 v20, 16, v20
	v_mul_f32_e32 v20, v3, v20
	s_delay_alu instid0(VALU_DEP_1) | instskip(SKIP_2) | instid1(VALU_DEP_3)
	v_bfe_u32 v21, v20, 16, 1
	v_or_b32_e32 v22, 0x400000, v20
	v_cmp_u_f32_e32 vcc_lo, v20, v20
	v_add3_u32 v21, v21, v20, 0x7fff
	s_wait_alu 0xfffd
	s_delay_alu instid0(VALU_DEP_1) | instskip(NEXT) | instid1(VALU_DEP_1)
	v_cndmask_b32_e32 v20, v21, v22, vcc_lo
	v_and_b32_e32 v9, 0xffff0000, v20
	s_delay_alu instid0(VALU_DEP_1) | instskip(NEXT) | instid1(VALU_DEP_1)
	v_add_f32_e32 v9, v9, v14
	v_add_f32_e32 v0, v9, v0
	s_delay_alu instid0(VALU_DEP_1) | instskip(SKIP_3) | instid1(VALU_DEP_1)
	v_add_f32_e32 v33, v33, v0
	scratch_load_b32 v0, off, off offset:28 th:TH_LOAD_LU ; 4-byte Folded Reload
	s_wait_loadcnt 0x0
	v_lshlrev_b32_e32 v0, 16, v0
	v_mul_f32_e32 v0, v7, v0
	s_delay_alu instid0(VALU_DEP_1) | instskip(SKIP_2) | instid1(VALU_DEP_3)
	v_bfe_u32 v9, v0, 16, 1
	v_or_b32_e32 v14, 0x400000, v0
	v_cmp_u_f32_e32 vcc_lo, v0, v0
	v_add3_u32 v9, v9, v0, 0x7fff
	s_wait_alu 0xfffd
	s_delay_alu instid0(VALU_DEP_1) | instskip(SKIP_4) | instid1(VALU_DEP_1)
	v_cndmask_b32_e32 v0, v9, v14, vcc_lo
	scratch_load_b32 v9, off, off offset:24 th:TH_LOAD_LU ; 4-byte Folded Reload
	v_and_b32_e32 v0, 0xffff0000, v0
	s_wait_loadcnt 0x0
	v_lshlrev_b32_e32 v9, 16, v9
	v_mul_f32_e32 v9, v8, v9
	s_delay_alu instid0(VALU_DEP_1) | instskip(SKIP_2) | instid1(VALU_DEP_3)
	v_bfe_u32 v14, v9, 16, 1
	v_or_b32_e32 v15, 0x400000, v9
	v_cmp_u_f32_e32 vcc_lo, v9, v9
	v_add3_u32 v14, v14, v9, 0x7fff
	s_wait_alu 0xfffd
	s_delay_alu instid0(VALU_DEP_1) | instskip(SKIP_2) | instid1(VALU_DEP_1)
	v_cndmask_b32_e32 v9, v14, v15, vcc_lo
	scratch_load_b32 v14, off, off offset:20 th:TH_LOAD_LU ; 4-byte Folded Reload
	v_and_b32_e32 v9, 0xffff0000, v9
	v_add_f32_e32 v0, v9, v0
	s_wait_loadcnt 0x0
	v_lshlrev_b32_e32 v14, 16, v14
	s_delay_alu instid0(VALU_DEP_1) | instskip(NEXT) | instid1(VALU_DEP_1)
	v_mul_f32_e32 v14, v4, v14
	v_bfe_u32 v15, v14, 16, 1
	v_or_b32_e32 v16, 0x400000, v14
	v_cmp_u_f32_e32 vcc_lo, v14, v14
	s_delay_alu instid0(VALU_DEP_3) | instskip(SKIP_1) | instid1(VALU_DEP_1)
	v_add3_u32 v15, v15, v14, 0x7fff
	s_wait_alu 0xfffd
	v_cndmask_b32_e32 v14, v15, v16, vcc_lo
	scratch_load_b32 v15, off, off offset:16 th:TH_LOAD_LU ; 4-byte Folded Reload
	v_and_b32_e32 v14, 0xffff0000, v14
	s_wait_loadcnt 0x0
	v_lshlrev_b32_e32 v15, 16, v15
	s_delay_alu instid0(VALU_DEP_1) | instskip(NEXT) | instid1(VALU_DEP_1)
	v_mul_f32_e32 v15, v6, v15
	v_bfe_u32 v16, v15, 16, 1
	v_or_b32_e32 v17, 0x400000, v15
	v_cmp_u_f32_e32 vcc_lo, v15, v15
	s_delay_alu instid0(VALU_DEP_3) | instskip(SKIP_1) | instid1(VALU_DEP_1)
	v_add3_u32 v16, v16, v15, 0x7fff
	s_wait_alu 0xfffd
	v_cndmask_b32_e32 v15, v16, v17, vcc_lo
	scratch_load_b32 v16, off, off offset:12 th:TH_LOAD_LU ; 4-byte Folded Reload
	v_and_b32_e32 v9, 0xffff0000, v15
	s_delay_alu instid0(VALU_DEP_1) | instskip(NEXT) | instid1(VALU_DEP_1)
	v_add_f32_e32 v9, v9, v14
	v_add_f32_e32 v0, v9, v0
	s_wait_loadcnt 0x0
	v_lshlrev_b32_e32 v16, 16, v16
	s_delay_alu instid0(VALU_DEP_1) | instskip(NEXT) | instid1(VALU_DEP_1)
	v_mul_f32_e32 v16, v2, v16
	v_bfe_u32 v17, v16, 16, 1
	v_or_b32_e32 v18, 0x400000, v16
	v_cmp_u_f32_e32 vcc_lo, v16, v16
	s_delay_alu instid0(VALU_DEP_3) | instskip(SKIP_1) | instid1(VALU_DEP_1)
	v_add3_u32 v17, v17, v16, 0x7fff
	s_wait_alu 0xfffd
	v_cndmask_b32_e32 v16, v17, v18, vcc_lo
	scratch_load_b32 v17, off, off offset:8 th:TH_LOAD_LU ; 4-byte Folded Reload
	v_and_b32_e32 v14, 0xffff0000, v16
	s_wait_loadcnt 0x0
	v_lshlrev_b32_e32 v17, 16, v17
	s_delay_alu instid0(VALU_DEP_1) | instskip(NEXT) | instid1(VALU_DEP_1)
	v_mul_f32_e32 v17, v5, v17
	v_bfe_u32 v18, v17, 16, 1
	v_or_b32_e32 v20, 0x400000, v17
	v_cmp_u_f32_e32 vcc_lo, v17, v17
	s_delay_alu instid0(VALU_DEP_3) | instskip(SKIP_1) | instid1(VALU_DEP_1)
	v_add3_u32 v18, v18, v17, 0x7fff
	s_wait_alu 0xfffd
	v_cndmask_b32_e32 v17, v18, v20, vcc_lo
	scratch_load_b32 v18, off, off offset:4 th:TH_LOAD_LU ; 4-byte Folded Reload
	v_and_b32_e32 v9, 0xffff0000, v17
	s_delay_alu instid0(VALU_DEP_1) | instskip(NEXT) | instid1(VALU_DEP_1)
	v_add_f32_e32 v9, v9, v14
	v_add_f32_e32 v0, v9, v0
	s_wait_loadcnt 0x0
	v_lshlrev_b32_e32 v18, 16, v18
	s_delay_alu instid0(VALU_DEP_1) | instskip(NEXT) | instid1(VALU_DEP_1)
	v_mul_f32_e32 v18, v1, v18
	v_bfe_u32 v20, v18, 16, 1
	v_or_b32_e32 v21, 0x400000, v18
	v_cmp_u_f32_e32 vcc_lo, v18, v18
	s_delay_alu instid0(VALU_DEP_3) | instskip(SKIP_1) | instid1(VALU_DEP_1)
	v_add3_u32 v20, v20, v18, 0x7fff
	s_wait_alu 0xfffd
	v_cndmask_b32_e32 v18, v20, v21, vcc_lo
	scratch_load_b32 v20, off, off th:TH_LOAD_LU ; 4-byte Folded Reload
	v_and_b32_e32 v14, 0xffff0000, v18
	s_wait_loadcnt 0x0
	v_lshlrev_b32_e32 v20, 16, v20
	s_delay_alu instid0(VALU_DEP_1) | instskip(NEXT) | instid1(VALU_DEP_1)
	v_mul_f32_e32 v20, v3, v20
	v_bfe_u32 v21, v20, 16, 1
	v_or_b32_e32 v22, 0x400000, v20
	v_cmp_u_f32_e32 vcc_lo, v20, v20
	s_delay_alu instid0(VALU_DEP_3) | instskip(SKIP_1) | instid1(VALU_DEP_1)
	v_add3_u32 v21, v21, v20, 0x7fff
	s_wait_alu 0xfffd
	v_cndmask_b32_e32 v20, v21, v22, vcc_lo
	s_delay_alu instid0(VALU_DEP_1) | instskip(NEXT) | instid1(VALU_DEP_1)
	v_and_b32_e32 v9, 0xffff0000, v20
	v_add_f32_e32 v9, v9, v14
	scratch_load_b32 v14, off, off offset:464 th:TH_LOAD_LU ; 4-byte Folded Reload
	v_add_f32_e32 v0, v9, v0
	s_wait_loadcnt 0x0
	s_delay_alu instid0(VALU_DEP_1) | instskip(SKIP_1) | instid1(VALU_DEP_1)
	v_add_f32_e32 v14, v14, v0
	v_lshlrev_b32_e32 v0, 16, v43
	v_mul_f32_e32 v0, v8, v0
	s_delay_alu instid0(VALU_DEP_1) | instskip(SKIP_2) | instid1(VALU_DEP_3)
	v_bfe_u32 v8, v0, 16, 1
	v_or_b32_e32 v9, 0x400000, v0
	v_cmp_u_f32_e32 vcc_lo, v0, v0
	v_add3_u32 v8, v8, v0, 0x7fff
	s_wait_alu 0xfffd
	s_delay_alu instid0(VALU_DEP_1) | instskip(SKIP_1) | instid1(VALU_DEP_2)
	v_cndmask_b32_e32 v0, v8, v9, vcc_lo
	v_lshlrev_b32_e32 v8, 16, v42
	v_and_b32_e32 v0, 0xffff0000, v0
	s_delay_alu instid0(VALU_DEP_2) | instskip(NEXT) | instid1(VALU_DEP_1)
	v_mul_f32_e32 v7, v7, v8
	v_bfe_u32 v8, v7, 16, 1
	v_or_b32_e32 v9, 0x400000, v7
	v_cmp_u_f32_e32 vcc_lo, v7, v7
	s_delay_alu instid0(VALU_DEP_3) | instskip(SKIP_1) | instid1(VALU_DEP_1)
	v_add3_u32 v8, v8, v7, 0x7fff
	s_wait_alu 0xfffd
	v_cndmask_b32_e32 v7, v8, v9, vcc_lo
	v_lshlrev_b32_e32 v8, 16, v41
	s_delay_alu instid0(VALU_DEP_1) | instskip(NEXT) | instid1(VALU_DEP_1)
	v_dual_mul_f32 v6, v6, v8 :: v_dual_and_b32 v7, 0xffff0000, v7
	v_add_f32_e32 v0, v0, v7
	s_delay_alu instid0(VALU_DEP_2) | instskip(SKIP_2) | instid1(VALU_DEP_3)
	v_bfe_u32 v8, v6, 16, 1
	v_or_b32_e32 v9, 0x400000, v6
	v_cmp_u_f32_e32 vcc_lo, v6, v6
	v_add3_u32 v8, v8, v6, 0x7fff
	s_wait_alu 0xfffd
	s_delay_alu instid0(VALU_DEP_1) | instskip(SKIP_1) | instid1(VALU_DEP_2)
	v_cndmask_b32_e32 v6, v8, v9, vcc_lo
	v_lshlrev_b32_e32 v8, 16, v13
	v_and_b32_e32 v6, 0xffff0000, v6
	s_delay_alu instid0(VALU_DEP_2) | instskip(NEXT) | instid1(VALU_DEP_1)
	v_mul_f32_e32 v4, v4, v8
	v_bfe_u32 v8, v4, 16, 1
	v_or_b32_e32 v9, 0x400000, v4
	v_cmp_u_f32_e32 vcc_lo, v4, v4
	s_delay_alu instid0(VALU_DEP_3) | instskip(SKIP_1) | instid1(VALU_DEP_1)
	v_add3_u32 v8, v8, v4, 0x7fff
	s_wait_alu 0xfffd
	v_cndmask_b32_e32 v4, v8, v9, vcc_lo
	v_lshlrev_b32_e32 v8, 16, v12
	s_delay_alu instid0(VALU_DEP_2) | instskip(NEXT) | instid1(VALU_DEP_2)
	v_and_b32_e32 v4, 0xffff0000, v4
	v_mul_f32_e32 v5, v5, v8
	s_delay_alu instid0(VALU_DEP_2) | instskip(NEXT) | instid1(VALU_DEP_2)
	v_add_f32_e32 v4, v6, v4
	v_bfe_u32 v8, v5, 16, 1
	v_or_b32_e32 v9, 0x400000, v5
	v_cmp_u_f32_e32 vcc_lo, v5, v5
	s_delay_alu instid0(VALU_DEP_4) | instskip(NEXT) | instid1(VALU_DEP_4)
	v_add_f32_e32 v0, v4, v0
	v_add3_u32 v8, v8, v5, 0x7fff
	s_wait_alu 0xfffd
	s_delay_alu instid0(VALU_DEP_1) | instskip(NEXT) | instid1(VALU_DEP_1)
	v_dual_cndmask_b32 v5, v8, v9 :: v_dual_lshlrev_b32 v8, 16, v11
	v_and_b32_e32 v4, 0xffff0000, v5
	s_delay_alu instid0(VALU_DEP_2) | instskip(NEXT) | instid1(VALU_DEP_1)
	v_mul_f32_e32 v2, v2, v8
	v_bfe_u32 v8, v2, 16, 1
	v_or_b32_e32 v9, 0x400000, v2
	v_cmp_u_f32_e32 vcc_lo, v2, v2
	s_delay_alu instid0(VALU_DEP_3) | instskip(SKIP_1) | instid1(VALU_DEP_1)
	v_add3_u32 v8, v8, v2, 0x7fff
	s_wait_alu 0xfffd
	v_cndmask_b32_e32 v2, v8, v9, vcc_lo
	v_lshlrev_b32_e32 v8, 16, v10
	s_delay_alu instid0(VALU_DEP_1) | instskip(NEXT) | instid1(VALU_DEP_1)
	v_dual_mul_f32 v3, v3, v8 :: v_dual_and_b32 v2, 0xffff0000, v2
	v_add_f32_e32 v2, v4, v2
	s_delay_alu instid0(VALU_DEP_2) | instskip(SKIP_2) | instid1(VALU_DEP_4)
	v_bfe_u32 v8, v3, 16, 1
	v_or_b32_e32 v9, 0x400000, v3
	v_cmp_u_f32_e32 vcc_lo, v3, v3
	v_add_f32_e32 v0, v2, v0
	s_delay_alu instid0(VALU_DEP_4) | instskip(SKIP_1) | instid1(VALU_DEP_1)
	v_add3_u32 v8, v8, v3, 0x7fff
	s_wait_alu 0xfffd
	v_dual_cndmask_b32 v3, v8, v9 :: v_dual_lshlrev_b32 v8, 16, v44
	s_delay_alu instid0(VALU_DEP_1) | instskip(NEXT) | instid1(VALU_DEP_1)
	v_dual_mul_f32 v1, v1, v8 :: v_dual_and_b32 v2, 0xffff0000, v3
	v_bfe_u32 v8, v1, 16, 1
	v_or_b32_e32 v9, 0x400000, v1
	v_cmp_u_f32_e32 vcc_lo, v1, v1
	s_delay_alu instid0(VALU_DEP_3) | instskip(SKIP_1) | instid1(VALU_DEP_1)
	v_add3_u32 v8, v8, v1, 0x7fff
	s_wait_alu 0xfffd
	v_cndmask_b32_e32 v1, v8, v9, vcc_lo
	s_delay_alu instid0(VALU_DEP_1) | instskip(NEXT) | instid1(VALU_DEP_1)
	v_and_b32_e32 v1, 0xffff0000, v1
	v_add_f32_e32 v1, v2, v1
	s_delay_alu instid0(VALU_DEP_1) | instskip(NEXT) | instid1(VALU_DEP_1)
	v_add_f32_e32 v0, v1, v0
	v_add_f32_e32 v55, v55, v0
.LBB357_37:                             ;   in Loop: Header=BB357_38 Depth=1
	s_wait_alu 0xfffe
	s_or_b32 exec_lo, exec_lo, s22
	v_mov_b32_e32 v0, v139
	s_delay_alu instid0(VALU_DEP_1) | instskip(NEXT) | instid1(VALU_DEP_1)
	v_add_nc_u32_e32 v0, 4, v0
	v_cmp_le_i32_e32 vcc_lo, s36, v0
	s_or_b32 s19, vcc_lo, s19
	s_wait_alu 0xfffe
	s_and_not1_b32 exec_lo, exec_lo, s19
	s_cbranch_execz .LBB357_103
.LBB357_38:                             ; =>This Inner Loop Header: Depth=1
	s_wait_loadcnt 0x0
	v_dual_mov_b32 v139, v0 :: v_dual_lshlrev_b32 v0, 5, v0
	s_delay_alu instid0(VALU_DEP_1) | instskip(NEXT) | instid1(VALU_DEP_1)
	v_sub_nc_u32_e32 v1, 0, v0
	v_max_i32_e32 v1, v0, v1
	s_delay_alu instid0(VALU_DEP_1) | instskip(NEXT) | instid1(VALU_DEP_1)
	v_mul_hi_u32 v2, v1, s26
	v_mul_lo_u32 v3, v2, s25
	s_delay_alu instid0(VALU_DEP_1) | instskip(SKIP_1) | instid1(VALU_DEP_2)
	v_sub_nc_u32_e32 v1, v1, v3
	v_add_nc_u32_e32 v3, 1, v2
	v_subrev_nc_u32_e32 v4, s25, v1
	v_cmp_le_u32_e32 vcc_lo, s25, v1
	s_wait_alu 0xfffd
	s_delay_alu instid0(VALU_DEP_2) | instskip(SKIP_1) | instid1(VALU_DEP_2)
	v_dual_cndmask_b32 v2, v2, v3 :: v_dual_cndmask_b32 v1, v1, v4
	v_ashrrev_i32_e32 v3, 31, v0
	v_add_nc_u32_e32 v4, 1, v2
	s_delay_alu instid0(VALU_DEP_3) | instskip(NEXT) | instid1(VALU_DEP_3)
	v_cmp_le_u32_e32 vcc_lo, s25, v1
	v_xor_b32_e32 v3, s27, v3
	s_wait_alu 0xfffd
	s_delay_alu instid0(VALU_DEP_3) | instskip(NEXT) | instid1(VALU_DEP_1)
	v_cndmask_b32_e32 v1, v2, v4, vcc_lo
	v_xor_b32_e32 v1, v1, v3
	s_delay_alu instid0(VALU_DEP_1) | instskip(NEXT) | instid1(VALU_DEP_1)
	v_sub_nc_u32_e32 v1, v1, v3
	v_add_nc_u32_e32 v2, s33, v1
	s_wait_alu 0xfffe
	v_cmp_lt_i32_e64 s0, s5, v1
	s_delay_alu instid0(VALU_DEP_2) | instskip(NEXT) | instid1(VALU_DEP_1)
	v_sub_nc_u32_e32 v3, 0, v2
	v_max_i32_e32 v3, v2, v3
	s_delay_alu instid0(VALU_DEP_1) | instskip(NEXT) | instid1(VALU_DEP_1)
	v_mul_hi_u32 v4, v3, s21
	v_mul_lo_u32 v4, v4, s3
	s_delay_alu instid0(VALU_DEP_1) | instskip(NEXT) | instid1(VALU_DEP_1)
	v_sub_nc_u32_e32 v3, v3, v4
	v_subrev_nc_u32_e32 v4, s3, v3
	v_cmp_le_u32_e32 vcc_lo, s3, v3
	s_wait_alu 0xfffd
	s_delay_alu instid0(VALU_DEP_2) | instskip(SKIP_1) | instid1(VALU_DEP_2)
	v_cndmask_b32_e32 v3, v3, v4, vcc_lo
	v_ashrrev_i32_e32 v2, 31, v2
	v_subrev_nc_u32_e32 v4, s3, v3
	v_cmp_le_u32_e32 vcc_lo, s3, v3
	s_wait_alu 0xfffd
	s_delay_alu instid0(VALU_DEP_2) | instskip(NEXT) | instid1(VALU_DEP_1)
	v_cndmask_b32_e32 v3, v3, v4, vcc_lo
	v_xor_b32_e32 v3, v3, v2
	s_delay_alu instid0(VALU_DEP_1) | instskip(NEXT) | instid1(VALU_DEP_1)
	v_sub_nc_u32_e32 v2, v3, v2
	v_cmp_eq_u32_e32 vcc_lo, 0, v2
	s_or_b32 s0, vcc_lo, s0
	s_wait_alu 0xfffe
	s_and_saveexec_b32 s22, s0
	s_cbranch_execz .LBB357_37
; %bb.39:                               ;   in Loop: Header=BB357_38 Depth=1
	v_mov_b32_e32 v3, v139
	s_clause 0x1f
	scratch_store_b32 off, v14, off offset:464
	scratch_store_b32 off, v33, off offset:460
	;; [unrolled: 1-line block ×32, first 2 shown]
	v_ashrrev_i32_e32 v4, 31, v3
	s_delay_alu instid0(VALU_DEP_1) | instskip(NEXT) | instid1(VALU_DEP_1)
	v_lshlrev_b64_e32 v[1:2], 2, v[3:4]
	v_add_co_u32 v1, vcc_lo, s12, v1
	s_wait_alu 0xfffd
	s_delay_alu instid0(VALU_DEP_2)
	v_add_co_ci_u32_e64 v2, null, s13, v2, vcc_lo
	global_load_b32 v1, v[1:2], off
	s_wait_loadcnt 0x0
	v_mad_co_i64_i32 v[10:11], null, v1, s16, s[14:15]
	scratch_load_b32 v1, off, off offset:472 ; 4-byte Folded Reload
	s_wait_loadcnt 0x0
	v_add_co_u32 v12, vcc_lo, v10, v1
	s_wait_alu 0xfffd
	v_add_co_ci_u32_e64 v13, null, 0, v11, vcc_lo
	v_cmp_eq_u32_e32 vcc_lo, s17, v3
	global_load_b64 v[14:15], v[12:13], off
	scratch_load_b32 v1, off, off offset:468 ; 4-byte Folded Reload
	s_load_b32 s23, s[10:11], 0x0
	s_wait_loadcnt 0x1
	v_bfe_u32 v9, v14, 8, 8
	s_wait_loadcnt 0x0
	v_or_b32_e32 v173, v0, v1
	v_bfe_u32 v16, v14, 16, 8
	v_bfe_u32 v18, v15, 8, 8
	;; [unrolled: 1-line block ×3, first 2 shown]
	v_cvt_f32_fp8_e32 v9, v9
	v_lshl_add_u32 v0, v173, 2, s18
	v_cvt_f32_fp8_e32 v16, v16
	v_cvt_f32_fp8_e32 v18, v18
	ds_load_2addr_b64 v[5:8], v0 offset1:1
	ds_load_2addr_b64 v[1:4], v0 offset0:2 offset1:3
	v_and_b32_e32 v0, 0xff, v14
	v_lshrrev_b32_e32 v14, 24, v14
	s_wait_kmcnt 0x0
	v_dual_mul_f32 v9, s23, v9 :: v_dual_mul_f32 v16, s23, v16
	v_cvt_f32_fp8_e32 v20, v20
	v_cvt_f32_fp8_e32 v0, v0
	v_and_b32_e32 v17, 0xff, v15
	v_cvt_f32_fp8_e32 v14, v14
	v_bfe_u32 v23, v9, 16, 1
	v_or_b32_e32 v24, 0x400000, v9
	v_mul_f32_e32 v0, s23, v0
	v_cvt_f32_fp8_e32 v17, v17
	v_mul_f32_e32 v14, s23, v14
	v_bfe_u32 v25, v16, 16, 1
	v_add3_u32 v23, v23, v9, 0x7fff
	v_bfe_u32 v21, v0, 16, 1
	v_or_b32_e32 v22, 0x400000, v0
	v_cmp_u_f32_e64 s0, v0, v0
	v_lshrrev_b32_e32 v15, 24, v15
	v_mul_f32_e32 v17, s23, v17
	v_add3_u32 v21, v21, v0, 0x7fff
	v_or_b32_e32 v26, 0x400000, v16
	v_bfe_u32 v27, v14, 16, 1
	v_add3_u32 v25, v25, v16, 0x7fff
	v_cvt_f32_fp8_e32 v15, v15
	s_wait_alu 0xf1ff
	v_cndmask_b32_e64 v0, v21, v22, s0
	v_cmp_u_f32_e64 s0, v9, v9
	v_mul_f32_e32 v18, s23, v18
	v_or_b32_e32 v28, 0x400000, v14
	v_bfe_u32 v29, v17, 16, 1
	v_lshrrev_b32_e32 v0, 16, v0
	s_wait_alu 0xf1ff
	v_cndmask_b32_e64 v9, v23, v24, s0
	v_cmp_u_f32_e64 s0, v16, v16
	v_add3_u32 v27, v27, v14, 0x7fff
	v_mul_f32_e32 v20, s23, v20
	scratch_store_b32 off, v0, off offset:24 ; 4-byte Folded Spill
	v_lshrrev_b32_e32 v0, 16, v9
	s_wait_alu 0xf1ff
	v_cndmask_b32_e64 v16, v25, v26, s0
	v_cmp_u_f32_e64 s0, v14, v14
	v_mul_f32_e32 v15, s23, v15
	v_or_b32_e32 v30, 0x400000, v17
	v_bfe_u32 v31, v18, 16, 1
	v_add3_u32 v29, v29, v17, 0x7fff
	s_wait_alu 0xf1ff
	v_cndmask_b32_e64 v14, v27, v28, s0
	v_cmp_u_f32_e64 s0, v17, v17
	scratch_store_b32 off, v0, off offset:28 ; 4-byte Folded Spill
	v_lshrrev_b32_e32 v0, 16, v16
	v_or_b32_e32 v32, 0x400000, v18
	v_bfe_u32 v33, v20, 16, 1
	v_add3_u32 v31, v31, v18, 0x7fff
	s_wait_alu 0xf1ff
	v_cndmask_b32_e64 v17, v29, v30, s0
	v_cmp_u_f32_e64 s0, v18, v18
	scratch_store_b32 off, v0, off offset:16 ; 4-byte Folded Spill
	v_lshrrev_b32_e32 v0, 16, v14
	v_or_b32_e32 v34, 0x400000, v20
	v_bfe_u32 v35, v15, 16, 1
	v_add3_u32 v33, v33, v20, 0x7fff
	s_wait_alu 0xf1ff
	v_cndmask_b32_e64 v18, v31, v32, s0
	v_cmp_u_f32_e64 s0, v20, v20
	scratch_store_b32 off, v0, off offset:20 ; 4-byte Folded Spill
	v_lshrrev_b32_e32 v0, 16, v17
	v_or_b32_e32 v36, 0x400000, v15
	v_add3_u32 v35, v35, v15, 0x7fff
	s_wait_alu 0xf1ff
	v_cndmask_b32_e64 v20, v33, v34, s0
	v_cmp_u_f32_e64 s0, v15, v15
	scratch_store_b32 off, v0, off offset:8 ; 4-byte Folded Spill
	v_lshrrev_b32_e32 v0, 16, v18
	v_or_b32_e32 v179, 1, v173
	v_or_b32_e32 v178, 2, v173
	s_wait_alu 0xf1ff
	v_cndmask_b32_e64 v15, v35, v36, s0
	v_or_b32_e32 v177, 3, v173
	scratch_store_b32 off, v0, off offset:12 ; 4-byte Folded Spill
	v_lshrrev_b32_e32 v0, 16, v20
	v_or_b32_e32 v176, 4, v173
	v_or_b32_e32 v175, 5, v173
	;; [unrolled: 1-line block ×4, first 2 shown]
	scratch_store_b32 off, v0, off          ; 4-byte Folded Spill
	v_lshrrev_b32_e32 v0, 16, v15
	scratch_store_b32 off, v0, off offset:4 ; 4-byte Folded Spill
	s_and_saveexec_b32 s28, vcc_lo
	s_cbranch_execz .LBB357_41
; %bb.40:                               ;   in Loop: Header=BB357_38 Depth=1
	scratch_load_b32 v0, off, off offset:24 ; 4-byte Folded Reload
	v_cmp_gt_i32_e64 s0, s7, v173
	s_wait_loadcnt 0x0
	s_wait_alu 0xf1ff
	s_delay_alu instid0(VALU_DEP_1)
	v_cndmask_b32_e64 v0, 0, v0, s0
	v_cmp_gt_i32_e64 s0, s7, v179
	scratch_store_b32 off, v0, off offset:24 ; 4-byte Folded Spill
	scratch_load_b32 v0, off, off offset:28 ; 4-byte Folded Reload
	s_wait_loadcnt 0x0
	s_wait_alu 0xf1ff
	v_cndmask_b32_e64 v0, 0, v0, s0
	v_cmp_gt_i32_e64 s0, s7, v178
	scratch_store_b32 off, v0, off offset:28 ; 4-byte Folded Spill
	scratch_load_b32 v0, off, off offset:16 ; 4-byte Folded Reload
	s_wait_loadcnt 0x0
	s_wait_alu 0xf1ff
	;; [unrolled: 6-line block ×3, first 2 shown]
	v_cndmask_b32_e64 v0, 0, v0, s0
	v_cmp_gt_i32_e64 s0, s7, v176
	scratch_store_b32 off, v0, off offset:20 ; 4-byte Folded Spill
	scratch_load_b32 v0, off, off offset:8  ; 4-byte Folded Reload
	s_wait_loadcnt 0x0
	s_wait_alu 0xf1ff
	v_cndmask_b32_e64 v0, 0, v0, s0
	v_cmp_gt_i32_e64 s0, s7, v175
	scratch_store_b32 off, v0, off offset:8 ; 4-byte Folded Spill
	scratch_load_b32 v0, off, off offset:12 ; 4-byte Folded Reload
	s_wait_loadcnt 0x0
	s_wait_alu 0xf1ff
	v_cndmask_b32_e64 v0, 0, v0, s0
	v_cmp_gt_i32_e64 s0, s7, v174
	scratch_store_b32 off, v0, off offset:12 ; 4-byte Folded Spill
	scratch_load_b32 v0, off, off           ; 4-byte Folded Reload
	s_wait_loadcnt 0x0
	s_wait_alu 0xf1ff
	v_cndmask_b32_e64 v0, 0, v0, s0
	v_cmp_gt_i32_e64 s0, s7, v180
	scratch_store_b32 off, v0, off          ; 4-byte Folded Spill
	scratch_load_b32 v0, off, off offset:4  ; 4-byte Folded Reload
	s_wait_loadcnt 0x0
	s_wait_alu 0xf1ff
	v_cndmask_b32_e64 v0, 0, v0, s0
	scratch_store_b32 off, v0, off offset:4 ; 4-byte Folded Spill
.LBB357_41:                             ;   in Loop: Header=BB357_38 Depth=1
	s_or_b32 exec_lo, exec_lo, s28
	global_load_b64 v[14:15], v[12:13], off offset:256
	s_wait_loadcnt 0x0
	v_bfe_u32 v9, v14, 8, 8
	v_bfe_u32 v16, v14, 16, 8
	;; [unrolled: 1-line block ×4, first 2 shown]
	s_delay_alu instid0(VALU_DEP_4)
	v_cvt_f32_fp8_e32 v9, v9
	v_and_b32_e32 v0, 0xff, v14
	v_lshrrev_b32_e32 v14, 24, v14
	v_cvt_f32_fp8_e32 v16, v16
	v_cvt_f32_fp8_e32 v18, v18
	v_mul_f32_e32 v9, s23, v9
	v_cvt_f32_fp8_e32 v0, v0
	v_and_b32_e32 v17, 0xff, v15
	v_lshrrev_b32_e32 v15, 24, v15
	v_cvt_f32_fp8_e32 v14, v14
	v_bfe_u32 v23, v9, 16, 1
	v_mul_f32_e32 v0, s23, v0
	v_cvt_f32_fp8_e32 v17, v17
	v_mul_f32_e32 v16, s23, v16
	v_cvt_f32_fp8_e32 v15, v15
	v_mul_f32_e32 v14, s23, v14
	v_bfe_u32 v21, v0, 16, 1
	v_or_b32_e32 v22, 0x400000, v0
	v_cmp_u_f32_e64 s0, v0, v0
	v_mul_f32_e32 v17, s23, v17
	v_or_b32_e32 v24, 0x400000, v9
	v_add3_u32 v21, v21, v0, 0x7fff
	v_bfe_u32 v25, v16, 16, 1
	v_add3_u32 v23, v23, v9, 0x7fff
	v_mul_f32_e32 v15, s23, v15
	v_or_b32_e32 v26, 0x400000, v16
	s_wait_alu 0xf1ff
	v_cndmask_b32_e64 v0, v21, v22, s0
	v_cmp_u_f32_e64 s0, v9, v9
	v_bfe_u32 v27, v14, 16, 1
	v_add3_u32 v25, v25, v16, 0x7fff
	v_cvt_f32_fp8_e32 v20, v20
	v_lshrrev_b32_e32 v0, 16, v0
	s_wait_alu 0xf1ff
	v_cndmask_b32_e64 v9, v23, v24, s0
	v_cmp_u_f32_e64 s0, v16, v16
	v_mul_f32_e32 v18, s23, v18
	v_or_b32_e32 v28, 0x400000, v14
	v_bfe_u32 v29, v17, 16, 1
	v_add3_u32 v27, v27, v14, 0x7fff
	s_wait_alu 0xf1ff
	v_cndmask_b32_e64 v16, v25, v26, s0
	v_cmp_u_f32_e64 s0, v14, v14
	scratch_store_b32 off, v0, off offset:56 ; 4-byte Folded Spill
	v_lshrrev_b32_e32 v0, 16, v9
	v_mul_f32_e32 v20, s23, v20
	v_or_b32_e32 v30, 0x400000, v17
	v_bfe_u32 v31, v18, 16, 1
	v_add3_u32 v29, v29, v17, 0x7fff
	s_wait_alu 0xf1ff
	v_cndmask_b32_e64 v14, v27, v28, s0
	v_cmp_u_f32_e64 s0, v17, v17
	scratch_store_b32 off, v0, off offset:60 ; 4-byte Folded Spill
	v_lshrrev_b32_e32 v0, 16, v16
	v_or_b32_e32 v32, 0x400000, v18
	v_bfe_u32 v33, v20, 16, 1
	v_add3_u32 v31, v31, v18, 0x7fff
	s_wait_alu 0xf1ff
	v_cndmask_b32_e64 v17, v29, v30, s0
	v_cmp_u_f32_e64 s0, v18, v18
	scratch_store_b32 off, v0, off offset:48 ; 4-byte Folded Spill
	v_lshrrev_b32_e32 v0, 16, v14
	;; [unrolled: 8-line block ×3, first 2 shown]
	v_or_b32_e32 v36, 0x400000, v15
	v_add3_u32 v35, v35, v15, 0x7fff
	s_wait_alu 0xf1ff
	v_cndmask_b32_e64 v20, v33, v34, s0
	v_cmp_u_f32_e64 s0, v15, v15
	scratch_store_b32 off, v0, off offset:40 ; 4-byte Folded Spill
	v_lshrrev_b32_e32 v0, 16, v18
	s_wait_alu 0xf1ff
	v_cndmask_b32_e64 v15, v35, v36, s0
	scratch_store_b32 off, v0, off offset:44 ; 4-byte Folded Spill
	v_lshrrev_b32_e32 v0, 16, v20
	scratch_store_b32 off, v0, off offset:32 ; 4-byte Folded Spill
	v_lshrrev_b32_e32 v0, 16, v15
	scratch_store_b32 off, v0, off offset:36 ; 4-byte Folded Spill
	s_and_saveexec_b32 s28, vcc_lo
	s_cbranch_execz .LBB357_43
; %bb.42:                               ;   in Loop: Header=BB357_38 Depth=1
	scratch_load_b32 v0, off, off offset:56 ; 4-byte Folded Reload
	v_cmp_gt_i32_e64 s0, s7, v173
	s_wait_loadcnt 0x0
	s_wait_alu 0xf1ff
	s_delay_alu instid0(VALU_DEP_1)
	v_cndmask_b32_e64 v0, 0, v0, s0
	v_cmp_gt_i32_e64 s0, s7, v179
	scratch_store_b32 off, v0, off offset:56 ; 4-byte Folded Spill
	scratch_load_b32 v0, off, off offset:60 ; 4-byte Folded Reload
	s_wait_loadcnt 0x0
	s_wait_alu 0xf1ff
	v_cndmask_b32_e64 v0, 0, v0, s0
	v_cmp_gt_i32_e64 s0, s7, v178
	scratch_store_b32 off, v0, off offset:60 ; 4-byte Folded Spill
	scratch_load_b32 v0, off, off offset:48 ; 4-byte Folded Reload
	s_wait_loadcnt 0x0
	s_wait_alu 0xf1ff
	;; [unrolled: 6-line block ×7, first 2 shown]
	v_cndmask_b32_e64 v0, 0, v0, s0
	scratch_store_b32 off, v0, off offset:36 ; 4-byte Folded Spill
.LBB357_43:                             ;   in Loop: Header=BB357_38 Depth=1
	s_or_b32 exec_lo, exec_lo, s28
	global_load_b64 v[14:15], v[12:13], off offset:512
	s_wait_loadcnt 0x0
	v_bfe_u32 v9, v14, 8, 8
	v_bfe_u32 v16, v14, 16, 8
	;; [unrolled: 1-line block ×4, first 2 shown]
	s_delay_alu instid0(VALU_DEP_4)
	v_cvt_f32_fp8_e32 v9, v9
	v_and_b32_e32 v0, 0xff, v14
	v_lshrrev_b32_e32 v14, 24, v14
	v_cvt_f32_fp8_e32 v16, v16
	v_cvt_f32_fp8_e32 v18, v18
	v_mul_f32_e32 v9, s23, v9
	v_cvt_f32_fp8_e32 v0, v0
	v_and_b32_e32 v17, 0xff, v15
	v_lshrrev_b32_e32 v15, 24, v15
	v_cvt_f32_fp8_e32 v14, v14
	v_bfe_u32 v23, v9, 16, 1
	v_mul_f32_e32 v0, s23, v0
	v_cvt_f32_fp8_e32 v17, v17
	v_mul_f32_e32 v16, s23, v16
	v_cvt_f32_fp8_e32 v15, v15
	v_mul_f32_e32 v14, s23, v14
	v_bfe_u32 v21, v0, 16, 1
	v_or_b32_e32 v22, 0x400000, v0
	v_cmp_u_f32_e64 s0, v0, v0
	v_mul_f32_e32 v17, s23, v17
	v_or_b32_e32 v24, 0x400000, v9
	v_add3_u32 v21, v21, v0, 0x7fff
	v_bfe_u32 v25, v16, 16, 1
	v_add3_u32 v23, v23, v9, 0x7fff
	v_mul_f32_e32 v15, s23, v15
	v_or_b32_e32 v26, 0x400000, v16
	s_wait_alu 0xf1ff
	v_cndmask_b32_e64 v0, v21, v22, s0
	v_cmp_u_f32_e64 s0, v9, v9
	v_bfe_u32 v27, v14, 16, 1
	v_add3_u32 v25, v25, v16, 0x7fff
	v_cvt_f32_fp8_e32 v20, v20
	v_lshrrev_b32_e32 v0, 16, v0
	s_wait_alu 0xf1ff
	v_cndmask_b32_e64 v9, v23, v24, s0
	v_cmp_u_f32_e64 s0, v16, v16
	v_mul_f32_e32 v18, s23, v18
	v_or_b32_e32 v28, 0x400000, v14
	v_bfe_u32 v29, v17, 16, 1
	v_add3_u32 v27, v27, v14, 0x7fff
	s_wait_alu 0xf1ff
	v_cndmask_b32_e64 v16, v25, v26, s0
	v_cmp_u_f32_e64 s0, v14, v14
	scratch_store_b32 off, v0, off offset:88 ; 4-byte Folded Spill
	v_lshrrev_b32_e32 v0, 16, v9
	v_mul_f32_e32 v20, s23, v20
	v_or_b32_e32 v30, 0x400000, v17
	v_bfe_u32 v31, v18, 16, 1
	v_add3_u32 v29, v29, v17, 0x7fff
	s_wait_alu 0xf1ff
	v_cndmask_b32_e64 v14, v27, v28, s0
	v_cmp_u_f32_e64 s0, v17, v17
	scratch_store_b32 off, v0, off offset:92 ; 4-byte Folded Spill
	v_lshrrev_b32_e32 v0, 16, v16
	v_or_b32_e32 v32, 0x400000, v18
	v_bfe_u32 v33, v20, 16, 1
	v_add3_u32 v31, v31, v18, 0x7fff
	s_wait_alu 0xf1ff
	v_cndmask_b32_e64 v17, v29, v30, s0
	v_cmp_u_f32_e64 s0, v18, v18
	scratch_store_b32 off, v0, off offset:80 ; 4-byte Folded Spill
	v_lshrrev_b32_e32 v0, 16, v14
	;; [unrolled: 8-line block ×3, first 2 shown]
	v_or_b32_e32 v36, 0x400000, v15
	v_add3_u32 v35, v35, v15, 0x7fff
	s_wait_alu 0xf1ff
	v_cndmask_b32_e64 v20, v33, v34, s0
	v_cmp_u_f32_e64 s0, v15, v15
	scratch_store_b32 off, v0, off offset:72 ; 4-byte Folded Spill
	v_lshrrev_b32_e32 v0, 16, v18
	s_wait_alu 0xf1ff
	v_cndmask_b32_e64 v15, v35, v36, s0
	scratch_store_b32 off, v0, off offset:76 ; 4-byte Folded Spill
	v_lshrrev_b32_e32 v0, 16, v20
	scratch_store_b32 off, v0, off offset:64 ; 4-byte Folded Spill
	v_lshrrev_b32_e32 v0, 16, v15
	scratch_store_b32 off, v0, off offset:68 ; 4-byte Folded Spill
	s_and_saveexec_b32 s28, vcc_lo
	s_cbranch_execz .LBB357_45
; %bb.44:                               ;   in Loop: Header=BB357_38 Depth=1
	scratch_load_b32 v0, off, off offset:88 ; 4-byte Folded Reload
	v_cmp_gt_i32_e64 s0, s7, v173
	s_wait_loadcnt 0x0
	s_wait_alu 0xf1ff
	s_delay_alu instid0(VALU_DEP_1)
	v_cndmask_b32_e64 v0, 0, v0, s0
	v_cmp_gt_i32_e64 s0, s7, v179
	scratch_store_b32 off, v0, off offset:88 ; 4-byte Folded Spill
	scratch_load_b32 v0, off, off offset:92 ; 4-byte Folded Reload
	s_wait_loadcnt 0x0
	s_wait_alu 0xf1ff
	v_cndmask_b32_e64 v0, 0, v0, s0
	v_cmp_gt_i32_e64 s0, s7, v178
	scratch_store_b32 off, v0, off offset:92 ; 4-byte Folded Spill
	scratch_load_b32 v0, off, off offset:80 ; 4-byte Folded Reload
	s_wait_loadcnt 0x0
	s_wait_alu 0xf1ff
	v_cndmask_b32_e64 v0, 0, v0, s0
	v_cmp_gt_i32_e64 s0, s7, v177
	scratch_store_b32 off, v0, off offset:80 ; 4-byte Folded Spill
	scratch_load_b32 v0, off, off offset:84 ; 4-byte Folded Reload
	s_wait_loadcnt 0x0
	s_wait_alu 0xf1ff
	v_cndmask_b32_e64 v0, 0, v0, s0
	v_cmp_gt_i32_e64 s0, s7, v176
	scratch_store_b32 off, v0, off offset:84 ; 4-byte Folded Spill
	scratch_load_b32 v0, off, off offset:72 ; 4-byte Folded Reload
	s_wait_loadcnt 0x0
	s_wait_alu 0xf1ff
	v_cndmask_b32_e64 v0, 0, v0, s0
	v_cmp_gt_i32_e64 s0, s7, v175
	scratch_store_b32 off, v0, off offset:72 ; 4-byte Folded Spill
	scratch_load_b32 v0, off, off offset:76 ; 4-byte Folded Reload
	s_wait_loadcnt 0x0
	s_wait_alu 0xf1ff
	v_cndmask_b32_e64 v0, 0, v0, s0
	v_cmp_gt_i32_e64 s0, s7, v174
	scratch_store_b32 off, v0, off offset:76 ; 4-byte Folded Spill
	scratch_load_b32 v0, off, off offset:64 ; 4-byte Folded Reload
	s_wait_loadcnt 0x0
	s_wait_alu 0xf1ff
	v_cndmask_b32_e64 v0, 0, v0, s0
	v_cmp_gt_i32_e64 s0, s7, v180
	scratch_store_b32 off, v0, off offset:64 ; 4-byte Folded Spill
	scratch_load_b32 v0, off, off offset:68 ; 4-byte Folded Reload
	s_wait_loadcnt 0x0
	s_wait_alu 0xf1ff
	v_cndmask_b32_e64 v0, 0, v0, s0
	scratch_store_b32 off, v0, off offset:68 ; 4-byte Folded Spill
.LBB357_45:                             ;   in Loop: Header=BB357_38 Depth=1
	s_or_b32 exec_lo, exec_lo, s28
	global_load_b64 v[14:15], v[12:13], off offset:768
	s_wait_loadcnt 0x0
	v_bfe_u32 v9, v14, 8, 8
	v_bfe_u32 v16, v14, 16, 8
	;; [unrolled: 1-line block ×4, first 2 shown]
	s_delay_alu instid0(VALU_DEP_4)
	v_cvt_f32_fp8_e32 v9, v9
	v_and_b32_e32 v0, 0xff, v14
	v_lshrrev_b32_e32 v14, 24, v14
	v_cvt_f32_fp8_e32 v16, v16
	v_cvt_f32_fp8_e32 v18, v18
	v_mul_f32_e32 v9, s23, v9
	v_cvt_f32_fp8_e32 v0, v0
	v_and_b32_e32 v17, 0xff, v15
	v_lshrrev_b32_e32 v15, 24, v15
	v_cvt_f32_fp8_e32 v14, v14
	v_bfe_u32 v23, v9, 16, 1
	v_mul_f32_e32 v0, s23, v0
	v_cvt_f32_fp8_e32 v17, v17
	v_mul_f32_e32 v16, s23, v16
	v_cvt_f32_fp8_e32 v15, v15
	v_mul_f32_e32 v14, s23, v14
	v_bfe_u32 v21, v0, 16, 1
	v_or_b32_e32 v22, 0x400000, v0
	v_cmp_u_f32_e64 s0, v0, v0
	v_mul_f32_e32 v17, s23, v17
	v_or_b32_e32 v24, 0x400000, v9
	v_add3_u32 v21, v21, v0, 0x7fff
	v_bfe_u32 v25, v16, 16, 1
	v_add3_u32 v23, v23, v9, 0x7fff
	v_mul_f32_e32 v15, s23, v15
	v_or_b32_e32 v26, 0x400000, v16
	s_wait_alu 0xf1ff
	v_cndmask_b32_e64 v0, v21, v22, s0
	v_cmp_u_f32_e64 s0, v9, v9
	v_bfe_u32 v27, v14, 16, 1
	v_add3_u32 v25, v25, v16, 0x7fff
	v_cvt_f32_fp8_e32 v20, v20
	v_lshrrev_b32_e32 v0, 16, v0
	s_wait_alu 0xf1ff
	v_cndmask_b32_e64 v9, v23, v24, s0
	v_cmp_u_f32_e64 s0, v16, v16
	v_mul_f32_e32 v18, s23, v18
	v_or_b32_e32 v28, 0x400000, v14
	v_bfe_u32 v29, v17, 16, 1
	v_add3_u32 v27, v27, v14, 0x7fff
	s_wait_alu 0xf1ff
	v_cndmask_b32_e64 v16, v25, v26, s0
	v_cmp_u_f32_e64 s0, v14, v14
	scratch_store_b32 off, v0, off offset:120 ; 4-byte Folded Spill
	v_lshrrev_b32_e32 v0, 16, v9
	v_mul_f32_e32 v20, s23, v20
	v_or_b32_e32 v30, 0x400000, v17
	v_bfe_u32 v31, v18, 16, 1
	v_add3_u32 v29, v29, v17, 0x7fff
	s_wait_alu 0xf1ff
	v_cndmask_b32_e64 v14, v27, v28, s0
	v_cmp_u_f32_e64 s0, v17, v17
	scratch_store_b32 off, v0, off offset:124 ; 4-byte Folded Spill
	v_lshrrev_b32_e32 v0, 16, v16
	v_or_b32_e32 v32, 0x400000, v18
	v_bfe_u32 v33, v20, 16, 1
	v_add3_u32 v31, v31, v18, 0x7fff
	s_wait_alu 0xf1ff
	v_cndmask_b32_e64 v17, v29, v30, s0
	v_cmp_u_f32_e64 s0, v18, v18
	scratch_store_b32 off, v0, off offset:112 ; 4-byte Folded Spill
	v_lshrrev_b32_e32 v0, 16, v14
	;; [unrolled: 8-line block ×3, first 2 shown]
	v_or_b32_e32 v36, 0x400000, v15
	v_add3_u32 v35, v35, v15, 0x7fff
	s_wait_alu 0xf1ff
	v_cndmask_b32_e64 v20, v33, v34, s0
	v_cmp_u_f32_e64 s0, v15, v15
	scratch_store_b32 off, v0, off offset:104 ; 4-byte Folded Spill
	v_lshrrev_b32_e32 v0, 16, v18
	s_wait_alu 0xf1ff
	v_cndmask_b32_e64 v15, v35, v36, s0
	scratch_store_b32 off, v0, off offset:108 ; 4-byte Folded Spill
	v_lshrrev_b32_e32 v0, 16, v20
	scratch_store_b32 off, v0, off offset:96 ; 4-byte Folded Spill
	v_lshrrev_b32_e32 v0, 16, v15
	scratch_store_b32 off, v0, off offset:100 ; 4-byte Folded Spill
	s_and_saveexec_b32 s28, vcc_lo
	s_cbranch_execz .LBB357_47
; %bb.46:                               ;   in Loop: Header=BB357_38 Depth=1
	scratch_load_b32 v0, off, off offset:120 ; 4-byte Folded Reload
	v_cmp_gt_i32_e64 s0, s7, v173
	s_wait_loadcnt 0x0
	s_wait_alu 0xf1ff
	s_delay_alu instid0(VALU_DEP_1)
	v_cndmask_b32_e64 v0, 0, v0, s0
	v_cmp_gt_i32_e64 s0, s7, v179
	scratch_store_b32 off, v0, off offset:120 ; 4-byte Folded Spill
	scratch_load_b32 v0, off, off offset:124 ; 4-byte Folded Reload
	s_wait_loadcnt 0x0
	s_wait_alu 0xf1ff
	v_cndmask_b32_e64 v0, 0, v0, s0
	v_cmp_gt_i32_e64 s0, s7, v178
	scratch_store_b32 off, v0, off offset:124 ; 4-byte Folded Spill
	scratch_load_b32 v0, off, off offset:112 ; 4-byte Folded Reload
	s_wait_loadcnt 0x0
	s_wait_alu 0xf1ff
	;; [unrolled: 6-line block ×7, first 2 shown]
	v_cndmask_b32_e64 v0, 0, v0, s0
	scratch_store_b32 off, v0, off offset:100 ; 4-byte Folded Spill
.LBB357_47:                             ;   in Loop: Header=BB357_38 Depth=1
	s_or_b32 exec_lo, exec_lo, s28
	global_load_b64 v[14:15], v[12:13], off offset:1024
	s_wait_loadcnt 0x0
	v_bfe_u32 v9, v14, 8, 8
	v_bfe_u32 v16, v14, 16, 8
	;; [unrolled: 1-line block ×4, first 2 shown]
	s_delay_alu instid0(VALU_DEP_4)
	v_cvt_f32_fp8_e32 v9, v9
	v_and_b32_e32 v0, 0xff, v14
	v_lshrrev_b32_e32 v14, 24, v14
	v_cvt_f32_fp8_e32 v16, v16
	v_cvt_f32_fp8_e32 v18, v18
	v_mul_f32_e32 v9, s23, v9
	v_cvt_f32_fp8_e32 v0, v0
	v_and_b32_e32 v17, 0xff, v15
	v_lshrrev_b32_e32 v15, 24, v15
	v_cvt_f32_fp8_e32 v14, v14
	v_bfe_u32 v23, v9, 16, 1
	v_mul_f32_e32 v0, s23, v0
	v_cvt_f32_fp8_e32 v17, v17
	v_mul_f32_e32 v16, s23, v16
	v_cvt_f32_fp8_e32 v15, v15
	v_mul_f32_e32 v14, s23, v14
	v_bfe_u32 v21, v0, 16, 1
	v_or_b32_e32 v22, 0x400000, v0
	v_cmp_u_f32_e64 s0, v0, v0
	v_mul_f32_e32 v17, s23, v17
	v_or_b32_e32 v24, 0x400000, v9
	v_add3_u32 v21, v21, v0, 0x7fff
	v_bfe_u32 v25, v16, 16, 1
	v_add3_u32 v23, v23, v9, 0x7fff
	v_mul_f32_e32 v15, s23, v15
	v_or_b32_e32 v26, 0x400000, v16
	s_wait_alu 0xf1ff
	v_cndmask_b32_e64 v0, v21, v22, s0
	v_cmp_u_f32_e64 s0, v9, v9
	v_bfe_u32 v27, v14, 16, 1
	v_add3_u32 v25, v25, v16, 0x7fff
	v_cvt_f32_fp8_e32 v20, v20
	v_lshrrev_b32_e32 v0, 16, v0
	s_wait_alu 0xf1ff
	v_cndmask_b32_e64 v9, v23, v24, s0
	v_cmp_u_f32_e64 s0, v16, v16
	v_mul_f32_e32 v18, s23, v18
	v_or_b32_e32 v28, 0x400000, v14
	v_bfe_u32 v29, v17, 16, 1
	v_add3_u32 v27, v27, v14, 0x7fff
	s_wait_alu 0xf1ff
	v_cndmask_b32_e64 v16, v25, v26, s0
	v_cmp_u_f32_e64 s0, v14, v14
	scratch_store_b32 off, v0, off offset:152 ; 4-byte Folded Spill
	v_lshrrev_b32_e32 v0, 16, v9
	v_mul_f32_e32 v20, s23, v20
	v_or_b32_e32 v30, 0x400000, v17
	v_bfe_u32 v31, v18, 16, 1
	v_add3_u32 v29, v29, v17, 0x7fff
	s_wait_alu 0xf1ff
	v_cndmask_b32_e64 v14, v27, v28, s0
	v_cmp_u_f32_e64 s0, v17, v17
	scratch_store_b32 off, v0, off offset:156 ; 4-byte Folded Spill
	v_lshrrev_b32_e32 v0, 16, v16
	v_or_b32_e32 v32, 0x400000, v18
	v_bfe_u32 v33, v20, 16, 1
	v_add3_u32 v31, v31, v18, 0x7fff
	s_wait_alu 0xf1ff
	v_cndmask_b32_e64 v17, v29, v30, s0
	v_cmp_u_f32_e64 s0, v18, v18
	scratch_store_b32 off, v0, off offset:144 ; 4-byte Folded Spill
	v_lshrrev_b32_e32 v0, 16, v14
	v_or_b32_e32 v34, 0x400000, v20
	v_bfe_u32 v35, v15, 16, 1
	v_add3_u32 v33, v33, v20, 0x7fff
	s_wait_alu 0xf1ff
	v_cndmask_b32_e64 v18, v31, v32, s0
	v_cmp_u_f32_e64 s0, v20, v20
	scratch_store_b32 off, v0, off offset:148 ; 4-byte Folded Spill
	v_lshrrev_b32_e32 v0, 16, v17
	v_or_b32_e32 v36, 0x400000, v15
	v_add3_u32 v35, v35, v15, 0x7fff
	s_wait_alu 0xf1ff
	v_cndmask_b32_e64 v20, v33, v34, s0
	v_cmp_u_f32_e64 s0, v15, v15
	scratch_store_b32 off, v0, off offset:136 ; 4-byte Folded Spill
	v_lshrrev_b32_e32 v0, 16, v18
	s_wait_alu 0xf1ff
	v_cndmask_b32_e64 v15, v35, v36, s0
	scratch_store_b32 off, v0, off offset:140 ; 4-byte Folded Spill
	v_lshrrev_b32_e32 v0, 16, v20
	scratch_store_b32 off, v0, off offset:128 ; 4-byte Folded Spill
	v_lshrrev_b32_e32 v0, 16, v15
	scratch_store_b32 off, v0, off offset:132 ; 4-byte Folded Spill
	s_and_saveexec_b32 s28, vcc_lo
	s_cbranch_execz .LBB357_49
; %bb.48:                               ;   in Loop: Header=BB357_38 Depth=1
	scratch_load_b32 v0, off, off offset:152 ; 4-byte Folded Reload
	v_cmp_gt_i32_e64 s0, s7, v173
	s_wait_loadcnt 0x0
	s_wait_alu 0xf1ff
	s_delay_alu instid0(VALU_DEP_1)
	v_cndmask_b32_e64 v0, 0, v0, s0
	v_cmp_gt_i32_e64 s0, s7, v179
	scratch_store_b32 off, v0, off offset:152 ; 4-byte Folded Spill
	scratch_load_b32 v0, off, off offset:156 ; 4-byte Folded Reload
	s_wait_loadcnt 0x0
	s_wait_alu 0xf1ff
	v_cndmask_b32_e64 v0, 0, v0, s0
	v_cmp_gt_i32_e64 s0, s7, v178
	scratch_store_b32 off, v0, off offset:156 ; 4-byte Folded Spill
	scratch_load_b32 v0, off, off offset:144 ; 4-byte Folded Reload
	s_wait_loadcnt 0x0
	s_wait_alu 0xf1ff
	;; [unrolled: 6-line block ×7, first 2 shown]
	v_cndmask_b32_e64 v0, 0, v0, s0
	scratch_store_b32 off, v0, off offset:132 ; 4-byte Folded Spill
.LBB357_49:                             ;   in Loop: Header=BB357_38 Depth=1
	s_or_b32 exec_lo, exec_lo, s28
	global_load_b64 v[14:15], v[12:13], off offset:1280
	s_wait_loadcnt 0x0
	v_bfe_u32 v9, v14, 8, 8
	v_bfe_u32 v16, v14, 16, 8
	v_bfe_u32 v18, v15, 8, 8
	v_bfe_u32 v20, v15, 16, 8
	s_delay_alu instid0(VALU_DEP_4)
	v_cvt_f32_fp8_e32 v9, v9
	v_and_b32_e32 v0, 0xff, v14
	v_lshrrev_b32_e32 v14, 24, v14
	v_cvt_f32_fp8_e32 v16, v16
	v_cvt_f32_fp8_e32 v18, v18
	v_mul_f32_e32 v9, s23, v9
	v_cvt_f32_fp8_e32 v0, v0
	v_and_b32_e32 v17, 0xff, v15
	v_lshrrev_b32_e32 v15, 24, v15
	v_cvt_f32_fp8_e32 v14, v14
	v_bfe_u32 v23, v9, 16, 1
	v_mul_f32_e32 v0, s23, v0
	v_cvt_f32_fp8_e32 v17, v17
	v_mul_f32_e32 v16, s23, v16
	v_cvt_f32_fp8_e32 v15, v15
	v_mul_f32_e32 v14, s23, v14
	v_bfe_u32 v21, v0, 16, 1
	v_or_b32_e32 v22, 0x400000, v0
	v_cmp_u_f32_e64 s0, v0, v0
	v_mul_f32_e32 v17, s23, v17
	v_or_b32_e32 v24, 0x400000, v9
	v_add3_u32 v21, v21, v0, 0x7fff
	v_bfe_u32 v25, v16, 16, 1
	v_add3_u32 v23, v23, v9, 0x7fff
	v_mul_f32_e32 v15, s23, v15
	v_or_b32_e32 v26, 0x400000, v16
	s_wait_alu 0xf1ff
	v_cndmask_b32_e64 v0, v21, v22, s0
	v_cmp_u_f32_e64 s0, v9, v9
	v_bfe_u32 v27, v14, 16, 1
	v_add3_u32 v25, v25, v16, 0x7fff
	v_cvt_f32_fp8_e32 v20, v20
	v_lshrrev_b32_e32 v0, 16, v0
	s_wait_alu 0xf1ff
	v_cndmask_b32_e64 v9, v23, v24, s0
	v_cmp_u_f32_e64 s0, v16, v16
	v_mul_f32_e32 v18, s23, v18
	v_or_b32_e32 v28, 0x400000, v14
	v_bfe_u32 v29, v17, 16, 1
	v_add3_u32 v27, v27, v14, 0x7fff
	s_wait_alu 0xf1ff
	v_cndmask_b32_e64 v16, v25, v26, s0
	v_cmp_u_f32_e64 s0, v14, v14
	scratch_store_b32 off, v0, off offset:184 ; 4-byte Folded Spill
	v_lshrrev_b32_e32 v0, 16, v9
	v_mul_f32_e32 v20, s23, v20
	v_or_b32_e32 v30, 0x400000, v17
	v_bfe_u32 v31, v18, 16, 1
	v_add3_u32 v29, v29, v17, 0x7fff
	s_wait_alu 0xf1ff
	v_cndmask_b32_e64 v14, v27, v28, s0
	v_cmp_u_f32_e64 s0, v17, v17
	scratch_store_b32 off, v0, off offset:188 ; 4-byte Folded Spill
	v_lshrrev_b32_e32 v0, 16, v16
	v_or_b32_e32 v32, 0x400000, v18
	v_bfe_u32 v33, v20, 16, 1
	v_add3_u32 v31, v31, v18, 0x7fff
	s_wait_alu 0xf1ff
	v_cndmask_b32_e64 v17, v29, v30, s0
	v_cmp_u_f32_e64 s0, v18, v18
	scratch_store_b32 off, v0, off offset:176 ; 4-byte Folded Spill
	v_lshrrev_b32_e32 v0, 16, v14
	;; [unrolled: 8-line block ×3, first 2 shown]
	v_or_b32_e32 v36, 0x400000, v15
	v_add3_u32 v35, v35, v15, 0x7fff
	s_wait_alu 0xf1ff
	v_cndmask_b32_e64 v20, v33, v34, s0
	v_cmp_u_f32_e64 s0, v15, v15
	scratch_store_b32 off, v0, off offset:168 ; 4-byte Folded Spill
	v_lshrrev_b32_e32 v0, 16, v18
	s_wait_alu 0xf1ff
	v_cndmask_b32_e64 v15, v35, v36, s0
	scratch_store_b32 off, v0, off offset:172 ; 4-byte Folded Spill
	v_lshrrev_b32_e32 v0, 16, v20
	scratch_store_b32 off, v0, off offset:160 ; 4-byte Folded Spill
	v_lshrrev_b32_e32 v0, 16, v15
	scratch_store_b32 off, v0, off offset:164 ; 4-byte Folded Spill
	s_and_saveexec_b32 s28, vcc_lo
	s_cbranch_execz .LBB357_51
; %bb.50:                               ;   in Loop: Header=BB357_38 Depth=1
	scratch_load_b32 v0, off, off offset:184 ; 4-byte Folded Reload
	v_cmp_gt_i32_e64 s0, s7, v173
	s_wait_loadcnt 0x0
	s_wait_alu 0xf1ff
	s_delay_alu instid0(VALU_DEP_1)
	v_cndmask_b32_e64 v0, 0, v0, s0
	v_cmp_gt_i32_e64 s0, s7, v179
	scratch_store_b32 off, v0, off offset:184 ; 4-byte Folded Spill
	scratch_load_b32 v0, off, off offset:188 ; 4-byte Folded Reload
	s_wait_loadcnt 0x0
	s_wait_alu 0xf1ff
	v_cndmask_b32_e64 v0, 0, v0, s0
	v_cmp_gt_i32_e64 s0, s7, v178
	scratch_store_b32 off, v0, off offset:188 ; 4-byte Folded Spill
	scratch_load_b32 v0, off, off offset:176 ; 4-byte Folded Reload
	s_wait_loadcnt 0x0
	s_wait_alu 0xf1ff
	;; [unrolled: 6-line block ×7, first 2 shown]
	v_cndmask_b32_e64 v0, 0, v0, s0
	scratch_store_b32 off, v0, off offset:164 ; 4-byte Folded Spill
.LBB357_51:                             ;   in Loop: Header=BB357_38 Depth=1
	s_or_b32 exec_lo, exec_lo, s28
	global_load_b64 v[14:15], v[12:13], off offset:1536
	s_wait_loadcnt 0x0
	v_bfe_u32 v9, v14, 8, 8
	v_bfe_u32 v16, v14, 16, 8
	;; [unrolled: 1-line block ×4, first 2 shown]
	s_delay_alu instid0(VALU_DEP_4)
	v_cvt_f32_fp8_e32 v9, v9
	v_and_b32_e32 v0, 0xff, v14
	v_lshrrev_b32_e32 v14, 24, v14
	v_cvt_f32_fp8_e32 v16, v16
	v_cvt_f32_fp8_e32 v18, v18
	v_mul_f32_e32 v9, s23, v9
	v_cvt_f32_fp8_e32 v0, v0
	v_and_b32_e32 v17, 0xff, v15
	v_lshrrev_b32_e32 v15, 24, v15
	v_cvt_f32_fp8_e32 v14, v14
	v_bfe_u32 v23, v9, 16, 1
	v_mul_f32_e32 v0, s23, v0
	v_cvt_f32_fp8_e32 v17, v17
	v_mul_f32_e32 v16, s23, v16
	v_cvt_f32_fp8_e32 v15, v15
	v_mul_f32_e32 v14, s23, v14
	v_bfe_u32 v21, v0, 16, 1
	v_or_b32_e32 v22, 0x400000, v0
	v_cmp_u_f32_e64 s0, v0, v0
	v_mul_f32_e32 v17, s23, v17
	v_or_b32_e32 v24, 0x400000, v9
	v_add3_u32 v21, v21, v0, 0x7fff
	v_bfe_u32 v25, v16, 16, 1
	v_add3_u32 v23, v23, v9, 0x7fff
	v_mul_f32_e32 v15, s23, v15
	v_or_b32_e32 v26, 0x400000, v16
	s_wait_alu 0xf1ff
	v_cndmask_b32_e64 v0, v21, v22, s0
	v_cmp_u_f32_e64 s0, v9, v9
	v_bfe_u32 v27, v14, 16, 1
	v_add3_u32 v25, v25, v16, 0x7fff
	v_cvt_f32_fp8_e32 v20, v20
	v_lshrrev_b32_e32 v0, 16, v0
	s_wait_alu 0xf1ff
	v_cndmask_b32_e64 v9, v23, v24, s0
	v_cmp_u_f32_e64 s0, v16, v16
	v_mul_f32_e32 v18, s23, v18
	v_or_b32_e32 v28, 0x400000, v14
	v_bfe_u32 v29, v17, 16, 1
	v_add3_u32 v27, v27, v14, 0x7fff
	s_wait_alu 0xf1ff
	v_cndmask_b32_e64 v16, v25, v26, s0
	v_cmp_u_f32_e64 s0, v14, v14
	scratch_store_b32 off, v0, off offset:216 ; 4-byte Folded Spill
	v_lshrrev_b32_e32 v0, 16, v9
	v_mul_f32_e32 v20, s23, v20
	v_or_b32_e32 v30, 0x400000, v17
	v_bfe_u32 v31, v18, 16, 1
	v_add3_u32 v29, v29, v17, 0x7fff
	s_wait_alu 0xf1ff
	v_cndmask_b32_e64 v14, v27, v28, s0
	v_cmp_u_f32_e64 s0, v17, v17
	scratch_store_b32 off, v0, off offset:220 ; 4-byte Folded Spill
	v_lshrrev_b32_e32 v0, 16, v16
	v_or_b32_e32 v32, 0x400000, v18
	v_bfe_u32 v33, v20, 16, 1
	v_add3_u32 v31, v31, v18, 0x7fff
	s_wait_alu 0xf1ff
	v_cndmask_b32_e64 v17, v29, v30, s0
	v_cmp_u_f32_e64 s0, v18, v18
	scratch_store_b32 off, v0, off offset:208 ; 4-byte Folded Spill
	v_lshrrev_b32_e32 v0, 16, v14
	;; [unrolled: 8-line block ×3, first 2 shown]
	v_or_b32_e32 v36, 0x400000, v15
	v_add3_u32 v35, v35, v15, 0x7fff
	s_wait_alu 0xf1ff
	v_cndmask_b32_e64 v20, v33, v34, s0
	v_cmp_u_f32_e64 s0, v15, v15
	scratch_store_b32 off, v0, off offset:200 ; 4-byte Folded Spill
	v_lshrrev_b32_e32 v0, 16, v18
	s_wait_alu 0xf1ff
	v_cndmask_b32_e64 v15, v35, v36, s0
	scratch_store_b32 off, v0, off offset:204 ; 4-byte Folded Spill
	v_lshrrev_b32_e32 v0, 16, v20
	scratch_store_b32 off, v0, off offset:192 ; 4-byte Folded Spill
	v_lshrrev_b32_e32 v0, 16, v15
	scratch_store_b32 off, v0, off offset:196 ; 4-byte Folded Spill
	s_and_saveexec_b32 s28, vcc_lo
	s_cbranch_execz .LBB357_53
; %bb.52:                               ;   in Loop: Header=BB357_38 Depth=1
	scratch_load_b32 v0, off, off offset:216 ; 4-byte Folded Reload
	v_cmp_gt_i32_e64 s0, s7, v173
	s_wait_loadcnt 0x0
	s_wait_alu 0xf1ff
	s_delay_alu instid0(VALU_DEP_1)
	v_cndmask_b32_e64 v0, 0, v0, s0
	v_cmp_gt_i32_e64 s0, s7, v179
	scratch_store_b32 off, v0, off offset:216 ; 4-byte Folded Spill
	scratch_load_b32 v0, off, off offset:220 ; 4-byte Folded Reload
	s_wait_loadcnt 0x0
	s_wait_alu 0xf1ff
	v_cndmask_b32_e64 v0, 0, v0, s0
	v_cmp_gt_i32_e64 s0, s7, v178
	scratch_store_b32 off, v0, off offset:220 ; 4-byte Folded Spill
	scratch_load_b32 v0, off, off offset:208 ; 4-byte Folded Reload
	s_wait_loadcnt 0x0
	s_wait_alu 0xf1ff
	;; [unrolled: 6-line block ×7, first 2 shown]
	v_cndmask_b32_e64 v0, 0, v0, s0
	scratch_store_b32 off, v0, off offset:196 ; 4-byte Folded Spill
.LBB357_53:                             ;   in Loop: Header=BB357_38 Depth=1
	s_or_b32 exec_lo, exec_lo, s28
	global_load_b64 v[14:15], v[12:13], off offset:1792
	s_wait_loadcnt 0x0
	v_bfe_u32 v9, v14, 8, 8
	v_bfe_u32 v16, v14, 16, 8
	;; [unrolled: 1-line block ×4, first 2 shown]
	s_delay_alu instid0(VALU_DEP_4)
	v_cvt_f32_fp8_e32 v9, v9
	v_and_b32_e32 v0, 0xff, v14
	v_lshrrev_b32_e32 v14, 24, v14
	v_cvt_f32_fp8_e32 v16, v16
	v_cvt_f32_fp8_e32 v18, v18
	v_mul_f32_e32 v9, s23, v9
	v_cvt_f32_fp8_e32 v0, v0
	v_and_b32_e32 v17, 0xff, v15
	v_lshrrev_b32_e32 v15, 24, v15
	v_cvt_f32_fp8_e32 v14, v14
	v_bfe_u32 v23, v9, 16, 1
	v_mul_f32_e32 v0, s23, v0
	v_cvt_f32_fp8_e32 v17, v17
	v_mul_f32_e32 v16, s23, v16
	v_cvt_f32_fp8_e32 v15, v15
	v_mul_f32_e32 v14, s23, v14
	v_bfe_u32 v21, v0, 16, 1
	v_or_b32_e32 v22, 0x400000, v0
	v_cmp_u_f32_e64 s0, v0, v0
	v_mul_f32_e32 v17, s23, v17
	v_or_b32_e32 v24, 0x400000, v9
	v_add3_u32 v21, v21, v0, 0x7fff
	v_bfe_u32 v25, v16, 16, 1
	v_add3_u32 v23, v23, v9, 0x7fff
	v_mul_f32_e32 v15, s23, v15
	v_or_b32_e32 v26, 0x400000, v16
	s_wait_alu 0xf1ff
	v_cndmask_b32_e64 v0, v21, v22, s0
	v_cmp_u_f32_e64 s0, v9, v9
	v_bfe_u32 v27, v14, 16, 1
	v_add3_u32 v25, v25, v16, 0x7fff
	v_cvt_f32_fp8_e32 v20, v20
	v_lshrrev_b32_e32 v0, 16, v0
	s_wait_alu 0xf1ff
	v_cndmask_b32_e64 v9, v23, v24, s0
	v_cmp_u_f32_e64 s0, v16, v16
	v_mul_f32_e32 v18, s23, v18
	v_or_b32_e32 v28, 0x400000, v14
	v_bfe_u32 v29, v17, 16, 1
	v_add3_u32 v27, v27, v14, 0x7fff
	s_wait_alu 0xf1ff
	v_cndmask_b32_e64 v16, v25, v26, s0
	v_cmp_u_f32_e64 s0, v14, v14
	scratch_store_b32 off, v0, off offset:248 ; 4-byte Folded Spill
	v_lshrrev_b32_e32 v0, 16, v9
	v_mul_f32_e32 v20, s23, v20
	v_or_b32_e32 v30, 0x400000, v17
	v_bfe_u32 v31, v18, 16, 1
	v_add3_u32 v29, v29, v17, 0x7fff
	s_wait_alu 0xf1ff
	v_cndmask_b32_e64 v14, v27, v28, s0
	v_cmp_u_f32_e64 s0, v17, v17
	scratch_store_b32 off, v0, off offset:252 ; 4-byte Folded Spill
	v_lshrrev_b32_e32 v0, 16, v16
	v_or_b32_e32 v32, 0x400000, v18
	v_bfe_u32 v33, v20, 16, 1
	v_add3_u32 v31, v31, v18, 0x7fff
	s_wait_alu 0xf1ff
	v_cndmask_b32_e64 v17, v29, v30, s0
	v_cmp_u_f32_e64 s0, v18, v18
	scratch_store_b32 off, v0, off offset:240 ; 4-byte Folded Spill
	v_lshrrev_b32_e32 v0, 16, v14
	;; [unrolled: 8-line block ×3, first 2 shown]
	v_or_b32_e32 v36, 0x400000, v15
	v_add3_u32 v35, v35, v15, 0x7fff
	s_wait_alu 0xf1ff
	v_cndmask_b32_e64 v20, v33, v34, s0
	v_cmp_u_f32_e64 s0, v15, v15
	scratch_store_b32 off, v0, off offset:232 ; 4-byte Folded Spill
	v_lshrrev_b32_e32 v0, 16, v18
	s_wait_alu 0xf1ff
	v_cndmask_b32_e64 v15, v35, v36, s0
	scratch_store_b32 off, v0, off offset:236 ; 4-byte Folded Spill
	v_lshrrev_b32_e32 v0, 16, v20
	scratch_store_b32 off, v0, off offset:224 ; 4-byte Folded Spill
	v_lshrrev_b32_e32 v0, 16, v15
	scratch_store_b32 off, v0, off offset:228 ; 4-byte Folded Spill
	s_and_saveexec_b32 s28, vcc_lo
	s_cbranch_execz .LBB357_55
; %bb.54:                               ;   in Loop: Header=BB357_38 Depth=1
	scratch_load_b32 v0, off, off offset:248 ; 4-byte Folded Reload
	v_cmp_gt_i32_e64 s0, s7, v173
	s_wait_loadcnt 0x0
	s_wait_alu 0xf1ff
	s_delay_alu instid0(VALU_DEP_1)
	v_cndmask_b32_e64 v0, 0, v0, s0
	v_cmp_gt_i32_e64 s0, s7, v179
	scratch_store_b32 off, v0, off offset:248 ; 4-byte Folded Spill
	scratch_load_b32 v0, off, off offset:252 ; 4-byte Folded Reload
	s_wait_loadcnt 0x0
	s_wait_alu 0xf1ff
	v_cndmask_b32_e64 v0, 0, v0, s0
	v_cmp_gt_i32_e64 s0, s7, v178
	scratch_store_b32 off, v0, off offset:252 ; 4-byte Folded Spill
	scratch_load_b32 v0, off, off offset:240 ; 4-byte Folded Reload
	s_wait_loadcnt 0x0
	s_wait_alu 0xf1ff
	;; [unrolled: 6-line block ×7, first 2 shown]
	v_cndmask_b32_e64 v0, 0, v0, s0
	scratch_store_b32 off, v0, off offset:228 ; 4-byte Folded Spill
.LBB357_55:                             ;   in Loop: Header=BB357_38 Depth=1
	s_or_b32 exec_lo, exec_lo, s28
	global_load_b64 v[14:15], v[12:13], off offset:2048
	s_wait_loadcnt 0x0
	v_bfe_u32 v9, v14, 8, 8
	v_bfe_u32 v16, v14, 16, 8
	;; [unrolled: 1-line block ×4, first 2 shown]
	s_delay_alu instid0(VALU_DEP_4)
	v_cvt_f32_fp8_e32 v9, v9
	v_and_b32_e32 v0, 0xff, v14
	v_lshrrev_b32_e32 v14, 24, v14
	v_cvt_f32_fp8_e32 v16, v16
	v_cvt_f32_fp8_e32 v18, v18
	v_mul_f32_e32 v9, s23, v9
	v_cvt_f32_fp8_e32 v0, v0
	v_and_b32_e32 v17, 0xff, v15
	v_lshrrev_b32_e32 v15, 24, v15
	v_cvt_f32_fp8_e32 v14, v14
	v_bfe_u32 v23, v9, 16, 1
	v_mul_f32_e32 v0, s23, v0
	v_cvt_f32_fp8_e32 v17, v17
	v_mul_f32_e32 v16, s23, v16
	v_cvt_f32_fp8_e32 v15, v15
	v_mul_f32_e32 v14, s23, v14
	v_bfe_u32 v21, v0, 16, 1
	v_or_b32_e32 v22, 0x400000, v0
	v_cmp_u_f32_e64 s0, v0, v0
	v_mul_f32_e32 v17, s23, v17
	v_or_b32_e32 v24, 0x400000, v9
	v_add3_u32 v21, v21, v0, 0x7fff
	v_bfe_u32 v25, v16, 16, 1
	v_add3_u32 v23, v23, v9, 0x7fff
	v_mul_f32_e32 v15, s23, v15
	v_or_b32_e32 v26, 0x400000, v16
	s_wait_alu 0xf1ff
	v_cndmask_b32_e64 v0, v21, v22, s0
	v_cmp_u_f32_e64 s0, v9, v9
	v_bfe_u32 v27, v14, 16, 1
	v_add3_u32 v25, v25, v16, 0x7fff
	v_cvt_f32_fp8_e32 v20, v20
	v_lshrrev_b32_e32 v0, 16, v0
	s_wait_alu 0xf1ff
	v_cndmask_b32_e64 v9, v23, v24, s0
	v_cmp_u_f32_e64 s0, v16, v16
	v_mul_f32_e32 v18, s23, v18
	v_or_b32_e32 v28, 0x400000, v14
	v_bfe_u32 v29, v17, 16, 1
	v_add3_u32 v27, v27, v14, 0x7fff
	s_wait_alu 0xf1ff
	v_cndmask_b32_e64 v16, v25, v26, s0
	v_cmp_u_f32_e64 s0, v14, v14
	scratch_store_b32 off, v0, off offset:280 ; 4-byte Folded Spill
	v_lshrrev_b32_e32 v0, 16, v9
	v_mul_f32_e32 v20, s23, v20
	v_or_b32_e32 v30, 0x400000, v17
	v_bfe_u32 v31, v18, 16, 1
	v_add3_u32 v29, v29, v17, 0x7fff
	s_wait_alu 0xf1ff
	v_cndmask_b32_e64 v14, v27, v28, s0
	v_cmp_u_f32_e64 s0, v17, v17
	scratch_store_b32 off, v0, off offset:284 ; 4-byte Folded Spill
	v_lshrrev_b32_e32 v0, 16, v16
	v_or_b32_e32 v32, 0x400000, v18
	v_bfe_u32 v33, v20, 16, 1
	v_add3_u32 v31, v31, v18, 0x7fff
	s_wait_alu 0xf1ff
	v_cndmask_b32_e64 v17, v29, v30, s0
	v_cmp_u_f32_e64 s0, v18, v18
	scratch_store_b32 off, v0, off offset:272 ; 4-byte Folded Spill
	v_lshrrev_b32_e32 v0, 16, v14
	;; [unrolled: 8-line block ×3, first 2 shown]
	v_or_b32_e32 v36, 0x400000, v15
	v_add3_u32 v35, v35, v15, 0x7fff
	s_wait_alu 0xf1ff
	v_cndmask_b32_e64 v20, v33, v34, s0
	v_cmp_u_f32_e64 s0, v15, v15
	scratch_store_b32 off, v0, off offset:264 ; 4-byte Folded Spill
	v_lshrrev_b32_e32 v0, 16, v18
	s_wait_alu 0xf1ff
	v_cndmask_b32_e64 v15, v35, v36, s0
	scratch_store_b32 off, v0, off offset:268 ; 4-byte Folded Spill
	v_lshrrev_b32_e32 v0, 16, v20
	scratch_store_b32 off, v0, off offset:256 ; 4-byte Folded Spill
	v_lshrrev_b32_e32 v0, 16, v15
	scratch_store_b32 off, v0, off offset:260 ; 4-byte Folded Spill
	s_and_saveexec_b32 s28, vcc_lo
	s_cbranch_execz .LBB357_57
; %bb.56:                               ;   in Loop: Header=BB357_38 Depth=1
	scratch_load_b32 v0, off, off offset:280 ; 4-byte Folded Reload
	v_cmp_gt_i32_e64 s0, s7, v173
	s_wait_loadcnt 0x0
	s_wait_alu 0xf1ff
	s_delay_alu instid0(VALU_DEP_1)
	v_cndmask_b32_e64 v0, 0, v0, s0
	v_cmp_gt_i32_e64 s0, s7, v179
	scratch_store_b32 off, v0, off offset:280 ; 4-byte Folded Spill
	scratch_load_b32 v0, off, off offset:284 ; 4-byte Folded Reload
	s_wait_loadcnt 0x0
	s_wait_alu 0xf1ff
	v_cndmask_b32_e64 v0, 0, v0, s0
	v_cmp_gt_i32_e64 s0, s7, v178
	scratch_store_b32 off, v0, off offset:284 ; 4-byte Folded Spill
	scratch_load_b32 v0, off, off offset:272 ; 4-byte Folded Reload
	s_wait_loadcnt 0x0
	s_wait_alu 0xf1ff
	;; [unrolled: 6-line block ×7, first 2 shown]
	v_cndmask_b32_e64 v0, 0, v0, s0
	scratch_store_b32 off, v0, off offset:260 ; 4-byte Folded Spill
.LBB357_57:                             ;   in Loop: Header=BB357_38 Depth=1
	s_or_b32 exec_lo, exec_lo, s28
	global_load_b64 v[14:15], v[12:13], off offset:2304
	s_wait_loadcnt 0x0
	v_bfe_u32 v9, v14, 8, 8
	v_bfe_u32 v16, v14, 16, 8
	;; [unrolled: 1-line block ×4, first 2 shown]
	s_delay_alu instid0(VALU_DEP_4)
	v_cvt_f32_fp8_e32 v9, v9
	v_and_b32_e32 v0, 0xff, v14
	v_lshrrev_b32_e32 v14, 24, v14
	v_cvt_f32_fp8_e32 v16, v16
	v_cvt_f32_fp8_e32 v18, v18
	v_mul_f32_e32 v9, s23, v9
	v_cvt_f32_fp8_e32 v0, v0
	v_and_b32_e32 v17, 0xff, v15
	v_lshrrev_b32_e32 v15, 24, v15
	v_cvt_f32_fp8_e32 v14, v14
	v_bfe_u32 v23, v9, 16, 1
	v_mul_f32_e32 v0, s23, v0
	v_cvt_f32_fp8_e32 v17, v17
	v_mul_f32_e32 v16, s23, v16
	v_cvt_f32_fp8_e32 v15, v15
	v_mul_f32_e32 v14, s23, v14
	v_bfe_u32 v21, v0, 16, 1
	v_or_b32_e32 v22, 0x400000, v0
	v_cmp_u_f32_e64 s0, v0, v0
	v_mul_f32_e32 v17, s23, v17
	v_or_b32_e32 v24, 0x400000, v9
	v_add3_u32 v21, v21, v0, 0x7fff
	v_bfe_u32 v25, v16, 16, 1
	v_add3_u32 v23, v23, v9, 0x7fff
	v_mul_f32_e32 v15, s23, v15
	v_or_b32_e32 v26, 0x400000, v16
	s_wait_alu 0xf1ff
	v_cndmask_b32_e64 v0, v21, v22, s0
	v_cmp_u_f32_e64 s0, v9, v9
	v_bfe_u32 v27, v14, 16, 1
	v_add3_u32 v25, v25, v16, 0x7fff
	v_cvt_f32_fp8_e32 v20, v20
	v_lshrrev_b32_e32 v0, 16, v0
	s_wait_alu 0xf1ff
	v_cndmask_b32_e64 v9, v23, v24, s0
	v_cmp_u_f32_e64 s0, v16, v16
	v_mul_f32_e32 v18, s23, v18
	v_or_b32_e32 v28, 0x400000, v14
	v_bfe_u32 v29, v17, 16, 1
	v_add3_u32 v27, v27, v14, 0x7fff
	s_wait_alu 0xf1ff
	v_cndmask_b32_e64 v16, v25, v26, s0
	v_cmp_u_f32_e64 s0, v14, v14
	scratch_store_b32 off, v0, off offset:312 ; 4-byte Folded Spill
	v_lshrrev_b32_e32 v0, 16, v9
	v_mul_f32_e32 v20, s23, v20
	v_or_b32_e32 v30, 0x400000, v17
	v_bfe_u32 v31, v18, 16, 1
	v_add3_u32 v29, v29, v17, 0x7fff
	s_wait_alu 0xf1ff
	v_cndmask_b32_e64 v14, v27, v28, s0
	v_cmp_u_f32_e64 s0, v17, v17
	scratch_store_b32 off, v0, off offset:316 ; 4-byte Folded Spill
	v_lshrrev_b32_e32 v0, 16, v16
	v_or_b32_e32 v32, 0x400000, v18
	v_bfe_u32 v33, v20, 16, 1
	v_add3_u32 v31, v31, v18, 0x7fff
	s_wait_alu 0xf1ff
	v_cndmask_b32_e64 v17, v29, v30, s0
	v_cmp_u_f32_e64 s0, v18, v18
	scratch_store_b32 off, v0, off offset:304 ; 4-byte Folded Spill
	v_lshrrev_b32_e32 v0, 16, v14
	;; [unrolled: 8-line block ×3, first 2 shown]
	v_or_b32_e32 v36, 0x400000, v15
	v_add3_u32 v35, v35, v15, 0x7fff
	s_wait_alu 0xf1ff
	v_cndmask_b32_e64 v20, v33, v34, s0
	v_cmp_u_f32_e64 s0, v15, v15
	scratch_store_b32 off, v0, off offset:296 ; 4-byte Folded Spill
	v_lshrrev_b32_e32 v0, 16, v18
	s_wait_alu 0xf1ff
	v_cndmask_b32_e64 v15, v35, v36, s0
	scratch_store_b32 off, v0, off offset:300 ; 4-byte Folded Spill
	v_lshrrev_b32_e32 v0, 16, v20
	scratch_store_b32 off, v0, off offset:288 ; 4-byte Folded Spill
	v_lshrrev_b32_e32 v0, 16, v15
	scratch_store_b32 off, v0, off offset:292 ; 4-byte Folded Spill
	s_and_saveexec_b32 s28, vcc_lo
	s_cbranch_execz .LBB357_59
; %bb.58:                               ;   in Loop: Header=BB357_38 Depth=1
	scratch_load_b32 v0, off, off offset:312 ; 4-byte Folded Reload
	v_cmp_gt_i32_e64 s0, s7, v173
	s_wait_loadcnt 0x0
	s_wait_alu 0xf1ff
	s_delay_alu instid0(VALU_DEP_1)
	v_cndmask_b32_e64 v0, 0, v0, s0
	v_cmp_gt_i32_e64 s0, s7, v179
	scratch_store_b32 off, v0, off offset:312 ; 4-byte Folded Spill
	scratch_load_b32 v0, off, off offset:316 ; 4-byte Folded Reload
	s_wait_loadcnt 0x0
	s_wait_alu 0xf1ff
	v_cndmask_b32_e64 v0, 0, v0, s0
	v_cmp_gt_i32_e64 s0, s7, v178
	scratch_store_b32 off, v0, off offset:316 ; 4-byte Folded Spill
	scratch_load_b32 v0, off, off offset:304 ; 4-byte Folded Reload
	s_wait_loadcnt 0x0
	s_wait_alu 0xf1ff
	;; [unrolled: 6-line block ×7, first 2 shown]
	v_cndmask_b32_e64 v0, 0, v0, s0
	scratch_store_b32 off, v0, off offset:292 ; 4-byte Folded Spill
.LBB357_59:                             ;   in Loop: Header=BB357_38 Depth=1
	s_or_b32 exec_lo, exec_lo, s28
	global_load_b64 v[14:15], v[12:13], off offset:2560
	s_wait_loadcnt 0x0
	v_bfe_u32 v9, v14, 8, 8
	v_bfe_u32 v16, v14, 16, 8
	v_bfe_u32 v18, v15, 8, 8
	v_bfe_u32 v20, v15, 16, 8
	s_delay_alu instid0(VALU_DEP_4)
	v_cvt_f32_fp8_e32 v9, v9
	v_and_b32_e32 v0, 0xff, v14
	v_lshrrev_b32_e32 v14, 24, v14
	v_cvt_f32_fp8_e32 v16, v16
	v_cvt_f32_fp8_e32 v18, v18
	v_mul_f32_e32 v9, s23, v9
	v_cvt_f32_fp8_e32 v0, v0
	v_and_b32_e32 v17, 0xff, v15
	v_lshrrev_b32_e32 v15, 24, v15
	v_cvt_f32_fp8_e32 v14, v14
	v_bfe_u32 v23, v9, 16, 1
	v_mul_f32_e32 v0, s23, v0
	v_cvt_f32_fp8_e32 v17, v17
	v_mul_f32_e32 v16, s23, v16
	v_cvt_f32_fp8_e32 v15, v15
	v_mul_f32_e32 v14, s23, v14
	v_bfe_u32 v21, v0, 16, 1
	v_or_b32_e32 v22, 0x400000, v0
	v_cmp_u_f32_e64 s0, v0, v0
	v_mul_f32_e32 v17, s23, v17
	v_or_b32_e32 v24, 0x400000, v9
	v_add3_u32 v21, v21, v0, 0x7fff
	v_bfe_u32 v25, v16, 16, 1
	v_add3_u32 v23, v23, v9, 0x7fff
	v_mul_f32_e32 v15, s23, v15
	v_or_b32_e32 v26, 0x400000, v16
	s_wait_alu 0xf1ff
	v_cndmask_b32_e64 v0, v21, v22, s0
	v_cmp_u_f32_e64 s0, v9, v9
	v_bfe_u32 v27, v14, 16, 1
	v_add3_u32 v25, v25, v16, 0x7fff
	v_cvt_f32_fp8_e32 v20, v20
	v_mul_f32_e32 v18, s23, v18
	s_wait_alu 0xf1ff
	v_cndmask_b32_e64 v9, v23, v24, s0
	v_cmp_u_f32_e64 s0, v16, v16
	v_or_b32_e32 v28, 0x400000, v14
	v_bfe_u32 v29, v17, 16, 1
	v_add3_u32 v27, v27, v14, 0x7fff
	v_mul_f32_e32 v20, s23, v20
	s_wait_alu 0xf1ff
	v_cndmask_b32_e64 v16, v25, v26, s0
	v_cmp_u_f32_e64 s0, v14, v14
	v_or_b32_e32 v30, 0x400000, v17
	v_bfe_u32 v31, v18, 16, 1
	v_add3_u32 v29, v29, v17, 0x7fff
	v_or_b32_e32 v32, 0x400000, v18
	s_wait_alu 0xf1ff
	v_cndmask_b32_e64 v14, v27, v28, s0
	v_cmp_u_f32_e64 s0, v17, v17
	v_bfe_u32 v33, v20, 16, 1
	v_add3_u32 v31, v31, v18, 0x7fff
	v_lshrrev_b32_e32 v155, 16, v0
	v_lshrrev_b32_e32 v0, 16, v16
	s_wait_alu 0xf1ff
	v_cndmask_b32_e64 v17, v29, v30, s0
	v_cmp_u_f32_e64 s0, v18, v18
	v_or_b32_e32 v34, 0x400000, v20
	v_bfe_u32 v35, v15, 16, 1
	v_add3_u32 v33, v33, v20, 0x7fff
	scratch_store_b32 off, v0, off offset:336 ; 4-byte Folded Spill
	s_wait_alu 0xf1ff
	v_cndmask_b32_e64 v18, v31, v32, s0
	v_cmp_u_f32_e64 s0, v20, v20
	v_lshrrev_b32_e32 v0, 16, v17
	v_or_b32_e32 v36, 0x400000, v15
	v_add3_u32 v35, v35, v15, 0x7fff
	v_lshrrev_b32_e32 v141, 16, v9
	s_wait_alu 0xf1ff
	v_cndmask_b32_e64 v20, v33, v34, s0
	v_cmp_u_f32_e64 s0, v15, v15
	scratch_store_b32 off, v0, off offset:328 ; 4-byte Folded Spill
	v_lshrrev_b32_e32 v0, 16, v18
	v_lshrrev_b32_e32 v140, 16, v14
	s_wait_alu 0xf1ff
	v_cndmask_b32_e64 v15, v35, v36, s0
	scratch_store_b32 off, v0, off offset:332 ; 4-byte Folded Spill
	v_lshrrev_b32_e32 v0, 16, v20
	scratch_store_b32 off, v0, off offset:320 ; 4-byte Folded Spill
	v_lshrrev_b32_e32 v0, 16, v15
	scratch_store_b32 off, v0, off offset:324 ; 4-byte Folded Spill
	s_and_saveexec_b32 s28, vcc_lo
	s_cbranch_execz .LBB357_61
; %bb.60:                               ;   in Loop: Header=BB357_38 Depth=1
	scratch_load_b32 v0, off, off offset:336 ; 4-byte Folded Reload
	v_cmp_gt_i32_e64 s0, s7, v173
	s_wait_alu 0xf1ff
	s_delay_alu instid0(VALU_DEP_1) | instskip(SKIP_2) | instid1(VALU_DEP_1)
	v_cndmask_b32_e64 v155, 0, v155, s0
	v_cmp_gt_i32_e64 s0, s7, v179
	s_wait_alu 0xf1ff
	v_cndmask_b32_e64 v141, 0, v141, s0
	v_cmp_gt_i32_e64 s0, s7, v178
	s_wait_loadcnt 0x0
	s_wait_alu 0xf1ff
	s_delay_alu instid0(VALU_DEP_1)
	v_cndmask_b32_e64 v0, 0, v0, s0
	v_cmp_gt_i32_e64 s0, s7, v177
	scratch_store_b32 off, v0, off offset:336 ; 4-byte Folded Spill
	scratch_load_b32 v0, off, off offset:328 ; 4-byte Folded Reload
	s_wait_alu 0xf1ff
	v_cndmask_b32_e64 v140, 0, v140, s0
	v_cmp_gt_i32_e64 s0, s7, v176
	s_wait_loadcnt 0x0
	s_wait_alu 0xf1ff
	s_delay_alu instid0(VALU_DEP_1)
	v_cndmask_b32_e64 v0, 0, v0, s0
	v_cmp_gt_i32_e64 s0, s7, v175
	scratch_store_b32 off, v0, off offset:328 ; 4-byte Folded Spill
	scratch_load_b32 v0, off, off offset:332 ; 4-byte Folded Reload
	s_wait_loadcnt 0x0
	s_wait_alu 0xf1ff
	v_cndmask_b32_e64 v0, 0, v0, s0
	v_cmp_gt_i32_e64 s0, s7, v174
	scratch_store_b32 off, v0, off offset:332 ; 4-byte Folded Spill
	scratch_load_b32 v0, off, off offset:320 ; 4-byte Folded Reload
	s_wait_loadcnt 0x0
	s_wait_alu 0xf1ff
	;; [unrolled: 6-line block ×3, first 2 shown]
	v_cndmask_b32_e64 v0, 0, v0, s0
	scratch_store_b32 off, v0, off offset:324 ; 4-byte Folded Spill
.LBB357_61:                             ;   in Loop: Header=BB357_38 Depth=1
	s_or_b32 exec_lo, exec_lo, s28
	global_load_b64 v[14:15], v[12:13], off offset:2816
	s_wait_loadcnt 0x0
	v_bfe_u32 v9, v14, 8, 8
	v_bfe_u32 v16, v14, 16, 8
	;; [unrolled: 1-line block ×4, first 2 shown]
	s_delay_alu instid0(VALU_DEP_4)
	v_cvt_f32_fp8_e32 v9, v9
	v_and_b32_e32 v0, 0xff, v14
	v_lshrrev_b32_e32 v14, 24, v14
	v_cvt_f32_fp8_e32 v16, v16
	v_cvt_f32_fp8_e32 v18, v18
	v_mul_f32_e32 v9, s23, v9
	v_cvt_f32_fp8_e32 v0, v0
	v_and_b32_e32 v17, 0xff, v15
	v_lshrrev_b32_e32 v15, 24, v15
	v_cvt_f32_fp8_e32 v14, v14
	v_bfe_u32 v23, v9, 16, 1
	v_mul_f32_e32 v0, s23, v0
	v_cvt_f32_fp8_e32 v17, v17
	v_mul_f32_e32 v16, s23, v16
	v_cvt_f32_fp8_e32 v15, v15
	v_mul_f32_e32 v14, s23, v14
	v_bfe_u32 v21, v0, 16, 1
	v_or_b32_e32 v22, 0x400000, v0
	v_cmp_u_f32_e64 s0, v0, v0
	v_mul_f32_e32 v17, s23, v17
	v_or_b32_e32 v24, 0x400000, v9
	v_add3_u32 v21, v21, v0, 0x7fff
	v_bfe_u32 v25, v16, 16, 1
	v_add3_u32 v23, v23, v9, 0x7fff
	v_mul_f32_e32 v15, s23, v15
	v_or_b32_e32 v26, 0x400000, v16
	s_wait_alu 0xf1ff
	v_cndmask_b32_e64 v0, v21, v22, s0
	v_cmp_u_f32_e64 s0, v9, v9
	v_bfe_u32 v27, v14, 16, 1
	v_add3_u32 v25, v25, v16, 0x7fff
	v_cvt_f32_fp8_e32 v20, v20
	v_mul_f32_e32 v18, s23, v18
	s_wait_alu 0xf1ff
	v_cndmask_b32_e64 v9, v23, v24, s0
	v_cmp_u_f32_e64 s0, v16, v16
	v_or_b32_e32 v28, 0x400000, v14
	v_bfe_u32 v29, v17, 16, 1
	v_add3_u32 v27, v27, v14, 0x7fff
	v_mul_f32_e32 v20, s23, v20
	s_wait_alu 0xf1ff
	v_cndmask_b32_e64 v16, v25, v26, s0
	v_cmp_u_f32_e64 s0, v14, v14
	v_or_b32_e32 v30, 0x400000, v17
	v_bfe_u32 v31, v18, 16, 1
	v_add3_u32 v29, v29, v17, 0x7fff
	v_or_b32_e32 v32, 0x400000, v18
	s_wait_alu 0xf1ff
	v_cndmask_b32_e64 v14, v27, v28, s0
	v_cmp_u_f32_e64 s0, v17, v17
	v_bfe_u32 v33, v20, 16, 1
	v_add3_u32 v31, v31, v18, 0x7fff
	v_or_b32_e32 v34, 0x400000, v20
	v_bfe_u32 v35, v15, 16, 1
	s_wait_alu 0xf1ff
	v_cndmask_b32_e64 v17, v29, v30, s0
	v_cmp_u_f32_e64 s0, v18, v18
	v_add3_u32 v33, v33, v20, 0x7fff
	v_or_b32_e32 v36, 0x400000, v15
	v_add3_u32 v35, v35, v15, 0x7fff
	v_lshrrev_b32_e32 v148, 16, v0
	s_wait_alu 0xf1ff
	v_cndmask_b32_e64 v18, v31, v32, s0
	v_cmp_u_f32_e64 s0, v20, v20
	v_lshrrev_b32_e32 v149, 16, v9
	v_lshrrev_b32_e32 v146, 16, v16
	;; [unrolled: 1-line block ×4, first 2 shown]
	s_wait_alu 0xf1ff
	v_cndmask_b32_e64 v20, v33, v34, s0
	v_cmp_u_f32_e64 s0, v15, v15
	v_lshrrev_b32_e32 v145, 16, v18
	s_delay_alu instid0(VALU_DEP_3) | instskip(SKIP_1) | instid1(VALU_DEP_3)
	v_lshrrev_b32_e32 v142, 16, v20
	s_wait_alu 0xf1ff
	v_cndmask_b32_e64 v15, v35, v36, s0
	s_delay_alu instid0(VALU_DEP_1)
	v_lshrrev_b32_e32 v143, 16, v15
	s_and_saveexec_b32 s28, vcc_lo
	s_cbranch_execz .LBB357_63
; %bb.62:                               ;   in Loop: Header=BB357_38 Depth=1
	v_cmp_gt_i32_e64 s0, s7, v173
	s_wait_alu 0xf1ff
	s_delay_alu instid0(VALU_DEP_1) | instskip(SKIP_2) | instid1(VALU_DEP_1)
	v_cndmask_b32_e64 v148, 0, v148, s0
	v_cmp_gt_i32_e64 s0, s7, v179
	s_wait_alu 0xf1ff
	v_cndmask_b32_e64 v149, 0, v149, s0
	v_cmp_gt_i32_e64 s0, s7, v178
	s_wait_alu 0xf1ff
	s_delay_alu instid0(VALU_DEP_1) | instskip(SKIP_2) | instid1(VALU_DEP_1)
	v_cndmask_b32_e64 v146, 0, v146, s0
	v_cmp_gt_i32_e64 s0, s7, v177
	s_wait_alu 0xf1ff
	v_cndmask_b32_e64 v147, 0, v147, s0
	;; [unrolled: 7-line block ×4, first 2 shown]
.LBB357_63:                             ;   in Loop: Header=BB357_38 Depth=1
	s_or_b32 exec_lo, exec_lo, s28
	global_load_b64 v[14:15], v[12:13], off offset:3072
	s_wait_loadcnt 0x0
	v_bfe_u32 v9, v14, 8, 8
	v_bfe_u32 v16, v14, 16, 8
	;; [unrolled: 1-line block ×4, first 2 shown]
	s_delay_alu instid0(VALU_DEP_4)
	v_cvt_f32_fp8_e32 v9, v9
	v_and_b32_e32 v0, 0xff, v14
	v_lshrrev_b32_e32 v14, 24, v14
	v_cvt_f32_fp8_e32 v16, v16
	v_cvt_f32_fp8_e32 v18, v18
	v_mul_f32_e32 v9, s23, v9
	v_cvt_f32_fp8_e32 v0, v0
	v_and_b32_e32 v17, 0xff, v15
	v_lshrrev_b32_e32 v15, 24, v15
	v_cvt_f32_fp8_e32 v14, v14
	v_bfe_u32 v23, v9, 16, 1
	v_mul_f32_e32 v0, s23, v0
	v_cvt_f32_fp8_e32 v17, v17
	v_mul_f32_e32 v16, s23, v16
	v_cvt_f32_fp8_e32 v15, v15
	v_mul_f32_e32 v14, s23, v14
	v_bfe_u32 v21, v0, 16, 1
	v_or_b32_e32 v22, 0x400000, v0
	v_cmp_u_f32_e64 s0, v0, v0
	v_mul_f32_e32 v17, s23, v17
	v_or_b32_e32 v24, 0x400000, v9
	v_add3_u32 v21, v21, v0, 0x7fff
	v_bfe_u32 v25, v16, 16, 1
	v_add3_u32 v23, v23, v9, 0x7fff
	v_mul_f32_e32 v15, s23, v15
	v_or_b32_e32 v26, 0x400000, v16
	s_wait_alu 0xf1ff
	v_cndmask_b32_e64 v0, v21, v22, s0
	v_cmp_u_f32_e64 s0, v9, v9
	v_bfe_u32 v27, v14, 16, 1
	v_add3_u32 v25, v25, v16, 0x7fff
	v_cvt_f32_fp8_e32 v20, v20
	v_mul_f32_e32 v18, s23, v18
	s_wait_alu 0xf1ff
	v_cndmask_b32_e64 v9, v23, v24, s0
	v_cmp_u_f32_e64 s0, v16, v16
	v_or_b32_e32 v28, 0x400000, v14
	v_bfe_u32 v29, v17, 16, 1
	v_add3_u32 v27, v27, v14, 0x7fff
	v_mul_f32_e32 v20, s23, v20
	s_wait_alu 0xf1ff
	v_cndmask_b32_e64 v16, v25, v26, s0
	v_cmp_u_f32_e64 s0, v14, v14
	v_or_b32_e32 v30, 0x400000, v17
	v_bfe_u32 v31, v18, 16, 1
	v_add3_u32 v29, v29, v17, 0x7fff
	v_or_b32_e32 v32, 0x400000, v18
	s_wait_alu 0xf1ff
	v_cndmask_b32_e64 v14, v27, v28, s0
	v_cmp_u_f32_e64 s0, v17, v17
	v_bfe_u32 v33, v20, 16, 1
	v_add3_u32 v31, v31, v18, 0x7fff
	v_or_b32_e32 v34, 0x400000, v20
	v_bfe_u32 v35, v15, 16, 1
	s_wait_alu 0xf1ff
	v_cndmask_b32_e64 v17, v29, v30, s0
	v_cmp_u_f32_e64 s0, v18, v18
	v_add3_u32 v33, v33, v20, 0x7fff
	v_or_b32_e32 v36, 0x400000, v15
	v_add3_u32 v35, v35, v15, 0x7fff
	v_lshrrev_b32_e32 v169, 16, v0
	s_wait_alu 0xf1ff
	v_cndmask_b32_e64 v18, v31, v32, s0
	v_cmp_u_f32_e64 s0, v20, v20
	v_lshrrev_b32_e32 v156, 16, v9
	v_lshrrev_b32_e32 v154, 16, v16
	;; [unrolled: 1-line block ×4, first 2 shown]
	s_wait_alu 0xf1ff
	v_cndmask_b32_e64 v20, v33, v34, s0
	v_cmp_u_f32_e64 s0, v15, v15
	v_lshrrev_b32_e32 v153, 16, v18
	s_delay_alu instid0(VALU_DEP_3) | instskip(SKIP_1) | instid1(VALU_DEP_3)
	v_lshrrev_b32_e32 v152, 16, v20
	s_wait_alu 0xf1ff
	v_cndmask_b32_e64 v15, v35, v36, s0
	s_delay_alu instid0(VALU_DEP_1)
	v_lshrrev_b32_e32 v150, 16, v15
	s_and_saveexec_b32 s28, vcc_lo
	s_cbranch_execz .LBB357_65
; %bb.64:                               ;   in Loop: Header=BB357_38 Depth=1
	v_cmp_gt_i32_e64 s0, s7, v173
	s_wait_alu 0xf1ff
	s_delay_alu instid0(VALU_DEP_1) | instskip(SKIP_2) | instid1(VALU_DEP_1)
	v_cndmask_b32_e64 v169, 0, v169, s0
	v_cmp_gt_i32_e64 s0, s7, v179
	s_wait_alu 0xf1ff
	v_cndmask_b32_e64 v156, 0, v156, s0
	v_cmp_gt_i32_e64 s0, s7, v178
	s_wait_alu 0xf1ff
	s_delay_alu instid0(VALU_DEP_1) | instskip(SKIP_2) | instid1(VALU_DEP_1)
	v_cndmask_b32_e64 v154, 0, v154, s0
	v_cmp_gt_i32_e64 s0, s7, v177
	s_wait_alu 0xf1ff
	v_cndmask_b32_e64 v136, 0, v136, s0
	;; [unrolled: 7-line block ×4, first 2 shown]
.LBB357_65:                             ;   in Loop: Header=BB357_38 Depth=1
	s_or_b32 exec_lo, exec_lo, s28
	global_load_b64 v[14:15], v[12:13], off offset:3328
	s_wait_loadcnt 0x0
	v_bfe_u32 v9, v14, 8, 8
	v_bfe_u32 v16, v14, 16, 8
	;; [unrolled: 1-line block ×4, first 2 shown]
	s_delay_alu instid0(VALU_DEP_4)
	v_cvt_f32_fp8_e32 v9, v9
	v_and_b32_e32 v0, 0xff, v14
	v_lshrrev_b32_e32 v14, 24, v14
	v_cvt_f32_fp8_e32 v16, v16
	v_cvt_f32_fp8_e32 v18, v18
	v_mul_f32_e32 v9, s23, v9
	v_cvt_f32_fp8_e32 v0, v0
	v_and_b32_e32 v17, 0xff, v15
	v_lshrrev_b32_e32 v15, 24, v15
	v_cvt_f32_fp8_e32 v14, v14
	v_bfe_u32 v23, v9, 16, 1
	v_mul_f32_e32 v0, s23, v0
	v_cvt_f32_fp8_e32 v17, v17
	v_mul_f32_e32 v16, s23, v16
	v_cvt_f32_fp8_e32 v15, v15
	v_mul_f32_e32 v14, s23, v14
	v_bfe_u32 v21, v0, 16, 1
	v_or_b32_e32 v22, 0x400000, v0
	v_cmp_u_f32_e64 s0, v0, v0
	v_mul_f32_e32 v17, s23, v17
	v_or_b32_e32 v24, 0x400000, v9
	v_add3_u32 v21, v21, v0, 0x7fff
	v_bfe_u32 v25, v16, 16, 1
	v_add3_u32 v23, v23, v9, 0x7fff
	v_mul_f32_e32 v15, s23, v15
	v_or_b32_e32 v26, 0x400000, v16
	s_wait_alu 0xf1ff
	v_cndmask_b32_e64 v0, v21, v22, s0
	v_cmp_u_f32_e64 s0, v9, v9
	v_bfe_u32 v27, v14, 16, 1
	v_add3_u32 v25, v25, v16, 0x7fff
	v_cvt_f32_fp8_e32 v20, v20
	v_mul_f32_e32 v18, s23, v18
	s_wait_alu 0xf1ff
	v_cndmask_b32_e64 v9, v23, v24, s0
	v_cmp_u_f32_e64 s0, v16, v16
	v_or_b32_e32 v28, 0x400000, v14
	v_bfe_u32 v29, v17, 16, 1
	v_add3_u32 v27, v27, v14, 0x7fff
	v_mul_f32_e32 v20, s23, v20
	s_wait_alu 0xf1ff
	v_cndmask_b32_e64 v16, v25, v26, s0
	v_cmp_u_f32_e64 s0, v14, v14
	v_or_b32_e32 v30, 0x400000, v17
	v_bfe_u32 v31, v18, 16, 1
	v_add3_u32 v29, v29, v17, 0x7fff
	v_or_b32_e32 v32, 0x400000, v18
	s_wait_alu 0xf1ff
	v_cndmask_b32_e64 v14, v27, v28, s0
	v_cmp_u_f32_e64 s0, v17, v17
	v_bfe_u32 v33, v20, 16, 1
	v_add3_u32 v31, v31, v18, 0x7fff
	v_or_b32_e32 v34, 0x400000, v20
	v_bfe_u32 v35, v15, 16, 1
	s_wait_alu 0xf1ff
	v_cndmask_b32_e64 v17, v29, v30, s0
	v_cmp_u_f32_e64 s0, v18, v18
	v_add3_u32 v33, v33, v20, 0x7fff
	v_or_b32_e32 v36, 0x400000, v15
	v_add3_u32 v35, v35, v15, 0x7fff
	v_lshrrev_b32_e32 v163, 16, v0
	s_wait_alu 0xf1ff
	v_cndmask_b32_e64 v18, v31, v32, s0
	v_cmp_u_f32_e64 s0, v20, v20
	v_lshrrev_b32_e32 v164, 16, v9
	v_lshrrev_b32_e32 v161, 16, v16
	;; [unrolled: 1-line block ×4, first 2 shown]
	s_wait_alu 0xf1ff
	v_cndmask_b32_e64 v20, v33, v34, s0
	v_cmp_u_f32_e64 s0, v15, v15
	v_lshrrev_b32_e32 v160, 16, v18
	s_delay_alu instid0(VALU_DEP_3) | instskip(SKIP_1) | instid1(VALU_DEP_3)
	v_lshrrev_b32_e32 v9, 16, v20
	s_wait_alu 0xf1ff
	v_cndmask_b32_e64 v15, v35, v36, s0
	s_delay_alu instid0(VALU_DEP_1)
	v_lshrrev_b32_e32 v157, 16, v15
	s_and_saveexec_b32 s28, vcc_lo
	s_cbranch_execz .LBB357_67
; %bb.66:                               ;   in Loop: Header=BB357_38 Depth=1
	v_cmp_gt_i32_e64 s0, s7, v173
	s_wait_alu 0xf1ff
	s_delay_alu instid0(VALU_DEP_1) | instskip(SKIP_2) | instid1(VALU_DEP_1)
	v_cndmask_b32_e64 v163, 0, v163, s0
	v_cmp_gt_i32_e64 s0, s7, v179
	s_wait_alu 0xf1ff
	v_cndmask_b32_e64 v164, 0, v164, s0
	v_cmp_gt_i32_e64 s0, s7, v178
	s_wait_alu 0xf1ff
	s_delay_alu instid0(VALU_DEP_1) | instskip(SKIP_2) | instid1(VALU_DEP_1)
	v_cndmask_b32_e64 v161, 0, v161, s0
	v_cmp_gt_i32_e64 s0, s7, v177
	s_wait_alu 0xf1ff
	v_cndmask_b32_e64 v158, 0, v158, s0
	;; [unrolled: 7-line block ×4, first 2 shown]
.LBB357_67:                             ;   in Loop: Header=BB357_38 Depth=1
	s_or_b32 exec_lo, exec_lo, s28
	global_load_b64 v[14:15], v[12:13], off offset:3584
	s_wait_loadcnt 0x0
	v_and_b32_e32 v0, 0xff, v14
	s_delay_alu instid0(VALU_DEP_1) | instskip(NEXT) | instid1(VALU_DEP_1)
	v_cvt_f32_fp8_e32 v0, v0
	v_mul_f32_e32 v0, s23, v0
	s_delay_alu instid0(VALU_DEP_1) | instskip(SKIP_2) | instid1(VALU_DEP_3)
	v_bfe_u32 v16, v0, 16, 1
	v_or_b32_e32 v17, 0x400000, v0
	v_cmp_u_f32_e64 s0, v0, v0
	v_add3_u32 v16, v16, v0, 0x7fff
	s_wait_alu 0xf1ff
	s_delay_alu instid0(VALU_DEP_1) | instskip(NEXT) | instid1(VALU_DEP_1)
	v_cndmask_b32_e64 v0, v16, v17, s0
	v_lshrrev_b32_e32 v165, 16, v0
	v_bfe_u32 v0, v14, 8, 8
	s_delay_alu instid0(VALU_DEP_1) | instskip(NEXT) | instid1(VALU_DEP_1)
	v_cvt_f32_fp8_e32 v0, v0
	v_mul_f32_e32 v0, s23, v0
	s_delay_alu instid0(VALU_DEP_1) | instskip(SKIP_2) | instid1(VALU_DEP_3)
	v_bfe_u32 v16, v0, 16, 1
	v_or_b32_e32 v17, 0x400000, v0
	v_cmp_u_f32_e64 s0, v0, v0
	v_add3_u32 v16, v16, v0, 0x7fff
	s_wait_alu 0xf1ff
	s_delay_alu instid0(VALU_DEP_1) | instskip(NEXT) | instid1(VALU_DEP_1)
	v_cndmask_b32_e64 v0, v16, v17, s0
	v_lshrrev_b32_e32 v167, 16, v0
	v_bfe_u32 v0, v14, 16, 8
	s_delay_alu instid0(VALU_DEP_1) | instskip(NEXT) | instid1(VALU_DEP_1)
	v_cvt_f32_fp8_e32 v0, v0
	v_mul_f32_e32 v0, s23, v0
	s_delay_alu instid0(VALU_DEP_1) | instskip(SKIP_2) | instid1(VALU_DEP_3)
	v_bfe_u32 v16, v0, 16, 1
	v_or_b32_e32 v17, 0x400000, v0
	v_cmp_u_f32_e64 s0, v0, v0
	v_add3_u32 v16, v16, v0, 0x7fff
	s_wait_alu 0xf1ff
	s_delay_alu instid0(VALU_DEP_1) | instskip(NEXT) | instid1(VALU_DEP_1)
	v_cndmask_b32_e64 v0, v16, v17, s0
	v_lshrrev_b32_e32 v166, 16, v0
	v_lshrrev_b32_e32 v0, 24, v14
	s_delay_alu instid0(VALU_DEP_1) | instskip(NEXT) | instid1(VALU_DEP_1)
	v_cvt_f32_fp8_e32 v0, v0
	v_mul_f32_e32 v0, s23, v0
	s_delay_alu instid0(VALU_DEP_1) | instskip(SKIP_2) | instid1(VALU_DEP_3)
	v_bfe_u32 v14, v0, 16, 1
	v_or_b32_e32 v16, 0x400000, v0
	v_cmp_u_f32_e64 s0, v0, v0
	v_add3_u32 v14, v14, v0, 0x7fff
	s_wait_alu 0xf1ff
	s_delay_alu instid0(VALU_DEP_1) | instskip(NEXT) | instid1(VALU_DEP_1)
	v_cndmask_b32_e64 v0, v14, v16, s0
	v_lshrrev_b32_e32 v162, 16, v0
	v_and_b32_e32 v0, 0xff, v15
	s_delay_alu instid0(VALU_DEP_1) | instskip(NEXT) | instid1(VALU_DEP_1)
	v_cvt_f32_fp8_e32 v0, v0
	v_mul_f32_e32 v0, s23, v0
	s_delay_alu instid0(VALU_DEP_1) | instskip(SKIP_2) | instid1(VALU_DEP_3)
	v_bfe_u32 v14, v0, 16, 1
	v_or_b32_e32 v16, 0x400000, v0
	v_cmp_u_f32_e64 s0, v0, v0
	v_add3_u32 v14, v14, v0, 0x7fff
	s_wait_alu 0xf1ff
	s_delay_alu instid0(VALU_DEP_1) | instskip(NEXT) | instid1(VALU_DEP_1)
	v_cndmask_b32_e64 v0, v14, v16, s0
	v_lshrrev_b32_e32 v168, 16, v0
	v_bfe_u32 v0, v15, 8, 8
	s_delay_alu instid0(VALU_DEP_1) | instskip(NEXT) | instid1(VALU_DEP_1)
	v_cvt_f32_fp8_e32 v0, v0
	v_mul_f32_e32 v0, s23, v0
	s_delay_alu instid0(VALU_DEP_1) | instskip(SKIP_2) | instid1(VALU_DEP_3)
	v_bfe_u32 v14, v0, 16, 1
	v_or_b32_e32 v16, 0x400000, v0
	v_cmp_u_f32_e64 s0, v0, v0
	v_add3_u32 v14, v14, v0, 0x7fff
	s_wait_alu 0xf1ff
	s_delay_alu instid0(VALU_DEP_1) | instskip(NEXT) | instid1(VALU_DEP_1)
	v_cndmask_b32_e64 v0, v14, v16, s0
	v_lshrrev_b32_e32 v171, 16, v0
	v_bfe_u32 v0, v15, 16, 8
	s_delay_alu instid0(VALU_DEP_1) | instskip(NEXT) | instid1(VALU_DEP_1)
	v_cvt_f32_fp8_e32 v0, v0
	v_mul_f32_e32 v0, s23, v0
	s_delay_alu instid0(VALU_DEP_1) | instskip(SKIP_2) | instid1(VALU_DEP_3)
	v_bfe_u32 v14, v0, 16, 1
	v_or_b32_e32 v16, 0x400000, v0
	v_cmp_u_f32_e64 s0, v0, v0
	v_add3_u32 v14, v14, v0, 0x7fff
	s_wait_alu 0xf1ff
	s_delay_alu instid0(VALU_DEP_1) | instskip(NEXT) | instid1(VALU_DEP_1)
	v_cndmask_b32_e64 v0, v14, v16, s0
	v_lshrrev_b32_e32 v170, 16, v0
	v_lshrrev_b32_e32 v0, 24, v15
	s_delay_alu instid0(VALU_DEP_1) | instskip(NEXT) | instid1(VALU_DEP_1)
	v_cvt_f32_fp8_e32 v0, v0
	v_mul_f32_e32 v0, s23, v0
	s_delay_alu instid0(VALU_DEP_1) | instskip(SKIP_2) | instid1(VALU_DEP_3)
	v_bfe_u32 v14, v0, 16, 1
	v_or_b32_e32 v15, 0x400000, v0
	v_cmp_u_f32_e64 s0, v0, v0
	v_add3_u32 v14, v14, v0, 0x7fff
	s_wait_alu 0xf1ff
	s_delay_alu instid0(VALU_DEP_1) | instskip(NEXT) | instid1(VALU_DEP_1)
	v_cndmask_b32_e64 v0, v14, v15, s0
	v_lshrrev_b32_e32 v172, 16, v0
	s_and_saveexec_b32 s28, vcc_lo
	s_cbranch_execz .LBB357_69
; %bb.68:                               ;   in Loop: Header=BB357_38 Depth=1
	v_cmp_gt_i32_e64 s0, s7, v173
	s_wait_alu 0xf1ff
	s_delay_alu instid0(VALU_DEP_1) | instskip(SKIP_2) | instid1(VALU_DEP_1)
	v_cndmask_b32_e64 v165, 0, v165, s0
	v_cmp_gt_i32_e64 s0, s7, v179
	s_wait_alu 0xf1ff
	v_cndmask_b32_e64 v167, 0, v167, s0
	v_cmp_gt_i32_e64 s0, s7, v178
	s_wait_alu 0xf1ff
	s_delay_alu instid0(VALU_DEP_1) | instskip(SKIP_2) | instid1(VALU_DEP_1)
	v_cndmask_b32_e64 v166, 0, v166, s0
	v_cmp_gt_i32_e64 s0, s7, v177
	s_wait_alu 0xf1ff
	v_cndmask_b32_e64 v162, 0, v162, s0
	;; [unrolled: 7-line block ×4, first 2 shown]
.LBB357_69:                             ;   in Loop: Header=BB357_38 Depth=1
	s_or_b32 exec_lo, exec_lo, s28
	global_load_b64 v[14:15], v[12:13], off offset:3840
	s_wait_loadcnt 0x0
	v_and_b32_e32 v0, 0xff, v14
	s_delay_alu instid0(VALU_DEP_1) | instskip(NEXT) | instid1(VALU_DEP_1)
	v_cvt_f32_fp8_e32 v0, v0
	v_mul_f32_e32 v0, s23, v0
	s_delay_alu instid0(VALU_DEP_1) | instskip(SKIP_2) | instid1(VALU_DEP_3)
	v_bfe_u32 v16, v0, 16, 1
	v_or_b32_e32 v17, 0x400000, v0
	v_cmp_u_f32_e64 s0, v0, v0
	v_add3_u32 v16, v16, v0, 0x7fff
	s_wait_alu 0xf1ff
	s_delay_alu instid0(VALU_DEP_1) | instskip(NEXT) | instid1(VALU_DEP_1)
	v_cndmask_b32_e64 v0, v16, v17, s0
	v_lshrrev_b32_e32 v181, 16, v0
	v_bfe_u32 v0, v14, 8, 8
	s_delay_alu instid0(VALU_DEP_1) | instskip(NEXT) | instid1(VALU_DEP_1)
	v_cvt_f32_fp8_e32 v0, v0
	v_mul_f32_e32 v0, s23, v0
	s_delay_alu instid0(VALU_DEP_1) | instskip(SKIP_2) | instid1(VALU_DEP_3)
	v_bfe_u32 v16, v0, 16, 1
	v_or_b32_e32 v17, 0x400000, v0
	v_cmp_u_f32_e64 s0, v0, v0
	v_add3_u32 v16, v16, v0, 0x7fff
	s_wait_alu 0xf1ff
	s_delay_alu instid0(VALU_DEP_1) | instskip(NEXT) | instid1(VALU_DEP_1)
	v_cndmask_b32_e64 v0, v16, v17, s0
	v_lshrrev_b32_e32 v183, 16, v0
	v_bfe_u32 v0, v14, 16, 8
	s_delay_alu instid0(VALU_DEP_1) | instskip(NEXT) | instid1(VALU_DEP_1)
	v_cvt_f32_fp8_e32 v0, v0
	v_mul_f32_e32 v0, s23, v0
	s_delay_alu instid0(VALU_DEP_1) | instskip(SKIP_2) | instid1(VALU_DEP_3)
	v_bfe_u32 v16, v0, 16, 1
	v_or_b32_e32 v17, 0x400000, v0
	v_cmp_u_f32_e64 s0, v0, v0
	v_add3_u32 v16, v16, v0, 0x7fff
	s_wait_alu 0xf1ff
	s_delay_alu instid0(VALU_DEP_1) | instskip(NEXT) | instid1(VALU_DEP_1)
	v_cndmask_b32_e64 v0, v16, v17, s0
	v_lshrrev_b32_e32 v182, 16, v0
	v_lshrrev_b32_e32 v0, 24, v14
	s_delay_alu instid0(VALU_DEP_1) | instskip(NEXT) | instid1(VALU_DEP_1)
	v_cvt_f32_fp8_e32 v0, v0
	v_mul_f32_e32 v0, s23, v0
	s_delay_alu instid0(VALU_DEP_1) | instskip(SKIP_2) | instid1(VALU_DEP_3)
	v_bfe_u32 v14, v0, 16, 1
	v_or_b32_e32 v16, 0x400000, v0
	v_cmp_u_f32_e64 s0, v0, v0
	v_add3_u32 v14, v14, v0, 0x7fff
	s_wait_alu 0xf1ff
	s_delay_alu instid0(VALU_DEP_1) | instskip(NEXT) | instid1(VALU_DEP_1)
	v_cndmask_b32_e64 v0, v14, v16, s0
	v_lshrrev_b32_e32 v185, 16, v0
	v_and_b32_e32 v0, 0xff, v15
	s_delay_alu instid0(VALU_DEP_1) | instskip(NEXT) | instid1(VALU_DEP_1)
	v_cvt_f32_fp8_e32 v0, v0
	v_mul_f32_e32 v0, s23, v0
	s_delay_alu instid0(VALU_DEP_1) | instskip(SKIP_2) | instid1(VALU_DEP_3)
	v_bfe_u32 v14, v0, 16, 1
	v_or_b32_e32 v16, 0x400000, v0
	v_cmp_u_f32_e64 s0, v0, v0
	v_add3_u32 v14, v14, v0, 0x7fff
	s_wait_alu 0xf1ff
	s_delay_alu instid0(VALU_DEP_1) | instskip(NEXT) | instid1(VALU_DEP_1)
	v_cndmask_b32_e64 v0, v14, v16, s0
	v_lshrrev_b32_e32 v184, 16, v0
	v_bfe_u32 v0, v15, 8, 8
	s_delay_alu instid0(VALU_DEP_1) | instskip(NEXT) | instid1(VALU_DEP_1)
	v_cvt_f32_fp8_e32 v0, v0
	v_mul_f32_e32 v0, s23, v0
	s_delay_alu instid0(VALU_DEP_1) | instskip(SKIP_2) | instid1(VALU_DEP_3)
	v_bfe_u32 v14, v0, 16, 1
	v_or_b32_e32 v16, 0x400000, v0
	v_cmp_u_f32_e64 s0, v0, v0
	v_add3_u32 v14, v14, v0, 0x7fff
	s_wait_alu 0xf1ff
	s_delay_alu instid0(VALU_DEP_1) | instskip(NEXT) | instid1(VALU_DEP_1)
	v_cndmask_b32_e64 v0, v14, v16, s0
	v_lshrrev_b32_e32 v187, 16, v0
	v_bfe_u32 v0, v15, 16, 8
	s_delay_alu instid0(VALU_DEP_1) | instskip(NEXT) | instid1(VALU_DEP_1)
	v_cvt_f32_fp8_e32 v0, v0
	v_mul_f32_e32 v0, s23, v0
	s_delay_alu instid0(VALU_DEP_1) | instskip(SKIP_2) | instid1(VALU_DEP_3)
	v_bfe_u32 v14, v0, 16, 1
	v_or_b32_e32 v16, 0x400000, v0
	v_cmp_u_f32_e64 s0, v0, v0
	v_add3_u32 v14, v14, v0, 0x7fff
	s_wait_alu 0xf1ff
	s_delay_alu instid0(VALU_DEP_1) | instskip(NEXT) | instid1(VALU_DEP_1)
	v_cndmask_b32_e64 v0, v14, v16, s0
	v_lshrrev_b32_e32 v186, 16, v0
	v_lshrrev_b32_e32 v0, 24, v15
	s_delay_alu instid0(VALU_DEP_1) | instskip(NEXT) | instid1(VALU_DEP_1)
	v_cvt_f32_fp8_e32 v0, v0
	v_mul_f32_e32 v0, s23, v0
	s_delay_alu instid0(VALU_DEP_1) | instskip(SKIP_2) | instid1(VALU_DEP_3)
	v_bfe_u32 v14, v0, 16, 1
	v_or_b32_e32 v15, 0x400000, v0
	v_cmp_u_f32_e64 s0, v0, v0
	v_add3_u32 v14, v14, v0, 0x7fff
	s_wait_alu 0xf1ff
	s_delay_alu instid0(VALU_DEP_1) | instskip(NEXT) | instid1(VALU_DEP_1)
	v_cndmask_b32_e64 v0, v14, v15, s0
	v_lshrrev_b32_e32 v188, 16, v0
	s_and_saveexec_b32 s28, vcc_lo
	s_cbranch_execz .LBB357_71
; %bb.70:                               ;   in Loop: Header=BB357_38 Depth=1
	v_cmp_gt_i32_e64 s0, s7, v173
	s_wait_alu 0xf1ff
	s_delay_alu instid0(VALU_DEP_1) | instskip(SKIP_2) | instid1(VALU_DEP_1)
	v_cndmask_b32_e64 v181, 0, v181, s0
	v_cmp_gt_i32_e64 s0, s7, v179
	s_wait_alu 0xf1ff
	v_cndmask_b32_e64 v183, 0, v183, s0
	v_cmp_gt_i32_e64 s0, s7, v178
	s_wait_alu 0xf1ff
	s_delay_alu instid0(VALU_DEP_1) | instskip(SKIP_2) | instid1(VALU_DEP_1)
	v_cndmask_b32_e64 v182, 0, v182, s0
	v_cmp_gt_i32_e64 s0, s7, v177
	s_wait_alu 0xf1ff
	v_cndmask_b32_e64 v185, 0, v185, s0
	;; [unrolled: 7-line block ×4, first 2 shown]
.LBB357_71:                             ;   in Loop: Header=BB357_38 Depth=1
	s_or_b32 exec_lo, exec_lo, s28
	global_load_b64 v[14:15], v[12:13], off offset:4096
	s_wait_loadcnt 0x0
	v_and_b32_e32 v0, 0xff, v14
	s_delay_alu instid0(VALU_DEP_1) | instskip(NEXT) | instid1(VALU_DEP_1)
	v_cvt_f32_fp8_e32 v0, v0
	v_mul_f32_e32 v0, s23, v0
	s_delay_alu instid0(VALU_DEP_1) | instskip(SKIP_2) | instid1(VALU_DEP_3)
	v_bfe_u32 v16, v0, 16, 1
	v_or_b32_e32 v17, 0x400000, v0
	v_cmp_u_f32_e64 s0, v0, v0
	v_add3_u32 v16, v16, v0, 0x7fff
	s_wait_alu 0xf1ff
	s_delay_alu instid0(VALU_DEP_1) | instskip(NEXT) | instid1(VALU_DEP_1)
	v_cndmask_b32_e64 v0, v16, v17, s0
	v_lshrrev_b32_e32 v189, 16, v0
	v_bfe_u32 v0, v14, 8, 8
	s_delay_alu instid0(VALU_DEP_1) | instskip(NEXT) | instid1(VALU_DEP_1)
	v_cvt_f32_fp8_e32 v0, v0
	v_mul_f32_e32 v0, s23, v0
	s_delay_alu instid0(VALU_DEP_1) | instskip(SKIP_2) | instid1(VALU_DEP_3)
	v_bfe_u32 v16, v0, 16, 1
	v_or_b32_e32 v17, 0x400000, v0
	v_cmp_u_f32_e64 s0, v0, v0
	v_add3_u32 v16, v16, v0, 0x7fff
	s_wait_alu 0xf1ff
	s_delay_alu instid0(VALU_DEP_1) | instskip(NEXT) | instid1(VALU_DEP_1)
	v_cndmask_b32_e64 v0, v16, v17, s0
	v_lshrrev_b32_e32 v190, 16, v0
	v_bfe_u32 v0, v14, 16, 8
	s_delay_alu instid0(VALU_DEP_1) | instskip(NEXT) | instid1(VALU_DEP_1)
	v_cvt_f32_fp8_e32 v0, v0
	v_mul_f32_e32 v0, s23, v0
	s_delay_alu instid0(VALU_DEP_1) | instskip(SKIP_2) | instid1(VALU_DEP_3)
	v_bfe_u32 v16, v0, 16, 1
	v_or_b32_e32 v17, 0x400000, v0
	v_cmp_u_f32_e64 s0, v0, v0
	v_add3_u32 v16, v16, v0, 0x7fff
	s_wait_alu 0xf1ff
	s_delay_alu instid0(VALU_DEP_1) | instskip(NEXT) | instid1(VALU_DEP_1)
	v_cndmask_b32_e64 v0, v16, v17, s0
	v_lshrrev_b32_e32 v191, 16, v0
	v_lshrrev_b32_e32 v0, 24, v14
	s_delay_alu instid0(VALU_DEP_1) | instskip(NEXT) | instid1(VALU_DEP_1)
	v_cvt_f32_fp8_e32 v0, v0
	v_mul_f32_e32 v0, s23, v0
	s_delay_alu instid0(VALU_DEP_1) | instskip(SKIP_2) | instid1(VALU_DEP_3)
	v_bfe_u32 v14, v0, 16, 1
	v_or_b32_e32 v16, 0x400000, v0
	v_cmp_u_f32_e64 s0, v0, v0
	v_add3_u32 v14, v14, v0, 0x7fff
	s_wait_alu 0xf1ff
	s_delay_alu instid0(VALU_DEP_1) | instskip(NEXT) | instid1(VALU_DEP_1)
	v_cndmask_b32_e64 v0, v14, v16, s0
	v_lshrrev_b32_e32 v14, 16, v0
	v_and_b32_e32 v0, 0xff, v15
	s_delay_alu instid0(VALU_DEP_1) | instskip(NEXT) | instid1(VALU_DEP_1)
	v_cvt_f32_fp8_e32 v0, v0
	v_mul_f32_e32 v0, s23, v0
	s_delay_alu instid0(VALU_DEP_1) | instskip(SKIP_2) | instid1(VALU_DEP_3)
	v_bfe_u32 v16, v0, 16, 1
	v_or_b32_e32 v17, 0x400000, v0
	v_cmp_u_f32_e64 s0, v0, v0
	v_add3_u32 v16, v16, v0, 0x7fff
	s_wait_alu 0xf1ff
	s_delay_alu instid0(VALU_DEP_1) | instskip(NEXT) | instid1(VALU_DEP_1)
	v_cndmask_b32_e64 v0, v16, v17, s0
	v_lshrrev_b32_e32 v16, 16, v0
	v_bfe_u32 v0, v15, 8, 8
	s_delay_alu instid0(VALU_DEP_1) | instskip(NEXT) | instid1(VALU_DEP_1)
	v_cvt_f32_fp8_e32 v0, v0
	v_mul_f32_e32 v0, s23, v0
	s_delay_alu instid0(VALU_DEP_1) | instskip(SKIP_2) | instid1(VALU_DEP_3)
	v_bfe_u32 v17, v0, 16, 1
	v_or_b32_e32 v18, 0x400000, v0
	v_cmp_u_f32_e64 s0, v0, v0
	v_add3_u32 v17, v17, v0, 0x7fff
	s_wait_alu 0xf1ff
	s_delay_alu instid0(VALU_DEP_1) | instskip(NEXT) | instid1(VALU_DEP_1)
	v_cndmask_b32_e64 v0, v17, v18, s0
	v_lshrrev_b32_e32 v50, 16, v0
	v_bfe_u32 v0, v15, 16, 8
	s_delay_alu instid0(VALU_DEP_1) | instskip(NEXT) | instid1(VALU_DEP_1)
	v_cvt_f32_fp8_e32 v0, v0
	v_mul_f32_e32 v0, s23, v0
	s_delay_alu instid0(VALU_DEP_1) | instskip(SKIP_2) | instid1(VALU_DEP_3)
	v_bfe_u32 v17, v0, 16, 1
	v_or_b32_e32 v18, 0x400000, v0
	v_cmp_u_f32_e64 s0, v0, v0
	v_add3_u32 v17, v17, v0, 0x7fff
	s_wait_alu 0xf1ff
	s_delay_alu instid0(VALU_DEP_1) | instskip(NEXT) | instid1(VALU_DEP_1)
	v_cndmask_b32_e64 v0, v17, v18, s0
	v_lshrrev_b32_e32 v51, 16, v0
	v_lshrrev_b32_e32 v0, 24, v15
	s_delay_alu instid0(VALU_DEP_1) | instskip(NEXT) | instid1(VALU_DEP_1)
	v_cvt_f32_fp8_e32 v0, v0
	v_mul_f32_e32 v0, s23, v0
	s_delay_alu instid0(VALU_DEP_1) | instskip(SKIP_2) | instid1(VALU_DEP_3)
	v_bfe_u32 v15, v0, 16, 1
	v_or_b32_e32 v17, 0x400000, v0
	v_cmp_u_f32_e64 s0, v0, v0
	v_add3_u32 v15, v15, v0, 0x7fff
	s_wait_alu 0xf1ff
	s_delay_alu instid0(VALU_DEP_1) | instskip(NEXT) | instid1(VALU_DEP_1)
	v_cndmask_b32_e64 v0, v15, v17, s0
	v_lshrrev_b32_e32 v52, 16, v0
	s_and_saveexec_b32 s28, vcc_lo
	s_cbranch_execz .LBB357_73
; %bb.72:                               ;   in Loop: Header=BB357_38 Depth=1
	v_cmp_gt_i32_e64 s0, s7, v173
	s_wait_alu 0xf1ff
	s_delay_alu instid0(VALU_DEP_1) | instskip(SKIP_2) | instid1(VALU_DEP_1)
	v_cndmask_b32_e64 v189, 0, v189, s0
	v_cmp_gt_i32_e64 s0, s7, v179
	s_wait_alu 0xf1ff
	v_cndmask_b32_e64 v190, 0, v190, s0
	v_cmp_gt_i32_e64 s0, s7, v178
	s_wait_alu 0xf1ff
	s_delay_alu instid0(VALU_DEP_1) | instskip(SKIP_2) | instid1(VALU_DEP_1)
	v_cndmask_b32_e64 v191, 0, v191, s0
	v_cmp_gt_i32_e64 s0, s7, v177
	s_wait_alu 0xf1ff
	v_cndmask_b32_e64 v14, 0, v14, s0
	v_cmp_gt_i32_e64 s0, s7, v176
	s_wait_alu 0xf1ff
	s_delay_alu instid0(VALU_DEP_1) | instskip(SKIP_2) | instid1(VALU_DEP_1)
	v_cndmask_b32_e64 v16, 0, v16, s0
	v_cmp_gt_i32_e64 s0, s7, v175
	s_wait_alu 0xf1ff
	v_cndmask_b32_e64 v50, 0, v50, s0
	v_cmp_gt_i32_e64 s0, s7, v174
	s_wait_alu 0xf1ff
	s_delay_alu instid0(VALU_DEP_1) | instskip(SKIP_2) | instid1(VALU_DEP_1)
	v_cndmask_b32_e64 v51, 0, v51, s0
	v_cmp_gt_i32_e64 s0, s7, v180
	s_wait_alu 0xf1ff
	v_cndmask_b32_e64 v52, 0, v52, s0
.LBB357_73:                             ;   in Loop: Header=BB357_38 Depth=1
	s_or_b32 exec_lo, exec_lo, s28
	global_load_b64 v[22:23], v[12:13], off offset:4352
	s_wait_loadcnt 0x0
	v_and_b32_e32 v0, 0xff, v22
	s_delay_alu instid0(VALU_DEP_1) | instskip(NEXT) | instid1(VALU_DEP_1)
	v_cvt_f32_fp8_e32 v0, v0
	v_mul_f32_e32 v0, s23, v0
	s_delay_alu instid0(VALU_DEP_1) | instskip(SKIP_2) | instid1(VALU_DEP_3)
	v_bfe_u32 v15, v0, 16, 1
	v_or_b32_e32 v17, 0x400000, v0
	v_cmp_u_f32_e64 s0, v0, v0
	v_add3_u32 v15, v15, v0, 0x7fff
	s_wait_alu 0xf1ff
	s_delay_alu instid0(VALU_DEP_1) | instskip(NEXT) | instid1(VALU_DEP_1)
	v_cndmask_b32_e64 v0, v15, v17, s0
	v_lshrrev_b32_e32 v17, 16, v0
	v_bfe_u32 v0, v22, 8, 8
	s_delay_alu instid0(VALU_DEP_1) | instskip(NEXT) | instid1(VALU_DEP_1)
	v_cvt_f32_fp8_e32 v0, v0
	v_mul_f32_e32 v0, s23, v0
	s_delay_alu instid0(VALU_DEP_1) | instskip(SKIP_2) | instid1(VALU_DEP_3)
	v_bfe_u32 v15, v0, 16, 1
	v_or_b32_e32 v18, 0x400000, v0
	v_cmp_u_f32_e64 s0, v0, v0
	v_add3_u32 v15, v15, v0, 0x7fff
	s_wait_alu 0xf1ff
	s_delay_alu instid0(VALU_DEP_1) | instskip(SKIP_1) | instid1(VALU_DEP_2)
	v_cndmask_b32_e64 v0, v15, v18, s0
	v_bfe_u32 v15, v22, 16, 8
	v_lshrrev_b32_e32 v0, 16, v0
	s_delay_alu instid0(VALU_DEP_2) | instskip(NEXT) | instid1(VALU_DEP_1)
	v_cvt_f32_fp8_e32 v15, v15
	v_mul_f32_e32 v15, s23, v15
	s_delay_alu instid0(VALU_DEP_1) | instskip(SKIP_2) | instid1(VALU_DEP_3)
	v_bfe_u32 v18, v15, 16, 1
	v_or_b32_e32 v20, 0x400000, v15
	v_cmp_u_f32_e64 s0, v15, v15
	v_add3_u32 v18, v18, v15, 0x7fff
	s_wait_alu 0xf1ff
	s_delay_alu instid0(VALU_DEP_1) | instskip(NEXT) | instid1(VALU_DEP_1)
	v_cndmask_b32_e64 v15, v18, v20, s0
	v_lshrrev_b32_e32 v18, 16, v15
	v_lshrrev_b32_e32 v15, 24, v22
	s_delay_alu instid0(VALU_DEP_1) | instskip(NEXT) | instid1(VALU_DEP_1)
	v_cvt_f32_fp8_e32 v15, v15
	v_mul_f32_e32 v15, s23, v15
	s_delay_alu instid0(VALU_DEP_1) | instskip(SKIP_2) | instid1(VALU_DEP_3)
	v_bfe_u32 v20, v15, 16, 1
	v_or_b32_e32 v21, 0x400000, v15
	v_cmp_u_f32_e64 s0, v15, v15
	v_add3_u32 v20, v20, v15, 0x7fff
	s_wait_alu 0xf1ff
	s_delay_alu instid0(VALU_DEP_1) | instskip(NEXT) | instid1(VALU_DEP_1)
	v_cndmask_b32_e64 v15, v20, v21, s0
	v_lshrrev_b32_e32 v20, 16, v15
	v_and_b32_e32 v15, 0xff, v23
	s_delay_alu instid0(VALU_DEP_1) | instskip(NEXT) | instid1(VALU_DEP_1)
	v_cvt_f32_fp8_e32 v15, v15
	v_mul_f32_e32 v15, s23, v15
	s_delay_alu instid0(VALU_DEP_1) | instskip(SKIP_2) | instid1(VALU_DEP_3)
	v_bfe_u32 v21, v15, 16, 1
	v_or_b32_e32 v22, 0x400000, v15
	v_cmp_u_f32_e64 s0, v15, v15
	v_add3_u32 v21, v21, v15, 0x7fff
	s_wait_alu 0xf1ff
	s_delay_alu instid0(VALU_DEP_1) | instskip(NEXT) | instid1(VALU_DEP_1)
	v_cndmask_b32_e64 v15, v21, v22, s0
	v_lshrrev_b32_e32 v26, 16, v15
	v_bfe_u32 v15, v23, 8, 8
	s_delay_alu instid0(VALU_DEP_1) | instskip(NEXT) | instid1(VALU_DEP_1)
	v_cvt_f32_fp8_e32 v15, v15
	v_mul_f32_e32 v15, s23, v15
	s_delay_alu instid0(VALU_DEP_1) | instskip(SKIP_2) | instid1(VALU_DEP_3)
	v_bfe_u32 v21, v15, 16, 1
	v_or_b32_e32 v22, 0x400000, v15
	v_cmp_u_f32_e64 s0, v15, v15
	v_add3_u32 v21, v21, v15, 0x7fff
	s_wait_alu 0xf1ff
	s_delay_alu instid0(VALU_DEP_1) | instskip(NEXT) | instid1(VALU_DEP_1)
	v_cndmask_b32_e64 v15, v21, v22, s0
	v_lshrrev_b32_e32 v21, 16, v15
	v_bfe_u32 v15, v23, 16, 8
	s_delay_alu instid0(VALU_DEP_1) | instskip(NEXT) | instid1(VALU_DEP_1)
	v_cvt_f32_fp8_e32 v15, v15
	v_mul_f32_e32 v15, s23, v15
	s_delay_alu instid0(VALU_DEP_1) | instskip(SKIP_2) | instid1(VALU_DEP_3)
	v_bfe_u32 v22, v15, 16, 1
	v_or_b32_e32 v24, 0x400000, v15
	v_cmp_u_f32_e64 s0, v15, v15
	v_add3_u32 v22, v22, v15, 0x7fff
	s_wait_alu 0xf1ff
	s_delay_alu instid0(VALU_DEP_1) | instskip(NEXT) | instid1(VALU_DEP_1)
	v_cndmask_b32_e64 v15, v22, v24, s0
	v_lshrrev_b32_e32 v22, 16, v15
	v_lshrrev_b32_e32 v15, 24, v23
	s_delay_alu instid0(VALU_DEP_1) | instskip(NEXT) | instid1(VALU_DEP_1)
	v_cvt_f32_fp8_e32 v15, v15
	v_mul_f32_e32 v15, s23, v15
	s_delay_alu instid0(VALU_DEP_1) | instskip(SKIP_2) | instid1(VALU_DEP_3)
	v_bfe_u32 v23, v15, 16, 1
	v_or_b32_e32 v24, 0x400000, v15
	v_cmp_u_f32_e64 s0, v15, v15
	v_add3_u32 v23, v23, v15, 0x7fff
	s_wait_alu 0xf1ff
	s_delay_alu instid0(VALU_DEP_1) | instskip(NEXT) | instid1(VALU_DEP_1)
	v_cndmask_b32_e64 v15, v23, v24, s0
	v_lshrrev_b32_e32 v23, 16, v15
	s_and_saveexec_b32 s28, vcc_lo
	s_cbranch_execz .LBB357_75
; %bb.74:                               ;   in Loop: Header=BB357_38 Depth=1
	v_cmp_gt_i32_e64 s0, s7, v173
	s_wait_alu 0xf1ff
	s_delay_alu instid0(VALU_DEP_1) | instskip(SKIP_2) | instid1(VALU_DEP_1)
	v_cndmask_b32_e64 v17, 0, v17, s0
	v_cmp_gt_i32_e64 s0, s7, v179
	s_wait_alu 0xf1ff
	v_cndmask_b32_e64 v0, 0, v0, s0
	v_cmp_gt_i32_e64 s0, s7, v178
	s_wait_alu 0xf1ff
	s_delay_alu instid0(VALU_DEP_1) | instskip(SKIP_2) | instid1(VALU_DEP_1)
	v_cndmask_b32_e64 v18, 0, v18, s0
	v_cmp_gt_i32_e64 s0, s7, v177
	s_wait_alu 0xf1ff
	v_cndmask_b32_e64 v20, 0, v20, s0
	;; [unrolled: 7-line block ×4, first 2 shown]
.LBB357_75:                             ;   in Loop: Header=BB357_38 Depth=1
	s_or_b32 exec_lo, exec_lo, s28
	global_load_b64 v[28:29], v[12:13], off offset:4608
	s_wait_loadcnt 0x0
	v_and_b32_e32 v15, 0xff, v28
	s_delay_alu instid0(VALU_DEP_1) | instskip(NEXT) | instid1(VALU_DEP_1)
	v_cvt_f32_fp8_e32 v15, v15
	v_mul_f32_e32 v15, s23, v15
	s_delay_alu instid0(VALU_DEP_1) | instskip(SKIP_2) | instid1(VALU_DEP_3)
	v_bfe_u32 v24, v15, 16, 1
	v_or_b32_e32 v25, 0x400000, v15
	v_cmp_u_f32_e64 s0, v15, v15
	v_add3_u32 v24, v24, v15, 0x7fff
	s_wait_alu 0xf1ff
	s_delay_alu instid0(VALU_DEP_1) | instskip(NEXT) | instid1(VALU_DEP_1)
	v_cndmask_b32_e64 v15, v24, v25, s0
	v_lshrrev_b32_e32 v25, 16, v15
	v_bfe_u32 v15, v28, 8, 8
	s_delay_alu instid0(VALU_DEP_1) | instskip(NEXT) | instid1(VALU_DEP_1)
	v_cvt_f32_fp8_e32 v15, v15
	v_mul_f32_e32 v15, s23, v15
	s_delay_alu instid0(VALU_DEP_1) | instskip(SKIP_2) | instid1(VALU_DEP_3)
	v_bfe_u32 v24, v15, 16, 1
	v_or_b32_e32 v27, 0x400000, v15
	v_cmp_u_f32_e64 s0, v15, v15
	v_add3_u32 v24, v24, v15, 0x7fff
	s_wait_alu 0xf1ff
	s_delay_alu instid0(VALU_DEP_1) | instskip(SKIP_1) | instid1(VALU_DEP_2)
	v_cndmask_b32_e64 v15, v24, v27, s0
	v_bfe_u32 v24, v28, 16, 8
	v_lshrrev_b32_e32 v15, 16, v15
	s_delay_alu instid0(VALU_DEP_2) | instskip(NEXT) | instid1(VALU_DEP_1)
	v_cvt_f32_fp8_e32 v24, v24
	v_mul_f32_e32 v24, s23, v24
	s_delay_alu instid0(VALU_DEP_1) | instskip(SKIP_2) | instid1(VALU_DEP_3)
	v_bfe_u32 v27, v24, 16, 1
	v_or_b32_e32 v30, 0x400000, v24
	v_cmp_u_f32_e64 s0, v24, v24
	v_add3_u32 v27, v27, v24, 0x7fff
	s_wait_alu 0xf1ff
	s_delay_alu instid0(VALU_DEP_1) | instskip(SKIP_1) | instid1(VALU_DEP_2)
	v_cndmask_b32_e64 v24, v27, v30, s0
	v_lshrrev_b32_e32 v27, 24, v28
	v_lshrrev_b32_e32 v24, 16, v24
	s_delay_alu instid0(VALU_DEP_2) | instskip(NEXT) | instid1(VALU_DEP_1)
	v_cvt_f32_fp8_e32 v27, v27
	v_mul_f32_e32 v27, s23, v27
	s_delay_alu instid0(VALU_DEP_1) | instskip(SKIP_2) | instid1(VALU_DEP_3)
	v_bfe_u32 v28, v27, 16, 1
	v_or_b32_e32 v30, 0x400000, v27
	v_cmp_u_f32_e64 s0, v27, v27
	v_add3_u32 v28, v28, v27, 0x7fff
	s_wait_alu 0xf1ff
	s_delay_alu instid0(VALU_DEP_1) | instskip(SKIP_1) | instid1(VALU_DEP_2)
	v_cndmask_b32_e64 v27, v28, v30, s0
	v_and_b32_e32 v28, 0xff, v29
	v_lshrrev_b32_e32 v27, 16, v27
	s_delay_alu instid0(VALU_DEP_2) | instskip(NEXT) | instid1(VALU_DEP_1)
	v_cvt_f32_fp8_e32 v28, v28
	v_mul_f32_e32 v28, s23, v28
	s_delay_alu instid0(VALU_DEP_1) | instskip(SKIP_2) | instid1(VALU_DEP_3)
	v_bfe_u32 v30, v28, 16, 1
	v_or_b32_e32 v31, 0x400000, v28
	v_cmp_u_f32_e64 s0, v28, v28
	v_add3_u32 v30, v30, v28, 0x7fff
	s_wait_alu 0xf1ff
	s_delay_alu instid0(VALU_DEP_1) | instskip(SKIP_1) | instid1(VALU_DEP_2)
	v_cndmask_b32_e64 v28, v30, v31, s0
	v_bfe_u32 v30, v29, 8, 8
	v_lshrrev_b32_e32 v28, 16, v28
	s_delay_alu instid0(VALU_DEP_2) | instskip(NEXT) | instid1(VALU_DEP_1)
	v_cvt_f32_fp8_e32 v30, v30
	v_mul_f32_e32 v30, s23, v30
	s_delay_alu instid0(VALU_DEP_1) | instskip(SKIP_2) | instid1(VALU_DEP_3)
	v_bfe_u32 v31, v30, 16, 1
	v_or_b32_e32 v32, 0x400000, v30
	v_cmp_u_f32_e64 s0, v30, v30
	v_add3_u32 v31, v31, v30, 0x7fff
	s_wait_alu 0xf1ff
	s_delay_alu instid0(VALU_DEP_1) | instskip(SKIP_2) | instid1(VALU_DEP_3)
	v_cndmask_b32_e64 v30, v31, v32, s0
	v_bfe_u32 v31, v29, 16, 8
	v_lshrrev_b32_e32 v29, 24, v29
	v_lshrrev_b32_e32 v30, 16, v30
	s_delay_alu instid0(VALU_DEP_3) | instskip(NEXT) | instid1(VALU_DEP_3)
	v_cvt_f32_fp8_e32 v31, v31
	v_cvt_f32_fp8_e32 v29, v29
	s_delay_alu instid0(VALU_DEP_2) | instskip(NEXT) | instid1(VALU_DEP_2)
	v_mul_f32_e32 v31, s23, v31
	v_mul_f32_e32 v29, s23, v29
	s_delay_alu instid0(VALU_DEP_2) | instskip(SKIP_2) | instid1(VALU_DEP_3)
	v_bfe_u32 v32, v31, 16, 1
	v_or_b32_e32 v33, 0x400000, v31
	v_cmp_u_f32_e64 s0, v31, v31
	v_add3_u32 v32, v32, v31, 0x7fff
	s_wait_alu 0xf1ff
	s_delay_alu instid0(VALU_DEP_1) | instskip(SKIP_3) | instid1(VALU_DEP_4)
	v_cndmask_b32_e64 v31, v32, v33, s0
	v_bfe_u32 v32, v29, 16, 1
	v_or_b32_e32 v33, 0x400000, v29
	v_cmp_u_f32_e64 s0, v29, v29
	v_lshrrev_b32_e32 v31, 16, v31
	s_delay_alu instid0(VALU_DEP_4) | instskip(SKIP_1) | instid1(VALU_DEP_1)
	v_add3_u32 v32, v32, v29, 0x7fff
	s_wait_alu 0xf1ff
	v_cndmask_b32_e64 v29, v32, v33, s0
	s_delay_alu instid0(VALU_DEP_1)
	v_lshrrev_b32_e32 v65, 16, v29
	s_and_saveexec_b32 s28, vcc_lo
	s_cbranch_execz .LBB357_77
; %bb.76:                               ;   in Loop: Header=BB357_38 Depth=1
	v_cmp_gt_i32_e64 s0, s7, v173
	s_wait_alu 0xf1ff
	s_delay_alu instid0(VALU_DEP_1) | instskip(SKIP_2) | instid1(VALU_DEP_1)
	v_cndmask_b32_e64 v25, 0, v25, s0
	v_cmp_gt_i32_e64 s0, s7, v179
	s_wait_alu 0xf1ff
	v_cndmask_b32_e64 v15, 0, v15, s0
	v_cmp_gt_i32_e64 s0, s7, v178
	s_wait_alu 0xf1ff
	s_delay_alu instid0(VALU_DEP_1) | instskip(SKIP_2) | instid1(VALU_DEP_1)
	v_cndmask_b32_e64 v24, 0, v24, s0
	v_cmp_gt_i32_e64 s0, s7, v177
	s_wait_alu 0xf1ff
	v_cndmask_b32_e64 v27, 0, v27, s0
	;; [unrolled: 7-line block ×4, first 2 shown]
.LBB357_77:                             ;   in Loop: Header=BB357_38 Depth=1
	s_or_b32 exec_lo, exec_lo, s28
	global_load_b64 v[39:40], v[12:13], off offset:4864
	s_wait_loadcnt 0x0
	v_and_b32_e32 v29, 0xff, v39
	s_delay_alu instid0(VALU_DEP_1) | instskip(NEXT) | instid1(VALU_DEP_1)
	v_cvt_f32_fp8_e32 v29, v29
	v_mul_f32_e32 v29, s23, v29
	s_delay_alu instid0(VALU_DEP_1) | instskip(SKIP_2) | instid1(VALU_DEP_3)
	v_bfe_u32 v32, v29, 16, 1
	v_or_b32_e32 v33, 0x400000, v29
	v_cmp_u_f32_e64 s0, v29, v29
	v_add3_u32 v32, v32, v29, 0x7fff
	s_wait_alu 0xf1ff
	s_delay_alu instid0(VALU_DEP_1) | instskip(NEXT) | instid1(VALU_DEP_1)
	v_cndmask_b32_e64 v29, v32, v33, s0
	v_lshrrev_b32_e32 v32, 16, v29
	v_bfe_u32 v29, v39, 8, 8
	s_delay_alu instid0(VALU_DEP_1) | instskip(NEXT) | instid1(VALU_DEP_1)
	v_cvt_f32_fp8_e32 v29, v29
	v_mul_f32_e32 v29, s23, v29
	s_delay_alu instid0(VALU_DEP_1) | instskip(SKIP_2) | instid1(VALU_DEP_3)
	v_bfe_u32 v33, v29, 16, 1
	v_or_b32_e32 v34, 0x400000, v29
	v_cmp_u_f32_e64 s0, v29, v29
	v_add3_u32 v33, v33, v29, 0x7fff
	s_wait_alu 0xf1ff
	s_delay_alu instid0(VALU_DEP_1) | instskip(NEXT) | instid1(VALU_DEP_1)
	v_cndmask_b32_e64 v29, v33, v34, s0
	v_lshrrev_b32_e32 v34, 16, v29
	v_bfe_u32 v29, v39, 16, 8
	s_delay_alu instid0(VALU_DEP_1) | instskip(NEXT) | instid1(VALU_DEP_1)
	v_cvt_f32_fp8_e32 v29, v29
	v_mul_f32_e32 v29, s23, v29
	s_delay_alu instid0(VALU_DEP_1) | instskip(SKIP_2) | instid1(VALU_DEP_3)
	v_bfe_u32 v33, v29, 16, 1
	v_or_b32_e32 v35, 0x400000, v29
	v_cmp_u_f32_e64 s0, v29, v29
	v_add3_u32 v33, v33, v29, 0x7fff
	s_wait_alu 0xf1ff
	s_delay_alu instid0(VALU_DEP_1) | instskip(NEXT) | instid1(VALU_DEP_1)
	v_cndmask_b32_e64 v29, v33, v35, s0
	v_lshrrev_b32_e32 v35, 16, v29
	v_lshrrev_b32_e32 v29, 24, v39
	s_delay_alu instid0(VALU_DEP_1) | instskip(NEXT) | instid1(VALU_DEP_1)
	v_cvt_f32_fp8_e32 v29, v29
	v_mul_f32_e32 v29, s23, v29
	s_delay_alu instid0(VALU_DEP_1) | instskip(SKIP_2) | instid1(VALU_DEP_3)
	v_bfe_u32 v33, v29, 16, 1
	v_or_b32_e32 v36, 0x400000, v29
	v_cmp_u_f32_e64 s0, v29, v29
	v_add3_u32 v33, v33, v29, 0x7fff
	s_wait_alu 0xf1ff
	s_delay_alu instid0(VALU_DEP_1) | instskip(NEXT) | instid1(VALU_DEP_1)
	v_cndmask_b32_e64 v29, v33, v36, s0
	v_lshrrev_b32_e32 v36, 16, v29
	v_and_b32_e32 v29, 0xff, v40
	s_delay_alu instid0(VALU_DEP_1) | instskip(NEXT) | instid1(VALU_DEP_1)
	v_cvt_f32_fp8_e32 v29, v29
	v_mul_f32_e32 v29, s23, v29
	s_delay_alu instid0(VALU_DEP_1) | instskip(SKIP_2) | instid1(VALU_DEP_3)
	v_bfe_u32 v33, v29, 16, 1
	v_or_b32_e32 v37, 0x400000, v29
	v_cmp_u_f32_e64 s0, v29, v29
	v_add3_u32 v33, v33, v29, 0x7fff
	s_wait_alu 0xf1ff
	s_delay_alu instid0(VALU_DEP_1) | instskip(NEXT) | instid1(VALU_DEP_1)
	v_cndmask_b32_e64 v29, v33, v37, s0
	v_lshrrev_b32_e32 v37, 16, v29
	v_bfe_u32 v29, v40, 8, 8
	s_delay_alu instid0(VALU_DEP_1) | instskip(NEXT) | instid1(VALU_DEP_1)
	v_cvt_f32_fp8_e32 v29, v29
	v_mul_f32_e32 v29, s23, v29
	s_delay_alu instid0(VALU_DEP_1) | instskip(SKIP_2) | instid1(VALU_DEP_3)
	v_bfe_u32 v33, v29, 16, 1
	v_or_b32_e32 v38, 0x400000, v29
	v_cmp_u_f32_e64 s0, v29, v29
	v_add3_u32 v33, v33, v29, 0x7fff
	s_wait_alu 0xf1ff
	s_delay_alu instid0(VALU_DEP_1) | instskip(NEXT) | instid1(VALU_DEP_1)
	v_cndmask_b32_e64 v29, v33, v38, s0
	v_lshrrev_b32_e32 v38, 16, v29
	v_bfe_u32 v29, v40, 16, 8
	s_delay_alu instid0(VALU_DEP_1) | instskip(NEXT) | instid1(VALU_DEP_1)
	v_cvt_f32_fp8_e32 v29, v29
	v_mul_f32_e32 v29, s23, v29
	s_delay_alu instid0(VALU_DEP_1) | instskip(SKIP_2) | instid1(VALU_DEP_3)
	v_bfe_u32 v33, v29, 16, 1
	v_or_b32_e32 v39, 0x400000, v29
	v_cmp_u_f32_e64 s0, v29, v29
	v_add3_u32 v33, v33, v29, 0x7fff
	s_wait_alu 0xf1ff
	s_delay_alu instid0(VALU_DEP_1) | instskip(NEXT) | instid1(VALU_DEP_1)
	v_cndmask_b32_e64 v29, v33, v39, s0
	v_lshrrev_b32_e32 v39, 16, v29
	v_lshrrev_b32_e32 v29, 24, v40
	s_delay_alu instid0(VALU_DEP_1) | instskip(NEXT) | instid1(VALU_DEP_1)
	v_cvt_f32_fp8_e32 v29, v29
	v_mul_f32_e32 v29, s23, v29
	s_delay_alu instid0(VALU_DEP_1) | instskip(SKIP_2) | instid1(VALU_DEP_3)
	v_bfe_u32 v33, v29, 16, 1
	v_or_b32_e32 v40, 0x400000, v29
	v_cmp_u_f32_e64 s0, v29, v29
	v_add3_u32 v33, v33, v29, 0x7fff
	s_wait_alu 0xf1ff
	s_delay_alu instid0(VALU_DEP_1) | instskip(NEXT) | instid1(VALU_DEP_1)
	v_cndmask_b32_e64 v29, v33, v40, s0
	v_lshrrev_b32_e32 v40, 16, v29
	s_and_saveexec_b32 s28, vcc_lo
	s_cbranch_execz .LBB357_79
; %bb.78:                               ;   in Loop: Header=BB357_38 Depth=1
	v_cmp_gt_i32_e64 s0, s7, v173
	s_wait_alu 0xf1ff
	s_delay_alu instid0(VALU_DEP_1) | instskip(SKIP_2) | instid1(VALU_DEP_1)
	v_cndmask_b32_e64 v32, 0, v32, s0
	v_cmp_gt_i32_e64 s0, s7, v179
	s_wait_alu 0xf1ff
	v_cndmask_b32_e64 v34, 0, v34, s0
	v_cmp_gt_i32_e64 s0, s7, v178
	s_wait_alu 0xf1ff
	s_delay_alu instid0(VALU_DEP_1) | instskip(SKIP_2) | instid1(VALU_DEP_1)
	v_cndmask_b32_e64 v35, 0, v35, s0
	v_cmp_gt_i32_e64 s0, s7, v177
	s_wait_alu 0xf1ff
	v_cndmask_b32_e64 v36, 0, v36, s0
	;; [unrolled: 7-line block ×4, first 2 shown]
.LBB357_79:                             ;   in Loop: Header=BB357_38 Depth=1
	s_or_b32 exec_lo, exec_lo, s28
	global_load_b64 v[41:42], v[12:13], off offset:5120
	s_wait_loadcnt 0x0
	v_and_b32_e32 v29, 0xff, v41
	s_delay_alu instid0(VALU_DEP_1) | instskip(NEXT) | instid1(VALU_DEP_1)
	v_cvt_f32_fp8_e32 v29, v29
	v_mul_f32_e32 v29, s23, v29
	s_delay_alu instid0(VALU_DEP_1) | instskip(SKIP_2) | instid1(VALU_DEP_3)
	v_bfe_u32 v33, v29, 16, 1
	v_or_b32_e32 v43, 0x400000, v29
	v_cmp_u_f32_e64 s0, v29, v29
	v_add3_u32 v33, v33, v29, 0x7fff
	s_wait_alu 0xf1ff
	s_delay_alu instid0(VALU_DEP_1) | instskip(NEXT) | instid1(VALU_DEP_1)
	v_cndmask_b32_e64 v29, v33, v43, s0
	v_lshrrev_b32_e32 v45, 16, v29
	v_bfe_u32 v29, v41, 8, 8
	s_delay_alu instid0(VALU_DEP_1) | instskip(NEXT) | instid1(VALU_DEP_1)
	v_cvt_f32_fp8_e32 v29, v29
	v_mul_f32_e32 v29, s23, v29
	s_delay_alu instid0(VALU_DEP_1) | instskip(SKIP_2) | instid1(VALU_DEP_3)
	v_bfe_u32 v33, v29, 16, 1
	v_or_b32_e32 v43, 0x400000, v29
	v_cmp_u_f32_e64 s0, v29, v29
	v_add3_u32 v33, v33, v29, 0x7fff
	s_wait_alu 0xf1ff
	s_delay_alu instid0(VALU_DEP_1) | instskip(NEXT) | instid1(VALU_DEP_1)
	v_cndmask_b32_e64 v29, v33, v43, s0
	v_lshrrev_b32_e32 v46, 16, v29
	v_bfe_u32 v29, v41, 16, 8
	s_delay_alu instid0(VALU_DEP_1) | instskip(NEXT) | instid1(VALU_DEP_1)
	v_cvt_f32_fp8_e32 v29, v29
	v_mul_f32_e32 v29, s23, v29
	s_delay_alu instid0(VALU_DEP_1) | instskip(SKIP_2) | instid1(VALU_DEP_3)
	v_bfe_u32 v33, v29, 16, 1
	v_or_b32_e32 v43, 0x400000, v29
	v_cmp_u_f32_e64 s0, v29, v29
	v_add3_u32 v33, v33, v29, 0x7fff
	s_wait_alu 0xf1ff
	s_delay_alu instid0(VALU_DEP_1) | instskip(NEXT) | instid1(VALU_DEP_1)
	v_cndmask_b32_e64 v29, v33, v43, s0
	v_lshrrev_b32_e32 v47, 16, v29
	v_lshrrev_b32_e32 v29, 24, v41
	s_delay_alu instid0(VALU_DEP_1) | instskip(NEXT) | instid1(VALU_DEP_1)
	v_cvt_f32_fp8_e32 v29, v29
	v_mul_f32_e32 v29, s23, v29
	s_delay_alu instid0(VALU_DEP_1) | instskip(SKIP_2) | instid1(VALU_DEP_3)
	v_bfe_u32 v33, v29, 16, 1
	v_or_b32_e32 v41, 0x400000, v29
	v_cmp_u_f32_e64 s0, v29, v29
	v_add3_u32 v33, v33, v29, 0x7fff
	s_wait_alu 0xf1ff
	s_delay_alu instid0(VALU_DEP_1) | instskip(NEXT) | instid1(VALU_DEP_1)
	v_cndmask_b32_e64 v29, v33, v41, s0
	v_lshrrev_b32_e32 v48, 16, v29
	v_and_b32_e32 v29, 0xff, v42
	s_delay_alu instid0(VALU_DEP_1) | instskip(NEXT) | instid1(VALU_DEP_1)
	v_cvt_f32_fp8_e32 v29, v29
	v_mul_f32_e32 v29, s23, v29
	s_delay_alu instid0(VALU_DEP_1) | instskip(SKIP_2) | instid1(VALU_DEP_3)
	v_bfe_u32 v33, v29, 16, 1
	v_or_b32_e32 v41, 0x400000, v29
	v_cmp_u_f32_e64 s0, v29, v29
	v_add3_u32 v33, v33, v29, 0x7fff
	s_wait_alu 0xf1ff
	s_delay_alu instid0(VALU_DEP_1) | instskip(NEXT) | instid1(VALU_DEP_1)
	v_cndmask_b32_e64 v29, v33, v41, s0
	v_lshrrev_b32_e32 v49, 16, v29
	v_bfe_u32 v29, v42, 8, 8
	s_delay_alu instid0(VALU_DEP_1) | instskip(NEXT) | instid1(VALU_DEP_1)
	v_cvt_f32_fp8_e32 v29, v29
	v_mul_f32_e32 v29, s23, v29
	s_delay_alu instid0(VALU_DEP_1) | instskip(SKIP_2) | instid1(VALU_DEP_3)
	v_bfe_u32 v33, v29, 16, 1
	v_or_b32_e32 v41, 0x400000, v29
	v_cmp_u_f32_e64 s0, v29, v29
	v_add3_u32 v33, v33, v29, 0x7fff
	s_wait_alu 0xf1ff
	s_delay_alu instid0(VALU_DEP_1) | instskip(NEXT) | instid1(VALU_DEP_1)
	v_cndmask_b32_e64 v29, v33, v41, s0
	v_lshrrev_b32_e32 v53, 16, v29
	v_bfe_u32 v29, v42, 16, 8
	s_delay_alu instid0(VALU_DEP_1) | instskip(NEXT) | instid1(VALU_DEP_1)
	v_cvt_f32_fp8_e32 v29, v29
	v_mul_f32_e32 v29, s23, v29
	s_delay_alu instid0(VALU_DEP_1) | instskip(SKIP_2) | instid1(VALU_DEP_3)
	v_bfe_u32 v33, v29, 16, 1
	v_or_b32_e32 v41, 0x400000, v29
	v_cmp_u_f32_e64 s0, v29, v29
	v_add3_u32 v33, v33, v29, 0x7fff
	s_wait_alu 0xf1ff
	s_delay_alu instid0(VALU_DEP_1) | instskip(NEXT) | instid1(VALU_DEP_1)
	v_cndmask_b32_e64 v29, v33, v41, s0
	v_lshrrev_b32_e32 v54, 16, v29
	v_lshrrev_b32_e32 v29, 24, v42
	s_delay_alu instid0(VALU_DEP_1) | instskip(NEXT) | instid1(VALU_DEP_1)
	v_cvt_f32_fp8_e32 v29, v29
	v_mul_f32_e32 v29, s23, v29
	s_delay_alu instid0(VALU_DEP_1) | instskip(SKIP_2) | instid1(VALU_DEP_3)
	v_bfe_u32 v33, v29, 16, 1
	v_or_b32_e32 v41, 0x400000, v29
	v_cmp_u_f32_e64 s0, v29, v29
	v_add3_u32 v33, v33, v29, 0x7fff
	s_wait_alu 0xf1ff
	s_delay_alu instid0(VALU_DEP_1) | instskip(NEXT) | instid1(VALU_DEP_1)
	v_cndmask_b32_e64 v29, v33, v41, s0
	v_lshrrev_b32_e32 v55, 16, v29
	s_and_saveexec_b32 s28, vcc_lo
	s_cbranch_execz .LBB357_81
; %bb.80:                               ;   in Loop: Header=BB357_38 Depth=1
	v_cmp_gt_i32_e64 s0, s7, v173
	s_wait_alu 0xf1ff
	s_delay_alu instid0(VALU_DEP_1) | instskip(SKIP_2) | instid1(VALU_DEP_1)
	v_cndmask_b32_e64 v45, 0, v45, s0
	v_cmp_gt_i32_e64 s0, s7, v179
	s_wait_alu 0xf1ff
	v_cndmask_b32_e64 v46, 0, v46, s0
	v_cmp_gt_i32_e64 s0, s7, v178
	s_wait_alu 0xf1ff
	s_delay_alu instid0(VALU_DEP_1) | instskip(SKIP_2) | instid1(VALU_DEP_1)
	v_cndmask_b32_e64 v47, 0, v47, s0
	v_cmp_gt_i32_e64 s0, s7, v177
	s_wait_alu 0xf1ff
	v_cndmask_b32_e64 v48, 0, v48, s0
	;; [unrolled: 7-line block ×4, first 2 shown]
.LBB357_81:                             ;   in Loop: Header=BB357_38 Depth=1
	s_or_b32 exec_lo, exec_lo, s28
	global_load_b64 v[41:42], v[12:13], off offset:5376
	s_wait_loadcnt 0x0
	v_and_b32_e32 v29, 0xff, v41
	s_delay_alu instid0(VALU_DEP_1) | instskip(NEXT) | instid1(VALU_DEP_1)
	v_cvt_f32_fp8_e32 v29, v29
	v_mul_f32_e32 v29, s23, v29
	s_delay_alu instid0(VALU_DEP_1) | instskip(SKIP_2) | instid1(VALU_DEP_3)
	v_bfe_u32 v33, v29, 16, 1
	v_or_b32_e32 v43, 0x400000, v29
	v_cmp_u_f32_e64 s0, v29, v29
	v_add3_u32 v33, v33, v29, 0x7fff
	s_wait_alu 0xf1ff
	s_delay_alu instid0(VALU_DEP_1) | instskip(NEXT) | instid1(VALU_DEP_1)
	v_cndmask_b32_e64 v29, v33, v43, s0
	v_lshrrev_b32_e32 v56, 16, v29
	v_bfe_u32 v29, v41, 8, 8
	s_delay_alu instid0(VALU_DEP_1) | instskip(NEXT) | instid1(VALU_DEP_1)
	v_cvt_f32_fp8_e32 v29, v29
	v_mul_f32_e32 v29, s23, v29
	s_delay_alu instid0(VALU_DEP_1) | instskip(SKIP_2) | instid1(VALU_DEP_3)
	v_bfe_u32 v33, v29, 16, 1
	v_or_b32_e32 v43, 0x400000, v29
	v_cmp_u_f32_e64 s0, v29, v29
	v_add3_u32 v33, v33, v29, 0x7fff
	s_wait_alu 0xf1ff
	s_delay_alu instid0(VALU_DEP_1) | instskip(NEXT) | instid1(VALU_DEP_1)
	v_cndmask_b32_e64 v29, v33, v43, s0
	v_lshrrev_b32_e32 v57, 16, v29
	v_bfe_u32 v29, v41, 16, 8
	s_delay_alu instid0(VALU_DEP_1) | instskip(NEXT) | instid1(VALU_DEP_1)
	v_cvt_f32_fp8_e32 v29, v29
	v_mul_f32_e32 v29, s23, v29
	s_delay_alu instid0(VALU_DEP_1) | instskip(SKIP_2) | instid1(VALU_DEP_3)
	v_bfe_u32 v33, v29, 16, 1
	v_or_b32_e32 v43, 0x400000, v29
	v_cmp_u_f32_e64 s0, v29, v29
	v_add3_u32 v33, v33, v29, 0x7fff
	s_wait_alu 0xf1ff
	s_delay_alu instid0(VALU_DEP_1) | instskip(NEXT) | instid1(VALU_DEP_1)
	v_cndmask_b32_e64 v29, v33, v43, s0
	v_lshrrev_b32_e32 v58, 16, v29
	v_lshrrev_b32_e32 v29, 24, v41
	s_delay_alu instid0(VALU_DEP_1) | instskip(NEXT) | instid1(VALU_DEP_1)
	v_cvt_f32_fp8_e32 v29, v29
	v_mul_f32_e32 v29, s23, v29
	s_delay_alu instid0(VALU_DEP_1) | instskip(SKIP_2) | instid1(VALU_DEP_3)
	v_bfe_u32 v33, v29, 16, 1
	v_or_b32_e32 v41, 0x400000, v29
	v_cmp_u_f32_e64 s0, v29, v29
	v_add3_u32 v33, v33, v29, 0x7fff
	s_wait_alu 0xf1ff
	s_delay_alu instid0(VALU_DEP_1) | instskip(NEXT) | instid1(VALU_DEP_1)
	v_cndmask_b32_e64 v29, v33, v41, s0
	v_lshrrev_b32_e32 v59, 16, v29
	v_and_b32_e32 v29, 0xff, v42
	s_delay_alu instid0(VALU_DEP_1) | instskip(NEXT) | instid1(VALU_DEP_1)
	v_cvt_f32_fp8_e32 v29, v29
	v_mul_f32_e32 v29, s23, v29
	s_delay_alu instid0(VALU_DEP_1) | instskip(SKIP_2) | instid1(VALU_DEP_3)
	v_bfe_u32 v33, v29, 16, 1
	v_or_b32_e32 v41, 0x400000, v29
	v_cmp_u_f32_e64 s0, v29, v29
	v_add3_u32 v33, v33, v29, 0x7fff
	s_wait_alu 0xf1ff
	s_delay_alu instid0(VALU_DEP_1) | instskip(NEXT) | instid1(VALU_DEP_1)
	v_cndmask_b32_e64 v29, v33, v41, s0
	v_lshrrev_b32_e32 v60, 16, v29
	v_bfe_u32 v29, v42, 8, 8
	s_delay_alu instid0(VALU_DEP_1) | instskip(NEXT) | instid1(VALU_DEP_1)
	v_cvt_f32_fp8_e32 v29, v29
	v_mul_f32_e32 v29, s23, v29
	s_delay_alu instid0(VALU_DEP_1) | instskip(SKIP_2) | instid1(VALU_DEP_3)
	v_bfe_u32 v33, v29, 16, 1
	v_or_b32_e32 v41, 0x400000, v29
	v_cmp_u_f32_e64 s0, v29, v29
	v_add3_u32 v33, v33, v29, 0x7fff
	s_wait_alu 0xf1ff
	s_delay_alu instid0(VALU_DEP_1) | instskip(NEXT) | instid1(VALU_DEP_1)
	v_cndmask_b32_e64 v29, v33, v41, s0
	v_lshrrev_b32_e32 v61, 16, v29
	v_bfe_u32 v29, v42, 16, 8
	s_delay_alu instid0(VALU_DEP_1) | instskip(NEXT) | instid1(VALU_DEP_1)
	v_cvt_f32_fp8_e32 v29, v29
	v_mul_f32_e32 v29, s23, v29
	s_delay_alu instid0(VALU_DEP_1) | instskip(SKIP_2) | instid1(VALU_DEP_3)
	v_bfe_u32 v33, v29, 16, 1
	v_or_b32_e32 v41, 0x400000, v29
	v_cmp_u_f32_e64 s0, v29, v29
	v_add3_u32 v33, v33, v29, 0x7fff
	s_wait_alu 0xf1ff
	s_delay_alu instid0(VALU_DEP_1) | instskip(NEXT) | instid1(VALU_DEP_1)
	v_cndmask_b32_e64 v29, v33, v41, s0
	v_lshrrev_b32_e32 v62, 16, v29
	v_lshrrev_b32_e32 v29, 24, v42
	s_delay_alu instid0(VALU_DEP_1) | instskip(NEXT) | instid1(VALU_DEP_1)
	v_cvt_f32_fp8_e32 v29, v29
	v_mul_f32_e32 v29, s23, v29
	s_delay_alu instid0(VALU_DEP_1) | instskip(SKIP_2) | instid1(VALU_DEP_3)
	v_bfe_u32 v33, v29, 16, 1
	v_or_b32_e32 v41, 0x400000, v29
	v_cmp_u_f32_e64 s0, v29, v29
	v_add3_u32 v33, v33, v29, 0x7fff
	s_wait_alu 0xf1ff
	s_delay_alu instid0(VALU_DEP_1) | instskip(NEXT) | instid1(VALU_DEP_1)
	v_cndmask_b32_e64 v29, v33, v41, s0
	v_lshrrev_b32_e32 v63, 16, v29
	s_and_saveexec_b32 s28, vcc_lo
	s_cbranch_execz .LBB357_83
; %bb.82:                               ;   in Loop: Header=BB357_38 Depth=1
	v_cmp_gt_i32_e64 s0, s7, v173
	s_wait_alu 0xf1ff
	s_delay_alu instid0(VALU_DEP_1) | instskip(SKIP_2) | instid1(VALU_DEP_1)
	v_cndmask_b32_e64 v56, 0, v56, s0
	v_cmp_gt_i32_e64 s0, s7, v179
	s_wait_alu 0xf1ff
	v_cndmask_b32_e64 v57, 0, v57, s0
	v_cmp_gt_i32_e64 s0, s7, v178
	s_wait_alu 0xf1ff
	s_delay_alu instid0(VALU_DEP_1) | instskip(SKIP_2) | instid1(VALU_DEP_1)
	v_cndmask_b32_e64 v58, 0, v58, s0
	v_cmp_gt_i32_e64 s0, s7, v177
	s_wait_alu 0xf1ff
	v_cndmask_b32_e64 v59, 0, v59, s0
	;; [unrolled: 7-line block ×4, first 2 shown]
.LBB357_83:                             ;   in Loop: Header=BB357_38 Depth=1
	s_or_b32 exec_lo, exec_lo, s28
	global_load_b64 v[41:42], v[12:13], off offset:5632
	s_wait_loadcnt 0x0
	v_and_b32_e32 v29, 0xff, v41
	s_delay_alu instid0(VALU_DEP_1) | instskip(NEXT) | instid1(VALU_DEP_1)
	v_cvt_f32_fp8_e32 v29, v29
	v_mul_f32_e32 v29, s23, v29
	s_delay_alu instid0(VALU_DEP_1) | instskip(SKIP_2) | instid1(VALU_DEP_3)
	v_bfe_u32 v33, v29, 16, 1
	v_or_b32_e32 v43, 0x400000, v29
	v_cmp_u_f32_e64 s0, v29, v29
	v_add3_u32 v33, v33, v29, 0x7fff
	s_wait_alu 0xf1ff
	s_delay_alu instid0(VALU_DEP_1) | instskip(NEXT) | instid1(VALU_DEP_1)
	v_cndmask_b32_e64 v29, v33, v43, s0
	v_lshrrev_b32_e32 v64, 16, v29
	v_bfe_u32 v29, v41, 8, 8
	s_delay_alu instid0(VALU_DEP_1) | instskip(NEXT) | instid1(VALU_DEP_1)
	v_cvt_f32_fp8_e32 v29, v29
	v_mul_f32_e32 v29, s23, v29
	s_delay_alu instid0(VALU_DEP_1) | instskip(SKIP_2) | instid1(VALU_DEP_3)
	v_bfe_u32 v33, v29, 16, 1
	v_or_b32_e32 v43, 0x400000, v29
	v_cmp_u_f32_e64 s0, v29, v29
	v_add3_u32 v33, v33, v29, 0x7fff
	s_wait_alu 0xf1ff
	s_delay_alu instid0(VALU_DEP_1) | instskip(SKIP_1) | instid1(VALU_DEP_2)
	v_cndmask_b32_e64 v29, v33, v43, s0
	v_bfe_u32 v33, v41, 16, 8
	v_lshrrev_b32_e32 v29, 16, v29
	s_delay_alu instid0(VALU_DEP_2) | instskip(NEXT) | instid1(VALU_DEP_1)
	v_cvt_f32_fp8_e32 v33, v33
	v_mul_f32_e32 v33, s23, v33
	s_delay_alu instid0(VALU_DEP_1) | instskip(SKIP_2) | instid1(VALU_DEP_3)
	v_bfe_u32 v43, v33, 16, 1
	v_or_b32_e32 v44, 0x400000, v33
	v_cmp_u_f32_e64 s0, v33, v33
	v_add3_u32 v43, v43, v33, 0x7fff
	s_wait_alu 0xf1ff
	s_delay_alu instid0(VALU_DEP_1) | instskip(NEXT) | instid1(VALU_DEP_1)
	v_cndmask_b32_e64 v33, v43, v44, s0
	v_lshrrev_b32_e32 v66, 16, v33
	v_lshrrev_b32_e32 v33, 24, v41
	s_delay_alu instid0(VALU_DEP_1) | instskip(NEXT) | instid1(VALU_DEP_1)
	v_cvt_f32_fp8_e32 v33, v33
	v_mul_f32_e32 v33, s23, v33
	s_delay_alu instid0(VALU_DEP_1) | instskip(SKIP_2) | instid1(VALU_DEP_3)
	v_bfe_u32 v41, v33, 16, 1
	v_or_b32_e32 v43, 0x400000, v33
	v_cmp_u_f32_e64 s0, v33, v33
	v_add3_u32 v41, v41, v33, 0x7fff
	s_wait_alu 0xf1ff
	s_delay_alu instid0(VALU_DEP_1) | instskip(NEXT) | instid1(VALU_DEP_1)
	v_cndmask_b32_e64 v33, v41, v43, s0
	v_lshrrev_b32_e32 v67, 16, v33
	v_and_b32_e32 v33, 0xff, v42
	s_delay_alu instid0(VALU_DEP_1) | instskip(NEXT) | instid1(VALU_DEP_1)
	v_cvt_f32_fp8_e32 v33, v33
	v_mul_f32_e32 v33, s23, v33
	s_delay_alu instid0(VALU_DEP_1) | instskip(SKIP_2) | instid1(VALU_DEP_3)
	v_bfe_u32 v41, v33, 16, 1
	v_or_b32_e32 v43, 0x400000, v33
	v_cmp_u_f32_e64 s0, v33, v33
	v_add3_u32 v41, v41, v33, 0x7fff
	s_wait_alu 0xf1ff
	s_delay_alu instid0(VALU_DEP_1) | instskip(NEXT) | instid1(VALU_DEP_1)
	v_cndmask_b32_e64 v33, v41, v43, s0
	v_lshrrev_b32_e32 v68, 16, v33
	v_bfe_u32 v33, v42, 8, 8
	s_delay_alu instid0(VALU_DEP_1) | instskip(NEXT) | instid1(VALU_DEP_1)
	v_cvt_f32_fp8_e32 v33, v33
	v_mul_f32_e32 v33, s23, v33
	s_delay_alu instid0(VALU_DEP_1) | instskip(SKIP_2) | instid1(VALU_DEP_3)
	v_bfe_u32 v41, v33, 16, 1
	v_or_b32_e32 v43, 0x400000, v33
	v_cmp_u_f32_e64 s0, v33, v33
	v_add3_u32 v41, v41, v33, 0x7fff
	s_wait_alu 0xf1ff
	s_delay_alu instid0(VALU_DEP_1) | instskip(NEXT) | instid1(VALU_DEP_1)
	v_cndmask_b32_e64 v33, v41, v43, s0
	v_lshrrev_b32_e32 v69, 16, v33
	v_bfe_u32 v33, v42, 16, 8
	s_delay_alu instid0(VALU_DEP_1) | instskip(NEXT) | instid1(VALU_DEP_1)
	v_cvt_f32_fp8_e32 v33, v33
	v_mul_f32_e32 v33, s23, v33
	s_delay_alu instid0(VALU_DEP_1) | instskip(SKIP_2) | instid1(VALU_DEP_3)
	v_bfe_u32 v41, v33, 16, 1
	v_or_b32_e32 v43, 0x400000, v33
	v_cmp_u_f32_e64 s0, v33, v33
	v_add3_u32 v41, v41, v33, 0x7fff
	s_wait_alu 0xf1ff
	s_delay_alu instid0(VALU_DEP_1) | instskip(NEXT) | instid1(VALU_DEP_1)
	v_cndmask_b32_e64 v33, v41, v43, s0
	v_lshrrev_b32_e32 v70, 16, v33
	v_lshrrev_b32_e32 v33, 24, v42
	s_delay_alu instid0(VALU_DEP_1) | instskip(NEXT) | instid1(VALU_DEP_1)
	v_cvt_f32_fp8_e32 v33, v33
	v_mul_f32_e32 v33, s23, v33
	s_delay_alu instid0(VALU_DEP_1) | instskip(SKIP_2) | instid1(VALU_DEP_3)
	v_bfe_u32 v41, v33, 16, 1
	v_or_b32_e32 v42, 0x400000, v33
	v_cmp_u_f32_e64 s0, v33, v33
	v_add3_u32 v41, v41, v33, 0x7fff
	s_wait_alu 0xf1ff
	s_delay_alu instid0(VALU_DEP_1) | instskip(NEXT) | instid1(VALU_DEP_1)
	v_cndmask_b32_e64 v33, v41, v42, s0
	v_lshrrev_b32_e32 v71, 16, v33
	s_and_saveexec_b32 s28, vcc_lo
	s_cbranch_execz .LBB357_85
; %bb.84:                               ;   in Loop: Header=BB357_38 Depth=1
	v_cmp_gt_i32_e64 s0, s7, v173
	s_wait_alu 0xf1ff
	s_delay_alu instid0(VALU_DEP_1) | instskip(SKIP_2) | instid1(VALU_DEP_1)
	v_cndmask_b32_e64 v64, 0, v64, s0
	v_cmp_gt_i32_e64 s0, s7, v179
	s_wait_alu 0xf1ff
	v_cndmask_b32_e64 v29, 0, v29, s0
	v_cmp_gt_i32_e64 s0, s7, v178
	s_wait_alu 0xf1ff
	s_delay_alu instid0(VALU_DEP_1) | instskip(SKIP_2) | instid1(VALU_DEP_1)
	v_cndmask_b32_e64 v66, 0, v66, s0
	v_cmp_gt_i32_e64 s0, s7, v177
	s_wait_alu 0xf1ff
	v_cndmask_b32_e64 v67, 0, v67, s0
	;; [unrolled: 7-line block ×4, first 2 shown]
.LBB357_85:                             ;   in Loop: Header=BB357_38 Depth=1
	s_or_b32 exec_lo, exec_lo, s28
	global_load_b64 v[41:42], v[12:13], off offset:5888
	s_wait_loadcnt 0x0
	v_and_b32_e32 v33, 0xff, v41
	s_delay_alu instid0(VALU_DEP_1) | instskip(NEXT) | instid1(VALU_DEP_1)
	v_cvt_f32_fp8_e32 v33, v33
	v_mul_f32_e32 v33, s23, v33
	s_delay_alu instid0(VALU_DEP_1) | instskip(SKIP_2) | instid1(VALU_DEP_3)
	v_bfe_u32 v43, v33, 16, 1
	v_or_b32_e32 v44, 0x400000, v33
	v_cmp_u_f32_e64 s0, v33, v33
	v_add3_u32 v43, v43, v33, 0x7fff
	s_wait_alu 0xf1ff
	s_delay_alu instid0(VALU_DEP_1) | instskip(NEXT) | instid1(VALU_DEP_1)
	v_cndmask_b32_e64 v33, v43, v44, s0
	v_lshrrev_b32_e32 v72, 16, v33
	v_bfe_u32 v33, v41, 8, 8
	s_delay_alu instid0(VALU_DEP_1) | instskip(NEXT) | instid1(VALU_DEP_1)
	v_cvt_f32_fp8_e32 v33, v33
	v_mul_f32_e32 v33, s23, v33
	s_delay_alu instid0(VALU_DEP_1) | instskip(SKIP_2) | instid1(VALU_DEP_3)
	v_bfe_u32 v43, v33, 16, 1
	v_or_b32_e32 v44, 0x400000, v33
	v_cmp_u_f32_e64 s0, v33, v33
	v_add3_u32 v43, v43, v33, 0x7fff
	s_wait_alu 0xf1ff
	s_delay_alu instid0(VALU_DEP_1) | instskip(NEXT) | instid1(VALU_DEP_1)
	v_cndmask_b32_e64 v33, v43, v44, s0
	v_lshrrev_b32_e32 v73, 16, v33
	v_bfe_u32 v33, v41, 16, 8
	s_delay_alu instid0(VALU_DEP_1) | instskip(NEXT) | instid1(VALU_DEP_1)
	v_cvt_f32_fp8_e32 v33, v33
	v_mul_f32_e32 v33, s23, v33
	s_delay_alu instid0(VALU_DEP_1) | instskip(SKIP_2) | instid1(VALU_DEP_3)
	v_bfe_u32 v43, v33, 16, 1
	v_or_b32_e32 v44, 0x400000, v33
	v_cmp_u_f32_e64 s0, v33, v33
	v_add3_u32 v43, v43, v33, 0x7fff
	s_wait_alu 0xf1ff
	s_delay_alu instid0(VALU_DEP_1) | instskip(NEXT) | instid1(VALU_DEP_1)
	v_cndmask_b32_e64 v33, v43, v44, s0
	v_lshrrev_b32_e32 v74, 16, v33
	v_lshrrev_b32_e32 v33, 24, v41
	s_delay_alu instid0(VALU_DEP_1) | instskip(NEXT) | instid1(VALU_DEP_1)
	v_cvt_f32_fp8_e32 v33, v33
	v_mul_f32_e32 v33, s23, v33
	s_delay_alu instid0(VALU_DEP_1) | instskip(SKIP_2) | instid1(VALU_DEP_3)
	v_bfe_u32 v41, v33, 16, 1
	v_or_b32_e32 v43, 0x400000, v33
	v_cmp_u_f32_e64 s0, v33, v33
	v_add3_u32 v41, v41, v33, 0x7fff
	s_wait_alu 0xf1ff
	s_delay_alu instid0(VALU_DEP_1) | instskip(NEXT) | instid1(VALU_DEP_1)
	v_cndmask_b32_e64 v33, v41, v43, s0
	v_lshrrev_b32_e32 v75, 16, v33
	v_and_b32_e32 v33, 0xff, v42
	s_delay_alu instid0(VALU_DEP_1) | instskip(NEXT) | instid1(VALU_DEP_1)
	v_cvt_f32_fp8_e32 v33, v33
	v_mul_f32_e32 v33, s23, v33
	s_delay_alu instid0(VALU_DEP_1) | instskip(SKIP_2) | instid1(VALU_DEP_3)
	v_bfe_u32 v41, v33, 16, 1
	v_or_b32_e32 v43, 0x400000, v33
	v_cmp_u_f32_e64 s0, v33, v33
	v_add3_u32 v41, v41, v33, 0x7fff
	s_wait_alu 0xf1ff
	s_delay_alu instid0(VALU_DEP_1) | instskip(NEXT) | instid1(VALU_DEP_1)
	v_cndmask_b32_e64 v33, v41, v43, s0
	v_lshrrev_b32_e32 v76, 16, v33
	v_bfe_u32 v33, v42, 8, 8
	s_delay_alu instid0(VALU_DEP_1) | instskip(NEXT) | instid1(VALU_DEP_1)
	v_cvt_f32_fp8_e32 v33, v33
	v_mul_f32_e32 v33, s23, v33
	s_delay_alu instid0(VALU_DEP_1) | instskip(SKIP_2) | instid1(VALU_DEP_3)
	v_bfe_u32 v41, v33, 16, 1
	v_or_b32_e32 v43, 0x400000, v33
	v_cmp_u_f32_e64 s0, v33, v33
	v_add3_u32 v41, v41, v33, 0x7fff
	s_wait_alu 0xf1ff
	s_delay_alu instid0(VALU_DEP_1) | instskip(NEXT) | instid1(VALU_DEP_1)
	v_cndmask_b32_e64 v33, v41, v43, s0
	v_lshrrev_b32_e32 v77, 16, v33
	v_bfe_u32 v33, v42, 16, 8
	s_delay_alu instid0(VALU_DEP_1) | instskip(NEXT) | instid1(VALU_DEP_1)
	v_cvt_f32_fp8_e32 v33, v33
	v_mul_f32_e32 v33, s23, v33
	s_delay_alu instid0(VALU_DEP_1) | instskip(SKIP_2) | instid1(VALU_DEP_3)
	v_bfe_u32 v41, v33, 16, 1
	v_or_b32_e32 v43, 0x400000, v33
	v_cmp_u_f32_e64 s0, v33, v33
	v_add3_u32 v41, v41, v33, 0x7fff
	s_wait_alu 0xf1ff
	s_delay_alu instid0(VALU_DEP_1) | instskip(NEXT) | instid1(VALU_DEP_1)
	v_cndmask_b32_e64 v33, v41, v43, s0
	v_lshrrev_b32_e32 v78, 16, v33
	v_lshrrev_b32_e32 v33, 24, v42
	s_delay_alu instid0(VALU_DEP_1) | instskip(NEXT) | instid1(VALU_DEP_1)
	v_cvt_f32_fp8_e32 v33, v33
	v_mul_f32_e32 v33, s23, v33
	s_delay_alu instid0(VALU_DEP_1) | instskip(SKIP_2) | instid1(VALU_DEP_3)
	v_bfe_u32 v41, v33, 16, 1
	v_or_b32_e32 v42, 0x400000, v33
	v_cmp_u_f32_e64 s0, v33, v33
	v_add3_u32 v41, v41, v33, 0x7fff
	s_wait_alu 0xf1ff
	s_delay_alu instid0(VALU_DEP_1) | instskip(NEXT) | instid1(VALU_DEP_1)
	v_cndmask_b32_e64 v33, v41, v42, s0
	v_lshrrev_b32_e32 v79, 16, v33
	s_and_saveexec_b32 s28, vcc_lo
	s_cbranch_execz .LBB357_87
; %bb.86:                               ;   in Loop: Header=BB357_38 Depth=1
	v_cmp_gt_i32_e64 s0, s7, v173
	s_wait_alu 0xf1ff
	s_delay_alu instid0(VALU_DEP_1) | instskip(SKIP_2) | instid1(VALU_DEP_1)
	v_cndmask_b32_e64 v72, 0, v72, s0
	v_cmp_gt_i32_e64 s0, s7, v179
	s_wait_alu 0xf1ff
	v_cndmask_b32_e64 v73, 0, v73, s0
	v_cmp_gt_i32_e64 s0, s7, v178
	s_wait_alu 0xf1ff
	s_delay_alu instid0(VALU_DEP_1) | instskip(SKIP_2) | instid1(VALU_DEP_1)
	v_cndmask_b32_e64 v74, 0, v74, s0
	v_cmp_gt_i32_e64 s0, s7, v177
	s_wait_alu 0xf1ff
	v_cndmask_b32_e64 v75, 0, v75, s0
	;; [unrolled: 7-line block ×4, first 2 shown]
.LBB357_87:                             ;   in Loop: Header=BB357_38 Depth=1
	s_or_b32 exec_lo, exec_lo, s28
	global_load_b64 v[41:42], v[12:13], off offset:6144
	s_wait_loadcnt 0x0
	v_and_b32_e32 v33, 0xff, v41
	s_delay_alu instid0(VALU_DEP_1) | instskip(NEXT) | instid1(VALU_DEP_1)
	v_cvt_f32_fp8_e32 v33, v33
	v_mul_f32_e32 v33, s23, v33
	s_delay_alu instid0(VALU_DEP_1) | instskip(SKIP_2) | instid1(VALU_DEP_3)
	v_bfe_u32 v43, v33, 16, 1
	v_or_b32_e32 v44, 0x400000, v33
	v_cmp_u_f32_e64 s0, v33, v33
	v_add3_u32 v43, v43, v33, 0x7fff
	s_wait_alu 0xf1ff
	s_delay_alu instid0(VALU_DEP_1) | instskip(NEXT) | instid1(VALU_DEP_1)
	v_cndmask_b32_e64 v33, v43, v44, s0
	v_lshrrev_b32_e32 v80, 16, v33
	v_bfe_u32 v33, v41, 8, 8
	s_delay_alu instid0(VALU_DEP_1) | instskip(NEXT) | instid1(VALU_DEP_1)
	v_cvt_f32_fp8_e32 v33, v33
	v_mul_f32_e32 v33, s23, v33
	s_delay_alu instid0(VALU_DEP_1) | instskip(SKIP_2) | instid1(VALU_DEP_3)
	v_bfe_u32 v43, v33, 16, 1
	v_or_b32_e32 v44, 0x400000, v33
	v_cmp_u_f32_e64 s0, v33, v33
	v_add3_u32 v43, v43, v33, 0x7fff
	s_wait_alu 0xf1ff
	s_delay_alu instid0(VALU_DEP_1) | instskip(NEXT) | instid1(VALU_DEP_1)
	v_cndmask_b32_e64 v33, v43, v44, s0
	v_lshrrev_b32_e32 v81, 16, v33
	v_bfe_u32 v33, v41, 16, 8
	s_delay_alu instid0(VALU_DEP_1) | instskip(NEXT) | instid1(VALU_DEP_1)
	v_cvt_f32_fp8_e32 v33, v33
	v_mul_f32_e32 v33, s23, v33
	s_delay_alu instid0(VALU_DEP_1) | instskip(SKIP_2) | instid1(VALU_DEP_3)
	v_bfe_u32 v43, v33, 16, 1
	v_or_b32_e32 v44, 0x400000, v33
	v_cmp_u_f32_e64 s0, v33, v33
	v_add3_u32 v43, v43, v33, 0x7fff
	s_wait_alu 0xf1ff
	s_delay_alu instid0(VALU_DEP_1) | instskip(NEXT) | instid1(VALU_DEP_1)
	v_cndmask_b32_e64 v33, v43, v44, s0
	v_lshrrev_b32_e32 v82, 16, v33
	v_lshrrev_b32_e32 v33, 24, v41
	s_delay_alu instid0(VALU_DEP_1) | instskip(NEXT) | instid1(VALU_DEP_1)
	v_cvt_f32_fp8_e32 v33, v33
	v_mul_f32_e32 v33, s23, v33
	s_delay_alu instid0(VALU_DEP_1) | instskip(SKIP_2) | instid1(VALU_DEP_3)
	v_bfe_u32 v41, v33, 16, 1
	v_or_b32_e32 v43, 0x400000, v33
	v_cmp_u_f32_e64 s0, v33, v33
	v_add3_u32 v41, v41, v33, 0x7fff
	s_wait_alu 0xf1ff
	s_delay_alu instid0(VALU_DEP_1) | instskip(NEXT) | instid1(VALU_DEP_1)
	v_cndmask_b32_e64 v33, v41, v43, s0
	v_lshrrev_b32_e32 v83, 16, v33
	v_and_b32_e32 v33, 0xff, v42
	s_delay_alu instid0(VALU_DEP_1) | instskip(NEXT) | instid1(VALU_DEP_1)
	v_cvt_f32_fp8_e32 v33, v33
	v_mul_f32_e32 v33, s23, v33
	s_delay_alu instid0(VALU_DEP_1) | instskip(SKIP_2) | instid1(VALU_DEP_3)
	v_bfe_u32 v41, v33, 16, 1
	v_or_b32_e32 v43, 0x400000, v33
	v_cmp_u_f32_e64 s0, v33, v33
	v_add3_u32 v41, v41, v33, 0x7fff
	s_wait_alu 0xf1ff
	s_delay_alu instid0(VALU_DEP_1) | instskip(NEXT) | instid1(VALU_DEP_1)
	v_cndmask_b32_e64 v33, v41, v43, s0
	v_lshrrev_b32_e32 v84, 16, v33
	v_bfe_u32 v33, v42, 8, 8
	s_delay_alu instid0(VALU_DEP_1) | instskip(NEXT) | instid1(VALU_DEP_1)
	v_cvt_f32_fp8_e32 v33, v33
	v_mul_f32_e32 v33, s23, v33
	s_delay_alu instid0(VALU_DEP_1) | instskip(SKIP_2) | instid1(VALU_DEP_3)
	v_bfe_u32 v41, v33, 16, 1
	v_or_b32_e32 v43, 0x400000, v33
	v_cmp_u_f32_e64 s0, v33, v33
	v_add3_u32 v41, v41, v33, 0x7fff
	s_wait_alu 0xf1ff
	s_delay_alu instid0(VALU_DEP_1) | instskip(NEXT) | instid1(VALU_DEP_1)
	v_cndmask_b32_e64 v33, v41, v43, s0
	v_lshrrev_b32_e32 v85, 16, v33
	v_bfe_u32 v33, v42, 16, 8
	s_delay_alu instid0(VALU_DEP_1) | instskip(NEXT) | instid1(VALU_DEP_1)
	v_cvt_f32_fp8_e32 v33, v33
	v_mul_f32_e32 v33, s23, v33
	s_delay_alu instid0(VALU_DEP_1) | instskip(SKIP_2) | instid1(VALU_DEP_3)
	v_bfe_u32 v41, v33, 16, 1
	v_or_b32_e32 v43, 0x400000, v33
	v_cmp_u_f32_e64 s0, v33, v33
	v_add3_u32 v41, v41, v33, 0x7fff
	s_wait_alu 0xf1ff
	s_delay_alu instid0(VALU_DEP_1) | instskip(NEXT) | instid1(VALU_DEP_1)
	v_cndmask_b32_e64 v33, v41, v43, s0
	v_lshrrev_b32_e32 v86, 16, v33
	v_lshrrev_b32_e32 v33, 24, v42
	s_delay_alu instid0(VALU_DEP_1) | instskip(NEXT) | instid1(VALU_DEP_1)
	v_cvt_f32_fp8_e32 v33, v33
	v_mul_f32_e32 v33, s23, v33
	s_delay_alu instid0(VALU_DEP_1) | instskip(SKIP_2) | instid1(VALU_DEP_3)
	v_bfe_u32 v41, v33, 16, 1
	v_or_b32_e32 v42, 0x400000, v33
	v_cmp_u_f32_e64 s0, v33, v33
	v_add3_u32 v41, v41, v33, 0x7fff
	s_wait_alu 0xf1ff
	s_delay_alu instid0(VALU_DEP_1) | instskip(NEXT) | instid1(VALU_DEP_1)
	v_cndmask_b32_e64 v33, v41, v42, s0
	v_lshrrev_b32_e32 v87, 16, v33
	s_and_saveexec_b32 s28, vcc_lo
	s_cbranch_execz .LBB357_89
; %bb.88:                               ;   in Loop: Header=BB357_38 Depth=1
	v_cmp_gt_i32_e64 s0, s7, v173
	s_wait_alu 0xf1ff
	s_delay_alu instid0(VALU_DEP_1) | instskip(SKIP_2) | instid1(VALU_DEP_1)
	v_cndmask_b32_e64 v80, 0, v80, s0
	v_cmp_gt_i32_e64 s0, s7, v179
	s_wait_alu 0xf1ff
	v_cndmask_b32_e64 v81, 0, v81, s0
	v_cmp_gt_i32_e64 s0, s7, v178
	s_wait_alu 0xf1ff
	s_delay_alu instid0(VALU_DEP_1) | instskip(SKIP_2) | instid1(VALU_DEP_1)
	v_cndmask_b32_e64 v82, 0, v82, s0
	v_cmp_gt_i32_e64 s0, s7, v177
	s_wait_alu 0xf1ff
	v_cndmask_b32_e64 v83, 0, v83, s0
	;; [unrolled: 7-line block ×4, first 2 shown]
.LBB357_89:                             ;   in Loop: Header=BB357_38 Depth=1
	s_or_b32 exec_lo, exec_lo, s28
	global_load_b64 v[41:42], v[12:13], off offset:6400
	s_wait_loadcnt 0x0
	v_and_b32_e32 v33, 0xff, v41
	s_delay_alu instid0(VALU_DEP_1) | instskip(NEXT) | instid1(VALU_DEP_1)
	v_cvt_f32_fp8_e32 v33, v33
	v_mul_f32_e32 v33, s23, v33
	s_delay_alu instid0(VALU_DEP_1) | instskip(SKIP_2) | instid1(VALU_DEP_3)
	v_bfe_u32 v43, v33, 16, 1
	v_or_b32_e32 v44, 0x400000, v33
	v_cmp_u_f32_e64 s0, v33, v33
	v_add3_u32 v43, v43, v33, 0x7fff
	s_wait_alu 0xf1ff
	s_delay_alu instid0(VALU_DEP_1) | instskip(NEXT) | instid1(VALU_DEP_1)
	v_cndmask_b32_e64 v33, v43, v44, s0
	v_lshrrev_b32_e32 v88, 16, v33
	v_bfe_u32 v33, v41, 8, 8
	s_delay_alu instid0(VALU_DEP_1) | instskip(NEXT) | instid1(VALU_DEP_1)
	v_cvt_f32_fp8_e32 v33, v33
	v_mul_f32_e32 v33, s23, v33
	s_delay_alu instid0(VALU_DEP_1) | instskip(SKIP_2) | instid1(VALU_DEP_3)
	v_bfe_u32 v43, v33, 16, 1
	v_or_b32_e32 v44, 0x400000, v33
	v_cmp_u_f32_e64 s0, v33, v33
	v_add3_u32 v43, v43, v33, 0x7fff
	s_wait_alu 0xf1ff
	s_delay_alu instid0(VALU_DEP_1) | instskip(NEXT) | instid1(VALU_DEP_1)
	v_cndmask_b32_e64 v33, v43, v44, s0
	v_lshrrev_b32_e32 v89, 16, v33
	v_bfe_u32 v33, v41, 16, 8
	s_delay_alu instid0(VALU_DEP_1) | instskip(NEXT) | instid1(VALU_DEP_1)
	v_cvt_f32_fp8_e32 v33, v33
	v_mul_f32_e32 v33, s23, v33
	s_delay_alu instid0(VALU_DEP_1) | instskip(SKIP_2) | instid1(VALU_DEP_3)
	v_bfe_u32 v43, v33, 16, 1
	v_or_b32_e32 v44, 0x400000, v33
	v_cmp_u_f32_e64 s0, v33, v33
	v_add3_u32 v43, v43, v33, 0x7fff
	s_wait_alu 0xf1ff
	s_delay_alu instid0(VALU_DEP_1) | instskip(NEXT) | instid1(VALU_DEP_1)
	v_cndmask_b32_e64 v33, v43, v44, s0
	v_lshrrev_b32_e32 v90, 16, v33
	v_lshrrev_b32_e32 v33, 24, v41
	s_delay_alu instid0(VALU_DEP_1) | instskip(NEXT) | instid1(VALU_DEP_1)
	v_cvt_f32_fp8_e32 v33, v33
	v_mul_f32_e32 v33, s23, v33
	s_delay_alu instid0(VALU_DEP_1) | instskip(SKIP_2) | instid1(VALU_DEP_3)
	v_bfe_u32 v41, v33, 16, 1
	v_or_b32_e32 v43, 0x400000, v33
	v_cmp_u_f32_e64 s0, v33, v33
	v_add3_u32 v41, v41, v33, 0x7fff
	s_wait_alu 0xf1ff
	s_delay_alu instid0(VALU_DEP_1) | instskip(NEXT) | instid1(VALU_DEP_1)
	v_cndmask_b32_e64 v33, v41, v43, s0
	v_lshrrev_b32_e32 v91, 16, v33
	v_and_b32_e32 v33, 0xff, v42
	s_delay_alu instid0(VALU_DEP_1) | instskip(NEXT) | instid1(VALU_DEP_1)
	v_cvt_f32_fp8_e32 v33, v33
	v_mul_f32_e32 v33, s23, v33
	s_delay_alu instid0(VALU_DEP_1) | instskip(SKIP_2) | instid1(VALU_DEP_3)
	v_bfe_u32 v41, v33, 16, 1
	v_or_b32_e32 v43, 0x400000, v33
	v_cmp_u_f32_e64 s0, v33, v33
	v_add3_u32 v41, v41, v33, 0x7fff
	s_wait_alu 0xf1ff
	s_delay_alu instid0(VALU_DEP_1) | instskip(NEXT) | instid1(VALU_DEP_1)
	v_cndmask_b32_e64 v33, v41, v43, s0
	v_lshrrev_b32_e32 v92, 16, v33
	v_bfe_u32 v33, v42, 8, 8
	s_delay_alu instid0(VALU_DEP_1) | instskip(NEXT) | instid1(VALU_DEP_1)
	v_cvt_f32_fp8_e32 v33, v33
	v_mul_f32_e32 v33, s23, v33
	s_delay_alu instid0(VALU_DEP_1) | instskip(SKIP_2) | instid1(VALU_DEP_3)
	v_bfe_u32 v41, v33, 16, 1
	v_or_b32_e32 v43, 0x400000, v33
	v_cmp_u_f32_e64 s0, v33, v33
	v_add3_u32 v41, v41, v33, 0x7fff
	s_wait_alu 0xf1ff
	s_delay_alu instid0(VALU_DEP_1) | instskip(NEXT) | instid1(VALU_DEP_1)
	v_cndmask_b32_e64 v33, v41, v43, s0
	v_lshrrev_b32_e32 v93, 16, v33
	v_bfe_u32 v33, v42, 16, 8
	s_delay_alu instid0(VALU_DEP_1) | instskip(NEXT) | instid1(VALU_DEP_1)
	v_cvt_f32_fp8_e32 v33, v33
	v_mul_f32_e32 v33, s23, v33
	s_delay_alu instid0(VALU_DEP_1) | instskip(SKIP_2) | instid1(VALU_DEP_3)
	v_bfe_u32 v41, v33, 16, 1
	v_or_b32_e32 v43, 0x400000, v33
	v_cmp_u_f32_e64 s0, v33, v33
	v_add3_u32 v41, v41, v33, 0x7fff
	s_wait_alu 0xf1ff
	s_delay_alu instid0(VALU_DEP_1) | instskip(NEXT) | instid1(VALU_DEP_1)
	v_cndmask_b32_e64 v33, v41, v43, s0
	v_lshrrev_b32_e32 v94, 16, v33
	v_lshrrev_b32_e32 v33, 24, v42
	s_delay_alu instid0(VALU_DEP_1) | instskip(NEXT) | instid1(VALU_DEP_1)
	v_cvt_f32_fp8_e32 v33, v33
	v_mul_f32_e32 v33, s23, v33
	s_delay_alu instid0(VALU_DEP_1) | instskip(SKIP_2) | instid1(VALU_DEP_3)
	v_bfe_u32 v41, v33, 16, 1
	v_or_b32_e32 v42, 0x400000, v33
	v_cmp_u_f32_e64 s0, v33, v33
	v_add3_u32 v41, v41, v33, 0x7fff
	s_wait_alu 0xf1ff
	s_delay_alu instid0(VALU_DEP_1) | instskip(NEXT) | instid1(VALU_DEP_1)
	v_cndmask_b32_e64 v33, v41, v42, s0
	v_lshrrev_b32_e32 v95, 16, v33
	s_and_saveexec_b32 s28, vcc_lo
	s_cbranch_execz .LBB357_91
; %bb.90:                               ;   in Loop: Header=BB357_38 Depth=1
	v_cmp_gt_i32_e64 s0, s7, v173
	s_wait_alu 0xf1ff
	s_delay_alu instid0(VALU_DEP_1) | instskip(SKIP_2) | instid1(VALU_DEP_1)
	v_cndmask_b32_e64 v88, 0, v88, s0
	v_cmp_gt_i32_e64 s0, s7, v179
	s_wait_alu 0xf1ff
	v_cndmask_b32_e64 v89, 0, v89, s0
	v_cmp_gt_i32_e64 s0, s7, v178
	s_wait_alu 0xf1ff
	s_delay_alu instid0(VALU_DEP_1) | instskip(SKIP_2) | instid1(VALU_DEP_1)
	v_cndmask_b32_e64 v90, 0, v90, s0
	v_cmp_gt_i32_e64 s0, s7, v177
	s_wait_alu 0xf1ff
	v_cndmask_b32_e64 v91, 0, v91, s0
	;; [unrolled: 7-line block ×4, first 2 shown]
.LBB357_91:                             ;   in Loop: Header=BB357_38 Depth=1
	s_or_b32 exec_lo, exec_lo, s28
	global_load_b64 v[41:42], v[12:13], off offset:6656
	s_wait_loadcnt 0x0
	v_and_b32_e32 v33, 0xff, v41
	s_delay_alu instid0(VALU_DEP_1) | instskip(NEXT) | instid1(VALU_DEP_1)
	v_cvt_f32_fp8_e32 v33, v33
	v_mul_f32_e32 v33, s23, v33
	s_delay_alu instid0(VALU_DEP_1) | instskip(SKIP_2) | instid1(VALU_DEP_3)
	v_bfe_u32 v43, v33, 16, 1
	v_or_b32_e32 v44, 0x400000, v33
	v_cmp_u_f32_e64 s0, v33, v33
	v_add3_u32 v43, v43, v33, 0x7fff
	s_wait_alu 0xf1ff
	s_delay_alu instid0(VALU_DEP_1) | instskip(NEXT) | instid1(VALU_DEP_1)
	v_cndmask_b32_e64 v33, v43, v44, s0
	v_lshrrev_b32_e32 v96, 16, v33
	v_bfe_u32 v33, v41, 8, 8
	s_delay_alu instid0(VALU_DEP_1) | instskip(NEXT) | instid1(VALU_DEP_1)
	v_cvt_f32_fp8_e32 v33, v33
	v_mul_f32_e32 v33, s23, v33
	s_delay_alu instid0(VALU_DEP_1) | instskip(SKIP_2) | instid1(VALU_DEP_3)
	v_bfe_u32 v43, v33, 16, 1
	v_or_b32_e32 v44, 0x400000, v33
	v_cmp_u_f32_e64 s0, v33, v33
	v_add3_u32 v43, v43, v33, 0x7fff
	s_wait_alu 0xf1ff
	s_delay_alu instid0(VALU_DEP_1) | instskip(NEXT) | instid1(VALU_DEP_1)
	v_cndmask_b32_e64 v33, v43, v44, s0
	v_lshrrev_b32_e32 v97, 16, v33
	v_bfe_u32 v33, v41, 16, 8
	s_delay_alu instid0(VALU_DEP_1) | instskip(NEXT) | instid1(VALU_DEP_1)
	v_cvt_f32_fp8_e32 v33, v33
	v_mul_f32_e32 v33, s23, v33
	s_delay_alu instid0(VALU_DEP_1) | instskip(SKIP_2) | instid1(VALU_DEP_3)
	v_bfe_u32 v43, v33, 16, 1
	v_or_b32_e32 v44, 0x400000, v33
	v_cmp_u_f32_e64 s0, v33, v33
	v_add3_u32 v43, v43, v33, 0x7fff
	s_wait_alu 0xf1ff
	s_delay_alu instid0(VALU_DEP_1) | instskip(NEXT) | instid1(VALU_DEP_1)
	v_cndmask_b32_e64 v33, v43, v44, s0
	v_lshrrev_b32_e32 v98, 16, v33
	v_lshrrev_b32_e32 v33, 24, v41
	s_delay_alu instid0(VALU_DEP_1) | instskip(NEXT) | instid1(VALU_DEP_1)
	v_cvt_f32_fp8_e32 v33, v33
	v_mul_f32_e32 v33, s23, v33
	s_delay_alu instid0(VALU_DEP_1) | instskip(SKIP_2) | instid1(VALU_DEP_3)
	v_bfe_u32 v41, v33, 16, 1
	v_or_b32_e32 v43, 0x400000, v33
	v_cmp_u_f32_e64 s0, v33, v33
	v_add3_u32 v41, v41, v33, 0x7fff
	s_wait_alu 0xf1ff
	s_delay_alu instid0(VALU_DEP_1) | instskip(NEXT) | instid1(VALU_DEP_1)
	v_cndmask_b32_e64 v33, v41, v43, s0
	v_lshrrev_b32_e32 v99, 16, v33
	v_and_b32_e32 v33, 0xff, v42
	s_delay_alu instid0(VALU_DEP_1) | instskip(NEXT) | instid1(VALU_DEP_1)
	v_cvt_f32_fp8_e32 v33, v33
	v_mul_f32_e32 v33, s23, v33
	s_delay_alu instid0(VALU_DEP_1) | instskip(SKIP_2) | instid1(VALU_DEP_3)
	v_bfe_u32 v41, v33, 16, 1
	v_or_b32_e32 v43, 0x400000, v33
	v_cmp_u_f32_e64 s0, v33, v33
	v_add3_u32 v41, v41, v33, 0x7fff
	s_wait_alu 0xf1ff
	s_delay_alu instid0(VALU_DEP_1) | instskip(NEXT) | instid1(VALU_DEP_1)
	v_cndmask_b32_e64 v33, v41, v43, s0
	v_lshrrev_b32_e32 v100, 16, v33
	v_bfe_u32 v33, v42, 8, 8
	s_delay_alu instid0(VALU_DEP_1) | instskip(NEXT) | instid1(VALU_DEP_1)
	v_cvt_f32_fp8_e32 v33, v33
	v_mul_f32_e32 v33, s23, v33
	s_delay_alu instid0(VALU_DEP_1) | instskip(SKIP_2) | instid1(VALU_DEP_3)
	v_bfe_u32 v41, v33, 16, 1
	v_or_b32_e32 v43, 0x400000, v33
	v_cmp_u_f32_e64 s0, v33, v33
	v_add3_u32 v41, v41, v33, 0x7fff
	s_wait_alu 0xf1ff
	s_delay_alu instid0(VALU_DEP_1) | instskip(NEXT) | instid1(VALU_DEP_1)
	v_cndmask_b32_e64 v33, v41, v43, s0
	v_lshrrev_b32_e32 v101, 16, v33
	v_bfe_u32 v33, v42, 16, 8
	s_delay_alu instid0(VALU_DEP_1) | instskip(NEXT) | instid1(VALU_DEP_1)
	v_cvt_f32_fp8_e32 v33, v33
	v_mul_f32_e32 v33, s23, v33
	s_delay_alu instid0(VALU_DEP_1) | instskip(SKIP_2) | instid1(VALU_DEP_3)
	v_bfe_u32 v41, v33, 16, 1
	v_or_b32_e32 v43, 0x400000, v33
	v_cmp_u_f32_e64 s0, v33, v33
	v_add3_u32 v41, v41, v33, 0x7fff
	s_wait_alu 0xf1ff
	s_delay_alu instid0(VALU_DEP_1) | instskip(NEXT) | instid1(VALU_DEP_1)
	v_cndmask_b32_e64 v33, v41, v43, s0
	v_lshrrev_b32_e32 v102, 16, v33
	v_lshrrev_b32_e32 v33, 24, v42
	s_delay_alu instid0(VALU_DEP_1) | instskip(NEXT) | instid1(VALU_DEP_1)
	v_cvt_f32_fp8_e32 v33, v33
	v_mul_f32_e32 v33, s23, v33
	s_delay_alu instid0(VALU_DEP_1) | instskip(SKIP_2) | instid1(VALU_DEP_3)
	v_bfe_u32 v41, v33, 16, 1
	v_or_b32_e32 v42, 0x400000, v33
	v_cmp_u_f32_e64 s0, v33, v33
	v_add3_u32 v41, v41, v33, 0x7fff
	s_wait_alu 0xf1ff
	s_delay_alu instid0(VALU_DEP_1) | instskip(NEXT) | instid1(VALU_DEP_1)
	v_cndmask_b32_e64 v33, v41, v42, s0
	v_lshrrev_b32_e32 v103, 16, v33
	s_and_saveexec_b32 s28, vcc_lo
	s_cbranch_execz .LBB357_93
; %bb.92:                               ;   in Loop: Header=BB357_38 Depth=1
	v_cmp_gt_i32_e64 s0, s7, v173
	s_wait_alu 0xf1ff
	s_delay_alu instid0(VALU_DEP_1) | instskip(SKIP_2) | instid1(VALU_DEP_1)
	v_cndmask_b32_e64 v96, 0, v96, s0
	v_cmp_gt_i32_e64 s0, s7, v179
	s_wait_alu 0xf1ff
	v_cndmask_b32_e64 v97, 0, v97, s0
	v_cmp_gt_i32_e64 s0, s7, v178
	s_wait_alu 0xf1ff
	s_delay_alu instid0(VALU_DEP_1) | instskip(SKIP_2) | instid1(VALU_DEP_1)
	v_cndmask_b32_e64 v98, 0, v98, s0
	v_cmp_gt_i32_e64 s0, s7, v177
	s_wait_alu 0xf1ff
	v_cndmask_b32_e64 v99, 0, v99, s0
	;; [unrolled: 7-line block ×4, first 2 shown]
.LBB357_93:                             ;   in Loop: Header=BB357_38 Depth=1
	s_or_b32 exec_lo, exec_lo, s28
	global_load_b64 v[41:42], v[12:13], off offset:6912
	s_wait_loadcnt 0x0
	v_and_b32_e32 v33, 0xff, v41
	s_delay_alu instid0(VALU_DEP_1) | instskip(NEXT) | instid1(VALU_DEP_1)
	v_cvt_f32_fp8_e32 v33, v33
	v_mul_f32_e32 v33, s23, v33
	s_delay_alu instid0(VALU_DEP_1) | instskip(SKIP_2) | instid1(VALU_DEP_3)
	v_bfe_u32 v43, v33, 16, 1
	v_or_b32_e32 v44, 0x400000, v33
	v_cmp_u_f32_e64 s0, v33, v33
	v_add3_u32 v43, v43, v33, 0x7fff
	s_wait_alu 0xf1ff
	s_delay_alu instid0(VALU_DEP_1) | instskip(NEXT) | instid1(VALU_DEP_1)
	v_cndmask_b32_e64 v33, v43, v44, s0
	v_lshrrev_b32_e32 v104, 16, v33
	v_bfe_u32 v33, v41, 8, 8
	s_delay_alu instid0(VALU_DEP_1) | instskip(NEXT) | instid1(VALU_DEP_1)
	v_cvt_f32_fp8_e32 v33, v33
	v_mul_f32_e32 v33, s23, v33
	s_delay_alu instid0(VALU_DEP_1) | instskip(SKIP_2) | instid1(VALU_DEP_3)
	v_bfe_u32 v43, v33, 16, 1
	v_or_b32_e32 v44, 0x400000, v33
	v_cmp_u_f32_e64 s0, v33, v33
	v_add3_u32 v43, v43, v33, 0x7fff
	s_wait_alu 0xf1ff
	s_delay_alu instid0(VALU_DEP_1) | instskip(NEXT) | instid1(VALU_DEP_1)
	v_cndmask_b32_e64 v33, v43, v44, s0
	v_lshrrev_b32_e32 v105, 16, v33
	v_bfe_u32 v33, v41, 16, 8
	s_delay_alu instid0(VALU_DEP_1) | instskip(NEXT) | instid1(VALU_DEP_1)
	v_cvt_f32_fp8_e32 v33, v33
	v_mul_f32_e32 v33, s23, v33
	s_delay_alu instid0(VALU_DEP_1) | instskip(SKIP_2) | instid1(VALU_DEP_3)
	v_bfe_u32 v43, v33, 16, 1
	v_or_b32_e32 v44, 0x400000, v33
	v_cmp_u_f32_e64 s0, v33, v33
	v_add3_u32 v43, v43, v33, 0x7fff
	s_wait_alu 0xf1ff
	s_delay_alu instid0(VALU_DEP_1) | instskip(NEXT) | instid1(VALU_DEP_1)
	v_cndmask_b32_e64 v33, v43, v44, s0
	v_lshrrev_b32_e32 v106, 16, v33
	v_lshrrev_b32_e32 v33, 24, v41
	s_delay_alu instid0(VALU_DEP_1) | instskip(NEXT) | instid1(VALU_DEP_1)
	v_cvt_f32_fp8_e32 v33, v33
	v_mul_f32_e32 v33, s23, v33
	s_delay_alu instid0(VALU_DEP_1) | instskip(SKIP_2) | instid1(VALU_DEP_3)
	v_bfe_u32 v41, v33, 16, 1
	v_or_b32_e32 v43, 0x400000, v33
	v_cmp_u_f32_e64 s0, v33, v33
	v_add3_u32 v41, v41, v33, 0x7fff
	s_wait_alu 0xf1ff
	s_delay_alu instid0(VALU_DEP_1) | instskip(NEXT) | instid1(VALU_DEP_1)
	v_cndmask_b32_e64 v33, v41, v43, s0
	v_lshrrev_b32_e32 v107, 16, v33
	v_and_b32_e32 v33, 0xff, v42
	s_delay_alu instid0(VALU_DEP_1) | instskip(NEXT) | instid1(VALU_DEP_1)
	v_cvt_f32_fp8_e32 v33, v33
	v_mul_f32_e32 v33, s23, v33
	s_delay_alu instid0(VALU_DEP_1) | instskip(SKIP_2) | instid1(VALU_DEP_3)
	v_bfe_u32 v41, v33, 16, 1
	v_or_b32_e32 v43, 0x400000, v33
	v_cmp_u_f32_e64 s0, v33, v33
	v_add3_u32 v41, v41, v33, 0x7fff
	s_wait_alu 0xf1ff
	s_delay_alu instid0(VALU_DEP_1) | instskip(NEXT) | instid1(VALU_DEP_1)
	v_cndmask_b32_e64 v33, v41, v43, s0
	v_lshrrev_b32_e32 v108, 16, v33
	v_bfe_u32 v33, v42, 8, 8
	s_delay_alu instid0(VALU_DEP_1) | instskip(NEXT) | instid1(VALU_DEP_1)
	v_cvt_f32_fp8_e32 v33, v33
	v_mul_f32_e32 v33, s23, v33
	s_delay_alu instid0(VALU_DEP_1) | instskip(SKIP_2) | instid1(VALU_DEP_3)
	v_bfe_u32 v41, v33, 16, 1
	v_or_b32_e32 v43, 0x400000, v33
	v_cmp_u_f32_e64 s0, v33, v33
	v_add3_u32 v41, v41, v33, 0x7fff
	s_wait_alu 0xf1ff
	s_delay_alu instid0(VALU_DEP_1) | instskip(NEXT) | instid1(VALU_DEP_1)
	v_cndmask_b32_e64 v33, v41, v43, s0
	v_lshrrev_b32_e32 v109, 16, v33
	v_bfe_u32 v33, v42, 16, 8
	s_delay_alu instid0(VALU_DEP_1) | instskip(NEXT) | instid1(VALU_DEP_1)
	v_cvt_f32_fp8_e32 v33, v33
	v_mul_f32_e32 v33, s23, v33
	s_delay_alu instid0(VALU_DEP_1) | instskip(SKIP_2) | instid1(VALU_DEP_3)
	v_bfe_u32 v41, v33, 16, 1
	v_or_b32_e32 v43, 0x400000, v33
	v_cmp_u_f32_e64 s0, v33, v33
	v_add3_u32 v41, v41, v33, 0x7fff
	s_wait_alu 0xf1ff
	s_delay_alu instid0(VALU_DEP_1) | instskip(NEXT) | instid1(VALU_DEP_1)
	v_cndmask_b32_e64 v33, v41, v43, s0
	v_lshrrev_b32_e32 v110, 16, v33
	v_lshrrev_b32_e32 v33, 24, v42
	s_delay_alu instid0(VALU_DEP_1) | instskip(NEXT) | instid1(VALU_DEP_1)
	v_cvt_f32_fp8_e32 v33, v33
	v_mul_f32_e32 v33, s23, v33
	s_delay_alu instid0(VALU_DEP_1) | instskip(SKIP_2) | instid1(VALU_DEP_3)
	v_bfe_u32 v41, v33, 16, 1
	v_or_b32_e32 v42, 0x400000, v33
	v_cmp_u_f32_e64 s0, v33, v33
	v_add3_u32 v41, v41, v33, 0x7fff
	s_wait_alu 0xf1ff
	s_delay_alu instid0(VALU_DEP_1) | instskip(NEXT) | instid1(VALU_DEP_1)
	v_cndmask_b32_e64 v33, v41, v42, s0
	v_lshrrev_b32_e32 v111, 16, v33
	s_and_saveexec_b32 s28, vcc_lo
	s_cbranch_execz .LBB357_95
; %bb.94:                               ;   in Loop: Header=BB357_38 Depth=1
	v_cmp_gt_i32_e64 s0, s7, v173
	s_wait_alu 0xf1ff
	s_delay_alu instid0(VALU_DEP_1) | instskip(SKIP_2) | instid1(VALU_DEP_1)
	v_cndmask_b32_e64 v104, 0, v104, s0
	v_cmp_gt_i32_e64 s0, s7, v179
	s_wait_alu 0xf1ff
	v_cndmask_b32_e64 v105, 0, v105, s0
	v_cmp_gt_i32_e64 s0, s7, v178
	s_wait_alu 0xf1ff
	s_delay_alu instid0(VALU_DEP_1) | instskip(SKIP_2) | instid1(VALU_DEP_1)
	v_cndmask_b32_e64 v106, 0, v106, s0
	v_cmp_gt_i32_e64 s0, s7, v177
	s_wait_alu 0xf1ff
	v_cndmask_b32_e64 v107, 0, v107, s0
	;; [unrolled: 7-line block ×4, first 2 shown]
.LBB357_95:                             ;   in Loop: Header=BB357_38 Depth=1
	s_or_b32 exec_lo, exec_lo, s28
	global_load_b64 v[41:42], v[12:13], off offset:7168
	s_wait_loadcnt 0x0
	v_and_b32_e32 v33, 0xff, v41
	s_delay_alu instid0(VALU_DEP_1) | instskip(NEXT) | instid1(VALU_DEP_1)
	v_cvt_f32_fp8_e32 v33, v33
	v_mul_f32_e32 v33, s23, v33
	s_delay_alu instid0(VALU_DEP_1) | instskip(SKIP_2) | instid1(VALU_DEP_3)
	v_bfe_u32 v43, v33, 16, 1
	v_or_b32_e32 v44, 0x400000, v33
	v_cmp_u_f32_e64 s0, v33, v33
	v_add3_u32 v43, v43, v33, 0x7fff
	s_wait_alu 0xf1ff
	s_delay_alu instid0(VALU_DEP_1) | instskip(NEXT) | instid1(VALU_DEP_1)
	v_cndmask_b32_e64 v33, v43, v44, s0
	v_lshrrev_b32_e32 v112, 16, v33
	v_bfe_u32 v33, v41, 8, 8
	s_delay_alu instid0(VALU_DEP_1) | instskip(NEXT) | instid1(VALU_DEP_1)
	v_cvt_f32_fp8_e32 v33, v33
	v_mul_f32_e32 v33, s23, v33
	s_delay_alu instid0(VALU_DEP_1) | instskip(SKIP_2) | instid1(VALU_DEP_3)
	v_bfe_u32 v43, v33, 16, 1
	v_or_b32_e32 v44, 0x400000, v33
	v_cmp_u_f32_e64 s0, v33, v33
	v_add3_u32 v43, v43, v33, 0x7fff
	s_wait_alu 0xf1ff
	s_delay_alu instid0(VALU_DEP_1) | instskip(NEXT) | instid1(VALU_DEP_1)
	v_cndmask_b32_e64 v33, v43, v44, s0
	v_lshrrev_b32_e32 v113, 16, v33
	v_bfe_u32 v33, v41, 16, 8
	s_delay_alu instid0(VALU_DEP_1) | instskip(NEXT) | instid1(VALU_DEP_1)
	v_cvt_f32_fp8_e32 v33, v33
	v_mul_f32_e32 v33, s23, v33
	s_delay_alu instid0(VALU_DEP_1) | instskip(SKIP_2) | instid1(VALU_DEP_3)
	v_bfe_u32 v43, v33, 16, 1
	v_or_b32_e32 v44, 0x400000, v33
	v_cmp_u_f32_e64 s0, v33, v33
	v_add3_u32 v43, v43, v33, 0x7fff
	s_wait_alu 0xf1ff
	s_delay_alu instid0(VALU_DEP_1) | instskip(NEXT) | instid1(VALU_DEP_1)
	v_cndmask_b32_e64 v33, v43, v44, s0
	v_lshrrev_b32_e32 v114, 16, v33
	v_lshrrev_b32_e32 v33, 24, v41
	s_delay_alu instid0(VALU_DEP_1) | instskip(NEXT) | instid1(VALU_DEP_1)
	v_cvt_f32_fp8_e32 v33, v33
	v_mul_f32_e32 v33, s23, v33
	s_delay_alu instid0(VALU_DEP_1) | instskip(SKIP_2) | instid1(VALU_DEP_3)
	v_bfe_u32 v41, v33, 16, 1
	v_or_b32_e32 v43, 0x400000, v33
	v_cmp_u_f32_e64 s0, v33, v33
	v_add3_u32 v41, v41, v33, 0x7fff
	s_wait_alu 0xf1ff
	s_delay_alu instid0(VALU_DEP_1) | instskip(NEXT) | instid1(VALU_DEP_1)
	v_cndmask_b32_e64 v33, v41, v43, s0
	v_lshrrev_b32_e32 v115, 16, v33
	v_and_b32_e32 v33, 0xff, v42
	s_delay_alu instid0(VALU_DEP_1) | instskip(NEXT) | instid1(VALU_DEP_1)
	v_cvt_f32_fp8_e32 v33, v33
	v_mul_f32_e32 v33, s23, v33
	s_delay_alu instid0(VALU_DEP_1) | instskip(SKIP_2) | instid1(VALU_DEP_3)
	v_bfe_u32 v41, v33, 16, 1
	v_or_b32_e32 v43, 0x400000, v33
	v_cmp_u_f32_e64 s0, v33, v33
	v_add3_u32 v41, v41, v33, 0x7fff
	s_wait_alu 0xf1ff
	s_delay_alu instid0(VALU_DEP_1) | instskip(NEXT) | instid1(VALU_DEP_1)
	v_cndmask_b32_e64 v33, v41, v43, s0
	v_lshrrev_b32_e32 v116, 16, v33
	v_bfe_u32 v33, v42, 8, 8
	s_delay_alu instid0(VALU_DEP_1) | instskip(NEXT) | instid1(VALU_DEP_1)
	v_cvt_f32_fp8_e32 v33, v33
	v_mul_f32_e32 v33, s23, v33
	s_delay_alu instid0(VALU_DEP_1) | instskip(SKIP_2) | instid1(VALU_DEP_3)
	v_bfe_u32 v41, v33, 16, 1
	v_or_b32_e32 v43, 0x400000, v33
	v_cmp_u_f32_e64 s0, v33, v33
	v_add3_u32 v41, v41, v33, 0x7fff
	s_wait_alu 0xf1ff
	s_delay_alu instid0(VALU_DEP_1) | instskip(NEXT) | instid1(VALU_DEP_1)
	v_cndmask_b32_e64 v33, v41, v43, s0
	v_lshrrev_b32_e32 v117, 16, v33
	v_bfe_u32 v33, v42, 16, 8
	s_delay_alu instid0(VALU_DEP_1) | instskip(NEXT) | instid1(VALU_DEP_1)
	v_cvt_f32_fp8_e32 v33, v33
	v_mul_f32_e32 v33, s23, v33
	s_delay_alu instid0(VALU_DEP_1) | instskip(SKIP_2) | instid1(VALU_DEP_3)
	v_bfe_u32 v41, v33, 16, 1
	v_or_b32_e32 v43, 0x400000, v33
	v_cmp_u_f32_e64 s0, v33, v33
	v_add3_u32 v41, v41, v33, 0x7fff
	s_wait_alu 0xf1ff
	s_delay_alu instid0(VALU_DEP_1) | instskip(NEXT) | instid1(VALU_DEP_1)
	v_cndmask_b32_e64 v33, v41, v43, s0
	v_lshrrev_b32_e32 v118, 16, v33
	v_lshrrev_b32_e32 v33, 24, v42
	s_delay_alu instid0(VALU_DEP_1) | instskip(NEXT) | instid1(VALU_DEP_1)
	v_cvt_f32_fp8_e32 v33, v33
	v_mul_f32_e32 v33, s23, v33
	s_delay_alu instid0(VALU_DEP_1) | instskip(SKIP_2) | instid1(VALU_DEP_3)
	v_bfe_u32 v41, v33, 16, 1
	v_or_b32_e32 v42, 0x400000, v33
	v_cmp_u_f32_e64 s0, v33, v33
	v_add3_u32 v41, v41, v33, 0x7fff
	s_wait_alu 0xf1ff
	s_delay_alu instid0(VALU_DEP_1) | instskip(NEXT) | instid1(VALU_DEP_1)
	v_cndmask_b32_e64 v33, v41, v42, s0
	v_lshrrev_b32_e32 v119, 16, v33
	s_and_saveexec_b32 s28, vcc_lo
	s_cbranch_execz .LBB357_97
; %bb.96:                               ;   in Loop: Header=BB357_38 Depth=1
	v_cmp_gt_i32_e64 s0, s7, v173
	s_wait_alu 0xf1ff
	s_delay_alu instid0(VALU_DEP_1) | instskip(SKIP_2) | instid1(VALU_DEP_1)
	v_cndmask_b32_e64 v112, 0, v112, s0
	v_cmp_gt_i32_e64 s0, s7, v179
	s_wait_alu 0xf1ff
	v_cndmask_b32_e64 v113, 0, v113, s0
	v_cmp_gt_i32_e64 s0, s7, v178
	s_wait_alu 0xf1ff
	s_delay_alu instid0(VALU_DEP_1) | instskip(SKIP_2) | instid1(VALU_DEP_1)
	v_cndmask_b32_e64 v114, 0, v114, s0
	v_cmp_gt_i32_e64 s0, s7, v177
	s_wait_alu 0xf1ff
	v_cndmask_b32_e64 v115, 0, v115, s0
	;; [unrolled: 7-line block ×4, first 2 shown]
.LBB357_97:                             ;   in Loop: Header=BB357_38 Depth=1
	s_or_b32 exec_lo, exec_lo, s28
	global_load_b64 v[41:42], v[12:13], off offset:7424
	s_wait_loadcnt 0x0
	v_and_b32_e32 v33, 0xff, v41
	s_delay_alu instid0(VALU_DEP_1) | instskip(NEXT) | instid1(VALU_DEP_1)
	v_cvt_f32_fp8_e32 v33, v33
	v_mul_f32_e32 v33, s23, v33
	s_delay_alu instid0(VALU_DEP_1) | instskip(SKIP_2) | instid1(VALU_DEP_3)
	v_bfe_u32 v43, v33, 16, 1
	v_or_b32_e32 v44, 0x400000, v33
	v_cmp_u_f32_e64 s0, v33, v33
	v_add3_u32 v43, v43, v33, 0x7fff
	s_wait_alu 0xf1ff
	s_delay_alu instid0(VALU_DEP_1) | instskip(NEXT) | instid1(VALU_DEP_1)
	v_cndmask_b32_e64 v33, v43, v44, s0
	v_lshrrev_b32_e32 v121, 16, v33
	v_bfe_u32 v33, v41, 8, 8
	s_delay_alu instid0(VALU_DEP_1) | instskip(NEXT) | instid1(VALU_DEP_1)
	v_cvt_f32_fp8_e32 v33, v33
	v_mul_f32_e32 v33, s23, v33
	s_delay_alu instid0(VALU_DEP_1) | instskip(SKIP_2) | instid1(VALU_DEP_3)
	v_bfe_u32 v43, v33, 16, 1
	v_or_b32_e32 v44, 0x400000, v33
	v_cmp_u_f32_e64 s0, v33, v33
	v_add3_u32 v43, v43, v33, 0x7fff
	s_wait_alu 0xf1ff
	s_delay_alu instid0(VALU_DEP_1) | instskip(NEXT) | instid1(VALU_DEP_1)
	v_cndmask_b32_e64 v33, v43, v44, s0
	v_lshrrev_b32_e32 v122, 16, v33
	v_bfe_u32 v33, v41, 16, 8
	s_delay_alu instid0(VALU_DEP_1) | instskip(NEXT) | instid1(VALU_DEP_1)
	v_cvt_f32_fp8_e32 v33, v33
	v_mul_f32_e32 v33, s23, v33
	s_delay_alu instid0(VALU_DEP_1) | instskip(SKIP_2) | instid1(VALU_DEP_3)
	v_bfe_u32 v43, v33, 16, 1
	v_or_b32_e32 v44, 0x400000, v33
	v_cmp_u_f32_e64 s0, v33, v33
	v_add3_u32 v43, v43, v33, 0x7fff
	s_wait_alu 0xf1ff
	s_delay_alu instid0(VALU_DEP_1) | instskip(NEXT) | instid1(VALU_DEP_1)
	v_cndmask_b32_e64 v33, v43, v44, s0
	v_lshrrev_b32_e32 v123, 16, v33
	v_lshrrev_b32_e32 v33, 24, v41
	s_delay_alu instid0(VALU_DEP_1) | instskip(NEXT) | instid1(VALU_DEP_1)
	v_cvt_f32_fp8_e32 v33, v33
	v_mul_f32_e32 v33, s23, v33
	s_delay_alu instid0(VALU_DEP_1) | instskip(SKIP_2) | instid1(VALU_DEP_3)
	v_bfe_u32 v41, v33, 16, 1
	v_or_b32_e32 v43, 0x400000, v33
	v_cmp_u_f32_e64 s0, v33, v33
	v_add3_u32 v41, v41, v33, 0x7fff
	s_wait_alu 0xf1ff
	s_delay_alu instid0(VALU_DEP_1) | instskip(NEXT) | instid1(VALU_DEP_1)
	v_cndmask_b32_e64 v33, v41, v43, s0
	v_lshrrev_b32_e32 v124, 16, v33
	v_and_b32_e32 v33, 0xff, v42
	s_delay_alu instid0(VALU_DEP_1) | instskip(NEXT) | instid1(VALU_DEP_1)
	v_cvt_f32_fp8_e32 v33, v33
	v_mul_f32_e32 v33, s23, v33
	s_delay_alu instid0(VALU_DEP_1) | instskip(SKIP_2) | instid1(VALU_DEP_3)
	v_bfe_u32 v41, v33, 16, 1
	v_or_b32_e32 v43, 0x400000, v33
	v_cmp_u_f32_e64 s0, v33, v33
	v_add3_u32 v41, v41, v33, 0x7fff
	s_wait_alu 0xf1ff
	s_delay_alu instid0(VALU_DEP_1) | instskip(NEXT) | instid1(VALU_DEP_1)
	v_cndmask_b32_e64 v33, v41, v43, s0
	v_lshrrev_b32_e32 v125, 16, v33
	v_bfe_u32 v33, v42, 8, 8
	s_delay_alu instid0(VALU_DEP_1) | instskip(NEXT) | instid1(VALU_DEP_1)
	v_cvt_f32_fp8_e32 v33, v33
	v_mul_f32_e32 v33, s23, v33
	s_delay_alu instid0(VALU_DEP_1) | instskip(SKIP_2) | instid1(VALU_DEP_3)
	v_bfe_u32 v41, v33, 16, 1
	v_or_b32_e32 v43, 0x400000, v33
	v_cmp_u_f32_e64 s0, v33, v33
	v_add3_u32 v41, v41, v33, 0x7fff
	s_wait_alu 0xf1ff
	s_delay_alu instid0(VALU_DEP_1) | instskip(NEXT) | instid1(VALU_DEP_1)
	v_cndmask_b32_e64 v33, v41, v43, s0
	v_lshrrev_b32_e32 v126, 16, v33
	v_bfe_u32 v33, v42, 16, 8
	s_delay_alu instid0(VALU_DEP_1) | instskip(NEXT) | instid1(VALU_DEP_1)
	v_cvt_f32_fp8_e32 v33, v33
	v_mul_f32_e32 v33, s23, v33
	s_delay_alu instid0(VALU_DEP_1) | instskip(SKIP_2) | instid1(VALU_DEP_3)
	v_bfe_u32 v41, v33, 16, 1
	v_or_b32_e32 v43, 0x400000, v33
	v_cmp_u_f32_e64 s0, v33, v33
	v_add3_u32 v41, v41, v33, 0x7fff
	s_wait_alu 0xf1ff
	s_delay_alu instid0(VALU_DEP_1) | instskip(NEXT) | instid1(VALU_DEP_1)
	v_cndmask_b32_e64 v33, v41, v43, s0
	v_lshrrev_b32_e32 v127, 16, v33
	v_lshrrev_b32_e32 v33, 24, v42
	s_delay_alu instid0(VALU_DEP_1) | instskip(NEXT) | instid1(VALU_DEP_1)
	v_cvt_f32_fp8_e32 v33, v33
	v_mul_f32_e32 v33, s23, v33
	s_delay_alu instid0(VALU_DEP_1) | instskip(SKIP_2) | instid1(VALU_DEP_3)
	v_bfe_u32 v41, v33, 16, 1
	v_or_b32_e32 v42, 0x400000, v33
	v_cmp_u_f32_e64 s0, v33, v33
	v_add3_u32 v41, v41, v33, 0x7fff
	s_wait_alu 0xf1ff
	s_delay_alu instid0(VALU_DEP_1) | instskip(NEXT) | instid1(VALU_DEP_1)
	v_cndmask_b32_e64 v33, v41, v42, s0
	v_lshrrev_b32_e32 v128, 16, v33
	s_and_saveexec_b32 s28, vcc_lo
	s_cbranch_execz .LBB357_99
; %bb.98:                               ;   in Loop: Header=BB357_38 Depth=1
	v_cmp_gt_i32_e64 s0, s7, v173
	s_wait_alu 0xf1ff
	s_delay_alu instid0(VALU_DEP_1) | instskip(SKIP_2) | instid1(VALU_DEP_1)
	v_cndmask_b32_e64 v121, 0, v121, s0
	v_cmp_gt_i32_e64 s0, s7, v179
	s_wait_alu 0xf1ff
	v_cndmask_b32_e64 v122, 0, v122, s0
	v_cmp_gt_i32_e64 s0, s7, v178
	s_wait_alu 0xf1ff
	s_delay_alu instid0(VALU_DEP_1) | instskip(SKIP_2) | instid1(VALU_DEP_1)
	v_cndmask_b32_e64 v123, 0, v123, s0
	v_cmp_gt_i32_e64 s0, s7, v177
	s_wait_alu 0xf1ff
	v_cndmask_b32_e64 v124, 0, v124, s0
	;; [unrolled: 7-line block ×4, first 2 shown]
.LBB357_99:                             ;   in Loop: Header=BB357_38 Depth=1
	s_or_b32 exec_lo, exec_lo, s28
	global_load_b64 v[12:13], v[12:13], off offset:7680
	s_wait_loadcnt 0x0
	v_and_b32_e32 v33, 0xff, v12
	s_delay_alu instid0(VALU_DEP_1) | instskip(NEXT) | instid1(VALU_DEP_1)
	v_cvt_f32_fp8_e32 v33, v33
	v_mul_f32_e32 v33, s23, v33
	s_delay_alu instid0(VALU_DEP_1) | instskip(SKIP_2) | instid1(VALU_DEP_3)
	v_bfe_u32 v41, v33, 16, 1
	v_or_b32_e32 v42, 0x400000, v33
	v_cmp_u_f32_e64 s0, v33, v33
	v_add3_u32 v41, v41, v33, 0x7fff
	s_wait_alu 0xf1ff
	s_delay_alu instid0(VALU_DEP_1) | instskip(SKIP_1) | instid1(VALU_DEP_2)
	v_cndmask_b32_e64 v33, v41, v42, s0
	v_bfe_u32 v41, v12, 8, 8
	v_lshrrev_b32_e32 v33, 16, v33
	s_delay_alu instid0(VALU_DEP_2) | instskip(NEXT) | instid1(VALU_DEP_1)
	v_cvt_f32_fp8_e32 v41, v41
	v_mul_f32_e32 v41, s23, v41
	s_delay_alu instid0(VALU_DEP_1) | instskip(SKIP_2) | instid1(VALU_DEP_3)
	v_bfe_u32 v42, v41, 16, 1
	v_or_b32_e32 v43, 0x400000, v41
	v_cmp_u_f32_e64 s0, v41, v41
	v_add3_u32 v42, v42, v41, 0x7fff
	s_wait_alu 0xf1ff
	s_delay_alu instid0(VALU_DEP_1) | instskip(NEXT) | instid1(VALU_DEP_1)
	v_cndmask_b32_e64 v41, v42, v43, s0
	v_lshrrev_b32_e32 v129, 16, v41
	v_bfe_u32 v41, v12, 16, 8
	v_lshrrev_b32_e32 v12, 24, v12
	s_delay_alu instid0(VALU_DEP_2) | instskip(NEXT) | instid1(VALU_DEP_2)
	v_cvt_f32_fp8_e32 v41, v41
	v_cvt_f32_fp8_e32 v12, v12
	s_delay_alu instid0(VALU_DEP_1) | instskip(NEXT) | instid1(VALU_DEP_1)
	v_dual_mul_f32 v41, s23, v41 :: v_dual_mul_f32 v12, s23, v12
	v_bfe_u32 v42, v41, 16, 1
	v_or_b32_e32 v43, 0x400000, v41
	v_cmp_u_f32_e64 s0, v41, v41
	s_delay_alu instid0(VALU_DEP_3) | instskip(SKIP_1) | instid1(VALU_DEP_1)
	v_add3_u32 v42, v42, v41, 0x7fff
	s_wait_alu 0xf1ff
	v_cndmask_b32_e64 v41, v42, v43, s0
	v_or_b32_e32 v42, 0x400000, v12
	v_cmp_u_f32_e64 s0, v12, v12
	s_delay_alu instid0(VALU_DEP_3) | instskip(SKIP_1) | instid1(VALU_DEP_1)
	v_lshrrev_b32_e32 v132, 16, v41
	v_bfe_u32 v41, v12, 16, 1
	v_add3_u32 v41, v41, v12, 0x7fff
	s_wait_alu 0xf1ff
	s_delay_alu instid0(VALU_DEP_1) | instskip(NEXT) | instid1(VALU_DEP_1)
	v_cndmask_b32_e64 v12, v41, v42, s0
	v_lshrrev_b32_e32 v130, 16, v12
	v_and_b32_e32 v12, 0xff, v13
	s_delay_alu instid0(VALU_DEP_1) | instskip(NEXT) | instid1(VALU_DEP_1)
	v_cvt_f32_fp8_e32 v12, v12
	v_mul_f32_e32 v12, s23, v12
	s_delay_alu instid0(VALU_DEP_1) | instskip(SKIP_2) | instid1(VALU_DEP_3)
	v_bfe_u32 v41, v12, 16, 1
	v_or_b32_e32 v42, 0x400000, v12
	v_cmp_u_f32_e64 s0, v12, v12
	v_add3_u32 v41, v41, v12, 0x7fff
	s_wait_alu 0xf1ff
	s_delay_alu instid0(VALU_DEP_1) | instskip(NEXT) | instid1(VALU_DEP_1)
	v_cndmask_b32_e64 v12, v41, v42, s0
	v_lshrrev_b32_e32 v131, 16, v12
	v_bfe_u32 v12, v13, 8, 8
	s_delay_alu instid0(VALU_DEP_1) | instskip(NEXT) | instid1(VALU_DEP_1)
	v_cvt_f32_fp8_e32 v12, v12
	v_mul_f32_e32 v12, s23, v12
	s_delay_alu instid0(VALU_DEP_1) | instskip(SKIP_2) | instid1(VALU_DEP_3)
	v_bfe_u32 v41, v12, 16, 1
	v_or_b32_e32 v42, 0x400000, v12
	v_cmp_u_f32_e64 s0, v12, v12
	v_add3_u32 v41, v41, v12, 0x7fff
	s_wait_alu 0xf1ff
	s_delay_alu instid0(VALU_DEP_1) | instskip(NEXT) | instid1(VALU_DEP_1)
	v_cndmask_b32_e64 v12, v41, v42, s0
	v_lshrrev_b32_e32 v133, 16, v12
	v_bfe_u32 v12, v13, 16, 8
	s_delay_alu instid0(VALU_DEP_1) | instskip(NEXT) | instid1(VALU_DEP_1)
	v_cvt_f32_fp8_e32 v12, v12
	v_mul_f32_e32 v12, s23, v12
	s_delay_alu instid0(VALU_DEP_1) | instskip(SKIP_2) | instid1(VALU_DEP_3)
	v_bfe_u32 v41, v12, 16, 1
	v_or_b32_e32 v42, 0x400000, v12
	v_cmp_u_f32_e64 s0, v12, v12
	v_add3_u32 v41, v41, v12, 0x7fff
	s_wait_alu 0xf1ff
	s_delay_alu instid0(VALU_DEP_1) | instskip(NEXT) | instid1(VALU_DEP_1)
	v_cndmask_b32_e64 v12, v41, v42, s0
	v_lshrrev_b32_e32 v134, 16, v12
	v_lshrrev_b32_e32 v12, 24, v13
	s_delay_alu instid0(VALU_DEP_1) | instskip(NEXT) | instid1(VALU_DEP_1)
	v_cvt_f32_fp8_e32 v12, v12
	v_mul_f32_e32 v12, s23, v12
	s_delay_alu instid0(VALU_DEP_1) | instskip(SKIP_2) | instid1(VALU_DEP_3)
	v_bfe_u32 v13, v12, 16, 1
	v_or_b32_e32 v41, 0x400000, v12
	v_cmp_u_f32_e64 s0, v12, v12
	v_add3_u32 v13, v13, v12, 0x7fff
	s_wait_alu 0xf1ff
	s_delay_alu instid0(VALU_DEP_1) | instskip(NEXT) | instid1(VALU_DEP_1)
	v_cndmask_b32_e64 v12, v13, v41, s0
	v_lshrrev_b32_e32 v135, 16, v12
	s_and_saveexec_b32 s28, vcc_lo
	s_cbranch_execz .LBB357_101
; %bb.100:                              ;   in Loop: Header=BB357_38 Depth=1
	v_cmp_gt_i32_e64 s0, s7, v173
	s_wait_alu 0xf1ff
	s_delay_alu instid0(VALU_DEP_1) | instskip(SKIP_2) | instid1(VALU_DEP_1)
	v_cndmask_b32_e64 v33, 0, v33, s0
	v_cmp_gt_i32_e64 s0, s7, v179
	s_wait_alu 0xf1ff
	v_cndmask_b32_e64 v129, 0, v129, s0
	v_cmp_gt_i32_e64 s0, s7, v178
	s_wait_alu 0xf1ff
	s_delay_alu instid0(VALU_DEP_1) | instskip(SKIP_2) | instid1(VALU_DEP_1)
	v_cndmask_b32_e64 v132, 0, v132, s0
	v_cmp_gt_i32_e64 s0, s7, v177
	s_wait_alu 0xf1ff
	v_cndmask_b32_e64 v130, 0, v130, s0
	;; [unrolled: 7-line block ×4, first 2 shown]
.LBB357_101:                            ;   in Loop: Header=BB357_38 Depth=1
	s_or_b32 exec_lo, exec_lo, s28
	scratch_load_b32 v12, off, off offset:476 ; 4-byte Folded Reload
	s_wait_loadcnt 0x0
	v_add_co_u32 v10, s0, v10, v12
	s_wait_alu 0xf1ff
	v_add_co_ci_u32_e64 v11, null, 0, v11, s0
	global_load_b64 v[137:138], v[10:11], off
	s_wait_loadcnt 0x0
	v_and_b32_e32 v10, 0xff, v137
	s_delay_alu instid0(VALU_DEP_1) | instskip(NEXT) | instid1(VALU_DEP_1)
	v_cvt_f32_fp8_e32 v10, v10
	v_mul_f32_e32 v10, s23, v10
	s_delay_alu instid0(VALU_DEP_1) | instskip(SKIP_2) | instid1(VALU_DEP_3)
	v_bfe_u32 v11, v10, 16, 1
	v_or_b32_e32 v12, 0x400000, v10
	v_cmp_u_f32_e64 s0, v10, v10
	v_add3_u32 v11, v11, v10, 0x7fff
	s_wait_alu 0xf1ff
	s_delay_alu instid0(VALU_DEP_1) | instskip(NEXT) | instid1(VALU_DEP_1)
	v_cndmask_b32_e64 v10, v11, v12, s0
	v_lshrrev_b32_e32 v43, 16, v10
	v_bfe_u32 v10, v137, 8, 8
	s_delay_alu instid0(VALU_DEP_1) | instskip(NEXT) | instid1(VALU_DEP_1)
	v_cvt_f32_fp8_e32 v10, v10
	v_mul_f32_e32 v10, s23, v10
	s_delay_alu instid0(VALU_DEP_1) | instskip(SKIP_2) | instid1(VALU_DEP_3)
	v_bfe_u32 v11, v10, 16, 1
	v_or_b32_e32 v12, 0x400000, v10
	v_cmp_u_f32_e64 s0, v10, v10
	v_add3_u32 v11, v11, v10, 0x7fff
	s_wait_alu 0xf1ff
	s_delay_alu instid0(VALU_DEP_1) | instskip(NEXT) | instid1(VALU_DEP_1)
	v_cndmask_b32_e64 v10, v11, v12, s0
	v_lshrrev_b32_e32 v42, 16, v10
	v_bfe_u32 v10, v137, 16, 8
	s_delay_alu instid0(VALU_DEP_1) | instskip(NEXT) | instid1(VALU_DEP_1)
	v_cvt_f32_fp8_e32 v10, v10
	v_mul_f32_e32 v10, s23, v10
	s_delay_alu instid0(VALU_DEP_1) | instskip(SKIP_2) | instid1(VALU_DEP_3)
	v_bfe_u32 v11, v10, 16, 1
	v_or_b32_e32 v12, 0x400000, v10
	v_cmp_u_f32_e64 s0, v10, v10
	v_add3_u32 v11, v11, v10, 0x7fff
	s_wait_alu 0xf1ff
	s_delay_alu instid0(VALU_DEP_1) | instskip(NEXT) | instid1(VALU_DEP_1)
	v_cndmask_b32_e64 v10, v11, v12, s0
	v_lshrrev_b32_e32 v41, 16, v10
	v_lshrrev_b32_e32 v10, 24, v137
	s_delay_alu instid0(VALU_DEP_1) | instskip(NEXT) | instid1(VALU_DEP_1)
	v_cvt_f32_fp8_e32 v10, v10
	v_mul_f32_e32 v10, s23, v10
	s_delay_alu instid0(VALU_DEP_1) | instskip(SKIP_2) | instid1(VALU_DEP_3)
	v_bfe_u32 v11, v10, 16, 1
	v_or_b32_e32 v12, 0x400000, v10
	v_cmp_u_f32_e64 s0, v10, v10
	v_add3_u32 v11, v11, v10, 0x7fff
	s_wait_alu 0xf1ff
	s_delay_alu instid0(VALU_DEP_1) | instskip(NEXT) | instid1(VALU_DEP_1)
	v_cndmask_b32_e64 v10, v11, v12, s0
	v_lshrrev_b32_e32 v13, 16, v10
	v_and_b32_e32 v10, 0xff, v138
	s_delay_alu instid0(VALU_DEP_1) | instskip(NEXT) | instid1(VALU_DEP_1)
	v_cvt_f32_fp8_e32 v10, v10
	v_mul_f32_e32 v10, s23, v10
	s_delay_alu instid0(VALU_DEP_1) | instskip(SKIP_2) | instid1(VALU_DEP_3)
	v_bfe_u32 v11, v10, 16, 1
	v_or_b32_e32 v12, 0x400000, v10
	v_cmp_u_f32_e64 s0, v10, v10
	v_add3_u32 v11, v11, v10, 0x7fff
	s_wait_alu 0xf1ff
	s_delay_alu instid0(VALU_DEP_1) | instskip(NEXT) | instid1(VALU_DEP_1)
	v_cndmask_b32_e64 v10, v11, v12, s0
	v_lshrrev_b32_e32 v12, 16, v10
	v_bfe_u32 v10, v138, 8, 8
	s_delay_alu instid0(VALU_DEP_1) | instskip(NEXT) | instid1(VALU_DEP_1)
	v_cvt_f32_fp8_e32 v10, v10
	v_mul_f32_e32 v10, s23, v10
	s_delay_alu instid0(VALU_DEP_1) | instskip(SKIP_2) | instid1(VALU_DEP_3)
	v_bfe_u32 v11, v10, 16, 1
	v_or_b32_e32 v44, 0x400000, v10
	v_cmp_u_f32_e64 s0, v10, v10
	v_add3_u32 v11, v11, v10, 0x7fff
	s_wait_alu 0xf1ff
	s_delay_alu instid0(VALU_DEP_1) | instskip(NEXT) | instid1(VALU_DEP_1)
	v_cndmask_b32_e64 v10, v11, v44, s0
	v_lshrrev_b32_e32 v11, 16, v10
	v_bfe_u32 v10, v138, 16, 8
	s_delay_alu instid0(VALU_DEP_1) | instskip(NEXT) | instid1(VALU_DEP_1)
	v_cvt_f32_fp8_e32 v10, v10
	v_mul_f32_e32 v10, s23, v10
	s_delay_alu instid0(VALU_DEP_1) | instskip(SKIP_2) | instid1(VALU_DEP_3)
	v_bfe_u32 v44, v10, 16, 1
	v_or_b32_e32 v137, 0x400000, v10
	v_cmp_u_f32_e64 s0, v10, v10
	v_add3_u32 v44, v44, v10, 0x7fff
	s_wait_alu 0xf1ff
	s_delay_alu instid0(VALU_DEP_1) | instskip(SKIP_1) | instid1(VALU_DEP_2)
	v_cndmask_b32_e64 v10, v44, v137, s0
	v_lshrrev_b32_e32 v44, 24, v138
	v_lshrrev_b32_e32 v10, 16, v10
	s_delay_alu instid0(VALU_DEP_2) | instskip(NEXT) | instid1(VALU_DEP_1)
	v_cvt_f32_fp8_e32 v44, v44
	v_mul_f32_e32 v44, s23, v44
	s_delay_alu instid0(VALU_DEP_1) | instskip(SKIP_2) | instid1(VALU_DEP_3)
	v_bfe_u32 v137, v44, 16, 1
	v_or_b32_e32 v138, 0x400000, v44
	v_cmp_u_f32_e64 s0, v44, v44
	v_add3_u32 v137, v137, v44, 0x7fff
	s_wait_alu 0xf1ff
	s_delay_alu instid0(VALU_DEP_1) | instskip(NEXT) | instid1(VALU_DEP_1)
	v_cndmask_b32_e64 v44, v137, v138, s0
	v_lshrrev_b32_e32 v44, 16, v44
	s_and_saveexec_b32 s0, vcc_lo
	s_cbranch_execz .LBB357_36
; %bb.102:                              ;   in Loop: Header=BB357_38 Depth=1
	v_cmp_gt_i32_e32 vcc_lo, s7, v173
	s_wait_alu 0xfffd
	v_cndmask_b32_e32 v43, 0, v43, vcc_lo
	v_cmp_gt_i32_e32 vcc_lo, s7, v179
	s_wait_alu 0xfffd
	v_cndmask_b32_e32 v42, 0, v42, vcc_lo
	;; [unrolled: 3-line block ×8, first 2 shown]
	s_branch .LBB357_36
.LBB357_103:
	s_or_b32 exec_lo, exec_lo, s19
.LBB357_104:
	s_wait_alu 0xfffe
	s_or_b32 exec_lo, exec_lo, s1
	ds_bpermute_b32 v0, v120, v14
	ds_bpermute_b32 v1, v120, v33
	ds_bpermute_b32 v2, v120, v32
	ds_bpermute_b32 v3, v120, v31
	ds_bpermute_b32 v4, v120, v30
	ds_bpermute_b32 v6, v120, v28
	ds_bpermute_b32 v7, v120, v27
	ds_bpermute_b32 v8, v120, v26
	ds_bpermute_b32 v5, v120, v29
	ds_bpermute_b32 v9, v120, v25
	ds_bpermute_b32 v10, v120, v24
	ds_bpermute_b32 v11, v120, v23
	ds_bpermute_b32 v12, v120, v47
	ds_bpermute_b32 v34, v120, v39
	s_mov_b32 s0, exec_lo
	s_wait_dscnt 0xc
	v_dual_add_f32 v0, v14, v0 :: v_dual_add_f32 v1, v33, v1
	s_wait_dscnt 0xa
	v_dual_add_f32 v2, v32, v2 :: v_dual_add_f32 v3, v31, v3
	s_wait_dscnt 0x9
	v_add_f32_e32 v4, v30, v4
	ds_bpermute_b32 v13, v19, v0
	s_wait_dscnt 0x8
	v_dual_add_f32 v6, v28, v6 :: v_dual_add_f32 v7, v27, v7
	s_wait_dscnt 0x5
	v_dual_add_f32 v8, v26, v8 :: v_dual_add_f32 v9, v25, v9
	v_add_f32_e32 v5, v29, v5
	ds_bpermute_b32 v15, v19, v2
	ds_bpermute_b32 v16, v19, v3
	;; [unrolled: 1-line block ×4, first 2 shown]
	s_wait_dscnt 0x7
	v_dual_add_f32 v10, v24, v10 :: v_dual_add_f32 v11, v23, v11
	ds_bpermute_b32 v26, v19, v8
	ds_bpermute_b32 v14, v19, v1
	;; [unrolled: 1-line block ×8, first 2 shown]
	s_wait_dscnt 0xc
	v_add_f32_e32 v31, v0, v13
	ds_bpermute_b32 v0, v120, v38
	ds_bpermute_b32 v13, v120, v56
	;; [unrolled: 1-line block ×3, first 2 shown]
	s_wait_dscnt 0xd
	v_dual_add_f32 v25, v2, v15 :: v_dual_add_f32 v24, v3, v16
	s_wait_dscnt 0xc
	v_dual_add_f32 v23, v4, v17 :: v_dual_add_f32 v2, v47, v12
	s_wait_dscnt 0xb
	v_add_f32_e32 v22, v7, v22
	ds_bpermute_b32 v7, v120, v37
	s_wait_dscnt 0xb
	v_add_f32_e32 v16, v8, v26
	ds_bpermute_b32 v26, v120, v73
	;; [unrolled: 3-line block ×3, first 2 shown]
	s_wait_dscnt 0x9
	v_dual_add_f32 v14, v9, v27 :: v_dual_add_f32 v11, v11, v30
	ds_bpermute_b32 v4, v19, v2
	v_add_f32_e32 v8, v39, v34
	ds_bpermute_b32 v30, v120, v97
	ds_bpermute_b32 v34, v120, v105
	;; [unrolled: 1-line block ×4, first 2 shown]
	s_wait_dscnt 0xa
	v_add_f32_e32 v0, v38, v0
	ds_bpermute_b32 v38, v120, v130
	s_wait_dscnt 0xa
	v_add_f32_e32 v39, v56, v13
	v_dual_add_f32 v21, v5, v18 :: v_dual_add_f32 v12, v10, v28
	v_add_f32_e32 v20, v6, v20
	v_add_f32_e32 v5, v46, v32
	s_wait_dscnt 0x8
	v_add_f32_e32 v7, v37, v7
	ds_bpermute_b32 v37, v120, v122
	s_wait_dscnt 0x8
	v_dual_add_f32 v43, v73, v26 :: v_dual_add_f32 v6, v40, v33
	ds_bpermute_b32 v18, v120, v64
	s_wait_dscnt 0x8
	v_add_f32_e32 v1, v36, v1
	ds_bpermute_b32 v17, v19, v8
	ds_bpermute_b32 v27, v120, v81
	;; [unrolled: 1-line block ×5, first 2 shown]
	s_wait_dscnt 0xa
	v_add_f32_e32 v34, v105, v34
	ds_bpermute_b32 v44, v19, v39
	v_dual_add_f32 v49, v97, v30 :: v_dual_add_f32 v30, v2, v4
	ds_bpermute_b32 v48, v19, v43
	ds_bpermute_b32 v10, v19, v5
	s_wait_dscnt 0xc
	v_add_f32_e32 v3, v35, v3
	ds_bpermute_b32 v15, v19, v6
	ds_bpermute_b32 v32, v19, v0
	s_wait_dscnt 0xc
	v_dual_add_f32 v9, v45, v9 :: v_dual_add_f32 v38, v130, v38
	ds_bpermute_b32 v33, v19, v1
	ds_bpermute_b32 v35, v19, v3
	ds_bpermute_b32 v53, v19, v34
	s_wait_dscnt 0xe
	v_add_f32_e32 v37, v122, v37
	ds_bpermute_b32 v2, v19, v38
	s_wait_dscnt 0xe
	v_add_f32_e32 v41, v64, v18
	s_wait_dscnt 0xc
	v_dual_add_f32 v45, v81, v27 :: v_dual_add_f32 v26, v8, v17
	s_wait_dscnt 0xb
	v_add_f32_e32 v47, v89, v28
	s_wait_dscnt 0xa
	v_add_f32_e32 v36, v113, v36
	ds_bpermute_b32 v40, v19, v7
	ds_bpermute_b32 v42, v19, v9
	;; [unrolled: 1-line block ×3, first 2 shown]
	s_wait_dscnt 0xa
	v_add_f32_e32 v8, v43, v48
	ds_bpermute_b32 v56, v19, v37
	v_add_f32_e32 v55, v55, v13
	ds_bpermute_b32 v50, v19, v45
	ds_bpermute_b32 v54, v19, v36
	s_wait_dscnt 0xb
	v_add_f32_e32 v28, v6, v15
	ds_bpermute_b32 v51, v19, v47
	v_add_f32_e32 v27, v5, v10
	ds_bpermute_b32 v57, v19, v55
	;; [unrolled: 2-line block ×3, first 2 shown]
	s_wait_dscnt 0xc
	v_dual_add_f32 v19, v0, v32 :: v_dual_add_f32 v18, v1, v33
	scratch_load_b32 v32, off, off offset:628 th:TH_LOAD_LU ; 4-byte Folded Reload
	s_wait_dscnt 0xa
	v_dual_add_f32 v17, v3, v35 :: v_dual_add_f32 v4, v34, v53
	s_wait_dscnt 0x9
	v_add_f32_e32 v1, v38, v2
	s_clause 0x1
	scratch_load_b32 v2, off, off offset:632
	scratch_load_b32 v34, off, off offset:1672 th:TH_LOAD_LU
	s_wait_dscnt 0x8
	v_add_f32_e32 v15, v7, v40
	s_wait_storecnt 0x0
	s_wait_loadcnt_dscnt 0x0
	v_add_f32_e32 v0, v37, v56
	v_add_f32_e32 v13, v9, v42
	;; [unrolled: 1-line block ×4, first 2 shown]
	v_dual_add_f32 v3, v36, v54 :: v_dual_add_f32 v6, v47, v51
	s_barrier_signal -1
	s_barrier_wait -1
	global_inv scope:SCOPE_SE
	v_add_f32_e32 v5, v49, v52
	v_and_b32_e32 v33, 28, v32
	v_lshrrev_b32_e32 v32, 2, v32
	v_dual_add_f32 v2, v55, v57 :: v_dual_and_b32 v35, 0x3c3, v2
	s_delay_alu instid0(VALU_DEP_3) | instskip(SKIP_1) | instid1(VALU_DEP_3)
	v_add_nc_u32_e32 v33, 0x220, v33
	v_lshlrev_b32_e32 v34, 10, v34
	v_cmpx_eq_u32_e32 64, v35
	s_cbranch_execz .LBB357_106
; %bb.105:
	s_delay_alu instid0(VALU_DEP_2) | instskip(NEXT) | instid1(VALU_DEP_1)
	v_add_nc_u32_e32 v35, v33, v34
	v_add_nc_u32_e32 v36, 0xfffff800, v35
	;; [unrolled: 1-line block ×9, first 2 shown]
	ds_store_b32 v36, v31
	ds_store_b32 v37, v29
	ds_store_b32 v38, v25
	ds_store_b32 v39, v24
	ds_store_b32 v40, v23
	ds_store_b32 v41, v21
	ds_store_b32 v42, v20
	ds_store_b32 v43, v22
	v_add_nc_u32_e32 v36, 0xfffff900, v35
	v_add_nc_u32_e32 v37, 0xfffff920, v35
	v_add_nc_u32_e32 v38, 0xfffff940, v35
	v_add_nc_u32_e32 v39, 0xfffff960, v35
	v_add_nc_u32_e32 v40, 0xfffff980, v35
	v_add_nc_u32_e32 v41, 0xfffff9a0, v35
	v_add_nc_u32_e32 v42, 0xfffff9c0, v35
	v_add_nc_u32_e32 v43, 0xfffff9e0, v35
	ds_store_b32 v36, v16
	ds_store_b32 v37, v14
	ds_store_b32 v38, v12
	ds_store_b32 v39, v11
	ds_store_b32 v40, v30
	ds_store_b32 v41, v27
	ds_store_b32 v42, v28
	ds_store_b32 v43, v26
	v_add_nc_u32_e32 v36, 0xfffffa00, v35
	v_add_nc_u32_e32 v37, 0xfffffa20, v35
	v_add_nc_u32_e32 v38, 0xfffffa40, v35
	v_add_nc_u32_e32 v39, 0xfffffa60, v35
	v_add_nc_u32_e32 v40, 0xfffffa80, v35
	v_add_nc_u32_e32 v41, 0xfffffaa0, v35
	v_add_nc_u32_e32 v42, 0xfffffac0, v35
	v_add_nc_u32_e32 v43, 0xfffffae0, v35
	;; [unrolled: 16-line block ×3, first 2 shown]
	ds_store_b32 v36, v7
	ds_store_b32 v37, v6
	;; [unrolled: 1-line block ×8, first 2 shown]
.LBB357_106:
	s_wait_alu 0xfffe
	s_or_b32 exec_lo, exec_lo, s0
	scratch_load_b32 v36, off, off offset:632 ; 4-byte Folded Reload
	v_lshlrev_b32_e32 v32, 2, v32
	s_mov_b32 s1, exec_lo
	s_wait_loadcnt_dscnt 0x0
	s_barrier_signal -1
	s_barrier_wait -1
	v_add3_u32 v32, 0x220, v34, v32
	global_inv scope:SCOPE_SE
	v_and_b32_e32 v35, 3, v36
	s_delay_alu instid0(VALU_DEP_1)
	v_cmp_eq_u32_e32 vcc_lo, 0, v35
	v_cmpx_gt_u32_e32 64, v36
	s_cbranch_execz .LBB357_141
; %bb.107:
	s_and_saveexec_b32 s0, vcc_lo
	s_cbranch_execnz .LBB357_181
; %bb.108:
	s_wait_alu 0xfffe
	s_or_b32 exec_lo, exec_lo, s0
	s_and_saveexec_b32 s0, vcc_lo
	s_cbranch_execnz .LBB357_182
.LBB357_109:
	s_wait_alu 0xfffe
	s_or_b32 exec_lo, exec_lo, s0
	s_and_saveexec_b32 s0, vcc_lo
	s_cbranch_execnz .LBB357_183
.LBB357_110:
	s_wait_alu 0xfffe
	s_or_b32 exec_lo, exec_lo, s0
	s_and_saveexec_b32 s0, vcc_lo
	s_cbranch_execnz .LBB357_184
.LBB357_111:
	s_wait_alu 0xfffe
	s_or_b32 exec_lo, exec_lo, s0
	s_and_saveexec_b32 s0, vcc_lo
	s_cbranch_execnz .LBB357_185
.LBB357_112:
	s_wait_alu 0xfffe
	s_or_b32 exec_lo, exec_lo, s0
	s_and_saveexec_b32 s0, vcc_lo
	s_cbranch_execnz .LBB357_186
.LBB357_113:
	s_wait_alu 0xfffe
	s_or_b32 exec_lo, exec_lo, s0
	s_and_saveexec_b32 s0, vcc_lo
	s_cbranch_execnz .LBB357_187
.LBB357_114:
	s_wait_alu 0xfffe
	s_or_b32 exec_lo, exec_lo, s0
	s_and_saveexec_b32 s0, vcc_lo
	s_cbranch_execnz .LBB357_188
.LBB357_115:
	s_wait_alu 0xfffe
	s_or_b32 exec_lo, exec_lo, s0
	s_and_saveexec_b32 s0, vcc_lo
	s_cbranch_execnz .LBB357_189
.LBB357_116:
	s_wait_alu 0xfffe
	s_or_b32 exec_lo, exec_lo, s0
	s_and_saveexec_b32 s0, vcc_lo
	s_cbranch_execnz .LBB357_190
.LBB357_117:
	s_wait_alu 0xfffe
	s_or_b32 exec_lo, exec_lo, s0
	s_and_saveexec_b32 s0, vcc_lo
	s_cbranch_execnz .LBB357_191
.LBB357_118:
	s_wait_alu 0xfffe
	s_or_b32 exec_lo, exec_lo, s0
	s_and_saveexec_b32 s0, vcc_lo
	s_cbranch_execnz .LBB357_192
.LBB357_119:
	s_wait_alu 0xfffe
	s_or_b32 exec_lo, exec_lo, s0
	s_and_saveexec_b32 s0, vcc_lo
	s_cbranch_execnz .LBB357_193
.LBB357_120:
	s_wait_alu 0xfffe
	s_or_b32 exec_lo, exec_lo, s0
	s_and_saveexec_b32 s0, vcc_lo
	s_cbranch_execnz .LBB357_194
.LBB357_121:
	s_wait_alu 0xfffe
	s_or_b32 exec_lo, exec_lo, s0
	s_and_saveexec_b32 s0, vcc_lo
	s_cbranch_execnz .LBB357_195
.LBB357_122:
	s_wait_alu 0xfffe
	s_or_b32 exec_lo, exec_lo, s0
	s_and_saveexec_b32 s0, vcc_lo
	s_cbranch_execnz .LBB357_196
.LBB357_123:
	s_wait_alu 0xfffe
	s_or_b32 exec_lo, exec_lo, s0
	s_and_saveexec_b32 s0, vcc_lo
	s_cbranch_execnz .LBB357_197
.LBB357_124:
	s_wait_alu 0xfffe
	s_or_b32 exec_lo, exec_lo, s0
	s_and_saveexec_b32 s0, vcc_lo
	s_cbranch_execnz .LBB357_198
.LBB357_125:
	s_wait_alu 0xfffe
	s_or_b32 exec_lo, exec_lo, s0
	s_and_saveexec_b32 s0, vcc_lo
	s_cbranch_execnz .LBB357_199
.LBB357_126:
	s_wait_alu 0xfffe
	s_or_b32 exec_lo, exec_lo, s0
	s_and_saveexec_b32 s0, vcc_lo
	s_cbranch_execnz .LBB357_200
.LBB357_127:
	s_wait_alu 0xfffe
	s_or_b32 exec_lo, exec_lo, s0
	s_and_saveexec_b32 s0, vcc_lo
	s_cbranch_execnz .LBB357_201
.LBB357_128:
	s_wait_alu 0xfffe
	s_or_b32 exec_lo, exec_lo, s0
	s_and_saveexec_b32 s0, vcc_lo
	s_cbranch_execnz .LBB357_202
.LBB357_129:
	s_wait_alu 0xfffe
	s_or_b32 exec_lo, exec_lo, s0
	s_and_saveexec_b32 s0, vcc_lo
	s_cbranch_execnz .LBB357_203
.LBB357_130:
	s_wait_alu 0xfffe
	s_or_b32 exec_lo, exec_lo, s0
	s_and_saveexec_b32 s0, vcc_lo
	s_cbranch_execnz .LBB357_204
.LBB357_131:
	s_wait_alu 0xfffe
	s_or_b32 exec_lo, exec_lo, s0
	s_and_saveexec_b32 s0, vcc_lo
	s_cbranch_execnz .LBB357_205
.LBB357_132:
	s_wait_alu 0xfffe
	s_or_b32 exec_lo, exec_lo, s0
	s_and_saveexec_b32 s0, vcc_lo
	s_cbranch_execnz .LBB357_206
.LBB357_133:
	s_wait_alu 0xfffe
	s_or_b32 exec_lo, exec_lo, s0
	s_and_saveexec_b32 s0, vcc_lo
	s_cbranch_execnz .LBB357_207
.LBB357_134:
	s_wait_alu 0xfffe
	s_or_b32 exec_lo, exec_lo, s0
	s_and_saveexec_b32 s0, vcc_lo
	s_cbranch_execnz .LBB357_208
.LBB357_135:
	s_wait_alu 0xfffe
	s_or_b32 exec_lo, exec_lo, s0
	s_and_saveexec_b32 s0, vcc_lo
	s_cbranch_execnz .LBB357_209
.LBB357_136:
	s_wait_alu 0xfffe
	s_or_b32 exec_lo, exec_lo, s0
	s_and_saveexec_b32 s0, vcc_lo
	s_cbranch_execnz .LBB357_210
.LBB357_137:
	s_wait_alu 0xfffe
	s_or_b32 exec_lo, exec_lo, s0
	s_and_saveexec_b32 s0, vcc_lo
	s_cbranch_execnz .LBB357_211
.LBB357_138:
	s_wait_alu 0xfffe
	s_or_b32 exec_lo, exec_lo, s0
	s_and_saveexec_b32 s0, vcc_lo
	s_cbranch_execz .LBB357_140
.LBB357_139:
	ds_load_b32 v34, v32 offset:992
	s_wait_dscnt 0x0
	v_add_f32_e32 v2, v2, v34
.LBB357_140:
	s_wait_alu 0xfffe
	s_or_b32 exec_lo, exec_lo, s0
.LBB357_141:
	s_wait_alu 0xfffe
	s_or_b32 exec_lo, exec_lo, s1
	scratch_load_b32 v34, off, off offset:632 ; 4-byte Folded Reload
	s_mov_b32 s1, exec_lo
	s_wait_loadcnt 0x0
	s_barrier_signal -1
	s_barrier_wait -1
	global_inv scope:SCOPE_SE
	v_and_b32_e32 v34, 0x3e3, v34
	s_delay_alu instid0(VALU_DEP_1)
	v_cmpx_eq_u32_e32 32, v34
	s_cbranch_execz .LBB357_143
; %bb.142:
	ds_store_2addr_b32 v33, v31, v29 offset1:8
	ds_store_2addr_b32 v33, v25, v24 offset0:16 offset1:24
	ds_store_2addr_b32 v33, v23, v21 offset0:32 offset1:40
	;; [unrolled: 1-line block ×15, first 2 shown]
.LBB357_143:
	s_wait_alu 0xfffe
	s_or_b32 exec_lo, exec_lo, s1
	s_wait_loadcnt_dscnt 0x0
	s_barrier_signal -1
	s_barrier_wait -1
	global_inv scope:SCOPE_SE
	s_and_saveexec_b32 s0, s2
	s_cbranch_execz .LBB357_178
; %bb.144:
	s_and_saveexec_b32 s1, vcc_lo
	s_cbranch_execnz .LBB357_212
; %bb.145:
	s_wait_alu 0xfffe
	s_or_b32 exec_lo, exec_lo, s1
	s_and_saveexec_b32 s1, vcc_lo
	s_cbranch_execnz .LBB357_213
.LBB357_146:
	s_wait_alu 0xfffe
	s_or_b32 exec_lo, exec_lo, s1
	s_and_saveexec_b32 s1, vcc_lo
	s_cbranch_execnz .LBB357_214
.LBB357_147:
	s_wait_alu 0xfffe
	s_or_b32 exec_lo, exec_lo, s1
	s_and_saveexec_b32 s1, vcc_lo
	s_cbranch_execnz .LBB357_215
.LBB357_148:
	s_wait_alu 0xfffe
	s_or_b32 exec_lo, exec_lo, s1
	s_and_saveexec_b32 s1, vcc_lo
	s_cbranch_execnz .LBB357_216
.LBB357_149:
	s_wait_alu 0xfffe
	s_or_b32 exec_lo, exec_lo, s1
	s_and_saveexec_b32 s1, vcc_lo
	s_cbranch_execnz .LBB357_217
.LBB357_150:
	s_wait_alu 0xfffe
	s_or_b32 exec_lo, exec_lo, s1
	s_and_saveexec_b32 s1, vcc_lo
	s_cbranch_execnz .LBB357_218
.LBB357_151:
	s_wait_alu 0xfffe
	s_or_b32 exec_lo, exec_lo, s1
	s_and_saveexec_b32 s1, vcc_lo
	s_cbranch_execnz .LBB357_219
.LBB357_152:
	s_wait_alu 0xfffe
	s_or_b32 exec_lo, exec_lo, s1
	s_and_saveexec_b32 s1, vcc_lo
	s_cbranch_execnz .LBB357_220
.LBB357_153:
	s_wait_alu 0xfffe
	s_or_b32 exec_lo, exec_lo, s1
	s_and_saveexec_b32 s1, vcc_lo
	s_cbranch_execnz .LBB357_221
.LBB357_154:
	s_wait_alu 0xfffe
	s_or_b32 exec_lo, exec_lo, s1
	s_and_saveexec_b32 s1, vcc_lo
	s_cbranch_execnz .LBB357_222
.LBB357_155:
	s_wait_alu 0xfffe
	s_or_b32 exec_lo, exec_lo, s1
	s_and_saveexec_b32 s1, vcc_lo
	s_cbranch_execnz .LBB357_223
.LBB357_156:
	s_wait_alu 0xfffe
	s_or_b32 exec_lo, exec_lo, s1
	s_and_saveexec_b32 s1, vcc_lo
	s_cbranch_execnz .LBB357_224
.LBB357_157:
	s_wait_alu 0xfffe
	s_or_b32 exec_lo, exec_lo, s1
	s_and_saveexec_b32 s1, vcc_lo
	s_cbranch_execnz .LBB357_225
.LBB357_158:
	s_wait_alu 0xfffe
	s_or_b32 exec_lo, exec_lo, s1
	s_and_saveexec_b32 s1, vcc_lo
	s_cbranch_execnz .LBB357_226
.LBB357_159:
	s_wait_alu 0xfffe
	s_or_b32 exec_lo, exec_lo, s1
	s_and_saveexec_b32 s1, vcc_lo
	s_cbranch_execnz .LBB357_227
.LBB357_160:
	s_wait_alu 0xfffe
	s_or_b32 exec_lo, exec_lo, s1
	s_and_saveexec_b32 s1, vcc_lo
	s_cbranch_execnz .LBB357_228
.LBB357_161:
	s_wait_alu 0xfffe
	s_or_b32 exec_lo, exec_lo, s1
	s_and_saveexec_b32 s1, vcc_lo
	s_cbranch_execnz .LBB357_229
.LBB357_162:
	s_wait_alu 0xfffe
	s_or_b32 exec_lo, exec_lo, s1
	s_and_saveexec_b32 s1, vcc_lo
	s_cbranch_execnz .LBB357_230
.LBB357_163:
	s_wait_alu 0xfffe
	s_or_b32 exec_lo, exec_lo, s1
	s_and_saveexec_b32 s1, vcc_lo
	s_cbranch_execnz .LBB357_231
.LBB357_164:
	s_wait_alu 0xfffe
	s_or_b32 exec_lo, exec_lo, s1
	s_and_saveexec_b32 s1, vcc_lo
	s_cbranch_execnz .LBB357_232
.LBB357_165:
	s_wait_alu 0xfffe
	s_or_b32 exec_lo, exec_lo, s1
	s_and_saveexec_b32 s1, vcc_lo
	s_cbranch_execnz .LBB357_233
.LBB357_166:
	s_wait_alu 0xfffe
	s_or_b32 exec_lo, exec_lo, s1
	s_and_saveexec_b32 s1, vcc_lo
	s_cbranch_execnz .LBB357_234
.LBB357_167:
	s_wait_alu 0xfffe
	s_or_b32 exec_lo, exec_lo, s1
	s_and_saveexec_b32 s1, vcc_lo
	s_cbranch_execnz .LBB357_235
.LBB357_168:
	s_wait_alu 0xfffe
	s_or_b32 exec_lo, exec_lo, s1
	s_and_saveexec_b32 s1, vcc_lo
	s_cbranch_execnz .LBB357_236
.LBB357_169:
	s_wait_alu 0xfffe
	s_or_b32 exec_lo, exec_lo, s1
	s_and_saveexec_b32 s1, vcc_lo
	s_cbranch_execnz .LBB357_237
.LBB357_170:
	s_wait_alu 0xfffe
	s_or_b32 exec_lo, exec_lo, s1
	s_and_saveexec_b32 s1, vcc_lo
	s_cbranch_execnz .LBB357_238
.LBB357_171:
	s_wait_alu 0xfffe
	s_or_b32 exec_lo, exec_lo, s1
	s_and_saveexec_b32 s1, vcc_lo
	s_cbranch_execnz .LBB357_239
.LBB357_172:
	s_wait_alu 0xfffe
	s_or_b32 exec_lo, exec_lo, s1
	s_and_saveexec_b32 s1, vcc_lo
	s_cbranch_execnz .LBB357_240
.LBB357_173:
	s_wait_alu 0xfffe
	s_or_b32 exec_lo, exec_lo, s1
	s_and_saveexec_b32 s1, vcc_lo
	s_cbranch_execnz .LBB357_241
.LBB357_174:
	s_wait_alu 0xfffe
	s_or_b32 exec_lo, exec_lo, s1
	s_and_saveexec_b32 s1, vcc_lo
	s_cbranch_execnz .LBB357_242
.LBB357_175:
	s_wait_alu 0xfffe
	s_or_b32 exec_lo, exec_lo, s1
	s_and_saveexec_b32 s1, vcc_lo
	s_cbranch_execz .LBB357_177
.LBB357_176:
	ds_load_b32 v32, v32 offset:992
	s_wait_dscnt 0x0
	v_add_f32_e32 v2, v2, v32
.LBB357_177:
	s_wait_alu 0xfffe
	s_or_b32 exec_lo, exec_lo, s1
.LBB357_178:
	s_wait_alu 0xfffe
	s_or_b32 exec_lo, exec_lo, s0
	s_mov_b32 s7, 0
	s_wait_loadcnt 0x0
	s_barrier_signal -1
	s_barrier_wait -1
	global_inv scope:SCOPE_SE
	s_mov_b32 s0, exec_lo
	v_cmpx_eq_u32_e32 0, v34
	s_cbranch_execz .LBB357_180
; %bb.179:
	scratch_load_b32 v34, off, off offset:632 th:TH_LOAD_LU ; 4-byte Folded Reload
	v_bfe_u32 v32, v31, 16, 1
	v_bfe_u32 v33, v29, 16, 1
	v_or_b32_e32 v35, 0x400000, v31
	v_cmp_u_f32_e32 vcc_lo, v31, v31
	v_or_b32_e32 v36, 0x400000, v29
	v_add3_u32 v32, v32, v31, 0x7fff
	v_add3_u32 v33, v33, v29, 0x7fff
	v_bfe_u32 v37, v25, 16, 1
	v_or_b32_e32 v38, 0x400000, v22
	s_lshl_b32 s0, s4, 8
	s_wait_alu 0xfffd
	v_cndmask_b32_e32 v31, v32, v35, vcc_lo
	v_bfe_u32 v32, v24, 16, 1
	v_cmp_u_f32_e32 vcc_lo, v29, v29
	v_or_b32_e32 v35, 0x400000, v25
	s_mul_i32 s2, s20, s24
	s_wait_alu 0xfffe
	s_ashr_i32 s1, s0, 31
	v_add3_u32 v32, v32, v24, 0x7fff
	s_wait_alu 0xfffd
	v_cndmask_b32_e32 v29, v33, v36, vcc_lo
	v_add3_u32 v33, v37, v25, 0x7fff
	v_cmp_u_f32_e32 vcc_lo, v25, v25
	v_bfe_u32 v36, v23, 16, 1
	v_or_b32_e32 v37, 0x400000, v24
	s_ashr_i32 s3, s2, 31
	s_wait_alu 0xfffe
	s_lshl_b64 s[0:1], s[0:1], 1
	s_wait_alu 0xfffd
	v_cndmask_b32_e32 v25, v33, v35, vcc_lo
	v_cmp_u_f32_e32 vcc_lo, v24, v24
	v_add3_u32 v33, v36, v23, 0x7fff
	v_or_b32_e32 v35, 0x400000, v23
	v_bfe_u32 v36, v20, 16, 1
	s_lshl_b64 s[2:3], s[2:3], 1
	s_wait_alu 0xfffd
	v_cndmask_b32_e32 v24, v32, v37, vcc_lo
	v_bfe_u32 v32, v21, 16, 1
	v_cmp_u_f32_e32 vcc_lo, v23, v23
	v_add3_u32 v36, v36, v20, 0x7fff
	v_or_b32_e32 v37, 0x400000, v20
	s_wait_kmcnt 0x0
	s_wait_alu 0xfffe
	s_add_nc_u64 s[0:1], s[8:9], s[0:1]
	v_add3_u32 v32, v32, v21, 0x7fff
	s_wait_alu 0xfffd
	v_cndmask_b32_e32 v23, v33, v35, vcc_lo
	v_or_b32_e32 v35, 0x400000, v21
	v_cmp_u_f32_e32 vcc_lo, v21, v21
	v_bfe_u32 v33, v22, 16, 1
	s_wait_alu 0xfffe
	s_add_nc_u64 s[0:1], s[0:1], s[2:3]
	s_wait_alu 0xfffe
	s_add_nc_u64 s[0:1], s[0:1], s[6:7]
	s_wait_alu 0xfffd
	v_cndmask_b32_e32 v21, v32, v35, vcc_lo
	v_cmp_u_f32_e32 vcc_lo, v20, v20
	v_add3_u32 v33, v33, v22, 0x7fff
	v_bfe_u32 v32, v16, 16, 1
	s_wait_alu 0xfffd
	v_cndmask_b32_e32 v20, v36, v37, vcc_lo
	v_cmp_u_f32_e32 vcc_lo, v22, v22
	s_wait_alu 0xfffd
	v_cndmask_b32_e32 v22, v33, v38, vcc_lo
	v_bfe_u32 v33, v14, 16, 1
	v_cmp_u_f32_e32 vcc_lo, v16, v16
	s_wait_loadcnt 0x0
	v_lshrrev_b32_e32 v34, 1, v34
	s_clause 0x7
	global_store_d16_hi_b16 v34, v31, s[0:1]
	global_store_d16_hi_b16 v34, v29, s[0:1] offset:16
	global_store_d16_hi_b16 v34, v25, s[0:1] offset:32
	;; [unrolled: 1-line block ×7, first 2 shown]
	v_add3_u32 v20, v32, v16, 0x7fff
	v_or_b32_e32 v21, 0x400000, v16
	v_add3_u32 v22, v33, v14, 0x7fff
	v_or_b32_e32 v23, 0x400000, v14
	v_bfe_u32 v24, v12, 16, 1
	v_or_b32_e32 v25, 0x400000, v28
	s_wait_alu 0xfffd
	v_cndmask_b32_e32 v16, v20, v21, vcc_lo
	v_bfe_u32 v20, v11, 16, 1
	v_cmp_u_f32_e32 vcc_lo, v14, v14
	v_add3_u32 v21, v24, v12, 0x7fff
	v_or_b32_e32 v24, 0x400000, v11
	v_or_b32_e32 v29, 0x400000, v26
	v_add3_u32 v20, v20, v11, 0x7fff
	s_wait_alu 0xfffd
	v_cndmask_b32_e32 v14, v22, v23, vcc_lo
	v_or_b32_e32 v22, 0x400000, v12
	v_cmp_u_f32_e32 vcc_lo, v12, v12
	v_bfe_u32 v23, v30, 16, 1
	s_wait_alu 0xfffd
	s_delay_alu instid0(VALU_DEP_3) | instskip(SKIP_1) | instid1(VALU_DEP_3)
	v_cndmask_b32_e32 v12, v21, v22, vcc_lo
	v_cmp_u_f32_e32 vcc_lo, v11, v11
	v_add3_u32 v21, v23, v30, 0x7fff
	v_or_b32_e32 v22, 0x400000, v30
	v_bfe_u32 v23, v28, 16, 1
	s_wait_alu 0xfffd
	v_cndmask_b32_e32 v11, v20, v24, vcc_lo
	v_bfe_u32 v20, v27, 16, 1
	v_cmp_u_f32_e32 vcc_lo, v30, v30
	v_or_b32_e32 v24, 0x400000, v27
	v_add3_u32 v23, v23, v28, 0x7fff
	s_delay_alu instid0(VALU_DEP_4)
	v_add3_u32 v20, v20, v27, 0x7fff
	s_wait_alu 0xfffd
	v_cndmask_b32_e32 v21, v21, v22, vcc_lo
	v_cmp_u_f32_e32 vcc_lo, v27, v27
	v_bfe_u32 v22, v26, 16, 1
	s_wait_alu 0xfffd
	v_cndmask_b32_e32 v20, v20, v24, vcc_lo
	v_cmp_u_f32_e32 vcc_lo, v28, v28
	s_delay_alu instid0(VALU_DEP_3)
	v_add3_u32 v22, v22, v26, 0x7fff
	v_bfe_u32 v24, v19, 16, 1
	s_wait_alu 0xfffd
	v_cndmask_b32_e32 v23, v23, v25, vcc_lo
	v_cmp_u_f32_e32 vcc_lo, v26, v26
	v_bfe_u32 v25, v18, 16, 1
	s_wait_alu 0xfffd
	v_cndmask_b32_e32 v22, v22, v29, vcc_lo
	s_clause 0x7
	global_store_d16_hi_b16 v34, v16, s[0:1] offset:128
	global_store_d16_hi_b16 v34, v14, s[0:1] offset:144
	;; [unrolled: 1-line block ×8, first 2 shown]
	v_add3_u32 v11, v24, v19, 0x7fff
	v_or_b32_e32 v12, 0x400000, v19
	v_cmp_u_f32_e32 vcc_lo, v19, v19
	v_add3_u32 v14, v25, v18, 0x7fff
	v_or_b32_e32 v16, 0x400000, v18
	v_bfe_u32 v20, v17, 16, 1
	v_bfe_u32 v19, v13, 16, 1
	s_wait_alu 0xfffd
	v_cndmask_b32_e32 v11, v11, v12, vcc_lo
	v_cmp_u_f32_e32 vcc_lo, v18, v18
	v_bfe_u32 v12, v15, 16, 1
	v_or_b32_e32 v18, 0x400000, v17
	v_or_b32_e32 v21, 0x400000, v8
	s_wait_alu 0xfffd
	v_cndmask_b32_e32 v14, v14, v16, vcc_lo
	v_add3_u32 v16, v20, v17, 0x7fff
	v_cmp_u_f32_e32 vcc_lo, v17, v17
	v_add3_u32 v12, v12, v15, 0x7fff
	v_or_b32_e32 v20, 0x400000, v15
	v_add3_u32 v17, v19, v13, 0x7fff
	v_bfe_u32 v19, v9, 16, 1
	s_wait_alu 0xfffd
	v_cndmask_b32_e32 v16, v16, v18, vcc_lo
	v_cmp_u_f32_e32 vcc_lo, v15, v15
	v_or_b32_e32 v18, 0x400000, v13
	v_bfe_u32 v15, v10, 16, 1
	v_add3_u32 v19, v19, v9, 0x7fff
	s_wait_alu 0xfffd
	v_cndmask_b32_e32 v12, v12, v20, vcc_lo
	v_cmp_u_f32_e32 vcc_lo, v13, v13
	v_add3_u32 v15, v15, v10, 0x7fff
	v_or_b32_e32 v20, 0x400000, v9
	s_wait_alu 0xfffd
	v_cndmask_b32_e32 v13, v17, v18, vcc_lo
	v_or_b32_e32 v18, 0x400000, v10
	v_cmp_u_f32_e32 vcc_lo, v10, v10
	v_bfe_u32 v17, v8, 16, 1
	s_wait_alu 0xfffd
	s_delay_alu instid0(VALU_DEP_3) | instskip(SKIP_1) | instid1(VALU_DEP_3)
	v_cndmask_b32_e32 v10, v15, v18, vcc_lo
	v_cmp_u_f32_e32 vcc_lo, v9, v9
	v_add3_u32 v17, v17, v8, 0x7fff
	v_bfe_u32 v15, v7, 16, 1
	s_wait_alu 0xfffd
	v_cndmask_b32_e32 v9, v19, v20, vcc_lo
	v_cmp_u_f32_e32 vcc_lo, v8, v8
	s_wait_alu 0xfffd
	v_cndmask_b32_e32 v8, v17, v21, vcc_lo
	v_bfe_u32 v17, v6, 16, 1
	s_clause 0x7
	global_store_d16_hi_b16 v34, v11, s[0:1] offset:256
	global_store_d16_hi_b16 v34, v14, s[0:1] offset:272
	;; [unrolled: 1-line block ×8, first 2 shown]
	v_add3_u32 v8, v15, v7, 0x7fff
	v_or_b32_e32 v9, 0x400000, v7
	v_cmp_u_f32_e32 vcc_lo, v7, v7
	v_add3_u32 v10, v17, v6, 0x7fff
	v_or_b32_e32 v11, 0x400000, v6
	v_bfe_u32 v12, v5, 16, 1
	v_or_b32_e32 v13, 0x400000, v2
	s_wait_alu 0xfffd
	v_cndmask_b32_e32 v7, v8, v9, vcc_lo
	v_cmp_u_f32_e32 vcc_lo, v6, v6
	v_bfe_u32 v8, v4, 16, 1
	v_add3_u32 v9, v12, v5, 0x7fff
	v_or_b32_e32 v12, 0x400000, v4
	s_wait_alu 0xfffd
	v_cndmask_b32_e32 v6, v10, v11, vcc_lo
	v_or_b32_e32 v10, 0x400000, v5
	v_cmp_u_f32_e32 vcc_lo, v5, v5
	v_bfe_u32 v11, v3, 16, 1
	v_add3_u32 v8, v8, v4, 0x7fff
	s_wait_alu 0xfffd
	v_cndmask_b32_e32 v5, v9, v10, vcc_lo
	v_cmp_u_f32_e32 vcc_lo, v4, v4
	v_add3_u32 v9, v11, v3, 0x7fff
	v_or_b32_e32 v10, 0x400000, v3
	v_bfe_u32 v11, v1, 16, 1
	s_wait_alu 0xfffd
	v_cndmask_b32_e32 v4, v8, v12, vcc_lo
	v_bfe_u32 v8, v0, 16, 1
	v_cmp_u_f32_e32 vcc_lo, v3, v3
	v_add3_u32 v11, v11, v1, 0x7fff
	v_or_b32_e32 v12, 0x400000, v1
	s_delay_alu instid0(VALU_DEP_4)
	v_add3_u32 v8, v8, v0, 0x7fff
	s_wait_alu 0xfffd
	v_cndmask_b32_e32 v3, v9, v10, vcc_lo
	v_or_b32_e32 v10, 0x400000, v0
	v_cmp_u_f32_e32 vcc_lo, v0, v0
	v_bfe_u32 v9, v2, 16, 1
	s_wait_alu 0xfffd
	s_delay_alu instid0(VALU_DEP_3) | instskip(SKIP_1) | instid1(VALU_DEP_3)
	v_cndmask_b32_e32 v0, v8, v10, vcc_lo
	v_cmp_u_f32_e32 vcc_lo, v1, v1
	v_add3_u32 v9, v9, v2, 0x7fff
	s_wait_alu 0xfffd
	v_cndmask_b32_e32 v1, v11, v12, vcc_lo
	v_cmp_u_f32_e32 vcc_lo, v2, v2
	s_wait_alu 0xfffd
	v_cndmask_b32_e32 v2, v9, v13, vcc_lo
	s_clause 0x7
	global_store_d16_hi_b16 v34, v7, s[0:1] offset:384
	global_store_d16_hi_b16 v34, v6, s[0:1] offset:400
	global_store_d16_hi_b16 v34, v5, s[0:1] offset:416
	global_store_d16_hi_b16 v34, v4, s[0:1] offset:432
	global_store_d16_hi_b16 v34, v3, s[0:1] offset:448
	global_store_d16_hi_b16 v34, v0, s[0:1] offset:464
	global_store_d16_hi_b16 v34, v1, s[0:1] offset:480
	global_store_d16_hi_b16 v34, v2, s[0:1] offset:496
.LBB357_180:
	s_nop 0
	s_sendmsg sendmsg(MSG_DEALLOC_VGPRS)
	s_endpgm
.LBB357_181:
	ds_load_b32 v34, v32
	s_wait_dscnt 0x0
	v_add_f32_e32 v31, v31, v34
	s_wait_alu 0xfffe
	s_or_b32 exec_lo, exec_lo, s0
	s_and_saveexec_b32 s0, vcc_lo
	s_cbranch_execz .LBB357_109
.LBB357_182:
	ds_load_b32 v34, v32 offset:32
	s_wait_dscnt 0x0
	v_add_f32_e32 v29, v29, v34
	s_wait_alu 0xfffe
	s_or_b32 exec_lo, exec_lo, s0
	s_and_saveexec_b32 s0, vcc_lo
	s_cbranch_execz .LBB357_110
.LBB357_183:
	ds_load_b32 v34, v32 offset:64
	s_wait_dscnt 0x0
	v_add_f32_e32 v25, v25, v34
	s_wait_alu 0xfffe
	s_or_b32 exec_lo, exec_lo, s0
	s_and_saveexec_b32 s0, vcc_lo
	s_cbranch_execz .LBB357_111
.LBB357_184:
	ds_load_b32 v34, v32 offset:96
	s_wait_dscnt 0x0
	v_add_f32_e32 v24, v24, v34
	s_wait_alu 0xfffe
	s_or_b32 exec_lo, exec_lo, s0
	s_and_saveexec_b32 s0, vcc_lo
	s_cbranch_execz .LBB357_112
.LBB357_185:
	ds_load_b32 v34, v32 offset:128
	s_wait_dscnt 0x0
	v_add_f32_e32 v23, v23, v34
	s_wait_alu 0xfffe
	s_or_b32 exec_lo, exec_lo, s0
	s_and_saveexec_b32 s0, vcc_lo
	s_cbranch_execz .LBB357_113
.LBB357_186:
	ds_load_b32 v34, v32 offset:160
	s_wait_dscnt 0x0
	v_add_f32_e32 v21, v21, v34
	s_wait_alu 0xfffe
	s_or_b32 exec_lo, exec_lo, s0
	s_and_saveexec_b32 s0, vcc_lo
	s_cbranch_execz .LBB357_114
.LBB357_187:
	ds_load_b32 v34, v32 offset:192
	s_wait_dscnt 0x0
	v_add_f32_e32 v20, v20, v34
	s_wait_alu 0xfffe
	s_or_b32 exec_lo, exec_lo, s0
	s_and_saveexec_b32 s0, vcc_lo
	s_cbranch_execz .LBB357_115
.LBB357_188:
	ds_load_b32 v34, v32 offset:224
	s_wait_dscnt 0x0
	v_add_f32_e32 v22, v22, v34
	s_wait_alu 0xfffe
	s_or_b32 exec_lo, exec_lo, s0
	s_and_saveexec_b32 s0, vcc_lo
	s_cbranch_execz .LBB357_116
.LBB357_189:
	ds_load_b32 v34, v32 offset:256
	s_wait_dscnt 0x0
	v_add_f32_e32 v16, v16, v34
	s_wait_alu 0xfffe
	s_or_b32 exec_lo, exec_lo, s0
	s_and_saveexec_b32 s0, vcc_lo
	s_cbranch_execz .LBB357_117
.LBB357_190:
	ds_load_b32 v34, v32 offset:288
	s_wait_dscnt 0x0
	v_add_f32_e32 v14, v14, v34
	s_wait_alu 0xfffe
	s_or_b32 exec_lo, exec_lo, s0
	s_and_saveexec_b32 s0, vcc_lo
	s_cbranch_execz .LBB357_118
.LBB357_191:
	ds_load_b32 v34, v32 offset:320
	s_wait_dscnt 0x0
	v_add_f32_e32 v12, v12, v34
	s_wait_alu 0xfffe
	s_or_b32 exec_lo, exec_lo, s0
	s_and_saveexec_b32 s0, vcc_lo
	s_cbranch_execz .LBB357_119
.LBB357_192:
	ds_load_b32 v34, v32 offset:352
	s_wait_dscnt 0x0
	v_add_f32_e32 v11, v11, v34
	s_wait_alu 0xfffe
	s_or_b32 exec_lo, exec_lo, s0
	s_and_saveexec_b32 s0, vcc_lo
	s_cbranch_execz .LBB357_120
.LBB357_193:
	ds_load_b32 v34, v32 offset:384
	s_wait_dscnt 0x0
	v_add_f32_e32 v30, v30, v34
	s_wait_alu 0xfffe
	s_or_b32 exec_lo, exec_lo, s0
	s_and_saveexec_b32 s0, vcc_lo
	s_cbranch_execz .LBB357_121
.LBB357_194:
	ds_load_b32 v34, v32 offset:416
	s_wait_dscnt 0x0
	v_add_f32_e32 v27, v27, v34
	s_wait_alu 0xfffe
	s_or_b32 exec_lo, exec_lo, s0
	s_and_saveexec_b32 s0, vcc_lo
	s_cbranch_execz .LBB357_122
.LBB357_195:
	ds_load_b32 v34, v32 offset:448
	s_wait_dscnt 0x0
	v_add_f32_e32 v28, v28, v34
	s_wait_alu 0xfffe
	s_or_b32 exec_lo, exec_lo, s0
	s_and_saveexec_b32 s0, vcc_lo
	s_cbranch_execz .LBB357_123
.LBB357_196:
	ds_load_b32 v34, v32 offset:480
	s_wait_dscnt 0x0
	v_add_f32_e32 v26, v26, v34
	s_wait_alu 0xfffe
	s_or_b32 exec_lo, exec_lo, s0
	s_and_saveexec_b32 s0, vcc_lo
	s_cbranch_execz .LBB357_124
.LBB357_197:
	ds_load_b32 v34, v32 offset:512
	s_wait_dscnt 0x0
	v_add_f32_e32 v19, v19, v34
	s_wait_alu 0xfffe
	s_or_b32 exec_lo, exec_lo, s0
	s_and_saveexec_b32 s0, vcc_lo
	s_cbranch_execz .LBB357_125
.LBB357_198:
	ds_load_b32 v34, v32 offset:544
	s_wait_dscnt 0x0
	v_add_f32_e32 v18, v18, v34
	s_wait_alu 0xfffe
	s_or_b32 exec_lo, exec_lo, s0
	s_and_saveexec_b32 s0, vcc_lo
	s_cbranch_execz .LBB357_126
.LBB357_199:
	ds_load_b32 v34, v32 offset:576
	s_wait_dscnt 0x0
	v_add_f32_e32 v17, v17, v34
	s_wait_alu 0xfffe
	s_or_b32 exec_lo, exec_lo, s0
	s_and_saveexec_b32 s0, vcc_lo
	s_cbranch_execz .LBB357_127
.LBB357_200:
	ds_load_b32 v34, v32 offset:608
	s_wait_dscnt 0x0
	v_add_f32_e32 v15, v15, v34
	s_wait_alu 0xfffe
	s_or_b32 exec_lo, exec_lo, s0
	s_and_saveexec_b32 s0, vcc_lo
	s_cbranch_execz .LBB357_128
.LBB357_201:
	ds_load_b32 v34, v32 offset:640
	s_wait_dscnt 0x0
	v_add_f32_e32 v13, v13, v34
	s_wait_alu 0xfffe
	s_or_b32 exec_lo, exec_lo, s0
	s_and_saveexec_b32 s0, vcc_lo
	s_cbranch_execz .LBB357_129
.LBB357_202:
	ds_load_b32 v34, v32 offset:672
	s_wait_dscnt 0x0
	v_add_f32_e32 v10, v10, v34
	s_wait_alu 0xfffe
	s_or_b32 exec_lo, exec_lo, s0
	s_and_saveexec_b32 s0, vcc_lo
	s_cbranch_execz .LBB357_130
.LBB357_203:
	ds_load_b32 v34, v32 offset:704
	s_wait_dscnt 0x0
	v_add_f32_e32 v9, v9, v34
	s_wait_alu 0xfffe
	s_or_b32 exec_lo, exec_lo, s0
	s_and_saveexec_b32 s0, vcc_lo
	s_cbranch_execz .LBB357_131
.LBB357_204:
	ds_load_b32 v34, v32 offset:736
	s_wait_dscnt 0x0
	v_add_f32_e32 v8, v8, v34
	s_wait_alu 0xfffe
	s_or_b32 exec_lo, exec_lo, s0
	s_and_saveexec_b32 s0, vcc_lo
	s_cbranch_execz .LBB357_132
.LBB357_205:
	ds_load_b32 v34, v32 offset:768
	s_wait_dscnt 0x0
	v_add_f32_e32 v7, v7, v34
	s_wait_alu 0xfffe
	s_or_b32 exec_lo, exec_lo, s0
	s_and_saveexec_b32 s0, vcc_lo
	s_cbranch_execz .LBB357_133
.LBB357_206:
	ds_load_b32 v34, v32 offset:800
	s_wait_dscnt 0x0
	v_add_f32_e32 v6, v6, v34
	s_wait_alu 0xfffe
	s_or_b32 exec_lo, exec_lo, s0
	s_and_saveexec_b32 s0, vcc_lo
	s_cbranch_execz .LBB357_134
.LBB357_207:
	ds_load_b32 v34, v32 offset:832
	s_wait_dscnt 0x0
	v_add_f32_e32 v5, v5, v34
	s_wait_alu 0xfffe
	s_or_b32 exec_lo, exec_lo, s0
	s_and_saveexec_b32 s0, vcc_lo
	s_cbranch_execz .LBB357_135
.LBB357_208:
	ds_load_b32 v34, v32 offset:864
	s_wait_dscnt 0x0
	v_add_f32_e32 v4, v4, v34
	s_wait_alu 0xfffe
	s_or_b32 exec_lo, exec_lo, s0
	s_and_saveexec_b32 s0, vcc_lo
	s_cbranch_execz .LBB357_136
.LBB357_209:
	ds_load_b32 v34, v32 offset:896
	s_wait_dscnt 0x0
	v_add_f32_e32 v3, v3, v34
	s_wait_alu 0xfffe
	s_or_b32 exec_lo, exec_lo, s0
	s_and_saveexec_b32 s0, vcc_lo
	s_cbranch_execz .LBB357_137
.LBB357_210:
	ds_load_b32 v34, v32 offset:928
	s_wait_dscnt 0x0
	v_add_f32_e32 v0, v0, v34
	s_wait_alu 0xfffe
	s_or_b32 exec_lo, exec_lo, s0
	s_and_saveexec_b32 s0, vcc_lo
	s_cbranch_execz .LBB357_138
.LBB357_211:
	ds_load_b32 v34, v32 offset:960
	s_wait_dscnt 0x0
	v_add_f32_e32 v1, v1, v34
	s_wait_alu 0xfffe
	s_or_b32 exec_lo, exec_lo, s0
	s_and_saveexec_b32 s0, vcc_lo
	s_cbranch_execnz .LBB357_139
	s_branch .LBB357_140
.LBB357_212:
	ds_load_b32 v33, v32
	s_wait_dscnt 0x0
	v_add_f32_e32 v31, v31, v33
	s_wait_alu 0xfffe
	s_or_b32 exec_lo, exec_lo, s1
	s_and_saveexec_b32 s1, vcc_lo
	s_cbranch_execz .LBB357_146
.LBB357_213:
	ds_load_b32 v33, v32 offset:32
	s_wait_dscnt 0x0
	v_add_f32_e32 v29, v29, v33
	s_wait_alu 0xfffe
	s_or_b32 exec_lo, exec_lo, s1
	s_and_saveexec_b32 s1, vcc_lo
	s_cbranch_execz .LBB357_147
.LBB357_214:
	ds_load_b32 v33, v32 offset:64
	s_wait_dscnt 0x0
	v_add_f32_e32 v25, v25, v33
	s_wait_alu 0xfffe
	s_or_b32 exec_lo, exec_lo, s1
	s_and_saveexec_b32 s1, vcc_lo
	s_cbranch_execz .LBB357_148
.LBB357_215:
	ds_load_b32 v33, v32 offset:96
	s_wait_dscnt 0x0
	v_add_f32_e32 v24, v24, v33
	s_wait_alu 0xfffe
	s_or_b32 exec_lo, exec_lo, s1
	s_and_saveexec_b32 s1, vcc_lo
	s_cbranch_execz .LBB357_149
.LBB357_216:
	ds_load_b32 v33, v32 offset:128
	s_wait_dscnt 0x0
	v_add_f32_e32 v23, v23, v33
	s_wait_alu 0xfffe
	s_or_b32 exec_lo, exec_lo, s1
	s_and_saveexec_b32 s1, vcc_lo
	s_cbranch_execz .LBB357_150
.LBB357_217:
	ds_load_b32 v33, v32 offset:160
	s_wait_dscnt 0x0
	v_add_f32_e32 v21, v21, v33
	s_wait_alu 0xfffe
	s_or_b32 exec_lo, exec_lo, s1
	s_and_saveexec_b32 s1, vcc_lo
	s_cbranch_execz .LBB357_151
.LBB357_218:
	ds_load_b32 v33, v32 offset:192
	s_wait_dscnt 0x0
	v_add_f32_e32 v20, v20, v33
	s_wait_alu 0xfffe
	s_or_b32 exec_lo, exec_lo, s1
	s_and_saveexec_b32 s1, vcc_lo
	s_cbranch_execz .LBB357_152
.LBB357_219:
	ds_load_b32 v33, v32 offset:224
	s_wait_dscnt 0x0
	v_add_f32_e32 v22, v22, v33
	s_wait_alu 0xfffe
	s_or_b32 exec_lo, exec_lo, s1
	s_and_saveexec_b32 s1, vcc_lo
	s_cbranch_execz .LBB357_153
.LBB357_220:
	ds_load_b32 v33, v32 offset:256
	s_wait_dscnt 0x0
	v_add_f32_e32 v16, v16, v33
	s_wait_alu 0xfffe
	s_or_b32 exec_lo, exec_lo, s1
	s_and_saveexec_b32 s1, vcc_lo
	s_cbranch_execz .LBB357_154
.LBB357_221:
	ds_load_b32 v33, v32 offset:288
	s_wait_dscnt 0x0
	v_add_f32_e32 v14, v14, v33
	s_wait_alu 0xfffe
	s_or_b32 exec_lo, exec_lo, s1
	s_and_saveexec_b32 s1, vcc_lo
	s_cbranch_execz .LBB357_155
.LBB357_222:
	ds_load_b32 v33, v32 offset:320
	s_wait_dscnt 0x0
	v_add_f32_e32 v12, v12, v33
	s_wait_alu 0xfffe
	s_or_b32 exec_lo, exec_lo, s1
	s_and_saveexec_b32 s1, vcc_lo
	s_cbranch_execz .LBB357_156
.LBB357_223:
	ds_load_b32 v33, v32 offset:352
	s_wait_dscnt 0x0
	v_add_f32_e32 v11, v11, v33
	s_wait_alu 0xfffe
	s_or_b32 exec_lo, exec_lo, s1
	s_and_saveexec_b32 s1, vcc_lo
	s_cbranch_execz .LBB357_157
.LBB357_224:
	ds_load_b32 v33, v32 offset:384
	s_wait_dscnt 0x0
	v_add_f32_e32 v30, v30, v33
	s_wait_alu 0xfffe
	s_or_b32 exec_lo, exec_lo, s1
	s_and_saveexec_b32 s1, vcc_lo
	s_cbranch_execz .LBB357_158
.LBB357_225:
	ds_load_b32 v33, v32 offset:416
	s_wait_dscnt 0x0
	v_add_f32_e32 v27, v27, v33
	s_wait_alu 0xfffe
	s_or_b32 exec_lo, exec_lo, s1
	s_and_saveexec_b32 s1, vcc_lo
	s_cbranch_execz .LBB357_159
.LBB357_226:
	ds_load_b32 v33, v32 offset:448
	s_wait_dscnt 0x0
	v_add_f32_e32 v28, v28, v33
	s_wait_alu 0xfffe
	s_or_b32 exec_lo, exec_lo, s1
	s_and_saveexec_b32 s1, vcc_lo
	s_cbranch_execz .LBB357_160
.LBB357_227:
	ds_load_b32 v33, v32 offset:480
	s_wait_dscnt 0x0
	v_add_f32_e32 v26, v26, v33
	s_wait_alu 0xfffe
	s_or_b32 exec_lo, exec_lo, s1
	s_and_saveexec_b32 s1, vcc_lo
	s_cbranch_execz .LBB357_161
.LBB357_228:
	ds_load_b32 v33, v32 offset:512
	s_wait_dscnt 0x0
	v_add_f32_e32 v19, v19, v33
	s_wait_alu 0xfffe
	s_or_b32 exec_lo, exec_lo, s1
	s_and_saveexec_b32 s1, vcc_lo
	s_cbranch_execz .LBB357_162
.LBB357_229:
	ds_load_b32 v33, v32 offset:544
	s_wait_dscnt 0x0
	v_add_f32_e32 v18, v18, v33
	s_wait_alu 0xfffe
	s_or_b32 exec_lo, exec_lo, s1
	s_and_saveexec_b32 s1, vcc_lo
	s_cbranch_execz .LBB357_163
.LBB357_230:
	ds_load_b32 v33, v32 offset:576
	s_wait_dscnt 0x0
	v_add_f32_e32 v17, v17, v33
	s_wait_alu 0xfffe
	s_or_b32 exec_lo, exec_lo, s1
	s_and_saveexec_b32 s1, vcc_lo
	s_cbranch_execz .LBB357_164
.LBB357_231:
	ds_load_b32 v33, v32 offset:608
	s_wait_dscnt 0x0
	v_add_f32_e32 v15, v15, v33
	s_wait_alu 0xfffe
	s_or_b32 exec_lo, exec_lo, s1
	s_and_saveexec_b32 s1, vcc_lo
	s_cbranch_execz .LBB357_165
.LBB357_232:
	ds_load_b32 v33, v32 offset:640
	s_wait_dscnt 0x0
	v_add_f32_e32 v13, v13, v33
	s_wait_alu 0xfffe
	s_or_b32 exec_lo, exec_lo, s1
	s_and_saveexec_b32 s1, vcc_lo
	s_cbranch_execz .LBB357_166
.LBB357_233:
	ds_load_b32 v33, v32 offset:672
	s_wait_dscnt 0x0
	v_add_f32_e32 v10, v10, v33
	s_wait_alu 0xfffe
	s_or_b32 exec_lo, exec_lo, s1
	s_and_saveexec_b32 s1, vcc_lo
	s_cbranch_execz .LBB357_167
.LBB357_234:
	ds_load_b32 v33, v32 offset:704
	s_wait_dscnt 0x0
	v_add_f32_e32 v9, v9, v33
	s_wait_alu 0xfffe
	s_or_b32 exec_lo, exec_lo, s1
	s_and_saveexec_b32 s1, vcc_lo
	s_cbranch_execz .LBB357_168
.LBB357_235:
	ds_load_b32 v33, v32 offset:736
	s_wait_dscnt 0x0
	v_add_f32_e32 v8, v8, v33
	s_wait_alu 0xfffe
	s_or_b32 exec_lo, exec_lo, s1
	s_and_saveexec_b32 s1, vcc_lo
	s_cbranch_execz .LBB357_169
.LBB357_236:
	ds_load_b32 v33, v32 offset:768
	s_wait_dscnt 0x0
	v_add_f32_e32 v7, v7, v33
	s_wait_alu 0xfffe
	s_or_b32 exec_lo, exec_lo, s1
	s_and_saveexec_b32 s1, vcc_lo
	s_cbranch_execz .LBB357_170
.LBB357_237:
	ds_load_b32 v33, v32 offset:800
	s_wait_dscnt 0x0
	v_add_f32_e32 v6, v6, v33
	s_wait_alu 0xfffe
	s_or_b32 exec_lo, exec_lo, s1
	s_and_saveexec_b32 s1, vcc_lo
	s_cbranch_execz .LBB357_171
.LBB357_238:
	ds_load_b32 v33, v32 offset:832
	s_wait_dscnt 0x0
	v_add_f32_e32 v5, v5, v33
	s_wait_alu 0xfffe
	s_or_b32 exec_lo, exec_lo, s1
	s_and_saveexec_b32 s1, vcc_lo
	s_cbranch_execz .LBB357_172
.LBB357_239:
	ds_load_b32 v33, v32 offset:864
	s_wait_dscnt 0x0
	v_add_f32_e32 v4, v4, v33
	s_wait_alu 0xfffe
	s_or_b32 exec_lo, exec_lo, s1
	s_and_saveexec_b32 s1, vcc_lo
	s_cbranch_execz .LBB357_173
.LBB357_240:
	ds_load_b32 v33, v32 offset:896
	s_wait_dscnt 0x0
	v_add_f32_e32 v3, v3, v33
	s_wait_alu 0xfffe
	s_or_b32 exec_lo, exec_lo, s1
	s_and_saveexec_b32 s1, vcc_lo
	s_cbranch_execz .LBB357_174
.LBB357_241:
	ds_load_b32 v33, v32 offset:928
	s_wait_dscnt 0x0
	v_add_f32_e32 v0, v0, v33
	s_wait_alu 0xfffe
	s_or_b32 exec_lo, exec_lo, s1
	s_and_saveexec_b32 s1, vcc_lo
	s_cbranch_execz .LBB357_175
.LBB357_242:
	ds_load_b32 v33, v32 offset:960
	s_wait_dscnt 0x0
	v_add_f32_e32 v1, v1, v33
	s_wait_alu 0xfffe
	s_or_b32 exec_lo, exec_lo, s1
	s_and_saveexec_b32 s1, vcc_lo
	s_cbranch_execnz .LBB357_176
	s_branch .LBB357_177
	.section	.rodata,"a",@progbits
	.p2align	6, 0x0
	.amdhsa_kernel _ZN4vllm25paged_attention_v2_kernelI14__hip_bfloat16hLi256ELi32ELi128ELNS_18Fp8KVCacheDataTypeE1ELb1ELi512EEEvPfS3_PT_PKS4_PKT0_SA_ifPKiSC_iPKfiiiSE_SE_iiiii
		.amdhsa_group_segment_fixed_size 544
		.amdhsa_private_segment_fixed_size 1692
		.amdhsa_kernarg_size 400
		.amdhsa_user_sgpr_count 2
		.amdhsa_user_sgpr_dispatch_ptr 0
		.amdhsa_user_sgpr_queue_ptr 0
		.amdhsa_user_sgpr_kernarg_segment_ptr 1
		.amdhsa_user_sgpr_dispatch_id 0
		.amdhsa_user_sgpr_private_segment_size 0
		.amdhsa_wavefront_size32 1
		.amdhsa_uses_dynamic_stack 0
		.amdhsa_enable_private_segment 1
		.amdhsa_system_sgpr_workgroup_id_x 1
		.amdhsa_system_sgpr_workgroup_id_y 1
		.amdhsa_system_sgpr_workgroup_id_z 1
		.amdhsa_system_sgpr_workgroup_info 0
		.amdhsa_system_vgpr_workitem_id 0
		.amdhsa_next_free_vgpr 192
		.amdhsa_next_free_sgpr 43
		.amdhsa_reserve_vcc 1
		.amdhsa_float_round_mode_32 0
		.amdhsa_float_round_mode_16_64 0
		.amdhsa_float_denorm_mode_32 3
		.amdhsa_float_denorm_mode_16_64 3
		.amdhsa_fp16_overflow 0
		.amdhsa_workgroup_processor_mode 1
		.amdhsa_memory_ordered 1
		.amdhsa_forward_progress 1
		.amdhsa_inst_pref_size 255
		.amdhsa_round_robin_scheduling 0
		.amdhsa_exception_fp_ieee_invalid_op 0
		.amdhsa_exception_fp_denorm_src 0
		.amdhsa_exception_fp_ieee_div_zero 0
		.amdhsa_exception_fp_ieee_overflow 0
		.amdhsa_exception_fp_ieee_underflow 0
		.amdhsa_exception_fp_ieee_inexact 0
		.amdhsa_exception_int_div_zero 0
	.end_amdhsa_kernel
	.section	.text._ZN4vllm25paged_attention_v2_kernelI14__hip_bfloat16hLi256ELi32ELi128ELNS_18Fp8KVCacheDataTypeE1ELb1ELi512EEEvPfS3_PT_PKS4_PKT0_SA_ifPKiSC_iPKfiiiSE_SE_iiiii,"axG",@progbits,_ZN4vllm25paged_attention_v2_kernelI14__hip_bfloat16hLi256ELi32ELi128ELNS_18Fp8KVCacheDataTypeE1ELb1ELi512EEEvPfS3_PT_PKS4_PKT0_SA_ifPKiSC_iPKfiiiSE_SE_iiiii,comdat
.Lfunc_end357:
	.size	_ZN4vllm25paged_attention_v2_kernelI14__hip_bfloat16hLi256ELi32ELi128ELNS_18Fp8KVCacheDataTypeE1ELb1ELi512EEEvPfS3_PT_PKS4_PKT0_SA_ifPKiSC_iPKfiiiSE_SE_iiiii, .Lfunc_end357-_ZN4vllm25paged_attention_v2_kernelI14__hip_bfloat16hLi256ELi32ELi128ELNS_18Fp8KVCacheDataTypeE1ELb1ELi512EEEvPfS3_PT_PKS4_PKT0_SA_ifPKiSC_iPKfiiiSE_SE_iiiii
                                        ; -- End function
	.set _ZN4vllm25paged_attention_v2_kernelI14__hip_bfloat16hLi256ELi32ELi128ELNS_18Fp8KVCacheDataTypeE1ELb1ELi512EEEvPfS3_PT_PKS4_PKT0_SA_ifPKiSC_iPKfiiiSE_SE_iiiii.num_vgpr, 192
	.set _ZN4vllm25paged_attention_v2_kernelI14__hip_bfloat16hLi256ELi32ELi128ELNS_18Fp8KVCacheDataTypeE1ELb1ELi512EEEvPfS3_PT_PKS4_PKT0_SA_ifPKiSC_iPKfiiiSE_SE_iiiii.num_agpr, 0
	.set _ZN4vllm25paged_attention_v2_kernelI14__hip_bfloat16hLi256ELi32ELi128ELNS_18Fp8KVCacheDataTypeE1ELb1ELi512EEEvPfS3_PT_PKS4_PKT0_SA_ifPKiSC_iPKfiiiSE_SE_iiiii.numbered_sgpr, 43
	.set _ZN4vllm25paged_attention_v2_kernelI14__hip_bfloat16hLi256ELi32ELi128ELNS_18Fp8KVCacheDataTypeE1ELb1ELi512EEEvPfS3_PT_PKS4_PKT0_SA_ifPKiSC_iPKfiiiSE_SE_iiiii.num_named_barrier, 0
	.set _ZN4vllm25paged_attention_v2_kernelI14__hip_bfloat16hLi256ELi32ELi128ELNS_18Fp8KVCacheDataTypeE1ELb1ELi512EEEvPfS3_PT_PKS4_PKT0_SA_ifPKiSC_iPKfiiiSE_SE_iiiii.private_seg_size, 1692
	.set _ZN4vllm25paged_attention_v2_kernelI14__hip_bfloat16hLi256ELi32ELi128ELNS_18Fp8KVCacheDataTypeE1ELb1ELi512EEEvPfS3_PT_PKS4_PKT0_SA_ifPKiSC_iPKfiiiSE_SE_iiiii.uses_vcc, 1
	.set _ZN4vllm25paged_attention_v2_kernelI14__hip_bfloat16hLi256ELi32ELi128ELNS_18Fp8KVCacheDataTypeE1ELb1ELi512EEEvPfS3_PT_PKS4_PKT0_SA_ifPKiSC_iPKfiiiSE_SE_iiiii.uses_flat_scratch, 1
	.set _ZN4vllm25paged_attention_v2_kernelI14__hip_bfloat16hLi256ELi32ELi128ELNS_18Fp8KVCacheDataTypeE1ELb1ELi512EEEvPfS3_PT_PKS4_PKT0_SA_ifPKiSC_iPKfiiiSE_SE_iiiii.has_dyn_sized_stack, 0
	.set _ZN4vllm25paged_attention_v2_kernelI14__hip_bfloat16hLi256ELi32ELi128ELNS_18Fp8KVCacheDataTypeE1ELb1ELi512EEEvPfS3_PT_PKS4_PKT0_SA_ifPKiSC_iPKfiiiSE_SE_iiiii.has_recursion, 0
	.set _ZN4vllm25paged_attention_v2_kernelI14__hip_bfloat16hLi256ELi32ELi128ELNS_18Fp8KVCacheDataTypeE1ELb1ELi512EEEvPfS3_PT_PKS4_PKT0_SA_ifPKiSC_iPKfiiiSE_SE_iiiii.has_indirect_call, 0
	.section	.AMDGPU.csdata,"",@progbits
; Kernel info:
; codeLenInByte = 96060
; TotalNumSgprs: 45
; NumVgprs: 192
; ScratchSize: 1692
; MemoryBound: 0
; FloatMode: 240
; IeeeMode: 1
; LDSByteSize: 544 bytes/workgroup (compile time only)
; SGPRBlocks: 0
; VGPRBlocks: 23
; NumSGPRsForWavesPerEU: 45
; NumVGPRsForWavesPerEU: 192
; Occupancy: 8
; WaveLimiterHint : 1
; COMPUTE_PGM_RSRC2:SCRATCH_EN: 1
; COMPUTE_PGM_RSRC2:USER_SGPR: 2
; COMPUTE_PGM_RSRC2:TRAP_HANDLER: 0
; COMPUTE_PGM_RSRC2:TGID_X_EN: 1
; COMPUTE_PGM_RSRC2:TGID_Y_EN: 1
; COMPUTE_PGM_RSRC2:TGID_Z_EN: 1
; COMPUTE_PGM_RSRC2:TIDIG_COMP_CNT: 0
	.section	.text._ZN4vllm25paged_attention_v2_kernelI14__hip_bfloat16hLi32ELi32ELi128ELNS_18Fp8KVCacheDataTypeE1ELb0ELi512EEEvPfS3_PT_PKS4_PKT0_SA_ifPKiSC_iPKfiiiSE_SE_iiiii,"axG",@progbits,_ZN4vllm25paged_attention_v2_kernelI14__hip_bfloat16hLi32ELi32ELi128ELNS_18Fp8KVCacheDataTypeE1ELb0ELi512EEEvPfS3_PT_PKS4_PKT0_SA_ifPKiSC_iPKfiiiSE_SE_iiiii,comdat
	.protected	_ZN4vllm25paged_attention_v2_kernelI14__hip_bfloat16hLi32ELi32ELi128ELNS_18Fp8KVCacheDataTypeE1ELb0ELi512EEEvPfS3_PT_PKS4_PKT0_SA_ifPKiSC_iPKfiiiSE_SE_iiiii ; -- Begin function _ZN4vllm25paged_attention_v2_kernelI14__hip_bfloat16hLi32ELi32ELi128ELNS_18Fp8KVCacheDataTypeE1ELb0ELi512EEEvPfS3_PT_PKS4_PKT0_SA_ifPKiSC_iPKfiiiSE_SE_iiiii
	.globl	_ZN4vllm25paged_attention_v2_kernelI14__hip_bfloat16hLi32ELi32ELi128ELNS_18Fp8KVCacheDataTypeE1ELb0ELi512EEEvPfS3_PT_PKS4_PKT0_SA_ifPKiSC_iPKfiiiSE_SE_iiiii
	.p2align	8
	.type	_ZN4vllm25paged_attention_v2_kernelI14__hip_bfloat16hLi32ELi32ELi128ELNS_18Fp8KVCacheDataTypeE1ELb0ELi512EEEvPfS3_PT_PKS4_PKT0_SA_ifPKiSC_iPKfiiiSE_SE_iiiii,@function
_ZN4vllm25paged_attention_v2_kernelI14__hip_bfloat16hLi32ELi32ELi128ELNS_18Fp8KVCacheDataTypeE1ELb0ELi512EEEvPfS3_PT_PKS4_PKT0_SA_ifPKiSC_iPKfiiiSE_SE_iiiii: ; @_ZN4vllm25paged_attention_v2_kernelI14__hip_bfloat16hLi32ELi32ELi128ELNS_18Fp8KVCacheDataTypeE1ELb0ELi512EEEvPfS3_PT_PKS4_PKT0_SA_ifPKiSC_iPKfiiiSE_SE_iiiii
; %bb.0:
	s_load_b64 s[2:3], s[0:1], 0x40
	s_and_b32 s55, ttmp7, 0xffff
	s_lshr_b32 s52, ttmp7, 16
	s_lshl_b32 s4, s55, 2
	s_lshl_b32 s54, s52, 9
	s_wait_kmcnt 0x0
	s_load_b32 s53, s[2:3], s4 offset:0x0
	s_wait_kmcnt 0x0
	s_cmp_ge_i32 s54, s53
	s_cbranch_scc1 .LBB358_58
; %bb.1:
	s_clause 0x1
	s_load_b32 s56, s[0:1], 0x90
	s_load_b64 s[50:51], s[0:1], 0x30
	s_wait_kmcnt 0x0
	s_abs_i32 s5, s56
	s_abs_i32 s2, s50
	s_delay_alu instid0(SALU_CYCLE_1) | instskip(SKIP_1) | instid1(SALU_CYCLE_2)
	s_cvt_f32_u32 s3, s2
	s_sub_co_i32 s4, 0, s2
	v_rcp_iflag_f32_e32 v1, s3
	s_delay_alu instid0(TRANS32_DEP_1) | instskip(SKIP_2) | instid1(SALU_CYCLE_2)
	v_readfirstlane_b32 s3, v1
	s_mul_f32 s3, s3, 0x4f7ffffe
	s_wait_alu 0xfffe
	s_cvt_u32_f32 s3, s3
	s_wait_alu 0xfffe
	s_delay_alu instid0(SALU_CYCLE_2) | instskip(NEXT) | instid1(SALU_CYCLE_1)
	s_mul_i32 s4, s4, s3
	s_mul_hi_u32 s4, s3, s4
	s_delay_alu instid0(SALU_CYCLE_1)
	s_add_co_i32 s3, s3, s4
	s_xor_b32 s4, s56, s50
	s_wait_alu 0xfffe
	s_mul_hi_u32 s3, s5, s3
	s_ashr_i32 s4, s4, 31
	s_wait_alu 0xfffe
	s_mul_i32 s6, s3, s2
	s_delay_alu instid0(SALU_CYCLE_1)
	s_sub_co_i32 s5, s5, s6
	s_add_co_i32 s6, s3, 1
	s_sub_co_i32 s7, s5, s2
	s_cmp_ge_u32 s5, s2
	s_cselect_b32 s3, s6, s3
	s_cselect_b32 s5, s7, s5
	s_wait_alu 0xfffe
	s_add_co_i32 s6, s3, 1
	s_cmp_ge_u32 s5, s2
	s_cselect_b32 s2, s6, s3
	s_load_b64 s[6:7], s[0:1], 0x50
	s_xor_b32 s2, s2, s4
	s_mov_b32 s3, 0
	s_wait_alu 0xfffe
	s_sub_co_i32 s9, s2, s4
	s_mov_b32 s58, s3
	s_abs_i32 s8, s9
	s_delay_alu instid0(SALU_CYCLE_1) | instskip(SKIP_1) | instid1(SALU_CYCLE_2)
	s_cvt_f32_u32 s2, s8
	s_wait_alu 0xfffe
	v_rcp_iflag_f32_e32 v1, s2
	s_delay_alu instid0(TRANS32_DEP_1) | instskip(SKIP_2) | instid1(SALU_CYCLE_2)
	v_readfirstlane_b32 s2, v1
	s_mul_f32 s2, s2, 0x4f7ffffe
	s_wait_alu 0xfffe
	s_cvt_u32_f32 s4, s2
	s_sub_co_i32 s2, 0, s8
	s_wait_alu 0xfffe
	s_delay_alu instid0(SALU_CYCLE_1)
	s_mul_i32 s2, s2, s4
	s_wait_alu 0xfffe
	s_mul_hi_u32 s5, s4, s2
	s_abs_i32 s2, ttmp9
	s_add_co_i32 s4, s4, s5
	s_mov_b32 s5, s3
	s_wait_kmcnt 0x0
	s_cmp_eq_u64 s[6:7], 0
	s_cbranch_scc1 .LBB358_3
; %bb.2:
	s_mov_b32 s10, ttmp9
	s_ashr_i32 s11, ttmp9, 31
	s_delay_alu instid0(SALU_CYCLE_1) | instskip(NEXT) | instid1(SALU_CYCLE_1)
	s_lshl_b64 s[10:11], s[10:11], 2
	s_add_nc_u64 s[6:7], s[6:7], s[10:11]
	s_load_b32 s58, s[6:7], 0x0
.LBB358_3:
	s_load_b96 s[40:42], s[0:1], 0x58
	s_mul_u64 s[4:5], s[2:3], s[4:5]
	s_ashr_i32 s3, ttmp9, 31
	s_ashr_i32 s4, s9, 31
	s_lshl_b32 s44, ttmp9, 5
	s_mov_b32 s6, exec_lo
	v_cmpx_gt_u32_e32 4, v0
	s_cbranch_execz .LBB358_5
; %bb.4:
	s_load_b64 s[10:11], s[0:1], 0x18
	s_wait_kmcnt 0x0
	s_mul_i32 s12, s40, s55
	s_ashr_i32 s45, s44, 31
	s_ashr_i32 s13, s12, 31
	v_lshlrev_b32_e32 v5, 4, v0
	s_lshl_b64 s[12:13], s[12:13], 1
	s_delay_alu instid0(SALU_CYCLE_1) | instskip(SKIP_1) | instid1(SALU_CYCLE_1)
	s_add_nc_u64 s[10:11], s[10:11], s[12:13]
	s_lshl_b64 s[12:13], s[44:45], 1
	s_add_nc_u64 s[10:11], s[10:11], s[12:13]
	global_load_b128 v[1:4], v5, s[10:11]
	s_wait_loadcnt 0x0
	ds_store_b128 v5, v[1:4]
.LBB358_5:
	s_or_b32 exec_lo, exec_lo, s6
	s_add_co_i32 s6, s53, 31
	s_lshl_b32 s57, s52, 4
	s_ashr_i32 s7, s6, 31
	s_wait_alu 0xfffe
	s_xor_b32 s3, s3, s4
	s_lshr_b32 s7, s7, 27
	s_add_co_i32 s4, s57, 16
	s_add_co_i32 s6, s6, s7
	v_lshrrev_b32_e32 v15, 5, v0
	s_ashr_i32 s50, s6, 5
	s_mul_i32 s6, s5, s8
	s_min_i32 s45, s4, s50
	s_clause 0x1
	s_load_b64 s[46:47], s[0:1], 0x38
	s_load_b32 s4, s[0:1], 0x48
	s_wait_kmcnt 0x0
	s_clause 0x1
	s_load_b32 s40, s[0:1], 0x98
	s_load_b128 s[36:39], s[0:1], 0x68
	s_sub_co_i32 s2, s2, s6
	s_add_co_i32 s6, s5, 1
	s_wait_alu 0xfffe
	s_sub_co_i32 s7, s2, s8
	s_cmp_ge_u32 s2, s8
	v_and_b32_e32 v16, 31, v0
	s_cselect_b32 s5, s6, s5
	s_cselect_b32 s2, s7, s2
	s_add_co_i32 s6, s5, 1
	s_wait_alu 0xfffe
	s_cmp_ge_u32 s2, s8
	v_dual_mov_b32 v34, 0xff7fffff :: v_dual_add_nc_u32 v17, s57, v15
	s_cselect_b32 s2, s6, s5
	v_lshlrev_b32_e32 v14, 2, v16
	s_wait_alu 0xfffe
	s_xor_b32 s2, s2, s3
	v_lshlrev_b32_e32 v13, 2, v17
	s_wait_alu 0xfffe
	s_sub_co_i32 s3, s2, s3
	v_cmp_gt_i32_e64 s2, s45, v17
	s_wait_alu 0xfffe
	s_mul_i32 s42, s3, s42
	s_mul_i32 s48, s4, s55
	s_wait_dscnt 0x0
	s_ashr_i32 s49, s48, 31
	s_barrier_signal -1
	s_barrier_wait -1
	global_inv scope:SCOPE_SE
	s_and_saveexec_b32 s59, s2
	s_cbranch_execz .LBB358_9
; %bb.6:
	s_load_b64 s[4:5], s[0:1], 0x20
	v_dual_mov_b32 v9, 0 :: v_dual_lshlrev_b32 v10, 4, v16
	s_ashr_i32 s43, s42, 31
	s_cmp_neq_f32 s58, 0
	ds_load_b128 v[1:4], v9
	ds_load_b128 v[5:8], v9 offset:16
	ds_load_b128 v[39:42], v9 offset:32
	;; [unrolled: 1-line block ×3, first 2 shown]
	s_wait_kmcnt 0x0
	s_load_b32 s36, s[36:37], 0x0
	s_cselect_b32 vcc_lo, -1, 0
	s_mov_b32 s37, 0
	s_sub_co_i32 s60, 1, s53
	v_dual_mov_b32 v34, 0xff7fffff :: v_dual_mov_b32 v53, v17
	s_add_nc_u64 s[4:5], s[4:5], s[42:43]
	s_mov_b32 s43, s41
	v_add_co_u32 v9, s3, s4, v10
	s_wait_alu 0xf1ff
	v_add_co_ci_u32_e64 v10, null, s5, 0, s3
	s_lshl_b64 s[4:5], s[48:49], 2
	s_wait_dscnt 0x3
	v_lshlrev_b32_e32 v18, 16, v1
	v_and_b32_e32 v19, 0xffff0000, v1
	v_lshlrev_b32_e32 v20, 16, v2
	v_and_b32_e32 v21, 0xffff0000, v2
	v_lshlrev_b32_e32 v1, 5, v15
	v_lshl_or_b32 v2, v15, 7, v14
	s_wait_alu 0xfffe
	s_add_nc_u64 s[4:5], s[46:47], s[4:5]
	v_lshlrev_b32_e32 v22, 16, v3
	s_wait_alu 0xfffe
	v_add_co_u32 v11, s3, s4, v13
	v_and_b32_e32 v23, 0xffff0000, v3
	v_lshlrev_b32_e32 v24, 16, v4
	v_and_b32_e32 v25, 0xffff0000, v4
	s_wait_dscnt 0x2
	v_lshlrev_b32_e32 v26, 16, v5
	v_and_b32_e32 v27, 0xffff0000, v5
	v_lshlrev_b32_e32 v28, 16, v6
	v_and_b32_e32 v29, 0xffff0000, v6
	v_lshlrev_b32_e32 v30, 16, v7
	v_and_b32_e32 v31, 0xffff0000, v7
	v_lshlrev_b32_e32 v32, 16, v8
	v_and_b32_e32 v33, 0xffff0000, v8
	s_wait_dscnt 0x1
	v_lshlrev_b32_e32 v35, 16, v39
	v_and_b32_e32 v36, 0xffff0000, v39
	v_lshlrev_b32_e32 v37, 16, v40
	v_and_b32_e32 v38, 0xffff0000, v40
	v_lshlrev_b32_e32 v39, 16, v41
	;; [unrolled: 9-line block ×3, first 2 shown]
	v_and_b32_e32 v48, 0xffff0000, v49
	v_lshlrev_b32_e32 v49, 16, v50
	v_and_b32_e32 v50, 0xffff0000, v50
	v_add3_u32 v51, s54, v1, v16
	v_add_nc_u32_e32 v52, 0x60, v2
	s_wait_alu 0xf1ff
	v_add_co_ci_u32_e64 v12, null, s5, 0, s3
.LBB358_7:                              ; =>This Inner Loop Header: Depth=1
	global_load_b32 v1, v[11:12], off
	v_add_nc_u32_e32 v53, 4, v53
	s_wait_loadcnt 0x0
	v_mad_co_i64_i32 v[5:6], null, v1, s43, v[9:10]
	s_clause 0x1
	global_load_b128 v[1:4], v[5:6], off
	global_load_b128 v[5:8], v[5:6], off offset:512
	s_wait_loadcnt 0x1
	v_bfe_u32 v55, v1, 8, 8
	v_bfe_u32 v56, v1, 16, 8
	;; [unrolled: 1-line block ×6, first 2 shown]
	v_cvt_f32_fp8_e32 v55, v55
	v_and_b32_e32 v54, 0xff, v1
	v_lshrrev_b32_e32 v1, 24, v1
	v_cvt_f32_fp8_e32 v56, v56
	v_and_b32_e32 v57, 0xff, v2
	v_lshrrev_b32_e32 v2, 24, v2
	v_bfe_u32 v64, v4, 8, 8
	v_bfe_u32 v65, v4, 16, 8
	v_cvt_f32_fp8_e32 v1, v1
	v_and_b32_e32 v60, 0xff, v3
	v_lshrrev_b32_e32 v3, 24, v3
	v_cvt_f32_fp8_e32 v58, v58
	v_and_b32_e32 v63, 0xff, v4
	v_cvt_f32_fp8_e32 v59, v59
	s_wait_loadcnt 0x0
	v_and_b32_e32 v66, 0xff, v5
	v_cvt_f32_fp8_e32 v61, v61
	v_cvt_f32_fp8_e32 v62, v62
	s_wait_kmcnt 0x0
	v_mul_f32_e32 v56, s36, v56
	v_cvt_f32_fp8_e32 v57, v57
	v_lshrrev_b32_e32 v4, 24, v4
	v_bfe_u32 v67, v5, 8, 8
	v_bfe_u32 v68, v5, 16, 8
	v_lshrrev_b32_e32 v5, 24, v5
	v_dual_mul_f32 v57, s36, v57 :: v_dual_and_b32 v72, 0xff, v7
	v_cvt_f32_fp8_e32 v2, v2
	v_cvt_f32_fp8_e32 v3, v3
	;; [unrolled: 1-line block ×4, first 2 shown]
	v_mul_f32_e32 v55, s36, v55
	v_mul_f32_e32 v1, s36, v1
	v_cvt_f32_fp8_e32 v60, v60
	v_mul_f32_e32 v58, s36, v58
	v_cvt_f32_fp8_e32 v63, v63
	;; [unrolled: 2-line block ×3, first 2 shown]
	v_dual_mul_f32 v61, s36, v61 :: v_dual_mul_f32 v62, s36, v62
	v_dual_mul_f32 v60, s36, v60 :: v_dual_and_b32 v69, 0xff, v6
	v_bfe_u32 v70, v6, 8, 8
	v_bfe_u32 v71, v6, 16, 8
	v_lshrrev_b32_e32 v6, 24, v6
	v_dual_mul_f32 v2, s36, v2 :: v_dual_and_b32 v75, 0xff, v8
	v_cvt_f32_fp8_e32 v4, v4
	v_cvt_f32_fp8_e32 v67, v67
	;; [unrolled: 1-line block ×4, first 2 shown]
	v_dual_mul_f32 v3, s36, v3 :: v_dual_mul_f32 v64, s36, v64
	v_dual_mul_f32 v63, s36, v63 :: v_dual_mul_f32 v4, s36, v4
	;; [unrolled: 1-line block ×3, first 2 shown]
	v_bfe_u32 v78, v55, 16, 1
	v_bfe_u32 v80, v56, 16, 1
	;; [unrolled: 1-line block ×5, first 2 shown]
	v_cvt_f32_fp8_e32 v69, v69
	v_dual_mul_f32 v67, s36, v67 :: v_dual_mul_f32 v68, s36, v68
	v_or_b32_e32 v79, 0x400000, v55
	v_or_b32_e32 v81, 0x400000, v56
	v_or_b32_e32 v85, 0x400000, v57
	v_bfe_u32 v86, v58, 16, 1
	v_or_b32_e32 v89, 0x400000, v59
	v_bfe_u32 v90, v2, 16, 1
	v_bfe_u32 v92, v60, 16, 1
	;; [unrolled: 1-line block ×3, first 2 shown]
	v_add3_u32 v78, v78, v55, 0x7fff
	v_cmp_u_f32_e64 s9, v55, v55
	v_or_b32_e32 v55, 0x400000, v62
	v_add3_u32 v80, v80, v56, 0x7fff
	v_cmp_u_f32_e64 s10, v56, v56
	v_bfe_u32 v56, v63, 16, 1
	v_add3_u32 v84, v84, v57, 0x7fff
	v_cmp_u_f32_e64 s12, v57, v57
	v_bfe_u32 v57, v64, 16, 1
	;; [unrolled: 3-line block ×4, first 2 shown]
	v_cvt_f32_fp8_e32 v6, v6
	v_mul_f32_e32 v5, s36, v5
	v_mul_f32_e32 v69, s36, v69
	v_bfe_u32 v82, v1, 16, 1
	v_or_b32_e32 v87, 0x400000, v58
	v_or_b32_e32 v91, 0x400000, v2
	v_or_b32_e32 v93, 0x400000, v60
	v_or_b32_e32 v95, 0x400000, v61
	v_bfe_u32 v97, v3, 16, 1
	v_add3_u32 v86, v86, v58, 0x7fff
	v_cmp_u_f32_e64 s13, v58, v58
	v_or_b32_e32 v58, 0x400000, v63
	v_add3_u32 v90, v90, v2, 0x7fff
	v_cmp_u_f32_e64 s15, v2, v2
	v_or_b32_e32 v2, 0x400000, v64
	v_add3_u32 v92, v92, v60, 0x7fff
	v_cmp_u_f32_e64 s16, v60, v60
	v_bfe_u32 v60, v4, 16, 1
	v_add3_u32 v94, v94, v61, 0x7fff
	v_cmp_u_f32_e64 s17, v61, v61
	v_or_b32_e32 v61, 0x400000, v65
	v_add3_u32 v56, v56, v63, 0x7fff
	v_cmp_u_f32_e64 s20, v63, v63
	v_bfe_u32 v63, v67, 16, 1
	;; [unrolled: 6-line block ×3, first 2 shown]
	v_add3_u32 v62, v62, v66, 0x7fff
	v_cmp_u_f32_e64 s5, v66, v66
	v_mul_f32_e32 v6, s36, v6
	v_bfe_u32 v66, v5, 16, 1
	v_or_b32_e32 v83, 0x400000, v1
	v_add3_u32 v82, v82, v1, 0x7fff
	v_cmp_u_f32_e64 s11, v1, v1
	v_or_b32_e32 v1, 0x400000, v3
	v_add3_u32 v97, v97, v3, 0x7fff
	v_cmp_u_f32_e64 s19, v3, v3
	;; [unrolled: 3-line block ×6, first 2 shown]
	v_bfe_u32 v5, v69, 16, 1
	v_or_b32_e32 v98, 0x400000, v69
	v_cmp_u_f32_e64 s22, v69, v69
	v_or_b32_e32 v101, 0x400000, v6
	v_cmp_u_f32_e64 s25, v6, v6
	v_add3_u32 v5, v5, v69, 0x7fff
	v_cvt_f32_fp8_e32 v69, v70
	v_bfe_u32 v73, v7, 8, 8
	v_bfe_u32 v74, v7, 16, 8
	v_lshrrev_b32_e32 v7, 24, v7
	v_bfe_u32 v76, v8, 8, 8
	v_mul_f32_e32 v69, s36, v69
	v_bfe_u32 v77, v8, 16, 8
	v_lshrrev_b32_e32 v8, 24, v8
	s_wait_alu 0xf1ff
	v_cndmask_b32_e64 v55, v96, v55, s18
	v_cndmask_b32_e64 v1, v97, v1, s19
	v_bfe_u32 v70, v69, 16, 1
	v_or_b32_e32 v99, 0x400000, v69
	v_cmp_u_f32_e64 s23, v69, v69
	v_cndmask_b32_e64 v59, v59, v61, s3
	v_cndmask_b32_e64 v61, v65, v67, s7
	v_add3_u32 v70, v70, v69, 0x7fff
	v_cvt_f32_fp8_e32 v69, v71
	v_cndmask_b32_e64 v56, v56, v58, s20
	v_cndmask_b32_e64 v2, v57, v2, s21
	;; [unrolled: 1-line block ×4, first 2 shown]
	v_mul_f32_e32 v69, s36, v69
	v_cndmask_b32_e64 v62, v66, v68, s8
	v_cndmask_b32_e64 v4, v63, v4, s6
	;; [unrolled: 1-line block ×3, first 2 shown]
	s_wait_alu 0xf1ff
	v_cndmask_b32_e64 v63, v70, v99, s23
	v_bfe_u32 v71, v69, 16, 1
	v_or_b32_e32 v100, 0x400000, v69
	v_cmp_u_f32_e64 s24, v69, v69
	v_dual_max_num_f32 v57, v34, v34 :: v_dual_add_nc_u32 v58, s60, v51
	s_delay_alu instid0(VALU_DEP_4)
	v_add3_u32 v71, v71, v69, 0x7fff
	v_bfe_u32 v69, v6, 16, 1
	v_add_co_u32 v11, s3, v11, 16
	v_and_b32_e32 v55, 0xffff0000, v55
	s_wait_alu 0xf1ff
	v_cndmask_b32_e64 v64, v71, v100, s24
	v_add3_u32 v69, v69, v6, 0x7fff
	v_cvt_f32_fp8_e32 v6, v72
	v_cvt_f32_i32_e32 v58, v58
	v_add_co_ci_u32_e64 v12, null, 0, v12, s3
	s_delay_alu instid0(VALU_DEP_4) | instskip(NEXT) | instid1(VALU_DEP_4)
	v_cndmask_b32_e64 v65, v69, v101, s25
	v_mul_f32_e32 v6, s36, v6
	v_cmp_gt_i32_e64 s3, s53, v51
	v_cmp_le_i32_e64 s4, s45, v53
	v_add_nc_u32_e32 v51, 0x80, v51
	v_and_b32_e32 v1, 0xffff0000, v1
	v_bfe_u32 v72, v6, 16, 1
	v_or_b32_e32 v102, 0x400000, v6
	v_cmp_u_f32_e64 s26, v6, v6
	s_or_b32 s37, s4, s37
	v_mul_f32_e32 v55, v28, v55
	v_add3_u32 v72, v72, v6, 0x7fff
	v_cvt_f32_fp8_e32 v6, v73
	v_mul_f32_e32 v1, v29, v1
	s_delay_alu instid0(VALU_DEP_3) | instskip(NEXT) | instid1(VALU_DEP_3)
	v_cndmask_b32_e64 v66, v72, v102, s26
	v_mul_f32_e32 v6, s36, v6
	s_delay_alu instid0(VALU_DEP_1) | instskip(SKIP_2) | instid1(VALU_DEP_3)
	v_bfe_u32 v73, v6, 16, 1
	v_or_b32_e32 v103, 0x400000, v6
	v_cmp_u_f32_e64 s27, v6, v6
	v_add3_u32 v73, v73, v6, 0x7fff
	v_cvt_f32_fp8_e32 v6, v74
	s_wait_alu 0xf1ff
	s_delay_alu instid0(VALU_DEP_2) | instskip(NEXT) | instid1(VALU_DEP_2)
	v_cndmask_b32_e64 v67, v73, v103, s27
	v_mul_f32_e32 v6, s36, v6
	s_delay_alu instid0(VALU_DEP_1) | instskip(SKIP_2) | instid1(VALU_DEP_3)
	v_bfe_u32 v74, v6, 16, 1
	v_or_b32_e32 v104, 0x400000, v6
	v_cmp_u_f32_e64 s28, v6, v6
	v_add3_u32 v74, v74, v6, 0x7fff
	v_cvt_f32_fp8_e32 v6, v7
	s_wait_alu 0xf1ff
	s_delay_alu instid0(VALU_DEP_2) | instskip(NEXT) | instid1(VALU_DEP_2)
	;; [unrolled: 10-line block ×7, first 2 shown]
	v_cndmask_b32_e64 v8, v8, v109, s34
	v_mul_f32_e32 v6, s36, v6
	s_delay_alu instid0(VALU_DEP_1) | instskip(SKIP_2) | instid1(VALU_DEP_3)
	v_bfe_u32 v54, v6, 16, 1
	v_or_b32_e32 v110, 0x400000, v6
	v_cmp_u_f32_e64 s35, v6, v6
	v_add3_u32 v54, v54, v6, 0x7fff
	s_wait_alu 0xf1ff
	s_delay_alu instid0(VALU_DEP_1)
	v_cndmask_b32_e64 v6, v54, v110, s35
	v_cndmask_b32_e64 v54, v78, v79, s9
	;; [unrolled: 1-line block ×7, first 2 shown]
	v_and_b32_e32 v54, 0xffff0000, v54
	v_and_b32_e32 v73, 0xffff0000, v79
	;; [unrolled: 1-line block ×5, first 2 shown]
	v_cndmask_b32_e64 v82, v88, v89, s14
	v_cndmask_b32_e64 v83, v90, v91, s15
	v_dual_fmac_f32 v1, v21, v73 :: v_dual_and_b32 v56, 0xffff0000, v56
	v_dual_mul_f32 v79, v27, v79 :: v_dual_and_b32 v78, 0xffff0000, v84
	v_dual_fmac_f32 v55, v20, v72 :: v_dual_and_b32 v2, 0xffff0000, v2
	s_delay_alu instid0(VALU_DEP_3) | instskip(NEXT) | instid1(VALU_DEP_3)
	v_dual_mul_f32 v56, v30, v56 :: v_dual_and_b32 v3, 0xffff0000, v3
	v_fmac_f32_e32 v79, v19, v54
	s_delay_alu instid0(VALU_DEP_4) | instskip(NEXT) | instid1(VALU_DEP_3)
	v_dual_mul_f32 v78, v26, v78 :: v_dual_and_b32 v59, 0xffff0000, v59
	v_dual_mul_f32 v3, v33, v3 :: v_dual_and_b32 v76, 0xffff0000, v82
	v_and_b32_e32 v77, 0xffff0000, v83
	v_and_b32_e32 v60, 0xffff0000, v60
	v_dual_mul_f32 v2, v31, v2 :: v_dual_and_b32 v61, 0xffff0000, v61
	v_and_b32_e32 v4, 0xffff0000, v4
	v_dual_fmac_f32 v78, v18, v6 :: v_dual_and_b32 v5, 0xffff0000, v5
	v_dual_mul_f32 v59, v32, v59 :: v_dual_and_b32 v74, 0xffff0000, v80
	v_fmac_f32_e32 v3, v25, v77
	s_delay_alu instid0(VALU_DEP_3) | instskip(SKIP_4) | instid1(VALU_DEP_3)
	v_dual_fmac_f32 v78, v35, v60 :: v_dual_and_b32 v67, 0xffff0000, v67
	v_dual_fmac_f32 v55, v37, v61 :: v_dual_and_b32 v66, 0xffff0000, v66
	v_fmac_f32_e32 v79, v36, v4
	v_cndmask_b32_e64 v81, v86, v87, s13
	v_dual_fmac_f32 v59, v24, v76 :: v_dual_and_b32 v62, 0xffff0000, v62
	v_dual_fmac_f32 v79, v44, v67 :: v_dual_and_b32 v64, 0xffff0000, v64
	s_delay_alu instid0(VALU_DEP_2) | instskip(SKIP_3) | instid1(VALU_DEP_3)
	v_dual_fmac_f32 v1, v38, v62 :: v_dual_and_b32 v68, 0xffff0000, v68
	v_dual_fmac_f32 v78, v43, v66 :: v_dual_and_b32 v7, 0xffff0000, v7
	v_and_b32_e32 v75, 0xffff0000, v81
	v_dual_fmac_f32 v56, v22, v74 :: v_dual_and_b32 v63, 0xffff0000, v63
	v_dual_add_f32 v4, v78, v79 :: v_dual_and_b32 v69, 0xffff0000, v69
	v_dual_fmac_f32 v55, v45, v68 :: v_dual_and_b32 v70, 0xffff0000, v70
	s_delay_alu instid0(VALU_DEP_4) | instskip(NEXT) | instid1(VALU_DEP_4)
	v_dual_fmac_f32 v2, v23, v75 :: v_dual_and_b32 v65, 0xffff0000, v65
	v_dual_fmac_f32 v56, v39, v5 :: v_dual_and_b32 v71, 0xffff0000, v71
	;; [unrolled: 1-line block ×3, first 2 shown]
	s_delay_alu instid0(VALU_DEP_4) | instskip(NEXT) | instid1(VALU_DEP_4)
	v_dual_add_f32 v4, v4, v55 :: v_dual_fmac_f32 v59, v41, v64
	v_fmac_f32_e32 v2, v40, v63
	s_delay_alu instid0(VALU_DEP_4) | instskip(SKIP_1) | instid1(VALU_DEP_4)
	v_fmac_f32_e32 v56, v47, v69
	v_fmac_f32_e32 v3, v42, v65
	v_add_f32_e32 v1, v1, v4
	s_delay_alu instid0(VALU_DEP_4) | instskip(NEXT) | instid1(VALU_DEP_2)
	v_dual_fmac_f32 v59, v49, v71 :: v_dual_fmac_f32 v2, v48, v70
	v_add_f32_e32 v1, v56, v1
	s_delay_alu instid0(VALU_DEP_1) | instskip(NEXT) | instid1(VALU_DEP_1)
	v_dual_add_f32 v1, v2, v1 :: v_dual_mul_f32 v2, s58, v58
	v_dual_cndmask_b32 v2, 0, v2 :: v_dual_fmac_f32 v3, v50, v8
	s_delay_alu instid0(VALU_DEP_2) | instskip(NEXT) | instid1(VALU_DEP_1)
	v_add_f32_e32 v1, v59, v1
	v_add_f32_e32 v1, v3, v1
	s_delay_alu instid0(VALU_DEP_1) | instskip(NEXT) | instid1(VALU_DEP_1)
	v_fmac_f32_e32 v2, s51, v1
	v_cndmask_b32_e64 v1, 0, v2, s3
	v_max_num_f32_e32 v2, v57, v2
	ds_store_b32 v52, v1
	v_cndmask_b32_e64 v34, v34, v2, s3
	v_add_nc_u32_e32 v52, 0x200, v52
	s_wait_alu 0xfffe
	s_and_not1_b32 exec_lo, exec_lo, s37
	s_cbranch_execnz .LBB358_7
; %bb.8:
	s_or_b32 exec_lo, exec_lo, s37
.LBB358_9:
	s_delay_alu instid0(SALU_CYCLE_1)
	s_or_b32 exec_lo, exec_lo, s59
	v_mbcnt_lo_u32_b32 v1, -1, 0
	s_clause 0x2
	s_load_b128 s[4:7], s[0:1], 0x0
	s_load_b64 s[8:9], s[0:1], 0x10
	s_load_b64 s[12:13], s[0:1], 0x28
	v_xor_b32_e32 v2, 16, v1
	v_xor_b32_e32 v4, 8, v1
	s_delay_alu instid0(VALU_DEP_2) | instskip(SKIP_2) | instid1(VALU_DEP_3)
	v_cmp_gt_i32_e32 vcc_lo, 32, v2
	s_wait_alu 0xfffd
	v_cndmask_b32_e32 v2, v1, v2, vcc_lo
	v_cmp_gt_i32_e32 vcc_lo, 32, v4
	v_max_num_f32_e32 v5, v34, v34
	s_delay_alu instid0(VALU_DEP_3)
	v_lshlrev_b32_e32 v2, 2, v2
	s_wait_alu 0xfffd
	v_cndmask_b32_e32 v4, v1, v4, vcc_lo
	ds_bpermute_b32 v3, v2, v34
	s_wait_dscnt 0x0
	v_dual_max_num_f32 v6, v3, v3 :: v_dual_lshlrev_b32 v3, 2, v4
	s_delay_alu instid0(VALU_DEP_1)
	v_max_num_f32_e32 v4, v5, v6
	v_xor_b32_e32 v6, 4, v1
	ds_bpermute_b32 v5, v3, v4
	v_cmp_gt_i32_e32 vcc_lo, 32, v6
	s_wait_alu 0xfffd
	v_cndmask_b32_e32 v6, v1, v6, vcc_lo
	s_wait_dscnt 0x0
	v_max_num_f32_e32 v7, v5, v5
	s_delay_alu instid0(VALU_DEP_1)
	v_dual_max_num_f32 v4, v4, v7 :: v_dual_lshlrev_b32 v5, 2, v6
	v_xor_b32_e32 v7, 2, v1
	ds_bpermute_b32 v6, v5, v4
	v_cmp_gt_i32_e32 vcc_lo, 32, v7
	s_wait_dscnt 0x0
	s_wait_alu 0xfffd
	v_dual_cndmask_b32 v7, v1, v7 :: v_dual_max_num_f32 v6, v6, v6
	s_delay_alu instid0(VALU_DEP_1) | instskip(NEXT) | instid1(VALU_DEP_2)
	v_max_num_f32_e32 v4, v4, v6
	v_lshlrev_b32_e32 v18, 2, v7
	v_xor_b32_e32 v7, 1, v1
	s_delay_alu instid0(VALU_DEP_1)
	v_cmp_gt_i32_e32 vcc_lo, 32, v7
	s_wait_alu 0xfffd
	v_cndmask_b32_e32 v7, v1, v7, vcc_lo
	ds_bpermute_b32 v6, v18, v4
	v_cmp_eq_u32_e32 vcc_lo, 0, v16
	s_wait_dscnt 0x0
	v_dual_max_num_f32 v6, v6, v6 :: v_dual_lshlrev_b32 v19, 2, v7
	s_delay_alu instid0(VALU_DEP_1)
	v_dual_max_num_f32 v1, v4, v6 :: v_dual_lshlrev_b32 v6, 2, v15
	ds_bpermute_b32 v4, v19, v1
	s_and_saveexec_b32 s0, vcc_lo
	s_cbranch_execz .LBB358_11
; %bb.10:
	s_wait_dscnt 0x0
	v_dual_max_num_f32 v4, v4, v4 :: v_dual_max_num_f32 v1, v1, v1
	s_delay_alu instid0(VALU_DEP_1)
	v_max_num_f32_e32 v1, v1, v4
	ds_store_b32 v6, v1 offset:64
.LBB358_11:
	s_or_b32 exec_lo, exec_lo, s0
	v_cmp_gt_u32_e64 s0, 4, v16
	v_mov_b32_e32 v1, 0xff7fffff
	s_wait_loadcnt_dscnt 0x0
	s_barrier_signal -1
	s_barrier_wait -1
	global_inv scope:SCOPE_SE
	s_and_saveexec_b32 s1, s0
; %bb.12:
	ds_load_b32 v1, v14 offset:64
; %bb.13:
	s_or_b32 exec_lo, exec_lo, s1
	s_wait_dscnt 0x0
	ds_bpermute_b32 v4, v18, v1
	v_max_num_f32_e32 v1, v1, v1
	s_sub_co_i32 s1, s45, s57
	v_mov_b32_e32 v7, 0
	s_lshl_b32 s1, s1, 5
	s_delay_alu instid0(SALU_CYCLE_1) | instskip(NEXT) | instid1(SALU_CYCLE_1)
	s_add_co_i32 s1, s1, s54
	s_min_i32 s1, s1, s53
	s_delay_alu instid0(SALU_CYCLE_1) | instskip(SKIP_4) | instid1(VALU_DEP_1)
	s_sub_co_i32 s10, s1, s54
	s_wait_alu 0xfffe
	v_cmp_gt_i32_e64 s1, s10, v0
	s_wait_dscnt 0x0
	v_max_num_f32_e32 v4, v4, v4
	v_max_num_f32_e32 v1, v1, v4
	ds_bpermute_b32 v4, v19, v1
	s_wait_dscnt 0x0
	v_max_num_f32_e32 v4, v4, v4
	s_delay_alu instid0(VALU_DEP_1)
	v_max_num_f32_e32 v1, v1, v4
	v_lshl_add_u32 v4, v0, 2, 0x60
	ds_bpermute_b32 v1, v7, v1
	s_and_saveexec_b32 s11, s1
	s_cbranch_execz .LBB358_17
; %bb.14:
	v_lshl_add_u32 v8, v0, 2, 0x60
	v_mov_b32_e32 v7, 0
	v_mov_b32_e32 v9, v0
	s_mov_b32 s14, 0
.LBB358_15:                             ; =>This Inner Loop Header: Depth=1
	ds_load_b32 v10, v8
	v_add_nc_u32_e32 v9, 0x80, v9
	s_delay_alu instid0(VALU_DEP_1) | instskip(SKIP_4) | instid1(VALU_DEP_1)
	v_cmp_le_i32_e64 s3, s10, v9
	s_wait_alu 0xfffe
	s_or_b32 s14, s3, s14
	s_wait_dscnt 0x0
	v_sub_f32_e32 v10, v10, v1
	v_mul_f32_e32 v10, 0x3fb8aa3b, v10
	s_delay_alu instid0(VALU_DEP_1)
	v_exp_f32_e32 v10, v10
	ds_store_b32 v8, v10
	v_dual_add_f32 v7, v7, v10 :: v_dual_add_nc_u32 v8, 0x200, v8
	s_wait_alu 0xfffe
	s_and_not1_b32 exec_lo, exec_lo, s14
	s_cbranch_execnz .LBB358_15
; %bb.16:
	s_or_b32 exec_lo, exec_lo, s14
.LBB358_17:
	s_wait_alu 0xfffe
	s_or_b32 exec_lo, exec_lo, s11
	ds_bpermute_b32 v2, v2, v7
	s_wait_dscnt 0x0
	v_add_f32_e32 v2, v7, v2
	ds_bpermute_b32 v3, v3, v2
	s_wait_dscnt 0x0
	v_add_f32_e32 v2, v2, v3
	;; [unrolled: 3-line block ×5, first 2 shown]
	s_and_saveexec_b32 s3, vcc_lo
; %bb.18:
	ds_store_b32 v6, v2 offset:80
; %bb.19:
	s_wait_alu 0xfffe
	s_or_b32 exec_lo, exec_lo, s3
	s_wait_loadcnt_dscnt 0x0
	s_barrier_signal -1
	s_barrier_wait -1
	global_inv scope:SCOPE_SE
	s_and_saveexec_b32 s3, s0
; %bb.20:
	ds_load_b32 v2, v14 offset:80
; %bb.21:
	s_wait_alu 0xfffe
	s_or_b32 exec_lo, exec_lo, s3
	s_wait_dscnt 0x0
	ds_bpermute_b32 v3, v18, v2
	s_wait_dscnt 0x0
	v_add_f32_e32 v2, v2, v3
	ds_bpermute_b32 v3, v19, v2
	s_wait_dscnt 0x0
	v_dual_add_f32 v2, v2, v3 :: v_dual_mov_b32 v3, 0
	ds_bpermute_b32 v2, v3, v2
	s_and_saveexec_b32 s0, s1
	s_cbranch_execz .LBB358_24
; %bb.22:
	s_wait_dscnt 0x0
	v_add_f32_e32 v3, 0x358637bd, v2
	s_mov_b32 s1, 0
	s_delay_alu instid0(VALU_DEP_1) | instskip(SKIP_1) | instid1(VALU_DEP_2)
	v_div_scale_f32 v5, null, v3, v3, 1.0
	v_div_scale_f32 v8, vcc_lo, 1.0, v3, 1.0
	v_rcp_f32_e32 v6, v5
	s_delay_alu instid0(TRANS32_DEP_1) | instskip(NEXT) | instid1(VALU_DEP_1)
	v_fma_f32 v7, -v5, v6, 1.0
	v_fmac_f32_e32 v6, v7, v6
	s_delay_alu instid0(VALU_DEP_1) | instskip(NEXT) | instid1(VALU_DEP_1)
	v_mul_f32_e32 v7, v8, v6
	v_fma_f32 v9, -v5, v7, v8
	s_delay_alu instid0(VALU_DEP_1) | instskip(NEXT) | instid1(VALU_DEP_1)
	v_fmac_f32_e32 v7, v9, v6
	v_fma_f32 v5, -v5, v7, v8
	s_wait_alu 0xfffd
	s_delay_alu instid0(VALU_DEP_1) | instskip(NEXT) | instid1(VALU_DEP_1)
	v_div_fmas_f32 v5, v5, v6, v7
	v_div_fixup_f32 v3, v5, v3, 1.0
	v_mov_b32_e32 v5, v0
.LBB358_23:                             ; =>This Inner Loop Header: Depth=1
	ds_load_b32 v6, v4
	s_wait_dscnt 0x0
	v_dual_mul_f32 v6, v3, v6 :: v_dual_add_nc_u32 v5, 0x80, v5
	s_delay_alu instid0(VALU_DEP_1) | instskip(SKIP_3) | instid1(SALU_CYCLE_1)
	v_cmp_le_i32_e32 vcc_lo, s10, v5
	ds_store_b32 v4, v6
	v_add_nc_u32_e32 v4, 0x200, v4
	s_or_b32 s1, vcc_lo, s1
	s_and_not1_b32 exec_lo, exec_lo, s1
	s_cbranch_execnz .LBB358_23
.LBB358_24:
	s_or_b32 exec_lo, exec_lo, s0
	s_wait_kmcnt 0x0
	s_mul_i32 s0, s40, s55
	s_wait_loadcnt_dscnt 0x0
	s_mul_i32 s10, s0, s56
	s_mov_b32 s0, exec_lo
	s_barrier_signal -1
	s_barrier_wait -1
	global_inv scope:SCOPE_SE
	v_cmpx_eq_u32_e32 0, v0
	s_cbranch_execz .LBB358_26
; %bb.25:
	s_wait_alu 0xfffe
	s_ashr_i32 s11, s10, 31
	s_mul_i32 s14, s40, ttmp9
	s_lshl_b32 s1, s52, 2
	s_wait_alu 0xfffe
	s_lshl_b64 s[16:17], s[10:11], 2
	s_ashr_i32 s15, s14, 31
	v_mov_b32_e32 v3, s1
	s_wait_alu 0xfffe
	s_add_nc_u64 s[6:7], s[6:7], s[16:17]
	s_lshl_b64 s[14:15], s[14:15], 2
	s_add_nc_u64 s[4:5], s[4:5], s[16:17]
	s_wait_alu 0xfffe
	s_add_nc_u64 s[6:7], s[6:7], s[14:15]
	s_add_nc_u64 s[4:5], s[4:5], s[14:15]
	s_clause 0x1
	global_store_b32 v3, v1, s[6:7]
	global_store_b32 v3, v2, s[4:5]
.LBB358_26:
	s_or_b32 exec_lo, exec_lo, s0
	v_dual_mov_b32 v22, 0 :: v_dual_mov_b32 v23, 0
	v_dual_mov_b32 v21, 0 :: v_dual_and_b32 v20, 3, v0
	v_mov_b32_e32 v24, 0
	s_and_saveexec_b32 s1, s2
	s_cbranch_execz .LBB358_38
; %bb.27:
	v_dual_mov_b32 v24, 0 :: v_dual_lshlrev_b32 v1, 3, v0
	s_load_b32 s2, s[38:39], 0x0
	s_ashr_i32 s43, s42, 31
	v_dual_mov_b32 v21, 0 :: v_dual_lshlrev_b32 v2, 5, v20
	s_delay_alu instid0(VALU_DEP_2)
	v_dual_mov_b32 v22, 0 :: v_dual_and_b32 v3, 24, v1
	v_and_b32_e32 v1, 0xf8, v1
	s_wait_alu 0xfffe
	s_add_nc_u64 s[4:5], s[12:13], s[42:43]
	v_lshl_add_u32 v4, v15, 5, s54
	v_lshl_or_b32 v2, v15, 7, v2
	v_mov_b32_e32 v23, 0
	s_wait_alu 0xfffe
	v_add_co_u32 v9, s0, s4, v1
	s_wait_alu 0xf1ff
	v_add_co_ci_u32_e64 v10, null, s5, 0, s0
	s_lshl_b64 s[4:5], s[48:49], 2
	v_add3_u32 v25, v4, v3, 7
	s_wait_alu 0xfffe
	s_add_nc_u64 s[4:5], s[46:47], s[4:5]
	v_add_nc_u32_e32 v26, 0x60, v2
	s_wait_alu 0xfffe
	v_add_co_u32 v11, s0, s4, v13
	s_wait_alu 0xf1ff
	v_add_co_ci_u32_e64 v12, null, s5, 0, s0
	s_mov_b32 s3, s41
	s_add_co_i32 s50, s50, -1
	s_mov_b32 s4, 0
	s_branch .LBB358_29
.LBB358_28:                             ;   in Loop: Header=BB358_29 Depth=1
	s_wait_alu 0xfffe
	s_or_b32 exec_lo, exec_lo, s0
	s_wait_dscnt 0x1
	v_bfe_u32 v35, v5, 16, 1
	v_bfe_u32 v40, v6, 16, 1
	v_or_b32_e32 v41, 0x400000, v5
	v_cmp_u_f32_e32 vcc_lo, v5, v5
	v_or_b32_e32 v42, 0x400000, v6
	v_add3_u32 v35, v35, v5, 0x7fff
	v_bfe_u32 v43, v7, 16, 1
	v_add3_u32 v40, v40, v6, 0x7fff
	v_bfe_u32 v44, v8, 16, 1
	s_wait_alu 0xfffd
	v_dual_cndmask_b32 v5, v35, v41 :: v_dual_lshlrev_b32 v60, 16, v60
	v_cmp_u_f32_e32 vcc_lo, v6, v6
	v_add3_u32 v35, v43, v7, 0x7fff
	v_add3_u32 v41, v44, v8, 0x7fff
	s_wait_dscnt 0x0
	v_bfe_u32 v43, v1, 16, 1
	v_or_b32_e32 v44, 0x400000, v4
	s_wait_alu 0xfffd
	v_cndmask_b32_e32 v6, v40, v42, vcc_lo
	v_or_b32_e32 v40, 0x400000, v7
	v_cmp_u_f32_e32 vcc_lo, v7, v7
	v_or_b32_e32 v42, 0x400000, v8
	v_lshlrev_b32_e32 v39, 16, v39
	v_lshlrev_b32_e32 v33, 16, v33
	v_lshlrev_b32_e32 v13, 16, v13
	s_wait_alu 0xfffd
	v_cndmask_b32_e32 v7, v35, v40, vcc_lo
	v_cmp_u_f32_e32 vcc_lo, v8, v8
	v_bfe_u32 v35, v2, 16, 1
	v_add3_u32 v40, v43, v1, 0x7fff
	v_bfe_u32 v43, v3, 16, 1
	s_wait_alu 0xfffd
	v_dual_cndmask_b32 v8, v41, v42 :: v_dual_add_nc_u32 v17, 4, v17
	v_or_b32_e32 v41, 0x400000, v1
	v_cmp_u_f32_e32 vcc_lo, v1, v1
	v_add3_u32 v35, v35, v2, 0x7fff
	v_or_b32_e32 v42, 0x400000, v2
	v_add_co_u32 v11, s0, v11, 16
	s_wait_alu 0xfffd
	v_cndmask_b32_e32 v1, v40, v41, vcc_lo
	v_cmp_u_f32_e32 vcc_lo, v2, v2
	v_bfe_u32 v40, v4, 16, 1
	v_add_nc_u32_e32 v25, 0x80, v25
	s_wait_alu 0xf1ff
	v_add_co_ci_u32_e64 v12, null, 0, v12, s0
	s_wait_alu 0xfffd
	v_cndmask_b32_e32 v2, v35, v42, vcc_lo
	v_add3_u32 v35, v43, v3, 0x7fff
	v_or_b32_e32 v43, 0x400000, v3
	v_cmp_u_f32_e32 vcc_lo, v3, v3
	v_and_b32_e32 v6, 0xffff0000, v6
	v_add3_u32 v40, v40, v4, 0x7fff
	v_and_b32_e32 v2, 0xffff0000, v2
	s_wait_alu 0xfffd
	v_dual_cndmask_b32 v3, v35, v43 :: v_dual_lshlrev_b32 v38, 16, v38
	v_cmp_u_f32_e32 vcc_lo, v4, v4
	v_and_b32_e32 v5, 0xffff0000, v5
	v_lshlrev_b32_e32 v42, 16, v62
	v_lshlrev_b32_e32 v27, 16, v27
	s_wait_alu 0xfffd
	v_dual_cndmask_b32 v4, v40, v44 :: v_dual_and_b32 v3, 0xffff0000, v3
	s_delay_alu instid0(VALU_DEP_3) | instskip(SKIP_2) | instid1(VALU_DEP_3)
	v_dual_mul_f32 v42, v5, v42 :: v_dual_lshlrev_b32 v41, 16, v63
	v_dual_mul_f32 v33, v5, v33 :: v_dual_lshlrev_b32 v34, 16, v34
	v_mul_f32_e32 v39, v2, v39
	v_mul_f32_e32 v41, v6, v41
	s_delay_alu instid0(VALU_DEP_4)
	v_bfe_u32 v40, v42, 16, 1
	v_or_b32_e32 v49, 0x400000, v42
	v_mul_f32_e32 v34, v6, v34
	v_lshlrev_b32_e32 v36, 16, v36
	v_bfe_u32 v35, v41, 16, 1
	v_or_b32_e32 v44, 0x400000, v41
	v_cmp_u_f32_e32 vcc_lo, v41, v41
	v_add3_u32 v40, v40, v42, 0x7fff
	v_lshlrev_b32_e32 v31, 16, v31
	v_add3_u32 v35, v35, v41, 0x7fff
	v_lshlrev_b32_e32 v29, 16, v29
	v_lshlrev_b32_e32 v14, 16, v14
	s_wait_alu 0xfffd
	s_delay_alu instid0(VALU_DEP_3)
	v_dual_cndmask_b32 v35, v35, v44 :: v_dual_add_nc_u32 v26, 0x200, v26
	v_lshlrev_b32_e32 v44, 16, v59
	v_cmp_u_f32_e32 vcc_lo, v42, v42
	v_and_b32_e32 v7, 0xffff0000, v7
	v_and_b32_e32 v1, 0xffff0000, v1
	;; [unrolled: 1-line block ×3, first 2 shown]
	v_lshlrev_b32_e32 v56, 16, v56
	s_wait_alu 0xfffd
	v_cndmask_b32_e32 v40, v40, v49, vcc_lo
	v_dual_mul_f32 v42, v7, v60 :: v_dual_lshlrev_b32 v43, 16, v61
	v_lshlrev_b32_e32 v49, 16, v58
	v_and_b32_e32 v8, 0xffff0000, v8
	v_mul_f32_e32 v44, v2, v44
	v_and_b32_e32 v40, 0xffff0000, v40
	v_bfe_u32 v59, v42, 16, 1
	v_mul_f32_e32 v49, v1, v49
	v_mul_f32_e32 v43, v8, v43
	v_dual_mul_f32 v38, v1, v38 :: v_dual_lshlrev_b32 v45, 16, v45
	v_add_f32_e32 v35, v40, v35
	s_delay_alu instid0(VALU_DEP_4) | instskip(NEXT) | instid1(VALU_DEP_4)
	v_bfe_u32 v60, v49, 16, 1
	v_bfe_u32 v41, v43, 16, 1
	v_or_b32_e32 v58, 0x400000, v43
	v_cmp_u_f32_e32 vcc_lo, v43, v43
	v_dual_mul_f32 v31, v7, v31 :: v_dual_lshlrev_b32 v32, 16, v32
	s_delay_alu instid0(VALU_DEP_4) | instskip(SKIP_2) | instid1(VALU_DEP_4)
	v_add3_u32 v41, v41, v43, 0x7fff
	v_add3_u32 v43, v59, v42, 0x7fff
	v_bfe_u32 v59, v44, 16, 1
	v_mul_f32_e32 v32, v8, v32
	v_dual_mul_f32 v29, v1, v29 :: v_dual_lshlrev_b32 v30, 16, v30
	s_wait_alu 0xfffd
	v_cndmask_b32_e32 v41, v41, v58, vcc_lo
	v_or_b32_e32 v58, 0x400000, v42
	v_cmp_u_f32_e32 vcc_lo, v42, v42
	s_wait_alu 0xfffd
	s_delay_alu instid0(VALU_DEP_2)
	v_dual_cndmask_b32 v42, v43, v58 :: v_dual_lshlrev_b32 v57, 16, v57
	v_add3_u32 v43, v59, v44, 0x7fff
	v_or_b32_e32 v58, 0x400000, v44
	v_cmp_u_f32_e32 vcc_lo, v44, v44
	v_and_b32_e32 v4, 0xffff0000, v4
	v_add3_u32 v59, v60, v49, 0x7fff
	v_or_b32_e32 v60, 0x400000, v49
	v_mul_f32_e32 v44, v3, v56
	s_wait_alu 0xfffd
	v_cndmask_b32_e32 v43, v43, v58, vcc_lo
	v_mul_f32_e32 v57, v4, v57
	v_cmp_u_f32_e32 vcc_lo, v49, v49
	v_and_b32_e32 v42, 0xffff0000, v42
	s_delay_alu instid0(VALU_DEP_3)
	v_bfe_u32 v61, v57, 16, 1
	s_wait_alu 0xfffd
	v_cndmask_b32_e32 v49, v59, v60, vcc_lo
	v_or_b32_e32 v58, 0x400000, v57
	v_bfe_u32 v59, v44, 16, 1
	v_cmp_u_f32_e32 vcc_lo, v57, v57
	v_add3_u32 v56, v61, v57, 0x7fff
	s_delay_alu instid0(VALU_DEP_3) | instskip(SKIP_1) | instid1(VALU_DEP_2)
	v_add3_u32 v57, v59, v44, 0x7fff
	s_wait_alu 0xfffd
	v_cndmask_b32_e32 v56, v56, v58, vcc_lo
	v_or_b32_e32 v58, 0x400000, v44
	v_cmp_u_f32_e32 vcc_lo, v44, v44
	v_and_b32_e32 v41, 0xffff0000, v41
	v_dual_mul_f32 v36, v3, v36 :: v_dual_lshlrev_b32 v37, 16, v37
	v_dual_mul_f32 v27, v3, v27 :: v_dual_lshlrev_b32 v28, 16, v28
	s_wait_alu 0xfffd
	v_cndmask_b32_e32 v44, v57, v58, vcc_lo
	v_add_f32_e32 v40, v42, v41
	v_and_b32_e32 v41, 0xffff0000, v49
	v_and_b32_e32 v42, 0xffff0000, v43
	v_lshlrev_b32_e32 v43, 16, v48
	v_mul_f32_e32 v3, v3, v14
	s_delay_alu instid0(VALU_DEP_3) | instskip(NEXT) | instid1(VALU_DEP_3)
	v_dual_add_f32 v35, v40, v35 :: v_dual_add_f32 v40, v41, v42
	v_dual_mul_f32 v41, v6, v43 :: v_dual_and_b32 v42, 0xffff0000, v44
	v_and_b32_e32 v44, 0xffff0000, v56
	s_delay_alu instid0(VALU_DEP_3) | instskip(SKIP_1) | instid1(VALU_DEP_4)
	v_dual_add_f32 v35, v40, v35 :: v_dual_lshlrev_b32 v46, 16, v46
	v_lshlrev_b32_e32 v47, 16, v47
	v_cmp_u_f32_e32 vcc_lo, v41, v41
	s_delay_alu instid0(VALU_DEP_4) | instskip(NEXT) | instid1(VALU_DEP_3)
	v_add_f32_e32 v42, v42, v44
	v_dual_mul_f32 v44, v8, v46 :: v_dual_mul_f32 v43, v5, v47
	v_bfe_u32 v47, v41, 16, 1
	s_delay_alu instid0(VALU_DEP_2) | instskip(NEXT) | instid1(VALU_DEP_3)
	v_bfe_u32 v49, v44, 16, 1
	v_bfe_u32 v40, v43, 16, 1
	s_delay_alu instid0(VALU_DEP_3) | instskip(SKIP_2) | instid1(VALU_DEP_4)
	v_add3_u32 v46, v47, v41, 0x7fff
	v_or_b32_e32 v47, 0x400000, v41
	v_or_b32_e32 v48, 0x400000, v43
	v_add3_u32 v40, v40, v43, 0x7fff
	s_wait_alu 0xfffd
	s_delay_alu instid0(VALU_DEP_3)
	v_cndmask_b32_e32 v41, v46, v47, vcc_lo
	v_cmp_u_f32_e32 vcc_lo, v43, v43
	v_mul_f32_e32 v43, v7, v45
	v_add3_u32 v45, v49, v44, 0x7fff
	v_or_b32_e32 v46, 0x400000, v44
	s_wait_alu 0xfffd
	v_cndmask_b32_e32 v40, v40, v48, vcc_lo
	v_bfe_u32 v47, v43, 16, 1
	v_cmp_u_f32_e32 vcc_lo, v44, v44
	v_bfe_u32 v48, v38, 16, 1
	s_delay_alu instid0(VALU_DEP_4)
	v_dual_mul_f32 v37, v4, v37 :: v_dual_and_b32 v40, 0xffff0000, v40
	s_wait_alu 0xfffd
	v_cndmask_b32_e32 v44, v45, v46, vcc_lo
	v_add3_u32 v45, v47, v43, 0x7fff
	v_or_b32_e32 v46, 0x400000, v43
	v_cmp_u_f32_e32 vcc_lo, v43, v43
	v_bfe_u32 v47, v39, 16, 1
	v_bfe_u32 v49, v37, 16, 1
	v_and_b32_e32 v41, 0xffff0000, v41
	s_wait_alu 0xfffd
	v_dual_cndmask_b32 v43, v45, v46 :: v_dual_and_b32 v44, 0xffff0000, v44
	v_add3_u32 v45, v47, v39, 0x7fff
	v_or_b32_e32 v46, 0x400000, v39
	v_cmp_u_f32_e32 vcc_lo, v39, v39
	v_add3_u32 v47, v48, v38, 0x7fff
	v_or_b32_e32 v48, 0x400000, v38
	v_dual_add_f32 v40, v40, v41 :: v_dual_and_b32 v43, 0xffff0000, v43
	s_wait_alu 0xfffd
	v_cndmask_b32_e32 v39, v45, v46, vcc_lo
	v_cmp_u_f32_e32 vcc_lo, v38, v38
	v_add3_u32 v45, v49, v37, 0x7fff
	v_or_b32_e32 v46, 0x400000, v37
	s_wait_alu 0xfffd
	v_cndmask_b32_e32 v38, v47, v48, vcc_lo
	v_cmp_u_f32_e32 vcc_lo, v37, v37
	v_add_f32_e32 v41, v43, v44
	v_or_b32_e32 v44, 0x400000, v36
	s_delay_alu instid0(VALU_DEP_4) | instskip(NEXT) | instid1(VALU_DEP_3)
	v_and_b32_e32 v38, 0xffff0000, v38
	v_dual_add_f32 v40, v41, v40 :: v_dual_and_b32 v39, 0xffff0000, v39
	s_wait_alu 0xfffd
	v_cndmask_b32_e32 v37, v45, v46, vcc_lo
	v_bfe_u32 v45, v36, 16, 1
	v_cmp_u_f32_e32 vcc_lo, v36, v36
	v_add_f32_e32 v38, v38, v39
	v_bfe_u32 v39, v34, 16, 1
	v_bfe_u32 v41, v33, 16, 1
	v_add3_u32 v43, v45, v36, 0x7fff
	s_delay_alu instid0(VALU_DEP_4) | instskip(NEXT) | instid1(VALU_DEP_4)
	v_dual_add_f32 v38, v38, v40 :: v_dual_and_b32 v37, 0xffff0000, v37
	v_add3_u32 v39, v39, v34, 0x7fff
	v_or_b32_e32 v40, 0x400000, v34
	s_wait_alu 0xfffd
	v_cndmask_b32_e32 v36, v43, v44, vcc_lo
	v_cmp_u_f32_e32 vcc_lo, v34, v34
	v_or_b32_e32 v43, 0x400000, v32
	s_wait_alu 0xfffd
	v_cndmask_b32_e32 v34, v39, v40, vcc_lo
	v_bfe_u32 v39, v32, 16, 1
	v_add3_u32 v40, v41, v33, 0x7fff
	v_or_b32_e32 v41, 0x400000, v33
	v_cmp_u_f32_e32 vcc_lo, v33, v33
	v_and_b32_e32 v36, 0xffff0000, v36
	v_add3_u32 v39, v39, v32, 0x7fff
	s_wait_alu 0xfffd
	v_cndmask_b32_e32 v33, v40, v41, vcc_lo
	v_bfe_u32 v40, v31, 16, 1
	v_cmp_u_f32_e32 vcc_lo, v32, v32
	v_or_b32_e32 v41, 0x400000, v31
	s_delay_alu instid0(VALU_DEP_4) | instskip(NEXT) | instid1(VALU_DEP_4)
	v_and_b32_e32 v33, 0xffff0000, v33
	v_add3_u32 v40, v40, v31, 0x7fff
	s_wait_alu 0xfffd
	v_cndmask_b32_e32 v32, v39, v43, vcc_lo
	v_cmp_u_f32_e32 vcc_lo, v31, v31
	v_mul_f32_e32 v30, v2, v30
	s_wait_alu 0xfffd
	s_delay_alu instid0(VALU_DEP_3) | instskip(NEXT) | instid1(VALU_DEP_2)
	v_dual_cndmask_b32 v31, v40, v41 :: v_dual_and_b32 v32, 0xffff0000, v32
	v_bfe_u32 v39, v30, 16, 1
	v_mul_f32_e32 v28, v4, v28
	v_or_b32_e32 v43, 0x400000, v30
	v_bfe_u32 v40, v29, 16, 1
	v_cmp_u_f32_e32 vcc_lo, v30, v30
	v_add3_u32 v39, v39, v30, 0x7fff
	v_and_b32_e32 v31, 0xffff0000, v31
	v_bfe_u32 v41, v28, 16, 1
	v_and_b32_e32 v34, 0xffff0000, v34
	s_delay_alu instid0(VALU_DEP_3) | instskip(SKIP_1) | instid1(VALU_DEP_2)
	v_dual_mul_f32 v4, v4, v13 :: v_dual_add_f32 v31, v31, v32
	s_wait_alu 0xfffd
	v_dual_cndmask_b32 v30, v39, v43 :: v_dual_add_f32 v33, v33, v34
	v_add3_u32 v39, v40, v29, 0x7fff
	v_or_b32_e32 v40, 0x400000, v29
	v_cmp_u_f32_e32 vcc_lo, v29, v29
	v_add3_u32 v41, v41, v28, 0x7fff
	v_or_b32_e32 v43, 0x400000, v28
	v_dual_add_f32 v31, v31, v33 :: v_dual_lshlrev_b32 v32, 16, v54
	s_wait_alu 0xfffd
	v_cndmask_b32_e32 v29, v39, v40, vcc_lo
	v_cmp_u_f32_e32 vcc_lo, v28, v28
	v_bfe_u32 v39, v27, 16, 1
	v_or_b32_e32 v40, 0x400000, v27
	v_mul_f32_e32 v6, v6, v32
	s_wait_alu 0xfffd
	v_cndmask_b32_e32 v28, v41, v43, vcc_lo
	v_add3_u32 v39, v39, v27, 0x7fff
	v_and_b32_e32 v29, 0xffff0000, v29
	v_cmp_u_f32_e32 vcc_lo, v27, v27
	v_and_b32_e32 v30, 0xffff0000, v30
	v_bfe_u32 v34, v6, 16, 1
	s_wait_alu 0xfffd
	v_cndmask_b32_e32 v27, v39, v40, vcc_lo
	s_delay_alu instid0(VALU_DEP_3) | instskip(NEXT) | instid1(VALU_DEP_1)
	v_dual_add_f32 v29, v29, v30 :: v_dual_lshlrev_b32 v30, 16, v53
	v_dual_mul_f32 v7, v7, v30 :: v_dual_lshlrev_b32 v30, 16, v52
	s_delay_alu instid0(VALU_DEP_1) | instskip(NEXT) | instid1(VALU_DEP_1)
	v_dual_mul_f32 v8, v8, v30 :: v_dual_lshlrev_b32 v41, 16, v55
	v_dual_mul_f32 v5, v5, v41 :: v_dual_lshlrev_b32 v30, 16, v51
	s_delay_alu instid0(VALU_DEP_1) | instskip(SKIP_1) | instid1(VALU_DEP_2)
	v_bfe_u32 v33, v5, 16, 1
	v_cmp_u_f32_e32 vcc_lo, v5, v5
	v_add3_u32 v32, v33, v5, 0x7fff
	v_or_b32_e32 v33, 0x400000, v5
	s_wait_alu 0xfffd
	s_delay_alu instid0(VALU_DEP_1)
	v_cndmask_b32_e32 v5, v32, v33, vcc_lo
	v_add3_u32 v32, v34, v6, 0x7fff
	v_or_b32_e32 v33, 0x400000, v6
	v_bfe_u32 v34, v7, 16, 1
	v_cmp_u_f32_e32 vcc_lo, v6, v6
	s_wait_alu 0xfffd
	s_delay_alu instid0(VALU_DEP_3) | instskip(NEXT) | instid1(VALU_DEP_3)
	v_dual_cndmask_b32 v6, v32, v33 :: v_dual_and_b32 v27, 0xffff0000, v27
	v_add3_u32 v32, v34, v7, 0x7fff
	v_or_b32_e32 v33, 0x400000, v7
	v_bfe_u32 v34, v8, 16, 1
	v_cmp_u_f32_e32 vcc_lo, v7, v7
	s_wait_alu 0xfffd
	s_delay_alu instid0(VALU_DEP_3) | instskip(NEXT) | instid1(VALU_DEP_3)
	v_cndmask_b32_e32 v7, v32, v33, vcc_lo
	v_add3_u32 v32, v34, v8, 0x7fff
	v_or_b32_e32 v33, 0x400000, v8
	v_cmp_u_f32_e32 vcc_lo, v8, v8
	v_mul_f32_e32 v1, v1, v30
	s_wait_alu 0xfffd
	s_delay_alu instid0(VALU_DEP_3) | instskip(NEXT) | instid1(VALU_DEP_2)
	v_dual_cndmask_b32 v8, v32, v33 :: v_dual_and_b32 v7, 0xffff0000, v7
	v_bfe_u32 v34, v1, 16, 1
	v_or_b32_e32 v13, 0x400000, v1
	v_cmp_u_f32_e32 vcc_lo, v1, v1
	v_bfe_u32 v33, v3, 16, 1
	s_delay_alu instid0(VALU_DEP_4) | instskip(SKIP_3) | instid1(VALU_DEP_2)
	v_add3_u32 v32, v34, v1, 0x7fff
	v_lshlrev_b32_e32 v30, 16, v50
	v_bfe_u32 v34, v4, 16, 1
	s_wait_alu 0xfffd
	v_dual_cndmask_b32 v1, v32, v13 :: v_dual_mul_f32 v2, v2, v30
	v_add3_u32 v13, v33, v3, 0x7fff
	v_or_b32_e32 v32, 0x400000, v3
	s_delay_alu instid0(VALU_DEP_3) | instskip(NEXT) | instid1(VALU_DEP_4)
	v_and_b32_e32 v1, 0xffff0000, v1
	v_bfe_u32 v30, v2, 16, 1
	v_cmp_u_f32_e32 vcc_lo, v2, v2
	s_delay_alu instid0(VALU_DEP_2) | instskip(SKIP_2) | instid1(VALU_DEP_1)
	v_add3_u32 v14, v30, v2, 0x7fff
	v_or_b32_e32 v30, 0x400000, v2
	s_wait_alu 0xfffd
	v_cndmask_b32_e32 v2, v14, v30, vcc_lo
	v_add3_u32 v14, v34, v4, 0x7fff
	v_or_b32_e32 v30, 0x400000, v4
	v_cmp_u_f32_e32 vcc_lo, v4, v4
	s_wait_alu 0xfffd
	s_delay_alu instid0(VALU_DEP_2) | instskip(SKIP_3) | instid1(VALU_DEP_1)
	v_dual_cndmask_b32 v4, v14, v30 :: v_dual_and_b32 v5, 0xffff0000, v5
	v_cmp_u_f32_e32 vcc_lo, v3, v3
	s_wait_alu 0xfffd
	v_dual_cndmask_b32 v3, v13, v32 :: v_dual_and_b32 v6, 0xffff0000, v6
	v_dual_add_f32 v5, v5, v6 :: v_dual_and_b32 v8, 0xffff0000, v8
	v_and_b32_e32 v2, 0xffff0000, v2
	v_cmp_le_i32_e32 vcc_lo, s45, v17
	s_delay_alu instid0(VALU_DEP_4) | instskip(NEXT) | instid1(VALU_DEP_3)
	v_and_b32_e32 v3, 0xffff0000, v3
	v_dual_add_f32 v1, v1, v2 :: v_dual_and_b32 v2, 0xffff0000, v4
	v_add_f32_e32 v4, v36, v37
	v_add_f32_e32 v6, v7, v8
	v_and_b32_e32 v7, 0xffff0000, v28
	s_or_b32 s4, vcc_lo, s4
	v_add_f32_e32 v2, v3, v2
	s_delay_alu instid0(VALU_DEP_3) | instskip(SKIP_2) | instid1(VALU_DEP_3)
	v_dual_add_f32 v4, v4, v38 :: v_dual_add_f32 v5, v6, v5
	v_add_f32_e32 v6, v29, v31
	v_add_f32_e32 v7, v27, v7
	v_dual_add_f32 v3, v42, v35 :: v_dual_add_f32 v24, v24, v4
	s_delay_alu instid0(VALU_DEP_4) | instskip(NEXT) | instid1(VALU_DEP_3)
	v_add_f32_e32 v1, v1, v5
	v_add_f32_e32 v5, v7, v6
	s_delay_alu instid0(VALU_DEP_3) | instskip(NEXT) | instid1(VALU_DEP_3)
	v_add_f32_e32 v23, v23, v3
	v_add_f32_e32 v1, v2, v1
	s_delay_alu instid0(VALU_DEP_3) | instskip(NEXT) | instid1(VALU_DEP_2)
	v_add_f32_e32 v22, v22, v5
	v_add_f32_e32 v21, v21, v1
	s_wait_alu 0xfffe
	s_and_not1_b32 exec_lo, exec_lo, s4
	s_cbranch_execz .LBB358_37
.LBB358_29:                             ; =>This Inner Loop Header: Depth=1
	global_load_b32 v1, v[11:12], off
	s_wait_alu 0xfffe
	v_cmp_eq_u32_e32 vcc_lo, s50, v17
	v_add_nc_u32_e32 v40, -2, v25
	s_wait_loadcnt 0x0
	v_mad_co_i64_i32 v[13:14], null, v1, s3, v[9:10]
	global_load_b64 v[27:28], v[13:14], off
	ds_load_2addr_b64 v[5:8], v26 offset1:1
	ds_load_2addr_b64 v[1:4], v26 offset0:2 offset1:3
	s_wait_loadcnt 0x0
	v_and_b32_e32 v32, 0xff, v28
	v_bfe_u32 v33, v28, 8, 8
	v_bfe_u32 v34, v28, 16, 8
	v_lshrrev_b32_e32 v28, 24, v28
	v_bfe_u32 v30, v27, 8, 8
	v_bfe_u32 v31, v27, 16, 8
	v_cvt_f32_fp8_e32 v33, v33
	v_cvt_f32_fp8_e32 v34, v34
	;; [unrolled: 1-line block ×3, first 2 shown]
	v_and_b32_e32 v29, 0xff, v27
	v_cvt_f32_fp8_e32 v30, v30
	v_add_nc_u32_e32 v35, -7, v25
	v_lshrrev_b32_e32 v27, 24, v27
	s_wait_kmcnt 0x0
	v_mul_f32_e32 v28, s2, v28
	v_cvt_f32_fp8_e32 v29, v29
	v_cvt_f32_fp8_e32 v31, v31
	v_mul_f32_e32 v30, s2, v30
	v_add_nc_u32_e32 v44, -6, v25
	v_cvt_f32_fp8_e32 v27, v27
	v_mul_f32_e32 v29, s2, v29
	v_mul_f32_e32 v31, s2, v31
	v_bfe_u32 v38, v30, 16, 1
	s_delay_alu instid0(VALU_DEP_4) | instskip(NEXT) | instid1(VALU_DEP_4)
	v_dual_mul_f32 v27, s2, v27 :: v_dual_add_nc_u32 v42, -4, v25
	v_bfe_u32 v36, v29, 16, 1
	v_or_b32_e32 v37, 0x400000, v29
	v_cmp_u_f32_e64 s0, v29, v29
	v_cvt_f32_fp8_e32 v32, v32
	v_or_b32_e32 v39, 0x400000, v30
	v_add3_u32 v36, v36, v29, 0x7fff
	v_bfe_u32 v45, v31, 16, 1
	v_add3_u32 v38, v38, v30, 0x7fff
	v_dual_mul_f32 v32, s2, v32 :: v_dual_add_nc_u32 v43, -5, v25
	s_wait_alu 0xf1ff
	v_cndmask_b32_e64 v29, v36, v37, s0
	v_cmp_u_f32_e64 s0, v30, v30
	v_or_b32_e32 v46, 0x400000, v31
	v_bfe_u32 v47, v27, 16, 1
	v_add3_u32 v45, v45, v31, 0x7fff
	v_mul_f32_e32 v33, s2, v33
	s_wait_alu 0xf1ff
	v_cndmask_b32_e64 v30, v38, v39, s0
	v_cmp_u_f32_e64 s0, v31, v31
	v_or_b32_e32 v48, 0x400000, v27
	v_bfe_u32 v49, v32, 16, 1
	v_add3_u32 v47, v47, v27, 0x7fff
	v_dual_mul_f32 v34, s2, v34 :: v_dual_add_nc_u32 v41, -3, v25
	s_wait_alu 0xf1ff
	v_cndmask_b32_e64 v31, v45, v46, s0
	v_cmp_u_f32_e64 s0, v27, v27
	v_or_b32_e32 v50, 0x400000, v32
	v_bfe_u32 v51, v33, 16, 1
	v_add3_u32 v49, v49, v32, 0x7fff
	v_or_b32_e32 v52, 0x400000, v33
	s_wait_alu 0xf1ff
	v_cndmask_b32_e64 v27, v47, v48, s0
	v_cmp_u_f32_e64 s0, v32, v32
	v_bfe_u32 v53, v34, 16, 1
	v_add3_u32 v51, v51, v33, 0x7fff
	v_or_b32_e32 v54, 0x400000, v34
	v_bfe_u32 v55, v28, 16, 1
	s_wait_alu 0xf1ff
	v_cndmask_b32_e64 v36, v49, v50, s0
	v_cmp_u_f32_e64 s0, v33, v33
	v_add3_u32 v53, v53, v34, 0x7fff
	v_or_b32_e32 v56, 0x400000, v28
	v_add3_u32 v55, v55, v28, 0x7fff
	v_lshrrev_b32_e32 v33, 16, v29
	s_wait_alu 0xf1ff
	v_cndmask_b32_e64 v37, v51, v52, s0
	v_cmp_u_f32_e64 s0, v34, v34
	v_lshrrev_b32_e32 v34, 16, v30
	v_lshrrev_b32_e32 v31, 16, v31
	;; [unrolled: 1-line block ×4, first 2 shown]
	s_wait_alu 0xf1ff
	v_cndmask_b32_e64 v38, v53, v54, s0
	v_cmp_u_f32_e64 s0, v28, v28
	v_lshrrev_b32_e32 v30, 16, v37
	v_add_nc_u32_e32 v49, -1, v25
	s_delay_alu instid0(VALU_DEP_4) | instskip(SKIP_2) | instid1(VALU_DEP_1)
	v_lshrrev_b32_e32 v27, 16, v38
	s_wait_alu 0xf1ff
	v_cndmask_b32_e64 v28, v55, v56, s0
	v_lshrrev_b32_e32 v28, 16, v28
	s_and_saveexec_b32 s5, vcc_lo
	s_cbranch_execz .LBB358_31
; %bb.30:                               ;   in Loop: Header=BB358_29 Depth=1
	v_cmp_gt_i32_e64 s0, s53, v35
	s_wait_alu 0xf1ff
	s_delay_alu instid0(VALU_DEP_1) | instskip(SKIP_2) | instid1(VALU_DEP_1)
	v_cndmask_b32_e64 v33, 0, v33, s0
	v_cmp_gt_i32_e64 s0, s53, v44
	s_wait_alu 0xf1ff
	v_cndmask_b32_e64 v34, 0, v34, s0
	v_cmp_gt_i32_e64 s0, s53, v43
	s_wait_alu 0xf1ff
	s_delay_alu instid0(VALU_DEP_1) | instskip(SKIP_2) | instid1(VALU_DEP_1)
	v_cndmask_b32_e64 v31, 0, v31, s0
	v_cmp_gt_i32_e64 s0, s53, v42
	s_wait_alu 0xf1ff
	v_cndmask_b32_e64 v32, 0, v32, s0
	;; [unrolled: 7-line block ×4, first 2 shown]
.LBB358_31:                             ;   in Loop: Header=BB358_29 Depth=1
	s_wait_alu 0xfffe
	s_or_b32 exec_lo, exec_lo, s5
	global_load_b64 v[36:37], v[13:14], off offset:256
	s_wait_loadcnt 0x0
	v_bfe_u32 v39, v36, 8, 8
	v_bfe_u32 v45, v36, 16, 8
	;; [unrolled: 1-line block ×4, first 2 shown]
	s_delay_alu instid0(VALU_DEP_4)
	v_cvt_f32_fp8_e32 v39, v39
	v_and_b32_e32 v38, 0xff, v36
	v_cvt_f32_fp8_e32 v45, v45
	v_lshrrev_b32_e32 v36, 24, v36
	v_cvt_f32_fp8_e32 v47, v47
	v_mul_f32_e32 v39, s2, v39
	v_cvt_f32_fp8_e32 v38, v38
	v_and_b32_e32 v46, 0xff, v37
	v_lshrrev_b32_e32 v37, 24, v37
	v_cvt_f32_fp8_e32 v36, v36
	s_delay_alu instid0(VALU_DEP_4) | instskip(SKIP_1) | instid1(VALU_DEP_4)
	v_dual_mul_f32 v45, s2, v45 :: v_dual_mul_f32 v38, s2, v38
	v_bfe_u32 v52, v39, 16, 1
	v_cvt_f32_fp8_e32 v37, v37
	s_delay_alu instid0(VALU_DEP_4) | instskip(NEXT) | instid1(VALU_DEP_4)
	v_dual_mul_f32 v36, s2, v36 :: v_dual_mul_f32 v47, s2, v47
	v_bfe_u32 v50, v38, 16, 1
	v_or_b32_e32 v51, 0x400000, v38
	v_cmp_u_f32_e64 s0, v38, v38
	v_cvt_f32_fp8_e32 v46, v46
	v_or_b32_e32 v53, 0x400000, v39
	v_add3_u32 v50, v50, v38, 0x7fff
	v_bfe_u32 v54, v45, 16, 1
	v_add3_u32 v52, v52, v39, 0x7fff
	v_dual_mul_f32 v46, s2, v46 :: v_dual_mul_f32 v37, s2, v37
	s_wait_alu 0xf1ff
	v_cndmask_b32_e64 v38, v50, v51, s0
	v_cmp_u_f32_e64 s0, v39, v39
	v_or_b32_e32 v55, 0x400000, v45
	v_bfe_u32 v56, v36, 16, 1
	v_add3_u32 v54, v54, v45, 0x7fff
	v_cvt_f32_fp8_e32 v48, v48
	s_wait_alu 0xf1ff
	v_cndmask_b32_e64 v39, v52, v53, s0
	v_cmp_u_f32_e64 s0, v45, v45
	v_or_b32_e32 v57, 0x400000, v36
	v_bfe_u32 v58, v46, 16, 1
	v_add3_u32 v56, v56, v36, 0x7fff
	v_mul_f32_e32 v48, s2, v48
	s_wait_alu 0xf1ff
	v_cndmask_b32_e64 v45, v54, v55, s0
	v_cmp_u_f32_e64 s0, v36, v36
	v_or_b32_e32 v59, 0x400000, v46
	v_bfe_u32 v60, v47, 16, 1
	v_add3_u32 v58, v58, v46, 0x7fff
	v_or_b32_e32 v61, 0x400000, v47
	s_wait_alu 0xf1ff
	v_cndmask_b32_e64 v36, v56, v57, s0
	v_cmp_u_f32_e64 s0, v46, v46
	v_bfe_u32 v62, v48, 16, 1
	v_add3_u32 v60, v60, v47, 0x7fff
	v_or_b32_e32 v63, 0x400000, v48
	v_bfe_u32 v64, v37, 16, 1
	s_wait_alu 0xf1ff
	v_cndmask_b32_e64 v50, v58, v59, s0
	v_cmp_u_f32_e64 s0, v47, v47
	v_add3_u32 v62, v62, v48, 0x7fff
	v_or_b32_e32 v65, 0x400000, v37
	v_add3_u32 v64, v64, v37, 0x7fff
	v_lshrrev_b32_e32 v47, 16, v38
	s_wait_alu 0xf1ff
	v_cndmask_b32_e64 v51, v60, v61, s0
	v_cmp_u_f32_e64 s0, v48, v48
	v_lshrrev_b32_e32 v48, 16, v39
	v_lshrrev_b32_e32 v45, 16, v45
	;; [unrolled: 1-line block ×4, first 2 shown]
	s_wait_alu 0xf1ff
	v_cndmask_b32_e64 v52, v62, v63, s0
	v_cmp_u_f32_e64 s0, v37, v37
	v_lshrrev_b32_e32 v39, 16, v51
	s_delay_alu instid0(VALU_DEP_3) | instskip(SKIP_1) | instid1(VALU_DEP_3)
	v_lshrrev_b32_e32 v36, 16, v52
	s_wait_alu 0xf1ff
	v_cndmask_b32_e64 v37, v64, v65, s0
	s_delay_alu instid0(VALU_DEP_1)
	v_lshrrev_b32_e32 v37, 16, v37
	s_and_saveexec_b32 s5, vcc_lo
	s_cbranch_execz .LBB358_33
; %bb.32:                               ;   in Loop: Header=BB358_29 Depth=1
	v_cmp_gt_i32_e64 s0, s53, v35
	s_wait_alu 0xf1ff
	s_delay_alu instid0(VALU_DEP_1) | instskip(SKIP_2) | instid1(VALU_DEP_1)
	v_cndmask_b32_e64 v47, 0, v47, s0
	v_cmp_gt_i32_e64 s0, s53, v44
	s_wait_alu 0xf1ff
	v_cndmask_b32_e64 v48, 0, v48, s0
	v_cmp_gt_i32_e64 s0, s53, v43
	s_wait_alu 0xf1ff
	s_delay_alu instid0(VALU_DEP_1) | instskip(SKIP_2) | instid1(VALU_DEP_1)
	v_cndmask_b32_e64 v45, 0, v45, s0
	v_cmp_gt_i32_e64 s0, s53, v42
	s_wait_alu 0xf1ff
	v_cndmask_b32_e64 v46, 0, v46, s0
	;; [unrolled: 7-line block ×4, first 2 shown]
.LBB358_33:                             ;   in Loop: Header=BB358_29 Depth=1
	s_wait_alu 0xfffe
	s_or_b32 exec_lo, exec_lo, s5
	global_load_b64 v[50:51], v[13:14], off offset:512
	s_wait_loadcnt 0x0
	v_bfe_u32 v53, v50, 8, 8
	v_bfe_u32 v54, v50, 16, 8
	;; [unrolled: 1-line block ×4, first 2 shown]
	s_delay_alu instid0(VALU_DEP_4)
	v_cvt_f32_fp8_e32 v53, v53
	v_and_b32_e32 v52, 0xff, v50
	v_lshrrev_b32_e32 v50, 24, v50
	v_cvt_f32_fp8_e32 v54, v54
	v_cvt_f32_fp8_e32 v57, v57
	v_mul_f32_e32 v53, s2, v53
	v_cvt_f32_fp8_e32 v52, v52
	v_and_b32_e32 v55, 0xff, v51
	v_cvt_f32_fp8_e32 v50, v50
	v_lshrrev_b32_e32 v51, 24, v51
	v_bfe_u32 v60, v53, 16, 1
	v_mul_f32_e32 v52, s2, v52
	v_cvt_f32_fp8_e32 v55, v55
	v_mul_f32_e32 v54, s2, v54
	v_dual_mul_f32 v50, s2, v50 :: v_dual_mul_f32 v57, s2, v57
	s_delay_alu instid0(VALU_DEP_4)
	v_bfe_u32 v58, v52, 16, 1
	v_or_b32_e32 v59, 0x400000, v52
	v_cmp_u_f32_e64 s0, v52, v52
	v_mul_f32_e32 v55, s2, v55
	v_or_b32_e32 v61, 0x400000, v53
	v_add3_u32 v58, v58, v52, 0x7fff
	v_bfe_u32 v62, v54, 16, 1
	v_add3_u32 v60, v60, v53, 0x7fff
	v_cvt_f32_fp8_e32 v56, v56
	v_or_b32_e32 v63, 0x400000, v54
	s_wait_alu 0xf1ff
	v_cndmask_b32_e64 v52, v58, v59, s0
	v_cmp_u_f32_e64 s0, v53, v53
	v_bfe_u32 v64, v50, 16, 1
	v_add3_u32 v62, v62, v54, 0x7fff
	v_cvt_f32_fp8_e32 v51, v51
	v_mul_f32_e32 v56, s2, v56
	s_wait_alu 0xf1ff
	v_cndmask_b32_e64 v53, v60, v61, s0
	v_cmp_u_f32_e64 s0, v54, v54
	v_or_b32_e32 v65, 0x400000, v50
	v_bfe_u32 v66, v55, 16, 1
	v_add3_u32 v64, v64, v50, 0x7fff
	v_mul_f32_e32 v51, s2, v51
	s_wait_alu 0xf1ff
	v_cndmask_b32_e64 v54, v62, v63, s0
	v_cmp_u_f32_e64 s0, v50, v50
	v_or_b32_e32 v67, 0x400000, v55
	v_bfe_u32 v68, v56, 16, 1
	v_add3_u32 v66, v66, v55, 0x7fff
	v_or_b32_e32 v69, 0x400000, v56
	s_wait_alu 0xf1ff
	v_cndmask_b32_e64 v50, v64, v65, s0
	v_cmp_u_f32_e64 s0, v55, v55
	v_bfe_u32 v70, v57, 16, 1
	v_add3_u32 v68, v68, v56, 0x7fff
	v_or_b32_e32 v71, 0x400000, v57
	v_bfe_u32 v72, v51, 16, 1
	s_wait_alu 0xf1ff
	v_cndmask_b32_e64 v55, v66, v67, s0
	v_cmp_u_f32_e64 s0, v56, v56
	v_add3_u32 v70, v70, v57, 0x7fff
	v_or_b32_e32 v73, 0x400000, v51
	v_add3_u32 v72, v72, v51, 0x7fff
	v_lshrrev_b32_e32 v62, 16, v52
	s_wait_alu 0xf1ff
	v_cndmask_b32_e64 v56, v68, v69, s0
	v_cmp_u_f32_e64 s0, v57, v57
	v_lshrrev_b32_e32 v63, 16, v53
	v_lshrrev_b32_e32 v60, 16, v54
	;; [unrolled: 1-line block ×4, first 2 shown]
	s_wait_alu 0xf1ff
	v_cndmask_b32_e64 v57, v70, v71, s0
	v_cmp_u_f32_e64 s0, v51, v51
	v_lshrrev_b32_e32 v59, 16, v56
	s_delay_alu instid0(VALU_DEP_3) | instskip(SKIP_1) | instid1(VALU_DEP_3)
	v_lshrrev_b32_e32 v56, 16, v57
	s_wait_alu 0xf1ff
	v_cndmask_b32_e64 v51, v72, v73, s0
	s_delay_alu instid0(VALU_DEP_1)
	v_lshrrev_b32_e32 v57, 16, v51
	s_and_saveexec_b32 s5, vcc_lo
	s_cbranch_execz .LBB358_35
; %bb.34:                               ;   in Loop: Header=BB358_29 Depth=1
	v_cmp_gt_i32_e64 s0, s53, v35
	s_wait_alu 0xf1ff
	s_delay_alu instid0(VALU_DEP_1) | instskip(SKIP_2) | instid1(VALU_DEP_1)
	v_cndmask_b32_e64 v62, 0, v62, s0
	v_cmp_gt_i32_e64 s0, s53, v44
	s_wait_alu 0xf1ff
	v_cndmask_b32_e64 v63, 0, v63, s0
	v_cmp_gt_i32_e64 s0, s53, v43
	s_wait_alu 0xf1ff
	s_delay_alu instid0(VALU_DEP_1) | instskip(SKIP_2) | instid1(VALU_DEP_1)
	v_cndmask_b32_e64 v60, 0, v60, s0
	v_cmp_gt_i32_e64 s0, s53, v42
	s_wait_alu 0xf1ff
	v_cndmask_b32_e64 v61, 0, v61, s0
	;; [unrolled: 7-line block ×4, first 2 shown]
.LBB358_35:                             ;   in Loop: Header=BB358_29 Depth=1
	s_wait_alu 0xfffe
	s_or_b32 exec_lo, exec_lo, s5
	global_load_b64 v[13:14], v[13:14], off offset:768
	s_wait_loadcnt 0x0
	v_bfe_u32 v51, v13, 8, 8
	v_bfe_u32 v52, v13, 16, 8
	;; [unrolled: 1-line block ×4, first 2 shown]
	s_delay_alu instid0(VALU_DEP_4)
	v_cvt_f32_fp8_e32 v51, v51
	v_and_b32_e32 v50, 0xff, v13
	v_lshrrev_b32_e32 v13, 24, v13
	v_cvt_f32_fp8_e32 v52, v52
	v_and_b32_e32 v53, 0xff, v14
	v_mul_f32_e32 v51, s2, v51
	v_cvt_f32_fp8_e32 v50, v50
	v_cvt_f32_fp8_e32 v13, v13
	v_mul_f32_e32 v52, s2, v52
	v_cvt_f32_fp8_e32 v53, v53
	v_bfe_u32 v66, v51, 16, 1
	s_delay_alu instid0(VALU_DEP_4) | instskip(SKIP_2) | instid1(VALU_DEP_4)
	v_dual_mul_f32 v50, s2, v50 :: v_dual_mul_f32 v13, s2, v13
	v_or_b32_e32 v67, 0x400000, v51
	v_bfe_u32 v68, v52, 16, 1
	v_add3_u32 v66, v66, v51, 0x7fff
	s_delay_alu instid0(VALU_DEP_4)
	v_bfe_u32 v64, v50, 16, 1
	v_or_b32_e32 v65, 0x400000, v50
	v_cmp_u_f32_e64 s0, v50, v50
	v_cvt_f32_fp8_e32 v54, v54
	v_mul_f32_e32 v53, s2, v53
	v_add3_u32 v64, v64, v50, 0x7fff
	v_or_b32_e32 v69, 0x400000, v52
	v_bfe_u32 v70, v13, 16, 1
	v_add3_u32 v68, v68, v52, 0x7fff
	v_lshrrev_b32_e32 v14, 24, v14
	s_wait_alu 0xf1ff
	v_cndmask_b32_e64 v50, v64, v65, s0
	v_cmp_u_f32_e64 s0, v51, v51
	v_cvt_f32_fp8_e32 v55, v55
	v_mul_f32_e32 v54, s2, v54
	v_or_b32_e32 v71, 0x400000, v13
	v_bfe_u32 v72, v53, 16, 1
	s_wait_alu 0xf1ff
	v_cndmask_b32_e64 v51, v66, v67, s0
	v_cmp_u_f32_e64 s0, v52, v52
	v_add3_u32 v70, v70, v13, 0x7fff
	v_cvt_f32_fp8_e32 v14, v14
	v_mul_f32_e32 v55, s2, v55
	v_or_b32_e32 v73, 0x400000, v53
	s_wait_alu 0xf1ff
	v_cndmask_b32_e64 v52, v68, v69, s0
	v_cmp_u_f32_e64 s0, v13, v13
	v_bfe_u32 v74, v54, 16, 1
	v_add3_u32 v72, v72, v53, 0x7fff
	v_mul_f32_e32 v14, s2, v14
	v_or_b32_e32 v75, 0x400000, v54
	s_wait_alu 0xf1ff
	v_cndmask_b32_e64 v13, v70, v71, s0
	v_cmp_u_f32_e64 s0, v53, v53
	v_bfe_u32 v76, v55, 16, 1
	v_add3_u32 v74, v74, v54, 0x7fff
	v_or_b32_e32 v77, 0x400000, v55
	v_bfe_u32 v78, v14, 16, 1
	s_wait_alu 0xf1ff
	v_cndmask_b32_e64 v64, v72, v73, s0
	v_cmp_u_f32_e64 s0, v54, v54
	v_add3_u32 v76, v76, v55, 0x7fff
	v_or_b32_e32 v79, 0x400000, v14
	v_add3_u32 v78, v78, v14, 0x7fff
	v_lshrrev_b32_e32 v54, 16, v51
	s_wait_alu 0xf1ff
	v_cndmask_b32_e64 v65, v74, v75, s0
	v_cmp_u_f32_e64 s0, v55, v55
	v_lshrrev_b32_e32 v55, 16, v50
	v_lshrrev_b32_e32 v53, 16, v52
	;; [unrolled: 1-line block ×4, first 2 shown]
	s_wait_alu 0xf1ff
	v_cndmask_b32_e64 v66, v76, v77, s0
	v_cmp_u_f32_e64 s0, v14, v14
	v_lshrrev_b32_e32 v50, 16, v65
	s_delay_alu instid0(VALU_DEP_3) | instskip(SKIP_1) | instid1(VALU_DEP_3)
	v_lshrrev_b32_e32 v14, 16, v66
	s_wait_alu 0xf1ff
	v_cndmask_b32_e64 v67, v78, v79, s0
	s_delay_alu instid0(VALU_DEP_1)
	v_lshrrev_b32_e32 v13, 16, v67
	s_and_saveexec_b32 s0, vcc_lo
	s_cbranch_execz .LBB358_28
; %bb.36:                               ;   in Loop: Header=BB358_29 Depth=1
	v_cmp_gt_i32_e32 vcc_lo, s53, v35
	s_wait_alu 0xfffd
	v_cndmask_b32_e32 v55, 0, v55, vcc_lo
	v_cmp_gt_i32_e32 vcc_lo, s53, v44
	s_wait_alu 0xfffd
	v_cndmask_b32_e32 v54, 0, v54, vcc_lo
	;; [unrolled: 3-line block ×8, first 2 shown]
	s_branch .LBB358_28
.LBB358_37:
	s_or_b32 exec_lo, exec_lo, s4
.LBB358_38:
	s_wait_alu 0xfffe
	s_or_b32 exec_lo, exec_lo, s1
	ds_bpermute_b32 v1, v18, v22
	ds_bpermute_b32 v2, v18, v24
	;; [unrolled: 1-line block ×4, first 2 shown]
	v_lshrrev_b32_e32 v5, 2, v16
	s_mov_b32 s0, exec_lo
	s_wait_storecnt 0x0
	s_wait_loadcnt_dscnt 0x0
	s_barrier_signal -1
	s_barrier_wait -1
	global_inv scope:SCOPE_SE
	v_dual_add_f32 v1, v22, v1 :: v_dual_add_f32 v2, v24, v2
	v_dual_add_f32 v7, v23, v3 :: v_dual_add_f32 v8, v21, v4
	ds_bpermute_b32 v3, v19, v1
	ds_bpermute_b32 v9, v19, v2
	;; [unrolled: 1-line block ×4, first 2 shown]
	v_and_b32_e32 v4, 28, v16
	v_and_b32_e32 v12, 0x3c3, v0
	s_delay_alu instid0(VALU_DEP_2)
	v_add_nc_u32_e32 v6, 0x60, v4
	s_wait_dscnt 0x2
	v_dual_add_f32 v4, v1, v3 :: v_dual_add_f32 v3, v2, v9
	s_wait_dscnt 0x0
	v_dual_add_f32 v2, v7, v10 :: v_dual_add_f32 v1, v8, v11
	v_cmpx_eq_u32_e32 64, v12
	s_cbranch_execz .LBB358_40
; %bb.39:
	v_lshl_add_u32 v7, v15, 7, v6
	s_delay_alu instid0(VALU_DEP_1)
	v_add_nc_u32_e32 v8, 0xffffff00, v7
	v_add_nc_u32_e32 v9, 0xffffff20, v7
	;; [unrolled: 1-line block ×4, first 2 shown]
	ds_store_b32 v8, v4
	ds_store_b32 v9, v3
	;; [unrolled: 1-line block ×4, first 2 shown]
.LBB358_40:
	s_wait_alu 0xfffe
	s_or_b32 exec_lo, exec_lo, s0
	v_and_b32_e32 v7, 0x3e0, v0
	v_lshlrev_b32_e32 v5, 2, v5
	s_mov_b32 s1, exec_lo
	v_cmp_eq_u32_e32 vcc_lo, 0, v20
	s_wait_loadcnt_dscnt 0x0
	v_lshlrev_b32_e32 v7, 2, v7
	s_barrier_signal -1
	s_barrier_wait -1
	global_inv scope:SCOPE_SE
	v_add3_u32 v5, 0x60, v7, v5
	v_cmpx_gt_u32_e32 64, v0
	s_cbranch_execz .LBB358_47
; %bb.41:
	s_and_saveexec_b32 s0, vcc_lo
	s_cbranch_execnz .LBB358_59
; %bb.42:
	s_wait_alu 0xfffe
	s_or_b32 exec_lo, exec_lo, s0
	s_and_saveexec_b32 s0, vcc_lo
	s_cbranch_execnz .LBB358_60
.LBB358_43:
	s_wait_alu 0xfffe
	s_or_b32 exec_lo, exec_lo, s0
	s_and_saveexec_b32 s0, vcc_lo
	s_cbranch_execnz .LBB358_61
.LBB358_44:
	s_wait_alu 0xfffe
	s_or_b32 exec_lo, exec_lo, s0
	s_and_saveexec_b32 s0, vcc_lo
	s_cbranch_execz .LBB358_46
.LBB358_45:
	ds_load_b32 v7, v5 offset:96
	s_wait_dscnt 0x0
	v_add_f32_e32 v1, v1, v7
.LBB358_46:
	s_wait_alu 0xfffe
	s_or_b32 exec_lo, exec_lo, s0
.LBB358_47:
	s_wait_alu 0xfffe
	s_or_b32 exec_lo, exec_lo, s1
	v_and_b32_e32 v7, 0x3e3, v0
	s_mov_b32 s1, exec_lo
	s_wait_loadcnt 0x0
	s_barrier_signal -1
	s_barrier_wait -1
	global_inv scope:SCOPE_SE
	v_cmpx_eq_u32_e32 32, v7
	s_cbranch_execz .LBB358_49
; %bb.48:
	ds_store_2addr_b32 v6, v4, v3 offset1:8
	ds_store_2addr_b32 v6, v2, v1 offset0:16 offset1:24
.LBB358_49:
	s_wait_alu 0xfffe
	s_or_b32 exec_lo, exec_lo, s1
	s_delay_alu instid0(SALU_CYCLE_1)
	s_mov_b32 s1, exec_lo
	s_wait_loadcnt_dscnt 0x0
	s_barrier_signal -1
	s_barrier_wait -1
	global_inv scope:SCOPE_SE
	v_cmpx_gt_u32_e32 32, v0
	s_cbranch_execz .LBB358_56
; %bb.50:
	s_and_saveexec_b32 s0, vcc_lo
	s_cbranch_execnz .LBB358_62
; %bb.51:
	s_wait_alu 0xfffe
	s_or_b32 exec_lo, exec_lo, s0
	s_and_saveexec_b32 s0, vcc_lo
	s_cbranch_execnz .LBB358_63
.LBB358_52:
	s_wait_alu 0xfffe
	s_or_b32 exec_lo, exec_lo, s0
	s_and_saveexec_b32 s0, vcc_lo
	s_cbranch_execnz .LBB358_64
.LBB358_53:
	s_wait_alu 0xfffe
	s_or_b32 exec_lo, exec_lo, s0
	s_and_saveexec_b32 s0, vcc_lo
	s_cbranch_execz .LBB358_55
.LBB358_54:
	ds_load_b32 v5, v5 offset:96
	s_wait_dscnt 0x0
	v_add_f32_e32 v1, v1, v5
.LBB358_55:
	s_wait_alu 0xfffe
	s_or_b32 exec_lo, exec_lo, s0
.LBB358_56:
	s_wait_alu 0xfffe
	s_or_b32 exec_lo, exec_lo, s1
	s_mov_b32 s1, 0
	s_wait_loadcnt 0x0
	s_barrier_signal -1
	s_barrier_wait -1
	global_inv scope:SCOPE_SE
	s_mov_b32 s0, exec_lo
	v_cmpx_eq_u32_e32 0, v7
	s_cbranch_execz .LBB358_58
; %bb.57:
	v_bfe_u32 v5, v4, 16, 1
	v_or_b32_e32 v6, 0x400000, v4
	v_bfe_u32 v7, v3, 16, 1
	v_cmp_u_f32_e32 vcc_lo, v4, v4
	v_bfe_u32 v8, v2, 16, 1
	v_add3_u32 v5, v5, v4, 0x7fff
	s_lshl_b32 s2, s10, 5
	v_or_b32_e32 v9, 0x400000, v2
	s_mul_i32 s4, s40, s44
	v_add3_u32 v8, v8, v2, 0x7fff
	s_wait_alu 0xfffd
	v_cndmask_b32_e32 v4, v5, v6, vcc_lo
	v_add3_u32 v6, v7, v3, 0x7fff
	v_or_b32_e32 v7, 0x400000, v3
	v_cmp_u_f32_e32 vcc_lo, v3, v3
	v_bfe_u32 v5, v1, 16, 1
	s_wait_alu 0xfffe
	s_ashr_i32 s3, s2, 31
	s_ashr_i32 s5, s4, 31
	s_wait_alu 0xfffe
	s_lshl_b64 s[2:3], s[2:3], 1
	s_wait_alu 0xfffd
	v_cndmask_b32_e32 v3, v6, v7, vcc_lo
	v_cmp_u_f32_e32 vcc_lo, v2, v2
	v_add3_u32 v5, v5, v1, 0x7fff
	v_or_b32_e32 v10, 0x400000, v1
	s_lshl_b64 s[4:5], s[4:5], 1
	s_wait_alu 0xfffe
	s_add_nc_u64 s[2:3], s[8:9], s[2:3]
	s_wait_alu 0xfffd
	v_cndmask_b32_e32 v2, v8, v9, vcc_lo
	v_cmp_u_f32_e32 vcc_lo, v1, v1
	v_lshrrev_b32_e32 v0, 1, v0
	s_lshl_b32 s0, s52, 6
	s_wait_alu 0xfffe
	s_add_nc_u64 s[2:3], s[2:3], s[4:5]
	s_wait_alu 0xfffe
	s_add_nc_u64 s[0:1], s[2:3], s[0:1]
	s_wait_alu 0xfffd
	v_cndmask_b32_e32 v1, v5, v10, vcc_lo
	s_clause 0x3
	global_store_d16_hi_b16 v0, v4, s[0:1]
	global_store_d16_hi_b16 v0, v3, s[0:1] offset:16
	global_store_d16_hi_b16 v0, v2, s[0:1] offset:32
	;; [unrolled: 1-line block ×3, first 2 shown]
.LBB358_58:
	s_nop 0
	s_sendmsg sendmsg(MSG_DEALLOC_VGPRS)
	s_endpgm
.LBB358_59:
	ds_load_b32 v7, v5
	s_wait_dscnt 0x0
	v_add_f32_e32 v4, v4, v7
	s_wait_alu 0xfffe
	s_or_b32 exec_lo, exec_lo, s0
	s_and_saveexec_b32 s0, vcc_lo
	s_cbranch_execz .LBB358_43
.LBB358_60:
	ds_load_b32 v7, v5 offset:32
	s_wait_dscnt 0x0
	v_add_f32_e32 v3, v3, v7
	s_wait_alu 0xfffe
	s_or_b32 exec_lo, exec_lo, s0
	s_and_saveexec_b32 s0, vcc_lo
	s_cbranch_execz .LBB358_44
.LBB358_61:
	ds_load_b32 v7, v5 offset:64
	s_wait_dscnt 0x0
	v_add_f32_e32 v2, v2, v7
	s_wait_alu 0xfffe
	s_or_b32 exec_lo, exec_lo, s0
	s_and_saveexec_b32 s0, vcc_lo
	s_cbranch_execnz .LBB358_45
	s_branch .LBB358_46
.LBB358_62:
	ds_load_b32 v6, v5
	s_wait_dscnt 0x0
	v_add_f32_e32 v4, v4, v6
	s_wait_alu 0xfffe
	s_or_b32 exec_lo, exec_lo, s0
	s_and_saveexec_b32 s0, vcc_lo
	s_cbranch_execz .LBB358_52
.LBB358_63:
	ds_load_b32 v6, v5 offset:32
	s_wait_dscnt 0x0
	v_add_f32_e32 v3, v3, v6
	s_wait_alu 0xfffe
	s_or_b32 exec_lo, exec_lo, s0
	s_and_saveexec_b32 s0, vcc_lo
	s_cbranch_execz .LBB358_53
.LBB358_64:
	ds_load_b32 v6, v5 offset:64
	s_wait_dscnt 0x0
	v_add_f32_e32 v2, v2, v6
	s_wait_alu 0xfffe
	s_or_b32 exec_lo, exec_lo, s0
	s_and_saveexec_b32 s0, vcc_lo
	s_cbranch_execnz .LBB358_54
	s_branch .LBB358_55
	.section	.rodata,"a",@progbits
	.p2align	6, 0x0
	.amdhsa_kernel _ZN4vllm25paged_attention_v2_kernelI14__hip_bfloat16hLi32ELi32ELi128ELNS_18Fp8KVCacheDataTypeE1ELb0ELi512EEEvPfS3_PT_PKS4_PKT0_SA_ifPKiSC_iPKfiiiSE_SE_iiiii
		.amdhsa_group_segment_fixed_size 96
		.amdhsa_private_segment_fixed_size 0
		.amdhsa_kernarg_size 400
		.amdhsa_user_sgpr_count 2
		.amdhsa_user_sgpr_dispatch_ptr 0
		.amdhsa_user_sgpr_queue_ptr 0
		.amdhsa_user_sgpr_kernarg_segment_ptr 1
		.amdhsa_user_sgpr_dispatch_id 0
		.amdhsa_user_sgpr_private_segment_size 0
		.amdhsa_wavefront_size32 1
		.amdhsa_uses_dynamic_stack 0
		.amdhsa_enable_private_segment 0
		.amdhsa_system_sgpr_workgroup_id_x 1
		.amdhsa_system_sgpr_workgroup_id_y 1
		.amdhsa_system_sgpr_workgroup_id_z 1
		.amdhsa_system_sgpr_workgroup_info 0
		.amdhsa_system_vgpr_workitem_id 0
		.amdhsa_next_free_vgpr 111
		.amdhsa_next_free_sgpr 61
		.amdhsa_reserve_vcc 1
		.amdhsa_float_round_mode_32 0
		.amdhsa_float_round_mode_16_64 0
		.amdhsa_float_denorm_mode_32 3
		.amdhsa_float_denorm_mode_16_64 3
		.amdhsa_fp16_overflow 0
		.amdhsa_workgroup_processor_mode 1
		.amdhsa_memory_ordered 1
		.amdhsa_forward_progress 1
		.amdhsa_inst_pref_size 93
		.amdhsa_round_robin_scheduling 0
		.amdhsa_exception_fp_ieee_invalid_op 0
		.amdhsa_exception_fp_denorm_src 0
		.amdhsa_exception_fp_ieee_div_zero 0
		.amdhsa_exception_fp_ieee_overflow 0
		.amdhsa_exception_fp_ieee_underflow 0
		.amdhsa_exception_fp_ieee_inexact 0
		.amdhsa_exception_int_div_zero 0
	.end_amdhsa_kernel
	.section	.text._ZN4vllm25paged_attention_v2_kernelI14__hip_bfloat16hLi32ELi32ELi128ELNS_18Fp8KVCacheDataTypeE1ELb0ELi512EEEvPfS3_PT_PKS4_PKT0_SA_ifPKiSC_iPKfiiiSE_SE_iiiii,"axG",@progbits,_ZN4vllm25paged_attention_v2_kernelI14__hip_bfloat16hLi32ELi32ELi128ELNS_18Fp8KVCacheDataTypeE1ELb0ELi512EEEvPfS3_PT_PKS4_PKT0_SA_ifPKiSC_iPKfiiiSE_SE_iiiii,comdat
.Lfunc_end358:
	.size	_ZN4vllm25paged_attention_v2_kernelI14__hip_bfloat16hLi32ELi32ELi128ELNS_18Fp8KVCacheDataTypeE1ELb0ELi512EEEvPfS3_PT_PKS4_PKT0_SA_ifPKiSC_iPKfiiiSE_SE_iiiii, .Lfunc_end358-_ZN4vllm25paged_attention_v2_kernelI14__hip_bfloat16hLi32ELi32ELi128ELNS_18Fp8KVCacheDataTypeE1ELb0ELi512EEEvPfS3_PT_PKS4_PKT0_SA_ifPKiSC_iPKfiiiSE_SE_iiiii
                                        ; -- End function
	.set _ZN4vllm25paged_attention_v2_kernelI14__hip_bfloat16hLi32ELi32ELi128ELNS_18Fp8KVCacheDataTypeE1ELb0ELi512EEEvPfS3_PT_PKS4_PKT0_SA_ifPKiSC_iPKfiiiSE_SE_iiiii.num_vgpr, 111
	.set _ZN4vllm25paged_attention_v2_kernelI14__hip_bfloat16hLi32ELi32ELi128ELNS_18Fp8KVCacheDataTypeE1ELb0ELi512EEEvPfS3_PT_PKS4_PKT0_SA_ifPKiSC_iPKfiiiSE_SE_iiiii.num_agpr, 0
	.set _ZN4vllm25paged_attention_v2_kernelI14__hip_bfloat16hLi32ELi32ELi128ELNS_18Fp8KVCacheDataTypeE1ELb0ELi512EEEvPfS3_PT_PKS4_PKT0_SA_ifPKiSC_iPKfiiiSE_SE_iiiii.numbered_sgpr, 61
	.set _ZN4vllm25paged_attention_v2_kernelI14__hip_bfloat16hLi32ELi32ELi128ELNS_18Fp8KVCacheDataTypeE1ELb0ELi512EEEvPfS3_PT_PKS4_PKT0_SA_ifPKiSC_iPKfiiiSE_SE_iiiii.num_named_barrier, 0
	.set _ZN4vllm25paged_attention_v2_kernelI14__hip_bfloat16hLi32ELi32ELi128ELNS_18Fp8KVCacheDataTypeE1ELb0ELi512EEEvPfS3_PT_PKS4_PKT0_SA_ifPKiSC_iPKfiiiSE_SE_iiiii.private_seg_size, 0
	.set _ZN4vllm25paged_attention_v2_kernelI14__hip_bfloat16hLi32ELi32ELi128ELNS_18Fp8KVCacheDataTypeE1ELb0ELi512EEEvPfS3_PT_PKS4_PKT0_SA_ifPKiSC_iPKfiiiSE_SE_iiiii.uses_vcc, 1
	.set _ZN4vllm25paged_attention_v2_kernelI14__hip_bfloat16hLi32ELi32ELi128ELNS_18Fp8KVCacheDataTypeE1ELb0ELi512EEEvPfS3_PT_PKS4_PKT0_SA_ifPKiSC_iPKfiiiSE_SE_iiiii.uses_flat_scratch, 0
	.set _ZN4vllm25paged_attention_v2_kernelI14__hip_bfloat16hLi32ELi32ELi128ELNS_18Fp8KVCacheDataTypeE1ELb0ELi512EEEvPfS3_PT_PKS4_PKT0_SA_ifPKiSC_iPKfiiiSE_SE_iiiii.has_dyn_sized_stack, 0
	.set _ZN4vllm25paged_attention_v2_kernelI14__hip_bfloat16hLi32ELi32ELi128ELNS_18Fp8KVCacheDataTypeE1ELb0ELi512EEEvPfS3_PT_PKS4_PKT0_SA_ifPKiSC_iPKfiiiSE_SE_iiiii.has_recursion, 0
	.set _ZN4vllm25paged_attention_v2_kernelI14__hip_bfloat16hLi32ELi32ELi128ELNS_18Fp8KVCacheDataTypeE1ELb0ELi512EEEvPfS3_PT_PKS4_PKT0_SA_ifPKiSC_iPKfiiiSE_SE_iiiii.has_indirect_call, 0
	.section	.AMDGPU.csdata,"",@progbits
; Kernel info:
; codeLenInByte = 11796
; TotalNumSgprs: 63
; NumVgprs: 111
; ScratchSize: 0
; MemoryBound: 0
; FloatMode: 240
; IeeeMode: 1
; LDSByteSize: 96 bytes/workgroup (compile time only)
; SGPRBlocks: 0
; VGPRBlocks: 13
; NumSGPRsForWavesPerEU: 63
; NumVGPRsForWavesPerEU: 111
; Occupancy: 12
; WaveLimiterHint : 1
; COMPUTE_PGM_RSRC2:SCRATCH_EN: 0
; COMPUTE_PGM_RSRC2:USER_SGPR: 2
; COMPUTE_PGM_RSRC2:TRAP_HANDLER: 0
; COMPUTE_PGM_RSRC2:TGID_X_EN: 1
; COMPUTE_PGM_RSRC2:TGID_Y_EN: 1
; COMPUTE_PGM_RSRC2:TGID_Z_EN: 1
; COMPUTE_PGM_RSRC2:TIDIG_COMP_CNT: 0
	.section	.text._ZN4vllm25paged_attention_v2_kernelI14__hip_bfloat16hLi64ELi32ELi128ELNS_18Fp8KVCacheDataTypeE1ELb0ELi512EEEvPfS3_PT_PKS4_PKT0_SA_ifPKiSC_iPKfiiiSE_SE_iiiii,"axG",@progbits,_ZN4vllm25paged_attention_v2_kernelI14__hip_bfloat16hLi64ELi32ELi128ELNS_18Fp8KVCacheDataTypeE1ELb0ELi512EEEvPfS3_PT_PKS4_PKT0_SA_ifPKiSC_iPKfiiiSE_SE_iiiii,comdat
	.protected	_ZN4vllm25paged_attention_v2_kernelI14__hip_bfloat16hLi64ELi32ELi128ELNS_18Fp8KVCacheDataTypeE1ELb0ELi512EEEvPfS3_PT_PKS4_PKT0_SA_ifPKiSC_iPKfiiiSE_SE_iiiii ; -- Begin function _ZN4vllm25paged_attention_v2_kernelI14__hip_bfloat16hLi64ELi32ELi128ELNS_18Fp8KVCacheDataTypeE1ELb0ELi512EEEvPfS3_PT_PKS4_PKT0_SA_ifPKiSC_iPKfiiiSE_SE_iiiii
	.globl	_ZN4vllm25paged_attention_v2_kernelI14__hip_bfloat16hLi64ELi32ELi128ELNS_18Fp8KVCacheDataTypeE1ELb0ELi512EEEvPfS3_PT_PKS4_PKT0_SA_ifPKiSC_iPKfiiiSE_SE_iiiii
	.p2align	8
	.type	_ZN4vllm25paged_attention_v2_kernelI14__hip_bfloat16hLi64ELi32ELi128ELNS_18Fp8KVCacheDataTypeE1ELb0ELi512EEEvPfS3_PT_PKS4_PKT0_SA_ifPKiSC_iPKfiiiSE_SE_iiiii,@function
_ZN4vllm25paged_attention_v2_kernelI14__hip_bfloat16hLi64ELi32ELi128ELNS_18Fp8KVCacheDataTypeE1ELb0ELi512EEEvPfS3_PT_PKS4_PKT0_SA_ifPKiSC_iPKfiiiSE_SE_iiiii: ; @_ZN4vllm25paged_attention_v2_kernelI14__hip_bfloat16hLi64ELi32ELi128ELNS_18Fp8KVCacheDataTypeE1ELb0ELi512EEEvPfS3_PT_PKS4_PKT0_SA_ifPKiSC_iPKfiiiSE_SE_iiiii
; %bb.0:
	s_load_b64 s[2:3], s[0:1], 0x40
	s_and_b32 s15, ttmp7, 0xffff
	s_lshr_b32 s26, ttmp7, 16
	s_lshl_b32 s4, s15, 2
	s_lshl_b32 s28, s26, 9
	s_wait_kmcnt 0x0
	s_load_b32 s27, s[2:3], s4 offset:0x0
	s_wait_kmcnt 0x0
	s_cmp_ge_i32 s28, s27
	s_cbranch_scc1 .LBB359_74
; %bb.1:
	s_clause 0x1
	s_load_b32 s29, s[0:1], 0x90
	s_load_b64 s[8:9], s[0:1], 0x30
	s_wait_kmcnt 0x0
	s_abs_i32 s5, s29
	s_abs_i32 s2, s8
	s_delay_alu instid0(SALU_CYCLE_1) | instskip(SKIP_1) | instid1(SALU_CYCLE_2)
	s_cvt_f32_u32 s3, s2
	s_sub_co_i32 s4, 0, s2
	v_rcp_iflag_f32_e32 v1, s3
	s_delay_alu instid0(TRANS32_DEP_1) | instskip(SKIP_2) | instid1(SALU_CYCLE_2)
	v_readfirstlane_b32 s3, v1
	s_mul_f32 s3, s3, 0x4f7ffffe
	s_wait_alu 0xfffe
	s_cvt_u32_f32 s3, s3
	s_wait_alu 0xfffe
	s_delay_alu instid0(SALU_CYCLE_2) | instskip(NEXT) | instid1(SALU_CYCLE_1)
	s_mul_i32 s4, s4, s3
	s_mul_hi_u32 s4, s3, s4
	s_delay_alu instid0(SALU_CYCLE_1)
	s_add_co_i32 s3, s3, s4
	s_xor_b32 s4, s29, s8
	s_wait_alu 0xfffe
	s_mul_hi_u32 s3, s5, s3
	s_ashr_i32 s4, s4, 31
	s_wait_alu 0xfffe
	s_mul_i32 s6, s3, s2
	s_delay_alu instid0(SALU_CYCLE_1)
	s_sub_co_i32 s5, s5, s6
	s_add_co_i32 s6, s3, 1
	s_sub_co_i32 s7, s5, s2
	s_cmp_ge_u32 s5, s2
	s_cselect_b32 s3, s6, s3
	s_cselect_b32 s5, s7, s5
	s_wait_alu 0xfffe
	s_add_co_i32 s6, s3, 1
	s_cmp_ge_u32 s5, s2
	s_cselect_b32 s2, s6, s3
	s_load_b64 s[6:7], s[0:1], 0x50
	s_xor_b32 s2, s2, s4
	s_mov_b32 s3, 0
	s_wait_alu 0xfffe
	s_sub_co_i32 s11, s2, s4
	s_mov_b32 s8, s3
	s_abs_i32 s10, s11
	s_delay_alu instid0(SALU_CYCLE_1) | instskip(SKIP_1) | instid1(SALU_CYCLE_2)
	s_cvt_f32_u32 s2, s10
	s_wait_alu 0xfffe
	v_rcp_iflag_f32_e32 v1, s2
	s_delay_alu instid0(TRANS32_DEP_1) | instskip(SKIP_2) | instid1(SALU_CYCLE_2)
	v_readfirstlane_b32 s2, v1
	s_mul_f32 s2, s2, 0x4f7ffffe
	s_wait_alu 0xfffe
	s_cvt_u32_f32 s4, s2
	s_sub_co_i32 s2, 0, s10
	s_wait_alu 0xfffe
	s_delay_alu instid0(SALU_CYCLE_1)
	s_mul_i32 s2, s2, s4
	s_wait_alu 0xfffe
	s_mul_hi_u32 s5, s4, s2
	s_abs_i32 s2, ttmp9
	s_add_co_i32 s4, s4, s5
	s_mov_b32 s5, s3
	s_wait_kmcnt 0x0
	s_cmp_eq_u64 s[6:7], 0
	s_cbranch_scc1 .LBB359_3
; %bb.2:
	s_mov_b32 s12, ttmp9
	s_ashr_i32 s13, ttmp9, 31
	s_delay_alu instid0(SALU_CYCLE_1) | instskip(NEXT) | instid1(SALU_CYCLE_1)
	s_lshl_b64 s[12:13], s[12:13], 2
	s_add_nc_u64 s[6:7], s[6:7], s[12:13]
	s_load_b32 s8, s[6:7], 0x0
.LBB359_3:
	s_load_b96 s[12:14], s[0:1], 0x58
	s_mul_u64 s[4:5], s[2:3], s[4:5]
	s_ashr_i32 s3, ttmp9, 31
	s_ashr_i32 s4, s11, 31
	s_lshl_b32 s16, ttmp9, 6
	s_mov_b32 s6, exec_lo
	v_cmpx_gt_u32_e32 8, v0
	s_cbranch_execz .LBB359_5
; %bb.4:
	s_load_b64 s[18:19], s[0:1], 0x18
	s_wait_kmcnt 0x0
	s_mul_i32 s20, s12, s15
	s_ashr_i32 s17, s16, 31
	s_ashr_i32 s21, s20, 31
	v_lshlrev_b32_e32 v5, 4, v0
	s_lshl_b64 s[20:21], s[20:21], 1
	s_delay_alu instid0(SALU_CYCLE_1) | instskip(SKIP_1) | instid1(SALU_CYCLE_1)
	s_add_nc_u64 s[18:19], s[18:19], s[20:21]
	s_lshl_b64 s[20:21], s[16:17], 1
	s_add_nc_u64 s[18:19], s[18:19], s[20:21]
	global_load_b128 v[1:4], v5, s[18:19]
	s_wait_loadcnt 0x0
	ds_store_b128 v5, v[1:4]
.LBB359_5:
	s_or_b32 exec_lo, exec_lo, s6
	s_add_co_i32 s6, s27, 31
	s_lshl_b32 s31, s26, 4
	s_ashr_i32 s7, s6, 31
	s_wait_alu 0xfffe
	s_xor_b32 s3, s3, s4
	s_lshr_b32 s7, s7, 27
	s_add_co_i32 s4, s31, 16
	s_add_co_i32 s6, s6, s7
	s_clause 0x1
	s_load_b64 s[18:19], s[0:1], 0x38
	s_load_b32 s11, s[0:1], 0x48
	s_ashr_i32 s30, s6, 5
	s_mul_i32 s6, s5, s10
	s_min_i32 s17, s4, s30
	s_sub_co_i32 s2, s2, s6
	s_add_co_i32 s4, s5, 1
	s_wait_alu 0xfffe
	s_sub_co_i32 s6, s2, s10
	s_cmp_ge_u32 s2, s10
	v_lshrrev_b32_e32 v15, 5, v0
	s_cselect_b32 s20, s4, s5
	s_cselect_b32 s2, s6, s2
	s_wait_kmcnt 0x0
	s_clause 0x1
	s_load_b32 s12, s[0:1], 0x98
	s_load_b128 s[4:7], s[0:1], 0x68
	s_add_co_i32 s21, s20, 1
	s_cmp_ge_u32 s2, s10
	v_and_b32_e32 v16, 31, v0
	v_dual_mov_b32 v60, 0xff7fffff :: v_dual_add_nc_u32 v17, s31, v15
	s_cselect_b32 s2, s21, s20
	s_wait_dscnt 0x0
	s_wait_alu 0xfffe
	s_xor_b32 s2, s2, s3
	v_lshlrev_b32_e32 v8, 2, v16
	s_wait_alu 0xfffe
	s_sub_co_i32 s3, s2, s3
	v_cmp_gt_i32_e64 s2, s17, v17
	v_lshlrev_b32_e32 v7, 2, v17
	s_mul_i32 s20, s11, s15
	s_wait_alu 0xfffe
	s_mul_i32 s22, s3, s14
	s_ashr_i32 s21, s20, 31
	s_barrier_signal -1
	s_barrier_wait -1
	global_inv scope:SCOPE_SE
	s_and_saveexec_b32 s10, s2
	s_cbranch_execz .LBB359_9
; %bb.6:
	v_mov_b32_e32 v49, 0
	s_load_b64 s[24:25], s[0:1], 0x20
	v_dual_mov_b32 v60, 0xff7fffff :: v_dual_lshlrev_b32 v1, 4, v16
	s_ashr_i32 s23, s22, 31
	ds_load_b128 v[3:6], v49
	ds_load_b128 v[24:27], v49 offset:16
	s_cmp_neq_f32 s8, 0
	s_mov_b32 s14, s13
	s_mov_b32 s11, 0
	v_mov_b32_e32 v79, v17
	s_cselect_b32 vcc_lo, -1, 0
	s_wait_kmcnt 0x0
	s_add_nc_u64 s[24:25], s[24:25], s[22:23]
	s_sub_co_i32 s23, 1, s27
	v_add_co_u32 v1, s3, s24, v1
	s_wait_dscnt 0x1
	v_lshlrev_b32_e32 v9, 16, v3
	v_and_b32_e32 v10, 0xffff0000, v3
	ds_load_b128 v[32:35], v49 offset:32
	ds_load_b128 v[40:43], v49 offset:48
	v_lshlrev_b32_e32 v11, 16, v4
	v_and_b32_e32 v12, 0xffff0000, v4
	v_lshlrev_b32_e32 v13, 16, v5
	v_and_b32_e32 v14, 0xffff0000, v5
	;; [unrolled: 2-line block ×3, first 2 shown]
	ds_load_b128 v[3:6], v49 offset:64
	ds_load_b128 v[56:59], v49 offset:80
	;; [unrolled: 1-line block ×4, first 2 shown]
	s_load_b32 s5, s[4:5], 0x0
	v_add_co_ci_u32_e64 v2, null, s25, 0, s3
	s_lshl_b64 s[24:25], s[20:21], 2
	s_wait_dscnt 0x6
	v_lshlrev_b32_e32 v20, 16, v24
	s_wait_alu 0xfffe
	s_add_nc_u64 s[24:25], s[18:19], s[24:25]
	v_and_b32_e32 v21, 0xffff0000, v24
	v_lshlrev_b32_e32 v22, 16, v25
	v_and_b32_e32 v23, 0xffff0000, v25
	v_lshlrev_b32_e32 v24, 16, v26
	;; [unrolled: 2-line block ×3, first 2 shown]
	v_and_b32_e32 v27, 0xffff0000, v27
	s_wait_dscnt 0x5
	v_lshlrev_b32_e32 v28, 16, v32
	v_and_b32_e32 v29, 0xffff0000, v32
	v_lshlrev_b32_e32 v30, 16, v33
	s_wait_dscnt 0x3
	v_lshlrev_b32_e32 v44, 16, v3
	v_and_b32_e32 v45, 0xffff0000, v3
	v_lshlrev_b32_e32 v3, 5, v15
	v_lshlrev_b32_e32 v46, 16, v4
	v_and_b32_e32 v47, 0xffff0000, v4
	v_lshl_or_b32 v4, v15, 7, v8
	v_and_b32_e32 v31, 0xffff0000, v33
	v_add3_u32 v77, s28, v3, v16
	s_wait_alu 0xfffe
	v_add_co_u32 v3, s3, s24, v7
	v_lshlrev_b32_e32 v32, 16, v34
	v_and_b32_e32 v33, 0xffff0000, v34
	v_lshlrev_b32_e32 v34, 16, v35
	v_and_b32_e32 v35, 0xffff0000, v35
	;; [unrolled: 2-line block ×8, first 2 shown]
	s_wait_dscnt 0x2
	v_lshlrev_b32_e32 v52, 16, v56
	v_and_b32_e32 v53, 0xffff0000, v56
	v_lshlrev_b32_e32 v54, 16, v57
	v_and_b32_e32 v55, 0xffff0000, v57
	v_lshlrev_b32_e32 v56, 16, v58
	v_and_b32_e32 v57, 0xffff0000, v58
	v_lshlrev_b32_e32 v58, 16, v59
	v_and_b32_e32 v59, 0xffff0000, v59
	s_wait_dscnt 0x1
	v_lshlrev_b32_e32 v61, 16, v65
	v_and_b32_e32 v62, 0xffff0000, v65
	v_lshlrev_b32_e32 v63, 16, v66
	v_and_b32_e32 v64, 0xffff0000, v66
	v_lshlrev_b32_e32 v65, 16, v67
	v_and_b32_e32 v66, 0xffff0000, v67
	v_lshlrev_b32_e32 v67, 16, v68
	v_and_b32_e32 v68, 0xffff0000, v68
	;; [unrolled: 9-line block ×3, first 2 shown]
	v_add_nc_u32_e32 v78, 0xa0, v4
	s_wait_alu 0xf1ff
	v_add_co_ci_u32_e64 v4, null, s25, 0, s3
.LBB359_7:                              ; =>This Inner Loop Header: Depth=1
	global_load_b32 v5, v[3:4], off
	v_add_nc_u32_e32 v79, 4, v79
	s_delay_alu instid0(VALU_DEP_1)
	v_cmp_le_i32_e64 s4, s17, v79
	s_or_b32 s11, s4, s11
	s_wait_loadcnt 0x0
	v_mad_co_i64_i32 v[5:6], null, v5, s14, v[1:2]
	s_clause 0x3
	global_load_b128 v[96:99], v[5:6], off
	global_load_b128 v[106:109], v[5:6], off offset:512
	global_load_b128 v[129:132], v[5:6], off offset:1024
	;; [unrolled: 1-line block ×3, first 2 shown]
	s_wait_loadcnt 0x3
	v_and_b32_e32 v95, 0xff, v96
	v_bfe_u32 v94, v96, 8, 8
	v_bfe_u32 v87, v96, 16, 8
	v_lshrrev_b32_e32 v88, 24, v96
	v_bfe_u32 v91, v97, 8, 8
	v_cvt_f32_fp8_e32 v5, v95
	v_and_b32_e32 v90, 0xff, v98
	v_cvt_f32_fp8_e32 v87, v87
	s_wait_loadcnt 0x2
	v_and_b32_e32 v96, 0xff, v106
	v_cvt_f32_fp8_e32 v88, v88
	s_wait_kmcnt 0x0
	v_mul_f32_e32 v5, s5, v5
	v_and_b32_e32 v89, 0xff, v97
	v_mul_f32_e32 v87, s5, v87
	v_cvt_f32_fp8_e32 v91, v91
	v_mul_f32_e32 v88, s5, v88
	v_bfe_u32 v6, v5, 16, 1
	v_cmp_u_f32_e64 s3, v5, v5
	v_cvt_f32_fp8_e32 v89, v89
	v_and_b32_e32 v100, 0xff, v107
	v_bfe_u32 v92, v97, 16, 8
	v_add3_u32 v6, v6, v5, 0x7fff
	v_or_b32_e32 v5, 0x400000, v5
	v_dual_mul_f32 v89, s5, v89 :: v_dual_and_b32 v104, 0xff, v108
	v_mul_f32_e32 v91, s5, v91
	v_cvt_f32_fp8_e32 v92, v92
	s_wait_alu 0xf1ff
	v_cndmask_b32_e64 v5, v6, v5, s3
	v_cvt_f32_fp8_e32 v6, v94
	v_lshrrev_b32_e32 v93, 24, v97
	v_dual_mul_f32 v92, s5, v92 :: v_dual_and_b32 v83, 0xff, v99
	v_cvt_f32_fp8_e32 v90, v90
	s_delay_alu instid0(VALU_DEP_4) | instskip(NEXT) | instid1(VALU_DEP_4)
	v_mul_f32_e32 v6, s5, v6
	v_cvt_f32_fp8_e32 v93, v93
	s_wait_loadcnt 0x1
	v_and_b32_e32 v120, 0xff, v130
	v_bfe_u32 v86, v98, 8, 8
	v_dual_mul_f32 v90, s5, v90 :: v_dual_and_b32 v117, 0xff, v132
	v_bfe_u32 v94, v6, 16, 1
	v_cmp_u_f32_e64 s3, v6, v6
	v_mul_f32_e32 v93, s5, v93
	v_cvt_f32_fp8_e32 v86, v86
	v_bfe_u32 v85, v98, 16, 8
	v_add3_u32 v94, v94, v6, 0x7fff
	v_or_b32_e32 v6, 0x400000, v6
	s_wait_loadcnt 0x0
	v_dual_mul_f32 v86, s5, v86 :: v_dual_and_b32 v137, 0xff, v143
	v_cvt_f32_fp8_e32 v85, v85
	v_lshrrev_b32_e32 v84, 24, v98
	s_wait_alu 0xf1ff
	v_cndmask_b32_e64 v6, v94, v6, s3
	v_bfe_u32 v94, v87, 16, 1
	v_cmp_u_f32_e64 s3, v87, v87
	v_dual_mul_f32 v85, s5, v85 :: v_dual_and_b32 v126, 0xff, v131
	v_cvt_f32_fp8_e32 v84, v84
	s_delay_alu instid0(VALU_DEP_4)
	v_add3_u32 v94, v94, v87, 0x7fff
	v_or_b32_e32 v87, 0x400000, v87
	v_and_b32_e32 v133, 0xff, v142
	v_cvt_f32_fp8_e32 v83, v83
	v_mul_f32_e32 v84, s5, v84
	v_bfe_u32 v82, v99, 8, 8
	s_wait_alu 0xf1ff
	v_cndmask_b32_e64 v87, v94, v87, s3
	v_bfe_u32 v94, v88, 16, 1
	v_cmp_u_f32_e64 s3, v88, v88
	v_dual_mul_f32 v83, s5, v83 :: v_dual_and_b32 v110, 0xff, v109
	v_bfe_u32 v81, v99, 16, 8
	s_delay_alu instid0(VALU_DEP_4)
	v_add3_u32 v94, v94, v88, 0x7fff
	v_or_b32_e32 v88, 0x400000, v88
	v_cvt_f32_fp8_e32 v82, v82
	v_lshrrev_b32_e32 v80, 24, v99
	v_cvt_f32_fp8_e32 v81, v81
	v_bfe_u32 v97, v106, 8, 8
	s_wait_alu 0xf1ff
	v_cndmask_b32_e64 v88, v94, v88, s3
	v_bfe_u32 v94, v89, 16, 1
	v_cmp_u_f32_e64 s3, v89, v89
	v_dual_mul_f32 v82, s5, v82 :: v_dual_mul_f32 v81, s5, v81
	v_cvt_f32_fp8_e32 v80, v80
	s_delay_alu instid0(VALU_DEP_4)
	v_add3_u32 v94, v94, v89, 0x7fff
	v_or_b32_e32 v89, 0x400000, v89
	v_bfe_u32 v98, v106, 16, 8
	v_bfe_u32 v115, v129, 8, 8
	v_mul_f32_e32 v80, s5, v80
	v_bfe_u32 v116, v129, 16, 8
	s_wait_alu 0xf1ff
	v_cndmask_b32_e64 v89, v94, v89, s3
	v_bfe_u32 v94, v91, 16, 1
	v_cmp_u_f32_e64 s3, v91, v91
	v_lshrrev_b32_e32 v118, 24, v129
	v_lshrrev_b32_e32 v99, 24, v106
	v_bfe_u32 v111, v109, 8, 8
	v_add3_u32 v94, v94, v91, 0x7fff
	v_or_b32_e32 v91, 0x400000, v91
	v_bfe_u32 v113, v109, 16, 8
	v_lshrrev_b32_e32 v127, 24, v109
	v_bfe_u32 v121, v130, 8, 8
	v_bfe_u32 v123, v130, 16, 8
	s_wait_alu 0xf1ff
	v_cndmask_b32_e64 v91, v94, v91, s3
	v_bfe_u32 v94, v92, 16, 1
	v_cmp_u_f32_e64 s3, v92, v92
	v_lshrrev_b32_e32 v124, 24, v130
	v_bfe_u32 v125, v131, 8, 8
	v_bfe_u32 v122, v131, 16, 8
	v_add3_u32 v94, v94, v92, 0x7fff
	v_or_b32_e32 v92, 0x400000, v92
	v_lshrrev_b32_e32 v119, 24, v131
	v_bfe_u32 v114, v132, 8, 8
	v_bfe_u32 v112, v132, 16, 8
	v_lshrrev_b32_e32 v109, 24, v132
	s_wait_alu 0xf1ff
	v_cndmask_b32_e64 v92, v94, v92, s3
	v_bfe_u32 v94, v93, 16, 1
	v_cmp_u_f32_e64 s3, v93, v93
	v_bfe_u32 v130, v141, 8, 8
	v_bfe_u32 v131, v141, 16, 8
	v_lshrrev_b32_e32 v132, 24, v141
	v_add3_u32 v94, v94, v93, 0x7fff
	v_or_b32_e32 v93, 0x400000, v93
	v_bfe_u32 v101, v107, 8, 8
	v_bfe_u32 v102, v107, 16, 8
	v_lshrrev_b32_e32 v103, 24, v107
	v_bfe_u32 v106, v108, 8, 8
	s_wait_alu 0xf1ff
	v_cndmask_b32_e64 v93, v94, v93, s3
	v_bfe_u32 v94, v90, 16, 1
	v_cmp_u_f32_e64 s3, v90, v90
	v_bfe_u32 v107, v108, 16, 8
	v_lshrrev_b32_e32 v108, 24, v108
	v_cvt_f32_fp8_e32 v115, v115
	v_add3_u32 v94, v94, v90, 0x7fff
	v_or_b32_e32 v90, 0x400000, v90
	v_cvt_f32_fp8_e32 v116, v116
	v_cvt_f32_fp8_e32 v121, v121
	v_cvt_f32_fp8_e32 v118, v118
	v_cvt_f32_fp8_e32 v123, v123
	s_wait_alu 0xf1ff
	v_cndmask_b32_e64 v90, v94, v90, s3
	v_bfe_u32 v94, v86, 16, 1
	v_cmp_u_f32_e64 s3, v86, v86
	v_dual_mul_f32 v116, s5, v116 :: v_dual_mul_f32 v121, s5, v121
	v_dual_mul_f32 v118, s5, v118 :: v_dual_mul_f32 v123, s5, v123
	s_delay_alu instid0(VALU_DEP_4)
	v_add3_u32 v94, v94, v86, 0x7fff
	v_or_b32_e32 v86, 0x400000, v86
	v_cvt_f32_fp8_e32 v120, v120
	v_cvt_f32_fp8_e32 v125, v125
	v_cvt_f32_fp8_e32 v124, v124
	v_cvt_f32_fp8_e32 v119, v119
	s_wait_alu 0xf1ff
	v_cndmask_b32_e64 v86, v94, v86, s3
	v_bfe_u32 v94, v85, 16, 1
	v_cmp_u_f32_e64 s3, v85, v85
	v_dual_mul_f32 v120, s5, v120 :: v_dual_mul_f32 v125, s5, v125
	v_dual_mul_f32 v124, s5, v124 :: v_dual_mul_f32 v119, s5, v119
	s_delay_alu instid0(VALU_DEP_4)
	;; [unrolled: 13-line block ×3, first 2 shown]
	v_add3_u32 v94, v94, v84, 0x7fff
	v_or_b32_e32 v84, 0x400000, v84
	v_cvt_f32_fp8_e32 v114, v114
	v_cvt_f32_fp8_e32 v112, v112
	v_bfe_u32 v134, v142, 8, 8
	v_bfe_u32 v135, v142, 16, 8
	s_wait_alu 0xf1ff
	v_cndmask_b32_e64 v84, v94, v84, s3
	v_bfe_u32 v94, v83, 16, 1
	v_cmp_u_f32_e64 s3, v83, v83
	v_mul_f32_e32 v114, s5, v114
	v_mul_f32_e32 v112, s5, v112
	v_lshrrev_b32_e32 v136, 24, v142
	v_add3_u32 v94, v94, v83, 0x7fff
	v_or_b32_e32 v83, 0x400000, v83
	v_bfe_u32 v138, v143, 8, 8
	v_lshrrev_b32_e32 v105, 24, v144
	v_bfe_u32 v139, v143, 16, 8
	v_lshrrev_b32_e32 v140, 24, v143
	s_wait_alu 0xf1ff
	v_cndmask_b32_e64 v83, v94, v83, s3
	v_bfe_u32 v94, v82, 16, 1
	v_cmp_u_f32_e64 s3, v82, v82
	v_cvt_f32_fp8_e32 v105, v105
	v_bfe_u32 v142, v144, 8, 8
	v_and_b32_e32 v90, 0xffff0000, v90
	v_add3_u32 v94, v94, v82, 0x7fff
	v_or_b32_e32 v82, 0x400000, v82
	v_bfe_u32 v143, v144, 16, 8
	s_delay_alu instid0(VALU_DEP_4)
	v_dual_mul_f32 v115, s5, v115 :: v_dual_mul_f32 v90, v20, v90
	v_mul_f32_e32 v105, s5, v105
	s_wait_alu 0xf1ff
	v_cndmask_b32_e64 v82, v94, v82, s3
	v_bfe_u32 v94, v81, 16, 1
	v_cmp_u_f32_e64 s3, v81, v81
	v_and_b32_e32 v5, 0xffff0000, v5
	s_delay_alu instid0(VALU_DEP_3) | instskip(SKIP_2) | instid1(VALU_DEP_1)
	v_add3_u32 v94, v94, v81, 0x7fff
	v_or_b32_e32 v81, 0x400000, v81
	s_wait_alu 0xf1ff
	v_cndmask_b32_e64 v81, v94, v81, s3
	v_bfe_u32 v94, v80, 16, 1
	v_cmp_u_f32_e64 s3, v80, v80
	s_delay_alu instid0(VALU_DEP_2) | instskip(SKIP_2) | instid1(VALU_DEP_1)
	v_add3_u32 v94, v94, v80, 0x7fff
	v_or_b32_e32 v80, 0x400000, v80
	s_wait_alu 0xf1ff
	v_cndmask_b32_e64 v80, v94, v80, s3
	v_cvt_f32_fp8_e32 v94, v96
	s_delay_alu instid0(VALU_DEP_2) | instskip(NEXT) | instid1(VALU_DEP_2)
	v_and_b32_e32 v80, 0xffff0000, v80
	v_dual_mul_f32 v94, s5, v94 :: v_dual_and_b32 v81, 0xffff0000, v81
	s_delay_alu instid0(VALU_DEP_2) | instskip(NEXT) | instid1(VALU_DEP_2)
	v_mul_f32_e32 v80, v27, v80
	v_bfe_u32 v95, v94, 16, 1
	v_cmp_u_f32_e64 s3, v94, v94
	s_delay_alu instid0(VALU_DEP_4) | instskip(SKIP_1) | instid1(VALU_DEP_4)
	v_dual_mul_f32 v81, v26, v81 :: v_dual_and_b32 v82, 0xffff0000, v82
	v_and_b32_e32 v83, 0xffff0000, v83
	v_add3_u32 v95, v95, v94, 0x7fff
	v_or_b32_e32 v94, 0x400000, v94
	s_delay_alu instid0(VALU_DEP_4) | instskip(NEXT) | instid1(VALU_DEP_4)
	v_mul_f32_e32 v82, v25, v82
	v_dual_mul_f32 v83, v24, v83 :: v_dual_and_b32 v6, 0xffff0000, v6
	v_and_b32_e32 v84, 0xffff0000, v84
	s_wait_alu 0xf1ff
	v_cndmask_b32_e64 v94, v95, v94, s3
	v_cvt_f32_fp8_e32 v95, v97
	v_and_b32_e32 v128, 0xff, v129
	v_fmac_f32_e32 v90, v9, v5
	v_dual_mul_f32 v84, v23, v84 :: v_dual_and_b32 v5, 0xffff0000, v86
	s_delay_alu instid0(VALU_DEP_4) | instskip(NEXT) | instid1(VALU_DEP_2)
	v_mul_f32_e32 v95, s5, v95
	v_mul_f32_e32 v5, v21, v5
	s_delay_alu instid0(VALU_DEP_2) | instskip(SKIP_1) | instid1(VALU_DEP_3)
	v_bfe_u32 v96, v95, 16, 1
	v_cmp_u_f32_e64 s3, v95, v95
	v_fmac_f32_e32 v5, v10, v6
	s_delay_alu instid0(VALU_DEP_3) | instskip(SKIP_4) | instid1(VALU_DEP_3)
	v_add3_u32 v96, v96, v95, 0x7fff
	v_or_b32_e32 v95, 0x400000, v95
	v_and_b32_e32 v6, 0xffff0000, v85
	v_and_b32_e32 v85, 0xffff0000, v87
	s_wait_alu 0xf1ff
	v_cndmask_b32_e64 v95, v96, v95, s3
	v_cvt_f32_fp8_e32 v96, v98
	v_dual_mul_f32 v6, v22, v6 :: v_dual_and_b32 v129, 0xff, v141
	s_delay_alu instid0(VALU_DEP_2) | instskip(NEXT) | instid1(VALU_DEP_2)
	v_mul_f32_e32 v96, s5, v96
	v_dual_fmac_f32 v6, v11, v85 :: v_dual_and_b32 v85, 0xffff0000, v88
	s_delay_alu instid0(VALU_DEP_2) | instskip(SKIP_1) | instid1(VALU_DEP_3)
	v_bfe_u32 v97, v96, 16, 1
	v_cmp_u_f32_e64 s3, v96, v96
	v_fmac_f32_e32 v84, v12, v85
	v_and_b32_e32 v85, 0xffff0000, v89
	s_delay_alu instid0(VALU_DEP_4) | instskip(SKIP_1) | instid1(VALU_DEP_3)
	v_add3_u32 v97, v97, v96, 0x7fff
	v_or_b32_e32 v96, 0x400000, v96
	v_fmac_f32_e32 v83, v13, v85
	v_and_b32_e32 v85, 0xffff0000, v91
	s_wait_alu 0xf1ff
	s_delay_alu instid0(VALU_DEP_3) | instskip(SKIP_1) | instid1(VALU_DEP_3)
	v_cndmask_b32_e64 v96, v97, v96, s3
	v_cvt_f32_fp8_e32 v97, v99
	v_dual_fmac_f32 v82, v14, v85 :: v_dual_and_b32 v85, 0xffff0000, v92
	s_delay_alu instid0(VALU_DEP_2) | instskip(NEXT) | instid1(VALU_DEP_2)
	v_mul_f32_e32 v97, s5, v97
	v_fmac_f32_e32 v81, v18, v85
	s_delay_alu instid0(VALU_DEP_2) | instskip(SKIP_2) | instid1(VALU_DEP_3)
	v_bfe_u32 v98, v97, 16, 1
	v_cmp_u_f32_e64 s3, v97, v97
	v_and_b32_e32 v85, 0xffff0000, v93
	v_add3_u32 v98, v98, v97, 0x7fff
	v_or_b32_e32 v97, 0x400000, v97
	s_delay_alu instid0(VALU_DEP_3) | instskip(SKIP_1) | instid1(VALU_DEP_2)
	v_dual_fmac_f32 v80, v19, v85 :: v_dual_and_b32 v85, 0xffff0000, v94
	s_wait_alu 0xf1ff
	v_cndmask_b32_e64 v97, v98, v97, s3
	v_cvt_f32_fp8_e32 v98, v100
	s_delay_alu instid0(VALU_DEP_3) | instskip(NEXT) | instid1(VALU_DEP_2)
	v_dual_fmac_f32 v90, v28, v85 :: v_dual_and_b32 v141, 0xff, v144
	v_dual_mul_f32 v98, s5, v98 :: v_dual_and_b32 v85, 0xffff0000, v95
	s_delay_alu instid0(VALU_DEP_1) | instskip(SKIP_1) | instid1(VALU_DEP_3)
	v_fmac_f32_e32 v5, v29, v85
	v_and_b32_e32 v85, 0xffff0000, v96
	v_bfe_u32 v99, v98, 16, 1
	v_cmp_u_f32_e64 s3, v98, v98
	s_delay_alu instid0(VALU_DEP_2) | instskip(SKIP_2) | instid1(VALU_DEP_1)
	v_add3_u32 v99, v99, v98, 0x7fff
	v_or_b32_e32 v98, 0x400000, v98
	s_wait_alu 0xf1ff
	v_cndmask_b32_e64 v98, v99, v98, s3
	v_cvt_f32_fp8_e32 v99, v101
	v_fmac_f32_e32 v6, v30, v85
	v_and_b32_e32 v85, 0xffff0000, v97
	s_delay_alu instid0(VALU_DEP_3) | instskip(NEXT) | instid1(VALU_DEP_1)
	v_mul_f32_e32 v99, s5, v99
	v_bfe_u32 v100, v99, 16, 1
	v_cmp_u_f32_e64 s3, v99, v99
	s_delay_alu instid0(VALU_DEP_2) | instskip(SKIP_2) | instid1(VALU_DEP_1)
	v_add3_u32 v100, v100, v99, 0x7fff
	v_or_b32_e32 v99, 0x400000, v99
	s_wait_alu 0xf1ff
	v_cndmask_b32_e64 v99, v100, v99, s3
	v_cvt_f32_fp8_e32 v100, v102
	v_dual_fmac_f32 v84, v31, v85 :: v_dual_and_b32 v85, 0xffff0000, v98
	s_delay_alu instid0(VALU_DEP_1) | instskip(NEXT) | instid1(VALU_DEP_4)
	v_dual_mul_f32 v100, s5, v100 :: v_dual_fmac_f32 v83, v32, v85
	v_and_b32_e32 v85, 0xffff0000, v99
	s_delay_alu instid0(VALU_DEP_2) | instskip(SKIP_1) | instid1(VALU_DEP_2)
	v_bfe_u32 v101, v100, 16, 1
	v_cmp_u_f32_e64 s3, v100, v100
	v_add3_u32 v101, v101, v100, 0x7fff
	v_or_b32_e32 v100, 0x400000, v100
	s_wait_alu 0xf1ff
	s_delay_alu instid0(VALU_DEP_1) | instskip(SKIP_1) | instid1(VALU_DEP_2)
	v_cndmask_b32_e64 v100, v101, v100, s3
	v_cvt_f32_fp8_e32 v101, v103
	v_dual_fmac_f32 v82, v33, v85 :: v_dual_and_b32 v85, 0xffff0000, v100
	s_delay_alu instid0(VALU_DEP_2) | instskip(NEXT) | instid1(VALU_DEP_2)
	v_mul_f32_e32 v101, s5, v101
	v_fmac_f32_e32 v81, v34, v85
	s_delay_alu instid0(VALU_DEP_2) | instskip(SKIP_1) | instid1(VALU_DEP_2)
	v_bfe_u32 v102, v101, 16, 1
	v_cmp_u_f32_e64 s3, v101, v101
	v_add3_u32 v102, v102, v101, 0x7fff
	v_or_b32_e32 v101, 0x400000, v101
	s_wait_alu 0xf1ff
	s_delay_alu instid0(VALU_DEP_1) | instskip(SKIP_1) | instid1(VALU_DEP_1)
	v_cndmask_b32_e64 v101, v102, v101, s3
	v_cvt_f32_fp8_e32 v102, v104
	v_dual_mul_f32 v102, s5, v102 :: v_dual_and_b32 v85, 0xffff0000, v101
	s_delay_alu instid0(VALU_DEP_1) | instskip(SKIP_1) | instid1(VALU_DEP_2)
	v_bfe_u32 v103, v102, 16, 1
	v_cmp_u_f32_e64 s3, v102, v102
	v_add3_u32 v103, v103, v102, 0x7fff
	v_or_b32_e32 v102, 0x400000, v102
	s_wait_alu 0xf1ff
	s_delay_alu instid0(VALU_DEP_1) | instskip(SKIP_1) | instid1(VALU_DEP_2)
	v_cndmask_b32_e64 v102, v103, v102, s3
	v_cvt_f32_fp8_e32 v103, v106
	v_dual_fmac_f32 v80, v35, v85 :: v_dual_and_b32 v85, 0xffff0000, v102
	s_delay_alu instid0(VALU_DEP_2) | instskip(NEXT) | instid1(VALU_DEP_1)
	v_mul_f32_e32 v103, s5, v103
	v_bfe_u32 v104, v103, 16, 1
	v_cmp_u_f32_e64 s3, v103, v103
	s_delay_alu instid0(VALU_DEP_2) | instskip(SKIP_2) | instid1(VALU_DEP_1)
	v_add3_u32 v104, v104, v103, 0x7fff
	v_or_b32_e32 v103, 0x400000, v103
	s_wait_alu 0xf1ff
	v_cndmask_b32_e64 v103, v104, v103, s3
	v_cvt_f32_fp8_e32 v104, v107
	s_delay_alu instid0(VALU_DEP_2) | instskip(NEXT) | instid1(VALU_DEP_1)
	v_dual_fmac_f32 v90, v36, v85 :: v_dual_and_b32 v85, 0xffff0000, v103
	v_dual_mul_f32 v104, s5, v104 :: v_dual_fmac_f32 v5, v37, v85
	s_delay_alu instid0(VALU_DEP_1) | instskip(SKIP_1) | instid1(VALU_DEP_2)
	v_bfe_u32 v106, v104, 16, 1
	v_cmp_u_f32_e64 s3, v104, v104
	v_add3_u32 v106, v106, v104, 0x7fff
	v_or_b32_e32 v104, 0x400000, v104
	s_wait_alu 0xf1ff
	s_delay_alu instid0(VALU_DEP_1) | instskip(SKIP_1) | instid1(VALU_DEP_1)
	v_cndmask_b32_e64 v104, v106, v104, s3
	v_cvt_f32_fp8_e32 v106, v108
	v_dual_mul_f32 v106, s5, v106 :: v_dual_and_b32 v85, 0xffff0000, v104
	s_delay_alu instid0(VALU_DEP_1) | instskip(SKIP_1) | instid1(VALU_DEP_2)
	v_bfe_u32 v107, v106, 16, 1
	v_cmp_u_f32_e64 s3, v106, v106
	v_add3_u32 v107, v107, v106, 0x7fff
	v_or_b32_e32 v106, 0x400000, v106
	s_wait_alu 0xf1ff
	s_delay_alu instid0(VALU_DEP_1) | instskip(SKIP_1) | instid1(VALU_DEP_2)
	v_cndmask_b32_e64 v106, v107, v106, s3
	v_cvt_f32_fp8_e32 v107, v110
	v_dual_fmac_f32 v6, v38, v85 :: v_dual_and_b32 v85, 0xffff0000, v106
	s_delay_alu instid0(VALU_DEP_2) | instskip(NEXT) | instid1(VALU_DEP_1)
	v_mul_f32_e32 v107, s5, v107
	v_bfe_u32 v108, v107, 16, 1
	v_cmp_u_f32_e64 s3, v107, v107
	s_delay_alu instid0(VALU_DEP_2) | instskip(SKIP_2) | instid1(VALU_DEP_1)
	v_add3_u32 v108, v108, v107, 0x7fff
	v_or_b32_e32 v107, 0x400000, v107
	s_wait_alu 0xf1ff
	v_cndmask_b32_e64 v107, v108, v107, s3
	v_cvt_f32_fp8_e32 v108, v111
	s_delay_alu instid0(VALU_DEP_2) | instskip(NEXT) | instid1(VALU_DEP_1)
	v_dual_fmac_f32 v84, v39, v85 :: v_dual_and_b32 v85, 0xffff0000, v107
	v_dual_mul_f32 v108, s5, v108 :: v_dual_fmac_f32 v83, v40, v85
	s_delay_alu instid0(VALU_DEP_1) | instskip(SKIP_1) | instid1(VALU_DEP_2)
	v_bfe_u32 v110, v108, 16, 1
	v_cmp_u_f32_e64 s3, v108, v108
	v_add3_u32 v110, v110, v108, 0x7fff
	v_or_b32_e32 v108, 0x400000, v108
	s_wait_alu 0xf1ff
	s_delay_alu instid0(VALU_DEP_1) | instskip(SKIP_1) | instid1(VALU_DEP_1)
	v_cndmask_b32_e64 v108, v110, v108, s3
	v_cvt_f32_fp8_e32 v110, v113
	v_dual_mul_f32 v110, s5, v110 :: v_dual_and_b32 v85, 0xffff0000, v108
	s_delay_alu instid0(VALU_DEP_1) | instskip(SKIP_1) | instid1(VALU_DEP_2)
	v_bfe_u32 v111, v110, 16, 1
	v_cmp_u_f32_e64 s3, v110, v110
	v_add3_u32 v111, v111, v110, 0x7fff
	v_or_b32_e32 v110, 0x400000, v110
	s_wait_alu 0xf1ff
	s_delay_alu instid0(VALU_DEP_1) | instskip(SKIP_1) | instid1(VALU_DEP_2)
	v_cndmask_b32_e64 v110, v111, v110, s3
	v_cvt_f32_fp8_e32 v111, v127
	v_dual_fmac_f32 v82, v41, v85 :: v_dual_and_b32 v85, 0xffff0000, v110
	s_delay_alu instid0(VALU_DEP_2) | instskip(NEXT) | instid1(VALU_DEP_2)
	v_mul_f32_e32 v111, s5, v111
	v_fmac_f32_e32 v81, v42, v85
	s_delay_alu instid0(VALU_DEP_2) | instskip(SKIP_1) | instid1(VALU_DEP_2)
	v_bfe_u32 v113, v111, 16, 1
	v_cmp_u_f32_e64 s3, v111, v111
	v_add3_u32 v113, v113, v111, 0x7fff
	v_or_b32_e32 v111, 0x400000, v111
	s_wait_alu 0xf1ff
	s_delay_alu instid0(VALU_DEP_1) | instskip(SKIP_1) | instid1(VALU_DEP_2)
	v_cndmask_b32_e64 v111, v113, v111, s3
	v_cvt_f32_fp8_e32 v113, v128
	v_and_b32_e32 v85, 0xffff0000, v111
	s_delay_alu instid0(VALU_DEP_2) | instskip(NEXT) | instid1(VALU_DEP_1)
	v_mul_f32_e32 v113, s5, v113
	v_bfe_u32 v127, v113, 16, 1
	v_cmp_u_f32_e64 s3, v113, v113
	s_delay_alu instid0(VALU_DEP_2) | instskip(SKIP_2) | instid1(VALU_DEP_1)
	v_add3_u32 v127, v127, v113, 0x7fff
	v_or_b32_e32 v113, 0x400000, v113
	s_wait_alu 0xf1ff
	v_cndmask_b32_e64 v113, v127, v113, s3
	v_bfe_u32 v127, v115, 16, 1
	v_cmp_u_f32_e64 s3, v115, v115
	s_delay_alu instid0(VALU_DEP_2) | instskip(SKIP_2) | instid1(VALU_DEP_1)
	v_add3_u32 v127, v127, v115, 0x7fff
	v_or_b32_e32 v115, 0x400000, v115
	s_wait_alu 0xf1ff
	v_cndmask_b32_e64 v115, v127, v115, s3
	v_bfe_u32 v127, v116, 16, 1
	v_cmp_u_f32_e64 s3, v116, v116
	v_fmac_f32_e32 v80, v43, v85
	v_and_b32_e32 v85, 0xffff0000, v113
	s_delay_alu instid0(VALU_DEP_4) | instskip(SKIP_2) | instid1(VALU_DEP_1)
	v_add3_u32 v127, v127, v116, 0x7fff
	v_or_b32_e32 v116, 0x400000, v116
	s_wait_alu 0xf1ff
	v_cndmask_b32_e64 v116, v127, v116, s3
	v_bfe_u32 v127, v118, 16, 1
	v_cmp_u_f32_e64 s3, v118, v118
	v_dual_fmac_f32 v90, v44, v85 :: v_dual_and_b32 v85, 0xffff0000, v115
	s_delay_alu instid0(VALU_DEP_3) | instskip(SKIP_1) | instid1(VALU_DEP_3)
	v_add3_u32 v127, v127, v118, 0x7fff
	v_or_b32_e32 v118, 0x400000, v118
	v_fmac_f32_e32 v5, v45, v85
	v_and_b32_e32 v85, 0xffff0000, v116
	s_wait_alu 0xf1ff
	s_delay_alu instid0(VALU_DEP_3) | instskip(SKIP_2) | instid1(VALU_DEP_3)
	v_cndmask_b32_e64 v118, v127, v118, s3
	v_bfe_u32 v127, v120, 16, 1
	v_cmp_u_f32_e64 s3, v120, v120
	v_dual_fmac_f32 v6, v46, v85 :: v_dual_and_b32 v85, 0xffff0000, v118
	s_delay_alu instid0(VALU_DEP_3) | instskip(SKIP_2) | instid1(VALU_DEP_1)
	v_add3_u32 v127, v127, v120, 0x7fff
	v_or_b32_e32 v120, 0x400000, v120
	s_wait_alu 0xf1ff
	v_cndmask_b32_e64 v120, v127, v120, s3
	v_bfe_u32 v127, v121, 16, 1
	v_cmp_u_f32_e64 s3, v121, v121
	s_delay_alu instid0(VALU_DEP_3) | instskip(NEXT) | instid1(VALU_DEP_3)
	v_dual_fmac_f32 v84, v47, v85 :: v_dual_and_b32 v85, 0xffff0000, v120
	v_add3_u32 v127, v127, v121, 0x7fff
	v_or_b32_e32 v121, 0x400000, v121
	s_delay_alu instid0(VALU_DEP_3) | instskip(SKIP_1) | instid1(VALU_DEP_2)
	v_fmac_f32_e32 v83, v48, v85
	s_wait_alu 0xf1ff
	v_cndmask_b32_e64 v121, v127, v121, s3
	v_bfe_u32 v127, v123, 16, 1
	v_cmp_u_f32_e64 s3, v123, v123
	s_delay_alu instid0(VALU_DEP_3) | instskip(NEXT) | instid1(VALU_DEP_3)
	v_and_b32_e32 v85, 0xffff0000, v121
	v_add3_u32 v127, v127, v123, 0x7fff
	v_or_b32_e32 v123, 0x400000, v123
	s_wait_alu 0xf1ff
	s_delay_alu instid0(VALU_DEP_1) | instskip(SKIP_2) | instid1(VALU_DEP_3)
	v_cndmask_b32_e64 v123, v127, v123, s3
	v_bfe_u32 v127, v124, 16, 1
	v_cmp_u_f32_e64 s3, v124, v124
	v_dual_fmac_f32 v82, v49, v85 :: v_dual_and_b32 v85, 0xffff0000, v123
	s_delay_alu instid0(VALU_DEP_3) | instskip(SKIP_1) | instid1(VALU_DEP_3)
	v_add3_u32 v127, v127, v124, 0x7fff
	v_or_b32_e32 v124, 0x400000, v124
	v_fmac_f32_e32 v81, v50, v85
	s_wait_alu 0xf1ff
	s_delay_alu instid0(VALU_DEP_2) | instskip(SKIP_2) | instid1(VALU_DEP_3)
	v_cndmask_b32_e64 v124, v127, v124, s3
	v_bfe_u32 v127, v126, 16, 1
	v_cmp_u_f32_e64 s3, v126, v126
	v_and_b32_e32 v85, 0xffff0000, v124
	s_delay_alu instid0(VALU_DEP_3) | instskip(SKIP_2) | instid1(VALU_DEP_1)
	v_add3_u32 v127, v127, v126, 0x7fff
	v_or_b32_e32 v126, 0x400000, v126
	s_wait_alu 0xf1ff
	v_cndmask_b32_e64 v126, v127, v126, s3
	v_bfe_u32 v127, v125, 16, 1
	v_cmp_u_f32_e64 s3, v125, v125
	s_delay_alu instid0(VALU_DEP_3) | instskip(NEXT) | instid1(VALU_DEP_3)
	v_dual_fmac_f32 v80, v51, v85 :: v_dual_and_b32 v85, 0xffff0000, v126
	v_add3_u32 v127, v127, v125, 0x7fff
	v_or_b32_e32 v125, 0x400000, v125
	s_wait_alu 0xf1ff
	s_delay_alu instid0(VALU_DEP_1) | instskip(SKIP_2) | instid1(VALU_DEP_2)
	v_cndmask_b32_e64 v125, v127, v125, s3
	v_bfe_u32 v127, v122, 16, 1
	v_cmp_u_f32_e64 s3, v122, v122
	v_add3_u32 v127, v127, v122, 0x7fff
	v_or_b32_e32 v122, 0x400000, v122
	s_wait_alu 0xf1ff
	s_delay_alu instid0(VALU_DEP_1) | instskip(SKIP_4) | instid1(VALU_DEP_4)
	v_cndmask_b32_e64 v122, v127, v122, s3
	v_bfe_u32 v127, v119, 16, 1
	v_cmp_u_f32_e64 s3, v119, v119
	v_fmac_f32_e32 v90, v52, v85
	v_and_b32_e32 v85, 0xffff0000, v125
	v_add3_u32 v127, v127, v119, 0x7fff
	v_or_b32_e32 v119, 0x400000, v119
	s_delay_alu instid0(VALU_DEP_3) | instskip(SKIP_2) | instid1(VALU_DEP_3)
	v_fmac_f32_e32 v5, v53, v85
	v_and_b32_e32 v85, 0xffff0000, v122
	s_wait_alu 0xf1ff
	v_cndmask_b32_e64 v119, v127, v119, s3
	v_bfe_u32 v127, v117, 16, 1
	v_cmp_u_f32_e64 s3, v117, v117
	s_delay_alu instid0(VALU_DEP_3) | instskip(NEXT) | instid1(VALU_DEP_3)
	v_dual_fmac_f32 v6, v54, v85 :: v_dual_and_b32 v85, 0xffff0000, v119
	v_add3_u32 v127, v127, v117, 0x7fff
	v_or_b32_e32 v117, 0x400000, v117
	s_wait_alu 0xf1ff
	s_delay_alu instid0(VALU_DEP_1) | instskip(SKIP_2) | instid1(VALU_DEP_2)
	v_cndmask_b32_e64 v117, v127, v117, s3
	v_bfe_u32 v127, v114, 16, 1
	v_cmp_u_f32_e64 s3, v114, v114
	v_add3_u32 v127, v127, v114, 0x7fff
	v_or_b32_e32 v114, 0x400000, v114
	s_wait_alu 0xf1ff
	s_delay_alu instid0(VALU_DEP_1) | instskip(SKIP_4) | instid1(VALU_DEP_4)
	v_cndmask_b32_e64 v114, v127, v114, s3
	v_bfe_u32 v127, v112, 16, 1
	v_cmp_u_f32_e64 s3, v112, v112
	v_fmac_f32_e32 v84, v55, v85
	v_and_b32_e32 v85, 0xffff0000, v117
	v_add3_u32 v127, v127, v112, 0x7fff
	v_or_b32_e32 v112, 0x400000, v112
	s_delay_alu instid0(VALU_DEP_3) | instskip(SKIP_2) | instid1(VALU_DEP_3)
	v_fmac_f32_e32 v83, v56, v85
	v_and_b32_e32 v85, 0xffff0000, v114
	s_wait_alu 0xf1ff
	v_cndmask_b32_e64 v112, v127, v112, s3
	v_bfe_u32 v127, v109, 16, 1
	v_cmp_u_f32_e64 s3, v109, v109
	s_delay_alu instid0(VALU_DEP_3) | instskip(NEXT) | instid1(VALU_DEP_3)
	v_dual_fmac_f32 v82, v57, v85 :: v_dual_and_b32 v85, 0xffff0000, v112
	v_add3_u32 v127, v127, v109, 0x7fff
	v_or_b32_e32 v109, 0x400000, v109
	s_delay_alu instid0(VALU_DEP_3) | instskip(SKIP_1) | instid1(VALU_DEP_2)
	v_fmac_f32_e32 v81, v58, v85
	s_wait_alu 0xf1ff
	v_cndmask_b32_e64 v109, v127, v109, s3
	v_cvt_f32_fp8_e32 v127, v129
	s_delay_alu instid0(VALU_DEP_2) | instskip(NEXT) | instid1(VALU_DEP_2)
	v_and_b32_e32 v85, 0xffff0000, v109
	v_mul_f32_e32 v127, s5, v127
	s_delay_alu instid0(VALU_DEP_1) | instskip(SKIP_1) | instid1(VALU_DEP_2)
	v_bfe_u32 v128, v127, 16, 1
	v_cmp_u_f32_e64 s3, v127, v127
	v_add3_u32 v128, v128, v127, 0x7fff
	v_or_b32_e32 v127, 0x400000, v127
	s_wait_alu 0xf1ff
	s_delay_alu instid0(VALU_DEP_1) | instskip(SKIP_1) | instid1(VALU_DEP_2)
	v_cndmask_b32_e64 v127, v128, v127, s3
	v_cvt_f32_fp8_e32 v128, v130
	v_dual_fmac_f32 v80, v59, v85 :: v_dual_and_b32 v85, 0xffff0000, v127
	s_delay_alu instid0(VALU_DEP_2) | instskip(NEXT) | instid1(VALU_DEP_1)
	v_mul_f32_e32 v128, s5, v128
	v_bfe_u32 v129, v128, 16, 1
	v_cmp_u_f32_e64 s3, v128, v128
	s_delay_alu instid0(VALU_DEP_2) | instskip(SKIP_2) | instid1(VALU_DEP_1)
	v_add3_u32 v129, v129, v128, 0x7fff
	v_or_b32_e32 v128, 0x400000, v128
	s_wait_alu 0xf1ff
	v_cndmask_b32_e64 v128, v129, v128, s3
	v_cvt_f32_fp8_e32 v129, v131
	s_delay_alu instid0(VALU_DEP_2) | instskip(NEXT) | instid1(VALU_DEP_2)
	v_dual_fmac_f32 v90, v61, v85 :: v_dual_and_b32 v85, 0xffff0000, v128
	v_mul_f32_e32 v129, s5, v129
	s_delay_alu instid0(VALU_DEP_2) | instskip(NEXT) | instid1(VALU_DEP_2)
	v_fmac_f32_e32 v5, v62, v85
	v_bfe_u32 v130, v129, 16, 1
	v_cmp_u_f32_e64 s3, v129, v129
	s_delay_alu instid0(VALU_DEP_2) | instskip(SKIP_2) | instid1(VALU_DEP_1)
	v_add3_u32 v130, v130, v129, 0x7fff
	v_or_b32_e32 v129, 0x400000, v129
	s_wait_alu 0xf1ff
	v_cndmask_b32_e64 v129, v130, v129, s3
	v_cvt_f32_fp8_e32 v130, v132
	s_delay_alu instid0(VALU_DEP_1) | instskip(NEXT) | instid1(VALU_DEP_1)
	v_dual_mul_f32 v130, s5, v130 :: v_dual_and_b32 v85, 0xffff0000, v129
	v_bfe_u32 v131, v130, 16, 1
	v_cmp_u_f32_e64 s3, v130, v130
	s_delay_alu instid0(VALU_DEP_2) | instskip(SKIP_2) | instid1(VALU_DEP_1)
	v_add3_u32 v131, v131, v130, 0x7fff
	v_or_b32_e32 v130, 0x400000, v130
	s_wait_alu 0xf1ff
	v_cndmask_b32_e64 v130, v131, v130, s3
	v_cvt_f32_fp8_e32 v131, v133
	s_delay_alu instid0(VALU_DEP_2) | instskip(NEXT) | instid1(VALU_DEP_2)
	v_dual_fmac_f32 v6, v63, v85 :: v_dual_and_b32 v85, 0xffff0000, v130
	v_mul_f32_e32 v131, s5, v131
	s_delay_alu instid0(VALU_DEP_1) | instskip(SKIP_1) | instid1(VALU_DEP_2)
	v_bfe_u32 v132, v131, 16, 1
	v_cmp_u_f32_e64 s3, v131, v131
	v_add3_u32 v132, v132, v131, 0x7fff
	v_or_b32_e32 v131, 0x400000, v131
	s_wait_alu 0xf1ff
	s_delay_alu instid0(VALU_DEP_1) | instskip(SKIP_1) | instid1(VALU_DEP_2)
	v_cndmask_b32_e64 v131, v132, v131, s3
	v_cvt_f32_fp8_e32 v132, v134
	v_dual_fmac_f32 v84, v64, v85 :: v_dual_and_b32 v85, 0xffff0000, v131
	s_delay_alu instid0(VALU_DEP_1) | instskip(NEXT) | instid1(VALU_DEP_1)
	v_dual_mul_f32 v132, s5, v132 :: v_dual_fmac_f32 v83, v65, v85
	v_bfe_u32 v133, v132, 16, 1
	v_cmp_u_f32_e64 s3, v132, v132
	s_delay_alu instid0(VALU_DEP_2) | instskip(SKIP_2) | instid1(VALU_DEP_1)
	v_add3_u32 v133, v133, v132, 0x7fff
	v_or_b32_e32 v132, 0x400000, v132
	s_wait_alu 0xf1ff
	v_cndmask_b32_e64 v132, v133, v132, s3
	v_cvt_f32_fp8_e32 v133, v135
	s_delay_alu instid0(VALU_DEP_2) | instskip(NEXT) | instid1(VALU_DEP_2)
	v_and_b32_e32 v85, 0xffff0000, v132
	v_mul_f32_e32 v133, s5, v133
	s_delay_alu instid0(VALU_DEP_1) | instskip(SKIP_1) | instid1(VALU_DEP_2)
	v_bfe_u32 v134, v133, 16, 1
	v_cmp_u_f32_e64 s3, v133, v133
	v_add3_u32 v134, v134, v133, 0x7fff
	v_or_b32_e32 v133, 0x400000, v133
	s_wait_alu 0xf1ff
	s_delay_alu instid0(VALU_DEP_1) | instskip(SKIP_1) | instid1(VALU_DEP_1)
	v_cndmask_b32_e64 v133, v134, v133, s3
	v_cvt_f32_fp8_e32 v134, v136
	v_mul_f32_e32 v134, s5, v134
	s_delay_alu instid0(VALU_DEP_1) | instskip(SKIP_1) | instid1(VALU_DEP_2)
	v_bfe_u32 v135, v134, 16, 1
	v_cmp_u_f32_e64 s3, v134, v134
	v_add3_u32 v135, v135, v134, 0x7fff
	v_or_b32_e32 v134, 0x400000, v134
	s_wait_alu 0xf1ff
	s_delay_alu instid0(VALU_DEP_1) | instskip(SKIP_2) | instid1(VALU_DEP_2)
	v_cndmask_b32_e64 v135, v135, v134, s3
	v_cvt_f32_fp8_e32 v134, v137
	v_fmac_f32_e32 v82, v66, v85
	v_dual_mul_f32 v134, s5, v134 :: v_dual_and_b32 v85, 0xffff0000, v133
	s_delay_alu instid0(VALU_DEP_1) | instskip(SKIP_1) | instid1(VALU_DEP_3)
	v_fmac_f32_e32 v81, v67, v85
	v_and_b32_e32 v85, 0xffff0000, v135
	v_bfe_u32 v136, v134, 16, 1
	v_cmp_u_f32_e64 s3, v134, v134
	s_delay_alu instid0(VALU_DEP_2) | instskip(SKIP_2) | instid1(VALU_DEP_1)
	v_add3_u32 v136, v136, v134, 0x7fff
	v_or_b32_e32 v134, 0x400000, v134
	s_wait_alu 0xf1ff
	v_cndmask_b32_e64 v134, v136, v134, s3
	v_cvt_f32_fp8_e32 v136, v138
	s_delay_alu instid0(VALU_DEP_2) | instskip(NEXT) | instid1(VALU_DEP_2)
	v_dual_fmac_f32 v80, v68, v85 :: v_dual_and_b32 v85, 0xffff0000, v134
	v_mul_f32_e32 v136, s5, v136
	s_delay_alu instid0(VALU_DEP_1) | instskip(SKIP_1) | instid1(VALU_DEP_2)
	v_bfe_u32 v137, v136, 16, 1
	v_cmp_u_f32_e64 s3, v136, v136
	v_add3_u32 v137, v137, v136, 0x7fff
	v_or_b32_e32 v136, 0x400000, v136
	s_wait_alu 0xf1ff
	s_delay_alu instid0(VALU_DEP_1) | instskip(SKIP_1) | instid1(VALU_DEP_2)
	v_cndmask_b32_e64 v136, v137, v136, s3
	v_cvt_f32_fp8_e32 v137, v139
	v_dual_fmac_f32 v90, v69, v85 :: v_dual_and_b32 v85, 0xffff0000, v136
	s_delay_alu instid0(VALU_DEP_2) | instskip(NEXT) | instid1(VALU_DEP_2)
	v_mul_f32_e32 v137, s5, v137
	v_fmac_f32_e32 v5, v70, v85
	s_delay_alu instid0(VALU_DEP_2) | instskip(SKIP_1) | instid1(VALU_DEP_3)
	v_bfe_u32 v138, v137, 16, 1
	v_cmp_u_f32_e64 s3, v137, v137
	v_add_f32_e32 v5, v90, v5
	s_delay_alu instid0(VALU_DEP_3) | instskip(SKIP_2) | instid1(VALU_DEP_1)
	v_add3_u32 v138, v138, v137, 0x7fff
	v_or_b32_e32 v137, 0x400000, v137
	s_wait_alu 0xf1ff
	v_cndmask_b32_e64 v137, v138, v137, s3
	v_cvt_f32_fp8_e32 v138, v140
	s_delay_alu instid0(VALU_DEP_1) | instskip(NEXT) | instid1(VALU_DEP_1)
	v_dual_mul_f32 v138, s5, v138 :: v_dual_and_b32 v85, 0xffff0000, v137
	v_bfe_u32 v139, v138, 16, 1
	v_cmp_u_f32_e64 s3, v138, v138
	s_delay_alu instid0(VALU_DEP_2) | instskip(SKIP_2) | instid1(VALU_DEP_1)
	v_add3_u32 v139, v139, v138, 0x7fff
	v_or_b32_e32 v138, 0x400000, v138
	s_wait_alu 0xf1ff
	v_cndmask_b32_e64 v138, v139, v138, s3
	v_cvt_f32_fp8_e32 v139, v141
	s_delay_alu instid0(VALU_DEP_2) | instskip(NEXT) | instid1(VALU_DEP_2)
	v_dual_fmac_f32 v6, v71, v85 :: v_dual_and_b32 v85, 0xffff0000, v138
	v_mul_f32_e32 v139, s5, v139
	s_delay_alu instid0(VALU_DEP_2) | instskip(NEXT) | instid1(VALU_DEP_2)
	v_dual_add_f32 v5, v5, v6 :: v_dual_add_nc_u32 v6, s23, v77
	v_bfe_u32 v140, v139, 16, 1
	v_cmp_u_f32_e64 s3, v139, v139
	s_delay_alu instid0(VALU_DEP_3) | instskip(NEXT) | instid1(VALU_DEP_3)
	v_cvt_f32_i32_e32 v6, v6
	v_add3_u32 v140, v140, v139, 0x7fff
	v_or_b32_e32 v139, 0x400000, v139
	s_delay_alu instid0(VALU_DEP_3) | instskip(SKIP_1) | instid1(VALU_DEP_2)
	v_mul_f32_e32 v6, s8, v6
	s_wait_alu 0xf1ff
	v_cndmask_b32_e64 v139, v140, v139, s3
	v_cvt_f32_fp8_e32 v140, v142
	v_fmac_f32_e32 v84, v72, v85
	s_delay_alu instid0(VALU_DEP_3) | instskip(NEXT) | instid1(VALU_DEP_2)
	v_dual_cndmask_b32 v6, 0, v6 :: v_dual_and_b32 v85, 0xffff0000, v139
	v_dual_mul_f32 v140, s5, v140 :: v_dual_add_f32 v5, v84, v5
	s_delay_alu instid0(VALU_DEP_2) | instskip(NEXT) | instid1(VALU_DEP_2)
	v_fmac_f32_e32 v83, v73, v85
	v_bfe_u32 v141, v140, 16, 1
	v_cmp_u_f32_e64 s3, v140, v140
	s_delay_alu instid0(VALU_DEP_3) | instskip(NEXT) | instid1(VALU_DEP_3)
	v_add_f32_e32 v5, v83, v5
	v_add3_u32 v141, v141, v140, 0x7fff
	v_or_b32_e32 v140, 0x400000, v140
	s_wait_alu 0xf1ff
	s_delay_alu instid0(VALU_DEP_1) | instskip(SKIP_1) | instid1(VALU_DEP_2)
	v_cndmask_b32_e64 v140, v141, v140, s3
	v_cvt_f32_fp8_e32 v141, v143
	v_and_b32_e32 v85, 0xffff0000, v140
	s_delay_alu instid0(VALU_DEP_2) | instskip(NEXT) | instid1(VALU_DEP_2)
	v_mul_f32_e32 v141, s5, v141
	v_fmac_f32_e32 v82, v74, v85
	s_delay_alu instid0(VALU_DEP_2) | instskip(SKIP_1) | instid1(VALU_DEP_3)
	v_bfe_u32 v142, v141, 16, 1
	v_cmp_u_f32_e64 s3, v141, v141
	v_add_f32_e32 v5, v82, v5
	s_delay_alu instid0(VALU_DEP_3) | instskip(SKIP_2) | instid1(VALU_DEP_1)
	v_add3_u32 v142, v142, v141, 0x7fff
	v_or_b32_e32 v141, 0x400000, v141
	s_wait_alu 0xf1ff
	v_cndmask_b32_e64 v141, v142, v141, s3
	v_bfe_u32 v142, v105, 16, 1
	v_cmp_u_f32_e64 s3, v105, v105
	s_delay_alu instid0(VALU_DEP_3) | instskip(NEXT) | instid1(VALU_DEP_3)
	v_and_b32_e32 v85, 0xffff0000, v141
	v_add3_u32 v142, v142, v105, 0x7fff
	v_or_b32_e32 v105, 0x400000, v105
	s_delay_alu instid0(VALU_DEP_3) | instskip(SKIP_1) | instid1(VALU_DEP_2)
	v_fmac_f32_e32 v81, v75, v85
	s_wait_alu 0xf1ff
	v_cndmask_b32_e64 v105, v142, v105, s3
	v_cmp_gt_i32_e64 s3, s27, v77
	v_add_nc_u32_e32 v77, 0x80, v77
	v_add_f32_e32 v5, v81, v5
	s_delay_alu instid0(VALU_DEP_4) | instskip(NEXT) | instid1(VALU_DEP_1)
	v_and_b32_e32 v85, 0xffff0000, v105
	v_fmac_f32_e32 v80, v76, v85
	s_delay_alu instid0(VALU_DEP_1) | instskip(NEXT) | instid1(VALU_DEP_1)
	v_add_f32_e32 v5, v80, v5
	v_dual_fmac_f32 v6, s9, v5 :: v_dual_max_num_f32 v5, v60, v60
	s_delay_alu instid0(VALU_DEP_1) | instskip(SKIP_2) | instid1(VALU_DEP_2)
	v_max_num_f32_e32 v5, v5, v6
	s_wait_alu 0xf1ff
	v_cndmask_b32_e64 v6, 0, v6, s3
	v_cndmask_b32_e64 v60, v60, v5, s3
	v_add_co_u32 v3, s3, v3, 16
	ds_store_b32 v78, v6
	v_add_nc_u32_e32 v78, 0x200, v78
	s_wait_alu 0xf1ff
	v_add_co_ci_u32_e64 v4, null, 0, v4, s3
	s_and_not1_b32 exec_lo, exec_lo, s11
	s_cbranch_execnz .LBB359_7
; %bb.8:
	s_or_b32 exec_lo, exec_lo, s11
.LBB359_9:
	s_delay_alu instid0(SALU_CYCLE_1)
	s_or_b32 exec_lo, exec_lo, s10
	v_mbcnt_lo_u32_b32 v1, -1, 0
	s_load_b128 s[8:11], s[0:1], 0x0
	s_wait_kmcnt 0x0
	s_clause 0x1
	s_load_b64 s[4:5], s[0:1], 0x10
	s_load_b64 s[24:25], s[0:1], 0x28
	v_max_num_f32_e32 v5, v60, v60
	v_xor_b32_e32 v2, 16, v1
	v_xor_b32_e32 v4, 8, v1
	s_delay_alu instid0(VALU_DEP_2) | instskip(SKIP_2) | instid1(VALU_DEP_3)
	v_cmp_gt_i32_e32 vcc_lo, 32, v2
	s_wait_alu 0xfffd
	v_cndmask_b32_e32 v2, v1, v2, vcc_lo
	v_cmp_gt_i32_e32 vcc_lo, 32, v4
	s_delay_alu instid0(VALU_DEP_2)
	v_lshlrev_b32_e32 v2, 2, v2
	s_wait_alu 0xfffd
	v_cndmask_b32_e32 v4, v1, v4, vcc_lo
	ds_bpermute_b32 v3, v2, v60
	s_wait_dscnt 0x0
	v_dual_max_num_f32 v6, v3, v3 :: v_dual_lshlrev_b32 v3, 2, v4
	s_delay_alu instid0(VALU_DEP_1)
	v_max_num_f32_e32 v4, v5, v6
	v_xor_b32_e32 v6, 4, v1
	ds_bpermute_b32 v5, v3, v4
	v_cmp_gt_i32_e32 vcc_lo, 32, v6
	s_wait_alu 0xfffd
	v_cndmask_b32_e32 v6, v1, v6, vcc_lo
	s_wait_dscnt 0x0
	v_max_num_f32_e32 v9, v5, v5
	s_delay_alu instid0(VALU_DEP_1)
	v_dual_max_num_f32 v4, v4, v9 :: v_dual_lshlrev_b32 v5, 2, v6
	v_xor_b32_e32 v9, 2, v1
	ds_bpermute_b32 v6, v5, v4
	v_cmp_gt_i32_e32 vcc_lo, 32, v9
	s_wait_dscnt 0x0
	s_wait_alu 0xfffd
	v_dual_cndmask_b32 v9, v1, v9 :: v_dual_max_num_f32 v6, v6, v6
	s_delay_alu instid0(VALU_DEP_1) | instskip(SKIP_1) | instid1(VALU_DEP_1)
	v_lshlrev_b32_e32 v19, 2, v9
	v_xor_b32_e32 v9, 1, v1
	v_cmp_gt_i32_e32 vcc_lo, 32, v9
	s_wait_alu 0xfffd
	v_dual_max_num_f32 v4, v4, v6 :: v_dual_cndmask_b32 v9, v1, v9
	ds_bpermute_b32 v6, v19, v4
	v_cmp_eq_u32_e32 vcc_lo, 0, v16
	v_lshlrev_b32_e32 v18, 2, v9
	s_wait_dscnt 0x0
	v_max_num_f32_e32 v6, v6, v6
	s_delay_alu instid0(VALU_DEP_1)
	v_dual_max_num_f32 v1, v4, v6 :: v_dual_lshlrev_b32 v6, 2, v15
	ds_bpermute_b32 v4, v18, v1
	s_and_saveexec_b32 s0, vcc_lo
	s_cbranch_execz .LBB359_11
; %bb.10:
	s_wait_dscnt 0x0
	v_dual_max_num_f32 v4, v4, v4 :: v_dual_max_num_f32 v1, v1, v1
	s_delay_alu instid0(VALU_DEP_1)
	v_max_num_f32_e32 v1, v1, v4
	ds_store_b32 v6, v1 offset:128
.LBB359_11:
	s_or_b32 exec_lo, exec_lo, s0
	v_cmp_gt_u32_e64 s0, 4, v16
	v_mov_b32_e32 v1, 0xff7fffff
	s_wait_loadcnt_dscnt 0x0
	s_barrier_signal -1
	s_barrier_wait -1
	global_inv scope:SCOPE_SE
	s_and_saveexec_b32 s1, s0
; %bb.12:
	ds_load_b32 v1, v8 offset:128
; %bb.13:
	s_or_b32 exec_lo, exec_lo, s1
	s_wait_dscnt 0x0
	ds_bpermute_b32 v4, v19, v1
	v_max_num_f32_e32 v1, v1, v1
	s_sub_co_i32 s1, s17, s31
	v_mov_b32_e32 v9, 0
	s_lshl_b32 s1, s1, 5
	s_delay_alu instid0(SALU_CYCLE_1) | instskip(NEXT) | instid1(SALU_CYCLE_1)
	s_add_co_i32 s1, s1, s28
	s_min_i32 s1, s1, s27
	s_delay_alu instid0(SALU_CYCLE_1) | instskip(SKIP_4) | instid1(VALU_DEP_1)
	s_sub_co_i32 s14, s1, s28
	s_wait_alu 0xfffe
	v_cmp_gt_i32_e64 s1, s14, v0
	s_wait_dscnt 0x0
	v_max_num_f32_e32 v4, v4, v4
	v_max_num_f32_e32 v1, v1, v4
	ds_bpermute_b32 v4, v18, v1
	s_wait_dscnt 0x0
	v_max_num_f32_e32 v4, v4, v4
	s_delay_alu instid0(VALU_DEP_1)
	v_max_num_f32_e32 v1, v1, v4
	v_lshl_add_u32 v4, v0, 2, 0xa0
	ds_bpermute_b32 v1, v9, v1
	s_and_saveexec_b32 s23, s1
	s_cbranch_execz .LBB359_17
; %bb.14:
	v_lshl_add_u32 v10, v0, 2, 0xa0
	v_mov_b32_e32 v9, 0
	v_mov_b32_e32 v11, v0
	s_mov_b32 s31, 0
.LBB359_15:                             ; =>This Inner Loop Header: Depth=1
	ds_load_b32 v12, v10
	v_add_nc_u32_e32 v11, 0x80, v11
	s_delay_alu instid0(VALU_DEP_1) | instskip(SKIP_4) | instid1(VALU_DEP_1)
	v_cmp_le_i32_e64 s3, s14, v11
	s_wait_alu 0xfffe
	s_or_b32 s31, s3, s31
	s_wait_dscnt 0x0
	v_sub_f32_e32 v12, v12, v1
	v_mul_f32_e32 v12, 0x3fb8aa3b, v12
	s_delay_alu instid0(VALU_DEP_1)
	v_exp_f32_e32 v12, v12
	ds_store_b32 v10, v12
	v_dual_add_f32 v9, v9, v12 :: v_dual_add_nc_u32 v10, 0x200, v10
	s_wait_alu 0xfffe
	s_and_not1_b32 exec_lo, exec_lo, s31
	s_cbranch_execnz .LBB359_15
; %bb.16:
	s_or_b32 exec_lo, exec_lo, s31
.LBB359_17:
	s_wait_alu 0xfffe
	s_or_b32 exec_lo, exec_lo, s23
	ds_bpermute_b32 v2, v2, v9
	s_wait_dscnt 0x0
	v_add_f32_e32 v2, v9, v2
	ds_bpermute_b32 v3, v3, v2
	s_wait_dscnt 0x0
	v_add_f32_e32 v2, v2, v3
	;; [unrolled: 3-line block ×5, first 2 shown]
	s_and_saveexec_b32 s3, vcc_lo
; %bb.18:
	ds_store_b32 v6, v2 offset:144
; %bb.19:
	s_wait_alu 0xfffe
	s_or_b32 exec_lo, exec_lo, s3
	s_wait_loadcnt_dscnt 0x0
	s_barrier_signal -1
	s_barrier_wait -1
	global_inv scope:SCOPE_SE
	s_and_saveexec_b32 s3, s0
; %bb.20:
	ds_load_b32 v2, v8 offset:144
; %bb.21:
	s_wait_alu 0xfffe
	s_or_b32 exec_lo, exec_lo, s3
	s_wait_dscnt 0x0
	ds_bpermute_b32 v3, v19, v2
	s_wait_dscnt 0x0
	v_add_f32_e32 v2, v2, v3
	ds_bpermute_b32 v3, v18, v2
	s_wait_dscnt 0x0
	v_dual_add_f32 v2, v2, v3 :: v_dual_mov_b32 v3, 0
	ds_bpermute_b32 v2, v3, v2
	s_and_saveexec_b32 s0, s1
	s_cbranch_execz .LBB359_24
; %bb.22:
	s_wait_dscnt 0x0
	v_add_f32_e32 v3, 0x358637bd, v2
	s_mov_b32 s1, 0
	s_delay_alu instid0(VALU_DEP_1) | instskip(SKIP_1) | instid1(VALU_DEP_2)
	v_div_scale_f32 v5, null, v3, v3, 1.0
	v_div_scale_f32 v9, vcc_lo, 1.0, v3, 1.0
	v_rcp_f32_e32 v6, v5
	s_delay_alu instid0(TRANS32_DEP_1) | instskip(NEXT) | instid1(VALU_DEP_1)
	v_fma_f32 v8, -v5, v6, 1.0
	v_fmac_f32_e32 v6, v8, v6
	s_delay_alu instid0(VALU_DEP_1) | instskip(NEXT) | instid1(VALU_DEP_1)
	v_mul_f32_e32 v8, v9, v6
	v_fma_f32 v10, -v5, v8, v9
	s_delay_alu instid0(VALU_DEP_1) | instskip(NEXT) | instid1(VALU_DEP_1)
	v_fmac_f32_e32 v8, v10, v6
	v_fma_f32 v5, -v5, v8, v9
	s_wait_alu 0xfffd
	s_delay_alu instid0(VALU_DEP_1) | instskip(NEXT) | instid1(VALU_DEP_1)
	v_div_fmas_f32 v5, v5, v6, v8
	v_div_fixup_f32 v3, v5, v3, 1.0
	v_mov_b32_e32 v5, v0
.LBB359_23:                             ; =>This Inner Loop Header: Depth=1
	ds_load_b32 v6, v4
	s_wait_dscnt 0x0
	v_dual_mul_f32 v6, v3, v6 :: v_dual_add_nc_u32 v5, 0x80, v5
	s_delay_alu instid0(VALU_DEP_1) | instskip(SKIP_3) | instid1(SALU_CYCLE_1)
	v_cmp_le_i32_e32 vcc_lo, s14, v5
	ds_store_b32 v4, v6
	v_add_nc_u32_e32 v4, 0x200, v4
	s_or_b32 s1, vcc_lo, s1
	s_and_not1_b32 exec_lo, exec_lo, s1
	s_cbranch_execnz .LBB359_23
.LBB359_24:
	s_or_b32 exec_lo, exec_lo, s0
	s_mul_i32 s0, s12, s15
	s_wait_loadcnt_dscnt 0x0
	s_mul_i32 s14, s0, s29
	s_mov_b32 s0, exec_lo
	s_barrier_signal -1
	s_barrier_wait -1
	global_inv scope:SCOPE_SE
	v_cmpx_eq_u32_e32 0, v0
	s_cbranch_execz .LBB359_26
; %bb.25:
	s_wait_alu 0xfffe
	s_ashr_i32 s15, s14, 31
	s_mul_i32 s34, s12, ttmp9
	s_lshl_b32 s1, s26, 2
	s_wait_alu 0xfffe
	s_lshl_b64 s[36:37], s[14:15], 2
	s_ashr_i32 s35, s34, 31
	v_mov_b32_e32 v3, s1
	s_add_nc_u64 s[10:11], s[10:11], s[36:37]
	s_lshl_b64 s[34:35], s[34:35], 2
	s_add_nc_u64 s[8:9], s[8:9], s[36:37]
	s_add_nc_u64 s[10:11], s[10:11], s[34:35]
	s_wait_alu 0xfffe
	s_add_nc_u64 s[8:9], s[8:9], s[34:35]
	s_clause 0x1
	global_store_b32 v3, v1, s[10:11]
	global_store_b32 v3, v2, s[8:9]
.LBB359_26:
	s_or_b32 exec_lo, exec_lo, s0
	v_dual_mov_b32 v26, 0 :: v_dual_mov_b32 v27, 0
	v_dual_mov_b32 v25, 0 :: v_dual_and_b32 v20, 3, v0
	v_dual_mov_b32 v28, 0 :: v_dual_mov_b32 v23, 0
	v_dual_mov_b32 v24, 0 :: v_dual_mov_b32 v21, 0
	v_mov_b32_e32 v22, 0
	s_and_saveexec_b32 s1, s2
	s_cbranch_execz .LBB359_46
; %bb.27:
	s_load_b32 s2, s[6:7], 0x0
	v_dual_mov_b32 v22, 0 :: v_dual_lshlrev_b32 v1, 3, v0
	v_dual_mov_b32 v21, 0 :: v_dual_lshlrev_b32 v2, 5, v20
	s_ashr_i32 s23, s22, 31
	s_delay_alu instid0(VALU_DEP_2)
	v_dual_mov_b32 v24, 0 :: v_dual_and_b32 v3, 24, v1
	v_dual_mov_b32 v28, 0 :: v_dual_and_b32 v1, 0xf8, v1
	s_wait_kmcnt 0x0
	s_wait_alu 0xfffe
	s_add_nc_u64 s[8:9], s[24:25], s[22:23]
	s_lshl_b64 s[6:7], s[20:21], 2
	v_lshl_add_u32 v4, v15, 5, s28
	v_lshl_or_b32 v2, v15, 7, v2
	s_wait_alu 0xfffe
	v_add_co_u32 v9, s0, s8, v1
	s_add_nc_u64 s[6:7], s[18:19], s[6:7]
	s_wait_alu 0xf1ff
	v_add_co_ci_u32_e64 v10, null, s9, 0, s0
	v_add_co_u32 v11, s0, s6, v7
	v_add3_u32 v29, v4, v3, 7
	v_dual_mov_b32 v23, 0 :: v_dual_add_nc_u32 v30, 0xa0, v2
	s_wait_alu 0xf1ff
	v_add_co_ci_u32_e64 v12, null, s7, 0, s0
	v_dual_mov_b32 v25, 0 :: v_dual_mov_b32 v26, 0
	v_mov_b32_e32 v27, 0
	s_mov_b32 s3, s13
	s_add_co_i32 s30, s30, -1
	s_mov_b32 s6, 0
	s_branch .LBB359_29
.LBB359_28:                             ;   in Loop: Header=BB359_29 Depth=1
	s_wait_alu 0xfffe
	s_or_b32 exec_lo, exec_lo, s0
	s_wait_dscnt 0x1
	v_bfe_u32 v55, v5, 16, 1
	v_bfe_u32 v56, v6, 16, 1
	v_or_b32_e32 v57, 0x400000, v5
	v_cmp_u_f32_e32 vcc_lo, v5, v5
	v_or_b32_e32 v58, 0x400000, v6
	v_add3_u32 v55, v55, v5, 0x7fff
	v_bfe_u32 v59, v7, 16, 1
	v_add3_u32 v56, v56, v6, 0x7fff
	v_bfe_u32 v60, v8, 16, 1
	v_lshlrev_b32_e32 v93, 16, v93
	s_wait_alu 0xfffd
	v_cndmask_b32_e32 v5, v55, v57, vcc_lo
	v_cmp_u_f32_e32 vcc_lo, v6, v6
	v_add3_u32 v55, v59, v7, 0x7fff
	s_wait_dscnt 0x0
	v_bfe_u32 v57, v1, 16, 1
	v_or_b32_e32 v59, 0x400000, v8
	v_lshlrev_b32_e32 v88, 16, v88
	s_wait_alu 0xfffd
	v_cndmask_b32_e32 v6, v56, v58, vcc_lo
	v_or_b32_e32 v56, 0x400000, v7
	v_cmp_u_f32_e32 vcc_lo, v7, v7
	v_add3_u32 v58, v60, v8, 0x7fff
	v_lshlrev_b32_e32 v54, 16, v54
	v_lshlrev_b32_e32 v35, 16, v35
	;; [unrolled: 1-line block ×3, first 2 shown]
	s_wait_alu 0xfffd
	v_cndmask_b32_e32 v7, v55, v56, vcc_lo
	v_cmp_u_f32_e32 vcc_lo, v8, v8
	v_add3_u32 v55, v57, v1, 0x7fff
	v_or_b32_e32 v56, 0x400000, v1
	v_bfe_u32 v57, v2, 16, 1
	s_wait_alu 0xfffd
	v_dual_cndmask_b32 v8, v58, v59 :: v_dual_add_nc_u32 v17, 4, v17
	v_cmp_u_f32_e32 vcc_lo, v1, v1
	v_or_b32_e32 v58, 0x400000, v2
	v_add3_u32 v57, v57, v2, 0x7fff
	v_or_b32_e32 v59, 0x400000, v3
	v_add_co_u32 v11, s0, v11, 16
	s_wait_alu 0xfffd
	v_cndmask_b32_e32 v55, v55, v56, vcc_lo
	v_bfe_u32 v56, v3, 16, 1
	v_cmp_u_f32_e32 vcc_lo, v2, v2
	v_add_nc_u32_e32 v29, 0x80, v29
	v_and_b32_e32 v5, 0xffff0000, v5
	v_lshlrev_b32_e32 v83, 16, v83
	v_add3_u32 v56, v56, v3, 0x7fff
	s_wait_alu 0xfffd
	v_cndmask_b32_e32 v2, v57, v58, vcc_lo
	v_cmp_u_f32_e32 vcc_lo, v3, v3
	v_and_b32_e32 v1, 0xffff0000, v6
	v_lshlrev_b32_e32 v6, 16, v99
	v_bfe_u32 v57, v4, 16, 1
	s_wait_alu 0xf1ff
	v_add_co_ci_u32_e64 v12, null, 0, v12, s0
	s_wait_alu 0xfffd
	v_cndmask_b32_e32 v56, v56, v59, vcc_lo
	v_mul_f32_e32 v6, v1, v6
	v_add3_u32 v57, v57, v4, 0x7fff
	v_or_b32_e32 v59, 0x400000, v4
	v_cmp_u_f32_e32 vcc_lo, v4, v4
	v_lshlrev_b32_e32 v84, 16, v84
	v_bfe_u32 v3, v6, 16, 1
	v_or_b32_e32 v61, 0x400000, v6
	v_lshlrev_b32_e32 v80, 16, v80
	s_wait_alu 0xfffd
	v_cndmask_b32_e32 v4, v57, v59, vcc_lo
	v_cmp_u_f32_e32 vcc_lo, v6, v6
	v_add3_u32 v60, v3, v6, 0x7fff
	v_lshlrev_b32_e32 v58, 16, v98
	v_and_b32_e32 v3, 0xffff0000, v8
	v_and_b32_e32 v6, 0xffff0000, v7
	v_lshlrev_b32_e32 v7, 16, v96
	v_lshlrev_b32_e32 v8, 16, v97
	s_wait_alu 0xfffd
	v_dual_cndmask_b32 v57, v60, v61 :: v_dual_mul_f32 v58, v5, v58
	s_delay_alu instid0(VALU_DEP_3) | instskip(NEXT) | instid1(VALU_DEP_3)
	v_dual_mul_f32 v7, v6, v7 :: v_dual_and_b32 v2, 0xffff0000, v2
	v_mul_f32_e32 v60, v3, v8
	v_lshlrev_b32_e32 v8, 16, v95
	s_delay_alu instid0(VALU_DEP_4)
	v_bfe_u32 v59, v58, 16, 1
	v_and_b32_e32 v57, 0xffff0000, v57
	v_or_b32_e32 v61, 0x400000, v58
	v_cmp_u_f32_e32 vcc_lo, v58, v58
	v_mul_f32_e32 v96, v2, v8
	v_and_b32_e32 v8, 0xffff0000, v55
	v_lshlrev_b32_e32 v55, 16, v94
	v_add3_u32 v59, v59, v58, 0x7fff
	v_and_b32_e32 v4, 0xffff0000, v4
	v_bfe_u32 v97, v96, 16, 1
	s_delay_alu instid0(VALU_DEP_4) | instskip(SKIP_2) | instid1(VALU_DEP_4)
	v_dual_mul_f32 v55, v8, v55 :: v_dual_lshlrev_b32 v76, 16, v76
	v_bfe_u32 v95, v60, 16, 1
	v_lshlrev_b32_e32 v74, 16, v74
	v_add3_u32 v94, v97, v96, 0x7fff
	s_wait_alu 0xfffd
	v_cndmask_b32_e32 v58, v59, v61, vcc_lo
	v_or_b32_e32 v61, 0x400000, v60
	v_add3_u32 v59, v95, v60, 0x7fff
	v_bfe_u32 v95, v7, 16, 1
	v_cmp_u_f32_e32 vcc_lo, v60, v60
	v_bfe_u32 v97, v55, 16, 1
	v_lshlrev_b32_e32 v66, 16, v66
	v_mul_f32_e32 v54, v1, v54
	v_add3_u32 v60, v95, v7, 0x7fff
	s_wait_alu 0xfffd
	v_cndmask_b32_e32 v59, v59, v61, vcc_lo
	v_or_b32_e32 v61, 0x400000, v7
	v_cmp_u_f32_e32 vcc_lo, v7, v7
	v_and_b32_e32 v7, 0xffff0000, v56
	v_lshlrev_b32_e32 v56, 16, v92
	v_or_b32_e32 v95, 0x400000, v96
	v_mul_f32_e32 v88, v6, v88
	s_wait_alu 0xfffd
	v_cndmask_b32_e32 v60, v60, v61, vcc_lo
	v_cmp_u_f32_e32 vcc_lo, v96, v96
	v_dual_mul_f32 v56, v7, v56 :: v_dual_mul_f32 v61, v4, v93
	v_dual_mul_f32 v84, v7, v84 :: v_dual_lshlrev_b32 v85, 16, v85
	s_wait_alu 0xfffd
	v_cndmask_b32_e32 v93, v94, v95, vcc_lo
	v_add3_u32 v94, v97, v55, 0x7fff
	v_or_b32_e32 v95, 0x400000, v55
	v_bfe_u32 v96, v61, 16, 1
	v_cmp_u_f32_e32 vcc_lo, v55, v55
	v_and_b32_e32 v60, 0xffff0000, v60
	v_lshlrev_b32_e32 v64, 16, v64
	v_lshlrev_b32_e32 v33, 16, v33
	v_add3_u32 v92, v96, v61, 0x7fff
	s_wait_alu 0xfffd
	v_cndmask_b32_e32 v55, v94, v95, vcc_lo
	v_or_b32_e32 v94, 0x400000, v61
	v_cmp_u_f32_e32 vcc_lo, v61, v61
	v_lshlrev_b32_e32 v63, 16, v63
	v_lshlrev_b32_e32 v53, 16, v53
	v_and_b32_e32 v55, 0xffff0000, v55
	v_and_b32_e32 v58, 0xffff0000, v58
	s_wait_alu 0xfffd
	v_cndmask_b32_e32 v61, v92, v94, vcc_lo
	v_cmp_u_f32_e32 vcc_lo, v56, v56
	v_and_b32_e32 v59, 0xffff0000, v59
	v_bfe_u32 v92, v56, 16, 1
	v_dual_add_f32 v57, v58, v57 :: v_dual_mul_f32 v64, v8, v64
	v_mul_f32_e32 v63, v4, v63
	s_delay_alu instid0(VALU_DEP_4) | instskip(SKIP_4) | instid1(VALU_DEP_4)
	v_add_f32_e32 v58, v60, v59
	v_lshlrev_b32_e32 v59, 16, v91
	v_add3_u32 v91, v92, v56, 0x7fff
	v_or_b32_e32 v92, 0x400000, v56
	v_mul_f32_e32 v53, v5, v53
	v_dual_add_f32 v57, v58, v57 :: v_dual_mul_f32 v58, v1, v59
	v_lshlrev_b32_e32 v59, 16, v90
	v_and_b32_e32 v60, 0xffff0000, v93
	s_wait_alu 0xfffd
	v_cndmask_b32_e32 v56, v91, v92, vcc_lo
	v_bfe_u32 v93, v84, 16, 1
	v_lshlrev_b32_e32 v51, 16, v51
	v_lshlrev_b32_e32 v49, 16, v49
	v_add_f32_e32 v55, v55, v60
	v_lshlrev_b32_e32 v47, 16, v47
	s_delay_alu instid0(VALU_DEP_4) | instskip(NEXT) | instid1(VALU_DEP_4)
	v_dual_mul_f32 v51, v6, v51 :: v_dual_lshlrev_b32 v50, 16, v50
	v_mul_f32_e32 v49, v8, v49
	s_delay_alu instid0(VALU_DEP_4)
	v_add_f32_e32 v55, v55, v57
	v_mul_f32_e32 v57, v5, v59
	v_lshlrev_b32_e32 v59, 16, v89
	v_bfe_u32 v60, v58, 16, 1
	v_and_b32_e32 v56, 0xffff0000, v56
	v_or_b32_e32 v89, 0x400000, v58
	v_bfe_u32 v90, v57, 16, 1
	v_mul_f32_e32 v59, v3, v59
	v_add3_u32 v60, v60, v58, 0x7fff
	v_cmp_u_f32_e32 vcc_lo, v58, v58
	v_dual_mul_f32 v47, v7, v47 :: v_dual_lshlrev_b32 v42, 16, v42
	v_lshlrev_b32_e32 v43, 16, v43
	v_lshlrev_b32_e32 v40, 16, v40
	s_wait_alu 0xfffd
	v_cndmask_b32_e32 v58, v60, v89, vcc_lo
	v_add3_u32 v60, v90, v57, 0x7fff
	v_or_b32_e32 v89, 0x400000, v57
	v_bfe_u32 v90, v59, 16, 1
	v_cmp_u_f32_e32 vcc_lo, v57, v57
	v_dual_mul_f32 v85, v4, v85 :: v_dual_and_b32 v58, 0xffff0000, v58
	v_mul_f32_e32 v42, v2, v42
	v_dual_mul_f32 v43, v6, v43 :: v_dual_mul_f32 v40, v4, v40
	s_wait_alu 0xfffd
	v_cndmask_b32_e32 v57, v60, v89, vcc_lo
	v_add3_u32 v60, v90, v59, 0x7fff
	v_or_b32_e32 v89, 0x400000, v59
	v_cmp_u_f32_e32 vcc_lo, v59, v59
	v_lshlrev_b32_e32 v86, 16, v86
	v_bfe_u32 v90, v88, 16, 1
	v_bfe_u32 v92, v85, 16, 1
	v_and_b32_e32 v57, 0xffff0000, v57
	s_wait_alu 0xfffd
	v_cndmask_b32_e32 v59, v60, v89, vcc_lo
	v_dual_mul_f32 v86, v8, v86 :: v_dual_lshlrev_b32 v87, 16, v87
	v_add3_u32 v60, v90, v88, 0x7fff
	v_or_b32_e32 v89, 0x400000, v88
	v_cmp_u_f32_e32 vcc_lo, v88, v88
	s_delay_alu instid0(VALU_DEP_4)
	v_mul_f32_e32 v87, v2, v87
	v_bfe_u32 v88, v86, 16, 1
	v_or_b32_e32 v91, 0x400000, v86
	s_wait_alu 0xfffd
	v_dual_add_f32 v57, v57, v58 :: v_dual_cndmask_b32 v60, v60, v89
	v_bfe_u32 v90, v87, 16, 1
	v_cmp_u_f32_e32 vcc_lo, v87, v87
	v_add3_u32 v88, v88, v86, 0x7fff
	v_lshlrev_b32_e32 v38, 16, v38
	v_lshlrev_b32_e32 v36, 16, v36
	v_add3_u32 v89, v90, v87, 0x7fff
	v_or_b32_e32 v90, 0x400000, v87
	v_lshlrev_b32_e32 v34, 16, v34
	v_mul_f32_e32 v38, v1, v38
	v_dual_mul_f32 v36, v3, v36 :: v_dual_lshlrev_b32 v37, 16, v37
	s_wait_alu 0xfffd
	v_cndmask_b32_e32 v87, v89, v90, vcc_lo
	v_cmp_u_f32_e32 vcc_lo, v86, v86
	v_add3_u32 v89, v93, v84, 0x7fff
	v_or_b32_e32 v90, 0x400000, v84
	v_and_b32_e32 v60, 0xffff0000, v60
	v_mul_f32_e32 v34, v2, v34
	s_wait_alu 0xfffd
	v_cndmask_b32_e32 v86, v88, v91, vcc_lo
	v_cmp_u_f32_e32 vcc_lo, v84, v84
	v_add3_u32 v88, v92, v85, 0x7fff
	v_and_b32_e32 v59, 0xffff0000, v59
	v_or_b32_e32 v91, 0x400000, v85
	v_lshlrev_b32_e32 v32, 16, v32
	s_wait_alu 0xfffd
	v_cndmask_b32_e32 v84, v89, v90, vcc_lo
	v_cmp_u_f32_e32 vcc_lo, v85, v85
	v_dual_add_f32 v58, v60, v59 :: v_dual_and_b32 v59, 0xffff0000, v86
	v_and_b32_e32 v60, 0xffff0000, v87
	v_mul_f32_e32 v32, v4, v32
	s_wait_alu 0xfffd
	v_cndmask_b32_e32 v85, v88, v91, vcc_lo
	v_dual_add_f32 v57, v58, v57 :: v_dual_lshlrev_b32 v14, 16, v14
	v_add_f32_e32 v58, v59, v60
	v_and_b32_e32 v59, 0xffff0000, v84
	s_delay_alu instid0(VALU_DEP_4) | instskip(SKIP_1) | instid1(VALU_DEP_4)
	v_and_b32_e32 v60, 0xffff0000, v85
	v_and_b32_e32 v61, 0xffff0000, v61
	v_dual_add_f32 v57, v58, v57 :: v_dual_add_nc_u32 v30, 0x200, v30
	s_delay_alu instid0(VALU_DEP_3) | instskip(NEXT) | instid1(VALU_DEP_3)
	v_add_f32_e32 v58, v59, v60
	v_add_f32_e32 v56, v56, v61
	s_delay_alu instid0(VALU_DEP_1) | instskip(NEXT) | instid1(VALU_DEP_1)
	v_dual_add_f32 v55, v56, v55 :: v_dual_lshlrev_b32 v60, 16, v81
	v_dual_mul_f32 v60, v3, v60 :: v_dual_lshlrev_b32 v61, 16, v82
	s_delay_alu instid0(VALU_DEP_4) | instskip(NEXT) | instid1(VALU_DEP_3)
	v_add_f32_e32 v57, v58, v57
	v_add_f32_e32 v22, v22, v55
	s_delay_alu instid0(VALU_DEP_3) | instskip(SKIP_1) | instid1(VALU_DEP_4)
	v_mul_f32_e32 v56, v5, v61
	v_mul_f32_e32 v59, v1, v83
	v_add_f32_e32 v23, v23, v57
	s_delay_alu instid0(VALU_DEP_3) | instskip(NEXT) | instid1(VALU_DEP_3)
	v_bfe_u32 v55, v56, 16, 1
	v_bfe_u32 v58, v59, 16, 1
	v_cmp_u_f32_e32 vcc_lo, v59, v59
	v_or_b32_e32 v61, 0x400000, v56
	s_delay_alu instid0(VALU_DEP_4) | instskip(NEXT) | instid1(VALU_DEP_4)
	v_add3_u32 v55, v55, v56, 0x7fff
	v_add3_u32 v57, v58, v59, 0x7fff
	v_or_b32_e32 v58, 0x400000, v59
	s_wait_alu 0xfffd
	s_delay_alu instid0(VALU_DEP_1) | instskip(SKIP_2) | instid1(VALU_DEP_3)
	v_cndmask_b32_e32 v57, v57, v58, vcc_lo
	v_bfe_u32 v58, v60, 16, 1
	v_cmp_u_f32_e32 vcc_lo, v56, v56
	v_dual_mul_f32 v56, v6, v80 :: v_dual_and_b32 v57, 0xffff0000, v57
	s_delay_alu instid0(VALU_DEP_3)
	v_add3_u32 v58, v58, v60, 0x7fff
	s_wait_alu 0xfffd
	v_cndmask_b32_e32 v55, v55, v61, vcc_lo
	v_or_b32_e32 v61, 0x400000, v60
	v_cmp_u_f32_e32 vcc_lo, v60, v60
	v_lshlrev_b32_e32 v59, 16, v78
	v_bfe_u32 v78, v56, 16, 1
	v_mul_f32_e32 v60, v8, v76
	v_or_b32_e32 v76, 0x400000, v56
	s_wait_alu 0xfffd
	v_cndmask_b32_e32 v58, v58, v61, vcc_lo
	v_mul_f32_e32 v59, v2, v59
	v_add3_u32 v61, v78, v56, 0x7fff
	v_cmp_u_f32_e32 vcc_lo, v56, v56
	v_bfe_u32 v80, v60, 16, 1
	v_and_b32_e32 v55, 0xffff0000, v55
	v_bfe_u32 v78, v59, 16, 1
	v_lshlrev_b32_e32 v72, 16, v72
	s_wait_alu 0xfffd
	v_cndmask_b32_e32 v56, v61, v76, vcc_lo
	v_or_b32_e32 v76, 0x400000, v59
	v_cmp_u_f32_e32 vcc_lo, v59, v59
	v_add3_u32 v61, v78, v59, 0x7fff
	v_mul_f32_e32 v74, v4, v74
	v_add3_u32 v78, v80, v60, 0x7fff
	v_or_b32_e32 v80, 0x400000, v60
	v_add_f32_e32 v55, v55, v57
	s_wait_alu 0xfffd
	v_cndmask_b32_e32 v59, v61, v76, vcc_lo
	v_cmp_u_f32_e32 vcc_lo, v60, v60
	v_bfe_u32 v81, v74, 16, 1
	v_dual_mul_f32 v61, v7, v72 :: v_dual_and_b32 v58, 0xffff0000, v58
	v_or_b32_e32 v76, 0x400000, v74
	s_wait_alu 0xfffd
	v_cndmask_b32_e32 v60, v78, v80, vcc_lo
	v_add3_u32 v72, v81, v74, 0x7fff
	v_bfe_u32 v78, v61, 16, 1
	v_cmp_u_f32_e32 vcc_lo, v74, v74
	s_delay_alu instid0(VALU_DEP_4) | instskip(SKIP_1) | instid1(VALU_DEP_4)
	v_and_b32_e32 v57, 0xffff0000, v60
	v_and_b32_e32 v56, 0xffff0000, v56
	v_add3_u32 v74, v78, v61, 0x7fff
	s_wait_alu 0xfffd
	v_cndmask_b32_e32 v72, v72, v76, vcc_lo
	v_or_b32_e32 v76, 0x400000, v61
	v_cmp_u_f32_e32 vcc_lo, v61, v61
	v_add_f32_e32 v56, v56, v58
	v_and_b32_e32 v58, 0xffff0000, v59
	v_lshlrev_b32_e32 v59, 16, v69
	v_bfe_u32 v69, v63, 16, 1
	s_wait_alu 0xfffd
	v_cndmask_b32_e32 v61, v74, v76, vcc_lo
	v_dual_add_f32 v55, v56, v55 :: v_dual_lshlrev_b32 v60, 16, v68
	v_mul_f32_e32 v56, v1, v59
	v_add_f32_e32 v57, v57, v58
	s_delay_alu instid0(VALU_DEP_3) | instskip(SKIP_1) | instid1(VALU_DEP_4)
	v_dual_mul_f32 v58, v5, v60 :: v_dual_and_b32 v59, 0xffff0000, v61
	v_and_b32_e32 v60, 0xffff0000, v72
	v_bfe_u32 v61, v56, 16, 1
	s_delay_alu instid0(VALU_DEP_4)
	v_add_f32_e32 v55, v57, v55
	v_cmp_u_f32_e32 vcc_lo, v56, v56
	v_bfe_u32 v57, v58, 16, 1
	v_add_f32_e32 v59, v59, v60
	v_add3_u32 v60, v61, v56, 0x7fff
	v_or_b32_e32 v61, 0x400000, v56
	v_lshlrev_b32_e32 v67, 16, v67
	v_add3_u32 v57, v57, v58, 0x7fff
	v_or_b32_e32 v68, 0x400000, v58
	s_wait_alu 0xfffd
	v_dual_add_f32 v55, v59, v55 :: v_dual_cndmask_b32 v56, v60, v61
	v_mul_f32_e32 v67, v3, v67
	v_cmp_u_f32_e32 vcc_lo, v58, v58
	v_dual_mul_f32 v58, v6, v66 :: v_dual_lshlrev_b32 v61, 16, v65
	s_delay_alu instid0(VALU_DEP_4) | instskip(NEXT) | instid1(VALU_DEP_4)
	v_dual_add_f32 v24, v24, v55 :: v_dual_lshlrev_b32 v59, 16, v52
	v_bfe_u32 v60, v67, 16, 1
	s_wait_alu 0xfffd
	v_cndmask_b32_e32 v57, v57, v68, vcc_lo
	v_or_b32_e32 v65, 0x400000, v67
	v_bfe_u32 v66, v58, 16, 1
	v_mul_f32_e32 v61, v2, v61
	v_add3_u32 v60, v60, v67, 0x7fff
	v_cmp_u_f32_e32 vcc_lo, v67, v67
	v_bfe_u32 v68, v64, 16, 1
	v_and_b32_e32 v57, 0xffff0000, v57
	v_bfe_u32 v67, v61, 16, 1
	v_bfe_u32 v55, v53, 16, 1
	s_wait_alu 0xfffd
	v_cndmask_b32_e32 v60, v60, v65, vcc_lo
	v_add3_u32 v65, v66, v58, 0x7fff
	v_or_b32_e32 v66, 0x400000, v58
	v_cmp_u_f32_e32 vcc_lo, v58, v58
	v_add3_u32 v55, v55, v53, 0x7fff
	v_and_b32_e32 v60, 0xffff0000, v60
	s_wait_alu 0xfffd
	v_cndmask_b32_e32 v58, v65, v66, vcc_lo
	v_add3_u32 v65, v67, v61, 0x7fff
	v_or_b32_e32 v66, 0x400000, v61
	v_cmp_u_f32_e32 vcc_lo, v61, v61
	v_add3_u32 v67, v68, v64, 0x7fff
	v_or_b32_e32 v68, 0x400000, v64
	v_and_b32_e32 v58, 0xffff0000, v58
	v_lshlrev_b32_e32 v62, 16, v62
	s_wait_alu 0xfffd
	v_cndmask_b32_e32 v61, v65, v66, vcc_lo
	v_cmp_u_f32_e32 vcc_lo, v64, v64
	v_add3_u32 v65, v69, v63, 0x7fff
	v_or_b32_e32 v66, 0x400000, v63
	s_wait_alu 0xfffd
	v_cndmask_b32_e32 v64, v67, v68, vcc_lo
	v_cmp_u_f32_e32 vcc_lo, v63, v63
	s_wait_alu 0xfffd
	v_dual_cndmask_b32 v63, v65, v66 :: v_dual_and_b32 v56, 0xffff0000, v56
	s_delay_alu instid0(VALU_DEP_1) | instskip(SKIP_4) | instid1(VALU_DEP_4)
	v_add_f32_e32 v56, v57, v56
	v_add_f32_e32 v57, v58, v60
	v_and_b32_e32 v58, 0xffff0000, v64
	v_and_b32_e32 v60, 0xffff0000, v61
	v_mul_f32_e32 v62, v7, v62
	v_add_f32_e32 v56, v57, v56
	s_delay_alu instid0(VALU_DEP_3) | instskip(NEXT) | instid1(VALU_DEP_3)
	v_add_f32_e32 v57, v58, v60
	v_bfe_u32 v67, v62, 16, 1
	v_or_b32_e32 v66, 0x400000, v62
	v_cmp_u_f32_e32 vcc_lo, v62, v62
	v_and_b32_e32 v60, 0xffff0000, v63
	v_add_f32_e32 v56, v57, v56
	v_add3_u32 v65, v67, v62, 0x7fff
	s_wait_alu 0xfffd
	s_delay_alu instid0(VALU_DEP_1) | instskip(SKIP_1) | instid1(VALU_DEP_2)
	v_cndmask_b32_e32 v61, v65, v66, vcc_lo
	v_cmp_u_f32_e32 vcc_lo, v54, v54
	v_and_b32_e32 v58, 0xffff0000, v61
	s_delay_alu instid0(VALU_DEP_1) | instskip(SKIP_1) | instid1(VALU_DEP_2)
	v_add_f32_e32 v57, v58, v60
	v_bfe_u32 v58, v54, 16, 1
	v_add_f32_e32 v52, v57, v56
	s_delay_alu instid0(VALU_DEP_2) | instskip(SKIP_4) | instid1(VALU_DEP_3)
	v_add3_u32 v56, v58, v54, 0x7fff
	v_or_b32_e32 v57, 0x400000, v54
	v_mul_f32_e32 v58, v3, v59
	v_or_b32_e32 v59, 0x400000, v53
	s_wait_alu 0xfffd
	v_dual_add_f32 v25, v25, v52 :: v_dual_cndmask_b32 v54, v56, v57
	s_delay_alu instid0(VALU_DEP_3)
	v_bfe_u32 v56, v58, 16, 1
	v_cmp_u_f32_e32 vcc_lo, v53, v53
	v_bfe_u32 v57, v51, 16, 1
	s_wait_alu 0xfffd
	v_cndmask_b32_e32 v53, v55, v59, vcc_lo
	v_add3_u32 v55, v56, v58, 0x7fff
	v_or_b32_e32 v56, 0x400000, v58
	v_mul_f32_e32 v50, v2, v50
	v_cmp_u_f32_e32 vcc_lo, v58, v58
	v_and_b32_e32 v53, 0xffff0000, v53
	v_bfe_u32 v59, v49, 16, 1
	s_delay_alu instid0(VALU_DEP_4)
	v_bfe_u32 v58, v50, 16, 1
	s_wait_alu 0xfffd
	v_cndmask_b32_e32 v55, v55, v56, vcc_lo
	v_add3_u32 v56, v57, v51, 0x7fff
	v_or_b32_e32 v57, 0x400000, v51
	v_cmp_u_f32_e32 vcc_lo, v51, v51
	s_delay_alu instid0(VALU_DEP_4) | instskip(SKIP_1) | instid1(VALU_DEP_3)
	v_and_b32_e32 v55, 0xffff0000, v55
	s_wait_alu 0xfffd
	v_cndmask_b32_e32 v51, v56, v57, vcc_lo
	v_add3_u32 v56, v58, v50, 0x7fff
	v_or_b32_e32 v57, 0x400000, v50
	v_cmp_u_f32_e32 vcc_lo, v50, v50
	v_add3_u32 v58, v59, v49, 0x7fff
	v_or_b32_e32 v59, 0x400000, v49
	v_and_b32_e32 v51, 0xffff0000, v51
	v_and_b32_e32 v54, 0xffff0000, v54
	s_wait_alu 0xfffd
	v_cndmask_b32_e32 v50, v56, v57, vcc_lo
	v_cmp_u_f32_e32 vcc_lo, v49, v49
	v_dual_add_f32 v51, v51, v55 :: v_dual_lshlrev_b32 v48, 16, v48
	v_add_f32_e32 v53, v53, v54
	s_wait_alu 0xfffd
	v_dual_cndmask_b32 v49, v58, v59 :: v_dual_lshlrev_b32 v46, 16, v46
	s_delay_alu instid0(VALU_DEP_3) | instskip(SKIP_1) | instid1(VALU_DEP_3)
	v_mul_f32_e32 v48, v4, v48
	v_bfe_u32 v58, v47, 16, 1
	v_dual_add_f32 v51, v51, v53 :: v_dual_mul_f32 v46, v1, v46
	s_delay_alu instid0(VALU_DEP_4) | instskip(NEXT) | instid1(VALU_DEP_4)
	v_and_b32_e32 v49, 0xffff0000, v49
	v_bfe_u32 v60, v48, 16, 1
	v_or_b32_e32 v57, 0x400000, v48
	v_cmp_u_f32_e32 vcc_lo, v48, v48
	v_mul_f32_e32 v4, v4, v13
	s_delay_alu instid0(VALU_DEP_4) | instskip(SKIP_1) | instid1(VALU_DEP_1)
	v_add3_u32 v56, v60, v48, 0x7fff
	s_wait_alu 0xfffd
	v_cndmask_b32_e32 v48, v56, v57, vcc_lo
	v_add3_u32 v56, v58, v47, 0x7fff
	v_or_b32_e32 v57, 0x400000, v47
	v_cmp_u_f32_e32 vcc_lo, v47, v47
	v_and_b32_e32 v50, 0xffff0000, v50
	s_wait_alu 0xfffd
	s_delay_alu instid0(VALU_DEP_3) | instskip(NEXT) | instid1(VALU_DEP_2)
	v_dual_cndmask_b32 v47, v56, v57 :: v_dual_and_b32 v48, 0xffff0000, v48
	v_dual_add_f32 v49, v49, v50 :: v_dual_lshlrev_b32 v44, 16, v44
	v_bfe_u32 v50, v46, 16, 1
	v_cmp_u_f32_e32 vcc_lo, v46, v46
	s_delay_alu instid0(VALU_DEP_4) | instskip(NEXT) | instid1(VALU_DEP_4)
	v_and_b32_e32 v47, 0xffff0000, v47
	v_add_f32_e32 v49, v49, v51
	v_dual_mul_f32 v44, v3, v44 :: v_dual_lshlrev_b32 v45, 16, v45
	s_delay_alu instid0(VALU_DEP_3) | instskip(SKIP_1) | instid1(VALU_DEP_3)
	v_add_f32_e32 v47, v47, v48
	v_add3_u32 v48, v50, v46, 0x7fff
	v_mul_f32_e32 v45, v5, v45
	v_or_b32_e32 v50, 0x400000, v46
	v_bfe_u32 v54, v44, 16, 1
	s_delay_alu instid0(VALU_DEP_3)
	v_bfe_u32 v51, v45, 16, 1
	v_or_b32_e32 v53, 0x400000, v45
	s_wait_alu 0xfffd
	v_cndmask_b32_e32 v46, v48, v50, vcc_lo
	v_cmp_u_f32_e32 vcc_lo, v45, v45
	v_add3_u32 v48, v54, v44, 0x7fff
	v_add3_u32 v51, v51, v45, 0x7fff
	v_or_b32_e32 v50, 0x400000, v44
	v_and_b32_e32 v46, 0xffff0000, v46
	v_bfe_u32 v54, v40, 16, 1
	s_wait_alu 0xfffd
	v_cndmask_b32_e32 v45, v51, v53, vcc_lo
	v_bfe_u32 v51, v43, 16, 1
	v_cmp_u_f32_e32 vcc_lo, v44, v44
	s_wait_alu 0xfffd
	s_delay_alu instid0(VALU_DEP_3) | instskip(NEXT) | instid1(VALU_DEP_3)
	v_dual_cndmask_b32 v44, v48, v50 :: v_dual_and_b32 v45, 0xffff0000, v45
	v_add3_u32 v48, v51, v43, 0x7fff
	v_or_b32_e32 v50, 0x400000, v43
	v_bfe_u32 v51, v42, 16, 1
	v_cmp_u_f32_e32 vcc_lo, v43, v43
	v_dual_add_f32 v45, v45, v46 :: v_dual_and_b32 v44, 0xffff0000, v44
	s_wait_alu 0xfffd
	v_cndmask_b32_e32 v43, v48, v50, vcc_lo
	v_add3_u32 v48, v51, v42, 0x7fff
	v_or_b32_e32 v50, 0x400000, v42
	v_cmp_u_f32_e32 vcc_lo, v42, v42
	v_lshlrev_b32_e32 v41, 16, v41
	s_wait_alu 0xfffd
	s_delay_alu instid0(VALU_DEP_3) | instskip(NEXT) | instid1(VALU_DEP_2)
	v_dual_cndmask_b32 v42, v48, v50 :: v_dual_and_b32 v43, 0xffff0000, v43
	v_mul_f32_e32 v41, v8, v41
	v_add3_u32 v48, v54, v40, 0x7fff
	v_or_b32_e32 v50, 0x400000, v40
	s_delay_alu instid0(VALU_DEP_4) | instskip(NEXT) | instid1(VALU_DEP_4)
	v_dual_add_f32 v43, v43, v44 :: v_dual_and_b32 v42, 0xffff0000, v42
	v_bfe_u32 v53, v41, 16, 1
	v_cmp_u_f32_e32 vcc_lo, v41, v41
	s_delay_alu instid0(VALU_DEP_2) | instskip(SKIP_2) | instid1(VALU_DEP_1)
	v_add3_u32 v51, v53, v41, 0x7fff
	v_or_b32_e32 v53, 0x400000, v41
	s_wait_alu 0xfffd
	v_cndmask_b32_e32 v41, v51, v53, vcc_lo
	v_cmp_u_f32_e32 vcc_lo, v40, v40
	s_wait_alu 0xfffd
	v_dual_cndmask_b32 v40, v48, v50 :: v_dual_lshlrev_b32 v39, 16, v39
	s_delay_alu instid0(VALU_DEP_1) | instskip(SKIP_2) | instid1(VALU_DEP_4)
	v_mul_f32_e32 v39, v7, v39
	v_add_f32_e32 v43, v43, v45
	v_or_b32_e32 v45, 0x400000, v36
	v_and_b32_e32 v40, 0xffff0000, v40
	s_delay_alu instid0(VALU_DEP_4) | instskip(SKIP_2) | instid1(VALU_DEP_3)
	v_bfe_u32 v48, v39, 16, 1
	v_or_b32_e32 v46, 0x400000, v39
	v_cmp_u_f32_e32 vcc_lo, v39, v39
	v_add3_u32 v44, v48, v39, 0x7fff
	s_wait_alu 0xfffd
	s_delay_alu instid0(VALU_DEP_1) | instskip(SKIP_2) | instid1(VALU_DEP_1)
	v_cndmask_b32_e32 v39, v44, v46, vcc_lo
	v_cmp_u_f32_e32 vcc_lo, v38, v38
	v_and_b32_e32 v41, 0xffff0000, v41
	v_add_f32_e32 v41, v41, v42
	v_bfe_u32 v42, v38, 16, 1
	s_delay_alu instid0(VALU_DEP_2) | instskip(NEXT) | instid1(VALU_DEP_2)
	v_add_f32_e32 v41, v41, v43
	v_add3_u32 v42, v42, v38, 0x7fff
	v_or_b32_e32 v43, 0x400000, v38
	s_wait_alu 0xfffd
	s_delay_alu instid0(VALU_DEP_1) | instskip(SKIP_1) | instid1(VALU_DEP_2)
	v_dual_cndmask_b32 v38, v42, v43 :: v_dual_mul_f32 v37, v5, v37
	v_bfe_u32 v42, v36, 16, 1
	v_and_b32_e32 v38, 0xffff0000, v38
	s_delay_alu instid0(VALU_DEP_3) | instskip(SKIP_1) | instid1(VALU_DEP_4)
	v_bfe_u32 v44, v37, 16, 1
	v_cmp_u_f32_e32 vcc_lo, v37, v37
	v_add3_u32 v42, v42, v36, 0x7fff
	s_delay_alu instid0(VALU_DEP_3) | instskip(SKIP_2) | instid1(VALU_DEP_1)
	v_add3_u32 v43, v44, v37, 0x7fff
	v_or_b32_e32 v44, 0x400000, v37
	s_wait_alu 0xfffd
	v_cndmask_b32_e32 v37, v43, v44, vcc_lo
	v_cmp_u_f32_e32 vcc_lo, v36, v36
	s_wait_alu 0xfffd
	v_cndmask_b32_e32 v36, v42, v45, vcc_lo
	v_mul_f32_e32 v35, v6, v35
	v_bfe_u32 v42, v34, 16, 1
	v_or_b32_e32 v45, 0x400000, v34
	s_delay_alu instid0(VALU_DEP_4) | instskip(NEXT) | instid1(VALU_DEP_4)
	v_and_b32_e32 v36, 0xffff0000, v36
	v_bfe_u32 v43, v35, 16, 1
	v_or_b32_e32 v44, 0x400000, v35
	v_cmp_u_f32_e32 vcc_lo, v35, v35
	v_add3_u32 v42, v42, v34, 0x7fff
	s_delay_alu instid0(VALU_DEP_4) | instskip(SKIP_1) | instid1(VALU_DEP_1)
	v_add3_u32 v43, v43, v35, 0x7fff
	s_wait_alu 0xfffd
	v_cndmask_b32_e32 v35, v43, v44, vcc_lo
	v_cmp_u_f32_e32 vcc_lo, v34, v34
	v_and_b32_e32 v39, 0xffff0000, v39
	v_bfe_u32 v44, v32, 16, 1
	s_wait_alu 0xfffd
	v_dual_cndmask_b32 v34, v42, v45 :: v_dual_and_b32 v35, 0xffff0000, v35
	v_mul_f32_e32 v33, v8, v33
	s_delay_alu instid0(VALU_DEP_3) | instskip(SKIP_1) | instid1(VALU_DEP_4)
	v_add3_u32 v44, v44, v32, 0x7fff
	v_or_b32_e32 v45, 0x400000, v32
	v_dual_add_f32 v35, v35, v36 :: v_dual_and_b32 v34, 0xffff0000, v34
	s_delay_alu instid0(VALU_DEP_4) | instskip(SKIP_2) | instid1(VALU_DEP_3)
	v_bfe_u32 v43, v33, 16, 1
	v_cmp_u_f32_e32 vcc_lo, v33, v33
	v_lshlrev_b32_e32 v36, 16, v77
	v_add3_u32 v42, v43, v33, 0x7fff
	v_or_b32_e32 v43, 0x400000, v33
	s_delay_alu instid0(VALU_DEP_3) | instskip(SKIP_1) | instid1(VALU_DEP_2)
	v_mul_f32_e32 v1, v1, v36
	s_wait_alu 0xfffd
	v_cndmask_b32_e32 v33, v42, v43, vcc_lo
	v_cmp_u_f32_e32 vcc_lo, v32, v32
	s_delay_alu instid0(VALU_DEP_2) | instskip(SKIP_2) | instid1(VALU_DEP_2)
	v_and_b32_e32 v33, 0xffff0000, v33
	s_wait_alu 0xfffd
	v_cndmask_b32_e32 v32, v44, v45, vcc_lo
	v_dual_add_f32 v33, v33, v34 :: v_dual_lshlrev_b32 v44, 16, v79
	s_delay_alu instid0(VALU_DEP_1) | instskip(NEXT) | instid1(VALU_DEP_1)
	v_dual_mul_f32 v5, v5, v44 :: v_dual_lshlrev_b32 v34, 16, v75
	v_mul_f32_e32 v6, v6, v34
	v_lshlrev_b32_e32 v34, 16, v73
	s_delay_alu instid0(VALU_DEP_1) | instskip(NEXT) | instid1(VALU_DEP_1)
	v_dual_mul_f32 v3, v3, v34 :: v_dual_lshlrev_b32 v34, 16, v71
	v_dual_mul_f32 v8, v8, v34 :: v_dual_lshlrev_b32 v31, 16, v31
	s_delay_alu instid0(VALU_DEP_1) | instskip(SKIP_2) | instid1(VALU_DEP_4)
	v_dual_mul_f32 v31, v7, v31 :: v_dual_lshlrev_b32 v34, 16, v70
	v_and_b32_e32 v37, 0xffff0000, v37
	v_mul_f32_e32 v7, v7, v14
	v_or_b32_e32 v13, 0x400000, v8
	s_delay_alu instid0(VALU_DEP_4)
	v_bfe_u32 v42, v31, 16, 1
	v_mul_f32_e32 v2, v2, v34
	v_add_f32_e32 v37, v37, v38
	v_or_b32_e32 v43, 0x400000, v31
	v_cmp_u_f32_e32 vcc_lo, v31, v31
	v_add3_u32 v42, v42, v31, 0x7fff
	v_bfe_u32 v38, v1, 16, 1
	v_add_f32_e32 v35, v35, v37
	v_bfe_u32 v37, v5, 16, 1
	v_bfe_u32 v34, v2, 16, 1
	s_wait_alu 0xfffd
	v_cndmask_b32_e32 v31, v42, v43, vcc_lo
	v_cmp_u_f32_e32 vcc_lo, v5, v5
	v_add3_u32 v36, v37, v5, 0x7fff
	v_or_b32_e32 v37, 0x400000, v5
	v_add3_u32 v14, v34, v2, 0x7fff
	v_or_b32_e32 v34, 0x400000, v2
	s_wait_alu 0xfffd
	s_delay_alu instid0(VALU_DEP_3)
	v_cndmask_b32_e32 v5, v36, v37, vcc_lo
	v_add3_u32 v36, v38, v1, 0x7fff
	v_or_b32_e32 v37, 0x400000, v1
	v_bfe_u32 v38, v6, 16, 1
	v_cmp_u_f32_e32 vcc_lo, v1, v1
	s_wait_alu 0xfffd
	s_delay_alu instid0(VALU_DEP_3) | instskip(NEXT) | instid1(VALU_DEP_3)
	v_cndmask_b32_e32 v1, v36, v37, vcc_lo
	v_add3_u32 v36, v38, v6, 0x7fff
	v_or_b32_e32 v37, 0x400000, v6
	v_bfe_u32 v38, v3, 16, 1
	v_cmp_u_f32_e32 vcc_lo, v6, v6
	v_and_b32_e32 v1, 0xffff0000, v1
	s_wait_alu 0xfffd
	v_cndmask_b32_e32 v6, v36, v37, vcc_lo
	v_add3_u32 v36, v38, v3, 0x7fff
	v_or_b32_e32 v37, 0x400000, v3
	v_bfe_u32 v38, v8, 16, 1
	v_cmp_u_f32_e32 vcc_lo, v3, v3
	s_wait_alu 0xfffd
	s_delay_alu instid0(VALU_DEP_3) | instskip(NEXT) | instid1(VALU_DEP_3)
	v_dual_cndmask_b32 v3, v36, v37 :: v_dual_and_b32 v6, 0xffff0000, v6
	v_add3_u32 v36, v38, v8, 0x7fff
	v_cmp_u_f32_e32 vcc_lo, v8, v8
	v_bfe_u32 v38, v4, 16, 1
	v_bfe_u32 v37, v7, 16, 1
	s_wait_alu 0xfffd
	v_dual_cndmask_b32 v8, v36, v13 :: v_dual_and_b32 v3, 0xffff0000, v3
	v_cmp_u_f32_e32 vcc_lo, v2, v2
	s_delay_alu instid0(VALU_DEP_3) | instskip(SKIP_1) | instid1(VALU_DEP_4)
	v_add3_u32 v13, v37, v7, 0x7fff
	v_or_b32_e32 v36, 0x400000, v7
	v_add_f32_e32 v3, v6, v3
	s_wait_alu 0xfffd
	v_cndmask_b32_e32 v2, v14, v34, vcc_lo
	v_add3_u32 v14, v38, v4, 0x7fff
	v_or_b32_e32 v34, 0x400000, v4
	v_cmp_u_f32_e32 vcc_lo, v4, v4
	s_delay_alu instid0(VALU_DEP_4) | instskip(SKIP_1) | instid1(VALU_DEP_3)
	v_and_b32_e32 v2, 0xffff0000, v2
	s_wait_alu 0xfffd
	v_dual_cndmask_b32 v4, v14, v34 :: v_dual_and_b32 v5, 0xffff0000, v5
	v_cmp_u_f32_e32 vcc_lo, v7, v7
	v_and_b32_e32 v31, 0xffff0000, v31
	s_delay_alu instid0(VALU_DEP_3)
	v_add_f32_e32 v1, v5, v1
	v_and_b32_e32 v5, 0xffff0000, v8
	v_and_b32_e32 v7, 0xffff0000, v32
	s_wait_alu 0xfffd
	v_cndmask_b32_e32 v6, v13, v36, vcc_lo
	v_cmp_le_i32_e32 vcc_lo, s17, v17
	v_dual_add_f32 v1, v3, v1 :: v_dual_add_f32 v2, v5, v2
	v_and_b32_e32 v3, 0xffff0000, v4
	s_delay_alu instid0(VALU_DEP_4) | instskip(SKIP_2) | instid1(VALU_DEP_3)
	v_dual_add_f32 v5, v39, v40 :: v_dual_and_b32 v4, 0xffff0000, v6
	v_add_f32_e32 v6, v33, v35
	v_add_f32_e32 v7, v31, v7
	v_dual_add_f32 v1, v2, v1 :: v_dual_add_f32 v2, v4, v3
	v_add_f32_e32 v3, v47, v49
	s_delay_alu instid0(VALU_DEP_3) | instskip(SKIP_1) | instid1(VALU_DEP_3)
	v_dual_add_f32 v4, v5, v41 :: v_dual_add_f32 v5, v7, v6
	s_or_b32 s6, vcc_lo, s6
	v_add_f32_e32 v1, v2, v1
	s_delay_alu instid0(VALU_DEP_2) | instskip(NEXT) | instid1(VALU_DEP_3)
	v_dual_add_f32 v27, v27, v3 :: v_dual_add_f32 v28, v28, v4
	v_add_f32_e32 v26, v26, v5
	s_delay_alu instid0(VALU_DEP_3)
	v_add_f32_e32 v21, v21, v1
	s_wait_alu 0xfffe
	s_and_not1_b32 exec_lo, exec_lo, s6
	s_cbranch_execz .LBB359_45
.LBB359_29:                             ; =>This Inner Loop Header: Depth=1
	global_load_b32 v1, v[11:12], off
	s_wait_alu 0xfffe
	v_cmp_eq_u32_e32 vcc_lo, s30, v17
	v_add_nc_u32_e32 v56, -2, v29
	v_add_nc_u32_e32 v61, -1, v29
	s_wait_loadcnt 0x0
	v_mad_co_i64_i32 v[13:14], null, v1, s3, v[9:10]
	global_load_b64 v[31:32], v[13:14], off
	ds_load_2addr_b64 v[5:8], v30 offset1:1
	ds_load_2addr_b64 v[1:4], v30 offset0:2 offset1:3
	s_wait_loadcnt 0x0
	v_and_b32_e32 v36, 0xff, v32
	v_bfe_u32 v37, v32, 8, 8
	v_bfe_u32 v38, v32, 16, 8
	v_lshrrev_b32_e32 v32, 24, v32
	v_bfe_u32 v34, v31, 8, 8
	v_bfe_u32 v35, v31, 16, 8
	v_cvt_f32_fp8_e32 v37, v37
	v_cvt_f32_fp8_e32 v38, v38
	v_cvt_f32_fp8_e32 v32, v32
	v_and_b32_e32 v33, 0xff, v31
	v_cvt_f32_fp8_e32 v34, v34
	v_add_nc_u32_e32 v55, -7, v29
	v_lshrrev_b32_e32 v31, 24, v31
	v_mul_f32_e32 v32, s2, v32
	v_cvt_f32_fp8_e32 v33, v33
	v_cvt_f32_fp8_e32 v35, v35
	v_mul_f32_e32 v34, s2, v34
	v_add_nc_u32_e32 v60, -6, v29
	v_cvt_f32_fp8_e32 v31, v31
	v_mul_f32_e32 v33, s2, v33
	v_mul_f32_e32 v35, s2, v35
	v_bfe_u32 v41, v34, 16, 1
	s_delay_alu instid0(VALU_DEP_4) | instskip(NEXT) | instid1(VALU_DEP_4)
	v_dual_mul_f32 v31, s2, v31 :: v_dual_add_nc_u32 v58, -4, v29
	v_bfe_u32 v39, v33, 16, 1
	v_or_b32_e32 v40, 0x400000, v33
	v_cmp_u_f32_e64 s0, v33, v33
	v_cvt_f32_fp8_e32 v36, v36
	v_or_b32_e32 v42, 0x400000, v34
	v_add3_u32 v39, v39, v33, 0x7fff
	v_bfe_u32 v43, v35, 16, 1
	v_add3_u32 v41, v41, v34, 0x7fff
	v_dual_mul_f32 v36, s2, v36 :: v_dual_add_nc_u32 v59, -5, v29
	s_wait_alu 0xf1ff
	v_cndmask_b32_e64 v33, v39, v40, s0
	v_cmp_u_f32_e64 s0, v34, v34
	v_or_b32_e32 v44, 0x400000, v35
	v_bfe_u32 v45, v31, 16, 1
	v_add3_u32 v43, v43, v35, 0x7fff
	v_mul_f32_e32 v37, s2, v37
	s_wait_alu 0xf1ff
	v_cndmask_b32_e64 v34, v41, v42, s0
	v_cmp_u_f32_e64 s0, v35, v35
	v_or_b32_e32 v46, 0x400000, v31
	v_bfe_u32 v47, v36, 16, 1
	v_add3_u32 v45, v45, v31, 0x7fff
	v_dual_mul_f32 v38, s2, v38 :: v_dual_add_nc_u32 v57, -3, v29
	s_wait_alu 0xf1ff
	v_cndmask_b32_e64 v35, v43, v44, s0
	v_cmp_u_f32_e64 s0, v31, v31
	v_or_b32_e32 v48, 0x400000, v36
	v_bfe_u32 v49, v37, 16, 1
	v_add3_u32 v47, v47, v36, 0x7fff
	v_or_b32_e32 v50, 0x400000, v37
	s_wait_alu 0xf1ff
	v_cndmask_b32_e64 v31, v45, v46, s0
	v_cmp_u_f32_e64 s0, v36, v36
	v_bfe_u32 v51, v38, 16, 1
	v_add3_u32 v49, v49, v37, 0x7fff
	v_or_b32_e32 v52, 0x400000, v38
	v_bfe_u32 v53, v32, 16, 1
	s_wait_alu 0xf1ff
	v_cndmask_b32_e64 v39, v47, v48, s0
	v_cmp_u_f32_e64 s0, v37, v37
	v_add3_u32 v51, v51, v38, 0x7fff
	v_or_b32_e32 v54, 0x400000, v32
	v_add3_u32 v53, v53, v32, 0x7fff
	v_lshrrev_b32_e32 v37, 16, v33
	s_wait_alu 0xf1ff
	v_cndmask_b32_e64 v40, v49, v50, s0
	v_cmp_u_f32_e64 s0, v38, v38
	v_lshrrev_b32_e32 v38, 16, v34
	v_lshrrev_b32_e32 v35, 16, v35
	;; [unrolled: 1-line block ×4, first 2 shown]
	s_wait_alu 0xf1ff
	v_cndmask_b32_e64 v41, v51, v52, s0
	v_cmp_u_f32_e64 s0, v32, v32
	v_lshrrev_b32_e32 v34, 16, v40
	s_delay_alu instid0(VALU_DEP_3) | instskip(SKIP_1) | instid1(VALU_DEP_3)
	v_lshrrev_b32_e32 v31, 16, v41
	s_wait_alu 0xf1ff
	v_cndmask_b32_e64 v32, v53, v54, s0
	s_delay_alu instid0(VALU_DEP_1)
	v_lshrrev_b32_e32 v32, 16, v32
	s_and_saveexec_b32 s7, vcc_lo
	s_cbranch_execz .LBB359_31
; %bb.30:                               ;   in Loop: Header=BB359_29 Depth=1
	v_cmp_gt_i32_e64 s0, s27, v55
	s_wait_alu 0xf1ff
	s_delay_alu instid0(VALU_DEP_1) | instskip(SKIP_2) | instid1(VALU_DEP_1)
	v_cndmask_b32_e64 v37, 0, v37, s0
	v_cmp_gt_i32_e64 s0, s27, v60
	s_wait_alu 0xf1ff
	v_cndmask_b32_e64 v38, 0, v38, s0
	v_cmp_gt_i32_e64 s0, s27, v59
	s_wait_alu 0xf1ff
	s_delay_alu instid0(VALU_DEP_1) | instskip(SKIP_2) | instid1(VALU_DEP_1)
	v_cndmask_b32_e64 v35, 0, v35, s0
	v_cmp_gt_i32_e64 s0, s27, v58
	s_wait_alu 0xf1ff
	v_cndmask_b32_e64 v36, 0, v36, s0
	;; [unrolled: 7-line block ×4, first 2 shown]
.LBB359_31:                             ;   in Loop: Header=BB359_29 Depth=1
	s_wait_alu 0xfffe
	s_or_b32 exec_lo, exec_lo, s7
	global_load_b64 v[39:40], v[13:14], off offset:256
	s_wait_loadcnt 0x0
	v_bfe_u32 v42, v39, 8, 8
	v_bfe_u32 v43, v39, 16, 8
	;; [unrolled: 1-line block ×4, first 2 shown]
	s_delay_alu instid0(VALU_DEP_4)
	v_cvt_f32_fp8_e32 v42, v42
	v_and_b32_e32 v41, 0xff, v39
	v_lshrrev_b32_e32 v39, 24, v39
	v_cvt_f32_fp8_e32 v43, v43
	v_cvt_f32_fp8_e32 v46, v46
	v_mul_f32_e32 v42, s2, v42
	v_cvt_f32_fp8_e32 v41, v41
	v_and_b32_e32 v44, 0xff, v40
	v_cvt_f32_fp8_e32 v39, v39
	v_lshrrev_b32_e32 v40, 24, v40
	v_bfe_u32 v49, v42, 16, 1
	v_mul_f32_e32 v41, s2, v41
	v_cvt_f32_fp8_e32 v44, v44
	v_mul_f32_e32 v43, s2, v43
	v_dual_mul_f32 v39, s2, v39 :: v_dual_mul_f32 v46, s2, v46
	s_delay_alu instid0(VALU_DEP_4)
	v_bfe_u32 v47, v41, 16, 1
	v_or_b32_e32 v48, 0x400000, v41
	v_cmp_u_f32_e64 s0, v41, v41
	v_mul_f32_e32 v44, s2, v44
	v_or_b32_e32 v50, 0x400000, v42
	v_add3_u32 v47, v47, v41, 0x7fff
	v_bfe_u32 v51, v43, 16, 1
	v_add3_u32 v49, v49, v42, 0x7fff
	v_cvt_f32_fp8_e32 v45, v45
	v_or_b32_e32 v52, 0x400000, v43
	s_wait_alu 0xf1ff
	v_cndmask_b32_e64 v41, v47, v48, s0
	v_cmp_u_f32_e64 s0, v42, v42
	v_bfe_u32 v53, v39, 16, 1
	v_add3_u32 v51, v51, v43, 0x7fff
	v_cvt_f32_fp8_e32 v40, v40
	v_mul_f32_e32 v45, s2, v45
	s_wait_alu 0xf1ff
	v_cndmask_b32_e64 v42, v49, v50, s0
	v_cmp_u_f32_e64 s0, v43, v43
	v_or_b32_e32 v54, 0x400000, v39
	v_bfe_u32 v62, v44, 16, 1
	v_add3_u32 v53, v53, v39, 0x7fff
	v_mul_f32_e32 v40, s2, v40
	s_wait_alu 0xf1ff
	v_cndmask_b32_e64 v43, v51, v52, s0
	v_cmp_u_f32_e64 s0, v39, v39
	v_or_b32_e32 v63, 0x400000, v44
	v_bfe_u32 v64, v45, 16, 1
	v_add3_u32 v62, v62, v44, 0x7fff
	v_or_b32_e32 v65, 0x400000, v45
	s_wait_alu 0xf1ff
	v_cndmask_b32_e64 v39, v53, v54, s0
	v_cmp_u_f32_e64 s0, v44, v44
	v_bfe_u32 v66, v46, 16, 1
	v_add3_u32 v64, v64, v45, 0x7fff
	v_or_b32_e32 v67, 0x400000, v46
	v_bfe_u32 v68, v40, 16, 1
	s_wait_alu 0xf1ff
	v_cndmask_b32_e64 v47, v62, v63, s0
	v_cmp_u_f32_e64 s0, v45, v45
	v_add3_u32 v66, v66, v46, 0x7fff
	v_or_b32_e32 v69, 0x400000, v40
	v_add3_u32 v68, v68, v40, 0x7fff
	v_lshrrev_b32_e32 v45, 16, v41
	s_wait_alu 0xf1ff
	v_cndmask_b32_e64 v48, v64, v65, s0
	v_cmp_u_f32_e64 s0, v46, v46
	v_lshrrev_b32_e32 v46, 16, v42
	v_lshrrev_b32_e32 v43, 16, v43
	;; [unrolled: 1-line block ×4, first 2 shown]
	s_wait_alu 0xf1ff
	v_cndmask_b32_e64 v49, v66, v67, s0
	v_cmp_u_f32_e64 s0, v40, v40
	v_lshrrev_b32_e32 v42, 16, v48
	s_delay_alu instid0(VALU_DEP_3) | instskip(SKIP_1) | instid1(VALU_DEP_3)
	v_lshrrev_b32_e32 v39, 16, v49
	s_wait_alu 0xf1ff
	v_cndmask_b32_e64 v40, v68, v69, s0
	s_delay_alu instid0(VALU_DEP_1)
	v_lshrrev_b32_e32 v40, 16, v40
	s_and_saveexec_b32 s7, vcc_lo
	s_cbranch_execz .LBB359_33
; %bb.32:                               ;   in Loop: Header=BB359_29 Depth=1
	v_cmp_gt_i32_e64 s0, s27, v55
	s_wait_alu 0xf1ff
	s_delay_alu instid0(VALU_DEP_1) | instskip(SKIP_2) | instid1(VALU_DEP_1)
	v_cndmask_b32_e64 v45, 0, v45, s0
	v_cmp_gt_i32_e64 s0, s27, v60
	s_wait_alu 0xf1ff
	v_cndmask_b32_e64 v46, 0, v46, s0
	v_cmp_gt_i32_e64 s0, s27, v59
	s_wait_alu 0xf1ff
	s_delay_alu instid0(VALU_DEP_1) | instskip(SKIP_2) | instid1(VALU_DEP_1)
	v_cndmask_b32_e64 v43, 0, v43, s0
	v_cmp_gt_i32_e64 s0, s27, v58
	s_wait_alu 0xf1ff
	v_cndmask_b32_e64 v44, 0, v44, s0
	v_cmp_gt_i32_e64 s0, s27, v57
	s_wait_alu 0xf1ff
	s_delay_alu instid0(VALU_DEP_1) | instskip(SKIP_2) | instid1(VALU_DEP_1)
	v_cndmask_b32_e64 v41, 0, v41, s0
	v_cmp_gt_i32_e64 s0, s27, v56
	s_wait_alu 0xf1ff
	v_cndmask_b32_e64 v42, 0, v42, s0
	v_cmp_gt_i32_e64 s0, s27, v61
	s_wait_alu 0xf1ff
	s_delay_alu instid0(VALU_DEP_1) | instskip(SKIP_2) | instid1(VALU_DEP_1)
	v_cndmask_b32_e64 v39, 0, v39, s0
	v_cmp_gt_i32_e64 s0, s27, v29
	s_wait_alu 0xf1ff
	v_cndmask_b32_e64 v40, 0, v40, s0
.LBB359_33:                             ;   in Loop: Header=BB359_29 Depth=1
	s_wait_alu 0xfffe
	s_or_b32 exec_lo, exec_lo, s7
	global_load_b64 v[47:48], v[13:14], off offset:512
	s_wait_loadcnt 0x0
	v_bfe_u32 v50, v47, 8, 8
	v_bfe_u32 v51, v47, 16, 8
	;; [unrolled: 1-line block ×4, first 2 shown]
	s_delay_alu instid0(VALU_DEP_4)
	v_cvt_f32_fp8_e32 v50, v50
	v_and_b32_e32 v49, 0xff, v47
	v_lshrrev_b32_e32 v47, 24, v47
	v_cvt_f32_fp8_e32 v51, v51
	v_cvt_f32_fp8_e32 v54, v54
	v_mul_f32_e32 v50, s2, v50
	v_cvt_f32_fp8_e32 v49, v49
	v_and_b32_e32 v52, 0xff, v48
	v_cvt_f32_fp8_e32 v47, v47
	v_lshrrev_b32_e32 v48, 24, v48
	v_bfe_u32 v64, v50, 16, 1
	v_mul_f32_e32 v49, s2, v49
	v_cvt_f32_fp8_e32 v52, v52
	v_mul_f32_e32 v51, s2, v51
	v_dual_mul_f32 v47, s2, v47 :: v_dual_mul_f32 v54, s2, v54
	s_delay_alu instid0(VALU_DEP_4)
	v_bfe_u32 v62, v49, 16, 1
	v_or_b32_e32 v63, 0x400000, v49
	v_cmp_u_f32_e64 s0, v49, v49
	v_mul_f32_e32 v52, s2, v52
	v_or_b32_e32 v65, 0x400000, v50
	v_add3_u32 v62, v62, v49, 0x7fff
	v_bfe_u32 v66, v51, 16, 1
	v_add3_u32 v64, v64, v50, 0x7fff
	v_cvt_f32_fp8_e32 v53, v53
	v_or_b32_e32 v67, 0x400000, v51
	s_wait_alu 0xf1ff
	v_cndmask_b32_e64 v49, v62, v63, s0
	v_cmp_u_f32_e64 s0, v50, v50
	v_bfe_u32 v68, v47, 16, 1
	v_add3_u32 v66, v66, v51, 0x7fff
	v_cvt_f32_fp8_e32 v48, v48
	v_mul_f32_e32 v53, s2, v53
	s_wait_alu 0xf1ff
	v_cndmask_b32_e64 v50, v64, v65, s0
	v_cmp_u_f32_e64 s0, v51, v51
	v_or_b32_e32 v69, 0x400000, v47
	v_bfe_u32 v70, v52, 16, 1
	v_add3_u32 v68, v68, v47, 0x7fff
	v_mul_f32_e32 v48, s2, v48
	s_wait_alu 0xf1ff
	v_cndmask_b32_e64 v51, v66, v67, s0
	v_cmp_u_f32_e64 s0, v47, v47
	v_or_b32_e32 v71, 0x400000, v52
	v_bfe_u32 v72, v53, 16, 1
	v_add3_u32 v70, v70, v52, 0x7fff
	v_or_b32_e32 v73, 0x400000, v53
	s_wait_alu 0xf1ff
	v_cndmask_b32_e64 v47, v68, v69, s0
	v_cmp_u_f32_e64 s0, v52, v52
	v_bfe_u32 v74, v54, 16, 1
	v_add3_u32 v72, v72, v53, 0x7fff
	v_or_b32_e32 v75, 0x400000, v54
	v_bfe_u32 v76, v48, 16, 1
	s_wait_alu 0xf1ff
	v_cndmask_b32_e64 v62, v70, v71, s0
	v_cmp_u_f32_e64 s0, v53, v53
	v_add3_u32 v74, v74, v54, 0x7fff
	v_or_b32_e32 v77, 0x400000, v48
	v_add3_u32 v76, v76, v48, 0x7fff
	v_lshrrev_b32_e32 v53, 16, v49
	s_wait_alu 0xf1ff
	v_cndmask_b32_e64 v63, v72, v73, s0
	v_cmp_u_f32_e64 s0, v54, v54
	v_lshrrev_b32_e32 v54, 16, v50
	v_lshrrev_b32_e32 v51, 16, v51
	;; [unrolled: 1-line block ×4, first 2 shown]
	s_wait_alu 0xf1ff
	v_cndmask_b32_e64 v64, v74, v75, s0
	v_cmp_u_f32_e64 s0, v48, v48
	v_lshrrev_b32_e32 v50, 16, v63
	s_delay_alu instid0(VALU_DEP_3) | instskip(SKIP_1) | instid1(VALU_DEP_3)
	v_lshrrev_b32_e32 v47, 16, v64
	s_wait_alu 0xf1ff
	v_cndmask_b32_e64 v48, v76, v77, s0
	s_delay_alu instid0(VALU_DEP_1)
	v_lshrrev_b32_e32 v48, 16, v48
	s_and_saveexec_b32 s7, vcc_lo
	s_cbranch_execz .LBB359_35
; %bb.34:                               ;   in Loop: Header=BB359_29 Depth=1
	v_cmp_gt_i32_e64 s0, s27, v55
	s_wait_alu 0xf1ff
	s_delay_alu instid0(VALU_DEP_1) | instskip(SKIP_2) | instid1(VALU_DEP_1)
	v_cndmask_b32_e64 v53, 0, v53, s0
	v_cmp_gt_i32_e64 s0, s27, v60
	s_wait_alu 0xf1ff
	v_cndmask_b32_e64 v54, 0, v54, s0
	v_cmp_gt_i32_e64 s0, s27, v59
	s_wait_alu 0xf1ff
	s_delay_alu instid0(VALU_DEP_1) | instskip(SKIP_2) | instid1(VALU_DEP_1)
	v_cndmask_b32_e64 v51, 0, v51, s0
	v_cmp_gt_i32_e64 s0, s27, v58
	s_wait_alu 0xf1ff
	v_cndmask_b32_e64 v52, 0, v52, s0
	;; [unrolled: 7-line block ×4, first 2 shown]
.LBB359_35:                             ;   in Loop: Header=BB359_29 Depth=1
	s_wait_alu 0xfffe
	s_or_b32 exec_lo, exec_lo, s7
	global_load_b64 v[62:63], v[13:14], off offset:768
	s_wait_loadcnt 0x0
	v_bfe_u32 v65, v62, 8, 8
	v_bfe_u32 v66, v62, 16, 8
	;; [unrolled: 1-line block ×4, first 2 shown]
	s_delay_alu instid0(VALU_DEP_4)
	v_cvt_f32_fp8_e32 v65, v65
	v_and_b32_e32 v64, 0xff, v62
	v_lshrrev_b32_e32 v62, 24, v62
	v_cvt_f32_fp8_e32 v66, v66
	v_cvt_f32_fp8_e32 v69, v69
	v_mul_f32_e32 v65, s2, v65
	v_cvt_f32_fp8_e32 v64, v64
	v_and_b32_e32 v67, 0xff, v63
	v_cvt_f32_fp8_e32 v62, v62
	v_lshrrev_b32_e32 v63, 24, v63
	v_bfe_u32 v72, v65, 16, 1
	v_mul_f32_e32 v64, s2, v64
	v_cvt_f32_fp8_e32 v67, v67
	v_mul_f32_e32 v66, s2, v66
	v_dual_mul_f32 v62, s2, v62 :: v_dual_mul_f32 v69, s2, v69
	s_delay_alu instid0(VALU_DEP_4)
	v_bfe_u32 v70, v64, 16, 1
	v_or_b32_e32 v71, 0x400000, v64
	v_cmp_u_f32_e64 s0, v64, v64
	v_mul_f32_e32 v67, s2, v67
	v_or_b32_e32 v73, 0x400000, v65
	v_add3_u32 v70, v70, v64, 0x7fff
	v_bfe_u32 v74, v66, 16, 1
	v_add3_u32 v72, v72, v65, 0x7fff
	v_cvt_f32_fp8_e32 v68, v68
	v_or_b32_e32 v75, 0x400000, v66
	s_wait_alu 0xf1ff
	v_cndmask_b32_e64 v64, v70, v71, s0
	v_cmp_u_f32_e64 s0, v65, v65
	v_bfe_u32 v76, v62, 16, 1
	v_add3_u32 v74, v74, v66, 0x7fff
	v_cvt_f32_fp8_e32 v63, v63
	v_mul_f32_e32 v68, s2, v68
	s_wait_alu 0xf1ff
	v_cndmask_b32_e64 v65, v72, v73, s0
	v_cmp_u_f32_e64 s0, v66, v66
	v_or_b32_e32 v77, 0x400000, v62
	v_bfe_u32 v78, v67, 16, 1
	v_add3_u32 v76, v76, v62, 0x7fff
	v_mul_f32_e32 v63, s2, v63
	s_wait_alu 0xf1ff
	v_cndmask_b32_e64 v66, v74, v75, s0
	v_cmp_u_f32_e64 s0, v62, v62
	v_or_b32_e32 v79, 0x400000, v67
	v_bfe_u32 v80, v68, 16, 1
	v_add3_u32 v78, v78, v67, 0x7fff
	v_or_b32_e32 v81, 0x400000, v68
	s_wait_alu 0xf1ff
	v_cndmask_b32_e64 v62, v76, v77, s0
	v_cmp_u_f32_e64 s0, v67, v67
	v_bfe_u32 v82, v69, 16, 1
	v_add3_u32 v80, v80, v68, 0x7fff
	v_or_b32_e32 v83, 0x400000, v69
	v_bfe_u32 v84, v63, 16, 1
	s_wait_alu 0xf1ff
	v_cndmask_b32_e64 v70, v78, v79, s0
	v_cmp_u_f32_e64 s0, v68, v68
	v_add3_u32 v82, v82, v69, 0x7fff
	v_or_b32_e32 v85, 0x400000, v63
	v_add3_u32 v84, v84, v63, 0x7fff
	v_lshrrev_b32_e32 v68, 16, v64
	s_wait_alu 0xf1ff
	v_cndmask_b32_e64 v71, v80, v81, s0
	v_cmp_u_f32_e64 s0, v69, v69
	v_lshrrev_b32_e32 v69, 16, v65
	v_lshrrev_b32_e32 v66, 16, v66
	;; [unrolled: 1-line block ×4, first 2 shown]
	s_wait_alu 0xf1ff
	v_cndmask_b32_e64 v72, v82, v83, s0
	v_cmp_u_f32_e64 s0, v63, v63
	v_lshrrev_b32_e32 v65, 16, v71
	s_delay_alu instid0(VALU_DEP_3) | instskip(SKIP_1) | instid1(VALU_DEP_3)
	v_lshrrev_b32_e32 v62, 16, v72
	s_wait_alu 0xf1ff
	v_cndmask_b32_e64 v63, v84, v85, s0
	s_delay_alu instid0(VALU_DEP_1)
	v_lshrrev_b32_e32 v63, 16, v63
	s_and_saveexec_b32 s7, vcc_lo
	s_cbranch_execz .LBB359_37
; %bb.36:                               ;   in Loop: Header=BB359_29 Depth=1
	v_cmp_gt_i32_e64 s0, s27, v55
	s_wait_alu 0xf1ff
	s_delay_alu instid0(VALU_DEP_1) | instskip(SKIP_2) | instid1(VALU_DEP_1)
	v_cndmask_b32_e64 v68, 0, v68, s0
	v_cmp_gt_i32_e64 s0, s27, v60
	s_wait_alu 0xf1ff
	v_cndmask_b32_e64 v69, 0, v69, s0
	v_cmp_gt_i32_e64 s0, s27, v59
	s_wait_alu 0xf1ff
	s_delay_alu instid0(VALU_DEP_1) | instskip(SKIP_2) | instid1(VALU_DEP_1)
	v_cndmask_b32_e64 v66, 0, v66, s0
	v_cmp_gt_i32_e64 s0, s27, v58
	s_wait_alu 0xf1ff
	v_cndmask_b32_e64 v67, 0, v67, s0
	;; [unrolled: 7-line block ×4, first 2 shown]
.LBB359_37:                             ;   in Loop: Header=BB359_29 Depth=1
	s_wait_alu 0xfffe
	s_or_b32 exec_lo, exec_lo, s7
	global_load_b64 v[70:71], v[13:14], off offset:1024
	s_wait_loadcnt 0x0
	v_bfe_u32 v73, v70, 8, 8
	v_bfe_u32 v74, v70, 16, 8
	;; [unrolled: 1-line block ×4, first 2 shown]
	s_delay_alu instid0(VALU_DEP_4)
	v_cvt_f32_fp8_e32 v73, v73
	v_and_b32_e32 v72, 0xff, v70
	v_lshrrev_b32_e32 v70, 24, v70
	v_cvt_f32_fp8_e32 v74, v74
	v_cvt_f32_fp8_e32 v77, v77
	v_mul_f32_e32 v73, s2, v73
	v_cvt_f32_fp8_e32 v72, v72
	v_and_b32_e32 v75, 0xff, v71
	v_cvt_f32_fp8_e32 v70, v70
	v_lshrrev_b32_e32 v71, 24, v71
	v_bfe_u32 v80, v73, 16, 1
	v_mul_f32_e32 v72, s2, v72
	v_cvt_f32_fp8_e32 v75, v75
	v_mul_f32_e32 v74, s2, v74
	v_dual_mul_f32 v70, s2, v70 :: v_dual_mul_f32 v77, s2, v77
	s_delay_alu instid0(VALU_DEP_4)
	v_bfe_u32 v78, v72, 16, 1
	v_or_b32_e32 v79, 0x400000, v72
	v_cmp_u_f32_e64 s0, v72, v72
	v_mul_f32_e32 v75, s2, v75
	v_or_b32_e32 v81, 0x400000, v73
	v_add3_u32 v78, v78, v72, 0x7fff
	v_bfe_u32 v82, v74, 16, 1
	v_add3_u32 v80, v80, v73, 0x7fff
	v_cvt_f32_fp8_e32 v76, v76
	v_or_b32_e32 v83, 0x400000, v74
	s_wait_alu 0xf1ff
	v_cndmask_b32_e64 v72, v78, v79, s0
	v_cmp_u_f32_e64 s0, v73, v73
	v_bfe_u32 v84, v70, 16, 1
	v_add3_u32 v82, v82, v74, 0x7fff
	v_cvt_f32_fp8_e32 v71, v71
	v_mul_f32_e32 v76, s2, v76
	s_wait_alu 0xf1ff
	v_cndmask_b32_e64 v73, v80, v81, s0
	v_cmp_u_f32_e64 s0, v74, v74
	v_or_b32_e32 v85, 0x400000, v70
	v_bfe_u32 v86, v75, 16, 1
	v_add3_u32 v84, v84, v70, 0x7fff
	v_mul_f32_e32 v71, s2, v71
	s_wait_alu 0xf1ff
	v_cndmask_b32_e64 v74, v82, v83, s0
	v_cmp_u_f32_e64 s0, v70, v70
	v_or_b32_e32 v87, 0x400000, v75
	v_bfe_u32 v88, v76, 16, 1
	v_add3_u32 v86, v86, v75, 0x7fff
	v_or_b32_e32 v89, 0x400000, v76
	s_wait_alu 0xf1ff
	v_cndmask_b32_e64 v70, v84, v85, s0
	v_cmp_u_f32_e64 s0, v75, v75
	v_bfe_u32 v90, v77, 16, 1
	v_add3_u32 v88, v88, v76, 0x7fff
	v_or_b32_e32 v91, 0x400000, v77
	v_bfe_u32 v92, v71, 16, 1
	s_wait_alu 0xf1ff
	v_cndmask_b32_e64 v75, v86, v87, s0
	v_cmp_u_f32_e64 s0, v76, v76
	v_add3_u32 v90, v90, v77, 0x7fff
	v_or_b32_e32 v93, 0x400000, v71
	v_add3_u32 v92, v92, v71, 0x7fff
	v_lshrrev_b32_e32 v82, 16, v72
	s_wait_alu 0xf1ff
	v_cndmask_b32_e64 v78, v88, v89, s0
	v_cmp_u_f32_e64 s0, v77, v77
	v_lshrrev_b32_e32 v83, 16, v73
	v_lshrrev_b32_e32 v80, 16, v74
	;; [unrolled: 1-line block ×4, first 2 shown]
	s_wait_alu 0xf1ff
	v_cndmask_b32_e64 v77, v90, v91, s0
	v_cmp_u_f32_e64 s0, v71, v71
	v_lshrrev_b32_e32 v78, 16, v78
	s_delay_alu instid0(VALU_DEP_3) | instskip(SKIP_1) | instid1(VALU_DEP_3)
	v_lshrrev_b32_e32 v72, 16, v77
	s_wait_alu 0xf1ff
	v_cndmask_b32_e64 v71, v92, v93, s0
	s_delay_alu instid0(VALU_DEP_1)
	v_lshrrev_b32_e32 v74, 16, v71
	s_and_saveexec_b32 s7, vcc_lo
	s_cbranch_execz .LBB359_39
; %bb.38:                               ;   in Loop: Header=BB359_29 Depth=1
	v_cmp_gt_i32_e64 s0, s27, v55
	s_wait_alu 0xf1ff
	s_delay_alu instid0(VALU_DEP_1) | instskip(SKIP_2) | instid1(VALU_DEP_1)
	v_cndmask_b32_e64 v82, 0, v82, s0
	v_cmp_gt_i32_e64 s0, s27, v60
	s_wait_alu 0xf1ff
	v_cndmask_b32_e64 v83, 0, v83, s0
	v_cmp_gt_i32_e64 s0, s27, v59
	s_wait_alu 0xf1ff
	s_delay_alu instid0(VALU_DEP_1) | instskip(SKIP_2) | instid1(VALU_DEP_1)
	v_cndmask_b32_e64 v80, 0, v80, s0
	v_cmp_gt_i32_e64 s0, s27, v58
	s_wait_alu 0xf1ff
	v_cndmask_b32_e64 v81, 0, v81, s0
	;; [unrolled: 7-line block ×4, first 2 shown]
.LBB359_39:                             ;   in Loop: Header=BB359_29 Depth=1
	s_wait_alu 0xfffe
	s_or_b32 exec_lo, exec_lo, s7
	global_load_b64 v[70:71], v[13:14], off offset:1280
	s_wait_loadcnt 0x0
	v_bfe_u32 v84, v71, 8, 8
	v_bfe_u32 v75, v70, 8, 8
	;; [unrolled: 1-line block ×4, first 2 shown]
	s_delay_alu instid0(VALU_DEP_4)
	v_cvt_f32_fp8_e32 v84, v84
	v_and_b32_e32 v73, 0xff, v70
	v_cvt_f32_fp8_e32 v75, v75
	v_lshrrev_b32_e32 v70, 24, v70
	v_cvt_f32_fp8_e32 v77, v77
	v_mul_f32_e32 v84, s2, v84
	v_cvt_f32_fp8_e32 v73, v73
	v_mul_f32_e32 v75, s2, v75
	v_cvt_f32_fp8_e32 v70, v70
	v_and_b32_e32 v79, 0xff, v71
	v_mul_f32_e32 v77, s2, v77
	v_mul_f32_e32 v73, s2, v73
	v_bfe_u32 v88, v75, 16, 1
	v_mul_f32_e32 v70, s2, v70
	v_cvt_f32_fp8_e32 v79, v79
	v_or_b32_e32 v89, 0x400000, v75
	v_bfe_u32 v86, v73, 16, 1
	v_or_b32_e32 v87, 0x400000, v73
	v_cmp_u_f32_e64 s0, v73, v73
	v_bfe_u32 v90, v77, 16, 1
	v_add3_u32 v88, v88, v75, 0x7fff
	v_add3_u32 v86, v86, v73, 0x7fff
	v_mul_f32_e32 v79, s2, v79
	v_or_b32_e32 v91, 0x400000, v77
	v_bfe_u32 v92, v70, 16, 1
	v_add3_u32 v90, v90, v77, 0x7fff
	s_wait_alu 0xf1ff
	v_cndmask_b32_e64 v73, v86, v87, s0
	v_cmp_u_f32_e64 s0, v75, v75
	v_lshrrev_b32_e32 v71, 24, v71
	v_cvt_f32_fp8_e32 v85, v85
	v_or_b32_e32 v93, 0x400000, v70
	v_bfe_u32 v94, v79, 16, 1
	s_wait_alu 0xf1ff
	v_cndmask_b32_e64 v75, v88, v89, s0
	v_cmp_u_f32_e64 s0, v77, v77
	v_add3_u32 v92, v92, v70, 0x7fff
	v_cvt_f32_fp8_e32 v71, v71
	v_mul_f32_e32 v85, s2, v85
	v_or_b32_e32 v95, 0x400000, v79
	s_wait_alu 0xf1ff
	v_cndmask_b32_e64 v77, v90, v91, s0
	v_cmp_u_f32_e64 s0, v70, v70
	v_bfe_u32 v96, v84, 16, 1
	v_add3_u32 v94, v94, v79, 0x7fff
	v_mul_f32_e32 v71, s2, v71
	v_or_b32_e32 v97, 0x400000, v84
	s_wait_alu 0xf1ff
	v_cndmask_b32_e64 v70, v92, v93, s0
	v_cmp_u_f32_e64 s0, v79, v79
	v_bfe_u32 v98, v85, 16, 1
	v_add3_u32 v96, v96, v84, 0x7fff
	v_or_b32_e32 v99, 0x400000, v85
	v_bfe_u32 v100, v71, 16, 1
	s_wait_alu 0xf1ff
	v_cndmask_b32_e64 v79, v94, v95, s0
	v_cmp_u_f32_e64 s0, v84, v84
	v_add3_u32 v98, v98, v85, 0x7fff
	v_or_b32_e32 v101, 0x400000, v71
	v_add3_u32 v100, v100, v71, 0x7fff
	v_lshrrev_b32_e32 v90, 16, v73
	s_wait_alu 0xf1ff
	v_cndmask_b32_e64 v84, v96, v97, s0
	v_cmp_u_f32_e64 s0, v85, v85
	v_lshrrev_b32_e32 v91, 16, v75
	v_lshrrev_b32_e32 v88, 16, v77
	;; [unrolled: 1-line block ×4, first 2 shown]
	s_wait_alu 0xf1ff
	v_cndmask_b32_e64 v85, v98, v99, s0
	v_cmp_u_f32_e64 s0, v71, v71
	v_lshrrev_b32_e32 v87, 16, v84
	s_delay_alu instid0(VALU_DEP_3) | instskip(SKIP_1) | instid1(VALU_DEP_3)
	v_lshrrev_b32_e32 v84, 16, v85
	s_wait_alu 0xf1ff
	v_cndmask_b32_e64 v71, v100, v101, s0
	s_delay_alu instid0(VALU_DEP_1)
	v_lshrrev_b32_e32 v85, 16, v71
	s_and_saveexec_b32 s7, vcc_lo
	s_cbranch_execz .LBB359_41
; %bb.40:                               ;   in Loop: Header=BB359_29 Depth=1
	v_cmp_gt_i32_e64 s0, s27, v55
	s_wait_alu 0xf1ff
	s_delay_alu instid0(VALU_DEP_1) | instskip(SKIP_2) | instid1(VALU_DEP_1)
	v_cndmask_b32_e64 v90, 0, v90, s0
	v_cmp_gt_i32_e64 s0, s27, v60
	s_wait_alu 0xf1ff
	v_cndmask_b32_e64 v91, 0, v91, s0
	v_cmp_gt_i32_e64 s0, s27, v59
	s_wait_alu 0xf1ff
	s_delay_alu instid0(VALU_DEP_1) | instskip(SKIP_2) | instid1(VALU_DEP_1)
	v_cndmask_b32_e64 v88, 0, v88, s0
	v_cmp_gt_i32_e64 s0, s27, v58
	s_wait_alu 0xf1ff
	v_cndmask_b32_e64 v89, 0, v89, s0
	;; [unrolled: 7-line block ×4, first 2 shown]
.LBB359_41:                             ;   in Loop: Header=BB359_29 Depth=1
	s_wait_alu 0xfffe
	s_or_b32 exec_lo, exec_lo, s7
	global_load_b64 v[70:71], v[13:14], off offset:1536
	s_wait_loadcnt 0x0
	v_bfe_u32 v92, v71, 8, 8
	v_bfe_u32 v75, v70, 8, 8
	;; [unrolled: 1-line block ×4, first 2 shown]
	s_delay_alu instid0(VALU_DEP_4)
	v_cvt_f32_fp8_e32 v92, v92
	v_and_b32_e32 v73, 0xff, v70
	v_cvt_f32_fp8_e32 v75, v75
	v_lshrrev_b32_e32 v70, 24, v70
	v_cvt_f32_fp8_e32 v77, v77
	v_mul_f32_e32 v92, s2, v92
	v_cvt_f32_fp8_e32 v73, v73
	v_mul_f32_e32 v75, s2, v75
	v_cvt_f32_fp8_e32 v70, v70
	v_and_b32_e32 v79, 0xff, v71
	v_mul_f32_e32 v77, s2, v77
	v_mul_f32_e32 v73, s2, v73
	v_bfe_u32 v96, v75, 16, 1
	v_mul_f32_e32 v70, s2, v70
	v_cvt_f32_fp8_e32 v79, v79
	v_or_b32_e32 v97, 0x400000, v75
	v_bfe_u32 v94, v73, 16, 1
	v_or_b32_e32 v95, 0x400000, v73
	v_cmp_u_f32_e64 s0, v73, v73
	v_bfe_u32 v98, v77, 16, 1
	v_add3_u32 v96, v96, v75, 0x7fff
	v_add3_u32 v94, v94, v73, 0x7fff
	v_mul_f32_e32 v79, s2, v79
	v_or_b32_e32 v99, 0x400000, v77
	v_bfe_u32 v100, v70, 16, 1
	v_add3_u32 v98, v98, v77, 0x7fff
	s_wait_alu 0xf1ff
	v_cndmask_b32_e64 v73, v94, v95, s0
	v_cmp_u_f32_e64 s0, v75, v75
	v_lshrrev_b32_e32 v71, 24, v71
	v_cvt_f32_fp8_e32 v93, v93
	v_or_b32_e32 v101, 0x400000, v70
	v_bfe_u32 v102, v79, 16, 1
	s_wait_alu 0xf1ff
	v_cndmask_b32_e64 v75, v96, v97, s0
	v_cmp_u_f32_e64 s0, v77, v77
	v_add3_u32 v100, v100, v70, 0x7fff
	v_cvt_f32_fp8_e32 v71, v71
	v_mul_f32_e32 v93, s2, v93
	v_or_b32_e32 v103, 0x400000, v79
	s_wait_alu 0xf1ff
	v_cndmask_b32_e64 v77, v98, v99, s0
	v_cmp_u_f32_e64 s0, v70, v70
	v_bfe_u32 v104, v92, 16, 1
	v_add3_u32 v102, v102, v79, 0x7fff
	v_mul_f32_e32 v71, s2, v71
	v_or_b32_e32 v105, 0x400000, v92
	s_wait_alu 0xf1ff
	v_cndmask_b32_e64 v70, v100, v101, s0
	v_cmp_u_f32_e64 s0, v79, v79
	v_bfe_u32 v106, v93, 16, 1
	v_add3_u32 v104, v104, v92, 0x7fff
	v_or_b32_e32 v107, 0x400000, v93
	v_bfe_u32 v108, v71, 16, 1
	s_wait_alu 0xf1ff
	v_cndmask_b32_e64 v79, v102, v103, s0
	v_cmp_u_f32_e64 s0, v92, v92
	v_add3_u32 v106, v106, v93, 0x7fff
	v_or_b32_e32 v109, 0x400000, v71
	v_add3_u32 v108, v108, v71, 0x7fff
	v_lshrrev_b32_e32 v98, 16, v73
	s_wait_alu 0xf1ff
	v_cndmask_b32_e64 v92, v104, v105, s0
	v_cmp_u_f32_e64 s0, v93, v93
	v_lshrrev_b32_e32 v99, 16, v75
	v_lshrrev_b32_e32 v96, 16, v77
	;; [unrolled: 1-line block ×4, first 2 shown]
	s_wait_alu 0xf1ff
	v_cndmask_b32_e64 v93, v106, v107, s0
	v_cmp_u_f32_e64 s0, v71, v71
	v_lshrrev_b32_e32 v95, 16, v92
	s_delay_alu instid0(VALU_DEP_3) | instskip(SKIP_1) | instid1(VALU_DEP_3)
	v_lshrrev_b32_e32 v92, 16, v93
	s_wait_alu 0xf1ff
	v_cndmask_b32_e64 v71, v108, v109, s0
	s_delay_alu instid0(VALU_DEP_1)
	v_lshrrev_b32_e32 v93, 16, v71
	s_and_saveexec_b32 s7, vcc_lo
	s_cbranch_execz .LBB359_43
; %bb.42:                               ;   in Loop: Header=BB359_29 Depth=1
	v_cmp_gt_i32_e64 s0, s27, v55
	s_wait_alu 0xf1ff
	s_delay_alu instid0(VALU_DEP_1) | instskip(SKIP_2) | instid1(VALU_DEP_1)
	v_cndmask_b32_e64 v98, 0, v98, s0
	v_cmp_gt_i32_e64 s0, s27, v60
	s_wait_alu 0xf1ff
	v_cndmask_b32_e64 v99, 0, v99, s0
	v_cmp_gt_i32_e64 s0, s27, v59
	s_wait_alu 0xf1ff
	s_delay_alu instid0(VALU_DEP_1) | instskip(SKIP_2) | instid1(VALU_DEP_1)
	v_cndmask_b32_e64 v96, 0, v96, s0
	v_cmp_gt_i32_e64 s0, s27, v58
	s_wait_alu 0xf1ff
	v_cndmask_b32_e64 v97, 0, v97, s0
	;; [unrolled: 7-line block ×4, first 2 shown]
.LBB359_43:                             ;   in Loop: Header=BB359_29 Depth=1
	s_wait_alu 0xfffe
	s_or_b32 exec_lo, exec_lo, s7
	global_load_b64 v[13:14], v[13:14], off offset:1792
	s_wait_loadcnt 0x0
	v_bfe_u32 v71, v13, 8, 8
	v_bfe_u32 v73, v13, 16, 8
	v_and_b32_e32 v75, 0xff, v14
	v_bfe_u32 v77, v14, 8, 8
	v_bfe_u32 v79, v14, 16, 8
	v_cvt_f32_fp8_e32 v71, v71
	v_and_b32_e32 v70, 0xff, v13
	v_cvt_f32_fp8_e32 v73, v73
	v_lshrrev_b32_e32 v13, 24, v13
	v_lshrrev_b32_e32 v14, 24, v14
	v_mul_f32_e32 v71, s2, v71
	v_cvt_f32_fp8_e32 v70, v70
	v_cvt_f32_fp8_e32 v75, v75
	v_cvt_f32_fp8_e32 v13, v13
	v_cvt_f32_fp8_e32 v14, v14
	s_delay_alu instid0(VALU_DEP_4) | instskip(SKIP_1) | instid1(VALU_DEP_3)
	v_dual_mul_f32 v73, s2, v73 :: v_dual_mul_f32 v70, s2, v70
	v_bfe_u32 v102, v71, 16, 1
	v_dual_mul_f32 v13, s2, v13 :: v_dual_mul_f32 v14, s2, v14
	v_or_b32_e32 v103, 0x400000, v71
	s_delay_alu instid0(VALU_DEP_4)
	v_bfe_u32 v100, v70, 16, 1
	v_or_b32_e32 v101, 0x400000, v70
	v_cmp_u_f32_e64 s0, v70, v70
	v_bfe_u32 v104, v73, 16, 1
	v_add3_u32 v102, v102, v71, 0x7fff
	v_add3_u32 v100, v100, v70, 0x7fff
	v_cvt_f32_fp8_e32 v77, v77
	v_mul_f32_e32 v75, s2, v75
	v_or_b32_e32 v105, 0x400000, v73
	v_bfe_u32 v106, v13, 16, 1
	s_wait_alu 0xf1ff
	v_cndmask_b32_e64 v70, v100, v101, s0
	v_cmp_u_f32_e64 s0, v71, v71
	v_add3_u32 v104, v104, v73, 0x7fff
	v_cvt_f32_fp8_e32 v79, v79
	v_mul_f32_e32 v77, s2, v77
	v_or_b32_e32 v107, 0x400000, v13
	s_wait_alu 0xf1ff
	v_cndmask_b32_e64 v71, v102, v103, s0
	v_cmp_u_f32_e64 s0, v73, v73
	v_bfe_u32 v108, v75, 16, 1
	v_add3_u32 v106, v106, v13, 0x7fff
	v_mul_f32_e32 v79, s2, v79
	v_or_b32_e32 v109, 0x400000, v75
	s_wait_alu 0xf1ff
	v_cndmask_b32_e64 v73, v104, v105, s0
	v_cmp_u_f32_e64 s0, v13, v13
	v_bfe_u32 v110, v77, 16, 1
	v_add3_u32 v108, v108, v75, 0x7fff
	v_or_b32_e32 v111, 0x400000, v77
	v_bfe_u32 v112, v79, 16, 1
	s_wait_alu 0xf1ff
	v_cndmask_b32_e64 v13, v106, v107, s0
	v_cmp_u_f32_e64 s0, v75, v75
	v_add3_u32 v110, v110, v77, 0x7fff
	v_or_b32_e32 v113, 0x400000, v79
	v_bfe_u32 v114, v14, 16, 1
	v_add3_u32 v112, v112, v79, 0x7fff
	s_wait_alu 0xf1ff
	v_cndmask_b32_e64 v100, v108, v109, s0
	v_cmp_u_f32_e64 s0, v77, v77
	v_or_b32_e32 v115, 0x400000, v14
	v_add3_u32 v114, v114, v14, 0x7fff
	v_lshrrev_b32_e32 v77, 16, v71
	v_lshrrev_b32_e32 v75, 16, v73
	s_wait_alu 0xf1ff
	v_cndmask_b32_e64 v101, v110, v111, s0
	v_cmp_u_f32_e64 s0, v79, v79
	v_lshrrev_b32_e32 v79, 16, v70
	v_lshrrev_b32_e32 v73, 16, v13
	;; [unrolled: 1-line block ×4, first 2 shown]
	s_wait_alu 0xf1ff
	v_cndmask_b32_e64 v102, v112, v113, s0
	v_cmp_u_f32_e64 s0, v14, v14
	s_delay_alu instid0(VALU_DEP_2) | instskip(SKIP_1) | instid1(VALU_DEP_2)
	v_lshrrev_b32_e32 v14, 16, v102
	s_wait_alu 0xf1ff
	v_cndmask_b32_e64 v103, v114, v115, s0
	s_delay_alu instid0(VALU_DEP_1)
	v_lshrrev_b32_e32 v13, 16, v103
	s_and_saveexec_b32 s0, vcc_lo
	s_cbranch_execz .LBB359_28
; %bb.44:                               ;   in Loop: Header=BB359_29 Depth=1
	v_cmp_gt_i32_e32 vcc_lo, s27, v55
	s_wait_alu 0xfffd
	v_cndmask_b32_e32 v79, 0, v79, vcc_lo
	v_cmp_gt_i32_e32 vcc_lo, s27, v60
	s_wait_alu 0xfffd
	v_cndmask_b32_e32 v77, 0, v77, vcc_lo
	;; [unrolled: 3-line block ×8, first 2 shown]
	s_branch .LBB359_28
.LBB359_45:
	s_or_b32 exec_lo, exec_lo, s6
.LBB359_46:
	s_wait_alu 0xfffe
	s_or_b32 exec_lo, exec_lo, s1
	ds_bpermute_b32 v1, v19, v26
	ds_bpermute_b32 v2, v19, v28
	;; [unrolled: 1-line block ×8, first 2 shown]
	v_lshrrev_b32_e32 v9, 2, v16
	s_mov_b32 s0, exec_lo
	s_wait_storecnt 0x0
	s_wait_loadcnt_dscnt 0x0
	s_barrier_signal -1
	s_barrier_wait -1
	global_inv scope:SCOPE_SE
	v_dual_add_f32 v1, v26, v1 :: v_dual_add_f32 v2, v28, v2
	v_dual_add_f32 v3, v27, v3 :: v_dual_add_f32 v4, v25, v4
	;; [unrolled: 1-line block ×4, first 2 shown]
	ds_bpermute_b32 v5, v18, v1
	ds_bpermute_b32 v6, v18, v2
	;; [unrolled: 1-line block ×8, first 2 shown]
	v_and_b32_e32 v7, 28, v16
	v_lshlrev_b32_e32 v11, 8, v15
	s_wait_dscnt 0x7
	v_dual_add_f32 v8, v1, v5 :: v_dual_and_b32 v15, 0x3c3, v0
	s_wait_dscnt 0x6
	v_dual_add_f32 v7, v2, v6 :: v_dual_add_nc_u32 v10, 0xa0, v7
	s_wait_dscnt 0x4
	v_dual_add_f32 v6, v3, v19 :: v_dual_add_f32 v5, v4, v21
	s_wait_dscnt 0x2
	v_dual_add_f32 v4, v12, v22 :: v_dual_add_f32 v3, v13, v23
	;; [unrolled: 2-line block ×3, first 2 shown]
	v_cmpx_eq_u32_e32 64, v15
	s_cbranch_execz .LBB359_48
; %bb.47:
	v_add_nc_u32_e32 v12, v10, v11
	s_delay_alu instid0(VALU_DEP_1)
	v_add_nc_u32_e32 v13, 0xfffffe00, v12
	v_add_nc_u32_e32 v14, 0xfffffe20, v12
	v_add_nc_u32_e32 v15, 0xfffffe40, v12
	v_add_nc_u32_e32 v16, 0xfffffe60, v12
	v_add_nc_u32_e32 v17, 0xfffffe80, v12
	v_add_nc_u32_e32 v18, 0xfffffea0, v12
	v_add_nc_u32_e32 v19, 0xfffffec0, v12
	v_add_nc_u32_e32 v12, 0xfffffee0, v12
	ds_store_b32 v13, v8
	ds_store_b32 v14, v7
	;; [unrolled: 1-line block ×8, first 2 shown]
.LBB359_48:
	s_wait_alu 0xfffe
	s_or_b32 exec_lo, exec_lo, s0
	v_lshlrev_b32_e32 v9, 2, v9
	s_mov_b32 s1, exec_lo
	v_cmp_eq_u32_e32 vcc_lo, 0, v20
	s_wait_loadcnt_dscnt 0x0
	s_barrier_signal -1
	v_add3_u32 v9, 0xa0, v11, v9
	s_barrier_wait -1
	global_inv scope:SCOPE_SE
	v_cmpx_gt_u32_e32 64, v0
	s_cbranch_execz .LBB359_59
; %bb.49:
	s_and_saveexec_b32 s0, vcc_lo
	s_cbranch_execnz .LBB359_75
; %bb.50:
	s_wait_alu 0xfffe
	s_or_b32 exec_lo, exec_lo, s0
	s_and_saveexec_b32 s0, vcc_lo
	s_cbranch_execnz .LBB359_76
.LBB359_51:
	s_wait_alu 0xfffe
	s_or_b32 exec_lo, exec_lo, s0
	s_and_saveexec_b32 s0, vcc_lo
	s_cbranch_execnz .LBB359_77
.LBB359_52:
	s_wait_alu 0xfffe
	s_or_b32 exec_lo, exec_lo, s0
	s_and_saveexec_b32 s0, vcc_lo
	s_cbranch_execnz .LBB359_78
.LBB359_53:
	s_wait_alu 0xfffe
	s_or_b32 exec_lo, exec_lo, s0
	s_and_saveexec_b32 s0, vcc_lo
	s_cbranch_execnz .LBB359_79
.LBB359_54:
	s_wait_alu 0xfffe
	s_or_b32 exec_lo, exec_lo, s0
	s_and_saveexec_b32 s0, vcc_lo
	s_cbranch_execnz .LBB359_80
.LBB359_55:
	s_wait_alu 0xfffe
	s_or_b32 exec_lo, exec_lo, s0
	s_and_saveexec_b32 s0, vcc_lo
	s_cbranch_execnz .LBB359_81
.LBB359_56:
	s_wait_alu 0xfffe
	s_or_b32 exec_lo, exec_lo, s0
	s_and_saveexec_b32 s0, vcc_lo
	s_cbranch_execz .LBB359_58
.LBB359_57:
	ds_load_b32 v11, v9 offset:224
	s_wait_dscnt 0x0
	v_add_f32_e32 v1, v1, v11
.LBB359_58:
	s_wait_alu 0xfffe
	s_or_b32 exec_lo, exec_lo, s0
.LBB359_59:
	s_wait_alu 0xfffe
	s_or_b32 exec_lo, exec_lo, s1
	v_and_b32_e32 v11, 0x3e3, v0
	s_mov_b32 s1, exec_lo
	s_wait_loadcnt 0x0
	s_barrier_signal -1
	s_barrier_wait -1
	global_inv scope:SCOPE_SE
	v_cmpx_eq_u32_e32 32, v11
	s_cbranch_execz .LBB359_61
; %bb.60:
	ds_store_2addr_b32 v10, v8, v7 offset1:8
	ds_store_2addr_b32 v10, v6, v5 offset0:16 offset1:24
	ds_store_2addr_b32 v10, v4, v3 offset0:32 offset1:40
	;; [unrolled: 1-line block ×3, first 2 shown]
.LBB359_61:
	s_wait_alu 0xfffe
	s_or_b32 exec_lo, exec_lo, s1
	s_delay_alu instid0(SALU_CYCLE_1)
	s_mov_b32 s1, exec_lo
	s_wait_loadcnt_dscnt 0x0
	s_barrier_signal -1
	s_barrier_wait -1
	global_inv scope:SCOPE_SE
	v_cmpx_gt_u32_e32 32, v0
	s_cbranch_execz .LBB359_72
; %bb.62:
	s_and_saveexec_b32 s0, vcc_lo
	s_cbranch_execnz .LBB359_82
; %bb.63:
	s_wait_alu 0xfffe
	s_or_b32 exec_lo, exec_lo, s0
	s_and_saveexec_b32 s0, vcc_lo
	s_cbranch_execnz .LBB359_83
.LBB359_64:
	s_wait_alu 0xfffe
	s_or_b32 exec_lo, exec_lo, s0
	s_and_saveexec_b32 s0, vcc_lo
	s_cbranch_execnz .LBB359_84
.LBB359_65:
	s_wait_alu 0xfffe
	s_or_b32 exec_lo, exec_lo, s0
	s_and_saveexec_b32 s0, vcc_lo
	s_cbranch_execnz .LBB359_85
.LBB359_66:
	s_wait_alu 0xfffe
	s_or_b32 exec_lo, exec_lo, s0
	s_and_saveexec_b32 s0, vcc_lo
	s_cbranch_execnz .LBB359_86
.LBB359_67:
	s_wait_alu 0xfffe
	s_or_b32 exec_lo, exec_lo, s0
	s_and_saveexec_b32 s0, vcc_lo
	s_cbranch_execnz .LBB359_87
.LBB359_68:
	s_wait_alu 0xfffe
	s_or_b32 exec_lo, exec_lo, s0
	s_and_saveexec_b32 s0, vcc_lo
	s_cbranch_execnz .LBB359_88
.LBB359_69:
	s_wait_alu 0xfffe
	s_or_b32 exec_lo, exec_lo, s0
	s_and_saveexec_b32 s0, vcc_lo
	s_cbranch_execz .LBB359_71
.LBB359_70:
	ds_load_b32 v9, v9 offset:224
	s_wait_dscnt 0x0
	v_add_f32_e32 v1, v1, v9
.LBB359_71:
	s_wait_alu 0xfffe
	s_or_b32 exec_lo, exec_lo, s0
.LBB359_72:
	s_wait_alu 0xfffe
	s_or_b32 exec_lo, exec_lo, s1
	s_mov_b32 s1, 0
	s_wait_loadcnt 0x0
	s_barrier_signal -1
	s_barrier_wait -1
	global_inv scope:SCOPE_SE
	s_mov_b32 s0, exec_lo
	v_cmpx_eq_u32_e32 0, v11
	s_cbranch_execz .LBB359_74
; %bb.73:
	v_bfe_u32 v9, v8, 16, 1
	v_bfe_u32 v10, v7, 16, 1
	v_or_b32_e32 v11, 0x400000, v8
	v_cmp_u_f32_e32 vcc_lo, v8, v8
	v_or_b32_e32 v12, 0x400000, v7
	v_add3_u32 v9, v9, v8, 0x7fff
	v_add3_u32 v10, v10, v7, 0x7fff
	v_bfe_u32 v13, v6, 16, 1
	s_lshl_b32 s2, s14, 6
	s_mul_i32 s6, s12, s16
	s_wait_alu 0xfffd
	v_cndmask_b32_e32 v8, v9, v11, vcc_lo
	v_cmp_u_f32_e32 vcc_lo, v7, v7
	v_bfe_u32 v9, v5, 16, 1
	v_or_b32_e32 v11, 0x400000, v6
	s_wait_alu 0xfffe
	s_ashr_i32 s3, s2, 31
	s_ashr_i32 s7, s6, 31
	s_wait_alu 0xfffd
	v_cndmask_b32_e32 v7, v10, v12, vcc_lo
	v_add3_u32 v10, v13, v6, 0x7fff
	v_cmp_u_f32_e32 vcc_lo, v6, v6
	v_bfe_u32 v12, v4, 16, 1
	v_add3_u32 v9, v9, v5, 0x7fff
	v_or_b32_e32 v13, 0x400000, v5
	s_wait_alu 0xfffe
	s_lshl_b64 s[2:3], s[2:3], 1
	s_wait_alu 0xfffd
	v_cndmask_b32_e32 v6, v10, v11, vcc_lo
	v_cmp_u_f32_e32 vcc_lo, v5, v5
	v_add3_u32 v10, v12, v4, 0x7fff
	v_or_b32_e32 v11, 0x400000, v4
	v_bfe_u32 v12, v2, 16, 1
	s_lshl_b64 s[6:7], s[6:7], 1
	s_wait_alu 0xfffd
	v_cndmask_b32_e32 v5, v9, v13, vcc_lo
	v_bfe_u32 v9, v3, 16, 1
	v_cmp_u_f32_e32 vcc_lo, v4, v4
	v_add3_u32 v12, v12, v2, 0x7fff
	v_or_b32_e32 v13, 0x400000, v2
	s_wait_kmcnt 0x0
	s_wait_alu 0xfffe
	s_add_nc_u64 s[2:3], s[4:5], s[2:3]
	v_add3_u32 v9, v9, v3, 0x7fff
	s_wait_alu 0xfffd
	v_cndmask_b32_e32 v4, v10, v11, vcc_lo
	v_or_b32_e32 v11, 0x400000, v3
	v_cmp_u_f32_e32 vcc_lo, v3, v3
	v_bfe_u32 v10, v1, 16, 1
	v_lshrrev_b32_e32 v0, 1, v0
	v_or_b32_e32 v14, 0x400000, v1
	s_wait_alu 0xfffe
	s_add_nc_u64 s[2:3], s[2:3], s[6:7]
	s_wait_alu 0xfffd
	v_cndmask_b32_e32 v3, v9, v11, vcc_lo
	v_cmp_u_f32_e32 vcc_lo, v2, v2
	v_add3_u32 v10, v10, v1, 0x7fff
	s_lshl_b32 s0, s26, 7
	s_wait_alu 0xfffe
	s_add_nc_u64 s[0:1], s[2:3], s[0:1]
	s_wait_alu 0xfffd
	v_cndmask_b32_e32 v2, v12, v13, vcc_lo
	v_cmp_u_f32_e32 vcc_lo, v1, v1
	s_wait_alu 0xfffd
	v_cndmask_b32_e32 v1, v10, v14, vcc_lo
	s_clause 0x7
	global_store_d16_hi_b16 v0, v8, s[0:1]
	global_store_d16_hi_b16 v0, v7, s[0:1] offset:16
	global_store_d16_hi_b16 v0, v6, s[0:1] offset:32
	;; [unrolled: 1-line block ×7, first 2 shown]
.LBB359_74:
	s_nop 0
	s_sendmsg sendmsg(MSG_DEALLOC_VGPRS)
	s_endpgm
.LBB359_75:
	ds_load_b32 v11, v9
	s_wait_dscnt 0x0
	v_add_f32_e32 v8, v8, v11
	s_wait_alu 0xfffe
	s_or_b32 exec_lo, exec_lo, s0
	s_and_saveexec_b32 s0, vcc_lo
	s_cbranch_execz .LBB359_51
.LBB359_76:
	ds_load_b32 v11, v9 offset:32
	s_wait_dscnt 0x0
	v_add_f32_e32 v7, v7, v11
	s_wait_alu 0xfffe
	s_or_b32 exec_lo, exec_lo, s0
	s_and_saveexec_b32 s0, vcc_lo
	s_cbranch_execz .LBB359_52
.LBB359_77:
	ds_load_b32 v11, v9 offset:64
	s_wait_dscnt 0x0
	v_add_f32_e32 v6, v6, v11
	s_wait_alu 0xfffe
	s_or_b32 exec_lo, exec_lo, s0
	s_and_saveexec_b32 s0, vcc_lo
	s_cbranch_execz .LBB359_53
.LBB359_78:
	ds_load_b32 v11, v9 offset:96
	s_wait_dscnt 0x0
	v_add_f32_e32 v5, v5, v11
	s_wait_alu 0xfffe
	s_or_b32 exec_lo, exec_lo, s0
	s_and_saveexec_b32 s0, vcc_lo
	s_cbranch_execz .LBB359_54
.LBB359_79:
	ds_load_b32 v11, v9 offset:128
	s_wait_dscnt 0x0
	v_add_f32_e32 v4, v4, v11
	s_wait_alu 0xfffe
	s_or_b32 exec_lo, exec_lo, s0
	s_and_saveexec_b32 s0, vcc_lo
	s_cbranch_execz .LBB359_55
.LBB359_80:
	ds_load_b32 v11, v9 offset:160
	s_wait_dscnt 0x0
	v_add_f32_e32 v3, v3, v11
	s_wait_alu 0xfffe
	s_or_b32 exec_lo, exec_lo, s0
	s_and_saveexec_b32 s0, vcc_lo
	s_cbranch_execz .LBB359_56
.LBB359_81:
	ds_load_b32 v11, v9 offset:192
	s_wait_dscnt 0x0
	v_add_f32_e32 v2, v2, v11
	s_wait_alu 0xfffe
	s_or_b32 exec_lo, exec_lo, s0
	s_and_saveexec_b32 s0, vcc_lo
	s_cbranch_execnz .LBB359_57
	s_branch .LBB359_58
.LBB359_82:
	ds_load_b32 v10, v9
	s_wait_dscnt 0x0
	v_add_f32_e32 v8, v8, v10
	s_wait_alu 0xfffe
	s_or_b32 exec_lo, exec_lo, s0
	s_and_saveexec_b32 s0, vcc_lo
	s_cbranch_execz .LBB359_64
.LBB359_83:
	ds_load_b32 v10, v9 offset:32
	s_wait_dscnt 0x0
	v_add_f32_e32 v7, v7, v10
	s_wait_alu 0xfffe
	s_or_b32 exec_lo, exec_lo, s0
	s_and_saveexec_b32 s0, vcc_lo
	s_cbranch_execz .LBB359_65
.LBB359_84:
	ds_load_b32 v10, v9 offset:64
	s_wait_dscnt 0x0
	v_add_f32_e32 v6, v6, v10
	s_wait_alu 0xfffe
	s_or_b32 exec_lo, exec_lo, s0
	s_and_saveexec_b32 s0, vcc_lo
	s_cbranch_execz .LBB359_66
.LBB359_85:
	ds_load_b32 v10, v9 offset:96
	s_wait_dscnt 0x0
	v_add_f32_e32 v5, v5, v10
	s_wait_alu 0xfffe
	s_or_b32 exec_lo, exec_lo, s0
	s_and_saveexec_b32 s0, vcc_lo
	s_cbranch_execz .LBB359_67
.LBB359_86:
	ds_load_b32 v10, v9 offset:128
	s_wait_dscnt 0x0
	v_add_f32_e32 v4, v4, v10
	s_wait_alu 0xfffe
	s_or_b32 exec_lo, exec_lo, s0
	s_and_saveexec_b32 s0, vcc_lo
	s_cbranch_execz .LBB359_68
.LBB359_87:
	ds_load_b32 v10, v9 offset:160
	s_wait_dscnt 0x0
	v_add_f32_e32 v3, v3, v10
	s_wait_alu 0xfffe
	s_or_b32 exec_lo, exec_lo, s0
	s_and_saveexec_b32 s0, vcc_lo
	s_cbranch_execz .LBB359_69
.LBB359_88:
	ds_load_b32 v10, v9 offset:192
	s_wait_dscnt 0x0
	v_add_f32_e32 v2, v2, v10
	s_wait_alu 0xfffe
	s_or_b32 exec_lo, exec_lo, s0
	s_and_saveexec_b32 s0, vcc_lo
	s_cbranch_execnz .LBB359_70
	s_branch .LBB359_71
	.section	.rodata,"a",@progbits
	.p2align	6, 0x0
	.amdhsa_kernel _ZN4vllm25paged_attention_v2_kernelI14__hip_bfloat16hLi64ELi32ELi128ELNS_18Fp8KVCacheDataTypeE1ELb0ELi512EEEvPfS3_PT_PKS4_PKT0_SA_ifPKiSC_iPKfiiiSE_SE_iiiii
		.amdhsa_group_segment_fixed_size 160
		.amdhsa_private_segment_fixed_size 0
		.amdhsa_kernarg_size 400
		.amdhsa_user_sgpr_count 2
		.amdhsa_user_sgpr_dispatch_ptr 0
		.amdhsa_user_sgpr_queue_ptr 0
		.amdhsa_user_sgpr_kernarg_segment_ptr 1
		.amdhsa_user_sgpr_dispatch_id 0
		.amdhsa_user_sgpr_private_segment_size 0
		.amdhsa_wavefront_size32 1
		.amdhsa_uses_dynamic_stack 0
		.amdhsa_enable_private_segment 0
		.amdhsa_system_sgpr_workgroup_id_x 1
		.amdhsa_system_sgpr_workgroup_id_y 1
		.amdhsa_system_sgpr_workgroup_id_z 1
		.amdhsa_system_sgpr_workgroup_info 0
		.amdhsa_system_vgpr_workitem_id 0
		.amdhsa_next_free_vgpr 145
		.amdhsa_next_free_sgpr 38
		.amdhsa_reserve_vcc 1
		.amdhsa_float_round_mode_32 0
		.amdhsa_float_round_mode_16_64 0
		.amdhsa_float_denorm_mode_32 3
		.amdhsa_float_denorm_mode_16_64 3
		.amdhsa_fp16_overflow 0
		.amdhsa_workgroup_processor_mode 1
		.amdhsa_memory_ordered 1
		.amdhsa_forward_progress 1
		.amdhsa_inst_pref_size 163
		.amdhsa_round_robin_scheduling 0
		.amdhsa_exception_fp_ieee_invalid_op 0
		.amdhsa_exception_fp_denorm_src 0
		.amdhsa_exception_fp_ieee_div_zero 0
		.amdhsa_exception_fp_ieee_overflow 0
		.amdhsa_exception_fp_ieee_underflow 0
		.amdhsa_exception_fp_ieee_inexact 0
		.amdhsa_exception_int_div_zero 0
	.end_amdhsa_kernel
	.section	.text._ZN4vllm25paged_attention_v2_kernelI14__hip_bfloat16hLi64ELi32ELi128ELNS_18Fp8KVCacheDataTypeE1ELb0ELi512EEEvPfS3_PT_PKS4_PKT0_SA_ifPKiSC_iPKfiiiSE_SE_iiiii,"axG",@progbits,_ZN4vllm25paged_attention_v2_kernelI14__hip_bfloat16hLi64ELi32ELi128ELNS_18Fp8KVCacheDataTypeE1ELb0ELi512EEEvPfS3_PT_PKS4_PKT0_SA_ifPKiSC_iPKfiiiSE_SE_iiiii,comdat
.Lfunc_end359:
	.size	_ZN4vllm25paged_attention_v2_kernelI14__hip_bfloat16hLi64ELi32ELi128ELNS_18Fp8KVCacheDataTypeE1ELb0ELi512EEEvPfS3_PT_PKS4_PKT0_SA_ifPKiSC_iPKfiiiSE_SE_iiiii, .Lfunc_end359-_ZN4vllm25paged_attention_v2_kernelI14__hip_bfloat16hLi64ELi32ELi128ELNS_18Fp8KVCacheDataTypeE1ELb0ELi512EEEvPfS3_PT_PKS4_PKT0_SA_ifPKiSC_iPKfiiiSE_SE_iiiii
                                        ; -- End function
	.set _ZN4vllm25paged_attention_v2_kernelI14__hip_bfloat16hLi64ELi32ELi128ELNS_18Fp8KVCacheDataTypeE1ELb0ELi512EEEvPfS3_PT_PKS4_PKT0_SA_ifPKiSC_iPKfiiiSE_SE_iiiii.num_vgpr, 145
	.set _ZN4vllm25paged_attention_v2_kernelI14__hip_bfloat16hLi64ELi32ELi128ELNS_18Fp8KVCacheDataTypeE1ELb0ELi512EEEvPfS3_PT_PKS4_PKT0_SA_ifPKiSC_iPKfiiiSE_SE_iiiii.num_agpr, 0
	.set _ZN4vllm25paged_attention_v2_kernelI14__hip_bfloat16hLi64ELi32ELi128ELNS_18Fp8KVCacheDataTypeE1ELb0ELi512EEEvPfS3_PT_PKS4_PKT0_SA_ifPKiSC_iPKfiiiSE_SE_iiiii.numbered_sgpr, 38
	.set _ZN4vllm25paged_attention_v2_kernelI14__hip_bfloat16hLi64ELi32ELi128ELNS_18Fp8KVCacheDataTypeE1ELb0ELi512EEEvPfS3_PT_PKS4_PKT0_SA_ifPKiSC_iPKfiiiSE_SE_iiiii.num_named_barrier, 0
	.set _ZN4vllm25paged_attention_v2_kernelI14__hip_bfloat16hLi64ELi32ELi128ELNS_18Fp8KVCacheDataTypeE1ELb0ELi512EEEvPfS3_PT_PKS4_PKT0_SA_ifPKiSC_iPKfiiiSE_SE_iiiii.private_seg_size, 0
	.set _ZN4vllm25paged_attention_v2_kernelI14__hip_bfloat16hLi64ELi32ELi128ELNS_18Fp8KVCacheDataTypeE1ELb0ELi512EEEvPfS3_PT_PKS4_PKT0_SA_ifPKiSC_iPKfiiiSE_SE_iiiii.uses_vcc, 1
	.set _ZN4vllm25paged_attention_v2_kernelI14__hip_bfloat16hLi64ELi32ELi128ELNS_18Fp8KVCacheDataTypeE1ELb0ELi512EEEvPfS3_PT_PKS4_PKT0_SA_ifPKiSC_iPKfiiiSE_SE_iiiii.uses_flat_scratch, 0
	.set _ZN4vllm25paged_attention_v2_kernelI14__hip_bfloat16hLi64ELi32ELi128ELNS_18Fp8KVCacheDataTypeE1ELb0ELi512EEEvPfS3_PT_PKS4_PKT0_SA_ifPKiSC_iPKfiiiSE_SE_iiiii.has_dyn_sized_stack, 0
	.set _ZN4vllm25paged_attention_v2_kernelI14__hip_bfloat16hLi64ELi32ELi128ELNS_18Fp8KVCacheDataTypeE1ELb0ELi512EEEvPfS3_PT_PKS4_PKT0_SA_ifPKiSC_iPKfiiiSE_SE_iiiii.has_recursion, 0
	.set _ZN4vllm25paged_attention_v2_kernelI14__hip_bfloat16hLi64ELi32ELi128ELNS_18Fp8KVCacheDataTypeE1ELb0ELi512EEEvPfS3_PT_PKS4_PKT0_SA_ifPKiSC_iPKfiiiSE_SE_iiiii.has_indirect_call, 0
	.section	.AMDGPU.csdata,"",@progbits
; Kernel info:
; codeLenInByte = 20776
; TotalNumSgprs: 40
; NumVgprs: 145
; ScratchSize: 0
; MemoryBound: 0
; FloatMode: 240
; IeeeMode: 1
; LDSByteSize: 160 bytes/workgroup (compile time only)
; SGPRBlocks: 0
; VGPRBlocks: 18
; NumSGPRsForWavesPerEU: 40
; NumVGPRsForWavesPerEU: 145
; Occupancy: 9
; WaveLimiterHint : 1
; COMPUTE_PGM_RSRC2:SCRATCH_EN: 0
; COMPUTE_PGM_RSRC2:USER_SGPR: 2
; COMPUTE_PGM_RSRC2:TRAP_HANDLER: 0
; COMPUTE_PGM_RSRC2:TGID_X_EN: 1
; COMPUTE_PGM_RSRC2:TGID_Y_EN: 1
; COMPUTE_PGM_RSRC2:TGID_Z_EN: 1
; COMPUTE_PGM_RSRC2:TIDIG_COMP_CNT: 0
	.section	.text._ZN4vllm25paged_attention_v2_kernelI14__hip_bfloat16hLi80ELi32ELi128ELNS_18Fp8KVCacheDataTypeE1ELb0ELi512EEEvPfS3_PT_PKS4_PKT0_SA_ifPKiSC_iPKfiiiSE_SE_iiiii,"axG",@progbits,_ZN4vllm25paged_attention_v2_kernelI14__hip_bfloat16hLi80ELi32ELi128ELNS_18Fp8KVCacheDataTypeE1ELb0ELi512EEEvPfS3_PT_PKS4_PKT0_SA_ifPKiSC_iPKfiiiSE_SE_iiiii,comdat
	.protected	_ZN4vllm25paged_attention_v2_kernelI14__hip_bfloat16hLi80ELi32ELi128ELNS_18Fp8KVCacheDataTypeE1ELb0ELi512EEEvPfS3_PT_PKS4_PKT0_SA_ifPKiSC_iPKfiiiSE_SE_iiiii ; -- Begin function _ZN4vllm25paged_attention_v2_kernelI14__hip_bfloat16hLi80ELi32ELi128ELNS_18Fp8KVCacheDataTypeE1ELb0ELi512EEEvPfS3_PT_PKS4_PKT0_SA_ifPKiSC_iPKfiiiSE_SE_iiiii
	.globl	_ZN4vllm25paged_attention_v2_kernelI14__hip_bfloat16hLi80ELi32ELi128ELNS_18Fp8KVCacheDataTypeE1ELb0ELi512EEEvPfS3_PT_PKS4_PKT0_SA_ifPKiSC_iPKfiiiSE_SE_iiiii
	.p2align	8
	.type	_ZN4vllm25paged_attention_v2_kernelI14__hip_bfloat16hLi80ELi32ELi128ELNS_18Fp8KVCacheDataTypeE1ELb0ELi512EEEvPfS3_PT_PKS4_PKT0_SA_ifPKiSC_iPKfiiiSE_SE_iiiii,@function
_ZN4vllm25paged_attention_v2_kernelI14__hip_bfloat16hLi80ELi32ELi128ELNS_18Fp8KVCacheDataTypeE1ELb0ELi512EEEvPfS3_PT_PKS4_PKT0_SA_ifPKiSC_iPKfiiiSE_SE_iiiii: ; @_ZN4vllm25paged_attention_v2_kernelI14__hip_bfloat16hLi80ELi32ELi128ELNS_18Fp8KVCacheDataTypeE1ELb0ELi512EEEvPfS3_PT_PKS4_PKT0_SA_ifPKiSC_iPKfiiiSE_SE_iiiii
; %bb.0:
	s_load_b64 s[2:3], s[0:1], 0x40
	s_and_b32 s15, ttmp7, 0xffff
	s_lshr_b32 s26, ttmp7, 16
	s_lshl_b32 s4, s15, 2
	s_lshl_b32 s28, s26, 9
	s_wait_kmcnt 0x0
	s_load_b32 s27, s[2:3], s4 offset:0x0
	s_wait_kmcnt 0x0
	s_cmp_ge_i32 s28, s27
	s_cbranch_scc1 .LBB360_82
; %bb.1:
	s_clause 0x1
	s_load_b32 s29, s[0:1], 0x90
	s_load_b64 s[8:9], s[0:1], 0x30
	s_wait_kmcnt 0x0
	s_abs_i32 s5, s29
	s_abs_i32 s2, s8
	s_delay_alu instid0(SALU_CYCLE_1) | instskip(SKIP_1) | instid1(SALU_CYCLE_2)
	s_cvt_f32_u32 s3, s2
	s_sub_co_i32 s4, 0, s2
	v_rcp_iflag_f32_e32 v1, s3
	s_delay_alu instid0(TRANS32_DEP_1) | instskip(SKIP_2) | instid1(SALU_CYCLE_2)
	v_readfirstlane_b32 s3, v1
	s_mul_f32 s3, s3, 0x4f7ffffe
	s_wait_alu 0xfffe
	s_cvt_u32_f32 s3, s3
	s_wait_alu 0xfffe
	s_delay_alu instid0(SALU_CYCLE_2) | instskip(NEXT) | instid1(SALU_CYCLE_1)
	s_mul_i32 s4, s4, s3
	s_mul_hi_u32 s4, s3, s4
	s_delay_alu instid0(SALU_CYCLE_1)
	s_add_co_i32 s3, s3, s4
	s_xor_b32 s4, s29, s8
	s_wait_alu 0xfffe
	s_mul_hi_u32 s3, s5, s3
	s_ashr_i32 s4, s4, 31
	s_wait_alu 0xfffe
	s_mul_i32 s6, s3, s2
	s_delay_alu instid0(SALU_CYCLE_1)
	s_sub_co_i32 s5, s5, s6
	s_add_co_i32 s6, s3, 1
	s_sub_co_i32 s7, s5, s2
	s_cmp_ge_u32 s5, s2
	s_cselect_b32 s3, s6, s3
	s_cselect_b32 s5, s7, s5
	s_wait_alu 0xfffe
	s_add_co_i32 s6, s3, 1
	s_cmp_ge_u32 s5, s2
	s_cselect_b32 s2, s6, s3
	s_load_b64 s[6:7], s[0:1], 0x50
	s_xor_b32 s2, s2, s4
	s_mov_b32 s3, 0
	s_wait_alu 0xfffe
	s_sub_co_i32 s11, s2, s4
	s_mov_b32 s8, s3
	s_abs_i32 s10, s11
	s_delay_alu instid0(SALU_CYCLE_1) | instskip(SKIP_1) | instid1(SALU_CYCLE_2)
	s_cvt_f32_u32 s2, s10
	s_wait_alu 0xfffe
	v_rcp_iflag_f32_e32 v1, s2
	s_delay_alu instid0(TRANS32_DEP_1) | instskip(SKIP_2) | instid1(SALU_CYCLE_2)
	v_readfirstlane_b32 s2, v1
	s_mul_f32 s2, s2, 0x4f7ffffe
	s_wait_alu 0xfffe
	s_cvt_u32_f32 s4, s2
	s_sub_co_i32 s2, 0, s10
	s_wait_alu 0xfffe
	s_delay_alu instid0(SALU_CYCLE_1)
	s_mul_i32 s2, s2, s4
	s_wait_alu 0xfffe
	s_mul_hi_u32 s5, s4, s2
	s_abs_i32 s2, ttmp9
	s_add_co_i32 s4, s4, s5
	s_mov_b32 s5, s3
	s_wait_kmcnt 0x0
	s_cmp_eq_u64 s[6:7], 0
	s_cbranch_scc1 .LBB360_3
; %bb.2:
	s_mov_b32 s12, ttmp9
	s_ashr_i32 s13, ttmp9, 31
	s_delay_alu instid0(SALU_CYCLE_1) | instskip(NEXT) | instid1(SALU_CYCLE_1)
	s_lshl_b64 s[12:13], s[12:13], 2
	s_add_nc_u64 s[6:7], s[6:7], s[12:13]
	s_load_b32 s8, s[6:7], 0x0
.LBB360_3:
	s_load_b96 s[12:14], s[0:1], 0x58
	s_mul_u64 s[4:5], s[2:3], s[4:5]
	s_ashr_i32 s3, ttmp9, 31
	s_ashr_i32 s4, s11, 31
	s_mul_i32 s16, ttmp9, 0x50
	s_mov_b32 s6, exec_lo
	v_cmpx_gt_u32_e32 10, v0
	s_cbranch_execz .LBB360_5
; %bb.4:
	s_load_b64 s[18:19], s[0:1], 0x18
	s_wait_kmcnt 0x0
	s_mul_i32 s20, s12, s15
	s_ashr_i32 s17, s16, 31
	s_ashr_i32 s21, s20, 31
	v_lshlrev_b32_e32 v5, 4, v0
	s_lshl_b64 s[20:21], s[20:21], 1
	s_delay_alu instid0(SALU_CYCLE_1) | instskip(SKIP_1) | instid1(SALU_CYCLE_1)
	s_add_nc_u64 s[18:19], s[18:19], s[20:21]
	s_lshl_b64 s[20:21], s[16:17], 1
	s_add_nc_u64 s[18:19], s[18:19], s[20:21]
	global_load_b128 v[1:4], v5, s[18:19]
	s_wait_loadcnt 0x0
	ds_store_b128 v5, v[1:4]
.LBB360_5:
	s_or_b32 exec_lo, exec_lo, s6
	s_add_co_i32 s6, s27, 31
	s_lshl_b32 s31, s26, 4
	s_ashr_i32 s7, s6, 31
	s_wait_alu 0xfffe
	s_xor_b32 s3, s3, s4
	s_lshr_b32 s7, s7, 27
	s_add_co_i32 s4, s31, 16
	s_add_co_i32 s6, s6, s7
	s_clause 0x1
	s_load_b64 s[18:19], s[0:1], 0x38
	s_load_b32 s11, s[0:1], 0x48
	s_ashr_i32 s30, s6, 5
	s_mul_i32 s6, s5, s10
	s_min_i32 s17, s4, s30
	s_sub_co_i32 s2, s2, s6
	s_add_co_i32 s4, s5, 1
	s_wait_alu 0xfffe
	s_sub_co_i32 s6, s2, s10
	s_cmp_ge_u32 s2, s10
	v_lshrrev_b32_e32 v15, 5, v0
	s_cselect_b32 s20, s4, s5
	s_cselect_b32 s2, s6, s2
	s_wait_kmcnt 0x0
	s_clause 0x1
	s_load_b32 s12, s[0:1], 0x98
	s_load_b128 s[4:7], s[0:1], 0x68
	s_add_co_i32 s21, s20, 1
	s_cmp_ge_u32 s2, s10
	v_and_b32_e32 v16, 31, v0
	v_dual_mov_b32 v78, 0xff7fffff :: v_dual_add_nc_u32 v17, s31, v15
	s_cselect_b32 s2, s21, s20
	s_wait_dscnt 0x0
	s_wait_alu 0xfffe
	s_xor_b32 s2, s2, s3
	v_lshlrev_b32_e32 v8, 2, v16
	s_wait_alu 0xfffe
	s_sub_co_i32 s3, s2, s3
	v_cmp_gt_i32_e64 s2, s17, v17
	v_lshlrev_b32_e32 v7, 2, v17
	s_mul_i32 s20, s11, s15
	s_wait_alu 0xfffe
	s_mul_i32 s22, s3, s14
	s_ashr_i32 s21, s20, 31
	s_barrier_signal -1
	s_barrier_wait -1
	global_inv scope:SCOPE_SE
	s_and_saveexec_b32 s10, s2
	s_cbranch_execz .LBB360_9
; %bb.6:
	v_dual_mov_b32 v68, 0 :: v_dual_lshlrev_b32 v1, 4, v16
	s_load_b64 s[24:25], s[0:1], 0x20
	s_ashr_i32 s23, s22, 31
	s_cmp_neq_f32 s8, 0
	ds_load_b128 v[3:6], v68
	ds_load_b128 v[24:27], v68 offset:16
	ds_load_b128 v[32:35], v68 offset:32
	;; [unrolled: 1-line block ×5, first 2 shown]
	s_wait_kmcnt 0x0
	s_load_b32 s5, s[4:5], 0x0
	s_cselect_b32 vcc_lo, -1, 0
	s_mov_b32 s14, s13
	s_mov_b32 s11, 0
	ds_load_b128 v[56:59], v68 offset:80
	v_dual_mov_b32 v78, 0xff7fffff :: v_dual_mov_b32 v95, v17
	ds_load_b128 v[89:92], v68 offset:144
	s_add_nc_u64 s[24:25], s[24:25], s[22:23]
	s_sub_co_i32 s23, 1, s27
	s_wait_dscnt 0x7
	v_lshlrev_b32_e32 v9, 16, v3
	v_and_b32_e32 v10, 0xffff0000, v3
	v_lshlrev_b32_e32 v11, 16, v4
	v_and_b32_e32 v12, 0xffff0000, v4
	;; [unrolled: 2-line block ×4, first 2 shown]
	ds_load_b128 v[3:6], v68 offset:64
	v_add_co_u32 v1, s3, s24, v1
	s_wait_alu 0xf1ff
	v_add_co_ci_u32_e64 v2, null, s25, 0, s3
	s_lshl_b64 s[24:25], s[20:21], 2
	s_wait_dscnt 0x7
	v_lshlrev_b32_e32 v20, 16, v24
	s_wait_alu 0xfffe
	s_add_nc_u64 s[24:25], s[18:19], s[24:25]
	v_and_b32_e32 v21, 0xffff0000, v24
	v_lshlrev_b32_e32 v22, 16, v25
	v_and_b32_e32 v23, 0xffff0000, v25
	v_lshlrev_b32_e32 v24, 16, v26
	;; [unrolled: 2-line block ×3, first 2 shown]
	v_and_b32_e32 v27, 0xffff0000, v27
	s_wait_dscnt 0x6
	v_lshlrev_b32_e32 v28, 16, v32
	v_and_b32_e32 v29, 0xffff0000, v32
	v_lshlrev_b32_e32 v30, 16, v33
	v_and_b32_e32 v31, 0xffff0000, v33
	v_lshlrev_b32_e32 v32, 16, v34
	s_wait_dscnt 0x0
	v_lshlrev_b32_e32 v44, 16, v3
	v_and_b32_e32 v45, 0xffff0000, v3
	v_lshlrev_b32_e32 v46, 16, v4
	v_and_b32_e32 v47, 0xffff0000, v4
	v_lshlrev_b32_e32 v48, 16, v5
	v_and_b32_e32 v49, 0xffff0000, v5
	v_lshlrev_b32_e32 v50, 16, v6
	v_and_b32_e32 v51, 0xffff0000, v6
	ds_load_b128 v[3:6], v68 offset:128
	v_and_b32_e32 v33, 0xffff0000, v34
	v_lshlrev_b32_e32 v34, 16, v35
	v_and_b32_e32 v35, 0xffff0000, v35
	v_lshlrev_b32_e32 v36, 16, v40
	;; [unrolled: 2-line block ×9, first 2 shown]
	v_and_b32_e32 v59, 0xffff0000, v59
	s_wait_dscnt 0x0
	v_lshlrev_b32_e32 v76, 16, v3
	v_and_b32_e32 v77, 0xffff0000, v3
	v_lshlrev_b32_e32 v3, 5, v15
	v_lshlrev_b32_e32 v79, 16, v4
	v_and_b32_e32 v80, 0xffff0000, v4
	v_lshl_or_b32 v4, v15, 7, v8
	v_lshlrev_b32_e32 v60, 16, v64
	v_add3_u32 v93, s28, v3, v16
	s_wait_alu 0xfffe
	v_add_co_u32 v3, s3, s24, v7
	v_and_b32_e32 v61, 0xffff0000, v64
	v_lshlrev_b32_e32 v62, 16, v65
	v_and_b32_e32 v63, 0xffff0000, v65
	v_lshlrev_b32_e32 v64, 16, v66
	;; [unrolled: 2-line block ×13, first 2 shown]
	v_and_b32_e32 v92, 0xffff0000, v92
	v_add_nc_u32_e32 v94, 0xc0, v4
	s_wait_alu 0xf1ff
	v_add_co_ci_u32_e64 v4, null, s25, 0, s3
.LBB360_7:                              ; =>This Inner Loop Header: Depth=1
	global_load_b32 v5, v[3:4], off
	v_add_nc_u32_e32 v95, 4, v95
	s_delay_alu instid0(VALU_DEP_1)
	v_cmp_le_i32_e64 s4, s17, v95
	s_or_b32 s11, s4, s11
	s_wait_loadcnt 0x0
	v_mad_co_i64_i32 v[5:6], null, v5, s14, v[1:2]
	s_clause 0x4
	global_load_b128 v[112:115], v[5:6], off
	global_load_b128 v[124:127], v[5:6], off offset:512
	global_load_b128 v[145:148], v[5:6], off offset:1024
	;; [unrolled: 1-line block ×4, first 2 shown]
	s_wait_loadcnt 0x4
	v_and_b32_e32 v111, 0xff, v112
	v_bfe_u32 v110, v112, 8, 8
	v_bfe_u32 v98, v112, 16, 8
	v_lshrrev_b32_e32 v99, 24, v112
	v_bfe_u32 v101, v113, 8, 8
	v_cvt_f32_fp8_e32 v5, v111
	s_wait_loadcnt 0x3
	v_and_b32_e32 v112, 0xff, v124
	v_cvt_f32_fp8_e32 v98, v98
	v_and_b32_e32 v105, 0xff, v115
	v_cvt_f32_fp8_e32 v99, v99
	s_wait_kmcnt 0x0
	v_mul_f32_e32 v5, s5, v5
	v_and_b32_e32 v100, 0xff, v113
	v_mul_f32_e32 v98, s5, v98
	v_cvt_f32_fp8_e32 v101, v101
	v_mul_f32_e32 v99, s5, v99
	v_bfe_u32 v6, v5, 16, 1
	v_cmp_u_f32_e64 s3, v5, v5
	v_cvt_f32_fp8_e32 v100, v100
	v_and_b32_e32 v109, 0xff, v114
	v_bfe_u32 v103, v113, 16, 8
	v_add3_u32 v6, v6, v5, 0x7fff
	v_or_b32_e32 v5, 0x400000, v5
	v_mul_f32_e32 v100, s5, v100
	v_dual_mul_f32 v101, s5, v101 :: v_dual_and_b32 v120, 0xff, v126
	v_cvt_f32_fp8_e32 v103, v103
	s_wait_alu 0xf1ff
	v_cndmask_b32_e64 v5, v6, v5, s3
	v_cvt_f32_fp8_e32 v6, v110
	v_lshrrev_b32_e32 v104, 24, v113
	v_dual_mul_f32 v103, s5, v103 :: v_dual_and_b32 v116, 0xff, v125
	v_cvt_f32_fp8_e32 v109, v109
	s_delay_alu instid0(VALU_DEP_4) | instskip(NEXT) | instid1(VALU_DEP_4)
	v_mul_f32_e32 v6, s5, v6
	v_cvt_f32_fp8_e32 v104, v104
	s_wait_loadcnt 0x2
	v_and_b32_e32 v131, 0xff, v146
	v_bfe_u32 v108, v114, 8, 8
	v_bfe_u32 v107, v114, 16, 8
	;; [unrolled: 1-line block ×3, first 2 shown]
	v_cmp_u_f32_e64 s3, v6, v6
	v_mul_f32_e32 v104, s5, v104
	v_lshrrev_b32_e32 v106, 24, v114
	v_bfe_u32 v102, v115, 8, 8
	v_add3_u32 v110, v110, v6, 0x7fff
	v_or_b32_e32 v6, 0x400000, v6
	v_bfe_u32 v97, v115, 16, 8
	v_lshrrev_b32_e32 v96, 24, v115
	v_bfe_u32 v113, v124, 8, 8
	v_bfe_u32 v114, v124, 16, 8
	s_wait_alu 0xf1ff
	v_cndmask_b32_e64 v6, v110, v6, s3
	v_bfe_u32 v110, v98, 16, 1
	v_cmp_u_f32_e64 s3, v98, v98
	v_lshrrev_b32_e32 v115, 24, v124
	v_dual_mul_f32 v109, s5, v109 :: v_dual_and_b32 v124, 0xff, v127
	s_delay_alu instid0(VALU_DEP_4)
	v_add3_u32 v110, v110, v98, 0x7fff
	v_or_b32_e32 v98, 0x400000, v98
	v_cvt_f32_fp8_e32 v108, v108
	v_and_b32_e32 v137, 0xff, v147
	v_cvt_f32_fp8_e32 v107, v107
	v_and_b32_e32 v144, 0xff, v145
	s_wait_alu 0xf1ff
	v_cndmask_b32_e64 v98, v110, v98, s3
	v_bfe_u32 v110, v99, 16, 1
	v_cmp_u_f32_e64 s3, v99, v99
	v_dual_mul_f32 v108, s5, v108 :: v_dual_mul_f32 v107, s5, v107
	v_cvt_f32_fp8_e32 v106, v106
	s_delay_alu instid0(VALU_DEP_4)
	v_add3_u32 v110, v110, v99, 0x7fff
	v_or_b32_e32 v99, 0x400000, v99
	v_and_b32_e32 v141, 0xff, v148
	v_cvt_f32_fp8_e32 v105, v105
	v_mul_f32_e32 v106, s5, v106
	v_cvt_f32_fp8_e32 v102, v102
	s_wait_alu 0xf1ff
	v_cndmask_b32_e64 v99, v110, v99, s3
	v_bfe_u32 v110, v100, 16, 1
	v_cmp_u_f32_e64 s3, v100, v100
	v_mul_f32_e32 v105, s5, v105
	v_bfe_u32 v128, v145, 8, 8
	v_bfe_u32 v129, v145, 16, 8
	v_add3_u32 v110, v110, v100, 0x7fff
	v_or_b32_e32 v100, 0x400000, v100
	v_lshrrev_b32_e32 v130, 24, v145
	s_wait_loadcnt 0x1
	v_dual_mul_f32 v102, s5, v102 :: v_dual_and_b32 v145, 0xff, v157
	v_cvt_f32_fp8_e32 v97, v97
	s_wait_alu 0xf1ff
	v_cndmask_b32_e64 v100, v110, v100, s3
	v_bfe_u32 v110, v101, 16, 1
	v_cmp_u_f32_e64 s3, v101, v101
	v_cvt_f32_fp8_e32 v96, v96
	v_mul_f32_e32 v97, s5, v97
	v_and_b32_e32 v149, 0xff, v158
	v_add3_u32 v110, v110, v101, 0x7fff
	v_or_b32_e32 v101, 0x400000, v101
	v_mul_f32_e32 v96, s5, v96
	v_cvt_f32_fp8_e32 v128, v128
	v_bfe_u32 v132, v146, 8, 8
	v_bfe_u32 v134, v146, 16, 8
	s_wait_alu 0xf1ff
	v_cndmask_b32_e64 v101, v110, v101, s3
	v_bfe_u32 v110, v103, 16, 1
	v_cmp_u_f32_e64 s3, v103, v103
	v_lshrrev_b32_e32 v135, 24, v146
	v_bfe_u32 v138, v147, 8, 8
	v_bfe_u32 v140, v147, 16, 8
	v_add3_u32 v110, v110, v103, 0x7fff
	v_or_b32_e32 v103, 0x400000, v103
	v_lshrrev_b32_e32 v142, 24, v147
	v_bfe_u32 v139, v148, 8, 8
	v_bfe_u32 v136, v148, 16, 8
	v_lshrrev_b32_e32 v133, 24, v148
	s_wait_alu 0xf1ff
	v_cndmask_b32_e64 v103, v110, v103, s3
	v_bfe_u32 v110, v104, 16, 1
	v_cmp_u_f32_e64 s3, v104, v104
	v_bfe_u32 v146, v157, 8, 8
	v_bfe_u32 v147, v157, 16, 8
	v_lshrrev_b32_e32 v148, 24, v157
	v_add3_u32 v110, v110, v104, 0x7fff
	v_or_b32_e32 v104, 0x400000, v104
	v_bfe_u32 v117, v125, 8, 8
	v_cvt_f32_fp8_e32 v130, v130
	v_bfe_u32 v118, v125, 16, 8
	v_lshrrev_b32_e32 v119, 24, v125
	s_wait_alu 0xf1ff
	v_cndmask_b32_e64 v104, v110, v104, s3
	v_bfe_u32 v110, v109, 16, 1
	v_cmp_u_f32_e64 s3, v109, v109
	v_cvt_f32_fp8_e32 v132, v132
	v_bfe_u32 v121, v126, 8, 8
	v_cvt_f32_fp8_e32 v134, v134
	v_add3_u32 v110, v110, v109, 0x7fff
	v_or_b32_e32 v109, 0x400000, v109
	v_bfe_u32 v122, v126, 16, 8
	v_lshrrev_b32_e32 v123, 24, v126
	v_cvt_f32_fp8_e32 v138, v138
	s_wait_loadcnt 0x0
	v_bfe_u32 v162, v173, 8, 8
	s_wait_alu 0xf1ff
	v_cndmask_b32_e64 v109, v110, v109, s3
	v_bfe_u32 v110, v108, 16, 1
	v_cmp_u_f32_e64 s3, v108, v108
	v_bfe_u32 v163, v173, 16, 8
	v_lshrrev_b32_e32 v164, 24, v173
	v_bfe_u32 v125, v127, 8, 8
	v_add3_u32 v110, v110, v108, 0x7fff
	v_or_b32_e32 v108, 0x400000, v108
	v_cvt_f32_fp8_e32 v140, v140
	v_bfe_u32 v126, v127, 16, 8
	v_lshrrev_b32_e32 v143, 24, v127
	v_cvt_f32_fp8_e32 v142, v142
	s_wait_alu 0xf1ff
	v_cndmask_b32_e64 v108, v110, v108, s3
	v_bfe_u32 v110, v107, 16, 1
	v_cmp_u_f32_e64 s3, v107, v107
	v_cvt_f32_fp8_e32 v129, v129
	v_cvt_f32_fp8_e32 v136, v136
	;; [unrolled: 1-line block ×3, first 2 shown]
	v_add3_u32 v110, v110, v107, 0x7fff
	v_or_b32_e32 v107, 0x400000, v107
	s_delay_alu instid0(VALU_DEP_4) | instskip(NEXT) | instid1(VALU_DEP_4)
	v_dual_mul_f32 v129, s5, v129 :: v_dual_mul_f32 v136, s5, v136
	v_mul_f32_e32 v131, s5, v131
	v_cvt_f32_fp8_e32 v135, v135
	s_wait_alu 0xf1ff
	v_cndmask_b32_e64 v107, v110, v107, s3
	v_bfe_u32 v110, v106, 16, 1
	v_cmp_u_f32_e64 s3, v106, v106
	v_cvt_f32_fp8_e32 v137, v137
	v_mul_f32_e32 v135, s5, v135
	v_cvt_f32_fp8_e32 v141, v141
	v_add3_u32 v110, v110, v106, 0x7fff
	v_or_b32_e32 v106, 0x400000, v106
	v_mul_f32_e32 v137, s5, v137
	v_cvt_f32_fp8_e32 v139, v139
	v_mul_f32_e32 v141, s5, v141
	v_cvt_f32_fp8_e32 v133, v133
	s_wait_alu 0xf1ff
	v_cndmask_b32_e64 v106, v110, v106, s3
	v_bfe_u32 v110, v105, 16, 1
	v_cmp_u_f32_e64 s3, v105, v105
	v_mul_f32_e32 v139, s5, v139
	v_mul_f32_e32 v133, s5, v133
	v_bfe_u32 v150, v158, 8, 8
	v_add3_u32 v110, v110, v105, 0x7fff
	v_or_b32_e32 v105, 0x400000, v105
	v_bfe_u32 v151, v158, 16, 8
	v_lshrrev_b32_e32 v152, 24, v158
	v_bfe_u32 v154, v159, 8, 8
	v_bfe_u32 v155, v159, 16, 8
	s_wait_alu 0xf1ff
	v_cndmask_b32_e64 v105, v110, v105, s3
	v_bfe_u32 v110, v102, 16, 1
	v_cmp_u_f32_e64 s3, v102, v102
	v_lshrrev_b32_e32 v156, 24, v159
	v_bfe_u32 v158, v160, 8, 8
	v_bfe_u32 v166, v174, 8, 8
	v_add3_u32 v110, v110, v102, 0x7fff
	v_or_b32_e32 v102, 0x400000, v102
	v_and_b32_e32 v99, 0xffff0000, v99
	v_and_b32_e32 v109, 0xffff0000, v109
	v_bfe_u32 v167, v174, 16, 8
	v_and_b32_e32 v5, 0xffff0000, v5
	s_wait_alu 0xf1ff
	v_cndmask_b32_e64 v102, v110, v102, s3
	v_bfe_u32 v110, v97, 16, 1
	v_cmp_u_f32_e64 s3, v97, v97
	v_mul_f32_e32 v109, v20, v109
	v_and_b32_e32 v101, 0xffff0000, v101
	v_lshrrev_b32_e32 v168, 24, v174
	v_add3_u32 v110, v110, v97, 0x7fff
	v_or_b32_e32 v97, 0x400000, v97
	v_bfe_u32 v170, v175, 8, 8
	v_bfe_u32 v171, v175, 16, 8
	v_lshrrev_b32_e32 v172, 24, v175
	v_lshrrev_b32_e32 v127, 24, v176
	s_wait_alu 0xf1ff
	v_cndmask_b32_e64 v97, v110, v97, s3
	v_bfe_u32 v110, v96, 16, 1
	v_cmp_u_f32_e64 s3, v96, v96
	v_and_b32_e32 v100, 0xffff0000, v100
	v_cvt_f32_fp8_e32 v127, v127
	v_and_b32_e32 v97, 0xffff0000, v97
	v_add3_u32 v110, v110, v96, 0x7fff
	v_or_b32_e32 v96, 0x400000, v96
	s_delay_alu instid0(VALU_DEP_4) | instskip(NEXT) | instid1(VALU_DEP_4)
	v_dual_mul_f32 v128, s5, v128 :: v_dual_mul_f32 v127, s5, v127
	v_dual_mul_f32 v97, v26, v97 :: v_dual_mul_f32 v130, s5, v130
	s_wait_alu 0xf1ff
	s_delay_alu instid0(VALU_DEP_3) | instskip(SKIP_3) | instid1(VALU_DEP_4)
	v_cndmask_b32_e64 v96, v110, v96, s3
	v_cvt_f32_fp8_e32 v110, v112
	v_and_b32_e32 v153, 0xff, v159
	v_bfe_u32 v159, v160, 16, 8
	v_dual_fmac_f32 v109, v9, v5 :: v_dual_and_b32 v96, 0xffff0000, v96
	s_delay_alu instid0(VALU_DEP_4) | instskip(SKIP_2) | instid1(VALU_DEP_4)
	v_dual_mul_f32 v110, s5, v110 :: v_dual_and_b32 v5, 0xffff0000, v108
	v_mul_f32_e32 v132, s5, v132
	v_mul_f32_e32 v134, s5, v134
	;; [unrolled: 1-line block ×3, first 2 shown]
	s_delay_alu instid0(VALU_DEP_4) | instskip(SKIP_3) | instid1(VALU_DEP_4)
	v_bfe_u32 v111, v110, 16, 1
	v_cmp_u_f32_e64 s3, v110, v110
	v_dual_mul_f32 v5, v21, v5 :: v_dual_mul_f32 v138, s5, v138
	v_mul_f32_e32 v140, s5, v140
	v_add3_u32 v111, v111, v110, 0x7fff
	v_or_b32_e32 v110, 0x400000, v110
	v_mul_f32_e32 v142, s5, v142
	v_and_b32_e32 v6, 0xffff0000, v6
	v_and_b32_e32 v98, 0xffff0000, v98
	s_wait_alu 0xf1ff
	v_cndmask_b32_e64 v110, v111, v110, s3
	v_cvt_f32_fp8_e32 v111, v113
	v_dual_fmac_f32 v5, v10, v6 :: v_dual_and_b32 v6, 0xffff0000, v107
	s_delay_alu instid0(VALU_DEP_1) | instskip(NEXT) | instid1(VALU_DEP_1)
	v_dual_mul_f32 v111, s5, v111 :: v_dual_mul_f32 v6, v22, v6
	v_bfe_u32 v112, v111, 16, 1
	v_cmp_u_f32_e64 s3, v111, v111
	s_delay_alu instid0(VALU_DEP_3) | instskip(SKIP_1) | instid1(VALU_DEP_4)
	v_fmac_f32_e32 v6, v11, v98
	v_and_b32_e32 v98, 0xffff0000, v106
	v_add3_u32 v112, v112, v111, 0x7fff
	v_or_b32_e32 v111, 0x400000, v111
	s_delay_alu instid0(VALU_DEP_3) | instskip(SKIP_1) | instid1(VALU_DEP_2)
	v_mul_f32_e32 v98, v23, v98
	s_wait_alu 0xf1ff
	v_cndmask_b32_e64 v111, v112, v111, s3
	v_cvt_f32_fp8_e32 v112, v114
	s_delay_alu instid0(VALU_DEP_3) | instskip(NEXT) | instid1(VALU_DEP_2)
	v_dual_fmac_f32 v98, v12, v99 :: v_dual_and_b32 v161, 0xff, v173
	v_dual_mul_f32 v112, s5, v112 :: v_dual_and_b32 v99, 0xffff0000, v105
	s_delay_alu instid0(VALU_DEP_1) | instskip(NEXT) | instid1(VALU_DEP_2)
	v_mul_f32_e32 v99, v24, v99
	v_bfe_u32 v113, v112, 16, 1
	v_cmp_u_f32_e64 s3, v112, v112
	s_delay_alu instid0(VALU_DEP_3) | instskip(NEXT) | instid1(VALU_DEP_3)
	v_dual_fmac_f32 v99, v13, v100 :: v_dual_and_b32 v100, 0xffff0000, v102
	v_add3_u32 v113, v113, v112, 0x7fff
	v_or_b32_e32 v112, 0x400000, v112
	s_delay_alu instid0(VALU_DEP_3) | instskip(SKIP_1) | instid1(VALU_DEP_2)
	v_mul_f32_e32 v100, v25, v100
	s_wait_alu 0xf1ff
	v_cndmask_b32_e64 v112, v113, v112, s3
	v_cvt_f32_fp8_e32 v113, v115
	s_delay_alu instid0(VALU_DEP_3) | instskip(NEXT) | instid1(VALU_DEP_2)
	v_dual_fmac_f32 v100, v14, v101 :: v_dual_and_b32 v101, 0xffff0000, v103
	v_mul_f32_e32 v113, s5, v113
	s_delay_alu instid0(VALU_DEP_2) | instskip(SKIP_1) | instid1(VALU_DEP_3)
	v_fmac_f32_e32 v97, v18, v101
	v_and_b32_e32 v101, 0xffff0000, v104
	v_bfe_u32 v114, v113, 16, 1
	v_cmp_u_f32_e64 s3, v113, v113
	s_delay_alu instid0(VALU_DEP_3) | instskip(NEXT) | instid1(VALU_DEP_3)
	v_fmac_f32_e32 v96, v19, v101
	v_add3_u32 v114, v114, v113, 0x7fff
	v_or_b32_e32 v113, 0x400000, v113
	v_and_b32_e32 v101, 0xffff0000, v110
	s_wait_alu 0xf1ff
	s_delay_alu instid0(VALU_DEP_2) | instskip(SKIP_4) | instid1(VALU_DEP_4)
	v_cndmask_b32_e64 v113, v114, v113, s3
	v_cvt_f32_fp8_e32 v114, v116
	v_and_b32_e32 v157, 0xff, v160
	v_lshrrev_b32_e32 v160, 24, v160
	v_fmac_f32_e32 v109, v28, v101
	v_dual_mul_f32 v114, s5, v114 :: v_dual_and_b32 v101, 0xffff0000, v111
	s_delay_alu instid0(VALU_DEP_1) | instskip(NEXT) | instid1(VALU_DEP_2)
	v_fmac_f32_e32 v5, v29, v101
	v_bfe_u32 v115, v114, 16, 1
	v_cmp_u_f32_e64 s3, v114, v114
	v_and_b32_e32 v101, 0xffff0000, v112
	s_delay_alu instid0(VALU_DEP_3) | instskip(SKIP_1) | instid1(VALU_DEP_3)
	v_add3_u32 v115, v115, v114, 0x7fff
	v_or_b32_e32 v114, 0x400000, v114
	v_fmac_f32_e32 v6, v30, v101
	v_and_b32_e32 v101, 0xffff0000, v113
	s_wait_alu 0xf1ff
	s_delay_alu instid0(VALU_DEP_3) | instskip(SKIP_1) | instid1(VALU_DEP_2)
	v_cndmask_b32_e64 v114, v115, v114, s3
	v_cvt_f32_fp8_e32 v115, v117
	v_dual_fmac_f32 v98, v31, v101 :: v_dual_and_b32 v101, 0xffff0000, v114
	s_delay_alu instid0(VALU_DEP_2) | instskip(NEXT) | instid1(VALU_DEP_2)
	v_mul_f32_e32 v115, s5, v115
	v_fmac_f32_e32 v99, v32, v101
	s_delay_alu instid0(VALU_DEP_2) | instskip(SKIP_1) | instid1(VALU_DEP_2)
	v_bfe_u32 v116, v115, 16, 1
	v_cmp_u_f32_e64 s3, v115, v115
	v_add3_u32 v116, v116, v115, 0x7fff
	v_or_b32_e32 v115, 0x400000, v115
	s_wait_alu 0xf1ff
	s_delay_alu instid0(VALU_DEP_1) | instskip(SKIP_3) | instid1(VALU_DEP_3)
	v_cndmask_b32_e64 v115, v116, v115, s3
	v_cvt_f32_fp8_e32 v116, v118
	v_and_b32_e32 v165, 0xff, v174
	v_bfe_u32 v174, v176, 8, 8
	v_dual_mul_f32 v116, s5, v116 :: v_dual_and_b32 v101, 0xffff0000, v115
	s_delay_alu instid0(VALU_DEP_1) | instskip(SKIP_1) | instid1(VALU_DEP_2)
	v_bfe_u32 v117, v116, 16, 1
	v_cmp_u_f32_e64 s3, v116, v116
	v_add3_u32 v117, v117, v116, 0x7fff
	v_or_b32_e32 v116, 0x400000, v116
	s_wait_alu 0xf1ff
	s_delay_alu instid0(VALU_DEP_1) | instskip(SKIP_1) | instid1(VALU_DEP_2)
	v_cndmask_b32_e64 v116, v117, v116, s3
	v_cvt_f32_fp8_e32 v117, v119
	v_dual_fmac_f32 v100, v33, v101 :: v_dual_and_b32 v101, 0xffff0000, v116
	s_delay_alu instid0(VALU_DEP_2) | instskip(NEXT) | instid1(VALU_DEP_2)
	v_mul_f32_e32 v117, s5, v117
	v_fmac_f32_e32 v97, v34, v101
	s_delay_alu instid0(VALU_DEP_2) | instskip(SKIP_1) | instid1(VALU_DEP_2)
	v_bfe_u32 v118, v117, 16, 1
	v_cmp_u_f32_e64 s3, v117, v117
	v_add3_u32 v118, v118, v117, 0x7fff
	v_or_b32_e32 v117, 0x400000, v117
	s_wait_alu 0xf1ff
	s_delay_alu instid0(VALU_DEP_1) | instskip(SKIP_3) | instid1(VALU_DEP_3)
	v_cndmask_b32_e64 v117, v118, v117, s3
	v_cvt_f32_fp8_e32 v118, v120
	v_and_b32_e32 v169, 0xff, v175
	v_bfe_u32 v175, v176, 16, 8
	v_dual_mul_f32 v118, s5, v118 :: v_dual_and_b32 v101, 0xffff0000, v117
	s_delay_alu instid0(VALU_DEP_1) | instskip(NEXT) | instid1(VALU_DEP_2)
	v_fmac_f32_e32 v96, v35, v101
	v_bfe_u32 v119, v118, 16, 1
	v_cmp_u_f32_e64 s3, v118, v118
	s_delay_alu instid0(VALU_DEP_2) | instskip(SKIP_2) | instid1(VALU_DEP_1)
	v_add3_u32 v119, v119, v118, 0x7fff
	v_or_b32_e32 v118, 0x400000, v118
	s_wait_alu 0xf1ff
	v_cndmask_b32_e64 v118, v119, v118, s3
	v_cvt_f32_fp8_e32 v119, v121
	s_delay_alu instid0(VALU_DEP_2) | instskip(NEXT) | instid1(VALU_DEP_2)
	v_and_b32_e32 v101, 0xffff0000, v118
	v_mul_f32_e32 v119, s5, v119
	s_delay_alu instid0(VALU_DEP_2) | instskip(NEXT) | instid1(VALU_DEP_2)
	v_fmac_f32_e32 v109, v36, v101
	v_bfe_u32 v120, v119, 16, 1
	v_cmp_u_f32_e64 s3, v119, v119
	s_delay_alu instid0(VALU_DEP_2) | instskip(SKIP_2) | instid1(VALU_DEP_1)
	v_add3_u32 v120, v120, v119, 0x7fff
	v_or_b32_e32 v119, 0x400000, v119
	s_wait_alu 0xf1ff
	v_cndmask_b32_e64 v119, v120, v119, s3
	v_cvt_f32_fp8_e32 v120, v122
	s_delay_alu instid0(VALU_DEP_1) | instskip(NEXT) | instid1(VALU_DEP_1)
	v_dual_mul_f32 v120, s5, v120 :: v_dual_and_b32 v101, 0xffff0000, v119
	v_fmac_f32_e32 v5, v37, v101
	s_delay_alu instid0(VALU_DEP_2) | instskip(SKIP_1) | instid1(VALU_DEP_2)
	v_bfe_u32 v121, v120, 16, 1
	v_cmp_u_f32_e64 s3, v120, v120
	v_add3_u32 v121, v121, v120, 0x7fff
	v_or_b32_e32 v120, 0x400000, v120
	s_wait_alu 0xf1ff
	s_delay_alu instid0(VALU_DEP_1) | instskip(SKIP_1) | instid1(VALU_DEP_2)
	v_cndmask_b32_e64 v120, v121, v120, s3
	v_cvt_f32_fp8_e32 v121, v123
	v_and_b32_e32 v101, 0xffff0000, v120
	s_delay_alu instid0(VALU_DEP_2) | instskip(NEXT) | instid1(VALU_DEP_1)
	v_mul_f32_e32 v121, s5, v121
	v_bfe_u32 v122, v121, 16, 1
	v_cmp_u_f32_e64 s3, v121, v121
	s_delay_alu instid0(VALU_DEP_2) | instskip(SKIP_2) | instid1(VALU_DEP_1)
	v_add3_u32 v122, v122, v121, 0x7fff
	v_or_b32_e32 v121, 0x400000, v121
	s_wait_alu 0xf1ff
	v_cndmask_b32_e64 v121, v122, v121, s3
	v_cvt_f32_fp8_e32 v122, v124
	s_delay_alu instid0(VALU_DEP_1) | instskip(NEXT) | instid1(VALU_DEP_1)
	v_dual_mul_f32 v122, s5, v122 :: v_dual_and_b32 v173, 0xff, v176
	v_bfe_u32 v123, v122, 16, 1
	v_cmp_u_f32_e64 s3, v122, v122
	s_delay_alu instid0(VALU_DEP_2) | instskip(SKIP_2) | instid1(VALU_DEP_1)
	v_add3_u32 v123, v123, v122, 0x7fff
	v_or_b32_e32 v122, 0x400000, v122
	s_wait_alu 0xf1ff
	v_cndmask_b32_e64 v122, v123, v122, s3
	v_cvt_f32_fp8_e32 v123, v125
	v_fmac_f32_e32 v6, v38, v101
	v_and_b32_e32 v101, 0xffff0000, v121
	s_delay_alu instid0(VALU_DEP_3) | instskip(NEXT) | instid1(VALU_DEP_1)
	v_mul_f32_e32 v123, s5, v123
	v_bfe_u32 v124, v123, 16, 1
	v_cmp_u_f32_e64 s3, v123, v123
	s_delay_alu instid0(VALU_DEP_2) | instskip(SKIP_2) | instid1(VALU_DEP_1)
	v_add3_u32 v124, v124, v123, 0x7fff
	v_or_b32_e32 v123, 0x400000, v123
	s_wait_alu 0xf1ff
	v_cndmask_b32_e64 v123, v124, v123, s3
	v_cvt_f32_fp8_e32 v124, v126
	v_dual_fmac_f32 v98, v39, v101 :: v_dual_and_b32 v101, 0xffff0000, v122
	s_delay_alu instid0(VALU_DEP_1) | instskip(NEXT) | instid1(VALU_DEP_4)
	v_dual_mul_f32 v124, s5, v124 :: v_dual_fmac_f32 v99, v40, v101
	v_and_b32_e32 v101, 0xffff0000, v123
	s_delay_alu instid0(VALU_DEP_2) | instskip(SKIP_1) | instid1(VALU_DEP_2)
	v_bfe_u32 v125, v124, 16, 1
	v_cmp_u_f32_e64 s3, v124, v124
	v_add3_u32 v125, v125, v124, 0x7fff
	v_or_b32_e32 v124, 0x400000, v124
	s_wait_alu 0xf1ff
	s_delay_alu instid0(VALU_DEP_1) | instskip(SKIP_1) | instid1(VALU_DEP_2)
	v_cndmask_b32_e64 v124, v125, v124, s3
	v_cvt_f32_fp8_e32 v125, v143
	v_dual_fmac_f32 v100, v41, v101 :: v_dual_and_b32 v101, 0xffff0000, v124
	s_delay_alu instid0(VALU_DEP_2) | instskip(NEXT) | instid1(VALU_DEP_2)
	v_mul_f32_e32 v125, s5, v125
	v_fmac_f32_e32 v97, v42, v101
	s_delay_alu instid0(VALU_DEP_2) | instskip(SKIP_1) | instid1(VALU_DEP_2)
	v_bfe_u32 v126, v125, 16, 1
	v_cmp_u_f32_e64 s3, v125, v125
	v_add3_u32 v126, v126, v125, 0x7fff
	v_or_b32_e32 v125, 0x400000, v125
	s_wait_alu 0xf1ff
	s_delay_alu instid0(VALU_DEP_1) | instskip(SKIP_1) | instid1(VALU_DEP_1)
	v_cndmask_b32_e64 v125, v126, v125, s3
	v_cvt_f32_fp8_e32 v126, v144
	v_dual_mul_f32 v126, s5, v126 :: v_dual_and_b32 v101, 0xffff0000, v125
	s_delay_alu instid0(VALU_DEP_1) | instskip(SKIP_1) | instid1(VALU_DEP_2)
	v_bfe_u32 v143, v126, 16, 1
	v_cmp_u_f32_e64 s3, v126, v126
	v_add3_u32 v143, v143, v126, 0x7fff
	v_or_b32_e32 v126, 0x400000, v126
	s_wait_alu 0xf1ff
	s_delay_alu instid0(VALU_DEP_1) | instskip(SKIP_2) | instid1(VALU_DEP_3)
	v_cndmask_b32_e64 v126, v143, v126, s3
	v_bfe_u32 v143, v128, 16, 1
	v_cmp_u_f32_e64 s3, v128, v128
	v_dual_fmac_f32 v96, v43, v101 :: v_dual_and_b32 v101, 0xffff0000, v126
	s_delay_alu instid0(VALU_DEP_3) | instskip(SKIP_1) | instid1(VALU_DEP_3)
	v_add3_u32 v143, v143, v128, 0x7fff
	v_or_b32_e32 v128, 0x400000, v128
	v_fmac_f32_e32 v109, v44, v101
	s_wait_alu 0xf1ff
	s_delay_alu instid0(VALU_DEP_2) | instskip(SKIP_2) | instid1(VALU_DEP_3)
	v_cndmask_b32_e64 v128, v143, v128, s3
	v_bfe_u32 v143, v129, 16, 1
	v_cmp_u_f32_e64 s3, v129, v129
	v_and_b32_e32 v101, 0xffff0000, v128
	s_delay_alu instid0(VALU_DEP_3) | instskip(SKIP_1) | instid1(VALU_DEP_3)
	v_add3_u32 v143, v143, v129, 0x7fff
	v_or_b32_e32 v129, 0x400000, v129
	v_fmac_f32_e32 v5, v45, v101
	s_wait_alu 0xf1ff
	s_delay_alu instid0(VALU_DEP_2) | instskip(SKIP_2) | instid1(VALU_DEP_3)
	v_cndmask_b32_e64 v129, v143, v129, s3
	v_bfe_u32 v143, v130, 16, 1
	v_cmp_u_f32_e64 s3, v130, v130
	v_and_b32_e32 v101, 0xffff0000, v129
	s_delay_alu instid0(VALU_DEP_3) | instskip(SKIP_2) | instid1(VALU_DEP_1)
	v_add3_u32 v143, v143, v130, 0x7fff
	v_or_b32_e32 v130, 0x400000, v130
	s_wait_alu 0xf1ff
	v_cndmask_b32_e64 v130, v143, v130, s3
	v_bfe_u32 v143, v131, 16, 1
	v_cmp_u_f32_e64 s3, v131, v131
	s_delay_alu instid0(VALU_DEP_3) | instskip(NEXT) | instid1(VALU_DEP_3)
	v_dual_fmac_f32 v6, v46, v101 :: v_dual_and_b32 v101, 0xffff0000, v130
	v_add3_u32 v143, v143, v131, 0x7fff
	v_or_b32_e32 v131, 0x400000, v131
	s_wait_alu 0xf1ff
	s_delay_alu instid0(VALU_DEP_1) | instskip(SKIP_2) | instid1(VALU_DEP_3)
	v_cndmask_b32_e64 v131, v143, v131, s3
	v_bfe_u32 v143, v132, 16, 1
	v_cmp_u_f32_e64 s3, v132, v132
	v_dual_fmac_f32 v98, v47, v101 :: v_dual_and_b32 v101, 0xffff0000, v131
	s_delay_alu instid0(VALU_DEP_3) | instskip(SKIP_1) | instid1(VALU_DEP_3)
	v_add3_u32 v143, v143, v132, 0x7fff
	v_or_b32_e32 v132, 0x400000, v132
	v_fmac_f32_e32 v99, v48, v101
	s_wait_alu 0xf1ff
	s_delay_alu instid0(VALU_DEP_2) | instskip(SKIP_2) | instid1(VALU_DEP_3)
	v_cndmask_b32_e64 v132, v143, v132, s3
	v_bfe_u32 v143, v134, 16, 1
	v_cmp_u_f32_e64 s3, v134, v134
	v_and_b32_e32 v101, 0xffff0000, v132
	s_delay_alu instid0(VALU_DEP_3) | instskip(SKIP_2) | instid1(VALU_DEP_1)
	v_add3_u32 v143, v143, v134, 0x7fff
	v_or_b32_e32 v134, 0x400000, v134
	s_wait_alu 0xf1ff
	v_cndmask_b32_e64 v134, v143, v134, s3
	v_bfe_u32 v143, v135, 16, 1
	v_cmp_u_f32_e64 s3, v135, v135
	s_delay_alu instid0(VALU_DEP_3) | instskip(NEXT) | instid1(VALU_DEP_3)
	v_dual_fmac_f32 v100, v49, v101 :: v_dual_and_b32 v101, 0xffff0000, v134
	v_add3_u32 v143, v143, v135, 0x7fff
	v_or_b32_e32 v135, 0x400000, v135
	s_delay_alu instid0(VALU_DEP_3) | instskip(SKIP_1) | instid1(VALU_DEP_2)
	v_fmac_f32_e32 v97, v50, v101
	s_wait_alu 0xf1ff
	v_cndmask_b32_e64 v135, v143, v135, s3
	v_bfe_u32 v143, v137, 16, 1
	v_cmp_u_f32_e64 s3, v137, v137
	s_delay_alu instid0(VALU_DEP_3) | instskip(NEXT) | instid1(VALU_DEP_3)
	v_and_b32_e32 v101, 0xffff0000, v135
	v_add3_u32 v143, v143, v137, 0x7fff
	v_or_b32_e32 v137, 0x400000, v137
	s_wait_alu 0xf1ff
	s_delay_alu instid0(VALU_DEP_1) | instskip(SKIP_2) | instid1(VALU_DEP_2)
	v_cndmask_b32_e64 v137, v143, v137, s3
	v_bfe_u32 v143, v138, 16, 1
	v_cmp_u_f32_e64 s3, v138, v138
	v_add3_u32 v143, v143, v138, 0x7fff
	v_or_b32_e32 v138, 0x400000, v138
	s_wait_alu 0xf1ff
	s_delay_alu instid0(VALU_DEP_1) | instskip(SKIP_4) | instid1(VALU_DEP_4)
	v_cndmask_b32_e64 v138, v143, v138, s3
	v_bfe_u32 v143, v140, 16, 1
	v_cmp_u_f32_e64 s3, v140, v140
	v_fmac_f32_e32 v96, v51, v101
	v_and_b32_e32 v101, 0xffff0000, v137
	v_add3_u32 v143, v143, v140, 0x7fff
	v_or_b32_e32 v140, 0x400000, v140
	s_delay_alu instid0(VALU_DEP_3) | instskip(SKIP_2) | instid1(VALU_DEP_3)
	v_fmac_f32_e32 v109, v52, v101
	v_and_b32_e32 v101, 0xffff0000, v138
	s_wait_alu 0xf1ff
	v_cndmask_b32_e64 v140, v143, v140, s3
	v_bfe_u32 v143, v142, 16, 1
	v_cmp_u_f32_e64 s3, v142, v142
	v_fmac_f32_e32 v5, v53, v101
	s_delay_alu instid0(VALU_DEP_4) | instskip(NEXT) | instid1(VALU_DEP_4)
	v_and_b32_e32 v101, 0xffff0000, v140
	v_add3_u32 v143, v143, v142, 0x7fff
	v_or_b32_e32 v142, 0x400000, v142
	s_wait_alu 0xf1ff
	s_delay_alu instid0(VALU_DEP_1) | instskip(SKIP_2) | instid1(VALU_DEP_3)
	v_cndmask_b32_e64 v142, v143, v142, s3
	v_bfe_u32 v143, v141, 16, 1
	v_cmp_u_f32_e64 s3, v141, v141
	v_dual_fmac_f32 v6, v54, v101 :: v_dual_and_b32 v101, 0xffff0000, v142
	s_delay_alu instid0(VALU_DEP_3) | instskip(SKIP_2) | instid1(VALU_DEP_1)
	v_add3_u32 v143, v143, v141, 0x7fff
	v_or_b32_e32 v141, 0x400000, v141
	s_wait_alu 0xf1ff
	v_cndmask_b32_e64 v141, v143, v141, s3
	v_bfe_u32 v143, v139, 16, 1
	v_cmp_u_f32_e64 s3, v139, v139
	s_delay_alu instid0(VALU_DEP_2) | instskip(SKIP_2) | instid1(VALU_DEP_1)
	v_add3_u32 v143, v143, v139, 0x7fff
	v_or_b32_e32 v139, 0x400000, v139
	s_wait_alu 0xf1ff
	v_cndmask_b32_e64 v139, v143, v139, s3
	v_bfe_u32 v143, v136, 16, 1
	v_cmp_u_f32_e64 s3, v136, v136
	v_fmac_f32_e32 v98, v55, v101
	v_and_b32_e32 v101, 0xffff0000, v141
	s_delay_alu instid0(VALU_DEP_4) | instskip(SKIP_1) | instid1(VALU_DEP_3)
	v_add3_u32 v143, v143, v136, 0x7fff
	v_or_b32_e32 v136, 0x400000, v136
	v_fmac_f32_e32 v99, v56, v101
	v_and_b32_e32 v101, 0xffff0000, v139
	s_wait_alu 0xf1ff
	s_delay_alu instid0(VALU_DEP_3) | instskip(SKIP_2) | instid1(VALU_DEP_3)
	v_cndmask_b32_e64 v136, v143, v136, s3
	v_bfe_u32 v143, v133, 16, 1
	v_cmp_u_f32_e64 s3, v133, v133
	v_dual_fmac_f32 v100, v57, v101 :: v_dual_and_b32 v101, 0xffff0000, v136
	s_delay_alu instid0(VALU_DEP_3) | instskip(SKIP_1) | instid1(VALU_DEP_3)
	v_add3_u32 v143, v143, v133, 0x7fff
	v_or_b32_e32 v133, 0x400000, v133
	v_fmac_f32_e32 v97, v58, v101
	s_wait_alu 0xf1ff
	s_delay_alu instid0(VALU_DEP_2) | instskip(SKIP_1) | instid1(VALU_DEP_2)
	v_cndmask_b32_e64 v133, v143, v133, s3
	v_cvt_f32_fp8_e32 v143, v145
	v_and_b32_e32 v101, 0xffff0000, v133
	s_delay_alu instid0(VALU_DEP_2) | instskip(NEXT) | instid1(VALU_DEP_1)
	v_mul_f32_e32 v143, s5, v143
	v_bfe_u32 v144, v143, 16, 1
	v_cmp_u_f32_e64 s3, v143, v143
	s_delay_alu instid0(VALU_DEP_2) | instskip(SKIP_2) | instid1(VALU_DEP_1)
	v_add3_u32 v144, v144, v143, 0x7fff
	v_or_b32_e32 v143, 0x400000, v143
	s_wait_alu 0xf1ff
	v_cndmask_b32_e64 v143, v144, v143, s3
	v_cvt_f32_fp8_e32 v144, v146
	s_delay_alu instid0(VALU_DEP_2) | instskip(NEXT) | instid1(VALU_DEP_1)
	v_dual_fmac_f32 v96, v59, v101 :: v_dual_and_b32 v101, 0xffff0000, v143
	v_dual_mul_f32 v144, s5, v144 :: v_dual_fmac_f32 v109, v60, v101
	s_delay_alu instid0(VALU_DEP_1) | instskip(SKIP_1) | instid1(VALU_DEP_2)
	v_bfe_u32 v145, v144, 16, 1
	v_cmp_u_f32_e64 s3, v144, v144
	v_add3_u32 v145, v145, v144, 0x7fff
	v_or_b32_e32 v144, 0x400000, v144
	s_wait_alu 0xf1ff
	s_delay_alu instid0(VALU_DEP_1) | instskip(SKIP_1) | instid1(VALU_DEP_2)
	v_cndmask_b32_e64 v144, v145, v144, s3
	v_cvt_f32_fp8_e32 v145, v147
	v_and_b32_e32 v101, 0xffff0000, v144
	s_delay_alu instid0(VALU_DEP_2) | instskip(NEXT) | instid1(VALU_DEP_2)
	v_mul_f32_e32 v145, s5, v145
	v_fmac_f32_e32 v5, v61, v101
	s_delay_alu instid0(VALU_DEP_2) | instskip(SKIP_1) | instid1(VALU_DEP_2)
	v_bfe_u32 v146, v145, 16, 1
	v_cmp_u_f32_e64 s3, v145, v145
	v_add3_u32 v146, v146, v145, 0x7fff
	v_or_b32_e32 v145, 0x400000, v145
	s_wait_alu 0xf1ff
	s_delay_alu instid0(VALU_DEP_1) | instskip(SKIP_1) | instid1(VALU_DEP_1)
	v_cndmask_b32_e64 v145, v146, v145, s3
	v_cvt_f32_fp8_e32 v146, v148
	v_dual_mul_f32 v146, s5, v146 :: v_dual_and_b32 v101, 0xffff0000, v145
	s_delay_alu instid0(VALU_DEP_1) | instskip(SKIP_1) | instid1(VALU_DEP_2)
	v_bfe_u32 v147, v146, 16, 1
	v_cmp_u_f32_e64 s3, v146, v146
	v_add3_u32 v147, v147, v146, 0x7fff
	v_or_b32_e32 v146, 0x400000, v146
	s_wait_alu 0xf1ff
	s_delay_alu instid0(VALU_DEP_1) | instskip(SKIP_1) | instid1(VALU_DEP_2)
	v_cndmask_b32_e64 v146, v147, v146, s3
	v_cvt_f32_fp8_e32 v147, v149
	v_dual_fmac_f32 v6, v62, v101 :: v_dual_and_b32 v101, 0xffff0000, v146
	s_delay_alu instid0(VALU_DEP_2) | instskip(NEXT) | instid1(VALU_DEP_1)
	v_mul_f32_e32 v147, s5, v147
	v_bfe_u32 v148, v147, 16, 1
	v_cmp_u_f32_e64 s3, v147, v147
	s_delay_alu instid0(VALU_DEP_2) | instskip(SKIP_2) | instid1(VALU_DEP_1)
	v_add3_u32 v148, v148, v147, 0x7fff
	v_or_b32_e32 v147, 0x400000, v147
	s_wait_alu 0xf1ff
	v_cndmask_b32_e64 v147, v148, v147, s3
	v_cvt_f32_fp8_e32 v148, v150
	s_delay_alu instid0(VALU_DEP_2) | instskip(NEXT) | instid1(VALU_DEP_1)
	v_dual_fmac_f32 v98, v63, v101 :: v_dual_and_b32 v101, 0xffff0000, v147
	v_dual_mul_f32 v148, s5, v148 :: v_dual_fmac_f32 v99, v64, v101
	s_delay_alu instid0(VALU_DEP_1) | instskip(SKIP_1) | instid1(VALU_DEP_2)
	v_bfe_u32 v149, v148, 16, 1
	v_cmp_u_f32_e64 s3, v148, v148
	v_add3_u32 v149, v149, v148, 0x7fff
	v_or_b32_e32 v148, 0x400000, v148
	s_wait_alu 0xf1ff
	s_delay_alu instid0(VALU_DEP_1) | instskip(SKIP_1) | instid1(VALU_DEP_2)
	v_cndmask_b32_e64 v148, v149, v148, s3
	v_cvt_f32_fp8_e32 v149, v151
	v_and_b32_e32 v101, 0xffff0000, v148
	s_delay_alu instid0(VALU_DEP_2) | instskip(NEXT) | instid1(VALU_DEP_1)
	v_mul_f32_e32 v149, s5, v149
	v_bfe_u32 v150, v149, 16, 1
	v_cmp_u_f32_e64 s3, v149, v149
	s_delay_alu instid0(VALU_DEP_2) | instskip(SKIP_2) | instid1(VALU_DEP_1)
	v_add3_u32 v150, v150, v149, 0x7fff
	v_or_b32_e32 v149, 0x400000, v149
	s_wait_alu 0xf1ff
	v_cndmask_b32_e64 v149, v150, v149, s3
	v_cvt_f32_fp8_e32 v150, v152
	s_delay_alu instid0(VALU_DEP_1) | instskip(NEXT) | instid1(VALU_DEP_1)
	v_mul_f32_e32 v150, s5, v150
	v_bfe_u32 v151, v150, 16, 1
	v_cmp_u_f32_e64 s3, v150, v150
	s_delay_alu instid0(VALU_DEP_2) | instskip(SKIP_2) | instid1(VALU_DEP_1)
	v_add3_u32 v151, v151, v150, 0x7fff
	v_or_b32_e32 v150, 0x400000, v150
	s_wait_alu 0xf1ff
	v_cndmask_b32_e64 v150, v151, v150, s3
	v_cvt_f32_fp8_e32 v151, v153
	v_fmac_f32_e32 v100, v65, v101
	v_and_b32_e32 v101, 0xffff0000, v149
	s_delay_alu instid0(VALU_DEP_3) | instskip(NEXT) | instid1(VALU_DEP_2)
	v_mul_f32_e32 v151, s5, v151
	v_fmac_f32_e32 v97, v66, v101
	v_and_b32_e32 v101, 0xffff0000, v150
	s_delay_alu instid0(VALU_DEP_3) | instskip(SKIP_1) | instid1(VALU_DEP_2)
	v_bfe_u32 v152, v151, 16, 1
	v_cmp_u_f32_e64 s3, v151, v151
	v_add3_u32 v152, v152, v151, 0x7fff
	v_or_b32_e32 v151, 0x400000, v151
	s_wait_alu 0xf1ff
	s_delay_alu instid0(VALU_DEP_1) | instskip(SKIP_1) | instid1(VALU_DEP_2)
	v_cndmask_b32_e64 v151, v152, v151, s3
	v_cvt_f32_fp8_e32 v152, v154
	v_dual_fmac_f32 v96, v67, v101 :: v_dual_and_b32 v101, 0xffff0000, v151
	s_delay_alu instid0(VALU_DEP_1) | instskip(NEXT) | instid1(VALU_DEP_1)
	v_dual_mul_f32 v152, s5, v152 :: v_dual_fmac_f32 v109, v68, v101
	v_bfe_u32 v153, v152, 16, 1
	v_cmp_u_f32_e64 s3, v152, v152
	s_delay_alu instid0(VALU_DEP_2) | instskip(SKIP_2) | instid1(VALU_DEP_1)
	v_add3_u32 v153, v153, v152, 0x7fff
	v_or_b32_e32 v152, 0x400000, v152
	s_wait_alu 0xf1ff
	v_cndmask_b32_e64 v152, v153, v152, s3
	v_cvt_f32_fp8_e32 v153, v155
	s_delay_alu instid0(VALU_DEP_2) | instskip(NEXT) | instid1(VALU_DEP_2)
	v_and_b32_e32 v101, 0xffff0000, v152
	v_mul_f32_e32 v153, s5, v153
	s_delay_alu instid0(VALU_DEP_2) | instskip(NEXT) | instid1(VALU_DEP_2)
	v_fmac_f32_e32 v5, v69, v101
	v_bfe_u32 v154, v153, 16, 1
	v_cmp_u_f32_e64 s3, v153, v153
	s_delay_alu instid0(VALU_DEP_2) | instskip(SKIP_2) | instid1(VALU_DEP_1)
	v_add3_u32 v154, v154, v153, 0x7fff
	v_or_b32_e32 v153, 0x400000, v153
	s_wait_alu 0xf1ff
	v_cndmask_b32_e64 v153, v154, v153, s3
	v_cvt_f32_fp8_e32 v154, v156
	s_delay_alu instid0(VALU_DEP_1) | instskip(NEXT) | instid1(VALU_DEP_1)
	v_dual_mul_f32 v154, s5, v154 :: v_dual_and_b32 v101, 0xffff0000, v153
	v_bfe_u32 v155, v154, 16, 1
	v_cmp_u_f32_e64 s3, v154, v154
	s_delay_alu instid0(VALU_DEP_2) | instskip(SKIP_2) | instid1(VALU_DEP_1)
	v_add3_u32 v155, v155, v154, 0x7fff
	v_or_b32_e32 v154, 0x400000, v154
	s_wait_alu 0xf1ff
	v_cndmask_b32_e64 v154, v155, v154, s3
	v_cvt_f32_fp8_e32 v155, v157
	s_delay_alu instid0(VALU_DEP_2) | instskip(NEXT) | instid1(VALU_DEP_2)
	v_dual_fmac_f32 v6, v70, v101 :: v_dual_and_b32 v101, 0xffff0000, v154
	v_mul_f32_e32 v155, s5, v155
	s_delay_alu instid0(VALU_DEP_1) | instskip(SKIP_1) | instid1(VALU_DEP_2)
	v_bfe_u32 v156, v155, 16, 1
	v_cmp_u_f32_e64 s3, v155, v155
	v_add3_u32 v156, v156, v155, 0x7fff
	v_or_b32_e32 v155, 0x400000, v155
	s_wait_alu 0xf1ff
	s_delay_alu instid0(VALU_DEP_1) | instskip(SKIP_1) | instid1(VALU_DEP_2)
	v_cndmask_b32_e64 v155, v156, v155, s3
	v_cvt_f32_fp8_e32 v156, v158
	v_dual_fmac_f32 v98, v71, v101 :: v_dual_and_b32 v101, 0xffff0000, v155
	s_delay_alu instid0(VALU_DEP_1) | instskip(NEXT) | instid1(VALU_DEP_1)
	v_dual_mul_f32 v156, s5, v156 :: v_dual_fmac_f32 v99, v72, v101
	v_bfe_u32 v157, v156, 16, 1
	v_cmp_u_f32_e64 s3, v156, v156
	s_delay_alu instid0(VALU_DEP_2) | instskip(SKIP_2) | instid1(VALU_DEP_1)
	v_add3_u32 v157, v157, v156, 0x7fff
	v_or_b32_e32 v156, 0x400000, v156
	s_wait_alu 0xf1ff
	v_cndmask_b32_e64 v156, v157, v156, s3
	v_cvt_f32_fp8_e32 v157, v159
	s_delay_alu instid0(VALU_DEP_2) | instskip(NEXT) | instid1(VALU_DEP_2)
	v_and_b32_e32 v101, 0xffff0000, v156
	v_mul_f32_e32 v157, s5, v157
	s_delay_alu instid0(VALU_DEP_1) | instskip(SKIP_1) | instid1(VALU_DEP_2)
	v_bfe_u32 v158, v157, 16, 1
	v_cmp_u_f32_e64 s3, v157, v157
	v_add3_u32 v158, v158, v157, 0x7fff
	v_or_b32_e32 v157, 0x400000, v157
	s_wait_alu 0xf1ff
	s_delay_alu instid0(VALU_DEP_1) | instskip(SKIP_1) | instid1(VALU_DEP_1)
	v_cndmask_b32_e64 v157, v158, v157, s3
	v_cvt_f32_fp8_e32 v158, v160
	v_mul_f32_e32 v158, s5, v158
	s_delay_alu instid0(VALU_DEP_1) | instskip(SKIP_1) | instid1(VALU_DEP_2)
	v_bfe_u32 v159, v158, 16, 1
	v_cmp_u_f32_e64 s3, v158, v158
	v_add3_u32 v159, v159, v158, 0x7fff
	v_or_b32_e32 v158, 0x400000, v158
	s_wait_alu 0xf1ff
	s_delay_alu instid0(VALU_DEP_1) | instskip(SKIP_3) | instid1(VALU_DEP_3)
	v_cndmask_b32_e64 v158, v159, v158, s3
	v_cvt_f32_fp8_e32 v159, v161
	v_fmac_f32_e32 v100, v73, v101
	v_and_b32_e32 v101, 0xffff0000, v157
	v_mul_f32_e32 v159, s5, v159
	s_delay_alu instid0(VALU_DEP_2) | instskip(SKIP_1) | instid1(VALU_DEP_3)
	v_fmac_f32_e32 v97, v74, v101
	v_and_b32_e32 v101, 0xffff0000, v158
	v_bfe_u32 v160, v159, 16, 1
	v_cmp_u_f32_e64 s3, v159, v159
	s_delay_alu instid0(VALU_DEP_2) | instskip(SKIP_2) | instid1(VALU_DEP_1)
	v_add3_u32 v160, v160, v159, 0x7fff
	v_or_b32_e32 v159, 0x400000, v159
	s_wait_alu 0xf1ff
	v_cndmask_b32_e64 v159, v160, v159, s3
	v_cvt_f32_fp8_e32 v160, v162
	s_delay_alu instid0(VALU_DEP_2) | instskip(NEXT) | instid1(VALU_DEP_1)
	v_dual_fmac_f32 v96, v75, v101 :: v_dual_and_b32 v101, 0xffff0000, v159
	v_dual_mul_f32 v160, s5, v160 :: v_dual_fmac_f32 v109, v76, v101
	s_delay_alu instid0(VALU_DEP_1) | instskip(SKIP_1) | instid1(VALU_DEP_2)
	v_bfe_u32 v161, v160, 16, 1
	v_cmp_u_f32_e64 s3, v160, v160
	v_add3_u32 v161, v161, v160, 0x7fff
	v_or_b32_e32 v160, 0x400000, v160
	s_wait_alu 0xf1ff
	s_delay_alu instid0(VALU_DEP_1) | instskip(SKIP_1) | instid1(VALU_DEP_2)
	v_cndmask_b32_e64 v160, v161, v160, s3
	v_cvt_f32_fp8_e32 v161, v163
	v_and_b32_e32 v101, 0xffff0000, v160
	s_delay_alu instid0(VALU_DEP_2) | instskip(NEXT) | instid1(VALU_DEP_2)
	v_mul_f32_e32 v161, s5, v161
	v_fmac_f32_e32 v5, v77, v101
	s_delay_alu instid0(VALU_DEP_2) | instskip(SKIP_1) | instid1(VALU_DEP_2)
	v_bfe_u32 v162, v161, 16, 1
	v_cmp_u_f32_e64 s3, v161, v161
	v_add3_u32 v162, v162, v161, 0x7fff
	v_or_b32_e32 v161, 0x400000, v161
	s_wait_alu 0xf1ff
	s_delay_alu instid0(VALU_DEP_1) | instskip(SKIP_1) | instid1(VALU_DEP_1)
	v_cndmask_b32_e64 v161, v162, v161, s3
	v_cvt_f32_fp8_e32 v162, v164
	v_dual_mul_f32 v162, s5, v162 :: v_dual_and_b32 v101, 0xffff0000, v161
	s_delay_alu instid0(VALU_DEP_1) | instskip(SKIP_1) | instid1(VALU_DEP_2)
	v_bfe_u32 v163, v162, 16, 1
	v_cmp_u_f32_e64 s3, v162, v162
	v_add3_u32 v163, v163, v162, 0x7fff
	v_or_b32_e32 v162, 0x400000, v162
	s_wait_alu 0xf1ff
	s_delay_alu instid0(VALU_DEP_1) | instskip(SKIP_1) | instid1(VALU_DEP_2)
	v_cndmask_b32_e64 v162, v163, v162, s3
	v_cvt_f32_fp8_e32 v163, v165
	v_dual_fmac_f32 v6, v79, v101 :: v_dual_and_b32 v101, 0xffff0000, v162
	s_delay_alu instid0(VALU_DEP_2) | instskip(NEXT) | instid1(VALU_DEP_1)
	v_mul_f32_e32 v163, s5, v163
	v_bfe_u32 v164, v163, 16, 1
	v_cmp_u_f32_e64 s3, v163, v163
	s_delay_alu instid0(VALU_DEP_2) | instskip(SKIP_2) | instid1(VALU_DEP_1)
	v_add3_u32 v164, v164, v163, 0x7fff
	v_or_b32_e32 v163, 0x400000, v163
	s_wait_alu 0xf1ff
	v_cndmask_b32_e64 v163, v164, v163, s3
	v_cvt_f32_fp8_e32 v164, v166
	s_delay_alu instid0(VALU_DEP_2) | instskip(NEXT) | instid1(VALU_DEP_1)
	v_dual_fmac_f32 v98, v80, v101 :: v_dual_and_b32 v101, 0xffff0000, v163
	v_dual_mul_f32 v164, s5, v164 :: v_dual_fmac_f32 v99, v81, v101
	s_delay_alu instid0(VALU_DEP_1) | instskip(SKIP_1) | instid1(VALU_DEP_2)
	v_bfe_u32 v165, v164, 16, 1
	v_cmp_u_f32_e64 s3, v164, v164
	v_add3_u32 v165, v165, v164, 0x7fff
	v_or_b32_e32 v164, 0x400000, v164
	s_wait_alu 0xf1ff
	s_delay_alu instid0(VALU_DEP_1) | instskip(SKIP_1) | instid1(VALU_DEP_2)
	v_cndmask_b32_e64 v164, v165, v164, s3
	v_cvt_f32_fp8_e32 v165, v167
	v_and_b32_e32 v101, 0xffff0000, v164
	s_delay_alu instid0(VALU_DEP_2) | instskip(NEXT) | instid1(VALU_DEP_1)
	v_mul_f32_e32 v165, s5, v165
	v_bfe_u32 v166, v165, 16, 1
	v_cmp_u_f32_e64 s3, v165, v165
	s_delay_alu instid0(VALU_DEP_2) | instskip(SKIP_2) | instid1(VALU_DEP_1)
	v_add3_u32 v166, v166, v165, 0x7fff
	v_or_b32_e32 v165, 0x400000, v165
	s_wait_alu 0xf1ff
	v_cndmask_b32_e64 v165, v166, v165, s3
	v_cvt_f32_fp8_e32 v166, v168
	s_delay_alu instid0(VALU_DEP_1) | instskip(NEXT) | instid1(VALU_DEP_1)
	v_mul_f32_e32 v166, s5, v166
	v_bfe_u32 v167, v166, 16, 1
	v_cmp_u_f32_e64 s3, v166, v166
	s_delay_alu instid0(VALU_DEP_2) | instskip(SKIP_2) | instid1(VALU_DEP_1)
	v_add3_u32 v167, v167, v166, 0x7fff
	v_or_b32_e32 v166, 0x400000, v166
	s_wait_alu 0xf1ff
	v_cndmask_b32_e64 v166, v167, v166, s3
	v_cvt_f32_fp8_e32 v167, v169
	v_fmac_f32_e32 v100, v82, v101
	v_and_b32_e32 v101, 0xffff0000, v165
	s_delay_alu instid0(VALU_DEP_3) | instskip(NEXT) | instid1(VALU_DEP_2)
	v_mul_f32_e32 v167, s5, v167
	v_fmac_f32_e32 v97, v83, v101
	v_and_b32_e32 v101, 0xffff0000, v166
	s_delay_alu instid0(VALU_DEP_3) | instskip(SKIP_1) | instid1(VALU_DEP_2)
	v_bfe_u32 v168, v167, 16, 1
	v_cmp_u_f32_e64 s3, v167, v167
	v_add3_u32 v168, v168, v167, 0x7fff
	v_or_b32_e32 v167, 0x400000, v167
	s_wait_alu 0xf1ff
	s_delay_alu instid0(VALU_DEP_1) | instskip(SKIP_1) | instid1(VALU_DEP_2)
	v_cndmask_b32_e64 v167, v168, v167, s3
	v_cvt_f32_fp8_e32 v168, v170
	v_dual_fmac_f32 v96, v84, v101 :: v_dual_and_b32 v101, 0xffff0000, v167
	s_delay_alu instid0(VALU_DEP_1) | instskip(NEXT) | instid1(VALU_DEP_1)
	v_dual_mul_f32 v168, s5, v168 :: v_dual_fmac_f32 v109, v85, v101
	v_bfe_u32 v169, v168, 16, 1
	v_cmp_u_f32_e64 s3, v168, v168
	s_delay_alu instid0(VALU_DEP_2) | instskip(SKIP_2) | instid1(VALU_DEP_1)
	v_add3_u32 v169, v169, v168, 0x7fff
	v_or_b32_e32 v168, 0x400000, v168
	s_wait_alu 0xf1ff
	v_cndmask_b32_e64 v168, v169, v168, s3
	v_cvt_f32_fp8_e32 v169, v171
	s_delay_alu instid0(VALU_DEP_2) | instskip(NEXT) | instid1(VALU_DEP_2)
	v_and_b32_e32 v101, 0xffff0000, v168
	v_mul_f32_e32 v169, s5, v169
	s_delay_alu instid0(VALU_DEP_2) | instskip(NEXT) | instid1(VALU_DEP_2)
	v_fmac_f32_e32 v5, v86, v101
	v_bfe_u32 v170, v169, 16, 1
	v_cmp_u_f32_e64 s3, v169, v169
	s_delay_alu instid0(VALU_DEP_3) | instskip(NEXT) | instid1(VALU_DEP_3)
	v_add_f32_e32 v5, v109, v5
	v_add3_u32 v170, v170, v169, 0x7fff
	v_or_b32_e32 v169, 0x400000, v169
	s_wait_alu 0xf1ff
	s_delay_alu instid0(VALU_DEP_1) | instskip(SKIP_1) | instid1(VALU_DEP_1)
	v_cndmask_b32_e64 v169, v170, v169, s3
	v_cvt_f32_fp8_e32 v170, v172
	v_dual_mul_f32 v170, s5, v170 :: v_dual_and_b32 v101, 0xffff0000, v169
	s_delay_alu instid0(VALU_DEP_1) | instskip(SKIP_1) | instid1(VALU_DEP_2)
	v_bfe_u32 v171, v170, 16, 1
	v_cmp_u_f32_e64 s3, v170, v170
	v_add3_u32 v171, v171, v170, 0x7fff
	v_or_b32_e32 v170, 0x400000, v170
	s_wait_alu 0xf1ff
	s_delay_alu instid0(VALU_DEP_1) | instskip(SKIP_1) | instid1(VALU_DEP_2)
	v_cndmask_b32_e64 v170, v171, v170, s3
	v_cvt_f32_fp8_e32 v171, v173
	v_dual_fmac_f32 v6, v87, v101 :: v_dual_and_b32 v101, 0xffff0000, v170
	s_delay_alu instid0(VALU_DEP_2) | instskip(NEXT) | instid1(VALU_DEP_2)
	v_mul_f32_e32 v171, s5, v171
	v_dual_add_f32 v5, v5, v6 :: v_dual_add_nc_u32 v6, s23, v93
	s_delay_alu instid0(VALU_DEP_2) | instskip(SKIP_1) | instid1(VALU_DEP_3)
	v_bfe_u32 v172, v171, 16, 1
	v_cmp_u_f32_e64 s3, v171, v171
	v_cvt_f32_i32_e32 v6, v6
	s_delay_alu instid0(VALU_DEP_3) | instskip(SKIP_1) | instid1(VALU_DEP_3)
	v_add3_u32 v172, v172, v171, 0x7fff
	v_or_b32_e32 v171, 0x400000, v171
	v_mul_f32_e32 v6, s8, v6
	s_wait_alu 0xf1ff
	s_delay_alu instid0(VALU_DEP_2) | instskip(SKIP_2) | instid1(VALU_DEP_3)
	v_cndmask_b32_e64 v171, v172, v171, s3
	v_cvt_f32_fp8_e32 v172, v174
	v_fmac_f32_e32 v98, v88, v101
	v_dual_cndmask_b32 v6, 0, v6 :: v_dual_and_b32 v101, 0xffff0000, v171
	s_delay_alu instid0(VALU_DEP_2) | instskip(NEXT) | instid1(VALU_DEP_2)
	v_dual_mul_f32 v172, s5, v172 :: v_dual_add_f32 v5, v98, v5
	v_fmac_f32_e32 v99, v89, v101
	s_delay_alu instid0(VALU_DEP_2) | instskip(SKIP_1) | instid1(VALU_DEP_3)
	v_bfe_u32 v173, v172, 16, 1
	v_cmp_u_f32_e64 s3, v172, v172
	v_add_f32_e32 v5, v99, v5
	s_delay_alu instid0(VALU_DEP_3) | instskip(SKIP_2) | instid1(VALU_DEP_1)
	v_add3_u32 v173, v173, v172, 0x7fff
	v_or_b32_e32 v172, 0x400000, v172
	s_wait_alu 0xf1ff
	v_cndmask_b32_e64 v172, v173, v172, s3
	v_cvt_f32_fp8_e32 v173, v175
	s_delay_alu instid0(VALU_DEP_2) | instskip(NEXT) | instid1(VALU_DEP_2)
	v_and_b32_e32 v101, 0xffff0000, v172
	v_mul_f32_e32 v173, s5, v173
	s_delay_alu instid0(VALU_DEP_1) | instskip(SKIP_1) | instid1(VALU_DEP_2)
	v_bfe_u32 v174, v173, 16, 1
	v_cmp_u_f32_e64 s3, v173, v173
	v_add3_u32 v174, v174, v173, 0x7fff
	v_or_b32_e32 v173, 0x400000, v173
	s_wait_alu 0xf1ff
	s_delay_alu instid0(VALU_DEP_1) | instskip(SKIP_2) | instid1(VALU_DEP_2)
	v_cndmask_b32_e64 v173, v174, v173, s3
	v_bfe_u32 v174, v127, 16, 1
	v_cmp_u_f32_e64 s3, v127, v127
	v_add3_u32 v174, v174, v127, 0x7fff
	v_or_b32_e32 v127, 0x400000, v127
	s_wait_alu 0xf1ff
	s_delay_alu instid0(VALU_DEP_1) | instskip(SKIP_4) | instid1(VALU_DEP_3)
	v_cndmask_b32_e64 v127, v174, v127, s3
	v_fmac_f32_e32 v100, v90, v101
	v_and_b32_e32 v101, 0xffff0000, v173
	v_cmp_gt_i32_e64 s3, s27, v93
	v_add_nc_u32_e32 v93, 0x80, v93
	v_fmac_f32_e32 v97, v91, v101
	v_and_b32_e32 v101, 0xffff0000, v127
	v_add_f32_e32 v5, v100, v5
	s_delay_alu instid0(VALU_DEP_2) | instskip(NEXT) | instid1(VALU_DEP_2)
	v_fmac_f32_e32 v96, v92, v101
	v_add_f32_e32 v5, v97, v5
	s_delay_alu instid0(VALU_DEP_1) | instskip(NEXT) | instid1(VALU_DEP_1)
	v_add_f32_e32 v5, v96, v5
	v_dual_fmac_f32 v6, s9, v5 :: v_dual_max_num_f32 v5, v78, v78
	s_delay_alu instid0(VALU_DEP_1) | instskip(SKIP_2) | instid1(VALU_DEP_2)
	v_max_num_f32_e32 v5, v5, v6
	s_wait_alu 0xf1ff
	v_cndmask_b32_e64 v6, 0, v6, s3
	v_cndmask_b32_e64 v78, v78, v5, s3
	v_add_co_u32 v3, s3, v3, 16
	ds_store_b32 v94, v6
	v_add_nc_u32_e32 v94, 0x200, v94
	s_wait_alu 0xf1ff
	v_add_co_ci_u32_e64 v4, null, 0, v4, s3
	s_and_not1_b32 exec_lo, exec_lo, s11
	s_cbranch_execnz .LBB360_7
; %bb.8:
	s_or_b32 exec_lo, exec_lo, s11
.LBB360_9:
	s_delay_alu instid0(SALU_CYCLE_1)
	s_or_b32 exec_lo, exec_lo, s10
	v_mbcnt_lo_u32_b32 v1, -1, 0
	s_load_b128 s[8:11], s[0:1], 0x0
	s_wait_kmcnt 0x0
	s_clause 0x1
	s_load_b64 s[4:5], s[0:1], 0x10
	s_load_b64 s[24:25], s[0:1], 0x28
	v_xor_b32_e32 v2, 16, v1
	v_xor_b32_e32 v4, 8, v1
	s_delay_alu instid0(VALU_DEP_2) | instskip(SKIP_2) | instid1(VALU_DEP_3)
	v_cmp_gt_i32_e32 vcc_lo, 32, v2
	s_wait_alu 0xfffd
	v_cndmask_b32_e32 v2, v1, v2, vcc_lo
	v_cmp_gt_i32_e32 vcc_lo, 32, v4
	v_max_num_f32_e32 v5, v78, v78
	s_delay_alu instid0(VALU_DEP_3)
	v_lshlrev_b32_e32 v2, 2, v2
	s_wait_alu 0xfffd
	v_cndmask_b32_e32 v4, v1, v4, vcc_lo
	ds_bpermute_b32 v3, v2, v78
	s_wait_dscnt 0x0
	v_dual_max_num_f32 v6, v3, v3 :: v_dual_lshlrev_b32 v3, 2, v4
	s_delay_alu instid0(VALU_DEP_1)
	v_max_num_f32_e32 v4, v5, v6
	v_xor_b32_e32 v6, 4, v1
	ds_bpermute_b32 v5, v3, v4
	v_cmp_gt_i32_e32 vcc_lo, 32, v6
	s_wait_alu 0xfffd
	v_cndmask_b32_e32 v6, v1, v6, vcc_lo
	s_wait_dscnt 0x0
	v_max_num_f32_e32 v9, v5, v5
	s_delay_alu instid0(VALU_DEP_1)
	v_dual_max_num_f32 v4, v4, v9 :: v_dual_lshlrev_b32 v5, 2, v6
	v_xor_b32_e32 v9, 2, v1
	ds_bpermute_b32 v6, v5, v4
	v_cmp_gt_i32_e32 vcc_lo, 32, v9
	s_wait_alu 0xfffd
	v_cndmask_b32_e32 v9, v1, v9, vcc_lo
	s_delay_alu instid0(VALU_DEP_1) | instskip(SKIP_1) | instid1(VALU_DEP_1)
	v_lshlrev_b32_e32 v19, 2, v9
	v_xor_b32_e32 v9, 1, v1
	v_cmp_gt_i32_e32 vcc_lo, 32, v9
	s_wait_dscnt 0x0
	s_wait_alu 0xfffd
	v_dual_max_num_f32 v6, v6, v6 :: v_dual_cndmask_b32 v9, v1, v9
	v_cmp_eq_u32_e32 vcc_lo, 0, v16
	s_delay_alu instid0(VALU_DEP_2) | instskip(NEXT) | instid1(VALU_DEP_3)
	v_max_num_f32_e32 v4, v4, v6
	v_lshlrev_b32_e32 v18, 2, v9
	ds_bpermute_b32 v6, v19, v4
	s_wait_dscnt 0x0
	v_max_num_f32_e32 v6, v6, v6
	s_delay_alu instid0(VALU_DEP_1)
	v_dual_max_num_f32 v1, v4, v6 :: v_dual_lshlrev_b32 v6, 2, v15
	ds_bpermute_b32 v4, v18, v1
	s_and_saveexec_b32 s0, vcc_lo
	s_cbranch_execz .LBB360_11
; %bb.10:
	s_wait_dscnt 0x0
	v_dual_max_num_f32 v4, v4, v4 :: v_dual_max_num_f32 v1, v1, v1
	s_delay_alu instid0(VALU_DEP_1)
	v_max_num_f32_e32 v1, v1, v4
	ds_store_b32 v6, v1 offset:160
.LBB360_11:
	s_or_b32 exec_lo, exec_lo, s0
	v_cmp_gt_u32_e64 s0, 4, v16
	v_mov_b32_e32 v1, 0xff7fffff
	s_wait_loadcnt_dscnt 0x0
	s_barrier_signal -1
	s_barrier_wait -1
	global_inv scope:SCOPE_SE
	s_and_saveexec_b32 s1, s0
; %bb.12:
	ds_load_b32 v1, v8 offset:160
; %bb.13:
	s_or_b32 exec_lo, exec_lo, s1
	s_wait_dscnt 0x0
	ds_bpermute_b32 v4, v19, v1
	v_max_num_f32_e32 v1, v1, v1
	s_sub_co_i32 s1, s17, s31
	v_mov_b32_e32 v9, 0
	s_lshl_b32 s1, s1, 5
	s_delay_alu instid0(SALU_CYCLE_1) | instskip(NEXT) | instid1(SALU_CYCLE_1)
	s_add_co_i32 s1, s1, s28
	s_min_i32 s1, s1, s27
	s_delay_alu instid0(SALU_CYCLE_1) | instskip(SKIP_4) | instid1(VALU_DEP_1)
	s_sub_co_i32 s14, s1, s28
	s_wait_alu 0xfffe
	v_cmp_gt_i32_e64 s1, s14, v0
	s_wait_dscnt 0x0
	v_max_num_f32_e32 v4, v4, v4
	v_max_num_f32_e32 v1, v1, v4
	ds_bpermute_b32 v4, v18, v1
	s_wait_dscnt 0x0
	v_max_num_f32_e32 v4, v4, v4
	s_delay_alu instid0(VALU_DEP_1)
	v_max_num_f32_e32 v1, v1, v4
	v_lshl_add_u32 v4, v0, 2, 0xc0
	ds_bpermute_b32 v1, v9, v1
	s_and_saveexec_b32 s23, s1
	s_cbranch_execz .LBB360_17
; %bb.14:
	v_lshl_add_u32 v10, v0, 2, 0xc0
	v_mov_b32_e32 v9, 0
	v_mov_b32_e32 v11, v0
	s_mov_b32 s31, 0
.LBB360_15:                             ; =>This Inner Loop Header: Depth=1
	ds_load_b32 v12, v10
	v_add_nc_u32_e32 v11, 0x80, v11
	s_delay_alu instid0(VALU_DEP_1) | instskip(SKIP_4) | instid1(VALU_DEP_1)
	v_cmp_le_i32_e64 s3, s14, v11
	s_wait_alu 0xfffe
	s_or_b32 s31, s3, s31
	s_wait_dscnt 0x0
	v_sub_f32_e32 v12, v12, v1
	v_mul_f32_e32 v12, 0x3fb8aa3b, v12
	s_delay_alu instid0(VALU_DEP_1)
	v_exp_f32_e32 v12, v12
	ds_store_b32 v10, v12
	v_dual_add_f32 v9, v9, v12 :: v_dual_add_nc_u32 v10, 0x200, v10
	s_wait_alu 0xfffe
	s_and_not1_b32 exec_lo, exec_lo, s31
	s_cbranch_execnz .LBB360_15
; %bb.16:
	s_or_b32 exec_lo, exec_lo, s31
.LBB360_17:
	s_wait_alu 0xfffe
	s_or_b32 exec_lo, exec_lo, s23
	ds_bpermute_b32 v2, v2, v9
	s_wait_dscnt 0x0
	v_add_f32_e32 v2, v9, v2
	ds_bpermute_b32 v3, v3, v2
	s_wait_dscnt 0x0
	v_add_f32_e32 v2, v2, v3
	ds_bpermute_b32 v3, v5, v2
	s_wait_dscnt 0x0
	v_add_f32_e32 v2, v2, v3
	ds_bpermute_b32 v3, v19, v2
	s_wait_dscnt 0x0
	v_add_f32_e32 v2, v2, v3
	ds_bpermute_b32 v3, v18, v2
	s_wait_dscnt 0x0
	v_add_f32_e32 v2, v2, v3
	s_and_saveexec_b32 s3, vcc_lo
; %bb.18:
	ds_store_b32 v6, v2 offset:176
; %bb.19:
	s_wait_alu 0xfffe
	s_or_b32 exec_lo, exec_lo, s3
	s_wait_loadcnt_dscnt 0x0
	s_barrier_signal -1
	s_barrier_wait -1
	global_inv scope:SCOPE_SE
	s_and_saveexec_b32 s3, s0
; %bb.20:
	ds_load_b32 v2, v8 offset:176
; %bb.21:
	s_wait_alu 0xfffe
	s_or_b32 exec_lo, exec_lo, s3
	s_wait_dscnt 0x0
	ds_bpermute_b32 v3, v19, v2
	s_wait_dscnt 0x0
	v_add_f32_e32 v2, v2, v3
	ds_bpermute_b32 v3, v18, v2
	s_wait_dscnt 0x0
	v_dual_add_f32 v2, v2, v3 :: v_dual_mov_b32 v3, 0
	ds_bpermute_b32 v2, v3, v2
	s_and_saveexec_b32 s0, s1
	s_cbranch_execz .LBB360_24
; %bb.22:
	s_wait_dscnt 0x0
	v_add_f32_e32 v3, 0x358637bd, v2
	s_mov_b32 s1, 0
	s_delay_alu instid0(VALU_DEP_1) | instskip(SKIP_1) | instid1(VALU_DEP_2)
	v_div_scale_f32 v5, null, v3, v3, 1.0
	v_div_scale_f32 v9, vcc_lo, 1.0, v3, 1.0
	v_rcp_f32_e32 v6, v5
	s_delay_alu instid0(TRANS32_DEP_1) | instskip(NEXT) | instid1(VALU_DEP_1)
	v_fma_f32 v8, -v5, v6, 1.0
	v_fmac_f32_e32 v6, v8, v6
	s_delay_alu instid0(VALU_DEP_1) | instskip(NEXT) | instid1(VALU_DEP_1)
	v_mul_f32_e32 v8, v9, v6
	v_fma_f32 v10, -v5, v8, v9
	s_delay_alu instid0(VALU_DEP_1) | instskip(NEXT) | instid1(VALU_DEP_1)
	v_fmac_f32_e32 v8, v10, v6
	v_fma_f32 v5, -v5, v8, v9
	s_wait_alu 0xfffd
	s_delay_alu instid0(VALU_DEP_1) | instskip(NEXT) | instid1(VALU_DEP_1)
	v_div_fmas_f32 v5, v5, v6, v8
	v_div_fixup_f32 v3, v5, v3, 1.0
	v_mov_b32_e32 v5, v0
.LBB360_23:                             ; =>This Inner Loop Header: Depth=1
	ds_load_b32 v6, v4
	s_wait_dscnt 0x0
	v_dual_mul_f32 v6, v3, v6 :: v_dual_add_nc_u32 v5, 0x80, v5
	s_delay_alu instid0(VALU_DEP_1) | instskip(SKIP_3) | instid1(SALU_CYCLE_1)
	v_cmp_le_i32_e32 vcc_lo, s14, v5
	ds_store_b32 v4, v6
	v_add_nc_u32_e32 v4, 0x200, v4
	s_or_b32 s1, vcc_lo, s1
	s_and_not1_b32 exec_lo, exec_lo, s1
	s_cbranch_execnz .LBB360_23
.LBB360_24:
	s_or_b32 exec_lo, exec_lo, s0
	s_mul_i32 s0, s12, s15
	s_wait_loadcnt_dscnt 0x0
	s_mul_i32 s14, s0, s29
	s_mov_b32 s0, exec_lo
	s_barrier_signal -1
	s_barrier_wait -1
	global_inv scope:SCOPE_SE
	v_cmpx_eq_u32_e32 0, v0
	s_cbranch_execz .LBB360_26
; %bb.25:
	s_wait_alu 0xfffe
	s_ashr_i32 s15, s14, 31
	s_mul_i32 s34, s12, ttmp9
	s_lshl_b32 s1, s26, 2
	s_wait_alu 0xfffe
	s_lshl_b64 s[36:37], s[14:15], 2
	s_ashr_i32 s35, s34, 31
	v_mov_b32_e32 v3, s1
	s_add_nc_u64 s[10:11], s[10:11], s[36:37]
	s_lshl_b64 s[34:35], s[34:35], 2
	s_add_nc_u64 s[8:9], s[8:9], s[36:37]
	s_add_nc_u64 s[10:11], s[10:11], s[34:35]
	s_wait_alu 0xfffe
	s_add_nc_u64 s[8:9], s[8:9], s[34:35]
	s_clause 0x1
	global_store_b32 v3, v1, s[10:11]
	global_store_b32 v3, v2, s[8:9]
.LBB360_26:
	s_or_b32 exec_lo, exec_lo, s0
	v_dual_mov_b32 v28, 0 :: v_dual_mov_b32 v29, 0
	v_dual_mov_b32 v27, 0 :: v_dual_and_b32 v20, 3, v0
	v_dual_mov_b32 v30, 0 :: v_dual_mov_b32 v25, 0
	v_dual_mov_b32 v26, 0 :: v_dual_mov_b32 v23, 0
	;; [unrolled: 1-line block ×3, first 2 shown]
	v_mov_b32_e32 v22, 0
	s_and_saveexec_b32 s1, s2
	s_cbranch_execz .LBB360_50
; %bb.27:
	s_load_b32 s2, s[6:7], 0x0
	v_dual_mov_b32 v22, 0 :: v_dual_lshlrev_b32 v1, 3, v0
	v_dual_mov_b32 v21, 0 :: v_dual_lshlrev_b32 v2, 5, v20
	s_ashr_i32 s23, s22, 31
	s_delay_alu instid0(VALU_DEP_2)
	v_dual_mov_b32 v24, 0 :: v_dual_and_b32 v3, 24, v1
	v_dual_mov_b32 v26, 0 :: v_dual_and_b32 v1, 0xf8, v1
	s_wait_kmcnt 0x0
	s_wait_alu 0xfffe
	s_add_nc_u64 s[8:9], s[24:25], s[22:23]
	s_lshl_b64 s[6:7], s[20:21], 2
	v_lshl_add_u32 v4, v15, 5, s28
	v_lshl_or_b32 v2, v15, 7, v2
	s_wait_alu 0xfffe
	v_add_co_u32 v9, s0, s8, v1
	s_add_nc_u64 s[6:7], s[18:19], s[6:7]
	s_wait_alu 0xf1ff
	v_add_co_ci_u32_e64 v10, null, s9, 0, s0
	v_add_co_u32 v11, s0, s6, v7
	v_add3_u32 v31, v4, v3, 7
	v_dual_mov_b32 v23, 0 :: v_dual_add_nc_u32 v32, 0xc0, v2
	s_wait_alu 0xf1ff
	v_add_co_ci_u32_e64 v12, null, s7, 0, s0
	v_dual_mov_b32 v25, 0 :: v_dual_mov_b32 v30, 0
	v_dual_mov_b32 v27, 0 :: v_dual_mov_b32 v28, 0
	v_mov_b32_e32 v29, 0
	s_mov_b32 s3, s13
	s_add_co_i32 s30, s30, -1
	s_mov_b32 s6, 0
	s_branch .LBB360_29
.LBB360_28:                             ;   in Loop: Header=BB360_29 Depth=1
	s_wait_alu 0xfffe
	s_or_b32 exec_lo, exec_lo, s0
	s_wait_dscnt 0x1
	v_bfe_u32 v63, v5, 16, 1
	v_bfe_u32 v66, v6, 16, 1
	v_or_b32_e32 v67, 0x400000, v5
	v_cmp_u_f32_e32 vcc_lo, v5, v5
	v_or_b32_e32 v68, 0x400000, v6
	v_add3_u32 v63, v63, v5, 0x7fff
	v_bfe_u32 v69, v7, 16, 1
	v_add3_u32 v66, v66, v6, 0x7fff
	v_bfe_u32 v70, v8, 16, 1
	v_lshlrev_b32_e32 v111, 16, v111
	s_wait_alu 0xfffd
	v_cndmask_b32_e32 v5, v63, v67, vcc_lo
	v_cmp_u_f32_e32 vcc_lo, v6, v6
	v_add3_u32 v63, v69, v7, 0x7fff
	v_add3_u32 v67, v70, v8, 0x7fff
	s_wait_dscnt 0x0
	v_bfe_u32 v69, v1, 16, 1
	v_or_b32_e32 v70, 0x400000, v4
	s_wait_alu 0xfffd
	v_cndmask_b32_e32 v6, v66, v68, vcc_lo
	v_or_b32_e32 v66, 0x400000, v7
	v_cmp_u_f32_e32 vcc_lo, v7, v7
	v_or_b32_e32 v68, 0x400000, v8
	v_lshlrev_b32_e32 v105, 16, v105
	v_lshlrev_b32_e32 v104, 16, v104
	;; [unrolled: 1-line block ×3, first 2 shown]
	s_wait_alu 0xfffd
	v_cndmask_b32_e32 v7, v63, v66, vcc_lo
	v_cmp_u_f32_e32 vcc_lo, v8, v8
	v_bfe_u32 v63, v2, 16, 1
	v_add3_u32 v66, v69, v1, 0x7fff
	v_bfe_u32 v69, v3, 16, 1
	s_wait_alu 0xfffd
	v_dual_cndmask_b32 v8, v67, v68 :: v_dual_lshlrev_b32 v95, 16, v95
	v_or_b32_e32 v67, 0x400000, v1
	v_cmp_u_f32_e32 vcc_lo, v1, v1
	v_add3_u32 v63, v63, v2, 0x7fff
	v_or_b32_e32 v68, 0x400000, v2
	v_and_b32_e32 v1, 0xffff0000, v6
	v_lshlrev_b32_e32 v6, 16, v117
	s_wait_alu 0xfffd
	v_cndmask_b32_e32 v66, v66, v67, vcc_lo
	v_cmp_u_f32_e32 vcc_lo, v2, v2
	v_add3_u32 v2, v69, v3, 0x7fff
	v_bfe_u32 v67, v4, 16, 1
	v_dual_mul_f32 v6, v1, v6 :: v_dual_and_b32 v5, 0xffff0000, v5
	s_wait_alu 0xfffd
	v_cndmask_b32_e32 v63, v63, v68, vcc_lo
	v_or_b32_e32 v69, 0x400000, v3
	v_cmp_u_f32_e32 vcc_lo, v3, v3
	v_lshlrev_b32_e32 v68, 16, v116
	v_add3_u32 v67, v67, v4, 0x7fff
	v_bfe_u32 v3, v6, 16, 1
	s_wait_alu 0xfffd
	v_dual_cndmask_b32 v69, v2, v69 :: v_dual_lshlrev_b32 v84, 16, v84
	v_mul_f32_e32 v68, v5, v68
	v_cmp_u_f32_e32 vcc_lo, v4, v4
	v_and_b32_e32 v2, 0xffff0000, v8
	v_lshlrev_b32_e32 v8, 16, v115
	v_add3_u32 v3, v3, v6, 0x7fff
	s_wait_alu 0xfffd
	v_dual_cndmask_b32 v4, v67, v70 :: v_dual_lshlrev_b32 v81, 16, v81
	v_or_b32_e32 v70, 0x400000, v6
	v_dual_mul_f32 v115, v2, v8 :: v_dual_and_b32 v8, 0xffff0000, v7
	v_lshlrev_b32_e32 v7, 16, v114
	v_bfe_u32 v67, v68, 16, 1
	v_cmp_u_f32_e32 vcc_lo, v6, v6
	v_or_b32_e32 v71, 0x400000, v68
	s_delay_alu instid0(VALU_DEP_4) | instskip(NEXT) | instid1(VALU_DEP_4)
	v_dual_mul_f32 v7, v8, v7 :: v_dual_and_b32 v4, 0xffff0000, v4
	v_add3_u32 v67, v67, v68, 0x7fff
	s_wait_alu 0xfffd
	v_cndmask_b32_e32 v70, v3, v70, vcc_lo
	v_cmp_u_f32_e32 vcc_lo, v68, v68
	v_bfe_u32 v68, v115, 16, 1
	v_and_b32_e32 v6, 0xffff0000, v66
	v_dual_mul_f32 v111, v4, v111 :: v_dual_lshlrev_b32 v66, 16, v112
	s_wait_alu 0xfffd
	v_cndmask_b32_e32 v67, v67, v71, vcc_lo
	v_and_b32_e32 v3, 0xffff0000, v63
	v_add3_u32 v68, v68, v115, 0x7fff
	v_or_b32_e32 v71, 0x400000, v115
	v_cmp_u_f32_e32 vcc_lo, v115, v115
	v_lshlrev_b32_e32 v63, 16, v113
	v_bfe_u32 v112, v7, 16, 1
	v_dual_mul_f32 v66, v6, v66 :: v_dual_and_b32 v67, 0xffff0000, v67
	s_wait_alu 0xfffd
	v_cndmask_b32_e32 v68, v68, v71, vcc_lo
	v_mul_f32_e32 v63, v3, v63
	v_add3_u32 v71, v112, v7, 0x7fff
	v_or_b32_e32 v112, 0x400000, v7
	v_cmp_u_f32_e32 vcc_lo, v7, v7
	v_bfe_u32 v114, v66, 16, 1
	v_bfe_u32 v113, v63, 16, 1
	v_and_b32_e32 v68, 0xffff0000, v68
	v_bfe_u32 v115, v111, 16, 1
	s_wait_alu 0xfffd
	v_cndmask_b32_e32 v71, v71, v112, vcc_lo
	v_cmp_u_f32_e32 vcc_lo, v63, v63
	v_add3_u32 v112, v113, v63, 0x7fff
	v_or_b32_e32 v113, 0x400000, v63
	v_add3_u32 v114, v114, v66, 0x7fff
	v_and_b32_e32 v71, 0xffff0000, v71
	v_dual_mul_f32 v105, v3, v105 :: v_dual_lshlrev_b32 v106, 16, v106
	s_wait_alu 0xfffd
	v_cndmask_b32_e32 v63, v112, v113, vcc_lo
	v_cmp_u_f32_e32 vcc_lo, v66, v66
	v_or_b32_e32 v112, 0x400000, v111
	v_and_b32_e32 v7, 0xffff0000, v69
	v_lshlrev_b32_e32 v69, 16, v110
	v_or_b32_e32 v110, 0x400000, v66
	v_dual_mul_f32 v106, v8, v106 :: v_dual_and_b32 v63, 0xffff0000, v63
	v_lshlrev_b32_e32 v80, 16, v80
	s_wait_alu 0xfffd
	s_delay_alu instid0(VALU_DEP_3)
	v_dual_cndmask_b32 v66, v114, v110 :: v_dual_lshlrev_b32 v79, 16, v79
	v_add3_u32 v110, v115, v111, 0x7fff
	v_cmp_u_f32_e32 vcc_lo, v111, v111
	v_lshlrev_b32_e32 v62, 16, v62
	v_lshlrev_b32_e32 v61, 16, v61
	v_and_b32_e32 v66, 0xffff0000, v66
	s_wait_alu 0xfffd
	v_dual_cndmask_b32 v110, v110, v112 :: v_dual_lshlrev_b32 v49, 16, v49
	v_lshlrev_b32_e32 v42, 16, v42
	v_lshlrev_b32_e32 v43, 16, v43
	v_dual_add_f32 v63, v66, v63 :: v_dual_lshlrev_b32 v66, 16, v108
	s_delay_alu instid0(VALU_DEP_4) | instskip(NEXT) | instid1(VALU_DEP_3)
	v_dual_mul_f32 v49, v7, v49 :: v_dual_lshlrev_b32 v36, 16, v36
	v_mul_f32_e32 v43, v6, v43
	s_delay_alu instid0(VALU_DEP_3) | instskip(SKIP_4) | instid1(VALU_DEP_3)
	v_dual_mul_f32 v66, v5, v66 :: v_dual_lshlrev_b32 v41, 16, v41
	v_add_f32_e32 v68, v71, v68
	v_dual_mul_f32 v69, v7, v69 :: v_dual_mul_f32 v104, v6, v104
	v_dual_mul_f32 v95, v4, v95 :: v_dual_lshlrev_b32 v96, 16, v96
	v_dual_mul_f32 v81, v4, v81 :: v_dual_lshlrev_b32 v82, 16, v82
	v_bfe_u32 v113, v69, 16, 1
	v_or_b32_e32 v112, 0x400000, v69
	v_cmp_u_f32_e32 vcc_lo, v69, v69
	v_or_b32_e32 v108, 0x400000, v104
	v_dual_mul_f32 v82, v6, v82 :: v_dual_lshlrev_b32 v83, 16, v83
	v_add3_u32 v111, v113, v69, 0x7fff
	v_dual_mul_f32 v41, v7, v41 :: v_dual_and_b32 v70, 0xffff0000, v70
	s_delay_alu instid0(VALU_DEP_3)
	v_mul_f32_e32 v83, v3, v83
	v_lshlrev_b32_e32 v39, 16, v39
	s_wait_alu 0xfffd
	v_cndmask_b32_e32 v69, v111, v112, vcc_lo
	v_add_f32_e32 v67, v67, v70
	v_lshlrev_b32_e32 v13, 16, v13
	v_lshlrev_b32_e32 v37, 16, v37
	v_mul_f32_e32 v39, v5, v39
	v_lshlrev_b32_e32 v35, 16, v35
	v_dual_add_f32 v67, v68, v67 :: v_dual_lshlrev_b32 v70, 16, v109
	s_delay_alu instid0(VALU_DEP_4) | instskip(NEXT) | instid1(VALU_DEP_3)
	v_dual_mul_f32 v37, v8, v37 :: v_dual_lshlrev_b32 v14, 16, v14
	v_mul_f32_e32 v35, v6, v35
	s_delay_alu instid0(VALU_DEP_3)
	v_dual_add_f32 v63, v63, v67 :: v_dual_mul_f32 v68, v1, v70
	v_lshlrev_b32_e32 v67, 16, v107
	v_and_b32_e32 v70, 0xffff0000, v110
	v_bfe_u32 v107, v66, 16, 1
	v_lshlrev_b32_e32 v33, 16, v33
	v_bfe_u32 v71, v68, 16, 1
	v_cmp_u_f32_e32 vcc_lo, v68, v68
	v_and_b32_e32 v69, 0xffff0000, v69
	v_mul_f32_e32 v67, v2, v67
	v_mul_f32_e32 v33, v7, v33
	v_add_nc_u32_e32 v17, 4, v17
	v_add_co_u32 v11, s0, v11, 16
	v_add_f32_e32 v69, v69, v70
	v_add3_u32 v70, v71, v68, 0x7fff
	v_or_b32_e32 v71, 0x400000, v68
	v_add_nc_u32_e32 v31, 0x80, v31
	s_wait_alu 0xf1ff
	v_add_co_ci_u32_e64 v12, null, 0, v12, s0
	s_wait_alu 0xfffd
	v_dual_cndmask_b32 v68, v70, v71 :: v_dual_lshlrev_b32 v97, 16, v97
	v_add3_u32 v70, v107, v66, 0x7fff
	v_or_b32_e32 v71, 0x400000, v66
	v_bfe_u32 v107, v67, 16, 1
	v_cmp_u_f32_e32 vcc_lo, v66, v66
	v_mul_f32_e32 v84, v8, v84
	v_mul_f32_e32 v80, v7, v80
	v_lshlrev_b32_e32 v78, 16, v78
	v_lshlrev_b32_e32 v72, 16, v72
	s_wait_alu 0xfffd
	v_cndmask_b32_e32 v66, v70, v71, vcc_lo
	v_add3_u32 v70, v107, v67, 0x7fff
	v_or_b32_e32 v71, 0x400000, v67
	v_bfe_u32 v107, v106, 16, 1
	v_cmp_u_f32_e32 vcc_lo, v67, v67
	v_dual_add_f32 v63, v69, v63 :: v_dual_and_b32 v66, 0xffff0000, v66
	v_lshlrev_b32_e32 v76, 16, v76
	s_wait_alu 0xfffd
	v_dual_cndmask_b32 v67, v70, v71 :: v_dual_lshlrev_b32 v74, 16, v74
	v_add3_u32 v70, v107, v106, 0x7fff
	v_or_b32_e32 v71, 0x400000, v106
	v_bfe_u32 v107, v105, 16, 1
	v_cmp_u_f32_e32 vcc_lo, v106, v106
	v_and_b32_e32 v67, 0xffff0000, v67
	v_add_f32_e32 v22, v22, v63
	v_lshlrev_b32_e32 v64, 16, v64
	v_add3_u32 v106, v107, v105, 0x7fff
	s_wait_alu 0xfffd
	v_cndmask_b32_e32 v70, v70, v71, vcc_lo
	v_or_b32_e32 v107, 0x400000, v105
	v_cmp_u_f32_e32 vcc_lo, v105, v105
	v_lshlrev_b32_e32 v102, 16, v102
	v_bfe_u32 v71, v104, 16, 1
	v_and_b32_e32 v70, 0xffff0000, v70
	s_wait_alu 0xfffd
	v_dual_cndmask_b32 v105, v106, v107 :: v_dual_and_b32 v68, 0xffff0000, v68
	v_dual_mul_f32 v102, v7, v102 :: v_dual_lshlrev_b32 v103, 16, v103
	v_add3_u32 v71, v71, v104, 0x7fff
	v_cmp_u_f32_e32 vcc_lo, v104, v104
	v_add_f32_e32 v67, v70, v67
	s_delay_alu instid0(VALU_DEP_4)
	v_mul_f32_e32 v103, v4, v103
	v_bfe_u32 v106, v102, 16, 1
	v_add_f32_e32 v66, v66, v68
	s_wait_alu 0xfffd
	v_cndmask_b32_e32 v71, v71, v108, vcc_lo
	v_or_b32_e32 v108, 0x400000, v102
	v_bfe_u32 v109, v103, 16, 1
	v_add3_u32 v106, v106, v102, 0x7fff
	v_cmp_u_f32_e32 vcc_lo, v102, v102
	v_or_b32_e32 v107, 0x400000, v103
	v_and_b32_e32 v68, 0xffff0000, v71
	v_add3_u32 v104, v109, v103, 0x7fff
	s_wait_alu 0xfffd
	v_dual_cndmask_b32 v71, v106, v108 :: v_dual_and_b32 v70, 0xffff0000, v105
	v_cmp_u_f32_e32 vcc_lo, v103, v103
	v_add_f32_e32 v66, v67, v66
	v_mul_f32_e32 v62, v2, v62
	s_delay_alu instid0(VALU_DEP_4) | instskip(SKIP_3) | instid1(VALU_DEP_3)
	v_dual_add_f32 v67, v68, v70 :: v_dual_lshlrev_b32 v68, 16, v101
	s_wait_alu 0xfffd
	v_cndmask_b32_e32 v102, v104, v107, vcc_lo
	v_and_b32_e32 v70, 0xffff0000, v71
	v_dual_add_f32 v66, v67, v66 :: v_dual_lshlrev_b32 v71, 16, v100
	v_mul_f32_e32 v64, v5, v64
	v_lshlrev_b32_e32 v58, 16, v58
	s_delay_alu instid0(VALU_DEP_3) | instskip(SKIP_2) | instid1(VALU_DEP_4)
	v_dual_mul_f32 v67, v5, v71 :: v_dual_lshlrev_b32 v60, 16, v60
	v_lshlrev_b32_e32 v65, 16, v65
	v_lshlrev_b32_e32 v56, 16, v56
	v_mul_f32_e32 v58, v4, v58
	s_delay_alu instid0(VALU_DEP_4) | instskip(SKIP_4) | instid1(VALU_DEP_4)
	v_mul_f32_e32 v60, v3, v60
	v_bfe_u32 v63, v67, 16, 1
	v_mul_f32_e32 v65, v1, v65
	v_dual_mul_f32 v56, v1, v56 :: v_dual_lshlrev_b32 v57, 16, v57
	v_lshlrev_b32_e32 v50, 16, v50
	v_add3_u32 v63, v63, v67, 0x7fff
	v_and_b32_e32 v100, 0xffff0000, v102
	v_lshlrev_b32_e32 v52, 16, v52
	s_delay_alu instid0(VALU_DEP_4) | instskip(SKIP_1) | instid1(VALU_DEP_4)
	v_dual_mul_f32 v50, v4, v50 :: v_dual_lshlrev_b32 v55, 16, v55
	v_lshlrev_b32_e32 v48, 16, v48
	v_dual_add_f32 v69, v70, v100 :: v_dual_lshlrev_b32 v70, 16, v99
	v_mul_f32_e32 v68, v1, v68
	v_or_b32_e32 v99, 0x400000, v67
	v_mul_f32_e32 v52, v3, v52
	s_delay_alu instid0(VALU_DEP_4) | instskip(SKIP_4) | instid1(VALU_DEP_4)
	v_add_f32_e32 v66, v69, v66
	v_mul_f32_e32 v69, v2, v70
	v_bfe_u32 v71, v68, 16, 1
	v_cmp_u_f32_e32 vcc_lo, v68, v68
	v_dual_mul_f32 v48, v1, v48 :: v_dual_lshlrev_b32 v53, 16, v53
	v_bfe_u32 v100, v69, 16, 1
	s_delay_alu instid0(VALU_DEP_4) | instskip(SKIP_1) | instid1(VALU_DEP_4)
	v_add3_u32 v70, v71, v68, 0x7fff
	v_or_b32_e32 v71, 0x400000, v68
	v_mul_f32_e32 v53, v8, v53
	v_mul_f32_e32 v42, v4, v42
	v_lshlrev_b32_e32 v46, 16, v46
	v_lshlrev_b32_e32 v51, 16, v51
	s_wait_alu 0xfffd
	v_cndmask_b32_e32 v68, v70, v71, vcc_lo
	v_cmp_u_f32_e32 vcc_lo, v67, v67
	v_mul_f32_e32 v67, v8, v98
	v_add3_u32 v70, v100, v69, 0x7fff
	v_or_b32_e32 v71, 0x400000, v69
	v_bfe_u32 v100, v95, 16, 1
	s_wait_alu 0xfffd
	v_cndmask_b32_e32 v63, v63, v99, vcc_lo
	v_cmp_u_f32_e32 vcc_lo, v69, v69
	v_bfe_u32 v98, v67, 16, 1
	v_mul_f32_e32 v46, v2, v46
	v_dual_mul_f32 v51, v6, v51 :: v_dual_lshlrev_b32 v44, 16, v44
	s_wait_alu 0xfffd
	v_dual_cndmask_b32 v69, v70, v71 :: v_dual_mul_f32 v70, v3, v97
	v_mul_f32_e32 v71, v6, v96
	v_add3_u32 v96, v98, v67, 0x7fff
	v_or_b32_e32 v97, 0x400000, v67
	v_cmp_u_f32_e32 vcc_lo, v67, v67
	v_bfe_u32 v98, v70, 16, 1
	v_bfe_u32 v99, v71, 16, 1
	v_and_b32_e32 v63, 0xffff0000, v63
	v_and_b32_e32 v69, 0xffff0000, v69
	s_wait_alu 0xfffd
	v_cndmask_b32_e32 v67, v96, v97, vcc_lo
	v_add3_u32 v96, v98, v70, 0x7fff
	v_or_b32_e32 v97, 0x400000, v70
	v_cmp_u_f32_e32 vcc_lo, v70, v70
	v_add3_u32 v98, v99, v71, 0x7fff
	v_or_b32_e32 v99, 0x400000, v71
	v_add_f32_e32 v23, v23, v66
	v_mul_f32_e32 v44, v3, v44
	s_wait_alu 0xfffd
	v_cndmask_b32_e32 v70, v96, v97, vcc_lo
	v_cmp_u_f32_e32 vcc_lo, v71, v71
	v_add3_u32 v96, v100, v95, 0x7fff
	v_or_b32_e32 v97, 0x400000, v95
	v_lshlrev_b32_e32 v40, 16, v40
	s_wait_alu 0xfffd
	v_dual_cndmask_b32 v71, v98, v99 :: v_dual_and_b32 v70, 0xffff0000, v70
	v_cmp_u_f32_e32 vcc_lo, v95, v95
	v_lshlrev_b32_e32 v94, 16, v94
	v_and_b32_e32 v67, 0xffff0000, v67
	v_and_b32_e32 v68, 0xffff0000, v68
	s_wait_alu 0xfffd
	v_dual_mul_f32 v40, v1, v40 :: v_dual_cndmask_b32 v95, v96, v97
	v_mul_f32_e32 v94, v7, v94
	v_add_f32_e32 v67, v67, v69
	v_dual_add_f32 v63, v63, v68 :: v_dual_and_b32 v68, 0xffff0000, v71
	v_lshlrev_b32_e32 v69, 16, v90
	s_delay_alu instid0(VALU_DEP_4) | instskip(SKIP_1) | instid1(VALU_DEP_4)
	v_bfe_u32 v96, v94, 16, 1
	v_or_b32_e32 v90, 0x400000, v94
	v_dual_add_f32 v63, v67, v63 :: v_dual_add_f32 v68, v68, v70
	v_cmp_u_f32_e32 vcc_lo, v94, v94
	s_delay_alu instid0(VALU_DEP_4)
	v_add3_u32 v71, v96, v94, 0x7fff
	v_mul_f32_e32 v67, v1, v69
	v_lshlrev_b32_e32 v69, 16, v88
	v_add_f32_e32 v63, v68, v63
	v_bfe_u32 v96, v80, 16, 1
	s_wait_alu 0xfffd
	v_cndmask_b32_e32 v70, v71, v90, vcc_lo
	v_bfe_u32 v71, v67, 16, 1
	v_dual_mul_f32 v68, v5, v69 :: v_dual_lshlrev_b32 v69, 16, v86
	v_or_b32_e32 v86, 0x400000, v67
	s_delay_alu instid0(VALU_DEP_4) | instskip(NEXT) | instid1(VALU_DEP_4)
	v_and_b32_e32 v70, 0xffff0000, v70
	v_add3_u32 v71, v71, v67, 0x7fff
	s_delay_alu instid0(VALU_DEP_4)
	v_bfe_u32 v88, v68, 16, 1
	v_mul_f32_e32 v69, v2, v69
	v_cmp_u_f32_e32 vcc_lo, v67, v67
	v_or_b32_e32 v90, 0x400000, v82
	v_bfe_u32 v94, v81, 16, 1
	v_mul_f32_e32 v36, v3, v36
	v_lshlrev_b32_e32 v38, 16, v38
	s_wait_alu 0xfffd
	v_cndmask_b32_e32 v67, v71, v86, vcc_lo
	v_add3_u32 v71, v88, v68, 0x7fff
	v_or_b32_e32 v86, 0x400000, v68
	v_bfe_u32 v88, v69, 16, 1
	v_cmp_u_f32_e32 vcc_lo, v68, v68
	v_and_b32_e32 v67, 0xffff0000, v67
	v_dual_mul_f32 v38, v2, v38 :: v_dual_lshlrev_b32 v47, 16, v47
	v_lshlrev_b32_e32 v34, 16, v34
	s_wait_alu 0xfffd
	v_cndmask_b32_e32 v68, v71, v86, vcc_lo
	v_add3_u32 v71, v88, v69, 0x7fff
	v_or_b32_e32 v86, 0x400000, v69
	v_bfe_u32 v88, v84, 16, 1
	v_cmp_u_f32_e32 vcc_lo, v69, v69
	v_dual_mul_f32 v47, v5, v47 :: v_dual_and_b32 v68, 0xffff0000, v68
	v_dual_mul_f32 v34, v4, v34 :: v_dual_lshlrev_b32 v45, 16, v45
	s_wait_alu 0xfffd
	v_cndmask_b32_e32 v69, v71, v86, vcc_lo
	v_add3_u32 v71, v88, v84, 0x7fff
	v_or_b32_e32 v86, 0x400000, v84
	v_bfe_u32 v88, v83, 16, 1
	v_cmp_u_f32_e32 vcc_lo, v84, v84
	v_bfe_u32 v84, v82, 16, 1
	v_and_b32_e32 v69, 0xffff0000, v69
	v_add_f32_e32 v67, v68, v67
	v_mul_f32_e32 v45, v8, v45
	s_wait_alu 0xfffd
	v_cndmask_b32_e32 v71, v71, v86, vcc_lo
	v_add3_u32 v86, v88, v83, 0x7fff
	v_or_b32_e32 v88, 0x400000, v83
	v_cmp_u_f32_e32 vcc_lo, v83, v83
	v_add3_u32 v84, v84, v82, 0x7fff
	v_add_nc_u32_e32 v32, 0x200, v32
	s_wait_alu 0xfffd
	v_cndmask_b32_e32 v83, v86, v88, vcc_lo
	v_cmp_u_f32_e32 vcc_lo, v82, v82
	v_add3_u32 v86, v96, v80, 0x7fff
	v_or_b32_e32 v88, 0x400000, v80
	s_wait_alu 0xfffd
	v_cndmask_b32_e32 v82, v84, v90, vcc_lo
	v_cmp_u_f32_e32 vcc_lo, v80, v80
	v_add3_u32 v84, v94, v81, 0x7fff
	v_or_b32_e32 v90, 0x400000, v81
	s_wait_alu 0xfffd
	v_dual_cndmask_b32 v80, v86, v88 :: v_dual_and_b32 v71, 0xffff0000, v71
	v_cmp_u_f32_e32 vcc_lo, v81, v81
	s_delay_alu instid0(VALU_DEP_2) | instskip(SKIP_3) | instid1(VALU_DEP_2)
	v_dual_add_f32 v68, v71, v69 :: v_dual_and_b32 v69, 0xffff0000, v82
	s_wait_alu 0xfffd
	v_dual_cndmask_b32 v81, v84, v90 :: v_dual_and_b32 v82, 0xffff0000, v95
	v_and_b32_e32 v71, 0xffff0000, v83
	v_dual_add_f32 v67, v68, v67 :: v_dual_add_f32 v70, v70, v82
	s_delay_alu instid0(VALU_DEP_1) | instskip(NEXT) | instid1(VALU_DEP_1)
	v_dual_add_f32 v63, v70, v63 :: v_dual_mul_f32 v70, v5, v78
	v_add_f32_e32 v24, v24, v63
	s_delay_alu instid0(VALU_DEP_4) | instskip(SKIP_1) | instid1(VALU_DEP_4)
	v_dual_add_f32 v68, v69, v71 :: v_dual_and_b32 v69, 0xffff0000, v80
	v_and_b32_e32 v71, 0xffff0000, v81
	v_bfe_u32 v63, v70, 16, 1
	s_delay_alu instid0(VALU_DEP_3) | instskip(NEXT) | instid1(VALU_DEP_3)
	v_add_f32_e32 v67, v68, v67
	v_add_f32_e32 v68, v69, v71
	v_mul_f32_e32 v69, v1, v79
	s_delay_alu instid0(VALU_DEP_4) | instskip(SKIP_1) | instid1(VALU_DEP_4)
	v_add3_u32 v63, v63, v70, 0x7fff
	v_or_b32_e32 v71, 0x400000, v70
	v_add_f32_e32 v66, v68, v67
	s_delay_alu instid0(VALU_DEP_4) | instskip(SKIP_2) | instid1(VALU_DEP_4)
	v_bfe_u32 v67, v69, 16, 1
	v_lshlrev_b32_e32 v68, 16, v77
	v_cmp_u_f32_e32 vcc_lo, v69, v69
	v_add_f32_e32 v25, v25, v66
	s_delay_alu instid0(VALU_DEP_4) | instskip(SKIP_3) | instid1(VALU_DEP_2)
	v_add3_u32 v66, v67, v69, 0x7fff
	v_or_b32_e32 v67, 0x400000, v69
	v_mul_f32_e32 v68, v2, v68
	s_wait_alu 0xfffd
	v_dual_mul_f32 v69, v8, v76 :: v_dual_cndmask_b32 v66, v66, v67
	s_delay_alu instid0(VALU_DEP_2) | instskip(SKIP_2) | instid1(VALU_DEP_4)
	v_bfe_u32 v67, v68, 16, 1
	v_cmp_u_f32_e32 vcc_lo, v70, v70
	v_lshlrev_b32_e32 v70, 16, v75
	v_bfe_u32 v75, v69, 16, 1
	v_and_b32_e32 v66, 0xffff0000, v66
	v_add3_u32 v67, v67, v68, 0x7fff
	s_wait_alu 0xfffd
	v_cndmask_b32_e32 v63, v63, v71, vcc_lo
	v_or_b32_e32 v71, 0x400000, v68
	v_mul_f32_e32 v70, v3, v70
	v_cmp_u_f32_e32 vcc_lo, v68, v68
	v_mul_f32_e32 v68, v6, v74
	v_or_b32_e32 v74, 0x400000, v69
	v_and_b32_e32 v63, 0xffff0000, v63
	s_wait_alu 0xfffd
	v_cndmask_b32_e32 v67, v67, v71, vcc_lo
	v_add3_u32 v71, v75, v69, 0x7fff
	v_bfe_u32 v75, v70, 16, 1
	v_cmp_u_f32_e32 vcc_lo, v69, v69
	v_bfe_u32 v76, v68, 16, 1
	v_and_b32_e32 v67, 0xffff0000, v67
	v_add_f32_e32 v63, v63, v66
	s_wait_alu 0xfffd
	v_cndmask_b32_e32 v69, v71, v74, vcc_lo
	v_add3_u32 v71, v75, v70, 0x7fff
	v_or_b32_e32 v74, 0x400000, v70
	v_cmp_u_f32_e32 vcc_lo, v70, v70
	v_add3_u32 v75, v76, v68, 0x7fff
	v_or_b32_e32 v76, 0x400000, v68
	s_wait_alu 0xfffd
	v_dual_cndmask_b32 v70, v71, v74 :: v_dual_and_b32 v69, 0xffff0000, v69
	v_cmp_u_f32_e32 vcc_lo, v68, v68
	s_delay_alu instid0(VALU_DEP_2) | instskip(SKIP_1) | instid1(VALU_DEP_1)
	v_dual_add_f32 v66, v69, v67 :: v_dual_lshlrev_b32 v73, 16, v73
	s_wait_alu 0xfffd
	v_dual_cndmask_b32 v68, v75, v76 :: v_dual_mul_f32 v73, v4, v73
	s_delay_alu instid0(VALU_DEP_2) | instskip(NEXT) | instid1(VALU_DEP_2)
	v_dual_add_f32 v63, v66, v63 :: v_dual_mul_f32 v4, v4, v13
	v_and_b32_e32 v67, 0xffff0000, v68
	s_delay_alu instid0(VALU_DEP_3) | instskip(SKIP_3) | instid1(VALU_DEP_4)
	v_bfe_u32 v77, v73, 16, 1
	v_or_b32_e32 v74, 0x400000, v73
	v_cmp_u_f32_e32 vcc_lo, v73, v73
	v_dual_mul_f32 v71, v7, v72 :: v_dual_and_b32 v68, 0xffff0000, v70
	v_add3_u32 v72, v77, v73, 0x7fff
	v_or_b32_e32 v70, 0x400000, v64
	s_delay_alu instid0(VALU_DEP_3) | instskip(SKIP_1) | instid1(VALU_DEP_3)
	v_add_f32_e32 v66, v67, v68
	s_wait_alu 0xfffd
	v_cndmask_b32_e32 v72, v72, v74, vcc_lo
	v_bfe_u32 v75, v71, 16, 1
	v_or_b32_e32 v74, 0x400000, v71
	v_cmp_u_f32_e32 vcc_lo, v71, v71
	s_delay_alu instid0(VALU_DEP_4) | instskip(NEXT) | instid1(VALU_DEP_4)
	v_dual_add_f32 v63, v66, v63 :: v_dual_and_b32 v68, 0xffff0000, v72
	v_add3_u32 v73, v75, v71, 0x7fff
	v_bfe_u32 v66, v64, 16, 1
	v_bfe_u32 v71, v58, 16, 1
	s_wait_alu 0xfffd
	s_delay_alu instid0(VALU_DEP_3) | instskip(SKIP_2) | instid1(VALU_DEP_3)
	v_cndmask_b32_e32 v69, v73, v74, vcc_lo
	v_cmp_u_f32_e32 vcc_lo, v65, v65
	v_add3_u32 v66, v66, v64, 0x7fff
	v_and_b32_e32 v67, 0xffff0000, v69
	v_bfe_u32 v69, v65, 16, 1
	s_delay_alu instid0(VALU_DEP_2) | instskip(NEXT) | instid1(VALU_DEP_2)
	v_add_f32_e32 v67, v67, v68
	v_add3_u32 v68, v69, v65, 0x7fff
	v_or_b32_e32 v69, 0x400000, v65
	s_wait_alu 0xfffd
	s_delay_alu instid0(VALU_DEP_1) | instskip(SKIP_4) | instid1(VALU_DEP_3)
	v_cndmask_b32_e32 v65, v68, v69, vcc_lo
	v_bfe_u32 v68, v62, 16, 1
	v_cmp_u_f32_e32 vcc_lo, v64, v64
	s_wait_alu 0xfffd
	v_cndmask_b32_e32 v64, v66, v70, vcc_lo
	v_add3_u32 v66, v68, v62, 0x7fff
	v_or_b32_e32 v68, 0x400000, v62
	v_cmp_u_f32_e32 vcc_lo, v62, v62
	s_delay_alu instid0(VALU_DEP_4) | instskip(SKIP_1) | instid1(VALU_DEP_3)
	v_and_b32_e32 v64, 0xffff0000, v64
	s_wait_alu 0xfffd
	v_dual_cndmask_b32 v62, v66, v68 :: v_dual_and_b32 v65, 0xffff0000, v65
	v_mul_f32_e32 v61, v8, v61
	s_delay_alu instid0(VALU_DEP_2) | instskip(NEXT) | instid1(VALU_DEP_3)
	v_add_f32_e32 v64, v64, v65
	v_and_b32_e32 v62, 0xffff0000, v62
	s_delay_alu instid0(VALU_DEP_3) | instskip(SKIP_2) | instid1(VALU_DEP_3)
	v_bfe_u32 v69, v61, 16, 1
	v_or_b32_e32 v68, 0x400000, v61
	v_cmp_u_f32_e32 vcc_lo, v61, v61
	v_add3_u32 v66, v69, v61, 0x7fff
	v_bfe_u32 v69, v60, 16, 1
	s_wait_alu 0xfffd
	s_delay_alu instid0(VALU_DEP_2) | instskip(NEXT) | instid1(VALU_DEP_2)
	v_cndmask_b32_e32 v61, v66, v68, vcc_lo
	v_add3_u32 v66, v69, v60, 0x7fff
	v_or_b32_e32 v68, 0x400000, v60
	v_cmp_u_f32_e32 vcc_lo, v60, v60
	s_wait_alu 0xfffd
	s_delay_alu instid0(VALU_DEP_2) | instskip(SKIP_3) | instid1(VALU_DEP_4)
	v_cndmask_b32_e32 v60, v66, v68, vcc_lo
	v_add3_u32 v66, v71, v58, 0x7fff
	v_or_b32_e32 v68, 0x400000, v58
	v_lshlrev_b32_e32 v59, 16, v59
	v_dual_mul_f32 v57, v7, v57 :: v_dual_and_b32 v60, 0xffff0000, v60
	v_mul_f32_e32 v7, v7, v14
	s_delay_alu instid0(VALU_DEP_3) | instskip(NEXT) | instid1(VALU_DEP_1)
	v_mul_f32_e32 v59, v6, v59
	v_bfe_u32 v70, v59, 16, 1
	v_cmp_u_f32_e32 vcc_lo, v59, v59
	s_delay_alu instid0(VALU_DEP_2) | instskip(SKIP_2) | instid1(VALU_DEP_1)
	v_add3_u32 v69, v70, v59, 0x7fff
	v_or_b32_e32 v70, 0x400000, v59
	s_wait_alu 0xfffd
	v_cndmask_b32_e32 v59, v69, v70, vcc_lo
	v_bfe_u32 v69, v57, 16, 1
	v_cmp_u_f32_e32 vcc_lo, v58, v58
	s_wait_alu 0xfffd
	s_delay_alu instid0(VALU_DEP_3) | instskip(NEXT) | instid1(VALU_DEP_3)
	v_dual_cndmask_b32 v58, v66, v68 :: v_dual_and_b32 v59, 0xffff0000, v59
	v_add3_u32 v66, v69, v57, 0x7fff
	v_or_b32_e32 v68, 0x400000, v57
	v_cmp_u_f32_e32 vcc_lo, v57, v57
	s_wait_alu 0xfffd
	s_delay_alu instid0(VALU_DEP_2) | instskip(SKIP_3) | instid1(VALU_DEP_1)
	v_dual_cndmask_b32 v57, v66, v68 :: v_dual_and_b32 v58, 0xffff0000, v58
	v_cmp_u_f32_e32 vcc_lo, v56, v56
	v_add_f32_e32 v59, v59, v60
	v_dual_add_f32 v60, v67, v63 :: v_dual_and_b32 v61, 0xffff0000, v61
	v_dual_add_f32 v26, v26, v60 :: v_dual_and_b32 v57, 0xffff0000, v57
	s_delay_alu instid0(VALU_DEP_2) | instskip(NEXT) | instid1(VALU_DEP_2)
	v_add_f32_e32 v61, v61, v62
	v_add_f32_e32 v57, v57, v58
	v_bfe_u32 v58, v56, 16, 1
	v_bfe_u32 v62, v50, 16, 1
	s_delay_alu instid0(VALU_DEP_4) | instskip(NEXT) | instid1(VALU_DEP_1)
	v_add_f32_e32 v61, v61, v64
	v_add_f32_e32 v59, v59, v61
	s_delay_alu instid0(VALU_DEP_1) | instskip(SKIP_2) | instid1(VALU_DEP_3)
	v_dual_add_f32 v54, v57, v59 :: v_dual_lshlrev_b32 v61, 16, v54
	v_add3_u32 v57, v58, v56, 0x7fff
	v_or_b32_e32 v58, 0x400000, v56
	v_add_f32_e32 v27, v27, v54
	s_wait_alu 0xfffd
	s_delay_alu instid0(VALU_DEP_2) | instskip(NEXT) | instid1(VALU_DEP_1)
	v_cndmask_b32_e32 v56, v57, v58, vcc_lo
	v_dual_mul_f32 v55, v5, v55 :: v_dual_and_b32 v56, 0xffff0000, v56
	s_delay_alu instid0(VALU_DEP_1) | instskip(SKIP_1) | instid1(VALU_DEP_2)
	v_bfe_u32 v60, v55, 16, 1
	v_cmp_u_f32_e32 vcc_lo, v55, v55
	v_add3_u32 v59, v60, v55, 0x7fff
	v_mul_f32_e32 v60, v2, v61
	v_or_b32_e32 v61, 0x400000, v55
	s_delay_alu instid0(VALU_DEP_2) | instskip(SKIP_1) | instid1(VALU_DEP_2)
	v_bfe_u32 v57, v60, 16, 1
	s_wait_alu 0xfffd
	v_cndmask_b32_e32 v55, v59, v61, vcc_lo
	v_or_b32_e32 v58, 0x400000, v60
	v_bfe_u32 v59, v53, 16, 1
	v_cmp_u_f32_e32 vcc_lo, v60, v60
	v_add3_u32 v57, v57, v60, 0x7fff
	v_bfe_u32 v60, v52, 16, 1
	v_bfe_u32 v61, v51, 16, 1
	v_and_b32_e32 v55, 0xffff0000, v55
	s_wait_alu 0xfffd
	v_cndmask_b32_e32 v57, v57, v58, vcc_lo
	v_add3_u32 v58, v59, v53, 0x7fff
	v_or_b32_e32 v59, 0x400000, v53
	v_cmp_u_f32_e32 vcc_lo, v53, v53
	v_add_f32_e32 v55, v55, v56
	v_bfe_u32 v56, v46, 16, 1
	s_wait_alu 0xfffd
	v_cndmask_b32_e32 v53, v58, v59, vcc_lo
	v_add3_u32 v58, v60, v52, 0x7fff
	v_or_b32_e32 v59, 0x400000, v52
	v_cmp_u_f32_e32 vcc_lo, v52, v52
	v_add3_u32 v60, v61, v51, 0x7fff
	v_or_b32_e32 v61, 0x400000, v51
	s_wait_alu 0xfffd
	v_dual_cndmask_b32 v52, v58, v59 :: v_dual_and_b32 v53, 0xffff0000, v53
	v_cmp_u_f32_e32 vcc_lo, v51, v51
	v_add3_u32 v58, v62, v50, 0x7fff
	v_or_b32_e32 v59, 0x400000, v50
	s_wait_alu 0xfffd
	v_dual_cndmask_b32 v51, v60, v61 :: v_dual_and_b32 v52, 0xffff0000, v52
	v_bfe_u32 v60, v49, 16, 1
	v_cmp_u_f32_e32 vcc_lo, v50, v50
	s_delay_alu instid0(VALU_DEP_3)
	v_and_b32_e32 v51, 0xffff0000, v51
	s_wait_alu 0xfffd
	v_cndmask_b32_e32 v50, v58, v59, vcc_lo
	v_add3_u32 v58, v60, v49, 0x7fff
	v_or_b32_e32 v59, 0x400000, v49
	v_cmp_u_f32_e32 vcc_lo, v49, v49
	s_delay_alu instid0(VALU_DEP_4) | instskip(SKIP_4) | instid1(VALU_DEP_2)
	v_dual_add_f32 v51, v51, v52 :: v_dual_and_b32 v50, 0xffff0000, v50
	v_bfe_u32 v52, v48, 16, 1
	s_wait_alu 0xfffd
	v_cndmask_b32_e32 v49, v58, v59, vcc_lo
	v_cmp_u_f32_e32 vcc_lo, v48, v48
	v_and_b32_e32 v49, 0xffff0000, v49
	s_delay_alu instid0(VALU_DEP_1) | instskip(SKIP_3) | instid1(VALU_DEP_1)
	v_add_f32_e32 v49, v49, v50
	v_add3_u32 v50, v52, v48, 0x7fff
	v_or_b32_e32 v52, 0x400000, v48
	s_wait_alu 0xfffd
	v_dual_cndmask_b32 v48, v50, v52 :: v_dual_and_b32 v57, 0xffff0000, v57
	v_cmp_u_f32_e32 vcc_lo, v47, v47
	v_add3_u32 v50, v56, v46, 0x7fff
	v_or_b32_e32 v52, 0x400000, v46
	s_delay_alu instid0(VALU_DEP_4) | instskip(SKIP_1) | instid1(VALU_DEP_2)
	v_dual_add_f32 v53, v53, v57 :: v_dual_and_b32 v48, 0xffff0000, v48
	v_bfe_u32 v56, v42, 16, 1
	v_add_f32_e32 v53, v53, v55
	v_or_b32_e32 v55, 0x400000, v47
	s_delay_alu instid0(VALU_DEP_2) | instskip(SKIP_1) | instid1(VALU_DEP_1)
	v_add_f32_e32 v51, v51, v53
	v_bfe_u32 v53, v47, 16, 1
	v_add3_u32 v53, v53, v47, 0x7fff
	s_wait_alu 0xfffd
	s_delay_alu instid0(VALU_DEP_1)
	v_cndmask_b32_e32 v47, v53, v55, vcc_lo
	v_bfe_u32 v53, v45, 16, 1
	v_cmp_u_f32_e32 vcc_lo, v46, v46
	v_bfe_u32 v55, v43, 16, 1
	s_wait_alu 0xfffd
	v_dual_cndmask_b32 v46, v50, v52 :: v_dual_and_b32 v47, 0xffff0000, v47
	v_add3_u32 v50, v53, v45, 0x7fff
	v_or_b32_e32 v52, 0x400000, v45
	v_bfe_u32 v53, v44, 16, 1
	v_cmp_u_f32_e32 vcc_lo, v45, v45
	v_dual_add_f32 v47, v47, v48 :: v_dual_and_b32 v46, 0xffff0000, v46
	v_or_b32_e32 v48, 0x400000, v41
	s_wait_alu 0xfffd
	v_cndmask_b32_e32 v45, v50, v52, vcc_lo
	v_add3_u32 v50, v53, v44, 0x7fff
	v_or_b32_e32 v52, 0x400000, v44
	v_cmp_u_f32_e32 vcc_lo, v44, v44
	v_add3_u32 v53, v55, v43, 0x7fff
	v_or_b32_e32 v55, 0x400000, v43
	s_wait_alu 0xfffd
	v_dual_cndmask_b32 v44, v50, v52 :: v_dual_and_b32 v45, 0xffff0000, v45
	v_cmp_u_f32_e32 vcc_lo, v43, v43
	v_add3_u32 v50, v56, v42, 0x7fff
	v_or_b32_e32 v52, 0x400000, v42
	s_delay_alu instid0(VALU_DEP_4) | instskip(SKIP_3) | instid1(VALU_DEP_3)
	v_dual_add_f32 v45, v45, v46 :: v_dual_and_b32 v44, 0xffff0000, v44
	s_wait_alu 0xfffd
	v_cndmask_b32_e32 v43, v53, v55, vcc_lo
	v_cmp_u_f32_e32 vcc_lo, v42, v42
	v_add_f32_e32 v45, v45, v47
	v_or_b32_e32 v47, 0x400000, v38
	s_wait_alu 0xfffd
	v_dual_cndmask_b32 v42, v50, v52 :: v_dual_and_b32 v43, 0xffff0000, v43
	v_bfe_u32 v50, v41, 16, 1
	v_cmp_u_f32_e32 vcc_lo, v41, v41
	s_delay_alu instid0(VALU_DEP_3) | instskip(SKIP_1) | instid1(VALU_DEP_4)
	v_add_f32_e32 v43, v43, v44
	v_bfe_u32 v44, v40, 16, 1
	v_add3_u32 v46, v50, v41, 0x7fff
	s_delay_alu instid0(VALU_DEP_3) | instskip(NEXT) | instid1(VALU_DEP_3)
	v_dual_add_f32 v43, v43, v45 :: v_dual_and_b32 v42, 0xffff0000, v42
	v_add3_u32 v44, v44, v40, 0x7fff
	s_wait_alu 0xfffd
	s_delay_alu instid0(VALU_DEP_3) | instskip(SKIP_4) | instid1(VALU_DEP_3)
	v_cndmask_b32_e32 v41, v46, v48, vcc_lo
	v_or_b32_e32 v45, 0x400000, v40
	v_bfe_u32 v46, v39, 16, 1
	v_cmp_u_f32_e32 vcc_lo, v40, v40
	s_wait_alu 0xfffd
	v_cndmask_b32_e32 v40, v44, v45, vcc_lo
	v_bfe_u32 v44, v38, 16, 1
	v_add3_u32 v45, v46, v39, 0x7fff
	v_or_b32_e32 v46, 0x400000, v39
	v_cmp_u_f32_e32 vcc_lo, v39, v39
	v_and_b32_e32 v40, 0xffff0000, v40
	v_add3_u32 v44, v44, v38, 0x7fff
	s_wait_alu 0xfffd
	v_cndmask_b32_e32 v39, v45, v46, vcc_lo
	v_bfe_u32 v45, v37, 16, 1
	v_cmp_u_f32_e32 vcc_lo, v38, v38
	v_or_b32_e32 v46, 0x400000, v37
	s_delay_alu instid0(VALU_DEP_3)
	v_add3_u32 v45, v45, v37, 0x7fff
	s_wait_alu 0xfffd
	v_cndmask_b32_e32 v38, v44, v47, vcc_lo
	v_bfe_u32 v44, v36, 16, 1
	v_cmp_u_f32_e32 vcc_lo, v37, v37
	v_or_b32_e32 v47, 0x400000, v36
	s_delay_alu instid0(VALU_DEP_4) | instskip(NEXT) | instid1(VALU_DEP_4)
	v_and_b32_e32 v38, 0xffff0000, v38
	v_add3_u32 v44, v44, v36, 0x7fff
	s_wait_alu 0xfffd
	v_cndmask_b32_e32 v37, v45, v46, vcc_lo
	v_bfe_u32 v45, v35, 16, 1
	v_cmp_u_f32_e32 vcc_lo, v36, v36
	v_bfe_u32 v46, v34, 16, 1
	s_wait_alu 0xfffd
	v_cndmask_b32_e32 v36, v44, v47, vcc_lo
	v_add3_u32 v44, v45, v35, 0x7fff
	v_or_b32_e32 v45, 0x400000, v35
	v_cmp_u_f32_e32 vcc_lo, v35, v35
	v_add3_u32 v46, v46, v34, 0x7fff
	v_and_b32_e32 v36, 0xffff0000, v36
	v_or_b32_e32 v47, 0x400000, v34
	s_wait_alu 0xfffd
	v_cndmask_b32_e32 v35, v44, v45, vcc_lo
	v_cmp_u_f32_e32 vcc_lo, v34, v34
	v_bfe_u32 v44, v33, 16, 1
	v_or_b32_e32 v45, 0x400000, v33
	s_delay_alu instid0(VALU_DEP_4)
	v_and_b32_e32 v35, 0xffff0000, v35
	s_wait_alu 0xfffd
	v_cndmask_b32_e32 v34, v46, v47, vcc_lo
	v_lshlrev_b32_e32 v46, 16, v93
	v_add3_u32 v44, v44, v33, 0x7fff
	v_cmp_u_f32_e32 vcc_lo, v33, v33
	v_dual_add_f32 v35, v35, v36 :: v_dual_lshlrev_b32 v36, 16, v91
	v_and_b32_e32 v39, 0xffff0000, v39
	v_mul_f32_e32 v5, v5, v46
	s_wait_alu 0xfffd
	v_cndmask_b32_e32 v33, v44, v45, vcc_lo
	v_mul_f32_e32 v8, v8, v36
	v_dual_add_f32 v39, v39, v40 :: v_dual_lshlrev_b32 v36, 16, v89
	v_cmp_u_f32_e32 vcc_lo, v5, v5
	s_delay_alu instid0(VALU_DEP_2) | instskip(SKIP_1) | instid1(VALU_DEP_1)
	v_dual_mul_f32 v2, v2, v36 :: v_dual_and_b32 v33, 0xffff0000, v33
	v_lshlrev_b32_e32 v36, 16, v87
	v_dual_mul_f32 v6, v6, v36 :: v_dual_and_b32 v37, 0xffff0000, v37
	s_delay_alu instid0(VALU_DEP_1) | instskip(SKIP_1) | instid1(VALU_DEP_3)
	v_dual_add_f32 v37, v37, v38 :: v_dual_lshlrev_b32 v38, 16, v92
	v_lshlrev_b32_e32 v36, 16, v85
	v_or_b32_e32 v13, 0x400000, v6
	s_delay_alu instid0(VALU_DEP_3) | instskip(SKIP_3) | instid1(VALU_DEP_3)
	v_add_f32_e32 v37, v37, v39
	v_bfe_u32 v39, v5, 16, 1
	v_mul_f32_e32 v1, v1, v38
	v_mul_f32_e32 v3, v3, v36
	v_add3_u32 v38, v39, v5, 0x7fff
	v_or_b32_e32 v39, 0x400000, v5
	s_delay_alu instid0(VALU_DEP_4) | instskip(NEXT) | instid1(VALU_DEP_4)
	v_bfe_u32 v40, v1, 16, 1
	v_bfe_u32 v36, v3, 16, 1
	s_wait_alu 0xfffd
	s_delay_alu instid0(VALU_DEP_3) | instskip(NEXT) | instid1(VALU_DEP_3)
	v_cndmask_b32_e32 v5, v38, v39, vcc_lo
	v_add3_u32 v38, v40, v1, 0x7fff
	v_or_b32_e32 v39, 0x400000, v1
	v_bfe_u32 v40, v8, 16, 1
	v_cmp_u_f32_e32 vcc_lo, v1, v1
	v_add3_u32 v14, v36, v3, 0x7fff
	v_or_b32_e32 v36, 0x400000, v3
	v_and_b32_e32 v5, 0xffff0000, v5
	s_wait_alu 0xfffd
	v_cndmask_b32_e32 v1, v38, v39, vcc_lo
	v_add3_u32 v38, v40, v8, 0x7fff
	v_or_b32_e32 v39, 0x400000, v8
	v_bfe_u32 v40, v2, 16, 1
	v_cmp_u_f32_e32 vcc_lo, v8, v8
	s_wait_alu 0xfffd
	s_delay_alu instid0(VALU_DEP_3) | instskip(NEXT) | instid1(VALU_DEP_3)
	v_dual_cndmask_b32 v8, v38, v39 :: v_dual_and_b32 v1, 0xffff0000, v1
	v_add3_u32 v38, v40, v2, 0x7fff
	v_or_b32_e32 v39, 0x400000, v2
	v_bfe_u32 v40, v6, 16, 1
	v_cmp_u_f32_e32 vcc_lo, v2, v2
	v_and_b32_e32 v41, 0xffff0000, v41
	v_dual_add_f32 v1, v5, v1 :: v_dual_and_b32 v8, 0xffff0000, v8
	s_wait_alu 0xfffd
	v_cndmask_b32_e32 v2, v38, v39, vcc_lo
	v_add3_u32 v38, v40, v6, 0x7fff
	v_cmp_u_f32_e32 vcc_lo, v6, v6
	v_bfe_u32 v40, v4, 16, 1
	v_bfe_u32 v39, v7, 16, 1
	v_and_b32_e32 v2, 0xffff0000, v2
	s_wait_alu 0xfffd
	v_cndmask_b32_e32 v6, v38, v13, vcc_lo
	v_cmp_u_f32_e32 vcc_lo, v3, v3
	v_add3_u32 v13, v39, v7, 0x7fff
	v_or_b32_e32 v38, 0x400000, v7
	v_add_f32_e32 v2, v8, v2
	v_and_b32_e32 v5, 0xffff0000, v6
	s_wait_alu 0xfffd
	v_cndmask_b32_e32 v3, v14, v36, vcc_lo
	v_add3_u32 v14, v40, v4, 0x7fff
	v_or_b32_e32 v36, 0x400000, v4
	v_cmp_u_f32_e32 vcc_lo, v4, v4
	v_add_f32_e32 v1, v2, v1
	s_wait_alu 0xfffd
	s_delay_alu instid0(VALU_DEP_3) | instskip(SKIP_1) | instid1(VALU_DEP_2)
	v_dual_cndmask_b32 v4, v14, v36 :: v_dual_and_b32 v3, 0xffff0000, v3
	v_cmp_u_f32_e32 vcc_lo, v7, v7
	v_dual_add_f32 v2, v5, v3 :: v_dual_and_b32 v7, 0xffff0000, v34
	v_add_f32_e32 v5, v41, v42
	s_wait_alu 0xfffd
	v_dual_cndmask_b32 v6, v13, v38 :: v_dual_and_b32 v3, 0xffff0000, v4
	s_delay_alu instid0(VALU_DEP_3) | instskip(SKIP_2) | instid1(VALU_DEP_4)
	v_add_f32_e32 v7, v33, v7
	v_add_f32_e32 v1, v2, v1
	v_cmp_le_i32_e32 vcc_lo, s17, v17
	v_and_b32_e32 v4, 0xffff0000, v6
	v_add_f32_e32 v6, v35, v37
	s_or_b32 s6, vcc_lo, s6
	s_delay_alu instid0(VALU_DEP_2) | instskip(SKIP_1) | instid1(VALU_DEP_3)
	v_add_f32_e32 v2, v4, v3
	v_add_f32_e32 v3, v49, v51
	v_dual_add_f32 v4, v5, v43 :: v_dual_add_f32 v5, v7, v6
	s_delay_alu instid0(VALU_DEP_3) | instskip(NEXT) | instid1(VALU_DEP_2)
	v_add_f32_e32 v1, v2, v1
	v_dual_add_f32 v29, v29, v3 :: v_dual_add_f32 v30, v30, v4
	s_delay_alu instid0(VALU_DEP_3) | instskip(NEXT) | instid1(VALU_DEP_3)
	v_add_f32_e32 v28, v28, v5
	v_add_f32_e32 v21, v21, v1
	s_wait_alu 0xfffe
	s_and_not1_b32 exec_lo, exec_lo, s6
	s_cbranch_execz .LBB360_49
.LBB360_29:                             ; =>This Inner Loop Header: Depth=1
	global_load_b32 v1, v[11:12], off
	s_wait_alu 0xfffe
	v_cmp_eq_u32_e32 vcc_lo, s30, v17
	v_add_nc_u32_e32 v66, -2, v31
	v_add_nc_u32_e32 v71, -1, v31
	s_wait_loadcnt 0x0
	v_mad_co_i64_i32 v[13:14], null, v1, s3, v[9:10]
	global_load_b64 v[33:34], v[13:14], off
	ds_load_2addr_b64 v[5:8], v32 offset1:1
	ds_load_2addr_b64 v[1:4], v32 offset0:2 offset1:3
	s_wait_loadcnt 0x0
	v_and_b32_e32 v38, 0xff, v34
	v_bfe_u32 v39, v34, 8, 8
	v_bfe_u32 v40, v34, 16, 8
	v_lshrrev_b32_e32 v34, 24, v34
	v_bfe_u32 v36, v33, 8, 8
	v_bfe_u32 v37, v33, 16, 8
	v_cvt_f32_fp8_e32 v39, v39
	v_cvt_f32_fp8_e32 v40, v40
	;; [unrolled: 1-line block ×3, first 2 shown]
	v_and_b32_e32 v35, 0xff, v33
	v_cvt_f32_fp8_e32 v36, v36
	v_add_nc_u32_e32 v63, -7, v31
	v_lshrrev_b32_e32 v33, 24, v33
	v_mul_f32_e32 v34, s2, v34
	v_cvt_f32_fp8_e32 v35, v35
	v_cvt_f32_fp8_e32 v37, v37
	v_mul_f32_e32 v36, s2, v36
	v_add_nc_u32_e32 v70, -6, v31
	v_cvt_f32_fp8_e32 v33, v33
	v_mul_f32_e32 v35, s2, v35
	v_mul_f32_e32 v37, s2, v37
	v_bfe_u32 v43, v36, 16, 1
	s_delay_alu instid0(VALU_DEP_4) | instskip(NEXT) | instid1(VALU_DEP_4)
	v_dual_mul_f32 v33, s2, v33 :: v_dual_add_nc_u32 v68, -4, v31
	v_bfe_u32 v41, v35, 16, 1
	v_or_b32_e32 v42, 0x400000, v35
	v_cmp_u_f32_e64 s0, v35, v35
	v_cvt_f32_fp8_e32 v38, v38
	v_or_b32_e32 v44, 0x400000, v36
	v_add3_u32 v41, v41, v35, 0x7fff
	v_bfe_u32 v45, v37, 16, 1
	v_add3_u32 v43, v43, v36, 0x7fff
	v_dual_mul_f32 v38, s2, v38 :: v_dual_add_nc_u32 v69, -5, v31
	s_wait_alu 0xf1ff
	v_cndmask_b32_e64 v35, v41, v42, s0
	v_cmp_u_f32_e64 s0, v36, v36
	v_or_b32_e32 v46, 0x400000, v37
	v_bfe_u32 v47, v33, 16, 1
	v_add3_u32 v45, v45, v37, 0x7fff
	v_mul_f32_e32 v39, s2, v39
	s_wait_alu 0xf1ff
	v_cndmask_b32_e64 v36, v43, v44, s0
	v_cmp_u_f32_e64 s0, v37, v37
	v_or_b32_e32 v48, 0x400000, v33
	v_bfe_u32 v49, v38, 16, 1
	v_add3_u32 v47, v47, v33, 0x7fff
	v_dual_mul_f32 v40, s2, v40 :: v_dual_add_nc_u32 v67, -3, v31
	s_wait_alu 0xf1ff
	v_cndmask_b32_e64 v37, v45, v46, s0
	v_cmp_u_f32_e64 s0, v33, v33
	v_or_b32_e32 v50, 0x400000, v38
	v_bfe_u32 v51, v39, 16, 1
	v_add3_u32 v49, v49, v38, 0x7fff
	v_or_b32_e32 v52, 0x400000, v39
	s_wait_alu 0xf1ff
	v_cndmask_b32_e64 v33, v47, v48, s0
	v_cmp_u_f32_e64 s0, v38, v38
	v_bfe_u32 v53, v40, 16, 1
	v_add3_u32 v51, v51, v39, 0x7fff
	v_or_b32_e32 v54, 0x400000, v40
	v_bfe_u32 v55, v34, 16, 1
	s_wait_alu 0xf1ff
	v_cndmask_b32_e64 v41, v49, v50, s0
	v_cmp_u_f32_e64 s0, v39, v39
	v_add3_u32 v53, v53, v40, 0x7fff
	v_or_b32_e32 v56, 0x400000, v34
	v_add3_u32 v55, v55, v34, 0x7fff
	v_lshrrev_b32_e32 v39, 16, v35
	s_wait_alu 0xf1ff
	v_cndmask_b32_e64 v42, v51, v52, s0
	v_cmp_u_f32_e64 s0, v40, v40
	v_lshrrev_b32_e32 v40, 16, v36
	v_lshrrev_b32_e32 v37, 16, v37
	;; [unrolled: 1-line block ×4, first 2 shown]
	s_wait_alu 0xf1ff
	v_cndmask_b32_e64 v43, v53, v54, s0
	v_cmp_u_f32_e64 s0, v34, v34
	v_lshrrev_b32_e32 v36, 16, v42
	s_delay_alu instid0(VALU_DEP_3) | instskip(SKIP_1) | instid1(VALU_DEP_3)
	v_lshrrev_b32_e32 v33, 16, v43
	s_wait_alu 0xf1ff
	v_cndmask_b32_e64 v34, v55, v56, s0
	s_delay_alu instid0(VALU_DEP_1)
	v_lshrrev_b32_e32 v34, 16, v34
	s_and_saveexec_b32 s7, vcc_lo
	s_cbranch_execz .LBB360_31
; %bb.30:                               ;   in Loop: Header=BB360_29 Depth=1
	v_cmp_gt_i32_e64 s0, s27, v63
	s_wait_alu 0xf1ff
	s_delay_alu instid0(VALU_DEP_1) | instskip(SKIP_2) | instid1(VALU_DEP_1)
	v_cndmask_b32_e64 v39, 0, v39, s0
	v_cmp_gt_i32_e64 s0, s27, v70
	s_wait_alu 0xf1ff
	v_cndmask_b32_e64 v40, 0, v40, s0
	v_cmp_gt_i32_e64 s0, s27, v69
	s_wait_alu 0xf1ff
	s_delay_alu instid0(VALU_DEP_1) | instskip(SKIP_2) | instid1(VALU_DEP_1)
	v_cndmask_b32_e64 v37, 0, v37, s0
	v_cmp_gt_i32_e64 s0, s27, v68
	s_wait_alu 0xf1ff
	v_cndmask_b32_e64 v38, 0, v38, s0
	;; [unrolled: 7-line block ×4, first 2 shown]
.LBB360_31:                             ;   in Loop: Header=BB360_29 Depth=1
	s_wait_alu 0xfffe
	s_or_b32 exec_lo, exec_lo, s7
	global_load_b64 v[41:42], v[13:14], off offset:256
	s_wait_loadcnt 0x0
	v_bfe_u32 v44, v41, 8, 8
	v_bfe_u32 v45, v41, 16, 8
	;; [unrolled: 1-line block ×4, first 2 shown]
	s_delay_alu instid0(VALU_DEP_4)
	v_cvt_f32_fp8_e32 v44, v44
	v_and_b32_e32 v43, 0xff, v41
	v_lshrrev_b32_e32 v41, 24, v41
	v_cvt_f32_fp8_e32 v45, v45
	v_cvt_f32_fp8_e32 v48, v48
	v_mul_f32_e32 v44, s2, v44
	v_cvt_f32_fp8_e32 v43, v43
	v_and_b32_e32 v46, 0xff, v42
	v_cvt_f32_fp8_e32 v41, v41
	v_lshrrev_b32_e32 v42, 24, v42
	v_bfe_u32 v51, v44, 16, 1
	v_mul_f32_e32 v43, s2, v43
	v_cvt_f32_fp8_e32 v46, v46
	v_mul_f32_e32 v45, s2, v45
	v_dual_mul_f32 v41, s2, v41 :: v_dual_mul_f32 v48, s2, v48
	s_delay_alu instid0(VALU_DEP_4)
	v_bfe_u32 v49, v43, 16, 1
	v_or_b32_e32 v50, 0x400000, v43
	v_cmp_u_f32_e64 s0, v43, v43
	v_mul_f32_e32 v46, s2, v46
	v_or_b32_e32 v52, 0x400000, v44
	v_add3_u32 v49, v49, v43, 0x7fff
	v_bfe_u32 v53, v45, 16, 1
	v_add3_u32 v51, v51, v44, 0x7fff
	v_cvt_f32_fp8_e32 v47, v47
	v_or_b32_e32 v54, 0x400000, v45
	s_wait_alu 0xf1ff
	v_cndmask_b32_e64 v43, v49, v50, s0
	v_cmp_u_f32_e64 s0, v44, v44
	v_bfe_u32 v55, v41, 16, 1
	v_add3_u32 v53, v53, v45, 0x7fff
	v_cvt_f32_fp8_e32 v42, v42
	v_mul_f32_e32 v47, s2, v47
	s_wait_alu 0xf1ff
	v_cndmask_b32_e64 v44, v51, v52, s0
	v_cmp_u_f32_e64 s0, v45, v45
	v_or_b32_e32 v56, 0x400000, v41
	v_bfe_u32 v57, v46, 16, 1
	v_add3_u32 v55, v55, v41, 0x7fff
	v_mul_f32_e32 v42, s2, v42
	s_wait_alu 0xf1ff
	v_cndmask_b32_e64 v45, v53, v54, s0
	v_cmp_u_f32_e64 s0, v41, v41
	v_or_b32_e32 v58, 0x400000, v46
	v_bfe_u32 v59, v47, 16, 1
	v_add3_u32 v57, v57, v46, 0x7fff
	v_or_b32_e32 v60, 0x400000, v47
	s_wait_alu 0xf1ff
	v_cndmask_b32_e64 v41, v55, v56, s0
	v_cmp_u_f32_e64 s0, v46, v46
	v_bfe_u32 v61, v48, 16, 1
	v_add3_u32 v59, v59, v47, 0x7fff
	v_or_b32_e32 v62, 0x400000, v48
	v_bfe_u32 v64, v42, 16, 1
	s_wait_alu 0xf1ff
	v_cndmask_b32_e64 v49, v57, v58, s0
	v_cmp_u_f32_e64 s0, v47, v47
	v_add3_u32 v61, v61, v48, 0x7fff
	v_or_b32_e32 v65, 0x400000, v42
	v_add3_u32 v64, v64, v42, 0x7fff
	v_lshrrev_b32_e32 v47, 16, v43
	s_wait_alu 0xf1ff
	v_cndmask_b32_e64 v50, v59, v60, s0
	v_cmp_u_f32_e64 s0, v48, v48
	v_lshrrev_b32_e32 v48, 16, v44
	v_lshrrev_b32_e32 v45, 16, v45
	;; [unrolled: 1-line block ×4, first 2 shown]
	s_wait_alu 0xf1ff
	v_cndmask_b32_e64 v51, v61, v62, s0
	v_cmp_u_f32_e64 s0, v42, v42
	v_lshrrev_b32_e32 v44, 16, v50
	s_delay_alu instid0(VALU_DEP_3) | instskip(SKIP_1) | instid1(VALU_DEP_3)
	v_lshrrev_b32_e32 v41, 16, v51
	s_wait_alu 0xf1ff
	v_cndmask_b32_e64 v42, v64, v65, s0
	s_delay_alu instid0(VALU_DEP_1)
	v_lshrrev_b32_e32 v42, 16, v42
	s_and_saveexec_b32 s7, vcc_lo
	s_cbranch_execz .LBB360_33
; %bb.32:                               ;   in Loop: Header=BB360_29 Depth=1
	v_cmp_gt_i32_e64 s0, s27, v63
	s_wait_alu 0xf1ff
	s_delay_alu instid0(VALU_DEP_1) | instskip(SKIP_2) | instid1(VALU_DEP_1)
	v_cndmask_b32_e64 v47, 0, v47, s0
	v_cmp_gt_i32_e64 s0, s27, v70
	s_wait_alu 0xf1ff
	v_cndmask_b32_e64 v48, 0, v48, s0
	v_cmp_gt_i32_e64 s0, s27, v69
	s_wait_alu 0xf1ff
	s_delay_alu instid0(VALU_DEP_1) | instskip(SKIP_2) | instid1(VALU_DEP_1)
	v_cndmask_b32_e64 v45, 0, v45, s0
	v_cmp_gt_i32_e64 s0, s27, v68
	s_wait_alu 0xf1ff
	v_cndmask_b32_e64 v46, 0, v46, s0
	;; [unrolled: 7-line block ×4, first 2 shown]
.LBB360_33:                             ;   in Loop: Header=BB360_29 Depth=1
	s_wait_alu 0xfffe
	s_or_b32 exec_lo, exec_lo, s7
	global_load_b64 v[49:50], v[13:14], off offset:512
	s_wait_loadcnt 0x0
	v_bfe_u32 v52, v49, 8, 8
	v_bfe_u32 v53, v49, 16, 8
	;; [unrolled: 1-line block ×4, first 2 shown]
	s_delay_alu instid0(VALU_DEP_4)
	v_cvt_f32_fp8_e32 v52, v52
	v_and_b32_e32 v51, 0xff, v49
	v_lshrrev_b32_e32 v49, 24, v49
	v_cvt_f32_fp8_e32 v53, v53
	v_cvt_f32_fp8_e32 v56, v56
	v_mul_f32_e32 v52, s2, v52
	v_cvt_f32_fp8_e32 v51, v51
	v_and_b32_e32 v54, 0xff, v50
	v_cvt_f32_fp8_e32 v49, v49
	v_lshrrev_b32_e32 v50, 24, v50
	v_bfe_u32 v59, v52, 16, 1
	v_mul_f32_e32 v51, s2, v51
	v_cvt_f32_fp8_e32 v54, v54
	v_mul_f32_e32 v53, s2, v53
	v_dual_mul_f32 v49, s2, v49 :: v_dual_mul_f32 v56, s2, v56
	s_delay_alu instid0(VALU_DEP_4)
	v_bfe_u32 v57, v51, 16, 1
	v_or_b32_e32 v58, 0x400000, v51
	v_cmp_u_f32_e64 s0, v51, v51
	v_mul_f32_e32 v54, s2, v54
	v_or_b32_e32 v60, 0x400000, v52
	v_add3_u32 v57, v57, v51, 0x7fff
	v_bfe_u32 v61, v53, 16, 1
	v_add3_u32 v59, v59, v52, 0x7fff
	v_cvt_f32_fp8_e32 v55, v55
	v_or_b32_e32 v62, 0x400000, v53
	s_wait_alu 0xf1ff
	v_cndmask_b32_e64 v51, v57, v58, s0
	v_cmp_u_f32_e64 s0, v52, v52
	v_bfe_u32 v64, v49, 16, 1
	v_add3_u32 v61, v61, v53, 0x7fff
	v_cvt_f32_fp8_e32 v50, v50
	v_mul_f32_e32 v55, s2, v55
	s_wait_alu 0xf1ff
	v_cndmask_b32_e64 v52, v59, v60, s0
	v_cmp_u_f32_e64 s0, v53, v53
	v_or_b32_e32 v65, 0x400000, v49
	v_bfe_u32 v72, v54, 16, 1
	v_add3_u32 v64, v64, v49, 0x7fff
	v_mul_f32_e32 v50, s2, v50
	s_wait_alu 0xf1ff
	v_cndmask_b32_e64 v53, v61, v62, s0
	v_cmp_u_f32_e64 s0, v49, v49
	v_or_b32_e32 v73, 0x400000, v54
	v_bfe_u32 v74, v55, 16, 1
	v_add3_u32 v72, v72, v54, 0x7fff
	v_or_b32_e32 v75, 0x400000, v55
	s_wait_alu 0xf1ff
	v_cndmask_b32_e64 v49, v64, v65, s0
	v_cmp_u_f32_e64 s0, v54, v54
	v_bfe_u32 v76, v56, 16, 1
	v_add3_u32 v74, v74, v55, 0x7fff
	v_or_b32_e32 v77, 0x400000, v56
	v_bfe_u32 v78, v50, 16, 1
	s_wait_alu 0xf1ff
	v_cndmask_b32_e64 v57, v72, v73, s0
	v_cmp_u_f32_e64 s0, v55, v55
	v_add3_u32 v76, v76, v56, 0x7fff
	v_or_b32_e32 v79, 0x400000, v50
	v_add3_u32 v78, v78, v50, 0x7fff
	v_lshrrev_b32_e32 v55, 16, v51
	s_wait_alu 0xf1ff
	v_cndmask_b32_e64 v58, v74, v75, s0
	v_cmp_u_f32_e64 s0, v56, v56
	v_lshrrev_b32_e32 v56, 16, v52
	v_lshrrev_b32_e32 v53, 16, v53
	;; [unrolled: 1-line block ×4, first 2 shown]
	s_wait_alu 0xf1ff
	v_cndmask_b32_e64 v59, v76, v77, s0
	v_cmp_u_f32_e64 s0, v50, v50
	v_lshrrev_b32_e32 v52, 16, v58
	s_delay_alu instid0(VALU_DEP_3) | instskip(SKIP_1) | instid1(VALU_DEP_3)
	v_lshrrev_b32_e32 v49, 16, v59
	s_wait_alu 0xf1ff
	v_cndmask_b32_e64 v50, v78, v79, s0
	s_delay_alu instid0(VALU_DEP_1)
	v_lshrrev_b32_e32 v50, 16, v50
	s_and_saveexec_b32 s7, vcc_lo
	s_cbranch_execz .LBB360_35
; %bb.34:                               ;   in Loop: Header=BB360_29 Depth=1
	v_cmp_gt_i32_e64 s0, s27, v63
	s_wait_alu 0xf1ff
	s_delay_alu instid0(VALU_DEP_1) | instskip(SKIP_2) | instid1(VALU_DEP_1)
	v_cndmask_b32_e64 v55, 0, v55, s0
	v_cmp_gt_i32_e64 s0, s27, v70
	s_wait_alu 0xf1ff
	v_cndmask_b32_e64 v56, 0, v56, s0
	v_cmp_gt_i32_e64 s0, s27, v69
	s_wait_alu 0xf1ff
	s_delay_alu instid0(VALU_DEP_1) | instskip(SKIP_2) | instid1(VALU_DEP_1)
	v_cndmask_b32_e64 v53, 0, v53, s0
	v_cmp_gt_i32_e64 s0, s27, v68
	s_wait_alu 0xf1ff
	v_cndmask_b32_e64 v54, 0, v54, s0
	;; [unrolled: 7-line block ×4, first 2 shown]
.LBB360_35:                             ;   in Loop: Header=BB360_29 Depth=1
	s_wait_alu 0xfffe
	s_or_b32 exec_lo, exec_lo, s7
	global_load_b64 v[57:58], v[13:14], off offset:768
	s_wait_loadcnt 0x0
	v_bfe_u32 v60, v57, 8, 8
	v_bfe_u32 v61, v57, 16, 8
	;; [unrolled: 1-line block ×4, first 2 shown]
	s_delay_alu instid0(VALU_DEP_4)
	v_cvt_f32_fp8_e32 v60, v60
	v_and_b32_e32 v59, 0xff, v57
	v_lshrrev_b32_e32 v57, 24, v57
	v_cvt_f32_fp8_e32 v61, v61
	v_cvt_f32_fp8_e32 v64, v64
	v_mul_f32_e32 v60, s2, v60
	v_cvt_f32_fp8_e32 v59, v59
	v_and_b32_e32 v62, 0xff, v58
	v_cvt_f32_fp8_e32 v57, v57
	v_lshrrev_b32_e32 v58, 24, v58
	v_bfe_u32 v74, v60, 16, 1
	v_mul_f32_e32 v59, s2, v59
	v_cvt_f32_fp8_e32 v62, v62
	v_mul_f32_e32 v61, s2, v61
	v_dual_mul_f32 v57, s2, v57 :: v_dual_mul_f32 v64, s2, v64
	s_delay_alu instid0(VALU_DEP_4)
	v_bfe_u32 v72, v59, 16, 1
	v_or_b32_e32 v73, 0x400000, v59
	v_cmp_u_f32_e64 s0, v59, v59
	v_mul_f32_e32 v62, s2, v62
	v_or_b32_e32 v75, 0x400000, v60
	v_add3_u32 v72, v72, v59, 0x7fff
	v_bfe_u32 v76, v61, 16, 1
	v_add3_u32 v74, v74, v60, 0x7fff
	v_or_b32_e32 v77, 0x400000, v61
	v_bfe_u32 v78, v57, 16, 1
	s_wait_alu 0xf1ff
	v_cndmask_b32_e64 v59, v72, v73, s0
	v_cmp_u_f32_e64 s0, v60, v60
	v_add3_u32 v76, v76, v61, 0x7fff
	v_cvt_f32_fp8_e32 v65, v65
	v_or_b32_e32 v79, 0x400000, v57
	v_bfe_u32 v80, v62, 16, 1
	s_wait_alu 0xf1ff
	v_cndmask_b32_e64 v60, v74, v75, s0
	v_cmp_u_f32_e64 s0, v61, v61
	v_add3_u32 v78, v78, v57, 0x7fff
	v_cvt_f32_fp8_e32 v58, v58
	v_mul_f32_e32 v65, s2, v65
	v_or_b32_e32 v81, 0x400000, v62
	s_wait_alu 0xf1ff
	v_cndmask_b32_e64 v61, v76, v77, s0
	v_cmp_u_f32_e64 s0, v57, v57
	v_bfe_u32 v82, v64, 16, 1
	v_add3_u32 v80, v80, v62, 0x7fff
	v_mul_f32_e32 v58, s2, v58
	v_or_b32_e32 v83, 0x400000, v64
	s_wait_alu 0xf1ff
	v_cndmask_b32_e64 v57, v78, v79, s0
	v_cmp_u_f32_e64 s0, v62, v62
	v_bfe_u32 v84, v65, 16, 1
	v_add3_u32 v82, v82, v64, 0x7fff
	v_or_b32_e32 v85, 0x400000, v65
	v_bfe_u32 v86, v58, 16, 1
	s_wait_alu 0xf1ff
	v_cndmask_b32_e64 v72, v80, v81, s0
	v_cmp_u_f32_e64 s0, v64, v64
	v_add3_u32 v84, v84, v65, 0x7fff
	v_or_b32_e32 v87, 0x400000, v58
	v_add3_u32 v86, v86, v58, 0x7fff
	v_lshrrev_b32_e32 v64, 16, v59
	s_wait_alu 0xf1ff
	v_cndmask_b32_e64 v73, v82, v83, s0
	v_cmp_u_f32_e64 s0, v65, v65
	v_lshrrev_b32_e32 v65, 16, v60
	v_lshrrev_b32_e32 v61, 16, v61
	;; [unrolled: 1-line block ×4, first 2 shown]
	s_wait_alu 0xf1ff
	v_cndmask_b32_e64 v74, v84, v85, s0
	v_cmp_u_f32_e64 s0, v58, v58
	v_lshrrev_b32_e32 v60, 16, v73
	s_delay_alu instid0(VALU_DEP_3) | instskip(SKIP_1) | instid1(VALU_DEP_3)
	v_lshrrev_b32_e32 v57, 16, v74
	s_wait_alu 0xf1ff
	v_cndmask_b32_e64 v58, v86, v87, s0
	s_delay_alu instid0(VALU_DEP_1)
	v_lshrrev_b32_e32 v58, 16, v58
	s_and_saveexec_b32 s7, vcc_lo
	s_cbranch_execz .LBB360_37
; %bb.36:                               ;   in Loop: Header=BB360_29 Depth=1
	v_cmp_gt_i32_e64 s0, s27, v63
	s_wait_alu 0xf1ff
	s_delay_alu instid0(VALU_DEP_1) | instskip(SKIP_2) | instid1(VALU_DEP_1)
	v_cndmask_b32_e64 v64, 0, v64, s0
	v_cmp_gt_i32_e64 s0, s27, v70
	s_wait_alu 0xf1ff
	v_cndmask_b32_e64 v65, 0, v65, s0
	v_cmp_gt_i32_e64 s0, s27, v69
	s_wait_alu 0xf1ff
	s_delay_alu instid0(VALU_DEP_1) | instskip(SKIP_2) | instid1(VALU_DEP_1)
	v_cndmask_b32_e64 v61, 0, v61, s0
	v_cmp_gt_i32_e64 s0, s27, v68
	s_wait_alu 0xf1ff
	v_cndmask_b32_e64 v62, 0, v62, s0
	;; [unrolled: 7-line block ×4, first 2 shown]
.LBB360_37:                             ;   in Loop: Header=BB360_29 Depth=1
	s_wait_alu 0xfffe
	s_or_b32 exec_lo, exec_lo, s7
	global_load_b64 v[72:73], v[13:14], off offset:1024
	s_wait_loadcnt 0x0
	v_bfe_u32 v75, v72, 8, 8
	v_bfe_u32 v76, v72, 16, 8
	;; [unrolled: 1-line block ×4, first 2 shown]
	s_delay_alu instid0(VALU_DEP_4)
	v_cvt_f32_fp8_e32 v75, v75
	v_and_b32_e32 v74, 0xff, v72
	v_lshrrev_b32_e32 v72, 24, v72
	v_cvt_f32_fp8_e32 v76, v76
	v_cvt_f32_fp8_e32 v79, v79
	v_mul_f32_e32 v75, s2, v75
	v_cvt_f32_fp8_e32 v74, v74
	v_and_b32_e32 v77, 0xff, v73
	v_cvt_f32_fp8_e32 v72, v72
	v_lshrrev_b32_e32 v73, 24, v73
	v_bfe_u32 v82, v75, 16, 1
	v_mul_f32_e32 v74, s2, v74
	v_cvt_f32_fp8_e32 v77, v77
	v_mul_f32_e32 v76, s2, v76
	v_dual_mul_f32 v72, s2, v72 :: v_dual_mul_f32 v79, s2, v79
	s_delay_alu instid0(VALU_DEP_4)
	v_bfe_u32 v80, v74, 16, 1
	v_or_b32_e32 v81, 0x400000, v74
	v_cmp_u_f32_e64 s0, v74, v74
	v_mul_f32_e32 v77, s2, v77
	v_or_b32_e32 v83, 0x400000, v75
	v_add3_u32 v80, v80, v74, 0x7fff
	v_bfe_u32 v84, v76, 16, 1
	v_add3_u32 v82, v82, v75, 0x7fff
	v_cvt_f32_fp8_e32 v78, v78
	v_or_b32_e32 v85, 0x400000, v76
	s_wait_alu 0xf1ff
	v_cndmask_b32_e64 v74, v80, v81, s0
	v_cmp_u_f32_e64 s0, v75, v75
	v_bfe_u32 v86, v72, 16, 1
	v_add3_u32 v84, v84, v76, 0x7fff
	v_cvt_f32_fp8_e32 v73, v73
	v_mul_f32_e32 v78, s2, v78
	s_wait_alu 0xf1ff
	v_cndmask_b32_e64 v75, v82, v83, s0
	v_cmp_u_f32_e64 s0, v76, v76
	v_or_b32_e32 v87, 0x400000, v72
	v_bfe_u32 v88, v77, 16, 1
	v_add3_u32 v86, v86, v72, 0x7fff
	v_mul_f32_e32 v73, s2, v73
	s_wait_alu 0xf1ff
	v_cndmask_b32_e64 v76, v84, v85, s0
	v_cmp_u_f32_e64 s0, v72, v72
	v_or_b32_e32 v89, 0x400000, v77
	v_bfe_u32 v90, v78, 16, 1
	v_add3_u32 v88, v88, v77, 0x7fff
	v_or_b32_e32 v91, 0x400000, v78
	s_wait_alu 0xf1ff
	v_cndmask_b32_e64 v72, v86, v87, s0
	v_cmp_u_f32_e64 s0, v77, v77
	v_bfe_u32 v92, v79, 16, 1
	v_add3_u32 v90, v90, v78, 0x7fff
	v_or_b32_e32 v93, 0x400000, v79
	v_bfe_u32 v94, v73, 16, 1
	s_wait_alu 0xf1ff
	v_cndmask_b32_e64 v80, v88, v89, s0
	v_cmp_u_f32_e64 s0, v78, v78
	v_add3_u32 v92, v92, v79, 0x7fff
	v_or_b32_e32 v95, 0x400000, v73
	v_add3_u32 v94, v94, v73, 0x7fff
	v_lshrrev_b32_e32 v78, 16, v74
	s_wait_alu 0xf1ff
	v_cndmask_b32_e64 v81, v90, v91, s0
	v_cmp_u_f32_e64 s0, v79, v79
	v_lshrrev_b32_e32 v79, 16, v75
	v_lshrrev_b32_e32 v76, 16, v76
	;; [unrolled: 1-line block ×4, first 2 shown]
	s_wait_alu 0xf1ff
	v_cndmask_b32_e64 v82, v92, v93, s0
	v_cmp_u_f32_e64 s0, v73, v73
	v_lshrrev_b32_e32 v75, 16, v81
	s_delay_alu instid0(VALU_DEP_3) | instskip(SKIP_1) | instid1(VALU_DEP_3)
	v_lshrrev_b32_e32 v72, 16, v82
	s_wait_alu 0xf1ff
	v_cndmask_b32_e64 v73, v94, v95, s0
	s_delay_alu instid0(VALU_DEP_1)
	v_lshrrev_b32_e32 v73, 16, v73
	s_and_saveexec_b32 s7, vcc_lo
	s_cbranch_execz .LBB360_39
; %bb.38:                               ;   in Loop: Header=BB360_29 Depth=1
	v_cmp_gt_i32_e64 s0, s27, v63
	s_wait_alu 0xf1ff
	s_delay_alu instid0(VALU_DEP_1) | instskip(SKIP_2) | instid1(VALU_DEP_1)
	v_cndmask_b32_e64 v78, 0, v78, s0
	v_cmp_gt_i32_e64 s0, s27, v70
	s_wait_alu 0xf1ff
	v_cndmask_b32_e64 v79, 0, v79, s0
	v_cmp_gt_i32_e64 s0, s27, v69
	s_wait_alu 0xf1ff
	s_delay_alu instid0(VALU_DEP_1) | instskip(SKIP_2) | instid1(VALU_DEP_1)
	v_cndmask_b32_e64 v76, 0, v76, s0
	v_cmp_gt_i32_e64 s0, s27, v68
	s_wait_alu 0xf1ff
	v_cndmask_b32_e64 v77, 0, v77, s0
	;; [unrolled: 7-line block ×4, first 2 shown]
.LBB360_39:                             ;   in Loop: Header=BB360_29 Depth=1
	s_wait_alu 0xfffe
	s_or_b32 exec_lo, exec_lo, s7
	global_load_b64 v[80:81], v[13:14], off offset:1280
	s_wait_loadcnt 0x0
	v_bfe_u32 v83, v80, 8, 8
	v_bfe_u32 v84, v80, 16, 8
	;; [unrolled: 1-line block ×4, first 2 shown]
	s_delay_alu instid0(VALU_DEP_4)
	v_cvt_f32_fp8_e32 v83, v83
	v_and_b32_e32 v82, 0xff, v80
	v_lshrrev_b32_e32 v80, 24, v80
	v_cvt_f32_fp8_e32 v84, v84
	v_cvt_f32_fp8_e32 v87, v87
	v_mul_f32_e32 v83, s2, v83
	v_cvt_f32_fp8_e32 v82, v82
	v_and_b32_e32 v85, 0xff, v81
	v_cvt_f32_fp8_e32 v80, v80
	v_lshrrev_b32_e32 v81, 24, v81
	v_bfe_u32 v90, v83, 16, 1
	v_mul_f32_e32 v82, s2, v82
	v_cvt_f32_fp8_e32 v85, v85
	v_mul_f32_e32 v84, s2, v84
	v_dual_mul_f32 v80, s2, v80 :: v_dual_mul_f32 v87, s2, v87
	s_delay_alu instid0(VALU_DEP_4)
	v_bfe_u32 v88, v82, 16, 1
	v_or_b32_e32 v89, 0x400000, v82
	v_cmp_u_f32_e64 s0, v82, v82
	v_mul_f32_e32 v85, s2, v85
	v_or_b32_e32 v91, 0x400000, v83
	v_add3_u32 v88, v88, v82, 0x7fff
	v_bfe_u32 v92, v84, 16, 1
	v_add3_u32 v90, v90, v83, 0x7fff
	v_cvt_f32_fp8_e32 v86, v86
	v_or_b32_e32 v93, 0x400000, v84
	s_wait_alu 0xf1ff
	v_cndmask_b32_e64 v82, v88, v89, s0
	v_cmp_u_f32_e64 s0, v83, v83
	v_bfe_u32 v94, v80, 16, 1
	v_add3_u32 v92, v92, v84, 0x7fff
	v_cvt_f32_fp8_e32 v81, v81
	v_mul_f32_e32 v86, s2, v86
	s_wait_alu 0xf1ff
	v_cndmask_b32_e64 v83, v90, v91, s0
	v_cmp_u_f32_e64 s0, v84, v84
	v_or_b32_e32 v95, 0x400000, v80
	v_bfe_u32 v96, v85, 16, 1
	v_add3_u32 v94, v94, v80, 0x7fff
	v_mul_f32_e32 v81, s2, v81
	s_wait_alu 0xf1ff
	v_cndmask_b32_e64 v84, v92, v93, s0
	v_cmp_u_f32_e64 s0, v80, v80
	v_or_b32_e32 v97, 0x400000, v85
	v_bfe_u32 v98, v86, 16, 1
	v_add3_u32 v96, v96, v85, 0x7fff
	v_or_b32_e32 v99, 0x400000, v86
	s_wait_alu 0xf1ff
	v_cndmask_b32_e64 v80, v94, v95, s0
	v_cmp_u_f32_e64 s0, v85, v85
	v_bfe_u32 v100, v87, 16, 1
	v_add3_u32 v98, v98, v86, 0x7fff
	v_or_b32_e32 v101, 0x400000, v87
	v_bfe_u32 v102, v81, 16, 1
	s_wait_alu 0xf1ff
	v_cndmask_b32_e64 v85, v96, v97, s0
	v_cmp_u_f32_e64 s0, v86, v86
	v_add3_u32 v100, v100, v87, 0x7fff
	v_or_b32_e32 v103, 0x400000, v81
	v_add3_u32 v102, v102, v81, 0x7fff
	v_lshrrev_b32_e32 v88, 16, v82
	s_wait_alu 0xf1ff
	v_cndmask_b32_e64 v89, v98, v99, s0
	v_cmp_u_f32_e64 s0, v87, v87
	v_lshrrev_b32_e32 v90, 16, v83
	v_lshrrev_b32_e32 v84, 16, v84
	;; [unrolled: 1-line block ×4, first 2 shown]
	s_wait_alu 0xf1ff
	v_cndmask_b32_e64 v87, v100, v101, s0
	v_cmp_u_f32_e64 s0, v81, v81
	v_lshrrev_b32_e32 v83, 16, v89
	s_delay_alu instid0(VALU_DEP_3) | instskip(SKIP_1) | instid1(VALU_DEP_3)
	v_lshrrev_b32_e32 v80, 16, v87
	s_wait_alu 0xf1ff
	v_cndmask_b32_e64 v81, v102, v103, s0
	s_delay_alu instid0(VALU_DEP_1)
	v_lshrrev_b32_e32 v81, 16, v81
	s_and_saveexec_b32 s7, vcc_lo
	s_cbranch_execz .LBB360_41
; %bb.40:                               ;   in Loop: Header=BB360_29 Depth=1
	v_cmp_gt_i32_e64 s0, s27, v63
	s_wait_alu 0xf1ff
	s_delay_alu instid0(VALU_DEP_1) | instskip(SKIP_2) | instid1(VALU_DEP_1)
	v_cndmask_b32_e64 v88, 0, v88, s0
	v_cmp_gt_i32_e64 s0, s27, v70
	s_wait_alu 0xf1ff
	v_cndmask_b32_e64 v90, 0, v90, s0
	v_cmp_gt_i32_e64 s0, s27, v69
	s_wait_alu 0xf1ff
	s_delay_alu instid0(VALU_DEP_1) | instskip(SKIP_2) | instid1(VALU_DEP_1)
	v_cndmask_b32_e64 v84, 0, v84, s0
	v_cmp_gt_i32_e64 s0, s27, v68
	s_wait_alu 0xf1ff
	v_cndmask_b32_e64 v86, 0, v86, s0
	;; [unrolled: 7-line block ×4, first 2 shown]
.LBB360_41:                             ;   in Loop: Header=BB360_29 Depth=1
	s_wait_alu 0xfffe
	s_or_b32 exec_lo, exec_lo, s7
	global_load_b64 v[91:92], v[13:14], off offset:1536
	s_wait_loadcnt 0x0
	v_bfe_u32 v94, v92, 8, 8
	v_bfe_u32 v87, v91, 8, 8
	v_and_b32_e32 v93, 0xff, v92
	v_bfe_u32 v95, v92, 16, 8
	v_lshrrev_b32_e32 v92, 24, v92
	v_cvt_f32_fp8_e32 v94, v94
	v_and_b32_e32 v85, 0xff, v91
	v_bfe_u32 v89, v91, 16, 8
	v_cvt_f32_fp8_e32 v87, v87
	v_cvt_f32_fp8_e32 v92, v92
	v_mul_f32_e32 v94, s2, v94
	v_cvt_f32_fp8_e32 v85, v85
	v_lshrrev_b32_e32 v91, 24, v91
	v_cvt_f32_fp8_e32 v89, v89
	v_dual_mul_f32 v87, s2, v87 :: v_dual_mul_f32 v92, s2, v92
	s_delay_alu instid0(VALU_DEP_4) | instskip(NEXT) | instid1(VALU_DEP_4)
	v_mul_f32_e32 v85, s2, v85
	v_cvt_f32_fp8_e32 v91, v91
	s_delay_alu instid0(VALU_DEP_4) | instskip(NEXT) | instid1(VALU_DEP_4)
	v_mul_f32_e32 v89, s2, v89
	v_bfe_u32 v98, v87, 16, 1
	v_cvt_f32_fp8_e32 v93, v93
	v_bfe_u32 v96, v85, 16, 1
	v_or_b32_e32 v97, 0x400000, v85
	v_cmp_u_f32_e64 s0, v85, v85
	v_mul_f32_e32 v91, s2, v91
	v_or_b32_e32 v99, 0x400000, v87
	v_add3_u32 v96, v96, v85, 0x7fff
	v_bfe_u32 v100, v89, 16, 1
	v_add3_u32 v98, v98, v87, 0x7fff
	v_mul_f32_e32 v93, s2, v93
	v_or_b32_e32 v101, 0x400000, v89
	s_wait_alu 0xf1ff
	v_cndmask_b32_e64 v85, v96, v97, s0
	v_cmp_u_f32_e64 s0, v87, v87
	v_bfe_u32 v102, v91, 16, 1
	v_add3_u32 v100, v100, v89, 0x7fff
	v_cvt_f32_fp8_e32 v95, v95
	v_or_b32_e32 v103, 0x400000, v91
	s_wait_alu 0xf1ff
	v_cndmask_b32_e64 v87, v98, v99, s0
	v_cmp_u_f32_e64 s0, v89, v89
	v_bfe_u32 v104, v93, 16, 1
	v_add3_u32 v102, v102, v91, 0x7fff
	v_mul_f32_e32 v95, s2, v95
	v_or_b32_e32 v105, 0x400000, v93
	s_wait_alu 0xf1ff
	v_cndmask_b32_e64 v89, v100, v101, s0
	v_cmp_u_f32_e64 s0, v91, v91
	v_bfe_u32 v106, v94, 16, 1
	v_add3_u32 v104, v104, v93, 0x7fff
	v_or_b32_e32 v107, 0x400000, v94
	v_bfe_u32 v108, v95, 16, 1
	s_wait_alu 0xf1ff
	v_cndmask_b32_e64 v91, v102, v103, s0
	v_cmp_u_f32_e64 s0, v93, v93
	v_add3_u32 v106, v106, v94, 0x7fff
	v_or_b32_e32 v109, 0x400000, v95
	v_bfe_u32 v110, v92, 16, 1
	v_add3_u32 v108, v108, v95, 0x7fff
	s_wait_alu 0xf1ff
	v_cndmask_b32_e64 v93, v104, v105, s0
	v_cmp_u_f32_e64 s0, v94, v94
	v_or_b32_e32 v111, 0x400000, v92
	v_add3_u32 v110, v110, v92, 0x7fff
	v_lshrrev_b32_e32 v100, 16, v85
	v_lshrrev_b32_e32 v101, 16, v87
	s_wait_alu 0xf1ff
	v_cndmask_b32_e64 v94, v106, v107, s0
	v_cmp_u_f32_e64 s0, v95, v95
	v_lshrrev_b32_e32 v98, 16, v89
	v_lshrrev_b32_e32 v99, 16, v91
	;; [unrolled: 1-line block ×4, first 2 shown]
	s_wait_alu 0xf1ff
	v_cndmask_b32_e64 v95, v108, v109, s0
	v_cmp_u_f32_e64 s0, v92, v92
	s_delay_alu instid0(VALU_DEP_2) | instskip(SKIP_1) | instid1(VALU_DEP_2)
	v_lshrrev_b32_e32 v94, 16, v95
	s_wait_alu 0xf1ff
	v_cndmask_b32_e64 v92, v110, v111, s0
	s_delay_alu instid0(VALU_DEP_1)
	v_lshrrev_b32_e32 v95, 16, v92
	s_and_saveexec_b32 s7, vcc_lo
	s_cbranch_execz .LBB360_43
; %bb.42:                               ;   in Loop: Header=BB360_29 Depth=1
	v_cmp_gt_i32_e64 s0, s27, v63
	s_wait_alu 0xf1ff
	s_delay_alu instid0(VALU_DEP_1) | instskip(SKIP_2) | instid1(VALU_DEP_1)
	v_cndmask_b32_e64 v100, 0, v100, s0
	v_cmp_gt_i32_e64 s0, s27, v70
	s_wait_alu 0xf1ff
	v_cndmask_b32_e64 v101, 0, v101, s0
	v_cmp_gt_i32_e64 s0, s27, v69
	s_wait_alu 0xf1ff
	s_delay_alu instid0(VALU_DEP_1) | instskip(SKIP_2) | instid1(VALU_DEP_1)
	v_cndmask_b32_e64 v98, 0, v98, s0
	v_cmp_gt_i32_e64 s0, s27, v68
	s_wait_alu 0xf1ff
	v_cndmask_b32_e64 v99, 0, v99, s0
	;; [unrolled: 7-line block ×4, first 2 shown]
.LBB360_43:                             ;   in Loop: Header=BB360_29 Depth=1
	s_wait_alu 0xfffe
	s_or_b32 exec_lo, exec_lo, s7
	global_load_b64 v[91:92], v[13:14], off offset:1792
	s_wait_loadcnt 0x0
	v_bfe_u32 v102, v92, 8, 8
	v_bfe_u32 v87, v91, 8, 8
	v_and_b32_e32 v93, 0xff, v92
	v_bfe_u32 v103, v92, 16, 8
	v_lshrrev_b32_e32 v92, 24, v92
	v_cvt_f32_fp8_e32 v102, v102
	v_and_b32_e32 v85, 0xff, v91
	v_bfe_u32 v89, v91, 16, 8
	v_cvt_f32_fp8_e32 v87, v87
	v_cvt_f32_fp8_e32 v92, v92
	v_mul_f32_e32 v102, s2, v102
	v_cvt_f32_fp8_e32 v85, v85
	v_lshrrev_b32_e32 v91, 24, v91
	v_cvt_f32_fp8_e32 v89, v89
	v_dual_mul_f32 v87, s2, v87 :: v_dual_mul_f32 v92, s2, v92
	s_delay_alu instid0(VALU_DEP_4) | instskip(NEXT) | instid1(VALU_DEP_4)
	v_mul_f32_e32 v85, s2, v85
	v_cvt_f32_fp8_e32 v91, v91
	s_delay_alu instid0(VALU_DEP_4) | instskip(NEXT) | instid1(VALU_DEP_4)
	v_mul_f32_e32 v89, s2, v89
	v_bfe_u32 v106, v87, 16, 1
	v_cvt_f32_fp8_e32 v93, v93
	v_bfe_u32 v104, v85, 16, 1
	v_or_b32_e32 v105, 0x400000, v85
	v_cmp_u_f32_e64 s0, v85, v85
	v_mul_f32_e32 v91, s2, v91
	v_or_b32_e32 v107, 0x400000, v87
	v_add3_u32 v104, v104, v85, 0x7fff
	v_bfe_u32 v108, v89, 16, 1
	v_add3_u32 v106, v106, v87, 0x7fff
	v_mul_f32_e32 v93, s2, v93
	v_or_b32_e32 v109, 0x400000, v89
	s_wait_alu 0xf1ff
	v_cndmask_b32_e64 v85, v104, v105, s0
	v_cmp_u_f32_e64 s0, v87, v87
	v_bfe_u32 v110, v91, 16, 1
	v_add3_u32 v108, v108, v89, 0x7fff
	v_cvt_f32_fp8_e32 v103, v103
	v_or_b32_e32 v111, 0x400000, v91
	s_wait_alu 0xf1ff
	v_cndmask_b32_e64 v87, v106, v107, s0
	v_cmp_u_f32_e64 s0, v89, v89
	v_bfe_u32 v112, v93, 16, 1
	v_add3_u32 v110, v110, v91, 0x7fff
	v_mul_f32_e32 v103, s2, v103
	v_or_b32_e32 v113, 0x400000, v93
	s_wait_alu 0xf1ff
	v_cndmask_b32_e64 v89, v108, v109, s0
	v_cmp_u_f32_e64 s0, v91, v91
	v_bfe_u32 v114, v102, 16, 1
	v_add3_u32 v112, v112, v93, 0x7fff
	v_or_b32_e32 v115, 0x400000, v102
	v_bfe_u32 v116, v103, 16, 1
	s_wait_alu 0xf1ff
	v_cndmask_b32_e64 v91, v110, v111, s0
	v_cmp_u_f32_e64 s0, v93, v93
	v_add3_u32 v114, v114, v102, 0x7fff
	v_or_b32_e32 v117, 0x400000, v103
	v_bfe_u32 v118, v92, 16, 1
	v_add3_u32 v116, v116, v103, 0x7fff
	s_wait_alu 0xf1ff
	v_cndmask_b32_e64 v93, v112, v113, s0
	v_cmp_u_f32_e64 s0, v102, v102
	v_or_b32_e32 v119, 0x400000, v92
	v_add3_u32 v118, v118, v92, 0x7fff
	v_lshrrev_b32_e32 v108, 16, v85
	v_lshrrev_b32_e32 v109, 16, v87
	s_wait_alu 0xf1ff
	v_cndmask_b32_e64 v102, v114, v115, s0
	v_cmp_u_f32_e64 s0, v103, v103
	v_lshrrev_b32_e32 v106, 16, v89
	v_lshrrev_b32_e32 v107, 16, v91
	v_lshrrev_b32_e32 v104, 16, v93
	v_lshrrev_b32_e32 v105, 16, v102
	s_wait_alu 0xf1ff
	v_cndmask_b32_e64 v103, v116, v117, s0
	v_cmp_u_f32_e64 s0, v92, v92
	s_delay_alu instid0(VALU_DEP_2) | instskip(SKIP_1) | instid1(VALU_DEP_2)
	v_lshrrev_b32_e32 v102, 16, v103
	s_wait_alu 0xf1ff
	v_cndmask_b32_e64 v92, v118, v119, s0
	s_delay_alu instid0(VALU_DEP_1)
	v_lshrrev_b32_e32 v103, 16, v92
	s_and_saveexec_b32 s7, vcc_lo
	s_cbranch_execz .LBB360_45
; %bb.44:                               ;   in Loop: Header=BB360_29 Depth=1
	v_cmp_gt_i32_e64 s0, s27, v63
	s_wait_alu 0xf1ff
	s_delay_alu instid0(VALU_DEP_1) | instskip(SKIP_2) | instid1(VALU_DEP_1)
	v_cndmask_b32_e64 v108, 0, v108, s0
	v_cmp_gt_i32_e64 s0, s27, v70
	s_wait_alu 0xf1ff
	v_cndmask_b32_e64 v109, 0, v109, s0
	v_cmp_gt_i32_e64 s0, s27, v69
	s_wait_alu 0xf1ff
	s_delay_alu instid0(VALU_DEP_1) | instskip(SKIP_2) | instid1(VALU_DEP_1)
	v_cndmask_b32_e64 v106, 0, v106, s0
	v_cmp_gt_i32_e64 s0, s27, v68
	s_wait_alu 0xf1ff
	v_cndmask_b32_e64 v107, 0, v107, s0
	v_cmp_gt_i32_e64 s0, s27, v67
	s_wait_alu 0xf1ff
	s_delay_alu instid0(VALU_DEP_1) | instskip(SKIP_2) | instid1(VALU_DEP_1)
	v_cndmask_b32_e64 v104, 0, v104, s0
	v_cmp_gt_i32_e64 s0, s27, v66
	s_wait_alu 0xf1ff
	v_cndmask_b32_e64 v105, 0, v105, s0
	v_cmp_gt_i32_e64 s0, s27, v71
	s_wait_alu 0xf1ff
	s_delay_alu instid0(VALU_DEP_1) | instskip(SKIP_2) | instid1(VALU_DEP_1)
	v_cndmask_b32_e64 v102, 0, v102, s0
	v_cmp_gt_i32_e64 s0, s27, v31
	s_wait_alu 0xf1ff
	v_cndmask_b32_e64 v103, 0, v103, s0
.LBB360_45:                             ;   in Loop: Header=BB360_29 Depth=1
	s_wait_alu 0xfffe
	s_or_b32 exec_lo, exec_lo, s7
	global_load_b64 v[91:92], v[13:14], off offset:2048
	s_wait_loadcnt 0x0
	v_bfe_u32 v110, v92, 8, 8
	v_bfe_u32 v87, v91, 8, 8
	v_and_b32_e32 v93, 0xff, v92
	v_bfe_u32 v111, v92, 16, 8
	v_lshrrev_b32_e32 v92, 24, v92
	v_cvt_f32_fp8_e32 v110, v110
	v_and_b32_e32 v85, 0xff, v91
	v_bfe_u32 v89, v91, 16, 8
	v_cvt_f32_fp8_e32 v87, v87
	v_cvt_f32_fp8_e32 v92, v92
	v_mul_f32_e32 v110, s2, v110
	v_cvt_f32_fp8_e32 v85, v85
	v_lshrrev_b32_e32 v91, 24, v91
	v_cvt_f32_fp8_e32 v89, v89
	v_dual_mul_f32 v87, s2, v87 :: v_dual_mul_f32 v92, s2, v92
	s_delay_alu instid0(VALU_DEP_4) | instskip(NEXT) | instid1(VALU_DEP_4)
	v_mul_f32_e32 v85, s2, v85
	v_cvt_f32_fp8_e32 v91, v91
	s_delay_alu instid0(VALU_DEP_4) | instskip(NEXT) | instid1(VALU_DEP_4)
	v_mul_f32_e32 v89, s2, v89
	v_bfe_u32 v114, v87, 16, 1
	v_cvt_f32_fp8_e32 v93, v93
	v_bfe_u32 v112, v85, 16, 1
	v_or_b32_e32 v113, 0x400000, v85
	v_cmp_u_f32_e64 s0, v85, v85
	v_mul_f32_e32 v91, s2, v91
	v_or_b32_e32 v115, 0x400000, v87
	v_add3_u32 v112, v112, v85, 0x7fff
	v_bfe_u32 v116, v89, 16, 1
	v_add3_u32 v114, v114, v87, 0x7fff
	v_mul_f32_e32 v93, s2, v93
	v_or_b32_e32 v117, 0x400000, v89
	s_wait_alu 0xf1ff
	v_cndmask_b32_e64 v85, v112, v113, s0
	v_cmp_u_f32_e64 s0, v87, v87
	v_bfe_u32 v118, v91, 16, 1
	v_add3_u32 v116, v116, v89, 0x7fff
	v_cvt_f32_fp8_e32 v111, v111
	v_or_b32_e32 v119, 0x400000, v91
	s_wait_alu 0xf1ff
	v_cndmask_b32_e64 v87, v114, v115, s0
	v_cmp_u_f32_e64 s0, v89, v89
	v_bfe_u32 v120, v93, 16, 1
	v_add3_u32 v118, v118, v91, 0x7fff
	v_mul_f32_e32 v111, s2, v111
	v_or_b32_e32 v121, 0x400000, v93
	s_wait_alu 0xf1ff
	v_cndmask_b32_e64 v89, v116, v117, s0
	v_cmp_u_f32_e64 s0, v91, v91
	v_bfe_u32 v122, v110, 16, 1
	v_add3_u32 v120, v120, v93, 0x7fff
	v_or_b32_e32 v123, 0x400000, v110
	v_bfe_u32 v124, v111, 16, 1
	s_wait_alu 0xf1ff
	v_cndmask_b32_e64 v91, v118, v119, s0
	v_cmp_u_f32_e64 s0, v93, v93
	v_add3_u32 v122, v122, v110, 0x7fff
	v_or_b32_e32 v125, 0x400000, v111
	v_bfe_u32 v126, v92, 16, 1
	v_add3_u32 v124, v124, v111, 0x7fff
	s_wait_alu 0xf1ff
	v_cndmask_b32_e64 v93, v120, v121, s0
	v_cmp_u_f32_e64 s0, v110, v110
	v_or_b32_e32 v127, 0x400000, v92
	v_add3_u32 v126, v126, v92, 0x7fff
	v_lshrrev_b32_e32 v116, 16, v85
	v_lshrrev_b32_e32 v117, 16, v87
	s_wait_alu 0xf1ff
	v_cndmask_b32_e64 v110, v122, v123, s0
	v_cmp_u_f32_e64 s0, v111, v111
	v_lshrrev_b32_e32 v114, 16, v89
	v_lshrrev_b32_e32 v115, 16, v91
	;; [unrolled: 1-line block ×4, first 2 shown]
	s_wait_alu 0xf1ff
	v_cndmask_b32_e64 v111, v124, v125, s0
	v_cmp_u_f32_e64 s0, v92, v92
	s_delay_alu instid0(VALU_DEP_2) | instskip(SKIP_1) | instid1(VALU_DEP_2)
	v_lshrrev_b32_e32 v110, 16, v111
	s_wait_alu 0xf1ff
	v_cndmask_b32_e64 v92, v126, v127, s0
	s_delay_alu instid0(VALU_DEP_1)
	v_lshrrev_b32_e32 v111, 16, v92
	s_and_saveexec_b32 s7, vcc_lo
	s_cbranch_execz .LBB360_47
; %bb.46:                               ;   in Loop: Header=BB360_29 Depth=1
	v_cmp_gt_i32_e64 s0, s27, v63
	s_wait_alu 0xf1ff
	s_delay_alu instid0(VALU_DEP_1) | instskip(SKIP_2) | instid1(VALU_DEP_1)
	v_cndmask_b32_e64 v116, 0, v116, s0
	v_cmp_gt_i32_e64 s0, s27, v70
	s_wait_alu 0xf1ff
	v_cndmask_b32_e64 v117, 0, v117, s0
	v_cmp_gt_i32_e64 s0, s27, v69
	s_wait_alu 0xf1ff
	s_delay_alu instid0(VALU_DEP_1) | instskip(SKIP_2) | instid1(VALU_DEP_1)
	v_cndmask_b32_e64 v114, 0, v114, s0
	v_cmp_gt_i32_e64 s0, s27, v68
	s_wait_alu 0xf1ff
	v_cndmask_b32_e64 v115, 0, v115, s0
	;; [unrolled: 7-line block ×4, first 2 shown]
.LBB360_47:                             ;   in Loop: Header=BB360_29 Depth=1
	s_wait_alu 0xfffe
	s_or_b32 exec_lo, exec_lo, s7
	global_load_b64 v[13:14], v[13:14], off offset:2304
	s_wait_loadcnt 0x0
	v_bfe_u32 v92, v14, 8, 8
	v_bfe_u32 v87, v13, 8, 8
	v_and_b32_e32 v91, 0xff, v14
	v_bfe_u32 v93, v14, 16, 8
	v_lshrrev_b32_e32 v14, 24, v14
	v_cvt_f32_fp8_e32 v92, v92
	v_and_b32_e32 v85, 0xff, v13
	v_bfe_u32 v89, v13, 16, 8
	v_cvt_f32_fp8_e32 v87, v87
	v_cvt_f32_fp8_e32 v14, v14
	v_mul_f32_e32 v92, s2, v92
	v_cvt_f32_fp8_e32 v85, v85
	v_lshrrev_b32_e32 v13, 24, v13
	v_cvt_f32_fp8_e32 v89, v89
	v_dual_mul_f32 v87, s2, v87 :: v_dual_mul_f32 v14, s2, v14
	s_delay_alu instid0(VALU_DEP_4) | instskip(NEXT) | instid1(VALU_DEP_4)
	v_mul_f32_e32 v85, s2, v85
	v_cvt_f32_fp8_e32 v13, v13
	s_delay_alu instid0(VALU_DEP_4) | instskip(NEXT) | instid1(VALU_DEP_4)
	v_mul_f32_e32 v89, s2, v89
	v_bfe_u32 v120, v87, 16, 1
	v_cvt_f32_fp8_e32 v91, v91
	v_bfe_u32 v118, v85, 16, 1
	v_or_b32_e32 v119, 0x400000, v85
	v_cmp_u_f32_e64 s0, v85, v85
	v_mul_f32_e32 v13, s2, v13
	v_or_b32_e32 v121, 0x400000, v87
	v_add3_u32 v118, v118, v85, 0x7fff
	v_bfe_u32 v122, v89, 16, 1
	v_add3_u32 v120, v120, v87, 0x7fff
	v_mul_f32_e32 v91, s2, v91
	v_or_b32_e32 v123, 0x400000, v89
	s_wait_alu 0xf1ff
	v_cndmask_b32_e64 v85, v118, v119, s0
	v_cmp_u_f32_e64 s0, v87, v87
	v_bfe_u32 v124, v13, 16, 1
	v_add3_u32 v122, v122, v89, 0x7fff
	v_cvt_f32_fp8_e32 v93, v93
	v_or_b32_e32 v125, 0x400000, v13
	s_wait_alu 0xf1ff
	v_cndmask_b32_e64 v87, v120, v121, s0
	v_cmp_u_f32_e64 s0, v89, v89
	v_bfe_u32 v126, v91, 16, 1
	v_add3_u32 v124, v124, v13, 0x7fff
	v_mul_f32_e32 v93, s2, v93
	v_or_b32_e32 v127, 0x400000, v91
	s_wait_alu 0xf1ff
	v_cndmask_b32_e64 v89, v122, v123, s0
	v_cmp_u_f32_e64 s0, v13, v13
	v_bfe_u32 v128, v92, 16, 1
	v_add3_u32 v126, v126, v91, 0x7fff
	v_or_b32_e32 v129, 0x400000, v92
	v_bfe_u32 v130, v93, 16, 1
	s_wait_alu 0xf1ff
	v_cndmask_b32_e64 v13, v124, v125, s0
	v_cmp_u_f32_e64 s0, v91, v91
	v_add3_u32 v128, v128, v92, 0x7fff
	v_or_b32_e32 v131, 0x400000, v93
	v_bfe_u32 v132, v14, 16, 1
	v_add3_u32 v130, v130, v93, 0x7fff
	s_wait_alu 0xf1ff
	v_cndmask_b32_e64 v118, v126, v127, s0
	v_cmp_u_f32_e64 s0, v92, v92
	v_or_b32_e32 v133, 0x400000, v14
	v_add3_u32 v132, v132, v14, 0x7fff
	v_lshrrev_b32_e32 v92, 16, v87
	v_lshrrev_b32_e32 v91, 16, v89
	s_wait_alu 0xf1ff
	v_cndmask_b32_e64 v119, v128, v129, s0
	v_cmp_u_f32_e64 s0, v93, v93
	v_lshrrev_b32_e32 v93, 16, v85
	v_lshrrev_b32_e32 v89, 16, v13
	;; [unrolled: 1-line block ×4, first 2 shown]
	s_wait_alu 0xf1ff
	v_cndmask_b32_e64 v120, v130, v131, s0
	v_cmp_u_f32_e64 s0, v14, v14
	s_delay_alu instid0(VALU_DEP_2) | instskip(SKIP_1) | instid1(VALU_DEP_2)
	v_lshrrev_b32_e32 v14, 16, v120
	s_wait_alu 0xf1ff
	v_cndmask_b32_e64 v121, v132, v133, s0
	s_delay_alu instid0(VALU_DEP_1)
	v_lshrrev_b32_e32 v13, 16, v121
	s_and_saveexec_b32 s0, vcc_lo
	s_cbranch_execz .LBB360_28
; %bb.48:                               ;   in Loop: Header=BB360_29 Depth=1
	v_cmp_gt_i32_e32 vcc_lo, s27, v63
	s_wait_alu 0xfffd
	v_cndmask_b32_e32 v93, 0, v93, vcc_lo
	v_cmp_gt_i32_e32 vcc_lo, s27, v70
	s_wait_alu 0xfffd
	v_cndmask_b32_e32 v92, 0, v92, vcc_lo
	;; [unrolled: 3-line block ×8, first 2 shown]
	s_branch .LBB360_28
.LBB360_49:
	s_or_b32 exec_lo, exec_lo, s6
.LBB360_50:
	s_wait_alu 0xfffe
	s_or_b32 exec_lo, exec_lo, s1
	ds_bpermute_b32 v1, v19, v28
	ds_bpermute_b32 v3, v19, v29
	;; [unrolled: 1-line block ×10, first 2 shown]
	v_lshrrev_b32_e32 v11, 2, v16
	v_mul_u32_u24_e32 v13, 0x140, v15
	s_mov_b32 s0, exec_lo
	s_wait_storecnt 0x0
	s_wait_loadcnt_dscnt 0x0
	s_barrier_signal -1
	s_barrier_wait -1
	global_inv scope:SCOPE_SE
	v_add_f32_e32 v1, v28, v1
	v_dual_add_f32 v3, v29, v3 :: v_dual_add_f32 v2, v30, v2
	v_dual_add_f32 v4, v27, v4 :: v_dual_add_f32 v5, v26, v5
	;; [unrolled: 1-line block ×3, first 2 shown]
	ds_bpermute_b32 v6, v18, v1
	v_dual_add_f32 v22, v22, v9 :: v_dual_and_b32 v9, 28, v16
	v_add_f32_e32 v19, v23, v8
	ds_bpermute_b32 v8, v18, v3
	v_add_f32_e32 v21, v21, v10
	ds_bpermute_b32 v7, v18, v2
	ds_bpermute_b32 v23, v18, v4
	;; [unrolled: 1-line block ×6, first 2 shown]
	s_wait_dscnt 0x7
	v_dual_add_f32 v10, v1, v6 :: v_dual_and_b32 v15, 0x3c3, v0
	v_add_nc_u32_e32 v12, 0xc0, v9
	ds_bpermute_b32 v27, v18, v19
	s_wait_dscnt 0x7
	v_add_f32_e32 v8, v3, v8
	ds_bpermute_b32 v18, v18, v21
	s_wait_dscnt 0x7
	v_add_f32_e32 v9, v2, v7
	s_wait_dscnt 0x5
	v_dual_add_f32 v7, v4, v23 :: v_dual_add_f32 v6, v5, v24
	s_wait_dscnt 0x3
	v_dual_add_f32 v5, v14, v25 :: v_dual_add_f32 v4, v17, v26
	;; [unrolled: 2-line block ×3, first 2 shown]
	s_wait_dscnt 0x0
	v_add_f32_e32 v1, v21, v18
	v_cmpx_eq_u32_e32 64, v15
	s_cbranch_execz .LBB360_52
; %bb.51:
	v_add_nc_u32_e32 v14, v12, v13
	s_delay_alu instid0(VALU_DEP_1)
	v_add_nc_u32_e32 v15, 0xfffffd80, v14
	v_add_nc_u32_e32 v16, 0xfffffda0, v14
	;; [unrolled: 1-line block ×10, first 2 shown]
	ds_store_b32 v15, v10
	ds_store_b32 v16, v9
	;; [unrolled: 1-line block ×10, first 2 shown]
.LBB360_52:
	s_wait_alu 0xfffe
	s_or_b32 exec_lo, exec_lo, s0
	v_lshlrev_b32_e32 v11, 2, v11
	s_mov_b32 s1, exec_lo
	v_cmp_eq_u32_e32 vcc_lo, 0, v20
	s_wait_loadcnt_dscnt 0x0
	s_barrier_signal -1
	v_add3_u32 v11, 0xc0, v13, v11
	s_barrier_wait -1
	global_inv scope:SCOPE_SE
	v_cmpx_gt_u32_e32 64, v0
	s_cbranch_execz .LBB360_65
; %bb.53:
	s_and_saveexec_b32 s0, vcc_lo
	s_cbranch_execnz .LBB360_83
; %bb.54:
	s_wait_alu 0xfffe
	s_or_b32 exec_lo, exec_lo, s0
	s_and_saveexec_b32 s0, vcc_lo
	s_cbranch_execnz .LBB360_84
.LBB360_55:
	s_wait_alu 0xfffe
	s_or_b32 exec_lo, exec_lo, s0
	s_and_saveexec_b32 s0, vcc_lo
	s_cbranch_execnz .LBB360_85
.LBB360_56:
	s_wait_alu 0xfffe
	s_or_b32 exec_lo, exec_lo, s0
	s_and_saveexec_b32 s0, vcc_lo
	s_cbranch_execnz .LBB360_86
.LBB360_57:
	s_wait_alu 0xfffe
	s_or_b32 exec_lo, exec_lo, s0
	s_and_saveexec_b32 s0, vcc_lo
	s_cbranch_execnz .LBB360_87
.LBB360_58:
	s_wait_alu 0xfffe
	s_or_b32 exec_lo, exec_lo, s0
	s_and_saveexec_b32 s0, vcc_lo
	s_cbranch_execnz .LBB360_88
.LBB360_59:
	s_wait_alu 0xfffe
	s_or_b32 exec_lo, exec_lo, s0
	s_and_saveexec_b32 s0, vcc_lo
	s_cbranch_execnz .LBB360_89
.LBB360_60:
	s_wait_alu 0xfffe
	s_or_b32 exec_lo, exec_lo, s0
	s_and_saveexec_b32 s0, vcc_lo
	s_cbranch_execnz .LBB360_90
.LBB360_61:
	s_wait_alu 0xfffe
	s_or_b32 exec_lo, exec_lo, s0
	s_and_saveexec_b32 s0, vcc_lo
	s_cbranch_execnz .LBB360_91
.LBB360_62:
	s_wait_alu 0xfffe
	s_or_b32 exec_lo, exec_lo, s0
	s_and_saveexec_b32 s0, vcc_lo
	s_cbranch_execz .LBB360_64
.LBB360_63:
	ds_load_b32 v13, v11 offset:288
	s_wait_dscnt 0x0
	v_add_f32_e32 v1, v1, v13
.LBB360_64:
	s_wait_alu 0xfffe
	s_or_b32 exec_lo, exec_lo, s0
.LBB360_65:
	s_wait_alu 0xfffe
	s_or_b32 exec_lo, exec_lo, s1
	v_and_b32_e32 v13, 0x3e3, v0
	s_mov_b32 s1, exec_lo
	s_wait_loadcnt 0x0
	s_barrier_signal -1
	s_barrier_wait -1
	global_inv scope:SCOPE_SE
	v_cmpx_eq_u32_e32 32, v13
	s_cbranch_execz .LBB360_67
; %bb.66:
	ds_store_2addr_b32 v12, v10, v9 offset1:8
	ds_store_2addr_b32 v12, v8, v7 offset0:16 offset1:24
	ds_store_2addr_b32 v12, v6, v5 offset0:32 offset1:40
	;; [unrolled: 1-line block ×4, first 2 shown]
.LBB360_67:
	s_wait_alu 0xfffe
	s_or_b32 exec_lo, exec_lo, s1
	s_delay_alu instid0(SALU_CYCLE_1)
	s_mov_b32 s1, exec_lo
	s_wait_loadcnt_dscnt 0x0
	s_barrier_signal -1
	s_barrier_wait -1
	global_inv scope:SCOPE_SE
	v_cmpx_gt_u32_e32 32, v0
	s_cbranch_execz .LBB360_80
; %bb.68:
	s_and_saveexec_b32 s0, vcc_lo
	s_cbranch_execnz .LBB360_92
; %bb.69:
	s_wait_alu 0xfffe
	s_or_b32 exec_lo, exec_lo, s0
	s_and_saveexec_b32 s0, vcc_lo
	s_cbranch_execnz .LBB360_93
.LBB360_70:
	s_wait_alu 0xfffe
	s_or_b32 exec_lo, exec_lo, s0
	s_and_saveexec_b32 s0, vcc_lo
	s_cbranch_execnz .LBB360_94
.LBB360_71:
	s_wait_alu 0xfffe
	s_or_b32 exec_lo, exec_lo, s0
	s_and_saveexec_b32 s0, vcc_lo
	s_cbranch_execnz .LBB360_95
.LBB360_72:
	s_wait_alu 0xfffe
	s_or_b32 exec_lo, exec_lo, s0
	s_and_saveexec_b32 s0, vcc_lo
	s_cbranch_execnz .LBB360_96
.LBB360_73:
	s_wait_alu 0xfffe
	s_or_b32 exec_lo, exec_lo, s0
	s_and_saveexec_b32 s0, vcc_lo
	s_cbranch_execnz .LBB360_97
.LBB360_74:
	s_wait_alu 0xfffe
	s_or_b32 exec_lo, exec_lo, s0
	s_and_saveexec_b32 s0, vcc_lo
	s_cbranch_execnz .LBB360_98
.LBB360_75:
	s_wait_alu 0xfffe
	s_or_b32 exec_lo, exec_lo, s0
	s_and_saveexec_b32 s0, vcc_lo
	s_cbranch_execnz .LBB360_99
.LBB360_76:
	s_wait_alu 0xfffe
	s_or_b32 exec_lo, exec_lo, s0
	s_and_saveexec_b32 s0, vcc_lo
	s_cbranch_execnz .LBB360_100
.LBB360_77:
	s_wait_alu 0xfffe
	s_or_b32 exec_lo, exec_lo, s0
	s_and_saveexec_b32 s0, vcc_lo
	s_cbranch_execz .LBB360_79
.LBB360_78:
	ds_load_b32 v11, v11 offset:288
	s_wait_dscnt 0x0
	v_add_f32_e32 v1, v1, v11
.LBB360_79:
	s_wait_alu 0xfffe
	s_or_b32 exec_lo, exec_lo, s0
.LBB360_80:
	s_wait_alu 0xfffe
	s_or_b32 exec_lo, exec_lo, s1
	s_mov_b32 s1, 0
	s_wait_loadcnt 0x0
	s_barrier_signal -1
	s_barrier_wait -1
	global_inv scope:SCOPE_SE
	s_mov_b32 s0, exec_lo
	v_cmpx_eq_u32_e32 0, v13
	s_cbranch_execz .LBB360_82
; %bb.81:
	v_bfe_u32 v11, v10, 16, 1
	v_bfe_u32 v12, v9, 16, 1
	v_or_b32_e32 v13, 0x400000, v10
	v_cmp_u_f32_e32 vcc_lo, v10, v10
	v_or_b32_e32 v14, 0x400000, v9
	v_add3_u32 v11, v11, v10, 0x7fff
	v_add3_u32 v12, v12, v9, 0x7fff
	v_bfe_u32 v15, v8, 16, 1
	s_mul_i32 s2, s14, 0x50
	s_mul_i32 s6, s12, s16
	s_wait_alu 0xfffd
	v_cndmask_b32_e32 v10, v11, v13, vcc_lo
	v_cmp_u_f32_e32 vcc_lo, v9, v9
	v_bfe_u32 v11, v7, 16, 1
	v_or_b32_e32 v13, 0x400000, v8
	s_wait_alu 0xfffe
	s_ashr_i32 s3, s2, 31
	s_ashr_i32 s7, s6, 31
	s_wait_alu 0xfffd
	v_cndmask_b32_e32 v9, v12, v14, vcc_lo
	v_add3_u32 v12, v15, v8, 0x7fff
	v_cmp_u_f32_e32 vcc_lo, v8, v8
	v_add3_u32 v11, v11, v7, 0x7fff
	v_or_b32_e32 v14, 0x400000, v7
	v_bfe_u32 v15, v6, 16, 1
	s_wait_alu 0xfffe
	s_lshl_b64 s[2:3], s[2:3], 1
	s_wait_alu 0xfffd
	v_cndmask_b32_e32 v8, v12, v13, vcc_lo
	v_cmp_u_f32_e32 vcc_lo, v7, v7
	v_bfe_u32 v12, v5, 16, 1
	v_or_b32_e32 v13, 0x400000, v6
	s_lshl_b64 s[6:7], s[6:7], 1
	s_wait_kmcnt 0x0
	s_wait_alu 0xfffe
	s_add_nc_u64 s[2:3], s[4:5], s[2:3]
	s_wait_alu 0xfffd
	v_cndmask_b32_e32 v7, v11, v14, vcc_lo
	v_add3_u32 v11, v15, v6, 0x7fff
	v_cmp_u_f32_e32 vcc_lo, v6, v6
	v_bfe_u32 v14, v4, 16, 1
	v_add3_u32 v12, v12, v5, 0x7fff
	v_or_b32_e32 v15, 0x400000, v5
	v_lshrrev_b32_e32 v0, 1, v0
	s_wait_alu 0xfffd
	v_cndmask_b32_e32 v6, v11, v13, vcc_lo
	v_cmp_u_f32_e32 vcc_lo, v5, v5
	v_add3_u32 v11, v14, v4, 0x7fff
	v_or_b32_e32 v13, 0x400000, v4
	v_bfe_u32 v14, v2, 16, 1
	v_or_b32_e32 v16, 0x400000, v1
	s_wait_alu 0xfffd
	v_cndmask_b32_e32 v5, v12, v15, vcc_lo
	v_bfe_u32 v12, v3, 16, 1
	v_cmp_u_f32_e32 vcc_lo, v4, v4
	v_add3_u32 v14, v14, v2, 0x7fff
	v_or_b32_e32 v15, 0x400000, v2
	s_wait_alu 0xfffe
	s_add_nc_u64 s[2:3], s[2:3], s[6:7]
	v_add3_u32 v12, v12, v3, 0x7fff
	s_wait_alu 0xfffd
	v_cndmask_b32_e32 v4, v11, v13, vcc_lo
	v_or_b32_e32 v13, 0x400000, v3
	v_cmp_u_f32_e32 vcc_lo, v3, v3
	v_bfe_u32 v11, v1, 16, 1
	s_mul_i32 s0, s26, 0xa0
	s_wait_alu 0xfffe
	s_add_nc_u64 s[0:1], s[2:3], s[0:1]
	s_wait_alu 0xfffd
	v_cndmask_b32_e32 v3, v12, v13, vcc_lo
	v_cmp_u_f32_e32 vcc_lo, v2, v2
	v_add3_u32 v11, v11, v1, 0x7fff
	s_wait_alu 0xfffd
	v_cndmask_b32_e32 v2, v14, v15, vcc_lo
	v_cmp_u_f32_e32 vcc_lo, v1, v1
	s_wait_alu 0xfffd
	v_cndmask_b32_e32 v1, v11, v16, vcc_lo
	s_clause 0x9
	global_store_d16_hi_b16 v0, v10, s[0:1]
	global_store_d16_hi_b16 v0, v9, s[0:1] offset:16
	global_store_d16_hi_b16 v0, v8, s[0:1] offset:32
	;; [unrolled: 1-line block ×9, first 2 shown]
.LBB360_82:
	s_nop 0
	s_sendmsg sendmsg(MSG_DEALLOC_VGPRS)
	s_endpgm
.LBB360_83:
	ds_load_b32 v13, v11
	s_wait_dscnt 0x0
	v_add_f32_e32 v10, v10, v13
	s_wait_alu 0xfffe
	s_or_b32 exec_lo, exec_lo, s0
	s_and_saveexec_b32 s0, vcc_lo
	s_cbranch_execz .LBB360_55
.LBB360_84:
	ds_load_b32 v13, v11 offset:32
	s_wait_dscnt 0x0
	v_add_f32_e32 v9, v9, v13
	s_wait_alu 0xfffe
	s_or_b32 exec_lo, exec_lo, s0
	s_and_saveexec_b32 s0, vcc_lo
	s_cbranch_execz .LBB360_56
.LBB360_85:
	ds_load_b32 v13, v11 offset:64
	s_wait_dscnt 0x0
	v_add_f32_e32 v8, v8, v13
	s_wait_alu 0xfffe
	s_or_b32 exec_lo, exec_lo, s0
	s_and_saveexec_b32 s0, vcc_lo
	s_cbranch_execz .LBB360_57
.LBB360_86:
	ds_load_b32 v13, v11 offset:96
	s_wait_dscnt 0x0
	v_add_f32_e32 v7, v7, v13
	s_wait_alu 0xfffe
	s_or_b32 exec_lo, exec_lo, s0
	s_and_saveexec_b32 s0, vcc_lo
	s_cbranch_execz .LBB360_58
.LBB360_87:
	ds_load_b32 v13, v11 offset:128
	s_wait_dscnt 0x0
	v_add_f32_e32 v6, v6, v13
	s_wait_alu 0xfffe
	s_or_b32 exec_lo, exec_lo, s0
	s_and_saveexec_b32 s0, vcc_lo
	s_cbranch_execz .LBB360_59
.LBB360_88:
	ds_load_b32 v13, v11 offset:160
	s_wait_dscnt 0x0
	v_add_f32_e32 v5, v5, v13
	s_wait_alu 0xfffe
	s_or_b32 exec_lo, exec_lo, s0
	s_and_saveexec_b32 s0, vcc_lo
	s_cbranch_execz .LBB360_60
.LBB360_89:
	ds_load_b32 v13, v11 offset:192
	s_wait_dscnt 0x0
	v_add_f32_e32 v4, v4, v13
	s_wait_alu 0xfffe
	s_or_b32 exec_lo, exec_lo, s0
	s_and_saveexec_b32 s0, vcc_lo
	s_cbranch_execz .LBB360_61
.LBB360_90:
	ds_load_b32 v13, v11 offset:224
	s_wait_dscnt 0x0
	v_add_f32_e32 v3, v3, v13
	s_wait_alu 0xfffe
	s_or_b32 exec_lo, exec_lo, s0
	s_and_saveexec_b32 s0, vcc_lo
	s_cbranch_execz .LBB360_62
.LBB360_91:
	ds_load_b32 v13, v11 offset:256
	s_wait_dscnt 0x0
	v_add_f32_e32 v2, v2, v13
	s_wait_alu 0xfffe
	s_or_b32 exec_lo, exec_lo, s0
	s_and_saveexec_b32 s0, vcc_lo
	s_cbranch_execnz .LBB360_63
	s_branch .LBB360_64
.LBB360_92:
	ds_load_b32 v12, v11
	s_wait_dscnt 0x0
	v_add_f32_e32 v10, v10, v12
	s_wait_alu 0xfffe
	s_or_b32 exec_lo, exec_lo, s0
	s_and_saveexec_b32 s0, vcc_lo
	s_cbranch_execz .LBB360_70
.LBB360_93:
	ds_load_b32 v12, v11 offset:32
	s_wait_dscnt 0x0
	v_add_f32_e32 v9, v9, v12
	s_wait_alu 0xfffe
	s_or_b32 exec_lo, exec_lo, s0
	s_and_saveexec_b32 s0, vcc_lo
	s_cbranch_execz .LBB360_71
.LBB360_94:
	ds_load_b32 v12, v11 offset:64
	s_wait_dscnt 0x0
	v_add_f32_e32 v8, v8, v12
	s_wait_alu 0xfffe
	s_or_b32 exec_lo, exec_lo, s0
	s_and_saveexec_b32 s0, vcc_lo
	s_cbranch_execz .LBB360_72
.LBB360_95:
	ds_load_b32 v12, v11 offset:96
	s_wait_dscnt 0x0
	v_add_f32_e32 v7, v7, v12
	s_wait_alu 0xfffe
	s_or_b32 exec_lo, exec_lo, s0
	s_and_saveexec_b32 s0, vcc_lo
	s_cbranch_execz .LBB360_73
.LBB360_96:
	ds_load_b32 v12, v11 offset:128
	s_wait_dscnt 0x0
	v_add_f32_e32 v6, v6, v12
	s_wait_alu 0xfffe
	s_or_b32 exec_lo, exec_lo, s0
	s_and_saveexec_b32 s0, vcc_lo
	s_cbranch_execz .LBB360_74
.LBB360_97:
	ds_load_b32 v12, v11 offset:160
	s_wait_dscnt 0x0
	v_add_f32_e32 v5, v5, v12
	s_wait_alu 0xfffe
	s_or_b32 exec_lo, exec_lo, s0
	s_and_saveexec_b32 s0, vcc_lo
	s_cbranch_execz .LBB360_75
.LBB360_98:
	ds_load_b32 v12, v11 offset:192
	s_wait_dscnt 0x0
	v_add_f32_e32 v4, v4, v12
	s_wait_alu 0xfffe
	s_or_b32 exec_lo, exec_lo, s0
	s_and_saveexec_b32 s0, vcc_lo
	s_cbranch_execz .LBB360_76
.LBB360_99:
	ds_load_b32 v12, v11 offset:224
	s_wait_dscnt 0x0
	v_add_f32_e32 v3, v3, v12
	s_wait_alu 0xfffe
	s_or_b32 exec_lo, exec_lo, s0
	s_and_saveexec_b32 s0, vcc_lo
	s_cbranch_execz .LBB360_77
.LBB360_100:
	ds_load_b32 v12, v11 offset:256
	s_wait_dscnt 0x0
	v_add_f32_e32 v2, v2, v12
	s_wait_alu 0xfffe
	s_or_b32 exec_lo, exec_lo, s0
	s_and_saveexec_b32 s0, vcc_lo
	s_cbranch_execnz .LBB360_78
	s_branch .LBB360_79
	.section	.rodata,"a",@progbits
	.p2align	6, 0x0
	.amdhsa_kernel _ZN4vllm25paged_attention_v2_kernelI14__hip_bfloat16hLi80ELi32ELi128ELNS_18Fp8KVCacheDataTypeE1ELb0ELi512EEEvPfS3_PT_PKS4_PKT0_SA_ifPKiSC_iPKfiiiSE_SE_iiiii
		.amdhsa_group_segment_fixed_size 192
		.amdhsa_private_segment_fixed_size 0
		.amdhsa_kernarg_size 400
		.amdhsa_user_sgpr_count 2
		.amdhsa_user_sgpr_dispatch_ptr 0
		.amdhsa_user_sgpr_queue_ptr 0
		.amdhsa_user_sgpr_kernarg_segment_ptr 1
		.amdhsa_user_sgpr_dispatch_id 0
		.amdhsa_user_sgpr_private_segment_size 0
		.amdhsa_wavefront_size32 1
		.amdhsa_uses_dynamic_stack 0
		.amdhsa_enable_private_segment 0
		.amdhsa_system_sgpr_workgroup_id_x 1
		.amdhsa_system_sgpr_workgroup_id_y 1
		.amdhsa_system_sgpr_workgroup_id_z 1
		.amdhsa_system_sgpr_workgroup_info 0
		.amdhsa_system_vgpr_workitem_id 0
		.amdhsa_next_free_vgpr 177
		.amdhsa_next_free_sgpr 38
		.amdhsa_reserve_vcc 1
		.amdhsa_float_round_mode_32 0
		.amdhsa_float_round_mode_16_64 0
		.amdhsa_float_denorm_mode_32 3
		.amdhsa_float_denorm_mode_16_64 3
		.amdhsa_fp16_overflow 0
		.amdhsa_workgroup_processor_mode 1
		.amdhsa_memory_ordered 1
		.amdhsa_forward_progress 1
		.amdhsa_inst_pref_size 197
		.amdhsa_round_robin_scheduling 0
		.amdhsa_exception_fp_ieee_invalid_op 0
		.amdhsa_exception_fp_denorm_src 0
		.amdhsa_exception_fp_ieee_div_zero 0
		.amdhsa_exception_fp_ieee_overflow 0
		.amdhsa_exception_fp_ieee_underflow 0
		.amdhsa_exception_fp_ieee_inexact 0
		.amdhsa_exception_int_div_zero 0
	.end_amdhsa_kernel
	.section	.text._ZN4vllm25paged_attention_v2_kernelI14__hip_bfloat16hLi80ELi32ELi128ELNS_18Fp8KVCacheDataTypeE1ELb0ELi512EEEvPfS3_PT_PKS4_PKT0_SA_ifPKiSC_iPKfiiiSE_SE_iiiii,"axG",@progbits,_ZN4vllm25paged_attention_v2_kernelI14__hip_bfloat16hLi80ELi32ELi128ELNS_18Fp8KVCacheDataTypeE1ELb0ELi512EEEvPfS3_PT_PKS4_PKT0_SA_ifPKiSC_iPKfiiiSE_SE_iiiii,comdat
.Lfunc_end360:
	.size	_ZN4vllm25paged_attention_v2_kernelI14__hip_bfloat16hLi80ELi32ELi128ELNS_18Fp8KVCacheDataTypeE1ELb0ELi512EEEvPfS3_PT_PKS4_PKT0_SA_ifPKiSC_iPKfiiiSE_SE_iiiii, .Lfunc_end360-_ZN4vllm25paged_attention_v2_kernelI14__hip_bfloat16hLi80ELi32ELi128ELNS_18Fp8KVCacheDataTypeE1ELb0ELi512EEEvPfS3_PT_PKS4_PKT0_SA_ifPKiSC_iPKfiiiSE_SE_iiiii
                                        ; -- End function
	.set _ZN4vllm25paged_attention_v2_kernelI14__hip_bfloat16hLi80ELi32ELi128ELNS_18Fp8KVCacheDataTypeE1ELb0ELi512EEEvPfS3_PT_PKS4_PKT0_SA_ifPKiSC_iPKfiiiSE_SE_iiiii.num_vgpr, 177
	.set _ZN4vllm25paged_attention_v2_kernelI14__hip_bfloat16hLi80ELi32ELi128ELNS_18Fp8KVCacheDataTypeE1ELb0ELi512EEEvPfS3_PT_PKS4_PKT0_SA_ifPKiSC_iPKfiiiSE_SE_iiiii.num_agpr, 0
	.set _ZN4vllm25paged_attention_v2_kernelI14__hip_bfloat16hLi80ELi32ELi128ELNS_18Fp8KVCacheDataTypeE1ELb0ELi512EEEvPfS3_PT_PKS4_PKT0_SA_ifPKiSC_iPKfiiiSE_SE_iiiii.numbered_sgpr, 38
	.set _ZN4vllm25paged_attention_v2_kernelI14__hip_bfloat16hLi80ELi32ELi128ELNS_18Fp8KVCacheDataTypeE1ELb0ELi512EEEvPfS3_PT_PKS4_PKT0_SA_ifPKiSC_iPKfiiiSE_SE_iiiii.num_named_barrier, 0
	.set _ZN4vllm25paged_attention_v2_kernelI14__hip_bfloat16hLi80ELi32ELi128ELNS_18Fp8KVCacheDataTypeE1ELb0ELi512EEEvPfS3_PT_PKS4_PKT0_SA_ifPKiSC_iPKfiiiSE_SE_iiiii.private_seg_size, 0
	.set _ZN4vllm25paged_attention_v2_kernelI14__hip_bfloat16hLi80ELi32ELi128ELNS_18Fp8KVCacheDataTypeE1ELb0ELi512EEEvPfS3_PT_PKS4_PKT0_SA_ifPKiSC_iPKfiiiSE_SE_iiiii.uses_vcc, 1
	.set _ZN4vllm25paged_attention_v2_kernelI14__hip_bfloat16hLi80ELi32ELi128ELNS_18Fp8KVCacheDataTypeE1ELb0ELi512EEEvPfS3_PT_PKS4_PKT0_SA_ifPKiSC_iPKfiiiSE_SE_iiiii.uses_flat_scratch, 0
	.set _ZN4vllm25paged_attention_v2_kernelI14__hip_bfloat16hLi80ELi32ELi128ELNS_18Fp8KVCacheDataTypeE1ELb0ELi512EEEvPfS3_PT_PKS4_PKT0_SA_ifPKiSC_iPKfiiiSE_SE_iiiii.has_dyn_sized_stack, 0
	.set _ZN4vllm25paged_attention_v2_kernelI14__hip_bfloat16hLi80ELi32ELi128ELNS_18Fp8KVCacheDataTypeE1ELb0ELi512EEEvPfS3_PT_PKS4_PKT0_SA_ifPKiSC_iPKfiiiSE_SE_iiiii.has_recursion, 0
	.set _ZN4vllm25paged_attention_v2_kernelI14__hip_bfloat16hLi80ELi32ELi128ELNS_18Fp8KVCacheDataTypeE1ELb0ELi512EEEvPfS3_PT_PKS4_PKT0_SA_ifPKiSC_iPKfiiiSE_SE_iiiii.has_indirect_call, 0
	.section	.AMDGPU.csdata,"",@progbits
; Kernel info:
; codeLenInByte = 25184
; TotalNumSgprs: 40
; NumVgprs: 177
; ScratchSize: 0
; MemoryBound: 0
; FloatMode: 240
; IeeeMode: 1
; LDSByteSize: 192 bytes/workgroup (compile time only)
; SGPRBlocks: 0
; VGPRBlocks: 22
; NumSGPRsForWavesPerEU: 40
; NumVGPRsForWavesPerEU: 177
; Occupancy: 8
; WaveLimiterHint : 1
; COMPUTE_PGM_RSRC2:SCRATCH_EN: 0
; COMPUTE_PGM_RSRC2:USER_SGPR: 2
; COMPUTE_PGM_RSRC2:TRAP_HANDLER: 0
; COMPUTE_PGM_RSRC2:TGID_X_EN: 1
; COMPUTE_PGM_RSRC2:TGID_Y_EN: 1
; COMPUTE_PGM_RSRC2:TGID_Z_EN: 1
; COMPUTE_PGM_RSRC2:TIDIG_COMP_CNT: 0
	.section	.text._ZN4vllm25paged_attention_v2_kernelI14__hip_bfloat16hLi96ELi32ELi128ELNS_18Fp8KVCacheDataTypeE1ELb0ELi512EEEvPfS3_PT_PKS4_PKT0_SA_ifPKiSC_iPKfiiiSE_SE_iiiii,"axG",@progbits,_ZN4vllm25paged_attention_v2_kernelI14__hip_bfloat16hLi96ELi32ELi128ELNS_18Fp8KVCacheDataTypeE1ELb0ELi512EEEvPfS3_PT_PKS4_PKT0_SA_ifPKiSC_iPKfiiiSE_SE_iiiii,comdat
	.protected	_ZN4vllm25paged_attention_v2_kernelI14__hip_bfloat16hLi96ELi32ELi128ELNS_18Fp8KVCacheDataTypeE1ELb0ELi512EEEvPfS3_PT_PKS4_PKT0_SA_ifPKiSC_iPKfiiiSE_SE_iiiii ; -- Begin function _ZN4vllm25paged_attention_v2_kernelI14__hip_bfloat16hLi96ELi32ELi128ELNS_18Fp8KVCacheDataTypeE1ELb0ELi512EEEvPfS3_PT_PKS4_PKT0_SA_ifPKiSC_iPKfiiiSE_SE_iiiii
	.globl	_ZN4vllm25paged_attention_v2_kernelI14__hip_bfloat16hLi96ELi32ELi128ELNS_18Fp8KVCacheDataTypeE1ELb0ELi512EEEvPfS3_PT_PKS4_PKT0_SA_ifPKiSC_iPKfiiiSE_SE_iiiii
	.p2align	8
	.type	_ZN4vllm25paged_attention_v2_kernelI14__hip_bfloat16hLi96ELi32ELi128ELNS_18Fp8KVCacheDataTypeE1ELb0ELi512EEEvPfS3_PT_PKS4_PKT0_SA_ifPKiSC_iPKfiiiSE_SE_iiiii,@function
_ZN4vllm25paged_attention_v2_kernelI14__hip_bfloat16hLi96ELi32ELi128ELNS_18Fp8KVCacheDataTypeE1ELb0ELi512EEEvPfS3_PT_PKS4_PKT0_SA_ifPKiSC_iPKfiiiSE_SE_iiiii: ; @_ZN4vllm25paged_attention_v2_kernelI14__hip_bfloat16hLi96ELi32ELi128ELNS_18Fp8KVCacheDataTypeE1ELb0ELi512EEEvPfS3_PT_PKS4_PKT0_SA_ifPKiSC_iPKfiiiSE_SE_iiiii
; %bb.0:
	s_load_b64 s[2:3], s[0:1], 0x40
	s_and_b32 s15, ttmp7, 0xffff
	s_lshr_b32 s26, ttmp7, 16
	s_lshl_b32 s4, s15, 2
	s_lshl_b32 s28, s26, 9
	s_wait_kmcnt 0x0
	s_load_b32 s27, s[2:3], s4 offset:0x0
	s_wait_kmcnt 0x0
	s_cmp_ge_i32 s28, s27
	s_cbranch_scc1 .LBB361_90
; %bb.1:
	s_clause 0x1
	s_load_b32 s29, s[0:1], 0x90
	s_load_b64 s[8:9], s[0:1], 0x30
	v_mov_b32_e32 v149, v0
	s_wait_kmcnt 0x0
	s_abs_i32 s5, s29
	s_abs_i32 s2, s8
	s_delay_alu instid0(SALU_CYCLE_1) | instskip(SKIP_1) | instid1(SALU_CYCLE_2)
	s_cvt_f32_u32 s3, s2
	s_sub_co_i32 s4, 0, s2
	v_rcp_iflag_f32_e32 v0, s3
	s_delay_alu instid0(TRANS32_DEP_1) | instskip(SKIP_2) | instid1(SALU_CYCLE_2)
	v_readfirstlane_b32 s3, v0
	s_mul_f32 s3, s3, 0x4f7ffffe
	s_wait_alu 0xfffe
	s_cvt_u32_f32 s3, s3
	s_wait_alu 0xfffe
	s_delay_alu instid0(SALU_CYCLE_2) | instskip(NEXT) | instid1(SALU_CYCLE_1)
	s_mul_i32 s4, s4, s3
	s_mul_hi_u32 s4, s3, s4
	s_delay_alu instid0(SALU_CYCLE_1)
	s_add_co_i32 s3, s3, s4
	s_xor_b32 s4, s29, s8
	s_wait_alu 0xfffe
	s_mul_hi_u32 s3, s5, s3
	s_ashr_i32 s4, s4, 31
	s_wait_alu 0xfffe
	s_mul_i32 s6, s3, s2
	s_delay_alu instid0(SALU_CYCLE_1)
	s_sub_co_i32 s5, s5, s6
	s_add_co_i32 s6, s3, 1
	s_sub_co_i32 s7, s5, s2
	s_cmp_ge_u32 s5, s2
	s_cselect_b32 s3, s6, s3
	s_cselect_b32 s5, s7, s5
	s_wait_alu 0xfffe
	s_add_co_i32 s6, s3, 1
	s_cmp_ge_u32 s5, s2
	s_cselect_b32 s2, s6, s3
	s_load_b64 s[6:7], s[0:1], 0x50
	s_xor_b32 s2, s2, s4
	s_mov_b32 s3, 0
	s_wait_alu 0xfffe
	s_sub_co_i32 s11, s2, s4
	s_mov_b32 s8, s3
	s_abs_i32 s10, s11
	s_delay_alu instid0(SALU_CYCLE_1) | instskip(SKIP_1) | instid1(SALU_CYCLE_2)
	s_cvt_f32_u32 s2, s10
	s_wait_alu 0xfffe
	v_rcp_iflag_f32_e32 v0, s2
	s_delay_alu instid0(TRANS32_DEP_1) | instskip(SKIP_2) | instid1(SALU_CYCLE_2)
	v_readfirstlane_b32 s2, v0
	s_mul_f32 s2, s2, 0x4f7ffffe
	s_wait_alu 0xfffe
	s_cvt_u32_f32 s4, s2
	s_sub_co_i32 s2, 0, s10
	s_wait_alu 0xfffe
	s_delay_alu instid0(SALU_CYCLE_1)
	s_mul_i32 s2, s2, s4
	s_wait_alu 0xfffe
	s_mul_hi_u32 s5, s4, s2
	s_abs_i32 s2, ttmp9
	s_add_co_i32 s4, s4, s5
	s_mov_b32 s5, s3
	s_wait_kmcnt 0x0
	s_cmp_eq_u64 s[6:7], 0
	s_cbranch_scc1 .LBB361_3
; %bb.2:
	s_mov_b32 s12, ttmp9
	s_ashr_i32 s13, ttmp9, 31
	s_delay_alu instid0(SALU_CYCLE_1) | instskip(NEXT) | instid1(SALU_CYCLE_1)
	s_lshl_b64 s[12:13], s[12:13], 2
	s_add_nc_u64 s[6:7], s[6:7], s[12:13]
	s_load_b32 s8, s[6:7], 0x0
.LBB361_3:
	s_load_b96 s[12:14], s[0:1], 0x58
	s_mul_u64 s[4:5], s[2:3], s[4:5]
	s_ashr_i32 s3, ttmp9, 31
	s_ashr_i32 s4, s11, 31
	s_mul_i32 s16, ttmp9, 0x60
	s_mov_b32 s6, exec_lo
	v_cmpx_gt_u32_e32 12, v149
	s_cbranch_execz .LBB361_5
; %bb.4:
	s_load_b64 s[18:19], s[0:1], 0x18
	s_wait_kmcnt 0x0
	s_mul_i32 s20, s12, s15
	s_ashr_i32 s17, s16, 31
	s_ashr_i32 s21, s20, 31
	v_lshlrev_b32_e32 v4, 4, v149
	s_lshl_b64 s[20:21], s[20:21], 1
	s_delay_alu instid0(SALU_CYCLE_1) | instskip(SKIP_1) | instid1(SALU_CYCLE_1)
	s_add_nc_u64 s[18:19], s[18:19], s[20:21]
	s_lshl_b64 s[20:21], s[16:17], 1
	s_add_nc_u64 s[18:19], s[18:19], s[20:21]
	global_load_b128 v[0:3], v4, s[18:19]
	s_wait_loadcnt 0x0
	ds_store_b128 v4, v[0:3]
.LBB361_5:
	s_or_b32 exec_lo, exec_lo, s6
	s_add_co_i32 s6, s27, 31
	s_lshl_b32 s31, s26, 4
	s_ashr_i32 s7, s6, 31
	s_wait_alu 0xfffe
	s_xor_b32 s3, s3, s4
	s_lshr_b32 s7, s7, 27
	s_add_co_i32 s4, s31, 16
	s_add_co_i32 s6, s6, s7
	s_clause 0x1
	s_load_b64 s[18:19], s[0:1], 0x38
	s_load_b32 s11, s[0:1], 0x48
	s_ashr_i32 s30, s6, 5
	s_mul_i32 s6, s5, s10
	s_min_i32 s17, s4, s30
	s_sub_co_i32 s2, s2, s6
	s_add_co_i32 s4, s5, 1
	s_wait_alu 0xfffe
	s_sub_co_i32 s6, s2, s10
	s_cmp_ge_u32 s2, s10
	v_lshrrev_b32_e32 v150, 5, v149
	s_cselect_b32 s20, s4, s5
	s_cselect_b32 s2, s6, s2
	s_wait_kmcnt 0x0
	s_clause 0x1
	s_load_b32 s12, s[0:1], 0x98
	s_load_b128 s[4:7], s[0:1], 0x68
	s_add_co_i32 s21, s20, 1
	s_cmp_ge_u32 s2, s10
	v_and_b32_e32 v151, 31, v149
	v_add_nc_u32_e32 v17, s31, v150
	s_cselect_b32 s2, s21, s20
	v_mov_b32_e32 v101, 0xff7fffff
	s_wait_alu 0xfffe
	s_xor_b32 s2, s2, s3
	v_lshlrev_b32_e32 v22, 2, v151
	s_wait_alu 0xfffe
	s_sub_co_i32 s3, s2, s3
	v_cmp_gt_i32_e64 s2, s17, v17
	v_lshlrev_b32_e32 v111, 2, v17
	s_mul_i32 s20, s11, s15
	s_wait_alu 0xfffe
	s_mul_i32 s22, s3, s14
	s_ashr_i32 s21, s20, 31
	s_wait_dscnt 0x0
	s_barrier_signal -1
	s_barrier_wait -1
	global_inv scope:SCOPE_SE
	s_and_saveexec_b32 s10, s2
	s_cbranch_execz .LBB361_9
; %bb.6:
	v_mov_b32_e32 v16, 0
	scratch_store_b32 off, v149, off offset:92 ; 4-byte Folded Spill
	s_load_b64 s[24:25], s[0:1], 0x20
	s_ashr_i32 s23, s22, 31
	s_cmp_neq_f32 s8, 0
	ds_load_b128 v[0:3], v16
	ds_load_b128 v[4:7], v16 offset:16
	ds_load_b128 v[8:11], v16 offset:32
	;; [unrolled: 1-line block ×4, first 2 shown]
	s_wait_kmcnt 0x0
	s_load_b32 s5, s[4:5], 0x0
	s_mov_b32 s14, s13
	s_cselect_b32 vcc_lo, -1, 0
	s_mov_b32 s11, 0
	v_mov_b32_e32 v101, 0xff7fffff
	s_wait_dscnt 0x4
	v_lshlrev_b32_e32 v23, 16, v0
	v_and_b32_e32 v0, 0xffff0000, v0
	s_wait_dscnt 0x2
	v_and_b32_e32 v35, 0xffff0000, v11
	s_wait_dscnt 0x1
	v_lshlrev_b32_e32 v36, 16, v12
	v_and_b32_e32 v37, 0xffff0000, v12
	s_clause 0x1
	scratch_store_b32 off, v23, off
	scratch_store_b32 off, v0, off offset:4
	v_lshlrev_b32_e32 v0, 16, v1
	v_lshlrev_b32_e32 v38, 16, v13
	v_and_b32_e32 v39, 0xffff0000, v13
	v_lshlrev_b32_e32 v40, 16, v14
	v_and_b32_e32 v41, 0xffff0000, v14
	scratch_store_b32 off, v0, off offset:8 ; 4-byte Folded Spill
	v_and_b32_e32 v0, 0xffff0000, v1
	v_lshlrev_b32_e32 v42, 16, v15
	v_and_b32_e32 v43, 0xffff0000, v15
	s_add_nc_u64 s[24:25], s[24:25], s[22:23]
	s_wait_dscnt 0x0
	v_lshlrev_b32_e32 v44, 16, v18
	scratch_store_b32 off, v0, off offset:12 ; 4-byte Folded Spill
	v_lshlrev_b32_e32 v0, 16, v2
	v_and_b32_e32 v45, 0xffff0000, v18
	v_lshlrev_b32_e32 v46, 16, v19
	v_and_b32_e32 v47, 0xffff0000, v19
	v_lshlrev_b32_e32 v48, 16, v20
	scratch_store_b32 off, v0, off offset:16 ; 4-byte Folded Spill
	v_and_b32_e32 v0, 0xffff0000, v2
	v_and_b32_e32 v49, 0xffff0000, v20
	v_lshlrev_b32_e32 v50, 16, v21
	v_and_b32_e32 v51, 0xffff0000, v21
	s_sub_co_i32 s23, 1, s27
	scratch_store_b32 off, v0, off offset:20 ; 4-byte Folded Spill
	v_lshlrev_b32_e32 v0, 16, v3
	ds_load_b128 v[12:15], v16 offset:128
	scratch_store_b32 off, v0, off offset:24 ; 4-byte Folded Spill
	v_and_b32_e32 v0, 0xffff0000, v3
	scratch_store_b32 off, v0, off offset:28 ; 4-byte Folded Spill
	v_lshlrev_b32_e32 v0, 16, v4
	scratch_store_b32 off, v0, off offset:32 ; 4-byte Folded Spill
	v_and_b32_e32 v0, 0xffff0000, v4
	s_wait_dscnt 0x0
	v_lshlrev_b32_e32 v76, 16, v12
	v_and_b32_e32 v77, 0xffff0000, v12
	scratch_store_b32 off, v0, off offset:36 ; 4-byte Folded Spill
	v_lshlrev_b32_e32 v0, 16, v5
	v_lshlrev_b32_e32 v78, 16, v13
	v_and_b32_e32 v79, 0xffff0000, v13
	v_lshlrev_b32_e32 v80, 16, v14
	v_and_b32_e32 v81, 0xffff0000, v14
	scratch_store_b32 off, v0, off offset:40 ; 4-byte Folded Spill
	v_and_b32_e32 v0, 0xffff0000, v5
	v_lshlrev_b32_e32 v82, 16, v15
	v_and_b32_e32 v83, 0xffff0000, v15
	scratch_store_b32 off, v0, off offset:44 ; 4-byte Folded Spill
	v_lshlrev_b32_e32 v0, 16, v6
	scratch_store_b32 off, v0, off offset:48 ; 4-byte Folded Spill
	v_and_b32_e32 v0, 0xffff0000, v6
	scratch_store_b32 off, v0, off offset:52 ; 4-byte Folded Spill
	v_lshlrev_b32_e32 v0, 16, v7
	scratch_store_b32 off, v0, off offset:56 ; 4-byte Folded Spill
	v_and_b32_e32 v0, 0xffff0000, v7
	ds_load_b128 v[4:7], v16 offset:96
	scratch_store_b32 off, v0, off offset:60 ; 4-byte Folded Spill
	v_lshlrev_b32_e32 v0, 16, v8
	scratch_store_b32 off, v0, off offset:64 ; 4-byte Folded Spill
	v_and_b32_e32 v0, 0xffff0000, v8
	scratch_store_b32 off, v0, off offset:68 ; 4-byte Folded Spill
	v_lshlrev_b32_e32 v0, 16, v9
	s_wait_dscnt 0x0
	v_lshlrev_b32_e32 v60, 16, v4
	v_and_b32_e32 v61, 0xffff0000, v4
	scratch_store_b32 off, v0, off offset:72 ; 4-byte Folded Spill
	v_and_b32_e32 v0, 0xffff0000, v9
	v_lshlrev_b32_e32 v62, 16, v5
	v_and_b32_e32 v63, 0xffff0000, v5
	v_lshlrev_b32_e32 v64, 16, v6
	v_and_b32_e32 v65, 0xffff0000, v6
	scratch_store_b32 off, v0, off offset:76 ; 4-byte Folded Spill
	v_lshlrev_b32_e32 v0, 16, v10
	v_lshlrev_b32_e32 v66, 16, v7
	v_and_b32_e32 v67, 0xffff0000, v7
	ds_load_b128 v[4:7], v16 offset:160
	scratch_store_b32 off, v0, off offset:80 ; 4-byte Folded Spill
	v_and_b32_e32 v0, 0xffff0000, v10
	scratch_store_b32 off, v0, off offset:84 ; 4-byte Folded Spill
	v_lshlrev_b32_e32 v0, 16, v11
	ds_load_b128 v[8:11], v16 offset:112
	scratch_store_b32 off, v0, off offset:88 ; 4-byte Folded Spill
	ds_load_b128 v[0:3], v16 offset:80
	s_wait_dscnt 0x2
	v_lshlrev_b32_e32 v92, 16, v4
	v_and_b32_e32 v93, 0xffff0000, v4
	v_lshl_or_b32 v4, v150, 7, v22
	v_lshlrev_b32_e32 v94, 16, v5
	v_and_b32_e32 v95, 0xffff0000, v5
	v_lshlrev_b32_e32 v96, 16, v6
	v_and_b32_e32 v97, 0xffff0000, v6
	;; [unrolled: 2-line block ×3, first 2 shown]
	v_add_nc_u32_e32 v110, 0xe0, v4
	s_wait_dscnt 0x1
	v_lshlrev_b32_e32 v68, 16, v8
	v_and_b32_e32 v69, 0xffff0000, v8
	v_lshlrev_b32_e32 v70, 16, v9
	v_and_b32_e32 v71, 0xffff0000, v9
	v_lshlrev_b32_e32 v72, 16, v10
	s_wait_dscnt 0x0
	v_lshlrev_b32_e32 v52, 16, v0
	v_and_b32_e32 v53, 0xffff0000, v0
	v_lshlrev_b32_e32 v54, 16, v1
	v_and_b32_e32 v55, 0xffff0000, v1
	;; [unrolled: 2-line block ×4, first 2 shown]
	ds_load_b128 v[0:3], v16 offset:144
	v_and_b32_e32 v73, 0xffff0000, v10
	v_lshlrev_b32_e32 v74, 16, v11
	v_and_b32_e32 v75, 0xffff0000, v11
	ds_load_b128 v[8:11], v16 offset:176
	s_clause 0x2
	scratch_store_b32 off, v150, off offset:96
	scratch_store_b32 off, v22, off offset:104
	;; [unrolled: 1-line block ×3, first 2 shown]
	s_wait_dscnt 0x1
	v_lshlrev_b32_e32 v84, 16, v0
	v_and_b32_e32 v85, 0xffff0000, v0
	v_lshlrev_b32_e32 v0, 4, v151
	v_lshlrev_b32_e32 v86, 16, v1
	v_and_b32_e32 v87, 0xffff0000, v1
	v_lshlrev_b32_e32 v90, 16, v3
	v_and_b32_e32 v91, 0xffff0000, v3
	v_add_co_u32 v1, s3, s24, v0
	v_lshlrev_b32_e32 v3, 5, v150
	v_lshlrev_b32_e32 v88, 16, v2
	v_and_b32_e32 v89, 0xffff0000, v2
	s_wait_alu 0xf1ff
	v_add_co_ci_u32_e64 v2, null, s25, 0, s3
	s_lshl_b64 s[24:25], s[20:21], 2
	v_add3_u32 v109, s28, v3, v151
	s_wait_alu 0xfffe
	s_add_nc_u64 s[24:25], s[18:19], s[24:25]
	s_wait_dscnt 0x0
	v_lshlrev_b32_e32 v100, 16, v8
	s_wait_alu 0xfffe
	v_add_co_u32 v3, s3, s24, v111
	v_and_b32_e32 v102, 0xffff0000, v8
	v_lshlrev_b32_e32 v103, 16, v9
	v_and_b32_e32 v104, 0xffff0000, v9
	v_lshlrev_b32_e32 v105, 16, v10
	;; [unrolled: 2-line block ×3, first 2 shown]
	v_and_b32_e32 v108, 0xffff0000, v11
	s_wait_alu 0xf1ff
	v_add_co_ci_u32_e64 v4, null, s25, 0, s3
	v_mov_b32_e32 v111, v17
.LBB361_7:                              ; =>This Inner Loop Header: Depth=1
	global_load_b32 v0, v[3:4], off
	v_add_nc_u32_e32 v111, 4, v111
	s_delay_alu instid0(VALU_DEP_1)
	v_cmp_le_i32_e64 s4, s17, v111
	s_or_b32 s11, s4, s11
	s_wait_loadcnt 0x0
	v_mad_co_i64_i32 v[5:6], null, v0, s14, v[1:2]
	s_clause 0x2
	global_load_b128 v[7:10], v[5:6], off
	global_load_b128 v[19:22], v[5:6], off offset:1536
	global_load_b128 v[164:167], v[5:6], off offset:2560
	s_wait_loadcnt 0x2
	v_bfe_u32 v115, v7, 16, 8
	v_and_b32_e32 v127, 0xff, v7
	v_bfe_u32 v126, v7, 8, 8
	v_lshrrev_b32_e32 v117, 24, v7
	v_and_b32_e32 v118, 0xff, v8
	v_bfe_u32 v119, v8, 8, 8
	v_bfe_u32 v121, v8, 16, 8
	v_lshrrev_b32_e32 v122, 24, v8
	v_and_b32_e32 v125, 0xff, v9
	v_bfe_u32 v124, v9, 8, 8
	v_bfe_u32 v123, v9, 16, 8
	v_lshrrev_b32_e32 v120, 24, v9
	v_bfe_u32 v114, v10, 8, 8
	v_bfe_u32 v113, v10, 16, 8
	v_lshrrev_b32_e32 v112, 24, v10
	v_cvt_f32_fp8_e32 v115, v115
	v_and_b32_e32 v116, 0xff, v10
	global_load_b128 v[7:10], v[5:6], off offset:512
	v_cvt_f32_fp8_e32 v117, v117
	v_cvt_f32_fp8_e32 v119, v119
	;; [unrolled: 1-line block ×4, first 2 shown]
	s_wait_loadcnt 0x2
	v_bfe_u32 v0, v19, 8, 8
	v_lshrrev_b32_e32 v11, 24, v19
	v_bfe_u32 v13, v20, 8, 8
	v_bfe_u32 v14, v20, 16, 8
	v_lshrrev_b32_e32 v18, 24, v20
	v_bfe_u32 v168, v21, 8, 8
	v_lshrrev_b32_e32 v170, 24, v21
	v_bfe_u32 v172, v22, 8, 8
	v_bfe_u32 v173, v22, 16, 8
	v_lshrrev_b32_e32 v174, 24, v22
	s_wait_kmcnt 0x0
	v_mul_f32_e32 v115, s5, v115
	v_cvt_f32_fp8_e32 v124, v124
	v_cvt_f32_fp8_e32 v120, v120
	;; [unrolled: 1-line block ×4, first 2 shown]
	v_and_b32_e32 v163, 0xff, v20
	v_bfe_u32 v20, v21, 16, 8
	v_cvt_f32_fp8_e32 v113, v113
	v_cvt_f32_fp8_e32 v112, v112
	v_and_b32_e32 v171, 0xff, v22
	v_mul_f32_e32 v117, s5, v117
	v_mul_f32_e32 v119, s5, v119
	;; [unrolled: 1-line block ×3, first 2 shown]
	v_cvt_f32_fp8_e32 v122, v122
	v_dual_mul_f32 v124, s5, v124 :: v_dual_mul_f32 v123, s5, v123
	v_mul_f32_e32 v120, s5, v120
	v_mul_f32_e32 v116, s5, v116
	s_delay_alu instid0(VALU_DEP_4)
	v_mul_f32_e32 v122, s5, v122
	v_dual_mul_f32 v114, s5, v114 :: v_dual_mul_f32 v113, s5, v113
	v_mul_f32_e32 v112, s5, v112
	v_cvt_f32_fp8_e32 v0, v0
	s_wait_loadcnt 0x1
	v_bfe_u32 v25, v165, 8, 8
	v_bfe_u32 v26, v165, 16, 8
	v_lshrrev_b32_e32 v27, 24, v165
	v_bfe_u32 v29, v166, 8, 8
	v_mul_f32_e32 v0, s5, v0
	v_bfe_u32 v30, v166, 16, 8
	v_lshrrev_b32_e32 v31, 24, v166
	v_bfe_u32 v33, v167, 8, 8
	v_bfe_u32 v34, v167, 16, 8
	v_lshrrev_b32_e32 v150, 24, v167
	s_wait_loadcnt 0x0
	v_and_b32_e32 v128, 0xff, v7
	v_bfe_u32 v129, v7, 8, 8
	v_bfe_u32 v130, v7, 16, 8
	v_lshrrev_b32_e32 v131, 24, v7
	v_and_b32_e32 v132, 0xff, v8
	v_bfe_u32 v133, v8, 8, 8
	v_bfe_u32 v134, v8, 16, 8
	v_lshrrev_b32_e32 v135, 24, v8
	;; [unrolled: 4-line block ×4, first 2 shown]
	global_load_b128 v[7:10], v[5:6], off offset:1024
	s_wait_loadcnt 0x0
	v_and_b32_e32 v155, 0xff, v9
	v_bfe_u32 v156, v9, 8, 8
	v_bfe_u32 v158, v9, 16, 8
	v_lshrrev_b32_e32 v157, 24, v9
	v_and_b32_e32 v154, 0xff, v10
	v_bfe_u32 v152, v10, 8, 8
	v_bfe_u32 v148, v10, 16, 8
	v_lshrrev_b32_e32 v145, 24, v10
	v_and_b32_e32 v9, 0xff, v19
	v_bfe_u32 v10, v19, 16, 8
	v_and_b32_e32 v19, 0xff, v21
	global_load_b128 v[21:24], v[5:6], off offset:2048
	v_cvt_f32_fp8_e32 v5, v127
	v_and_b32_e32 v147, 0xff, v8
	v_bfe_u32 v143, v7, 8, 8
	v_bfe_u32 v149, v8, 8, 8
	;; [unrolled: 1-line block ×3, first 2 shown]
	v_mul_f32_e32 v5, s5, v5
	v_cvt_f32_fp8_e32 v118, v118
	v_cvt_f32_fp8_e32 v143, v143
	;; [unrolled: 1-line block ×4, first 2 shown]
	v_bfe_u32 v6, v5, 16, 1
	v_cmp_u_f32_e64 s3, v5, v5
	v_mul_f32_e32 v118, s5, v118
	v_cvt_f32_fp8_e32 v125, v125
	v_and_b32_e32 v160, 0xff, v7
	v_add3_u32 v6, v6, v5, 0x7fff
	v_or_b32_e32 v5, 0x400000, v5
	v_mul_f32_e32 v143, s5, v143
	v_mul_f32_e32 v125, s5, v125
	;; [unrolled: 1-line block ×4, first 2 shown]
	s_wait_alu 0xf1ff
	v_cndmask_b32_e64 v5, v6, v5, s3
	v_cvt_f32_fp8_e32 v6, v126
	v_bfe_u32 v151, v8, 16, 8
	v_cvt_f32_fp8_e32 v144, v144
	v_lshrrev_b32_e32 v146, 24, v7
	v_lshrrev_b32_e32 v153, 24, v8
	v_mul_f32_e32 v6, s5, v6
	v_cvt_f32_fp8_e32 v151, v151
	v_mul_f32_e32 v144, s5, v144
	v_cvt_f32_fp8_e32 v146, v146
	v_cvt_f32_fp8_e32 v153, v153
	v_bfe_u32 v126, v6, 16, 1
	v_cmp_u_f32_e64 s3, v6, v6
	s_delay_alu instid0(VALU_DEP_4) | instskip(NEXT) | instid1(VALU_DEP_4)
	v_dual_mul_f32 v151, s5, v151 :: v_dual_mul_f32 v146, s5, v146
	v_mul_f32_e32 v153, s5, v153
	s_delay_alu instid0(VALU_DEP_4)
	v_add3_u32 v126, v126, v6, 0x7fff
	v_or_b32_e32 v6, 0x400000, v6
	v_cvt_f32_fp8_e32 v155, v155
	v_cvt_f32_fp8_e32 v156, v156
	;; [unrolled: 1-line block ×4, first 2 shown]
	s_wait_alu 0xf1ff
	v_cndmask_b32_e64 v6, v126, v6, s3
	v_bfe_u32 v126, v115, 16, 1
	v_cmp_u_f32_e64 s3, v115, v115
	v_dual_mul_f32 v155, s5, v155 :: v_dual_mul_f32 v156, s5, v156
	v_dual_mul_f32 v158, s5, v158 :: v_dual_mul_f32 v157, s5, v157
	s_delay_alu instid0(VALU_DEP_4)
	v_add3_u32 v126, v126, v115, 0x7fff
	v_or_b32_e32 v115, 0x400000, v115
	v_cvt_f32_fp8_e32 v154, v154
	v_cvt_f32_fp8_e32 v145, v145
	;; [unrolled: 1-line block ×4, first 2 shown]
	s_wait_alu 0xf1ff
	v_cndmask_b32_e64 v115, v126, v115, s3
	v_bfe_u32 v126, v117, 16, 1
	v_cmp_u_f32_e64 s3, v117, v117
	v_dual_mul_f32 v154, s5, v154 :: v_dual_mul_f32 v145, s5, v145
	v_dual_mul_f32 v152, s5, v152 :: v_dual_mul_f32 v9, s5, v9
	s_delay_alu instid0(VALU_DEP_4) | instskip(SKIP_3) | instid1(VALU_DEP_2)
	v_add3_u32 v126, v126, v117, 0x7fff
	v_or_b32_e32 v117, 0x400000, v117
	v_cvt_f32_fp8_e32 v148, v148
	s_wait_alu 0xf1ff
	v_cndmask_b32_e64 v117, v126, v117, s3
	v_bfe_u32 v126, v118, 16, 1
	v_cmp_u_f32_e64 s3, v118, v118
	v_mul_f32_e32 v148, s5, v148
	s_delay_alu instid0(VALU_DEP_3) | instskip(SKIP_2) | instid1(VALU_DEP_1)
	v_add3_u32 v126, v126, v118, 0x7fff
	v_or_b32_e32 v118, 0x400000, v118
	s_wait_alu 0xf1ff
	v_cndmask_b32_e64 v118, v126, v118, s3
	v_bfe_u32 v126, v119, 16, 1
	v_cmp_u_f32_e64 s3, v119, v119
	s_delay_alu instid0(VALU_DEP_2) | instskip(SKIP_2) | instid1(VALU_DEP_1)
	v_add3_u32 v126, v126, v119, 0x7fff
	v_or_b32_e32 v119, 0x400000, v119
	s_wait_alu 0xf1ff
	v_cndmask_b32_e64 v119, v126, v119, s3
	v_bfe_u32 v126, v121, 16, 1
	v_cmp_u_f32_e64 s3, v121, v121
	s_delay_alu instid0(VALU_DEP_2) | instskip(SKIP_2) | instid1(VALU_DEP_1)
	;; [unrolled: 7-line block ×11, first 2 shown]
	v_add3_u32 v126, v126, v112, 0x7fff
	v_or_b32_e32 v112, 0x400000, v112
	s_wait_alu 0xf1ff
	v_cndmask_b32_e64 v112, v126, v112, s3
	v_cvt_f32_fp8_e32 v126, v128
	s_delay_alu instid0(VALU_DEP_1) | instskip(NEXT) | instid1(VALU_DEP_1)
	v_mul_f32_e32 v126, s5, v126
	v_bfe_u32 v127, v126, 16, 1
	v_cmp_u_f32_e64 s3, v126, v126
	s_delay_alu instid0(VALU_DEP_2) | instskip(SKIP_2) | instid1(VALU_DEP_1)
	v_add3_u32 v127, v127, v126, 0x7fff
	v_or_b32_e32 v126, 0x400000, v126
	s_wait_alu 0xf1ff
	v_cndmask_b32_e64 v126, v127, v126, s3
	v_cvt_f32_fp8_e32 v127, v129
	s_delay_alu instid0(VALU_DEP_1) | instskip(NEXT) | instid1(VALU_DEP_1)
	v_mul_f32_e32 v127, s5, v127
	v_bfe_u32 v128, v127, 16, 1
	v_cmp_u_f32_e64 s3, v127, v127
	s_delay_alu instid0(VALU_DEP_2) | instskip(SKIP_2) | instid1(VALU_DEP_1)
	;; [unrolled: 10-line block ×4, first 2 shown]
	v_add3_u32 v130, v130, v129, 0x7fff
	v_or_b32_e32 v129, 0x400000, v129
	s_wait_alu 0xf1ff
	v_cndmask_b32_e64 v129, v130, v129, s3
	v_cvt_f32_fp8_e32 v130, v132
	s_delay_alu instid0(VALU_DEP_1) | instskip(NEXT) | instid1(VALU_DEP_1)
	v_dual_mul_f32 v130, s5, v130 :: v_dual_and_b32 v191, 0xff, v164
	v_bfe_u32 v131, v130, 16, 1
	v_cmp_u_f32_e64 s3, v130, v130
	s_delay_alu instid0(VALU_DEP_2)
	v_add3_u32 v131, v131, v130, 0x7fff
	v_or_b32_e32 v130, 0x400000, v130
	s_wait_loadcnt 0x0
	v_and_b32_e32 v175, 0xff, v21
	v_and_b32_e32 v188, 0xff, v24
	;; [unrolled: 1-line block ×4, first 2 shown]
	s_wait_alu 0xf1ff
	v_cndmask_b32_e64 v130, v131, v130, s3
	v_cvt_f32_fp8_e32 v131, v133
	v_bfe_u32 v189, v24, 8, 8
	v_bfe_u32 v190, v24, 16, 8
	v_lshrrev_b32_e32 v187, 24, v24
	s_delay_alu instid0(VALU_DEP_4)
	v_dual_mul_f32 v131, s5, v131 :: v_dual_and_b32 v24, 0xff, v165
	v_bfe_u32 v176, v21, 8, 8
	v_bfe_u32 v177, v21, 16, 8
	v_lshrrev_b32_e32 v178, 24, v21
	v_bfe_u32 v180, v22, 8, 8
	v_bfe_u32 v132, v131, 16, 1
	v_cmp_u_f32_e64 s3, v131, v131
	v_bfe_u32 v181, v22, 16, 8
	v_lshrrev_b32_e32 v12, 24, v22
	v_bfe_u32 v15, v23, 8, 8
	v_add3_u32 v132, v132, v131, 0x7fff
	v_or_b32_e32 v131, 0x400000, v131
	v_bfe_u32 v8, v23, 16, 8
	v_lshrrev_b32_e32 v7, 24, v23
	v_bfe_u32 v21, v164, 8, 8
	v_bfe_u32 v22, v164, 16, 8
	s_wait_alu 0xf1ff
	v_cndmask_b32_e64 v131, v132, v131, s3
	v_cvt_f32_fp8_e32 v132, v134
	v_lshrrev_b32_e32 v23, 24, v164
	s_delay_alu instid0(VALU_DEP_2) | instskip(NEXT) | instid1(VALU_DEP_1)
	v_mul_f32_e32 v132, s5, v132
	v_bfe_u32 v133, v132, 16, 1
	v_cmp_u_f32_e64 s3, v132, v132
	s_delay_alu instid0(VALU_DEP_2) | instskip(SKIP_2) | instid1(VALU_DEP_1)
	v_add3_u32 v133, v133, v132, 0x7fff
	v_or_b32_e32 v132, 0x400000, v132
	s_wait_alu 0xf1ff
	v_cndmask_b32_e64 v132, v133, v132, s3
	v_cvt_f32_fp8_e32 v133, v135
	s_delay_alu instid0(VALU_DEP_1) | instskip(NEXT) | instid1(VALU_DEP_1)
	v_dual_mul_f32 v133, s5, v133 :: v_dual_and_b32 v28, 0xff, v166
	v_bfe_u32 v134, v133, 16, 1
	v_cmp_u_f32_e64 s3, v133, v133
	s_delay_alu instid0(VALU_DEP_2) | instskip(SKIP_2) | instid1(VALU_DEP_1)
	v_add3_u32 v134, v134, v133, 0x7fff
	v_or_b32_e32 v133, 0x400000, v133
	s_wait_alu 0xf1ff
	v_cndmask_b32_e64 v133, v134, v133, s3
	v_cvt_f32_fp8_e32 v134, v136
	s_delay_alu instid0(VALU_DEP_1) | instskip(NEXT) | instid1(VALU_DEP_1)
	v_mul_f32_e32 v134, s5, v134
	v_bfe_u32 v135, v134, 16, 1
	v_cmp_u_f32_e64 s3, v134, v134
	s_delay_alu instid0(VALU_DEP_2) | instskip(SKIP_2) | instid1(VALU_DEP_1)
	v_add3_u32 v135, v135, v134, 0x7fff
	v_or_b32_e32 v134, 0x400000, v134
	s_wait_alu 0xf1ff
	v_cndmask_b32_e64 v134, v135, v134, s3
	v_cvt_f32_fp8_e32 v135, v137
	s_delay_alu instid0(VALU_DEP_1) | instskip(NEXT) | instid1(VALU_DEP_1)
	v_mul_f32_e32 v135, s5, v135
	;; [unrolled: 10-line block ×3, first 2 shown]
	v_bfe_u32 v137, v136, 16, 1
	v_cmp_u_f32_e64 s3, v136, v136
	s_delay_alu instid0(VALU_DEP_2) | instskip(SKIP_2) | instid1(VALU_DEP_1)
	v_add3_u32 v137, v137, v136, 0x7fff
	v_or_b32_e32 v136, 0x400000, v136
	s_wait_alu 0xf1ff
	v_cndmask_b32_e64 v136, v137, v136, s3
	v_cvt_f32_fp8_e32 v137, v139
	s_delay_alu instid0(VALU_DEP_1) | instskip(NEXT) | instid1(VALU_DEP_1)
	v_dual_mul_f32 v137, s5, v137 :: v_dual_and_b32 v32, 0xff, v167
	v_bfe_u32 v138, v137, 16, 1
	v_cmp_u_f32_e64 s3, v137, v137
	s_delay_alu instid0(VALU_DEP_2) | instskip(SKIP_2) | instid1(VALU_DEP_1)
	v_add3_u32 v138, v138, v137, 0x7fff
	v_or_b32_e32 v137, 0x400000, v137
	s_wait_alu 0xf1ff
	v_cndmask_b32_e64 v137, v138, v137, s3
	v_cvt_f32_fp8_e32 v138, v140
	s_delay_alu instid0(VALU_DEP_1) | instskip(NEXT) | instid1(VALU_DEP_1)
	v_mul_f32_e32 v138, s5, v138
	v_bfe_u32 v139, v138, 16, 1
	v_cmp_u_f32_e64 s3, v138, v138
	s_delay_alu instid0(VALU_DEP_2) | instskip(SKIP_2) | instid1(VALU_DEP_1)
	v_add3_u32 v139, v139, v138, 0x7fff
	v_or_b32_e32 v138, 0x400000, v138
	s_wait_alu 0xf1ff
	v_cndmask_b32_e64 v138, v139, v138, s3
	v_cvt_f32_fp8_e32 v139, v141
	s_delay_alu instid0(VALU_DEP_1) | instskip(NEXT) | instid1(VALU_DEP_1)
	v_mul_f32_e32 v139, s5, v139
	v_bfe_u32 v140, v139, 16, 1
	v_cmp_u_f32_e64 s3, v139, v139
	s_delay_alu instid0(VALU_DEP_2) | instskip(SKIP_2) | instid1(VALU_DEP_1)
	v_add3_u32 v140, v140, v139, 0x7fff
	v_or_b32_e32 v139, 0x400000, v139
	s_wait_alu 0xf1ff
	v_cndmask_b32_e64 v139, v140, v139, s3
	v_cvt_f32_fp8_e32 v140, v142
	s_delay_alu instid0(VALU_DEP_1) | instskip(NEXT) | instid1(VALU_DEP_1)
	v_mul_f32_e32 v140, s5, v140
	v_bfe_u32 v141, v140, 16, 1
	v_cmp_u_f32_e64 s3, v140, v140
	s_delay_alu instid0(VALU_DEP_2) | instskip(SKIP_2) | instid1(VALU_DEP_1)
	v_add3_u32 v141, v141, v140, 0x7fff
	v_or_b32_e32 v140, 0x400000, v140
	s_wait_alu 0xf1ff
	v_cndmask_b32_e64 v140, v141, v140, s3
	v_cvt_f32_fp8_e32 v141, v159
	s_delay_alu instid0(VALU_DEP_1) | instskip(NEXT) | instid1(VALU_DEP_1)
	v_mul_f32_e32 v141, s5, v141
	v_bfe_u32 v142, v141, 16, 1
	v_cmp_u_f32_e64 s3, v141, v141
	s_delay_alu instid0(VALU_DEP_2) | instskip(SKIP_2) | instid1(VALU_DEP_1)
	v_add3_u32 v142, v142, v141, 0x7fff
	v_or_b32_e32 v141, 0x400000, v141
	s_wait_alu 0xf1ff
	v_cndmask_b32_e64 v141, v142, v141, s3
	v_cvt_f32_fp8_e32 v142, v160
	s_delay_alu instid0(VALU_DEP_1) | instskip(NEXT) | instid1(VALU_DEP_1)
	v_mul_f32_e32 v142, s5, v142
	v_bfe_u32 v159, v142, 16, 1
	v_cmp_u_f32_e64 s3, v142, v142
	s_delay_alu instid0(VALU_DEP_2) | instskip(SKIP_2) | instid1(VALU_DEP_1)
	v_add3_u32 v159, v159, v142, 0x7fff
	v_or_b32_e32 v142, 0x400000, v142
	s_wait_alu 0xf1ff
	v_cndmask_b32_e64 v142, v159, v142, s3
	v_bfe_u32 v159, v143, 16, 1
	v_cmp_u_f32_e64 s3, v143, v143
	s_delay_alu instid0(VALU_DEP_2) | instskip(SKIP_2) | instid1(VALU_DEP_1)
	v_add3_u32 v159, v159, v143, 0x7fff
	v_or_b32_e32 v143, 0x400000, v143
	s_wait_alu 0xf1ff
	v_cndmask_b32_e64 v143, v159, v143, s3
	;; [unrolled: 7-line block ×18, first 2 shown]
	v_cvt_f32_fp8_e32 v0, v10
	s_delay_alu instid0(VALU_DEP_1) | instskip(NEXT) | instid1(VALU_DEP_1)
	v_mul_f32_e32 v0, s5, v0
	v_bfe_u32 v9, v0, 16, 1
	v_cmp_u_f32_e64 s3, v0, v0
	s_delay_alu instid0(VALU_DEP_2) | instskip(SKIP_2) | instid1(VALU_DEP_1)
	v_add3_u32 v9, v9, v0, 0x7fff
	v_or_b32_e32 v0, 0x400000, v0
	s_wait_alu 0xf1ff
	v_cndmask_b32_e64 v161, v9, v0, s3
	v_cvt_f32_fp8_e32 v0, v11
	s_delay_alu instid0(VALU_DEP_1) | instskip(NEXT) | instid1(VALU_DEP_1)
	v_mul_f32_e32 v0, s5, v0
	v_bfe_u32 v9, v0, 16, 1
	v_cmp_u_f32_e64 s3, v0, v0
	s_delay_alu instid0(VALU_DEP_2) | instskip(SKIP_2) | instid1(VALU_DEP_1)
	v_add3_u32 v9, v9, v0, 0x7fff
	v_or_b32_e32 v0, 0x400000, v0
	s_wait_alu 0xf1ff
	v_cndmask_b32_e64 v162, v9, v0, s3
	;; [unrolled: 10-line block ×32, first 2 shown]
	v_cvt_f32_fp8_e32 v0, v22
	s_delay_alu instid0(VALU_DEP_1) | instskip(NEXT) | instid1(VALU_DEP_1)
	v_dual_mul_f32 v0, s5, v0 :: v_dual_and_b32 v7, 0xffff0000, v7
	v_bfe_u32 v8, v0, 16, 1
	v_cmp_u_f32_e64 s3, v0, v0
	s_delay_alu instid0(VALU_DEP_2) | instskip(SKIP_2) | instid1(VALU_DEP_1)
	v_add3_u32 v8, v8, v0, 0x7fff
	v_or_b32_e32 v0, 0x400000, v0
	s_wait_alu 0xf1ff
	v_cndmask_b32_e64 v8, v8, v0, s3
	v_cvt_f32_fp8_e32 v0, v23
	v_and_b32_e32 v23, 0xffff0000, v5
	scratch_load_b32 v5, off, off offset:32 ; 4-byte Folded Reload
	v_mul_f32_e32 v0, s5, v0
	s_delay_alu instid0(VALU_DEP_1) | instskip(SKIP_1) | instid1(VALU_DEP_2)
	v_bfe_u32 v9, v0, 16, 1
	v_cmp_u_f32_e64 s3, v0, v0
	v_add3_u32 v9, v9, v0, 0x7fff
	v_or_b32_e32 v0, 0x400000, v0
	s_wait_alu 0xf1ff
	s_delay_alu instid0(VALU_DEP_1) | instskip(SKIP_3) | instid1(VALU_DEP_1)
	v_cndmask_b32_e64 v15, v9, v0, s3
	v_cvt_f32_fp8_e32 v0, v24
	scratch_load_b32 v24, off, off offset:40 ; 4-byte Folded Reload
	v_mul_f32_e32 v0, s5, v0
	v_bfe_u32 v9, v0, 16, 1
	v_cmp_u_f32_e64 s3, v0, v0
	s_delay_alu instid0(VALU_DEP_2) | instskip(SKIP_2) | instid1(VALU_DEP_1)
	v_add3_u32 v9, v9, v0, 0x7fff
	v_or_b32_e32 v0, 0x400000, v0
	s_wait_alu 0xf1ff
	v_cndmask_b32_e64 v16, v9, v0, s3
	v_cvt_f32_fp8_e32 v0, v25
	scratch_load_b32 v25, off, off offset:44 ; 4-byte Folded Reload
	v_mul_f32_e32 v0, s5, v0
	s_delay_alu instid0(VALU_DEP_1) | instskip(SKIP_1) | instid1(VALU_DEP_2)
	v_bfe_u32 v9, v0, 16, 1
	v_cmp_u_f32_e64 s3, v0, v0
	v_add3_u32 v9, v9, v0, 0x7fff
	v_or_b32_e32 v0, 0x400000, v0
	s_wait_alu 0xf1ff
	s_delay_alu instid0(VALU_DEP_1) | instskip(SKIP_3) | instid1(VALU_DEP_1)
	v_cndmask_b32_e64 v9, v9, v0, s3
	v_cvt_f32_fp8_e32 v0, v26
	scratch_load_b32 v26, off, off offset:48 ; 4-byte Folded Reload
	v_mul_f32_e32 v0, s5, v0
	v_bfe_u32 v10, v0, 16, 1
	v_cmp_u_f32_e64 s3, v0, v0
	s_delay_alu instid0(VALU_DEP_2) | instskip(SKIP_2) | instid1(VALU_DEP_1)
	v_add3_u32 v10, v10, v0, 0x7fff
	v_or_b32_e32 v0, 0x400000, v0
	s_wait_alu 0xf1ff
	v_cndmask_b32_e64 v0, v10, v0, s3
	v_cvt_f32_fp8_e32 v10, v27
	scratch_load_b32 v27, off, off offset:52 ; 4-byte Folded Reload
	v_and_b32_e32 v0, 0xffff0000, v0
	v_mul_f32_e32 v10, s5, v10
	s_delay_alu instid0(VALU_DEP_1) | instskip(SKIP_1) | instid1(VALU_DEP_2)
	v_bfe_u32 v11, v10, 16, 1
	v_cmp_u_f32_e64 s3, v10, v10
	v_add3_u32 v11, v11, v10, 0x7fff
	v_or_b32_e32 v10, 0x400000, v10
	s_wait_alu 0xf1ff
	s_delay_alu instid0(VALU_DEP_1) | instskip(SKIP_3) | instid1(VALU_DEP_1)
	v_cndmask_b32_e64 v10, v11, v10, s3
	v_cvt_f32_fp8_e32 v11, v28
	scratch_load_b32 v28, off, off offset:56 ; 4-byte Folded Reload
	v_mul_f32_e32 v11, s5, v11
	v_bfe_u32 v12, v11, 16, 1
	v_cmp_u_f32_e64 s3, v11, v11
	s_delay_alu instid0(VALU_DEP_2) | instskip(SKIP_2) | instid1(VALU_DEP_1)
	v_add3_u32 v12, v12, v11, 0x7fff
	v_or_b32_e32 v11, 0x400000, v11
	s_wait_alu 0xf1ff
	v_cndmask_b32_e64 v11, v12, v11, s3
	v_cvt_f32_fp8_e32 v12, v29
	scratch_load_b32 v29, off, off offset:60 ; 4-byte Folded Reload
	v_mul_f32_e32 v12, s5, v12
	s_delay_alu instid0(VALU_DEP_1) | instskip(SKIP_1) | instid1(VALU_DEP_2)
	v_bfe_u32 v13, v12, 16, 1
	v_cmp_u_f32_e64 s3, v12, v12
	v_add3_u32 v13, v13, v12, 0x7fff
	v_or_b32_e32 v12, 0x400000, v12
	s_wait_alu 0xf1ff
	s_delay_alu instid0(VALU_DEP_1) | instskip(SKIP_1) | instid1(VALU_DEP_1)
	v_cndmask_b32_e64 v12, v13, v12, s3
	v_cvt_f32_fp8_e32 v13, v30
	v_mul_f32_e32 v13, s5, v13
	s_delay_alu instid0(VALU_DEP_1) | instskip(SKIP_1) | instid1(VALU_DEP_2)
	v_bfe_u32 v14, v13, 16, 1
	v_cmp_u_f32_e64 s3, v13, v13
	v_add3_u32 v14, v14, v13, 0x7fff
	v_or_b32_e32 v13, 0x400000, v13
	s_wait_alu 0xf1ff
	s_delay_alu instid0(VALU_DEP_1) | instskip(SKIP_1) | instid1(VALU_DEP_1)
	v_cndmask_b32_e64 v13, v14, v13, s3
	v_cvt_f32_fp8_e32 v14, v31
	;; [unrolled: 10-line block ×6, first 2 shown]
	v_mul_f32_e32 v21, s5, v21
	s_delay_alu instid0(VALU_DEP_1) | instskip(SKIP_1) | instid1(VALU_DEP_2)
	v_bfe_u32 v22, v21, 16, 1
	v_cmp_u_f32_e64 s3, v21, v21
	v_add3_u32 v22, v22, v21, 0x7fff
	v_or_b32_e32 v21, 0x400000, v21
	s_wait_alu 0xf1ff
	s_delay_alu instid0(VALU_DEP_1) | instskip(SKIP_3) | instid1(VALU_DEP_2)
	v_cndmask_b32_e64 v21, v22, v21, s3
	v_and_b32_e32 v22, 0xffff0000, v125
	v_cmp_gt_i32_e64 s3, s27, v109
	s_wait_loadcnt 0x6
	v_mul_f32_e32 v5, v5, v22
	scratch_load_b32 v22, off, off          ; 4-byte Folded Reload
	s_wait_loadcnt 0x0
	v_fmac_f32_e32 v5, v22, v23
	v_and_b32_e32 v23, 0xffff0000, v6
	scratch_load_b32 v6, off, off offset:36 ; 4-byte Folded Reload
	v_and_b32_e32 v22, 0xffff0000, v124
	s_wait_loadcnt 0x0
	s_delay_alu instid0(VALU_DEP_1) | instskip(SKIP_4) | instid1(VALU_DEP_1)
	v_mul_f32_e32 v6, v6, v22
	scratch_load_b32 v22, off, off offset:4 ; 4-byte Folded Reload
	s_wait_loadcnt 0x0
	v_fmac_f32_e32 v6, v22, v23
	v_and_b32_e32 v22, 0xffff0000, v123
	v_dual_mul_f32 v22, v24, v22 :: v_dual_and_b32 v23, 0xffff0000, v115
	scratch_load_b32 v24, off, off offset:8 ; 4-byte Folded Reload
	s_wait_loadcnt 0x0
	v_dual_fmac_f32 v22, v24, v23 :: v_dual_and_b32 v23, 0xffff0000, v120
	s_delay_alu instid0(VALU_DEP_1) | instskip(SKIP_4) | instid1(VALU_DEP_1)
	v_dual_mul_f32 v23, v25, v23 :: v_dual_and_b32 v24, 0xffff0000, v117
	scratch_load_b32 v25, off, off offset:12 ; 4-byte Folded Reload
	s_wait_loadcnt 0x0
	v_fmac_f32_e32 v23, v25, v24
	v_and_b32_e32 v24, 0xffff0000, v116
	v_dual_mul_f32 v24, v26, v24 :: v_dual_and_b32 v25, 0xffff0000, v118
	scratch_load_b32 v26, off, off offset:16 ; 4-byte Folded Reload
	s_wait_loadcnt 0x0
	v_dual_fmac_f32 v24, v26, v25 :: v_dual_and_b32 v25, 0xffff0000, v114
	s_delay_alu instid0(VALU_DEP_1) | instskip(SKIP_3) | instid1(VALU_DEP_1)
	v_dual_mul_f32 v25, v27, v25 :: v_dual_and_b32 v26, 0xffff0000, v119
	scratch_load_b32 v27, off, off offset:20 ; 4-byte Folded Reload
	s_wait_loadcnt 0x0
	v_dual_fmac_f32 v25, v27, v26 :: v_dual_and_b32 v26, 0xffff0000, v113
	v_dual_mul_f32 v26, v28, v26 :: v_dual_and_b32 v27, 0xffff0000, v121
	scratch_load_b32 v28, off, off offset:24 ; 4-byte Folded Reload
	s_wait_loadcnt 0x0
	v_dual_fmac_f32 v26, v28, v27 :: v_dual_and_b32 v27, 0xffff0000, v112
	s_delay_alu instid0(VALU_DEP_1)
	v_dual_mul_f32 v27, v29, v27 :: v_dual_and_b32 v28, 0xffff0000, v122
	scratch_load_b32 v29, off, off offset:28 ; 4-byte Folded Reload
	s_wait_loadcnt 0x0
	v_fmac_f32_e32 v27, v29, v28
	scratch_load_b32 v29, off, off offset:64 ; 4-byte Folded Reload
	v_and_b32_e32 v28, 0xffff0000, v126
	s_wait_loadcnt 0x0
	s_delay_alu instid0(VALU_DEP_1) | instskip(SKIP_3) | instid1(VALU_DEP_1)
	v_fmac_f32_e32 v5, v29, v28
	scratch_load_b32 v29, off, off offset:68 ; 4-byte Folded Reload
	v_and_b32_e32 v28, 0xffff0000, v127
	s_wait_loadcnt 0x0
	v_fmac_f32_e32 v6, v29, v28
	scratch_load_b32 v29, off, off offset:72 ; 4-byte Folded Reload
	v_and_b32_e32 v28, 0xffff0000, v128
	s_wait_loadcnt 0x0
	s_delay_alu instid0(VALU_DEP_1) | instskip(SKIP_3) | instid1(VALU_DEP_1)
	v_fmac_f32_e32 v22, v29, v28
	scratch_load_b32 v29, off, off offset:76 ; 4-byte Folded Reload
	v_and_b32_e32 v28, 0xffff0000, v129
	;; [unrolled: 9-line block ×3, first 2 shown]
	s_wait_loadcnt 0x0
	v_fmac_f32_e32 v25, v29, v28
	scratch_load_b32 v29, off, off offset:88 ; 4-byte Folded Reload
	v_and_b32_e32 v28, 0xffff0000, v132
	s_wait_loadcnt 0x0
	s_delay_alu instid0(VALU_DEP_1) | instskip(SKIP_1) | instid1(VALU_DEP_1)
	v_fmac_f32_e32 v26, v29, v28
	v_and_b32_e32 v28, 0xffff0000, v133
	v_dual_fmac_f32 v27, v35, v28 :: v_dual_and_b32 v28, 0xffff0000, v134
	s_delay_alu instid0(VALU_DEP_1) | instskip(NEXT) | instid1(VALU_DEP_1)
	v_dual_fmac_f32 v5, v36, v28 :: v_dual_and_b32 v28, 0xffff0000, v135
	v_fmac_f32_e32 v6, v37, v28
	v_and_b32_e32 v28, 0xffff0000, v136
	s_delay_alu instid0(VALU_DEP_1) | instskip(SKIP_1) | instid1(VALU_DEP_1)
	v_fmac_f32_e32 v22, v38, v28
	v_and_b32_e32 v28, 0xffff0000, v137
	v_dual_fmac_f32 v23, v39, v28 :: v_dual_and_b32 v28, 0xffff0000, v138
	s_delay_alu instid0(VALU_DEP_1) | instskip(SKIP_1) | instid1(VALU_DEP_1)
	v_fmac_f32_e32 v24, v40, v28
	v_and_b32_e32 v28, 0xffff0000, v139
	v_fmac_f32_e32 v25, v41, v28
	v_and_b32_e32 v28, 0xffff0000, v140
	s_delay_alu instid0(VALU_DEP_1) | instskip(SKIP_1) | instid1(VALU_DEP_1)
	v_fmac_f32_e32 v26, v42, v28
	v_and_b32_e32 v28, 0xffff0000, v141
	v_dual_fmac_f32 v27, v43, v28 :: v_dual_and_b32 v28, 0xffff0000, v142
	s_delay_alu instid0(VALU_DEP_1) | instskip(NEXT) | instid1(VALU_DEP_1)
	v_dual_fmac_f32 v5, v44, v28 :: v_dual_and_b32 v28, 0xffff0000, v143
	v_fmac_f32_e32 v6, v45, v28
	v_and_b32_e32 v28, 0xffff0000, v144
	s_delay_alu instid0(VALU_DEP_1) | instskip(SKIP_1) | instid1(VALU_DEP_1)
	v_fmac_f32_e32 v22, v46, v28
	v_and_b32_e32 v28, 0xffff0000, v146
	v_dual_fmac_f32 v23, v47, v28 :: v_dual_and_b32 v28, 0xffff0000, v147
	s_delay_alu instid0(VALU_DEP_1) | instskip(SKIP_1) | instid1(VALU_DEP_1)
	v_fmac_f32_e32 v24, v48, v28
	v_and_b32_e32 v28, 0xffff0000, v149
	v_dual_fmac_f32 v25, v49, v28 :: v_dual_and_b32 v28, 0xffff0000, v151
	;; [unrolled: 4-line block ×3, first 2 shown]
	s_delay_alu instid0(VALU_DEP_1) | instskip(SKIP_1) | instid1(VALU_DEP_1)
	v_fmac_f32_e32 v5, v52, v28
	v_and_b32_e32 v28, 0xffff0000, v156
	v_fmac_f32_e32 v6, v53, v28
	v_and_b32_e32 v28, 0xffff0000, v158
	s_delay_alu instid0(VALU_DEP_1) | instskip(SKIP_1) | instid1(VALU_DEP_1)
	v_fmac_f32_e32 v22, v54, v28
	v_and_b32_e32 v28, 0xffff0000, v157
	v_dual_fmac_f32 v23, v55, v28 :: v_dual_and_b32 v28, 0xffff0000, v154
	s_delay_alu instid0(VALU_DEP_1) | instskip(SKIP_1) | instid1(VALU_DEP_1)
	v_fmac_f32_e32 v24, v56, v28
	v_and_b32_e32 v28, 0xffff0000, v152
	v_fmac_f32_e32 v25, v57, v28
	v_and_b32_e32 v28, 0xffff0000, v148
	s_delay_alu instid0(VALU_DEP_1) | instskip(SKIP_1) | instid1(VALU_DEP_1)
	v_fmac_f32_e32 v26, v58, v28
	v_and_b32_e32 v28, 0xffff0000, v145
	v_dual_fmac_f32 v27, v59, v28 :: v_dual_and_b32 v28, 0xffff0000, v159
	;; [unrolled: 9-line block ×3, first 2 shown]
	s_delay_alu instid0(VALU_DEP_1) | instskip(SKIP_1) | instid1(VALU_DEP_1)
	v_fmac_f32_e32 v24, v64, v28
	v_and_b32_e32 v28, 0xffff0000, v164
	v_dual_fmac_f32 v25, v65, v28 :: v_dual_and_b32 v28, 0xffff0000, v165
	s_delay_alu instid0(VALU_DEP_1) | instskip(SKIP_1) | instid1(VALU_DEP_1)
	v_fmac_f32_e32 v26, v66, v28
	v_and_b32_e32 v28, 0xffff0000, v166
	v_dual_fmac_f32 v27, v67, v28 :: v_dual_and_b32 v28, 0xffff0000, v167
	s_delay_alu instid0(VALU_DEP_1) | instskip(SKIP_1) | instid1(VALU_DEP_1)
	v_fmac_f32_e32 v5, v68, v28
	v_and_b32_e32 v28, 0xffff0000, v168
	v_fmac_f32_e32 v6, v69, v28
	v_and_b32_e32 v28, 0xffff0000, v169
	s_delay_alu instid0(VALU_DEP_1) | instskip(SKIP_1) | instid1(VALU_DEP_1)
	v_fmac_f32_e32 v22, v70, v28
	v_and_b32_e32 v28, 0xffff0000, v170
	v_dual_fmac_f32 v23, v71, v28 :: v_dual_and_b32 v28, 0xffff0000, v171
	s_delay_alu instid0(VALU_DEP_1) | instskip(SKIP_1) | instid1(VALU_DEP_1)
	v_fmac_f32_e32 v24, v72, v28
	v_and_b32_e32 v28, 0xffff0000, v172
	v_dual_fmac_f32 v25, v73, v28 :: v_dual_and_b32 v28, 0xffff0000, v173
	;; [unrolled: 4-line block ×3, first 2 shown]
	s_delay_alu instid0(VALU_DEP_1) | instskip(SKIP_1) | instid1(VALU_DEP_1)
	v_fmac_f32_e32 v5, v76, v28
	v_and_b32_e32 v28, 0xffff0000, v176
	v_fmac_f32_e32 v6, v77, v28
	v_and_b32_e32 v28, 0xffff0000, v177
	s_delay_alu instid0(VALU_DEP_1) | instskip(SKIP_1) | instid1(VALU_DEP_1)
	v_fmac_f32_e32 v22, v78, v28
	v_and_b32_e32 v28, 0xffff0000, v178
	v_dual_fmac_f32 v23, v79, v28 :: v_dual_and_b32 v28, 0xffff0000, v179
	s_delay_alu instid0(VALU_DEP_1) | instskip(SKIP_1) | instid1(VALU_DEP_1)
	v_fmac_f32_e32 v24, v80, v28
	v_and_b32_e32 v28, 0xffff0000, v180
	v_dual_fmac_f32 v25, v81, v28 :: v_dual_and_b32 v28, 0xffff0000, v181
	;; [unrolled: 4-line block ×3, first 2 shown]
	s_delay_alu instid0(VALU_DEP_1) | instskip(SKIP_1) | instid1(VALU_DEP_1)
	v_fmac_f32_e32 v5, v84, v28
	v_and_b32_e32 v28, 0xffff0000, v184
	v_fmac_f32_e32 v6, v85, v28
	v_and_b32_e32 v28, 0xffff0000, v185
	s_delay_alu instid0(VALU_DEP_2) | instskip(NEXT) | instid1(VALU_DEP_2)
	v_fmac_f32_e32 v6, v93, v7
	v_fmac_f32_e32 v22, v86, v28
	v_and_b32_e32 v28, 0xffff0000, v186
	s_delay_alu instid0(VALU_DEP_1) | instskip(SKIP_1) | instid1(VALU_DEP_1)
	v_fmac_f32_e32 v23, v87, v28
	v_and_b32_e32 v28, 0xffff0000, v188
	v_fmac_f32_e32 v24, v88, v28
	v_and_b32_e32 v28, 0xffff0000, v189
	s_delay_alu instid0(VALU_DEP_1) | instskip(NEXT) | instid1(VALU_DEP_1)
	v_dual_fmac_f32 v25, v89, v28 :: v_dual_and_b32 v28, 0xffff0000, v190
	v_fmac_f32_e32 v26, v90, v28
	v_and_b32_e32 v28, 0xffff0000, v187
	s_delay_alu instid0(VALU_DEP_2) | instskip(NEXT) | instid1(VALU_DEP_2)
	v_fmac_f32_e32 v26, v98, v0
	v_dual_fmac_f32 v27, v91, v28 :: v_dual_and_b32 v28, 0xffff0000, v191
	s_delay_alu instid0(VALU_DEP_1) | instskip(NEXT) | instid1(VALU_DEP_1)
	v_dual_fmac_f32 v5, v92, v28 :: v_dual_and_b32 v0, 0xffff0000, v10
	v_dual_fmac_f32 v27, v99, v0 :: v_dual_and_b32 v0, 0xffff0000, v11
	s_delay_alu instid0(VALU_DEP_1) | instskip(SKIP_1) | instid1(VALU_DEP_1)
	v_fmac_f32_e32 v5, v100, v0
	v_and_b32_e32 v0, 0xffff0000, v12
	v_fmac_f32_e32 v6, v102, v0
	v_and_b32_e32 v7, 0xffff0000, v8
	v_and_b32_e32 v0, 0xffff0000, v13
	s_delay_alu instid0(VALU_DEP_2) | instskip(SKIP_1) | instid1(VALU_DEP_1)
	v_fmac_f32_e32 v22, v94, v7
	v_and_b32_e32 v7, 0xffff0000, v15
	v_fmac_f32_e32 v23, v95, v7
	v_and_b32_e32 v7, 0xffff0000, v16
	s_delay_alu instid0(VALU_DEP_4) | instskip(SKIP_1) | instid1(VALU_DEP_3)
	v_fmac_f32_e32 v22, v103, v0
	v_and_b32_e32 v0, 0xffff0000, v14
	v_dual_fmac_f32 v24, v96, v7 :: v_dual_and_b32 v7, 0xffff0000, v9
	s_delay_alu instid0(VALU_DEP_2) | instskip(NEXT) | instid1(VALU_DEP_2)
	v_dual_fmac_f32 v23, v104, v0 :: v_dual_and_b32 v0, 0xffff0000, v18
	v_fmac_f32_e32 v25, v97, v7
	s_delay_alu instid0(VALU_DEP_2) | instskip(SKIP_1) | instid1(VALU_DEP_1)
	v_fmac_f32_e32 v24, v105, v0
	v_and_b32_e32 v0, 0xffff0000, v19
	v_fmac_f32_e32 v25, v106, v0
	v_and_b32_e32 v0, 0xffff0000, v20
	s_delay_alu instid0(VALU_DEP_1) | instskip(SKIP_1) | instid1(VALU_DEP_1)
	v_fmac_f32_e32 v26, v107, v0
	v_and_b32_e32 v0, 0xffff0000, v21
	v_dual_fmac_f32 v27, v108, v0 :: v_dual_add_f32 v0, v5, v6
	v_add_nc_u32_e32 v5, s23, v109
	s_delay_alu instid0(VALU_DEP_2) | instskip(NEXT) | instid1(VALU_DEP_2)
	v_dual_add_f32 v0, v0, v22 :: v_dual_add_nc_u32 v109, 0x80, v109
	v_cvt_f32_i32_e32 v5, v5
	s_delay_alu instid0(VALU_DEP_1) | instskip(NEXT) | instid1(VALU_DEP_1)
	v_dual_add_f32 v0, v23, v0 :: v_dual_mul_f32 v5, s8, v5
	v_dual_add_f32 v0, v24, v0 :: v_dual_cndmask_b32 v5, 0, v5
	s_delay_alu instid0(VALU_DEP_1) | instskip(NEXT) | instid1(VALU_DEP_1)
	v_add_f32_e32 v0, v25, v0
	v_add_f32_e32 v0, v26, v0
	s_delay_alu instid0(VALU_DEP_1) | instskip(NEXT) | instid1(VALU_DEP_1)
	v_add_f32_e32 v0, v27, v0
	v_dual_fmac_f32 v5, s9, v0 :: v_dual_max_num_f32 v0, v101, v101
	s_delay_alu instid0(VALU_DEP_1) | instskip(SKIP_2) | instid1(VALU_DEP_2)
	v_max_num_f32_e32 v0, v0, v5
	s_wait_alu 0xf1ff
	v_cndmask_b32_e64 v5, 0, v5, s3
	v_cndmask_b32_e64 v101, v101, v0, s3
	v_add_co_u32 v3, s3, v3, 16
	ds_store_b32 v110, v5
	s_wait_alu 0xf1ff
	v_add_co_ci_u32_e64 v4, null, 0, v4, s3
	v_add_nc_u32_e32 v110, 0x200, v110
	s_and_not1_b32 exec_lo, exec_lo, s11
	s_cbranch_execnz .LBB361_7
; %bb.8:
	s_or_b32 exec_lo, exec_lo, s11
	s_clause 0x3
	scratch_load_b32 v149, off, off offset:92
	scratch_load_b32 v150, off, off offset:96
	;; [unrolled: 1-line block ×4, first 2 shown]
	v_lshlrev_b32_e32 v111, 2, v17
.LBB361_9:
	s_or_b32 exec_lo, exec_lo, s10
	v_mbcnt_lo_u32_b32 v0, -1, 0
	s_load_b128 s[8:11], s[0:1], 0x0
	s_wait_kmcnt 0x0
	s_clause 0x1
	s_load_b64 s[4:5], s[0:1], 0x10
	s_load_b64 s[24:25], s[0:1], 0x28
	v_xor_b32_e32 v1, 16, v0
	v_xor_b32_e32 v3, 8, v0
	s_delay_alu instid0(VALU_DEP_2) | instskip(SKIP_2) | instid1(VALU_DEP_3)
	v_cmp_gt_i32_e32 vcc_lo, 32, v1
	s_wait_alu 0xfffd
	v_cndmask_b32_e32 v1, v0, v1, vcc_lo
	v_cmp_gt_i32_e32 vcc_lo, 32, v3
	v_max_num_f32_e32 v4, v101, v101
	s_delay_alu instid0(VALU_DEP_3)
	v_lshlrev_b32_e32 v1, 2, v1
	s_wait_alu 0xfffd
	v_cndmask_b32_e32 v3, v0, v3, vcc_lo
	ds_bpermute_b32 v2, v1, v101
	s_wait_dscnt 0x0
	v_dual_max_num_f32 v5, v2, v2 :: v_dual_lshlrev_b32 v2, 2, v3
	s_delay_alu instid0(VALU_DEP_1)
	v_max_num_f32_e32 v3, v4, v5
	v_xor_b32_e32 v5, 4, v0
	ds_bpermute_b32 v4, v2, v3
	v_cmp_gt_i32_e32 vcc_lo, 32, v5
	s_wait_alu 0xfffd
	v_cndmask_b32_e32 v5, v0, v5, vcc_lo
	s_wait_dscnt 0x0
	v_max_num_f32_e32 v6, v4, v4
	s_delay_alu instid0(VALU_DEP_1)
	v_dual_max_num_f32 v3, v3, v6 :: v_dual_lshlrev_b32 v4, 2, v5
	v_xor_b32_e32 v6, 2, v0
	ds_bpermute_b32 v5, v4, v3
	v_cmp_gt_i32_e32 vcc_lo, 32, v6
	s_wait_dscnt 0x0
	s_wait_alu 0xfffd
	v_dual_cndmask_b32 v6, v0, v6 :: v_dual_max_num_f32 v5, v5, v5
	s_delay_alu instid0(VALU_DEP_1) | instskip(NEXT) | instid1(VALU_DEP_2)
	v_max_num_f32_e32 v3, v3, v5
	v_lshlrev_b32_e32 v19, 2, v6
	v_xor_b32_e32 v6, 1, v0
	s_delay_alu instid0(VALU_DEP_1)
	v_cmp_gt_i32_e32 vcc_lo, 32, v6
	s_wait_alu 0xfffd
	v_cndmask_b32_e32 v6, v0, v6, vcc_lo
	ds_bpermute_b32 v5, v19, v3
	s_wait_loadcnt 0x1
	v_cmp_eq_u32_e32 vcc_lo, 0, v151
	s_wait_dscnt 0x0
	v_dual_max_num_f32 v5, v5, v5 :: v_dual_lshlrev_b32 v18, 2, v6
	s_delay_alu instid0(VALU_DEP_1)
	v_dual_max_num_f32 v0, v3, v5 :: v_dual_lshlrev_b32 v5, 2, v150
	ds_bpermute_b32 v3, v18, v0
	s_and_saveexec_b32 s0, vcc_lo
	s_cbranch_execz .LBB361_11
; %bb.10:
	s_wait_dscnt 0x0
	v_dual_max_num_f32 v3, v3, v3 :: v_dual_max_num_f32 v0, v0, v0
	s_delay_alu instid0(VALU_DEP_1)
	v_max_num_f32_e32 v0, v0, v3
	ds_store_b32 v5, v0 offset:192
.LBB361_11:
	s_or_b32 exec_lo, exec_lo, s0
	v_cmp_gt_u32_e64 s0, 4, v151
	v_mov_b32_e32 v0, 0xff7fffff
	s_wait_storecnt 0x0
	s_wait_loadcnt_dscnt 0x0
	s_barrier_signal -1
	s_barrier_wait -1
	global_inv scope:SCOPE_SE
	s_and_saveexec_b32 s1, s0
; %bb.12:
	ds_load_b32 v0, v22 offset:192
; %bb.13:
	s_or_b32 exec_lo, exec_lo, s1
	s_wait_dscnt 0x0
	ds_bpermute_b32 v3, v19, v0
	v_max_num_f32_e32 v0, v0, v0
	s_sub_co_i32 s1, s17, s31
	v_mov_b32_e32 v6, 0
	s_lshl_b32 s1, s1, 5
	s_delay_alu instid0(SALU_CYCLE_1) | instskip(NEXT) | instid1(SALU_CYCLE_1)
	s_add_co_i32 s1, s1, s28
	s_min_i32 s1, s1, s27
	s_delay_alu instid0(SALU_CYCLE_1) | instskip(SKIP_4) | instid1(VALU_DEP_1)
	s_sub_co_i32 s14, s1, s28
	s_wait_alu 0xfffe
	v_cmp_gt_i32_e64 s1, s14, v149
	s_wait_dscnt 0x0
	v_max_num_f32_e32 v3, v3, v3
	v_max_num_f32_e32 v0, v0, v3
	ds_bpermute_b32 v3, v18, v0
	s_wait_dscnt 0x0
	v_max_num_f32_e32 v3, v3, v3
	s_delay_alu instid0(VALU_DEP_1)
	v_max_num_f32_e32 v0, v0, v3
	v_lshl_add_u32 v3, v149, 2, 0xe0
	ds_bpermute_b32 v0, v6, v0
	s_and_saveexec_b32 s23, s1
	s_cbranch_execz .LBB361_17
; %bb.14:
	v_lshl_add_u32 v7, v149, 2, 0xe0
	v_mov_b32_e32 v6, 0
	v_mov_b32_e32 v8, v149
	s_mov_b32 s31, 0
.LBB361_15:                             ; =>This Inner Loop Header: Depth=1
	ds_load_b32 v9, v7
	v_add_nc_u32_e32 v8, 0x80, v8
	s_delay_alu instid0(VALU_DEP_1) | instskip(SKIP_4) | instid1(VALU_DEP_1)
	v_cmp_le_i32_e64 s3, s14, v8
	s_wait_alu 0xfffe
	s_or_b32 s31, s3, s31
	s_wait_dscnt 0x0
	v_sub_f32_e32 v9, v9, v0
	v_mul_f32_e32 v9, 0x3fb8aa3b, v9
	s_delay_alu instid0(VALU_DEP_1)
	v_exp_f32_e32 v9, v9
	ds_store_b32 v7, v9
	v_dual_add_f32 v6, v6, v9 :: v_dual_add_nc_u32 v7, 0x200, v7
	s_wait_alu 0xfffe
	s_and_not1_b32 exec_lo, exec_lo, s31
	s_cbranch_execnz .LBB361_15
; %bb.16:
	s_or_b32 exec_lo, exec_lo, s31
.LBB361_17:
	s_wait_alu 0xfffe
	s_or_b32 exec_lo, exec_lo, s23
	ds_bpermute_b32 v1, v1, v6
	s_wait_dscnt 0x0
	v_add_f32_e32 v1, v6, v1
	ds_bpermute_b32 v2, v2, v1
	s_wait_dscnt 0x0
	v_add_f32_e32 v1, v1, v2
	;; [unrolled: 3-line block ×5, first 2 shown]
	s_and_saveexec_b32 s3, vcc_lo
; %bb.18:
	ds_store_b32 v5, v1 offset:208
; %bb.19:
	s_wait_alu 0xfffe
	s_or_b32 exec_lo, exec_lo, s3
	s_wait_loadcnt_dscnt 0x0
	s_barrier_signal -1
	s_barrier_wait -1
	global_inv scope:SCOPE_SE
	s_and_saveexec_b32 s3, s0
; %bb.20:
	ds_load_b32 v1, v22 offset:208
; %bb.21:
	s_wait_alu 0xfffe
	s_or_b32 exec_lo, exec_lo, s3
	s_wait_dscnt 0x0
	ds_bpermute_b32 v2, v19, v1
	s_wait_dscnt 0x0
	v_add_f32_e32 v1, v1, v2
	ds_bpermute_b32 v2, v18, v1
	s_wait_dscnt 0x0
	v_dual_add_f32 v1, v1, v2 :: v_dual_mov_b32 v2, 0
	ds_bpermute_b32 v1, v2, v1
	s_and_saveexec_b32 s0, s1
	s_cbranch_execz .LBB361_24
; %bb.22:
	s_wait_dscnt 0x0
	v_add_f32_e32 v2, 0x358637bd, v1
	s_mov_b32 s1, 0
	s_delay_alu instid0(VALU_DEP_1) | instskip(SKIP_1) | instid1(VALU_DEP_2)
	v_div_scale_f32 v4, null, v2, v2, 1.0
	v_div_scale_f32 v7, vcc_lo, 1.0, v2, 1.0
	v_rcp_f32_e32 v5, v4
	s_delay_alu instid0(TRANS32_DEP_1) | instskip(NEXT) | instid1(VALU_DEP_1)
	v_fma_f32 v6, -v4, v5, 1.0
	v_fmac_f32_e32 v5, v6, v5
	s_delay_alu instid0(VALU_DEP_1) | instskip(NEXT) | instid1(VALU_DEP_1)
	v_mul_f32_e32 v6, v7, v5
	v_fma_f32 v8, -v4, v6, v7
	s_delay_alu instid0(VALU_DEP_1) | instskip(NEXT) | instid1(VALU_DEP_1)
	v_fmac_f32_e32 v6, v8, v5
	v_fma_f32 v4, -v4, v6, v7
	s_wait_alu 0xfffd
	s_delay_alu instid0(VALU_DEP_1) | instskip(NEXT) | instid1(VALU_DEP_1)
	v_div_fmas_f32 v4, v4, v5, v6
	v_div_fixup_f32 v2, v4, v2, 1.0
	v_mov_b32_e32 v4, v149
.LBB361_23:                             ; =>This Inner Loop Header: Depth=1
	ds_load_b32 v5, v3
	s_wait_dscnt 0x0
	v_dual_mul_f32 v5, v2, v5 :: v_dual_add_nc_u32 v4, 0x80, v4
	s_delay_alu instid0(VALU_DEP_1) | instskip(SKIP_3) | instid1(SALU_CYCLE_1)
	v_cmp_le_i32_e32 vcc_lo, s14, v4
	ds_store_b32 v3, v5
	v_add_nc_u32_e32 v3, 0x200, v3
	s_or_b32 s1, vcc_lo, s1
	s_and_not1_b32 exec_lo, exec_lo, s1
	s_cbranch_execnz .LBB361_23
.LBB361_24:
	s_or_b32 exec_lo, exec_lo, s0
	s_mul_i32 s0, s12, s15
	s_wait_loadcnt_dscnt 0x0
	s_mul_i32 s14, s0, s29
	s_mov_b32 s0, exec_lo
	s_barrier_signal -1
	s_barrier_wait -1
	global_inv scope:SCOPE_SE
	v_cmpx_eq_u32_e32 0, v149
	s_cbranch_execz .LBB361_26
; %bb.25:
	s_wait_alu 0xfffe
	s_ashr_i32 s15, s14, 31
	s_mul_i32 s34, s12, ttmp9
	s_lshl_b32 s1, s26, 2
	s_wait_alu 0xfffe
	s_lshl_b64 s[36:37], s[14:15], 2
	s_ashr_i32 s35, s34, 31
	v_mov_b32_e32 v2, s1
	s_add_nc_u64 s[10:11], s[10:11], s[36:37]
	s_lshl_b64 s[34:35], s[34:35], 2
	s_add_nc_u64 s[8:9], s[8:9], s[36:37]
	s_add_nc_u64 s[10:11], s[10:11], s[34:35]
	s_wait_alu 0xfffe
	s_add_nc_u64 s[8:9], s[8:9], s[34:35]
	s_clause 0x1
	global_store_b32 v2, v0, s[10:11]
	global_store_b32 v2, v1, s[8:9]
.LBB361_26:
	s_or_b32 exec_lo, exec_lo, s0
	v_dual_mov_b32 v30, 0 :: v_dual_mov_b32 v31, 0
	v_dual_mov_b32 v29, 0 :: v_dual_and_b32 v20, 3, v149
	v_dual_mov_b32 v32, 0 :: v_dual_mov_b32 v27, 0
	v_dual_mov_b32 v28, 0 :: v_dual_mov_b32 v25, 0
	;; [unrolled: 1-line block ×4, first 2 shown]
	v_mov_b32_e32 v22, 0
	s_and_saveexec_b32 s1, s2
	s_cbranch_execz .LBB361_54
; %bb.27:
	s_load_b32 s2, s[6:7], 0x0
	v_dual_mov_b32 v21, 0 :: v_dual_lshlrev_b32 v0, 3, v149
	v_dual_mov_b32 v22, 0 :: v_dual_lshlrev_b32 v1, 5, v20
	s_ashr_i32 s23, s22, 31
	s_delay_alu instid0(VALU_DEP_2)
	v_dual_mov_b32 v23, 0 :: v_dual_and_b32 v2, 24, v0
	v_dual_mov_b32 v25, 0 :: v_dual_and_b32 v0, 0xf8, v0
	s_wait_kmcnt 0x0
	s_wait_alu 0xfffe
	s_add_nc_u64 s[8:9], s[24:25], s[22:23]
	s_lshl_b64 s[6:7], s[20:21], 2
	v_lshl_add_u32 v3, v150, 5, s28
	v_lshl_or_b32 v1, v150, 7, v1
	s_wait_alu 0xfffe
	v_add_co_u32 v9, s0, s8, v0
	s_add_nc_u64 s[6:7], s[18:19], s[6:7]
	s_wait_alu 0xf1ff
	v_add_co_ci_u32_e64 v10, null, s9, 0, s0
	v_add_co_u32 v11, s0, s6, v111
	v_add3_u32 v33, v3, v2, 7
	v_dual_mov_b32 v27, 0 :: v_dual_add_nc_u32 v34, 0xe0, v1
	s_wait_alu 0xf1ff
	v_add_co_ci_u32_e64 v12, null, s7, 0, s0
	v_dual_mov_b32 v24, 0 :: v_dual_mov_b32 v29, 0
	v_dual_mov_b32 v26, 0 :: v_dual_mov_b32 v31, 0
	v_mov_b32_e32 v28, 0
	v_mov_b32_e32 v32, 0
	;; [unrolled: 1-line block ×3, first 2 shown]
	s_mov_b32 s3, s13
	s_add_co_i32 s30, s30, -1
	s_mov_b32 s6, 0
	s_branch .LBB361_29
.LBB361_28:                             ;   in Loop: Header=BB361_29 Depth=1
	s_wait_alu 0xfffe
	s_or_b32 exec_lo, exec_lo, s0
	s_wait_dscnt 0x1
	v_bfe_u32 v67, v5, 16, 1
	v_bfe_u32 v75, v6, 16, 1
	v_or_b32_e32 v76, 0x400000, v5
	v_cmp_u_f32_e32 vcc_lo, v5, v5
	v_or_b32_e32 v78, 0x400000, v6
	v_add3_u32 v67, v67, v5, 0x7fff
	v_bfe_u32 v79, v7, 16, 1
	v_add3_u32 v75, v75, v6, 0x7fff
	v_bfe_u32 v80, v8, 16, 1
	s_wait_alu 0xfffd
	v_dual_cndmask_b32 v5, v67, v76 :: v_dual_lshlrev_b32 v126, 16, v126
	v_cmp_u_f32_e32 vcc_lo, v6, v6
	v_add3_u32 v67, v79, v7, 0x7fff
	s_wait_dscnt 0x0
	v_bfe_u32 v76, v1, 16, 1
	v_or_b32_e32 v79, 0x400000, v8
	s_wait_alu 0xfffd
	v_dual_cndmask_b32 v6, v75, v78 :: v_dual_lshlrev_b32 v119, 16, v119
	v_or_b32_e32 v75, 0x400000, v7
	v_cmp_u_f32_e32 vcc_lo, v7, v7
	v_add3_u32 v78, v80, v8, 0x7fff
	v_lshlrev_b32_e32 v106, 16, v106
	v_lshlrev_b32_e32 v54, 16, v54
	;; [unrolled: 1-line block ×3, first 2 shown]
	s_wait_alu 0xfffd
	v_cndmask_b32_e32 v7, v67, v75, vcc_lo
	v_cmp_u_f32_e32 vcc_lo, v8, v8
	v_add3_u32 v67, v76, v1, 0x7fff
	v_or_b32_e32 v75, 0x400000, v1
	v_bfe_u32 v76, v2, 16, 1
	v_lshlrev_b32_e32 v35, 16, v35
	s_wait_alu 0xfffd
	v_cndmask_b32_e32 v8, v78, v79, vcc_lo
	v_cmp_u_f32_e32 vcc_lo, v1, v1
	v_or_b32_e32 v78, 0x400000, v2
	v_add3_u32 v76, v76, v2, 0x7fff
	v_and_b32_e32 v5, 0xffff0000, v5
	v_and_b32_e32 v1, 0xffff0000, v6
	s_wait_alu 0xfffd
	v_dual_cndmask_b32 v67, v67, v75 :: v_dual_lshlrev_b32 v6, 16, v132
	v_bfe_u32 v75, v3, 16, 1
	v_cmp_u_f32_e32 vcc_lo, v2, v2
	v_or_b32_e32 v79, 0x400000, v3
	v_lshlrev_b32_e32 v14, 16, v14
	v_add_co_u32 v11, s0, v11, 16
	v_add3_u32 v75, v75, v3, 0x7fff
	s_wait_alu 0xfffd
	v_cndmask_b32_e32 v2, v76, v78, vcc_lo
	v_bfe_u32 v76, v4, 16, 1
	v_cmp_u_f32_e32 vcc_lo, v3, v3
	v_add_nc_u32_e32 v33, 0x80, v33
	s_wait_alu 0xf1ff
	v_add_co_ci_u32_e64 v12, null, 0, v12, s0
	v_add3_u32 v76, v76, v4, 0x7fff
	s_wait_alu 0xfffd
	v_cndmask_b32_e32 v75, v75, v79, vcc_lo
	v_or_b32_e32 v79, 0x400000, v4
	v_cmp_u_f32_e32 vcc_lo, v4, v4
	v_and_b32_e32 v2, 0xffff0000, v2
	v_lshlrev_b32_e32 v37, 16, v37
	v_lshlrev_b32_e32 v47, 16, v47
	s_wait_alu 0xfffd
	v_dual_cndmask_b32 v4, v76, v79 :: v_dual_lshlrev_b32 v113, 16, v113
	v_dual_mul_f32 v6, v1, v6 :: v_dual_lshlrev_b32 v111, 16, v111
	v_lshlrev_b32_e32 v109, 16, v109
	v_lshlrev_b32_e32 v15, 16, v15
	s_delay_alu instid0(VALU_DEP_4) | instskip(NEXT) | instid1(VALU_DEP_4)
	v_and_b32_e32 v4, 0xffff0000, v4
	v_bfe_u32 v3, v6, 16, 1
	v_or_b32_e32 v81, 0x400000, v6
	v_cmp_u_f32_e32 vcc_lo, v6, v6
	v_lshlrev_b32_e32 v105, 16, v105
	v_lshlrev_b32_e32 v85, 16, v85
	v_add3_u32 v80, v3, v6, 0x7fff
	v_and_b32_e32 v3, 0xffff0000, v8
	v_lshlrev_b32_e32 v8, 16, v130
	v_and_b32_e32 v6, 0xffff0000, v7
	v_lshlrev_b32_e32 v7, 16, v129
	s_wait_alu 0xfffd
	v_cndmask_b32_e32 v76, v80, v81, vcc_lo
	v_lshlrev_b32_e32 v84, 16, v84
	v_mul_f32_e32 v80, v3, v8
	v_lshlrev_b32_e32 v8, 16, v128
	v_lshlrev_b32_e32 v78, 16, v131
	v_dual_mul_f32 v7, v6, v7 :: v_dual_and_b32 v76, 0xffff0000, v76
	s_delay_alu instid0(VALU_DEP_4) | instskip(NEXT) | instid1(VALU_DEP_3)
	v_bfe_u32 v128, v80, 16, 1
	v_dual_mul_f32 v129, v2, v8 :: v_dual_mul_f32 v78, v5, v78
	v_and_b32_e32 v8, 0xffff0000, v67
	v_lshlrev_b32_e32 v67, 16, v127
	v_lshlrev_b32_e32 v82, 16, v82
	s_delay_alu instid0(VALU_DEP_4)
	v_bfe_u32 v130, v129, 16, 1
	v_bfe_u32 v79, v78, 16, 1
	v_or_b32_e32 v81, 0x400000, v78
	v_cmp_u_f32_e32 vcc_lo, v78, v78
	v_mul_f32_e32 v67, v8, v67
	v_add3_u32 v127, v130, v129, 0x7fff
	v_add3_u32 v79, v79, v78, 0x7fff
	v_dual_mul_f32 v15, v2, v15 :: v_dual_lshlrev_b32 v16, 16, v16
	s_delay_alu instid0(VALU_DEP_4)
	v_bfe_u32 v130, v67, 16, 1
	v_mul_f32_e32 v85, v2, v85
	s_wait_alu 0xfffd
	v_cndmask_b32_e32 v78, v79, v81, vcc_lo
	v_add3_u32 v79, v128, v80, 0x7fff
	v_or_b32_e32 v81, 0x400000, v80
	v_bfe_u32 v128, v7, 16, 1
	v_cmp_u_f32_e32 vcc_lo, v80, v80
	v_lshlrev_b32_e32 v83, 16, v83
	v_lshlrev_b32_e32 v71, 16, v71
	v_lshlrev_b32_e32 v70, 16, v70
	v_add3_u32 v80, v128, v7, 0x7fff
	s_wait_alu 0xfffd
	v_cndmask_b32_e32 v79, v79, v81, vcc_lo
	v_or_b32_e32 v81, 0x400000, v7
	v_cmp_u_f32_e32 vcc_lo, v7, v7
	v_or_b32_e32 v128, 0x400000, v129
	v_and_b32_e32 v7, 0xffff0000, v75
	v_lshlrev_b32_e32 v75, 16, v125
	v_lshlrev_b32_e32 v110, 16, v110
	s_wait_alu 0xfffd
	v_cndmask_b32_e32 v80, v80, v81, vcc_lo
	v_mul_f32_e32 v81, v4, v126
	v_cmp_u_f32_e32 vcc_lo, v129, v129
	v_dual_mul_f32 v75, v7, v75 :: v_dual_lshlrev_b32 v40, 16, v40
	v_mul_f32_e32 v35, v7, v35
	s_delay_alu instid0(VALU_DEP_4)
	v_bfe_u32 v129, v81, 16, 1
	s_wait_alu 0xfffd
	v_cndmask_b32_e32 v126, v127, v128, vcc_lo
	v_add3_u32 v127, v130, v67, 0x7fff
	v_or_b32_e32 v128, 0x400000, v67
	v_cmp_u_f32_e32 vcc_lo, v67, v67
	v_add3_u32 v125, v129, v81, 0x7fff
	v_mul_f32_e32 v40, v3, v40
	v_dual_mul_f32 v71, v2, v71 :: v_dual_lshlrev_b32 v72, 16, v72
	s_wait_alu 0xfffd
	v_cndmask_b32_e32 v67, v127, v128, vcc_lo
	v_or_b32_e32 v127, 0x400000, v81
	v_cmp_u_f32_e32 vcc_lo, v81, v81
	v_dual_mul_f32 v119, v8, v119 :: v_dual_lshlrev_b32 v120, 16, v120
	v_dual_mul_f32 v16, v3, v16 :: v_dual_lshlrev_b32 v121, 16, v121
	s_wait_alu 0xfffd
	v_cndmask_b32_e32 v81, v125, v127, vcc_lo
	v_cmp_u_f32_e32 vcc_lo, v75, v75
	v_and_b32_e32 v78, 0xffff0000, v78
	v_dual_mul_f32 v120, v2, v120 :: v_dual_and_b32 v79, 0xffff0000, v79
	v_dual_mul_f32 v121, v6, v121 :: v_dual_and_b32 v80, 0xffff0000, v80
	s_delay_alu instid0(VALU_DEP_3) | instskip(SKIP_1) | instid1(VALU_DEP_3)
	v_add_f32_e32 v76, v78, v76
	v_bfe_u32 v125, v75, 16, 1
	v_dual_add_f32 v78, v80, v79 :: v_dual_lshlrev_b32 v117, 16, v117
	v_lshlrev_b32_e32 v79, 16, v124
	v_and_b32_e32 v67, 0xffff0000, v67
	s_delay_alu instid0(VALU_DEP_4)
	v_add3_u32 v124, v125, v75, 0x7fff
	v_or_b32_e32 v125, 0x400000, v75
	v_add_f32_e32 v76, v78, v76
	v_and_b32_e32 v80, 0xffff0000, v126
	v_mul_f32_e32 v78, v1, v79
	v_lshlrev_b32_e32 v79, 16, v123
	s_wait_alu 0xfffd
	v_dual_cndmask_b32 v75, v124, v125 :: v_dual_lshlrev_b32 v118, 16, v118
	v_mul_f32_e32 v117, v7, v117
	v_add_f32_e32 v67, v67, v80
	v_or_b32_e32 v124, 0x400000, v119
	s_delay_alu instid0(VALU_DEP_4) | instskip(NEXT) | instid1(VALU_DEP_4)
	v_dual_mul_f32 v118, v4, v118 :: v_dual_and_b32 v81, 0xffff0000, v81
	v_bfe_u32 v126, v117, 16, 1
	s_delay_alu instid0(VALU_DEP_4)
	v_dual_add_f32 v67, v67, v76 :: v_dual_mul_f32 v76, v5, v79
	v_lshlrev_b32_e32 v79, 16, v122
	v_bfe_u32 v80, v78, 16, 1
	v_or_b32_e32 v122, 0x400000, v78
	v_cmp_u_f32_e32 vcc_lo, v78, v78
	v_bfe_u32 v123, v76, 16, 1
	v_mul_f32_e32 v79, v3, v79
	v_add3_u32 v80, v80, v78, 0x7fff
	v_bfe_u32 v125, v118, 16, 1
	v_dual_mul_f32 v105, v4, v105 :: v_dual_lshlrev_b32 v0, 16, v0
	v_mul_f32_e32 v84, v8, v84
	s_wait_alu 0xfffd
	v_cndmask_b32_e32 v78, v80, v122, vcc_lo
	v_add3_u32 v80, v123, v76, 0x7fff
	v_or_b32_e32 v122, 0x400000, v76
	v_bfe_u32 v123, v79, 16, 1
	v_cmp_u_f32_e32 vcc_lo, v76, v76
	v_dual_mul_f32 v0, v6, v0 :: v_dual_and_b32 v75, 0xffff0000, v75
	v_dual_mul_f32 v83, v4, v83 :: v_dual_lshlrev_b32 v48, 16, v48
	v_mul_f32_e32 v45, v8, v45
	s_wait_alu 0xfffd
	v_cndmask_b32_e32 v76, v80, v122, vcc_lo
	v_add3_u32 v80, v123, v79, 0x7fff
	v_or_b32_e32 v122, 0x400000, v79
	v_bfe_u32 v123, v121, 16, 1
	v_cmp_u_f32_e32 vcc_lo, v79, v79
	v_dual_add_f32 v75, v75, v81 :: v_dual_and_b32 v78, 0xffff0000, v78
	v_mul_f32_e32 v48, v3, v48
	s_wait_alu 0xfffd
	v_dual_mul_f32 v72, v6, v72 :: v_dual_cndmask_b32 v79, v80, v122
	v_add3_u32 v80, v123, v121, 0x7fff
	v_or_b32_e32 v122, 0x400000, v121
	v_bfe_u32 v123, v120, 16, 1
	v_cmp_u_f32_e32 vcc_lo, v121, v121
	v_bfe_u32 v121, v119, 16, 1
	v_add_f32_e32 v67, v75, v67
	v_lshlrev_b32_e32 v63, 16, v63
	s_wait_alu 0xfffd
	v_dual_cndmask_b32 v80, v80, v122 :: v_dual_lshlrev_b32 v61, 16, v61
	v_add3_u32 v122, v123, v120, 0x7fff
	v_or_b32_e32 v123, 0x400000, v120
	v_cmp_u_f32_e32 vcc_lo, v120, v120
	v_add3_u32 v121, v121, v119, 0x7fff
	v_and_b32_e32 v80, 0xffff0000, v80
	v_add_f32_e32 v22, v22, v67
	v_dual_mul_f32 v61, v8, v61 :: v_dual_lshlrev_b32 v64, 16, v64
	s_wait_alu 0xfffd
	v_cndmask_b32_e32 v120, v122, v123, vcc_lo
	v_cmp_u_f32_e32 vcc_lo, v119, v119
	v_add3_u32 v122, v126, v117, 0x7fff
	v_or_b32_e32 v123, 0x400000, v117
	v_dual_mul_f32 v63, v6, v63 :: v_dual_mul_f32 v64, v3, v64
	s_wait_alu 0xfffd
	v_cndmask_b32_e32 v119, v121, v124, vcc_lo
	v_cmp_u_f32_e32 vcc_lo, v117, v117
	v_and_b32_e32 v76, 0xffff0000, v76
	v_add3_u32 v121, v125, v118, 0x7fff
	v_or_b32_e32 v124, 0x400000, v118
	v_lshlrev_b32_e32 v53, 16, v53
	s_wait_alu 0xfffd
	v_cndmask_b32_e32 v117, v122, v123, vcc_lo
	v_dual_add_f32 v76, v76, v78 :: v_dual_and_b32 v79, 0xffff0000, v79
	v_cmp_u_f32_e32 vcc_lo, v118, v118
	v_lshlrev_b32_e32 v59, 16, v59
	v_lshlrev_b32_e32 v62, 16, v62
	s_delay_alu instid0(VALU_DEP_4)
	v_add_f32_e32 v78, v80, v79
	s_wait_alu 0xfffd
	v_dual_cndmask_b32 v118, v121, v124 :: v_dual_and_b32 v79, 0xffff0000, v119
	v_lshlrev_b32_e32 v51, 16, v51
	v_lshlrev_b32_e32 v56, 16, v56
	v_dual_add_f32 v76, v78, v76 :: v_dual_lshlrev_b32 v81, 16, v115
	v_dual_mul_f32 v59, v7, v59 :: v_dual_and_b32 v80, 0xffff0000, v120
	s_delay_alu instid0(VALU_DEP_4) | instskip(NEXT) | instid1(VALU_DEP_2)
	v_dual_mul_f32 v62, v2, v62 :: v_dual_mul_f32 v51, v7, v51
	v_dual_mul_f32 v75, v5, v81 :: v_dual_add_f32 v78, v79, v80
	v_and_b32_e32 v79, 0xffff0000, v117
	v_lshlrev_b32_e32 v57, 16, v57
	v_lshlrev_b32_e32 v55, 16, v55
	s_delay_alu instid0(VALU_DEP_4) | instskip(SKIP_1) | instid1(VALU_DEP_4)
	v_bfe_u32 v67, v75, 16, 1
	v_or_b32_e32 v81, 0x400000, v75
	v_dual_add_f32 v76, v78, v76 :: v_dual_mul_f32 v57, v5, v57
	s_delay_alu instid0(VALU_DEP_4) | instskip(NEXT) | instid1(VALU_DEP_4)
	v_mul_f32_e32 v55, v6, v55
	v_add3_u32 v67, v67, v75, 0x7fff
	v_lshlrev_b32_e32 v116, 16, v116
	v_dual_mul_f32 v53, v8, v53 :: v_dual_and_b32 v80, 0xffff0000, v118
	v_add_nc_u32_e32 v34, 0x200, v34
	v_lshlrev_b32_e32 v49, 16, v49
	v_lshlrev_b32_e32 v50, 16, v50
	s_delay_alu instid0(VALU_DEP_4) | instskip(SKIP_3) | instid1(VALU_DEP_4)
	v_add_f32_e32 v78, v79, v80
	v_mul_f32_e32 v79, v1, v116
	v_mul_f32_e32 v47, v6, v47
	v_mul_f32_e32 v49, v5, v49
	v_dual_add_f32 v76, v78, v76 :: v_dual_lshlrev_b32 v43, 16, v43
	s_delay_alu instid0(VALU_DEP_4) | instskip(SKIP_1) | instid1(VALU_DEP_3)
	v_bfe_u32 v78, v79, 16, 1
	v_cmp_u_f32_e32 vcc_lo, v79, v79
	v_dual_mul_f32 v43, v7, v43 :: v_dual_lshlrev_b32 v46, 16, v46
	s_delay_alu instid0(VALU_DEP_4) | instskip(NEXT) | instid1(VALU_DEP_4)
	v_add_f32_e32 v23, v23, v76
	v_add3_u32 v76, v78, v79, 0x7fff
	v_or_b32_e32 v78, 0x400000, v79
	v_lshlrev_b32_e32 v79, 16, v112
	v_lshlrev_b32_e32 v80, 16, v114
	;; [unrolled: 1-line block ×3, first 2 shown]
	v_mul_f32_e32 v37, v8, v37
	s_wait_alu 0xfffd
	v_dual_cndmask_b32 v76, v76, v78 :: v_dual_mul_f32 v79, v2, v79
	v_mul_f32_e32 v80, v3, v80
	v_cmp_u_f32_e32 vcc_lo, v75, v75
	v_mul_f32_e32 v75, v6, v113
	v_mul_f32_e32 v41, v5, v41
	v_lshlrev_b32_e32 v39, 16, v39
	v_bfe_u32 v78, v80, 16, 1
	s_wait_alu 0xfffd
	v_cndmask_b32_e32 v67, v67, v81, vcc_lo
	v_or_b32_e32 v81, 0x400000, v80
	v_bfe_u32 v112, v75, 16, 1
	v_cmp_u_f32_e32 vcc_lo, v80, v80
	v_add3_u32 v78, v78, v80, 0x7fff
	v_mul_f32_e32 v80, v8, v111
	v_or_b32_e32 v111, 0x400000, v75
	v_and_b32_e32 v67, 0xffff0000, v67
	v_dual_mul_f32 v39, v6, v39 :: v_dual_lshlrev_b32 v42, 16, v42
	s_wait_alu 0xfffd
	v_cndmask_b32_e32 v78, v78, v81, vcc_lo
	v_add3_u32 v81, v112, v75, 0x7fff
	v_bfe_u32 v112, v79, 16, 1
	v_cmp_u_f32_e32 vcc_lo, v75, v75
	v_bfe_u32 v113, v80, 16, 1
	v_dual_mul_f32 v42, v1, v42 :: v_dual_lshlrev_b32 v13, 16, v13
	v_add_nc_u32_e32 v17, 4, v17
	s_wait_alu 0xfffd
	v_cndmask_b32_e32 v75, v81, v111, vcc_lo
	v_add3_u32 v81, v112, v79, 0x7fff
	v_or_b32_e32 v111, 0x400000, v79
	v_cmp_u_f32_e32 vcc_lo, v79, v79
	v_add3_u32 v112, v113, v80, 0x7fff
	v_or_b32_e32 v113, 0x400000, v80
	v_and_b32_e32 v75, 0xffff0000, v75
	s_wait_alu 0xfffd
	v_cndmask_b32_e32 v79, v81, v111, vcc_lo
	v_dual_mul_f32 v81, v7, v109 :: v_dual_mul_f32 v110, v4, v110
	v_cmp_u_f32_e32 vcc_lo, v80, v80
	s_delay_alu instid0(VALU_DEP_2)
	v_bfe_u32 v114, v110, 16, 1
	s_wait_alu 0xfffd
	v_cndmask_b32_e32 v80, v112, v113, vcc_lo
	v_or_b32_e32 v111, 0x400000, v110
	v_cmp_u_f32_e32 vcc_lo, v110, v110
	v_bfe_u32 v112, v81, 16, 1
	v_add3_u32 v109, v114, v110, 0x7fff
	v_and_b32_e32 v76, 0xffff0000, v76
	s_delay_alu instid0(VALU_DEP_3) | instskip(SKIP_1) | instid1(VALU_DEP_3)
	v_add3_u32 v110, v112, v81, 0x7fff
	s_wait_alu 0xfffd
	v_dual_cndmask_b32 v109, v109, v111 :: v_dual_and_b32 v78, 0xffff0000, v78
	s_delay_alu instid0(VALU_DEP_3)
	v_add_f32_e32 v67, v67, v76
	v_or_b32_e32 v111, 0x400000, v81
	v_and_b32_e32 v76, 0xffff0000, v80
	v_cmp_u_f32_e32 vcc_lo, v81, v81
	v_dual_add_f32 v75, v75, v78 :: v_dual_lshlrev_b32 v78, 16, v108
	v_bfe_u32 v108, v105, 16, 1
	s_wait_alu 0xfffd
	v_cndmask_b32_e32 v80, v110, v111, vcc_lo
	s_delay_alu instid0(VALU_DEP_3) | instskip(SKIP_1) | instid1(VALU_DEP_1)
	v_add_f32_e32 v67, v75, v67
	v_mul_f32_e32 v75, v1, v78
	v_cmp_u_f32_e32 vcc_lo, v75, v75
	v_lshlrev_b32_e32 v78, 16, v107
	v_and_b32_e32 v79, 0xffff0000, v79
	v_bfe_u32 v81, v75, 16, 1
	s_delay_alu instid0(VALU_DEP_2) | instskip(NEXT) | instid1(VALU_DEP_1)
	v_dual_add_f32 v76, v76, v79 :: v_dual_and_b32 v79, 0xffff0000, v80
	v_dual_add_f32 v67, v76, v67 :: v_dual_and_b32 v80, 0xffff0000, v109
	v_mul_f32_e32 v76, v5, v78
	s_delay_alu instid0(VALU_DEP_2) | instskip(SKIP_2) | instid1(VALU_DEP_4)
	v_add_f32_e32 v78, v79, v80
	v_add3_u32 v79, v81, v75, 0x7fff
	v_or_b32_e32 v80, 0x400000, v75
	v_bfe_u32 v81, v76, 16, 1
	s_delay_alu instid0(VALU_DEP_4) | instskip(SKIP_1) | instid1(VALU_DEP_3)
	v_add_f32_e32 v67, v78, v67
	s_wait_alu 0xfffd
	v_cndmask_b32_e32 v75, v79, v80, vcc_lo
	v_or_b32_e32 v80, 0x400000, v76
	v_add3_u32 v79, v81, v76, 0x7fff
	v_cmp_u_f32_e32 vcc_lo, v76, v76
	v_bfe_u32 v81, v16, 16, 1
	v_and_b32_e32 v75, 0xffff0000, v75
	v_add_f32_e32 v24, v24, v67
	s_wait_alu 0xfffd
	v_cndmask_b32_e32 v76, v79, v80, vcc_lo
	v_add3_u32 v79, v81, v16, 0x7fff
	v_or_b32_e32 v80, 0x400000, v16
	v_bfe_u32 v81, v0, 16, 1
	v_cmp_u_f32_e32 vcc_lo, v16, v16
	v_and_b32_e32 v76, 0xffff0000, v76
	s_wait_alu 0xfffd
	v_cndmask_b32_e32 v16, v79, v80, vcc_lo
	v_add3_u32 v79, v81, v0, 0x7fff
	v_or_b32_e32 v80, 0x400000, v0
	v_mul_f32_e32 v81, v8, v106
	v_bfe_u32 v106, v15, 16, 1
	v_cmp_u_f32_e32 vcc_lo, v0, v0
	v_dual_add_f32 v75, v76, v75 :: v_dual_and_b32 v16, 0xffff0000, v16
	s_delay_alu instid0(VALU_DEP_4)
	v_or_b32_e32 v107, 0x400000, v81
	s_wait_alu 0xfffd
	v_cndmask_b32_e32 v0, v79, v80, vcc_lo
	v_add3_u32 v80, v106, v15, 0x7fff
	v_or_b32_e32 v106, 0x400000, v15
	v_cmp_u_f32_e32 vcc_lo, v15, v15
	v_bfe_u32 v79, v81, 16, 1
	s_wait_alu 0xfffd
	s_delay_alu instid0(VALU_DEP_3)
	v_dual_cndmask_b32 v15, v80, v106 :: v_dual_and_b32 v0, 0xffff0000, v0
	v_add3_u32 v80, v108, v105, 0x7fff
	v_or_b32_e32 v106, 0x400000, v105
	v_lshlrev_b32_e32 v104, 16, v104
	v_add3_u32 v79, v79, v81, 0x7fff
	v_cmp_u_f32_e32 vcc_lo, v81, v81
	v_dual_add_f32 v0, v0, v16 :: v_dual_and_b32 v15, 0xffff0000, v15
	s_delay_alu instid0(VALU_DEP_4) | instskip(SKIP_2) | instid1(VALU_DEP_2)
	v_mul_f32_e32 v104, v7, v104
	s_wait_alu 0xfffd
	v_cndmask_b32_e32 v79, v79, v107, vcc_lo
	v_bfe_u32 v81, v104, 16, 1
	v_or_b32_e32 v107, 0x400000, v104
	v_cmp_u_f32_e32 vcc_lo, v104, v104
	s_delay_alu instid0(VALU_DEP_4) | instskip(NEXT) | instid1(VALU_DEP_4)
	v_and_b32_e32 v16, 0xffff0000, v79
	v_add3_u32 v81, v81, v104, 0x7fff
	s_delay_alu instid0(VALU_DEP_2) | instskip(SKIP_1) | instid1(VALU_DEP_2)
	v_add_f32_e32 v15, v16, v15
	s_wait_alu 0xfffd
	v_dual_cndmask_b32 v76, v81, v107 :: v_dual_lshlrev_b32 v81, 16, v94
	v_cmp_u_f32_e32 vcc_lo, v105, v105
	s_wait_alu 0xfffd
	v_cndmask_b32_e32 v79, v80, v106, vcc_lo
	s_delay_alu instid0(VALU_DEP_1) | instskip(SKIP_2) | instid1(VALU_DEP_2)
	v_and_b32_e32 v79, 0xffff0000, v79
	v_dual_add_f32 v0, v0, v75 :: v_dual_and_b32 v75, 0xffff0000, v76
	v_lshlrev_b32_e32 v76, 16, v96
	v_add_f32_e32 v0, v15, v0
	s_delay_alu instid0(VALU_DEP_3) | instskip(NEXT) | instid1(VALU_DEP_3)
	v_add_f32_e32 v75, v75, v79
	v_dual_mul_f32 v15, v5, v76 :: v_dual_lshlrev_b32 v76, 16, v95
	v_lshlrev_b32_e32 v16, 16, v97
	s_delay_alu instid0(VALU_DEP_3) | instskip(NEXT) | instid1(VALU_DEP_3)
	v_add_f32_e32 v0, v75, v0
	v_bfe_u32 v67, v15, 16, 1
	s_delay_alu instid0(VALU_DEP_4) | instskip(NEXT) | instid1(VALU_DEP_4)
	v_mul_f32_e32 v75, v3, v76
	v_mul_f32_e32 v16, v1, v16
	v_or_b32_e32 v79, 0x400000, v15
	s_delay_alu instid0(VALU_DEP_4) | instskip(NEXT) | instid1(VALU_DEP_4)
	v_add3_u32 v67, v67, v15, 0x7fff
	v_bfe_u32 v80, v75, 16, 1
	s_delay_alu instid0(VALU_DEP_4) | instskip(SKIP_1) | instid1(VALU_DEP_2)
	v_bfe_u32 v78, v16, 16, 1
	v_cmp_u_f32_e32 vcc_lo, v16, v16
	v_add3_u32 v76, v78, v16, 0x7fff
	v_or_b32_e32 v78, 0x400000, v16
	s_wait_alu 0xfffd
	s_delay_alu instid0(VALU_DEP_1)
	v_cndmask_b32_e32 v16, v76, v78, vcc_lo
	v_cmp_u_f32_e32 vcc_lo, v15, v15
	v_add3_u32 v76, v80, v75, 0x7fff
	v_or_b32_e32 v78, 0x400000, v75
	s_wait_alu 0xfffd
	v_cndmask_b32_e32 v15, v67, v79, vcc_lo
	v_mul_f32_e32 v67, v6, v81
	v_lshlrev_b32_e32 v79, 16, v93
	v_cmp_u_f32_e32 vcc_lo, v75, v75
	s_delay_alu instid0(VALU_DEP_4) | instskip(NEXT) | instid1(VALU_DEP_4)
	v_and_b32_e32 v15, 0xffff0000, v15
	v_bfe_u32 v81, v67, 16, 1
	s_wait_alu 0xfffd
	v_dual_cndmask_b32 v75, v76, v78 :: v_dual_mul_f32 v76, v2, v79
	v_cmp_u_f32_e32 vcc_lo, v67, v67
	s_delay_alu instid0(VALU_DEP_3)
	v_add3_u32 v79, v81, v67, 0x7fff
	v_lshlrev_b32_e32 v81, 16, v91
	v_lshlrev_b32_e32 v80, 16, v92
	v_and_b32_e32 v16, 0xffff0000, v16
	v_and_b32_e32 v75, 0xffff0000, v75
	v_dual_add_f32 v25, v25, v0 :: v_dual_lshlrev_b32 v74, 16, v74
	s_delay_alu instid0(VALU_DEP_4) | instskip(SKIP_4) | instid1(VALU_DEP_3)
	v_mul_f32_e32 v78, v8, v80
	v_or_b32_e32 v80, 0x400000, v67
	v_add_f32_e32 v15, v15, v16
	v_bfe_u32 v91, v76, 16, 1
	s_wait_alu 0xfffd
	v_cndmask_b32_e32 v67, v79, v80, vcc_lo
	v_mul_f32_e32 v79, v4, v81
	s_delay_alu instid0(VALU_DEP_3)
	v_add3_u32 v80, v91, v76, 0x7fff
	v_or_b32_e32 v81, 0x400000, v76
	v_cmp_u_f32_e32 vcc_lo, v76, v76
	v_and_b32_e32 v67, 0xffff0000, v67
	v_bfe_u32 v92, v78, 16, 1
	v_bfe_u32 v93, v79, 16, 1
	s_wait_alu 0xfffd
	v_cndmask_b32_e32 v76, v80, v81, vcc_lo
	v_cmp_u_f32_e32 vcc_lo, v78, v78
	v_add3_u32 v91, v92, v78, 0x7fff
	v_or_b32_e32 v92, 0x400000, v78
	v_add_f32_e32 v16, v67, v75
	v_lshlrev_b32_e32 v80, 16, v90
	v_add3_u32 v81, v93, v79, 0x7fff
	v_or_b32_e32 v90, 0x400000, v79
	s_wait_alu 0xfffd
	v_dual_cndmask_b32 v78, v91, v92 :: v_dual_lshlrev_b32 v75, 16, v89
	v_cmp_u_f32_e32 vcc_lo, v79, v79
	v_dual_add_f32 v15, v16, v15 :: v_dual_mul_f32 v80, v7, v80
	s_delay_alu instid0(VALU_DEP_3)
	v_dual_mul_f32 v16, v1, v75 :: v_dual_and_b32 v67, 0xffff0000, v78
	s_wait_alu 0xfffd
	v_cndmask_b32_e32 v79, v81, v90, vcc_lo
	v_lshlrev_b32_e32 v75, 16, v88
	v_bfe_u32 v81, v80, 16, 1
	v_and_b32_e32 v76, 0xffff0000, v76
	v_cmp_u_f32_e32 vcc_lo, v80, v80
	v_bfe_u32 v88, v83, 16, 1
	v_and_b32_e32 v79, 0xffff0000, v79
	v_add3_u32 v78, v81, v80, 0x7fff
	v_or_b32_e32 v81, 0x400000, v80
	v_add_f32_e32 v67, v67, v76
	v_or_b32_e32 v80, 0x400000, v16
	s_wait_alu 0xfffd
	s_delay_alu instid0(VALU_DEP_3) | instskip(SKIP_4) | instid1(VALU_DEP_4)
	v_cndmask_b32_e32 v76, v78, v81, vcc_lo
	v_bfe_u32 v78, v16, 16, 1
	v_add_f32_e32 v15, v67, v15
	v_mul_f32_e32 v67, v5, v75
	v_cmp_u_f32_e32 vcc_lo, v16, v16
	v_add3_u32 v78, v78, v16, 0x7fff
	v_lshlrev_b32_e32 v75, 16, v87
	s_delay_alu instid0(VALU_DEP_4)
	v_bfe_u32 v81, v67, 16, 1
	v_or_b32_e32 v87, 0x400000, v84
	s_wait_alu 0xfffd
	v_cndmask_b32_e32 v16, v78, v80, vcc_lo
	v_dual_mul_f32 v75, v3, v75 :: v_dual_and_b32 v76, 0xffff0000, v76
	v_add3_u32 v78, v81, v67, 0x7fff
	v_or_b32_e32 v80, 0x400000, v67
	v_cmp_u_f32_e32 vcc_lo, v67, v67
	v_lshlrev_b32_e32 v86, 16, v86
	v_bfe_u32 v81, v75, 16, 1
	v_dual_add_f32 v76, v76, v79 :: v_dual_lshlrev_b32 v77, 16, v77
	s_wait_alu 0xfffd
	v_cndmask_b32_e32 v67, v78, v80, vcc_lo
	v_mul_f32_e32 v86, v6, v86
	v_add3_u32 v78, v81, v75, 0x7fff
	v_or_b32_e32 v80, 0x400000, v75
	v_cmp_u_f32_e32 vcc_lo, v75, v75
	v_dual_mul_f32 v82, v7, v82 :: v_dual_and_b32 v67, 0xffff0000, v67
	v_bfe_u32 v81, v86, 16, 1
	v_add_f32_e32 v15, v76, v15
	s_wait_alu 0xfffd
	v_cndmask_b32_e32 v75, v78, v80, vcc_lo
	v_or_b32_e32 v80, 0x400000, v86
	v_cmp_u_f32_e32 vcc_lo, v86, v86
	v_add3_u32 v78, v81, v86, 0x7fff
	v_bfe_u32 v81, v85, 16, 1
	v_or_b32_e32 v86, 0x400000, v85
	v_bfe_u32 v89, v82, 16, 1
	v_add_f32_e32 v26, v26, v15
	s_wait_alu 0xfffd
	v_cndmask_b32_e32 v78, v78, v80, vcc_lo
	v_bfe_u32 v80, v84, 16, 1
	v_add3_u32 v81, v81, v85, 0x7fff
	v_cmp_u_f32_e32 vcc_lo, v85, v85
	v_add3_u32 v85, v89, v82, 0x7fff
	v_and_b32_e32 v78, 0xffff0000, v78
	v_add3_u32 v80, v80, v84, 0x7fff
	s_wait_alu 0xfffd
	v_cndmask_b32_e32 v81, v81, v86, vcc_lo
	v_cmp_u_f32_e32 vcc_lo, v84, v84
	v_or_b32_e32 v86, 0x400000, v82
	v_add3_u32 v84, v88, v83, 0x7fff
	s_wait_alu 0xfffd
	v_cndmask_b32_e32 v80, v80, v87, vcc_lo
	v_cmp_u_f32_e32 vcc_lo, v82, v82
	v_and_b32_e32 v75, 0xffff0000, v75
	v_or_b32_e32 v87, 0x400000, v83
	s_wait_alu 0xfffd
	v_cndmask_b32_e32 v82, v85, v86, vcc_lo
	v_and_b32_e32 v16, 0xffff0000, v16
	v_cmp_u_f32_e32 vcc_lo, v83, v83
	s_delay_alu instid0(VALU_DEP_2) | instskip(SKIP_3) | instid1(VALU_DEP_3)
	v_dual_add_f32 v16, v67, v16 :: v_dual_add_f32 v67, v78, v75
	s_wait_alu 0xfffd
	v_dual_cndmask_b32 v80, v84, v87 :: v_dual_and_b32 v75, 0xffff0000, v80
	v_and_b32_e32 v78, 0xffff0000, v81
	v_add_f32_e32 v16, v67, v16
	s_delay_alu instid0(VALU_DEP_2) | instskip(NEXT) | instid1(VALU_DEP_1)
	v_dual_add_f32 v67, v75, v78 :: v_dual_and_b32 v78, 0xffff0000, v80
	v_dual_add_f32 v16, v67, v16 :: v_dual_and_b32 v75, 0xffff0000, v82
	s_delay_alu instid0(VALU_DEP_1) | instskip(NEXT) | instid1(VALU_DEP_1)
	v_add_f32_e32 v67, v75, v78
	v_dual_mul_f32 v75, v1, v77 :: v_dual_add_f32 v0, v67, v16
	v_mul_f32_e32 v74, v5, v74
	s_delay_alu instid0(VALU_DEP_2)
	v_bfe_u32 v16, v75, 16, 1
	v_lshlrev_b32_e32 v67, 16, v73
	v_cmp_u_f32_e32 vcc_lo, v75, v75
	v_add_f32_e32 v27, v27, v0
	v_bfe_u32 v15, v74, 16, 1
	v_add3_u32 v0, v16, v75, 0x7fff
	v_or_b32_e32 v16, 0x400000, v75
	v_mul_f32_e32 v67, v3, v67
	v_or_b32_e32 v73, 0x400000, v74
	v_add3_u32 v15, v15, v74, 0x7fff
	s_wait_alu 0xfffd
	v_cndmask_b32_e32 v0, v0, v16, vcc_lo
	v_bfe_u32 v16, v67, 16, 1
	v_cmp_u_f32_e32 vcc_lo, v74, v74
	s_delay_alu instid0(VALU_DEP_2)
	v_add3_u32 v16, v16, v67, 0x7fff
	s_wait_alu 0xfffd
	v_cndmask_b32_e32 v15, v15, v73, vcc_lo
	v_or_b32_e32 v73, 0x400000, v67
	v_cmp_u_f32_e32 vcc_lo, v67, v67
	v_mul_f32_e32 v67, v8, v70
	v_bfe_u32 v74, v72, 16, 1
	v_and_b32_e32 v15, 0xffff0000, v15
	v_and_b32_e32 v0, 0xffff0000, v0
	s_wait_alu 0xfffd
	v_cndmask_b32_e32 v16, v16, v73, vcc_lo
	v_or_b32_e32 v73, 0x400000, v72
	v_add3_u32 v70, v74, v72, 0x7fff
	v_bfe_u32 v74, v71, 16, 1
	v_cmp_u_f32_e32 vcc_lo, v72, v72
	v_bfe_u32 v75, v67, 16, 1
	s_delay_alu instid0(VALU_DEP_3)
	v_add3_u32 v72, v74, v71, 0x7fff
	s_wait_alu 0xfffd
	v_cndmask_b32_e32 v70, v70, v73, vcc_lo
	v_or_b32_e32 v73, 0x400000, v71
	v_cmp_u_f32_e32 vcc_lo, v71, v71
	v_lshlrev_b32_e32 v68, 16, v68
	v_add3_u32 v74, v75, v67, 0x7fff
	v_or_b32_e32 v75, 0x400000, v67
	s_wait_alu 0xfffd
	v_cndmask_b32_e32 v71, v72, v73, vcc_lo
	v_dual_mul_f32 v68, v7, v68 :: v_dual_lshlrev_b32 v69, 16, v69
	v_cmp_u_f32_e32 vcc_lo, v67, v67
	v_dual_add_f32 v0, v15, v0 :: v_dual_lshlrev_b32 v65, 16, v65
	s_delay_alu instid0(VALU_DEP_3)
	v_dual_mul_f32 v69, v4, v69 :: v_dual_lshlrev_b32 v66, 16, v66
	s_wait_alu 0xfffd
	v_cndmask_b32_e32 v67, v74, v75, vcc_lo
	v_bfe_u32 v74, v68, 16, 1
	v_mul_f32_e32 v65, v5, v65
	v_bfe_u32 v76, v69, 16, 1
	v_or_b32_e32 v73, 0x400000, v69
	v_and_b32_e32 v16, 0xffff0000, v16
	v_cmp_u_f32_e32 vcc_lo, v69, v69
	v_mul_f32_e32 v7, v7, v14
	v_add3_u32 v72, v76, v69, 0x7fff
	s_wait_alu 0xfffd
	s_delay_alu instid0(VALU_DEP_1) | instskip(SKIP_2) | instid1(VALU_DEP_3)
	v_dual_cndmask_b32 v69, v72, v73 :: v_dual_and_b32 v70, 0xffff0000, v70
	v_add3_u32 v72, v74, v68, 0x7fff
	v_or_b32_e32 v73, 0x400000, v68
	v_dual_add_f32 v15, v70, v16 :: v_dual_and_b32 v16, 0xffff0000, v67
	v_cmp_u_f32_e32 vcc_lo, v68, v68
	s_delay_alu instid0(VALU_DEP_2) | instskip(SKIP_2) | instid1(VALU_DEP_2)
	v_dual_add_f32 v0, v15, v0 :: v_dual_and_b32 v67, 0xffff0000, v71
	s_wait_alu 0xfffd
	v_dual_mul_f32 v15, v1, v66 :: v_dual_cndmask_b32 v68, v72, v73
	v_dual_add_f32 v16, v16, v67 :: v_dual_and_b32 v67, 0xffff0000, v69
	v_or_b32_e32 v69, 0x400000, v65
	s_delay_alu instid0(VALU_DEP_3) | instskip(NEXT) | instid1(VALU_DEP_4)
	v_cmp_u_f32_e32 vcc_lo, v15, v15
	v_and_b32_e32 v66, 0xffff0000, v68
	v_bfe_u32 v68, v15, 16, 1
	v_add_f32_e32 v0, v16, v0
	v_bfe_u32 v16, v65, 16, 1
	s_delay_alu instid0(VALU_DEP_4) | instskip(NEXT) | instid1(VALU_DEP_4)
	v_add_f32_e32 v66, v66, v67
	v_add3_u32 v67, v68, v15, 0x7fff
	v_or_b32_e32 v68, 0x400000, v15
	s_delay_alu instid0(VALU_DEP_4) | instskip(SKIP_1) | instid1(VALU_DEP_2)
	v_add3_u32 v16, v16, v65, 0x7fff
	s_wait_alu 0xfffd
	v_cndmask_b32_e32 v15, v67, v68, vcc_lo
	v_cmp_u_f32_e32 vcc_lo, v65, v65
	v_bfe_u32 v67, v64, 16, 1
	v_bfe_u32 v68, v63, 16, 1
	v_add_f32_e32 v0, v66, v0
	s_wait_alu 0xfffd
	v_cndmask_b32_e32 v16, v16, v69, vcc_lo
	v_add3_u32 v65, v67, v64, 0x7fff
	v_or_b32_e32 v67, 0x400000, v64
	v_cmp_u_f32_e32 vcc_lo, v64, v64
	v_bfe_u32 v69, v61, 16, 1
	v_and_b32_e32 v16, 0xffff0000, v16
	v_add_f32_e32 v28, v28, v0
	s_wait_alu 0xfffd
	v_cndmask_b32_e32 v64, v65, v67, vcc_lo
	v_add3_u32 v65, v68, v63, 0x7fff
	v_or_b32_e32 v67, 0x400000, v63
	v_bfe_u32 v68, v62, 16, 1
	v_cmp_u_f32_e32 vcc_lo, v63, v63
	s_wait_alu 0xfffd
	s_delay_alu instid0(VALU_DEP_3) | instskip(NEXT) | instid1(VALU_DEP_3)
	v_cndmask_b32_e32 v63, v65, v67, vcc_lo
	v_add3_u32 v65, v68, v62, 0x7fff
	v_or_b32_e32 v67, 0x400000, v62
	v_cmp_u_f32_e32 vcc_lo, v62, v62
	v_add3_u32 v68, v69, v61, 0x7fff
	v_or_b32_e32 v69, 0x400000, v61
	v_and_b32_e32 v63, 0xffff0000, v63
	s_wait_alu 0xfffd
	v_cndmask_b32_e32 v62, v65, v67, vcc_lo
	v_cmp_u_f32_e32 vcc_lo, v61, v61
	s_wait_alu 0xfffd
	s_delay_alu instid0(VALU_DEP_2) | instskip(SKIP_1) | instid1(VALU_DEP_2)
	v_dual_cndmask_b32 v61, v68, v69 :: v_dual_and_b32 v62, 0xffff0000, v62
	v_bfe_u32 v68, v59, 16, 1
	v_and_b32_e32 v61, 0xffff0000, v61
	v_and_b32_e32 v64, 0xffff0000, v64
	v_and_b32_e32 v15, 0xffff0000, v15
	s_delay_alu instid0(VALU_DEP_1) | instskip(NEXT) | instid1(VALU_DEP_1)
	v_dual_add_f32 v15, v16, v15 :: v_dual_lshlrev_b32 v60, 16, v60
	v_mul_f32_e32 v60, v4, v60
	s_delay_alu instid0(VALU_DEP_4) | instskip(NEXT) | instid1(VALU_DEP_2)
	v_add_f32_e32 v16, v63, v64
	v_bfe_u32 v70, v60, 16, 1
	v_or_b32_e32 v67, 0x400000, v60
	v_cmp_u_f32_e32 vcc_lo, v60, v60
	s_delay_alu instid0(VALU_DEP_4) | instskip(NEXT) | instid1(VALU_DEP_4)
	v_dual_add_f32 v15, v16, v15 :: v_dual_lshlrev_b32 v16, 16, v58
	v_add3_u32 v65, v70, v60, 0x7fff
	s_wait_alu 0xfffd
	s_delay_alu instid0(VALU_DEP_1) | instskip(SKIP_4) | instid1(VALU_DEP_2)
	v_cndmask_b32_e32 v60, v65, v67, vcc_lo
	v_add3_u32 v65, v68, v59, 0x7fff
	v_or_b32_e32 v67, 0x400000, v59
	v_cmp_u_f32_e32 vcc_lo, v59, v59
	s_wait_alu 0xfffd
	v_dual_cndmask_b32 v59, v65, v67 :: v_dual_and_b32 v60, 0xffff0000, v60
	s_delay_alu instid0(VALU_DEP_1) | instskip(NEXT) | instid1(VALU_DEP_1)
	v_dual_add_f32 v58, v61, v62 :: v_dual_and_b32 v59, 0xffff0000, v59
	v_dual_add_f32 v15, v58, v15 :: v_dual_mul_f32 v16, v1, v16
	s_delay_alu instid0(VALU_DEP_2) | instskip(SKIP_1) | instid1(VALU_DEP_3)
	v_add_f32_e32 v58, v59, v60
	v_bfe_u32 v60, v57, 16, 1
	v_bfe_u32 v59, v16, 16, 1
	v_cmp_u_f32_e32 vcc_lo, v16, v16
	s_delay_alu instid0(VALU_DEP_4) | instskip(SKIP_1) | instid1(VALU_DEP_4)
	v_add_f32_e32 v0, v58, v15
	v_or_b32_e32 v58, 0x400000, v16
	v_add3_u32 v15, v59, v16, 0x7fff
	v_add3_u32 v59, v60, v57, 0x7fff
	v_or_b32_e32 v60, 0x400000, v57
	s_wait_alu 0xfffd
	s_delay_alu instid0(VALU_DEP_3) | instskip(SKIP_1) | instid1(VALU_DEP_2)
	v_cndmask_b32_e32 v15, v15, v58, vcc_lo
	v_cmp_u_f32_e32 vcc_lo, v57, v57
	v_dual_mul_f32 v54, v2, v54 :: v_dual_and_b32 v15, 0xffff0000, v15
	s_wait_alu 0xfffd
	v_cndmask_b32_e32 v57, v59, v60, vcc_lo
	v_mul_f32_e32 v56, v3, v56
	v_bfe_u32 v59, v55, 16, 1
	v_bfe_u32 v60, v53, 16, 1
	v_add_f32_e32 v29, v29, v0
	v_and_b32_e32 v57, 0xffff0000, v57
	v_bfe_u32 v16, v56, 16, 1
	v_or_b32_e32 v58, 0x400000, v56
	v_cmp_u_f32_e32 vcc_lo, v56, v56
	s_delay_alu instid0(VALU_DEP_4) | instskip(NEXT) | instid1(VALU_DEP_4)
	v_add_f32_e32 v15, v57, v15
	v_add3_u32 v16, v16, v56, 0x7fff
	v_add3_u32 v56, v59, v55, 0x7fff
	v_bfe_u32 v59, v54, 16, 1
	s_wait_alu 0xfffd
	s_delay_alu instid0(VALU_DEP_3) | instskip(SKIP_3) | instid1(VALU_DEP_2)
	v_cndmask_b32_e32 v16, v16, v58, vcc_lo
	v_or_b32_e32 v58, 0x400000, v55
	v_cmp_u_f32_e32 vcc_lo, v55, v55
	s_wait_alu 0xfffd
	v_dual_cndmask_b32 v55, v56, v58 :: v_dual_lshlrev_b32 v52, 16, v52
	v_add3_u32 v56, v59, v54, 0x7fff
	s_delay_alu instid0(VALU_DEP_2)
	v_mul_f32_e32 v52, v4, v52
	v_or_b32_e32 v58, 0x400000, v54
	v_cmp_u_f32_e32 vcc_lo, v54, v54
	v_add3_u32 v59, v60, v53, 0x7fff
	v_or_b32_e32 v60, 0x400000, v53
	v_bfe_u32 v61, v52, 16, 1
	s_wait_alu 0xfffd
	v_dual_cndmask_b32 v54, v56, v58 :: v_dual_and_b32 v55, 0xffff0000, v55
	v_cmp_u_f32_e32 vcc_lo, v53, v53
	v_or_b32_e32 v58, 0x400000, v52
	v_add3_u32 v56, v61, v52, 0x7fff
	s_wait_alu 0xfffd
	v_cndmask_b32_e32 v53, v59, v60, vcc_lo
	v_bfe_u32 v59, v51, 16, 1
	v_cmp_u_f32_e32 vcc_lo, v52, v52
	s_wait_alu 0xfffd
	s_delay_alu instid0(VALU_DEP_3) | instskip(NEXT) | instid1(VALU_DEP_3)
	v_dual_cndmask_b32 v52, v56, v58 :: v_dual_and_b32 v53, 0xffff0000, v53
	v_add3_u32 v56, v59, v51, 0x7fff
	v_or_b32_e32 v58, 0x400000, v51
	v_cmp_u_f32_e32 vcc_lo, v51, v51
	v_and_b32_e32 v16, 0xffff0000, v16
	s_wait_alu 0xfffd
	s_delay_alu instid0(VALU_DEP_3) | instskip(NEXT) | instid1(VALU_DEP_2)
	v_dual_cndmask_b32 v51, v56, v58 :: v_dual_and_b32 v52, 0xffff0000, v52
	v_add_f32_e32 v16, v55, v16
	v_bfe_u32 v55, v48, 16, 1
	s_delay_alu instid0(VALU_DEP_3) | instskip(NEXT) | instid1(VALU_DEP_3)
	v_and_b32_e32 v51, 0xffff0000, v51
	v_dual_add_f32 v15, v16, v15 :: v_dual_and_b32 v54, 0xffff0000, v54
	s_delay_alu instid0(VALU_DEP_1) | instskip(SKIP_2) | instid1(VALU_DEP_3)
	v_dual_add_f32 v51, v51, v52 :: v_dual_add_f32 v16, v53, v54
	v_mul_f32_e32 v50, v1, v50
	v_or_b32_e32 v54, 0x400000, v49
	v_add_f32_e32 v15, v16, v15
	s_delay_alu instid0(VALU_DEP_3) | instskip(SKIP_2) | instid1(VALU_DEP_3)
	v_bfe_u32 v53, v50, 16, 1
	v_bfe_u32 v16, v49, 16, 1
	v_cmp_u_f32_e32 vcc_lo, v50, v50
	v_add3_u32 v52, v53, v50, 0x7fff
	v_or_b32_e32 v53, 0x400000, v50
	s_delay_alu instid0(VALU_DEP_4) | instskip(SKIP_1) | instid1(VALU_DEP_2)
	v_add3_u32 v16, v16, v49, 0x7fff
	s_wait_alu 0xfffd
	v_cndmask_b32_e32 v50, v52, v53, vcc_lo
	v_cmp_u_f32_e32 vcc_lo, v49, v49
	v_add3_u32 v49, v55, v48, 0x7fff
	v_or_b32_e32 v52, 0x400000, v48
	v_bfe_u32 v53, v47, 16, 1
	s_wait_alu 0xfffd
	v_cndmask_b32_e32 v16, v16, v54, vcc_lo
	v_cmp_u_f32_e32 vcc_lo, v48, v48
	v_bfe_u32 v54, v45, 16, 1
	s_wait_alu 0xfffd
	v_cndmask_b32_e32 v48, v49, v52, vcc_lo
	v_add3_u32 v49, v53, v47, 0x7fff
	v_or_b32_e32 v52, 0x400000, v47
	v_cmp_u_f32_e32 vcc_lo, v47, v47
	s_delay_alu instid0(VALU_DEP_4) | instskip(SKIP_1) | instid1(VALU_DEP_3)
	v_and_b32_e32 v48, 0xffff0000, v48
	s_wait_alu 0xfffd
	v_dual_cndmask_b32 v47, v49, v52 :: v_dual_mul_f32 v46, v2, v46
	s_delay_alu instid0(VALU_DEP_1) | instskip(NEXT) | instid1(VALU_DEP_2)
	v_and_b32_e32 v47, 0xffff0000, v47
	v_bfe_u32 v53, v46, 16, 1
	v_or_b32_e32 v52, 0x400000, v46
	v_cmp_u_f32_e32 vcc_lo, v46, v46
	s_delay_alu instid0(VALU_DEP_4) | instskip(NEXT) | instid1(VALU_DEP_4)
	v_dual_add_f32 v47, v47, v48 :: v_dual_and_b32 v50, 0xffff0000, v50
	v_add3_u32 v49, v53, v46, 0x7fff
	v_add3_u32 v53, v54, v45, 0x7fff
	v_or_b32_e32 v54, 0x400000, v45
	s_wait_alu 0xfffd
	s_delay_alu instid0(VALU_DEP_3) | instskip(SKIP_3) | instid1(VALU_DEP_1)
	v_cndmask_b32_e32 v46, v49, v52, vcc_lo
	v_cmp_u_f32_e32 vcc_lo, v45, v45
	s_wait_alu 0xfffd
	v_dual_cndmask_b32 v45, v53, v54 :: v_dual_lshlrev_b32 v44, 16, v44
	v_dual_mul_f32 v44, v4, v44 :: v_dual_and_b32 v45, 0xffff0000, v45
	s_delay_alu instid0(VALU_DEP_1) | instskip(SKIP_2) | instid1(VALU_DEP_3)
	v_bfe_u32 v55, v44, 16, 1
	v_or_b32_e32 v52, 0x400000, v44
	v_cmp_u_f32_e32 vcc_lo, v44, v44
	v_add3_u32 v49, v55, v44, 0x7fff
	s_wait_alu 0xfffd
	s_delay_alu instid0(VALU_DEP_1) | instskip(SKIP_2) | instid1(VALU_DEP_2)
	v_cndmask_b32_e32 v44, v49, v52, vcc_lo
	v_bfe_u32 v49, v43, 16, 1
	v_cmp_u_f32_e32 vcc_lo, v43, v43
	v_add3_u32 v48, v49, v43, 0x7fff
	v_or_b32_e32 v49, 0x400000, v43
	s_wait_alu 0xfffd
	s_delay_alu instid0(VALU_DEP_1) | instskip(SKIP_3) | instid1(VALU_DEP_4)
	v_dual_cndmask_b32 v43, v48, v49 :: v_dual_and_b32 v46, 0xffff0000, v46
	v_and_b32_e32 v16, 0xffff0000, v16
	v_cmp_u_f32_e32 vcc_lo, v42, v42
	v_or_b32_e32 v48, 0x400000, v40
	v_and_b32_e32 v43, 0xffff0000, v43
	v_add_f32_e32 v45, v45, v46
	v_add_f32_e32 v16, v16, v50
	v_bfe_u32 v46, v42, 16, 1
	s_delay_alu instid0(VALU_DEP_2) | instskip(SKIP_1) | instid1(VALU_DEP_2)
	v_add_f32_e32 v16, v47, v16
	v_bfe_u32 v47, v41, 16, 1
	v_add_f32_e32 v16, v45, v16
	s_delay_alu instid0(VALU_DEP_4) | instskip(SKIP_2) | instid1(VALU_DEP_1)
	v_add3_u32 v45, v46, v42, 0x7fff
	v_or_b32_e32 v46, 0x400000, v42
	s_wait_alu 0xfffd
	v_cndmask_b32_e32 v42, v45, v46, vcc_lo
	v_bfe_u32 v45, v40, 16, 1
	v_add3_u32 v46, v47, v41, 0x7fff
	v_or_b32_e32 v47, 0x400000, v41
	v_cmp_u_f32_e32 vcc_lo, v41, v41
	s_delay_alu instid0(VALU_DEP_4) | instskip(SKIP_1) | instid1(VALU_DEP_3)
	v_add3_u32 v45, v45, v40, 0x7fff
	s_wait_alu 0xfffd
	v_cndmask_b32_e32 v41, v46, v47, vcc_lo
	v_bfe_u32 v46, v39, 16, 1
	v_cmp_u_f32_e32 vcc_lo, v40, v40
	v_or_b32_e32 v47, 0x400000, v39
	s_delay_alu instid0(VALU_DEP_4) | instskip(NEXT) | instid1(VALU_DEP_4)
	v_and_b32_e32 v41, 0xffff0000, v41
	v_add3_u32 v46, v46, v39, 0x7fff
	s_wait_alu 0xfffd
	v_cndmask_b32_e32 v40, v45, v48, vcc_lo
	v_cmp_u_f32_e32 vcc_lo, v39, v39
	v_and_b32_e32 v42, 0xffff0000, v42
	s_wait_alu 0xfffd
	v_dual_cndmask_b32 v39, v46, v47 :: v_dual_lshlrev_b32 v36, 16, v36
	v_bfe_u32 v46, v37, 16, 1
	s_delay_alu instid0(VALU_DEP_3) | instskip(NEXT) | instid1(VALU_DEP_3)
	v_add_f32_e32 v41, v41, v42
	v_and_b32_e32 v39, 0xffff0000, v39
	v_and_b32_e32 v40, 0xffff0000, v40
	s_delay_alu instid0(VALU_DEP_1) | instskip(NEXT) | instid1(VALU_DEP_1)
	v_dual_add_f32 v39, v39, v40 :: v_dual_lshlrev_b32 v38, 16, v38
	v_mul_f32_e32 v38, v2, v38
	s_delay_alu instid0(VALU_DEP_2) | instskip(NEXT) | instid1(VALU_DEP_2)
	v_dual_add_f32 v39, v39, v41 :: v_dual_lshlrev_b32 v40, 16, v102
	v_bfe_u32 v45, v38, 16, 1
	v_or_b32_e32 v48, 0x400000, v38
	v_cmp_u_f32_e32 vcc_lo, v38, v38
	s_delay_alu instid0(VALU_DEP_4) | instskip(NEXT) | instid1(VALU_DEP_4)
	v_mul_f32_e32 v1, v1, v40
	v_add3_u32 v45, v45, v38, 0x7fff
	s_delay_alu instid0(VALU_DEP_2) | instskip(SKIP_1) | instid1(VALU_DEP_2)
	v_bfe_u32 v42, v1, 16, 1
	s_wait_alu 0xfffd
	v_cndmask_b32_e32 v38, v45, v48, vcc_lo
	v_add3_u32 v45, v46, v37, 0x7fff
	v_or_b32_e32 v46, 0x400000, v37
	v_cmp_u_f32_e32 vcc_lo, v37, v37
	v_and_b32_e32 v44, 0xffff0000, v44
	v_and_b32_e32 v38, 0xffff0000, v38
	s_wait_alu 0xfffd
	v_dual_cndmask_b32 v37, v45, v46 :: v_dual_mul_f32 v36, v4, v36
	v_bfe_u32 v45, v35, 16, 1
	v_or_b32_e32 v46, 0x400000, v35
	s_delay_alu instid0(VALU_DEP_3) | instskip(NEXT) | instid1(VALU_DEP_4)
	v_and_b32_e32 v37, 0xffff0000, v37
	v_bfe_u32 v47, v36, 16, 1
	v_or_b32_e32 v48, 0x400000, v36
	v_cmp_u_f32_e32 vcc_lo, v36, v36
	v_add3_u32 v45, v45, v35, 0x7fff
	v_dual_add_f32 v37, v37, v38 :: v_dual_lshlrev_b32 v38, 16, v101
	v_add3_u32 v47, v47, v36, 0x7fff
	s_delay_alu instid0(VALU_DEP_2) | instskip(SKIP_1) | instid1(VALU_DEP_2)
	v_mul_f32_e32 v6, v6, v38
	s_wait_alu 0xfffd
	v_dual_cndmask_b32 v36, v47, v48 :: v_dual_lshlrev_b32 v47, 16, v103
	v_cmp_u_f32_e32 vcc_lo, v35, v35
	s_delay_alu instid0(VALU_DEP_2) | instskip(SKIP_2) | instid1(VALU_DEP_2)
	v_mul_f32_e32 v5, v5, v47
	s_wait_alu 0xfffd
	v_cndmask_b32_e32 v35, v45, v46, vcc_lo
	v_bfe_u32 v41, v5, 16, 1
	s_delay_alu instid0(VALU_DEP_2) | instskip(SKIP_1) | instid1(VALU_DEP_3)
	v_and_b32_e32 v35, 0xffff0000, v35
	v_cmp_u_f32_e32 vcc_lo, v5, v5
	v_add3_u32 v40, v41, v5, 0x7fff
	v_or_b32_e32 v41, 0x400000, v5
	s_wait_alu 0xfffd
	s_delay_alu instid0(VALU_DEP_1) | instskip(SKIP_3) | instid1(VALU_DEP_4)
	v_dual_cndmask_b32 v5, v40, v41 :: v_dual_lshlrev_b32 v38, 16, v100
	v_add3_u32 v40, v42, v1, 0x7fff
	v_or_b32_e32 v41, 0x400000, v1
	v_bfe_u32 v42, v6, 16, 1
	v_dual_mul_f32 v3, v3, v38 :: v_dual_lshlrev_b32 v38, 16, v99
	v_cmp_u_f32_e32 vcc_lo, v1, v1
	s_delay_alu instid0(VALU_DEP_2)
	v_mul_f32_e32 v8, v8, v38
	s_wait_alu 0xfffd
	v_dual_cndmask_b32 v1, v40, v41 :: v_dual_lshlrev_b32 v38, 16, v98
	v_add3_u32 v40, v42, v6, 0x7fff
	v_or_b32_e32 v41, 0x400000, v6
	v_bfe_u32 v42, v3, 16, 1
	v_cmp_u_f32_e32 vcc_lo, v6, v6
	v_and_b32_e32 v1, 0xffff0000, v1
	s_wait_alu 0xfffd
	v_cndmask_b32_e32 v6, v40, v41, vcc_lo
	v_add3_u32 v40, v42, v3, 0x7fff
	v_or_b32_e32 v41, 0x400000, v3
	v_bfe_u32 v42, v8, 16, 1
	v_cmp_u_f32_e32 vcc_lo, v3, v3
	s_wait_alu 0xfffd
	s_delay_alu instid0(VALU_DEP_3) | instskip(NEXT) | instid1(VALU_DEP_1)
	v_dual_mul_f32 v2, v2, v38 :: v_dual_cndmask_b32 v3, v40, v41
	v_bfe_u32 v38, v2, 16, 1
	v_add3_u32 v40, v42, v8, 0x7fff
	v_mul_f32_e32 v4, v4, v13
	v_or_b32_e32 v13, 0x400000, v8
	v_cmp_u_f32_e32 vcc_lo, v8, v8
	v_add3_u32 v14, v38, v2, 0x7fff
	v_or_b32_e32 v38, 0x400000, v2
	v_and_b32_e32 v3, 0xffff0000, v3
	v_bfe_u32 v42, v4, 16, 1
	s_wait_alu 0xfffd
	v_cndmask_b32_e32 v8, v40, v13, vcc_lo
	v_cmp_u_f32_e32 vcc_lo, v2, v2
	v_bfe_u32 v41, v7, 16, 1
	v_or_b32_e32 v40, 0x400000, v7
	s_wait_alu 0xfffd
	v_cndmask_b32_e32 v2, v14, v38, vcc_lo
	v_add3_u32 v14, v42, v4, 0x7fff
	v_or_b32_e32 v38, 0x400000, v4
	v_cmp_u_f32_e32 vcc_lo, v4, v4
	v_and_b32_e32 v5, 0xffff0000, v5
	v_add3_u32 v13, v41, v7, 0x7fff
	v_and_b32_e32 v2, 0xffff0000, v2
	s_wait_alu 0xfffd
	s_delay_alu instid0(VALU_DEP_3)
	v_dual_cndmask_b32 v4, v14, v38 :: v_dual_add_f32 v1, v5, v1
	v_and_b32_e32 v6, 0xffff0000, v6
	v_cmp_u_f32_e32 vcc_lo, v7, v7
	v_and_b32_e32 v7, 0xffff0000, v36
	v_and_b32_e32 v5, 0xffff0000, v8
	s_wait_alu 0xfffd
	v_dual_add_f32 v3, v6, v3 :: v_dual_cndmask_b32 v6, v13, v40
	s_delay_alu instid0(VALU_DEP_3) | instskip(SKIP_1) | instid1(VALU_DEP_3)
	v_add_f32_e32 v7, v35, v7
	v_cmp_le_i32_e32 vcc_lo, s17, v17
	v_add_f32_e32 v1, v3, v1
	v_and_b32_e32 v3, 0xffff0000, v4
	v_and_b32_e32 v4, 0xffff0000, v6
	v_add_f32_e32 v6, v37, v39
	v_dual_add_f32 v2, v5, v2 :: v_dual_add_f32 v5, v43, v44
	s_or_b32 s6, vcc_lo, s6
	s_delay_alu instid0(VALU_DEP_1) | instskip(SKIP_1) | instid1(VALU_DEP_3)
	v_dual_add_f32 v0, v7, v6 :: v_dual_add_f32 v1, v2, v1
	v_add_f32_e32 v2, v4, v3
	v_dual_add_f32 v3, v51, v15 :: v_dual_add_f32 v4, v5, v16
	s_delay_alu instid0(VALU_DEP_2) | instskip(NEXT) | instid1(VALU_DEP_2)
	v_add_f32_e32 v1, v2, v1
	v_dual_add_f32 v31, v31, v3 :: v_dual_add_f32 v32, v32, v4
	s_delay_alu instid0(VALU_DEP_2)
	v_dual_add_f32 v30, v30, v0 :: v_dual_add_f32 v21, v21, v1
	s_wait_alu 0xfffe
	s_and_not1_b32 exec_lo, exec_lo, s6
	s_cbranch_execz .LBB361_53
.LBB361_29:                             ; =>This Inner Loop Header: Depth=1
	global_load_b32 v0, v[11:12], off
	s_wait_alu 0xfffe
	v_cmp_eq_u32_e32 vcc_lo, s30, v17
	v_add_nc_u32_e32 v81, -1, v33
	s_wait_loadcnt 0x0
	v_mad_co_i64_i32 v[13:14], null, v0, s3, v[9:10]
	global_load_b64 v[15:16], v[13:14], off
	ds_load_2addr_b64 v[5:8], v34 offset1:1
	ds_load_2addr_b64 v[1:4], v34 offset0:2 offset1:3
	s_wait_loadcnt 0x0
	v_and_b32_e32 v37, 0xff, v16
	v_bfe_u32 v35, v15, 8, 8
	v_bfe_u32 v36, v15, 16, 8
	;; [unrolled: 1-line block ×4, first 2 shown]
	v_cvt_f32_fp8_e32 v37, v37
	v_and_b32_e32 v0, 0xff, v15
	v_cvt_f32_fp8_e32 v35, v35
	v_add_nc_u32_e32 v80, -6, v33
	v_lshrrev_b32_e32 v15, 24, v15
	v_mul_f32_e32 v37, s2, v37
	v_cvt_f32_fp8_e32 v0, v0
	v_add_nc_u32_e32 v67, -7, v33
	v_cvt_f32_fp8_e32 v36, v36
	v_mul_f32_e32 v35, s2, v35
	s_delay_alu instid0(VALU_DEP_4) | instskip(SKIP_1) | instid1(VALU_DEP_4)
	v_dual_mul_f32 v0, s2, v0 :: v_dual_add_nc_u32 v79, -5, v33
	v_cvt_f32_fp8_e32 v15, v15
	v_mul_f32_e32 v36, s2, v36
	s_delay_alu instid0(VALU_DEP_4)
	v_bfe_u32 v42, v35, 16, 1
	v_add_nc_u32_e32 v78, -4, v33
	v_bfe_u32 v40, v0, 16, 1
	v_or_b32_e32 v41, 0x400000, v0
	v_cmp_u_f32_e64 s0, v0, v0
	v_mul_f32_e32 v15, s2, v15
	v_or_b32_e32 v43, 0x400000, v35
	v_add3_u32 v40, v40, v0, 0x7fff
	v_bfe_u32 v44, v36, 16, 1
	v_add3_u32 v42, v42, v35, 0x7fff
	v_cvt_f32_fp8_e32 v38, v38
	v_or_b32_e32 v45, 0x400000, v36
	s_wait_alu 0xf1ff
	v_cndmask_b32_e64 v0, v40, v41, s0
	v_cmp_u_f32_e64 s0, v35, v35
	v_bfe_u32 v46, v15, 16, 1
	v_add3_u32 v44, v44, v36, 0x7fff
	v_dual_mul_f32 v38, s2, v38 :: v_dual_add_nc_u32 v75, -2, v33
	s_wait_alu 0xf1ff
	v_cndmask_b32_e64 v35, v42, v43, s0
	v_cmp_u_f32_e64 s0, v36, v36
	v_lshrrev_b32_e32 v16, 24, v16
	v_cvt_f32_fp8_e32 v39, v39
	v_or_b32_e32 v47, 0x400000, v15
	v_bfe_u32 v48, v37, 16, 1
	v_add3_u32 v46, v46, v15, 0x7fff
	s_wait_alu 0xf1ff
	v_cndmask_b32_e64 v36, v44, v45, s0
	v_cmp_u_f32_e64 s0, v15, v15
	v_dual_mul_f32 v39, s2, v39 :: v_dual_add_nc_u32 v76, -3, v33
	v_cvt_f32_fp8_e32 v16, v16
	v_or_b32_e32 v49, 0x400000, v37
	v_bfe_u32 v50, v38, 16, 1
	v_add3_u32 v48, v48, v37, 0x7fff
	s_wait_alu 0xf1ff
	v_cndmask_b32_e64 v15, v46, v47, s0
	v_cmp_u_f32_e64 s0, v37, v37
	v_mul_f32_e32 v16, s2, v16
	v_or_b32_e32 v51, 0x400000, v38
	v_bfe_u32 v52, v39, 16, 1
	v_add3_u32 v50, v50, v38, 0x7fff
	s_wait_alu 0xf1ff
	v_cndmask_b32_e64 v37, v48, v49, s0
	v_cmp_u_f32_e64 s0, v38, v38
	v_or_b32_e32 v53, 0x400000, v39
	v_bfe_u32 v54, v16, 16, 1
	v_add3_u32 v52, v52, v39, 0x7fff
	v_or_b32_e32 v55, 0x400000, v16
	s_wait_alu 0xf1ff
	v_cndmask_b32_e64 v38, v50, v51, s0
	v_cmp_u_f32_e64 s0, v39, v39
	v_add3_u32 v54, v54, v16, 0x7fff
	v_lshrrev_b32_e32 v41, 16, v0
	v_lshrrev_b32_e32 v42, 16, v35
	;; [unrolled: 1-line block ×3, first 2 shown]
	s_wait_alu 0xf1ff
	v_cndmask_b32_e64 v43, v52, v53, s0
	v_cmp_u_f32_e64 s0, v16, v16
	v_lshrrev_b32_e32 v40, 16, v15
	v_lshrrev_b32_e32 v37, 16, v37
	v_lshrrev_b32_e32 v38, 16, v38
	v_lshrrev_b32_e32 v35, 16, v43
	s_wait_alu 0xf1ff
	v_cndmask_b32_e64 v16, v54, v55, s0
	s_delay_alu instid0(VALU_DEP_1)
	v_lshrrev_b32_e32 v36, 16, v16
	s_and_saveexec_b32 s7, vcc_lo
	s_cbranch_execz .LBB361_31
; %bb.30:                               ;   in Loop: Header=BB361_29 Depth=1
	v_cmp_gt_i32_e64 s0, s27, v67
	s_wait_alu 0xf1ff
	s_delay_alu instid0(VALU_DEP_1) | instskip(SKIP_2) | instid1(VALU_DEP_1)
	v_cndmask_b32_e64 v41, 0, v41, s0
	v_cmp_gt_i32_e64 s0, s27, v80
	s_wait_alu 0xf1ff
	v_cndmask_b32_e64 v42, 0, v42, s0
	v_cmp_gt_i32_e64 s0, s27, v79
	s_wait_alu 0xf1ff
	s_delay_alu instid0(VALU_DEP_1) | instskip(SKIP_2) | instid1(VALU_DEP_1)
	v_cndmask_b32_e64 v39, 0, v39, s0
	v_cmp_gt_i32_e64 s0, s27, v78
	s_wait_alu 0xf1ff
	v_cndmask_b32_e64 v40, 0, v40, s0
	;; [unrolled: 7-line block ×4, first 2 shown]
.LBB361_31:                             ;   in Loop: Header=BB361_29 Depth=1
	s_wait_alu 0xfffe
	s_or_b32 exec_lo, exec_lo, s7
	global_load_b64 v[15:16], v[13:14], off offset:256
	s_wait_loadcnt 0x0
	v_bfe_u32 v46, v16, 8, 8
	v_bfe_u32 v43, v15, 8, 8
	;; [unrolled: 1-line block ×4, first 2 shown]
	s_delay_alu instid0(VALU_DEP_4)
	v_cvt_f32_fp8_e32 v46, v46
	v_and_b32_e32 v45, 0xff, v16
	v_cvt_f32_fp8_e32 v43, v43
	v_cvt_f32_fp8_e32 v44, v44
	v_lshrrev_b32_e32 v16, 24, v16
	v_mul_f32_e32 v46, s2, v46
	v_cvt_f32_fp8_e32 v45, v45
	v_and_b32_e32 v0, 0xff, v15
	v_lshrrev_b32_e32 v15, 24, v15
	v_cvt_f32_fp8_e32 v47, v47
	v_cvt_f32_fp8_e32 v16, v16
	v_mul_f32_e32 v45, s2, v45
	v_cvt_f32_fp8_e32 v0, v0
	v_cvt_f32_fp8_e32 v15, v15
	v_dual_mul_f32 v44, s2, v44 :: v_dual_mul_f32 v43, s2, v43
	s_delay_alu instid0(VALU_DEP_4) | instskip(NEXT) | instid1(VALU_DEP_3)
	v_bfe_u32 v56, v45, 16, 1
	v_dual_mul_f32 v0, s2, v0 :: v_dual_mul_f32 v15, s2, v15
	s_delay_alu instid0(VALU_DEP_3) | instskip(NEXT) | instid1(VALU_DEP_4)
	v_bfe_u32 v52, v44, 16, 1
	v_bfe_u32 v50, v43, 16, 1
	v_or_b32_e32 v51, 0x400000, v43
	s_delay_alu instid0(VALU_DEP_4)
	v_bfe_u32 v48, v0, 16, 1
	v_or_b32_e32 v49, 0x400000, v0
	v_cmp_u_f32_e64 s0, v0, v0
	v_add3_u32 v50, v50, v43, 0x7fff
	v_or_b32_e32 v53, 0x400000, v44
	v_add3_u32 v48, v48, v0, 0x7fff
	v_bfe_u32 v54, v15, 16, 1
	v_add3_u32 v52, v52, v44, 0x7fff
	v_or_b32_e32 v55, 0x400000, v15
	v_dual_mul_f32 v47, s2, v47 :: v_dual_mul_f32 v16, s2, v16
	s_wait_alu 0xf1ff
	v_cndmask_b32_e64 v0, v48, v49, s0
	v_cmp_u_f32_e64 s0, v43, v43
	v_add3_u32 v54, v54, v15, 0x7fff
	v_or_b32_e32 v57, 0x400000, v45
	v_bfe_u32 v58, v46, 16, 1
	v_add3_u32 v56, v56, v45, 0x7fff
	s_wait_alu 0xf1ff
	v_cndmask_b32_e64 v43, v50, v51, s0
	v_cmp_u_f32_e64 s0, v44, v44
	v_or_b32_e32 v59, 0x400000, v46
	v_bfe_u32 v60, v47, 16, 1
	v_add3_u32 v58, v58, v46, 0x7fff
	v_or_b32_e32 v61, 0x400000, v47
	s_wait_alu 0xf1ff
	v_cndmask_b32_e64 v44, v52, v53, s0
	v_cmp_u_f32_e64 s0, v15, v15
	v_bfe_u32 v62, v16, 16, 1
	v_add3_u32 v60, v60, v47, 0x7fff
	v_or_b32_e32 v63, 0x400000, v16
	v_lshrrev_b32_e32 v49, 16, v0
	s_wait_alu 0xf1ff
	v_cndmask_b32_e64 v15, v54, v55, s0
	v_cmp_u_f32_e64 s0, v45, v45
	v_add3_u32 v62, v62, v16, 0x7fff
	v_lshrrev_b32_e32 v50, 16, v43
	s_delay_alu instid0(VALU_DEP_4) | instskip(SKIP_3) | instid1(VALU_DEP_2)
	v_lshrrev_b32_e32 v48, 16, v15
	s_wait_alu 0xf1ff
	v_cndmask_b32_e64 v45, v56, v57, s0
	v_cmp_u_f32_e64 s0, v46, v46
	v_lshrrev_b32_e32 v45, 16, v45
	s_wait_alu 0xf1ff
	s_delay_alu instid0(VALU_DEP_2) | instskip(SKIP_2) | instid1(VALU_DEP_3)
	v_cndmask_b32_e64 v46, v58, v59, s0
	v_cmp_u_f32_e64 s0, v47, v47
	v_lshrrev_b32_e32 v47, 16, v44
	v_lshrrev_b32_e32 v46, 16, v46
	s_wait_alu 0xf1ff
	s_delay_alu instid0(VALU_DEP_3) | instskip(SKIP_1) | instid1(VALU_DEP_2)
	v_cndmask_b32_e64 v51, v60, v61, s0
	v_cmp_u_f32_e64 s0, v16, v16
	v_lshrrev_b32_e32 v43, 16, v51
	s_wait_alu 0xf1ff
	s_delay_alu instid0(VALU_DEP_2) | instskip(NEXT) | instid1(VALU_DEP_1)
	v_cndmask_b32_e64 v16, v62, v63, s0
	v_lshrrev_b32_e32 v44, 16, v16
	s_and_saveexec_b32 s7, vcc_lo
	s_cbranch_execz .LBB361_33
; %bb.32:                               ;   in Loop: Header=BB361_29 Depth=1
	v_cmp_gt_i32_e64 s0, s27, v67
	s_wait_alu 0xf1ff
	s_delay_alu instid0(VALU_DEP_1) | instskip(SKIP_2) | instid1(VALU_DEP_1)
	v_cndmask_b32_e64 v49, 0, v49, s0
	v_cmp_gt_i32_e64 s0, s27, v80
	s_wait_alu 0xf1ff
	v_cndmask_b32_e64 v50, 0, v50, s0
	v_cmp_gt_i32_e64 s0, s27, v79
	s_wait_alu 0xf1ff
	s_delay_alu instid0(VALU_DEP_1) | instskip(SKIP_2) | instid1(VALU_DEP_1)
	v_cndmask_b32_e64 v47, 0, v47, s0
	v_cmp_gt_i32_e64 s0, s27, v78
	s_wait_alu 0xf1ff
	v_cndmask_b32_e64 v48, 0, v48, s0
	;; [unrolled: 7-line block ×4, first 2 shown]
.LBB361_33:                             ;   in Loop: Header=BB361_29 Depth=1
	s_wait_alu 0xfffe
	s_or_b32 exec_lo, exec_lo, s7
	global_load_b64 v[15:16], v[13:14], off offset:512
	s_wait_loadcnt 0x0
	v_bfe_u32 v54, v16, 8, 8
	v_bfe_u32 v51, v15, 8, 8
	;; [unrolled: 1-line block ×4, first 2 shown]
	s_delay_alu instid0(VALU_DEP_4)
	v_cvt_f32_fp8_e32 v54, v54
	v_and_b32_e32 v53, 0xff, v16
	v_cvt_f32_fp8_e32 v51, v51
	v_cvt_f32_fp8_e32 v52, v52
	v_lshrrev_b32_e32 v16, 24, v16
	v_mul_f32_e32 v54, s2, v54
	v_cvt_f32_fp8_e32 v53, v53
	v_and_b32_e32 v0, 0xff, v15
	v_lshrrev_b32_e32 v15, 24, v15
	v_cvt_f32_fp8_e32 v55, v55
	v_cvt_f32_fp8_e32 v16, v16
	v_mul_f32_e32 v53, s2, v53
	v_cvt_f32_fp8_e32 v0, v0
	v_cvt_f32_fp8_e32 v15, v15
	v_dual_mul_f32 v52, s2, v52 :: v_dual_mul_f32 v51, s2, v51
	s_delay_alu instid0(VALU_DEP_4) | instskip(NEXT) | instid1(VALU_DEP_3)
	v_bfe_u32 v64, v53, 16, 1
	v_dual_mul_f32 v0, s2, v0 :: v_dual_mul_f32 v15, s2, v15
	s_delay_alu instid0(VALU_DEP_3) | instskip(NEXT) | instid1(VALU_DEP_4)
	v_bfe_u32 v60, v52, 16, 1
	v_bfe_u32 v58, v51, 16, 1
	v_or_b32_e32 v59, 0x400000, v51
	s_delay_alu instid0(VALU_DEP_4)
	v_bfe_u32 v56, v0, 16, 1
	v_or_b32_e32 v57, 0x400000, v0
	v_cmp_u_f32_e64 s0, v0, v0
	v_add3_u32 v58, v58, v51, 0x7fff
	v_or_b32_e32 v61, 0x400000, v52
	v_add3_u32 v56, v56, v0, 0x7fff
	v_bfe_u32 v62, v15, 16, 1
	v_add3_u32 v60, v60, v52, 0x7fff
	v_or_b32_e32 v63, 0x400000, v15
	v_dual_mul_f32 v55, s2, v55 :: v_dual_mul_f32 v16, s2, v16
	s_wait_alu 0xf1ff
	v_cndmask_b32_e64 v0, v56, v57, s0
	v_cmp_u_f32_e64 s0, v51, v51
	v_add3_u32 v62, v62, v15, 0x7fff
	v_or_b32_e32 v65, 0x400000, v53
	v_bfe_u32 v66, v54, 16, 1
	v_add3_u32 v64, v64, v53, 0x7fff
	s_wait_alu 0xf1ff
	v_cndmask_b32_e64 v51, v58, v59, s0
	v_cmp_u_f32_e64 s0, v52, v52
	v_or_b32_e32 v68, 0x400000, v54
	v_bfe_u32 v69, v55, 16, 1
	v_add3_u32 v66, v66, v54, 0x7fff
	v_or_b32_e32 v70, 0x400000, v55
	s_wait_alu 0xf1ff
	v_cndmask_b32_e64 v52, v60, v61, s0
	v_cmp_u_f32_e64 s0, v15, v15
	v_bfe_u32 v71, v16, 16, 1
	v_add3_u32 v69, v69, v55, 0x7fff
	v_or_b32_e32 v72, 0x400000, v16
	v_lshrrev_b32_e32 v57, 16, v0
	s_wait_alu 0xf1ff
	v_cndmask_b32_e64 v15, v62, v63, s0
	v_cmp_u_f32_e64 s0, v53, v53
	v_add3_u32 v71, v71, v16, 0x7fff
	v_lshrrev_b32_e32 v58, 16, v51
	s_delay_alu instid0(VALU_DEP_4) | instskip(SKIP_3) | instid1(VALU_DEP_2)
	v_lshrrev_b32_e32 v56, 16, v15
	s_wait_alu 0xf1ff
	v_cndmask_b32_e64 v53, v64, v65, s0
	v_cmp_u_f32_e64 s0, v54, v54
	v_lshrrev_b32_e32 v53, 16, v53
	s_wait_alu 0xf1ff
	s_delay_alu instid0(VALU_DEP_2) | instskip(SKIP_2) | instid1(VALU_DEP_3)
	v_cndmask_b32_e64 v54, v66, v68, s0
	v_cmp_u_f32_e64 s0, v55, v55
	v_lshrrev_b32_e32 v55, 16, v52
	v_lshrrev_b32_e32 v54, 16, v54
	s_wait_alu 0xf1ff
	s_delay_alu instid0(VALU_DEP_3) | instskip(SKIP_1) | instid1(VALU_DEP_2)
	v_cndmask_b32_e64 v59, v69, v70, s0
	v_cmp_u_f32_e64 s0, v16, v16
	v_lshrrev_b32_e32 v51, 16, v59
	s_wait_alu 0xf1ff
	s_delay_alu instid0(VALU_DEP_2) | instskip(NEXT) | instid1(VALU_DEP_1)
	v_cndmask_b32_e64 v16, v71, v72, s0
	v_lshrrev_b32_e32 v52, 16, v16
	s_and_saveexec_b32 s7, vcc_lo
	s_cbranch_execz .LBB361_35
; %bb.34:                               ;   in Loop: Header=BB361_29 Depth=1
	v_cmp_gt_i32_e64 s0, s27, v67
	s_wait_alu 0xf1ff
	s_delay_alu instid0(VALU_DEP_1) | instskip(SKIP_2) | instid1(VALU_DEP_1)
	v_cndmask_b32_e64 v57, 0, v57, s0
	v_cmp_gt_i32_e64 s0, s27, v80
	s_wait_alu 0xf1ff
	v_cndmask_b32_e64 v58, 0, v58, s0
	v_cmp_gt_i32_e64 s0, s27, v79
	s_wait_alu 0xf1ff
	s_delay_alu instid0(VALU_DEP_1) | instskip(SKIP_2) | instid1(VALU_DEP_1)
	v_cndmask_b32_e64 v55, 0, v55, s0
	v_cmp_gt_i32_e64 s0, s27, v78
	s_wait_alu 0xf1ff
	v_cndmask_b32_e64 v56, 0, v56, s0
	;; [unrolled: 7-line block ×4, first 2 shown]
.LBB361_35:                             ;   in Loop: Header=BB361_29 Depth=1
	s_wait_alu 0xfffe
	s_or_b32 exec_lo, exec_lo, s7
	global_load_b64 v[15:16], v[13:14], off offset:768
	s_wait_loadcnt 0x0
	v_bfe_u32 v62, v16, 8, 8
	v_bfe_u32 v59, v15, 8, 8
	;; [unrolled: 1-line block ×4, first 2 shown]
	s_delay_alu instid0(VALU_DEP_4)
	v_cvt_f32_fp8_e32 v62, v62
	v_and_b32_e32 v61, 0xff, v16
	v_cvt_f32_fp8_e32 v59, v59
	v_cvt_f32_fp8_e32 v60, v60
	v_lshrrev_b32_e32 v16, 24, v16
	v_mul_f32_e32 v62, s2, v62
	v_cvt_f32_fp8_e32 v61, v61
	v_and_b32_e32 v0, 0xff, v15
	v_lshrrev_b32_e32 v15, 24, v15
	v_cvt_f32_fp8_e32 v63, v63
	v_cvt_f32_fp8_e32 v16, v16
	v_mul_f32_e32 v61, s2, v61
	v_cvt_f32_fp8_e32 v0, v0
	v_cvt_f32_fp8_e32 v15, v15
	v_dual_mul_f32 v60, s2, v60 :: v_dual_mul_f32 v59, s2, v59
	s_delay_alu instid0(VALU_DEP_4) | instskip(NEXT) | instid1(VALU_DEP_3)
	v_bfe_u32 v73, v61, 16, 1
	v_dual_mul_f32 v0, s2, v0 :: v_dual_mul_f32 v15, s2, v15
	s_delay_alu instid0(VALU_DEP_3) | instskip(NEXT) | instid1(VALU_DEP_4)
	v_bfe_u32 v69, v60, 16, 1
	v_bfe_u32 v66, v59, 16, 1
	v_or_b32_e32 v68, 0x400000, v59
	s_delay_alu instid0(VALU_DEP_4)
	v_bfe_u32 v64, v0, 16, 1
	v_or_b32_e32 v65, 0x400000, v0
	v_cmp_u_f32_e64 s0, v0, v0
	v_add3_u32 v66, v66, v59, 0x7fff
	v_or_b32_e32 v70, 0x400000, v60
	v_add3_u32 v64, v64, v0, 0x7fff
	v_bfe_u32 v71, v15, 16, 1
	v_add3_u32 v69, v69, v60, 0x7fff
	v_or_b32_e32 v72, 0x400000, v15
	v_dual_mul_f32 v63, s2, v63 :: v_dual_mul_f32 v16, s2, v16
	s_wait_alu 0xf1ff
	v_cndmask_b32_e64 v0, v64, v65, s0
	v_cmp_u_f32_e64 s0, v59, v59
	v_add3_u32 v71, v71, v15, 0x7fff
	v_or_b32_e32 v74, 0x400000, v61
	v_bfe_u32 v77, v62, 16, 1
	v_add3_u32 v73, v73, v61, 0x7fff
	s_wait_alu 0xf1ff
	v_cndmask_b32_e64 v59, v66, v68, s0
	v_cmp_u_f32_e64 s0, v60, v60
	v_or_b32_e32 v82, 0x400000, v62
	v_bfe_u32 v83, v63, 16, 1
	v_add3_u32 v77, v77, v62, 0x7fff
	v_or_b32_e32 v84, 0x400000, v63
	s_wait_alu 0xf1ff
	v_cndmask_b32_e64 v60, v69, v70, s0
	v_cmp_u_f32_e64 s0, v15, v15
	v_bfe_u32 v85, v16, 16, 1
	v_add3_u32 v83, v83, v63, 0x7fff
	v_or_b32_e32 v86, 0x400000, v16
	v_lshrrev_b32_e32 v65, 16, v0
	s_wait_alu 0xf1ff
	v_cndmask_b32_e64 v15, v71, v72, s0
	v_cmp_u_f32_e64 s0, v61, v61
	v_add3_u32 v85, v85, v16, 0x7fff
	v_lshrrev_b32_e32 v66, 16, v59
	s_delay_alu instid0(VALU_DEP_4) | instskip(SKIP_3) | instid1(VALU_DEP_2)
	v_lshrrev_b32_e32 v64, 16, v15
	s_wait_alu 0xf1ff
	v_cndmask_b32_e64 v61, v73, v74, s0
	v_cmp_u_f32_e64 s0, v62, v62
	v_lshrrev_b32_e32 v61, 16, v61
	s_wait_alu 0xf1ff
	s_delay_alu instid0(VALU_DEP_2) | instskip(SKIP_2) | instid1(VALU_DEP_3)
	v_cndmask_b32_e64 v62, v77, v82, s0
	v_cmp_u_f32_e64 s0, v63, v63
	v_lshrrev_b32_e32 v63, 16, v60
	v_lshrrev_b32_e32 v62, 16, v62
	s_wait_alu 0xf1ff
	s_delay_alu instid0(VALU_DEP_3) | instskip(SKIP_1) | instid1(VALU_DEP_2)
	v_cndmask_b32_e64 v68, v83, v84, s0
	v_cmp_u_f32_e64 s0, v16, v16
	v_lshrrev_b32_e32 v59, 16, v68
	s_wait_alu 0xf1ff
	s_delay_alu instid0(VALU_DEP_2) | instskip(NEXT) | instid1(VALU_DEP_1)
	v_cndmask_b32_e64 v16, v85, v86, s0
	v_lshrrev_b32_e32 v60, 16, v16
	s_and_saveexec_b32 s7, vcc_lo
	s_cbranch_execz .LBB361_37
; %bb.36:                               ;   in Loop: Header=BB361_29 Depth=1
	v_cmp_gt_i32_e64 s0, s27, v67
	s_wait_alu 0xf1ff
	s_delay_alu instid0(VALU_DEP_1) | instskip(SKIP_2) | instid1(VALU_DEP_1)
	v_cndmask_b32_e64 v65, 0, v65, s0
	v_cmp_gt_i32_e64 s0, s27, v80
	s_wait_alu 0xf1ff
	v_cndmask_b32_e64 v66, 0, v66, s0
	v_cmp_gt_i32_e64 s0, s27, v79
	s_wait_alu 0xf1ff
	s_delay_alu instid0(VALU_DEP_1) | instskip(SKIP_2) | instid1(VALU_DEP_1)
	v_cndmask_b32_e64 v63, 0, v63, s0
	v_cmp_gt_i32_e64 s0, s27, v78
	s_wait_alu 0xf1ff
	v_cndmask_b32_e64 v64, 0, v64, s0
	;; [unrolled: 7-line block ×4, first 2 shown]
.LBB361_37:                             ;   in Loop: Header=BB361_29 Depth=1
	s_wait_alu 0xfffe
	s_or_b32 exec_lo, exec_lo, s7
	global_load_b64 v[15:16], v[13:14], off offset:1024
	s_wait_loadcnt 0x0
	v_bfe_u32 v69, v15, 16, 8
	v_bfe_u32 v68, v15, 8, 8
	;; [unrolled: 1-line block ×4, first 2 shown]
	s_delay_alu instid0(VALU_DEP_4)
	v_cvt_f32_fp8_e32 v69, v69
	v_and_b32_e32 v0, 0xff, v15
	v_cvt_f32_fp8_e32 v68, v68
	v_cvt_f32_fp8_e32 v71, v71
	v_lshrrev_b32_e32 v15, 24, v15
	v_mul_f32_e32 v69, s2, v69
	v_cvt_f32_fp8_e32 v0, v0
	v_mul_f32_e32 v68, s2, v68
	v_cvt_f32_fp8_e32 v72, v72
	v_cvt_f32_fp8_e32 v15, v15
	s_delay_alu instid0(VALU_DEP_4) | instskip(SKIP_2) | instid1(VALU_DEP_4)
	v_dual_mul_f32 v71, s2, v71 :: v_dual_mul_f32 v0, s2, v0
	v_and_b32_e32 v70, 0xff, v16
	v_bfe_u32 v77, v68, 16, 1
	v_mul_f32_e32 v15, s2, v15
	v_or_b32_e32 v82, 0x400000, v68
	v_bfe_u32 v73, v0, 16, 1
	v_or_b32_e32 v74, 0x400000, v0
	v_cmp_u_f32_e64 s0, v0, v0
	v_cvt_f32_fp8_e32 v70, v70
	v_bfe_u32 v83, v69, 16, 1
	v_add3_u32 v73, v73, v0, 0x7fff
	v_add3_u32 v77, v77, v68, 0x7fff
	v_or_b32_e32 v84, 0x400000, v69
	v_mul_f32_e32 v70, s2, v70
	v_bfe_u32 v85, v15, 16, 1
	s_wait_alu 0xf1ff
	v_cndmask_b32_e64 v0, v73, v74, s0
	v_cmp_u_f32_e64 s0, v68, v68
	v_add3_u32 v83, v83, v69, 0x7fff
	v_lshrrev_b32_e32 v16, 24, v16
	v_or_b32_e32 v86, 0x400000, v15
	v_bfe_u32 v87, v70, 16, 1
	s_wait_alu 0xf1ff
	v_cndmask_b32_e64 v68, v77, v82, s0
	v_cmp_u_f32_e64 s0, v69, v69
	v_add3_u32 v85, v85, v15, 0x7fff
	v_cvt_f32_fp8_e32 v16, v16
	v_mul_f32_e32 v72, s2, v72
	v_or_b32_e32 v88, 0x400000, v70
	s_wait_alu 0xf1ff
	v_cndmask_b32_e64 v69, v83, v84, s0
	v_cmp_u_f32_e64 s0, v15, v15
	v_bfe_u32 v89, v71, 16, 1
	v_add3_u32 v87, v87, v70, 0x7fff
	v_mul_f32_e32 v16, s2, v16
	v_or_b32_e32 v90, 0x400000, v71
	s_wait_alu 0xf1ff
	v_cndmask_b32_e64 v15, v85, v86, s0
	v_cmp_u_f32_e64 s0, v70, v70
	v_bfe_u32 v91, v72, 16, 1
	v_add3_u32 v89, v89, v71, 0x7fff
	v_or_b32_e32 v92, 0x400000, v72
	v_bfe_u32 v93, v16, 16, 1
	s_wait_alu 0xf1ff
	v_cndmask_b32_e64 v70, v87, v88, s0
	v_cmp_u_f32_e64 s0, v71, v71
	v_add3_u32 v91, v91, v72, 0x7fff
	v_or_b32_e32 v94, 0x400000, v16
	v_add3_u32 v93, v93, v16, 0x7fff
	v_lshrrev_b32_e32 v74, 16, v0
	s_wait_alu 0xf1ff
	v_cndmask_b32_e64 v71, v89, v90, s0
	v_cmp_u_f32_e64 s0, v72, v72
	v_lshrrev_b32_e32 v77, 16, v68
	v_lshrrev_b32_e32 v72, 16, v69
	;; [unrolled: 1-line block ×4, first 2 shown]
	s_wait_alu 0xf1ff
	v_cndmask_b32_e64 v82, v91, v92, s0
	v_cmp_u_f32_e64 s0, v16, v16
	v_lshrrev_b32_e32 v71, 16, v71
	s_delay_alu instid0(VALU_DEP_3) | instskip(SKIP_1) | instid1(VALU_DEP_3)
	v_lshrrev_b32_e32 v68, 16, v82
	s_wait_alu 0xf1ff
	v_cndmask_b32_e64 v16, v93, v94, s0
	s_delay_alu instid0(VALU_DEP_1)
	v_lshrrev_b32_e32 v69, 16, v16
	s_and_saveexec_b32 s7, vcc_lo
	s_cbranch_execz .LBB361_39
; %bb.38:                               ;   in Loop: Header=BB361_29 Depth=1
	v_cmp_gt_i32_e64 s0, s27, v67
	s_wait_alu 0xf1ff
	s_delay_alu instid0(VALU_DEP_1) | instskip(SKIP_2) | instid1(VALU_DEP_1)
	v_cndmask_b32_e64 v74, 0, v74, s0
	v_cmp_gt_i32_e64 s0, s27, v80
	s_wait_alu 0xf1ff
	v_cndmask_b32_e64 v77, 0, v77, s0
	v_cmp_gt_i32_e64 s0, s27, v79
	s_wait_alu 0xf1ff
	s_delay_alu instid0(VALU_DEP_1) | instskip(SKIP_2) | instid1(VALU_DEP_1)
	v_cndmask_b32_e64 v72, 0, v72, s0
	v_cmp_gt_i32_e64 s0, s27, v78
	s_wait_alu 0xf1ff
	v_cndmask_b32_e64 v73, 0, v73, s0
	;; [unrolled: 7-line block ×4, first 2 shown]
.LBB361_39:                             ;   in Loop: Header=BB361_29 Depth=1
	s_wait_alu 0xfffe
	s_or_b32 exec_lo, exec_lo, s7
	global_load_b64 v[15:16], v[13:14], off offset:1280
	s_wait_loadcnt 0x0
	v_bfe_u32 v85, v16, 8, 8
	v_bfe_u32 v82, v15, 8, 8
	;; [unrolled: 1-line block ×4, first 2 shown]
	s_delay_alu instid0(VALU_DEP_4)
	v_cvt_f32_fp8_e32 v85, v85
	v_and_b32_e32 v0, 0xff, v15
	v_lshrrev_b32_e32 v15, 24, v15
	v_cvt_f32_fp8_e32 v82, v82
	v_cvt_f32_fp8_e32 v83, v83
	v_mul_f32_e32 v85, s2, v85
	v_cvt_f32_fp8_e32 v0, v0
	v_cvt_f32_fp8_e32 v15, v15
	v_mul_f32_e32 v82, s2, v82
	v_dual_mul_f32 v83, s2, v83 :: v_dual_and_b32 v84, 0xff, v16
	s_delay_alu instid0(VALU_DEP_3) | instskip(NEXT) | instid1(VALU_DEP_3)
	v_dual_mul_f32 v0, s2, v0 :: v_dual_mul_f32 v15, s2, v15
	v_bfe_u32 v89, v82, 16, 1
	s_delay_alu instid0(VALU_DEP_3) | instskip(SKIP_1) | instid1(VALU_DEP_4)
	v_cvt_f32_fp8_e32 v84, v84
	v_or_b32_e32 v90, 0x400000, v82
	v_bfe_u32 v87, v0, 16, 1
	v_or_b32_e32 v88, 0x400000, v0
	v_cmp_u_f32_e64 s0, v0, v0
	v_bfe_u32 v91, v83, 16, 1
	v_add3_u32 v89, v89, v82, 0x7fff
	v_add3_u32 v87, v87, v0, 0x7fff
	v_mul_f32_e32 v84, s2, v84
	v_or_b32_e32 v92, 0x400000, v83
	v_bfe_u32 v93, v15, 16, 1
	v_add3_u32 v91, v91, v83, 0x7fff
	s_wait_alu 0xf1ff
	v_cndmask_b32_e64 v0, v87, v88, s0
	v_cmp_u_f32_e64 s0, v82, v82
	v_lshrrev_b32_e32 v16, 24, v16
	v_cvt_f32_fp8_e32 v86, v86
	v_or_b32_e32 v94, 0x400000, v15
	v_bfe_u32 v95, v84, 16, 1
	s_wait_alu 0xf1ff
	v_cndmask_b32_e64 v82, v89, v90, s0
	v_cmp_u_f32_e64 s0, v83, v83
	v_add3_u32 v93, v93, v15, 0x7fff
	v_cvt_f32_fp8_e32 v16, v16
	v_mul_f32_e32 v86, s2, v86
	v_or_b32_e32 v96, 0x400000, v84
	s_wait_alu 0xf1ff
	v_cndmask_b32_e64 v83, v91, v92, s0
	v_cmp_u_f32_e64 s0, v15, v15
	v_bfe_u32 v97, v85, 16, 1
	v_add3_u32 v95, v95, v84, 0x7fff
	v_mul_f32_e32 v16, s2, v16
	v_or_b32_e32 v98, 0x400000, v85
	s_wait_alu 0xf1ff
	v_cndmask_b32_e64 v15, v93, v94, s0
	v_cmp_u_f32_e64 s0, v84, v84
	v_bfe_u32 v99, v86, 16, 1
	v_add3_u32 v97, v97, v85, 0x7fff
	v_or_b32_e32 v100, 0x400000, v86
	v_bfe_u32 v101, v16, 16, 1
	s_wait_alu 0xf1ff
	v_cndmask_b32_e64 v84, v95, v96, s0
	v_cmp_u_f32_e64 s0, v85, v85
	v_add3_u32 v99, v99, v86, 0x7fff
	v_or_b32_e32 v102, 0x400000, v16
	v_add3_u32 v101, v101, v16, 0x7fff
	v_lshrrev_b32_e32 v88, 16, v0
	s_wait_alu 0xf1ff
	v_cndmask_b32_e64 v85, v97, v98, s0
	v_cmp_u_f32_e64 s0, v86, v86
	v_lshrrev_b32_e32 v89, 16, v82
	v_lshrrev_b32_e32 v86, 16, v83
	;; [unrolled: 1-line block ×4, first 2 shown]
	s_wait_alu 0xf1ff
	v_cndmask_b32_e64 v90, v99, v100, s0
	v_cmp_u_f32_e64 s0, v16, v16
	v_lshrrev_b32_e32 v85, 16, v85
	s_delay_alu instid0(VALU_DEP_3) | instskip(SKIP_1) | instid1(VALU_DEP_3)
	v_lshrrev_b32_e32 v82, 16, v90
	s_wait_alu 0xf1ff
	v_cndmask_b32_e64 v16, v101, v102, s0
	s_delay_alu instid0(VALU_DEP_1)
	v_lshrrev_b32_e32 v83, 16, v16
	s_and_saveexec_b32 s7, vcc_lo
	s_cbranch_execz .LBB361_41
; %bb.40:                               ;   in Loop: Header=BB361_29 Depth=1
	v_cmp_gt_i32_e64 s0, s27, v67
	s_wait_alu 0xf1ff
	s_delay_alu instid0(VALU_DEP_1) | instskip(SKIP_2) | instid1(VALU_DEP_1)
	v_cndmask_b32_e64 v88, 0, v88, s0
	v_cmp_gt_i32_e64 s0, s27, v80
	s_wait_alu 0xf1ff
	v_cndmask_b32_e64 v89, 0, v89, s0
	v_cmp_gt_i32_e64 s0, s27, v79
	s_wait_alu 0xf1ff
	s_delay_alu instid0(VALU_DEP_1) | instskip(SKIP_2) | instid1(VALU_DEP_1)
	v_cndmask_b32_e64 v86, 0, v86, s0
	v_cmp_gt_i32_e64 s0, s27, v78
	s_wait_alu 0xf1ff
	v_cndmask_b32_e64 v87, 0, v87, s0
	;; [unrolled: 7-line block ×4, first 2 shown]
.LBB361_41:                             ;   in Loop: Header=BB361_29 Depth=1
	s_wait_alu 0xfffe
	s_or_b32 exec_lo, exec_lo, s7
	global_load_b64 v[15:16], v[13:14], off offset:1536
	s_wait_loadcnt 0x0
	v_bfe_u32 v93, v16, 8, 8
	v_bfe_u32 v90, v15, 8, 8
	;; [unrolled: 1-line block ×4, first 2 shown]
	s_delay_alu instid0(VALU_DEP_4)
	v_cvt_f32_fp8_e32 v93, v93
	v_and_b32_e32 v0, 0xff, v15
	v_lshrrev_b32_e32 v15, 24, v15
	v_cvt_f32_fp8_e32 v90, v90
	v_cvt_f32_fp8_e32 v91, v91
	v_mul_f32_e32 v93, s2, v93
	v_cvt_f32_fp8_e32 v0, v0
	v_cvt_f32_fp8_e32 v15, v15
	v_mul_f32_e32 v90, s2, v90
	v_dual_mul_f32 v91, s2, v91 :: v_dual_and_b32 v92, 0xff, v16
	s_delay_alu instid0(VALU_DEP_3) | instskip(NEXT) | instid1(VALU_DEP_3)
	v_dual_mul_f32 v0, s2, v0 :: v_dual_mul_f32 v15, s2, v15
	v_bfe_u32 v97, v90, 16, 1
	s_delay_alu instid0(VALU_DEP_3) | instskip(SKIP_1) | instid1(VALU_DEP_4)
	v_cvt_f32_fp8_e32 v92, v92
	v_or_b32_e32 v98, 0x400000, v90
	v_bfe_u32 v95, v0, 16, 1
	v_or_b32_e32 v96, 0x400000, v0
	v_cmp_u_f32_e64 s0, v0, v0
	v_bfe_u32 v99, v91, 16, 1
	v_add3_u32 v97, v97, v90, 0x7fff
	v_add3_u32 v95, v95, v0, 0x7fff
	v_mul_f32_e32 v92, s2, v92
	v_or_b32_e32 v100, 0x400000, v91
	v_bfe_u32 v101, v15, 16, 1
	v_add3_u32 v99, v99, v91, 0x7fff
	s_wait_alu 0xf1ff
	v_cndmask_b32_e64 v0, v95, v96, s0
	v_cmp_u_f32_e64 s0, v90, v90
	v_lshrrev_b32_e32 v16, 24, v16
	v_cvt_f32_fp8_e32 v94, v94
	v_or_b32_e32 v102, 0x400000, v15
	v_bfe_u32 v103, v92, 16, 1
	s_wait_alu 0xf1ff
	v_cndmask_b32_e64 v90, v97, v98, s0
	v_cmp_u_f32_e64 s0, v91, v91
	v_add3_u32 v101, v101, v15, 0x7fff
	v_cvt_f32_fp8_e32 v16, v16
	v_mul_f32_e32 v94, s2, v94
	v_or_b32_e32 v104, 0x400000, v92
	s_wait_alu 0xf1ff
	v_cndmask_b32_e64 v91, v99, v100, s0
	v_cmp_u_f32_e64 s0, v15, v15
	v_bfe_u32 v105, v93, 16, 1
	v_add3_u32 v103, v103, v92, 0x7fff
	v_mul_f32_e32 v16, s2, v16
	v_or_b32_e32 v106, 0x400000, v93
	s_wait_alu 0xf1ff
	v_cndmask_b32_e64 v15, v101, v102, s0
	v_cmp_u_f32_e64 s0, v92, v92
	v_bfe_u32 v107, v94, 16, 1
	v_add3_u32 v105, v105, v93, 0x7fff
	v_or_b32_e32 v108, 0x400000, v94
	v_bfe_u32 v109, v16, 16, 1
	s_wait_alu 0xf1ff
	v_cndmask_b32_e64 v92, v103, v104, s0
	v_cmp_u_f32_e64 s0, v93, v93
	v_add3_u32 v107, v107, v94, 0x7fff
	v_or_b32_e32 v110, 0x400000, v16
	v_add3_u32 v109, v109, v16, 0x7fff
	v_lshrrev_b32_e32 v96, 16, v0
	s_wait_alu 0xf1ff
	v_cndmask_b32_e64 v93, v105, v106, s0
	v_cmp_u_f32_e64 s0, v94, v94
	v_lshrrev_b32_e32 v97, 16, v90
	v_lshrrev_b32_e32 v94, 16, v91
	v_lshrrev_b32_e32 v95, 16, v15
	v_lshrrev_b32_e32 v92, 16, v92
	s_wait_alu 0xf1ff
	v_cndmask_b32_e64 v98, v107, v108, s0
	v_cmp_u_f32_e64 s0, v16, v16
	v_lshrrev_b32_e32 v93, 16, v93
	s_delay_alu instid0(VALU_DEP_3) | instskip(SKIP_1) | instid1(VALU_DEP_3)
	v_lshrrev_b32_e32 v90, 16, v98
	s_wait_alu 0xf1ff
	v_cndmask_b32_e64 v16, v109, v110, s0
	s_delay_alu instid0(VALU_DEP_1)
	v_lshrrev_b32_e32 v91, 16, v16
	s_and_saveexec_b32 s7, vcc_lo
	s_cbranch_execz .LBB361_43
; %bb.42:                               ;   in Loop: Header=BB361_29 Depth=1
	v_cmp_gt_i32_e64 s0, s27, v67
	s_wait_alu 0xf1ff
	s_delay_alu instid0(VALU_DEP_1) | instskip(SKIP_2) | instid1(VALU_DEP_1)
	v_cndmask_b32_e64 v96, 0, v96, s0
	v_cmp_gt_i32_e64 s0, s27, v80
	s_wait_alu 0xf1ff
	v_cndmask_b32_e64 v97, 0, v97, s0
	v_cmp_gt_i32_e64 s0, s27, v79
	s_wait_alu 0xf1ff
	s_delay_alu instid0(VALU_DEP_1) | instskip(SKIP_2) | instid1(VALU_DEP_1)
	v_cndmask_b32_e64 v94, 0, v94, s0
	v_cmp_gt_i32_e64 s0, s27, v78
	s_wait_alu 0xf1ff
	v_cndmask_b32_e64 v95, 0, v95, s0
	;; [unrolled: 7-line block ×4, first 2 shown]
.LBB361_43:                             ;   in Loop: Header=BB361_29 Depth=1
	s_wait_alu 0xfffe
	s_or_b32 exec_lo, exec_lo, s7
	global_load_b64 v[15:16], v[13:14], off offset:1792
	s_wait_loadcnt 0x0
	v_bfe_u32 v101, v16, 8, 8
	v_bfe_u32 v98, v15, 8, 8
	;; [unrolled: 1-line block ×4, first 2 shown]
	s_delay_alu instid0(VALU_DEP_4)
	v_cvt_f32_fp8_e32 v101, v101
	v_and_b32_e32 v0, 0xff, v15
	v_lshrrev_b32_e32 v15, 24, v15
	v_cvt_f32_fp8_e32 v98, v98
	v_cvt_f32_fp8_e32 v99, v99
	v_mul_f32_e32 v101, s2, v101
	v_cvt_f32_fp8_e32 v0, v0
	v_cvt_f32_fp8_e32 v15, v15
	v_mul_f32_e32 v98, s2, v98
	v_dual_mul_f32 v99, s2, v99 :: v_dual_and_b32 v100, 0xff, v16
	s_delay_alu instid0(VALU_DEP_3) | instskip(NEXT) | instid1(VALU_DEP_3)
	v_dual_mul_f32 v0, s2, v0 :: v_dual_mul_f32 v15, s2, v15
	v_bfe_u32 v105, v98, 16, 1
	s_delay_alu instid0(VALU_DEP_3) | instskip(SKIP_1) | instid1(VALU_DEP_4)
	v_cvt_f32_fp8_e32 v100, v100
	v_or_b32_e32 v106, 0x400000, v98
	v_bfe_u32 v103, v0, 16, 1
	v_or_b32_e32 v104, 0x400000, v0
	v_cmp_u_f32_e64 s0, v0, v0
	v_bfe_u32 v107, v99, 16, 1
	v_add3_u32 v105, v105, v98, 0x7fff
	v_add3_u32 v103, v103, v0, 0x7fff
	v_mul_f32_e32 v100, s2, v100
	v_or_b32_e32 v108, 0x400000, v99
	v_bfe_u32 v109, v15, 16, 1
	v_add3_u32 v107, v107, v99, 0x7fff
	s_wait_alu 0xf1ff
	v_cndmask_b32_e64 v0, v103, v104, s0
	v_cmp_u_f32_e64 s0, v98, v98
	v_lshrrev_b32_e32 v16, 24, v16
	v_cvt_f32_fp8_e32 v102, v102
	v_or_b32_e32 v110, 0x400000, v15
	v_bfe_u32 v111, v100, 16, 1
	s_wait_alu 0xf1ff
	v_cndmask_b32_e64 v98, v105, v106, s0
	v_cmp_u_f32_e64 s0, v99, v99
	v_add3_u32 v109, v109, v15, 0x7fff
	v_cvt_f32_fp8_e32 v16, v16
	v_mul_f32_e32 v102, s2, v102
	v_or_b32_e32 v112, 0x400000, v100
	s_wait_alu 0xf1ff
	v_cndmask_b32_e64 v99, v107, v108, s0
	v_cmp_u_f32_e64 s0, v15, v15
	v_bfe_u32 v113, v101, 16, 1
	v_add3_u32 v111, v111, v100, 0x7fff
	v_mul_f32_e32 v16, s2, v16
	v_or_b32_e32 v114, 0x400000, v101
	s_wait_alu 0xf1ff
	v_cndmask_b32_e64 v15, v109, v110, s0
	v_cmp_u_f32_e64 s0, v100, v100
	v_bfe_u32 v115, v102, 16, 1
	v_add3_u32 v113, v113, v101, 0x7fff
	v_or_b32_e32 v116, 0x400000, v102
	v_bfe_u32 v117, v16, 16, 1
	s_wait_alu 0xf1ff
	v_cndmask_b32_e64 v100, v111, v112, s0
	v_cmp_u_f32_e64 s0, v101, v101
	v_add3_u32 v115, v115, v102, 0x7fff
	v_or_b32_e32 v118, 0x400000, v16
	v_add3_u32 v117, v117, v16, 0x7fff
	v_lshrrev_b32_e32 v107, 16, v0
	s_wait_alu 0xf1ff
	v_cndmask_b32_e64 v101, v113, v114, s0
	v_cmp_u_f32_e64 s0, v102, v102
	v_lshrrev_b32_e32 v108, 16, v98
	v_lshrrev_b32_e32 v0, 16, v99
	;; [unrolled: 1-line block ×3, first 2 shown]
	s_wait_alu 0xf1ff
	v_cndmask_b32_e64 v102, v115, v116, s0
	v_cmp_u_f32_e64 s0, v16, v16
	v_lshrrev_b32_e32 v16, 16, v15
	v_lshrrev_b32_e32 v15, 16, v101
	s_delay_alu instid0(VALU_DEP_4) | instskip(SKIP_2) | instid1(VALU_DEP_1)
	v_lshrrev_b32_e32 v104, 16, v102
	s_wait_alu 0xf1ff
	v_cndmask_b32_e64 v103, v117, v118, s0
	v_lshrrev_b32_e32 v105, 16, v103
	s_and_saveexec_b32 s7, vcc_lo
	s_cbranch_execz .LBB361_45
; %bb.44:                               ;   in Loop: Header=BB361_29 Depth=1
	v_cmp_gt_i32_e64 s0, s27, v67
	s_wait_alu 0xf1ff
	s_delay_alu instid0(VALU_DEP_1) | instskip(SKIP_2) | instid1(VALU_DEP_1)
	v_cndmask_b32_e64 v107, 0, v107, s0
	v_cmp_gt_i32_e64 s0, s27, v80
	s_wait_alu 0xf1ff
	v_cndmask_b32_e64 v108, 0, v108, s0
	v_cmp_gt_i32_e64 s0, s27, v79
	s_wait_alu 0xf1ff
	s_delay_alu instid0(VALU_DEP_1) | instskip(SKIP_2) | instid1(VALU_DEP_1)
	v_cndmask_b32_e64 v0, 0, v0, s0
	v_cmp_gt_i32_e64 s0, s27, v78
	s_wait_alu 0xf1ff
	v_cndmask_b32_e64 v16, 0, v16, s0
	;; [unrolled: 7-line block ×4, first 2 shown]
.LBB361_45:                             ;   in Loop: Header=BB361_29 Depth=1
	s_wait_alu 0xfffe
	s_or_b32 exec_lo, exec_lo, s7
	global_load_b64 v[98:99], v[13:14], off offset:2048
	s_wait_loadcnt 0x0
	v_bfe_u32 v101, v98, 8, 8
	v_bfe_u32 v102, v98, 16, 8
	;; [unrolled: 1-line block ×4, first 2 shown]
	s_delay_alu instid0(VALU_DEP_4)
	v_cvt_f32_fp8_e32 v101, v101
	v_and_b32_e32 v100, 0xff, v98
	v_lshrrev_b32_e32 v98, 24, v98
	v_cvt_f32_fp8_e32 v102, v102
	v_cvt_f32_fp8_e32 v109, v109
	v_mul_f32_e32 v101, s2, v101
	v_cvt_f32_fp8_e32 v100, v100
	v_and_b32_e32 v103, 0xff, v99
	v_cvt_f32_fp8_e32 v98, v98
	v_lshrrev_b32_e32 v99, 24, v99
	v_bfe_u32 v113, v101, 16, 1
	v_mul_f32_e32 v100, s2, v100
	v_cvt_f32_fp8_e32 v103, v103
	v_mul_f32_e32 v102, s2, v102
	v_dual_mul_f32 v98, s2, v98 :: v_dual_mul_f32 v109, s2, v109
	s_delay_alu instid0(VALU_DEP_4)
	v_bfe_u32 v111, v100, 16, 1
	v_or_b32_e32 v112, 0x400000, v100
	v_cmp_u_f32_e64 s0, v100, v100
	v_mul_f32_e32 v103, s2, v103
	v_or_b32_e32 v114, 0x400000, v101
	v_add3_u32 v111, v111, v100, 0x7fff
	v_bfe_u32 v115, v102, 16, 1
	v_add3_u32 v113, v113, v101, 0x7fff
	v_or_b32_e32 v116, 0x400000, v102
	v_bfe_u32 v117, v98, 16, 1
	s_wait_alu 0xf1ff
	v_cndmask_b32_e64 v100, v111, v112, s0
	v_cmp_u_f32_e64 s0, v101, v101
	v_add3_u32 v115, v115, v102, 0x7fff
	v_cvt_f32_fp8_e32 v110, v110
	v_or_b32_e32 v118, 0x400000, v98
	v_bfe_u32 v119, v103, 16, 1
	s_wait_alu 0xf1ff
	v_cndmask_b32_e64 v101, v113, v114, s0
	v_cmp_u_f32_e64 s0, v102, v102
	v_add3_u32 v117, v117, v98, 0x7fff
	v_cvt_f32_fp8_e32 v99, v99
	v_mul_f32_e32 v110, s2, v110
	v_or_b32_e32 v120, 0x400000, v103
	s_wait_alu 0xf1ff
	v_cndmask_b32_e64 v102, v115, v116, s0
	v_cmp_u_f32_e64 s0, v98, v98
	v_bfe_u32 v121, v109, 16, 1
	v_add3_u32 v119, v119, v103, 0x7fff
	v_mul_f32_e32 v99, s2, v99
	v_or_b32_e32 v122, 0x400000, v109
	s_wait_alu 0xf1ff
	v_cndmask_b32_e64 v98, v117, v118, s0
	v_cmp_u_f32_e64 s0, v103, v103
	v_bfe_u32 v123, v110, 16, 1
	v_add3_u32 v121, v121, v109, 0x7fff
	v_or_b32_e32 v124, 0x400000, v110
	v_bfe_u32 v125, v99, 16, 1
	s_wait_alu 0xf1ff
	v_cndmask_b32_e64 v103, v119, v120, s0
	v_cmp_u_f32_e64 s0, v109, v109
	v_add3_u32 v123, v123, v110, 0x7fff
	v_or_b32_e32 v126, 0x400000, v99
	v_add3_u32 v125, v125, v99, 0x7fff
	v_lshrrev_b32_e32 v115, 16, v100
	s_wait_alu 0xf1ff
	v_cndmask_b32_e64 v109, v121, v122, s0
	v_cmp_u_f32_e64 s0, v110, v110
	v_lshrrev_b32_e32 v116, 16, v101
	v_lshrrev_b32_e32 v113, 16, v102
	;; [unrolled: 1-line block ×4, first 2 shown]
	s_wait_alu 0xf1ff
	v_cndmask_b32_e64 v110, v123, v124, s0
	v_cmp_u_f32_e64 s0, v99, v99
	v_lshrrev_b32_e32 v112, 16, v109
	s_delay_alu instid0(VALU_DEP_3) | instskip(SKIP_1) | instid1(VALU_DEP_3)
	v_lshrrev_b32_e32 v109, 16, v110
	s_wait_alu 0xf1ff
	v_cndmask_b32_e64 v99, v125, v126, s0
	s_delay_alu instid0(VALU_DEP_1)
	v_lshrrev_b32_e32 v110, 16, v99
	s_and_saveexec_b32 s7, vcc_lo
	s_cbranch_execz .LBB361_47
; %bb.46:                               ;   in Loop: Header=BB361_29 Depth=1
	v_cmp_gt_i32_e64 s0, s27, v67
	s_wait_alu 0xf1ff
	s_delay_alu instid0(VALU_DEP_1) | instskip(SKIP_2) | instid1(VALU_DEP_1)
	v_cndmask_b32_e64 v115, 0, v115, s0
	v_cmp_gt_i32_e64 s0, s27, v80
	s_wait_alu 0xf1ff
	v_cndmask_b32_e64 v116, 0, v116, s0
	v_cmp_gt_i32_e64 s0, s27, v79
	s_wait_alu 0xf1ff
	s_delay_alu instid0(VALU_DEP_1) | instskip(SKIP_2) | instid1(VALU_DEP_1)
	v_cndmask_b32_e64 v113, 0, v113, s0
	v_cmp_gt_i32_e64 s0, s27, v78
	s_wait_alu 0xf1ff
	v_cndmask_b32_e64 v114, 0, v114, s0
	;; [unrolled: 7-line block ×4, first 2 shown]
.LBB361_47:                             ;   in Loop: Header=BB361_29 Depth=1
	s_wait_alu 0xfffe
	s_or_b32 exec_lo, exec_lo, s7
	global_load_b64 v[98:99], v[13:14], off offset:2304
	s_wait_loadcnt 0x0
	v_bfe_u32 v101, v98, 8, 8
	v_bfe_u32 v102, v98, 16, 8
	;; [unrolled: 1-line block ×4, first 2 shown]
	s_delay_alu instid0(VALU_DEP_4)
	v_cvt_f32_fp8_e32 v101, v101
	v_and_b32_e32 v100, 0xff, v98
	v_lshrrev_b32_e32 v98, 24, v98
	v_cvt_f32_fp8_e32 v102, v102
	v_cvt_f32_fp8_e32 v117, v117
	v_mul_f32_e32 v101, s2, v101
	v_cvt_f32_fp8_e32 v100, v100
	v_and_b32_e32 v103, 0xff, v99
	v_cvt_f32_fp8_e32 v98, v98
	v_lshrrev_b32_e32 v99, 24, v99
	v_bfe_u32 v121, v101, 16, 1
	v_mul_f32_e32 v100, s2, v100
	v_cvt_f32_fp8_e32 v103, v103
	v_mul_f32_e32 v102, s2, v102
	v_dual_mul_f32 v98, s2, v98 :: v_dual_mul_f32 v117, s2, v117
	s_delay_alu instid0(VALU_DEP_4)
	v_bfe_u32 v119, v100, 16, 1
	v_or_b32_e32 v120, 0x400000, v100
	v_cmp_u_f32_e64 s0, v100, v100
	v_mul_f32_e32 v103, s2, v103
	v_or_b32_e32 v122, 0x400000, v101
	v_add3_u32 v119, v119, v100, 0x7fff
	v_bfe_u32 v123, v102, 16, 1
	v_add3_u32 v121, v121, v101, 0x7fff
	v_or_b32_e32 v124, 0x400000, v102
	v_bfe_u32 v125, v98, 16, 1
	s_wait_alu 0xf1ff
	v_cndmask_b32_e64 v100, v119, v120, s0
	v_cmp_u_f32_e64 s0, v101, v101
	v_add3_u32 v123, v123, v102, 0x7fff
	v_cvt_f32_fp8_e32 v118, v118
	v_or_b32_e32 v126, 0x400000, v98
	v_bfe_u32 v127, v103, 16, 1
	s_wait_alu 0xf1ff
	v_cndmask_b32_e64 v101, v121, v122, s0
	v_cmp_u_f32_e64 s0, v102, v102
	v_add3_u32 v125, v125, v98, 0x7fff
	v_cvt_f32_fp8_e32 v99, v99
	v_mul_f32_e32 v118, s2, v118
	v_or_b32_e32 v128, 0x400000, v103
	s_wait_alu 0xf1ff
	v_cndmask_b32_e64 v102, v123, v124, s0
	v_cmp_u_f32_e64 s0, v98, v98
	v_bfe_u32 v129, v117, 16, 1
	v_add3_u32 v127, v127, v103, 0x7fff
	v_mul_f32_e32 v99, s2, v99
	v_or_b32_e32 v130, 0x400000, v117
	s_wait_alu 0xf1ff
	v_cndmask_b32_e64 v98, v125, v126, s0
	v_cmp_u_f32_e64 s0, v103, v103
	v_bfe_u32 v131, v118, 16, 1
	v_add3_u32 v129, v129, v117, 0x7fff
	v_or_b32_e32 v132, 0x400000, v118
	v_bfe_u32 v133, v99, 16, 1
	s_wait_alu 0xf1ff
	v_cndmask_b32_e64 v103, v127, v128, s0
	v_cmp_u_f32_e64 s0, v117, v117
	v_add3_u32 v131, v131, v118, 0x7fff
	v_or_b32_e32 v134, 0x400000, v99
	v_add3_u32 v133, v133, v99, 0x7fff
	v_lshrrev_b32_e32 v123, 16, v100
	s_wait_alu 0xf1ff
	v_cndmask_b32_e64 v117, v129, v130, s0
	v_cmp_u_f32_e64 s0, v118, v118
	v_lshrrev_b32_e32 v124, 16, v101
	v_lshrrev_b32_e32 v121, 16, v102
	;; [unrolled: 1-line block ×4, first 2 shown]
	s_wait_alu 0xf1ff
	v_cndmask_b32_e64 v118, v131, v132, s0
	v_cmp_u_f32_e64 s0, v99, v99
	v_lshrrev_b32_e32 v120, 16, v117
	s_delay_alu instid0(VALU_DEP_3) | instskip(SKIP_1) | instid1(VALU_DEP_3)
	v_lshrrev_b32_e32 v117, 16, v118
	s_wait_alu 0xf1ff
	v_cndmask_b32_e64 v99, v133, v134, s0
	s_delay_alu instid0(VALU_DEP_1)
	v_lshrrev_b32_e32 v118, 16, v99
	s_and_saveexec_b32 s7, vcc_lo
	s_cbranch_execz .LBB361_49
; %bb.48:                               ;   in Loop: Header=BB361_29 Depth=1
	v_cmp_gt_i32_e64 s0, s27, v67
	s_wait_alu 0xf1ff
	s_delay_alu instid0(VALU_DEP_1) | instskip(SKIP_2) | instid1(VALU_DEP_1)
	v_cndmask_b32_e64 v123, 0, v123, s0
	v_cmp_gt_i32_e64 s0, s27, v80
	s_wait_alu 0xf1ff
	v_cndmask_b32_e64 v124, 0, v124, s0
	v_cmp_gt_i32_e64 s0, s27, v79
	s_wait_alu 0xf1ff
	s_delay_alu instid0(VALU_DEP_1) | instskip(SKIP_2) | instid1(VALU_DEP_1)
	v_cndmask_b32_e64 v121, 0, v121, s0
	v_cmp_gt_i32_e64 s0, s27, v78
	s_wait_alu 0xf1ff
	v_cndmask_b32_e64 v122, 0, v122, s0
	;; [unrolled: 7-line block ×4, first 2 shown]
.LBB361_49:                             ;   in Loop: Header=BB361_29 Depth=1
	s_wait_alu 0xfffe
	s_or_b32 exec_lo, exec_lo, s7
	global_load_b64 v[98:99], v[13:14], off offset:2560
	s_wait_loadcnt 0x0
	v_bfe_u32 v101, v98, 8, 8
	v_bfe_u32 v102, v98, 16, 8
	;; [unrolled: 1-line block ×4, first 2 shown]
	s_delay_alu instid0(VALU_DEP_4)
	v_cvt_f32_fp8_e32 v101, v101
	v_and_b32_e32 v100, 0xff, v98
	v_lshrrev_b32_e32 v98, 24, v98
	v_cvt_f32_fp8_e32 v102, v102
	v_cvt_f32_fp8_e32 v125, v125
	v_mul_f32_e32 v101, s2, v101
	v_cvt_f32_fp8_e32 v100, v100
	v_and_b32_e32 v103, 0xff, v99
	v_cvt_f32_fp8_e32 v98, v98
	v_lshrrev_b32_e32 v99, 24, v99
	v_bfe_u32 v129, v101, 16, 1
	v_mul_f32_e32 v100, s2, v100
	v_cvt_f32_fp8_e32 v103, v103
	v_mul_f32_e32 v102, s2, v102
	v_dual_mul_f32 v98, s2, v98 :: v_dual_mul_f32 v125, s2, v125
	s_delay_alu instid0(VALU_DEP_4)
	v_bfe_u32 v127, v100, 16, 1
	v_or_b32_e32 v128, 0x400000, v100
	v_cmp_u_f32_e64 s0, v100, v100
	v_mul_f32_e32 v103, s2, v103
	v_or_b32_e32 v130, 0x400000, v101
	v_add3_u32 v127, v127, v100, 0x7fff
	v_bfe_u32 v131, v102, 16, 1
	v_add3_u32 v129, v129, v101, 0x7fff
	v_or_b32_e32 v132, 0x400000, v102
	v_bfe_u32 v133, v98, 16, 1
	s_wait_alu 0xf1ff
	v_cndmask_b32_e64 v100, v127, v128, s0
	v_cmp_u_f32_e64 s0, v101, v101
	v_add3_u32 v131, v131, v102, 0x7fff
	v_cvt_f32_fp8_e32 v126, v126
	v_or_b32_e32 v134, 0x400000, v98
	v_bfe_u32 v135, v103, 16, 1
	s_wait_alu 0xf1ff
	v_cndmask_b32_e64 v101, v129, v130, s0
	v_cmp_u_f32_e64 s0, v102, v102
	v_add3_u32 v133, v133, v98, 0x7fff
	v_cvt_f32_fp8_e32 v99, v99
	v_mul_f32_e32 v126, s2, v126
	v_or_b32_e32 v136, 0x400000, v103
	s_wait_alu 0xf1ff
	v_cndmask_b32_e64 v102, v131, v132, s0
	v_cmp_u_f32_e64 s0, v98, v98
	v_bfe_u32 v137, v125, 16, 1
	v_add3_u32 v135, v135, v103, 0x7fff
	v_mul_f32_e32 v99, s2, v99
	v_or_b32_e32 v138, 0x400000, v125
	s_wait_alu 0xf1ff
	v_cndmask_b32_e64 v98, v133, v134, s0
	v_cmp_u_f32_e64 s0, v103, v103
	v_bfe_u32 v139, v126, 16, 1
	v_add3_u32 v137, v137, v125, 0x7fff
	v_or_b32_e32 v140, 0x400000, v126
	v_bfe_u32 v141, v99, 16, 1
	s_wait_alu 0xf1ff
	v_cndmask_b32_e64 v103, v135, v136, s0
	v_cmp_u_f32_e64 s0, v125, v125
	v_add3_u32 v139, v139, v126, 0x7fff
	v_or_b32_e32 v142, 0x400000, v99
	v_add3_u32 v141, v141, v99, 0x7fff
	v_lshrrev_b32_e32 v131, 16, v100
	s_wait_alu 0xf1ff
	v_cndmask_b32_e64 v125, v137, v138, s0
	v_cmp_u_f32_e64 s0, v126, v126
	v_lshrrev_b32_e32 v132, 16, v101
	v_lshrrev_b32_e32 v129, 16, v102
	;; [unrolled: 1-line block ×4, first 2 shown]
	s_wait_alu 0xf1ff
	v_cndmask_b32_e64 v126, v139, v140, s0
	v_cmp_u_f32_e64 s0, v99, v99
	v_lshrrev_b32_e32 v128, 16, v125
	s_delay_alu instid0(VALU_DEP_3) | instskip(SKIP_1) | instid1(VALU_DEP_3)
	v_lshrrev_b32_e32 v125, 16, v126
	s_wait_alu 0xf1ff
	v_cndmask_b32_e64 v99, v141, v142, s0
	s_delay_alu instid0(VALU_DEP_1)
	v_lshrrev_b32_e32 v126, 16, v99
	s_and_saveexec_b32 s7, vcc_lo
	s_cbranch_execz .LBB361_51
; %bb.50:                               ;   in Loop: Header=BB361_29 Depth=1
	v_cmp_gt_i32_e64 s0, s27, v67
	s_wait_alu 0xf1ff
	s_delay_alu instid0(VALU_DEP_1) | instskip(SKIP_2) | instid1(VALU_DEP_1)
	v_cndmask_b32_e64 v131, 0, v131, s0
	v_cmp_gt_i32_e64 s0, s27, v80
	s_wait_alu 0xf1ff
	v_cndmask_b32_e64 v132, 0, v132, s0
	v_cmp_gt_i32_e64 s0, s27, v79
	s_wait_alu 0xf1ff
	s_delay_alu instid0(VALU_DEP_1) | instskip(SKIP_2) | instid1(VALU_DEP_1)
	v_cndmask_b32_e64 v129, 0, v129, s0
	v_cmp_gt_i32_e64 s0, s27, v78
	s_wait_alu 0xf1ff
	v_cndmask_b32_e64 v130, 0, v130, s0
	;; [unrolled: 7-line block ×4, first 2 shown]
.LBB361_51:                             ;   in Loop: Header=BB361_29 Depth=1
	s_wait_alu 0xfffe
	s_or_b32 exec_lo, exec_lo, s7
	global_load_b64 v[13:14], v[13:14], off offset:2816
	s_wait_loadcnt 0x0
	v_bfe_u32 v99, v13, 8, 8
	v_bfe_u32 v100, v13, 16, 8
	;; [unrolled: 1-line block ×4, first 2 shown]
	s_delay_alu instid0(VALU_DEP_4)
	v_cvt_f32_fp8_e32 v99, v99
	v_and_b32_e32 v98, 0xff, v13
	v_lshrrev_b32_e32 v13, 24, v13
	v_cvt_f32_fp8_e32 v100, v100
	v_and_b32_e32 v101, 0xff, v14
	v_mul_f32_e32 v99, s2, v99
	v_cvt_f32_fp8_e32 v98, v98
	v_cvt_f32_fp8_e32 v13, v13
	v_mul_f32_e32 v100, s2, v100
	v_cvt_f32_fp8_e32 v101, v101
	v_bfe_u32 v135, v99, 16, 1
	s_delay_alu instid0(VALU_DEP_4) | instskip(SKIP_2) | instid1(VALU_DEP_4)
	v_dual_mul_f32 v98, s2, v98 :: v_dual_mul_f32 v13, s2, v13
	v_or_b32_e32 v136, 0x400000, v99
	v_bfe_u32 v137, v100, 16, 1
	v_add3_u32 v135, v135, v99, 0x7fff
	s_delay_alu instid0(VALU_DEP_4)
	v_bfe_u32 v133, v98, 16, 1
	v_or_b32_e32 v134, 0x400000, v98
	v_cmp_u_f32_e64 s0, v98, v98
	v_cvt_f32_fp8_e32 v102, v102
	v_mul_f32_e32 v101, s2, v101
	v_add3_u32 v133, v133, v98, 0x7fff
	v_or_b32_e32 v138, 0x400000, v100
	v_bfe_u32 v139, v13, 16, 1
	v_add3_u32 v137, v137, v100, 0x7fff
	v_lshrrev_b32_e32 v14, 24, v14
	s_wait_alu 0xf1ff
	v_cndmask_b32_e64 v98, v133, v134, s0
	v_cmp_u_f32_e64 s0, v99, v99
	v_cvt_f32_fp8_e32 v103, v103
	v_mul_f32_e32 v102, s2, v102
	v_or_b32_e32 v140, 0x400000, v13
	v_bfe_u32 v141, v101, 16, 1
	s_wait_alu 0xf1ff
	v_cndmask_b32_e64 v99, v135, v136, s0
	v_cmp_u_f32_e64 s0, v100, v100
	v_add3_u32 v139, v139, v13, 0x7fff
	v_cvt_f32_fp8_e32 v14, v14
	v_mul_f32_e32 v103, s2, v103
	v_or_b32_e32 v142, 0x400000, v101
	s_wait_alu 0xf1ff
	v_cndmask_b32_e64 v100, v137, v138, s0
	v_cmp_u_f32_e64 s0, v13, v13
	v_bfe_u32 v143, v102, 16, 1
	v_add3_u32 v141, v141, v101, 0x7fff
	v_mul_f32_e32 v14, s2, v14
	v_or_b32_e32 v144, 0x400000, v102
	s_wait_alu 0xf1ff
	v_cndmask_b32_e64 v13, v139, v140, s0
	v_cmp_u_f32_e64 s0, v101, v101
	v_bfe_u32 v145, v103, 16, 1
	v_add3_u32 v143, v143, v102, 0x7fff
	v_or_b32_e32 v146, 0x400000, v103
	v_bfe_u32 v147, v14, 16, 1
	s_wait_alu 0xf1ff
	v_cndmask_b32_e64 v133, v141, v142, s0
	v_cmp_u_f32_e64 s0, v102, v102
	v_add3_u32 v145, v145, v103, 0x7fff
	v_or_b32_e32 v148, 0x400000, v14
	v_add3_u32 v147, v147, v14, 0x7fff
	v_lshrrev_b32_e32 v102, 16, v99
	s_wait_alu 0xf1ff
	v_cndmask_b32_e64 v134, v143, v144, s0
	v_cmp_u_f32_e64 s0, v103, v103
	v_lshrrev_b32_e32 v103, 16, v98
	v_lshrrev_b32_e32 v101, 16, v100
	;; [unrolled: 1-line block ×4, first 2 shown]
	s_wait_alu 0xf1ff
	v_cndmask_b32_e64 v135, v145, v146, s0
	v_cmp_u_f32_e64 s0, v14, v14
	v_lshrrev_b32_e32 v98, 16, v134
	s_delay_alu instid0(VALU_DEP_3) | instskip(SKIP_1) | instid1(VALU_DEP_3)
	v_lshrrev_b32_e32 v14, 16, v135
	s_wait_alu 0xf1ff
	v_cndmask_b32_e64 v136, v147, v148, s0
	s_delay_alu instid0(VALU_DEP_1)
	v_lshrrev_b32_e32 v13, 16, v136
	s_and_saveexec_b32 s0, vcc_lo
	s_cbranch_execz .LBB361_28
; %bb.52:                               ;   in Loop: Header=BB361_29 Depth=1
	v_cmp_gt_i32_e32 vcc_lo, s27, v67
	s_wait_alu 0xfffd
	v_cndmask_b32_e32 v103, 0, v103, vcc_lo
	v_cmp_gt_i32_e32 vcc_lo, s27, v80
	s_wait_alu 0xfffd
	v_cndmask_b32_e32 v102, 0, v102, vcc_lo
	;; [unrolled: 3-line block ×8, first 2 shown]
	s_branch .LBB361_28
.LBB361_53:
	s_or_b32 exec_lo, exec_lo, s6
.LBB361_54:
	s_wait_alu 0xfffe
	s_or_b32 exec_lo, exec_lo, s1
	ds_bpermute_b32 v0, v19, v30
	ds_bpermute_b32 v1, v19, v32
	;; [unrolled: 1-line block ×12, first 2 shown]
	s_mov_b32 s0, exec_lo
	s_wait_storecnt 0x0
	s_wait_loadcnt_dscnt 0x0
	s_barrier_signal -1
	s_barrier_wait -1
	global_inv scope:SCOPE_SE
	v_dual_add_f32 v0, v30, v0 :: v_dual_add_f32 v1, v32, v1
	v_dual_add_f32 v4, v28, v4 :: v_dual_add_f32 v5, v27, v5
	;; [unrolled: 1-line block ×6, first 2 shown]
	ds_bpermute_b32 v6, v18, v0
	ds_bpermute_b32 v7, v18, v1
	;; [unrolled: 1-line block ×12, first 2 shown]
	s_wait_dscnt 0xa
	v_dual_add_f32 v11, v0, v6 :: v_dual_add_f32 v10, v1, v7
	s_wait_dscnt 0x8
	v_dual_add_f32 v7, v4, v21 :: v_dual_add_f32 v6, v5, v22
	;; [unrolled: 2-line block ×3, first 2 shown]
	v_and_b32_e32 v13, 28, v151
	s_wait_dscnt 0x4
	v_dual_add_f32 v9, v2, v8 :: v_dual_add_f32 v8, v3, v19
	s_wait_dscnt 0x2
	v_dual_add_f32 v3, v14, v25 :: v_dual_add_f32 v0, v15, v26
	s_wait_dscnt 0x1
	v_add_f32_e32 v1, v16, v27
	s_wait_dscnt 0x0
	v_dual_add_f32 v2, v17, v18 :: v_dual_and_b32 v15, 0x3c3, v149
	v_lshrrev_b32_e32 v12, 2, v151
	v_add_nc_u32_e32 v13, 0xe0, v13
	v_mul_u32_u24_e32 v14, 0x180, v150
	s_delay_alu instid0(VALU_DEP_4)
	v_cmpx_eq_u32_e32 64, v15
	s_cbranch_execz .LBB361_56
; %bb.55:
	s_delay_alu instid0(VALU_DEP_2) | instskip(NEXT) | instid1(VALU_DEP_1)
	v_add_nc_u32_e32 v15, v13, v14
	v_add_nc_u32_e32 v16, 0xfffffd00, v15
	v_add_nc_u32_e32 v17, 0xfffffd20, v15
	v_add_nc_u32_e32 v18, 0xfffffd40, v15
	v_add_nc_u32_e32 v19, 0xfffffd60, v15
	v_add_nc_u32_e32 v21, 0xfffffd80, v15
	v_add_nc_u32_e32 v22, 0xfffffda0, v15
	v_add_nc_u32_e32 v23, 0xfffffdc0, v15
	v_add_nc_u32_e32 v24, 0xfffffde0, v15
	v_add_nc_u32_e32 v25, 0xfffffe00, v15
	v_add_nc_u32_e32 v26, 0xfffffe20, v15
	v_add_nc_u32_e32 v27, 0xfffffe40, v15
	v_add_nc_u32_e32 v15, 0xfffffe60, v15
	ds_store_b32 v16, v11
	ds_store_b32 v17, v10
	;; [unrolled: 1-line block ×12, first 2 shown]
.LBB361_56:
	s_wait_alu 0xfffe
	s_or_b32 exec_lo, exec_lo, s0
	v_lshlrev_b32_e32 v12, 2, v12
	s_mov_b32 s1, exec_lo
	v_cmp_eq_u32_e32 vcc_lo, 0, v20
	s_wait_loadcnt_dscnt 0x0
	s_barrier_signal -1
	v_add3_u32 v12, 0xe0, v14, v12
	s_barrier_wait -1
	global_inv scope:SCOPE_SE
	v_cmpx_gt_u32_e32 64, v149
	s_cbranch_execz .LBB361_71
; %bb.57:
	s_and_saveexec_b32 s0, vcc_lo
	s_cbranch_execnz .LBB361_91
; %bb.58:
	s_wait_alu 0xfffe
	s_or_b32 exec_lo, exec_lo, s0
	s_and_saveexec_b32 s0, vcc_lo
	s_cbranch_execnz .LBB361_92
.LBB361_59:
	s_wait_alu 0xfffe
	s_or_b32 exec_lo, exec_lo, s0
	s_and_saveexec_b32 s0, vcc_lo
	s_cbranch_execnz .LBB361_93
.LBB361_60:
	s_wait_alu 0xfffe
	s_or_b32 exec_lo, exec_lo, s0
	s_and_saveexec_b32 s0, vcc_lo
	s_cbranch_execnz .LBB361_94
.LBB361_61:
	s_wait_alu 0xfffe
	s_or_b32 exec_lo, exec_lo, s0
	s_and_saveexec_b32 s0, vcc_lo
	s_cbranch_execnz .LBB361_95
.LBB361_62:
	s_wait_alu 0xfffe
	s_or_b32 exec_lo, exec_lo, s0
	s_and_saveexec_b32 s0, vcc_lo
	s_cbranch_execnz .LBB361_96
.LBB361_63:
	s_wait_alu 0xfffe
	s_or_b32 exec_lo, exec_lo, s0
	s_and_saveexec_b32 s0, vcc_lo
	s_cbranch_execnz .LBB361_97
.LBB361_64:
	s_wait_alu 0xfffe
	s_or_b32 exec_lo, exec_lo, s0
	s_and_saveexec_b32 s0, vcc_lo
	s_cbranch_execnz .LBB361_98
.LBB361_65:
	s_wait_alu 0xfffe
	s_or_b32 exec_lo, exec_lo, s0
	s_and_saveexec_b32 s0, vcc_lo
	s_cbranch_execnz .LBB361_99
.LBB361_66:
	s_wait_alu 0xfffe
	s_or_b32 exec_lo, exec_lo, s0
	s_and_saveexec_b32 s0, vcc_lo
	s_cbranch_execnz .LBB361_100
.LBB361_67:
	s_wait_alu 0xfffe
	s_or_b32 exec_lo, exec_lo, s0
	s_and_saveexec_b32 s0, vcc_lo
	s_cbranch_execnz .LBB361_101
.LBB361_68:
	s_wait_alu 0xfffe
	s_or_b32 exec_lo, exec_lo, s0
	s_and_saveexec_b32 s0, vcc_lo
	s_cbranch_execz .LBB361_70
.LBB361_69:
	ds_load_b32 v14, v12 offset:352
	s_wait_dscnt 0x0
	v_add_f32_e32 v2, v2, v14
.LBB361_70:
	s_wait_alu 0xfffe
	s_or_b32 exec_lo, exec_lo, s0
.LBB361_71:
	s_wait_alu 0xfffe
	s_or_b32 exec_lo, exec_lo, s1
	v_and_b32_e32 v14, 0x3e3, v149
	s_mov_b32 s1, exec_lo
	s_wait_loadcnt 0x0
	s_barrier_signal -1
	s_barrier_wait -1
	global_inv scope:SCOPE_SE
	v_cmpx_eq_u32_e32 32, v14
	s_cbranch_execz .LBB361_73
; %bb.72:
	ds_store_2addr_b32 v13, v11, v10 offset1:8
	ds_store_2addr_b32 v13, v9, v8 offset0:16 offset1:24
	ds_store_2addr_b32 v13, v7, v6 offset0:32 offset1:40
	;; [unrolled: 1-line block ×5, first 2 shown]
.LBB361_73:
	s_wait_alu 0xfffe
	s_or_b32 exec_lo, exec_lo, s1
	s_delay_alu instid0(SALU_CYCLE_1)
	s_mov_b32 s1, exec_lo
	s_wait_loadcnt_dscnt 0x0
	s_barrier_signal -1
	s_barrier_wait -1
	global_inv scope:SCOPE_SE
	v_cmpx_gt_u32_e32 32, v149
	s_cbranch_execz .LBB361_88
; %bb.74:
	s_and_saveexec_b32 s0, vcc_lo
	s_cbranch_execnz .LBB361_102
; %bb.75:
	s_wait_alu 0xfffe
	s_or_b32 exec_lo, exec_lo, s0
	s_and_saveexec_b32 s0, vcc_lo
	s_cbranch_execnz .LBB361_103
.LBB361_76:
	s_wait_alu 0xfffe
	s_or_b32 exec_lo, exec_lo, s0
	s_and_saveexec_b32 s0, vcc_lo
	s_cbranch_execnz .LBB361_104
.LBB361_77:
	s_wait_alu 0xfffe
	s_or_b32 exec_lo, exec_lo, s0
	s_and_saveexec_b32 s0, vcc_lo
	s_cbranch_execnz .LBB361_105
.LBB361_78:
	s_wait_alu 0xfffe
	s_or_b32 exec_lo, exec_lo, s0
	s_and_saveexec_b32 s0, vcc_lo
	s_cbranch_execnz .LBB361_106
.LBB361_79:
	s_wait_alu 0xfffe
	s_or_b32 exec_lo, exec_lo, s0
	s_and_saveexec_b32 s0, vcc_lo
	s_cbranch_execnz .LBB361_107
.LBB361_80:
	s_wait_alu 0xfffe
	s_or_b32 exec_lo, exec_lo, s0
	s_and_saveexec_b32 s0, vcc_lo
	s_cbranch_execnz .LBB361_108
.LBB361_81:
	s_wait_alu 0xfffe
	s_or_b32 exec_lo, exec_lo, s0
	s_and_saveexec_b32 s0, vcc_lo
	s_cbranch_execnz .LBB361_109
.LBB361_82:
	s_wait_alu 0xfffe
	s_or_b32 exec_lo, exec_lo, s0
	s_and_saveexec_b32 s0, vcc_lo
	s_cbranch_execnz .LBB361_110
.LBB361_83:
	s_wait_alu 0xfffe
	s_or_b32 exec_lo, exec_lo, s0
	s_and_saveexec_b32 s0, vcc_lo
	s_cbranch_execnz .LBB361_111
.LBB361_84:
	s_wait_alu 0xfffe
	s_or_b32 exec_lo, exec_lo, s0
	s_and_saveexec_b32 s0, vcc_lo
	s_cbranch_execnz .LBB361_112
.LBB361_85:
	s_wait_alu 0xfffe
	s_or_b32 exec_lo, exec_lo, s0
	s_and_saveexec_b32 s0, vcc_lo
	s_cbranch_execz .LBB361_87
.LBB361_86:
	ds_load_b32 v12, v12 offset:352
	s_wait_dscnt 0x0
	v_add_f32_e32 v2, v2, v12
.LBB361_87:
	s_wait_alu 0xfffe
	s_or_b32 exec_lo, exec_lo, s0
.LBB361_88:
	s_wait_alu 0xfffe
	s_or_b32 exec_lo, exec_lo, s1
	s_mov_b32 s1, 0
	s_wait_loadcnt 0x0
	s_barrier_signal -1
	s_barrier_wait -1
	global_inv scope:SCOPE_SE
	s_mov_b32 s0, exec_lo
	v_cmpx_eq_u32_e32 0, v14
	s_cbranch_execz .LBB361_90
; %bb.89:
	v_bfe_u32 v12, v11, 16, 1
	v_bfe_u32 v13, v10, 16, 1
	v_or_b32_e32 v15, 0x400000, v11
	v_cmp_u_f32_e32 vcc_lo, v11, v11
	v_or_b32_e32 v16, 0x400000, v10
	v_add3_u32 v12, v12, v11, 0x7fff
	v_add3_u32 v13, v13, v10, 0x7fff
	v_bfe_u32 v17, v9, 16, 1
	s_mul_i32 s2, s14, 0x60
	s_mul_i32 s6, s12, s16
	s_wait_alu 0xfffd
	v_cndmask_b32_e32 v11, v12, v15, vcc_lo
	v_cmp_u_f32_e32 vcc_lo, v10, v10
	v_bfe_u32 v12, v8, 16, 1
	v_or_b32_e32 v15, 0x400000, v9
	s_wait_alu 0xfffe
	s_ashr_i32 s3, s2, 31
	s_ashr_i32 s7, s6, 31
	s_wait_alu 0xfffd
	v_cndmask_b32_e32 v10, v13, v16, vcc_lo
	v_add3_u32 v13, v17, v9, 0x7fff
	v_cmp_u_f32_e32 vcc_lo, v9, v9
	v_add3_u32 v12, v12, v8, 0x7fff
	v_or_b32_e32 v16, 0x400000, v8
	v_bfe_u32 v17, v7, 16, 1
	s_wait_alu 0xfffe
	s_lshl_b64 s[2:3], s[2:3], 1
	s_wait_alu 0xfffd
	v_cndmask_b32_e32 v9, v13, v15, vcc_lo
	v_cmp_u_f32_e32 vcc_lo, v8, v8
	v_bfe_u32 v13, v6, 16, 1
	v_or_b32_e32 v15, 0x400000, v7
	s_lshl_b64 s[6:7], s[6:7], 1
	s_wait_kmcnt 0x0
	s_wait_alu 0xfffe
	s_add_nc_u64 s[2:3], s[4:5], s[2:3]
	s_wait_alu 0xfffd
	v_cndmask_b32_e32 v8, v12, v16, vcc_lo
	v_add3_u32 v12, v17, v7, 0x7fff
	v_cmp_u_f32_e32 vcc_lo, v7, v7
	v_add3_u32 v13, v13, v6, 0x7fff
	v_or_b32_e32 v16, 0x400000, v6
	v_bfe_u32 v17, v5, 16, 1
	v_lshrrev_b32_e32 v14, 1, v149
	s_wait_alu 0xfffd
	v_cndmask_b32_e32 v7, v12, v15, vcc_lo
	v_cmp_u_f32_e32 vcc_lo, v6, v6
	v_bfe_u32 v12, v4, 16, 1
	v_or_b32_e32 v15, 0x400000, v5
	v_or_b32_e32 v18, 0x400000, v2
	s_wait_alu 0xfffe
	s_add_nc_u64 s[2:3], s[2:3], s[6:7]
	s_wait_alu 0xfffd
	v_cndmask_b32_e32 v6, v13, v16, vcc_lo
	v_add3_u32 v13, v17, v5, 0x7fff
	v_cmp_u_f32_e32 vcc_lo, v5, v5
	v_bfe_u32 v16, v3, 16, 1
	v_add3_u32 v12, v12, v4, 0x7fff
	v_or_b32_e32 v17, 0x400000, v4
	s_mul_i32 s0, s26, 0xc0
	s_wait_alu 0xfffd
	v_cndmask_b32_e32 v5, v13, v15, vcc_lo
	v_cmp_u_f32_e32 vcc_lo, v4, v4
	v_add3_u32 v13, v16, v3, 0x7fff
	v_or_b32_e32 v15, 0x400000, v3
	v_bfe_u32 v16, v1, 16, 1
	s_wait_alu 0xfffe
	s_add_nc_u64 s[0:1], s[2:3], s[0:1]
	s_wait_alu 0xfffd
	v_cndmask_b32_e32 v4, v12, v17, vcc_lo
	v_bfe_u32 v12, v0, 16, 1
	v_cmp_u_f32_e32 vcc_lo, v3, v3
	v_add3_u32 v16, v16, v1, 0x7fff
	v_or_b32_e32 v17, 0x400000, v1
	s_delay_alu instid0(VALU_DEP_4)
	v_add3_u32 v12, v12, v0, 0x7fff
	s_wait_alu 0xfffd
	v_cndmask_b32_e32 v3, v13, v15, vcc_lo
	v_or_b32_e32 v15, 0x400000, v0
	v_cmp_u_f32_e32 vcc_lo, v0, v0
	v_bfe_u32 v13, v2, 16, 1
	s_wait_alu 0xfffd
	s_delay_alu instid0(VALU_DEP_3) | instskip(SKIP_1) | instid1(VALU_DEP_3)
	v_cndmask_b32_e32 v0, v12, v15, vcc_lo
	v_cmp_u_f32_e32 vcc_lo, v1, v1
	v_add3_u32 v13, v13, v2, 0x7fff
	s_wait_alu 0xfffd
	v_cndmask_b32_e32 v1, v16, v17, vcc_lo
	v_cmp_u_f32_e32 vcc_lo, v2, v2
	s_wait_alu 0xfffd
	v_cndmask_b32_e32 v2, v13, v18, vcc_lo
	s_clause 0xb
	global_store_d16_hi_b16 v14, v11, s[0:1]
	global_store_d16_hi_b16 v14, v10, s[0:1] offset:16
	global_store_d16_hi_b16 v14, v9, s[0:1] offset:32
	;; [unrolled: 1-line block ×11, first 2 shown]
.LBB361_90:
	s_nop 0
	s_sendmsg sendmsg(MSG_DEALLOC_VGPRS)
	s_endpgm
.LBB361_91:
	ds_load_b32 v14, v12
	s_wait_dscnt 0x0
	v_add_f32_e32 v11, v11, v14
	s_wait_alu 0xfffe
	s_or_b32 exec_lo, exec_lo, s0
	s_and_saveexec_b32 s0, vcc_lo
	s_cbranch_execz .LBB361_59
.LBB361_92:
	ds_load_b32 v14, v12 offset:32
	s_wait_dscnt 0x0
	v_add_f32_e32 v10, v10, v14
	s_wait_alu 0xfffe
	s_or_b32 exec_lo, exec_lo, s0
	s_and_saveexec_b32 s0, vcc_lo
	s_cbranch_execz .LBB361_60
.LBB361_93:
	ds_load_b32 v14, v12 offset:64
	s_wait_dscnt 0x0
	v_add_f32_e32 v9, v9, v14
	s_wait_alu 0xfffe
	s_or_b32 exec_lo, exec_lo, s0
	s_and_saveexec_b32 s0, vcc_lo
	s_cbranch_execz .LBB361_61
.LBB361_94:
	ds_load_b32 v14, v12 offset:96
	s_wait_dscnt 0x0
	v_add_f32_e32 v8, v8, v14
	s_wait_alu 0xfffe
	s_or_b32 exec_lo, exec_lo, s0
	s_and_saveexec_b32 s0, vcc_lo
	s_cbranch_execz .LBB361_62
.LBB361_95:
	ds_load_b32 v14, v12 offset:128
	s_wait_dscnt 0x0
	v_add_f32_e32 v7, v7, v14
	s_wait_alu 0xfffe
	s_or_b32 exec_lo, exec_lo, s0
	s_and_saveexec_b32 s0, vcc_lo
	s_cbranch_execz .LBB361_63
.LBB361_96:
	ds_load_b32 v14, v12 offset:160
	s_wait_dscnt 0x0
	v_add_f32_e32 v6, v6, v14
	s_wait_alu 0xfffe
	s_or_b32 exec_lo, exec_lo, s0
	s_and_saveexec_b32 s0, vcc_lo
	s_cbranch_execz .LBB361_64
.LBB361_97:
	ds_load_b32 v14, v12 offset:192
	s_wait_dscnt 0x0
	v_add_f32_e32 v5, v5, v14
	s_wait_alu 0xfffe
	s_or_b32 exec_lo, exec_lo, s0
	s_and_saveexec_b32 s0, vcc_lo
	s_cbranch_execz .LBB361_65
.LBB361_98:
	ds_load_b32 v14, v12 offset:224
	s_wait_dscnt 0x0
	v_add_f32_e32 v4, v4, v14
	s_wait_alu 0xfffe
	s_or_b32 exec_lo, exec_lo, s0
	s_and_saveexec_b32 s0, vcc_lo
	s_cbranch_execz .LBB361_66
.LBB361_99:
	ds_load_b32 v14, v12 offset:256
	s_wait_dscnt 0x0
	v_add_f32_e32 v3, v3, v14
	s_wait_alu 0xfffe
	s_or_b32 exec_lo, exec_lo, s0
	s_and_saveexec_b32 s0, vcc_lo
	s_cbranch_execz .LBB361_67
.LBB361_100:
	ds_load_b32 v14, v12 offset:288
	s_wait_dscnt 0x0
	v_add_f32_e32 v0, v0, v14
	s_wait_alu 0xfffe
	s_or_b32 exec_lo, exec_lo, s0
	s_and_saveexec_b32 s0, vcc_lo
	s_cbranch_execz .LBB361_68
.LBB361_101:
	ds_load_b32 v14, v12 offset:320
	s_wait_dscnt 0x0
	v_add_f32_e32 v1, v1, v14
	s_wait_alu 0xfffe
	s_or_b32 exec_lo, exec_lo, s0
	s_and_saveexec_b32 s0, vcc_lo
	s_cbranch_execnz .LBB361_69
	s_branch .LBB361_70
.LBB361_102:
	ds_load_b32 v13, v12
	s_wait_dscnt 0x0
	v_add_f32_e32 v11, v11, v13
	s_wait_alu 0xfffe
	s_or_b32 exec_lo, exec_lo, s0
	s_and_saveexec_b32 s0, vcc_lo
	s_cbranch_execz .LBB361_76
.LBB361_103:
	ds_load_b32 v13, v12 offset:32
	s_wait_dscnt 0x0
	v_add_f32_e32 v10, v10, v13
	s_wait_alu 0xfffe
	s_or_b32 exec_lo, exec_lo, s0
	s_and_saveexec_b32 s0, vcc_lo
	s_cbranch_execz .LBB361_77
.LBB361_104:
	ds_load_b32 v13, v12 offset:64
	s_wait_dscnt 0x0
	v_add_f32_e32 v9, v9, v13
	s_wait_alu 0xfffe
	s_or_b32 exec_lo, exec_lo, s0
	s_and_saveexec_b32 s0, vcc_lo
	s_cbranch_execz .LBB361_78
.LBB361_105:
	ds_load_b32 v13, v12 offset:96
	s_wait_dscnt 0x0
	v_add_f32_e32 v8, v8, v13
	s_wait_alu 0xfffe
	s_or_b32 exec_lo, exec_lo, s0
	s_and_saveexec_b32 s0, vcc_lo
	s_cbranch_execz .LBB361_79
.LBB361_106:
	ds_load_b32 v13, v12 offset:128
	s_wait_dscnt 0x0
	v_add_f32_e32 v7, v7, v13
	s_wait_alu 0xfffe
	s_or_b32 exec_lo, exec_lo, s0
	s_and_saveexec_b32 s0, vcc_lo
	s_cbranch_execz .LBB361_80
.LBB361_107:
	ds_load_b32 v13, v12 offset:160
	s_wait_dscnt 0x0
	v_add_f32_e32 v6, v6, v13
	s_wait_alu 0xfffe
	s_or_b32 exec_lo, exec_lo, s0
	s_and_saveexec_b32 s0, vcc_lo
	s_cbranch_execz .LBB361_81
.LBB361_108:
	ds_load_b32 v13, v12 offset:192
	s_wait_dscnt 0x0
	v_add_f32_e32 v5, v5, v13
	s_wait_alu 0xfffe
	s_or_b32 exec_lo, exec_lo, s0
	s_and_saveexec_b32 s0, vcc_lo
	s_cbranch_execz .LBB361_82
.LBB361_109:
	ds_load_b32 v13, v12 offset:224
	s_wait_dscnt 0x0
	v_add_f32_e32 v4, v4, v13
	s_wait_alu 0xfffe
	s_or_b32 exec_lo, exec_lo, s0
	s_and_saveexec_b32 s0, vcc_lo
	s_cbranch_execz .LBB361_83
.LBB361_110:
	ds_load_b32 v13, v12 offset:256
	s_wait_dscnt 0x0
	v_add_f32_e32 v3, v3, v13
	s_wait_alu 0xfffe
	s_or_b32 exec_lo, exec_lo, s0
	s_and_saveexec_b32 s0, vcc_lo
	s_cbranch_execz .LBB361_84
.LBB361_111:
	ds_load_b32 v13, v12 offset:288
	s_wait_dscnt 0x0
	v_add_f32_e32 v0, v0, v13
	s_wait_alu 0xfffe
	s_or_b32 exec_lo, exec_lo, s0
	s_and_saveexec_b32 s0, vcc_lo
	s_cbranch_execz .LBB361_85
.LBB361_112:
	ds_load_b32 v13, v12 offset:320
	s_wait_dscnt 0x0
	v_add_f32_e32 v1, v1, v13
	s_wait_alu 0xfffe
	s_or_b32 exec_lo, exec_lo, s0
	s_and_saveexec_b32 s0, vcc_lo
	s_cbranch_execnz .LBB361_86
	s_branch .LBB361_87
	.section	.rodata,"a",@progbits
	.p2align	6, 0x0
	.amdhsa_kernel _ZN4vllm25paged_attention_v2_kernelI14__hip_bfloat16hLi96ELi32ELi128ELNS_18Fp8KVCacheDataTypeE1ELb0ELi512EEEvPfS3_PT_PKS4_PKT0_SA_ifPKiSC_iPKfiiiSE_SE_iiiii
		.amdhsa_group_segment_fixed_size 224
		.amdhsa_private_segment_fixed_size 112
		.amdhsa_kernarg_size 400
		.amdhsa_user_sgpr_count 2
		.amdhsa_user_sgpr_dispatch_ptr 0
		.amdhsa_user_sgpr_queue_ptr 0
		.amdhsa_user_sgpr_kernarg_segment_ptr 1
		.amdhsa_user_sgpr_dispatch_id 0
		.amdhsa_user_sgpr_private_segment_size 0
		.amdhsa_wavefront_size32 1
		.amdhsa_uses_dynamic_stack 0
		.amdhsa_enable_private_segment 1
		.amdhsa_system_sgpr_workgroup_id_x 1
		.amdhsa_system_sgpr_workgroup_id_y 1
		.amdhsa_system_sgpr_workgroup_id_z 1
		.amdhsa_system_sgpr_workgroup_info 0
		.amdhsa_system_vgpr_workitem_id 0
		.amdhsa_next_free_vgpr 192
		.amdhsa_next_free_sgpr 38
		.amdhsa_reserve_vcc 1
		.amdhsa_float_round_mode_32 0
		.amdhsa_float_round_mode_16_64 0
		.amdhsa_float_denorm_mode_32 3
		.amdhsa_float_denorm_mode_16_64 3
		.amdhsa_fp16_overflow 0
		.amdhsa_workgroup_processor_mode 1
		.amdhsa_memory_ordered 1
		.amdhsa_forward_progress 1
		.amdhsa_inst_pref_size 239
		.amdhsa_round_robin_scheduling 0
		.amdhsa_exception_fp_ieee_invalid_op 0
		.amdhsa_exception_fp_denorm_src 0
		.amdhsa_exception_fp_ieee_div_zero 0
		.amdhsa_exception_fp_ieee_overflow 0
		.amdhsa_exception_fp_ieee_underflow 0
		.amdhsa_exception_fp_ieee_inexact 0
		.amdhsa_exception_int_div_zero 0
	.end_amdhsa_kernel
	.section	.text._ZN4vllm25paged_attention_v2_kernelI14__hip_bfloat16hLi96ELi32ELi128ELNS_18Fp8KVCacheDataTypeE1ELb0ELi512EEEvPfS3_PT_PKS4_PKT0_SA_ifPKiSC_iPKfiiiSE_SE_iiiii,"axG",@progbits,_ZN4vllm25paged_attention_v2_kernelI14__hip_bfloat16hLi96ELi32ELi128ELNS_18Fp8KVCacheDataTypeE1ELb0ELi512EEEvPfS3_PT_PKS4_PKT0_SA_ifPKiSC_iPKfiiiSE_SE_iiiii,comdat
.Lfunc_end361:
	.size	_ZN4vllm25paged_attention_v2_kernelI14__hip_bfloat16hLi96ELi32ELi128ELNS_18Fp8KVCacheDataTypeE1ELb0ELi512EEEvPfS3_PT_PKS4_PKT0_SA_ifPKiSC_iPKfiiiSE_SE_iiiii, .Lfunc_end361-_ZN4vllm25paged_attention_v2_kernelI14__hip_bfloat16hLi96ELi32ELi128ELNS_18Fp8KVCacheDataTypeE1ELb0ELi512EEEvPfS3_PT_PKS4_PKT0_SA_ifPKiSC_iPKfiiiSE_SE_iiiii
                                        ; -- End function
	.set _ZN4vllm25paged_attention_v2_kernelI14__hip_bfloat16hLi96ELi32ELi128ELNS_18Fp8KVCacheDataTypeE1ELb0ELi512EEEvPfS3_PT_PKS4_PKT0_SA_ifPKiSC_iPKfiiiSE_SE_iiiii.num_vgpr, 192
	.set _ZN4vllm25paged_attention_v2_kernelI14__hip_bfloat16hLi96ELi32ELi128ELNS_18Fp8KVCacheDataTypeE1ELb0ELi512EEEvPfS3_PT_PKS4_PKT0_SA_ifPKiSC_iPKfiiiSE_SE_iiiii.num_agpr, 0
	.set _ZN4vllm25paged_attention_v2_kernelI14__hip_bfloat16hLi96ELi32ELi128ELNS_18Fp8KVCacheDataTypeE1ELb0ELi512EEEvPfS3_PT_PKS4_PKT0_SA_ifPKiSC_iPKfiiiSE_SE_iiiii.numbered_sgpr, 38
	.set _ZN4vllm25paged_attention_v2_kernelI14__hip_bfloat16hLi96ELi32ELi128ELNS_18Fp8KVCacheDataTypeE1ELb0ELi512EEEvPfS3_PT_PKS4_PKT0_SA_ifPKiSC_iPKfiiiSE_SE_iiiii.num_named_barrier, 0
	.set _ZN4vllm25paged_attention_v2_kernelI14__hip_bfloat16hLi96ELi32ELi128ELNS_18Fp8KVCacheDataTypeE1ELb0ELi512EEEvPfS3_PT_PKS4_PKT0_SA_ifPKiSC_iPKfiiiSE_SE_iiiii.private_seg_size, 112
	.set _ZN4vllm25paged_attention_v2_kernelI14__hip_bfloat16hLi96ELi32ELi128ELNS_18Fp8KVCacheDataTypeE1ELb0ELi512EEEvPfS3_PT_PKS4_PKT0_SA_ifPKiSC_iPKfiiiSE_SE_iiiii.uses_vcc, 1
	.set _ZN4vllm25paged_attention_v2_kernelI14__hip_bfloat16hLi96ELi32ELi128ELNS_18Fp8KVCacheDataTypeE1ELb0ELi512EEEvPfS3_PT_PKS4_PKT0_SA_ifPKiSC_iPKfiiiSE_SE_iiiii.uses_flat_scratch, 1
	.set _ZN4vllm25paged_attention_v2_kernelI14__hip_bfloat16hLi96ELi32ELi128ELNS_18Fp8KVCacheDataTypeE1ELb0ELi512EEEvPfS3_PT_PKS4_PKT0_SA_ifPKiSC_iPKfiiiSE_SE_iiiii.has_dyn_sized_stack, 0
	.set _ZN4vllm25paged_attention_v2_kernelI14__hip_bfloat16hLi96ELi32ELi128ELNS_18Fp8KVCacheDataTypeE1ELb0ELi512EEEvPfS3_PT_PKS4_PKT0_SA_ifPKiSC_iPKfiiiSE_SE_iiiii.has_recursion, 0
	.set _ZN4vllm25paged_attention_v2_kernelI14__hip_bfloat16hLi96ELi32ELi128ELNS_18Fp8KVCacheDataTypeE1ELb0ELi512EEEvPfS3_PT_PKS4_PKT0_SA_ifPKiSC_iPKfiiiSE_SE_iiiii.has_indirect_call, 0
	.section	.AMDGPU.csdata,"",@progbits
; Kernel info:
; codeLenInByte = 30524
; TotalNumSgprs: 40
; NumVgprs: 192
; ScratchSize: 112
; MemoryBound: 0
; FloatMode: 240
; IeeeMode: 1
; LDSByteSize: 224 bytes/workgroup (compile time only)
; SGPRBlocks: 0
; VGPRBlocks: 23
; NumSGPRsForWavesPerEU: 40
; NumVGPRsForWavesPerEU: 192
; Occupancy: 8
; WaveLimiterHint : 1
; COMPUTE_PGM_RSRC2:SCRATCH_EN: 1
; COMPUTE_PGM_RSRC2:USER_SGPR: 2
; COMPUTE_PGM_RSRC2:TRAP_HANDLER: 0
; COMPUTE_PGM_RSRC2:TGID_X_EN: 1
; COMPUTE_PGM_RSRC2:TGID_Y_EN: 1
; COMPUTE_PGM_RSRC2:TGID_Z_EN: 1
; COMPUTE_PGM_RSRC2:TIDIG_COMP_CNT: 0
	.section	.text._ZN4vllm25paged_attention_v2_kernelI14__hip_bfloat16hLi112ELi32ELi128ELNS_18Fp8KVCacheDataTypeE1ELb0ELi512EEEvPfS3_PT_PKS4_PKT0_SA_ifPKiSC_iPKfiiiSE_SE_iiiii,"axG",@progbits,_ZN4vllm25paged_attention_v2_kernelI14__hip_bfloat16hLi112ELi32ELi128ELNS_18Fp8KVCacheDataTypeE1ELb0ELi512EEEvPfS3_PT_PKS4_PKT0_SA_ifPKiSC_iPKfiiiSE_SE_iiiii,comdat
	.protected	_ZN4vllm25paged_attention_v2_kernelI14__hip_bfloat16hLi112ELi32ELi128ELNS_18Fp8KVCacheDataTypeE1ELb0ELi512EEEvPfS3_PT_PKS4_PKT0_SA_ifPKiSC_iPKfiiiSE_SE_iiiii ; -- Begin function _ZN4vllm25paged_attention_v2_kernelI14__hip_bfloat16hLi112ELi32ELi128ELNS_18Fp8KVCacheDataTypeE1ELb0ELi512EEEvPfS3_PT_PKS4_PKT0_SA_ifPKiSC_iPKfiiiSE_SE_iiiii
	.globl	_ZN4vllm25paged_attention_v2_kernelI14__hip_bfloat16hLi112ELi32ELi128ELNS_18Fp8KVCacheDataTypeE1ELb0ELi512EEEvPfS3_PT_PKS4_PKT0_SA_ifPKiSC_iPKfiiiSE_SE_iiiii
	.p2align	8
	.type	_ZN4vllm25paged_attention_v2_kernelI14__hip_bfloat16hLi112ELi32ELi128ELNS_18Fp8KVCacheDataTypeE1ELb0ELi512EEEvPfS3_PT_PKS4_PKT0_SA_ifPKiSC_iPKfiiiSE_SE_iiiii,@function
_ZN4vllm25paged_attention_v2_kernelI14__hip_bfloat16hLi112ELi32ELi128ELNS_18Fp8KVCacheDataTypeE1ELb0ELi512EEEvPfS3_PT_PKS4_PKT0_SA_ifPKiSC_iPKfiiiSE_SE_iiiii: ; @_ZN4vllm25paged_attention_v2_kernelI14__hip_bfloat16hLi112ELi32ELi128ELNS_18Fp8KVCacheDataTypeE1ELb0ELi512EEEvPfS3_PT_PKS4_PKT0_SA_ifPKiSC_iPKfiiiSE_SE_iiiii
; %bb.0:
	s_load_b64 s[2:3], s[0:1], 0x40
	s_and_b32 s15, ttmp7, 0xffff
	s_lshr_b32 s26, ttmp7, 16
	s_lshl_b32 s4, s15, 2
	s_lshl_b32 s28, s26, 9
	s_wait_kmcnt 0x0
	s_load_b32 s27, s[2:3], s4 offset:0x0
	s_wait_kmcnt 0x0
	s_cmp_ge_i32 s28, s27
	s_cbranch_scc1 .LBB362_98
; %bb.1:
	s_clause 0x1
	s_load_b32 s29, s[0:1], 0x90
	s_load_b64 s[8:9], s[0:1], 0x30
	v_mov_b32_e32 v167, v0
	s_wait_kmcnt 0x0
	s_abs_i32 s5, s29
	s_abs_i32 s2, s8
	s_delay_alu instid0(SALU_CYCLE_1) | instskip(SKIP_1) | instid1(SALU_CYCLE_2)
	s_cvt_f32_u32 s3, s2
	s_sub_co_i32 s4, 0, s2
	v_rcp_iflag_f32_e32 v0, s3
	s_delay_alu instid0(TRANS32_DEP_1) | instskip(SKIP_2) | instid1(SALU_CYCLE_2)
	v_readfirstlane_b32 s3, v0
	s_mul_f32 s3, s3, 0x4f7ffffe
	s_wait_alu 0xfffe
	s_cvt_u32_f32 s3, s3
	s_wait_alu 0xfffe
	s_delay_alu instid0(SALU_CYCLE_2) | instskip(NEXT) | instid1(SALU_CYCLE_1)
	s_mul_i32 s4, s4, s3
	s_mul_hi_u32 s4, s3, s4
	s_delay_alu instid0(SALU_CYCLE_1)
	s_add_co_i32 s3, s3, s4
	s_xor_b32 s4, s29, s8
	s_wait_alu 0xfffe
	s_mul_hi_u32 s3, s5, s3
	s_ashr_i32 s4, s4, 31
	s_wait_alu 0xfffe
	s_mul_i32 s6, s3, s2
	s_delay_alu instid0(SALU_CYCLE_1)
	s_sub_co_i32 s5, s5, s6
	s_add_co_i32 s6, s3, 1
	s_sub_co_i32 s7, s5, s2
	s_cmp_ge_u32 s5, s2
	s_cselect_b32 s3, s6, s3
	s_cselect_b32 s5, s7, s5
	s_wait_alu 0xfffe
	s_add_co_i32 s6, s3, 1
	s_cmp_ge_u32 s5, s2
	s_cselect_b32 s2, s6, s3
	s_load_b64 s[6:7], s[0:1], 0x50
	s_xor_b32 s2, s2, s4
	s_mov_b32 s3, 0
	s_wait_alu 0xfffe
	s_sub_co_i32 s11, s2, s4
	s_mov_b32 s8, s3
	s_abs_i32 s10, s11
	s_delay_alu instid0(SALU_CYCLE_1) | instskip(SKIP_1) | instid1(SALU_CYCLE_2)
	s_cvt_f32_u32 s2, s10
	s_wait_alu 0xfffe
	v_rcp_iflag_f32_e32 v0, s2
	s_delay_alu instid0(TRANS32_DEP_1) | instskip(SKIP_2) | instid1(SALU_CYCLE_2)
	v_readfirstlane_b32 s2, v0
	s_mul_f32 s2, s2, 0x4f7ffffe
	s_wait_alu 0xfffe
	s_cvt_u32_f32 s4, s2
	s_sub_co_i32 s2, 0, s10
	s_wait_alu 0xfffe
	s_delay_alu instid0(SALU_CYCLE_1)
	s_mul_i32 s2, s2, s4
	s_wait_alu 0xfffe
	s_mul_hi_u32 s5, s4, s2
	s_abs_i32 s2, ttmp9
	s_add_co_i32 s4, s4, s5
	s_mov_b32 s5, s3
	s_wait_kmcnt 0x0
	s_cmp_eq_u64 s[6:7], 0
	s_cbranch_scc1 .LBB362_3
; %bb.2:
	s_mov_b32 s12, ttmp9
	s_ashr_i32 s13, ttmp9, 31
	s_delay_alu instid0(SALU_CYCLE_1) | instskip(NEXT) | instid1(SALU_CYCLE_1)
	s_lshl_b64 s[12:13], s[12:13], 2
	s_add_nc_u64 s[6:7], s[6:7], s[12:13]
	s_load_b32 s8, s[6:7], 0x0
.LBB362_3:
	s_load_b96 s[12:14], s[0:1], 0x58
	s_mul_u64 s[4:5], s[2:3], s[4:5]
	s_ashr_i32 s3, ttmp9, 31
	s_ashr_i32 s4, s11, 31
	s_mul_i32 s16, ttmp9, 0x70
	s_mov_b32 s6, exec_lo
	v_cmpx_gt_u32_e32 14, v167
	s_cbranch_execz .LBB362_5
; %bb.4:
	s_load_b64 s[18:19], s[0:1], 0x18
	s_wait_kmcnt 0x0
	s_mul_i32 s20, s12, s15
	s_ashr_i32 s17, s16, 31
	s_ashr_i32 s21, s20, 31
	v_lshlrev_b32_e32 v4, 4, v167
	s_lshl_b64 s[20:21], s[20:21], 1
	s_delay_alu instid0(SALU_CYCLE_1) | instskip(SKIP_1) | instid1(SALU_CYCLE_1)
	s_add_nc_u64 s[18:19], s[18:19], s[20:21]
	s_lshl_b64 s[20:21], s[16:17], 1
	s_add_nc_u64 s[18:19], s[18:19], s[20:21]
	global_load_b128 v[0:3], v4, s[18:19]
	s_wait_loadcnt 0x0
	ds_store_b128 v4, v[0:3]
.LBB362_5:
	s_or_b32 exec_lo, exec_lo, s6
	s_add_co_i32 s6, s27, 31
	s_lshl_b32 s31, s26, 4
	s_ashr_i32 s7, s6, 31
	s_wait_alu 0xfffe
	s_xor_b32 s3, s3, s4
	s_lshr_b32 s7, s7, 27
	s_add_co_i32 s4, s31, 16
	s_add_co_i32 s6, s6, s7
	s_clause 0x1
	s_load_b64 s[18:19], s[0:1], 0x38
	s_load_b32 s11, s[0:1], 0x48
	s_ashr_i32 s30, s6, 5
	s_mul_i32 s6, s5, s10
	s_min_i32 s17, s4, s30
	s_sub_co_i32 s2, s2, s6
	s_add_co_i32 s4, s5, 1
	s_wait_alu 0xfffe
	s_sub_co_i32 s6, s2, s10
	s_cmp_ge_u32 s2, s10
	v_lshrrev_b32_e32 v168, 5, v167
	s_cselect_b32 s20, s4, s5
	s_cselect_b32 s2, s6, s2
	s_wait_kmcnt 0x0
	s_clause 0x1
	s_load_b32 s12, s[0:1], 0x98
	s_load_b128 s[4:7], s[0:1], 0x68
	s_add_co_i32 s21, s20, 1
	s_cmp_ge_u32 s2, s10
	v_dual_mov_b32 v116, 0xff7fffff :: v_dual_and_b32 v169, 31, v167
	v_add_nc_u32_e32 v17, s31, v168
	s_cselect_b32 s2, s21, s20
	s_wait_dscnt 0x0
	s_wait_alu 0xfffe
	s_xor_b32 s2, s2, s3
	v_lshlrev_b32_e32 v22, 2, v169
	s_wait_alu 0xfffe
	s_sub_co_i32 s3, s2, s3
	v_cmp_gt_i32_e64 s2, s17, v17
	v_lshlrev_b32_e32 v37, 2, v17
	s_mul_i32 s20, s11, s15
	s_wait_alu 0xfffe
	s_mul_i32 s22, s3, s14
	s_ashr_i32 s21, s20, 31
	s_barrier_signal -1
	s_barrier_wait -1
	global_inv scope:SCOPE_SE
	s_and_saveexec_b32 s10, s2
	s_cbranch_execz .LBB362_9
; %bb.6:
	v_mov_b32_e32 v16, 0
	scratch_store_b32 off, v167, off offset:244 ; 4-byte Folded Spill
	s_load_b64 s[24:25], s[0:1], 0x20
	s_ashr_i32 s23, s22, 31
	s_cmp_neq_f32 s8, 0
	ds_load_b128 v[0:3], v16
	ds_load_b128 v[4:7], v16 offset:16
	ds_load_b128 v[8:11], v16 offset:32
	;; [unrolled: 1-line block ×4, first 2 shown]
	s_wait_kmcnt 0x0
	s_load_b32 s5, s[4:5], 0x0
	s_mov_b32 s14, s13
	s_cselect_b32 vcc_lo, -1, 0
	s_mov_b32 s11, 0
	v_dual_mov_b32 v127, v17 :: v_dual_mov_b32 v116, 0xff7fffff
	s_wait_dscnt 0x4
	v_lshlrev_b32_e32 v23, 16, v0
	v_and_b32_e32 v0, 0xffff0000, v0
	s_add_nc_u64 s[24:25], s[24:25], s[22:23]
	s_sub_co_i32 s23, 1, s27
	s_clause 0x1
	scratch_store_b32 off, v23, off
	scratch_store_b32 off, v0, off offset:4
	v_lshlrev_b32_e32 v0, 16, v1
	scratch_store_b32 off, v0, off offset:8 ; 4-byte Folded Spill
	v_and_b32_e32 v0, 0xffff0000, v1
	scratch_store_b32 off, v0, off offset:12 ; 4-byte Folded Spill
	v_lshlrev_b32_e32 v0, 16, v2
	scratch_store_b32 off, v0, off offset:16 ; 4-byte Folded Spill
	v_and_b32_e32 v0, 0xffff0000, v2
	scratch_store_b32 off, v0, off offset:20 ; 4-byte Folded Spill
	;; [unrolled: 4-line block ×3, first 2 shown]
	s_wait_dscnt 0x3
	v_lshlrev_b32_e32 v0, 16, v4
	scratch_store_b32 off, v0, off offset:32 ; 4-byte Folded Spill
	v_and_b32_e32 v0, 0xffff0000, v4
	s_wait_dscnt 0x2
	v_and_b32_e32 v4, 0xffff0000, v11
	s_clause 0x1
	scratch_store_b32 off, v0, off offset:36
	scratch_store_b32 off, v4, off offset:92
	v_lshlrev_b32_e32 v0, 16, v5
	s_wait_dscnt 0x1
	v_lshlrev_b32_e32 v4, 16, v12
	s_clause 0x1
	scratch_store_b32 off, v0, off offset:40
	scratch_store_b32 off, v4, off offset:96
	v_and_b32_e32 v0, 0xffff0000, v5
	v_and_b32_e32 v4, 0xffff0000, v12
	s_wait_dscnt 0x0
	v_and_b32_e32 v12, 0xffff0000, v21
	s_clause 0x2
	scratch_store_b32 off, v0, off offset:44
	scratch_store_b32 off, v4, off offset:100
	;; [unrolled: 1-line block ×3, first 2 shown]
	v_lshlrev_b32_e32 v0, 16, v6
	v_lshlrev_b32_e32 v4, 16, v13
	s_clause 0x1
	scratch_store_b32 off, v0, off offset:48
	scratch_store_b32 off, v4, off offset:104
	v_and_b32_e32 v0, 0xffff0000, v6
	v_and_b32_e32 v4, 0xffff0000, v13
	s_clause 0x1
	scratch_store_b32 off, v0, off offset:52
	scratch_store_b32 off, v4, off offset:108
	v_lshlrev_b32_e32 v0, 16, v7
	v_lshlrev_b32_e32 v4, 16, v14
	s_clause 0x1
	scratch_store_b32 off, v0, off offset:56
	scratch_store_b32 off, v4, off offset:112
	v_and_b32_e32 v0, 0xffff0000, v7
	v_and_b32_e32 v4, 0xffff0000, v14
	s_clause 0x1
	scratch_store_b32 off, v0, off offset:60
	scratch_store_b32 off, v4, off offset:116
	v_lshlrev_b32_e32 v0, 16, v8
	v_lshlrev_b32_e32 v4, 16, v15
	scratch_store_b32 off, v0, off offset:64 ; 4-byte Folded Spill
	v_and_b32_e32 v0, 0xffff0000, v8
	v_and_b32_e32 v8, 0xffff0000, v15
	s_clause 0x1
	scratch_store_b32 off, v0, off offset:68
	scratch_store_b32 off, v8, off offset:124
	v_lshlrev_b32_e32 v0, 16, v9
	v_lshlrev_b32_e32 v8, 16, v18
	s_clause 0x1
	scratch_store_b32 off, v0, off offset:72
	scratch_store_b32 off, v8, off offset:128
	v_and_b32_e32 v0, 0xffff0000, v9
	v_and_b32_e32 v8, 0xffff0000, v18
	s_clause 0x1
	scratch_store_b32 off, v0, off offset:76
	scratch_store_b32 off, v8, off offset:132
	v_lshlrev_b32_e32 v0, 16, v10
	v_lshlrev_b32_e32 v8, 16, v19
	s_clause 0x1
	scratch_store_b32 off, v0, off offset:80
	scratch_store_b32 off, v8, off offset:136
	;; [unrolled: 10-line block ×3, first 2 shown]
	ds_load_b128 v[0:3], v16 offset:80
	v_and_b32_e32 v8, 0xffff0000, v20
	scratch_store_b32 off, v4, off offset:120 ; 4-byte Folded Spill
	ds_load_b128 v[4:7], v16 offset:96
	s_wait_dscnt 0x1
	v_lshlrev_b32_e32 v12, 16, v0
	scratch_store_b32 off, v8, off offset:148 ; 4-byte Folded Spill
	v_lshlrev_b32_e32 v8, 16, v21
	v_and_b32_e32 v0, 0xffff0000, v0
	s_clause 0x1
	scratch_store_b32 off, v8, off offset:152
	scratch_store_b32 off, v0, off offset:164
	v_lshlrev_b32_e32 v0, 16, v1
	scratch_store_b32 off, v12, off offset:160 ; 4-byte Folded Spill
	ds_load_b128 v[8:11], v16 offset:112
	ds_load_b128 v[12:15], v16 offset:128
	scratch_store_b32 off, v0, off offset:168 ; 4-byte Folded Spill
	v_and_b32_e32 v0, 0xffff0000, v1
	scratch_store_b32 off, v0, off offset:172 ; 4-byte Folded Spill
	v_lshlrev_b32_e32 v0, 16, v2
	scratch_store_b32 off, v0, off offset:176 ; 4-byte Folded Spill
	v_and_b32_e32 v0, 0xffff0000, v2
	s_wait_dscnt 0x1
	v_and_b32_e32 v73, 0xffff0000, v10
	scratch_store_b32 off, v0, off offset:180 ; 4-byte Folded Spill
	v_lshlrev_b32_e32 v0, 16, v3
	v_lshlrev_b32_e32 v74, 16, v11
	v_and_b32_e32 v75, 0xffff0000, v11
	s_wait_dscnt 0x0
	v_lshlrev_b32_e32 v76, 16, v12
	v_and_b32_e32 v77, 0xffff0000, v12
	scratch_store_b32 off, v0, off offset:184 ; 4-byte Folded Spill
	v_and_b32_e32 v0, 0xffff0000, v3
	v_lshlrev_b32_e32 v78, 16, v13
	v_and_b32_e32 v79, 0xffff0000, v13
	v_lshlrev_b32_e32 v80, 16, v14
	v_and_b32_e32 v81, 0xffff0000, v14
	scratch_store_b32 off, v0, off offset:188 ; 4-byte Folded Spill
	v_lshlrev_b32_e32 v0, 16, v4
	v_lshlrev_b32_e32 v82, 16, v15
	v_and_b32_e32 v83, 0xffff0000, v15
	ds_load_b128 v[12:15], v16 offset:192
	scratch_store_b32 off, v0, off offset:192 ; 4-byte Folded Spill
	v_and_b32_e32 v0, 0xffff0000, v4
	v_and_b32_e32 v4, 0xffff0000, v6
	s_clause 0x1
	scratch_store_b32 off, v0, off offset:196
	scratch_store_b32 off, v4, off offset:212
	v_lshlrev_b32_e32 v0, 16, v5
	v_lshlrev_b32_e32 v4, 16, v7
	s_clause 0x1
	scratch_store_b32 off, v0, off offset:200
	scratch_store_b32 off, v4, off offset:216
	v_and_b32_e32 v0, 0xffff0000, v5
	v_and_b32_e32 v4, 0xffff0000, v7
	s_wait_dscnt 0x0
	v_lshlrev_b32_e32 v108, 16, v12
	v_and_b32_e32 v109, 0xffff0000, v12
	s_clause 0x1
	scratch_store_b32 off, v0, off offset:204
	scratch_store_b32 off, v4, off offset:220
	v_lshlrev_b32_e32 v0, 16, v6
	v_lshlrev_b32_e32 v4, 16, v8
	;; [unrolled: 1-line block ×3, first 2 shown]
	v_and_b32_e32 v111, 0xffff0000, v13
	v_lshlrev_b32_e32 v112, 16, v14
	s_clause 0x1
	scratch_store_b32 off, v0, off offset:208
	scratch_store_b32 off, v4, off offset:224
	ds_load_b128 v[0:3], v16 offset:144
	v_and_b32_e32 v4, 0xffff0000, v8
	v_and_b32_e32 v113, 0xffff0000, v14
	v_lshlrev_b32_e32 v114, 16, v15
	v_and_b32_e32 v115, 0xffff0000, v15
	scratch_store_b32 off, v4, off offset:228 ; 4-byte Folded Spill
	v_lshlrev_b32_e32 v4, 16, v9
	scratch_store_b32 off, v4, off offset:232 ; 4-byte Folded Spill
	v_and_b32_e32 v4, 0xffff0000, v9
	scratch_store_b32 off, v4, off offset:236 ; 4-byte Folded Spill
	v_lshlrev_b32_e32 v4, 16, v10
	ds_load_b128 v[8:11], v16 offset:176
	scratch_store_b32 off, v4, off offset:240 ; 4-byte Folded Spill
	ds_load_b128 v[4:7], v16 offset:160
	s_wait_dscnt 0x2
	v_lshlrev_b32_e32 v84, 16, v0
	v_and_b32_e32 v85, 0xffff0000, v0
	v_lshlrev_b32_e32 v86, 16, v1
	v_and_b32_e32 v87, 0xffff0000, v1
	;; [unrolled: 2-line block ×4, first 2 shown]
	ds_load_b128 v[0:3], v16 offset:208
	s_clause 0x2
	scratch_store_b32 off, v168, off offset:248
	scratch_store_b32 off, v22, off offset:256
	;; [unrolled: 1-line block ×3, first 2 shown]
	s_wait_dscnt 0x2
	v_lshlrev_b32_e32 v100, 16, v8
	v_and_b32_e32 v101, 0xffff0000, v8
	v_lshlrev_b32_e32 v102, 16, v9
	v_and_b32_e32 v103, 0xffff0000, v9
	v_lshlrev_b32_e32 v104, 16, v10
	s_wait_dscnt 0x1
	v_lshlrev_b32_e32 v92, 16, v4
	v_and_b32_e32 v93, 0xffff0000, v4
	v_lshl_or_b32 v4, v168, 7, v22
	v_lshlrev_b32_e32 v94, 16, v5
	v_and_b32_e32 v95, 0xffff0000, v5
	v_lshlrev_b32_e32 v96, 16, v6
	v_and_b32_e32 v97, 0xffff0000, v6
	;; [unrolled: 2-line block ×3, first 2 shown]
	s_wait_dscnt 0x0
	v_lshlrev_b32_e32 v117, 16, v0
	v_and_b32_e32 v118, 0xffff0000, v0
	v_lshlrev_b32_e32 v0, 4, v169
	v_lshlrev_b32_e32 v119, 16, v1
	v_and_b32_e32 v120, 0xffff0000, v1
	v_lshlrev_b32_e32 v123, 16, v3
	v_and_b32_e32 v124, 0xffff0000, v3
	v_add_co_u32 v1, s3, s24, v0
	v_lshlrev_b32_e32 v3, 5, v168
	v_lshlrev_b32_e32 v121, 16, v2
	v_and_b32_e32 v122, 0xffff0000, v2
	s_wait_alu 0xf1ff
	v_add_co_ci_u32_e64 v2, null, s25, 0, s3
	s_lshl_b64 s[24:25], s[20:21], 2
	v_add3_u32 v125, s28, v3, v169
	s_wait_alu 0xfffe
	s_add_nc_u64 s[24:25], s[18:19], s[24:25]
	v_and_b32_e32 v105, 0xffff0000, v10
	s_wait_alu 0xfffe
	v_add_co_u32 v3, s3, s24, v37
	v_lshlrev_b32_e32 v106, 16, v11
	v_and_b32_e32 v107, 0xffff0000, v11
	v_add_nc_u32_e32 v126, 0x100, v4
	s_wait_alu 0xf1ff
	v_add_co_ci_u32_e64 v4, null, s25, 0, s3
.LBB362_7:                              ; =>This Inner Loop Header: Depth=1
	global_load_b32 v0, v[3:4], off
	v_add_nc_u32_e32 v127, 4, v127
	s_delay_alu instid0(VALU_DEP_1)
	v_cmp_le_i32_e64 s4, s17, v127
	s_or_b32 s11, s4, s11
	s_wait_loadcnt 0x0
	v_mad_co_i64_i32 v[5:6], null, v0, s14, v[1:2]
	s_clause 0x3
	global_load_b128 v[7:10], v[5:6], off
	global_load_b128 v[18:21], v[5:6], off offset:2048
	global_load_b128 v[54:57], v[5:6], off offset:2560
	;; [unrolled: 1-line block ×3, first 2 shown]
	s_wait_loadcnt 0x3
	v_bfe_u32 v128, v7, 16, 8
	v_bfe_u32 v132, v8, 16, 8
	v_and_b32_e32 v143, 0xff, v7
	v_bfe_u32 v142, v7, 8, 8
	v_lshrrev_b32_e32 v129, 24, v7
	v_and_b32_e32 v130, 0xff, v8
	v_bfe_u32 v131, v8, 8, 8
	v_lshrrev_b32_e32 v133, 24, v8
	v_bfe_u32 v140, v9, 8, 8
	v_bfe_u32 v139, v9, 16, 8
	v_lshrrev_b32_e32 v138, 24, v9
	v_bfe_u32 v136, v10, 8, 8
	v_bfe_u32 v135, v10, 16, 8
	v_lshrrev_b32_e32 v134, 24, v10
	v_cvt_f32_fp8_e32 v128, v128
	v_and_b32_e32 v141, 0xff, v9
	v_cvt_f32_fp8_e32 v132, v132
	v_and_b32_e32 v137, 0xff, v10
	global_load_b128 v[7:10], v[5:6], off offset:512
	v_cvt_f32_fp8_e32 v129, v129
	v_cvt_f32_fp8_e32 v133, v133
	;; [unrolled: 1-line block ×3, first 2 shown]
	s_wait_kmcnt 0x0
	v_mul_f32_e32 v132, s5, v132
	v_cvt_f32_fp8_e32 v137, v137
	v_cvt_f32_fp8_e32 v135, v135
	v_dual_mul_f32 v128, s5, v128 :: v_dual_mul_f32 v129, s5, v129
	v_cvt_f32_fp8_e32 v131, v131
	v_mul_f32_e32 v133, s5, v133
	v_cvt_f32_fp8_e32 v141, v141
	v_cvt_f32_fp8_e32 v140, v140
	v_mul_f32_e32 v139, s5, v139
	v_mul_f32_e32 v131, s5, v131
	v_cvt_f32_fp8_e32 v138, v138
	s_delay_alu instid0(VALU_DEP_4) | instskip(SKIP_2) | instid1(VALU_DEP_4)
	v_dual_mul_f32 v141, s5, v141 :: v_dual_mul_f32 v140, s5, v140
	v_mul_f32_e32 v137, s5, v137
	v_cvt_f32_fp8_e32 v136, v136
	v_dual_mul_f32 v138, s5, v138 :: v_dual_mul_f32 v135, s5, v135
	v_cvt_f32_fp8_e32 v134, v134
	s_wait_loadcnt 0x3
	s_delay_alu instid0(VALU_DEP_3)
	v_dual_mul_f32 v136, s5, v136 :: v_dual_and_b32 v31, 0xff, v19
	v_bfe_u32 v39, v18, 8, 8
	v_bfe_u32 v36, v18, 16, 8
	v_mul_f32_e32 v134, s5, v134
	v_lshrrev_b32_e32 v33, 24, v18
	s_wait_loadcnt 0x2
	v_bfe_u32 v43, v54, 8, 8
	v_bfe_u32 v44, v54, 16, 8
	v_lshrrev_b32_e32 v45, 24, v54
	s_wait_loadcnt 0x1
	v_bfe_u32 v59, v175, 8, 8
	v_bfe_u32 v60, v175, 16, 8
	v_lshrrev_b32_e32 v61, 24, v175
	v_bfe_u32 v63, v176, 8, 8
	v_bfe_u32 v64, v176, 16, 8
	v_lshrrev_b32_e32 v65, 24, v176
	;; [unrolled: 3-line block ×5, first 2 shown]
	v_bfe_u32 v19, v21, 8, 8
	v_bfe_u32 v47, v55, 8, 8
	;; [unrolled: 1-line block ×3, first 2 shown]
	v_lshrrev_b32_e32 v49, 24, v55
	v_bfe_u32 v51, v56, 8, 8
	v_cvt_f32_fp8_e32 v19, v19
	v_bfe_u32 v52, v56, 16, 8
	v_lshrrev_b32_e32 v53, 24, v56
	s_delay_alu instid0(VALU_DEP_3)
	v_mul_f32_e32 v19, s5, v19
	s_wait_loadcnt 0x0
	v_and_b32_e32 v144, 0xff, v7
	v_bfe_u32 v145, v7, 8, 8
	v_bfe_u32 v146, v7, 16, 8
	v_lshrrev_b32_e32 v147, 24, v7
	v_and_b32_e32 v152, 0xff, v9
	v_bfe_u32 v153, v9, 8, 8
	v_bfe_u32 v154, v9, 16, 8
	v_lshrrev_b32_e32 v155, 24, v9
	;; [unrolled: 4-line block ×3, first 2 shown]
	global_load_b128 v[9:12], v[5:6], off offset:1024
	v_and_b32_e32 v148, 0xff, v8
	v_bfe_u32 v149, v8, 8, 8
	v_bfe_u32 v150, v8, 16, 8
	v_lshrrev_b32_e32 v151, 24, v8
	v_cvt_f32_fp8_e32 v7, v7
	s_delay_alu instid0(VALU_DEP_1)
	v_dual_mul_f32 v7, s5, v7 :: v_dual_and_b32 v62, 0xff, v176
	s_wait_loadcnt 0x0
	v_and_b32_e32 v166, 0xff, v11
	v_bfe_u32 v167, v11, 8, 8
	v_bfe_u32 v168, v11, 16, 8
	v_lshrrev_b32_e32 v169, 24, v11
	v_and_b32_e32 v172, 0xff, v12
	v_bfe_u32 v173, v12, 8, 8
	v_bfe_u32 v174, v12, 16, 8
	v_lshrrev_b32_e32 v170, 24, v12
	global_load_b128 v[11:14], v[5:6], off offset:1536
	v_cvt_f32_fp8_e32 v5, v143
	v_and_b32_e32 v162, 0xff, v10
	v_bfe_u32 v8, v9, 8, 8
	v_bfe_u32 v160, v9, 16, 8
	v_lshrrev_b32_e32 v161, 24, v9
	v_mul_f32_e32 v5, s5, v5
	v_cvt_f32_fp8_e32 v130, v130
	v_and_b32_e32 v15, 0xff, v9
	v_bfe_u32 v163, v10, 8, 8
	v_bfe_u32 v164, v10, 16, 8
	;; [unrolled: 1-line block ×3, first 2 shown]
	v_cmp_u_f32_e64 s3, v5, v5
	v_mul_f32_e32 v130, s5, v130
	v_lshrrev_b32_e32 v165, 24, v10
	s_delay_alu instid0(VALU_DEP_4) | instskip(SKIP_2) | instid1(VALU_DEP_1)
	v_add3_u32 v6, v6, v5, 0x7fff
	v_or_b32_e32 v5, 0x400000, v5
	s_wait_alu 0xf1ff
	v_cndmask_b32_e64 v5, v6, v5, s3
	v_cvt_f32_fp8_e32 v6, v142
	s_delay_alu instid0(VALU_DEP_1) | instskip(NEXT) | instid1(VALU_DEP_1)
	v_mul_f32_e32 v6, s5, v6
	v_bfe_u32 v142, v6, 16, 1
	v_cmp_u_f32_e64 s3, v6, v6
	s_delay_alu instid0(VALU_DEP_2) | instskip(SKIP_2) | instid1(VALU_DEP_1)
	v_add3_u32 v142, v142, v6, 0x7fff
	v_or_b32_e32 v6, 0x400000, v6
	s_wait_alu 0xf1ff
	v_cndmask_b32_e64 v6, v142, v6, s3
	v_bfe_u32 v142, v128, 16, 1
	v_cmp_u_f32_e64 s3, v128, v128
	s_delay_alu instid0(VALU_DEP_2) | instskip(SKIP_2) | instid1(VALU_DEP_1)
	v_add3_u32 v142, v142, v128, 0x7fff
	v_or_b32_e32 v128, 0x400000, v128
	s_wait_alu 0xf1ff
	v_cndmask_b32_e64 v128, v142, v128, s3
	;; [unrolled: 7-line block ×15, first 2 shown]
	v_cvt_f32_fp8_e32 v142, v144
	s_delay_alu instid0(VALU_DEP_1) | instskip(NEXT) | instid1(VALU_DEP_1)
	v_mul_f32_e32 v142, s5, v142
	v_bfe_u32 v143, v142, 16, 1
	v_cmp_u_f32_e64 s3, v142, v142
	s_delay_alu instid0(VALU_DEP_2) | instskip(SKIP_2) | instid1(VALU_DEP_1)
	v_add3_u32 v143, v143, v142, 0x7fff
	v_or_b32_e32 v142, 0x400000, v142
	s_wait_alu 0xf1ff
	v_cndmask_b32_e64 v142, v143, v142, s3
	v_cvt_f32_fp8_e32 v143, v145
	s_delay_alu instid0(VALU_DEP_1) | instskip(NEXT) | instid1(VALU_DEP_1)
	v_dual_mul_f32 v143, s5, v143 :: v_dual_and_b32 v42, 0xff, v54
	v_bfe_u32 v144, v143, 16, 1
	v_cmp_u_f32_e64 s3, v143, v143
	s_delay_alu instid0(VALU_DEP_2) | instskip(SKIP_2) | instid1(VALU_DEP_1)
	v_add3_u32 v144, v144, v143, 0x7fff
	v_or_b32_e32 v143, 0x400000, v143
	s_wait_alu 0xf1ff
	v_cndmask_b32_e64 v143, v144, v143, s3
	v_cvt_f32_fp8_e32 v144, v146
	s_delay_alu instid0(VALU_DEP_1) | instskip(NEXT) | instid1(VALU_DEP_1)
	v_dual_mul_f32 v144, s5, v144 :: v_dual_and_b32 v41, 0xff, v18
	v_bfe_u32 v145, v144, 16, 1
	v_cmp_u_f32_e64 s3, v144, v144
	s_delay_alu instid0(VALU_DEP_2) | instskip(SKIP_2) | instid1(VALU_DEP_1)
	v_add3_u32 v145, v145, v144, 0x7fff
	v_or_b32_e32 v144, 0x400000, v144
	s_wait_alu 0xf1ff
	v_cndmask_b32_e64 v144, v145, v144, s3
	v_cvt_f32_fp8_e32 v145, v147
	s_delay_alu instid0(VALU_DEP_1) | instskip(NEXT) | instid1(VALU_DEP_1)
	v_mul_f32_e32 v145, s5, v145
	v_bfe_u32 v146, v145, 16, 1
	v_cmp_u_f32_e64 s3, v145, v145
	s_delay_alu instid0(VALU_DEP_2) | instskip(SKIP_2) | instid1(VALU_DEP_1)
	v_add3_u32 v146, v146, v145, 0x7fff
	v_or_b32_e32 v145, 0x400000, v145
	s_wait_alu 0xf1ff
	v_cndmask_b32_e64 v145, v146, v145, s3
	v_cvt_f32_fp8_e32 v146, v148
	s_delay_alu instid0(VALU_DEP_1) | instskip(NEXT) | instid1(VALU_DEP_1)
	v_mul_f32_e32 v146, s5, v146
	v_bfe_u32 v147, v146, 16, 1
	v_cmp_u_f32_e64 s3, v146, v146
	s_delay_alu instid0(VALU_DEP_2)
	v_add3_u32 v147, v147, v146, 0x7fff
	v_or_b32_e32 v146, 0x400000, v146
	s_wait_loadcnt 0x0
	v_and_b32_e32 v29, 0xff, v13
	v_and_b32_e32 v23, 0xff, v12
	;; [unrolled: 1-line block ×4, first 2 shown]
	v_bfe_u32 v9, v11, 8, 8
	v_bfe_u32 v10, v11, 16, 8
	v_lshrrev_b32_e32 v16, 24, v11
	v_and_b32_e32 v11, 0xff, v20
	s_wait_alu 0xf1ff
	v_cndmask_b32_e64 v146, v147, v146, s3
	v_cvt_f32_fp8_e32 v147, v149
	v_and_b32_e32 v18, 0xff, v21
	v_cvt_f32_fp8_e32 v0, v0
	v_bfe_u32 v24, v12, 8, 8
	v_bfe_u32 v26, v12, 16, 8
	v_mul_f32_e32 v147, s5, v147
	v_lshrrev_b32_e32 v27, 24, v12
	v_mul_f32_e32 v0, s5, v0
	v_bfe_u32 v30, v13, 8, 8
	v_bfe_u32 v32, v13, 16, 8
	;; [unrolled: 1-line block ×3, first 2 shown]
	v_cmp_u_f32_e64 s3, v147, v147
	v_cvt_f32_fp8_e32 v11, v11
	v_lshrrev_b32_e32 v34, 24, v13
	v_bfe_u32 v13, v20, 16, 8
	v_add3_u32 v148, v148, v147, 0x7fff
	v_or_b32_e32 v147, 0x400000, v147
	v_mul_f32_e32 v11, s5, v11
	v_bfe_u32 v37, v14, 8, 8
	v_cvt_f32_fp8_e32 v13, v13
	v_bfe_u32 v38, v14, 16, 8
	s_wait_alu 0xf1ff
	v_cndmask_b32_e64 v147, v148, v147, s3
	v_cvt_f32_fp8_e32 v148, v150
	v_lshrrev_b32_e32 v40, 24, v14
	v_mul_f32_e32 v13, s5, v13
	v_bfe_u32 v12, v20, 8, 8
	v_lshrrev_b32_e32 v14, 24, v20
	v_mul_f32_e32 v148, s5, v148
	v_bfe_u32 v20, v21, 16, 8
	v_lshrrev_b32_e32 v21, 24, v21
	v_cvt_f32_fp8_e32 v12, v12
	v_cvt_f32_fp8_e32 v14, v14
	v_bfe_u32 v149, v148, 16, 1
	v_cmp_u_f32_e64 s3, v148, v148
	v_cvt_f32_fp8_e32 v21, v21
	v_mul_f32_e32 v12, s5, v12
	v_mul_f32_e32 v14, s5, v14
	v_add3_u32 v149, v149, v148, 0x7fff
	v_or_b32_e32 v148, 0x400000, v148
	v_mul_f32_e32 v21, s5, v21
	v_cvt_f32_fp8_e32 v18, v18
	v_cvt_f32_fp8_e32 v20, v20
	s_wait_alu 0xf1ff
	v_cndmask_b32_e64 v148, v149, v148, s3
	v_cvt_f32_fp8_e32 v149, v151
	v_and_b32_e32 v46, 0xff, v55
	v_mul_f32_e32 v18, s5, v18
	v_mul_f32_e32 v20, s5, v20
	v_bfe_u32 v55, v57, 8, 8
	v_mul_f32_e32 v149, s5, v149
	s_delay_alu instid0(VALU_DEP_1) | instskip(SKIP_1) | instid1(VALU_DEP_2)
	v_bfe_u32 v150, v149, 16, 1
	v_cmp_u_f32_e64 s3, v149, v149
	v_add3_u32 v150, v150, v149, 0x7fff
	v_or_b32_e32 v149, 0x400000, v149
	s_wait_alu 0xf1ff
	s_delay_alu instid0(VALU_DEP_1) | instskip(SKIP_1) | instid1(VALU_DEP_1)
	v_cndmask_b32_e64 v149, v150, v149, s3
	v_cvt_f32_fp8_e32 v150, v152
	v_mul_f32_e32 v150, s5, v150
	s_delay_alu instid0(VALU_DEP_1) | instskip(SKIP_1) | instid1(VALU_DEP_2)
	v_bfe_u32 v151, v150, 16, 1
	v_cmp_u_f32_e64 s3, v150, v150
	v_add3_u32 v151, v151, v150, 0x7fff
	v_or_b32_e32 v150, 0x400000, v150
	s_wait_alu 0xf1ff
	s_delay_alu instid0(VALU_DEP_1) | instskip(SKIP_3) | instid1(VALU_DEP_3)
	v_cndmask_b32_e64 v150, v151, v150, s3
	v_cvt_f32_fp8_e32 v151, v153
	v_and_b32_e32 v50, 0xff, v56
	v_bfe_u32 v56, v57, 16, 8
	v_mul_f32_e32 v151, s5, v151
	s_delay_alu instid0(VALU_DEP_1) | instskip(SKIP_1) | instid1(VALU_DEP_2)
	v_bfe_u32 v152, v151, 16, 1
	v_cmp_u_f32_e64 s3, v151, v151
	v_add3_u32 v152, v152, v151, 0x7fff
	v_or_b32_e32 v151, 0x400000, v151
	s_wait_alu 0xf1ff
	s_delay_alu instid0(VALU_DEP_1) | instskip(SKIP_1) | instid1(VALU_DEP_1)
	v_cndmask_b32_e64 v151, v152, v151, s3
	v_cvt_f32_fp8_e32 v152, v154
	v_mul_f32_e32 v152, s5, v152
	s_delay_alu instid0(VALU_DEP_1) | instskip(SKIP_1) | instid1(VALU_DEP_2)
	v_bfe_u32 v153, v152, 16, 1
	v_cmp_u_f32_e64 s3, v152, v152
	v_add3_u32 v153, v153, v152, 0x7fff
	v_or_b32_e32 v152, 0x400000, v152
	s_wait_alu 0xf1ff
	s_delay_alu instid0(VALU_DEP_1) | instskip(SKIP_1) | instid1(VALU_DEP_1)
	v_cndmask_b32_e64 v152, v153, v152, s3
	v_cvt_f32_fp8_e32 v153, v155
	v_dual_mul_f32 v153, s5, v153 :: v_dual_and_b32 v58, 0xff, v175
	s_delay_alu instid0(VALU_DEP_1) | instskip(SKIP_1) | instid1(VALU_DEP_2)
	v_bfe_u32 v154, v153, 16, 1
	v_cmp_u_f32_e64 s3, v153, v153
	v_add3_u32 v154, v154, v153, 0x7fff
	v_or_b32_e32 v153, 0x400000, v153
	s_wait_alu 0xf1ff
	s_delay_alu instid0(VALU_DEP_1) | instskip(SKIP_1) | instid1(VALU_DEP_1)
	v_cndmask_b32_e64 v153, v154, v153, s3
	v_cvt_f32_fp8_e32 v154, v156
	v_mul_f32_e32 v154, s5, v154
	s_delay_alu instid0(VALU_DEP_1) | instskip(SKIP_1) | instid1(VALU_DEP_2)
	v_bfe_u32 v155, v154, 16, 1
	v_cmp_u_f32_e64 s3, v154, v154
	v_add3_u32 v155, v155, v154, 0x7fff
	v_or_b32_e32 v154, 0x400000, v154
	s_wait_alu 0xf1ff
	s_delay_alu instid0(VALU_DEP_1) | instskip(SKIP_3) | instid1(VALU_DEP_3)
	v_cndmask_b32_e64 v154, v155, v154, s3
	v_cvt_f32_fp8_e32 v155, v157
	v_and_b32_e32 v54, 0xff, v57
	v_lshrrev_b32_e32 v57, 24, v57
	v_mul_f32_e32 v155, s5, v155
	s_delay_alu instid0(VALU_DEP_1) | instskip(SKIP_1) | instid1(VALU_DEP_2)
	v_bfe_u32 v156, v155, 16, 1
	v_cmp_u_f32_e64 s3, v155, v155
	v_add3_u32 v156, v156, v155, 0x7fff
	v_or_b32_e32 v155, 0x400000, v155
	s_wait_alu 0xf1ff
	s_delay_alu instid0(VALU_DEP_1) | instskip(SKIP_2) | instid1(VALU_DEP_2)
	v_cndmask_b32_e64 v155, v156, v155, s3
	v_bfe_u32 v156, v7, 16, 1
	v_cmp_u_f32_e64 s3, v7, v7
	v_add3_u32 v156, v156, v7, 0x7fff
	v_or_b32_e32 v7, 0x400000, v7
	s_wait_alu 0xf1ff
	s_delay_alu instid0(VALU_DEP_1) | instskip(SKIP_1) | instid1(VALU_DEP_1)
	v_cndmask_b32_e64 v156, v156, v7, s3
	v_cvt_f32_fp8_e32 v7, v158
	v_dual_mul_f32 v7, s5, v7 :: v_dual_and_b32 v66, 0xff, v177
	s_delay_alu instid0(VALU_DEP_1) | instskip(SKIP_1) | instid1(VALU_DEP_2)
	v_bfe_u32 v157, v7, 16, 1
	v_cmp_u_f32_e64 s3, v7, v7
	v_add3_u32 v157, v157, v7, 0x7fff
	v_or_b32_e32 v7, 0x400000, v7
	s_wait_alu 0xf1ff
	s_delay_alu instid0(VALU_DEP_1) | instskip(SKIP_1) | instid1(VALU_DEP_1)
	v_cndmask_b32_e64 v157, v157, v7, s3
	v_cvt_f32_fp8_e32 v7, v15
	v_dual_mul_f32 v7, s5, v7 :: v_dual_and_b32 v70, 0xff, v178
	s_delay_alu instid0(VALU_DEP_1) | instskip(SKIP_1) | instid1(VALU_DEP_2)
	v_bfe_u32 v15, v7, 16, 1
	v_cmp_u_f32_e64 s3, v7, v7
	v_add3_u32 v15, v15, v7, 0x7fff
	v_or_b32_e32 v7, 0x400000, v7
	s_wait_alu 0xf1ff
	s_delay_alu instid0(VALU_DEP_1) | instskip(SKIP_1) | instid1(VALU_DEP_1)
	v_cndmask_b32_e64 v158, v15, v7, s3
	v_cvt_f32_fp8_e32 v7, v8
	v_mul_f32_e32 v7, s5, v7
	s_delay_alu instid0(VALU_DEP_1) | instskip(SKIP_1) | instid1(VALU_DEP_2)
	v_bfe_u32 v8, v7, 16, 1
	v_cmp_u_f32_e64 s3, v7, v7
	v_add3_u32 v8, v8, v7, 0x7fff
	v_or_b32_e32 v7, 0x400000, v7
	s_wait_alu 0xf1ff
	s_delay_alu instid0(VALU_DEP_1) | instskip(SKIP_1) | instid1(VALU_DEP_1)
	v_cndmask_b32_e64 v159, v8, v7, s3
	v_cvt_f32_fp8_e32 v7, v160
	v_mul_f32_e32 v7, s5, v7
	;; [unrolled: 10-line block ×15, first 2 shown]
	s_delay_alu instid0(VALU_DEP_1) | instskip(SKIP_1) | instid1(VALU_DEP_2)
	v_bfe_u32 v8, v7, 16, 1
	v_cmp_u_f32_e64 s3, v7, v7
	v_add3_u32 v8, v8, v7, 0x7fff
	v_or_b32_e32 v7, 0x400000, v7
	s_wait_alu 0xf1ff
	s_delay_alu instid0(VALU_DEP_1) | instskip(SKIP_2) | instid1(VALU_DEP_2)
	v_cndmask_b32_e64 v170, v8, v7, s3
	v_bfe_u32 v7, v0, 16, 1
	v_cmp_u_f32_e64 s3, v0, v0
	v_add3_u32 v7, v7, v0, 0x7fff
	v_or_b32_e32 v0, 0x400000, v0
	s_wait_alu 0xf1ff
	s_delay_alu instid0(VALU_DEP_1) | instskip(SKIP_1) | instid1(VALU_DEP_1)
	v_cndmask_b32_e64 v175, v7, v0, s3
	v_cvt_f32_fp8_e32 v0, v9
	v_mul_f32_e32 v0, s5, v0
	s_delay_alu instid0(VALU_DEP_1) | instskip(SKIP_1) | instid1(VALU_DEP_2)
	v_bfe_u32 v7, v0, 16, 1
	v_cmp_u_f32_e64 s3, v0, v0
	v_add3_u32 v7, v7, v0, 0x7fff
	v_or_b32_e32 v0, 0x400000, v0
	s_wait_alu 0xf1ff
	s_delay_alu instid0(VALU_DEP_1) | instskip(SKIP_1) | instid1(VALU_DEP_1)
	v_cndmask_b32_e64 v176, v7, v0, s3
	v_cvt_f32_fp8_e32 v0, v10
	v_mul_f32_e32 v0, s5, v0
	s_delay_alu instid0(VALU_DEP_1) | instskip(SKIP_1) | instid1(VALU_DEP_2)
	;; [unrolled: 10-line block ×17, first 2 shown]
	v_bfe_u32 v7, v0, 16, 1
	v_cmp_u_f32_e64 s3, v0, v0
	v_add3_u32 v7, v7, v0, 0x7fff
	v_or_b32_e32 v0, 0x400000, v0
	s_wait_alu 0xf1ff
	s_delay_alu instid0(VALU_DEP_1) | instskip(SKIP_1) | instid1(VALU_DEP_1)
	v_cndmask_b32_e64 v7, v7, v0, s3
	v_cvt_f32_fp8_e32 v0, v36
	v_dual_mul_f32 v0, s5, v0 :: v_dual_and_b32 v7, 0xffff0000, v7
	s_delay_alu instid0(VALU_DEP_1) | instskip(SKIP_1) | instid1(VALU_DEP_2)
	v_bfe_u32 v8, v0, 16, 1
	v_cmp_u_f32_e64 s3, v0, v0
	v_add3_u32 v8, v8, v0, 0x7fff
	v_or_b32_e32 v0, 0x400000, v0
	s_wait_alu 0xf1ff
	s_delay_alu instid0(VALU_DEP_1) | instskip(SKIP_1) | instid1(VALU_DEP_1)
	v_cndmask_b32_e64 v8, v8, v0, s3
	v_cvt_f32_fp8_e32 v0, v33
	v_mul_f32_e32 v0, s5, v0
	s_delay_alu instid0(VALU_DEP_1) | instskip(SKIP_1) | instid1(VALU_DEP_2)
	v_bfe_u32 v9, v0, 16, 1
	v_cmp_u_f32_e64 s3, v0, v0
	v_add3_u32 v9, v9, v0, 0x7fff
	v_or_b32_e32 v0, 0x400000, v0
	s_wait_alu 0xf1ff
	s_delay_alu instid0(VALU_DEP_1) | instskip(SKIP_1) | instid1(VALU_DEP_1)
	v_cndmask_b32_e64 v15, v9, v0, s3
	v_cvt_f32_fp8_e32 v0, v31
	v_mul_f32_e32 v0, s5, v0
	;; [unrolled: 10-line block ×4, first 2 shown]
	s_delay_alu instid0(VALU_DEP_1) | instskip(SKIP_1) | instid1(VALU_DEP_2)
	v_bfe_u32 v10, v0, 16, 1
	v_cmp_u_f32_e64 s3, v0, v0
	v_add3_u32 v10, v10, v0, 0x7fff
	v_or_b32_e32 v0, 0x400000, v0
	s_wait_alu 0xf1ff
	s_delay_alu instid0(VALU_DEP_1) | instskip(SKIP_1) | instid1(VALU_DEP_2)
	v_cndmask_b32_e64 v0, v10, v0, s3
	v_cvt_f32_fp8_e32 v10, v22
	v_and_b32_e32 v0, 0xffff0000, v0
	s_delay_alu instid0(VALU_DEP_2) | instskip(NEXT) | instid1(VALU_DEP_1)
	v_mul_f32_e32 v10, s5, v10
	v_bfe_u32 v22, v10, 16, 1
	v_cmp_u_f32_e64 s3, v10, v10
	s_delay_alu instid0(VALU_DEP_2) | instskip(SKIP_2) | instid1(VALU_DEP_1)
	v_add3_u32 v22, v22, v10, 0x7fff
	v_or_b32_e32 v10, 0x400000, v10
	s_wait_alu 0xf1ff
	v_cndmask_b32_e64 v10, v22, v10, s3
	v_bfe_u32 v22, v11, 16, 1
	v_cmp_u_f32_e64 s3, v11, v11
	s_delay_alu instid0(VALU_DEP_2) | instskip(SKIP_2) | instid1(VALU_DEP_1)
	v_add3_u32 v22, v22, v11, 0x7fff
	v_or_b32_e32 v11, 0x400000, v11
	s_wait_alu 0xf1ff
	v_cndmask_b32_e64 v11, v22, v11, s3
	;; [unrolled: 7-line block ×9, first 2 shown]
	v_cvt_f32_fp8_e32 v22, v42
	s_delay_alu instid0(VALU_DEP_1) | instskip(NEXT) | instid1(VALU_DEP_1)
	v_mul_f32_e32 v22, s5, v22
	v_bfe_u32 v23, v22, 16, 1
	v_cmp_u_f32_e64 s3, v22, v22
	s_delay_alu instid0(VALU_DEP_2) | instskip(SKIP_2) | instid1(VALU_DEP_1)
	v_add3_u32 v23, v23, v22, 0x7fff
	v_or_b32_e32 v22, 0x400000, v22
	s_wait_alu 0xf1ff
	v_cndmask_b32_e64 v22, v23, v22, s3
	v_cvt_f32_fp8_e32 v23, v43
	s_delay_alu instid0(VALU_DEP_1) | instskip(NEXT) | instid1(VALU_DEP_1)
	v_mul_f32_e32 v23, s5, v23
	v_bfe_u32 v24, v23, 16, 1
	v_cmp_u_f32_e64 s3, v23, v23
	s_delay_alu instid0(VALU_DEP_2) | instskip(SKIP_2) | instid1(VALU_DEP_1)
	v_add3_u32 v24, v24, v23, 0x7fff
	v_or_b32_e32 v23, 0x400000, v23
	s_wait_alu 0xf1ff
	v_cndmask_b32_e64 v23, v24, v23, s3
	;; [unrolled: 10-line block ×13, first 2 shown]
	v_cvt_f32_fp8_e32 v35, v55
	v_and_b32_e32 v55, 0xffff0000, v5
	scratch_load_b32 v5, off, off offset:32 ; 4-byte Folded Reload
	v_mul_f32_e32 v35, s5, v35
	s_delay_alu instid0(VALU_DEP_1) | instskip(SKIP_1) | instid1(VALU_DEP_2)
	v_bfe_u32 v36, v35, 16, 1
	v_cmp_u_f32_e64 s3, v35, v35
	v_add3_u32 v36, v36, v35, 0x7fff
	v_or_b32_e32 v35, 0x400000, v35
	s_wait_alu 0xf1ff
	s_delay_alu instid0(VALU_DEP_1) | instskip(SKIP_3) | instid1(VALU_DEP_1)
	v_cndmask_b32_e64 v35, v36, v35, s3
	v_cvt_f32_fp8_e32 v36, v56
	scratch_load_b32 v56, off, off offset:40 ; 4-byte Folded Reload
	v_mul_f32_e32 v36, s5, v36
	v_bfe_u32 v37, v36, 16, 1
	v_cmp_u_f32_e64 s3, v36, v36
	s_delay_alu instid0(VALU_DEP_2) | instskip(SKIP_2) | instid1(VALU_DEP_1)
	v_add3_u32 v37, v37, v36, 0x7fff
	v_or_b32_e32 v36, 0x400000, v36
	s_wait_alu 0xf1ff
	v_cndmask_b32_e64 v36, v37, v36, s3
	v_cvt_f32_fp8_e32 v37, v57
	scratch_load_b32 v57, off, off offset:44 ; 4-byte Folded Reload
	v_mul_f32_e32 v37, s5, v37
	s_delay_alu instid0(VALU_DEP_1) | instskip(SKIP_1) | instid1(VALU_DEP_2)
	v_bfe_u32 v38, v37, 16, 1
	v_cmp_u_f32_e64 s3, v37, v37
	v_add3_u32 v38, v38, v37, 0x7fff
	v_or_b32_e32 v37, 0x400000, v37
	s_wait_alu 0xf1ff
	s_delay_alu instid0(VALU_DEP_1) | instskip(SKIP_3) | instid1(VALU_DEP_1)
	v_cndmask_b32_e64 v37, v38, v37, s3
	v_cvt_f32_fp8_e32 v38, v58
	scratch_load_b32 v58, off, off offset:48 ; 4-byte Folded Reload
	v_mul_f32_e32 v38, s5, v38
	v_bfe_u32 v39, v38, 16, 1
	v_cmp_u_f32_e64 s3, v38, v38
	s_delay_alu instid0(VALU_DEP_2) | instskip(SKIP_2) | instid1(VALU_DEP_1)
	v_add3_u32 v39, v39, v38, 0x7fff
	v_or_b32_e32 v38, 0x400000, v38
	s_wait_alu 0xf1ff
	v_cndmask_b32_e64 v38, v39, v38, s3
	v_cvt_f32_fp8_e32 v39, v59
	;; [unrolled: 21-line block ×3, first 2 shown]
	scratch_load_b32 v61, off, off offset:60 ; 4-byte Folded Reload
	v_mul_f32_e32 v41, s5, v41
	s_delay_alu instid0(VALU_DEP_1) | instskip(SKIP_1) | instid1(VALU_DEP_2)
	v_bfe_u32 v42, v41, 16, 1
	v_cmp_u_f32_e64 s3, v41, v41
	v_add3_u32 v42, v42, v41, 0x7fff
	v_or_b32_e32 v41, 0x400000, v41
	s_wait_alu 0xf1ff
	s_delay_alu instid0(VALU_DEP_1) | instskip(SKIP_1) | instid1(VALU_DEP_1)
	v_cndmask_b32_e64 v41, v42, v41, s3
	v_cvt_f32_fp8_e32 v42, v62
	v_mul_f32_e32 v42, s5, v42
	s_delay_alu instid0(VALU_DEP_1) | instskip(SKIP_1) | instid1(VALU_DEP_2)
	v_bfe_u32 v43, v42, 16, 1
	v_cmp_u_f32_e64 s3, v42, v42
	v_add3_u32 v43, v43, v42, 0x7fff
	v_or_b32_e32 v42, 0x400000, v42
	s_wait_alu 0xf1ff
	s_delay_alu instid0(VALU_DEP_1) | instskip(SKIP_1) | instid1(VALU_DEP_1)
	v_cndmask_b32_e64 v42, v43, v42, s3
	v_cvt_f32_fp8_e32 v43, v63
	;; [unrolled: 10-line block ×12, first 2 shown]
	v_mul_f32_e32 v53, s5, v53
	s_delay_alu instid0(VALU_DEP_1) | instskip(SKIP_1) | instid1(VALU_DEP_2)
	v_bfe_u32 v54, v53, 16, 1
	v_cmp_u_f32_e64 s3, v53, v53
	v_add3_u32 v54, v54, v53, 0x7fff
	v_or_b32_e32 v53, 0x400000, v53
	s_wait_alu 0xf1ff
	s_delay_alu instid0(VALU_DEP_1) | instskip(SKIP_3) | instid1(VALU_DEP_2)
	v_cndmask_b32_e64 v53, v54, v53, s3
	v_and_b32_e32 v54, 0xffff0000, v141
	v_cmp_gt_i32_e64 s3, s27, v125
	s_wait_loadcnt 0x6
	v_mul_f32_e32 v5, v5, v54
	scratch_load_b32 v54, off, off          ; 4-byte Folded Reload
	s_wait_loadcnt 0x0
	v_fmac_f32_e32 v5, v54, v55
	v_and_b32_e32 v55, 0xffff0000, v6
	scratch_load_b32 v6, off, off offset:36 ; 4-byte Folded Reload
	v_and_b32_e32 v54, 0xffff0000, v140
	s_wait_loadcnt 0x0
	s_delay_alu instid0(VALU_DEP_1) | instskip(SKIP_4) | instid1(VALU_DEP_1)
	v_mul_f32_e32 v6, v6, v54
	scratch_load_b32 v54, off, off offset:4 ; 4-byte Folded Reload
	s_wait_loadcnt 0x0
	v_fmac_f32_e32 v6, v54, v55
	v_and_b32_e32 v54, 0xffff0000, v139
	v_dual_mul_f32 v54, v56, v54 :: v_dual_and_b32 v55, 0xffff0000, v128
	scratch_load_b32 v56, off, off offset:8 ; 4-byte Folded Reload
	s_wait_loadcnt 0x0
	v_dual_fmac_f32 v54, v56, v55 :: v_dual_and_b32 v55, 0xffff0000, v138
	s_delay_alu instid0(VALU_DEP_1) | instskip(SKIP_3) | instid1(VALU_DEP_1)
	v_dual_mul_f32 v55, v57, v55 :: v_dual_and_b32 v56, 0xffff0000, v129
	scratch_load_b32 v57, off, off offset:12 ; 4-byte Folded Reload
	s_wait_loadcnt 0x0
	v_dual_fmac_f32 v55, v57, v56 :: v_dual_and_b32 v56, 0xffff0000, v137
	v_dual_mul_f32 v56, v58, v56 :: v_dual_and_b32 v57, 0xffff0000, v130
	scratch_load_b32 v58, off, off offset:16 ; 4-byte Folded Reload
	s_wait_loadcnt 0x0
	v_dual_fmac_f32 v56, v58, v57 :: v_dual_and_b32 v57, 0xffff0000, v136
	s_delay_alu instid0(VALU_DEP_1) | instskip(SKIP_3) | instid1(VALU_DEP_1)
	v_dual_mul_f32 v57, v59, v57 :: v_dual_and_b32 v58, 0xffff0000, v131
	scratch_load_b32 v59, off, off offset:20 ; 4-byte Folded Reload
	s_wait_loadcnt 0x0
	v_dual_fmac_f32 v57, v59, v58 :: v_dual_and_b32 v58, 0xffff0000, v135
	v_dual_mul_f32 v58, v60, v58 :: v_dual_and_b32 v59, 0xffff0000, v132
	scratch_load_b32 v60, off, off offset:24 ; 4-byte Folded Reload
	s_wait_loadcnt 0x0
	v_dual_fmac_f32 v58, v60, v59 :: v_dual_and_b32 v59, 0xffff0000, v134
	s_delay_alu instid0(VALU_DEP_1)
	v_dual_mul_f32 v59, v61, v59 :: v_dual_and_b32 v60, 0xffff0000, v133
	scratch_load_b32 v61, off, off offset:28 ; 4-byte Folded Reload
	s_wait_loadcnt 0x0
	v_fmac_f32_e32 v59, v61, v60
	scratch_load_b32 v61, off, off offset:64 ; 4-byte Folded Reload
	v_and_b32_e32 v60, 0xffff0000, v142
	s_wait_loadcnt 0x0
	s_delay_alu instid0(VALU_DEP_1) | instskip(SKIP_3) | instid1(VALU_DEP_1)
	v_fmac_f32_e32 v5, v61, v60
	scratch_load_b32 v61, off, off offset:68 ; 4-byte Folded Reload
	v_and_b32_e32 v60, 0xffff0000, v143
	s_wait_loadcnt 0x0
	v_fmac_f32_e32 v6, v61, v60
	scratch_load_b32 v61, off, off offset:72 ; 4-byte Folded Reload
	v_and_b32_e32 v60, 0xffff0000, v144
	s_wait_loadcnt 0x0
	s_delay_alu instid0(VALU_DEP_1) | instskip(SKIP_3) | instid1(VALU_DEP_1)
	v_fmac_f32_e32 v54, v61, v60
	scratch_load_b32 v61, off, off offset:76 ; 4-byte Folded Reload
	v_and_b32_e32 v60, 0xffff0000, v145
	;; [unrolled: 9-line block ×10, first 2 shown]
	s_wait_loadcnt 0x0
	v_dual_fmac_f32 v55, v61, v60 :: v_dual_and_b32 v60, 0xffff0000, v162
	scratch_load_b32 v61, off, off offset:144 ; 4-byte Folded Reload
	s_wait_loadcnt 0x0
	v_fmac_f32_e32 v56, v61, v60
	scratch_load_b32 v61, off, off offset:148 ; 4-byte Folded Reload
	v_and_b32_e32 v60, 0xffff0000, v163
	s_wait_loadcnt 0x0
	s_delay_alu instid0(VALU_DEP_1) | instskip(SKIP_3) | instid1(VALU_DEP_1)
	v_fmac_f32_e32 v57, v61, v60
	scratch_load_b32 v61, off, off offset:152 ; 4-byte Folded Reload
	v_and_b32_e32 v60, 0xffff0000, v164
	s_wait_loadcnt 0x0
	v_fmac_f32_e32 v58, v61, v60
	scratch_load_b32 v61, off, off offset:156 ; 4-byte Folded Reload
	v_and_b32_e32 v60, 0xffff0000, v165
	s_wait_loadcnt 0x0
	s_delay_alu instid0(VALU_DEP_1)
	v_dual_fmac_f32 v59, v61, v60 :: v_dual_and_b32 v60, 0xffff0000, v166
	scratch_load_b32 v61, off, off offset:160 ; 4-byte Folded Reload
	s_wait_loadcnt 0x0
	v_dual_fmac_f32 v5, v61, v60 :: v_dual_and_b32 v60, 0xffff0000, v167
	scratch_load_b32 v61, off, off offset:164 ; 4-byte Folded Reload
	s_wait_loadcnt 0x0
	v_fmac_f32_e32 v6, v61, v60
	scratch_load_b32 v61, off, off offset:168 ; 4-byte Folded Reload
	v_and_b32_e32 v60, 0xffff0000, v168
	s_wait_loadcnt 0x0
	s_delay_alu instid0(VALU_DEP_1) | instskip(SKIP_3) | instid1(VALU_DEP_1)
	v_fmac_f32_e32 v54, v61, v60
	scratch_load_b32 v61, off, off offset:172 ; 4-byte Folded Reload
	v_and_b32_e32 v60, 0xffff0000, v169
	s_wait_loadcnt 0x0
	v_fmac_f32_e32 v55, v61, v60
	scratch_load_b32 v61, off, off offset:176 ; 4-byte Folded Reload
	v_and_b32_e32 v60, 0xffff0000, v172
	s_wait_loadcnt 0x0
	s_delay_alu instid0(VALU_DEP_1) | instskip(SKIP_3) | instid1(VALU_DEP_1)
	v_fmac_f32_e32 v56, v61, v60
	scratch_load_b32 v61, off, off offset:180 ; 4-byte Folded Reload
	v_and_b32_e32 v60, 0xffff0000, v173
	s_wait_loadcnt 0x0
	v_dual_fmac_f32 v57, v61, v60 :: v_dual_and_b32 v60, 0xffff0000, v174
	scratch_load_b32 v61, off, off offset:184 ; 4-byte Folded Reload
	s_wait_loadcnt 0x0
	v_fmac_f32_e32 v58, v61, v60
	scratch_load_b32 v61, off, off offset:188 ; 4-byte Folded Reload
	v_and_b32_e32 v60, 0xffff0000, v170
	s_wait_loadcnt 0x0
	s_delay_alu instid0(VALU_DEP_1)
	v_dual_fmac_f32 v59, v61, v60 :: v_dual_and_b32 v60, 0xffff0000, v175
	scratch_load_b32 v61, off, off offset:192 ; 4-byte Folded Reload
	s_wait_loadcnt 0x0
	v_fmac_f32_e32 v5, v61, v60
	scratch_load_b32 v61, off, off offset:196 ; 4-byte Folded Reload
	v_and_b32_e32 v60, 0xffff0000, v176
	s_wait_loadcnt 0x0
	s_delay_alu instid0(VALU_DEP_1) | instskip(SKIP_3) | instid1(VALU_DEP_1)
	v_fmac_f32_e32 v6, v61, v60
	scratch_load_b32 v61, off, off offset:200 ; 4-byte Folded Reload
	v_and_b32_e32 v60, 0xffff0000, v177
	s_wait_loadcnt 0x0
	v_fmac_f32_e32 v54, v61, v60
	scratch_load_b32 v61, off, off offset:204 ; 4-byte Folded Reload
	v_and_b32_e32 v60, 0xffff0000, v178
	s_wait_loadcnt 0x0
	s_delay_alu instid0(VALU_DEP_1)
	v_dual_fmac_f32 v55, v61, v60 :: v_dual_and_b32 v60, 0xffff0000, v179
	scratch_load_b32 v61, off, off offset:208 ; 4-byte Folded Reload
	s_wait_loadcnt 0x0
	v_fmac_f32_e32 v56, v61, v60
	scratch_load_b32 v61, off, off offset:212 ; 4-byte Folded Reload
	v_and_b32_e32 v60, 0xffff0000, v180
	s_wait_loadcnt 0x0
	s_delay_alu instid0(VALU_DEP_1)
	v_dual_fmac_f32 v57, v61, v60 :: v_dual_and_b32 v60, 0xffff0000, v181
	scratch_load_b32 v61, off, off offset:216 ; 4-byte Folded Reload
	;; [unrolled: 8-line block ×3, first 2 shown]
	s_wait_loadcnt 0x0
	v_fmac_f32_e32 v5, v61, v60
	scratch_load_b32 v61, off, off offset:228 ; 4-byte Folded Reload
	v_and_b32_e32 v60, 0xffff0000, v184
	s_wait_loadcnt 0x0
	s_delay_alu instid0(VALU_DEP_1) | instskip(SKIP_4) | instid1(VALU_DEP_2)
	v_fmac_f32_e32 v6, v61, v60
	scratch_load_b32 v61, off, off offset:232 ; 4-byte Folded Reload
	v_and_b32_e32 v60, 0xffff0000, v185
	v_dual_fmac_f32 v6, v77, v7 :: v_dual_and_b32 v7, 0xffff0000, v8
	s_wait_loadcnt 0x0
	v_fmac_f32_e32 v54, v61, v60
	scratch_load_b32 v61, off, off offset:236 ; 4-byte Folded Reload
	v_and_b32_e32 v60, 0xffff0000, v186
	v_fmac_f32_e32 v54, v78, v7
	v_and_b32_e32 v7, 0xffff0000, v15
	s_wait_loadcnt 0x0
	s_delay_alu instid0(VALU_DEP_3)
	v_dual_fmac_f32 v55, v61, v60 :: v_dual_and_b32 v60, 0xffff0000, v187
	scratch_load_b32 v61, off, off offset:240 ; 4-byte Folded Reload
	v_fmac_f32_e32 v55, v79, v7
	v_and_b32_e32 v7, 0xffff0000, v16
	s_wait_loadcnt 0x0
	v_fmac_f32_e32 v56, v61, v60
	v_and_b32_e32 v60, 0xffff0000, v188
	s_delay_alu instid0(VALU_DEP_1) | instskip(SKIP_1) | instid1(VALU_DEP_1)
	v_dual_fmac_f32 v56, v80, v7 :: v_dual_fmac_f32 v57, v73, v60
	v_and_b32_e32 v60, 0xffff0000, v189
	v_dual_fmac_f32 v58, v74, v60 :: v_dual_and_b32 v7, 0xffff0000, v9
	s_delay_alu instid0(VALU_DEP_1) | instskip(NEXT) | instid1(VALU_DEP_2)
	v_dual_fmac_f32 v57, v81, v7 :: v_dual_and_b32 v60, 0xffff0000, v190
	v_fmac_f32_e32 v58, v82, v0
	s_delay_alu instid0(VALU_DEP_2) | instskip(NEXT) | instid1(VALU_DEP_1)
	v_dual_fmac_f32 v59, v75, v60 :: v_dual_and_b32 v60, 0xffff0000, v191
	v_dual_fmac_f32 v5, v76, v60 :: v_dual_and_b32 v0, 0xffff0000, v10
	s_delay_alu instid0(VALU_DEP_1) | instskip(NEXT) | instid1(VALU_DEP_1)
	v_dual_fmac_f32 v59, v83, v0 :: v_dual_and_b32 v0, 0xffff0000, v11
	v_fmac_f32_e32 v5, v84, v0
	v_and_b32_e32 v0, 0xffff0000, v12
	s_delay_alu instid0(VALU_DEP_1) | instskip(SKIP_1) | instid1(VALU_DEP_1)
	v_fmac_f32_e32 v6, v85, v0
	v_and_b32_e32 v0, 0xffff0000, v13
	v_fmac_f32_e32 v54, v86, v0
	v_and_b32_e32 v0, 0xffff0000, v14
	s_delay_alu instid0(VALU_DEP_1) | instskip(NEXT) | instid1(VALU_DEP_1)
	v_dual_fmac_f32 v55, v87, v0 :: v_dual_and_b32 v0, 0xffff0000, v18
	v_fmac_f32_e32 v56, v88, v0
	v_and_b32_e32 v0, 0xffff0000, v19
	s_delay_alu instid0(VALU_DEP_1) | instskip(SKIP_1) | instid1(VALU_DEP_1)
	v_fmac_f32_e32 v57, v89, v0
	v_and_b32_e32 v0, 0xffff0000, v20
	v_fmac_f32_e32 v58, v90, v0
	v_and_b32_e32 v0, 0xffff0000, v21
	s_delay_alu instid0(VALU_DEP_1) | instskip(NEXT) | instid1(VALU_DEP_1)
	v_dual_fmac_f32 v59, v91, v0 :: v_dual_and_b32 v0, 0xffff0000, v22
	v_dual_fmac_f32 v5, v92, v0 :: v_dual_and_b32 v0, 0xffff0000, v23
	s_delay_alu instid0(VALU_DEP_1) | instskip(SKIP_1) | instid1(VALU_DEP_1)
	v_fmac_f32_e32 v6, v93, v0
	v_and_b32_e32 v0, 0xffff0000, v24
	v_fmac_f32_e32 v54, v94, v0
	v_and_b32_e32 v0, 0xffff0000, v25
	s_delay_alu instid0(VALU_DEP_1) | instskip(NEXT) | instid1(VALU_DEP_1)
	v_dual_fmac_f32 v55, v95, v0 :: v_dual_and_b32 v0, 0xffff0000, v26
	v_fmac_f32_e32 v56, v96, v0
	v_and_b32_e32 v0, 0xffff0000, v27
	s_delay_alu instid0(VALU_DEP_1) | instskip(SKIP_1) | instid1(VALU_DEP_1)
	v_fmac_f32_e32 v57, v97, v0
	v_and_b32_e32 v0, 0xffff0000, v28
	v_fmac_f32_e32 v58, v98, v0
	v_and_b32_e32 v0, 0xffff0000, v29
	s_delay_alu instid0(VALU_DEP_1) | instskip(NEXT) | instid1(VALU_DEP_1)
	v_dual_fmac_f32 v59, v99, v0 :: v_dual_and_b32 v0, 0xffff0000, v30
	v_dual_fmac_f32 v5, v100, v0 :: v_dual_and_b32 v0, 0xffff0000, v31
	;; [unrolled: 17-line block ×4, first 2 shown]
	s_delay_alu instid0(VALU_DEP_1) | instskip(SKIP_1) | instid1(VALU_DEP_1)
	v_fmac_f32_e32 v6, v118, v0
	v_and_b32_e32 v0, 0xffff0000, v48
	v_fmac_f32_e32 v54, v119, v0
	v_and_b32_e32 v0, 0xffff0000, v49
	s_delay_alu instid0(VALU_DEP_1) | instskip(NEXT) | instid1(VALU_DEP_1)
	v_dual_fmac_f32 v55, v120, v0 :: v_dual_and_b32 v0, 0xffff0000, v50
	v_fmac_f32_e32 v56, v121, v0
	v_and_b32_e32 v0, 0xffff0000, v51
	s_delay_alu instid0(VALU_DEP_1) | instskip(SKIP_1) | instid1(VALU_DEP_1)
	v_fmac_f32_e32 v57, v122, v0
	v_and_b32_e32 v0, 0xffff0000, v52
	v_fmac_f32_e32 v58, v123, v0
	v_and_b32_e32 v0, 0xffff0000, v53
	s_delay_alu instid0(VALU_DEP_1) | instskip(SKIP_1) | instid1(VALU_DEP_2)
	v_dual_fmac_f32 v59, v124, v0 :: v_dual_add_f32 v0, v5, v6
	v_add_nc_u32_e32 v5, s23, v125
	v_dual_add_f32 v0, v0, v54 :: v_dual_add_nc_u32 v125, 0x80, v125
	s_delay_alu instid0(VALU_DEP_2) | instskip(NEXT) | instid1(VALU_DEP_1)
	v_cvt_f32_i32_e32 v5, v5
	v_dual_add_f32 v0, v55, v0 :: v_dual_mul_f32 v5, s8, v5
	s_delay_alu instid0(VALU_DEP_1) | instskip(NEXT) | instid1(VALU_DEP_1)
	v_dual_add_f32 v0, v56, v0 :: v_dual_cndmask_b32 v5, 0, v5
	v_add_f32_e32 v0, v57, v0
	s_delay_alu instid0(VALU_DEP_1) | instskip(NEXT) | instid1(VALU_DEP_1)
	v_add_f32_e32 v0, v58, v0
	v_add_f32_e32 v0, v59, v0
	s_delay_alu instid0(VALU_DEP_1) | instskip(SKIP_1) | instid1(VALU_DEP_1)
	v_fmac_f32_e32 v5, s9, v0
	v_max_num_f32_e32 v0, v116, v116
	v_max_num_f32_e32 v0, v0, v5
	s_wait_alu 0xf1ff
	v_cndmask_b32_e64 v5, 0, v5, s3
	s_delay_alu instid0(VALU_DEP_2)
	v_cndmask_b32_e64 v116, v116, v0, s3
	v_add_co_u32 v3, s3, v3, 16
	ds_store_b32 v126, v5
	s_wait_alu 0xf1ff
	v_add_co_ci_u32_e64 v4, null, 0, v4, s3
	v_add_nc_u32_e32 v126, 0x200, v126
	s_and_not1_b32 exec_lo, exec_lo, s11
	s_cbranch_execnz .LBB362_7
; %bb.8:
	s_or_b32 exec_lo, exec_lo, s11
	s_clause 0x3
	scratch_load_b32 v167, off, off offset:244
	scratch_load_b32 v168, off, off offset:248
	;; [unrolled: 1-line block ×4, first 2 shown]
	v_lshlrev_b32_e32 v37, 2, v17
.LBB362_9:
	s_or_b32 exec_lo, exec_lo, s10
	v_mbcnt_lo_u32_b32 v0, -1, 0
	s_load_b128 s[8:11], s[0:1], 0x0
	s_wait_kmcnt 0x0
	s_clause 0x1
	s_load_b64 s[4:5], s[0:1], 0x10
	s_load_b64 s[24:25], s[0:1], 0x28
	v_max_num_f32_e32 v4, v116, v116
	v_xor_b32_e32 v1, 16, v0
	v_xor_b32_e32 v3, 8, v0
	s_delay_alu instid0(VALU_DEP_2) | instskip(SKIP_2) | instid1(VALU_DEP_3)
	v_cmp_gt_i32_e32 vcc_lo, 32, v1
	s_wait_alu 0xfffd
	v_cndmask_b32_e32 v1, v0, v1, vcc_lo
	v_cmp_gt_i32_e32 vcc_lo, 32, v3
	s_delay_alu instid0(VALU_DEP_2)
	v_lshlrev_b32_e32 v1, 2, v1
	s_wait_alu 0xfffd
	v_cndmask_b32_e32 v3, v0, v3, vcc_lo
	ds_bpermute_b32 v2, v1, v116
	s_wait_dscnt 0x0
	v_dual_max_num_f32 v5, v2, v2 :: v_dual_lshlrev_b32 v2, 2, v3
	s_delay_alu instid0(VALU_DEP_1)
	v_max_num_f32_e32 v3, v4, v5
	v_xor_b32_e32 v5, 4, v0
	ds_bpermute_b32 v4, v2, v3
	v_cmp_gt_i32_e32 vcc_lo, 32, v5
	s_wait_alu 0xfffd
	v_cndmask_b32_e32 v5, v0, v5, vcc_lo
	s_wait_dscnt 0x0
	v_max_num_f32_e32 v6, v4, v4
	s_delay_alu instid0(VALU_DEP_1)
	v_dual_max_num_f32 v3, v3, v6 :: v_dual_lshlrev_b32 v4, 2, v5
	v_xor_b32_e32 v6, 2, v0
	ds_bpermute_b32 v5, v4, v3
	v_cmp_gt_i32_e32 vcc_lo, 32, v6
	s_wait_dscnt 0x0
	s_wait_alu 0xfffd
	v_dual_cndmask_b32 v6, v0, v6 :: v_dual_max_num_f32 v5, v5, v5
	s_delay_alu instid0(VALU_DEP_1) | instskip(NEXT) | instid1(VALU_DEP_2)
	v_max_num_f32_e32 v3, v3, v5
	v_lshlrev_b32_e32 v19, 2, v6
	v_xor_b32_e32 v6, 1, v0
	s_delay_alu instid0(VALU_DEP_1)
	v_cmp_gt_i32_e32 vcc_lo, 32, v6
	s_wait_alu 0xfffd
	v_cndmask_b32_e32 v6, v0, v6, vcc_lo
	ds_bpermute_b32 v5, v19, v3
	s_wait_loadcnt 0x1
	v_cmp_eq_u32_e32 vcc_lo, 0, v169
	s_wait_dscnt 0x0
	v_dual_max_num_f32 v5, v5, v5 :: v_dual_lshlrev_b32 v18, 2, v6
	s_delay_alu instid0(VALU_DEP_1)
	v_dual_max_num_f32 v0, v3, v5 :: v_dual_lshlrev_b32 v5, 2, v168
	ds_bpermute_b32 v3, v18, v0
	s_and_saveexec_b32 s0, vcc_lo
	s_cbranch_execz .LBB362_11
; %bb.10:
	s_wait_dscnt 0x0
	v_dual_max_num_f32 v3, v3, v3 :: v_dual_max_num_f32 v0, v0, v0
	s_delay_alu instid0(VALU_DEP_1)
	v_max_num_f32_e32 v0, v0, v3
	ds_store_b32 v5, v0 offset:224
.LBB362_11:
	s_or_b32 exec_lo, exec_lo, s0
	v_cmp_gt_u32_e64 s0, 4, v169
	v_mov_b32_e32 v0, 0xff7fffff
	s_wait_storecnt 0x0
	s_wait_loadcnt_dscnt 0x0
	s_barrier_signal -1
	s_barrier_wait -1
	global_inv scope:SCOPE_SE
	s_and_saveexec_b32 s1, s0
; %bb.12:
	ds_load_b32 v0, v22 offset:224
; %bb.13:
	s_or_b32 exec_lo, exec_lo, s1
	s_wait_dscnt 0x0
	ds_bpermute_b32 v3, v19, v0
	v_max_num_f32_e32 v0, v0, v0
	s_sub_co_i32 s1, s17, s31
	v_mov_b32_e32 v6, 0
	s_lshl_b32 s1, s1, 5
	s_delay_alu instid0(SALU_CYCLE_1) | instskip(NEXT) | instid1(SALU_CYCLE_1)
	s_add_co_i32 s1, s1, s28
	s_min_i32 s1, s1, s27
	s_delay_alu instid0(SALU_CYCLE_1) | instskip(SKIP_4) | instid1(VALU_DEP_1)
	s_sub_co_i32 s14, s1, s28
	s_wait_alu 0xfffe
	v_cmp_gt_i32_e64 s1, s14, v167
	s_wait_dscnt 0x0
	v_max_num_f32_e32 v3, v3, v3
	v_max_num_f32_e32 v0, v0, v3
	ds_bpermute_b32 v3, v18, v0
	s_wait_dscnt 0x0
	v_max_num_f32_e32 v3, v3, v3
	s_delay_alu instid0(VALU_DEP_1)
	v_max_num_f32_e32 v0, v0, v3
	v_lshl_add_u32 v3, v167, 2, 0x100
	ds_bpermute_b32 v0, v6, v0
	s_and_saveexec_b32 s23, s1
	s_cbranch_execz .LBB362_17
; %bb.14:
	v_lshl_add_u32 v7, v167, 2, 0x100
	v_mov_b32_e32 v6, 0
	v_mov_b32_e32 v8, v167
	s_mov_b32 s31, 0
.LBB362_15:                             ; =>This Inner Loop Header: Depth=1
	ds_load_b32 v9, v7
	v_add_nc_u32_e32 v8, 0x80, v8
	s_delay_alu instid0(VALU_DEP_1) | instskip(SKIP_4) | instid1(VALU_DEP_1)
	v_cmp_le_i32_e64 s3, s14, v8
	s_wait_alu 0xfffe
	s_or_b32 s31, s3, s31
	s_wait_dscnt 0x0
	v_sub_f32_e32 v9, v9, v0
	v_mul_f32_e32 v9, 0x3fb8aa3b, v9
	s_delay_alu instid0(VALU_DEP_1)
	v_exp_f32_e32 v9, v9
	ds_store_b32 v7, v9
	v_dual_add_f32 v6, v6, v9 :: v_dual_add_nc_u32 v7, 0x200, v7
	s_wait_alu 0xfffe
	s_and_not1_b32 exec_lo, exec_lo, s31
	s_cbranch_execnz .LBB362_15
; %bb.16:
	s_or_b32 exec_lo, exec_lo, s31
.LBB362_17:
	s_wait_alu 0xfffe
	s_or_b32 exec_lo, exec_lo, s23
	ds_bpermute_b32 v1, v1, v6
	s_wait_dscnt 0x0
	v_add_f32_e32 v1, v6, v1
	ds_bpermute_b32 v2, v2, v1
	s_wait_dscnt 0x0
	v_add_f32_e32 v1, v1, v2
	;; [unrolled: 3-line block ×5, first 2 shown]
	s_and_saveexec_b32 s3, vcc_lo
; %bb.18:
	ds_store_b32 v5, v1 offset:240
; %bb.19:
	s_wait_alu 0xfffe
	s_or_b32 exec_lo, exec_lo, s3
	s_wait_loadcnt_dscnt 0x0
	s_barrier_signal -1
	s_barrier_wait -1
	global_inv scope:SCOPE_SE
	s_and_saveexec_b32 s3, s0
; %bb.20:
	ds_load_b32 v1, v22 offset:240
; %bb.21:
	s_wait_alu 0xfffe
	s_or_b32 exec_lo, exec_lo, s3
	s_wait_dscnt 0x0
	ds_bpermute_b32 v2, v19, v1
	s_wait_dscnt 0x0
	v_add_f32_e32 v1, v1, v2
	ds_bpermute_b32 v2, v18, v1
	s_wait_dscnt 0x0
	v_dual_add_f32 v1, v1, v2 :: v_dual_mov_b32 v2, 0
	ds_bpermute_b32 v1, v2, v1
	s_and_saveexec_b32 s0, s1
	s_cbranch_execz .LBB362_24
; %bb.22:
	s_wait_dscnt 0x0
	v_add_f32_e32 v2, 0x358637bd, v1
	s_mov_b32 s1, 0
	s_delay_alu instid0(VALU_DEP_1) | instskip(SKIP_1) | instid1(VALU_DEP_2)
	v_div_scale_f32 v4, null, v2, v2, 1.0
	v_div_scale_f32 v7, vcc_lo, 1.0, v2, 1.0
	v_rcp_f32_e32 v5, v4
	s_delay_alu instid0(TRANS32_DEP_1) | instskip(NEXT) | instid1(VALU_DEP_1)
	v_fma_f32 v6, -v4, v5, 1.0
	v_fmac_f32_e32 v5, v6, v5
	s_delay_alu instid0(VALU_DEP_1) | instskip(NEXT) | instid1(VALU_DEP_1)
	v_mul_f32_e32 v6, v7, v5
	v_fma_f32 v8, -v4, v6, v7
	s_delay_alu instid0(VALU_DEP_1) | instskip(NEXT) | instid1(VALU_DEP_1)
	v_fmac_f32_e32 v6, v8, v5
	v_fma_f32 v4, -v4, v6, v7
	s_wait_alu 0xfffd
	s_delay_alu instid0(VALU_DEP_1) | instskip(NEXT) | instid1(VALU_DEP_1)
	v_div_fmas_f32 v4, v4, v5, v6
	v_div_fixup_f32 v2, v4, v2, 1.0
	v_mov_b32_e32 v4, v167
.LBB362_23:                             ; =>This Inner Loop Header: Depth=1
	ds_load_b32 v5, v3
	s_wait_dscnt 0x0
	v_dual_mul_f32 v5, v2, v5 :: v_dual_add_nc_u32 v4, 0x80, v4
	s_delay_alu instid0(VALU_DEP_1) | instskip(SKIP_3) | instid1(SALU_CYCLE_1)
	v_cmp_le_i32_e32 vcc_lo, s14, v4
	ds_store_b32 v3, v5
	v_add_nc_u32_e32 v3, 0x200, v3
	s_or_b32 s1, vcc_lo, s1
	s_and_not1_b32 exec_lo, exec_lo, s1
	s_cbranch_execnz .LBB362_23
.LBB362_24:
	s_or_b32 exec_lo, exec_lo, s0
	s_mul_i32 s0, s12, s15
	s_wait_loadcnt_dscnt 0x0
	s_mul_i32 s14, s0, s29
	s_mov_b32 s0, exec_lo
	s_barrier_signal -1
	s_barrier_wait -1
	global_inv scope:SCOPE_SE
	v_cmpx_eq_u32_e32 0, v167
	s_cbranch_execz .LBB362_26
; %bb.25:
	s_wait_alu 0xfffe
	s_ashr_i32 s15, s14, 31
	s_mul_i32 s34, s12, ttmp9
	s_lshl_b32 s1, s26, 2
	s_wait_alu 0xfffe
	s_lshl_b64 s[36:37], s[14:15], 2
	s_ashr_i32 s35, s34, 31
	v_mov_b32_e32 v2, s1
	s_add_nc_u64 s[10:11], s[10:11], s[36:37]
	s_lshl_b64 s[34:35], s[34:35], 2
	s_add_nc_u64 s[8:9], s[8:9], s[36:37]
	s_add_nc_u64 s[10:11], s[10:11], s[34:35]
	s_wait_alu 0xfffe
	s_add_nc_u64 s[8:9], s[8:9], s[34:35]
	s_clause 0x1
	global_store_b32 v2, v0, s[10:11]
	global_store_b32 v2, v1, s[8:9]
.LBB362_26:
	s_or_b32 exec_lo, exec_lo, s0
	v_dual_mov_b32 v32, 0 :: v_dual_mov_b32 v33, 0
	v_dual_mov_b32 v31, 0 :: v_dual_and_b32 v20, 3, v167
	v_dual_mov_b32 v34, 0 :: v_dual_mov_b32 v29, 0
	v_dual_mov_b32 v30, 0 :: v_dual_mov_b32 v27, 0
	;; [unrolled: 1-line block ×5, first 2 shown]
	v_mov_b32_e32 v22, 0
	s_and_saveexec_b32 s1, s2
	s_cbranch_execz .LBB362_58
; %bb.27:
	s_load_b32 s2, s[6:7], 0x0
	v_dual_mov_b32 v21, 0 :: v_dual_lshlrev_b32 v0, 3, v167
	v_dual_mov_b32 v22, 0 :: v_dual_lshlrev_b32 v1, 5, v20
	s_ashr_i32 s23, s22, 31
	s_delay_alu instid0(VALU_DEP_2)
	v_dual_mov_b32 v23, 0 :: v_dual_and_b32 v2, 24, v0
	v_dual_mov_b32 v25, 0 :: v_dual_and_b32 v0, 0xf8, v0
	s_wait_kmcnt 0x0
	s_wait_alu 0xfffe
	s_add_nc_u64 s[8:9], s[24:25], s[22:23]
	s_lshl_b64 s[6:7], s[20:21], 2
	v_lshl_add_u32 v3, v168, 5, s28
	v_lshl_or_b32 v1, v168, 7, v1
	s_wait_alu 0xfffe
	v_add_co_u32 v9, s0, s8, v0
	s_add_nc_u64 s[6:7], s[18:19], s[6:7]
	s_wait_alu 0xf1ff
	v_add_co_ci_u32_e64 v10, null, s9, 0, s0
	v_add_co_u32 v11, s0, s6, v37
	v_add3_u32 v35, v3, v2, 7
	v_dual_mov_b32 v27, 0 :: v_dual_add_nc_u32 v36, 0x100, v1
	s_wait_alu 0xf1ff
	v_add_co_ci_u32_e64 v12, null, s7, 0, s0
	v_dual_mov_b32 v24, 0 :: v_dual_mov_b32 v29, 0
	v_dual_mov_b32 v26, 0 :: v_dual_mov_b32 v31, 0
	;; [unrolled: 1-line block ×3, first 2 shown]
	v_mov_b32_e32 v30, 0
	v_mov_b32_e32 v34, 0
	;; [unrolled: 1-line block ×3, first 2 shown]
	s_mov_b32 s3, s13
	s_add_co_i32 s30, s30, -1
	s_mov_b32 s6, 0
	s_branch .LBB362_29
.LBB362_28:                             ;   in Loop: Header=BB362_29 Depth=1
	s_wait_alu 0xfffe
	s_or_b32 exec_lo, exec_lo, s0
	s_wait_dscnt 0x1
	v_bfe_u32 v77, v5, 16, 1
	v_bfe_u32 v79, v6, 16, 1
	v_or_b32_e32 v80, 0x400000, v5
	v_cmp_u_f32_e32 vcc_lo, v5, v5
	v_or_b32_e32 v81, 0x400000, v6
	v_add3_u32 v77, v77, v5, 0x7fff
	v_bfe_u32 v82, v7, 16, 1
	v_add3_u32 v79, v79, v6, 0x7fff
	v_bfe_u32 v83, v8, 16, 1
	v_lshlrev_b32_e32 v144, 16, v144
	s_wait_alu 0xfffd
	v_cndmask_b32_e32 v5, v77, v80, vcc_lo
	v_cmp_u_f32_e32 vcc_lo, v6, v6
	v_add3_u32 v77, v82, v7, 0x7fff
	v_add3_u32 v80, v83, v8, 0x7fff
	s_wait_dscnt 0x0
	v_bfe_u32 v82, v1, 16, 1
	v_or_b32_e32 v83, 0x400000, v4
	s_wait_alu 0xfffd
	v_cndmask_b32_e32 v6, v79, v81, vcc_lo
	v_or_b32_e32 v79, 0x400000, v7
	v_cmp_u_f32_e32 vcc_lo, v7, v7
	v_or_b32_e32 v81, 0x400000, v8
	v_lshlrev_b32_e32 v135, 16, v135
	v_lshlrev_b32_e32 v127, 16, v127
	;; [unrolled: 1-line block ×3, first 2 shown]
	s_wait_alu 0xfffd
	v_cndmask_b32_e32 v7, v77, v79, vcc_lo
	v_cmp_u_f32_e32 vcc_lo, v8, v8
	v_bfe_u32 v77, v2, 16, 1
	v_add3_u32 v79, v82, v1, 0x7fff
	v_bfe_u32 v82, v3, 16, 1
	v_lshlrev_b32_e32 v117, 16, v117
	s_wait_alu 0xfffd
	v_cndmask_b32_e32 v8, v80, v81, vcc_lo
	v_or_b32_e32 v80, 0x400000, v1
	v_cmp_u_f32_e32 vcc_lo, v1, v1
	v_add3_u32 v77, v77, v2, 0x7fff
	v_or_b32_e32 v81, 0x400000, v2
	v_lshlrev_b32_e32 v101, 16, v101
	v_lshlrev_b32_e32 v85, 16, v85
	s_wait_alu 0xfffd
	v_cndmask_b32_e32 v79, v79, v80, vcc_lo
	v_cmp_u_f32_e32 vcc_lo, v2, v2
	v_add3_u32 v2, v82, v3, 0x7fff
	v_bfe_u32 v80, v4, 16, 1
	v_or_b32_e32 v82, 0x400000, v3
	v_lshlrev_b32_e32 v73, 16, v73
	s_wait_alu 0xfffd
	v_cndmask_b32_e32 v77, v77, v81, vcc_lo
	v_cmp_u_f32_e32 vcc_lo, v3, v3
	v_add3_u32 v80, v80, v4, 0x7fff
	v_lshlrev_b32_e32 v71, 16, v71
	v_lshlrev_b32_e32 v69, 16, v69
	s_wait_alu 0xfffd
	v_dual_cndmask_b32 v82, v2, v82 :: v_dual_lshlrev_b32 v65, 16, v65
	v_cmp_u_f32_e32 vcc_lo, v4, v4
	v_and_b32_e32 v1, 0xffff0000, v6
	v_lshlrev_b32_e32 v6, 16, v150
	v_lshlrev_b32_e32 v61, 16, v61
	;; [unrolled: 1-line block ×3, first 2 shown]
	s_wait_alu 0xfffd
	v_dual_cndmask_b32 v4, v80, v83 :: v_dual_and_b32 v5, 0xffff0000, v5
	v_dual_mul_f32 v6, v1, v6 :: v_dual_lshlrev_b32 v137, 16, v137
	v_lshlrev_b32_e32 v131, 16, v131
	v_lshlrev_b32_e32 v55, 16, v55
	s_delay_alu instid0(VALU_DEP_4) | instskip(NEXT) | instid1(VALU_DEP_4)
	v_mul_f32_e32 v59, v5, v59
	v_bfe_u32 v3, v6, 16, 1
	v_or_b32_e32 v83, 0x400000, v6
	v_cmp_u_f32_e32 vcc_lo, v6, v6
	v_lshlrev_b32_e32 v53, 16, v53
	v_lshlrev_b32_e32 v51, 16, v51
	v_add3_u32 v3, v3, v6, 0x7fff
	v_and_b32_e32 v2, 0xffff0000, v8
	v_lshlrev_b32_e32 v47, 16, v47
	v_lshlrev_b32_e32 v13, 16, v13
	v_mul_f32_e32 v51, v5, v51
	s_wait_alu 0xfffd
	v_cndmask_b32_e32 v83, v3, v83, vcc_lo
	v_and_b32_e32 v3, 0xffff0000, v77
	v_lshlrev_b32_e32 v77, 16, v146
	v_lshlrev_b32_e32 v8, 16, v148
	;; [unrolled: 1-line block ×3, first 2 shown]
	v_and_b32_e32 v83, 0xffff0000, v83
	s_delay_alu instid0(VALU_DEP_4) | instskip(NEXT) | instid1(VALU_DEP_4)
	v_dual_mul_f32 v77, v3, v77 :: v_dual_lshlrev_b32 v54, 16, v54
	v_dual_mul_f32 v148, v2, v8 :: v_dual_lshlrev_b32 v81, 16, v149
	v_and_b32_e32 v8, 0xffff0000, v7
	v_lshlrev_b32_e32 v45, 16, v45
	s_delay_alu instid0(VALU_DEP_4) | instskip(NEXT) | instid1(VALU_DEP_4)
	v_bfe_u32 v146, v77, 16, 1
	v_dual_mul_f32 v81, v5, v81 :: v_dual_and_b32 v4, 0xffff0000, v4
	s_delay_alu instid0(VALU_DEP_4) | instskip(SKIP_2) | instid1(VALU_DEP_4)
	v_mul_f32_e32 v123, v8, v123
	v_mul_f32_e32 v73, v8, v73
	;; [unrolled: 1-line block ×3, first 2 shown]
	v_bfe_u32 v80, v81, 16, 1
	v_or_b32_e32 v90, 0x400000, v81
	v_cmp_u_f32_e32 vcc_lo, v81, v81
	v_dual_mul_f32 v101, v4, v101 :: v_dual_lshlrev_b32 v100, 16, v100
	s_delay_alu instid0(VALU_DEP_4)
	v_add3_u32 v80, v80, v81, 0x7fff
	v_lshlrev_b32_e32 v7, 16, v147
	v_bfe_u32 v81, v148, 16, 1
	v_dual_mul_f32 v54, v4, v54 :: v_dual_lshlrev_b32 v63, 16, v63
	s_wait_alu 0xfffd
	v_cndmask_b32_e32 v80, v80, v90, vcc_lo
	v_mul_f32_e32 v7, v8, v7
	v_add3_u32 v81, v81, v148, 0x7fff
	v_or_b32_e32 v90, 0x400000, v148
	v_cmp_u_f32_e32 vcc_lo, v148, v148
	v_and_b32_e32 v6, 0xffff0000, v79
	v_lshlrev_b32_e32 v79, 16, v145
	v_bfe_u32 v145, v7, 16, 1
	v_lshlrev_b32_e32 v43, 16, v43
	s_wait_alu 0xfffd
	v_cndmask_b32_e32 v81, v81, v90, vcc_lo
	v_cmp_u_f32_e32 vcc_lo, v7, v7
	v_dual_mul_f32 v137, v6, v137 :: v_dual_lshlrev_b32 v138, 16, v138
	v_add3_u32 v90, v145, v7, 0x7fff
	v_or_b32_e32 v145, 0x400000, v7
	v_and_b32_e32 v7, 0xffff0000, v82
	v_dual_mul_f32 v85, v6, v85 :: v_dual_and_b32 v80, 0xffff0000, v80
	v_mul_f32_e32 v71, v6, v71
	s_wait_alu 0xfffd
	v_cndmask_b32_e32 v90, v90, v145, vcc_lo
	v_add3_u32 v145, v146, v77, 0x7fff
	v_or_b32_e32 v146, 0x400000, v77
	v_cmp_u_f32_e32 vcc_lo, v77, v77
	v_mul_f32_e32 v63, v6, v63
	v_mul_f32_e32 v55, v6, v55
	;; [unrolled: 1-line block ×3, first 2 shown]
	v_lshlrev_b32_e32 v41, 16, v41
	s_wait_alu 0xfffd
	v_dual_cndmask_b32 v77, v145, v146 :: v_dual_mul_f32 v144, v4, v144
	v_dual_mul_f32 v138, v3, v138 :: v_dual_lshlrev_b32 v15, 16, v15
	v_and_b32_e32 v90, 0xffff0000, v90
	s_delay_alu instid0(VALU_DEP_3) | instskip(NEXT) | instid1(VALU_DEP_4)
	v_and_b32_e32 v77, 0xffff0000, v77
	v_or_b32_e32 v145, 0x400000, v144
	v_lshlrev_b32_e32 v82, 16, v143
	v_bfe_u32 v148, v144, 16, 1
	v_mul_f32_e32 v41, v8, v41
	v_lshlrev_b32_e32 v39, 16, v39
	s_delay_alu instid0(VALU_DEP_4) | instskip(SKIP_3) | instid1(VALU_DEP_4)
	v_dual_mul_f32 v82, v7, v82 :: v_dual_lshlrev_b32 v37, 16, v37
	v_dual_mul_f32 v79, v6, v79 :: v_dual_lshlrev_b32 v122, 16, v122
	v_lshlrev_b32_e32 v130, 16, v130
	v_lshlrev_b32_e32 v129, 16, v129
	v_bfe_u32 v146, v82, 16, 1
	s_delay_alu instid0(VALU_DEP_4)
	v_bfe_u32 v147, v79, 16, 1
	v_or_b32_e32 v143, 0x400000, v79
	v_cmp_u_f32_e32 vcc_lo, v79, v79
	v_mul_f32_e32 v122, v3, v122
	v_lshlrev_b32_e32 v44, 16, v44
	v_add3_u32 v147, v147, v79, 0x7fff
	v_mul_f32_e32 v39, v6, v39
	v_add_nc_u32_e32 v17, 4, v17
	v_add_co_u32 v11, s0, v11, 16
	s_wait_alu 0xfffd
	v_cndmask_b32_e32 v79, v147, v143, vcc_lo
	v_add3_u32 v143, v148, v144, 0x7fff
	v_cmp_u_f32_e32 vcc_lo, v144, v144
	v_add3_u32 v144, v146, v82, 0x7fff
	v_lshlrev_b32_e32 v136, 16, v136
	v_add_nc_u32_e32 v35, 0x80, v35
	s_wait_alu 0xf1ff
	v_add_co_ci_u32_e64 v12, null, 0, v12, s0
	s_wait_alu 0xfffd
	v_cndmask_b32_e32 v143, v143, v145, vcc_lo
	v_or_b32_e32 v145, 0x400000, v82
	v_cmp_u_f32_e32 vcc_lo, v82, v82
	v_mul_f32_e32 v136, v4, v136
	v_lshlrev_b32_e32 v128, 16, v128
	v_lshlrev_b32_e32 v120, 16, v120
	;; [unrolled: 1-line block ×3, first 2 shown]
	s_wait_alu 0xfffd
	v_cndmask_b32_e32 v82, v144, v145, vcc_lo
	v_add_f32_e32 v80, v80, v83
	v_mul_f32_e32 v135, v7, v135
	v_dual_mul_f32 v127, v7, v127 :: v_dual_mul_f32 v128, v4, v128
	s_delay_alu instid0(VALU_DEP_4) | instskip(SKIP_4) | instid1(VALU_DEP_4)
	v_and_b32_e32 v82, 0xffff0000, v82
	v_dual_mul_f32 v120, v4, v120 :: v_dual_and_b32 v81, 0xffff0000, v81
	v_lshlrev_b32_e32 v121, 16, v121
	v_mul_f32_e32 v69, v7, v69
	v_mul_f32_e32 v61, v7, v61
	v_add_f32_e32 v81, v90, v81
	v_and_b32_e32 v79, 0xffff0000, v79
	v_mul_f32_e32 v53, v7, v53
	v_mul_f32_e32 v45, v7, v45
	s_delay_alu instid0(VALU_DEP_4) | instskip(NEXT) | instid1(VALU_DEP_4)
	v_dual_mul_f32 v37, v7, v37 :: v_dual_add_f32 v80, v81, v80
	v_add_f32_e32 v77, v79, v77
	v_lshlrev_b32_e32 v79, 16, v141
	v_or_b32_e32 v141, 0x400000, v137
	v_dual_mul_f32 v121, v6, v121 :: v_dual_lshlrev_b32 v16, 16, v16
	s_delay_alu instid0(VALU_DEP_4)
	v_add_f32_e32 v77, v77, v80
	v_lshlrev_b32_e32 v80, 16, v140
	v_lshlrev_b32_e32 v83, 16, v142
	v_mul_f32_e32 v79, v5, v79
	v_bfe_u32 v142, v136, 16, 1
	v_mul_f32_e32 v16, v6, v16
	s_delay_alu instid0(VALU_DEP_4)
	v_dual_mul_f32 v80, v2, v80 :: v_dual_mul_f32 v81, v1, v83
	v_and_b32_e32 v83, 0xffff0000, v143
	v_bfe_u32 v140, v79, 16, 1
	v_lshlrev_b32_e32 v0, 16, v0
	v_mul_f32_e32 v100, v7, v100
	v_bfe_u32 v90, v81, 16, 1
	v_add_f32_e32 v82, v82, v83
	v_cmp_u_f32_e32 vcc_lo, v81, v81
	v_mul_f32_e32 v0, v7, v0
	v_lshlrev_b32_e32 v102, 16, v102
	v_add3_u32 v83, v90, v81, 0x7fff
	v_or_b32_e32 v90, 0x400000, v81
	v_add_f32_e32 v77, v82, v77
	v_dual_mul_f32 v15, v4, v15 :: v_dual_lshlrev_b32 v86, 16, v86
	s_wait_alu 0xfffd
	s_delay_alu instid0(VALU_DEP_3)
	v_dual_cndmask_b32 v81, v83, v90 :: v_dual_lshlrev_b32 v84, 16, v84
	v_add3_u32 v83, v140, v79, 0x7fff
	v_or_b32_e32 v90, 0x400000, v79
	v_bfe_u32 v140, v80, 16, 1
	v_cmp_u_f32_e32 vcc_lo, v79, v79
	v_add_f32_e32 v22, v22, v77
	v_mul_f32_e32 v86, v3, v86
	v_lshlrev_b32_e32 v78, 16, v78
	s_wait_alu 0xfffd
	v_dual_mul_f32 v84, v4, v84 :: v_dual_cndmask_b32 v79, v83, v90
	v_add3_u32 v83, v140, v80, 0x7fff
	v_or_b32_e32 v90, 0x400000, v80
	v_cmp_u_f32_e32 vcc_lo, v80, v80
	s_delay_alu instid0(VALU_DEP_4)
	v_dual_mul_f32 v78, v7, v78 :: v_dual_and_b32 v79, 0xffff0000, v79
	v_lshlrev_b32_e32 v76, 16, v76
	v_lshlrev_b32_e32 v74, 16, v74
	s_wait_alu 0xfffd
	v_cndmask_b32_e32 v80, v83, v90, vcc_lo
	v_lshlrev_b32_e32 v72, 16, v72
	v_lshlrev_b32_e32 v64, 16, v64
	v_dual_mul_f32 v76, v1, v76 :: v_dual_lshlrev_b32 v75, 16, v75
	s_delay_alu instid0(VALU_DEP_4) | instskip(SKIP_2) | instid1(VALU_DEP_4)
	v_and_b32_e32 v80, 0xffff0000, v80
	v_lshlrev_b32_e32 v139, 16, v139
	v_dual_mul_f32 v74, v2, v74 :: v_dual_and_b32 v81, 0xffff0000, v81
	v_dual_mul_f32 v64, v3, v64 :: v_dual_mul_f32 v75, v5, v75
	s_delay_alu instid0(VALU_DEP_3) | instskip(NEXT) | instid1(VALU_DEP_3)
	v_dual_mul_f32 v139, v8, v139 :: v_dual_lshlrev_b32 v62, 16, v62
	v_add_f32_e32 v79, v79, v81
	v_mul_f32_e32 v72, v3, v72
	v_lshlrev_b32_e32 v70, 16, v70
	v_lshlrev_b32_e32 v87, 16, v87
	v_bfe_u32 v140, v139, 16, 1
	v_or_b32_e32 v90, 0x400000, v139
	v_cmp_u_f32_e32 vcc_lo, v139, v139
	v_mul_f32_e32 v70, v4, v70
	v_mul_f32_e32 v87, v8, v87
	v_add3_u32 v83, v140, v139, 0x7fff
	v_bfe_u32 v140, v138, 16, 1
	v_lshlrev_b32_e32 v68, 16, v68
	v_lshlrev_b32_e32 v66, 16, v66
	v_mul_f32_e32 v62, v4, v62
	s_wait_alu 0xfffd
	v_cndmask_b32_e32 v83, v83, v90, vcc_lo
	v_bfe_u32 v90, v137, 16, 1
	v_add3_u32 v139, v140, v138, 0x7fff
	v_or_b32_e32 v140, 0x400000, v138
	v_cmp_u_f32_e32 vcc_lo, v138, v138
	v_and_b32_e32 v83, 0xffff0000, v83
	v_add3_u32 v90, v90, v137, 0x7fff
	v_mul_f32_e32 v66, v2, v66
	v_lshlrev_b32_e32 v58, 16, v58
	s_wait_alu 0xfffd
	v_cndmask_b32_e32 v138, v139, v140, vcc_lo
	v_cmp_u_f32_e32 vcc_lo, v137, v137
	v_bfe_u32 v139, v135, 16, 1
	v_add_f32_e32 v80, v83, v80
	v_add3_u32 v137, v142, v136, 0x7fff
	v_or_b32_e32 v140, 0x400000, v136
	s_wait_alu 0xfffd
	v_cndmask_b32_e32 v90, v90, v141, vcc_lo
	v_add3_u32 v139, v139, v135, 0x7fff
	v_or_b32_e32 v141, 0x400000, v135
	v_cmp_u_f32_e32 vcc_lo, v135, v135
	v_and_b32_e32 v83, 0xffff0000, v138
	v_and_b32_e32 v81, 0xffff0000, v90
	v_dual_add_f32 v79, v80, v79 :: v_dual_mul_f32 v58, v2, v58
	s_wait_alu 0xfffd
	v_cndmask_b32_e32 v90, v139, v141, vcc_lo
	v_cmp_u_f32_e32 vcc_lo, v136, v136
	v_dual_add_f32 v80, v81, v83 :: v_dual_lshlrev_b32 v81, 16, v134
	v_lshlrev_b32_e32 v56, 16, v56
	s_delay_alu instid0(VALU_DEP_4) | instskip(SKIP_4) | instid1(VALU_DEP_3)
	v_and_b32_e32 v83, 0xffff0000, v90
	s_wait_alu 0xfffd
	v_dual_cndmask_b32 v135, v137, v140 :: v_dual_lshlrev_b32 v90, 16, v133
	v_mul_f32_e32 v81, v1, v81
	v_dual_add_f32 v79, v80, v79 :: v_dual_mul_f32 v56, v3, v56
	v_dual_mul_f32 v80, v5, v90 :: v_dual_and_b32 v133, 0xffff0000, v135
	s_delay_alu instid0(VALU_DEP_3) | instskip(SKIP_2) | instid1(VALU_DEP_4)
	v_bfe_u32 v90, v81, 16, 1
	v_cmp_u_f32_e32 vcc_lo, v81, v81
	v_lshlrev_b32_e32 v52, 16, v52
	v_dual_add_f32 v82, v83, v133 :: v_dual_lshlrev_b32 v83, 16, v132
	v_bfe_u32 v77, v80, 16, 1
	v_or_b32_e32 v132, 0x400000, v80
	s_delay_alu instid0(VALU_DEP_3) | instskip(NEXT) | instid1(VALU_DEP_4)
	v_dual_mul_f32 v52, v1, v52 :: v_dual_add_f32 v79, v82, v79
	v_mul_f32_e32 v82, v2, v83
	v_add3_u32 v83, v90, v81, 0x7fff
	v_or_b32_e32 v90, 0x400000, v81
	v_add3_u32 v77, v77, v80, 0x7fff
	v_lshlrev_b32_e32 v50, 16, v50
	v_bfe_u32 v133, v82, 16, 1
	s_wait_alu 0xfffd
	v_dual_cndmask_b32 v81, v83, v90 :: v_dual_lshlrev_b32 v48, 16, v48
	v_cmp_u_f32_e32 vcc_lo, v80, v80
	v_mul_f32_e32 v80, v8, v131
	v_add3_u32 v83, v133, v82, 0x7fff
	v_or_b32_e32 v90, 0x400000, v82
	v_bfe_u32 v133, v128, 16, 1
	s_wait_alu 0xfffd
	v_cndmask_b32_e32 v77, v77, v132, vcc_lo
	v_cmp_u_f32_e32 vcc_lo, v82, v82
	v_bfe_u32 v131, v80, 16, 1
	v_dual_mul_f32 v50, v2, v50 :: v_dual_and_b32 v81, 0xffff0000, v81
	s_wait_alu 0xfffd
	v_dual_cndmask_b32 v82, v83, v90 :: v_dual_and_b32 v77, 0xffff0000, v77
	v_dual_mul_f32 v83, v3, v130 :: v_dual_mul_f32 v90, v6, v129
	v_add3_u32 v129, v131, v80, 0x7fff
	v_or_b32_e32 v130, 0x400000, v80
	v_cmp_u_f32_e32 vcc_lo, v80, v80
	s_delay_alu instid0(VALU_DEP_4)
	v_bfe_u32 v131, v83, 16, 1
	v_bfe_u32 v132, v90, 16, 1
	v_dual_add_f32 v77, v77, v81 :: v_dual_and_b32 v82, 0xffff0000, v82
	s_wait_alu 0xfffd
	v_cndmask_b32_e32 v80, v129, v130, vcc_lo
	v_add3_u32 v129, v131, v83, 0x7fff
	v_or_b32_e32 v130, 0x400000, v83
	v_cmp_u_f32_e32 vcc_lo, v83, v83
	v_add3_u32 v131, v132, v90, 0x7fff
	v_or_b32_e32 v132, 0x400000, v90
	v_and_b32_e32 v80, 0xffff0000, v80
	s_wait_alu 0xfffd
	v_dual_mul_f32 v48, v3, v48 :: v_dual_cndmask_b32 v83, v129, v130
	v_cmp_u_f32_e32 vcc_lo, v90, v90
	v_add3_u32 v129, v133, v128, 0x7fff
	v_or_b32_e32 v130, 0x400000, v128
	v_add_f32_e32 v80, v80, v82
	v_lshlrev_b32_e32 v82, 16, v126
	s_wait_alu 0xfffd
	v_cndmask_b32_e32 v90, v131, v132, vcc_lo
	v_cmp_u_f32_e32 vcc_lo, v128, v128
	v_and_b32_e32 v83, 0xffff0000, v83
	v_or_b32_e32 v126, 0x400000, v127
	v_add_f32_e32 v77, v80, v77
	v_and_b32_e32 v81, 0xffff0000, v90
	s_wait_alu 0xfffd
	v_cndmask_b32_e32 v128, v129, v130, vcc_lo
	v_bfe_u32 v129, v127, 16, 1
	v_mul_f32_e32 v80, v1, v82
	v_dual_add_f32 v81, v81, v83 :: v_dual_lshlrev_b32 v82, 16, v125
	v_cmp_u_f32_e32 vcc_lo, v127, v127
	s_delay_alu instid0(VALU_DEP_4)
	v_add3_u32 v90, v129, v127, 0x7fff
	v_bfe_u32 v127, v120, 16, 1
	v_add_f32_e32 v23, v23, v79
	v_add_f32_e32 v77, v81, v77
	v_mul_f32_e32 v81, v5, v82
	s_wait_alu 0xfffd
	v_cndmask_b32_e32 v83, v90, v126, vcc_lo
	v_bfe_u32 v90, v80, 16, 1
	v_lshlrev_b32_e32 v82, 16, v124
	v_or_b32_e32 v124, 0x400000, v80
	v_bfe_u32 v125, v81, 16, 1
	v_cmp_u_f32_e32 vcc_lo, v80, v80
	v_add3_u32 v90, v90, v80, 0x7fff
	v_mul_f32_e32 v82, v2, v82
	v_or_b32_e32 v126, 0x400000, v121
	v_lshlrev_b32_e32 v46, 16, v46
	s_wait_alu 0xfffd
	v_dual_cndmask_b32 v80, v90, v124 :: v_dual_lshlrev_b32 v57, 16, v57
	v_add3_u32 v90, v125, v81, 0x7fff
	v_or_b32_e32 v124, 0x400000, v81
	v_bfe_u32 v125, v82, 16, 1
	v_cmp_u_f32_e32 vcc_lo, v81, v81
	v_and_b32_e32 v80, 0xffff0000, v80
	v_mul_f32_e32 v46, v4, v46
	v_dual_mul_f32 v57, v8, v57 :: v_dual_mul_f32 v44, v1, v44
	s_wait_alu 0xfffd
	v_cndmask_b32_e32 v81, v90, v124, vcc_lo
	v_add3_u32 v90, v125, v82, 0x7fff
	v_or_b32_e32 v124, 0x400000, v82
	v_bfe_u32 v125, v123, 16, 1
	v_cmp_u_f32_e32 vcc_lo, v82, v82
	v_and_b32_e32 v81, 0xffff0000, v81
	v_lshlrev_b32_e32 v42, 16, v42
	v_lshlrev_b32_e32 v40, 16, v40
	;; [unrolled: 1-line block ×3, first 2 shown]
	s_wait_alu 0xfffd
	v_cndmask_b32_e32 v82, v90, v124, vcc_lo
	v_add3_u32 v90, v125, v123, 0x7fff
	v_or_b32_e32 v124, 0x400000, v123
	v_bfe_u32 v125, v122, 16, 1
	v_cmp_u_f32_e32 vcc_lo, v123, v123
	v_bfe_u32 v123, v121, 16, 1
	v_and_b32_e32 v82, 0xffff0000, v82
	v_add_f32_e32 v80, v81, v80
	v_mul_f32_e32 v42, v2, v42
	s_wait_alu 0xfffd
	v_cndmask_b32_e32 v90, v90, v124, vcc_lo
	v_add3_u32 v124, v125, v122, 0x7fff
	v_or_b32_e32 v125, 0x400000, v122
	v_cmp_u_f32_e32 vcc_lo, v122, v122
	v_add3_u32 v123, v123, v121, 0x7fff
	v_and_b32_e32 v90, 0xffff0000, v90
	v_dual_mul_f32 v38, v4, v38 :: v_dual_lshlrev_b32 v49, 16, v49
	s_wait_alu 0xfffd
	v_cndmask_b32_e32 v122, v124, v125, vcc_lo
	v_cmp_u_f32_e32 vcc_lo, v121, v121
	v_dual_add_f32 v81, v90, v82 :: v_dual_mul_f32 v40, v3, v40
	s_delay_alu instid0(VALU_DEP_3) | instskip(SKIP_1) | instid1(VALU_DEP_2)
	v_dual_mul_f32 v49, v8, v49 :: v_dual_and_b32 v90, 0xffff0000, v122
	s_wait_alu 0xfffd
	v_dual_cndmask_b32 v121, v123, v126 :: v_dual_add_f32 v80, v81, v80
	v_add3_u32 v123, v127, v120, 0x7fff
	v_or_b32_e32 v126, 0x400000, v120
	v_lshlrev_b32_e32 v14, 16, v14
	s_delay_alu instid0(VALU_DEP_4) | instskip(SKIP_2) | instid1(VALU_DEP_3)
	v_and_b32_e32 v82, 0xffff0000, v121
	v_and_b32_e32 v83, 0xffff0000, v83
	;; [unrolled: 1-line block ×3, first 2 shown]
	v_dual_add_f32 v81, v82, v90 :: v_dual_add_nc_u32 v36, 0x200, v36
	s_delay_alu instid0(VALU_DEP_1) | instskip(NEXT) | instid1(VALU_DEP_1)
	v_dual_add_f32 v83, v83, v121 :: v_dual_add_f32 v80, v81, v80
	v_add_f32_e32 v77, v83, v77
	v_lshlrev_b32_e32 v119, 16, v119
	v_mul_f32_e32 v83, v5, v117
	s_delay_alu instid0(VALU_DEP_2) | instskip(NEXT) | instid1(VALU_DEP_2)
	v_dual_add_f32 v24, v24, v77 :: v_dual_mul_f32 v119, v7, v119
	v_bfe_u32 v77, v83, 16, 1
	s_delay_alu instid0(VALU_DEP_2) | instskip(SKIP_2) | instid1(VALU_DEP_4)
	v_bfe_u32 v129, v119, 16, 1
	v_or_b32_e32 v125, 0x400000, v119
	v_cmp_u_f32_e32 vcc_lo, v119, v119
	v_add3_u32 v77, v77, v83, 0x7fff
	s_delay_alu instid0(VALU_DEP_4) | instskip(SKIP_1) | instid1(VALU_DEP_1)
	v_add3_u32 v124, v129, v119, 0x7fff
	s_wait_alu 0xfffd
	v_cndmask_b32_e32 v119, v124, v125, vcc_lo
	v_cmp_u_f32_e32 vcc_lo, v120, v120
	s_delay_alu instid0(VALU_DEP_2) | instskip(SKIP_2) | instid1(VALU_DEP_1)
	v_and_b32_e32 v82, 0xffff0000, v119
	s_wait_alu 0xfffd
	v_cndmask_b32_e32 v120, v123, v126, vcc_lo
	v_and_b32_e32 v90, 0xffff0000, v120
	s_delay_alu instid0(VALU_DEP_1) | instskip(SKIP_2) | instid1(VALU_DEP_3)
	v_add_f32_e32 v81, v82, v90
	v_mul_f32_e32 v82, v1, v118
	v_or_b32_e32 v90, 0x400000, v83
	v_add_f32_e32 v79, v81, v80
	s_delay_alu instid0(VALU_DEP_3)
	v_bfe_u32 v80, v82, 16, 1
	v_lshlrev_b32_e32 v81, 16, v116
	v_cmp_u_f32_e32 vcc_lo, v82, v82
	v_bfe_u32 v116, v15, 16, 1
	v_add_f32_e32 v25, v25, v79
	v_add3_u32 v79, v80, v82, 0x7fff
	v_or_b32_e32 v80, 0x400000, v82
	v_dual_mul_f32 v81, v2, v81 :: v_dual_mul_f32 v82, v8, v115
	v_bfe_u32 v115, v16, 16, 1
	s_wait_alu 0xfffd
	s_delay_alu instid0(VALU_DEP_3) | instskip(NEXT) | instid1(VALU_DEP_3)
	v_cndmask_b32_e32 v79, v79, v80, vcc_lo
	v_bfe_u32 v80, v81, 16, 1
	v_cmp_u_f32_e32 vcc_lo, v83, v83
	v_lshlrev_b32_e32 v83, 16, v114
	v_bfe_u32 v114, v82, 16, 1
	s_delay_alu instid0(VALU_DEP_4)
	v_add3_u32 v80, v80, v81, 0x7fff
	s_wait_alu 0xfffd
	v_cndmask_b32_e32 v77, v77, v90, vcc_lo
	v_or_b32_e32 v90, 0x400000, v81
	v_mul_f32_e32 v83, v3, v83
	v_cmp_u_f32_e32 vcc_lo, v81, v81
	v_add3_u32 v81, v114, v82, 0x7fff
	v_and_b32_e32 v77, 0xffff0000, v77
	s_delay_alu instid0(VALU_DEP_4)
	v_bfe_u32 v114, v83, 16, 1
	s_wait_alu 0xfffd
	v_cndmask_b32_e32 v80, v80, v90, vcc_lo
	v_or_b32_e32 v90, 0x400000, v82
	v_cmp_u_f32_e32 vcc_lo, v82, v82
	v_add3_u32 v82, v114, v83, 0x7fff
	v_add3_u32 v114, v115, v16, 0x7fff
	v_or_b32_e32 v115, 0x400000, v16
	s_wait_alu 0xfffd
	v_cndmask_b32_e32 v81, v81, v90, vcc_lo
	v_or_b32_e32 v90, 0x400000, v83
	v_cmp_u_f32_e32 vcc_lo, v83, v83
	v_add3_u32 v83, v116, v15, 0x7fff
	v_and_b32_e32 v80, 0xffff0000, v80
	s_wait_alu 0xfffd
	v_dual_cndmask_b32 v82, v82, v90 :: v_dual_and_b32 v81, 0xffff0000, v81
	v_cmp_u_f32_e32 vcc_lo, v16, v16
	v_or_b32_e32 v90, 0x400000, v15
	s_wait_alu 0xfffd
	v_cndmask_b32_e32 v16, v114, v115, vcc_lo
	v_bfe_u32 v114, v0, 16, 1
	v_cmp_u_f32_e32 vcc_lo, v15, v15
	s_wait_alu 0xfffd
	s_delay_alu instid0(VALU_DEP_3) | instskip(NEXT) | instid1(VALU_DEP_3)
	v_dual_cndmask_b32 v15, v83, v90 :: v_dual_and_b32 v16, 0xffff0000, v16
	v_add3_u32 v83, v114, v0, 0x7fff
	v_or_b32_e32 v90, 0x400000, v0
	v_cmp_u_f32_e32 vcc_lo, v0, v0
	s_wait_alu 0xfffd
	s_delay_alu instid0(VALU_DEP_2) | instskip(SKIP_3) | instid1(VALU_DEP_3)
	v_dual_cndmask_b32 v0, v83, v90 :: v_dual_and_b32 v15, 0xffff0000, v15
	v_lshlrev_b32_e32 v83, 16, v104
	v_lshlrev_b32_e32 v90, 16, v103
	v_bfe_u32 v104, v101, 16, 1
	v_dual_mul_f32 v83, v8, v83 :: v_dual_and_b32 v0, 0xffff0000, v0
	s_delay_alu instid0(VALU_DEP_3) | instskip(NEXT) | instid1(VALU_DEP_2)
	v_mul_f32_e32 v90, v3, v90
	v_add_f32_e32 v0, v0, v15
	v_and_b32_e32 v79, 0xffff0000, v79
	s_delay_alu instid0(VALU_DEP_1) | instskip(SKIP_2) | instid1(VALU_DEP_2)
	v_add_f32_e32 v77, v77, v79
	v_dual_add_f32 v79, v81, v80 :: v_dual_lshlrev_b32 v80, 16, v107
	v_and_b32_e32 v81, 0xffff0000, v82
	v_add_f32_e32 v77, v79, v77
	s_delay_alu instid0(VALU_DEP_2) | instskip(SKIP_1) | instid1(VALU_DEP_2)
	v_dual_mul_f32 v79, v1, v80 :: v_dual_add_f32 v16, v16, v81
	v_lshlrev_b32_e32 v80, 16, v106
	v_bfe_u32 v81, v79, 16, 1
	s_delay_alu instid0(VALU_DEP_2) | instskip(SKIP_2) | instid1(VALU_DEP_4)
	v_dual_add_f32 v16, v16, v77 :: v_dual_mul_f32 v77, v5, v80
	v_lshlrev_b32_e32 v80, 16, v105
	v_cmp_u_f32_e32 vcc_lo, v79, v79
	v_add3_u32 v15, v81, v79, 0x7fff
	v_or_b32_e32 v81, 0x400000, v79
	v_bfe_u32 v82, v77, 16, 1
	v_mul_f32_e32 v80, v2, v80
	s_wait_alu 0xfffd
	s_delay_alu instid0(VALU_DEP_3) | instskip(NEXT) | instid1(VALU_DEP_3)
	v_dual_add_f32 v0, v0, v16 :: v_dual_cndmask_b32 v15, v15, v81
	v_add3_u32 v79, v82, v77, 0x7fff
	v_or_b32_e32 v81, 0x400000, v77
	v_bfe_u32 v82, v80, 16, 1
	v_cmp_u_f32_e32 vcc_lo, v77, v77
	v_dual_add_f32 v26, v26, v0 :: v_dual_and_b32 v15, 0xffff0000, v15
	s_wait_alu 0xfffd
	v_cndmask_b32_e32 v77, v79, v81, vcc_lo
	v_add3_u32 v79, v82, v80, 0x7fff
	v_or_b32_e32 v81, 0x400000, v80
	v_bfe_u32 v82, v83, 16, 1
	v_cmp_u_f32_e32 vcc_lo, v80, v80
	v_and_b32_e32 v77, 0xffff0000, v77
	s_delay_alu instid0(VALU_DEP_3)
	v_add3_u32 v80, v82, v83, 0x7fff
	s_wait_alu 0xfffd
	v_cndmask_b32_e32 v79, v79, v81, vcc_lo
	v_or_b32_e32 v81, 0x400000, v83
	v_mul_f32_e32 v82, v6, v102
	v_bfe_u32 v102, v90, 16, 1
	v_cmp_u_f32_e32 vcc_lo, v83, v83
	v_and_b32_e32 v79, 0xffff0000, v79
	v_add_f32_e32 v15, v77, v15
	v_or_b32_e32 v103, 0x400000, v82
	v_add3_u32 v83, v102, v90, 0x7fff
	s_wait_alu 0xfffd
	v_cndmask_b32_e32 v80, v80, v81, vcc_lo
	v_bfe_u32 v81, v82, 16, 1
	v_or_b32_e32 v102, 0x400000, v90
	v_cmp_u_f32_e32 vcc_lo, v90, v90
	v_bfe_u32 v90, v100, 16, 1
	v_and_b32_e32 v80, 0xffff0000, v80
	v_add3_u32 v81, v81, v82, 0x7fff
	s_wait_alu 0xfffd
	v_cndmask_b32_e32 v83, v83, v102, vcc_lo
	v_cmp_u_f32_e32 vcc_lo, v82, v82
	v_add3_u32 v90, v90, v100, 0x7fff
	v_add_f32_e32 v77, v80, v79
	v_add3_u32 v82, v104, v101, 0x7fff
	v_and_b32_e32 v80, 0xffff0000, v83
	s_wait_alu 0xfffd
	v_cndmask_b32_e32 v81, v81, v103, vcc_lo
	v_or_b32_e32 v103, 0x400000, v100
	v_cmp_u_f32_e32 vcc_lo, v100, v100
	v_or_b32_e32 v102, 0x400000, v101
	v_add_f32_e32 v15, v77, v15
	v_and_b32_e32 v79, 0xffff0000, v81
	s_wait_alu 0xfffd
	v_cndmask_b32_e32 v81, v90, v103, vcc_lo
	v_cmp_u_f32_e32 vcc_lo, v101, v101
	v_lshlrev_b32_e32 v90, 16, v96
	v_add_f32_e32 v77, v79, v80
	v_lshlrev_b32_e32 v79, 16, v99
	v_and_b32_e32 v80, 0xffff0000, v81
	s_wait_alu 0xfffd
	v_cndmask_b32_e32 v82, v82, v102, vcc_lo
	v_lshlrev_b32_e32 v81, 16, v98
	v_add_f32_e32 v15, v77, v15
	v_mul_f32_e32 v16, v1, v79
	s_delay_alu instid0(VALU_DEP_3) | instskip(NEXT) | instid1(VALU_DEP_2)
	v_dual_mul_f32 v77, v5, v81 :: v_dual_and_b32 v82, 0xffff0000, v82
	v_bfe_u32 v81, v16, 16, 1
	v_cmp_u_f32_e32 vcc_lo, v16, v16
	s_delay_alu instid0(VALU_DEP_3) | instskip(NEXT) | instid1(VALU_DEP_4)
	v_dual_add_f32 v79, v80, v82 :: v_dual_lshlrev_b32 v80, 16, v97
	v_bfe_u32 v0, v77, 16, 1
	v_or_b32_e32 v82, 0x400000, v77
	s_delay_alu instid0(VALU_DEP_3) | instskip(NEXT) | instid1(VALU_DEP_4)
	v_add_f32_e32 v15, v79, v15
	v_mul_f32_e32 v79, v2, v80
	v_add3_u32 v80, v81, v16, 0x7fff
	v_or_b32_e32 v81, 0x400000, v16
	v_add3_u32 v0, v0, v77, 0x7fff
	s_delay_alu instid0(VALU_DEP_4) | instskip(SKIP_1) | instid1(VALU_DEP_3)
	v_bfe_u32 v83, v79, 16, 1
	s_wait_alu 0xfffd
	v_cndmask_b32_e32 v16, v80, v81, vcc_lo
	v_cmp_u_f32_e32 vcc_lo, v77, v77
	v_mul_f32_e32 v77, v8, v90
	v_add3_u32 v80, v83, v79, 0x7fff
	v_or_b32_e32 v81, 0x400000, v79
	v_lshlrev_b32_e32 v83, 16, v94
	s_wait_alu 0xfffd
	v_cndmask_b32_e32 v0, v0, v82, vcc_lo
	v_lshlrev_b32_e32 v82, 16, v95
	v_cmp_u_f32_e32 vcc_lo, v79, v79
	v_bfe_u32 v90, v77, 16, 1
	v_and_b32_e32 v16, 0xffff0000, v16
	s_wait_alu 0xfffd
	v_dual_cndmask_b32 v79, v80, v81 :: v_dual_and_b32 v0, 0xffff0000, v0
	v_dual_mul_f32 v80, v3, v82 :: v_dual_mul_f32 v81, v6, v83
	v_add3_u32 v82, v90, v77, 0x7fff
	v_or_b32_e32 v83, 0x400000, v77
	v_lshlrev_b32_e32 v90, 16, v93
	s_delay_alu instid0(VALU_DEP_4)
	v_bfe_u32 v93, v80, 16, 1
	v_cmp_u_f32_e32 vcc_lo, v77, v77
	v_bfe_u32 v94, v81, 16, 1
	v_dual_add_f32 v0, v0, v16 :: v_dual_and_b32 v79, 0xffff0000, v79
	s_wait_alu 0xfffd
	v_dual_cndmask_b32 v77, v82, v83 :: v_dual_mul_f32 v82, v4, v90
	v_add3_u32 v83, v93, v80, 0x7fff
	v_or_b32_e32 v90, 0x400000, v80
	v_cmp_u_f32_e32 vcc_lo, v80, v80
	v_add3_u32 v93, v94, v81, 0x7fff
	v_or_b32_e32 v94, 0x400000, v81
	v_bfe_u32 v95, v82, 16, 1
	s_wait_alu 0xfffd
	v_dual_cndmask_b32 v80, v83, v90 :: v_dual_and_b32 v77, 0xffff0000, v77
	v_lshlrev_b32_e32 v83, 16, v92
	v_cmp_u_f32_e32 vcc_lo, v81, v81
	v_add3_u32 v90, v95, v82, 0x7fff
	v_or_b32_e32 v92, 0x400000, v82
	v_add_f32_e32 v16, v77, v79
	v_mul_f32_e32 v83, v7, v83
	s_wait_alu 0xfffd
	v_cndmask_b32_e32 v81, v93, v94, vcc_lo
	v_cmp_u_f32_e32 vcc_lo, v82, v82
	v_and_b32_e32 v80, 0xffff0000, v80
	v_add_f32_e32 v0, v16, v0
	v_mul_f32_e32 v4, v4, v13
	s_wait_alu 0xfffd
	v_dual_cndmask_b32 v82, v90, v92 :: v_dual_and_b32 v77, 0xffff0000, v81
	v_bfe_u32 v90, v83, 16, 1
	v_cmp_u_f32_e32 vcc_lo, v83, v83
	v_mul_f32_e32 v43, v5, v43
	s_delay_alu instid0(VALU_DEP_4) | instskip(NEXT) | instid1(VALU_DEP_4)
	v_dual_add_f32 v77, v77, v80 :: v_dual_and_b32 v82, 0xffff0000, v82
	v_add3_u32 v81, v90, v83, 0x7fff
	v_or_b32_e32 v90, 0x400000, v83
	s_delay_alu instid0(VALU_DEP_3) | instskip(SKIP_1) | instid1(VALU_DEP_2)
	v_dual_mul_f32 v7, v7, v14 :: v_dual_add_f32 v0, v77, v0
	s_wait_alu 0xfffd
	v_cndmask_b32_e32 v80, v81, v90, vcc_lo
	v_bfe_u32 v90, v84, 16, 1
	s_delay_alu instid0(VALU_DEP_2) | instskip(NEXT) | instid1(VALU_DEP_1)
	v_and_b32_e32 v80, 0xffff0000, v80
	v_add_f32_e32 v80, v80, v82
	s_delay_alu instid0(VALU_DEP_1) | instskip(SKIP_1) | instid1(VALU_DEP_2)
	v_dual_add_f32 v0, v80, v0 :: v_dual_lshlrev_b32 v79, 16, v91
	v_bfe_u32 v91, v78, 16, 1
	v_add_f32_e32 v28, v28, v0
	s_delay_alu instid0(VALU_DEP_3) | instskip(SKIP_2) | instid1(VALU_DEP_3)
	v_dual_mul_f32 v16, v1, v79 :: v_dual_lshlrev_b32 v79, 16, v89
	v_bfe_u32 v0, v75, 16, 1
	v_or_b32_e32 v89, 0x400000, v85
	v_bfe_u32 v81, v16, 16, 1
	v_or_b32_e32 v83, 0x400000, v16
	v_cmp_u_f32_e32 vcc_lo, v16, v16
	v_mul_f32_e32 v77, v5, v79
	v_add3_u32 v0, v0, v75, 0x7fff
	v_add3_u32 v81, v81, v16, 0x7fff
	v_lshlrev_b32_e32 v79, 16, v88
	s_delay_alu instid0(VALU_DEP_4) | instskip(SKIP_1) | instid1(VALU_DEP_3)
	v_bfe_u32 v88, v77, 16, 1
	s_wait_alu 0xfffd
	v_cndmask_b32_e32 v16, v81, v83, vcc_lo
	v_or_b32_e32 v83, 0x400000, v77
	v_cmp_u_f32_e32 vcc_lo, v77, v77
	v_add3_u32 v81, v88, v77, 0x7fff
	s_delay_alu instid0(VALU_DEP_4) | instskip(SKIP_2) | instid1(VALU_DEP_3)
	v_dual_mul_f32 v79, v2, v79 :: v_dual_and_b32 v16, 0xffff0000, v16
	v_add_f32_e32 v27, v27, v15
	s_wait_alu 0xfffd
	v_cndmask_b32_e32 v77, v81, v83, vcc_lo
	s_delay_alu instid0(VALU_DEP_3) | instskip(SKIP_2) | instid1(VALU_DEP_4)
	v_bfe_u32 v88, v79, 16, 1
	v_or_b32_e32 v83, 0x400000, v79
	v_cmp_u_f32_e32 vcc_lo, v79, v79
	v_and_b32_e32 v77, 0xffff0000, v77
	s_delay_alu instid0(VALU_DEP_4) | instskip(SKIP_1) | instid1(VALU_DEP_3)
	v_add3_u32 v81, v88, v79, 0x7fff
	v_bfe_u32 v88, v87, 16, 1
	v_add_f32_e32 v16, v77, v16
	s_wait_alu 0xfffd
	s_delay_alu instid0(VALU_DEP_3) | instskip(NEXT) | instid1(VALU_DEP_3)
	v_cndmask_b32_e32 v79, v81, v83, vcc_lo
	v_add3_u32 v81, v88, v87, 0x7fff
	v_or_b32_e32 v83, 0x400000, v87
	v_bfe_u32 v88, v86, 16, 1
	v_cmp_u_f32_e32 vcc_lo, v87, v87
	v_and_b32_e32 v79, 0xffff0000, v79
	s_delay_alu instid0(VALU_DEP_3)
	v_add3_u32 v87, v88, v86, 0x7fff
	s_wait_alu 0xfffd
	v_cndmask_b32_e32 v81, v81, v83, vcc_lo
	v_bfe_u32 v83, v85, 16, 1
	v_or_b32_e32 v88, 0x400000, v86
	v_cmp_u_f32_e32 vcc_lo, v86, v86
	s_delay_alu instid0(VALU_DEP_4) | instskip(NEXT) | instid1(VALU_DEP_4)
	v_and_b32_e32 v81, 0xffff0000, v81
	v_add3_u32 v83, v83, v85, 0x7fff
	s_wait_alu 0xfffd
	v_cndmask_b32_e32 v86, v87, v88, vcc_lo
	v_cmp_u_f32_e32 vcc_lo, v85, v85
	v_add3_u32 v87, v91, v78, 0x7fff
	v_or_b32_e32 v88, 0x400000, v78
	v_add3_u32 v85, v90, v84, 0x7fff
	v_add_f32_e32 v77, v81, v79
	s_wait_alu 0xfffd
	v_cndmask_b32_e32 v83, v83, v89, vcc_lo
	v_cmp_u_f32_e32 vcc_lo, v78, v78
	v_or_b32_e32 v89, 0x400000, v84
	v_dual_add_f32 v16, v77, v16 :: v_dual_and_b32 v81, 0xffff0000, v86
	s_wait_alu 0xfffd
	v_dual_cndmask_b32 v78, v87, v88 :: v_dual_and_b32 v79, 0xffff0000, v83
	v_cmp_u_f32_e32 vcc_lo, v84, v84
	s_delay_alu instid0(VALU_DEP_2) | instskip(SKIP_3) | instid1(VALU_DEP_2)
	v_dual_add_f32 v77, v79, v81 :: v_dual_and_b32 v78, 0xffff0000, v78
	s_wait_alu 0xfffd
	v_cndmask_b32_e32 v83, v85, v89, vcc_lo
	v_cmp_u_f32_e32 vcc_lo, v76, v76
	v_dual_add_f32 v16, v77, v16 :: v_dual_and_b32 v79, 0xffff0000, v83
	s_delay_alu instid0(VALU_DEP_1) | instskip(SKIP_1) | instid1(VALU_DEP_2)
	v_add_f32_e32 v77, v78, v79
	v_bfe_u32 v78, v70, 16, 1
	v_add_f32_e32 v15, v77, v16
	v_bfe_u32 v16, v76, 16, 1
	v_or_b32_e32 v77, 0x400000, v75
	s_delay_alu instid0(VALU_DEP_3) | instskip(NEXT) | instid1(VALU_DEP_3)
	v_add_f32_e32 v29, v29, v15
	v_add3_u32 v15, v16, v76, 0x7fff
	v_or_b32_e32 v16, 0x400000, v76
	v_bfe_u32 v76, v73, 16, 1
	s_wait_alu 0xfffd
	s_delay_alu instid0(VALU_DEP_2) | instskip(SKIP_3) | instid1(VALU_DEP_4)
	v_cndmask_b32_e32 v15, v15, v16, vcc_lo
	v_bfe_u32 v16, v74, 16, 1
	v_cmp_u_f32_e32 vcc_lo, v75, v75
	v_or_b32_e32 v75, 0x400000, v74
	v_and_b32_e32 v15, 0xffff0000, v15
	s_delay_alu instid0(VALU_DEP_4)
	v_add3_u32 v16, v16, v74, 0x7fff
	s_wait_alu 0xfffd
	v_cndmask_b32_e32 v0, v0, v77, vcc_lo
	v_cmp_u_f32_e32 vcc_lo, v74, v74
	v_add3_u32 v74, v76, v73, 0x7fff
	v_bfe_u32 v76, v72, 16, 1
	v_bfe_u32 v77, v71, 16, 1
	v_and_b32_e32 v0, 0xffff0000, v0
	s_wait_alu 0xfffd
	v_cndmask_b32_e32 v16, v16, v75, vcc_lo
	v_or_b32_e32 v75, 0x400000, v73
	v_cmp_u_f32_e32 vcc_lo, v73, v73
	v_add_f32_e32 v0, v0, v15
	s_wait_alu 0xfffd
	s_delay_alu instid0(VALU_DEP_3)
	v_dual_cndmask_b32 v73, v74, v75 :: v_dual_and_b32 v16, 0xffff0000, v16
	v_add3_u32 v74, v76, v72, 0x7fff
	v_or_b32_e32 v75, 0x400000, v72
	v_cmp_u_f32_e32 vcc_lo, v72, v72
	v_add3_u32 v76, v77, v71, 0x7fff
	v_or_b32_e32 v77, 0x400000, v71
	s_wait_alu 0xfffd
	v_dual_cndmask_b32 v72, v74, v75 :: v_dual_and_b32 v73, 0xffff0000, v73
	v_cmp_u_f32_e32 vcc_lo, v71, v71
	v_add3_u32 v74, v78, v70, 0x7fff
	v_or_b32_e32 v75, 0x400000, v70
	s_delay_alu instid0(VALU_DEP_4)
	v_add_f32_e32 v15, v73, v16
	s_wait_alu 0xfffd
	v_cndmask_b32_e32 v71, v76, v77, vcc_lo
	v_bfe_u32 v76, v69, 16, 1
	v_cmp_u_f32_e32 vcc_lo, v70, v70
	v_add_f32_e32 v0, v15, v0
	s_delay_alu instid0(VALU_DEP_4)
	v_dual_mul_f32 v15, v1, v68 :: v_dual_and_b32 v16, 0xffff0000, v71
	s_wait_alu 0xfffd
	v_dual_cndmask_b32 v70, v74, v75 :: v_dual_and_b32 v71, 0xffff0000, v72
	v_add3_u32 v74, v76, v69, 0x7fff
	v_or_b32_e32 v75, 0x400000, v69
	v_cmp_u_f32_e32 vcc_lo, v69, v69
	s_delay_alu instid0(VALU_DEP_4) | instskip(SKIP_2) | instid1(VALU_DEP_2)
	v_add_f32_e32 v16, v16, v71
	v_bfe_u32 v72, v62, 16, 1
	s_wait_alu 0xfffd
	v_dual_cndmask_b32 v69, v74, v75 :: v_dual_add_f32 v0, v16, v0
	v_cmp_u_f32_e32 vcc_lo, v15, v15
	s_delay_alu instid0(VALU_DEP_2) | instskip(SKIP_2) | instid1(VALU_DEP_2)
	v_and_b32_e32 v68, 0xffff0000, v69
	v_and_b32_e32 v69, 0xffff0000, v70
	v_bfe_u32 v70, v15, 16, 1
	v_add_f32_e32 v68, v68, v69
	s_delay_alu instid0(VALU_DEP_2) | instskip(SKIP_1) | instid1(VALU_DEP_3)
	v_add3_u32 v69, v70, v15, 0x7fff
	v_or_b32_e32 v70, 0x400000, v15
	v_dual_add_f32 v0, v68, v0 :: v_dual_lshlrev_b32 v67, 16, v67
	s_wait_alu 0xfffd
	s_delay_alu instid0(VALU_DEP_2) | instskip(SKIP_3) | instid1(VALU_DEP_4)
	v_cndmask_b32_e32 v15, v69, v70, vcc_lo
	v_bfe_u32 v69, v66, 16, 1
	v_bfe_u32 v70, v65, 16, 1
	v_dual_add_f32 v30, v30, v0 :: v_dual_mul_f32 v67, v5, v67
	v_and_b32_e32 v15, 0xffff0000, v15
	s_delay_alu instid0(VALU_DEP_2) | instskip(SKIP_2) | instid1(VALU_DEP_3)
	v_bfe_u32 v16, v67, 16, 1
	v_or_b32_e32 v71, 0x400000, v67
	v_cmp_u_f32_e32 vcc_lo, v67, v67
	v_add3_u32 v16, v16, v67, 0x7fff
	v_add3_u32 v67, v69, v66, 0x7fff
	v_or_b32_e32 v69, 0x400000, v66
	s_wait_alu 0xfffd
	s_delay_alu instid0(VALU_DEP_3) | instskip(SKIP_2) | instid1(VALU_DEP_3)
	v_cndmask_b32_e32 v16, v16, v71, vcc_lo
	v_cmp_u_f32_e32 vcc_lo, v66, v66
	v_bfe_u32 v71, v63, 16, 1
	v_and_b32_e32 v16, 0xffff0000, v16
	s_wait_alu 0xfffd
	v_cndmask_b32_e32 v66, v67, v69, vcc_lo
	v_add3_u32 v67, v70, v65, 0x7fff
	v_or_b32_e32 v69, 0x400000, v65
	v_bfe_u32 v70, v64, 16, 1
	v_cmp_u_f32_e32 vcc_lo, v65, v65
	v_dual_add_f32 v15, v16, v15 :: v_dual_and_b32 v66, 0xffff0000, v66
	s_wait_alu 0xfffd
	v_cndmask_b32_e32 v65, v67, v69, vcc_lo
	v_add3_u32 v67, v70, v64, 0x7fff
	v_or_b32_e32 v69, 0x400000, v64
	v_cmp_u_f32_e32 vcc_lo, v64, v64
	v_add3_u32 v70, v71, v63, 0x7fff
	v_or_b32_e32 v71, 0x400000, v63
	v_and_b32_e32 v65, 0xffff0000, v65
	s_wait_alu 0xfffd
	v_cndmask_b32_e32 v64, v67, v69, vcc_lo
	v_cmp_u_f32_e32 vcc_lo, v63, v63
	v_add3_u32 v67, v72, v62, 0x7fff
	v_or_b32_e32 v69, 0x400000, v62
	v_add_f32_e32 v16, v65, v66
	s_wait_alu 0xfffd
	v_dual_cndmask_b32 v63, v70, v71 :: v_dual_and_b32 v64, 0xffff0000, v64
	v_bfe_u32 v70, v61, 16, 1
	v_cmp_u_f32_e32 vcc_lo, v62, v62
	v_dual_add_f32 v15, v16, v15 :: v_dual_lshlrev_b32 v16, 16, v60
	s_wait_alu 0xfffd
	v_dual_cndmask_b32 v62, v67, v69 :: v_dual_and_b32 v63, 0xffff0000, v63
	v_add3_u32 v67, v70, v61, 0x7fff
	v_or_b32_e32 v69, 0x400000, v61
	v_cmp_u_f32_e32 vcc_lo, v61, v61
	s_delay_alu instid0(VALU_DEP_4)
	v_add_f32_e32 v60, v63, v64
	v_and_b32_e32 v62, 0xffff0000, v62
	v_mul_f32_e32 v16, v1, v16
	v_bfe_u32 v63, v54, 16, 1
	s_wait_alu 0xfffd
	v_cndmask_b32_e32 v61, v67, v69, vcc_lo
	v_add_f32_e32 v15, v60, v15
	v_cmp_u_f32_e32 vcc_lo, v16, v16
	s_delay_alu instid0(VALU_DEP_3) | instskip(NEXT) | instid1(VALU_DEP_1)
	v_and_b32_e32 v61, 0xffff0000, v61
	v_add_f32_e32 v60, v61, v62
	v_bfe_u32 v61, v16, 16, 1
	v_bfe_u32 v62, v59, 16, 1
	s_delay_alu instid0(VALU_DEP_3) | instskip(NEXT) | instid1(VALU_DEP_3)
	v_add_f32_e32 v0, v60, v15
	v_add3_u32 v15, v61, v16, 0x7fff
	v_or_b32_e32 v60, 0x400000, v16
	s_delay_alu instid0(VALU_DEP_4)
	v_add3_u32 v61, v62, v59, 0x7fff
	v_or_b32_e32 v62, 0x400000, v59
	v_bfe_u32 v16, v58, 16, 1
	v_add_f32_e32 v31, v31, v0
	s_wait_alu 0xfffd
	v_cndmask_b32_e32 v15, v15, v60, vcc_lo
	v_cmp_u_f32_e32 vcc_lo, v59, v59
	v_or_b32_e32 v60, 0x400000, v58
	v_add3_u32 v16, v16, v58, 0x7fff
	s_delay_alu instid0(VALU_DEP_4)
	v_and_b32_e32 v15, 0xffff0000, v15
	s_wait_alu 0xfffd
	v_cndmask_b32_e32 v59, v61, v62, vcc_lo
	v_bfe_u32 v61, v57, 16, 1
	v_cmp_u_f32_e32 vcc_lo, v58, v58
	v_bfe_u32 v62, v55, 16, 1
	s_delay_alu instid0(VALU_DEP_4) | instskip(NEXT) | instid1(VALU_DEP_4)
	v_and_b32_e32 v59, 0xffff0000, v59
	v_add3_u32 v58, v61, v57, 0x7fff
	s_wait_alu 0xfffd
	v_cndmask_b32_e32 v16, v16, v60, vcc_lo
	v_or_b32_e32 v60, 0x400000, v57
	v_bfe_u32 v61, v56, 16, 1
	v_cmp_u_f32_e32 vcc_lo, v57, v57
	s_delay_alu instid0(VALU_DEP_4)
	v_dual_add_f32 v15, v59, v15 :: v_dual_and_b32 v16, 0xffff0000, v16
	s_wait_alu 0xfffd
	v_cndmask_b32_e32 v57, v58, v60, vcc_lo
	v_add3_u32 v58, v61, v56, 0x7fff
	v_or_b32_e32 v60, 0x400000, v56
	v_cmp_u_f32_e32 vcc_lo, v56, v56
	v_add3_u32 v61, v62, v55, 0x7fff
	v_or_b32_e32 v62, 0x400000, v55
	s_wait_alu 0xfffd
	v_dual_cndmask_b32 v56, v58, v60 :: v_dual_and_b32 v57, 0xffff0000, v57
	v_cmp_u_f32_e32 vcc_lo, v55, v55
	v_add3_u32 v58, v63, v54, 0x7fff
	v_or_b32_e32 v60, 0x400000, v54
	s_delay_alu instid0(VALU_DEP_4)
	v_add_f32_e32 v16, v57, v16
	s_wait_alu 0xfffd
	v_dual_cndmask_b32 v55, v61, v62 :: v_dual_and_b32 v56, 0xffff0000, v56
	v_bfe_u32 v61, v53, 16, 1
	v_cmp_u_f32_e32 vcc_lo, v54, v54
	v_add_f32_e32 v15, v16, v15
	v_bfe_u32 v57, v50, 16, 1
	s_wait_alu 0xfffd
	v_dual_cndmask_b32 v54, v58, v60 :: v_dual_and_b32 v55, 0xffff0000, v55
	v_add3_u32 v58, v61, v53, 0x7fff
	v_or_b32_e32 v60, 0x400000, v53
	v_cmp_u_f32_e32 vcc_lo, v53, v53
	s_delay_alu instid0(VALU_DEP_4)
	v_add_f32_e32 v16, v55, v56
	v_and_b32_e32 v54, 0xffff0000, v54
	v_bfe_u32 v55, v52, 16, 1
	v_or_b32_e32 v56, 0x400000, v51
	s_wait_alu 0xfffd
	v_cndmask_b32_e32 v53, v58, v60, vcc_lo
	v_add_f32_e32 v15, v16, v15
	v_bfe_u32 v16, v51, 16, 1
	v_cmp_u_f32_e32 vcc_lo, v52, v52
	s_delay_alu instid0(VALU_DEP_4) | instskip(NEXT) | instid1(VALU_DEP_3)
	v_and_b32_e32 v53, 0xffff0000, v53
	v_add3_u32 v16, v16, v51, 0x7fff
	s_delay_alu instid0(VALU_DEP_2) | instskip(SKIP_3) | instid1(VALU_DEP_1)
	v_add_f32_e32 v53, v53, v54
	v_add3_u32 v54, v55, v52, 0x7fff
	v_or_b32_e32 v55, 0x400000, v52
	s_wait_alu 0xfffd
	v_cndmask_b32_e32 v52, v54, v55, vcc_lo
	v_cmp_u_f32_e32 vcc_lo, v51, v51
	v_add3_u32 v51, v57, v50, 0x7fff
	v_or_b32_e32 v54, 0x400000, v50
	v_bfe_u32 v55, v49, 16, 1
	v_bfe_u32 v57, v46, 16, 1
	s_wait_alu 0xfffd
	v_cndmask_b32_e32 v16, v16, v56, vcc_lo
	v_cmp_u_f32_e32 vcc_lo, v50, v50
	v_bfe_u32 v56, v47, 16, 1
	v_and_b32_e32 v52, 0xffff0000, v52
	s_delay_alu instid0(VALU_DEP_4)
	v_and_b32_e32 v16, 0xffff0000, v16
	s_wait_alu 0xfffd
	v_cndmask_b32_e32 v50, v51, v54, vcc_lo
	v_add3_u32 v51, v55, v49, 0x7fff
	v_or_b32_e32 v54, 0x400000, v49
	v_bfe_u32 v55, v48, 16, 1
	v_cmp_u_f32_e32 vcc_lo, v49, v49
	v_and_b32_e32 v50, 0xffff0000, v50
	s_wait_alu 0xfffd
	v_dual_add_f32 v16, v16, v52 :: v_dual_cndmask_b32 v49, v51, v54
	v_add3_u32 v51, v55, v48, 0x7fff
	v_or_b32_e32 v54, 0x400000, v48
	v_cmp_u_f32_e32 vcc_lo, v48, v48
	v_add3_u32 v55, v56, v47, 0x7fff
	v_or_b32_e32 v56, 0x400000, v47
	s_wait_alu 0xfffd
	v_dual_cndmask_b32 v48, v51, v54 :: v_dual_and_b32 v49, 0xffff0000, v49
	v_cmp_u_f32_e32 vcc_lo, v47, v47
	v_add3_u32 v51, v57, v46, 0x7fff
	v_or_b32_e32 v54, 0x400000, v46
	s_delay_alu instid0(VALU_DEP_4) | instskip(SKIP_3) | instid1(VALU_DEP_3)
	v_dual_add_f32 v49, v49, v50 :: v_dual_and_b32 v48, 0xffff0000, v48
	s_wait_alu 0xfffd
	v_cndmask_b32_e32 v47, v55, v56, vcc_lo
	v_cmp_u_f32_e32 vcc_lo, v46, v46
	v_add_f32_e32 v16, v49, v16
	v_bfe_u32 v49, v43, 16, 1
	s_wait_alu 0xfffd
	v_dual_cndmask_b32 v46, v51, v54 :: v_dual_and_b32 v47, 0xffff0000, v47
	v_bfe_u32 v51, v45, 16, 1
	v_cmp_u_f32_e32 vcc_lo, v45, v45
	s_delay_alu instid0(VALU_DEP_3) | instskip(SKIP_1) | instid1(VALU_DEP_4)
	v_add_f32_e32 v47, v47, v48
	v_bfe_u32 v48, v44, 16, 1
	v_add3_u32 v50, v51, v45, 0x7fff
	v_or_b32_e32 v51, 0x400000, v45
	v_and_b32_e32 v46, 0xffff0000, v46
	v_add_f32_e32 v16, v47, v16
	v_add3_u32 v47, v48, v44, 0x7fff
	v_or_b32_e32 v48, 0x400000, v44
	s_wait_alu 0xfffd
	v_cndmask_b32_e32 v45, v50, v51, vcc_lo
	v_cmp_u_f32_e32 vcc_lo, v44, v44
	v_or_b32_e32 v50, 0x400000, v42
	s_wait_alu 0xfffd
	v_cndmask_b32_e32 v44, v47, v48, vcc_lo
	v_bfe_u32 v47, v42, 16, 1
	v_add3_u32 v48, v49, v43, 0x7fff
	v_or_b32_e32 v49, 0x400000, v43
	v_cmp_u_f32_e32 vcc_lo, v43, v43
	v_and_b32_e32 v44, 0xffff0000, v44
	v_add3_u32 v47, v47, v42, 0x7fff
	s_wait_alu 0xfffd
	v_cndmask_b32_e32 v43, v48, v49, vcc_lo
	v_bfe_u32 v48, v41, 16, 1
	v_cmp_u_f32_e32 vcc_lo, v42, v42
	v_or_b32_e32 v49, 0x400000, v41
	s_delay_alu instid0(VALU_DEP_3)
	v_add3_u32 v48, v48, v41, 0x7fff
	s_wait_alu 0xfffd
	v_cndmask_b32_e32 v42, v47, v50, vcc_lo
	v_bfe_u32 v47, v40, 16, 1
	v_cmp_u_f32_e32 vcc_lo, v41, v41
	v_or_b32_e32 v50, 0x400000, v40
	s_delay_alu instid0(VALU_DEP_4) | instskip(NEXT) | instid1(VALU_DEP_4)
	v_and_b32_e32 v42, 0xffff0000, v42
	v_add3_u32 v47, v47, v40, 0x7fff
	s_wait_alu 0xfffd
	v_cndmask_b32_e32 v41, v48, v49, vcc_lo
	v_bfe_u32 v48, v39, 16, 1
	v_cmp_u_f32_e32 vcc_lo, v40, v40
	v_bfe_u32 v49, v38, 16, 1
	s_wait_alu 0xfffd
	v_dual_cndmask_b32 v40, v47, v50 :: v_dual_and_b32 v41, 0xffff0000, v41
	v_add3_u32 v47, v48, v39, 0x7fff
	v_or_b32_e32 v48, 0x400000, v39
	v_cmp_u_f32_e32 vcc_lo, v39, v39
	v_add3_u32 v49, v49, v38, 0x7fff
	v_or_b32_e32 v50, 0x400000, v38
	v_dual_add_f32 v41, v41, v42 :: v_dual_and_b32 v40, 0xffff0000, v40
	s_wait_alu 0xfffd
	v_cndmask_b32_e32 v39, v47, v48, vcc_lo
	v_cmp_u_f32_e32 vcc_lo, v38, v38
	v_bfe_u32 v47, v37, 16, 1
	v_lshlrev_b32_e32 v42, 16, v112
	v_or_b32_e32 v48, 0x400000, v37
	s_wait_alu 0xfffd
	v_dual_cndmask_b32 v38, v49, v50 :: v_dual_and_b32 v39, 0xffff0000, v39
	v_lshlrev_b32_e32 v49, 16, v113
	v_add3_u32 v47, v47, v37, 0x7fff
	v_cmp_u_f32_e32 vcc_lo, v37, v37
	s_delay_alu instid0(VALU_DEP_4)
	v_add_f32_e32 v39, v39, v40
	v_and_b32_e32 v43, 0xffff0000, v43
	v_mul_f32_e32 v5, v5, v49
	v_dual_mul_f32 v1, v1, v42 :: v_dual_lshlrev_b32 v40, 16, v111
	s_wait_alu 0xfffd
	v_cndmask_b32_e32 v37, v47, v48, vcc_lo
	v_add_f32_e32 v43, v43, v44
	v_cmp_u_f32_e32 vcc_lo, v5, v5
	v_bfe_u32 v44, v1, 16, 1
	v_mul_f32_e32 v8, v8, v40
	s_delay_alu instid0(VALU_DEP_4) | instskip(SKIP_1) | instid1(VALU_DEP_2)
	v_dual_add_f32 v41, v41, v43 :: v_dual_lshlrev_b32 v40, 16, v110
	v_bfe_u32 v43, v5, 16, 1
	v_dual_mul_f32 v2, v2, v40 :: v_dual_and_b32 v37, 0xffff0000, v37
	v_lshlrev_b32_e32 v40, 16, v109
	s_delay_alu instid0(VALU_DEP_3) | instskip(SKIP_1) | instid1(VALU_DEP_3)
	v_add3_u32 v42, v43, v5, 0x7fff
	v_or_b32_e32 v43, 0x400000, v5
	v_mul_f32_e32 v6, v6, v40
	s_wait_alu 0xfffd
	s_delay_alu instid0(VALU_DEP_2)
	v_dual_cndmask_b32 v5, v42, v43 :: v_dual_lshlrev_b32 v40, 16, v108
	v_add3_u32 v42, v44, v1, 0x7fff
	v_or_b32_e32 v43, 0x400000, v1
	v_bfe_u32 v44, v8, 16, 1
	v_cmp_u_f32_e32 vcc_lo, v1, v1
	v_mul_f32_e32 v3, v3, v40
	v_or_b32_e32 v13, 0x400000, v6
	v_and_b32_e32 v5, 0xffff0000, v5
	s_wait_alu 0xfffd
	v_cndmask_b32_e32 v1, v42, v43, vcc_lo
	v_add3_u32 v42, v44, v8, 0x7fff
	v_or_b32_e32 v43, 0x400000, v8
	v_bfe_u32 v44, v2, 16, 1
	v_cmp_u_f32_e32 vcc_lo, v8, v8
	v_and_b32_e32 v45, 0xffff0000, v45
	v_bfe_u32 v40, v3, 16, 1
	s_wait_alu 0xfffd
	v_dual_cndmask_b32 v8, v42, v43 :: v_dual_and_b32 v1, 0xffff0000, v1
	v_add3_u32 v42, v44, v2, 0x7fff
	v_or_b32_e32 v43, 0x400000, v2
	v_bfe_u32 v44, v6, 16, 1
	v_cmp_u_f32_e32 vcc_lo, v2, v2
	v_add3_u32 v14, v40, v3, 0x7fff
	v_or_b32_e32 v40, 0x400000, v3
	v_dual_add_f32 v1, v5, v1 :: v_dual_and_b32 v8, 0xffff0000, v8
	s_wait_alu 0xfffd
	v_cndmask_b32_e32 v2, v42, v43, vcc_lo
	v_add3_u32 v42, v44, v6, 0x7fff
	v_cmp_u_f32_e32 vcc_lo, v6, v6
	v_bfe_u32 v44, v4, 16, 1
	v_bfe_u32 v43, v7, 16, 1
	v_and_b32_e32 v2, 0xffff0000, v2
	s_wait_alu 0xfffd
	v_cndmask_b32_e32 v6, v42, v13, vcc_lo
	v_cmp_u_f32_e32 vcc_lo, v3, v3
	v_add3_u32 v13, v43, v7, 0x7fff
	v_or_b32_e32 v42, 0x400000, v7
	v_add_f32_e32 v2, v8, v2
	v_and_b32_e32 v5, 0xffff0000, v6
	s_wait_alu 0xfffd
	v_cndmask_b32_e32 v3, v14, v40, vcc_lo
	v_add3_u32 v14, v44, v4, 0x7fff
	v_or_b32_e32 v40, 0x400000, v4
	v_cmp_u_f32_e32 vcc_lo, v4, v4
	v_add_f32_e32 v1, v2, v1
	s_wait_alu 0xfffd
	s_delay_alu instid0(VALU_DEP_3) | instskip(SKIP_1) | instid1(VALU_DEP_2)
	v_dual_cndmask_b32 v4, v14, v40 :: v_dual_and_b32 v3, 0xffff0000, v3
	v_cmp_u_f32_e32 vcc_lo, v7, v7
	v_dual_add_f32 v2, v5, v3 :: v_dual_and_b32 v7, 0xffff0000, v38
	v_add_f32_e32 v5, v45, v46
	s_wait_alu 0xfffd
	v_dual_cndmask_b32 v6, v13, v42 :: v_dual_and_b32 v3, 0xffff0000, v4
	s_delay_alu instid0(VALU_DEP_3) | instskip(SKIP_2) | instid1(VALU_DEP_4)
	v_add_f32_e32 v7, v37, v7
	v_add_f32_e32 v1, v2, v1
	v_cmp_le_i32_e32 vcc_lo, s17, v17
	v_and_b32_e32 v4, 0xffff0000, v6
	v_add_f32_e32 v6, v39, v41
	s_or_b32 s6, vcc_lo, s6
	s_delay_alu instid0(VALU_DEP_2) | instskip(SKIP_2) | instid1(VALU_DEP_3)
	v_add_f32_e32 v2, v4, v3
	v_add_f32_e32 v3, v53, v15
	;; [unrolled: 1-line block ×3, first 2 shown]
	v_dual_add_f32 v0, v7, v6 :: v_dual_add_f32 v1, v2, v1
	s_delay_alu instid0(VALU_DEP_2) | instskip(NEXT) | instid1(VALU_DEP_2)
	v_dual_add_f32 v33, v33, v3 :: v_dual_add_f32 v34, v34, v4
	v_dual_add_f32 v32, v32, v0 :: v_dual_add_f32 v21, v21, v1
	s_wait_alu 0xfffe
	s_and_not1_b32 exec_lo, exec_lo, s6
	s_cbranch_execz .LBB362_57
.LBB362_29:                             ; =>This Inner Loop Header: Depth=1
	global_load_b32 v0, v[11:12], off
	s_wait_alu 0xfffe
	v_cmp_eq_u32_e32 vcc_lo, s30, v17
	v_add_nc_u32_e32 v90, -1, v35
	s_wait_loadcnt 0x0
	v_mad_co_i64_i32 v[13:14], null, v0, s3, v[9:10]
	global_load_b64 v[15:16], v[13:14], off
	ds_load_2addr_b64 v[5:8], v36 offset1:1
	ds_load_2addr_b64 v[1:4], v36 offset0:2 offset1:3
	s_wait_loadcnt 0x0
	v_and_b32_e32 v0, 0xff, v15
	v_bfe_u32 v37, v15, 8, 8
	v_bfe_u32 v38, v15, 16, 8
	v_lshrrev_b32_e32 v15, 24, v15
	v_and_b32_e32 v39, 0xff, v16
	v_cvt_f32_fp8_e32 v0, v0
	v_add_nc_u32_e32 v77, -7, v35
	v_cvt_f32_fp8_e32 v37, v37
	v_add_nc_u32_e32 v82, -5, v35
	v_cvt_f32_fp8_e32 v38, v38
	v_dual_mul_f32 v0, s2, v0 :: v_dual_add_nc_u32 v83, -6, v35
	s_delay_alu instid0(VALU_DEP_4) | instskip(SKIP_1) | instid1(VALU_DEP_4)
	v_mul_f32_e32 v37, s2, v37
	v_cvt_f32_fp8_e32 v15, v15
	v_mul_f32_e32 v38, s2, v38
	s_delay_alu instid0(VALU_DEP_4)
	v_bfe_u32 v42, v0, 16, 1
	v_or_b32_e32 v43, 0x400000, v0
	v_bfe_u32 v44, v37, 16, 1
	v_cmp_u_f32_e64 s0, v0, v0
	v_bfe_u32 v40, v16, 8, 8
	v_add3_u32 v42, v42, v0, 0x7fff
	v_cvt_f32_fp8_e32 v39, v39
	v_mul_f32_e32 v15, s2, v15
	v_or_b32_e32 v45, 0x400000, v37
	v_bfe_u32 v46, v38, 16, 1
	v_add3_u32 v44, v44, v37, 0x7fff
	s_wait_alu 0xf1ff
	v_cndmask_b32_e64 v0, v42, v43, s0
	v_cmp_u_f32_e64 s0, v37, v37
	v_bfe_u32 v41, v16, 16, 8
	v_cvt_f32_fp8_e32 v40, v40
	v_mul_f32_e32 v39, s2, v39
	v_or_b32_e32 v47, 0x400000, v38
	v_bfe_u32 v48, v15, 16, 1
	v_add3_u32 v46, v46, v38, 0x7fff
	s_wait_alu 0xf1ff
	v_cndmask_b32_e64 v37, v44, v45, s0
	v_cmp_u_f32_e64 s0, v38, v38
	v_dual_mul_f32 v40, s2, v40 :: v_dual_add_nc_u32 v81, -4, v35
	v_lshrrev_b32_e32 v16, 24, v16
	v_cvt_f32_fp8_e32 v41, v41
	v_or_b32_e32 v49, 0x400000, v15
	v_bfe_u32 v50, v39, 16, 1
	v_add3_u32 v48, v48, v15, 0x7fff
	s_wait_alu 0xf1ff
	v_cndmask_b32_e64 v38, v46, v47, s0
	v_cmp_u_f32_e64 s0, v15, v15
	v_dual_mul_f32 v41, s2, v41 :: v_dual_add_nc_u32 v80, -3, v35
	v_cvt_f32_fp8_e32 v16, v16
	v_or_b32_e32 v51, 0x400000, v39
	v_bfe_u32 v52, v40, 16, 1
	v_add3_u32 v50, v50, v39, 0x7fff
	s_wait_alu 0xf1ff
	v_cndmask_b32_e64 v15, v48, v49, s0
	v_cmp_u_f32_e64 s0, v39, v39
	v_dual_mul_f32 v16, s2, v16 :: v_dual_add_nc_u32 v79, -2, v35
	v_or_b32_e32 v53, 0x400000, v40
	v_bfe_u32 v54, v41, 16, 1
	v_add3_u32 v52, v52, v40, 0x7fff
	s_wait_alu 0xf1ff
	v_cndmask_b32_e64 v39, v50, v51, s0
	v_cmp_u_f32_e64 s0, v40, v40
	v_or_b32_e32 v55, 0x400000, v41
	v_bfe_u32 v56, v16, 16, 1
	v_add3_u32 v54, v54, v41, 0x7fff
	v_or_b32_e32 v57, 0x400000, v16
	s_wait_alu 0xf1ff
	v_cndmask_b32_e64 v40, v52, v53, s0
	v_cmp_u_f32_e64 s0, v41, v41
	v_add3_u32 v56, v56, v16, 0x7fff
	v_lshrrev_b32_e32 v43, 16, v0
	v_lshrrev_b32_e32 v44, 16, v37
	;; [unrolled: 1-line block ×3, first 2 shown]
	s_wait_alu 0xf1ff
	v_cndmask_b32_e64 v45, v54, v55, s0
	v_cmp_u_f32_e64 s0, v16, v16
	v_lshrrev_b32_e32 v42, 16, v15
	v_lshrrev_b32_e32 v39, 16, v39
	;; [unrolled: 1-line block ×4, first 2 shown]
	s_wait_alu 0xf1ff
	v_cndmask_b32_e64 v16, v56, v57, s0
	s_delay_alu instid0(VALU_DEP_1)
	v_lshrrev_b32_e32 v38, 16, v16
	s_and_saveexec_b32 s7, vcc_lo
	s_cbranch_execz .LBB362_31
; %bb.30:                               ;   in Loop: Header=BB362_29 Depth=1
	v_cmp_gt_i32_e64 s0, s27, v77
	s_wait_alu 0xf1ff
	s_delay_alu instid0(VALU_DEP_1) | instskip(SKIP_2) | instid1(VALU_DEP_1)
	v_cndmask_b32_e64 v43, 0, v43, s0
	v_cmp_gt_i32_e64 s0, s27, v83
	s_wait_alu 0xf1ff
	v_cndmask_b32_e64 v44, 0, v44, s0
	v_cmp_gt_i32_e64 s0, s27, v82
	s_wait_alu 0xf1ff
	s_delay_alu instid0(VALU_DEP_1) | instskip(SKIP_2) | instid1(VALU_DEP_1)
	v_cndmask_b32_e64 v41, 0, v41, s0
	v_cmp_gt_i32_e64 s0, s27, v81
	s_wait_alu 0xf1ff
	v_cndmask_b32_e64 v42, 0, v42, s0
	;; [unrolled: 7-line block ×4, first 2 shown]
.LBB362_31:                             ;   in Loop: Header=BB362_29 Depth=1
	s_wait_alu 0xfffe
	s_or_b32 exec_lo, exec_lo, s7
	global_load_b64 v[15:16], v[13:14], off offset:256
	s_wait_loadcnt 0x0
	v_bfe_u32 v45, v15, 8, 8
	v_bfe_u32 v46, v15, 16, 8
	;; [unrolled: 1-line block ×4, first 2 shown]
	s_delay_alu instid0(VALU_DEP_4)
	v_cvt_f32_fp8_e32 v45, v45
	v_and_b32_e32 v0, 0xff, v15
	v_lshrrev_b32_e32 v15, 24, v15
	v_cvt_f32_fp8_e32 v46, v46
	v_and_b32_e32 v47, 0xff, v16
	v_mul_f32_e32 v45, s2, v45
	v_cvt_f32_fp8_e32 v0, v0
	v_cvt_f32_fp8_e32 v15, v15
	v_mul_f32_e32 v46, s2, v46
	v_cvt_f32_fp8_e32 v47, v47
	v_bfe_u32 v52, v45, 16, 1
	s_delay_alu instid0(VALU_DEP_4) | instskip(SKIP_2) | instid1(VALU_DEP_4)
	v_dual_mul_f32 v0, s2, v0 :: v_dual_mul_f32 v15, s2, v15
	v_or_b32_e32 v53, 0x400000, v45
	v_bfe_u32 v54, v46, 16, 1
	v_add3_u32 v52, v52, v45, 0x7fff
	s_delay_alu instid0(VALU_DEP_4)
	v_bfe_u32 v50, v0, 16, 1
	v_or_b32_e32 v51, 0x400000, v0
	v_cmp_u_f32_e64 s0, v0, v0
	v_cvt_f32_fp8_e32 v48, v48
	v_mul_f32_e32 v47, s2, v47
	v_add3_u32 v50, v50, v0, 0x7fff
	v_or_b32_e32 v55, 0x400000, v46
	v_bfe_u32 v56, v15, 16, 1
	v_add3_u32 v54, v54, v46, 0x7fff
	v_lshrrev_b32_e32 v16, 24, v16
	s_wait_alu 0xf1ff
	v_cndmask_b32_e64 v0, v50, v51, s0
	v_cmp_u_f32_e64 s0, v45, v45
	v_cvt_f32_fp8_e32 v49, v49
	v_mul_f32_e32 v48, s2, v48
	v_or_b32_e32 v57, 0x400000, v15
	v_bfe_u32 v58, v47, 16, 1
	s_wait_alu 0xf1ff
	v_cndmask_b32_e64 v45, v52, v53, s0
	v_cmp_u_f32_e64 s0, v46, v46
	v_add3_u32 v56, v56, v15, 0x7fff
	v_cvt_f32_fp8_e32 v16, v16
	v_mul_f32_e32 v49, s2, v49
	v_or_b32_e32 v59, 0x400000, v47
	s_wait_alu 0xf1ff
	v_cndmask_b32_e64 v46, v54, v55, s0
	v_cmp_u_f32_e64 s0, v15, v15
	v_bfe_u32 v60, v48, 16, 1
	v_add3_u32 v58, v58, v47, 0x7fff
	v_mul_f32_e32 v16, s2, v16
	v_or_b32_e32 v61, 0x400000, v48
	s_wait_alu 0xf1ff
	v_cndmask_b32_e64 v15, v56, v57, s0
	v_cmp_u_f32_e64 s0, v47, v47
	v_bfe_u32 v62, v49, 16, 1
	v_add3_u32 v60, v60, v48, 0x7fff
	v_or_b32_e32 v63, 0x400000, v49
	v_bfe_u32 v64, v16, 16, 1
	s_wait_alu 0xf1ff
	v_cndmask_b32_e64 v47, v58, v59, s0
	v_cmp_u_f32_e64 s0, v48, v48
	v_add3_u32 v62, v62, v49, 0x7fff
	v_or_b32_e32 v65, 0x400000, v16
	v_add3_u32 v64, v64, v16, 0x7fff
	v_lshrrev_b32_e32 v51, 16, v0
	s_wait_alu 0xf1ff
	v_cndmask_b32_e64 v48, v60, v61, s0
	v_cmp_u_f32_e64 s0, v49, v49
	v_lshrrev_b32_e32 v52, 16, v45
	v_lshrrev_b32_e32 v49, 16, v46
	;; [unrolled: 1-line block ×4, first 2 shown]
	s_wait_alu 0xf1ff
	v_cndmask_b32_e64 v53, v62, v63, s0
	v_cmp_u_f32_e64 s0, v16, v16
	v_lshrrev_b32_e32 v48, 16, v48
	s_delay_alu instid0(VALU_DEP_3) | instskip(SKIP_1) | instid1(VALU_DEP_3)
	v_lshrrev_b32_e32 v45, 16, v53
	s_wait_alu 0xf1ff
	v_cndmask_b32_e64 v16, v64, v65, s0
	s_delay_alu instid0(VALU_DEP_1)
	v_lshrrev_b32_e32 v46, 16, v16
	s_and_saveexec_b32 s7, vcc_lo
	s_cbranch_execz .LBB362_33
; %bb.32:                               ;   in Loop: Header=BB362_29 Depth=1
	v_cmp_gt_i32_e64 s0, s27, v77
	s_wait_alu 0xf1ff
	s_delay_alu instid0(VALU_DEP_1) | instskip(SKIP_2) | instid1(VALU_DEP_1)
	v_cndmask_b32_e64 v51, 0, v51, s0
	v_cmp_gt_i32_e64 s0, s27, v83
	s_wait_alu 0xf1ff
	v_cndmask_b32_e64 v52, 0, v52, s0
	v_cmp_gt_i32_e64 s0, s27, v82
	s_wait_alu 0xf1ff
	s_delay_alu instid0(VALU_DEP_1) | instskip(SKIP_2) | instid1(VALU_DEP_1)
	v_cndmask_b32_e64 v49, 0, v49, s0
	v_cmp_gt_i32_e64 s0, s27, v81
	s_wait_alu 0xf1ff
	v_cndmask_b32_e64 v50, 0, v50, s0
	;; [unrolled: 7-line block ×4, first 2 shown]
.LBB362_33:                             ;   in Loop: Header=BB362_29 Depth=1
	s_wait_alu 0xfffe
	s_or_b32 exec_lo, exec_lo, s7
	global_load_b64 v[15:16], v[13:14], off offset:512
	s_wait_loadcnt 0x0
	v_bfe_u32 v53, v15, 8, 8
	v_bfe_u32 v54, v15, 16, 8
	;; [unrolled: 1-line block ×4, first 2 shown]
	s_delay_alu instid0(VALU_DEP_4)
	v_cvt_f32_fp8_e32 v53, v53
	v_and_b32_e32 v0, 0xff, v15
	v_lshrrev_b32_e32 v15, 24, v15
	v_cvt_f32_fp8_e32 v54, v54
	v_and_b32_e32 v55, 0xff, v16
	v_mul_f32_e32 v53, s2, v53
	v_cvt_f32_fp8_e32 v0, v0
	v_cvt_f32_fp8_e32 v15, v15
	v_mul_f32_e32 v54, s2, v54
	v_cvt_f32_fp8_e32 v55, v55
	v_bfe_u32 v60, v53, 16, 1
	s_delay_alu instid0(VALU_DEP_4) | instskip(SKIP_2) | instid1(VALU_DEP_4)
	v_dual_mul_f32 v0, s2, v0 :: v_dual_mul_f32 v15, s2, v15
	v_or_b32_e32 v61, 0x400000, v53
	v_bfe_u32 v62, v54, 16, 1
	v_add3_u32 v60, v60, v53, 0x7fff
	s_delay_alu instid0(VALU_DEP_4)
	v_bfe_u32 v58, v0, 16, 1
	v_or_b32_e32 v59, 0x400000, v0
	v_cmp_u_f32_e64 s0, v0, v0
	v_cvt_f32_fp8_e32 v56, v56
	v_mul_f32_e32 v55, s2, v55
	v_add3_u32 v58, v58, v0, 0x7fff
	v_or_b32_e32 v63, 0x400000, v54
	v_bfe_u32 v64, v15, 16, 1
	v_add3_u32 v62, v62, v54, 0x7fff
	v_lshrrev_b32_e32 v16, 24, v16
	s_wait_alu 0xf1ff
	v_cndmask_b32_e64 v0, v58, v59, s0
	v_cmp_u_f32_e64 s0, v53, v53
	v_cvt_f32_fp8_e32 v57, v57
	v_mul_f32_e32 v56, s2, v56
	v_or_b32_e32 v65, 0x400000, v15
	v_bfe_u32 v66, v55, 16, 1
	s_wait_alu 0xf1ff
	v_cndmask_b32_e64 v53, v60, v61, s0
	v_cmp_u_f32_e64 s0, v54, v54
	v_add3_u32 v64, v64, v15, 0x7fff
	v_cvt_f32_fp8_e32 v16, v16
	v_mul_f32_e32 v57, s2, v57
	v_or_b32_e32 v67, 0x400000, v55
	s_wait_alu 0xf1ff
	v_cndmask_b32_e64 v54, v62, v63, s0
	v_cmp_u_f32_e64 s0, v15, v15
	v_bfe_u32 v68, v56, 16, 1
	v_add3_u32 v66, v66, v55, 0x7fff
	v_mul_f32_e32 v16, s2, v16
	v_or_b32_e32 v69, 0x400000, v56
	s_wait_alu 0xf1ff
	v_cndmask_b32_e64 v15, v64, v65, s0
	v_cmp_u_f32_e64 s0, v55, v55
	v_bfe_u32 v70, v57, 16, 1
	v_add3_u32 v68, v68, v56, 0x7fff
	v_or_b32_e32 v71, 0x400000, v57
	v_bfe_u32 v72, v16, 16, 1
	s_wait_alu 0xf1ff
	v_cndmask_b32_e64 v55, v66, v67, s0
	v_cmp_u_f32_e64 s0, v56, v56
	v_add3_u32 v70, v70, v57, 0x7fff
	v_or_b32_e32 v73, 0x400000, v16
	v_add3_u32 v72, v72, v16, 0x7fff
	v_lshrrev_b32_e32 v59, 16, v0
	s_wait_alu 0xf1ff
	v_cndmask_b32_e64 v56, v68, v69, s0
	v_cmp_u_f32_e64 s0, v57, v57
	v_lshrrev_b32_e32 v60, 16, v53
	v_lshrrev_b32_e32 v57, 16, v54
	;; [unrolled: 1-line block ×4, first 2 shown]
	s_wait_alu 0xf1ff
	v_cndmask_b32_e64 v61, v70, v71, s0
	v_cmp_u_f32_e64 s0, v16, v16
	v_lshrrev_b32_e32 v56, 16, v56
	s_delay_alu instid0(VALU_DEP_3) | instskip(SKIP_1) | instid1(VALU_DEP_3)
	v_lshrrev_b32_e32 v53, 16, v61
	s_wait_alu 0xf1ff
	v_cndmask_b32_e64 v16, v72, v73, s0
	s_delay_alu instid0(VALU_DEP_1)
	v_lshrrev_b32_e32 v54, 16, v16
	s_and_saveexec_b32 s7, vcc_lo
	s_cbranch_execz .LBB362_35
; %bb.34:                               ;   in Loop: Header=BB362_29 Depth=1
	v_cmp_gt_i32_e64 s0, s27, v77
	s_wait_alu 0xf1ff
	s_delay_alu instid0(VALU_DEP_1) | instskip(SKIP_2) | instid1(VALU_DEP_1)
	v_cndmask_b32_e64 v59, 0, v59, s0
	v_cmp_gt_i32_e64 s0, s27, v83
	s_wait_alu 0xf1ff
	v_cndmask_b32_e64 v60, 0, v60, s0
	v_cmp_gt_i32_e64 s0, s27, v82
	s_wait_alu 0xf1ff
	s_delay_alu instid0(VALU_DEP_1) | instskip(SKIP_2) | instid1(VALU_DEP_1)
	v_cndmask_b32_e64 v57, 0, v57, s0
	v_cmp_gt_i32_e64 s0, s27, v81
	s_wait_alu 0xf1ff
	v_cndmask_b32_e64 v58, 0, v58, s0
	v_cmp_gt_i32_e64 s0, s27, v80
	s_wait_alu 0xf1ff
	s_delay_alu instid0(VALU_DEP_1) | instskip(SKIP_2) | instid1(VALU_DEP_1)
	v_cndmask_b32_e64 v55, 0, v55, s0
	v_cmp_gt_i32_e64 s0, s27, v79
	s_wait_alu 0xf1ff
	v_cndmask_b32_e64 v56, 0, v56, s0
	v_cmp_gt_i32_e64 s0, s27, v90
	s_wait_alu 0xf1ff
	s_delay_alu instid0(VALU_DEP_1) | instskip(SKIP_2) | instid1(VALU_DEP_1)
	v_cndmask_b32_e64 v53, 0, v53, s0
	v_cmp_gt_i32_e64 s0, s27, v35
	s_wait_alu 0xf1ff
	v_cndmask_b32_e64 v54, 0, v54, s0
.LBB362_35:                             ;   in Loop: Header=BB362_29 Depth=1
	s_wait_alu 0xfffe
	s_or_b32 exec_lo, exec_lo, s7
	global_load_b64 v[15:16], v[13:14], off offset:768
	s_wait_loadcnt 0x0
	v_bfe_u32 v61, v15, 8, 8
	v_bfe_u32 v62, v15, 16, 8
	;; [unrolled: 1-line block ×4, first 2 shown]
	s_delay_alu instid0(VALU_DEP_4)
	v_cvt_f32_fp8_e32 v61, v61
	v_and_b32_e32 v0, 0xff, v15
	v_lshrrev_b32_e32 v15, 24, v15
	v_cvt_f32_fp8_e32 v62, v62
	v_and_b32_e32 v63, 0xff, v16
	v_mul_f32_e32 v61, s2, v61
	v_cvt_f32_fp8_e32 v0, v0
	v_cvt_f32_fp8_e32 v15, v15
	v_mul_f32_e32 v62, s2, v62
	v_cvt_f32_fp8_e32 v63, v63
	v_bfe_u32 v68, v61, 16, 1
	s_delay_alu instid0(VALU_DEP_4) | instskip(SKIP_2) | instid1(VALU_DEP_4)
	v_dual_mul_f32 v0, s2, v0 :: v_dual_mul_f32 v15, s2, v15
	v_or_b32_e32 v69, 0x400000, v61
	v_bfe_u32 v70, v62, 16, 1
	v_add3_u32 v68, v68, v61, 0x7fff
	s_delay_alu instid0(VALU_DEP_4)
	v_bfe_u32 v66, v0, 16, 1
	v_or_b32_e32 v67, 0x400000, v0
	v_cmp_u_f32_e64 s0, v0, v0
	v_cvt_f32_fp8_e32 v64, v64
	v_mul_f32_e32 v63, s2, v63
	v_add3_u32 v66, v66, v0, 0x7fff
	v_or_b32_e32 v71, 0x400000, v62
	v_bfe_u32 v72, v15, 16, 1
	v_add3_u32 v70, v70, v62, 0x7fff
	v_lshrrev_b32_e32 v16, 24, v16
	s_wait_alu 0xf1ff
	v_cndmask_b32_e64 v0, v66, v67, s0
	v_cmp_u_f32_e64 s0, v61, v61
	v_cvt_f32_fp8_e32 v65, v65
	v_mul_f32_e32 v64, s2, v64
	v_or_b32_e32 v73, 0x400000, v15
	v_bfe_u32 v74, v63, 16, 1
	s_wait_alu 0xf1ff
	v_cndmask_b32_e64 v61, v68, v69, s0
	v_cmp_u_f32_e64 s0, v62, v62
	v_add3_u32 v72, v72, v15, 0x7fff
	v_cvt_f32_fp8_e32 v16, v16
	v_mul_f32_e32 v65, s2, v65
	v_or_b32_e32 v75, 0x400000, v63
	s_wait_alu 0xf1ff
	v_cndmask_b32_e64 v62, v70, v71, s0
	v_cmp_u_f32_e64 s0, v15, v15
	v_bfe_u32 v76, v64, 16, 1
	v_add3_u32 v74, v74, v63, 0x7fff
	v_mul_f32_e32 v16, s2, v16
	v_or_b32_e32 v78, 0x400000, v64
	s_wait_alu 0xf1ff
	v_cndmask_b32_e64 v15, v72, v73, s0
	v_cmp_u_f32_e64 s0, v63, v63
	v_bfe_u32 v84, v65, 16, 1
	v_add3_u32 v76, v76, v64, 0x7fff
	v_or_b32_e32 v85, 0x400000, v65
	v_bfe_u32 v86, v16, 16, 1
	s_wait_alu 0xf1ff
	v_cndmask_b32_e64 v63, v74, v75, s0
	v_cmp_u_f32_e64 s0, v64, v64
	v_add3_u32 v84, v84, v65, 0x7fff
	v_or_b32_e32 v87, 0x400000, v16
	v_add3_u32 v86, v86, v16, 0x7fff
	v_lshrrev_b32_e32 v67, 16, v0
	s_wait_alu 0xf1ff
	v_cndmask_b32_e64 v64, v76, v78, s0
	v_cmp_u_f32_e64 s0, v65, v65
	v_lshrrev_b32_e32 v68, 16, v61
	v_lshrrev_b32_e32 v65, 16, v62
	;; [unrolled: 1-line block ×4, first 2 shown]
	s_wait_alu 0xf1ff
	v_cndmask_b32_e64 v69, v84, v85, s0
	v_cmp_u_f32_e64 s0, v16, v16
	v_lshrrev_b32_e32 v64, 16, v64
	s_delay_alu instid0(VALU_DEP_3) | instskip(SKIP_1) | instid1(VALU_DEP_3)
	v_lshrrev_b32_e32 v61, 16, v69
	s_wait_alu 0xf1ff
	v_cndmask_b32_e64 v16, v86, v87, s0
	s_delay_alu instid0(VALU_DEP_1)
	v_lshrrev_b32_e32 v62, 16, v16
	s_and_saveexec_b32 s7, vcc_lo
	s_cbranch_execz .LBB362_37
; %bb.36:                               ;   in Loop: Header=BB362_29 Depth=1
	v_cmp_gt_i32_e64 s0, s27, v77
	s_wait_alu 0xf1ff
	s_delay_alu instid0(VALU_DEP_1) | instskip(SKIP_2) | instid1(VALU_DEP_1)
	v_cndmask_b32_e64 v67, 0, v67, s0
	v_cmp_gt_i32_e64 s0, s27, v83
	s_wait_alu 0xf1ff
	v_cndmask_b32_e64 v68, 0, v68, s0
	v_cmp_gt_i32_e64 s0, s27, v82
	s_wait_alu 0xf1ff
	s_delay_alu instid0(VALU_DEP_1) | instskip(SKIP_2) | instid1(VALU_DEP_1)
	v_cndmask_b32_e64 v65, 0, v65, s0
	v_cmp_gt_i32_e64 s0, s27, v81
	s_wait_alu 0xf1ff
	v_cndmask_b32_e64 v66, 0, v66, s0
	;; [unrolled: 7-line block ×4, first 2 shown]
.LBB362_37:                             ;   in Loop: Header=BB362_29 Depth=1
	s_wait_alu 0xfffe
	s_or_b32 exec_lo, exec_lo, s7
	global_load_b64 v[15:16], v[13:14], off offset:1024
	s_wait_loadcnt 0x0
	v_bfe_u32 v69, v15, 8, 8
	v_bfe_u32 v70, v15, 16, 8
	;; [unrolled: 1-line block ×4, first 2 shown]
	s_delay_alu instid0(VALU_DEP_4)
	v_cvt_f32_fp8_e32 v69, v69
	v_and_b32_e32 v0, 0xff, v15
	v_lshrrev_b32_e32 v15, 24, v15
	v_cvt_f32_fp8_e32 v70, v70
	v_and_b32_e32 v71, 0xff, v16
	v_mul_f32_e32 v69, s2, v69
	v_cvt_f32_fp8_e32 v0, v0
	v_cvt_f32_fp8_e32 v15, v15
	v_mul_f32_e32 v70, s2, v70
	v_cvt_f32_fp8_e32 v71, v71
	v_bfe_u32 v76, v69, 16, 1
	s_delay_alu instid0(VALU_DEP_4) | instskip(SKIP_2) | instid1(VALU_DEP_4)
	v_dual_mul_f32 v0, s2, v0 :: v_dual_mul_f32 v15, s2, v15
	v_or_b32_e32 v78, 0x400000, v69
	v_bfe_u32 v84, v70, 16, 1
	v_add3_u32 v76, v76, v69, 0x7fff
	s_delay_alu instid0(VALU_DEP_4)
	v_bfe_u32 v74, v0, 16, 1
	v_or_b32_e32 v75, 0x400000, v0
	v_cmp_u_f32_e64 s0, v0, v0
	v_cvt_f32_fp8_e32 v72, v72
	v_mul_f32_e32 v71, s2, v71
	v_add3_u32 v74, v74, v0, 0x7fff
	v_or_b32_e32 v85, 0x400000, v70
	v_bfe_u32 v86, v15, 16, 1
	v_add3_u32 v84, v84, v70, 0x7fff
	v_lshrrev_b32_e32 v16, 24, v16
	s_wait_alu 0xf1ff
	v_cndmask_b32_e64 v0, v74, v75, s0
	v_cmp_u_f32_e64 s0, v69, v69
	v_cvt_f32_fp8_e32 v73, v73
	v_mul_f32_e32 v72, s2, v72
	v_or_b32_e32 v87, 0x400000, v15
	v_bfe_u32 v88, v71, 16, 1
	s_wait_alu 0xf1ff
	v_cndmask_b32_e64 v69, v76, v78, s0
	v_cmp_u_f32_e64 s0, v70, v70
	v_add3_u32 v86, v86, v15, 0x7fff
	v_cvt_f32_fp8_e32 v16, v16
	v_mul_f32_e32 v73, s2, v73
	v_or_b32_e32 v89, 0x400000, v71
	s_wait_alu 0xf1ff
	v_cndmask_b32_e64 v70, v84, v85, s0
	v_cmp_u_f32_e64 s0, v15, v15
	v_bfe_u32 v91, v72, 16, 1
	v_add3_u32 v88, v88, v71, 0x7fff
	v_mul_f32_e32 v16, s2, v16
	v_or_b32_e32 v92, 0x400000, v72
	s_wait_alu 0xf1ff
	v_cndmask_b32_e64 v15, v86, v87, s0
	v_cmp_u_f32_e64 s0, v71, v71
	v_bfe_u32 v93, v73, 16, 1
	v_add3_u32 v91, v91, v72, 0x7fff
	v_or_b32_e32 v94, 0x400000, v73
	v_bfe_u32 v95, v16, 16, 1
	s_wait_alu 0xf1ff
	v_cndmask_b32_e64 v71, v88, v89, s0
	v_cmp_u_f32_e64 s0, v72, v72
	v_add3_u32 v93, v93, v73, 0x7fff
	v_or_b32_e32 v96, 0x400000, v16
	v_add3_u32 v95, v95, v16, 0x7fff
	v_lshrrev_b32_e32 v75, 16, v0
	s_wait_alu 0xf1ff
	v_cndmask_b32_e64 v72, v91, v92, s0
	v_cmp_u_f32_e64 s0, v73, v73
	v_lshrrev_b32_e32 v76, 16, v69
	v_lshrrev_b32_e32 v73, 16, v70
	;; [unrolled: 1-line block ×4, first 2 shown]
	s_wait_alu 0xf1ff
	v_cndmask_b32_e64 v78, v93, v94, s0
	v_cmp_u_f32_e64 s0, v16, v16
	v_lshrrev_b32_e32 v72, 16, v72
	s_delay_alu instid0(VALU_DEP_3) | instskip(SKIP_1) | instid1(VALU_DEP_3)
	v_lshrrev_b32_e32 v69, 16, v78
	s_wait_alu 0xf1ff
	v_cndmask_b32_e64 v16, v95, v96, s0
	s_delay_alu instid0(VALU_DEP_1)
	v_lshrrev_b32_e32 v70, 16, v16
	s_and_saveexec_b32 s7, vcc_lo
	s_cbranch_execz .LBB362_39
; %bb.38:                               ;   in Loop: Header=BB362_29 Depth=1
	v_cmp_gt_i32_e64 s0, s27, v77
	s_wait_alu 0xf1ff
	s_delay_alu instid0(VALU_DEP_1) | instskip(SKIP_2) | instid1(VALU_DEP_1)
	v_cndmask_b32_e64 v75, 0, v75, s0
	v_cmp_gt_i32_e64 s0, s27, v83
	s_wait_alu 0xf1ff
	v_cndmask_b32_e64 v76, 0, v76, s0
	v_cmp_gt_i32_e64 s0, s27, v82
	s_wait_alu 0xf1ff
	s_delay_alu instid0(VALU_DEP_1) | instskip(SKIP_2) | instid1(VALU_DEP_1)
	v_cndmask_b32_e64 v73, 0, v73, s0
	v_cmp_gt_i32_e64 s0, s27, v81
	s_wait_alu 0xf1ff
	v_cndmask_b32_e64 v74, 0, v74, s0
	;; [unrolled: 7-line block ×4, first 2 shown]
.LBB362_39:                             ;   in Loop: Header=BB362_29 Depth=1
	s_wait_alu 0xfffe
	s_or_b32 exec_lo, exec_lo, s7
	global_load_b64 v[15:16], v[13:14], off offset:1280
	s_wait_loadcnt 0x0
	v_bfe_u32 v78, v15, 8, 8
	v_bfe_u32 v84, v15, 16, 8
	;; [unrolled: 1-line block ×4, first 2 shown]
	s_delay_alu instid0(VALU_DEP_4)
	v_cvt_f32_fp8_e32 v78, v78
	v_and_b32_e32 v85, 0xff, v16
	v_cvt_f32_fp8_e32 v84, v84
	v_cvt_f32_fp8_e32 v87, v87
	;; [unrolled: 1-line block ×3, first 2 shown]
	v_mul_f32_e32 v78, s2, v78
	v_cvt_f32_fp8_e32 v85, v85
	v_and_b32_e32 v0, 0xff, v15
	v_lshrrev_b32_e32 v15, 24, v15
	v_dual_mul_f32 v84, s2, v84 :: v_dual_mul_f32 v87, s2, v87
	s_delay_alu instid0(VALU_DEP_4) | instskip(NEXT) | instid1(VALU_DEP_4)
	v_mul_f32_e32 v85, s2, v85
	v_cvt_f32_fp8_e32 v0, v0
	s_delay_alu instid0(VALU_DEP_4) | instskip(SKIP_3) | instid1(VALU_DEP_4)
	v_cvt_f32_fp8_e32 v15, v15
	v_bfe_u32 v91, v78, 16, 1
	v_or_b32_e32 v92, 0x400000, v78
	v_bfe_u32 v93, v84, 16, 1
	v_dual_mul_f32 v0, s2, v0 :: v_dual_mul_f32 v15, s2, v15
	s_delay_alu instid0(VALU_DEP_4) | instskip(SKIP_1) | instid1(VALU_DEP_4)
	v_add3_u32 v91, v91, v78, 0x7fff
	v_or_b32_e32 v94, 0x400000, v84
	v_add3_u32 v93, v93, v84, 0x7fff
	s_delay_alu instid0(VALU_DEP_4)
	v_bfe_u32 v88, v0, 16, 1
	v_or_b32_e32 v89, 0x400000, v0
	v_cmp_u_f32_e64 s0, v0, v0
	v_bfe_u32 v95, v15, 16, 1
	v_lshrrev_b32_e32 v16, 24, v16
	v_add3_u32 v88, v88, v0, 0x7fff
	v_mul_f32_e32 v86, s2, v86
	v_or_b32_e32 v96, 0x400000, v15
	v_bfe_u32 v97, v85, 16, 1
	v_add3_u32 v95, v95, v15, 0x7fff
	s_wait_alu 0xf1ff
	v_cndmask_b32_e64 v0, v88, v89, s0
	v_cmp_u_f32_e64 s0, v78, v78
	v_cvt_f32_fp8_e32 v16, v16
	v_or_b32_e32 v98, 0x400000, v85
	v_bfe_u32 v99, v86, 16, 1
	v_add3_u32 v97, v97, v85, 0x7fff
	s_wait_alu 0xf1ff
	v_cndmask_b32_e64 v78, v91, v92, s0
	v_cmp_u_f32_e64 s0, v84, v84
	v_mul_f32_e32 v16, s2, v16
	v_or_b32_e32 v100, 0x400000, v86
	v_bfe_u32 v101, v87, 16, 1
	v_add3_u32 v99, v99, v86, 0x7fff
	s_wait_alu 0xf1ff
	v_cndmask_b32_e64 v84, v93, v94, s0
	v_cmp_u_f32_e64 s0, v15, v15
	v_or_b32_e32 v102, 0x400000, v87
	v_bfe_u32 v103, v16, 16, 1
	v_add3_u32 v101, v101, v87, 0x7fff
	v_or_b32_e32 v104, 0x400000, v16
	s_wait_alu 0xf1ff
	v_cndmask_b32_e64 v15, v95, v96, s0
	v_cmp_u_f32_e64 s0, v85, v85
	v_add3_u32 v103, v103, v16, 0x7fff
	v_lshrrev_b32_e32 v89, 16, v0
	v_lshrrev_b32_e32 v91, 16, v78
	;; [unrolled: 1-line block ×3, first 2 shown]
	s_wait_alu 0xf1ff
	v_cndmask_b32_e64 v85, v97, v98, s0
	v_cmp_u_f32_e64 s0, v86, v86
	s_delay_alu instid0(VALU_DEP_2) | instskip(SKIP_1) | instid1(VALU_DEP_2)
	v_lshrrev_b32_e32 v85, 16, v85
	s_wait_alu 0xf1ff
	v_cndmask_b32_e64 v86, v99, v100, s0
	v_cmp_u_f32_e64 s0, v87, v87
	v_lshrrev_b32_e32 v87, 16, v84
	s_delay_alu instid0(VALU_DEP_3) | instskip(SKIP_1) | instid1(VALU_DEP_3)
	v_lshrrev_b32_e32 v86, 16, v86
	s_wait_alu 0xf1ff
	v_cndmask_b32_e64 v92, v101, v102, s0
	v_cmp_u_f32_e64 s0, v16, v16
	s_delay_alu instid0(VALU_DEP_2) | instskip(SKIP_1) | instid1(VALU_DEP_2)
	v_lshrrev_b32_e32 v78, 16, v92
	s_wait_alu 0xf1ff
	v_cndmask_b32_e64 v16, v103, v104, s0
	s_delay_alu instid0(VALU_DEP_1)
	v_lshrrev_b32_e32 v84, 16, v16
	s_and_saveexec_b32 s7, vcc_lo
	s_cbranch_execz .LBB362_41
; %bb.40:                               ;   in Loop: Header=BB362_29 Depth=1
	v_cmp_gt_i32_e64 s0, s27, v77
	s_wait_alu 0xf1ff
	s_delay_alu instid0(VALU_DEP_1) | instskip(SKIP_2) | instid1(VALU_DEP_1)
	v_cndmask_b32_e64 v89, 0, v89, s0
	v_cmp_gt_i32_e64 s0, s27, v83
	s_wait_alu 0xf1ff
	v_cndmask_b32_e64 v91, 0, v91, s0
	v_cmp_gt_i32_e64 s0, s27, v82
	s_wait_alu 0xf1ff
	s_delay_alu instid0(VALU_DEP_1) | instskip(SKIP_2) | instid1(VALU_DEP_1)
	v_cndmask_b32_e64 v87, 0, v87, s0
	v_cmp_gt_i32_e64 s0, s27, v81
	s_wait_alu 0xf1ff
	v_cndmask_b32_e64 v88, 0, v88, s0
	v_cmp_gt_i32_e64 s0, s27, v80
	s_wait_alu 0xf1ff
	s_delay_alu instid0(VALU_DEP_1) | instskip(SKIP_2) | instid1(VALU_DEP_1)
	v_cndmask_b32_e64 v85, 0, v85, s0
	v_cmp_gt_i32_e64 s0, s27, v79
	s_wait_alu 0xf1ff
	v_cndmask_b32_e64 v86, 0, v86, s0
	v_cmp_gt_i32_e64 s0, s27, v90
	s_wait_alu 0xf1ff
	s_delay_alu instid0(VALU_DEP_1) | instskip(SKIP_2) | instid1(VALU_DEP_1)
	v_cndmask_b32_e64 v78, 0, v78, s0
	v_cmp_gt_i32_e64 s0, s27, v35
	s_wait_alu 0xf1ff
	v_cndmask_b32_e64 v84, 0, v84, s0
.LBB362_41:                             ;   in Loop: Header=BB362_29 Depth=1
	s_wait_alu 0xfffe
	s_or_b32 exec_lo, exec_lo, s7
	global_load_b64 v[15:16], v[13:14], off offset:1536
	s_wait_loadcnt 0x0
	v_bfe_u32 v93, v15, 16, 8
	v_bfe_u32 v92, v15, 8, 8
	;; [unrolled: 1-line block ×4, first 2 shown]
	s_delay_alu instid0(VALU_DEP_4)
	v_cvt_f32_fp8_e32 v93, v93
	v_and_b32_e32 v0, 0xff, v15
	v_cvt_f32_fp8_e32 v92, v92
	v_cvt_f32_fp8_e32 v95, v95
	v_lshrrev_b32_e32 v15, 24, v15
	v_mul_f32_e32 v93, s2, v93
	v_cvt_f32_fp8_e32 v0, v0
	v_mul_f32_e32 v92, s2, v92
	v_cvt_f32_fp8_e32 v96, v96
	v_cvt_f32_fp8_e32 v15, v15
	s_delay_alu instid0(VALU_DEP_4) | instskip(SKIP_2) | instid1(VALU_DEP_4)
	v_dual_mul_f32 v95, s2, v95 :: v_dual_mul_f32 v0, s2, v0
	v_and_b32_e32 v94, 0xff, v16
	v_bfe_u32 v99, v92, 16, 1
	v_mul_f32_e32 v15, s2, v15
	v_or_b32_e32 v100, 0x400000, v92
	v_bfe_u32 v97, v0, 16, 1
	v_or_b32_e32 v98, 0x400000, v0
	v_cmp_u_f32_e64 s0, v0, v0
	v_cvt_f32_fp8_e32 v94, v94
	v_bfe_u32 v101, v93, 16, 1
	v_add3_u32 v97, v97, v0, 0x7fff
	v_add3_u32 v99, v99, v92, 0x7fff
	v_or_b32_e32 v102, 0x400000, v93
	v_mul_f32_e32 v94, s2, v94
	v_bfe_u32 v103, v15, 16, 1
	s_wait_alu 0xf1ff
	v_cndmask_b32_e64 v0, v97, v98, s0
	v_cmp_u_f32_e64 s0, v92, v92
	v_add3_u32 v101, v101, v93, 0x7fff
	v_lshrrev_b32_e32 v16, 24, v16
	v_or_b32_e32 v104, 0x400000, v15
	v_bfe_u32 v105, v94, 16, 1
	s_wait_alu 0xf1ff
	v_cndmask_b32_e64 v92, v99, v100, s0
	v_cmp_u_f32_e64 s0, v93, v93
	v_add3_u32 v103, v103, v15, 0x7fff
	v_cvt_f32_fp8_e32 v16, v16
	v_mul_f32_e32 v96, s2, v96
	v_or_b32_e32 v106, 0x400000, v94
	s_wait_alu 0xf1ff
	v_cndmask_b32_e64 v93, v101, v102, s0
	v_cmp_u_f32_e64 s0, v15, v15
	v_bfe_u32 v107, v95, 16, 1
	v_add3_u32 v105, v105, v94, 0x7fff
	v_mul_f32_e32 v16, s2, v16
	v_or_b32_e32 v108, 0x400000, v95
	s_wait_alu 0xf1ff
	v_cndmask_b32_e64 v15, v103, v104, s0
	v_cmp_u_f32_e64 s0, v94, v94
	v_bfe_u32 v109, v96, 16, 1
	v_add3_u32 v107, v107, v95, 0x7fff
	v_or_b32_e32 v110, 0x400000, v96
	v_bfe_u32 v111, v16, 16, 1
	s_wait_alu 0xf1ff
	v_cndmask_b32_e64 v94, v105, v106, s0
	v_cmp_u_f32_e64 s0, v95, v95
	v_add3_u32 v109, v109, v96, 0x7fff
	v_or_b32_e32 v112, 0x400000, v16
	v_add3_u32 v111, v111, v16, 0x7fff
	v_lshrrev_b32_e32 v98, 16, v0
	s_wait_alu 0xf1ff
	v_cndmask_b32_e64 v95, v107, v108, s0
	v_cmp_u_f32_e64 s0, v96, v96
	v_lshrrev_b32_e32 v99, 16, v92
	v_lshrrev_b32_e32 v96, 16, v93
	;; [unrolled: 1-line block ×4, first 2 shown]
	s_wait_alu 0xf1ff
	v_cndmask_b32_e64 v100, v109, v110, s0
	v_cmp_u_f32_e64 s0, v16, v16
	v_lshrrev_b32_e32 v95, 16, v95
	s_delay_alu instid0(VALU_DEP_3) | instskip(SKIP_1) | instid1(VALU_DEP_3)
	v_lshrrev_b32_e32 v92, 16, v100
	s_wait_alu 0xf1ff
	v_cndmask_b32_e64 v16, v111, v112, s0
	s_delay_alu instid0(VALU_DEP_1)
	v_lshrrev_b32_e32 v93, 16, v16
	s_and_saveexec_b32 s7, vcc_lo
	s_cbranch_execz .LBB362_43
; %bb.42:                               ;   in Loop: Header=BB362_29 Depth=1
	v_cmp_gt_i32_e64 s0, s27, v77
	s_wait_alu 0xf1ff
	s_delay_alu instid0(VALU_DEP_1) | instskip(SKIP_2) | instid1(VALU_DEP_1)
	v_cndmask_b32_e64 v98, 0, v98, s0
	v_cmp_gt_i32_e64 s0, s27, v83
	s_wait_alu 0xf1ff
	v_cndmask_b32_e64 v99, 0, v99, s0
	v_cmp_gt_i32_e64 s0, s27, v82
	s_wait_alu 0xf1ff
	s_delay_alu instid0(VALU_DEP_1) | instskip(SKIP_2) | instid1(VALU_DEP_1)
	v_cndmask_b32_e64 v96, 0, v96, s0
	v_cmp_gt_i32_e64 s0, s27, v81
	s_wait_alu 0xf1ff
	v_cndmask_b32_e64 v97, 0, v97, s0
	;; [unrolled: 7-line block ×4, first 2 shown]
.LBB362_43:                             ;   in Loop: Header=BB362_29 Depth=1
	s_wait_alu 0xfffe
	s_or_b32 exec_lo, exec_lo, s7
	global_load_b64 v[15:16], v[13:14], off offset:1792
	s_wait_loadcnt 0x0
	v_bfe_u32 v101, v15, 16, 8
	v_bfe_u32 v100, v15, 8, 8
	v_bfe_u32 v103, v16, 8, 8
	v_bfe_u32 v104, v16, 16, 8
	s_delay_alu instid0(VALU_DEP_4)
	v_cvt_f32_fp8_e32 v101, v101
	v_and_b32_e32 v0, 0xff, v15
	v_cvt_f32_fp8_e32 v100, v100
	v_cvt_f32_fp8_e32 v103, v103
	v_lshrrev_b32_e32 v15, 24, v15
	v_mul_f32_e32 v101, s2, v101
	v_cvt_f32_fp8_e32 v0, v0
	v_mul_f32_e32 v100, s2, v100
	v_cvt_f32_fp8_e32 v104, v104
	v_cvt_f32_fp8_e32 v15, v15
	s_delay_alu instid0(VALU_DEP_4) | instskip(SKIP_2) | instid1(VALU_DEP_4)
	v_dual_mul_f32 v103, s2, v103 :: v_dual_mul_f32 v0, s2, v0
	v_and_b32_e32 v102, 0xff, v16
	v_bfe_u32 v107, v100, 16, 1
	v_mul_f32_e32 v15, s2, v15
	v_or_b32_e32 v108, 0x400000, v100
	v_bfe_u32 v105, v0, 16, 1
	v_or_b32_e32 v106, 0x400000, v0
	v_cmp_u_f32_e64 s0, v0, v0
	v_cvt_f32_fp8_e32 v102, v102
	v_bfe_u32 v109, v101, 16, 1
	v_add3_u32 v105, v105, v0, 0x7fff
	v_add3_u32 v107, v107, v100, 0x7fff
	v_or_b32_e32 v110, 0x400000, v101
	v_mul_f32_e32 v102, s2, v102
	v_bfe_u32 v111, v15, 16, 1
	s_wait_alu 0xf1ff
	v_cndmask_b32_e64 v0, v105, v106, s0
	v_cmp_u_f32_e64 s0, v100, v100
	v_add3_u32 v109, v109, v101, 0x7fff
	v_lshrrev_b32_e32 v16, 24, v16
	v_or_b32_e32 v112, 0x400000, v15
	v_bfe_u32 v113, v102, 16, 1
	s_wait_alu 0xf1ff
	v_cndmask_b32_e64 v100, v107, v108, s0
	v_cmp_u_f32_e64 s0, v101, v101
	v_add3_u32 v111, v111, v15, 0x7fff
	v_cvt_f32_fp8_e32 v16, v16
	v_mul_f32_e32 v104, s2, v104
	v_or_b32_e32 v114, 0x400000, v102
	s_wait_alu 0xf1ff
	v_cndmask_b32_e64 v101, v109, v110, s0
	v_cmp_u_f32_e64 s0, v15, v15
	v_bfe_u32 v115, v103, 16, 1
	v_add3_u32 v113, v113, v102, 0x7fff
	v_mul_f32_e32 v16, s2, v16
	v_or_b32_e32 v116, 0x400000, v103
	s_wait_alu 0xf1ff
	v_cndmask_b32_e64 v15, v111, v112, s0
	v_cmp_u_f32_e64 s0, v102, v102
	v_bfe_u32 v117, v104, 16, 1
	v_add3_u32 v115, v115, v103, 0x7fff
	v_or_b32_e32 v118, 0x400000, v104
	v_bfe_u32 v119, v16, 16, 1
	s_wait_alu 0xf1ff
	v_cndmask_b32_e64 v102, v113, v114, s0
	v_cmp_u_f32_e64 s0, v103, v103
	v_add3_u32 v117, v117, v104, 0x7fff
	v_or_b32_e32 v120, 0x400000, v16
	v_add3_u32 v119, v119, v16, 0x7fff
	v_lshrrev_b32_e32 v106, 16, v0
	s_wait_alu 0xf1ff
	v_cndmask_b32_e64 v103, v115, v116, s0
	v_cmp_u_f32_e64 s0, v104, v104
	v_lshrrev_b32_e32 v107, 16, v100
	v_lshrrev_b32_e32 v104, 16, v101
	;; [unrolled: 1-line block ×4, first 2 shown]
	s_wait_alu 0xf1ff
	v_cndmask_b32_e64 v108, v117, v118, s0
	v_cmp_u_f32_e64 s0, v16, v16
	v_lshrrev_b32_e32 v103, 16, v103
	s_delay_alu instid0(VALU_DEP_3) | instskip(SKIP_1) | instid1(VALU_DEP_3)
	v_lshrrev_b32_e32 v100, 16, v108
	s_wait_alu 0xf1ff
	v_cndmask_b32_e64 v16, v119, v120, s0
	s_delay_alu instid0(VALU_DEP_1)
	v_lshrrev_b32_e32 v101, 16, v16
	s_and_saveexec_b32 s7, vcc_lo
	s_cbranch_execz .LBB362_45
; %bb.44:                               ;   in Loop: Header=BB362_29 Depth=1
	v_cmp_gt_i32_e64 s0, s27, v77
	s_wait_alu 0xf1ff
	s_delay_alu instid0(VALU_DEP_1) | instskip(SKIP_2) | instid1(VALU_DEP_1)
	v_cndmask_b32_e64 v106, 0, v106, s0
	v_cmp_gt_i32_e64 s0, s27, v83
	s_wait_alu 0xf1ff
	v_cndmask_b32_e64 v107, 0, v107, s0
	v_cmp_gt_i32_e64 s0, s27, v82
	s_wait_alu 0xf1ff
	s_delay_alu instid0(VALU_DEP_1) | instskip(SKIP_2) | instid1(VALU_DEP_1)
	v_cndmask_b32_e64 v104, 0, v104, s0
	v_cmp_gt_i32_e64 s0, s27, v81
	s_wait_alu 0xf1ff
	v_cndmask_b32_e64 v105, 0, v105, s0
	;; [unrolled: 7-line block ×4, first 2 shown]
.LBB362_45:                             ;   in Loop: Header=BB362_29 Depth=1
	s_wait_alu 0xfffe
	s_or_b32 exec_lo, exec_lo, s7
	global_load_b64 v[15:16], v[13:14], off offset:2048
	s_wait_loadcnt 0x0
	v_bfe_u32 v109, v15, 16, 8
	v_bfe_u32 v108, v15, 8, 8
	;; [unrolled: 1-line block ×4, first 2 shown]
	s_delay_alu instid0(VALU_DEP_4)
	v_cvt_f32_fp8_e32 v109, v109
	v_and_b32_e32 v0, 0xff, v15
	v_cvt_f32_fp8_e32 v108, v108
	v_cvt_f32_fp8_e32 v111, v111
	v_lshrrev_b32_e32 v15, 24, v15
	v_mul_f32_e32 v109, s2, v109
	v_cvt_f32_fp8_e32 v0, v0
	v_mul_f32_e32 v108, s2, v108
	v_cvt_f32_fp8_e32 v112, v112
	v_cvt_f32_fp8_e32 v15, v15
	s_delay_alu instid0(VALU_DEP_4) | instskip(SKIP_2) | instid1(VALU_DEP_4)
	v_dual_mul_f32 v111, s2, v111 :: v_dual_mul_f32 v0, s2, v0
	v_and_b32_e32 v110, 0xff, v16
	v_bfe_u32 v115, v108, 16, 1
	v_mul_f32_e32 v15, s2, v15
	v_or_b32_e32 v116, 0x400000, v108
	v_bfe_u32 v113, v0, 16, 1
	v_or_b32_e32 v114, 0x400000, v0
	v_cmp_u_f32_e64 s0, v0, v0
	v_cvt_f32_fp8_e32 v110, v110
	v_bfe_u32 v117, v109, 16, 1
	v_add3_u32 v113, v113, v0, 0x7fff
	v_add3_u32 v115, v115, v108, 0x7fff
	v_or_b32_e32 v118, 0x400000, v109
	v_mul_f32_e32 v110, s2, v110
	v_bfe_u32 v119, v15, 16, 1
	s_wait_alu 0xf1ff
	v_cndmask_b32_e64 v0, v113, v114, s0
	v_cmp_u_f32_e64 s0, v108, v108
	v_add3_u32 v117, v117, v109, 0x7fff
	v_lshrrev_b32_e32 v16, 24, v16
	v_or_b32_e32 v120, 0x400000, v15
	v_bfe_u32 v121, v110, 16, 1
	s_wait_alu 0xf1ff
	v_cndmask_b32_e64 v108, v115, v116, s0
	v_cmp_u_f32_e64 s0, v109, v109
	v_add3_u32 v119, v119, v15, 0x7fff
	v_cvt_f32_fp8_e32 v16, v16
	v_mul_f32_e32 v112, s2, v112
	v_or_b32_e32 v122, 0x400000, v110
	s_wait_alu 0xf1ff
	v_cndmask_b32_e64 v109, v117, v118, s0
	v_cmp_u_f32_e64 s0, v15, v15
	v_bfe_u32 v123, v111, 16, 1
	v_add3_u32 v121, v121, v110, 0x7fff
	v_mul_f32_e32 v16, s2, v16
	v_or_b32_e32 v124, 0x400000, v111
	s_wait_alu 0xf1ff
	v_cndmask_b32_e64 v15, v119, v120, s0
	v_cmp_u_f32_e64 s0, v110, v110
	v_bfe_u32 v125, v112, 16, 1
	v_add3_u32 v123, v123, v111, 0x7fff
	v_or_b32_e32 v126, 0x400000, v112
	v_bfe_u32 v127, v16, 16, 1
	s_wait_alu 0xf1ff
	v_cndmask_b32_e64 v110, v121, v122, s0
	v_cmp_u_f32_e64 s0, v111, v111
	v_add3_u32 v125, v125, v112, 0x7fff
	v_or_b32_e32 v128, 0x400000, v16
	v_add3_u32 v127, v127, v16, 0x7fff
	v_lshrrev_b32_e32 v117, 16, v0
	s_wait_alu 0xf1ff
	v_cndmask_b32_e64 v111, v123, v124, s0
	v_cmp_u_f32_e64 s0, v112, v112
	v_lshrrev_b32_e32 v118, 16, v108
	v_lshrrev_b32_e32 v115, 16, v109
	;; [unrolled: 1-line block ×4, first 2 shown]
	s_wait_alu 0xf1ff
	v_cndmask_b32_e64 v112, v125, v126, s0
	v_cmp_u_f32_e64 s0, v16, v16
	v_lshrrev_b32_e32 v16, 16, v110
	s_delay_alu instid0(VALU_DEP_3) | instskip(SKIP_1) | instid1(VALU_DEP_3)
	v_lshrrev_b32_e32 v0, 16, v112
	s_wait_alu 0xf1ff
	v_cndmask_b32_e64 v113, v127, v128, s0
	s_delay_alu instid0(VALU_DEP_1)
	v_lshrrev_b32_e32 v15, 16, v113
	s_and_saveexec_b32 s7, vcc_lo
	s_cbranch_execz .LBB362_47
; %bb.46:                               ;   in Loop: Header=BB362_29 Depth=1
	v_cmp_gt_i32_e64 s0, s27, v77
	s_wait_alu 0xf1ff
	s_delay_alu instid0(VALU_DEP_1) | instskip(SKIP_2) | instid1(VALU_DEP_1)
	v_cndmask_b32_e64 v117, 0, v117, s0
	v_cmp_gt_i32_e64 s0, s27, v83
	s_wait_alu 0xf1ff
	v_cndmask_b32_e64 v118, 0, v118, s0
	v_cmp_gt_i32_e64 s0, s27, v82
	s_wait_alu 0xf1ff
	s_delay_alu instid0(VALU_DEP_1) | instskip(SKIP_2) | instid1(VALU_DEP_1)
	v_cndmask_b32_e64 v115, 0, v115, s0
	v_cmp_gt_i32_e64 s0, s27, v81
	s_wait_alu 0xf1ff
	v_cndmask_b32_e64 v116, 0, v116, s0
	;; [unrolled: 7-line block ×4, first 2 shown]
.LBB362_47:                             ;   in Loop: Header=BB362_29 Depth=1
	s_wait_alu 0xfffe
	s_or_b32 exec_lo, exec_lo, s7
	global_load_b64 v[108:109], v[13:14], off offset:2304
	s_wait_loadcnt 0x0
	v_bfe_u32 v111, v108, 8, 8
	v_bfe_u32 v112, v108, 16, 8
	;; [unrolled: 1-line block ×4, first 2 shown]
	s_delay_alu instid0(VALU_DEP_4)
	v_cvt_f32_fp8_e32 v111, v111
	v_and_b32_e32 v110, 0xff, v108
	v_lshrrev_b32_e32 v108, 24, v108
	v_cvt_f32_fp8_e32 v112, v112
	v_cvt_f32_fp8_e32 v119, v119
	v_mul_f32_e32 v111, s2, v111
	v_cvt_f32_fp8_e32 v110, v110
	v_and_b32_e32 v113, 0xff, v109
	v_cvt_f32_fp8_e32 v108, v108
	v_lshrrev_b32_e32 v109, 24, v109
	v_bfe_u32 v123, v111, 16, 1
	v_mul_f32_e32 v110, s2, v110
	v_cvt_f32_fp8_e32 v113, v113
	v_mul_f32_e32 v112, s2, v112
	v_dual_mul_f32 v108, s2, v108 :: v_dual_mul_f32 v119, s2, v119
	s_delay_alu instid0(VALU_DEP_4)
	v_bfe_u32 v121, v110, 16, 1
	v_or_b32_e32 v122, 0x400000, v110
	v_cmp_u_f32_e64 s0, v110, v110
	v_mul_f32_e32 v113, s2, v113
	v_or_b32_e32 v124, 0x400000, v111
	v_add3_u32 v121, v121, v110, 0x7fff
	v_bfe_u32 v125, v112, 16, 1
	v_add3_u32 v123, v123, v111, 0x7fff
	v_or_b32_e32 v126, 0x400000, v112
	v_bfe_u32 v127, v108, 16, 1
	s_wait_alu 0xf1ff
	v_cndmask_b32_e64 v110, v121, v122, s0
	v_cmp_u_f32_e64 s0, v111, v111
	v_add3_u32 v125, v125, v112, 0x7fff
	v_cvt_f32_fp8_e32 v120, v120
	v_or_b32_e32 v128, 0x400000, v108
	v_bfe_u32 v129, v113, 16, 1
	s_wait_alu 0xf1ff
	v_cndmask_b32_e64 v111, v123, v124, s0
	v_cmp_u_f32_e64 s0, v112, v112
	v_add3_u32 v127, v127, v108, 0x7fff
	v_cvt_f32_fp8_e32 v109, v109
	v_mul_f32_e32 v120, s2, v120
	v_or_b32_e32 v130, 0x400000, v113
	s_wait_alu 0xf1ff
	v_cndmask_b32_e64 v112, v125, v126, s0
	v_cmp_u_f32_e64 s0, v108, v108
	v_bfe_u32 v131, v119, 16, 1
	v_add3_u32 v129, v129, v113, 0x7fff
	v_mul_f32_e32 v109, s2, v109
	v_or_b32_e32 v132, 0x400000, v119
	s_wait_alu 0xf1ff
	v_cndmask_b32_e64 v108, v127, v128, s0
	v_cmp_u_f32_e64 s0, v113, v113
	v_bfe_u32 v133, v120, 16, 1
	v_add3_u32 v131, v131, v119, 0x7fff
	v_or_b32_e32 v134, 0x400000, v120
	v_bfe_u32 v135, v109, 16, 1
	s_wait_alu 0xf1ff
	v_cndmask_b32_e64 v113, v129, v130, s0
	v_cmp_u_f32_e64 s0, v119, v119
	v_add3_u32 v133, v133, v120, 0x7fff
	v_or_b32_e32 v136, 0x400000, v109
	v_add3_u32 v135, v135, v109, 0x7fff
	v_lshrrev_b32_e32 v125, 16, v110
	s_wait_alu 0xf1ff
	v_cndmask_b32_e64 v119, v131, v132, s0
	v_cmp_u_f32_e64 s0, v120, v120
	v_lshrrev_b32_e32 v126, 16, v111
	v_lshrrev_b32_e32 v123, 16, v112
	;; [unrolled: 1-line block ×4, first 2 shown]
	s_wait_alu 0xf1ff
	v_cndmask_b32_e64 v120, v133, v134, s0
	v_cmp_u_f32_e64 s0, v109, v109
	v_lshrrev_b32_e32 v122, 16, v119
	s_delay_alu instid0(VALU_DEP_3) | instskip(SKIP_1) | instid1(VALU_DEP_3)
	v_lshrrev_b32_e32 v119, 16, v120
	s_wait_alu 0xf1ff
	v_cndmask_b32_e64 v109, v135, v136, s0
	s_delay_alu instid0(VALU_DEP_1)
	v_lshrrev_b32_e32 v120, 16, v109
	s_and_saveexec_b32 s7, vcc_lo
	s_cbranch_execz .LBB362_49
; %bb.48:                               ;   in Loop: Header=BB362_29 Depth=1
	v_cmp_gt_i32_e64 s0, s27, v77
	s_wait_alu 0xf1ff
	s_delay_alu instid0(VALU_DEP_1) | instskip(SKIP_2) | instid1(VALU_DEP_1)
	v_cndmask_b32_e64 v125, 0, v125, s0
	v_cmp_gt_i32_e64 s0, s27, v83
	s_wait_alu 0xf1ff
	v_cndmask_b32_e64 v126, 0, v126, s0
	v_cmp_gt_i32_e64 s0, s27, v82
	s_wait_alu 0xf1ff
	s_delay_alu instid0(VALU_DEP_1) | instskip(SKIP_2) | instid1(VALU_DEP_1)
	v_cndmask_b32_e64 v123, 0, v123, s0
	v_cmp_gt_i32_e64 s0, s27, v81
	s_wait_alu 0xf1ff
	v_cndmask_b32_e64 v124, 0, v124, s0
	;; [unrolled: 7-line block ×4, first 2 shown]
.LBB362_49:                             ;   in Loop: Header=BB362_29 Depth=1
	s_wait_alu 0xfffe
	s_or_b32 exec_lo, exec_lo, s7
	global_load_b64 v[108:109], v[13:14], off offset:2560
	s_wait_loadcnt 0x0
	v_bfe_u32 v111, v108, 8, 8
	v_bfe_u32 v112, v108, 16, 8
	;; [unrolled: 1-line block ×4, first 2 shown]
	s_delay_alu instid0(VALU_DEP_4)
	v_cvt_f32_fp8_e32 v111, v111
	v_and_b32_e32 v110, 0xff, v108
	v_lshrrev_b32_e32 v108, 24, v108
	v_cvt_f32_fp8_e32 v112, v112
	v_cvt_f32_fp8_e32 v127, v127
	v_mul_f32_e32 v111, s2, v111
	v_cvt_f32_fp8_e32 v110, v110
	v_and_b32_e32 v113, 0xff, v109
	v_cvt_f32_fp8_e32 v108, v108
	v_lshrrev_b32_e32 v109, 24, v109
	v_bfe_u32 v131, v111, 16, 1
	v_mul_f32_e32 v110, s2, v110
	v_cvt_f32_fp8_e32 v113, v113
	v_mul_f32_e32 v112, s2, v112
	v_dual_mul_f32 v108, s2, v108 :: v_dual_mul_f32 v127, s2, v127
	s_delay_alu instid0(VALU_DEP_4)
	v_bfe_u32 v129, v110, 16, 1
	v_or_b32_e32 v130, 0x400000, v110
	v_cmp_u_f32_e64 s0, v110, v110
	v_mul_f32_e32 v113, s2, v113
	v_or_b32_e32 v132, 0x400000, v111
	v_add3_u32 v129, v129, v110, 0x7fff
	v_bfe_u32 v133, v112, 16, 1
	v_add3_u32 v131, v131, v111, 0x7fff
	v_or_b32_e32 v134, 0x400000, v112
	v_bfe_u32 v135, v108, 16, 1
	s_wait_alu 0xf1ff
	v_cndmask_b32_e64 v110, v129, v130, s0
	v_cmp_u_f32_e64 s0, v111, v111
	v_add3_u32 v133, v133, v112, 0x7fff
	v_cvt_f32_fp8_e32 v128, v128
	v_or_b32_e32 v136, 0x400000, v108
	v_bfe_u32 v137, v113, 16, 1
	s_wait_alu 0xf1ff
	v_cndmask_b32_e64 v111, v131, v132, s0
	v_cmp_u_f32_e64 s0, v112, v112
	v_add3_u32 v135, v135, v108, 0x7fff
	v_cvt_f32_fp8_e32 v109, v109
	v_mul_f32_e32 v128, s2, v128
	v_or_b32_e32 v138, 0x400000, v113
	s_wait_alu 0xf1ff
	v_cndmask_b32_e64 v112, v133, v134, s0
	v_cmp_u_f32_e64 s0, v108, v108
	v_bfe_u32 v139, v127, 16, 1
	v_add3_u32 v137, v137, v113, 0x7fff
	v_mul_f32_e32 v109, s2, v109
	v_or_b32_e32 v140, 0x400000, v127
	s_wait_alu 0xf1ff
	v_cndmask_b32_e64 v108, v135, v136, s0
	v_cmp_u_f32_e64 s0, v113, v113
	v_bfe_u32 v141, v128, 16, 1
	v_add3_u32 v139, v139, v127, 0x7fff
	v_or_b32_e32 v142, 0x400000, v128
	v_bfe_u32 v143, v109, 16, 1
	s_wait_alu 0xf1ff
	v_cndmask_b32_e64 v113, v137, v138, s0
	v_cmp_u_f32_e64 s0, v127, v127
	v_add3_u32 v141, v141, v128, 0x7fff
	v_or_b32_e32 v144, 0x400000, v109
	v_add3_u32 v143, v143, v109, 0x7fff
	v_lshrrev_b32_e32 v133, 16, v110
	s_wait_alu 0xf1ff
	v_cndmask_b32_e64 v127, v139, v140, s0
	v_cmp_u_f32_e64 s0, v128, v128
	v_lshrrev_b32_e32 v134, 16, v111
	v_lshrrev_b32_e32 v131, 16, v112
	;; [unrolled: 1-line block ×4, first 2 shown]
	s_wait_alu 0xf1ff
	v_cndmask_b32_e64 v128, v141, v142, s0
	v_cmp_u_f32_e64 s0, v109, v109
	v_lshrrev_b32_e32 v130, 16, v127
	s_delay_alu instid0(VALU_DEP_3) | instskip(SKIP_1) | instid1(VALU_DEP_3)
	v_lshrrev_b32_e32 v127, 16, v128
	s_wait_alu 0xf1ff
	v_cndmask_b32_e64 v109, v143, v144, s0
	s_delay_alu instid0(VALU_DEP_1)
	v_lshrrev_b32_e32 v128, 16, v109
	s_and_saveexec_b32 s7, vcc_lo
	s_cbranch_execz .LBB362_51
; %bb.50:                               ;   in Loop: Header=BB362_29 Depth=1
	v_cmp_gt_i32_e64 s0, s27, v77
	s_wait_alu 0xf1ff
	s_delay_alu instid0(VALU_DEP_1) | instskip(SKIP_2) | instid1(VALU_DEP_1)
	v_cndmask_b32_e64 v133, 0, v133, s0
	v_cmp_gt_i32_e64 s0, s27, v83
	s_wait_alu 0xf1ff
	v_cndmask_b32_e64 v134, 0, v134, s0
	v_cmp_gt_i32_e64 s0, s27, v82
	s_wait_alu 0xf1ff
	s_delay_alu instid0(VALU_DEP_1) | instskip(SKIP_2) | instid1(VALU_DEP_1)
	v_cndmask_b32_e64 v131, 0, v131, s0
	v_cmp_gt_i32_e64 s0, s27, v81
	s_wait_alu 0xf1ff
	v_cndmask_b32_e64 v132, 0, v132, s0
	;; [unrolled: 7-line block ×4, first 2 shown]
.LBB362_51:                             ;   in Loop: Header=BB362_29 Depth=1
	s_wait_alu 0xfffe
	s_or_b32 exec_lo, exec_lo, s7
	global_load_b64 v[108:109], v[13:14], off offset:2816
	s_wait_loadcnt 0x0
	v_bfe_u32 v111, v108, 8, 8
	v_bfe_u32 v112, v108, 16, 8
	;; [unrolled: 1-line block ×4, first 2 shown]
	s_delay_alu instid0(VALU_DEP_4)
	v_cvt_f32_fp8_e32 v111, v111
	v_and_b32_e32 v110, 0xff, v108
	v_lshrrev_b32_e32 v108, 24, v108
	v_cvt_f32_fp8_e32 v112, v112
	v_cvt_f32_fp8_e32 v135, v135
	v_mul_f32_e32 v111, s2, v111
	v_cvt_f32_fp8_e32 v110, v110
	v_and_b32_e32 v113, 0xff, v109
	v_cvt_f32_fp8_e32 v108, v108
	v_lshrrev_b32_e32 v109, 24, v109
	v_bfe_u32 v139, v111, 16, 1
	v_mul_f32_e32 v110, s2, v110
	v_cvt_f32_fp8_e32 v113, v113
	v_mul_f32_e32 v112, s2, v112
	v_dual_mul_f32 v108, s2, v108 :: v_dual_mul_f32 v135, s2, v135
	s_delay_alu instid0(VALU_DEP_4)
	v_bfe_u32 v137, v110, 16, 1
	v_or_b32_e32 v138, 0x400000, v110
	v_cmp_u_f32_e64 s0, v110, v110
	v_mul_f32_e32 v113, s2, v113
	v_or_b32_e32 v140, 0x400000, v111
	v_add3_u32 v137, v137, v110, 0x7fff
	v_bfe_u32 v141, v112, 16, 1
	v_add3_u32 v139, v139, v111, 0x7fff
	v_or_b32_e32 v142, 0x400000, v112
	v_bfe_u32 v143, v108, 16, 1
	s_wait_alu 0xf1ff
	v_cndmask_b32_e64 v110, v137, v138, s0
	v_cmp_u_f32_e64 s0, v111, v111
	v_add3_u32 v141, v141, v112, 0x7fff
	v_cvt_f32_fp8_e32 v136, v136
	v_or_b32_e32 v144, 0x400000, v108
	v_bfe_u32 v145, v113, 16, 1
	s_wait_alu 0xf1ff
	v_cndmask_b32_e64 v111, v139, v140, s0
	v_cmp_u_f32_e64 s0, v112, v112
	v_add3_u32 v143, v143, v108, 0x7fff
	v_cvt_f32_fp8_e32 v109, v109
	v_mul_f32_e32 v136, s2, v136
	v_or_b32_e32 v146, 0x400000, v113
	s_wait_alu 0xf1ff
	v_cndmask_b32_e64 v112, v141, v142, s0
	v_cmp_u_f32_e64 s0, v108, v108
	v_bfe_u32 v147, v135, 16, 1
	v_add3_u32 v145, v145, v113, 0x7fff
	v_mul_f32_e32 v109, s2, v109
	v_or_b32_e32 v148, 0x400000, v135
	s_wait_alu 0xf1ff
	v_cndmask_b32_e64 v108, v143, v144, s0
	v_cmp_u_f32_e64 s0, v113, v113
	v_bfe_u32 v149, v136, 16, 1
	v_add3_u32 v147, v147, v135, 0x7fff
	v_or_b32_e32 v150, 0x400000, v136
	v_bfe_u32 v151, v109, 16, 1
	s_wait_alu 0xf1ff
	v_cndmask_b32_e64 v113, v145, v146, s0
	v_cmp_u_f32_e64 s0, v135, v135
	v_add3_u32 v149, v149, v136, 0x7fff
	v_or_b32_e32 v152, 0x400000, v109
	v_add3_u32 v151, v151, v109, 0x7fff
	v_lshrrev_b32_e32 v141, 16, v110
	s_wait_alu 0xf1ff
	v_cndmask_b32_e64 v135, v147, v148, s0
	v_cmp_u_f32_e64 s0, v136, v136
	v_lshrrev_b32_e32 v142, 16, v111
	v_lshrrev_b32_e32 v139, 16, v112
	;; [unrolled: 1-line block ×4, first 2 shown]
	s_wait_alu 0xf1ff
	v_cndmask_b32_e64 v136, v149, v150, s0
	v_cmp_u_f32_e64 s0, v109, v109
	v_lshrrev_b32_e32 v138, 16, v135
	s_delay_alu instid0(VALU_DEP_3) | instskip(SKIP_1) | instid1(VALU_DEP_3)
	v_lshrrev_b32_e32 v135, 16, v136
	s_wait_alu 0xf1ff
	v_cndmask_b32_e64 v109, v151, v152, s0
	s_delay_alu instid0(VALU_DEP_1)
	v_lshrrev_b32_e32 v136, 16, v109
	s_and_saveexec_b32 s7, vcc_lo
	s_cbranch_execz .LBB362_53
; %bb.52:                               ;   in Loop: Header=BB362_29 Depth=1
	v_cmp_gt_i32_e64 s0, s27, v77
	s_wait_alu 0xf1ff
	s_delay_alu instid0(VALU_DEP_1) | instskip(SKIP_2) | instid1(VALU_DEP_1)
	v_cndmask_b32_e64 v141, 0, v141, s0
	v_cmp_gt_i32_e64 s0, s27, v83
	s_wait_alu 0xf1ff
	v_cndmask_b32_e64 v142, 0, v142, s0
	v_cmp_gt_i32_e64 s0, s27, v82
	s_wait_alu 0xf1ff
	s_delay_alu instid0(VALU_DEP_1) | instskip(SKIP_2) | instid1(VALU_DEP_1)
	v_cndmask_b32_e64 v139, 0, v139, s0
	v_cmp_gt_i32_e64 s0, s27, v81
	s_wait_alu 0xf1ff
	v_cndmask_b32_e64 v140, 0, v140, s0
	;; [unrolled: 7-line block ×4, first 2 shown]
.LBB362_53:                             ;   in Loop: Header=BB362_29 Depth=1
	s_wait_alu 0xfffe
	s_or_b32 exec_lo, exec_lo, s7
	global_load_b64 v[108:109], v[13:14], off offset:3072
	s_wait_loadcnt 0x0
	v_bfe_u32 v111, v108, 8, 8
	v_bfe_u32 v112, v108, 16, 8
	;; [unrolled: 1-line block ×4, first 2 shown]
	s_delay_alu instid0(VALU_DEP_4)
	v_cvt_f32_fp8_e32 v111, v111
	v_and_b32_e32 v110, 0xff, v108
	v_lshrrev_b32_e32 v108, 24, v108
	v_cvt_f32_fp8_e32 v112, v112
	v_cvt_f32_fp8_e32 v143, v143
	v_mul_f32_e32 v111, s2, v111
	v_cvt_f32_fp8_e32 v110, v110
	v_and_b32_e32 v113, 0xff, v109
	v_cvt_f32_fp8_e32 v108, v108
	v_lshrrev_b32_e32 v109, 24, v109
	v_bfe_u32 v147, v111, 16, 1
	v_mul_f32_e32 v110, s2, v110
	v_cvt_f32_fp8_e32 v113, v113
	v_mul_f32_e32 v112, s2, v112
	v_dual_mul_f32 v108, s2, v108 :: v_dual_mul_f32 v143, s2, v143
	s_delay_alu instid0(VALU_DEP_4)
	v_bfe_u32 v145, v110, 16, 1
	v_or_b32_e32 v146, 0x400000, v110
	v_cmp_u_f32_e64 s0, v110, v110
	v_mul_f32_e32 v113, s2, v113
	v_or_b32_e32 v148, 0x400000, v111
	v_add3_u32 v145, v145, v110, 0x7fff
	v_bfe_u32 v149, v112, 16, 1
	v_add3_u32 v147, v147, v111, 0x7fff
	v_or_b32_e32 v150, 0x400000, v112
	v_bfe_u32 v151, v108, 16, 1
	s_wait_alu 0xf1ff
	v_cndmask_b32_e64 v110, v145, v146, s0
	v_cmp_u_f32_e64 s0, v111, v111
	v_add3_u32 v149, v149, v112, 0x7fff
	v_cvt_f32_fp8_e32 v144, v144
	v_or_b32_e32 v152, 0x400000, v108
	v_bfe_u32 v153, v113, 16, 1
	s_wait_alu 0xf1ff
	v_cndmask_b32_e64 v111, v147, v148, s0
	v_cmp_u_f32_e64 s0, v112, v112
	v_add3_u32 v151, v151, v108, 0x7fff
	v_cvt_f32_fp8_e32 v109, v109
	v_mul_f32_e32 v144, s2, v144
	v_or_b32_e32 v154, 0x400000, v113
	s_wait_alu 0xf1ff
	v_cndmask_b32_e64 v112, v149, v150, s0
	v_cmp_u_f32_e64 s0, v108, v108
	v_bfe_u32 v155, v143, 16, 1
	v_add3_u32 v153, v153, v113, 0x7fff
	v_mul_f32_e32 v109, s2, v109
	v_or_b32_e32 v156, 0x400000, v143
	s_wait_alu 0xf1ff
	v_cndmask_b32_e64 v108, v151, v152, s0
	v_cmp_u_f32_e64 s0, v113, v113
	v_bfe_u32 v157, v144, 16, 1
	v_add3_u32 v155, v155, v143, 0x7fff
	v_or_b32_e32 v158, 0x400000, v144
	v_bfe_u32 v159, v109, 16, 1
	s_wait_alu 0xf1ff
	v_cndmask_b32_e64 v113, v153, v154, s0
	v_cmp_u_f32_e64 s0, v143, v143
	v_add3_u32 v157, v157, v144, 0x7fff
	v_or_b32_e32 v160, 0x400000, v109
	v_add3_u32 v159, v159, v109, 0x7fff
	v_lshrrev_b32_e32 v149, 16, v110
	s_wait_alu 0xf1ff
	v_cndmask_b32_e64 v143, v155, v156, s0
	v_cmp_u_f32_e64 s0, v144, v144
	v_lshrrev_b32_e32 v150, 16, v111
	v_lshrrev_b32_e32 v147, 16, v112
	;; [unrolled: 1-line block ×4, first 2 shown]
	s_wait_alu 0xf1ff
	v_cndmask_b32_e64 v144, v157, v158, s0
	v_cmp_u_f32_e64 s0, v109, v109
	v_lshrrev_b32_e32 v146, 16, v143
	s_delay_alu instid0(VALU_DEP_3) | instskip(SKIP_1) | instid1(VALU_DEP_3)
	v_lshrrev_b32_e32 v143, 16, v144
	s_wait_alu 0xf1ff
	v_cndmask_b32_e64 v109, v159, v160, s0
	s_delay_alu instid0(VALU_DEP_1)
	v_lshrrev_b32_e32 v144, 16, v109
	s_and_saveexec_b32 s7, vcc_lo
	s_cbranch_execz .LBB362_55
; %bb.54:                               ;   in Loop: Header=BB362_29 Depth=1
	v_cmp_gt_i32_e64 s0, s27, v77
	s_wait_alu 0xf1ff
	s_delay_alu instid0(VALU_DEP_1) | instskip(SKIP_2) | instid1(VALU_DEP_1)
	v_cndmask_b32_e64 v149, 0, v149, s0
	v_cmp_gt_i32_e64 s0, s27, v83
	s_wait_alu 0xf1ff
	v_cndmask_b32_e64 v150, 0, v150, s0
	v_cmp_gt_i32_e64 s0, s27, v82
	s_wait_alu 0xf1ff
	s_delay_alu instid0(VALU_DEP_1) | instskip(SKIP_2) | instid1(VALU_DEP_1)
	v_cndmask_b32_e64 v147, 0, v147, s0
	v_cmp_gt_i32_e64 s0, s27, v81
	s_wait_alu 0xf1ff
	v_cndmask_b32_e64 v148, 0, v148, s0
	v_cmp_gt_i32_e64 s0, s27, v80
	s_wait_alu 0xf1ff
	s_delay_alu instid0(VALU_DEP_1) | instskip(SKIP_2) | instid1(VALU_DEP_1)
	v_cndmask_b32_e64 v145, 0, v145, s0
	v_cmp_gt_i32_e64 s0, s27, v79
	s_wait_alu 0xf1ff
	v_cndmask_b32_e64 v146, 0, v146, s0
	v_cmp_gt_i32_e64 s0, s27, v90
	s_wait_alu 0xf1ff
	s_delay_alu instid0(VALU_DEP_1) | instskip(SKIP_2) | instid1(VALU_DEP_1)
	v_cndmask_b32_e64 v143, 0, v143, s0
	v_cmp_gt_i32_e64 s0, s27, v35
	s_wait_alu 0xf1ff
	v_cndmask_b32_e64 v144, 0, v144, s0
.LBB362_55:                             ;   in Loop: Header=BB362_29 Depth=1
	s_wait_alu 0xfffe
	s_or_b32 exec_lo, exec_lo, s7
	global_load_b64 v[13:14], v[13:14], off offset:3328
	s_wait_loadcnt 0x0
	v_and_b32_e32 v111, 0xff, v14
	v_bfe_u32 v109, v13, 8, 8
	v_bfe_u32 v110, v13, 16, 8
	;; [unrolled: 1-line block ×4, first 2 shown]
	v_cvt_f32_fp8_e32 v111, v111
	v_and_b32_e32 v108, 0xff, v13
	v_cvt_f32_fp8_e32 v109, v109
	v_lshrrev_b32_e32 v13, 24, v13
	v_cvt_f32_fp8_e32 v110, v110
	v_mul_f32_e32 v111, s2, v111
	v_cvt_f32_fp8_e32 v108, v108
	v_mul_f32_e32 v109, s2, v109
	;; [unrolled: 2-line block ×4, first 2 shown]
	v_bfe_u32 v153, v109, 16, 1
	v_mul_f32_e32 v13, s2, v13
	v_or_b32_e32 v154, 0x400000, v109
	v_bfe_u32 v155, v110, 16, 1
	v_bfe_u32 v151, v108, 16, 1
	v_or_b32_e32 v152, 0x400000, v108
	v_cmp_u_f32_e64 s0, v108, v108
	v_add3_u32 v153, v153, v109, 0x7fff
	v_mul_f32_e32 v112, s2, v112
	v_add3_u32 v151, v151, v108, 0x7fff
	v_or_b32_e32 v156, 0x400000, v110
	v_bfe_u32 v157, v13, 16, 1
	v_add3_u32 v155, v155, v110, 0x7fff
	v_lshrrev_b32_e32 v14, 24, v14
	s_wait_alu 0xf1ff
	v_cndmask_b32_e64 v108, v151, v152, s0
	v_cmp_u_f32_e64 s0, v109, v109
	v_cvt_f32_fp8_e32 v113, v113
	v_or_b32_e32 v158, 0x400000, v13
	v_bfe_u32 v159, v111, 16, 1
	v_add3_u32 v157, v157, v13, 0x7fff
	s_wait_alu 0xf1ff
	v_cndmask_b32_e64 v109, v153, v154, s0
	v_cmp_u_f32_e64 s0, v110, v110
	v_cvt_f32_fp8_e32 v14, v14
	v_mul_f32_e32 v113, s2, v113
	v_or_b32_e32 v160, 0x400000, v111
	v_bfe_u32 v161, v112, 16, 1
	s_wait_alu 0xf1ff
	v_cndmask_b32_e64 v110, v155, v156, s0
	v_cmp_u_f32_e64 s0, v13, v13
	v_add3_u32 v159, v159, v111, 0x7fff
	v_mul_f32_e32 v14, s2, v14
	v_or_b32_e32 v162, 0x400000, v112
	v_bfe_u32 v163, v113, 16, 1
	s_wait_alu 0xf1ff
	v_cndmask_b32_e64 v13, v157, v158, s0
	v_cmp_u_f32_e64 s0, v111, v111
	v_add3_u32 v161, v161, v112, 0x7fff
	v_or_b32_e32 v164, 0x400000, v113
	v_bfe_u32 v165, v14, 16, 1
	v_add3_u32 v163, v163, v113, 0x7fff
	s_wait_alu 0xf1ff
	v_cndmask_b32_e64 v151, v159, v160, s0
	v_cmp_u_f32_e64 s0, v112, v112
	v_or_b32_e32 v166, 0x400000, v14
	v_add3_u32 v165, v165, v14, 0x7fff
	v_lshrrev_b32_e32 v112, 16, v109
	v_lshrrev_b32_e32 v111, 16, v110
	s_wait_alu 0xf1ff
	v_cndmask_b32_e64 v152, v161, v162, s0
	v_cmp_u_f32_e64 s0, v113, v113
	v_lshrrev_b32_e32 v113, 16, v108
	v_lshrrev_b32_e32 v110, 16, v13
	;; [unrolled: 1-line block ×4, first 2 shown]
	s_wait_alu 0xf1ff
	v_cndmask_b32_e64 v153, v163, v164, s0
	v_cmp_u_f32_e64 s0, v14, v14
	s_delay_alu instid0(VALU_DEP_2) | instskip(SKIP_1) | instid1(VALU_DEP_2)
	v_lshrrev_b32_e32 v14, 16, v153
	s_wait_alu 0xf1ff
	v_cndmask_b32_e64 v154, v165, v166, s0
	s_delay_alu instid0(VALU_DEP_1)
	v_lshrrev_b32_e32 v13, 16, v154
	s_and_saveexec_b32 s0, vcc_lo
	s_cbranch_execz .LBB362_28
; %bb.56:                               ;   in Loop: Header=BB362_29 Depth=1
	v_cmp_gt_i32_e32 vcc_lo, s27, v77
	s_wait_alu 0xfffd
	v_cndmask_b32_e32 v113, 0, v113, vcc_lo
	v_cmp_gt_i32_e32 vcc_lo, s27, v83
	s_wait_alu 0xfffd
	v_cndmask_b32_e32 v112, 0, v112, vcc_lo
	;; [unrolled: 3-line block ×8, first 2 shown]
	s_branch .LBB362_28
.LBB362_57:
	s_or_b32 exec_lo, exec_lo, s6
.LBB362_58:
	s_wait_alu 0xfffe
	s_or_b32 exec_lo, exec_lo, s1
	ds_bpermute_b32 v0, v19, v32
	ds_bpermute_b32 v1, v19, v34
	;; [unrolled: 1-line block ×14, first 2 shown]
	s_mov_b32 s0, exec_lo
	s_wait_storecnt 0x0
	s_wait_loadcnt_dscnt 0x0
	s_barrier_signal -1
	s_barrier_wait -1
	global_inv scope:SCOPE_SE
	v_dual_add_f32 v0, v32, v0 :: v_dual_add_f32 v1, v34, v1
	v_dual_add_f32 v2, v33, v2 :: v_dual_add_f32 v3, v31, v3
	;; [unrolled: 1-line block ×4, first 2 shown]
	ds_bpermute_b32 v14, v18, v0
	ds_bpermute_b32 v15, v18, v1
	v_dual_add_f32 v26, v26, v8 :: v_dual_add_f32 v25, v25, v9
	v_dual_add_f32 v24, v24, v10 :: v_dual_add_f32 v23, v23, v11
	;; [unrolled: 1-line block ×3, first 2 shown]
	ds_bpermute_b32 v16, v18, v2
	ds_bpermute_b32 v17, v18, v3
	;; [unrolled: 1-line block ×12, first 2 shown]
	s_wait_dscnt 0xc
	v_dual_add_f32 v13, v0, v14 :: v_dual_add_f32 v12, v1, v15
	v_and_b32_e32 v15, 28, v169
	v_lshrrev_b32_e32 v14, 2, v169
	s_wait_dscnt 0xa
	v_dual_add_f32 v11, v2, v16 :: v_dual_add_f32 v10, v3, v17
	s_wait_dscnt 0x9
	v_add_f32_e32 v9, v4, v19
	s_wait_dscnt 0x7
	v_dual_add_f32 v8, v5, v7 :: v_dual_add_f32 v7, v6, v28
	s_wait_dscnt 0x5
	v_dual_add_f32 v6, v27, v29 :: v_dual_add_f32 v5, v26, v30
	;; [unrolled: 2-line block ×4, first 2 shown]
	s_wait_dscnt 0x0
	v_dual_add_f32 v2, v21, v18 :: v_dual_and_b32 v17, 0x3c3, v167
	v_add_nc_u32_e32 v15, 0x100, v15
	v_mul_u32_u24_e32 v16, 0x1c0, v168
	s_delay_alu instid0(VALU_DEP_3)
	v_cmpx_eq_u32_e32 64, v17
	s_cbranch_execz .LBB362_60
; %bb.59:
	s_delay_alu instid0(VALU_DEP_2) | instskip(NEXT) | instid1(VALU_DEP_1)
	v_add_nc_u32_e32 v17, v15, v16
	v_add_nc_u32_e32 v18, 0xfffffc80, v17
	;; [unrolled: 1-line block ×9, first 2 shown]
	ds_store_b32 v18, v13
	ds_store_b32 v19, v12
	;; [unrolled: 1-line block ×8, first 2 shown]
	v_add_nc_u32_e32 v18, 0xfffffd80, v17
	v_add_nc_u32_e32 v19, 0xfffffda0, v17
	v_add_nc_u32_e32 v21, 0xfffffdc0, v17
	v_add_nc_u32_e32 v22, 0xfffffde0, v17
	v_add_nc_u32_e32 v23, 0xfffffe00, v17
	v_add_nc_u32_e32 v17, 0xfffffe20, v17
	ds_store_b32 v18, v5
	ds_store_b32 v19, v4
	;; [unrolled: 1-line block ×6, first 2 shown]
.LBB362_60:
	s_wait_alu 0xfffe
	s_or_b32 exec_lo, exec_lo, s0
	v_lshlrev_b32_e32 v14, 2, v14
	s_mov_b32 s1, exec_lo
	v_cmp_eq_u32_e32 vcc_lo, 0, v20
	s_wait_loadcnt_dscnt 0x0
	s_barrier_signal -1
	v_add3_u32 v14, 0x100, v16, v14
	s_barrier_wait -1
	global_inv scope:SCOPE_SE
	v_cmpx_gt_u32_e32 64, v167
	s_cbranch_execz .LBB362_77
; %bb.61:
	s_and_saveexec_b32 s0, vcc_lo
	s_cbranch_execnz .LBB362_99
; %bb.62:
	s_wait_alu 0xfffe
	s_or_b32 exec_lo, exec_lo, s0
	s_and_saveexec_b32 s0, vcc_lo
	s_cbranch_execnz .LBB362_100
.LBB362_63:
	s_wait_alu 0xfffe
	s_or_b32 exec_lo, exec_lo, s0
	s_and_saveexec_b32 s0, vcc_lo
	s_cbranch_execnz .LBB362_101
.LBB362_64:
	s_wait_alu 0xfffe
	s_or_b32 exec_lo, exec_lo, s0
	s_and_saveexec_b32 s0, vcc_lo
	s_cbranch_execnz .LBB362_102
.LBB362_65:
	s_wait_alu 0xfffe
	s_or_b32 exec_lo, exec_lo, s0
	s_and_saveexec_b32 s0, vcc_lo
	s_cbranch_execnz .LBB362_103
.LBB362_66:
	s_wait_alu 0xfffe
	s_or_b32 exec_lo, exec_lo, s0
	s_and_saveexec_b32 s0, vcc_lo
	s_cbranch_execnz .LBB362_104
.LBB362_67:
	s_wait_alu 0xfffe
	s_or_b32 exec_lo, exec_lo, s0
	s_and_saveexec_b32 s0, vcc_lo
	s_cbranch_execnz .LBB362_105
.LBB362_68:
	s_wait_alu 0xfffe
	s_or_b32 exec_lo, exec_lo, s0
	s_and_saveexec_b32 s0, vcc_lo
	s_cbranch_execnz .LBB362_106
.LBB362_69:
	s_wait_alu 0xfffe
	s_or_b32 exec_lo, exec_lo, s0
	s_and_saveexec_b32 s0, vcc_lo
	s_cbranch_execnz .LBB362_107
.LBB362_70:
	s_wait_alu 0xfffe
	s_or_b32 exec_lo, exec_lo, s0
	s_and_saveexec_b32 s0, vcc_lo
	s_cbranch_execnz .LBB362_108
.LBB362_71:
	s_wait_alu 0xfffe
	s_or_b32 exec_lo, exec_lo, s0
	s_and_saveexec_b32 s0, vcc_lo
	s_cbranch_execnz .LBB362_109
.LBB362_72:
	s_wait_alu 0xfffe
	s_or_b32 exec_lo, exec_lo, s0
	s_and_saveexec_b32 s0, vcc_lo
	s_cbranch_execnz .LBB362_110
.LBB362_73:
	s_wait_alu 0xfffe
	s_or_b32 exec_lo, exec_lo, s0
	s_and_saveexec_b32 s0, vcc_lo
	s_cbranch_execnz .LBB362_111
.LBB362_74:
	s_wait_alu 0xfffe
	s_or_b32 exec_lo, exec_lo, s0
	s_and_saveexec_b32 s0, vcc_lo
	s_cbranch_execz .LBB362_76
.LBB362_75:
	ds_load_b32 v16, v14 offset:416
	s_wait_dscnt 0x0
	v_add_f32_e32 v2, v2, v16
.LBB362_76:
	s_wait_alu 0xfffe
	s_or_b32 exec_lo, exec_lo, s0
.LBB362_77:
	s_wait_alu 0xfffe
	s_or_b32 exec_lo, exec_lo, s1
	v_and_b32_e32 v16, 0x3e3, v167
	s_mov_b32 s1, exec_lo
	s_wait_loadcnt 0x0
	s_barrier_signal -1
	s_barrier_wait -1
	global_inv scope:SCOPE_SE
	v_cmpx_eq_u32_e32 32, v16
	s_cbranch_execz .LBB362_79
; %bb.78:
	ds_store_2addr_b32 v15, v13, v12 offset1:8
	ds_store_2addr_b32 v15, v11, v10 offset0:16 offset1:24
	ds_store_2addr_b32 v15, v9, v8 offset0:32 offset1:40
	;; [unrolled: 1-line block ×6, first 2 shown]
.LBB362_79:
	s_wait_alu 0xfffe
	s_or_b32 exec_lo, exec_lo, s1
	s_delay_alu instid0(SALU_CYCLE_1)
	s_mov_b32 s1, exec_lo
	s_wait_loadcnt_dscnt 0x0
	s_barrier_signal -1
	s_barrier_wait -1
	global_inv scope:SCOPE_SE
	v_cmpx_gt_u32_e32 32, v167
	s_cbranch_execz .LBB362_96
; %bb.80:
	s_and_saveexec_b32 s0, vcc_lo
	s_cbranch_execnz .LBB362_112
; %bb.81:
	s_wait_alu 0xfffe
	s_or_b32 exec_lo, exec_lo, s0
	s_and_saveexec_b32 s0, vcc_lo
	s_cbranch_execnz .LBB362_113
.LBB362_82:
	s_wait_alu 0xfffe
	s_or_b32 exec_lo, exec_lo, s0
	s_and_saveexec_b32 s0, vcc_lo
	s_cbranch_execnz .LBB362_114
.LBB362_83:
	s_wait_alu 0xfffe
	s_or_b32 exec_lo, exec_lo, s0
	s_and_saveexec_b32 s0, vcc_lo
	s_cbranch_execnz .LBB362_115
.LBB362_84:
	s_wait_alu 0xfffe
	s_or_b32 exec_lo, exec_lo, s0
	s_and_saveexec_b32 s0, vcc_lo
	s_cbranch_execnz .LBB362_116
.LBB362_85:
	s_wait_alu 0xfffe
	s_or_b32 exec_lo, exec_lo, s0
	s_and_saveexec_b32 s0, vcc_lo
	s_cbranch_execnz .LBB362_117
.LBB362_86:
	s_wait_alu 0xfffe
	s_or_b32 exec_lo, exec_lo, s0
	s_and_saveexec_b32 s0, vcc_lo
	s_cbranch_execnz .LBB362_118
.LBB362_87:
	s_wait_alu 0xfffe
	s_or_b32 exec_lo, exec_lo, s0
	s_and_saveexec_b32 s0, vcc_lo
	s_cbranch_execnz .LBB362_119
.LBB362_88:
	s_wait_alu 0xfffe
	s_or_b32 exec_lo, exec_lo, s0
	s_and_saveexec_b32 s0, vcc_lo
	s_cbranch_execnz .LBB362_120
.LBB362_89:
	s_wait_alu 0xfffe
	s_or_b32 exec_lo, exec_lo, s0
	s_and_saveexec_b32 s0, vcc_lo
	s_cbranch_execnz .LBB362_121
.LBB362_90:
	s_wait_alu 0xfffe
	s_or_b32 exec_lo, exec_lo, s0
	s_and_saveexec_b32 s0, vcc_lo
	s_cbranch_execnz .LBB362_122
.LBB362_91:
	s_wait_alu 0xfffe
	s_or_b32 exec_lo, exec_lo, s0
	s_and_saveexec_b32 s0, vcc_lo
	s_cbranch_execnz .LBB362_123
.LBB362_92:
	s_wait_alu 0xfffe
	s_or_b32 exec_lo, exec_lo, s0
	s_and_saveexec_b32 s0, vcc_lo
	s_cbranch_execnz .LBB362_124
.LBB362_93:
	s_wait_alu 0xfffe
	s_or_b32 exec_lo, exec_lo, s0
	s_and_saveexec_b32 s0, vcc_lo
	s_cbranch_execz .LBB362_95
.LBB362_94:
	ds_load_b32 v14, v14 offset:416
	s_wait_dscnt 0x0
	v_add_f32_e32 v2, v2, v14
.LBB362_95:
	s_wait_alu 0xfffe
	s_or_b32 exec_lo, exec_lo, s0
.LBB362_96:
	s_wait_alu 0xfffe
	s_or_b32 exec_lo, exec_lo, s1
	s_mov_b32 s1, 0
	s_wait_loadcnt 0x0
	s_barrier_signal -1
	s_barrier_wait -1
	global_inv scope:SCOPE_SE
	s_mov_b32 s0, exec_lo
	v_cmpx_eq_u32_e32 0, v16
	s_cbranch_execz .LBB362_98
; %bb.97:
	v_bfe_u32 v14, v13, 16, 1
	v_bfe_u32 v15, v12, 16, 1
	v_or_b32_e32 v17, 0x400000, v13
	v_cmp_u_f32_e32 vcc_lo, v13, v13
	v_or_b32_e32 v18, 0x400000, v12
	v_add3_u32 v14, v14, v13, 0x7fff
	v_add3_u32 v15, v15, v12, 0x7fff
	v_bfe_u32 v19, v11, 16, 1
	s_mul_i32 s2, s14, 0x70
	s_mul_i32 s6, s12, s16
	s_wait_alu 0xfffd
	v_cndmask_b32_e32 v13, v14, v17, vcc_lo
	v_cmp_u_f32_e32 vcc_lo, v12, v12
	v_bfe_u32 v14, v10, 16, 1
	v_or_b32_e32 v17, 0x400000, v11
	s_wait_alu 0xfffe
	s_ashr_i32 s3, s2, 31
	s_ashr_i32 s7, s6, 31
	s_wait_alu 0xfffd
	v_cndmask_b32_e32 v12, v15, v18, vcc_lo
	v_add3_u32 v15, v19, v11, 0x7fff
	v_cmp_u_f32_e32 vcc_lo, v11, v11
	v_bfe_u32 v18, v9, 16, 1
	v_add3_u32 v14, v14, v10, 0x7fff
	v_or_b32_e32 v19, 0x400000, v10
	s_wait_alu 0xfffe
	s_lshl_b64 s[2:3], s[2:3], 1
	s_wait_alu 0xfffd
	v_cndmask_b32_e32 v11, v15, v17, vcc_lo
	v_cmp_u_f32_e32 vcc_lo, v10, v10
	v_add3_u32 v15, v18, v9, 0x7fff
	v_or_b32_e32 v17, 0x400000, v9
	v_bfe_u32 v18, v7, 16, 1
	s_lshl_b64 s[6:7], s[6:7], 1
	s_wait_alu 0xfffd
	v_cndmask_b32_e32 v10, v14, v19, vcc_lo
	v_bfe_u32 v14, v8, 16, 1
	v_cmp_u_f32_e32 vcc_lo, v9, v9
	v_add3_u32 v18, v18, v7, 0x7fff
	v_or_b32_e32 v19, 0x400000, v7
	s_wait_kmcnt 0x0
	s_wait_alu 0xfffe
	s_add_nc_u64 s[2:3], s[4:5], s[2:3]
	v_add3_u32 v14, v14, v8, 0x7fff
	s_wait_alu 0xfffd
	v_cndmask_b32_e32 v9, v15, v17, vcc_lo
	v_or_b32_e32 v17, 0x400000, v8
	v_cmp_u_f32_e32 vcc_lo, v8, v8
	v_bfe_u32 v15, v6, 16, 1
	v_or_b32_e32 v20, 0x400000, v6
	v_lshrrev_b32_e32 v16, 1, v167
	s_wait_alu 0xfffe
	s_add_nc_u64 s[2:3], s[2:3], s[6:7]
	s_wait_alu 0xfffd
	v_cndmask_b32_e32 v8, v14, v17, vcc_lo
	v_cmp_u_f32_e32 vcc_lo, v7, v7
	v_add3_u32 v15, v15, v6, 0x7fff
	v_bfe_u32 v14, v5, 16, 1
	s_mul_i32 s0, s26, 0xe0
	s_wait_alu 0xfffd
	v_cndmask_b32_e32 v7, v18, v19, vcc_lo
	v_cmp_u_f32_e32 vcc_lo, v6, v6
	s_wait_alu 0xfffe
	s_add_nc_u64 s[0:1], s[2:3], s[0:1]
	s_wait_alu 0xfffd
	v_cndmask_b32_e32 v6, v15, v20, vcc_lo
	v_bfe_u32 v15, v4, 16, 1
	s_clause 0x7
	global_store_d16_hi_b16 v16, v13, s[0:1]
	global_store_d16_hi_b16 v16, v12, s[0:1] offset:16
	global_store_d16_hi_b16 v16, v11, s[0:1] offset:32
	;; [unrolled: 1-line block ×7, first 2 shown]
	v_add3_u32 v6, v14, v5, 0x7fff
	v_or_b32_e32 v7, 0x400000, v5
	v_cmp_u_f32_e32 vcc_lo, v5, v5
	v_bfe_u32 v8, v3, 16, 1
	v_add3_u32 v9, v15, v4, 0x7fff
	v_or_b32_e32 v10, 0x400000, v4
	v_or_b32_e32 v11, 0x400000, v2
	s_wait_alu 0xfffd
	v_cndmask_b32_e32 v5, v6, v7, vcc_lo
	v_cmp_u_f32_e32 vcc_lo, v4, v4
	v_add3_u32 v6, v8, v3, 0x7fff
	v_or_b32_e32 v7, 0x400000, v3
	v_bfe_u32 v8, v0, 16, 1
	s_wait_alu 0xfffd
	v_cndmask_b32_e32 v4, v9, v10, vcc_lo
	v_cmp_u_f32_e32 vcc_lo, v3, v3
	v_bfe_u32 v9, v1, 16, 1
	v_or_b32_e32 v10, 0x400000, v1
	s_wait_alu 0xfffd
	v_cndmask_b32_e32 v3, v6, v7, vcc_lo
	v_add3_u32 v7, v8, v0, 0x7fff
	v_or_b32_e32 v8, 0x400000, v0
	v_cmp_u_f32_e32 vcc_lo, v0, v0
	v_bfe_u32 v6, v2, 16, 1
	v_add3_u32 v9, v9, v1, 0x7fff
	s_wait_alu 0xfffd
	v_cndmask_b32_e32 v0, v7, v8, vcc_lo
	v_cmp_u_f32_e32 vcc_lo, v1, v1
	v_add3_u32 v6, v6, v2, 0x7fff
	s_wait_alu 0xfffd
	v_cndmask_b32_e32 v1, v9, v10, vcc_lo
	v_cmp_u_f32_e32 vcc_lo, v2, v2
	s_wait_alu 0xfffd
	v_cndmask_b32_e32 v2, v6, v11, vcc_lo
	s_clause 0x5
	global_store_d16_hi_b16 v16, v5, s[0:1] offset:128
	global_store_d16_hi_b16 v16, v4, s[0:1] offset:144
	;; [unrolled: 1-line block ×6, first 2 shown]
.LBB362_98:
	s_nop 0
	s_sendmsg sendmsg(MSG_DEALLOC_VGPRS)
	s_endpgm
.LBB362_99:
	ds_load_b32 v16, v14
	s_wait_dscnt 0x0
	v_add_f32_e32 v13, v13, v16
	s_wait_alu 0xfffe
	s_or_b32 exec_lo, exec_lo, s0
	s_and_saveexec_b32 s0, vcc_lo
	s_cbranch_execz .LBB362_63
.LBB362_100:
	ds_load_b32 v16, v14 offset:32
	s_wait_dscnt 0x0
	v_add_f32_e32 v12, v12, v16
	s_wait_alu 0xfffe
	s_or_b32 exec_lo, exec_lo, s0
	s_and_saveexec_b32 s0, vcc_lo
	s_cbranch_execz .LBB362_64
.LBB362_101:
	ds_load_b32 v16, v14 offset:64
	s_wait_dscnt 0x0
	v_add_f32_e32 v11, v11, v16
	s_wait_alu 0xfffe
	s_or_b32 exec_lo, exec_lo, s0
	s_and_saveexec_b32 s0, vcc_lo
	s_cbranch_execz .LBB362_65
.LBB362_102:
	ds_load_b32 v16, v14 offset:96
	s_wait_dscnt 0x0
	v_add_f32_e32 v10, v10, v16
	s_wait_alu 0xfffe
	s_or_b32 exec_lo, exec_lo, s0
	s_and_saveexec_b32 s0, vcc_lo
	s_cbranch_execz .LBB362_66
.LBB362_103:
	ds_load_b32 v16, v14 offset:128
	s_wait_dscnt 0x0
	v_add_f32_e32 v9, v9, v16
	s_wait_alu 0xfffe
	s_or_b32 exec_lo, exec_lo, s0
	s_and_saveexec_b32 s0, vcc_lo
	s_cbranch_execz .LBB362_67
.LBB362_104:
	ds_load_b32 v16, v14 offset:160
	s_wait_dscnt 0x0
	v_add_f32_e32 v8, v8, v16
	s_wait_alu 0xfffe
	s_or_b32 exec_lo, exec_lo, s0
	s_and_saveexec_b32 s0, vcc_lo
	s_cbranch_execz .LBB362_68
.LBB362_105:
	ds_load_b32 v16, v14 offset:192
	s_wait_dscnt 0x0
	v_add_f32_e32 v7, v7, v16
	s_wait_alu 0xfffe
	s_or_b32 exec_lo, exec_lo, s0
	s_and_saveexec_b32 s0, vcc_lo
	s_cbranch_execz .LBB362_69
.LBB362_106:
	ds_load_b32 v16, v14 offset:224
	s_wait_dscnt 0x0
	v_add_f32_e32 v6, v6, v16
	s_wait_alu 0xfffe
	s_or_b32 exec_lo, exec_lo, s0
	s_and_saveexec_b32 s0, vcc_lo
	s_cbranch_execz .LBB362_70
.LBB362_107:
	ds_load_b32 v16, v14 offset:256
	s_wait_dscnt 0x0
	v_add_f32_e32 v5, v5, v16
	s_wait_alu 0xfffe
	s_or_b32 exec_lo, exec_lo, s0
	s_and_saveexec_b32 s0, vcc_lo
	s_cbranch_execz .LBB362_71
.LBB362_108:
	ds_load_b32 v16, v14 offset:288
	s_wait_dscnt 0x0
	v_add_f32_e32 v4, v4, v16
	s_wait_alu 0xfffe
	s_or_b32 exec_lo, exec_lo, s0
	s_and_saveexec_b32 s0, vcc_lo
	s_cbranch_execz .LBB362_72
.LBB362_109:
	ds_load_b32 v16, v14 offset:320
	s_wait_dscnt 0x0
	v_add_f32_e32 v3, v3, v16
	s_wait_alu 0xfffe
	s_or_b32 exec_lo, exec_lo, s0
	s_and_saveexec_b32 s0, vcc_lo
	s_cbranch_execz .LBB362_73
.LBB362_110:
	ds_load_b32 v16, v14 offset:352
	s_wait_dscnt 0x0
	v_add_f32_e32 v0, v0, v16
	s_wait_alu 0xfffe
	s_or_b32 exec_lo, exec_lo, s0
	s_and_saveexec_b32 s0, vcc_lo
	s_cbranch_execz .LBB362_74
.LBB362_111:
	ds_load_b32 v16, v14 offset:384
	s_wait_dscnt 0x0
	v_add_f32_e32 v1, v1, v16
	s_wait_alu 0xfffe
	s_or_b32 exec_lo, exec_lo, s0
	s_and_saveexec_b32 s0, vcc_lo
	s_cbranch_execnz .LBB362_75
	s_branch .LBB362_76
.LBB362_112:
	ds_load_b32 v15, v14
	s_wait_dscnt 0x0
	v_add_f32_e32 v13, v13, v15
	s_wait_alu 0xfffe
	s_or_b32 exec_lo, exec_lo, s0
	s_and_saveexec_b32 s0, vcc_lo
	s_cbranch_execz .LBB362_82
.LBB362_113:
	ds_load_b32 v15, v14 offset:32
	s_wait_dscnt 0x0
	v_add_f32_e32 v12, v12, v15
	s_wait_alu 0xfffe
	s_or_b32 exec_lo, exec_lo, s0
	s_and_saveexec_b32 s0, vcc_lo
	s_cbranch_execz .LBB362_83
.LBB362_114:
	ds_load_b32 v15, v14 offset:64
	s_wait_dscnt 0x0
	v_add_f32_e32 v11, v11, v15
	s_wait_alu 0xfffe
	s_or_b32 exec_lo, exec_lo, s0
	s_and_saveexec_b32 s0, vcc_lo
	s_cbranch_execz .LBB362_84
.LBB362_115:
	ds_load_b32 v15, v14 offset:96
	s_wait_dscnt 0x0
	v_add_f32_e32 v10, v10, v15
	s_wait_alu 0xfffe
	s_or_b32 exec_lo, exec_lo, s0
	s_and_saveexec_b32 s0, vcc_lo
	s_cbranch_execz .LBB362_85
.LBB362_116:
	ds_load_b32 v15, v14 offset:128
	s_wait_dscnt 0x0
	v_add_f32_e32 v9, v9, v15
	s_wait_alu 0xfffe
	s_or_b32 exec_lo, exec_lo, s0
	s_and_saveexec_b32 s0, vcc_lo
	s_cbranch_execz .LBB362_86
.LBB362_117:
	ds_load_b32 v15, v14 offset:160
	s_wait_dscnt 0x0
	v_add_f32_e32 v8, v8, v15
	s_wait_alu 0xfffe
	s_or_b32 exec_lo, exec_lo, s0
	s_and_saveexec_b32 s0, vcc_lo
	s_cbranch_execz .LBB362_87
.LBB362_118:
	ds_load_b32 v15, v14 offset:192
	s_wait_dscnt 0x0
	v_add_f32_e32 v7, v7, v15
	s_wait_alu 0xfffe
	s_or_b32 exec_lo, exec_lo, s0
	s_and_saveexec_b32 s0, vcc_lo
	s_cbranch_execz .LBB362_88
.LBB362_119:
	ds_load_b32 v15, v14 offset:224
	s_wait_dscnt 0x0
	v_add_f32_e32 v6, v6, v15
	s_wait_alu 0xfffe
	s_or_b32 exec_lo, exec_lo, s0
	s_and_saveexec_b32 s0, vcc_lo
	s_cbranch_execz .LBB362_89
.LBB362_120:
	ds_load_b32 v15, v14 offset:256
	s_wait_dscnt 0x0
	v_add_f32_e32 v5, v5, v15
	s_wait_alu 0xfffe
	s_or_b32 exec_lo, exec_lo, s0
	s_and_saveexec_b32 s0, vcc_lo
	s_cbranch_execz .LBB362_90
.LBB362_121:
	ds_load_b32 v15, v14 offset:288
	s_wait_dscnt 0x0
	v_add_f32_e32 v4, v4, v15
	s_wait_alu 0xfffe
	s_or_b32 exec_lo, exec_lo, s0
	s_and_saveexec_b32 s0, vcc_lo
	s_cbranch_execz .LBB362_91
.LBB362_122:
	ds_load_b32 v15, v14 offset:320
	s_wait_dscnt 0x0
	v_add_f32_e32 v3, v3, v15
	s_wait_alu 0xfffe
	s_or_b32 exec_lo, exec_lo, s0
	s_and_saveexec_b32 s0, vcc_lo
	s_cbranch_execz .LBB362_92
.LBB362_123:
	ds_load_b32 v15, v14 offset:352
	s_wait_dscnt 0x0
	v_add_f32_e32 v0, v0, v15
	s_wait_alu 0xfffe
	s_or_b32 exec_lo, exec_lo, s0
	s_and_saveexec_b32 s0, vcc_lo
	s_cbranch_execz .LBB362_93
.LBB362_124:
	ds_load_b32 v15, v14 offset:384
	s_wait_dscnt 0x0
	v_add_f32_e32 v1, v1, v15
	s_wait_alu 0xfffe
	s_or_b32 exec_lo, exec_lo, s0
	s_and_saveexec_b32 s0, vcc_lo
	s_cbranch_execnz .LBB362_94
	s_branch .LBB362_95
	.section	.rodata,"a",@progbits
	.p2align	6, 0x0
	.amdhsa_kernel _ZN4vllm25paged_attention_v2_kernelI14__hip_bfloat16hLi112ELi32ELi128ELNS_18Fp8KVCacheDataTypeE1ELb0ELi512EEEvPfS3_PT_PKS4_PKT0_SA_ifPKiSC_iPKfiiiSE_SE_iiiii
		.amdhsa_group_segment_fixed_size 256
		.amdhsa_private_segment_fixed_size 264
		.amdhsa_kernarg_size 400
		.amdhsa_user_sgpr_count 2
		.amdhsa_user_sgpr_dispatch_ptr 0
		.amdhsa_user_sgpr_queue_ptr 0
		.amdhsa_user_sgpr_kernarg_segment_ptr 1
		.amdhsa_user_sgpr_dispatch_id 0
		.amdhsa_user_sgpr_private_segment_size 0
		.amdhsa_wavefront_size32 1
		.amdhsa_uses_dynamic_stack 0
		.amdhsa_enable_private_segment 1
		.amdhsa_system_sgpr_workgroup_id_x 1
		.amdhsa_system_sgpr_workgroup_id_y 1
		.amdhsa_system_sgpr_workgroup_id_z 1
		.amdhsa_system_sgpr_workgroup_info 0
		.amdhsa_system_vgpr_workitem_id 0
		.amdhsa_next_free_vgpr 192
		.amdhsa_next_free_sgpr 38
		.amdhsa_reserve_vcc 1
		.amdhsa_float_round_mode_32 0
		.amdhsa_float_round_mode_16_64 0
		.amdhsa_float_denorm_mode_32 3
		.amdhsa_float_denorm_mode_16_64 3
		.amdhsa_fp16_overflow 0
		.amdhsa_workgroup_processor_mode 1
		.amdhsa_memory_ordered 1
		.amdhsa_forward_progress 1
		.amdhsa_inst_pref_size 255
		.amdhsa_round_robin_scheduling 0
		.amdhsa_exception_fp_ieee_invalid_op 0
		.amdhsa_exception_fp_denorm_src 0
		.amdhsa_exception_fp_ieee_div_zero 0
		.amdhsa_exception_fp_ieee_overflow 0
		.amdhsa_exception_fp_ieee_underflow 0
		.amdhsa_exception_fp_ieee_inexact 0
		.amdhsa_exception_int_div_zero 0
	.end_amdhsa_kernel
	.section	.text._ZN4vllm25paged_attention_v2_kernelI14__hip_bfloat16hLi112ELi32ELi128ELNS_18Fp8KVCacheDataTypeE1ELb0ELi512EEEvPfS3_PT_PKS4_PKT0_SA_ifPKiSC_iPKfiiiSE_SE_iiiii,"axG",@progbits,_ZN4vllm25paged_attention_v2_kernelI14__hip_bfloat16hLi112ELi32ELi128ELNS_18Fp8KVCacheDataTypeE1ELb0ELi512EEEvPfS3_PT_PKS4_PKT0_SA_ifPKiSC_iPKfiiiSE_SE_iiiii,comdat
.Lfunc_end362:
	.size	_ZN4vllm25paged_attention_v2_kernelI14__hip_bfloat16hLi112ELi32ELi128ELNS_18Fp8KVCacheDataTypeE1ELb0ELi512EEEvPfS3_PT_PKS4_PKT0_SA_ifPKiSC_iPKfiiiSE_SE_iiiii, .Lfunc_end362-_ZN4vllm25paged_attention_v2_kernelI14__hip_bfloat16hLi112ELi32ELi128ELNS_18Fp8KVCacheDataTypeE1ELb0ELi512EEEvPfS3_PT_PKS4_PKT0_SA_ifPKiSC_iPKfiiiSE_SE_iiiii
                                        ; -- End function
	.set _ZN4vllm25paged_attention_v2_kernelI14__hip_bfloat16hLi112ELi32ELi128ELNS_18Fp8KVCacheDataTypeE1ELb0ELi512EEEvPfS3_PT_PKS4_PKT0_SA_ifPKiSC_iPKfiiiSE_SE_iiiii.num_vgpr, 192
	.set _ZN4vllm25paged_attention_v2_kernelI14__hip_bfloat16hLi112ELi32ELi128ELNS_18Fp8KVCacheDataTypeE1ELb0ELi512EEEvPfS3_PT_PKS4_PKT0_SA_ifPKiSC_iPKfiiiSE_SE_iiiii.num_agpr, 0
	.set _ZN4vllm25paged_attention_v2_kernelI14__hip_bfloat16hLi112ELi32ELi128ELNS_18Fp8KVCacheDataTypeE1ELb0ELi512EEEvPfS3_PT_PKS4_PKT0_SA_ifPKiSC_iPKfiiiSE_SE_iiiii.numbered_sgpr, 38
	.set _ZN4vllm25paged_attention_v2_kernelI14__hip_bfloat16hLi112ELi32ELi128ELNS_18Fp8KVCacheDataTypeE1ELb0ELi512EEEvPfS3_PT_PKS4_PKT0_SA_ifPKiSC_iPKfiiiSE_SE_iiiii.num_named_barrier, 0
	.set _ZN4vllm25paged_attention_v2_kernelI14__hip_bfloat16hLi112ELi32ELi128ELNS_18Fp8KVCacheDataTypeE1ELb0ELi512EEEvPfS3_PT_PKS4_PKT0_SA_ifPKiSC_iPKfiiiSE_SE_iiiii.private_seg_size, 264
	.set _ZN4vllm25paged_attention_v2_kernelI14__hip_bfloat16hLi112ELi32ELi128ELNS_18Fp8KVCacheDataTypeE1ELb0ELi512EEEvPfS3_PT_PKS4_PKT0_SA_ifPKiSC_iPKfiiiSE_SE_iiiii.uses_vcc, 1
	.set _ZN4vllm25paged_attention_v2_kernelI14__hip_bfloat16hLi112ELi32ELi128ELNS_18Fp8KVCacheDataTypeE1ELb0ELi512EEEvPfS3_PT_PKS4_PKT0_SA_ifPKiSC_iPKfiiiSE_SE_iiiii.uses_flat_scratch, 1
	.set _ZN4vllm25paged_attention_v2_kernelI14__hip_bfloat16hLi112ELi32ELi128ELNS_18Fp8KVCacheDataTypeE1ELb0ELi512EEEvPfS3_PT_PKS4_PKT0_SA_ifPKiSC_iPKfiiiSE_SE_iiiii.has_dyn_sized_stack, 0
	.set _ZN4vllm25paged_attention_v2_kernelI14__hip_bfloat16hLi112ELi32ELi128ELNS_18Fp8KVCacheDataTypeE1ELb0ELi512EEEvPfS3_PT_PKS4_PKT0_SA_ifPKiSC_iPKfiiiSE_SE_iiiii.has_recursion, 0
	.set _ZN4vllm25paged_attention_v2_kernelI14__hip_bfloat16hLi112ELi32ELi128ELNS_18Fp8KVCacheDataTypeE1ELb0ELi512EEEvPfS3_PT_PKS4_PKT0_SA_ifPKiSC_iPKfiiiSE_SE_iiiii.has_indirect_call, 0
	.section	.AMDGPU.csdata,"",@progbits
; Kernel info:
; codeLenInByte = 36004
; TotalNumSgprs: 40
; NumVgprs: 192
; ScratchSize: 264
; MemoryBound: 0
; FloatMode: 240
; IeeeMode: 1
; LDSByteSize: 256 bytes/workgroup (compile time only)
; SGPRBlocks: 0
; VGPRBlocks: 23
; NumSGPRsForWavesPerEU: 40
; NumVGPRsForWavesPerEU: 192
; Occupancy: 8
; WaveLimiterHint : 1
; COMPUTE_PGM_RSRC2:SCRATCH_EN: 1
; COMPUTE_PGM_RSRC2:USER_SGPR: 2
; COMPUTE_PGM_RSRC2:TRAP_HANDLER: 0
; COMPUTE_PGM_RSRC2:TGID_X_EN: 1
; COMPUTE_PGM_RSRC2:TGID_Y_EN: 1
; COMPUTE_PGM_RSRC2:TGID_Z_EN: 1
; COMPUTE_PGM_RSRC2:TIDIG_COMP_CNT: 0
	.section	.text._ZN4vllm25paged_attention_v2_kernelI14__hip_bfloat16hLi120ELi32ELi128ELNS_18Fp8KVCacheDataTypeE1ELb0ELi512EEEvPfS3_PT_PKS4_PKT0_SA_ifPKiSC_iPKfiiiSE_SE_iiiii,"axG",@progbits,_ZN4vllm25paged_attention_v2_kernelI14__hip_bfloat16hLi120ELi32ELi128ELNS_18Fp8KVCacheDataTypeE1ELb0ELi512EEEvPfS3_PT_PKS4_PKT0_SA_ifPKiSC_iPKfiiiSE_SE_iiiii,comdat
	.protected	_ZN4vllm25paged_attention_v2_kernelI14__hip_bfloat16hLi120ELi32ELi128ELNS_18Fp8KVCacheDataTypeE1ELb0ELi512EEEvPfS3_PT_PKS4_PKT0_SA_ifPKiSC_iPKfiiiSE_SE_iiiii ; -- Begin function _ZN4vllm25paged_attention_v2_kernelI14__hip_bfloat16hLi120ELi32ELi128ELNS_18Fp8KVCacheDataTypeE1ELb0ELi512EEEvPfS3_PT_PKS4_PKT0_SA_ifPKiSC_iPKfiiiSE_SE_iiiii
	.globl	_ZN4vllm25paged_attention_v2_kernelI14__hip_bfloat16hLi120ELi32ELi128ELNS_18Fp8KVCacheDataTypeE1ELb0ELi512EEEvPfS3_PT_PKS4_PKT0_SA_ifPKiSC_iPKfiiiSE_SE_iiiii
	.p2align	8
	.type	_ZN4vllm25paged_attention_v2_kernelI14__hip_bfloat16hLi120ELi32ELi128ELNS_18Fp8KVCacheDataTypeE1ELb0ELi512EEEvPfS3_PT_PKS4_PKT0_SA_ifPKiSC_iPKfiiiSE_SE_iiiii,@function
_ZN4vllm25paged_attention_v2_kernelI14__hip_bfloat16hLi120ELi32ELi128ELNS_18Fp8KVCacheDataTypeE1ELb0ELi512EEEvPfS3_PT_PKS4_PKT0_SA_ifPKiSC_iPKfiiiSE_SE_iiiii: ; @_ZN4vllm25paged_attention_v2_kernelI14__hip_bfloat16hLi120ELi32ELi128ELNS_18Fp8KVCacheDataTypeE1ELb0ELi512EEEvPfS3_PT_PKS4_PKT0_SA_ifPKiSC_iPKfiiiSE_SE_iiiii
; %bb.0:
	s_load_b64 s[2:3], s[0:1], 0x40
	s_and_b32 s15, ttmp7, 0xffff
	s_lshr_b32 s26, ttmp7, 16
	s_lshl_b32 s4, s15, 2
	s_lshl_b32 s28, s26, 9
	s_wait_kmcnt 0x0
	s_load_b32 s27, s[2:3], s4 offset:0x0
	s_wait_kmcnt 0x0
	s_cmp_ge_i32 s28, s27
	s_cbranch_scc1 .LBB363_102
; %bb.1:
	s_clause 0x1
	s_load_b32 s29, s[0:1], 0x90
	s_load_b64 s[8:9], s[0:1], 0x30
	v_mov_b32_e32 v176, v0
	s_wait_kmcnt 0x0
	s_abs_i32 s5, s29
	s_abs_i32 s2, s8
	s_delay_alu instid0(SALU_CYCLE_1) | instskip(SKIP_1) | instid1(SALU_CYCLE_2)
	s_cvt_f32_u32 s3, s2
	s_sub_co_i32 s4, 0, s2
	v_rcp_iflag_f32_e32 v0, s3
	s_delay_alu instid0(TRANS32_DEP_1) | instskip(SKIP_2) | instid1(SALU_CYCLE_2)
	v_readfirstlane_b32 s3, v0
	s_mul_f32 s3, s3, 0x4f7ffffe
	s_wait_alu 0xfffe
	s_cvt_u32_f32 s3, s3
	s_wait_alu 0xfffe
	s_delay_alu instid0(SALU_CYCLE_2) | instskip(NEXT) | instid1(SALU_CYCLE_1)
	s_mul_i32 s4, s4, s3
	s_mul_hi_u32 s4, s3, s4
	s_delay_alu instid0(SALU_CYCLE_1)
	s_add_co_i32 s3, s3, s4
	s_xor_b32 s4, s29, s8
	s_wait_alu 0xfffe
	s_mul_hi_u32 s3, s5, s3
	s_ashr_i32 s4, s4, 31
	s_wait_alu 0xfffe
	s_mul_i32 s6, s3, s2
	s_delay_alu instid0(SALU_CYCLE_1)
	s_sub_co_i32 s5, s5, s6
	s_add_co_i32 s6, s3, 1
	s_sub_co_i32 s7, s5, s2
	s_cmp_ge_u32 s5, s2
	s_cselect_b32 s3, s6, s3
	s_cselect_b32 s5, s7, s5
	s_wait_alu 0xfffe
	s_add_co_i32 s6, s3, 1
	s_cmp_ge_u32 s5, s2
	s_cselect_b32 s2, s6, s3
	s_load_b64 s[6:7], s[0:1], 0x50
	s_xor_b32 s2, s2, s4
	s_mov_b32 s3, 0
	s_wait_alu 0xfffe
	s_sub_co_i32 s11, s2, s4
	s_mov_b32 s8, s3
	s_abs_i32 s10, s11
	s_delay_alu instid0(SALU_CYCLE_1) | instskip(SKIP_1) | instid1(SALU_CYCLE_2)
	s_cvt_f32_u32 s2, s10
	s_wait_alu 0xfffe
	v_rcp_iflag_f32_e32 v0, s2
	s_delay_alu instid0(TRANS32_DEP_1) | instskip(SKIP_2) | instid1(SALU_CYCLE_2)
	v_readfirstlane_b32 s2, v0
	s_mul_f32 s2, s2, 0x4f7ffffe
	s_wait_alu 0xfffe
	s_cvt_u32_f32 s4, s2
	s_sub_co_i32 s2, 0, s10
	s_wait_alu 0xfffe
	s_delay_alu instid0(SALU_CYCLE_1)
	s_mul_i32 s2, s2, s4
	s_wait_alu 0xfffe
	s_mul_hi_u32 s5, s4, s2
	s_abs_i32 s2, ttmp9
	s_add_co_i32 s4, s4, s5
	s_mov_b32 s5, s3
	s_wait_kmcnt 0x0
	s_cmp_eq_u64 s[6:7], 0
	s_cbranch_scc1 .LBB363_3
; %bb.2:
	s_mov_b32 s12, ttmp9
	s_ashr_i32 s13, ttmp9, 31
	s_delay_alu instid0(SALU_CYCLE_1) | instskip(NEXT) | instid1(SALU_CYCLE_1)
	s_lshl_b64 s[12:13], s[12:13], 2
	s_add_nc_u64 s[6:7], s[6:7], s[12:13]
	s_load_b32 s8, s[6:7], 0x0
.LBB363_3:
	s_load_b96 s[12:14], s[0:1], 0x58
	s_mul_u64 s[4:5], s[2:3], s[4:5]
	s_ashr_i32 s3, ttmp9, 31
	s_ashr_i32 s4, s11, 31
	s_mul_i32 s16, ttmp9, 0x78
	s_mov_b32 s6, exec_lo
	v_cmpx_gt_u32_e32 15, v176
	s_cbranch_execz .LBB363_5
; %bb.4:
	s_load_b64 s[18:19], s[0:1], 0x18
	s_wait_kmcnt 0x0
	s_mul_i32 s20, s12, s15
	s_ashr_i32 s17, s16, 31
	s_ashr_i32 s21, s20, 31
	v_lshlrev_b32_e32 v4, 4, v176
	s_lshl_b64 s[20:21], s[20:21], 1
	s_delay_alu instid0(SALU_CYCLE_1) | instskip(SKIP_1) | instid1(SALU_CYCLE_1)
	s_add_nc_u64 s[18:19], s[18:19], s[20:21]
	s_lshl_b64 s[20:21], s[16:17], 1
	s_add_nc_u64 s[18:19], s[18:19], s[20:21]
	global_load_b128 v[0:3], v4, s[18:19]
	s_wait_loadcnt 0x0
	ds_store_b128 v4, v[0:3]
.LBB363_5:
	s_or_b32 exec_lo, exec_lo, s6
	s_add_co_i32 s6, s27, 31
	s_lshl_b32 s31, s26, 4
	s_ashr_i32 s7, s6, 31
	s_wait_alu 0xfffe
	s_xor_b32 s3, s3, s4
	s_lshr_b32 s7, s7, 27
	s_add_co_i32 s4, s31, 16
	s_add_co_i32 s6, s6, s7
	s_clause 0x1
	s_load_b64 s[18:19], s[0:1], 0x38
	s_load_b32 s11, s[0:1], 0x48
	s_ashr_i32 s30, s6, 5
	s_mul_i32 s6, s5, s10
	s_min_i32 s17, s4, s30
	s_sub_co_i32 s2, s2, s6
	s_add_co_i32 s4, s5, 1
	s_wait_alu 0xfffe
	s_sub_co_i32 s6, s2, s10
	s_cmp_ge_u32 s2, s10
	v_lshrrev_b32_e32 v177, 5, v176
	s_cselect_b32 s20, s4, s5
	s_cselect_b32 s2, s6, s2
	s_wait_kmcnt 0x0
	s_clause 0x1
	s_load_b32 s12, s[0:1], 0x98
	s_load_b128 s[4:7], s[0:1], 0x68
	s_add_co_i32 s21, s20, 1
	s_cmp_ge_u32 s2, s10
	v_and_b32_e32 v178, 31, v176
	v_dual_mov_b32 v124, 0xff7fffff :: v_dual_add_nc_u32 v17, s31, v177
	s_cselect_b32 s2, s21, s20
	s_wait_dscnt 0x0
	s_wait_alu 0xfffe
	s_xor_b32 s2, s2, s3
	v_lshlrev_b32_e32 v22, 2, v178
	s_wait_alu 0xfffe
	s_sub_co_i32 s3, s2, s3
	v_cmp_gt_i32_e64 s2, s17, v17
	v_lshlrev_b32_e32 v38, 2, v17
	s_mul_i32 s20, s11, s15
	s_wait_alu 0xfffe
	s_mul_i32 s22, s3, s14
	s_ashr_i32 s21, s20, 31
	s_barrier_signal -1
	s_barrier_wait -1
	global_inv scope:SCOPE_SE
	s_and_saveexec_b32 s10, s2
	s_cbranch_execz .LBB363_9
; %bb.6:
	v_mov_b32_e32 v16, 0
	scratch_store_b32 off, v176, off offset:276 ; 4-byte Folded Spill
	s_load_b64 s[24:25], s[0:1], 0x20
	s_ashr_i32 s23, s22, 31
	s_cmp_neq_f32 s8, 0
	ds_load_b128 v[0:3], v16
	ds_load_b128 v[4:7], v16 offset:16
	ds_load_b128 v[8:11], v16 offset:32
	;; [unrolled: 1-line block ×4, first 2 shown]
	s_wait_kmcnt 0x0
	s_load_b32 s5, s[4:5], 0x0
	s_mov_b32 s14, s13
	s_cselect_b32 vcc_lo, -1, 0
	s_mov_b32 s11, 0
	v_dual_mov_b32 v135, v17 :: v_dual_mov_b32 v124, 0xff7fffff
	s_wait_dscnt 0x4
	v_lshlrev_b32_e32 v23, 16, v0
	v_and_b32_e32 v0, 0xffff0000, v0
	s_add_nc_u64 s[24:25], s[24:25], s[22:23]
	s_sub_co_i32 s23, 1, s27
	s_clause 0x1
	scratch_store_b32 off, v23, off
	scratch_store_b32 off, v0, off offset:4
	v_lshlrev_b32_e32 v0, 16, v1
	scratch_store_b32 off, v0, off offset:8 ; 4-byte Folded Spill
	v_and_b32_e32 v0, 0xffff0000, v1
	scratch_store_b32 off, v0, off offset:12 ; 4-byte Folded Spill
	v_lshlrev_b32_e32 v0, 16, v2
	scratch_store_b32 off, v0, off offset:16 ; 4-byte Folded Spill
	v_and_b32_e32 v0, 0xffff0000, v2
	scratch_store_b32 off, v0, off offset:20 ; 4-byte Folded Spill
	v_lshlrev_b32_e32 v0, 16, v3
	scratch_store_b32 off, v0, off offset:24 ; 4-byte Folded Spill
	v_and_b32_e32 v0, 0xffff0000, v3
	scratch_store_b32 off, v0, off offset:28 ; 4-byte Folded Spill
	s_wait_dscnt 0x3
	v_lshlrev_b32_e32 v0, 16, v4
	scratch_store_b32 off, v0, off offset:32 ; 4-byte Folded Spill
	v_and_b32_e32 v0, 0xffff0000, v4
	s_wait_dscnt 0x2
	v_and_b32_e32 v4, 0xffff0000, v11
	s_clause 0x1
	scratch_store_b32 off, v0, off offset:36
	scratch_store_b32 off, v4, off offset:92
	v_lshlrev_b32_e32 v0, 16, v5
	s_wait_dscnt 0x1
	v_lshlrev_b32_e32 v4, 16, v12
	s_clause 0x1
	scratch_store_b32 off, v0, off offset:40
	scratch_store_b32 off, v4, off offset:96
	v_and_b32_e32 v0, 0xffff0000, v5
	v_and_b32_e32 v4, 0xffff0000, v12
	s_wait_dscnt 0x0
	v_and_b32_e32 v12, 0xffff0000, v21
	s_clause 0x2
	scratch_store_b32 off, v0, off offset:44
	scratch_store_b32 off, v4, off offset:100
	;; [unrolled: 1-line block ×3, first 2 shown]
	v_lshlrev_b32_e32 v0, 16, v6
	v_lshlrev_b32_e32 v4, 16, v13
	s_clause 0x1
	scratch_store_b32 off, v0, off offset:48
	scratch_store_b32 off, v4, off offset:104
	v_and_b32_e32 v0, 0xffff0000, v6
	v_and_b32_e32 v4, 0xffff0000, v13
	s_clause 0x1
	scratch_store_b32 off, v0, off offset:52
	scratch_store_b32 off, v4, off offset:108
	v_lshlrev_b32_e32 v0, 16, v7
	v_lshlrev_b32_e32 v4, 16, v14
	s_clause 0x1
	scratch_store_b32 off, v0, off offset:56
	scratch_store_b32 off, v4, off offset:112
	v_and_b32_e32 v0, 0xffff0000, v7
	v_and_b32_e32 v4, 0xffff0000, v14
	s_clause 0x1
	scratch_store_b32 off, v0, off offset:60
	scratch_store_b32 off, v4, off offset:116
	v_lshlrev_b32_e32 v0, 16, v8
	v_lshlrev_b32_e32 v4, 16, v15
	scratch_store_b32 off, v0, off offset:64 ; 4-byte Folded Spill
	v_and_b32_e32 v0, 0xffff0000, v8
	v_and_b32_e32 v8, 0xffff0000, v15
	s_clause 0x1
	scratch_store_b32 off, v0, off offset:68
	scratch_store_b32 off, v8, off offset:124
	v_lshlrev_b32_e32 v0, 16, v9
	v_lshlrev_b32_e32 v8, 16, v18
	s_clause 0x1
	scratch_store_b32 off, v0, off offset:72
	scratch_store_b32 off, v8, off offset:128
	v_and_b32_e32 v0, 0xffff0000, v9
	v_and_b32_e32 v8, 0xffff0000, v18
	s_clause 0x1
	scratch_store_b32 off, v0, off offset:76
	scratch_store_b32 off, v8, off offset:132
	v_lshlrev_b32_e32 v0, 16, v10
	v_lshlrev_b32_e32 v8, 16, v19
	s_clause 0x1
	scratch_store_b32 off, v0, off offset:80
	scratch_store_b32 off, v8, off offset:136
	;; [unrolled: 10-line block ×3, first 2 shown]
	ds_load_b128 v[0:3], v16 offset:80
	v_and_b32_e32 v8, 0xffff0000, v20
	scratch_store_b32 off, v4, off offset:120 ; 4-byte Folded Spill
	ds_load_b128 v[4:7], v16 offset:96
	s_wait_dscnt 0x1
	v_lshlrev_b32_e32 v12, 16, v0
	scratch_store_b32 off, v8, off offset:148 ; 4-byte Folded Spill
	v_lshlrev_b32_e32 v8, 16, v21
	v_and_b32_e32 v0, 0xffff0000, v0
	s_clause 0x1
	scratch_store_b32 off, v8, off offset:152
	scratch_store_b32 off, v0, off offset:164
	v_lshlrev_b32_e32 v0, 16, v1
	scratch_store_b32 off, v12, off offset:160 ; 4-byte Folded Spill
	ds_load_b128 v[8:11], v16 offset:112
	ds_load_b128 v[12:15], v16 offset:128
	scratch_store_b32 off, v0, off offset:168 ; 4-byte Folded Spill
	v_and_b32_e32 v0, 0xffff0000, v1
	scratch_store_b32 off, v0, off offset:172 ; 4-byte Folded Spill
	v_lshlrev_b32_e32 v0, 16, v2
	scratch_store_b32 off, v0, off offset:176 ; 4-byte Folded Spill
	v_and_b32_e32 v0, 0xffff0000, v2
	scratch_store_b32 off, v0, off offset:180 ; 4-byte Folded Spill
	v_lshlrev_b32_e32 v0, 16, v3
	s_wait_dscnt 0x0
	v_and_b32_e32 v81, 0xffff0000, v14
	v_lshlrev_b32_e32 v82, 16, v15
	v_and_b32_e32 v83, 0xffff0000, v15
	scratch_store_b32 off, v0, off offset:184 ; 4-byte Folded Spill
	v_and_b32_e32 v0, 0xffff0000, v3
	scratch_store_b32 off, v0, off offset:188 ; 4-byte Folded Spill
	v_lshlrev_b32_e32 v0, 16, v4
	scratch_store_b32 off, v0, off offset:192 ; 4-byte Folded Spill
	v_and_b32_e32 v0, 0xffff0000, v4
	v_and_b32_e32 v4, 0xffff0000, v6
	s_clause 0x1
	scratch_store_b32 off, v0, off offset:196
	scratch_store_b32 off, v4, off offset:212
	v_lshlrev_b32_e32 v0, 16, v5
	v_lshlrev_b32_e32 v4, 16, v7
	s_clause 0x1
	scratch_store_b32 off, v0, off offset:200
	scratch_store_b32 off, v4, off offset:216
	v_and_b32_e32 v0, 0xffff0000, v5
	v_and_b32_e32 v4, 0xffff0000, v7
	s_clause 0x1
	scratch_store_b32 off, v0, off offset:204
	scratch_store_b32 off, v4, off offset:220
	v_lshlrev_b32_e32 v0, 16, v6
	v_lshlrev_b32_e32 v4, 16, v8
	s_clause 0x1
	scratch_store_b32 off, v0, off offset:208
	scratch_store_b32 off, v4, off offset:224
	v_and_b32_e32 v4, 0xffff0000, v8
	v_and_b32_e32 v8, 0xffff0000, v11
	ds_load_b128 v[0:3], v16 offset:144
	s_clause 0x1
	scratch_store_b32 off, v4, off offset:228
	scratch_store_b32 off, v8, off offset:252
	v_lshlrev_b32_e32 v4, 16, v9
	v_lshlrev_b32_e32 v8, 16, v12
	s_clause 0x1
	scratch_store_b32 off, v4, off offset:232
	scratch_store_b32 off, v8, off offset:256
	v_and_b32_e32 v4, 0xffff0000, v9
	v_and_b32_e32 v8, 0xffff0000, v12
	s_clause 0x1
	scratch_store_b32 off, v4, off offset:236
	scratch_store_b32 off, v8, off offset:260
	v_lshlrev_b32_e32 v4, 16, v10
	v_lshlrev_b32_e32 v8, 16, v13
	s_clause 0x1
	scratch_store_b32 off, v4, off offset:240
	scratch_store_b32 off, v8, off offset:264
	v_and_b32_e32 v4, 0xffff0000, v10
	v_and_b32_e32 v8, 0xffff0000, v13
	s_clause 0x1
	scratch_store_b32 off, v4, off offset:244
	scratch_store_b32 off, v8, off offset:268
	v_lshlrev_b32_e32 v4, 16, v11
	v_lshlrev_b32_e32 v8, 16, v14
	ds_load_b128 v[12:15], v16 offset:192
	s_clause 0x1
	scratch_store_b32 off, v4, off offset:248
	scratch_store_b32 off, v8, off offset:272
	ds_load_b128 v[4:7], v16 offset:160
	s_wait_dscnt 0x2
	v_lshlrev_b32_e32 v84, 16, v0
	v_and_b32_e32 v85, 0xffff0000, v0
	v_lshlrev_b32_e32 v86, 16, v1
	v_and_b32_e32 v87, 0xffff0000, v1
	;; [unrolled: 2-line block ×4, first 2 shown]
	ds_load_b128 v[0:3], v16 offset:208
	ds_load_b128 v[8:11], v16 offset:176
	s_wait_dscnt 0x3
	v_lshlrev_b32_e32 v108, 16, v12
	v_and_b32_e32 v109, 0xffff0000, v12
	v_lshlrev_b32_e32 v110, 16, v13
	v_and_b32_e32 v111, 0xffff0000, v13
	v_lshlrev_b32_e32 v112, 16, v14
	s_wait_dscnt 0x2
	v_lshlrev_b32_e32 v92, 16, v4
	v_and_b32_e32 v93, 0xffff0000, v4
	v_lshlrev_b32_e32 v94, 16, v5
	v_and_b32_e32 v95, 0xffff0000, v5
	;; [unrolled: 2-line block ×4, first 2 shown]
	ds_load_b128 v[4:7], v16 offset:224
	s_wait_dscnt 0x2
	v_lshlrev_b32_e32 v116, 16, v0
	v_and_b32_e32 v117, 0xffff0000, v0
	v_lshlrev_b32_e32 v0, 4, v178
	v_lshlrev_b32_e32 v118, 16, v1
	v_and_b32_e32 v119, 0xffff0000, v1
	v_lshlrev_b32_e32 v122, 16, v3
	v_and_b32_e32 v123, 0xffff0000, v3
	v_add_co_u32 v1, s3, s24, v0
	v_lshlrev_b32_e32 v3, 5, v177
	v_lshlrev_b32_e32 v120, 16, v2
	v_and_b32_e32 v121, 0xffff0000, v2
	s_wait_alu 0xf1ff
	v_add_co_ci_u32_e64 v2, null, s25, 0, s3
	s_lshl_b64 s[24:25], s[20:21], 2
	v_add3_u32 v133, s28, v3, v178
	s_wait_alu 0xfffe
	s_add_nc_u64 s[24:25], s[18:19], s[24:25]
	s_wait_dscnt 0x1
	v_lshlrev_b32_e32 v100, 16, v8
	s_wait_alu 0xfffe
	v_add_co_u32 v3, s3, s24, v38
	s_wait_dscnt 0x0
	v_lshlrev_b32_e32 v125, 16, v4
	v_and_b32_e32 v126, 0xffff0000, v4
	v_lshl_or_b32 v4, v177, 7, v22
	v_and_b32_e32 v101, 0xffff0000, v8
	v_lshlrev_b32_e32 v102, 16, v9
	v_and_b32_e32 v103, 0xffff0000, v9
	v_lshlrev_b32_e32 v104, 16, v10
	;; [unrolled: 2-line block ×3, first 2 shown]
	v_and_b32_e32 v107, 0xffff0000, v11
	v_and_b32_e32 v113, 0xffff0000, v14
	v_lshlrev_b32_e32 v114, 16, v15
	v_and_b32_e32 v115, 0xffff0000, v15
	v_lshlrev_b32_e32 v127, 16, v5
	;; [unrolled: 2-line block ×4, first 2 shown]
	v_and_b32_e32 v132, 0xffff0000, v7
	v_add_nc_u32_e32 v134, 0x110, v4
	s_wait_alu 0xf1ff
	v_add_co_ci_u32_e64 v4, null, s25, 0, s3
	s_clause 0x2
	scratch_store_b32 off, v177, off offset:280
	scratch_store_b32 off, v22, off offset:288
	;; [unrolled: 1-line block ×3, first 2 shown]
.LBB363_7:                              ; =>This Inner Loop Header: Depth=1
	global_load_b32 v0, v[3:4], off
	v_add_nc_u32_e32 v135, 4, v135
	s_delay_alu instid0(VALU_DEP_1)
	v_cmp_le_i32_e64 s4, s17, v135
	s_or_b32 s11, s4, s11
	s_wait_loadcnt 0x0
	v_mad_co_i64_i32 v[5:6], null, v0, s14, v[1:2]
	s_clause 0x4
	global_load_b128 v[7:10], v[5:6], off
	global_load_b128 v[18:21], v[5:6], off offset:1536
	global_load_b128 v[24:27], v[5:6], off offset:2048
	;; [unrolled: 1-line block ×4, first 2 shown]
	s_wait_loadcnt 0x4
	v_lshrrev_b32_e32 v140, 24, v7
	v_bfe_u32 v144, v8, 16, 8
	v_and_b32_e32 v151, 0xff, v7
	v_bfe_u32 v150, v7, 8, 8
	v_bfe_u32 v139, v7, 16, 8
	v_and_b32_e32 v142, 0xff, v8
	v_bfe_u32 v143, v8, 8, 8
	v_lshrrev_b32_e32 v146, 24, v8
	v_bfe_u32 v148, v9, 8, 8
	v_bfe_u32 v147, v9, 16, 8
	v_lshrrev_b32_e32 v145, 24, v9
	v_bfe_u32 v138, v10, 8, 8
	v_bfe_u32 v137, v10, 16, 8
	v_lshrrev_b32_e32 v136, 24, v10
	v_cvt_f32_fp8_e32 v140, v140
	v_and_b32_e32 v149, 0xff, v9
	v_cvt_f32_fp8_e32 v144, v144
	v_and_b32_e32 v141, 0xff, v10
	global_load_b128 v[7:10], v[5:6], off offset:512
	v_cvt_f32_fp8_e32 v139, v139
	s_wait_kmcnt 0x0
	v_mul_f32_e32 v140, s5, v140
	v_cvt_f32_fp8_e32 v143, v143
	v_cvt_f32_fp8_e32 v149, v149
	;; [unrolled: 1-line block ×3, first 2 shown]
	v_dual_mul_f32 v139, s5, v139 :: v_dual_mul_f32 v144, s5, v144
	s_delay_alu instid0(VALU_DEP_4)
	v_mul_f32_e32 v143, s5, v143
	v_cvt_f32_fp8_e32 v146, v146
	v_mul_f32_e32 v149, s5, v149
	v_cvt_f32_fp8_e32 v148, v148
	v_mul_f32_e32 v147, s5, v147
	v_cvt_f32_fp8_e32 v145, v145
	v_mul_f32_e32 v146, s5, v146
	v_cvt_f32_fp8_e32 v141, v141
	v_mul_f32_e32 v148, s5, v148
	s_wait_loadcnt 0x4
	v_dual_mul_f32 v145, s5, v145 :: v_dual_and_b32 v0, 0xff, v18
	v_cvt_f32_fp8_e32 v138, v138
	v_mul_f32_e32 v141, s5, v141
	v_and_b32_e32 v35, 0xff, v21
	v_cvt_f32_fp8_e32 v137, v137
	v_cvt_f32_fp8_e32 v136, v136
	s_wait_loadcnt 0x3
	v_dual_mul_f32 v138, s5, v138 :: v_dual_and_b32 v31, 0xff, v25
	v_bfe_u32 v13, v19, 8, 8
	s_delay_alu instid0(VALU_DEP_3)
	v_dual_mul_f32 v137, s5, v137 :: v_dual_mul_f32 v136, s5, v136
	v_bfe_u32 v14, v19, 16, 8
	v_lshrrev_b32_e32 v16, 24, v19
	v_bfe_u32 v30, v20, 8, 8
	v_bfe_u32 v32, v20, 16, 8
	v_lshrrev_b32_e32 v34, 24, v20
	v_bfe_u32 v37, v21, 8, 8
	;; [unrolled: 3-line block ×3, first 2 shown]
	v_bfe_u32 v36, v24, 16, 8
	v_lshrrev_b32_e32 v33, 24, v24
	v_lshrrev_b32_e32 v21, 24, v25
	v_bfe_u32 v23, v26, 8, 8
	s_wait_loadcnt 0x1
	v_bfe_u32 v68, v58, 8, 8
	v_bfe_u32 v65, v58, 16, 8
	v_lshrrev_b32_e32 v63, 24, v58
	v_cvt_f32_fp8_e32 v0, v0
	v_cvt_f32_fp8_e32 v21, v21
	;; [unrolled: 1-line block ×3, first 2 shown]
	v_bfe_u32 v29, v27, 16, 8
	v_bfe_u32 v64, v50, 8, 8
	s_delay_alu instid0(VALU_DEP_4) | instskip(NEXT) | instid1(VALU_DEP_4)
	v_dual_mul_f32 v0, s5, v0 :: v_dual_mul_f32 v21, s5, v21
	v_mul_f32_e32 v23, s5, v23
	s_delay_alu instid0(VALU_DEP_4)
	v_cvt_f32_fp8_e32 v29, v29
	v_bfe_u32 v66, v50, 16, 8
	v_lshrrev_b32_e32 v67, 24, v50
	v_bfe_u32 v28, v27, 8, 8
	v_bfe_u32 v43, v48, 8, 8
	v_mul_f32_e32 v29, s5, v29
	v_bfe_u32 v44, v48, 16, 8
	v_lshrrev_b32_e32 v45, 24, v48
	v_cvt_f32_fp8_e32 v28, v28
	v_bfe_u32 v47, v49, 8, 8
	v_bfe_u32 v70, v51, 8, 8
	;; [unrolled: 1-line block ×3, first 2 shown]
	v_lshrrev_b32_e32 v73, 24, v51
	v_mul_f32_e32 v28, s5, v28
	v_lshrrev_b32_e32 v53, 24, v59
	v_bfe_u32 v55, v60, 8, 8
	v_lshrrev_b32_e32 v57, 24, v60
	v_bfe_u32 v52, v59, 16, 8
	v_bfe_u32 v56, v60, 16, 8
	v_cvt_f32_fp8_e32 v53, v53
	v_cvt_f32_fp8_e32 v55, v55
	;; [unrolled: 1-line block ×5, first 2 shown]
	v_mul_f32_e32 v53, s5, v53
	v_mul_f32_e32 v55, s5, v55
	s_delay_alu instid0(VALU_DEP_4) | instskip(NEXT) | instid1(VALU_DEP_4)
	v_dual_mul_f32 v57, s5, v57 :: v_dual_mul_f32 v52, s5, v52
	v_mul_f32_e32 v56, s5, v56
	s_wait_loadcnt 0x0
	v_and_b32_e32 v152, 0xff, v7
	v_bfe_u32 v153, v7, 8, 8
	v_bfe_u32 v154, v7, 16, 8
	v_lshrrev_b32_e32 v155, 24, v7
	v_and_b32_e32 v156, 0xff, v8
	v_bfe_u32 v157, v8, 8, 8
	v_bfe_u32 v158, v8, 16, 8
	v_lshrrev_b32_e32 v159, 24, v8
	;; [unrolled: 4-line block ×4, first 2 shown]
	s_clause 0x1
	global_load_b128 v[9:12], v[5:6], off offset:1024
	global_load_b64 v[5:6], v[5:6], off offset:3584
	v_cvt_f32_fp8_e32 v7, v7
	s_delay_alu instid0(VALU_DEP_1)
	v_mul_f32_e32 v7, s5, v7
	s_wait_loadcnt 0x1
	v_and_b32_e32 v177, 0xff, v11
	s_wait_loadcnt 0x0
	v_and_b32_e32 v74, 0xff, v5
	v_bfe_u32 v75, v5, 8, 8
	v_bfe_u32 v76, v5, 16, 8
	v_lshrrev_b32_e32 v77, 24, v5
	v_cvt_f32_fp8_e32 v5, v151
	v_and_b32_e32 v78, 0xff, v6
	v_bfe_u32 v79, v6, 8, 8
	v_bfe_u32 v80, v6, 16, 8
	v_lshrrev_b32_e32 v182, 24, v6
	v_mul_f32_e32 v5, s5, v5
	v_cvt_f32_fp8_e32 v142, v142
	v_and_b32_e32 v15, 0xff, v9
	v_and_b32_e32 v171, 0xff, v10
	;; [unrolled: 1-line block ×3, first 2 shown]
	v_bfe_u32 v6, v5, 16, 1
	v_cmp_u_f32_e64 s3, v5, v5
	v_mul_f32_e32 v142, s5, v142
	v_bfe_u32 v175, v12, 8, 8
	v_bfe_u32 v172, v12, 16, 8
	v_add3_u32 v6, v6, v5, 0x7fff
	v_or_b32_e32 v5, 0x400000, v5
	v_lshrrev_b32_e32 v170, 24, v12
	v_and_b32_e32 v12, 0xff, v19
	v_bfe_u32 v167, v9, 8, 8
	v_bfe_u32 v168, v9, 16, 8
	s_wait_alu 0xf1ff
	v_cndmask_b32_e64 v5, v6, v5, s3
	v_cvt_f32_fp8_e32 v6, v150
	v_lshrrev_b32_e32 v169, 24, v9
	v_bfe_u32 v173, v10, 8, 8
	v_bfe_u32 v174, v10, 16, 8
	v_lshrrev_b32_e32 v176, 24, v10
	v_mul_f32_e32 v6, s5, v6
	v_bfe_u32 v179, v11, 8, 8
	v_bfe_u32 v181, v11, 16, 8
	v_lshrrev_b32_e32 v180, 24, v11
	v_bfe_u32 v9, v18, 8, 8
	v_bfe_u32 v150, v6, 16, 1
	v_cmp_u_f32_e64 s3, v6, v6
	v_bfe_u32 v10, v18, 16, 8
	v_lshrrev_b32_e32 v11, 24, v18
	v_bfe_u32 v19, v25, 8, 8
	v_add3_u32 v150, v150, v6, 0x7fff
	v_or_b32_e32 v6, 0x400000, v6
	s_delay_alu instid0(VALU_DEP_3) | instskip(SKIP_1) | instid1(VALU_DEP_2)
	v_cvt_f32_fp8_e32 v19, v19
	s_wait_alu 0xf1ff
	v_cndmask_b32_e64 v6, v150, v6, s3
	v_bfe_u32 v150, v139, 16, 1
	v_cmp_u_f32_e64 s3, v139, v139
	v_mul_f32_e32 v19, s5, v19
	s_delay_alu instid0(VALU_DEP_3) | instskip(SKIP_2) | instid1(VALU_DEP_1)
	v_add3_u32 v150, v150, v139, 0x7fff
	v_or_b32_e32 v139, 0x400000, v139
	s_wait_alu 0xf1ff
	v_cndmask_b32_e64 v139, v150, v139, s3
	v_bfe_u32 v150, v140, 16, 1
	v_cmp_u_f32_e64 s3, v140, v140
	s_delay_alu instid0(VALU_DEP_2) | instskip(SKIP_2) | instid1(VALU_DEP_1)
	v_add3_u32 v150, v150, v140, 0x7fff
	v_or_b32_e32 v140, 0x400000, v140
	s_wait_alu 0xf1ff
	v_cndmask_b32_e64 v140, v150, v140, s3
	v_bfe_u32 v150, v142, 16, 1
	v_cmp_u_f32_e64 s3, v142, v142
	s_delay_alu instid0(VALU_DEP_2) | instskip(SKIP_2) | instid1(VALU_DEP_1)
	;; [unrolled: 7-line block ×13, first 2 shown]
	v_add3_u32 v150, v150, v136, 0x7fff
	v_or_b32_e32 v136, 0x400000, v136
	s_wait_alu 0xf1ff
	v_cndmask_b32_e64 v136, v150, v136, s3
	v_cvt_f32_fp8_e32 v150, v152
	v_and_b32_e32 v41, 0xff, v24
	v_bfe_u32 v24, v26, 16, 8
	s_delay_alu instid0(VALU_DEP_3) | instskip(NEXT) | instid1(VALU_DEP_2)
	v_mul_f32_e32 v150, s5, v150
	v_cvt_f32_fp8_e32 v24, v24
	s_delay_alu instid0(VALU_DEP_2) | instskip(SKIP_1) | instid1(VALU_DEP_3)
	v_bfe_u32 v151, v150, 16, 1
	v_cmp_u_f32_e64 s3, v150, v150
	v_mul_f32_e32 v24, s5, v24
	s_delay_alu instid0(VALU_DEP_3) | instskip(SKIP_2) | instid1(VALU_DEP_1)
	v_add3_u32 v151, v151, v150, 0x7fff
	v_or_b32_e32 v150, 0x400000, v150
	s_wait_alu 0xf1ff
	v_cndmask_b32_e64 v150, v151, v150, s3
	v_cvt_f32_fp8_e32 v151, v153
	v_and_b32_e32 v18, 0xff, v20
	v_bfe_u32 v20, v25, 16, 8
	v_lshrrev_b32_e32 v25, 24, v26
	s_delay_alu instid0(VALU_DEP_4) | instskip(NEXT) | instid1(VALU_DEP_3)
	v_mul_f32_e32 v151, s5, v151
	v_cvt_f32_fp8_e32 v20, v20
	s_delay_alu instid0(VALU_DEP_3) | instskip(NEXT) | instid1(VALU_DEP_3)
	v_cvt_f32_fp8_e32 v25, v25
	v_bfe_u32 v152, v151, 16, 1
	v_cmp_u_f32_e64 s3, v151, v151
	s_delay_alu instid0(VALU_DEP_3) | instskip(NEXT) | instid1(VALU_DEP_3)
	v_dual_mul_f32 v20, s5, v20 :: v_dual_mul_f32 v25, s5, v25
	v_add3_u32 v152, v152, v151, 0x7fff
	v_or_b32_e32 v151, 0x400000, v151
	s_wait_alu 0xf1ff
	s_delay_alu instid0(VALU_DEP_1) | instskip(SKIP_3) | instid1(VALU_DEP_3)
	v_cndmask_b32_e64 v151, v152, v151, s3
	v_cvt_f32_fp8_e32 v152, v154
	v_and_b32_e32 v69, 0xff, v51
	v_bfe_u32 v51, v59, 8, 8
	v_mul_f32_e32 v152, s5, v152
	s_delay_alu instid0(VALU_DEP_2) | instskip(NEXT) | instid1(VALU_DEP_2)
	v_cvt_f32_fp8_e32 v51, v51
	v_bfe_u32 v153, v152, 16, 1
	v_cmp_u_f32_e64 s3, v152, v152
	s_delay_alu instid0(VALU_DEP_3) | instskip(NEXT) | instid1(VALU_DEP_3)
	v_mul_f32_e32 v51, s5, v51
	v_add3_u32 v153, v153, v152, 0x7fff
	v_or_b32_e32 v152, 0x400000, v152
	s_wait_alu 0xf1ff
	s_delay_alu instid0(VALU_DEP_1) | instskip(SKIP_1) | instid1(VALU_DEP_1)
	v_cndmask_b32_e64 v152, v153, v152, s3
	v_cvt_f32_fp8_e32 v153, v155
	v_dual_mul_f32 v153, s5, v153 :: v_dual_and_b32 v22, 0xff, v26
	s_delay_alu instid0(VALU_DEP_1) | instskip(NEXT) | instid1(VALU_DEP_2)
	v_cvt_f32_fp8_e32 v22, v22
	v_bfe_u32 v154, v153, 16, 1
	v_cmp_u_f32_e64 s3, v153, v153
	s_delay_alu instid0(VALU_DEP_3) | instskip(NEXT) | instid1(VALU_DEP_3)
	v_mul_f32_e32 v22, s5, v22
	v_add3_u32 v154, v154, v153, 0x7fff
	v_or_b32_e32 v153, 0x400000, v153
	s_wait_alu 0xf1ff
	s_delay_alu instid0(VALU_DEP_1) | instskip(SKIP_1) | instid1(VALU_DEP_1)
	v_cndmask_b32_e64 v153, v154, v153, s3
	v_cvt_f32_fp8_e32 v154, v156
	v_mul_f32_e32 v154, s5, v154
	s_delay_alu instid0(VALU_DEP_1) | instskip(SKIP_1) | instid1(VALU_DEP_2)
	v_bfe_u32 v155, v154, 16, 1
	v_cmp_u_f32_e64 s3, v154, v154
	v_add3_u32 v155, v155, v154, 0x7fff
	v_or_b32_e32 v154, 0x400000, v154
	s_wait_alu 0xf1ff
	s_delay_alu instid0(VALU_DEP_1) | instskip(SKIP_3) | instid1(VALU_DEP_3)
	v_cndmask_b32_e64 v154, v155, v154, s3
	v_cvt_f32_fp8_e32 v155, v157
	v_and_b32_e32 v42, 0xff, v48
	v_bfe_u32 v48, v49, 16, 8
	v_mul_f32_e32 v155, s5, v155
	s_delay_alu instid0(VALU_DEP_1) | instskip(SKIP_1) | instid1(VALU_DEP_2)
	v_bfe_u32 v156, v155, 16, 1
	v_cmp_u_f32_e64 s3, v155, v155
	v_add3_u32 v156, v156, v155, 0x7fff
	v_or_b32_e32 v155, 0x400000, v155
	s_wait_alu 0xf1ff
	s_delay_alu instid0(VALU_DEP_1) | instskip(SKIP_3) | instid1(VALU_DEP_3)
	v_cndmask_b32_e64 v155, v156, v155, s3
	v_cvt_f32_fp8_e32 v156, v158
	v_and_b32_e32 v71, 0xff, v58
	v_and_b32_e32 v58, 0xff, v61
	v_mul_f32_e32 v156, s5, v156
	s_delay_alu instid0(VALU_DEP_2) | instskip(NEXT) | instid1(VALU_DEP_2)
	v_cvt_f32_fp8_e32 v58, v58
	v_bfe_u32 v157, v156, 16, 1
	v_cmp_u_f32_e64 s3, v156, v156
	s_delay_alu instid0(VALU_DEP_3) | instskip(NEXT) | instid1(VALU_DEP_3)
	v_mul_f32_e32 v58, s5, v58
	v_add3_u32 v157, v157, v156, 0x7fff
	v_or_b32_e32 v156, 0x400000, v156
	s_wait_alu 0xf1ff
	s_delay_alu instid0(VALU_DEP_1) | instskip(SKIP_3) | instid1(VALU_DEP_3)
	v_cndmask_b32_e64 v156, v157, v156, s3
	v_cvt_f32_fp8_e32 v157, v159
	v_and_b32_e32 v26, 0xff, v27
	v_lshrrev_b32_e32 v27, 24, v27
	v_mul_f32_e32 v157, s5, v157
	s_delay_alu instid0(VALU_DEP_3) | instskip(NEXT) | instid1(VALU_DEP_3)
	v_cvt_f32_fp8_e32 v26, v26
	v_cvt_f32_fp8_e32 v27, v27
	s_delay_alu instid0(VALU_DEP_3) | instskip(SKIP_1) | instid1(VALU_DEP_3)
	v_bfe_u32 v158, v157, 16, 1
	v_cmp_u_f32_e64 s3, v157, v157
	v_dual_mul_f32 v27, s5, v27 :: v_dual_mul_f32 v26, s5, v26
	s_delay_alu instid0(VALU_DEP_3) | instskip(SKIP_2) | instid1(VALU_DEP_1)
	v_add3_u32 v158, v158, v157, 0x7fff
	v_or_b32_e32 v157, 0x400000, v157
	s_wait_alu 0xf1ff
	v_cndmask_b32_e64 v157, v158, v157, s3
	v_cvt_f32_fp8_e32 v158, v160
	s_delay_alu instid0(VALU_DEP_1) | instskip(NEXT) | instid1(VALU_DEP_1)
	v_mul_f32_e32 v158, s5, v158
	v_bfe_u32 v159, v158, 16, 1
	v_cmp_u_f32_e64 s3, v158, v158
	s_delay_alu instid0(VALU_DEP_2) | instskip(SKIP_2) | instid1(VALU_DEP_1)
	v_add3_u32 v159, v159, v158, 0x7fff
	v_or_b32_e32 v158, 0x400000, v158
	s_wait_alu 0xf1ff
	v_cndmask_b32_e64 v158, v159, v158, s3
	v_cvt_f32_fp8_e32 v159, v161
	v_and_b32_e32 v46, 0xff, v49
	v_lshrrev_b32_e32 v49, 24, v49
	s_delay_alu instid0(VALU_DEP_3) | instskip(NEXT) | instid1(VALU_DEP_1)
	v_mul_f32_e32 v159, s5, v159
	v_bfe_u32 v160, v159, 16, 1
	v_cmp_u_f32_e64 s3, v159, v159
	s_delay_alu instid0(VALU_DEP_2) | instskip(SKIP_2) | instid1(VALU_DEP_1)
	v_add3_u32 v160, v160, v159, 0x7fff
	v_or_b32_e32 v159, 0x400000, v159
	s_wait_alu 0xf1ff
	v_cndmask_b32_e64 v159, v160, v159, s3
	v_cvt_f32_fp8_e32 v160, v162
	s_delay_alu instid0(VALU_DEP_1) | instskip(NEXT) | instid1(VALU_DEP_1)
	v_mul_f32_e32 v160, s5, v160
	v_bfe_u32 v161, v160, 16, 1
	v_cmp_u_f32_e64 s3, v160, v160
	s_delay_alu instid0(VALU_DEP_2) | instskip(SKIP_2) | instid1(VALU_DEP_1)
	v_add3_u32 v161, v161, v160, 0x7fff
	v_or_b32_e32 v160, 0x400000, v160
	s_wait_alu 0xf1ff
	v_cndmask_b32_e64 v160, v161, v160, s3
	v_cvt_f32_fp8_e32 v161, v163
	s_delay_alu instid0(VALU_DEP_1) | instskip(NEXT) | instid1(VALU_DEP_1)
	v_dual_mul_f32 v161, s5, v161 :: v_dual_and_b32 v62, 0xff, v50
	v_bfe_u32 v162, v161, 16, 1
	v_cmp_u_f32_e64 s3, v161, v161
	s_delay_alu instid0(VALU_DEP_2) | instskip(SKIP_2) | instid1(VALU_DEP_1)
	v_add3_u32 v162, v162, v161, 0x7fff
	v_or_b32_e32 v161, 0x400000, v161
	s_wait_alu 0xf1ff
	v_cndmask_b32_e64 v161, v162, v161, s3
	v_cvt_f32_fp8_e32 v162, v164
	s_delay_alu instid0(VALU_DEP_1) | instskip(NEXT) | instid1(VALU_DEP_1)
	v_mul_f32_e32 v162, s5, v162
	v_bfe_u32 v163, v162, 16, 1
	v_cmp_u_f32_e64 s3, v162, v162
	s_delay_alu instid0(VALU_DEP_2) | instskip(SKIP_2) | instid1(VALU_DEP_1)
	v_add3_u32 v163, v163, v162, 0x7fff
	v_or_b32_e32 v162, 0x400000, v162
	s_wait_alu 0xf1ff
	v_cndmask_b32_e64 v162, v163, v162, s3
	v_cvt_f32_fp8_e32 v163, v165
	v_and_b32_e32 v54, 0xff, v60
	v_bfe_u32 v60, v61, 16, 8
	s_delay_alu instid0(VALU_DEP_3) | instskip(NEXT) | instid1(VALU_DEP_3)
	v_mul_f32_e32 v163, s5, v163
	v_cvt_f32_fp8_e32 v54, v54
	s_delay_alu instid0(VALU_DEP_3) | instskip(NEXT) | instid1(VALU_DEP_3)
	v_cvt_f32_fp8_e32 v60, v60
	v_bfe_u32 v164, v163, 16, 1
	v_cmp_u_f32_e64 s3, v163, v163
	s_delay_alu instid0(VALU_DEP_4) | instskip(NEXT) | instid1(VALU_DEP_3)
	v_mul_f32_e32 v54, s5, v54
	v_add3_u32 v164, v164, v163, 0x7fff
	v_or_b32_e32 v163, 0x400000, v163
	s_wait_alu 0xf1ff
	s_delay_alu instid0(VALU_DEP_1) | instskip(SKIP_2) | instid1(VALU_DEP_2)
	v_cndmask_b32_e64 v163, v164, v163, s3
	v_bfe_u32 v164, v7, 16, 1
	v_cmp_u_f32_e64 s3, v7, v7
	v_add3_u32 v164, v164, v7, 0x7fff
	v_or_b32_e32 v7, 0x400000, v7
	s_wait_alu 0xf1ff
	s_delay_alu instid0(VALU_DEP_1) | instskip(SKIP_1) | instid1(VALU_DEP_1)
	v_cndmask_b32_e64 v164, v164, v7, s3
	v_cvt_f32_fp8_e32 v7, v8
	v_mul_f32_e32 v7, s5, v7
	s_delay_alu instid0(VALU_DEP_1) | instskip(SKIP_1) | instid1(VALU_DEP_2)
	v_bfe_u32 v8, v7, 16, 1
	v_cmp_u_f32_e64 s3, v7, v7
	v_add3_u32 v8, v8, v7, 0x7fff
	v_or_b32_e32 v7, 0x400000, v7
	s_wait_alu 0xf1ff
	s_delay_alu instid0(VALU_DEP_1) | instskip(SKIP_1) | instid1(VALU_DEP_1)
	v_cndmask_b32_e64 v165, v8, v7, s3
	v_cvt_f32_fp8_e32 v7, v15
	v_mul_f32_e32 v7, s5, v7
	s_delay_alu instid0(VALU_DEP_1) | instskip(SKIP_1) | instid1(VALU_DEP_2)
	;; [unrolled: 10-line block ×17, first 2 shown]
	v_bfe_u32 v8, v7, 16, 1
	v_cmp_u_f32_e64 s3, v7, v7
	v_add3_u32 v8, v8, v7, 0x7fff
	v_or_b32_e32 v7, 0x400000, v7
	s_wait_alu 0xf1ff
	s_delay_alu instid0(VALU_DEP_1) | instskip(SKIP_2) | instid1(VALU_DEP_2)
	v_cndmask_b32_e64 v170, v8, v7, s3
	v_bfe_u32 v7, v0, 16, 1
	v_cmp_u_f32_e64 s3, v0, v0
	v_add3_u32 v7, v7, v0, 0x7fff
	v_or_b32_e32 v0, 0x400000, v0
	s_wait_alu 0xf1ff
	s_delay_alu instid0(VALU_DEP_1) | instskip(SKIP_1) | instid1(VALU_DEP_1)
	v_cndmask_b32_e64 v183, v7, v0, s3
	v_cvt_f32_fp8_e32 v0, v9
	v_mul_f32_e32 v0, s5, v0
	s_delay_alu instid0(VALU_DEP_1) | instskip(SKIP_1) | instid1(VALU_DEP_2)
	v_bfe_u32 v7, v0, 16, 1
	v_cmp_u_f32_e64 s3, v0, v0
	v_add3_u32 v7, v7, v0, 0x7fff
	v_or_b32_e32 v0, 0x400000, v0
	s_wait_alu 0xf1ff
	s_delay_alu instid0(VALU_DEP_1) | instskip(SKIP_1) | instid1(VALU_DEP_1)
	v_cndmask_b32_e64 v184, v7, v0, s3
	v_cvt_f32_fp8_e32 v0, v10
	v_mul_f32_e32 v0, s5, v0
	s_delay_alu instid0(VALU_DEP_1) | instskip(SKIP_1) | instid1(VALU_DEP_2)
	;; [unrolled: 10-line block ×9, first 2 shown]
	v_bfe_u32 v7, v0, 16, 1
	v_cmp_u_f32_e64 s3, v0, v0
	v_add3_u32 v7, v7, v0, 0x7fff
	v_or_b32_e32 v0, 0x400000, v0
	s_wait_alu 0xf1ff
	s_delay_alu instid0(VALU_DEP_1) | instskip(SKIP_1) | instid1(VALU_DEP_1)
	v_cndmask_b32_e64 v7, v7, v0, s3
	v_cvt_f32_fp8_e32 v0, v32
	v_dual_mul_f32 v0, s5, v0 :: v_dual_and_b32 v7, 0xffff0000, v7
	s_delay_alu instid0(VALU_DEP_1) | instskip(SKIP_1) | instid1(VALU_DEP_2)
	v_bfe_u32 v8, v0, 16, 1
	v_cmp_u_f32_e64 s3, v0, v0
	v_add3_u32 v8, v8, v0, 0x7fff
	v_or_b32_e32 v0, 0x400000, v0
	s_wait_alu 0xf1ff
	s_delay_alu instid0(VALU_DEP_1) | instskip(SKIP_1) | instid1(VALU_DEP_1)
	v_cndmask_b32_e64 v8, v8, v0, s3
	v_cvt_f32_fp8_e32 v0, v34
	v_mul_f32_e32 v0, s5, v0
	s_delay_alu instid0(VALU_DEP_1) | instskip(SKIP_1) | instid1(VALU_DEP_2)
	v_bfe_u32 v9, v0, 16, 1
	v_cmp_u_f32_e64 s3, v0, v0
	v_add3_u32 v9, v9, v0, 0x7fff
	v_or_b32_e32 v0, 0x400000, v0
	s_wait_alu 0xf1ff
	s_delay_alu instid0(VALU_DEP_1) | instskip(SKIP_1) | instid1(VALU_DEP_1)
	v_cndmask_b32_e64 v15, v9, v0, s3
	v_cvt_f32_fp8_e32 v0, v35
	v_mul_f32_e32 v0, s5, v0
	;; [unrolled: 10-line block ×4, first 2 shown]
	s_delay_alu instid0(VALU_DEP_1) | instskip(SKIP_1) | instid1(VALU_DEP_2)
	v_bfe_u32 v10, v0, 16, 1
	v_cmp_u_f32_e64 s3, v0, v0
	v_add3_u32 v10, v10, v0, 0x7fff
	v_or_b32_e32 v0, 0x400000, v0
	s_wait_alu 0xf1ff
	s_delay_alu instid0(VALU_DEP_1) | instskip(SKIP_1) | instid1(VALU_DEP_2)
	v_cndmask_b32_e64 v0, v10, v0, s3
	v_cvt_f32_fp8_e32 v10, v40
	v_and_b32_e32 v0, 0xffff0000, v0
	s_delay_alu instid0(VALU_DEP_2) | instskip(NEXT) | instid1(VALU_DEP_1)
	v_mul_f32_e32 v10, s5, v10
	v_bfe_u32 v11, v10, 16, 1
	v_cmp_u_f32_e64 s3, v10, v10
	s_delay_alu instid0(VALU_DEP_2) | instskip(SKIP_2) | instid1(VALU_DEP_1)
	v_add3_u32 v11, v11, v10, 0x7fff
	v_or_b32_e32 v10, 0x400000, v10
	s_wait_alu 0xf1ff
	v_cndmask_b32_e64 v10, v11, v10, s3
	v_cvt_f32_fp8_e32 v11, v41
	s_delay_alu instid0(VALU_DEP_1) | instskip(NEXT) | instid1(VALU_DEP_1)
	v_mul_f32_e32 v11, s5, v11
	v_bfe_u32 v12, v11, 16, 1
	v_cmp_u_f32_e64 s3, v11, v11
	s_delay_alu instid0(VALU_DEP_2) | instskip(SKIP_2) | instid1(VALU_DEP_1)
	v_add3_u32 v12, v12, v11, 0x7fff
	v_or_b32_e32 v11, 0x400000, v11
	s_wait_alu 0xf1ff
	v_cndmask_b32_e64 v11, v12, v11, s3
	v_cvt_f32_fp8_e32 v12, v39
	s_delay_alu instid0(VALU_DEP_1) | instskip(NEXT) | instid1(VALU_DEP_1)
	v_mul_f32_e32 v12, s5, v12
	v_bfe_u32 v13, v12, 16, 1
	v_cmp_u_f32_e64 s3, v12, v12
	s_delay_alu instid0(VALU_DEP_2) | instskip(SKIP_2) | instid1(VALU_DEP_1)
	v_add3_u32 v13, v13, v12, 0x7fff
	v_or_b32_e32 v12, 0x400000, v12
	s_wait_alu 0xf1ff
	v_cndmask_b32_e64 v12, v13, v12, s3
	v_cvt_f32_fp8_e32 v13, v36
	v_and_b32_e32 v50, 0xff, v59
	v_bfe_u32 v59, v61, 8, 8
	v_lshrrev_b32_e32 v61, 24, v61
	s_delay_alu instid0(VALU_DEP_4) | instskip(NEXT) | instid1(VALU_DEP_4)
	v_mul_f32_e32 v13, s5, v13
	v_cvt_f32_fp8_e32 v50, v50
	s_delay_alu instid0(VALU_DEP_4) | instskip(NEXT) | instid1(VALU_DEP_4)
	v_cvt_f32_fp8_e32 v59, v59
	v_cvt_f32_fp8_e32 v61, v61
	s_delay_alu instid0(VALU_DEP_4) | instskip(SKIP_1) | instid1(VALU_DEP_4)
	v_bfe_u32 v14, v13, 16, 1
	v_cmp_u_f32_e64 s3, v13, v13
	v_mul_f32_e32 v59, s5, v59
	s_delay_alu instid0(VALU_DEP_4) | instskip(NEXT) | instid1(VALU_DEP_4)
	v_dual_mul_f32 v61, s5, v61 :: v_dual_mul_f32 v50, s5, v50
	v_add3_u32 v14, v14, v13, 0x7fff
	v_or_b32_e32 v13, 0x400000, v13
	s_wait_alu 0xf1ff
	s_delay_alu instid0(VALU_DEP_1) | instskip(SKIP_1) | instid1(VALU_DEP_1)
	v_cndmask_b32_e64 v13, v14, v13, s3
	v_cvt_f32_fp8_e32 v14, v33
	v_mul_f32_e32 v14, s5, v14
	s_delay_alu instid0(VALU_DEP_1) | instskip(SKIP_1) | instid1(VALU_DEP_2)
	v_bfe_u32 v18, v14, 16, 1
	v_cmp_u_f32_e64 s3, v14, v14
	v_add3_u32 v18, v18, v14, 0x7fff
	v_or_b32_e32 v14, 0x400000, v14
	s_wait_alu 0xf1ff
	s_delay_alu instid0(VALU_DEP_1) | instskip(SKIP_1) | instid1(VALU_DEP_1)
	v_cndmask_b32_e64 v14, v18, v14, s3
	v_cvt_f32_fp8_e32 v18, v31
	v_mul_f32_e32 v18, s5, v18
	s_delay_alu instid0(VALU_DEP_1) | instskip(SKIP_1) | instid1(VALU_DEP_2)
	v_bfe_u32 v30, v18, 16, 1
	v_cmp_u_f32_e64 s3, v18, v18
	v_add3_u32 v30, v30, v18, 0x7fff
	v_or_b32_e32 v18, 0x400000, v18
	s_wait_alu 0xf1ff
	s_delay_alu instid0(VALU_DEP_1) | instskip(SKIP_2) | instid1(VALU_DEP_2)
	v_cndmask_b32_e64 v18, v30, v18, s3
	v_bfe_u32 v30, v19, 16, 1
	v_cmp_u_f32_e64 s3, v19, v19
	v_add3_u32 v30, v30, v19, 0x7fff
	v_or_b32_e32 v19, 0x400000, v19
	s_wait_alu 0xf1ff
	s_delay_alu instid0(VALU_DEP_1) | instskip(SKIP_2) | instid1(VALU_DEP_2)
	v_cndmask_b32_e64 v19, v30, v19, s3
	;; [unrolled: 7-line block ×11, first 2 shown]
	v_bfe_u32 v30, v27, 16, 1
	v_cmp_u_f32_e64 s3, v27, v27
	v_add3_u32 v30, v30, v27, 0x7fff
	v_or_b32_e32 v27, 0x400000, v27
	s_wait_alu 0xf1ff
	s_delay_alu instid0(VALU_DEP_1) | instskip(SKIP_1) | instid1(VALU_DEP_1)
	v_cndmask_b32_e64 v27, v30, v27, s3
	v_cvt_f32_fp8_e32 v30, v42
	v_mul_f32_e32 v30, s5, v30
	s_delay_alu instid0(VALU_DEP_1) | instskip(SKIP_1) | instid1(VALU_DEP_2)
	v_bfe_u32 v31, v30, 16, 1
	v_cmp_u_f32_e64 s3, v30, v30
	v_add3_u32 v31, v31, v30, 0x7fff
	v_or_b32_e32 v30, 0x400000, v30
	s_wait_alu 0xf1ff
	s_delay_alu instid0(VALU_DEP_1) | instskip(SKIP_1) | instid1(VALU_DEP_1)
	v_cndmask_b32_e64 v30, v31, v30, s3
	v_cvt_f32_fp8_e32 v31, v43
	v_mul_f32_e32 v31, s5, v31
	s_delay_alu instid0(VALU_DEP_1) | instskip(SKIP_1) | instid1(VALU_DEP_2)
	;; [unrolled: 10-line block ×14, first 2 shown]
	v_bfe_u32 v44, v43, 16, 1
	v_cmp_u_f32_e64 s3, v43, v43
	v_add3_u32 v44, v44, v43, 0x7fff
	v_or_b32_e32 v43, 0x400000, v43
	s_wait_alu 0xf1ff
	s_delay_alu instid0(VALU_DEP_1) | instskip(SKIP_3) | instid1(VALU_DEP_1)
	v_cndmask_b32_e64 v43, v44, v43, s3
	v_cvt_f32_fp8_e32 v44, v72
	scratch_load_b32 v72, off, off offset:40 ; 4-byte Folded Reload
	v_mul_f32_e32 v44, s5, v44
	v_bfe_u32 v45, v44, 16, 1
	v_cmp_u_f32_e64 s3, v44, v44
	s_delay_alu instid0(VALU_DEP_2) | instskip(SKIP_2) | instid1(VALU_DEP_1)
	v_add3_u32 v45, v45, v44, 0x7fff
	v_or_b32_e32 v44, 0x400000, v44
	s_wait_alu 0xf1ff
	v_cndmask_b32_e64 v44, v45, v44, s3
	v_cvt_f32_fp8_e32 v45, v73
	scratch_load_b32 v73, off, off offset:44 ; 4-byte Folded Reload
	v_mul_f32_e32 v45, s5, v45
	s_delay_alu instid0(VALU_DEP_1) | instskip(SKIP_1) | instid1(VALU_DEP_2)
	v_bfe_u32 v46, v45, 16, 1
	v_cmp_u_f32_e64 s3, v45, v45
	v_add3_u32 v46, v46, v45, 0x7fff
	v_or_b32_e32 v45, 0x400000, v45
	s_wait_alu 0xf1ff
	s_delay_alu instid0(VALU_DEP_1)
	v_cndmask_b32_e64 v45, v46, v45, s3
	v_cvt_f32_fp8_e32 v46, v71
	v_and_b32_e32 v71, 0xffff0000, v5
	scratch_load_b32 v5, off, off offset:32 ; 4-byte Folded Reload
	v_mul_f32_e32 v60, s5, v60
	v_mul_f32_e32 v46, s5, v46
	s_delay_alu instid0(VALU_DEP_1) | instskip(SKIP_1) | instid1(VALU_DEP_2)
	v_bfe_u32 v47, v46, 16, 1
	v_cmp_u_f32_e64 s3, v46, v46
	v_add3_u32 v47, v47, v46, 0x7fff
	v_or_b32_e32 v46, 0x400000, v46
	s_wait_alu 0xf1ff
	s_delay_alu instid0(VALU_DEP_1) | instskip(SKIP_1) | instid1(VALU_DEP_1)
	v_cndmask_b32_e64 v46, v47, v46, s3
	v_cvt_f32_fp8_e32 v47, v68
	v_mul_f32_e32 v47, s5, v47
	s_delay_alu instid0(VALU_DEP_1) | instskip(SKIP_1) | instid1(VALU_DEP_2)
	v_bfe_u32 v48, v47, 16, 1
	v_cmp_u_f32_e64 s3, v47, v47
	v_add3_u32 v48, v48, v47, 0x7fff
	v_or_b32_e32 v47, 0x400000, v47
	s_wait_alu 0xf1ff
	s_delay_alu instid0(VALU_DEP_1) | instskip(SKIP_1) | instid1(VALU_DEP_1)
	v_cndmask_b32_e64 v47, v48, v47, s3
	v_cvt_f32_fp8_e32 v48, v65
	;; [unrolled: 10-line block ×3, first 2 shown]
	v_mul_f32_e32 v49, s5, v49
	s_delay_alu instid0(VALU_DEP_1) | instskip(SKIP_1) | instid1(VALU_DEP_2)
	v_bfe_u32 v62, v49, 16, 1
	v_cmp_u_f32_e64 s3, v49, v49
	v_add3_u32 v62, v62, v49, 0x7fff
	v_or_b32_e32 v49, 0x400000, v49
	s_wait_alu 0xf1ff
	s_delay_alu instid0(VALU_DEP_1) | instskip(SKIP_2) | instid1(VALU_DEP_2)
	v_cndmask_b32_e64 v49, v62, v49, s3
	v_bfe_u32 v62, v50, 16, 1
	v_cmp_u_f32_e64 s3, v50, v50
	v_add3_u32 v62, v62, v50, 0x7fff
	v_or_b32_e32 v50, 0x400000, v50
	s_wait_alu 0xf1ff
	s_delay_alu instid0(VALU_DEP_1) | instskip(SKIP_2) | instid1(VALU_DEP_2)
	v_cndmask_b32_e64 v50, v62, v50, s3
	;; [unrolled: 7-line block ×12, first 2 shown]
	v_bfe_u32 v62, v61, 16, 1
	v_cmp_u_f32_e64 s3, v61, v61
	v_add3_u32 v62, v62, v61, 0x7fff
	v_or_b32_e32 v61, 0x400000, v61
	s_wait_alu 0xf1ff
	s_delay_alu instid0(VALU_DEP_1) | instskip(SKIP_3) | instid1(VALU_DEP_1)
	v_cndmask_b32_e64 v61, v62, v61, s3
	v_cvt_f32_fp8_e32 v62, v74
	scratch_load_b32 v74, off, off offset:48 ; 4-byte Folded Reload
	v_mul_f32_e32 v62, s5, v62
	v_bfe_u32 v63, v62, 16, 1
	v_cmp_u_f32_e64 s3, v62, v62
	s_delay_alu instid0(VALU_DEP_2) | instskip(SKIP_2) | instid1(VALU_DEP_1)
	v_add3_u32 v63, v63, v62, 0x7fff
	v_or_b32_e32 v62, 0x400000, v62
	s_wait_alu 0xf1ff
	v_cndmask_b32_e64 v62, v63, v62, s3
	v_cvt_f32_fp8_e32 v63, v75
	scratch_load_b32 v75, off, off offset:52 ; 4-byte Folded Reload
	v_mul_f32_e32 v63, s5, v63
	s_delay_alu instid0(VALU_DEP_1) | instskip(SKIP_1) | instid1(VALU_DEP_2)
	v_bfe_u32 v64, v63, 16, 1
	v_cmp_u_f32_e64 s3, v63, v63
	v_add3_u32 v64, v64, v63, 0x7fff
	v_or_b32_e32 v63, 0x400000, v63
	s_wait_alu 0xf1ff
	s_delay_alu instid0(VALU_DEP_1) | instskip(SKIP_3) | instid1(VALU_DEP_1)
	v_cndmask_b32_e64 v63, v64, v63, s3
	v_cvt_f32_fp8_e32 v64, v76
	scratch_load_b32 v76, off, off offset:56 ; 4-byte Folded Reload
	v_mul_f32_e32 v64, s5, v64
	v_bfe_u32 v65, v64, 16, 1
	v_cmp_u_f32_e64 s3, v64, v64
	s_delay_alu instid0(VALU_DEP_2) | instskip(SKIP_2) | instid1(VALU_DEP_1)
	v_add3_u32 v65, v65, v64, 0x7fff
	v_or_b32_e32 v64, 0x400000, v64
	s_wait_alu 0xf1ff
	v_cndmask_b32_e64 v64, v65, v64, s3
	v_cvt_f32_fp8_e32 v65, v77
	scratch_load_b32 v77, off, off offset:60 ; 4-byte Folded Reload
	v_mul_f32_e32 v65, s5, v65
	s_delay_alu instid0(VALU_DEP_1) | instskip(SKIP_1) | instid1(VALU_DEP_2)
	v_bfe_u32 v66, v65, 16, 1
	v_cmp_u_f32_e64 s3, v65, v65
	v_add3_u32 v66, v66, v65, 0x7fff
	v_or_b32_e32 v65, 0x400000, v65
	s_wait_alu 0xf1ff
	s_delay_alu instid0(VALU_DEP_1) | instskip(SKIP_1) | instid1(VALU_DEP_1)
	v_cndmask_b32_e64 v65, v66, v65, s3
	v_cvt_f32_fp8_e32 v66, v78
	v_mul_f32_e32 v66, s5, v66
	s_delay_alu instid0(VALU_DEP_1) | instskip(SKIP_1) | instid1(VALU_DEP_2)
	v_bfe_u32 v67, v66, 16, 1
	v_cmp_u_f32_e64 s3, v66, v66
	v_add3_u32 v67, v67, v66, 0x7fff
	v_or_b32_e32 v66, 0x400000, v66
	s_wait_alu 0xf1ff
	s_delay_alu instid0(VALU_DEP_1) | instskip(SKIP_1) | instid1(VALU_DEP_1)
	v_cndmask_b32_e64 v66, v67, v66, s3
	v_cvt_f32_fp8_e32 v67, v79
	;; [unrolled: 10-line block ×4, first 2 shown]
	v_mul_f32_e32 v69, s5, v69
	s_delay_alu instid0(VALU_DEP_1) | instskip(SKIP_1) | instid1(VALU_DEP_2)
	v_bfe_u32 v70, v69, 16, 1
	v_cmp_u_f32_e64 s3, v69, v69
	v_add3_u32 v70, v70, v69, 0x7fff
	v_or_b32_e32 v69, 0x400000, v69
	s_wait_alu 0xf1ff
	s_delay_alu instid0(VALU_DEP_1) | instskip(SKIP_3) | instid1(VALU_DEP_2)
	v_cndmask_b32_e64 v69, v70, v69, s3
	v_and_b32_e32 v70, 0xffff0000, v149
	v_cmp_gt_i32_e64 s3, s27, v133
	s_wait_loadcnt 0x4
	v_mul_f32_e32 v5, v5, v70
	scratch_load_b32 v70, off, off          ; 4-byte Folded Reload
	s_wait_loadcnt 0x0
	v_fmac_f32_e32 v5, v70, v71
	v_and_b32_e32 v71, 0xffff0000, v6
	scratch_load_b32 v6, off, off offset:36 ; 4-byte Folded Reload
	v_and_b32_e32 v70, 0xffff0000, v148
	s_wait_loadcnt 0x0
	s_delay_alu instid0(VALU_DEP_1) | instskip(SKIP_4) | instid1(VALU_DEP_1)
	v_mul_f32_e32 v6, v6, v70
	scratch_load_b32 v70, off, off offset:4 ; 4-byte Folded Reload
	s_wait_loadcnt 0x0
	v_fmac_f32_e32 v6, v70, v71
	v_and_b32_e32 v70, 0xffff0000, v147
	v_dual_mul_f32 v70, v72, v70 :: v_dual_and_b32 v71, 0xffff0000, v139
	scratch_load_b32 v72, off, off offset:8 ; 4-byte Folded Reload
	s_wait_loadcnt 0x0
	v_dual_fmac_f32 v70, v72, v71 :: v_dual_and_b32 v71, 0xffff0000, v145
	s_delay_alu instid0(VALU_DEP_1) | instskip(SKIP_3) | instid1(VALU_DEP_1)
	v_dual_mul_f32 v71, v73, v71 :: v_dual_and_b32 v72, 0xffff0000, v140
	scratch_load_b32 v73, off, off offset:12 ; 4-byte Folded Reload
	s_wait_loadcnt 0x0
	v_dual_fmac_f32 v71, v73, v72 :: v_dual_and_b32 v72, 0xffff0000, v141
	v_dual_mul_f32 v72, v74, v72 :: v_dual_and_b32 v73, 0xffff0000, v142
	scratch_load_b32 v74, off, off offset:16 ; 4-byte Folded Reload
	s_wait_loadcnt 0x0
	v_dual_fmac_f32 v72, v74, v73 :: v_dual_and_b32 v73, 0xffff0000, v138
	s_delay_alu instid0(VALU_DEP_1) | instskip(SKIP_3) | instid1(VALU_DEP_1)
	v_dual_mul_f32 v73, v75, v73 :: v_dual_and_b32 v74, 0xffff0000, v143
	scratch_load_b32 v75, off, off offset:20 ; 4-byte Folded Reload
	s_wait_loadcnt 0x0
	v_dual_fmac_f32 v73, v75, v74 :: v_dual_and_b32 v74, 0xffff0000, v137
	v_dual_mul_f32 v74, v76, v74 :: v_dual_and_b32 v75, 0xffff0000, v144
	scratch_load_b32 v76, off, off offset:24 ; 4-byte Folded Reload
	s_wait_loadcnt 0x0
	v_dual_fmac_f32 v74, v76, v75 :: v_dual_and_b32 v75, 0xffff0000, v136
	s_delay_alu instid0(VALU_DEP_1)
	v_dual_mul_f32 v75, v77, v75 :: v_dual_and_b32 v76, 0xffff0000, v146
	scratch_load_b32 v77, off, off offset:28 ; 4-byte Folded Reload
	s_wait_loadcnt 0x0
	v_fmac_f32_e32 v75, v77, v76
	scratch_load_b32 v77, off, off offset:64 ; 4-byte Folded Reload
	v_and_b32_e32 v76, 0xffff0000, v150
	s_wait_loadcnt 0x0
	s_delay_alu instid0(VALU_DEP_1) | instskip(SKIP_3) | instid1(VALU_DEP_1)
	v_fmac_f32_e32 v5, v77, v76
	scratch_load_b32 v77, off, off offset:68 ; 4-byte Folded Reload
	v_and_b32_e32 v76, 0xffff0000, v151
	s_wait_loadcnt 0x0
	v_fmac_f32_e32 v6, v77, v76
	scratch_load_b32 v77, off, off offset:72 ; 4-byte Folded Reload
	v_and_b32_e32 v76, 0xffff0000, v152
	s_wait_loadcnt 0x0
	s_delay_alu instid0(VALU_DEP_1) | instskip(SKIP_3) | instid1(VALU_DEP_1)
	v_fmac_f32_e32 v70, v77, v76
	scratch_load_b32 v77, off, off offset:76 ; 4-byte Folded Reload
	v_and_b32_e32 v76, 0xffff0000, v153
	;; [unrolled: 9-line block ×4, first 2 shown]
	s_wait_loadcnt 0x0
	v_fmac_f32_e32 v75, v77, v76
	scratch_load_b32 v77, off, off offset:96 ; 4-byte Folded Reload
	v_and_b32_e32 v76, 0xffff0000, v158
	s_wait_loadcnt 0x0
	s_delay_alu instid0(VALU_DEP_1)
	v_dual_fmac_f32 v5, v77, v76 :: v_dual_and_b32 v76, 0xffff0000, v159
	scratch_load_b32 v77, off, off offset:100 ; 4-byte Folded Reload
	s_wait_loadcnt 0x0
	v_fmac_f32_e32 v6, v77, v76
	scratch_load_b32 v77, off, off offset:104 ; 4-byte Folded Reload
	v_and_b32_e32 v76, 0xffff0000, v160
	s_wait_loadcnt 0x0
	s_delay_alu instid0(VALU_DEP_1) | instskip(SKIP_3) | instid1(VALU_DEP_1)
	v_fmac_f32_e32 v70, v77, v76
	scratch_load_b32 v77, off, off offset:108 ; 4-byte Folded Reload
	v_and_b32_e32 v76, 0xffff0000, v161
	s_wait_loadcnt 0x0
	v_dual_fmac_f32 v71, v77, v76 :: v_dual_and_b32 v76, 0xffff0000, v162
	scratch_load_b32 v77, off, off offset:112 ; 4-byte Folded Reload
	s_wait_loadcnt 0x0
	v_fmac_f32_e32 v72, v77, v76
	scratch_load_b32 v77, off, off offset:116 ; 4-byte Folded Reload
	v_and_b32_e32 v76, 0xffff0000, v163
	s_wait_loadcnt 0x0
	s_delay_alu instid0(VALU_DEP_1) | instskip(SKIP_3) | instid1(VALU_DEP_1)
	v_fmac_f32_e32 v73, v77, v76
	scratch_load_b32 v77, off, off offset:120 ; 4-byte Folded Reload
	v_and_b32_e32 v76, 0xffff0000, v164
	s_wait_loadcnt 0x0
	v_fmac_f32_e32 v74, v77, v76
	scratch_load_b32 v77, off, off offset:124 ; 4-byte Folded Reload
	v_and_b32_e32 v76, 0xffff0000, v165
	s_wait_loadcnt 0x0
	s_delay_alu instid0(VALU_DEP_1)
	v_dual_fmac_f32 v75, v77, v76 :: v_dual_and_b32 v76, 0xffff0000, v166
	scratch_load_b32 v77, off, off offset:128 ; 4-byte Folded Reload
	s_wait_loadcnt 0x0
	v_dual_fmac_f32 v5, v77, v76 :: v_dual_and_b32 v76, 0xffff0000, v167
	scratch_load_b32 v77, off, off offset:132 ; 4-byte Folded Reload
	s_wait_loadcnt 0x0
	v_fmac_f32_e32 v6, v77, v76
	scratch_load_b32 v77, off, off offset:136 ; 4-byte Folded Reload
	v_and_b32_e32 v76, 0xffff0000, v168
	s_wait_loadcnt 0x0
	s_delay_alu instid0(VALU_DEP_1) | instskip(SKIP_3) | instid1(VALU_DEP_1)
	v_fmac_f32_e32 v70, v77, v76
	scratch_load_b32 v77, off, off offset:140 ; 4-byte Folded Reload
	v_and_b32_e32 v76, 0xffff0000, v169
	s_wait_loadcnt 0x0
	v_dual_fmac_f32 v71, v77, v76 :: v_dual_and_b32 v76, 0xffff0000, v171
	scratch_load_b32 v77, off, off offset:144 ; 4-byte Folded Reload
	s_wait_loadcnt 0x0
	v_fmac_f32_e32 v72, v77, v76
	scratch_load_b32 v77, off, off offset:148 ; 4-byte Folded Reload
	v_and_b32_e32 v76, 0xffff0000, v173
	s_wait_loadcnt 0x0
	s_delay_alu instid0(VALU_DEP_1)
	v_dual_fmac_f32 v73, v77, v76 :: v_dual_and_b32 v76, 0xffff0000, v174
	scratch_load_b32 v77, off, off offset:152 ; 4-byte Folded Reload
	s_wait_loadcnt 0x0
	v_fmac_f32_e32 v74, v77, v76
	scratch_load_b32 v77, off, off offset:156 ; 4-byte Folded Reload
	v_and_b32_e32 v76, 0xffff0000, v176
	s_wait_loadcnt 0x0
	s_delay_alu instid0(VALU_DEP_1)
	v_dual_fmac_f32 v75, v77, v76 :: v_dual_and_b32 v76, 0xffff0000, v177
	scratch_load_b32 v77, off, off offset:160 ; 4-byte Folded Reload
	s_wait_loadcnt 0x0
	v_dual_fmac_f32 v5, v77, v76 :: v_dual_and_b32 v76, 0xffff0000, v179
	scratch_load_b32 v77, off, off offset:164 ; 4-byte Folded Reload
	s_wait_loadcnt 0x0
	v_fmac_f32_e32 v6, v77, v76
	scratch_load_b32 v77, off, off offset:168 ; 4-byte Folded Reload
	v_and_b32_e32 v76, 0xffff0000, v181
	s_wait_loadcnt 0x0
	s_delay_alu instid0(VALU_DEP_1) | instskip(SKIP_3) | instid1(VALU_DEP_1)
	v_fmac_f32_e32 v70, v77, v76
	scratch_load_b32 v77, off, off offset:172 ; 4-byte Folded Reload
	v_and_b32_e32 v76, 0xffff0000, v180
	s_wait_loadcnt 0x0
	v_dual_fmac_f32 v71, v77, v76 :: v_dual_and_b32 v76, 0xffff0000, v178
	scratch_load_b32 v77, off, off offset:176 ; 4-byte Folded Reload
	s_wait_loadcnt 0x0
	v_fmac_f32_e32 v72, v77, v76
	scratch_load_b32 v77, off, off offset:180 ; 4-byte Folded Reload
	v_and_b32_e32 v76, 0xffff0000, v175
	s_wait_loadcnt 0x0
	s_delay_alu instid0(VALU_DEP_1) | instskip(SKIP_3) | instid1(VALU_DEP_1)
	v_fmac_f32_e32 v73, v77, v76
	scratch_load_b32 v77, off, off offset:184 ; 4-byte Folded Reload
	v_and_b32_e32 v76, 0xffff0000, v172
	s_wait_loadcnt 0x0
	v_fmac_f32_e32 v74, v77, v76
	scratch_load_b32 v77, off, off offset:188 ; 4-byte Folded Reload
	v_and_b32_e32 v76, 0xffff0000, v170
	s_wait_loadcnt 0x0
	s_delay_alu instid0(VALU_DEP_1)
	v_dual_fmac_f32 v75, v77, v76 :: v_dual_and_b32 v76, 0xffff0000, v183
	scratch_load_b32 v77, off, off offset:192 ; 4-byte Folded Reload
	s_wait_loadcnt 0x0
	v_fmac_f32_e32 v5, v77, v76
	scratch_load_b32 v77, off, off offset:196 ; 4-byte Folded Reload
	v_and_b32_e32 v76, 0xffff0000, v184
	s_wait_loadcnt 0x0
	s_delay_alu instid0(VALU_DEP_1) | instskip(SKIP_3) | instid1(VALU_DEP_1)
	v_fmac_f32_e32 v6, v77, v76
	scratch_load_b32 v77, off, off offset:200 ; 4-byte Folded Reload
	v_and_b32_e32 v76, 0xffff0000, v185
	s_wait_loadcnt 0x0
	v_fmac_f32_e32 v70, v77, v76
	scratch_load_b32 v77, off, off offset:204 ; 4-byte Folded Reload
	v_and_b32_e32 v76, 0xffff0000, v186
	s_wait_loadcnt 0x0
	s_delay_alu instid0(VALU_DEP_1)
	v_dual_fmac_f32 v71, v77, v76 :: v_dual_and_b32 v76, 0xffff0000, v187
	scratch_load_b32 v77, off, off offset:208 ; 4-byte Folded Reload
	s_wait_loadcnt 0x0
	v_fmac_f32_e32 v72, v77, v76
	scratch_load_b32 v77, off, off offset:212 ; 4-byte Folded Reload
	v_and_b32_e32 v76, 0xffff0000, v188
	s_wait_loadcnt 0x0
	s_delay_alu instid0(VALU_DEP_1)
	v_dual_fmac_f32 v73, v77, v76 :: v_dual_and_b32 v76, 0xffff0000, v189
	scratch_load_b32 v77, off, off offset:216 ; 4-byte Folded Reload
	;; [unrolled: 8-line block ×3, first 2 shown]
	s_wait_loadcnt 0x0
	v_fmac_f32_e32 v5, v77, v76
	scratch_load_b32 v76, off, off offset:228 ; 4-byte Folded Reload
	s_wait_loadcnt 0x0
	v_dual_fmac_f32 v6, v76, v7 :: v_dual_and_b32 v7, 0xffff0000, v8
	scratch_load_b32 v8, off, off offset:232 ; 4-byte Folded Reload
	s_wait_loadcnt 0x0
	v_fmac_f32_e32 v70, v8, v7
	scratch_load_b32 v8, off, off offset:236 ; 4-byte Folded Reload
	v_and_b32_e32 v7, 0xffff0000, v15
	s_wait_loadcnt 0x0
	s_delay_alu instid0(VALU_DEP_1) | instskip(SKIP_3) | instid1(VALU_DEP_1)
	v_fmac_f32_e32 v71, v8, v7
	scratch_load_b32 v8, off, off offset:240 ; 4-byte Folded Reload
	v_and_b32_e32 v7, 0xffff0000, v16
	s_wait_loadcnt 0x0
	v_fmac_f32_e32 v72, v8, v7
	scratch_load_b32 v8, off, off offset:244 ; 4-byte Folded Reload
	v_and_b32_e32 v7, 0xffff0000, v9
	s_wait_loadcnt 0x0
	s_delay_alu instid0(VALU_DEP_1)
	v_fmac_f32_e32 v73, v8, v7
	scratch_load_b32 v7, off, off offset:248 ; 4-byte Folded Reload
	s_wait_loadcnt 0x0
	v_fmac_f32_e32 v74, v7, v0
	scratch_load_b32 v7, off, off offset:252 ; 4-byte Folded Reload
	v_and_b32_e32 v0, 0xffff0000, v10
	s_wait_loadcnt 0x0
	s_delay_alu instid0(VALU_DEP_1) | instskip(SKIP_3) | instid1(VALU_DEP_1)
	v_fmac_f32_e32 v75, v7, v0
	scratch_load_b32 v7, off, off offset:256 ; 4-byte Folded Reload
	v_and_b32_e32 v0, 0xffff0000, v11
	s_wait_loadcnt 0x0
	v_fmac_f32_e32 v5, v7, v0
	scratch_load_b32 v7, off, off offset:260 ; 4-byte Folded Reload
	v_and_b32_e32 v0, 0xffff0000, v12
	s_wait_loadcnt 0x0
	s_delay_alu instid0(VALU_DEP_1) | instskip(SKIP_3) | instid1(VALU_DEP_1)
	v_fmac_f32_e32 v6, v7, v0
	scratch_load_b32 v7, off, off offset:264 ; 4-byte Folded Reload
	v_and_b32_e32 v0, 0xffff0000, v13
	;; [unrolled: 9-line block ×3, first 2 shown]
	s_wait_loadcnt 0x0
	v_fmac_f32_e32 v72, v7, v0
	v_and_b32_e32 v0, 0xffff0000, v19
	s_delay_alu instid0(VALU_DEP_1) | instskip(SKIP_1) | instid1(VALU_DEP_1)
	v_fmac_f32_e32 v73, v81, v0
	v_and_b32_e32 v0, 0xffff0000, v20
	v_fmac_f32_e32 v74, v82, v0
	v_and_b32_e32 v0, 0xffff0000, v21
	s_delay_alu instid0(VALU_DEP_1) | instskip(NEXT) | instid1(VALU_DEP_1)
	v_dual_fmac_f32 v75, v83, v0 :: v_dual_and_b32 v0, 0xffff0000, v22
	v_dual_fmac_f32 v5, v84, v0 :: v_dual_and_b32 v0, 0xffff0000, v23
	s_delay_alu instid0(VALU_DEP_1) | instskip(SKIP_1) | instid1(VALU_DEP_1)
	v_fmac_f32_e32 v6, v85, v0
	v_and_b32_e32 v0, 0xffff0000, v24
	v_fmac_f32_e32 v70, v86, v0
	v_and_b32_e32 v0, 0xffff0000, v25
	s_delay_alu instid0(VALU_DEP_1) | instskip(NEXT) | instid1(VALU_DEP_1)
	v_dual_fmac_f32 v71, v87, v0 :: v_dual_and_b32 v0, 0xffff0000, v26
	v_fmac_f32_e32 v72, v88, v0
	v_and_b32_e32 v0, 0xffff0000, v28
	s_delay_alu instid0(VALU_DEP_1) | instskip(NEXT) | instid1(VALU_DEP_1)
	v_dual_fmac_f32 v73, v89, v0 :: v_dual_and_b32 v0, 0xffff0000, v29
	;; [unrolled: 4-line block ×3, first 2 shown]
	v_dual_fmac_f32 v5, v92, v0 :: v_dual_and_b32 v0, 0xffff0000, v31
	s_delay_alu instid0(VALU_DEP_1) | instskip(SKIP_1) | instid1(VALU_DEP_1)
	v_fmac_f32_e32 v6, v93, v0
	v_and_b32_e32 v0, 0xffff0000, v32
	v_fmac_f32_e32 v70, v94, v0
	v_and_b32_e32 v0, 0xffff0000, v33
	s_delay_alu instid0(VALU_DEP_1) | instskip(NEXT) | instid1(VALU_DEP_1)
	v_dual_fmac_f32 v71, v95, v0 :: v_dual_and_b32 v0, 0xffff0000, v34
	v_fmac_f32_e32 v72, v96, v0
	v_and_b32_e32 v0, 0xffff0000, v35
	s_delay_alu instid0(VALU_DEP_1) | instskip(SKIP_1) | instid1(VALU_DEP_1)
	v_fmac_f32_e32 v73, v97, v0
	v_and_b32_e32 v0, 0xffff0000, v36
	v_fmac_f32_e32 v74, v98, v0
	v_and_b32_e32 v0, 0xffff0000, v37
	s_delay_alu instid0(VALU_DEP_1) | instskip(NEXT) | instid1(VALU_DEP_1)
	v_dual_fmac_f32 v75, v99, v0 :: v_dual_and_b32 v0, 0xffff0000, v38
	v_dual_fmac_f32 v5, v100, v0 :: v_dual_and_b32 v0, 0xffff0000, v39
	s_delay_alu instid0(VALU_DEP_1) | instskip(SKIP_1) | instid1(VALU_DEP_1)
	v_fmac_f32_e32 v6, v101, v0
	v_and_b32_e32 v0, 0xffff0000, v40
	v_fmac_f32_e32 v70, v102, v0
	v_and_b32_e32 v0, 0xffff0000, v41
	s_delay_alu instid0(VALU_DEP_1) | instskip(NEXT) | instid1(VALU_DEP_1)
	v_dual_fmac_f32 v71, v103, v0 :: v_dual_and_b32 v0, 0xffff0000, v42
	v_fmac_f32_e32 v72, v104, v0
	v_and_b32_e32 v0, 0xffff0000, v43
	s_delay_alu instid0(VALU_DEP_1) | instskip(SKIP_1) | instid1(VALU_DEP_1)
	v_fmac_f32_e32 v73, v105, v0
	v_and_b32_e32 v0, 0xffff0000, v44
	v_fmac_f32_e32 v74, v106, v0
	v_and_b32_e32 v0, 0xffff0000, v45
	s_delay_alu instid0(VALU_DEP_1) | instskip(NEXT) | instid1(VALU_DEP_1)
	v_dual_fmac_f32 v75, v107, v0 :: v_dual_and_b32 v0, 0xffff0000, v46
	;; [unrolled: 17-line block ×4, first 2 shown]
	v_dual_fmac_f32 v5, v125, v0 :: v_dual_and_b32 v0, 0xffff0000, v63
	s_delay_alu instid0(VALU_DEP_1) | instskip(SKIP_1) | instid1(VALU_DEP_1)
	v_fmac_f32_e32 v6, v126, v0
	v_and_b32_e32 v0, 0xffff0000, v64
	v_fmac_f32_e32 v70, v127, v0
	v_and_b32_e32 v0, 0xffff0000, v65
	s_delay_alu instid0(VALU_DEP_1) | instskip(NEXT) | instid1(VALU_DEP_1)
	v_dual_fmac_f32 v71, v128, v0 :: v_dual_and_b32 v0, 0xffff0000, v66
	v_fmac_f32_e32 v72, v129, v0
	v_and_b32_e32 v0, 0xffff0000, v67
	s_delay_alu instid0(VALU_DEP_1) | instskip(SKIP_1) | instid1(VALU_DEP_1)
	v_fmac_f32_e32 v73, v130, v0
	v_and_b32_e32 v0, 0xffff0000, v68
	v_fmac_f32_e32 v74, v131, v0
	v_and_b32_e32 v0, 0xffff0000, v69
	s_delay_alu instid0(VALU_DEP_1) | instskip(SKIP_1) | instid1(VALU_DEP_2)
	v_dual_fmac_f32 v75, v132, v0 :: v_dual_add_f32 v0, v5, v6
	v_add_nc_u32_e32 v5, s23, v133
	v_dual_add_f32 v0, v0, v70 :: v_dual_add_nc_u32 v133, 0x80, v133
	s_delay_alu instid0(VALU_DEP_2) | instskip(NEXT) | instid1(VALU_DEP_1)
	v_cvt_f32_i32_e32 v5, v5
	v_dual_add_f32 v0, v71, v0 :: v_dual_mul_f32 v5, s8, v5
	s_delay_alu instid0(VALU_DEP_1) | instskip(NEXT) | instid1(VALU_DEP_1)
	v_dual_add_f32 v0, v72, v0 :: v_dual_cndmask_b32 v5, 0, v5
	v_add_f32_e32 v0, v73, v0
	s_delay_alu instid0(VALU_DEP_1) | instskip(NEXT) | instid1(VALU_DEP_1)
	v_add_f32_e32 v0, v74, v0
	v_add_f32_e32 v0, v75, v0
	s_delay_alu instid0(VALU_DEP_1) | instskip(SKIP_1) | instid1(VALU_DEP_1)
	v_fmac_f32_e32 v5, s9, v0
	v_max_num_f32_e32 v0, v124, v124
	v_max_num_f32_e32 v0, v0, v5
	s_wait_alu 0xf1ff
	v_cndmask_b32_e64 v5, 0, v5, s3
	s_delay_alu instid0(VALU_DEP_2)
	v_cndmask_b32_e64 v124, v124, v0, s3
	v_add_co_u32 v3, s3, v3, 16
	ds_store_b32 v134, v5
	s_wait_alu 0xf1ff
	v_add_co_ci_u32_e64 v4, null, 0, v4, s3
	v_add_nc_u32_e32 v134, 0x200, v134
	s_and_not1_b32 exec_lo, exec_lo, s11
	s_cbranch_execnz .LBB363_7
; %bb.8:
	s_or_b32 exec_lo, exec_lo, s11
	s_clause 0x3
	scratch_load_b32 v176, off, off offset:276
	scratch_load_b32 v177, off, off offset:280
	scratch_load_b32 v178, off, off offset:284
	scratch_load_b32 v22, off, off offset:288
	v_lshlrev_b32_e32 v38, 2, v17
.LBB363_9:
	s_or_b32 exec_lo, exec_lo, s10
	v_mbcnt_lo_u32_b32 v0, -1, 0
	s_load_b128 s[8:11], s[0:1], 0x0
	s_wait_kmcnt 0x0
	s_clause 0x1
	s_load_b64 s[4:5], s[0:1], 0x10
	s_load_b64 s[24:25], s[0:1], 0x28
	v_max_num_f32_e32 v4, v124, v124
	v_xor_b32_e32 v1, 16, v0
	v_xor_b32_e32 v3, 8, v0
	s_delay_alu instid0(VALU_DEP_2) | instskip(SKIP_2) | instid1(VALU_DEP_3)
	v_cmp_gt_i32_e32 vcc_lo, 32, v1
	s_wait_alu 0xfffd
	v_cndmask_b32_e32 v1, v0, v1, vcc_lo
	v_cmp_gt_i32_e32 vcc_lo, 32, v3
	s_delay_alu instid0(VALU_DEP_2)
	v_lshlrev_b32_e32 v1, 2, v1
	s_wait_alu 0xfffd
	v_cndmask_b32_e32 v3, v0, v3, vcc_lo
	ds_bpermute_b32 v2, v1, v124
	s_wait_dscnt 0x0
	v_dual_max_num_f32 v5, v2, v2 :: v_dual_lshlrev_b32 v2, 2, v3
	s_delay_alu instid0(VALU_DEP_1)
	v_max_num_f32_e32 v3, v4, v5
	v_xor_b32_e32 v5, 4, v0
	ds_bpermute_b32 v4, v2, v3
	v_cmp_gt_i32_e32 vcc_lo, 32, v5
	s_wait_alu 0xfffd
	v_cndmask_b32_e32 v5, v0, v5, vcc_lo
	s_wait_dscnt 0x0
	v_max_num_f32_e32 v6, v4, v4
	s_delay_alu instid0(VALU_DEP_1)
	v_dual_max_num_f32 v3, v3, v6 :: v_dual_lshlrev_b32 v4, 2, v5
	v_xor_b32_e32 v6, 2, v0
	ds_bpermute_b32 v5, v4, v3
	v_cmp_gt_i32_e32 vcc_lo, 32, v6
	s_wait_dscnt 0x0
	s_wait_alu 0xfffd
	v_dual_cndmask_b32 v6, v0, v6 :: v_dual_max_num_f32 v5, v5, v5
	s_delay_alu instid0(VALU_DEP_1) | instskip(NEXT) | instid1(VALU_DEP_2)
	v_max_num_f32_e32 v3, v3, v5
	v_lshlrev_b32_e32 v19, 2, v6
	v_xor_b32_e32 v6, 1, v0
	s_delay_alu instid0(VALU_DEP_1)
	v_cmp_gt_i32_e32 vcc_lo, 32, v6
	s_wait_alu 0xfffd
	v_cndmask_b32_e32 v6, v0, v6, vcc_lo
	ds_bpermute_b32 v5, v19, v3
	s_wait_loadcnt 0x1
	v_cmp_eq_u32_e32 vcc_lo, 0, v178
	s_wait_dscnt 0x0
	v_dual_max_num_f32 v5, v5, v5 :: v_dual_lshlrev_b32 v18, 2, v6
	s_delay_alu instid0(VALU_DEP_1)
	v_max_num_f32_e32 v0, v3, v5
	v_lshlrev_b32_e32 v5, 2, v177
	ds_bpermute_b32 v3, v18, v0
	s_and_saveexec_b32 s0, vcc_lo
	s_cbranch_execz .LBB363_11
; %bb.10:
	s_wait_dscnt 0x0
	v_dual_max_num_f32 v3, v3, v3 :: v_dual_max_num_f32 v0, v0, v0
	s_delay_alu instid0(VALU_DEP_1)
	v_max_num_f32_e32 v0, v0, v3
	ds_store_b32 v5, v0 offset:240
.LBB363_11:
	s_or_b32 exec_lo, exec_lo, s0
	v_cmp_gt_u32_e64 s0, 4, v178
	v_mov_b32_e32 v0, 0xff7fffff
	s_wait_storecnt 0x0
	s_wait_loadcnt_dscnt 0x0
	s_barrier_signal -1
	s_barrier_wait -1
	global_inv scope:SCOPE_SE
	s_and_saveexec_b32 s1, s0
; %bb.12:
	ds_load_b32 v0, v22 offset:240
; %bb.13:
	s_or_b32 exec_lo, exec_lo, s1
	s_wait_dscnt 0x0
	ds_bpermute_b32 v3, v19, v0
	v_max_num_f32_e32 v0, v0, v0
	s_sub_co_i32 s1, s17, s31
	v_mov_b32_e32 v6, 0
	s_lshl_b32 s1, s1, 5
	s_delay_alu instid0(SALU_CYCLE_1) | instskip(NEXT) | instid1(SALU_CYCLE_1)
	s_add_co_i32 s1, s1, s28
	s_min_i32 s1, s1, s27
	s_delay_alu instid0(SALU_CYCLE_1) | instskip(SKIP_4) | instid1(VALU_DEP_1)
	s_sub_co_i32 s14, s1, s28
	s_wait_alu 0xfffe
	v_cmp_gt_i32_e64 s1, s14, v176
	s_wait_dscnt 0x0
	v_max_num_f32_e32 v3, v3, v3
	v_max_num_f32_e32 v0, v0, v3
	ds_bpermute_b32 v3, v18, v0
	s_wait_dscnt 0x0
	v_max_num_f32_e32 v3, v3, v3
	s_delay_alu instid0(VALU_DEP_1)
	v_max_num_f32_e32 v0, v0, v3
	v_lshl_add_u32 v3, v176, 2, 0x110
	ds_bpermute_b32 v0, v6, v0
	s_and_saveexec_b32 s23, s1
	s_cbranch_execz .LBB363_17
; %bb.14:
	v_lshl_add_u32 v7, v176, 2, 0x110
	v_mov_b32_e32 v6, 0
	v_mov_b32_e32 v8, v176
	s_mov_b32 s31, 0
.LBB363_15:                             ; =>This Inner Loop Header: Depth=1
	ds_load_b32 v9, v7
	v_add_nc_u32_e32 v8, 0x80, v8
	s_delay_alu instid0(VALU_DEP_1) | instskip(SKIP_4) | instid1(VALU_DEP_1)
	v_cmp_le_i32_e64 s3, s14, v8
	s_wait_alu 0xfffe
	s_or_b32 s31, s3, s31
	s_wait_dscnt 0x0
	v_sub_f32_e32 v9, v9, v0
	v_mul_f32_e32 v9, 0x3fb8aa3b, v9
	s_delay_alu instid0(VALU_DEP_1)
	v_exp_f32_e32 v9, v9
	ds_store_b32 v7, v9
	v_dual_add_f32 v6, v6, v9 :: v_dual_add_nc_u32 v7, 0x200, v7
	s_wait_alu 0xfffe
	s_and_not1_b32 exec_lo, exec_lo, s31
	s_cbranch_execnz .LBB363_15
; %bb.16:
	s_or_b32 exec_lo, exec_lo, s31
.LBB363_17:
	s_wait_alu 0xfffe
	s_or_b32 exec_lo, exec_lo, s23
	ds_bpermute_b32 v1, v1, v6
	s_wait_dscnt 0x0
	v_add_f32_e32 v1, v6, v1
	ds_bpermute_b32 v2, v2, v1
	s_wait_dscnt 0x0
	v_add_f32_e32 v1, v1, v2
	;; [unrolled: 3-line block ×5, first 2 shown]
	s_and_saveexec_b32 s3, vcc_lo
; %bb.18:
	ds_store_b32 v5, v1 offset:256
; %bb.19:
	s_wait_alu 0xfffe
	s_or_b32 exec_lo, exec_lo, s3
	s_wait_loadcnt_dscnt 0x0
	s_barrier_signal -1
	s_barrier_wait -1
	global_inv scope:SCOPE_SE
	s_and_saveexec_b32 s3, s0
; %bb.20:
	ds_load_b32 v1, v22 offset:256
; %bb.21:
	s_wait_alu 0xfffe
	s_or_b32 exec_lo, exec_lo, s3
	s_wait_dscnt 0x0
	ds_bpermute_b32 v2, v19, v1
	s_wait_dscnt 0x0
	v_add_f32_e32 v1, v1, v2
	ds_bpermute_b32 v2, v18, v1
	s_wait_dscnt 0x0
	v_dual_add_f32 v1, v1, v2 :: v_dual_mov_b32 v2, 0
	ds_bpermute_b32 v1, v2, v1
	s_and_saveexec_b32 s0, s1
	s_cbranch_execz .LBB363_24
; %bb.22:
	s_wait_dscnt 0x0
	v_add_f32_e32 v2, 0x358637bd, v1
	s_mov_b32 s1, 0
	s_delay_alu instid0(VALU_DEP_1) | instskip(SKIP_1) | instid1(VALU_DEP_2)
	v_div_scale_f32 v4, null, v2, v2, 1.0
	v_div_scale_f32 v7, vcc_lo, 1.0, v2, 1.0
	v_rcp_f32_e32 v5, v4
	s_delay_alu instid0(TRANS32_DEP_1) | instskip(NEXT) | instid1(VALU_DEP_1)
	v_fma_f32 v6, -v4, v5, 1.0
	v_fmac_f32_e32 v5, v6, v5
	s_delay_alu instid0(VALU_DEP_1) | instskip(NEXT) | instid1(VALU_DEP_1)
	v_mul_f32_e32 v6, v7, v5
	v_fma_f32 v8, -v4, v6, v7
	s_delay_alu instid0(VALU_DEP_1) | instskip(NEXT) | instid1(VALU_DEP_1)
	v_fmac_f32_e32 v6, v8, v5
	v_fma_f32 v4, -v4, v6, v7
	s_wait_alu 0xfffd
	s_delay_alu instid0(VALU_DEP_1) | instskip(NEXT) | instid1(VALU_DEP_1)
	v_div_fmas_f32 v4, v4, v5, v6
	v_div_fixup_f32 v2, v4, v2, 1.0
	v_mov_b32_e32 v4, v176
.LBB363_23:                             ; =>This Inner Loop Header: Depth=1
	ds_load_b32 v5, v3
	s_wait_dscnt 0x0
	v_dual_mul_f32 v5, v2, v5 :: v_dual_add_nc_u32 v4, 0x80, v4
	s_delay_alu instid0(VALU_DEP_1) | instskip(SKIP_3) | instid1(SALU_CYCLE_1)
	v_cmp_le_i32_e32 vcc_lo, s14, v4
	ds_store_b32 v3, v5
	v_add_nc_u32_e32 v3, 0x200, v3
	s_or_b32 s1, vcc_lo, s1
	s_and_not1_b32 exec_lo, exec_lo, s1
	s_cbranch_execnz .LBB363_23
.LBB363_24:
	s_or_b32 exec_lo, exec_lo, s0
	s_mul_i32 s0, s12, s15
	s_wait_loadcnt_dscnt 0x0
	s_mul_i32 s14, s0, s29
	s_mov_b32 s0, exec_lo
	s_barrier_signal -1
	s_barrier_wait -1
	global_inv scope:SCOPE_SE
	v_cmpx_eq_u32_e32 0, v176
	s_cbranch_execz .LBB363_26
; %bb.25:
	s_wait_alu 0xfffe
	s_ashr_i32 s15, s14, 31
	s_mul_i32 s34, s12, ttmp9
	s_lshl_b32 s1, s26, 2
	s_wait_alu 0xfffe
	s_lshl_b64 s[36:37], s[14:15], 2
	s_ashr_i32 s35, s34, 31
	v_mov_b32_e32 v2, s1
	s_add_nc_u64 s[10:11], s[10:11], s[36:37]
	s_lshl_b64 s[34:35], s[34:35], 2
	s_add_nc_u64 s[8:9], s[8:9], s[36:37]
	s_add_nc_u64 s[10:11], s[10:11], s[34:35]
	s_wait_alu 0xfffe
	s_add_nc_u64 s[8:9], s[8:9], s[34:35]
	s_clause 0x1
	global_store_b32 v2, v0, s[10:11]
	global_store_b32 v2, v1, s[8:9]
.LBB363_26:
	s_or_b32 exec_lo, exec_lo, s0
	v_dual_mov_b32 v33, 0 :: v_dual_and_b32 v20, 3, v176
	v_dual_mov_b32 v35, 0 :: v_dual_mov_b32 v34, 0
	v_dual_mov_b32 v32, 0 :: v_dual_mov_b32 v31, 0
	;; [unrolled: 1-line block ×7, first 2 shown]
	s_and_saveexec_b32 s1, s2
	s_cbranch_execz .LBB363_60
; %bb.27:
	s_load_b32 s2, s[6:7], 0x0
	v_dual_mov_b32 v21, 0 :: v_dual_lshlrev_b32 v0, 3, v176
	v_dual_mov_b32 v22, 0 :: v_dual_lshlrev_b32 v1, 5, v20
	s_ashr_i32 s23, s22, 31
	s_delay_alu instid0(VALU_DEP_2)
	v_dual_mov_b32 v23, 0 :: v_dual_and_b32 v2, 24, v0
	v_dual_mov_b32 v25, 0 :: v_dual_and_b32 v0, 0xf8, v0
	s_wait_kmcnt 0x0
	s_wait_alu 0xfffe
	s_add_nc_u64 s[8:9], s[24:25], s[22:23]
	s_lshl_b64 s[6:7], s[20:21], 2
	v_lshl_add_u32 v3, v177, 5, s28
	v_lshl_or_b32 v1, v177, 7, v1
	s_wait_alu 0xfffe
	v_add_co_u32 v9, s0, s8, v0
	s_add_nc_u64 s[6:7], s[18:19], s[6:7]
	s_wait_alu 0xf1ff
	v_add_co_ci_u32_e64 v10, null, s9, 0, s0
	v_add_co_u32 v11, s0, s6, v38
	v_add3_u32 v36, v3, v2, 7
	v_dual_mov_b32 v24, 0 :: v_dual_add_nc_u32 v37, 0x110, v1
	s_wait_alu 0xf1ff
	v_add_co_ci_u32_e64 v12, null, s7, 0, s0
	v_dual_mov_b32 v26, 0 :: v_dual_mov_b32 v27, 0
	v_dual_mov_b32 v28, 0 :: v_dual_mov_b32 v29, 0
	;; [unrolled: 1-line block ×5, first 2 shown]
	s_mov_b32 s3, s13
	s_add_co_i32 s30, s30, -1
	s_mov_b32 s6, 0
	s_branch .LBB363_29
.LBB363_28:                             ;   in Loop: Header=BB363_29 Depth=1
	s_wait_alu 0xfffe
	s_or_b32 exec_lo, exec_lo, s0
	s_wait_dscnt 0x1
	v_bfe_u32 v83, v5, 16, 1
	v_or_b32_e32 v87, 0x400000, v5
	v_bfe_u32 v88, v6, 16, 1
	v_cmp_u_f32_e32 vcc_lo, v5, v5
	v_bfe_u32 v89, v7, 16, 1
	v_add3_u32 v83, v83, v5, 0x7fff
	v_or_b32_e32 v90, 0x400000, v6
	v_add3_u32 v88, v88, v6, 0x7fff
	v_or_b32_e32 v91, 0x400000, v7
	v_add3_u32 v89, v89, v7, 0x7fff
	s_wait_alu 0xfffd
	v_cndmask_b32_e32 v5, v83, v87, vcc_lo
	v_cmp_u_f32_e32 vcc_lo, v6, v6
	v_bfe_u32 v83, v8, 16, 1
	s_wait_dscnt 0x0
	v_bfe_u32 v87, v1, 16, 1
	v_lshlrev_b32_e32 v153, 16, v153
	s_wait_alu 0xfffd
	v_dual_cndmask_b32 v6, v88, v90 :: v_dual_lshlrev_b32 v145, 16, v145
	v_cmp_u_f32_e32 vcc_lo, v7, v7
	v_add3_u32 v83, v83, v8, 0x7fff
	v_or_b32_e32 v88, 0x400000, v8
	v_add3_u32 v87, v87, v1, 0x7fff
	v_bfe_u32 v90, v2, 16, 1
	s_wait_alu 0xfffd
	v_cndmask_b32_e32 v7, v89, v91, vcc_lo
	v_cmp_u_f32_e32 vcc_lo, v8, v8
	v_or_b32_e32 v89, 0x400000, v1
	v_lshlrev_b32_e32 v137, 16, v137
	v_lshlrev_b32_e32 v129, 16, v129
	s_wait_alu 0xfffd
	v_dual_cndmask_b32 v8, v83, v88 :: v_dual_lshlrev_b32 v15, 16, v15
	v_cmp_u_f32_e32 vcc_lo, v1, v1
	v_or_b32_e32 v88, 0x400000, v2
	v_lshlrev_b32_e32 v101, 16, v101
	v_lshlrev_b32_e32 v97, 16, v97
	;; [unrolled: 1-line block ×3, first 2 shown]
	s_wait_alu 0xfffd
	v_cndmask_b32_e32 v83, v87, v89, vcc_lo
	v_add3_u32 v87, v90, v2, 0x7fff
	v_bfe_u32 v89, v3, 16, 1
	v_cmp_u_f32_e32 vcc_lo, v2, v2
	v_lshlrev_b32_e32 v93, 16, v93
	v_lshlrev_b32_e32 v81, 16, v81
	;; [unrolled: 1-line block ×3, first 2 shown]
	v_add3_u32 v2, v89, v3, 0x7fff
	s_wait_alu 0xfffd
	v_cndmask_b32_e32 v87, v87, v88, vcc_lo
	v_or_b32_e32 v88, 0x400000, v3
	v_cmp_u_f32_e32 vcc_lo, v3, v3
	v_and_b32_e32 v1, 0xffff0000, v6
	v_lshlrev_b32_e32 v6, 16, v159
	v_bfe_u32 v89, v4, 16, 1
	s_wait_alu 0xfffd
	v_dual_cndmask_b32 v88, v2, v88 :: v_dual_and_b32 v7, 0xffff0000, v7
	v_and_b32_e32 v2, 0xffff0000, v8
	v_mul_f32_e32 v90, v1, v6
	v_add3_u32 v3, v89, v4, 0x7fff
	v_or_b32_e32 v89, 0x400000, v4
	v_lshlrev_b32_e32 v8, 16, v157
	v_cmp_u_f32_e32 vcc_lo, v4, v4
	v_bfe_u32 v91, v90, 16, 1
	v_lshlrev_b32_e32 v123, 16, v123
	s_delay_alu instid0(VALU_DEP_4)
	v_dual_mul_f32 v15, v1, v15 :: v_dual_mul_f32 v92, v2, v8
	s_wait_alu 0xfffd
	v_cndmask_b32_e32 v4, v3, v89, vcc_lo
	v_add3_u32 v3, v91, v90, 0x7fff
	v_or_b32_e32 v89, 0x400000, v90
	v_lshlrev_b32_e32 v8, 16, v156
	v_and_b32_e32 v6, 0xffff0000, v5
	v_lshlrev_b32_e32 v5, 16, v158
	v_cmp_u_f32_e32 vcc_lo, v90, v90
	v_bfe_u32 v156, v92, 16, 1
	v_lshlrev_b32_e32 v103, 16, v103
	v_lshlrev_b32_e32 v77, 16, v77
	s_wait_alu 0xfffd
	v_dual_cndmask_b32 v89, v3, v89 :: v_dual_lshlrev_b32 v66, 16, v66
	v_lshlrev_b32_e32 v73, 16, v73
	v_lshlrev_b32_e32 v71, 16, v71
	v_mul_f32_e32 v77, v1, v77
	v_lshlrev_b32_e32 v67, 16, v67
	v_and_b32_e32 v89, 0xffff0000, v89
	v_and_b32_e32 v4, 0xffff0000, v4
	v_lshlrev_b32_e32 v65, 16, v65
	v_lshlrev_b32_e32 v63, 16, v63
	v_mul_f32_e32 v67, v2, v67
	v_lshlrev_b32_e32 v61, 16, v61
	v_mul_f32_e32 v153, v4, v153
	v_mul_f32_e32 v157, v7, v8
	v_dual_mul_f32 v5, v6, v5 :: v_dual_lshlrev_b32 v8, 16, v155
	v_lshlrev_b32_e32 v116, 16, v116
	v_dual_mul_f32 v61, v1, v61 :: v_dual_lshlrev_b32 v68, 16, v68
	v_lshlrev_b32_e32 v50, 16, v50
	s_delay_alu instid0(VALU_DEP_4)
	v_bfe_u32 v91, v5, 16, 1
	v_cmp_u_f32_e32 vcc_lo, v5, v5
	v_lshlrev_b32_e32 v144, 16, v144
	v_lshlrev_b32_e32 v128, 16, v128
	v_mul_f32_e32 v68, v6, v68
	v_add3_u32 v90, v91, v5, 0x7fff
	v_or_b32_e32 v91, 0x400000, v5
	v_add3_u32 v5, v156, v92, 0x7fff
	v_and_b32_e32 v3, 0xffff0000, v87
	v_lshlrev_b32_e32 v60, 16, v60
	s_wait_alu 0xfffd
	v_dual_cndmask_b32 v87, v90, v91 :: v_dual_lshlrev_b32 v52, 16, v52
	v_or_b32_e32 v90, 0x400000, v92
	v_bfe_u32 v91, v157, 16, 1
	v_cmp_u_f32_e32 vcc_lo, v92, v92
	v_or_b32_e32 v92, 0x400000, v157
	v_and_b32_e32 v87, 0xffff0000, v87
	v_lshlrev_b32_e32 v59, 16, v59
	v_add3_u32 v91, v91, v157, 0x7fff
	s_wait_alu 0xfffd
	v_cndmask_b32_e32 v90, v5, v90, vcc_lo
	v_cmp_u_f32_e32 vcc_lo, v157, v157
	v_dual_mul_f32 v155, v3, v8 :: v_dual_and_b32 v8, 0xffff0000, v83
	v_and_b32_e32 v5, 0xffff0000, v88
	s_wait_alu 0xfffd
	v_dual_cndmask_b32 v91, v91, v92 :: v_dual_and_b32 v90, 0xffff0000, v90
	s_delay_alu instid0(VALU_DEP_3)
	v_cmp_u_f32_e32 vcc_lo, v155, v155
	v_bfe_u32 v157, v153, 16, 1
	v_add_f32_e32 v87, v87, v89
	v_mul_f32_e32 v145, v4, v145
	v_and_b32_e32 v91, 0xffff0000, v91
	v_lshlrev_b32_e32 v88, 16, v152
	v_lshlrev_b32_e32 v83, 16, v154
	v_bfe_u32 v154, v155, 16, 1
	v_mul_f32_e32 v137, v4, v137
	s_delay_alu instid0(VALU_DEP_4) | instskip(NEXT) | instid1(VALU_DEP_4)
	v_dual_add_f32 v89, v91, v90 :: v_dual_mul_f32 v88, v5, v88
	v_mul_f32_e32 v83, v8, v83
	s_delay_alu instid0(VALU_DEP_4) | instskip(SKIP_1) | instid1(VALU_DEP_4)
	v_add3_u32 v152, v154, v155, 0x7fff
	v_or_b32_e32 v154, 0x400000, v155
	v_add_f32_e32 v87, v89, v87
	v_bfe_u32 v158, v88, 16, 1
	v_bfe_u32 v92, v83, 16, 1
	v_or_b32_e32 v156, 0x400000, v83
	s_wait_alu 0xfffd
	v_cndmask_b32_e32 v152, v152, v154, vcc_lo
	v_cmp_u_f32_e32 vcc_lo, v83, v83
	v_add3_u32 v154, v158, v88, 0x7fff
	v_add3_u32 v92, v92, v83, 0x7fff
	v_or_b32_e32 v155, 0x400000, v88
	v_and_b32_e32 v90, 0xffff0000, v152
	v_lshlrev_b32_e32 v148, 16, v148
	s_wait_alu 0xfffd
	v_dual_cndmask_b32 v83, v92, v156 :: v_dual_lshlrev_b32 v146, 16, v146
	v_cmp_u_f32_e32 vcc_lo, v88, v88
	v_add3_u32 v92, v157, v153, 0x7fff
	v_or_b32_e32 v156, 0x400000, v153
	v_mul_f32_e32 v129, v4, v129
	v_and_b32_e32 v83, 0xffff0000, v83
	s_wait_alu 0xfffd
	v_cndmask_b32_e32 v88, v154, v155, vcc_lo
	v_cmp_u_f32_e32 vcc_lo, v153, v153
	v_dual_mul_f32 v123, v3, v123 :: v_dual_lshlrev_b32 v140, 16, v140
	s_delay_alu instid0(VALU_DEP_3) | instskip(SKIP_2) | instid1(VALU_DEP_3)
	v_dual_add_f32 v83, v83, v90 :: v_dual_and_b32 v88, 0xffff0000, v88
	s_wait_alu 0xfffd
	v_dual_cndmask_b32 v91, v92, v156 :: v_dual_lshlrev_b32 v90, 16, v151
	v_mul_f32_e32 v140, v7, v140
	s_delay_alu instid0(VALU_DEP_3) | instskip(SKIP_1) | instid1(VALU_DEP_4)
	v_add_f32_e32 v83, v83, v87
	v_lshlrev_b32_e32 v121, 16, v121
	v_and_b32_e32 v89, 0xffff0000, v91
	v_lshlrev_b32_e32 v91, 16, v150
	v_mul_f32_e32 v101, v5, v101
	v_mul_f32_e32 v81, v3, v81
	v_mul_f32_e32 v121, v4, v121
	v_dual_add_f32 v87, v88, v89 :: v_dual_mul_f32 v88, v1, v90
	v_mul_f32_e32 v89, v6, v91
	v_lshlrev_b32_e32 v91, 16, v149
	v_bfe_u32 v149, v145, 16, 1
	s_delay_alu instid0(VALU_DEP_4)
	v_add_f32_e32 v83, v87, v83
	v_bfe_u32 v87, v88, 16, 1
	v_bfe_u32 v90, v89, 16, 1
	v_cmp_u_f32_e32 vcc_lo, v88, v88
	v_mul_f32_e32 v91, v2, v91
	v_add_f32_e32 v22, v22, v83
	v_add3_u32 v83, v87, v88, 0x7fff
	v_or_b32_e32 v87, 0x400000, v88
	v_add3_u32 v90, v90, v89, 0x7fff
	v_or_b32_e32 v92, 0x400000, v89
	v_dual_mul_f32 v79, v4, v79 :: v_dual_lshlrev_b32 v138, 16, v138
	s_wait_alu 0xfffd
	v_cndmask_b32_e32 v83, v83, v87, vcc_lo
	v_cmp_u_f32_e32 vcc_lo, v89, v89
	v_bfe_u32 v87, v91, 16, 1
	v_dual_mul_f32 v89, v7, v148 :: v_dual_mul_f32 v138, v8, v138
	s_wait_alu 0xfffd
	v_dual_cndmask_b32 v88, v90, v92 :: v_dual_and_b32 v83, 0xffff0000, v83
	v_lshlrev_b32_e32 v90, 16, v147
	v_add3_u32 v87, v87, v91, 0x7fff
	v_or_b32_e32 v92, 0x400000, v91
	v_bfe_u32 v147, v89, 16, 1
	v_cmp_u_f32_e32 vcc_lo, v91, v91
	v_mul_f32_e32 v90, v3, v90
	v_mul_f32_e32 v91, v8, v146
	v_or_b32_e32 v146, 0x400000, v89
	v_and_b32_e32 v88, 0xffff0000, v88
	s_wait_alu 0xfffd
	v_cndmask_b32_e32 v87, v87, v92, vcc_lo
	v_add3_u32 v92, v147, v89, 0x7fff
	v_bfe_u32 v147, v90, 16, 1
	v_cmp_u_f32_e32 vcc_lo, v89, v89
	v_bfe_u32 v148, v91, 16, 1
	v_dual_add_f32 v83, v88, v83 :: v_dual_lshlrev_b32 v136, 16, v136
	v_mul_f32_e32 v73, v3, v73
	s_wait_alu 0xfffd
	v_cndmask_b32_e32 v89, v92, v146, vcc_lo
	v_add3_u32 v92, v147, v90, 0x7fff
	v_or_b32_e32 v146, 0x400000, v90
	v_cmp_u_f32_e32 vcc_lo, v90, v90
	v_add3_u32 v147, v148, v91, 0x7fff
	v_or_b32_e32 v148, 0x400000, v91
	v_dual_mul_f32 v136, v5, v136 :: v_dual_and_b32 v89, 0xffff0000, v89
	s_wait_alu 0xfffd
	v_cndmask_b32_e32 v90, v92, v146, vcc_lo
	v_mul_f32_e32 v92, v5, v144
	v_cmp_u_f32_e32 vcc_lo, v91, v91
	v_add3_u32 v144, v149, v145, 0x7fff
	v_or_b32_e32 v146, 0x400000, v145
	v_and_b32_e32 v90, 0xffff0000, v90
	v_lshlrev_b32_e32 v132, 16, v132
	s_wait_alu 0xfffd
	v_cndmask_b32_e32 v91, v147, v148, vcc_lo
	v_bfe_u32 v147, v92, 16, 1
	v_cmp_u_f32_e32 vcc_lo, v145, v145
	v_lshlrev_b32_e32 v139, 16, v139
	v_lshlrev_b32_e32 v130, 16, v130
	v_and_b32_e32 v88, 0xffff0000, v91
	v_add3_u32 v145, v147, v92, 0x7fff
	s_wait_alu 0xfffd
	v_cndmask_b32_e32 v144, v144, v146, vcc_lo
	v_or_b32_e32 v146, 0x400000, v92
	v_cmp_u_f32_e32 vcc_lo, v92, v92
	v_dual_add_f32 v88, v88, v90 :: v_dual_mul_f32 v139, v3, v139
	v_mul_f32_e32 v71, v4, v71
	v_mul_f32_e32 v65, v3, v65
	s_wait_alu 0xfffd
	v_cndmask_b32_e32 v91, v145, v146, vcc_lo
	v_mul_f32_e32 v63, v4, v63
	v_lshlrev_b32_e32 v55, 16, v55
	v_lshlrev_b32_e32 v45, 16, v45
	;; [unrolled: 1-line block ×3, first 2 shown]
	v_and_b32_e32 v90, 0xffff0000, v91
	v_and_b32_e32 v87, 0xffff0000, v87
	;; [unrolled: 1-line block ×3, first 2 shown]
	v_mul_f32_e32 v55, v4, v55
	v_dual_mul_f32 v40, v8, v40 :: v_dual_lshlrev_b32 v51, 16, v51
	s_delay_alu instid0(VALU_DEP_4)
	v_add_f32_e32 v87, v89, v87
	v_lshlrev_b32_e32 v89, 16, v143
	v_add_f32_e32 v90, v90, v91
	v_bfe_u32 v143, v137, 16, 1
	v_mul_f32_e32 v45, v1, v45
	v_add_f32_e32 v83, v87, v83
	v_mul_f32_e32 v87, v1, v89
	v_lshlrev_b32_e32 v89, 16, v142
	v_or_b32_e32 v142, 0x400000, v138
	s_delay_alu instid0(VALU_DEP_4) | instskip(NEXT) | instid1(VALU_DEP_4)
	v_dual_mul_f32 v128, v5, v128 :: v_dual_add_f32 v83, v88, v83
	v_bfe_u32 v92, v87, 16, 1
	s_delay_alu instid0(VALU_DEP_4)
	v_mul_f32_e32 v88, v6, v89
	v_lshlrev_b32_e32 v89, 16, v141
	v_cmp_u_f32_e32 vcc_lo, v87, v87
	v_lshlrev_b32_e32 v124, 16, v124
	v_add3_u32 v91, v92, v87, 0x7fff
	v_or_b32_e32 v92, 0x400000, v87
	v_mul_f32_e32 v89, v2, v89
	v_bfe_u32 v141, v88, 16, 1
	v_dual_mul_f32 v124, v7, v124 :: v_dual_mul_f32 v51, v2, v51
	v_lshlrev_b32_e32 v44, 16, v44
	s_wait_alu 0xfffd
	v_cndmask_b32_e32 v87, v91, v92, vcc_lo
	v_add3_u32 v91, v141, v88, 0x7fff
	v_or_b32_e32 v92, 0x400000, v88
	v_bfe_u32 v141, v89, 16, 1
	v_cmp_u_f32_e32 vcc_lo, v88, v88
	v_and_b32_e32 v87, 0xffff0000, v87
	v_dual_mul_f32 v44, v6, v44 :: v_dual_lshlrev_b32 v53, 16, v53
	s_wait_alu 0xfffd
	v_dual_cndmask_b32 v88, v91, v92 :: v_dual_lshlrev_b32 v49, 16, v49
	v_add3_u32 v91, v141, v89, 0x7fff
	v_or_b32_e32 v92, 0x400000, v89
	v_bfe_u32 v141, v140, 16, 1
	v_cmp_u_f32_e32 vcc_lo, v89, v89
	v_and_b32_e32 v88, 0xffff0000, v88
	v_dual_mul_f32 v53, v1, v53 :: v_dual_lshlrev_b32 v122, 16, v122
	v_dual_mul_f32 v49, v3, v49 :: v_dual_lshlrev_b32 v42, 16, v42
	s_wait_alu 0xfffd
	v_cndmask_b32_e32 v89, v91, v92, vcc_lo
	v_add3_u32 v91, v141, v140, 0x7fff
	v_or_b32_e32 v92, 0x400000, v140
	v_bfe_u32 v141, v139, 16, 1
	v_cmp_u_f32_e32 vcc_lo, v140, v140
	v_and_b32_e32 v89, 0xffff0000, v89
	v_add_f32_e32 v87, v88, v87
	v_mul_f32_e32 v122, v8, v122
	v_add3_u32 v140, v141, v139, 0x7fff
	s_wait_alu 0xfffd
	v_cndmask_b32_e32 v91, v91, v92, vcc_lo
	v_bfe_u32 v92, v138, 16, 1
	v_or_b32_e32 v141, 0x400000, v139
	v_cmp_u_f32_e32 vcc_lo, v139, v139
	v_lshlrev_b32_e32 v120, 16, v120
	v_and_b32_e32 v91, 0xffff0000, v91
	v_add3_u32 v92, v92, v138, 0x7fff
	v_lshlrev_b32_e32 v131, 16, v131
	s_wait_alu 0xfffd
	v_cndmask_b32_e32 v139, v140, v141, vcc_lo
	v_cmp_u_f32_e32 vcc_lo, v138, v138
	v_bfe_u32 v140, v136, 16, 1
	v_add3_u32 v138, v143, v137, 0x7fff
	v_or_b32_e32 v141, 0x400000, v137
	v_add_f32_e32 v88, v91, v89
	s_wait_alu 0xfffd
	v_cndmask_b32_e32 v92, v92, v142, vcc_lo
	v_add3_u32 v140, v140, v136, 0x7fff
	v_or_b32_e32 v142, 0x400000, v136
	v_cmp_u_f32_e32 vcc_lo, v136, v136
	v_and_b32_e32 v91, 0xffff0000, v139
	v_and_b32_e32 v89, 0xffff0000, v92
	v_add_f32_e32 v83, v90, v83
	v_add_f32_e32 v87, v88, v87
	s_wait_alu 0xfffd
	v_cndmask_b32_e32 v92, v140, v142, vcc_lo
	v_cmp_u_f32_e32 vcc_lo, v137, v137
	v_add_f32_e32 v88, v89, v91
	v_lshlrev_b32_e32 v89, 16, v135
	v_add_f32_e32 v23, v23, v83
	s_wait_alu 0xfffd
	v_dual_cndmask_b32 v136, v138, v141 :: v_dual_and_b32 v91, 0xffff0000, v92
	s_delay_alu instid0(VALU_DEP_3) | instskip(SKIP_1) | instid1(VALU_DEP_3)
	v_dual_mul_f32 v89, v1, v89 :: v_dual_lshlrev_b32 v92, 16, v134
	v_dual_add_f32 v87, v88, v87 :: v_dual_mul_f32 v120, v5, v120
	v_and_b32_e32 v134, 0xffff0000, v136
	s_delay_alu instid0(VALU_DEP_3) | instskip(NEXT) | instid1(VALU_DEP_4)
	v_mul_f32_e32 v88, v6, v92
	v_bfe_u32 v92, v89, 16, 1
	v_cmp_u_f32_e32 vcc_lo, v89, v89
	s_delay_alu instid0(VALU_DEP_4) | instskip(SKIP_3) | instid1(VALU_DEP_4)
	v_dual_add_f32 v90, v91, v134 :: v_dual_lshlrev_b32 v43, 16, v43
	v_lshlrev_b32_e32 v91, 16, v133
	v_bfe_u32 v83, v88, 16, 1
	v_or_b32_e32 v133, 0x400000, v88
	v_mul_f32_e32 v43, v2, v43
	v_add_f32_e32 v87, v90, v87
	v_mul_f32_e32 v90, v2, v91
	v_add3_u32 v91, v92, v89, 0x7fff
	v_or_b32_e32 v92, 0x400000, v89
	v_add3_u32 v83, v83, v88, 0x7fff
	v_add_f32_e32 v24, v24, v87
	v_bfe_u32 v134, v90, 16, 1
	v_lshlrev_b32_e32 v39, 16, v39
	s_wait_alu 0xfffd
	v_cndmask_b32_e32 v89, v91, v92, vcc_lo
	v_cmp_u_f32_e32 vcc_lo, v88, v88
	v_mul_f32_e32 v88, v7, v132
	v_add3_u32 v91, v134, v90, 0x7fff
	v_or_b32_e32 v92, 0x400000, v90
	v_bfe_u32 v134, v129, 16, 1
	s_wait_alu 0xfffd
	v_cndmask_b32_e32 v83, v83, v133, vcc_lo
	v_cmp_u_f32_e32 vcc_lo, v90, v90
	v_bfe_u32 v132, v88, 16, 1
	v_and_b32_e32 v89, 0xffff0000, v89
	v_mul_f32_e32 v39, v4, v39
	s_wait_alu 0xfffd
	v_dual_cndmask_b32 v90, v91, v92 :: v_dual_and_b32 v83, 0xffff0000, v83
	v_dual_mul_f32 v91, v3, v131 :: v_dual_mul_f32 v92, v8, v130
	v_add3_u32 v130, v132, v88, 0x7fff
	v_or_b32_e32 v131, 0x400000, v88
	v_cmp_u_f32_e32 vcc_lo, v88, v88
	s_delay_alu instid0(VALU_DEP_4)
	v_bfe_u32 v132, v91, 16, 1
	v_bfe_u32 v133, v92, 16, 1
	v_dual_add_f32 v83, v83, v89 :: v_dual_and_b32 v90, 0xffff0000, v90
	s_wait_alu 0xfffd
	v_cndmask_b32_e32 v88, v130, v131, vcc_lo
	v_add3_u32 v130, v132, v91, 0x7fff
	v_or_b32_e32 v131, 0x400000, v91
	v_cmp_u_f32_e32 vcc_lo, v91, v91
	v_add3_u32 v132, v133, v92, 0x7fff
	v_or_b32_e32 v133, 0x400000, v92
	v_and_b32_e32 v88, 0xffff0000, v88
	v_lshlrev_b32_e32 v13, 16, v13
	s_wait_alu 0xfffd
	v_cndmask_b32_e32 v91, v130, v131, vcc_lo
	v_cmp_u_f32_e32 vcc_lo, v92, v92
	v_add3_u32 v130, v134, v129, 0x7fff
	v_or_b32_e32 v131, 0x400000, v129
	v_add_f32_e32 v88, v88, v90
	v_lshlrev_b32_e32 v90, 16, v127
	s_wait_alu 0xfffd
	v_cndmask_b32_e32 v92, v132, v133, vcc_lo
	v_cmp_u_f32_e32 vcc_lo, v129, v129
	v_and_b32_e32 v91, 0xffff0000, v91
	v_or_b32_e32 v127, 0x400000, v128
	v_lshlrev_b32_e32 v110, 16, v110
	v_and_b32_e32 v89, 0xffff0000, v92
	s_wait_alu 0xfffd
	v_cndmask_b32_e32 v129, v130, v131, vcc_lo
	v_bfe_u32 v130, v128, 16, 1
	v_dual_add_f32 v83, v88, v83 :: v_dual_mul_f32 v88, v1, v90
	v_dual_add_f32 v89, v89, v91 :: v_dual_lshlrev_b32 v90, 16, v126
	s_delay_alu instid0(VALU_DEP_3) | instskip(SKIP_2) | instid1(VALU_DEP_4)
	v_add3_u32 v92, v130, v128, 0x7fff
	v_cmp_u_f32_e32 vcc_lo, v128, v128
	v_bfe_u32 v130, v120, 16, 1
	v_add_f32_e32 v83, v89, v83
	v_dual_mul_f32 v89, v6, v90 :: v_dual_lshlrev_b32 v90, 16, v125
	s_wait_alu 0xfffd
	v_cndmask_b32_e32 v91, v92, v127, vcc_lo
	v_bfe_u32 v92, v88, 16, 1
	v_or_b32_e32 v125, 0x400000, v88
	v_bfe_u32 v126, v89, 16, 1
	v_mul_f32_e32 v90, v2, v90
	v_cmp_u_f32_e32 vcc_lo, v88, v88
	v_add3_u32 v92, v92, v88, 0x7fff
	v_or_b32_e32 v127, 0x400000, v122
	v_bfe_u32 v128, v121, 16, 1
	v_lshlrev_b32_e32 v104, 16, v104
	v_lshlrev_b32_e32 v102, 16, v102
	s_wait_alu 0xfffd
	v_cndmask_b32_e32 v88, v92, v125, vcc_lo
	v_add3_u32 v92, v126, v89, 0x7fff
	v_or_b32_e32 v125, 0x400000, v89
	v_bfe_u32 v126, v90, 16, 1
	v_cmp_u_f32_e32 vcc_lo, v89, v89
	v_and_b32_e32 v88, 0xffff0000, v88
	v_dual_mul_f32 v104, v3, v104 :: v_dual_lshlrev_b32 v109, 16, v109
	v_mul_f32_e32 v102, v4, v102
	s_wait_alu 0xfffd
	v_cndmask_b32_e32 v89, v92, v125, vcc_lo
	v_add3_u32 v92, v126, v90, 0x7fff
	v_or_b32_e32 v125, 0x400000, v90
	v_bfe_u32 v126, v124, 16, 1
	v_cmp_u_f32_e32 vcc_lo, v90, v90
	v_and_b32_e32 v89, 0xffff0000, v89
	v_add_nc_u32_e32 v17, 4, v17
	v_add_co_u32 v11, s0, v11, 16
	s_wait_alu 0xfffd
	v_cndmask_b32_e32 v90, v92, v125, vcc_lo
	v_add3_u32 v92, v126, v124, 0x7fff
	v_or_b32_e32 v125, 0x400000, v124
	v_bfe_u32 v126, v123, 16, 1
	v_cmp_u_f32_e32 vcc_lo, v124, v124
	v_bfe_u32 v124, v122, 16, 1
	v_and_b32_e32 v90, 0xffff0000, v90
	v_dual_add_f32 v88, v89, v88 :: v_dual_add_nc_u32 v37, 0x200, v37
	s_wait_alu 0xfffd
	v_cndmask_b32_e32 v92, v92, v125, vcc_lo
	v_add3_u32 v125, v126, v123, 0x7fff
	v_or_b32_e32 v126, 0x400000, v123
	v_cmp_u_f32_e32 vcc_lo, v123, v123
	v_add3_u32 v124, v124, v122, 0x7fff
	v_and_b32_e32 v92, 0xffff0000, v92
	s_wait_alu 0xf1ff
	v_add_co_ci_u32_e64 v12, null, 0, v12, s0
	s_wait_alu 0xfffd
	v_cndmask_b32_e32 v123, v125, v126, vcc_lo
	v_cmp_u_f32_e32 vcc_lo, v122, v122
	v_add3_u32 v125, v130, v120, 0x7fff
	v_or_b32_e32 v126, 0x400000, v120
	s_delay_alu instid0(VALU_DEP_4)
	v_dual_add_f32 v89, v92, v90 :: v_dual_and_b32 v92, 0xffff0000, v123
	s_wait_alu 0xfffd
	v_cndmask_b32_e32 v122, v124, v127, vcc_lo
	v_cmp_u_f32_e32 vcc_lo, v120, v120
	v_add3_u32 v124, v128, v121, 0x7fff
	v_or_b32_e32 v127, 0x400000, v121
	v_add_f32_e32 v88, v89, v88
	v_and_b32_e32 v90, 0xffff0000, v122
	s_wait_alu 0xfffd
	v_cndmask_b32_e32 v120, v125, v126, vcc_lo
	v_cmp_u_f32_e32 vcc_lo, v121, v121
	v_and_b32_e32 v122, 0xffff0000, v129
	v_dual_add_f32 v89, v90, v92 :: v_dual_lshlrev_b32 v94, 16, v94
	s_wait_alu 0xfffd
	v_dual_cndmask_b32 v121, v124, v127 :: v_dual_and_b32 v90, 0xffff0000, v120
	v_cmp_u_f32_e32 vcc_lo, v15, v15
	s_delay_alu instid0(VALU_DEP_3) | instskip(SKIP_1) | instid1(VALU_DEP_4)
	v_dual_add_f32 v88, v89, v88 :: v_dual_lshlrev_b32 v105, 16, v105
	v_lshlrev_b32_e32 v86, 16, v86
	v_and_b32_e32 v92, 0xffff0000, v121
	v_and_b32_e32 v91, 0xffff0000, v91
	s_delay_alu instid0(VALU_DEP_4) | instskip(NEXT) | instid1(VALU_DEP_3)
	v_dual_mul_f32 v105, v7, v105 :: v_dual_lshlrev_b32 v82, 16, v82
	v_dual_mul_f32 v86, v1, v86 :: v_dual_add_f32 v89, v90, v92
	s_delay_alu instid0(VALU_DEP_3) | instskip(SKIP_1) | instid1(VALU_DEP_3)
	v_dual_add_f32 v91, v91, v122 :: v_dual_mul_f32 v90, v6, v116
	v_lshlrev_b32_e32 v92, 16, v113
	v_dual_mul_f32 v82, v7, v82 :: v_dual_add_f32 v87, v89, v88
	s_delay_alu instid0(VALU_DEP_3)
	v_add_f32_e32 v83, v91, v83
	v_bfe_u32 v88, v15, 16, 1
	v_lshlrev_b32_e32 v89, 16, v114
	v_or_b32_e32 v91, 0x400000, v90
	v_add_f32_e32 v26, v26, v87
	v_add_f32_e32 v25, v25, v83
	v_bfe_u32 v83, v90, 16, 1
	v_add3_u32 v87, v88, v15, 0x7fff
	v_or_b32_e32 v88, 0x400000, v15
	v_dual_mul_f32 v89, v2, v89 :: v_dual_lshlrev_b32 v84, 16, v84
	s_delay_alu instid0(VALU_DEP_4)
	v_add3_u32 v83, v83, v90, 0x7fff
	v_lshlrev_b32_e32 v80, 16, v80
	s_wait_alu 0xfffd
	v_cndmask_b32_e32 v15, v87, v88, vcc_lo
	v_bfe_u32 v87, v89, 16, 1
	v_cmp_u_f32_e32 vcc_lo, v90, v90
	v_mul_f32_e32 v88, v7, v92
	v_lshlrev_b32_e32 v90, 16, v112
	v_lshlrev_b32_e32 v92, 16, v111
	v_add3_u32 v87, v87, v89, 0x7fff
	s_wait_alu 0xfffd
	v_cndmask_b32_e32 v83, v83, v91, vcc_lo
	v_or_b32_e32 v91, 0x400000, v89
	v_bfe_u32 v111, v88, 16, 1
	v_mul_f32_e32 v90, v3, v90
	v_cmp_u_f32_e32 vcc_lo, v89, v89
	v_mul_f32_e32 v89, v8, v92
	v_or_b32_e32 v92, 0x400000, v88
	v_and_b32_e32 v83, 0xffff0000, v83
	v_and_b32_e32 v15, 0xffff0000, v15
	s_wait_alu 0xfffd
	v_cndmask_b32_e32 v87, v87, v91, vcc_lo
	v_add3_u32 v91, v111, v88, 0x7fff
	v_bfe_u32 v111, v90, 16, 1
	v_cmp_u_f32_e32 vcc_lo, v88, v88
	v_bfe_u32 v112, v89, 16, 1
	v_and_b32_e32 v87, 0xffff0000, v87
	v_dual_add_f32 v15, v83, v15 :: v_dual_mul_f32 v84, v2, v84
	s_wait_alu 0xfffd
	v_cndmask_b32_e32 v88, v91, v92, vcc_lo
	v_add3_u32 v91, v111, v90, 0x7fff
	v_mul_f32_e32 v92, v4, v110
	v_or_b32_e32 v110, 0x400000, v90
	v_cmp_u_f32_e32 vcc_lo, v90, v90
	v_add3_u32 v111, v112, v89, 0x7fff
	v_or_b32_e32 v112, 0x400000, v89
	v_bfe_u32 v113, v92, 16, 1
	v_and_b32_e32 v88, 0xffff0000, v88
	s_wait_alu 0xfffd
	v_dual_cndmask_b32 v90, v91, v110 :: v_dual_mul_f32 v91, v5, v109
	v_cmp_u_f32_e32 vcc_lo, v89, v89
	v_add3_u32 v109, v113, v92, 0x7fff
	v_or_b32_e32 v110, 0x400000, v92
	v_dual_add_f32 v83, v88, v87 :: v_dual_lshlrev_b32 v88, 16, v108
	s_wait_alu 0xfffd
	v_cndmask_b32_e32 v89, v111, v112, vcc_lo
	v_bfe_u32 v111, v91, 16, 1
	v_cmp_u_f32_e32 vcc_lo, v92, v92
	v_add_f32_e32 v15, v83, v15
	v_mul_f32_e32 v83, v1, v88
	v_and_b32_e32 v87, 0xffff0000, v89
	v_and_b32_e32 v89, 0xffff0000, v90
	s_wait_alu 0xfffd
	v_cndmask_b32_e32 v92, v109, v110, vcc_lo
	v_add3_u32 v109, v111, v91, 0x7fff
	v_or_b32_e32 v110, 0x400000, v91
	v_cmp_u_f32_e32 vcc_lo, v91, v91
	v_dual_add_f32 v87, v87, v89 :: v_dual_lshlrev_b32 v88, 16, v107
	v_bfe_u32 v91, v83, 16, 1
	v_bfe_u32 v107, v102, 16, 1
	s_wait_alu 0xfffd
	s_delay_alu instid0(VALU_DEP_3) | instskip(SKIP_2) | instid1(VALU_DEP_3)
	v_dual_cndmask_b32 v90, v109, v110 :: v_dual_add_f32 v15, v87, v15
	v_dual_mul_f32 v87, v6, v88 :: v_dual_lshlrev_b32 v88, 16, v106
	v_cmp_u_f32_e32 vcc_lo, v83, v83
	v_and_b32_e32 v89, 0xffff0000, v90
	v_and_b32_e32 v90, 0xffff0000, v92
	s_delay_alu instid0(VALU_DEP_4)
	v_bfe_u32 v92, v87, 16, 1
	v_mul_f32_e32 v88, v2, v88
	v_mul_f32_e32 v80, v8, v80
	v_lshlrev_b32_e32 v78, 16, v78
	v_add_f32_e32 v89, v89, v90
	v_add3_u32 v90, v91, v83, 0x7fff
	v_or_b32_e32 v91, 0x400000, v83
	v_lshlrev_b32_e32 v76, 16, v76
	v_mul_f32_e32 v78, v5, v78
	v_dual_add_f32 v15, v89, v15 :: v_dual_lshlrev_b32 v74, 16, v74
	s_wait_alu 0xfffd
	v_cndmask_b32_e32 v83, v90, v91, vcc_lo
	v_add3_u32 v90, v92, v87, 0x7fff
	v_or_b32_e32 v91, 0x400000, v87
	v_bfe_u32 v92, v88, 16, 1
	v_cmp_u_f32_e32 vcc_lo, v87, v87
	v_and_b32_e32 v83, 0xffff0000, v83
	v_dual_add_f32 v27, v27, v15 :: v_dual_mul_f32 v76, v6, v76
	s_wait_alu 0xfffd
	v_dual_mul_f32 v74, v7, v74 :: v_dual_cndmask_b32 v87, v90, v91
	v_add3_u32 v90, v92, v88, 0x7fff
	v_or_b32_e32 v91, 0x400000, v88
	v_bfe_u32 v92, v105, 16, 1
	v_cmp_u_f32_e32 vcc_lo, v88, v88
	v_and_b32_e32 v87, 0xffff0000, v87
	v_lshlrev_b32_e32 v72, 16, v72
	v_lshlrev_b32_e32 v70, 16, v70
	s_wait_alu 0xfffd
	v_dual_cndmask_b32 v88, v90, v91 :: v_dual_lshlrev_b32 v85, 16, v85
	v_add3_u32 v90, v92, v105, 0x7fff
	v_or_b32_e32 v91, 0x400000, v105
	v_mul_f32_e32 v92, v8, v103
	v_bfe_u32 v103, v104, 16, 1
	v_cmp_u_f32_e32 vcc_lo, v105, v105
	v_or_b32_e32 v105, 0x400000, v104
	v_and_b32_e32 v88, 0xffff0000, v88
	v_or_b32_e32 v106, 0x400000, v92
	v_add3_u32 v103, v103, v104, 0x7fff
	s_wait_alu 0xfffd
	v_cndmask_b32_e32 v90, v90, v91, vcc_lo
	v_bfe_u32 v91, v92, 16, 1
	v_cmp_u_f32_e32 vcc_lo, v104, v104
	v_bfe_u32 v104, v101, 16, 1
	s_delay_alu instid0(VALU_DEP_4) | instskip(NEXT) | instid1(VALU_DEP_4)
	v_dual_add_f32 v83, v87, v83 :: v_dual_and_b32 v90, 0xffff0000, v90
	v_add3_u32 v91, v91, v92, 0x7fff
	s_wait_alu 0xfffd
	v_cndmask_b32_e32 v103, v103, v105, vcc_lo
	v_cmp_u_f32_e32 vcc_lo, v92, v92
	v_add3_u32 v104, v104, v101, 0x7fff
	v_add3_u32 v92, v107, v102, 0x7fff
	v_or_b32_e32 v105, 0x400000, v102
	v_add_f32_e32 v87, v90, v88
	s_wait_alu 0xfffd
	v_cndmask_b32_e32 v91, v91, v106, vcc_lo
	v_or_b32_e32 v106, 0x400000, v101
	v_cmp_u_f32_e32 vcc_lo, v101, v101
	v_and_b32_e32 v90, 0xffff0000, v103
	v_add_f32_e32 v83, v87, v83
	v_and_b32_e32 v88, 0xffff0000, v91
	v_mul_f32_e32 v72, v8, v72
	s_wait_alu 0xfffd
	v_cndmask_b32_e32 v91, v104, v106, vcc_lo
	v_cmp_u_f32_e32 vcc_lo, v102, v102
	v_mul_f32_e32 v70, v5, v70
	v_dual_add_f32 v87, v88, v90 :: v_dual_lshlrev_b32 v88, 16, v100
	s_delay_alu instid0(VALU_DEP_4) | instskip(SKIP_2) | instid1(VALU_DEP_3)
	v_and_b32_e32 v90, 0xffff0000, v91
	s_wait_alu 0xfffd
	v_dual_cndmask_b32 v92, v92, v105 :: v_dual_lshlrev_b32 v91, 16, v99
	v_dual_add_f32 v83, v87, v83 :: v_dual_mul_f32 v88, v1, v88
	s_delay_alu instid0(VALU_DEP_2) | instskip(NEXT) | instid1(VALU_DEP_3)
	v_dual_mul_f32 v85, v6, v85 :: v_dual_and_b32 v92, 0xffff0000, v92
	v_dual_mul_f32 v87, v6, v91 :: v_dual_mul_f32 v66, v7, v66
	s_delay_alu instid0(VALU_DEP_3) | instskip(SKIP_1) | instid1(VALU_DEP_4)
	v_bfe_u32 v91, v88, 16, 1
	v_cmp_u_f32_e32 vcc_lo, v88, v88
	v_dual_add_f32 v89, v90, v92 :: v_dual_lshlrev_b32 v90, 16, v98
	s_delay_alu instid0(VALU_DEP_4) | instskip(SKIP_1) | instid1(VALU_DEP_3)
	v_bfe_u32 v15, v87, 16, 1
	v_or_b32_e32 v92, 0x400000, v87
	v_dual_add_f32 v83, v89, v83 :: v_dual_lshlrev_b32 v64, 16, v64
	s_delay_alu instid0(VALU_DEP_4)
	v_mul_f32_e32 v89, v2, v90
	v_add3_u32 v90, v91, v88, 0x7fff
	v_or_b32_e32 v91, 0x400000, v88
	v_add3_u32 v15, v15, v87, 0x7fff
	v_mul_f32_e32 v93, v5, v93
	v_bfe_u32 v98, v89, 16, 1
	v_mul_f32_e32 v64, v8, v64
	s_wait_alu 0xfffd
	v_cndmask_b32_e32 v88, v90, v91, vcc_lo
	v_cmp_u_f32_e32 vcc_lo, v87, v87
	v_mul_f32_e32 v87, v7, v97
	v_add3_u32 v90, v98, v89, 0x7fff
	v_or_b32_e32 v91, 0x400000, v89
	v_and_b32_e32 v88, 0xffff0000, v88
	s_wait_alu 0xfffd
	v_cndmask_b32_e32 v15, v15, v92, vcc_lo
	v_lshlrev_b32_e32 v92, 16, v96
	v_cmp_u_f32_e32 vcc_lo, v89, v89
	v_bfe_u32 v96, v87, 16, 1
	v_lshlrev_b32_e32 v62, 16, v62
	v_and_b32_e32 v15, 0xffff0000, v15
	v_lshlrev_b32_e32 v75, 16, v75
	s_wait_alu 0xfffd
	v_dual_cndmask_b32 v89, v90, v91 :: v_dual_mul_f32 v90, v3, v92
	v_mul_f32_e32 v91, v8, v95
	v_add3_u32 v92, v96, v87, 0x7fff
	v_or_b32_e32 v95, 0x400000, v87
	v_cmp_u_f32_e32 vcc_lo, v87, v87
	v_bfe_u32 v96, v90, 16, 1
	v_bfe_u32 v97, v91, 16, 1
	v_and_b32_e32 v89, 0xffff0000, v89
	v_add_f32_e32 v15, v15, v88
	s_wait_alu 0xfffd
	v_cndmask_b32_e32 v87, v92, v95, vcc_lo
	v_mul_f32_e32 v92, v4, v94
	v_add3_u32 v94, v96, v90, 0x7fff
	v_or_b32_e32 v95, 0x400000, v90
	v_cmp_u_f32_e32 vcc_lo, v90, v90
	v_add3_u32 v96, v97, v91, 0x7fff
	v_or_b32_e32 v97, 0x400000, v91
	v_bfe_u32 v98, v92, 16, 1
	v_and_b32_e32 v87, 0xffff0000, v87
	s_wait_alu 0xfffd
	v_cndmask_b32_e32 v90, v94, v95, vcc_lo
	v_cmp_u_f32_e32 vcc_lo, v91, v91
	v_or_b32_e32 v95, 0x400000, v92
	v_add3_u32 v94, v98, v92, 0x7fff
	v_add_f32_e32 v87, v87, v89
	v_and_b32_e32 v89, 0xffff0000, v90
	s_wait_alu 0xfffd
	v_cndmask_b32_e32 v91, v96, v97, vcc_lo
	v_cmp_u_f32_e32 vcc_lo, v92, v92
	v_dual_mul_f32 v62, v5, v62 :: v_dual_add_f32 v15, v87, v15
	v_mul_f32_e32 v75, v2, v75
	s_delay_alu instid0(VALU_DEP_4)
	v_and_b32_e32 v88, 0xffff0000, v91
	s_wait_alu 0xfffd
	v_cndmask_b32_e32 v92, v94, v95, vcc_lo
	v_bfe_u32 v94, v93, 16, 1
	v_or_b32_e32 v91, 0x400000, v93
	v_cmp_u_f32_e32 vcc_lo, v93, v93
	v_add_f32_e32 v87, v88, v89
	v_bfe_u32 v89, v86, 16, 1
	v_add3_u32 v90, v94, v93, 0x7fff
	v_bfe_u32 v94, v78, 16, 1
	v_bfe_u32 v93, v79, 16, 1
	v_dual_add_f32 v15, v87, v15 :: v_dual_mul_f32 v60, v6, v60
	s_wait_alu 0xfffd
	v_cndmask_b32_e32 v88, v90, v91, vcc_lo
	v_bfe_u32 v90, v85, 16, 1
	v_cmp_u_f32_e32 vcc_lo, v86, v86
	v_or_b32_e32 v91, 0x400000, v80
	v_lshlrev_b32_e32 v58, 16, v58
	v_and_b32_e32 v87, 0xffff0000, v88
	v_add3_u32 v88, v89, v86, 0x7fff
	v_or_b32_e32 v89, 0x400000, v86
	v_lshlrev_b32_e32 v56, 16, v56
	v_dual_mul_f32 v58, v7, v58 :: v_dual_lshlrev_b32 v69, 16, v69
	v_lshlrev_b32_e32 v54, 16, v54
	s_wait_alu 0xfffd
	v_cndmask_b32_e32 v86, v88, v89, vcc_lo
	v_add3_u32 v88, v90, v85, 0x7fff
	v_or_b32_e32 v89, 0x400000, v85
	v_bfe_u32 v90, v84, 16, 1
	v_cmp_u_f32_e32 vcc_lo, v85, v85
	v_and_b32_e32 v86, 0xffff0000, v86
	v_dual_mul_f32 v56, v8, v56 :: v_dual_mul_f32 v69, v1, v69
	s_wait_alu 0xfffd
	v_dual_mul_f32 v54, v5, v54 :: v_dual_cndmask_b32 v85, v88, v89
	v_add3_u32 v88, v90, v84, 0x7fff
	v_or_b32_e32 v89, 0x400000, v84
	v_bfe_u32 v90, v82, 16, 1
	v_cmp_u_f32_e32 vcc_lo, v84, v84
	v_dual_mul_f32 v52, v6, v52 :: v_dual_and_b32 v85, 0xffff0000, v85
	v_mul_f32_e32 v50, v7, v50
	v_lshlrev_b32_e32 v48, 16, v48
	s_wait_alu 0xfffd
	v_cndmask_b32_e32 v84, v88, v89, vcc_lo
	v_add3_u32 v88, v90, v82, 0x7fff
	v_or_b32_e32 v89, 0x400000, v82
	v_bfe_u32 v90, v81, 16, 1
	v_cmp_u_f32_e32 vcc_lo, v82, v82
	v_dual_add_f32 v85, v85, v86 :: v_dual_and_b32 v84, 0xffff0000, v84
	v_dual_mul_f32 v59, v2, v59 :: v_dual_lshlrev_b32 v46, 16, v46
	s_wait_alu 0xfffd
	v_cndmask_b32_e32 v82, v88, v89, vcc_lo
	v_bfe_u32 v88, v80, 16, 1
	v_add3_u32 v89, v90, v81, 0x7fff
	v_or_b32_e32 v90, 0x400000, v81
	v_cmp_u_f32_e32 vcc_lo, v81, v81
	v_and_b32_e32 v82, 0xffff0000, v82
	v_add3_u32 v88, v88, v80, 0x7fff
	v_mul_f32_e32 v46, v5, v46
	s_wait_alu 0xfffd
	v_dual_mul_f32 v48, v8, v48 :: v_dual_cndmask_b32 v81, v89, v90
	v_cmp_u_f32_e32 vcc_lo, v80, v80
	v_add3_u32 v89, v94, v78, 0x7fff
	v_or_b32_e32 v90, 0x400000, v78
	s_delay_alu instid0(VALU_DEP_4)
	v_dual_add_f32 v82, v82, v84 :: v_dual_and_b32 v81, 0xffff0000, v81
	s_wait_alu 0xfffd
	v_cndmask_b32_e32 v80, v88, v91, vcc_lo
	v_cmp_u_f32_e32 vcc_lo, v78, v78
	v_add3_u32 v88, v93, v79, 0x7fff
	v_or_b32_e32 v91, 0x400000, v79
	v_and_b32_e32 v84, 0xffff0000, v92
	v_and_b32_e32 v80, 0xffff0000, v80
	s_wait_alu 0xfffd
	v_cndmask_b32_e32 v78, v89, v90, vcc_lo
	v_cmp_u_f32_e32 vcc_lo, v79, v79
	v_add_f32_e32 v82, v82, v85
	v_add_f32_e32 v28, v28, v83
	;; [unrolled: 1-line block ×3, first 2 shown]
	s_wait_alu 0xfffd
	v_dual_cndmask_b32 v79, v88, v91 :: v_dual_and_b32 v78, 0xffff0000, v78
	v_add_f32_e32 v81, v87, v84
	v_cmp_u_f32_e32 vcc_lo, v77, v77
	v_add_f32_e32 v80, v80, v82
	s_delay_alu instid0(VALU_DEP_4) | instskip(NEXT) | instid1(VALU_DEP_4)
	v_dual_mul_f32 v42, v7, v42 :: v_dual_and_b32 v79, 0xffff0000, v79
	v_add_f32_e32 v15, v81, v15
	v_bfe_u32 v81, v71, 16, 1
	v_lshlrev_b32_e32 v38, 16, v38
	v_lshlrev_b32_e32 v47, 16, v47
	v_add_f32_e32 v78, v78, v79
	v_bfe_u32 v79, v77, 16, 1
	v_add_f32_e32 v29, v29, v15
	v_bfe_u32 v15, v76, 16, 1
	v_mul_f32_e32 v38, v5, v38
	v_add_f32_e32 v78, v78, v80
	v_or_b32_e32 v80, 0x400000, v76
	v_mul_f32_e32 v47, v4, v47
	v_add3_u32 v15, v15, v76, 0x7fff
	v_lshlrev_b32_e32 v0, 16, v0
	v_add_f32_e32 v30, v30, v78
	v_add3_u32 v78, v79, v77, 0x7fff
	v_or_b32_e32 v79, 0x400000, v77
	s_delay_alu instid0(VALU_DEP_4) | instskip(SKIP_2) | instid1(VALU_DEP_3)
	v_dual_mul_f32 v0, v7, v0 :: v_dual_lshlrev_b32 v41, 16, v41
	v_mul_f32_e32 v4, v4, v13
	s_wait_alu 0xfffd
	v_dual_cndmask_b32 v77, v78, v79 :: v_dual_add_nc_u32 v36, 0x80, v36
	v_bfe_u32 v78, v75, 16, 1
	v_cmp_u_f32_e32 vcc_lo, v76, v76
	v_bfe_u32 v79, v74, 16, 1
	v_mul_f32_e32 v41, v3, v41
	v_and_b32_e32 v77, 0xffff0000, v77
	v_add3_u32 v76, v78, v75, 0x7fff
	s_wait_alu 0xfffd
	v_cndmask_b32_e32 v15, v15, v80, vcc_lo
	v_or_b32_e32 v78, 0x400000, v75
	v_cmp_u_f32_e32 vcc_lo, v75, v75
	v_bfe_u32 v80, v72, 16, 1
	s_delay_alu instid0(VALU_DEP_4)
	v_and_b32_e32 v15, 0xffff0000, v15
	s_wait_alu 0xfffd
	v_cndmask_b32_e32 v75, v76, v78, vcc_lo
	v_add3_u32 v76, v79, v74, 0x7fff
	v_or_b32_e32 v78, 0x400000, v74
	v_bfe_u32 v79, v73, 16, 1
	v_cmp_u_f32_e32 vcc_lo, v74, v74
	v_and_b32_e32 v75, 0xffff0000, v75
	s_wait_alu 0xfffd
	v_dual_add_f32 v15, v15, v77 :: v_dual_cndmask_b32 v74, v76, v78
	v_add3_u32 v76, v79, v73, 0x7fff
	v_or_b32_e32 v78, 0x400000, v73
	v_cmp_u_f32_e32 vcc_lo, v73, v73
	v_add3_u32 v79, v80, v72, 0x7fff
	v_or_b32_e32 v80, 0x400000, v72
	v_and_b32_e32 v74, 0xffff0000, v74
	s_wait_alu 0xfffd
	v_cndmask_b32_e32 v73, v76, v78, vcc_lo
	v_cmp_u_f32_e32 vcc_lo, v72, v72
	v_add3_u32 v76, v81, v71, 0x7fff
	v_or_b32_e32 v78, 0x400000, v71
	s_delay_alu instid0(VALU_DEP_4)
	v_dual_add_f32 v74, v74, v75 :: v_dual_and_b32 v73, 0xffff0000, v73
	s_wait_alu 0xfffd
	v_cndmask_b32_e32 v72, v79, v80, vcc_lo
	v_bfe_u32 v79, v70, 16, 1
	v_cmp_u_f32_e32 vcc_lo, v71, v71
	v_add_f32_e32 v15, v74, v15
	v_or_b32_e32 v74, 0x400000, v68
	v_and_b32_e32 v72, 0xffff0000, v72
	v_bfe_u32 v75, v63, 16, 1
	s_wait_alu 0xfffd
	v_cndmask_b32_e32 v71, v76, v78, vcc_lo
	v_add3_u32 v76, v79, v70, 0x7fff
	v_or_b32_e32 v78, 0x400000, v70
	v_cmp_u_f32_e32 vcc_lo, v70, v70
	s_delay_alu instid0(VALU_DEP_4) | instskip(SKIP_3) | instid1(VALU_DEP_3)
	v_dual_add_f32 v72, v72, v73 :: v_dual_and_b32 v71, 0xffff0000, v71
	v_bfe_u32 v73, v69, 16, 1
	s_wait_alu 0xfffd
	v_cndmask_b32_e32 v70, v76, v78, vcc_lo
	v_add_f32_e32 v15, v72, v15
	v_bfe_u32 v72, v68, 16, 1
	v_cmp_u_f32_e32 vcc_lo, v69, v69
	s_delay_alu instid0(VALU_DEP_4) | instskip(NEXT) | instid1(VALU_DEP_3)
	v_and_b32_e32 v70, 0xffff0000, v70
	v_add3_u32 v72, v72, v68, 0x7fff
	s_delay_alu instid0(VALU_DEP_2) | instskip(SKIP_2) | instid1(VALU_DEP_3)
	v_add_f32_e32 v70, v70, v71
	v_add3_u32 v71, v73, v69, 0x7fff
	v_or_b32_e32 v73, 0x400000, v69
	v_add_f32_e32 v15, v70, v15
	s_wait_alu 0xfffd
	s_delay_alu instid0(VALU_DEP_2)
	v_cndmask_b32_e32 v69, v71, v73, vcc_lo
	v_bfe_u32 v71, v67, 16, 1
	v_cmp_u_f32_e32 vcc_lo, v68, v68
	v_bfe_u32 v73, v66, 16, 1
	v_add_f32_e32 v31, v31, v15
	v_and_b32_e32 v69, 0xffff0000, v69
	v_add3_u32 v71, v71, v67, 0x7fff
	s_wait_alu 0xfffd
	v_cndmask_b32_e32 v68, v72, v74, vcc_lo
	v_or_b32_e32 v72, 0x400000, v67
	v_cmp_u_f32_e32 vcc_lo, v67, v67
	v_bfe_u32 v74, v64, 16, 1
	s_delay_alu instid0(VALU_DEP_4)
	v_and_b32_e32 v68, 0xffff0000, v68
	s_wait_alu 0xfffd
	v_cndmask_b32_e32 v67, v71, v72, vcc_lo
	v_add3_u32 v71, v73, v66, 0x7fff
	v_or_b32_e32 v72, 0x400000, v66
	v_bfe_u32 v73, v65, 16, 1
	v_cmp_u_f32_e32 vcc_lo, v66, v66
	v_dual_add_f32 v68, v68, v69 :: v_dual_and_b32 v67, 0xffff0000, v67
	s_wait_alu 0xfffd
	v_cndmask_b32_e32 v66, v71, v72, vcc_lo
	v_add3_u32 v71, v73, v65, 0x7fff
	v_or_b32_e32 v72, 0x400000, v65
	v_cmp_u_f32_e32 vcc_lo, v65, v65
	v_add3_u32 v73, v74, v64, 0x7fff
	v_or_b32_e32 v74, 0x400000, v64
	s_wait_alu 0xfffd
	v_dual_cndmask_b32 v65, v71, v72 :: v_dual_and_b32 v66, 0xffff0000, v66
	v_cmp_u_f32_e32 vcc_lo, v64, v64
	v_add3_u32 v71, v75, v63, 0x7fff
	v_or_b32_e32 v72, 0x400000, v63
	s_delay_alu instid0(VALU_DEP_4)
	v_dual_add_f32 v66, v66, v67 :: v_dual_and_b32 v65, 0xffff0000, v65
	s_wait_alu 0xfffd
	v_cndmask_b32_e32 v64, v73, v74, vcc_lo
	v_bfe_u32 v73, v62, 16, 1
	v_cmp_u_f32_e32 vcc_lo, v63, v63
	v_add_f32_e32 v66, v66, v68
	s_delay_alu instid0(VALU_DEP_4)
	v_and_b32_e32 v64, 0xffff0000, v64
	s_wait_alu 0xfffd
	v_cndmask_b32_e32 v63, v71, v72, vcc_lo
	v_add3_u32 v71, v73, v62, 0x7fff
	v_or_b32_e32 v72, 0x400000, v62
	v_cmp_u_f32_e32 vcc_lo, v62, v62
	s_delay_alu instid0(VALU_DEP_4) | instskip(SKIP_3) | instid1(VALU_DEP_3)
	v_dual_add_f32 v64, v64, v65 :: v_dual_and_b32 v63, 0xffff0000, v63
	v_bfe_u32 v65, v60, 16, 1
	s_wait_alu 0xfffd
	v_cndmask_b32_e32 v62, v71, v72, vcc_lo
	v_add_f32_e32 v64, v64, v66
	v_cmp_u_f32_e32 vcc_lo, v61, v61
	v_bfe_u32 v66, v55, 16, 1
	s_delay_alu instid0(VALU_DEP_4) | instskip(NEXT) | instid1(VALU_DEP_1)
	v_and_b32_e32 v62, 0xffff0000, v62
	v_add_f32_e32 v62, v62, v63
	v_bfe_u32 v63, v61, 16, 1
	s_delay_alu instid0(VALU_DEP_2) | instskip(NEXT) | instid1(VALU_DEP_2)
	v_add_f32_e32 v15, v62, v64
	v_add3_u32 v62, v63, v61, 0x7fff
	v_or_b32_e32 v63, 0x400000, v61
	v_add3_u32 v64, v65, v60, 0x7fff
	v_or_b32_e32 v65, 0x400000, v60
	v_add_f32_e32 v32, v32, v15
	s_wait_alu 0xfffd
	v_cndmask_b32_e32 v61, v62, v63, vcc_lo
	v_bfe_u32 v62, v59, 16, 1
	v_cmp_u_f32_e32 vcc_lo, v60, v60
	v_or_b32_e32 v63, 0x400000, v59
	s_delay_alu instid0(VALU_DEP_4) | instskip(NEXT) | instid1(VALU_DEP_4)
	v_and_b32_e32 v61, 0xffff0000, v61
	v_add3_u32 v62, v62, v59, 0x7fff
	s_wait_alu 0xfffd
	v_cndmask_b32_e32 v60, v64, v65, vcc_lo
	v_bfe_u32 v64, v58, 16, 1
	v_cmp_u_f32_e32 vcc_lo, v59, v59
	v_bfe_u32 v65, v56, 16, 1
	s_wait_alu 0xfffd
	v_dual_cndmask_b32 v59, v62, v63 :: v_dual_and_b32 v60, 0xffff0000, v60
	v_add3_u32 v62, v64, v58, 0x7fff
	v_or_b32_e32 v63, 0x400000, v58
	v_cmp_u_f32_e32 vcc_lo, v58, v58
	s_delay_alu instid0(VALU_DEP_4) | instskip(SKIP_1) | instid1(VALU_DEP_3)
	v_dual_add_f32 v60, v60, v61 :: v_dual_and_b32 v59, 0xffff0000, v59
	s_wait_alu 0xfffd
	v_cndmask_b32_e32 v58, v62, v63, vcc_lo
	s_delay_alu instid0(VALU_DEP_1) | instskip(NEXT) | instid1(VALU_DEP_1)
	v_and_b32_e32 v58, 0xffff0000, v58
	v_add_f32_e32 v58, v58, v59
	v_or_b32_e32 v59, 0x400000, v52
	s_delay_alu instid0(VALU_DEP_2) | instskip(SKIP_1) | instid1(VALU_DEP_2)
	v_dual_add_f32 v58, v58, v60 :: v_dual_lshlrev_b32 v57, 16, v57
	v_bfe_u32 v60, v51, 16, 1
	v_mul_f32_e32 v57, v3, v57
	s_delay_alu instid0(VALU_DEP_1) | instskip(SKIP_2) | instid1(VALU_DEP_3)
	v_bfe_u32 v64, v57, 16, 1
	v_or_b32_e32 v63, 0x400000, v57
	v_cmp_u_f32_e32 vcc_lo, v57, v57
	v_add3_u32 v62, v64, v57, 0x7fff
	v_add3_u32 v64, v65, v56, 0x7fff
	v_or_b32_e32 v65, 0x400000, v56
	s_wait_alu 0xfffd
	s_delay_alu instid0(VALU_DEP_3) | instskip(SKIP_3) | instid1(VALU_DEP_4)
	v_cndmask_b32_e32 v57, v62, v63, vcc_lo
	v_cmp_u_f32_e32 vcc_lo, v56, v56
	v_add3_u32 v62, v66, v55, 0x7fff
	v_or_b32_e32 v63, 0x400000, v55
	v_and_b32_e32 v57, 0xffff0000, v57
	s_wait_alu 0xfffd
	v_cndmask_b32_e32 v56, v64, v65, vcc_lo
	v_bfe_u32 v64, v54, 16, 1
	v_cmp_u_f32_e32 vcc_lo, v55, v55
	s_wait_alu 0xfffd
	s_delay_alu instid0(VALU_DEP_3) | instskip(NEXT) | instid1(VALU_DEP_3)
	v_dual_cndmask_b32 v55, v62, v63 :: v_dual_and_b32 v56, 0xffff0000, v56
	v_add3_u32 v62, v64, v54, 0x7fff
	v_or_b32_e32 v63, 0x400000, v54
	v_cmp_u_f32_e32 vcc_lo, v54, v54
	s_delay_alu instid0(VALU_DEP_4) | instskip(SKIP_3) | instid1(VALU_DEP_3)
	v_dual_add_f32 v56, v56, v57 :: v_dual_and_b32 v55, 0xffff0000, v55
	v_bfe_u32 v57, v53, 16, 1
	s_wait_alu 0xfffd
	v_cndmask_b32_e32 v54, v62, v63, vcc_lo
	v_add_f32_e32 v56, v56, v58
	v_bfe_u32 v58, v52, 16, 1
	v_cmp_u_f32_e32 vcc_lo, v53, v53
	s_delay_alu instid0(VALU_DEP_4) | instskip(NEXT) | instid1(VALU_DEP_3)
	v_and_b32_e32 v54, 0xffff0000, v54
	v_add3_u32 v58, v58, v52, 0x7fff
	s_delay_alu instid0(VALU_DEP_2) | instskip(SKIP_3) | instid1(VALU_DEP_1)
	v_add_f32_e32 v54, v54, v55
	v_add3_u32 v55, v57, v53, 0x7fff
	v_or_b32_e32 v57, 0x400000, v53
	s_wait_alu 0xfffd
	v_cndmask_b32_e32 v53, v55, v57, vcc_lo
	v_cmp_u_f32_e32 vcc_lo, v52, v52
	v_add3_u32 v55, v60, v51, 0x7fff
	v_or_b32_e32 v57, 0x400000, v51
	v_bfe_u32 v60, v47, 16, 1
	s_wait_alu 0xfffd
	v_dual_cndmask_b32 v52, v58, v59 :: v_dual_and_b32 v53, 0xffff0000, v53
	v_bfe_u32 v58, v50, 16, 1
	v_cmp_u_f32_e32 vcc_lo, v51, v51
	v_bfe_u32 v59, v48, 16, 1
	s_wait_alu 0xfffd
	v_dual_cndmask_b32 v51, v55, v57 :: v_dual_and_b32 v52, 0xffff0000, v52
	v_add3_u32 v55, v58, v50, 0x7fff
	v_or_b32_e32 v57, 0x400000, v50
	v_bfe_u32 v58, v49, 16, 1
	v_cmp_u_f32_e32 vcc_lo, v50, v50
	v_dual_add_f32 v52, v52, v53 :: v_dual_and_b32 v51, 0xffff0000, v51
	v_or_b32_e32 v53, 0x400000, v46
	s_wait_alu 0xfffd
	v_cndmask_b32_e32 v50, v55, v57, vcc_lo
	v_add3_u32 v55, v58, v49, 0x7fff
	v_or_b32_e32 v57, 0x400000, v49
	v_cmp_u_f32_e32 vcc_lo, v49, v49
	v_add3_u32 v58, v59, v48, 0x7fff
	v_or_b32_e32 v59, 0x400000, v48
	s_wait_alu 0xfffd
	v_dual_cndmask_b32 v49, v55, v57 :: v_dual_and_b32 v50, 0xffff0000, v50
	v_cmp_u_f32_e32 vcc_lo, v48, v48
	v_add3_u32 v55, v60, v47, 0x7fff
	v_or_b32_e32 v57, 0x400000, v47
	s_delay_alu instid0(VALU_DEP_4) | instskip(SKIP_3) | instid1(VALU_DEP_3)
	v_dual_add_f32 v50, v50, v51 :: v_dual_and_b32 v49, 0xffff0000, v49
	s_wait_alu 0xfffd
	v_cndmask_b32_e32 v48, v58, v59, vcc_lo
	v_cmp_u_f32_e32 vcc_lo, v47, v47
	v_add_f32_e32 v50, v50, v52
	v_or_b32_e32 v52, 0x400000, v43
	s_wait_alu 0xfffd
	v_dual_cndmask_b32 v47, v55, v57 :: v_dual_and_b32 v48, 0xffff0000, v48
	v_bfe_u32 v55, v46, 16, 1
	v_cmp_u_f32_e32 vcc_lo, v46, v46
	s_delay_alu instid0(VALU_DEP_3) | instskip(SKIP_1) | instid1(VALU_DEP_4)
	v_add_f32_e32 v48, v48, v49
	v_bfe_u32 v49, v45, 16, 1
	v_add3_u32 v51, v55, v46, 0x7fff
	s_delay_alu instid0(VALU_DEP_3) | instskip(NEXT) | instid1(VALU_DEP_3)
	v_add_f32_e32 v48, v48, v50
	v_add3_u32 v49, v49, v45, 0x7fff
	s_wait_alu 0xfffd
	s_delay_alu instid0(VALU_DEP_3) | instskip(SKIP_3) | instid1(VALU_DEP_4)
	v_cndmask_b32_e32 v46, v51, v53, vcc_lo
	v_or_b32_e32 v50, 0x400000, v45
	v_bfe_u32 v51, v44, 16, 1
	v_cmp_u_f32_e32 vcc_lo, v45, v45
	v_and_b32_e32 v46, 0xffff0000, v46
	v_lshlrev_b32_e32 v7, 16, v16
	s_wait_alu 0xfffd
	v_cndmask_b32_e32 v45, v49, v50, vcc_lo
	v_bfe_u32 v49, v43, 16, 1
	v_add3_u32 v50, v51, v44, 0x7fff
	v_or_b32_e32 v51, 0x400000, v44
	v_cmp_u_f32_e32 vcc_lo, v44, v44
	v_mul_f32_e32 v2, v2, v7
	v_add3_u32 v49, v49, v43, 0x7fff
	v_lshlrev_b32_e32 v7, 16, v117
	s_wait_alu 0xfffd
	v_dual_cndmask_b32 v44, v50, v51 :: v_dual_and_b32 v45, 0xffff0000, v45
	v_bfe_u32 v50, v42, 16, 1
	v_cmp_u_f32_e32 vcc_lo, v43, v43
	v_or_b32_e32 v51, 0x400000, v42
	v_mul_f32_e32 v7, v8, v7
	v_lshlrev_b32_e32 v8, 16, v115
	v_add3_u32 v50, v50, v42, 0x7fff
	s_wait_alu 0xfffd
	v_cndmask_b32_e32 v43, v49, v52, vcc_lo
	v_bfe_u32 v49, v41, 16, 1
	v_cmp_u_f32_e32 vcc_lo, v42, v42
	v_or_b32_e32 v52, 0x400000, v41
	v_dual_mul_f32 v3, v3, v8 :: v_dual_lshlrev_b32 v8, 16, v14
	s_delay_alu instid0(VALU_DEP_4)
	v_add3_u32 v49, v49, v41, 0x7fff
	s_wait_alu 0xfffd
	v_cndmask_b32_e32 v42, v50, v51, vcc_lo
	v_cmp_u_f32_e32 vcc_lo, v41, v41
	v_bfe_u32 v50, v40, 16, 1
	v_bfe_u32 v51, v39, 16, 1
	v_and_b32_e32 v44, 0xffff0000, v44
	s_wait_alu 0xfffd
	v_dual_cndmask_b32 v41, v49, v52 :: v_dual_and_b32 v42, 0xffff0000, v42
	v_add3_u32 v49, v50, v40, 0x7fff
	v_or_b32_e32 v50, 0x400000, v40
	v_cmp_u_f32_e32 vcc_lo, v40, v40
	v_add3_u32 v51, v51, v39, 0x7fff
	v_or_b32_e32 v52, 0x400000, v39
	v_dual_add_f32 v44, v44, v45 :: v_dual_and_b32 v43, 0xffff0000, v43
	s_wait_alu 0xfffd
	v_cndmask_b32_e32 v40, v49, v50, vcc_lo
	v_cmp_u_f32_e32 vcc_lo, v39, v39
	v_bfe_u32 v49, v38, 16, 1
	v_add_f32_e32 v42, v42, v43
	v_or_b32_e32 v50, 0x400000, v38
	v_and_b32_e32 v40, 0xffff0000, v40
	s_wait_alu 0xfffd
	v_cndmask_b32_e32 v39, v51, v52, vcc_lo
	v_lshlrev_b32_e32 v51, 16, v119
	v_add3_u32 v49, v49, v38, 0x7fff
	v_and_b32_e32 v41, 0xffff0000, v41
	v_lshlrev_b32_e32 v43, 16, v118
	v_cmp_u_f32_e32 vcc_lo, v38, v38
	v_mul_f32_e32 v6, v6, v51
	v_dual_add_f32 v42, v42, v44 :: v_dual_and_b32 v47, 0xffff0000, v47
	v_add_f32_e32 v40, v40, v41
	s_wait_alu 0xfffd
	v_cndmask_b32_e32 v38, v49, v50, vcc_lo
	v_bfe_u32 v44, v6, 16, 1
	v_mul_f32_e32 v1, v1, v43
	v_or_b32_e32 v43, 0x400000, v6
	v_cmp_u_f32_e32 vcc_lo, v6, v6
	v_and_b32_e32 v38, 0xffff0000, v38
	v_add3_u32 v41, v44, v6, 0x7fff
	v_mul_f32_e32 v5, v5, v8
	s_wait_alu 0xfffd
	s_delay_alu instid0(VALU_DEP_2) | instskip(SKIP_1) | instid1(VALU_DEP_2)
	v_cndmask_b32_e32 v6, v41, v43, vcc_lo
	v_bfe_u32 v43, v0, 16, 1
	v_and_b32_e32 v6, 0xffff0000, v6
	v_bfe_u32 v44, v1, 16, 1
	v_or_b32_e32 v41, 0x400000, v1
	v_cmp_u_f32_e32 vcc_lo, v1, v1
	s_delay_alu instid0(VALU_DEP_3) | instskip(SKIP_1) | instid1(VALU_DEP_1)
	v_add3_u32 v16, v44, v1, 0x7fff
	s_wait_alu 0xfffd
	v_cndmask_b32_e32 v1, v16, v41, vcc_lo
	v_add3_u32 v16, v43, v0, 0x7fff
	v_or_b32_e32 v41, 0x400000, v0
	v_bfe_u32 v43, v2, 16, 1
	v_cmp_u_f32_e32 vcc_lo, v0, v0
	s_wait_alu 0xfffd
	s_delay_alu instid0(VALU_DEP_3) | instskip(NEXT) | instid1(VALU_DEP_3)
	v_cndmask_b32_e32 v0, v16, v41, vcc_lo
	v_add3_u32 v16, v43, v2, 0x7fff
	v_or_b32_e32 v41, 0x400000, v2
	v_cmp_u_f32_e32 vcc_lo, v2, v2
	s_delay_alu instid0(VALU_DEP_4)
	v_and_b32_e32 v0, 0xffff0000, v0
	v_bfe_u32 v43, v7, 16, 1
	v_or_b32_e32 v8, 0x400000, v7
	s_wait_alu 0xfffd
	v_cndmask_b32_e32 v2, v16, v41, vcc_lo
	v_cmp_u_f32_e32 vcc_lo, v7, v7
	v_add3_u32 v16, v43, v7, 0x7fff
	v_bfe_u32 v43, v4, 16, 1
	s_delay_alu instid0(VALU_DEP_4) | instskip(NEXT) | instid1(VALU_DEP_1)
	v_and_b32_e32 v2, 0xffff0000, v2
	v_dual_add_f32 v0, v0, v2 :: v_dual_and_b32 v1, 0xffff0000, v1
	s_delay_alu instid0(VALU_DEP_1) | instskip(SKIP_1) | instid1(VALU_DEP_2)
	v_dual_add_f32 v1, v6, v1 :: v_dual_and_b32 v6, 0xffff0000, v39
	v_bfe_u32 v14, v3, 16, 1
	v_add_f32_e32 v0, v0, v1
	s_delay_alu instid0(VALU_DEP_3) | instskip(NEXT) | instid1(VALU_DEP_3)
	v_add_f32_e32 v6, v38, v6
	v_add3_u32 v13, v14, v3, 0x7fff
	v_or_b32_e32 v14, 0x400000, v3
	s_wait_alu 0xfffd
	v_cndmask_b32_e32 v7, v16, v8, vcc_lo
	v_cmp_u_f32_e32 vcc_lo, v3, v3
	s_wait_alu 0xfffd
	v_cndmask_b32_e32 v3, v13, v14, vcc_lo
	v_add3_u32 v13, v43, v4, 0x7fff
	v_or_b32_e32 v14, 0x400000, v4
	v_cmp_u_f32_e32 vcc_lo, v4, v4
	s_delay_alu instid0(VALU_DEP_4)
	v_and_b32_e32 v2, 0xffff0000, v3
	v_bfe_u32 v41, v5, 16, 1
	v_or_b32_e32 v16, 0x400000, v5
	s_wait_alu 0xfffd
	v_cndmask_b32_e32 v4, v13, v14, vcc_lo
	v_cmp_u_f32_e32 vcc_lo, v5, v5
	v_and_b32_e32 v3, 0xffff0000, v7
	v_add3_u32 v8, v41, v5, 0x7fff
	s_delay_alu instid0(VALU_DEP_2) | instskip(SKIP_1) | instid1(VALU_DEP_2)
	v_add_f32_e32 v1, v3, v2
	s_wait_alu 0xfffd
	v_cndmask_b32_e32 v5, v8, v16, vcc_lo
	v_and_b32_e32 v2, 0xffff0000, v4
	v_add_f32_e32 v4, v46, v47
	v_cmp_le_i32_e32 vcc_lo, s17, v17
	s_delay_alu instid0(VALU_DEP_4) | instskip(SKIP_2) | instid1(VALU_DEP_2)
	v_dual_add_f32 v0, v1, v0 :: v_dual_and_b32 v3, 0xffff0000, v5
	v_add_f32_e32 v5, v40, v42
	s_or_b32 s6, vcc_lo, s6
	v_dual_add_f32 v1, v3, v2 :: v_dual_add_f32 v2, v54, v56
	s_delay_alu instid0(VALU_DEP_2) | instskip(NEXT) | instid1(VALU_DEP_2)
	v_dual_add_f32 v3, v4, v48 :: v_dual_add_f32 v4, v6, v5
	v_add_f32_e32 v0, v1, v0
	s_delay_alu instid0(VALU_DEP_2) | instskip(NEXT) | instid1(VALU_DEP_3)
	v_dual_add_f32 v34, v34, v2 :: v_dual_add_f32 v35, v35, v3
	v_add_f32_e32 v33, v33, v4
	s_delay_alu instid0(VALU_DEP_3)
	v_add_f32_e32 v21, v21, v0
	s_wait_alu 0xfffe
	s_and_not1_b32 exec_lo, exec_lo, s6
	s_cbranch_execz .LBB363_59
.LBB363_29:                             ; =>This Inner Loop Header: Depth=1
	global_load_b32 v0, v[11:12], off
	s_wait_alu 0xfffe
	v_cmp_eq_u32_e32 vcc_lo, s30, v17
	v_add_nc_u32_e32 v89, -4, v36
	v_add_nc_u32_e32 v87, -2, v36
	;; [unrolled: 1-line block ×3, first 2 shown]
	s_wait_loadcnt 0x0
	v_mad_co_i64_i32 v[13:14], null, v0, s3, v[9:10]
	global_load_b64 v[15:16], v[13:14], off
	ds_load_2addr_b64 v[5:8], v37 offset1:1
	ds_load_2addr_b64 v[1:4], v37 offset0:2 offset1:3
	s_wait_loadcnt 0x0
	v_bfe_u32 v41, v16, 8, 8
	v_bfe_u32 v38, v15, 8, 8
	;; [unrolled: 1-line block ×3, first 2 shown]
	v_and_b32_e32 v40, 0xff, v16
	v_bfe_u32 v42, v16, 16, 8
	v_cvt_f32_fp8_e32 v41, v41
	v_and_b32_e32 v0, 0xff, v15
	v_cvt_f32_fp8_e32 v38, v38
	v_add_nc_u32_e32 v83, -7, v36
	v_lshrrev_b32_e32 v15, 24, v15
	v_mul_f32_e32 v41, s2, v41
	v_cvt_f32_fp8_e32 v0, v0
	v_cvt_f32_fp8_e32 v39, v39
	v_mul_f32_e32 v38, s2, v38
	v_add_nc_u32_e32 v90, -5, v36
	v_cvt_f32_fp8_e32 v15, v15
	s_delay_alu instid0(VALU_DEP_4) | instskip(NEXT) | instid1(VALU_DEP_4)
	v_dual_mul_f32 v0, s2, v0 :: v_dual_mul_f32 v39, s2, v39
	v_bfe_u32 v45, v38, 16, 1
	s_delay_alu instid0(VALU_DEP_3) | instskip(NEXT) | instid1(VALU_DEP_3)
	v_dual_mul_f32 v15, s2, v15 :: v_dual_add_nc_u32 v88, -3, v36
	v_bfe_u32 v43, v0, 16, 1
	v_or_b32_e32 v44, 0x400000, v0
	v_cmp_u_f32_e64 s0, v0, v0
	v_cvt_f32_fp8_e32 v40, v40
	v_or_b32_e32 v46, 0x400000, v38
	v_add3_u32 v43, v43, v0, 0x7fff
	v_bfe_u32 v47, v39, 16, 1
	v_add3_u32 v45, v45, v38, 0x7fff
	v_mul_f32_e32 v40, s2, v40
	v_or_b32_e32 v48, 0x400000, v39
	s_wait_alu 0xf1ff
	v_cndmask_b32_e64 v0, v43, v44, s0
	v_cmp_u_f32_e64 s0, v38, v38
	v_bfe_u32 v49, v15, 16, 1
	v_add3_u32 v47, v47, v39, 0x7fff
	v_lshrrev_b32_e32 v16, 24, v16
	v_cvt_f32_fp8_e32 v42, v42
	s_wait_alu 0xf1ff
	v_cndmask_b32_e64 v38, v45, v46, s0
	v_cmp_u_f32_e64 s0, v39, v39
	v_or_b32_e32 v50, 0x400000, v15
	v_bfe_u32 v51, v40, 16, 1
	v_add3_u32 v49, v49, v15, 0x7fff
	v_dual_mul_f32 v42, s2, v42 :: v_dual_add_nc_u32 v91, -6, v36
	s_wait_alu 0xf1ff
	v_cndmask_b32_e64 v39, v47, v48, s0
	v_cmp_u_f32_e64 s0, v15, v15
	v_cvt_f32_fp8_e32 v16, v16
	v_or_b32_e32 v52, 0x400000, v40
	v_bfe_u32 v53, v41, 16, 1
	v_add3_u32 v51, v51, v40, 0x7fff
	s_wait_alu 0xf1ff
	v_cndmask_b32_e64 v15, v49, v50, s0
	v_cmp_u_f32_e64 s0, v40, v40
	v_mul_f32_e32 v16, s2, v16
	v_or_b32_e32 v54, 0x400000, v41
	v_bfe_u32 v55, v42, 16, 1
	v_add3_u32 v53, v53, v41, 0x7fff
	s_wait_alu 0xf1ff
	v_cndmask_b32_e64 v40, v51, v52, s0
	v_cmp_u_f32_e64 s0, v41, v41
	v_or_b32_e32 v56, 0x400000, v42
	v_bfe_u32 v57, v16, 16, 1
	v_add3_u32 v55, v55, v42, 0x7fff
	v_or_b32_e32 v58, 0x400000, v16
	s_wait_alu 0xf1ff
	v_cndmask_b32_e64 v41, v53, v54, s0
	v_cmp_u_f32_e64 s0, v42, v42
	v_add3_u32 v57, v57, v16, 0x7fff
	v_lshrrev_b32_e32 v44, 16, v0
	v_lshrrev_b32_e32 v45, 16, v38
	;; [unrolled: 1-line block ×3, first 2 shown]
	s_wait_alu 0xf1ff
	v_cndmask_b32_e64 v46, v55, v56, s0
	v_cmp_u_f32_e64 s0, v16, v16
	v_lshrrev_b32_e32 v43, 16, v15
	v_lshrrev_b32_e32 v40, 16, v40
	;; [unrolled: 1-line block ×4, first 2 shown]
	s_wait_alu 0xf1ff
	v_cndmask_b32_e64 v16, v57, v58, s0
	s_delay_alu instid0(VALU_DEP_1)
	v_lshrrev_b32_e32 v39, 16, v16
	s_and_saveexec_b32 s7, vcc_lo
	s_cbranch_execz .LBB363_31
; %bb.30:                               ;   in Loop: Header=BB363_29 Depth=1
	v_cmp_gt_i32_e64 s0, s27, v83
	s_wait_alu 0xf1ff
	s_delay_alu instid0(VALU_DEP_1) | instskip(SKIP_2) | instid1(VALU_DEP_1)
	v_cndmask_b32_e64 v44, 0, v44, s0
	v_cmp_gt_i32_e64 s0, s27, v91
	s_wait_alu 0xf1ff
	v_cndmask_b32_e64 v45, 0, v45, s0
	v_cmp_gt_i32_e64 s0, s27, v90
	s_wait_alu 0xf1ff
	s_delay_alu instid0(VALU_DEP_1) | instskip(SKIP_2) | instid1(VALU_DEP_1)
	v_cndmask_b32_e64 v42, 0, v42, s0
	v_cmp_gt_i32_e64 s0, s27, v89
	s_wait_alu 0xf1ff
	v_cndmask_b32_e64 v43, 0, v43, s0
	;; [unrolled: 7-line block ×4, first 2 shown]
.LBB363_31:                             ;   in Loop: Header=BB363_29 Depth=1
	s_wait_alu 0xfffe
	s_or_b32 exec_lo, exec_lo, s7
	global_load_b64 v[15:16], v[13:14], off offset:256
	s_wait_loadcnt 0x0
	v_bfe_u32 v49, v16, 8, 8
	v_bfe_u32 v46, v15, 8, 8
	;; [unrolled: 1-line block ×4, first 2 shown]
	s_delay_alu instid0(VALU_DEP_4)
	v_cvt_f32_fp8_e32 v49, v49
	v_and_b32_e32 v0, 0xff, v15
	v_lshrrev_b32_e32 v15, 24, v15
	v_cvt_f32_fp8_e32 v46, v46
	v_cvt_f32_fp8_e32 v47, v47
	v_mul_f32_e32 v49, s2, v49
	v_cvt_f32_fp8_e32 v0, v0
	v_cvt_f32_fp8_e32 v15, v15
	v_mul_f32_e32 v46, s2, v46
	v_dual_mul_f32 v47, s2, v47 :: v_dual_and_b32 v48, 0xff, v16
	s_delay_alu instid0(VALU_DEP_3) | instskip(NEXT) | instid1(VALU_DEP_3)
	v_dual_mul_f32 v0, s2, v0 :: v_dual_mul_f32 v15, s2, v15
	v_bfe_u32 v53, v46, 16, 1
	s_delay_alu instid0(VALU_DEP_3) | instskip(SKIP_1) | instid1(VALU_DEP_4)
	v_cvt_f32_fp8_e32 v48, v48
	v_or_b32_e32 v54, 0x400000, v46
	v_bfe_u32 v51, v0, 16, 1
	v_or_b32_e32 v52, 0x400000, v0
	v_cmp_u_f32_e64 s0, v0, v0
	v_bfe_u32 v55, v47, 16, 1
	v_add3_u32 v53, v53, v46, 0x7fff
	v_add3_u32 v51, v51, v0, 0x7fff
	v_mul_f32_e32 v48, s2, v48
	v_or_b32_e32 v56, 0x400000, v47
	v_bfe_u32 v57, v15, 16, 1
	v_add3_u32 v55, v55, v47, 0x7fff
	s_wait_alu 0xf1ff
	v_cndmask_b32_e64 v0, v51, v52, s0
	v_cmp_u_f32_e64 s0, v46, v46
	v_lshrrev_b32_e32 v16, 24, v16
	v_cvt_f32_fp8_e32 v50, v50
	v_or_b32_e32 v58, 0x400000, v15
	v_bfe_u32 v59, v48, 16, 1
	s_wait_alu 0xf1ff
	v_cndmask_b32_e64 v46, v53, v54, s0
	v_cmp_u_f32_e64 s0, v47, v47
	v_add3_u32 v57, v57, v15, 0x7fff
	v_cvt_f32_fp8_e32 v16, v16
	v_mul_f32_e32 v50, s2, v50
	v_or_b32_e32 v60, 0x400000, v48
	s_wait_alu 0xf1ff
	v_cndmask_b32_e64 v47, v55, v56, s0
	v_cmp_u_f32_e64 s0, v15, v15
	v_bfe_u32 v61, v49, 16, 1
	v_add3_u32 v59, v59, v48, 0x7fff
	v_mul_f32_e32 v16, s2, v16
	v_or_b32_e32 v62, 0x400000, v49
	s_wait_alu 0xf1ff
	v_cndmask_b32_e64 v15, v57, v58, s0
	v_cmp_u_f32_e64 s0, v48, v48
	v_bfe_u32 v63, v50, 16, 1
	v_add3_u32 v61, v61, v49, 0x7fff
	v_or_b32_e32 v64, 0x400000, v50
	v_bfe_u32 v65, v16, 16, 1
	s_wait_alu 0xf1ff
	v_cndmask_b32_e64 v48, v59, v60, s0
	v_cmp_u_f32_e64 s0, v49, v49
	v_add3_u32 v63, v63, v50, 0x7fff
	v_or_b32_e32 v66, 0x400000, v16
	v_add3_u32 v65, v65, v16, 0x7fff
	v_lshrrev_b32_e32 v52, 16, v0
	s_wait_alu 0xf1ff
	v_cndmask_b32_e64 v49, v61, v62, s0
	v_cmp_u_f32_e64 s0, v50, v50
	v_lshrrev_b32_e32 v53, 16, v46
	v_lshrrev_b32_e32 v50, 16, v47
	;; [unrolled: 1-line block ×4, first 2 shown]
	s_wait_alu 0xf1ff
	v_cndmask_b32_e64 v54, v63, v64, s0
	v_cmp_u_f32_e64 s0, v16, v16
	v_lshrrev_b32_e32 v49, 16, v49
	s_delay_alu instid0(VALU_DEP_3) | instskip(SKIP_1) | instid1(VALU_DEP_3)
	v_lshrrev_b32_e32 v46, 16, v54
	s_wait_alu 0xf1ff
	v_cndmask_b32_e64 v16, v65, v66, s0
	s_delay_alu instid0(VALU_DEP_1)
	v_lshrrev_b32_e32 v47, 16, v16
	s_and_saveexec_b32 s7, vcc_lo
	s_cbranch_execz .LBB363_33
; %bb.32:                               ;   in Loop: Header=BB363_29 Depth=1
	v_cmp_gt_i32_e64 s0, s27, v83
	s_wait_alu 0xf1ff
	s_delay_alu instid0(VALU_DEP_1) | instskip(SKIP_2) | instid1(VALU_DEP_1)
	v_cndmask_b32_e64 v52, 0, v52, s0
	v_cmp_gt_i32_e64 s0, s27, v91
	s_wait_alu 0xf1ff
	v_cndmask_b32_e64 v53, 0, v53, s0
	v_cmp_gt_i32_e64 s0, s27, v90
	s_wait_alu 0xf1ff
	s_delay_alu instid0(VALU_DEP_1) | instskip(SKIP_2) | instid1(VALU_DEP_1)
	v_cndmask_b32_e64 v50, 0, v50, s0
	v_cmp_gt_i32_e64 s0, s27, v89
	s_wait_alu 0xf1ff
	v_cndmask_b32_e64 v51, 0, v51, s0
	;; [unrolled: 7-line block ×4, first 2 shown]
.LBB363_33:                             ;   in Loop: Header=BB363_29 Depth=1
	s_wait_alu 0xfffe
	s_or_b32 exec_lo, exec_lo, s7
	global_load_b64 v[15:16], v[13:14], off offset:512
	s_wait_loadcnt 0x0
	v_bfe_u32 v57, v16, 8, 8
	v_bfe_u32 v54, v15, 8, 8
	;; [unrolled: 1-line block ×4, first 2 shown]
	s_delay_alu instid0(VALU_DEP_4)
	v_cvt_f32_fp8_e32 v57, v57
	v_and_b32_e32 v0, 0xff, v15
	v_lshrrev_b32_e32 v15, 24, v15
	v_cvt_f32_fp8_e32 v54, v54
	v_cvt_f32_fp8_e32 v55, v55
	v_mul_f32_e32 v57, s2, v57
	v_cvt_f32_fp8_e32 v0, v0
	v_cvt_f32_fp8_e32 v15, v15
	v_mul_f32_e32 v54, s2, v54
	v_dual_mul_f32 v55, s2, v55 :: v_dual_and_b32 v56, 0xff, v16
	s_delay_alu instid0(VALU_DEP_3) | instskip(NEXT) | instid1(VALU_DEP_3)
	v_dual_mul_f32 v0, s2, v0 :: v_dual_mul_f32 v15, s2, v15
	v_bfe_u32 v61, v54, 16, 1
	s_delay_alu instid0(VALU_DEP_3) | instskip(SKIP_1) | instid1(VALU_DEP_4)
	v_cvt_f32_fp8_e32 v56, v56
	v_or_b32_e32 v62, 0x400000, v54
	v_bfe_u32 v59, v0, 16, 1
	v_or_b32_e32 v60, 0x400000, v0
	v_cmp_u_f32_e64 s0, v0, v0
	v_bfe_u32 v63, v55, 16, 1
	v_add3_u32 v61, v61, v54, 0x7fff
	v_add3_u32 v59, v59, v0, 0x7fff
	v_mul_f32_e32 v56, s2, v56
	v_or_b32_e32 v64, 0x400000, v55
	v_bfe_u32 v65, v15, 16, 1
	v_add3_u32 v63, v63, v55, 0x7fff
	s_wait_alu 0xf1ff
	v_cndmask_b32_e64 v0, v59, v60, s0
	v_cmp_u_f32_e64 s0, v54, v54
	v_lshrrev_b32_e32 v16, 24, v16
	v_cvt_f32_fp8_e32 v58, v58
	v_or_b32_e32 v66, 0x400000, v15
	v_bfe_u32 v67, v56, 16, 1
	s_wait_alu 0xf1ff
	v_cndmask_b32_e64 v54, v61, v62, s0
	v_cmp_u_f32_e64 s0, v55, v55
	v_add3_u32 v65, v65, v15, 0x7fff
	v_cvt_f32_fp8_e32 v16, v16
	v_mul_f32_e32 v58, s2, v58
	v_or_b32_e32 v68, 0x400000, v56
	s_wait_alu 0xf1ff
	v_cndmask_b32_e64 v55, v63, v64, s0
	v_cmp_u_f32_e64 s0, v15, v15
	v_bfe_u32 v69, v57, 16, 1
	v_add3_u32 v67, v67, v56, 0x7fff
	v_mul_f32_e32 v16, s2, v16
	v_or_b32_e32 v70, 0x400000, v57
	s_wait_alu 0xf1ff
	v_cndmask_b32_e64 v15, v65, v66, s0
	v_cmp_u_f32_e64 s0, v56, v56
	v_bfe_u32 v71, v58, 16, 1
	v_add3_u32 v69, v69, v57, 0x7fff
	v_or_b32_e32 v72, 0x400000, v58
	v_bfe_u32 v73, v16, 16, 1
	s_wait_alu 0xf1ff
	v_cndmask_b32_e64 v56, v67, v68, s0
	v_cmp_u_f32_e64 s0, v57, v57
	v_add3_u32 v71, v71, v58, 0x7fff
	v_or_b32_e32 v74, 0x400000, v16
	v_add3_u32 v73, v73, v16, 0x7fff
	v_lshrrev_b32_e32 v60, 16, v0
	s_wait_alu 0xf1ff
	v_cndmask_b32_e64 v57, v69, v70, s0
	v_cmp_u_f32_e64 s0, v58, v58
	v_lshrrev_b32_e32 v61, 16, v54
	v_lshrrev_b32_e32 v58, 16, v55
	;; [unrolled: 1-line block ×4, first 2 shown]
	s_wait_alu 0xf1ff
	v_cndmask_b32_e64 v62, v71, v72, s0
	v_cmp_u_f32_e64 s0, v16, v16
	v_lshrrev_b32_e32 v57, 16, v57
	s_delay_alu instid0(VALU_DEP_3) | instskip(SKIP_1) | instid1(VALU_DEP_3)
	v_lshrrev_b32_e32 v54, 16, v62
	s_wait_alu 0xf1ff
	v_cndmask_b32_e64 v16, v73, v74, s0
	s_delay_alu instid0(VALU_DEP_1)
	v_lshrrev_b32_e32 v55, 16, v16
	s_and_saveexec_b32 s7, vcc_lo
	s_cbranch_execz .LBB363_35
; %bb.34:                               ;   in Loop: Header=BB363_29 Depth=1
	v_cmp_gt_i32_e64 s0, s27, v83
	s_wait_alu 0xf1ff
	s_delay_alu instid0(VALU_DEP_1) | instskip(SKIP_2) | instid1(VALU_DEP_1)
	v_cndmask_b32_e64 v60, 0, v60, s0
	v_cmp_gt_i32_e64 s0, s27, v91
	s_wait_alu 0xf1ff
	v_cndmask_b32_e64 v61, 0, v61, s0
	v_cmp_gt_i32_e64 s0, s27, v90
	s_wait_alu 0xf1ff
	s_delay_alu instid0(VALU_DEP_1) | instskip(SKIP_2) | instid1(VALU_DEP_1)
	v_cndmask_b32_e64 v58, 0, v58, s0
	v_cmp_gt_i32_e64 s0, s27, v89
	s_wait_alu 0xf1ff
	v_cndmask_b32_e64 v59, 0, v59, s0
	;; [unrolled: 7-line block ×4, first 2 shown]
.LBB363_35:                             ;   in Loop: Header=BB363_29 Depth=1
	s_wait_alu 0xfffe
	s_or_b32 exec_lo, exec_lo, s7
	global_load_b64 v[15:16], v[13:14], off offset:768
	s_wait_loadcnt 0x0
	v_bfe_u32 v65, v16, 8, 8
	v_bfe_u32 v62, v15, 8, 8
	;; [unrolled: 1-line block ×4, first 2 shown]
	s_delay_alu instid0(VALU_DEP_4)
	v_cvt_f32_fp8_e32 v65, v65
	v_and_b32_e32 v0, 0xff, v15
	v_lshrrev_b32_e32 v15, 24, v15
	v_cvt_f32_fp8_e32 v62, v62
	v_cvt_f32_fp8_e32 v63, v63
	v_mul_f32_e32 v65, s2, v65
	v_cvt_f32_fp8_e32 v0, v0
	v_cvt_f32_fp8_e32 v15, v15
	v_mul_f32_e32 v62, s2, v62
	v_dual_mul_f32 v63, s2, v63 :: v_dual_and_b32 v64, 0xff, v16
	s_delay_alu instid0(VALU_DEP_3) | instskip(NEXT) | instid1(VALU_DEP_3)
	v_dual_mul_f32 v0, s2, v0 :: v_dual_mul_f32 v15, s2, v15
	v_bfe_u32 v69, v62, 16, 1
	s_delay_alu instid0(VALU_DEP_3) | instskip(SKIP_1) | instid1(VALU_DEP_4)
	v_cvt_f32_fp8_e32 v64, v64
	v_or_b32_e32 v70, 0x400000, v62
	v_bfe_u32 v67, v0, 16, 1
	v_or_b32_e32 v68, 0x400000, v0
	v_cmp_u_f32_e64 s0, v0, v0
	v_bfe_u32 v71, v63, 16, 1
	v_add3_u32 v69, v69, v62, 0x7fff
	v_add3_u32 v67, v67, v0, 0x7fff
	v_mul_f32_e32 v64, s2, v64
	v_or_b32_e32 v72, 0x400000, v63
	v_bfe_u32 v73, v15, 16, 1
	v_add3_u32 v71, v71, v63, 0x7fff
	s_wait_alu 0xf1ff
	v_cndmask_b32_e64 v0, v67, v68, s0
	v_cmp_u_f32_e64 s0, v62, v62
	v_lshrrev_b32_e32 v16, 24, v16
	v_cvt_f32_fp8_e32 v66, v66
	v_or_b32_e32 v74, 0x400000, v15
	v_bfe_u32 v75, v64, 16, 1
	s_wait_alu 0xf1ff
	v_cndmask_b32_e64 v62, v69, v70, s0
	v_cmp_u_f32_e64 s0, v63, v63
	v_add3_u32 v73, v73, v15, 0x7fff
	v_cvt_f32_fp8_e32 v16, v16
	v_mul_f32_e32 v66, s2, v66
	v_or_b32_e32 v76, 0x400000, v64
	s_wait_alu 0xf1ff
	v_cndmask_b32_e64 v63, v71, v72, s0
	v_cmp_u_f32_e64 s0, v15, v15
	v_bfe_u32 v77, v65, 16, 1
	v_add3_u32 v75, v75, v64, 0x7fff
	v_mul_f32_e32 v16, s2, v16
	v_or_b32_e32 v78, 0x400000, v65
	s_wait_alu 0xf1ff
	v_cndmask_b32_e64 v15, v73, v74, s0
	v_cmp_u_f32_e64 s0, v64, v64
	v_bfe_u32 v79, v66, 16, 1
	v_add3_u32 v77, v77, v65, 0x7fff
	v_or_b32_e32 v80, 0x400000, v66
	v_bfe_u32 v81, v16, 16, 1
	s_wait_alu 0xf1ff
	v_cndmask_b32_e64 v64, v75, v76, s0
	v_cmp_u_f32_e64 s0, v65, v65
	v_add3_u32 v79, v79, v66, 0x7fff
	v_or_b32_e32 v82, 0x400000, v16
	v_add3_u32 v81, v81, v16, 0x7fff
	v_lshrrev_b32_e32 v68, 16, v0
	s_wait_alu 0xf1ff
	v_cndmask_b32_e64 v65, v77, v78, s0
	v_cmp_u_f32_e64 s0, v66, v66
	v_lshrrev_b32_e32 v69, 16, v62
	v_lshrrev_b32_e32 v66, 16, v63
	;; [unrolled: 1-line block ×4, first 2 shown]
	s_wait_alu 0xf1ff
	v_cndmask_b32_e64 v70, v79, v80, s0
	v_cmp_u_f32_e64 s0, v16, v16
	v_lshrrev_b32_e32 v65, 16, v65
	s_delay_alu instid0(VALU_DEP_3) | instskip(SKIP_1) | instid1(VALU_DEP_3)
	v_lshrrev_b32_e32 v62, 16, v70
	s_wait_alu 0xf1ff
	v_cndmask_b32_e64 v16, v81, v82, s0
	s_delay_alu instid0(VALU_DEP_1)
	v_lshrrev_b32_e32 v63, 16, v16
	s_and_saveexec_b32 s7, vcc_lo
	s_cbranch_execz .LBB363_37
; %bb.36:                               ;   in Loop: Header=BB363_29 Depth=1
	v_cmp_gt_i32_e64 s0, s27, v83
	s_wait_alu 0xf1ff
	s_delay_alu instid0(VALU_DEP_1) | instskip(SKIP_2) | instid1(VALU_DEP_1)
	v_cndmask_b32_e64 v68, 0, v68, s0
	v_cmp_gt_i32_e64 s0, s27, v91
	s_wait_alu 0xf1ff
	v_cndmask_b32_e64 v69, 0, v69, s0
	v_cmp_gt_i32_e64 s0, s27, v90
	s_wait_alu 0xf1ff
	s_delay_alu instid0(VALU_DEP_1) | instskip(SKIP_2) | instid1(VALU_DEP_1)
	v_cndmask_b32_e64 v66, 0, v66, s0
	v_cmp_gt_i32_e64 s0, s27, v89
	s_wait_alu 0xf1ff
	v_cndmask_b32_e64 v67, 0, v67, s0
	v_cmp_gt_i32_e64 s0, s27, v88
	s_wait_alu 0xf1ff
	s_delay_alu instid0(VALU_DEP_1) | instskip(SKIP_2) | instid1(VALU_DEP_1)
	v_cndmask_b32_e64 v64, 0, v64, s0
	v_cmp_gt_i32_e64 s0, s27, v87
	s_wait_alu 0xf1ff
	v_cndmask_b32_e64 v65, 0, v65, s0
	v_cmp_gt_i32_e64 s0, s27, v92
	s_wait_alu 0xf1ff
	s_delay_alu instid0(VALU_DEP_1) | instskip(SKIP_2) | instid1(VALU_DEP_1)
	v_cndmask_b32_e64 v62, 0, v62, s0
	v_cmp_gt_i32_e64 s0, s27, v36
	s_wait_alu 0xf1ff
	v_cndmask_b32_e64 v63, 0, v63, s0
.LBB363_37:                             ;   in Loop: Header=BB363_29 Depth=1
	s_wait_alu 0xfffe
	s_or_b32 exec_lo, exec_lo, s7
	global_load_b64 v[15:16], v[13:14], off offset:1024
	s_wait_loadcnt 0x0
	v_bfe_u32 v73, v16, 8, 8
	v_bfe_u32 v70, v15, 8, 8
	;; [unrolled: 1-line block ×4, first 2 shown]
	s_delay_alu instid0(VALU_DEP_4)
	v_cvt_f32_fp8_e32 v73, v73
	v_and_b32_e32 v0, 0xff, v15
	v_lshrrev_b32_e32 v15, 24, v15
	v_cvt_f32_fp8_e32 v70, v70
	v_cvt_f32_fp8_e32 v71, v71
	v_mul_f32_e32 v73, s2, v73
	v_cvt_f32_fp8_e32 v0, v0
	v_cvt_f32_fp8_e32 v15, v15
	v_mul_f32_e32 v70, s2, v70
	v_dual_mul_f32 v71, s2, v71 :: v_dual_and_b32 v72, 0xff, v16
	s_delay_alu instid0(VALU_DEP_3) | instskip(NEXT) | instid1(VALU_DEP_3)
	v_dual_mul_f32 v0, s2, v0 :: v_dual_mul_f32 v15, s2, v15
	v_bfe_u32 v77, v70, 16, 1
	s_delay_alu instid0(VALU_DEP_3) | instskip(SKIP_1) | instid1(VALU_DEP_4)
	v_cvt_f32_fp8_e32 v72, v72
	v_or_b32_e32 v78, 0x400000, v70
	v_bfe_u32 v75, v0, 16, 1
	v_or_b32_e32 v76, 0x400000, v0
	v_cmp_u_f32_e64 s0, v0, v0
	v_bfe_u32 v79, v71, 16, 1
	v_add3_u32 v77, v77, v70, 0x7fff
	v_add3_u32 v75, v75, v0, 0x7fff
	v_mul_f32_e32 v72, s2, v72
	v_or_b32_e32 v80, 0x400000, v71
	v_bfe_u32 v81, v15, 16, 1
	v_add3_u32 v79, v79, v71, 0x7fff
	s_wait_alu 0xf1ff
	v_cndmask_b32_e64 v0, v75, v76, s0
	v_cmp_u_f32_e64 s0, v70, v70
	v_lshrrev_b32_e32 v16, 24, v16
	v_cvt_f32_fp8_e32 v74, v74
	v_or_b32_e32 v82, 0x400000, v15
	v_bfe_u32 v84, v72, 16, 1
	s_wait_alu 0xf1ff
	v_cndmask_b32_e64 v70, v77, v78, s0
	v_cmp_u_f32_e64 s0, v71, v71
	v_add3_u32 v81, v81, v15, 0x7fff
	v_cvt_f32_fp8_e32 v16, v16
	v_mul_f32_e32 v74, s2, v74
	v_or_b32_e32 v85, 0x400000, v72
	s_wait_alu 0xf1ff
	v_cndmask_b32_e64 v71, v79, v80, s0
	v_cmp_u_f32_e64 s0, v15, v15
	v_bfe_u32 v86, v73, 16, 1
	v_add3_u32 v84, v84, v72, 0x7fff
	v_mul_f32_e32 v16, s2, v16
	v_or_b32_e32 v93, 0x400000, v73
	s_wait_alu 0xf1ff
	v_cndmask_b32_e64 v15, v81, v82, s0
	v_cmp_u_f32_e64 s0, v72, v72
	v_bfe_u32 v94, v74, 16, 1
	v_add3_u32 v86, v86, v73, 0x7fff
	v_or_b32_e32 v95, 0x400000, v74
	v_bfe_u32 v96, v16, 16, 1
	s_wait_alu 0xf1ff
	v_cndmask_b32_e64 v72, v84, v85, s0
	v_cmp_u_f32_e64 s0, v73, v73
	v_add3_u32 v94, v94, v74, 0x7fff
	v_or_b32_e32 v97, 0x400000, v16
	v_add3_u32 v96, v96, v16, 0x7fff
	v_lshrrev_b32_e32 v76, 16, v0
	s_wait_alu 0xf1ff
	v_cndmask_b32_e64 v73, v86, v93, s0
	v_cmp_u_f32_e64 s0, v74, v74
	v_lshrrev_b32_e32 v77, 16, v70
	v_lshrrev_b32_e32 v74, 16, v71
	;; [unrolled: 1-line block ×4, first 2 shown]
	s_wait_alu 0xf1ff
	v_cndmask_b32_e64 v78, v94, v95, s0
	v_cmp_u_f32_e64 s0, v16, v16
	v_lshrrev_b32_e32 v73, 16, v73
	s_delay_alu instid0(VALU_DEP_3) | instskip(SKIP_1) | instid1(VALU_DEP_3)
	v_lshrrev_b32_e32 v70, 16, v78
	s_wait_alu 0xf1ff
	v_cndmask_b32_e64 v16, v96, v97, s0
	s_delay_alu instid0(VALU_DEP_1)
	v_lshrrev_b32_e32 v71, 16, v16
	s_and_saveexec_b32 s7, vcc_lo
	s_cbranch_execz .LBB363_39
; %bb.38:                               ;   in Loop: Header=BB363_29 Depth=1
	v_cmp_gt_i32_e64 s0, s27, v83
	s_wait_alu 0xf1ff
	s_delay_alu instid0(VALU_DEP_1) | instskip(SKIP_2) | instid1(VALU_DEP_1)
	v_cndmask_b32_e64 v76, 0, v76, s0
	v_cmp_gt_i32_e64 s0, s27, v91
	s_wait_alu 0xf1ff
	v_cndmask_b32_e64 v77, 0, v77, s0
	v_cmp_gt_i32_e64 s0, s27, v90
	s_wait_alu 0xf1ff
	s_delay_alu instid0(VALU_DEP_1) | instskip(SKIP_2) | instid1(VALU_DEP_1)
	v_cndmask_b32_e64 v74, 0, v74, s0
	v_cmp_gt_i32_e64 s0, s27, v89
	s_wait_alu 0xf1ff
	v_cndmask_b32_e64 v75, 0, v75, s0
	;; [unrolled: 7-line block ×4, first 2 shown]
.LBB363_39:                             ;   in Loop: Header=BB363_29 Depth=1
	s_wait_alu 0xfffe
	s_or_b32 exec_lo, exec_lo, s7
	global_load_b64 v[15:16], v[13:14], off offset:1280
	s_wait_loadcnt 0x0
	v_bfe_u32 v81, v16, 8, 8
	v_bfe_u32 v78, v15, 8, 8
	;; [unrolled: 1-line block ×4, first 2 shown]
	s_delay_alu instid0(VALU_DEP_4)
	v_cvt_f32_fp8_e32 v81, v81
	v_and_b32_e32 v0, 0xff, v15
	v_lshrrev_b32_e32 v15, 24, v15
	v_cvt_f32_fp8_e32 v78, v78
	v_cvt_f32_fp8_e32 v79, v79
	v_mul_f32_e32 v81, s2, v81
	v_cvt_f32_fp8_e32 v0, v0
	v_cvt_f32_fp8_e32 v15, v15
	v_mul_f32_e32 v78, s2, v78
	v_dual_mul_f32 v79, s2, v79 :: v_dual_and_b32 v80, 0xff, v16
	s_delay_alu instid0(VALU_DEP_3) | instskip(NEXT) | instid1(VALU_DEP_3)
	v_dual_mul_f32 v0, s2, v0 :: v_dual_mul_f32 v15, s2, v15
	v_bfe_u32 v86, v78, 16, 1
	s_delay_alu instid0(VALU_DEP_3) | instskip(SKIP_1) | instid1(VALU_DEP_4)
	v_cvt_f32_fp8_e32 v80, v80
	v_or_b32_e32 v93, 0x400000, v78
	v_bfe_u32 v84, v0, 16, 1
	v_or_b32_e32 v85, 0x400000, v0
	v_cmp_u_f32_e64 s0, v0, v0
	v_bfe_u32 v94, v79, 16, 1
	v_add3_u32 v86, v86, v78, 0x7fff
	v_add3_u32 v84, v84, v0, 0x7fff
	v_mul_f32_e32 v80, s2, v80
	v_or_b32_e32 v95, 0x400000, v79
	v_bfe_u32 v96, v15, 16, 1
	v_add3_u32 v94, v94, v79, 0x7fff
	s_wait_alu 0xf1ff
	v_cndmask_b32_e64 v0, v84, v85, s0
	v_cmp_u_f32_e64 s0, v78, v78
	v_lshrrev_b32_e32 v16, 24, v16
	v_cvt_f32_fp8_e32 v82, v82
	v_or_b32_e32 v97, 0x400000, v15
	v_bfe_u32 v98, v80, 16, 1
	s_wait_alu 0xf1ff
	v_cndmask_b32_e64 v78, v86, v93, s0
	v_cmp_u_f32_e64 s0, v79, v79
	v_add3_u32 v96, v96, v15, 0x7fff
	v_cvt_f32_fp8_e32 v16, v16
	v_mul_f32_e32 v82, s2, v82
	v_or_b32_e32 v99, 0x400000, v80
	s_wait_alu 0xf1ff
	v_cndmask_b32_e64 v79, v94, v95, s0
	v_cmp_u_f32_e64 s0, v15, v15
	v_bfe_u32 v100, v81, 16, 1
	v_add3_u32 v98, v98, v80, 0x7fff
	v_mul_f32_e32 v16, s2, v16
	v_or_b32_e32 v101, 0x400000, v81
	s_wait_alu 0xf1ff
	v_cndmask_b32_e64 v15, v96, v97, s0
	v_cmp_u_f32_e64 s0, v80, v80
	v_bfe_u32 v102, v82, 16, 1
	v_add3_u32 v100, v100, v81, 0x7fff
	v_or_b32_e32 v103, 0x400000, v82
	v_bfe_u32 v104, v16, 16, 1
	s_wait_alu 0xf1ff
	v_cndmask_b32_e64 v80, v98, v99, s0
	v_cmp_u_f32_e64 s0, v81, v81
	v_add3_u32 v102, v102, v82, 0x7fff
	v_or_b32_e32 v105, 0x400000, v16
	v_add3_u32 v104, v104, v16, 0x7fff
	v_lshrrev_b32_e32 v85, 16, v0
	s_wait_alu 0xf1ff
	v_cndmask_b32_e64 v81, v100, v101, s0
	v_cmp_u_f32_e64 s0, v82, v82
	v_lshrrev_b32_e32 v86, 16, v78
	v_lshrrev_b32_e32 v82, 16, v79
	;; [unrolled: 1-line block ×4, first 2 shown]
	s_wait_alu 0xf1ff
	v_cndmask_b32_e64 v93, v102, v103, s0
	v_cmp_u_f32_e64 s0, v16, v16
	v_lshrrev_b32_e32 v81, 16, v81
	s_delay_alu instid0(VALU_DEP_3) | instskip(SKIP_1) | instid1(VALU_DEP_3)
	v_lshrrev_b32_e32 v78, 16, v93
	s_wait_alu 0xf1ff
	v_cndmask_b32_e64 v16, v104, v105, s0
	s_delay_alu instid0(VALU_DEP_1)
	v_lshrrev_b32_e32 v79, 16, v16
	s_and_saveexec_b32 s7, vcc_lo
	s_cbranch_execz .LBB363_41
; %bb.40:                               ;   in Loop: Header=BB363_29 Depth=1
	v_cmp_gt_i32_e64 s0, s27, v83
	s_wait_alu 0xf1ff
	s_delay_alu instid0(VALU_DEP_1) | instskip(SKIP_2) | instid1(VALU_DEP_1)
	v_cndmask_b32_e64 v85, 0, v85, s0
	v_cmp_gt_i32_e64 s0, s27, v91
	s_wait_alu 0xf1ff
	v_cndmask_b32_e64 v86, 0, v86, s0
	v_cmp_gt_i32_e64 s0, s27, v90
	s_wait_alu 0xf1ff
	s_delay_alu instid0(VALU_DEP_1) | instskip(SKIP_2) | instid1(VALU_DEP_1)
	v_cndmask_b32_e64 v82, 0, v82, s0
	v_cmp_gt_i32_e64 s0, s27, v89
	s_wait_alu 0xf1ff
	v_cndmask_b32_e64 v84, 0, v84, s0
	;; [unrolled: 7-line block ×4, first 2 shown]
.LBB363_41:                             ;   in Loop: Header=BB363_29 Depth=1
	s_wait_alu 0xfffe
	s_or_b32 exec_lo, exec_lo, s7
	global_load_b64 v[15:16], v[13:14], off offset:1536
	s_wait_loadcnt 0x0
	v_bfe_u32 v93, v15, 8, 8
	v_bfe_u32 v94, v15, 16, 8
	;; [unrolled: 1-line block ×4, first 2 shown]
	s_delay_alu instid0(VALU_DEP_4)
	v_cvt_f32_fp8_e32 v93, v93
	v_and_b32_e32 v0, 0xff, v15
	v_lshrrev_b32_e32 v15, 24, v15
	v_cvt_f32_fp8_e32 v94, v94
	v_and_b32_e32 v95, 0xff, v16
	v_mul_f32_e32 v93, s2, v93
	v_cvt_f32_fp8_e32 v0, v0
	v_cvt_f32_fp8_e32 v15, v15
	v_mul_f32_e32 v94, s2, v94
	v_cvt_f32_fp8_e32 v95, v95
	v_bfe_u32 v100, v93, 16, 1
	s_delay_alu instid0(VALU_DEP_4) | instskip(SKIP_2) | instid1(VALU_DEP_4)
	v_dual_mul_f32 v0, s2, v0 :: v_dual_mul_f32 v15, s2, v15
	v_or_b32_e32 v101, 0x400000, v93
	v_bfe_u32 v102, v94, 16, 1
	v_add3_u32 v100, v100, v93, 0x7fff
	s_delay_alu instid0(VALU_DEP_4)
	v_bfe_u32 v98, v0, 16, 1
	v_or_b32_e32 v99, 0x400000, v0
	v_cmp_u_f32_e64 s0, v0, v0
	v_cvt_f32_fp8_e32 v96, v96
	v_mul_f32_e32 v95, s2, v95
	v_add3_u32 v98, v98, v0, 0x7fff
	v_or_b32_e32 v103, 0x400000, v94
	v_bfe_u32 v104, v15, 16, 1
	v_add3_u32 v102, v102, v94, 0x7fff
	v_lshrrev_b32_e32 v16, 24, v16
	s_wait_alu 0xf1ff
	v_cndmask_b32_e64 v0, v98, v99, s0
	v_cmp_u_f32_e64 s0, v93, v93
	v_cvt_f32_fp8_e32 v97, v97
	v_mul_f32_e32 v96, s2, v96
	v_or_b32_e32 v105, 0x400000, v15
	v_bfe_u32 v106, v95, 16, 1
	s_wait_alu 0xf1ff
	v_cndmask_b32_e64 v93, v100, v101, s0
	v_cmp_u_f32_e64 s0, v94, v94
	v_add3_u32 v104, v104, v15, 0x7fff
	v_cvt_f32_fp8_e32 v16, v16
	v_mul_f32_e32 v97, s2, v97
	v_or_b32_e32 v107, 0x400000, v95
	s_wait_alu 0xf1ff
	v_cndmask_b32_e64 v94, v102, v103, s0
	v_cmp_u_f32_e64 s0, v15, v15
	v_bfe_u32 v108, v96, 16, 1
	v_add3_u32 v106, v106, v95, 0x7fff
	v_mul_f32_e32 v16, s2, v16
	v_or_b32_e32 v109, 0x400000, v96
	s_wait_alu 0xf1ff
	v_cndmask_b32_e64 v15, v104, v105, s0
	v_cmp_u_f32_e64 s0, v95, v95
	v_bfe_u32 v110, v97, 16, 1
	v_add3_u32 v108, v108, v96, 0x7fff
	v_or_b32_e32 v111, 0x400000, v97
	v_bfe_u32 v112, v16, 16, 1
	s_wait_alu 0xf1ff
	v_cndmask_b32_e64 v95, v106, v107, s0
	v_cmp_u_f32_e64 s0, v96, v96
	v_add3_u32 v110, v110, v97, 0x7fff
	v_or_b32_e32 v113, 0x400000, v16
	v_add3_u32 v112, v112, v16, 0x7fff
	v_lshrrev_b32_e32 v99, 16, v0
	s_wait_alu 0xf1ff
	v_cndmask_b32_e64 v96, v108, v109, s0
	v_cmp_u_f32_e64 s0, v97, v97
	v_lshrrev_b32_e32 v100, 16, v93
	v_lshrrev_b32_e32 v97, 16, v94
	;; [unrolled: 1-line block ×4, first 2 shown]
	s_wait_alu 0xf1ff
	v_cndmask_b32_e64 v101, v110, v111, s0
	v_cmp_u_f32_e64 s0, v16, v16
	v_lshrrev_b32_e32 v96, 16, v96
	s_delay_alu instid0(VALU_DEP_3) | instskip(SKIP_1) | instid1(VALU_DEP_3)
	v_lshrrev_b32_e32 v93, 16, v101
	s_wait_alu 0xf1ff
	v_cndmask_b32_e64 v16, v112, v113, s0
	s_delay_alu instid0(VALU_DEP_1)
	v_lshrrev_b32_e32 v94, 16, v16
	s_and_saveexec_b32 s7, vcc_lo
	s_cbranch_execz .LBB363_43
; %bb.42:                               ;   in Loop: Header=BB363_29 Depth=1
	v_cmp_gt_i32_e64 s0, s27, v83
	s_wait_alu 0xf1ff
	s_delay_alu instid0(VALU_DEP_1) | instskip(SKIP_2) | instid1(VALU_DEP_1)
	v_cndmask_b32_e64 v99, 0, v99, s0
	v_cmp_gt_i32_e64 s0, s27, v91
	s_wait_alu 0xf1ff
	v_cndmask_b32_e64 v100, 0, v100, s0
	v_cmp_gt_i32_e64 s0, s27, v90
	s_wait_alu 0xf1ff
	s_delay_alu instid0(VALU_DEP_1) | instskip(SKIP_2) | instid1(VALU_DEP_1)
	v_cndmask_b32_e64 v97, 0, v97, s0
	v_cmp_gt_i32_e64 s0, s27, v89
	s_wait_alu 0xf1ff
	v_cndmask_b32_e64 v98, 0, v98, s0
	;; [unrolled: 7-line block ×4, first 2 shown]
.LBB363_43:                             ;   in Loop: Header=BB363_29 Depth=1
	s_wait_alu 0xfffe
	s_or_b32 exec_lo, exec_lo, s7
	global_load_b64 v[15:16], v[13:14], off offset:1792
	s_wait_loadcnt 0x0
	v_bfe_u32 v101, v15, 8, 8
	v_bfe_u32 v102, v15, 16, 8
	;; [unrolled: 1-line block ×4, first 2 shown]
	s_delay_alu instid0(VALU_DEP_4)
	v_cvt_f32_fp8_e32 v101, v101
	v_and_b32_e32 v0, 0xff, v15
	v_lshrrev_b32_e32 v15, 24, v15
	v_cvt_f32_fp8_e32 v102, v102
	v_and_b32_e32 v103, 0xff, v16
	v_mul_f32_e32 v101, s2, v101
	v_cvt_f32_fp8_e32 v0, v0
	v_cvt_f32_fp8_e32 v15, v15
	v_mul_f32_e32 v102, s2, v102
	v_cvt_f32_fp8_e32 v103, v103
	v_bfe_u32 v108, v101, 16, 1
	s_delay_alu instid0(VALU_DEP_4) | instskip(SKIP_2) | instid1(VALU_DEP_4)
	v_dual_mul_f32 v0, s2, v0 :: v_dual_mul_f32 v15, s2, v15
	v_or_b32_e32 v109, 0x400000, v101
	v_bfe_u32 v110, v102, 16, 1
	v_add3_u32 v108, v108, v101, 0x7fff
	s_delay_alu instid0(VALU_DEP_4)
	v_bfe_u32 v106, v0, 16, 1
	v_or_b32_e32 v107, 0x400000, v0
	v_cmp_u_f32_e64 s0, v0, v0
	v_cvt_f32_fp8_e32 v104, v104
	v_mul_f32_e32 v103, s2, v103
	v_add3_u32 v106, v106, v0, 0x7fff
	v_or_b32_e32 v111, 0x400000, v102
	v_bfe_u32 v112, v15, 16, 1
	v_add3_u32 v110, v110, v102, 0x7fff
	v_lshrrev_b32_e32 v16, 24, v16
	s_wait_alu 0xf1ff
	v_cndmask_b32_e64 v0, v106, v107, s0
	v_cmp_u_f32_e64 s0, v101, v101
	v_cvt_f32_fp8_e32 v105, v105
	v_mul_f32_e32 v104, s2, v104
	v_or_b32_e32 v113, 0x400000, v15
	v_bfe_u32 v114, v103, 16, 1
	s_wait_alu 0xf1ff
	v_cndmask_b32_e64 v101, v108, v109, s0
	v_cmp_u_f32_e64 s0, v102, v102
	v_add3_u32 v112, v112, v15, 0x7fff
	v_cvt_f32_fp8_e32 v16, v16
	v_mul_f32_e32 v105, s2, v105
	v_or_b32_e32 v115, 0x400000, v103
	s_wait_alu 0xf1ff
	v_cndmask_b32_e64 v102, v110, v111, s0
	v_cmp_u_f32_e64 s0, v15, v15
	v_bfe_u32 v116, v104, 16, 1
	v_add3_u32 v114, v114, v103, 0x7fff
	v_mul_f32_e32 v16, s2, v16
	v_or_b32_e32 v117, 0x400000, v104
	s_wait_alu 0xf1ff
	v_cndmask_b32_e64 v15, v112, v113, s0
	v_cmp_u_f32_e64 s0, v103, v103
	v_bfe_u32 v118, v105, 16, 1
	v_add3_u32 v116, v116, v104, 0x7fff
	v_or_b32_e32 v119, 0x400000, v105
	v_bfe_u32 v120, v16, 16, 1
	s_wait_alu 0xf1ff
	v_cndmask_b32_e64 v103, v114, v115, s0
	v_cmp_u_f32_e64 s0, v104, v104
	v_add3_u32 v118, v118, v105, 0x7fff
	v_or_b32_e32 v121, 0x400000, v16
	v_add3_u32 v120, v120, v16, 0x7fff
	v_lshrrev_b32_e32 v107, 16, v0
	s_wait_alu 0xf1ff
	v_cndmask_b32_e64 v104, v116, v117, s0
	v_cmp_u_f32_e64 s0, v105, v105
	v_lshrrev_b32_e32 v108, 16, v101
	v_lshrrev_b32_e32 v105, 16, v102
	;; [unrolled: 1-line block ×4, first 2 shown]
	s_wait_alu 0xf1ff
	v_cndmask_b32_e64 v109, v118, v119, s0
	v_cmp_u_f32_e64 s0, v16, v16
	v_lshrrev_b32_e32 v104, 16, v104
	s_delay_alu instid0(VALU_DEP_3) | instskip(SKIP_1) | instid1(VALU_DEP_3)
	v_lshrrev_b32_e32 v101, 16, v109
	s_wait_alu 0xf1ff
	v_cndmask_b32_e64 v16, v120, v121, s0
	s_delay_alu instid0(VALU_DEP_1)
	v_lshrrev_b32_e32 v102, 16, v16
	s_and_saveexec_b32 s7, vcc_lo
	s_cbranch_execz .LBB363_45
; %bb.44:                               ;   in Loop: Header=BB363_29 Depth=1
	v_cmp_gt_i32_e64 s0, s27, v83
	s_wait_alu 0xf1ff
	s_delay_alu instid0(VALU_DEP_1) | instskip(SKIP_2) | instid1(VALU_DEP_1)
	v_cndmask_b32_e64 v107, 0, v107, s0
	v_cmp_gt_i32_e64 s0, s27, v91
	s_wait_alu 0xf1ff
	v_cndmask_b32_e64 v108, 0, v108, s0
	v_cmp_gt_i32_e64 s0, s27, v90
	s_wait_alu 0xf1ff
	s_delay_alu instid0(VALU_DEP_1) | instskip(SKIP_2) | instid1(VALU_DEP_1)
	v_cndmask_b32_e64 v105, 0, v105, s0
	v_cmp_gt_i32_e64 s0, s27, v89
	s_wait_alu 0xf1ff
	v_cndmask_b32_e64 v106, 0, v106, s0
	;; [unrolled: 7-line block ×4, first 2 shown]
.LBB363_45:                             ;   in Loop: Header=BB363_29 Depth=1
	s_wait_alu 0xfffe
	s_or_b32 exec_lo, exec_lo, s7
	global_load_b64 v[15:16], v[13:14], off offset:2048
	s_wait_loadcnt 0x0
	v_bfe_u32 v109, v15, 8, 8
	v_bfe_u32 v110, v15, 16, 8
	;; [unrolled: 1-line block ×4, first 2 shown]
	s_delay_alu instid0(VALU_DEP_4)
	v_cvt_f32_fp8_e32 v109, v109
	v_and_b32_e32 v0, 0xff, v15
	v_lshrrev_b32_e32 v15, 24, v15
	v_cvt_f32_fp8_e32 v110, v110
	v_and_b32_e32 v111, 0xff, v16
	v_mul_f32_e32 v109, s2, v109
	v_cvt_f32_fp8_e32 v0, v0
	v_cvt_f32_fp8_e32 v15, v15
	v_mul_f32_e32 v110, s2, v110
	v_cvt_f32_fp8_e32 v111, v111
	v_bfe_u32 v116, v109, 16, 1
	s_delay_alu instid0(VALU_DEP_4) | instskip(SKIP_2) | instid1(VALU_DEP_4)
	v_dual_mul_f32 v0, s2, v0 :: v_dual_mul_f32 v15, s2, v15
	v_or_b32_e32 v117, 0x400000, v109
	v_bfe_u32 v118, v110, 16, 1
	v_add3_u32 v116, v116, v109, 0x7fff
	s_delay_alu instid0(VALU_DEP_4)
	v_bfe_u32 v114, v0, 16, 1
	v_or_b32_e32 v115, 0x400000, v0
	v_cmp_u_f32_e64 s0, v0, v0
	v_cvt_f32_fp8_e32 v112, v112
	v_mul_f32_e32 v111, s2, v111
	v_add3_u32 v114, v114, v0, 0x7fff
	v_or_b32_e32 v119, 0x400000, v110
	v_bfe_u32 v120, v15, 16, 1
	v_add3_u32 v118, v118, v110, 0x7fff
	v_lshrrev_b32_e32 v16, 24, v16
	s_wait_alu 0xf1ff
	v_cndmask_b32_e64 v0, v114, v115, s0
	v_cmp_u_f32_e64 s0, v109, v109
	v_cvt_f32_fp8_e32 v113, v113
	v_mul_f32_e32 v112, s2, v112
	v_or_b32_e32 v121, 0x400000, v15
	v_bfe_u32 v122, v111, 16, 1
	s_wait_alu 0xf1ff
	v_cndmask_b32_e64 v109, v116, v117, s0
	v_cmp_u_f32_e64 s0, v110, v110
	v_add3_u32 v120, v120, v15, 0x7fff
	v_cvt_f32_fp8_e32 v16, v16
	v_mul_f32_e32 v113, s2, v113
	v_or_b32_e32 v123, 0x400000, v111
	s_wait_alu 0xf1ff
	v_cndmask_b32_e64 v110, v118, v119, s0
	v_cmp_u_f32_e64 s0, v15, v15
	v_bfe_u32 v124, v112, 16, 1
	v_add3_u32 v122, v122, v111, 0x7fff
	v_mul_f32_e32 v16, s2, v16
	v_or_b32_e32 v125, 0x400000, v112
	s_wait_alu 0xf1ff
	v_cndmask_b32_e64 v114, v120, v121, s0
	v_cmp_u_f32_e64 s0, v111, v111
	v_bfe_u32 v126, v113, 16, 1
	v_add3_u32 v124, v124, v112, 0x7fff
	v_or_b32_e32 v127, 0x400000, v113
	v_bfe_u32 v128, v16, 16, 1
	s_wait_alu 0xf1ff
	v_cndmask_b32_e64 v111, v122, v123, s0
	v_cmp_u_f32_e64 s0, v112, v112
	v_add3_u32 v126, v126, v113, 0x7fff
	v_or_b32_e32 v129, 0x400000, v16
	v_add3_u32 v128, v128, v16, 0x7fff
	v_lshrrev_b32_e32 v116, 16, v0
	s_wait_alu 0xf1ff
	v_cndmask_b32_e64 v112, v124, v125, s0
	v_cmp_u_f32_e64 s0, v113, v113
	v_lshrrev_b32_e32 v15, 16, v109
	v_lshrrev_b32_e32 v113, 16, v110
	;; [unrolled: 1-line block ×4, first 2 shown]
	s_wait_alu 0xf1ff
	v_cndmask_b32_e64 v115, v126, v127, s0
	v_cmp_u_f32_e64 s0, v16, v16
	v_lshrrev_b32_e32 v112, 16, v112
	s_delay_alu instid0(VALU_DEP_3) | instskip(SKIP_1) | instid1(VALU_DEP_3)
	v_lshrrev_b32_e32 v109, 16, v115
	s_wait_alu 0xf1ff
	v_cndmask_b32_e64 v16, v128, v129, s0
	s_delay_alu instid0(VALU_DEP_1)
	v_lshrrev_b32_e32 v110, 16, v16
	s_and_saveexec_b32 s7, vcc_lo
	s_cbranch_execz .LBB363_47
; %bb.46:                               ;   in Loop: Header=BB363_29 Depth=1
	v_cmp_gt_i32_e64 s0, s27, v83
	s_wait_alu 0xf1ff
	s_delay_alu instid0(VALU_DEP_1) | instskip(SKIP_2) | instid1(VALU_DEP_1)
	v_cndmask_b32_e64 v116, 0, v116, s0
	v_cmp_gt_i32_e64 s0, s27, v91
	s_wait_alu 0xf1ff
	v_cndmask_b32_e64 v15, 0, v15, s0
	v_cmp_gt_i32_e64 s0, s27, v90
	s_wait_alu 0xf1ff
	s_delay_alu instid0(VALU_DEP_1) | instskip(SKIP_2) | instid1(VALU_DEP_1)
	v_cndmask_b32_e64 v113, 0, v113, s0
	v_cmp_gt_i32_e64 s0, s27, v89
	s_wait_alu 0xf1ff
	v_cndmask_b32_e64 v114, 0, v114, s0
	;; [unrolled: 7-line block ×4, first 2 shown]
.LBB363_47:                             ;   in Loop: Header=BB363_29 Depth=1
	s_wait_alu 0xfffe
	s_or_b32 exec_lo, exec_lo, s7
	global_load_b64 v[117:118], v[13:14], off offset:2304
	s_wait_loadcnt 0x0
	v_bfe_u32 v115, v117, 16, 8
	v_bfe_u32 v16, v117, 8, 8
	;; [unrolled: 1-line block ×4, first 2 shown]
	s_delay_alu instid0(VALU_DEP_4)
	v_cvt_f32_fp8_e32 v115, v115
	v_and_b32_e32 v0, 0xff, v117
	v_lshrrev_b32_e32 v117, 24, v117
	v_cvt_f32_fp8_e32 v16, v16
	v_cvt_f32_fp8_e32 v120, v120
	v_mul_f32_e32 v115, s2, v115
	v_cvt_f32_fp8_e32 v0, v0
	v_and_b32_e32 v119, 0xff, v118
	v_cvt_f32_fp8_e32 v117, v117
	v_mul_f32_e32 v16, s2, v16
	v_bfe_u32 v126, v115, 16, 1
	v_mul_f32_e32 v0, s2, v0
	v_cvt_f32_fp8_e32 v119, v119
	v_mul_f32_e32 v117, s2, v117
	v_bfe_u32 v124, v16, 16, 1
	v_or_b32_e32 v125, 0x400000, v16
	v_bfe_u32 v122, v0, 16, 1
	v_or_b32_e32 v123, 0x400000, v0
	v_cmp_u_f32_e64 s0, v0, v0
	v_add3_u32 v124, v124, v16, 0x7fff
	v_dual_mul_f32 v119, s2, v119 :: v_dual_mul_f32 v120, s2, v120
	v_add3_u32 v122, v122, v0, 0x7fff
	v_or_b32_e32 v127, 0x400000, v115
	v_bfe_u32 v128, v117, 16, 1
	v_add3_u32 v126, v126, v115, 0x7fff
	v_lshrrev_b32_e32 v118, 24, v118
	s_wait_alu 0xf1ff
	v_cndmask_b32_e64 v0, v122, v123, s0
	v_cmp_u_f32_e64 s0, v16, v16
	v_cvt_f32_fp8_e32 v121, v121
	v_or_b32_e32 v129, 0x400000, v117
	v_bfe_u32 v130, v119, 16, 1
	v_add3_u32 v128, v128, v117, 0x7fff
	s_wait_alu 0xf1ff
	v_cndmask_b32_e64 v16, v124, v125, s0
	v_cmp_u_f32_e64 s0, v115, v115
	v_cvt_f32_fp8_e32 v118, v118
	v_mul_f32_e32 v121, s2, v121
	v_or_b32_e32 v131, 0x400000, v119
	v_bfe_u32 v132, v120, 16, 1
	s_wait_alu 0xf1ff
	v_cndmask_b32_e64 v115, v126, v127, s0
	v_cmp_u_f32_e64 s0, v117, v117
	v_add3_u32 v130, v130, v119, 0x7fff
	v_mul_f32_e32 v118, s2, v118
	v_or_b32_e32 v133, 0x400000, v120
	v_bfe_u32 v134, v121, 16, 1
	s_wait_alu 0xf1ff
	v_cndmask_b32_e64 v117, v128, v129, s0
	v_cmp_u_f32_e64 s0, v119, v119
	v_add3_u32 v132, v132, v120, 0x7fff
	v_or_b32_e32 v135, 0x400000, v121
	v_bfe_u32 v136, v118, 16, 1
	v_add3_u32 v134, v134, v121, 0x7fff
	s_wait_alu 0xf1ff
	v_cndmask_b32_e64 v119, v130, v131, s0
	v_cmp_u_f32_e64 s0, v120, v120
	v_or_b32_e32 v137, 0x400000, v118
	v_add3_u32 v136, v136, v118, 0x7fff
	v_lshrrev_b32_e32 v126, 16, v0
	v_lshrrev_b32_e32 v127, 16, v16
	s_wait_alu 0xf1ff
	v_cndmask_b32_e64 v120, v132, v133, s0
	v_cmp_u_f32_e64 s0, v121, v121
	v_lshrrev_b32_e32 v124, 16, v115
	v_lshrrev_b32_e32 v125, 16, v117
	;; [unrolled: 1-line block ×4, first 2 shown]
	s_wait_alu 0xf1ff
	v_cndmask_b32_e64 v121, v134, v135, s0
	v_cmp_u_f32_e64 s0, v118, v118
	s_delay_alu instid0(VALU_DEP_2) | instskip(SKIP_1) | instid1(VALU_DEP_2)
	v_lshrrev_b32_e32 v120, 16, v121
	s_wait_alu 0xf1ff
	v_cndmask_b32_e64 v118, v136, v137, s0
	s_delay_alu instid0(VALU_DEP_1)
	v_lshrrev_b32_e32 v121, 16, v118
	s_and_saveexec_b32 s7, vcc_lo
	s_cbranch_execz .LBB363_49
; %bb.48:                               ;   in Loop: Header=BB363_29 Depth=1
	v_cmp_gt_i32_e64 s0, s27, v83
	s_wait_alu 0xf1ff
	s_delay_alu instid0(VALU_DEP_1) | instskip(SKIP_2) | instid1(VALU_DEP_1)
	v_cndmask_b32_e64 v126, 0, v126, s0
	v_cmp_gt_i32_e64 s0, s27, v91
	s_wait_alu 0xf1ff
	v_cndmask_b32_e64 v127, 0, v127, s0
	v_cmp_gt_i32_e64 s0, s27, v90
	s_wait_alu 0xf1ff
	s_delay_alu instid0(VALU_DEP_1) | instskip(SKIP_2) | instid1(VALU_DEP_1)
	v_cndmask_b32_e64 v124, 0, v124, s0
	v_cmp_gt_i32_e64 s0, s27, v89
	s_wait_alu 0xf1ff
	v_cndmask_b32_e64 v125, 0, v125, s0
	;; [unrolled: 7-line block ×4, first 2 shown]
.LBB363_49:                             ;   in Loop: Header=BB363_29 Depth=1
	s_wait_alu 0xfffe
	s_or_b32 exec_lo, exec_lo, s7
	global_load_b64 v[117:118], v[13:14], off offset:2560
	s_wait_loadcnt 0x0
	v_bfe_u32 v115, v117, 16, 8
	v_bfe_u32 v16, v117, 8, 8
	;; [unrolled: 1-line block ×4, first 2 shown]
	s_delay_alu instid0(VALU_DEP_4)
	v_cvt_f32_fp8_e32 v115, v115
	v_and_b32_e32 v0, 0xff, v117
	v_lshrrev_b32_e32 v117, 24, v117
	v_cvt_f32_fp8_e32 v16, v16
	v_cvt_f32_fp8_e32 v128, v128
	v_mul_f32_e32 v115, s2, v115
	v_cvt_f32_fp8_e32 v0, v0
	v_and_b32_e32 v119, 0xff, v118
	v_cvt_f32_fp8_e32 v117, v117
	v_mul_f32_e32 v16, s2, v16
	v_bfe_u32 v134, v115, 16, 1
	v_mul_f32_e32 v0, s2, v0
	v_cvt_f32_fp8_e32 v119, v119
	v_mul_f32_e32 v117, s2, v117
	v_bfe_u32 v132, v16, 16, 1
	v_or_b32_e32 v133, 0x400000, v16
	v_bfe_u32 v130, v0, 16, 1
	v_or_b32_e32 v131, 0x400000, v0
	v_cmp_u_f32_e64 s0, v0, v0
	v_add3_u32 v132, v132, v16, 0x7fff
	v_dual_mul_f32 v119, s2, v119 :: v_dual_mul_f32 v128, s2, v128
	v_add3_u32 v130, v130, v0, 0x7fff
	v_or_b32_e32 v135, 0x400000, v115
	v_bfe_u32 v136, v117, 16, 1
	v_add3_u32 v134, v134, v115, 0x7fff
	v_lshrrev_b32_e32 v118, 24, v118
	s_wait_alu 0xf1ff
	v_cndmask_b32_e64 v0, v130, v131, s0
	v_cmp_u_f32_e64 s0, v16, v16
	v_cvt_f32_fp8_e32 v129, v129
	v_or_b32_e32 v137, 0x400000, v117
	v_bfe_u32 v138, v119, 16, 1
	v_add3_u32 v136, v136, v117, 0x7fff
	s_wait_alu 0xf1ff
	v_cndmask_b32_e64 v16, v132, v133, s0
	v_cmp_u_f32_e64 s0, v115, v115
	v_cvt_f32_fp8_e32 v118, v118
	v_mul_f32_e32 v129, s2, v129
	v_or_b32_e32 v139, 0x400000, v119
	v_bfe_u32 v140, v128, 16, 1
	s_wait_alu 0xf1ff
	v_cndmask_b32_e64 v115, v134, v135, s0
	v_cmp_u_f32_e64 s0, v117, v117
	v_add3_u32 v138, v138, v119, 0x7fff
	v_mul_f32_e32 v118, s2, v118
	v_or_b32_e32 v141, 0x400000, v128
	v_bfe_u32 v142, v129, 16, 1
	s_wait_alu 0xf1ff
	v_cndmask_b32_e64 v117, v136, v137, s0
	v_cmp_u_f32_e64 s0, v119, v119
	v_add3_u32 v140, v140, v128, 0x7fff
	v_or_b32_e32 v143, 0x400000, v129
	v_bfe_u32 v144, v118, 16, 1
	v_add3_u32 v142, v142, v129, 0x7fff
	s_wait_alu 0xf1ff
	v_cndmask_b32_e64 v119, v138, v139, s0
	v_cmp_u_f32_e64 s0, v128, v128
	v_or_b32_e32 v145, 0x400000, v118
	v_add3_u32 v144, v144, v118, 0x7fff
	v_lshrrev_b32_e32 v134, 16, v0
	v_lshrrev_b32_e32 v135, 16, v16
	s_wait_alu 0xf1ff
	v_cndmask_b32_e64 v128, v140, v141, s0
	v_cmp_u_f32_e64 s0, v129, v129
	v_lshrrev_b32_e32 v132, 16, v115
	v_lshrrev_b32_e32 v133, 16, v117
	;; [unrolled: 1-line block ×4, first 2 shown]
	s_wait_alu 0xf1ff
	v_cndmask_b32_e64 v129, v142, v143, s0
	v_cmp_u_f32_e64 s0, v118, v118
	s_delay_alu instid0(VALU_DEP_2) | instskip(SKIP_1) | instid1(VALU_DEP_2)
	v_lshrrev_b32_e32 v128, 16, v129
	s_wait_alu 0xf1ff
	v_cndmask_b32_e64 v118, v144, v145, s0
	s_delay_alu instid0(VALU_DEP_1)
	v_lshrrev_b32_e32 v129, 16, v118
	s_and_saveexec_b32 s7, vcc_lo
	s_cbranch_execz .LBB363_51
; %bb.50:                               ;   in Loop: Header=BB363_29 Depth=1
	v_cmp_gt_i32_e64 s0, s27, v83
	s_wait_alu 0xf1ff
	s_delay_alu instid0(VALU_DEP_1) | instskip(SKIP_2) | instid1(VALU_DEP_1)
	v_cndmask_b32_e64 v134, 0, v134, s0
	v_cmp_gt_i32_e64 s0, s27, v91
	s_wait_alu 0xf1ff
	v_cndmask_b32_e64 v135, 0, v135, s0
	v_cmp_gt_i32_e64 s0, s27, v90
	s_wait_alu 0xf1ff
	s_delay_alu instid0(VALU_DEP_1) | instskip(SKIP_2) | instid1(VALU_DEP_1)
	v_cndmask_b32_e64 v132, 0, v132, s0
	v_cmp_gt_i32_e64 s0, s27, v89
	s_wait_alu 0xf1ff
	v_cndmask_b32_e64 v133, 0, v133, s0
	v_cmp_gt_i32_e64 s0, s27, v88
	s_wait_alu 0xf1ff
	s_delay_alu instid0(VALU_DEP_1) | instskip(SKIP_2) | instid1(VALU_DEP_1)
	v_cndmask_b32_e64 v130, 0, v130, s0
	v_cmp_gt_i32_e64 s0, s27, v87
	s_wait_alu 0xf1ff
	v_cndmask_b32_e64 v131, 0, v131, s0
	v_cmp_gt_i32_e64 s0, s27, v92
	s_wait_alu 0xf1ff
	s_delay_alu instid0(VALU_DEP_1) | instskip(SKIP_2) | instid1(VALU_DEP_1)
	v_cndmask_b32_e64 v128, 0, v128, s0
	v_cmp_gt_i32_e64 s0, s27, v36
	s_wait_alu 0xf1ff
	v_cndmask_b32_e64 v129, 0, v129, s0
.LBB363_51:                             ;   in Loop: Header=BB363_29 Depth=1
	s_wait_alu 0xfffe
	s_or_b32 exec_lo, exec_lo, s7
	global_load_b64 v[117:118], v[13:14], off offset:2816
	s_wait_loadcnt 0x0
	v_bfe_u32 v115, v117, 16, 8
	v_bfe_u32 v16, v117, 8, 8
	;; [unrolled: 1-line block ×4, first 2 shown]
	s_delay_alu instid0(VALU_DEP_4)
	v_cvt_f32_fp8_e32 v115, v115
	v_and_b32_e32 v0, 0xff, v117
	v_lshrrev_b32_e32 v117, 24, v117
	v_cvt_f32_fp8_e32 v16, v16
	v_cvt_f32_fp8_e32 v136, v136
	v_mul_f32_e32 v115, s2, v115
	v_cvt_f32_fp8_e32 v0, v0
	v_and_b32_e32 v119, 0xff, v118
	v_cvt_f32_fp8_e32 v117, v117
	v_mul_f32_e32 v16, s2, v16
	v_bfe_u32 v142, v115, 16, 1
	v_mul_f32_e32 v0, s2, v0
	v_cvt_f32_fp8_e32 v119, v119
	v_mul_f32_e32 v117, s2, v117
	v_bfe_u32 v140, v16, 16, 1
	v_or_b32_e32 v141, 0x400000, v16
	v_bfe_u32 v138, v0, 16, 1
	v_or_b32_e32 v139, 0x400000, v0
	v_cmp_u_f32_e64 s0, v0, v0
	v_add3_u32 v140, v140, v16, 0x7fff
	v_dual_mul_f32 v119, s2, v119 :: v_dual_mul_f32 v136, s2, v136
	v_add3_u32 v138, v138, v0, 0x7fff
	v_or_b32_e32 v143, 0x400000, v115
	v_bfe_u32 v144, v117, 16, 1
	v_add3_u32 v142, v142, v115, 0x7fff
	v_lshrrev_b32_e32 v118, 24, v118
	s_wait_alu 0xf1ff
	v_cndmask_b32_e64 v0, v138, v139, s0
	v_cmp_u_f32_e64 s0, v16, v16
	v_cvt_f32_fp8_e32 v137, v137
	v_or_b32_e32 v145, 0x400000, v117
	v_bfe_u32 v146, v119, 16, 1
	v_add3_u32 v144, v144, v117, 0x7fff
	s_wait_alu 0xf1ff
	v_cndmask_b32_e64 v16, v140, v141, s0
	v_cmp_u_f32_e64 s0, v115, v115
	v_cvt_f32_fp8_e32 v118, v118
	v_mul_f32_e32 v137, s2, v137
	v_or_b32_e32 v147, 0x400000, v119
	v_bfe_u32 v148, v136, 16, 1
	s_wait_alu 0xf1ff
	v_cndmask_b32_e64 v115, v142, v143, s0
	v_cmp_u_f32_e64 s0, v117, v117
	v_add3_u32 v146, v146, v119, 0x7fff
	v_mul_f32_e32 v118, s2, v118
	v_or_b32_e32 v149, 0x400000, v136
	v_bfe_u32 v150, v137, 16, 1
	s_wait_alu 0xf1ff
	v_cndmask_b32_e64 v117, v144, v145, s0
	v_cmp_u_f32_e64 s0, v119, v119
	v_add3_u32 v148, v148, v136, 0x7fff
	v_or_b32_e32 v151, 0x400000, v137
	v_bfe_u32 v152, v118, 16, 1
	v_add3_u32 v150, v150, v137, 0x7fff
	s_wait_alu 0xf1ff
	v_cndmask_b32_e64 v119, v146, v147, s0
	v_cmp_u_f32_e64 s0, v136, v136
	v_or_b32_e32 v153, 0x400000, v118
	v_add3_u32 v152, v152, v118, 0x7fff
	v_lshrrev_b32_e32 v142, 16, v0
	v_lshrrev_b32_e32 v143, 16, v16
	s_wait_alu 0xf1ff
	v_cndmask_b32_e64 v136, v148, v149, s0
	v_cmp_u_f32_e64 s0, v137, v137
	v_lshrrev_b32_e32 v140, 16, v115
	v_lshrrev_b32_e32 v141, 16, v117
	;; [unrolled: 1-line block ×4, first 2 shown]
	s_wait_alu 0xf1ff
	v_cndmask_b32_e64 v137, v150, v151, s0
	v_cmp_u_f32_e64 s0, v118, v118
	s_delay_alu instid0(VALU_DEP_2) | instskip(SKIP_1) | instid1(VALU_DEP_2)
	v_lshrrev_b32_e32 v136, 16, v137
	s_wait_alu 0xf1ff
	v_cndmask_b32_e64 v118, v152, v153, s0
	s_delay_alu instid0(VALU_DEP_1)
	v_lshrrev_b32_e32 v137, 16, v118
	s_and_saveexec_b32 s7, vcc_lo
	s_cbranch_execz .LBB363_53
; %bb.52:                               ;   in Loop: Header=BB363_29 Depth=1
	v_cmp_gt_i32_e64 s0, s27, v83
	s_wait_alu 0xf1ff
	s_delay_alu instid0(VALU_DEP_1) | instskip(SKIP_2) | instid1(VALU_DEP_1)
	v_cndmask_b32_e64 v142, 0, v142, s0
	v_cmp_gt_i32_e64 s0, s27, v91
	s_wait_alu 0xf1ff
	v_cndmask_b32_e64 v143, 0, v143, s0
	v_cmp_gt_i32_e64 s0, s27, v90
	s_wait_alu 0xf1ff
	s_delay_alu instid0(VALU_DEP_1) | instskip(SKIP_2) | instid1(VALU_DEP_1)
	v_cndmask_b32_e64 v140, 0, v140, s0
	v_cmp_gt_i32_e64 s0, s27, v89
	s_wait_alu 0xf1ff
	v_cndmask_b32_e64 v141, 0, v141, s0
	;; [unrolled: 7-line block ×4, first 2 shown]
.LBB363_53:                             ;   in Loop: Header=BB363_29 Depth=1
	s_wait_alu 0xfffe
	s_or_b32 exec_lo, exec_lo, s7
	global_load_b64 v[117:118], v[13:14], off offset:3072
	s_wait_loadcnt 0x0
	v_bfe_u32 v115, v117, 16, 8
	v_bfe_u32 v16, v117, 8, 8
	;; [unrolled: 1-line block ×4, first 2 shown]
	s_delay_alu instid0(VALU_DEP_4)
	v_cvt_f32_fp8_e32 v115, v115
	v_and_b32_e32 v0, 0xff, v117
	v_lshrrev_b32_e32 v117, 24, v117
	v_cvt_f32_fp8_e32 v16, v16
	v_cvt_f32_fp8_e32 v144, v144
	v_mul_f32_e32 v115, s2, v115
	v_cvt_f32_fp8_e32 v0, v0
	v_and_b32_e32 v119, 0xff, v118
	v_cvt_f32_fp8_e32 v117, v117
	v_mul_f32_e32 v16, s2, v16
	v_bfe_u32 v150, v115, 16, 1
	v_mul_f32_e32 v0, s2, v0
	v_cvt_f32_fp8_e32 v119, v119
	v_mul_f32_e32 v117, s2, v117
	v_bfe_u32 v148, v16, 16, 1
	v_or_b32_e32 v149, 0x400000, v16
	v_bfe_u32 v146, v0, 16, 1
	v_or_b32_e32 v147, 0x400000, v0
	v_cmp_u_f32_e64 s0, v0, v0
	v_add3_u32 v148, v148, v16, 0x7fff
	v_dual_mul_f32 v119, s2, v119 :: v_dual_mul_f32 v144, s2, v144
	v_add3_u32 v146, v146, v0, 0x7fff
	v_or_b32_e32 v151, 0x400000, v115
	v_bfe_u32 v152, v117, 16, 1
	v_add3_u32 v150, v150, v115, 0x7fff
	v_lshrrev_b32_e32 v118, 24, v118
	s_wait_alu 0xf1ff
	v_cndmask_b32_e64 v0, v146, v147, s0
	v_cmp_u_f32_e64 s0, v16, v16
	v_cvt_f32_fp8_e32 v145, v145
	v_or_b32_e32 v153, 0x400000, v117
	v_bfe_u32 v154, v119, 16, 1
	v_add3_u32 v152, v152, v117, 0x7fff
	s_wait_alu 0xf1ff
	v_cndmask_b32_e64 v16, v148, v149, s0
	v_cmp_u_f32_e64 s0, v115, v115
	v_cvt_f32_fp8_e32 v118, v118
	v_mul_f32_e32 v145, s2, v145
	v_or_b32_e32 v155, 0x400000, v119
	v_bfe_u32 v156, v144, 16, 1
	s_wait_alu 0xf1ff
	v_cndmask_b32_e64 v115, v150, v151, s0
	v_cmp_u_f32_e64 s0, v117, v117
	v_add3_u32 v154, v154, v119, 0x7fff
	v_mul_f32_e32 v118, s2, v118
	v_or_b32_e32 v157, 0x400000, v144
	v_bfe_u32 v158, v145, 16, 1
	s_wait_alu 0xf1ff
	v_cndmask_b32_e64 v117, v152, v153, s0
	v_cmp_u_f32_e64 s0, v119, v119
	v_add3_u32 v156, v156, v144, 0x7fff
	v_or_b32_e32 v159, 0x400000, v145
	v_bfe_u32 v160, v118, 16, 1
	v_add3_u32 v158, v158, v145, 0x7fff
	s_wait_alu 0xf1ff
	v_cndmask_b32_e64 v119, v154, v155, s0
	v_cmp_u_f32_e64 s0, v144, v144
	v_or_b32_e32 v161, 0x400000, v118
	v_add3_u32 v160, v160, v118, 0x7fff
	v_lshrrev_b32_e32 v150, 16, v0
	v_lshrrev_b32_e32 v151, 16, v16
	s_wait_alu 0xf1ff
	v_cndmask_b32_e64 v144, v156, v157, s0
	v_cmp_u_f32_e64 s0, v145, v145
	v_lshrrev_b32_e32 v148, 16, v115
	v_lshrrev_b32_e32 v149, 16, v117
	;; [unrolled: 1-line block ×4, first 2 shown]
	s_wait_alu 0xf1ff
	v_cndmask_b32_e64 v145, v158, v159, s0
	v_cmp_u_f32_e64 s0, v118, v118
	s_delay_alu instid0(VALU_DEP_2) | instskip(SKIP_1) | instid1(VALU_DEP_2)
	v_lshrrev_b32_e32 v144, 16, v145
	s_wait_alu 0xf1ff
	v_cndmask_b32_e64 v118, v160, v161, s0
	s_delay_alu instid0(VALU_DEP_1)
	v_lshrrev_b32_e32 v145, 16, v118
	s_and_saveexec_b32 s7, vcc_lo
	s_cbranch_execz .LBB363_55
; %bb.54:                               ;   in Loop: Header=BB363_29 Depth=1
	v_cmp_gt_i32_e64 s0, s27, v83
	s_wait_alu 0xf1ff
	s_delay_alu instid0(VALU_DEP_1) | instskip(SKIP_2) | instid1(VALU_DEP_1)
	v_cndmask_b32_e64 v150, 0, v150, s0
	v_cmp_gt_i32_e64 s0, s27, v91
	s_wait_alu 0xf1ff
	v_cndmask_b32_e64 v151, 0, v151, s0
	v_cmp_gt_i32_e64 s0, s27, v90
	s_wait_alu 0xf1ff
	s_delay_alu instid0(VALU_DEP_1) | instskip(SKIP_2) | instid1(VALU_DEP_1)
	v_cndmask_b32_e64 v148, 0, v148, s0
	v_cmp_gt_i32_e64 s0, s27, v89
	s_wait_alu 0xf1ff
	v_cndmask_b32_e64 v149, 0, v149, s0
	;; [unrolled: 7-line block ×4, first 2 shown]
.LBB363_55:                             ;   in Loop: Header=BB363_29 Depth=1
	s_wait_alu 0xfffe
	s_or_b32 exec_lo, exec_lo, s7
	global_load_b64 v[117:118], v[13:14], off offset:3328
	s_wait_loadcnt 0x0
	v_bfe_u32 v115, v117, 16, 8
	v_bfe_u32 v16, v117, 8, 8
	;; [unrolled: 1-line block ×4, first 2 shown]
	s_delay_alu instid0(VALU_DEP_4)
	v_cvt_f32_fp8_e32 v115, v115
	v_and_b32_e32 v0, 0xff, v117
	v_lshrrev_b32_e32 v117, 24, v117
	v_cvt_f32_fp8_e32 v16, v16
	v_cvt_f32_fp8_e32 v152, v152
	v_mul_f32_e32 v115, s2, v115
	v_cvt_f32_fp8_e32 v0, v0
	v_and_b32_e32 v119, 0xff, v118
	v_cvt_f32_fp8_e32 v117, v117
	v_mul_f32_e32 v16, s2, v16
	v_bfe_u32 v158, v115, 16, 1
	v_mul_f32_e32 v0, s2, v0
	v_cvt_f32_fp8_e32 v119, v119
	v_mul_f32_e32 v117, s2, v117
	v_bfe_u32 v156, v16, 16, 1
	v_or_b32_e32 v157, 0x400000, v16
	v_bfe_u32 v154, v0, 16, 1
	v_or_b32_e32 v155, 0x400000, v0
	v_cmp_u_f32_e64 s0, v0, v0
	v_add3_u32 v156, v156, v16, 0x7fff
	v_dual_mul_f32 v119, s2, v119 :: v_dual_mul_f32 v152, s2, v152
	v_add3_u32 v154, v154, v0, 0x7fff
	v_or_b32_e32 v159, 0x400000, v115
	v_bfe_u32 v160, v117, 16, 1
	v_add3_u32 v158, v158, v115, 0x7fff
	v_lshrrev_b32_e32 v118, 24, v118
	s_wait_alu 0xf1ff
	v_cndmask_b32_e64 v0, v154, v155, s0
	v_cmp_u_f32_e64 s0, v16, v16
	v_cvt_f32_fp8_e32 v153, v153
	v_or_b32_e32 v161, 0x400000, v117
	v_bfe_u32 v162, v119, 16, 1
	v_add3_u32 v160, v160, v117, 0x7fff
	s_wait_alu 0xf1ff
	v_cndmask_b32_e64 v16, v156, v157, s0
	v_cmp_u_f32_e64 s0, v115, v115
	v_cvt_f32_fp8_e32 v118, v118
	v_mul_f32_e32 v153, s2, v153
	v_or_b32_e32 v163, 0x400000, v119
	v_bfe_u32 v164, v152, 16, 1
	s_wait_alu 0xf1ff
	v_cndmask_b32_e64 v115, v158, v159, s0
	v_cmp_u_f32_e64 s0, v117, v117
	v_add3_u32 v162, v162, v119, 0x7fff
	v_mul_f32_e32 v118, s2, v118
	v_or_b32_e32 v165, 0x400000, v152
	v_bfe_u32 v166, v153, 16, 1
	s_wait_alu 0xf1ff
	v_cndmask_b32_e64 v117, v160, v161, s0
	v_cmp_u_f32_e64 s0, v119, v119
	v_add3_u32 v164, v164, v152, 0x7fff
	v_or_b32_e32 v167, 0x400000, v153
	v_bfe_u32 v168, v118, 16, 1
	v_add3_u32 v166, v166, v153, 0x7fff
	s_wait_alu 0xf1ff
	v_cndmask_b32_e64 v119, v162, v163, s0
	v_cmp_u_f32_e64 s0, v152, v152
	v_or_b32_e32 v169, 0x400000, v118
	v_add3_u32 v168, v168, v118, 0x7fff
	v_lshrrev_b32_e32 v158, 16, v0
	v_lshrrev_b32_e32 v159, 16, v16
	s_wait_alu 0xf1ff
	v_cndmask_b32_e64 v152, v164, v165, s0
	v_cmp_u_f32_e64 s0, v153, v153
	v_lshrrev_b32_e32 v156, 16, v115
	v_lshrrev_b32_e32 v157, 16, v117
	;; [unrolled: 1-line block ×4, first 2 shown]
	s_wait_alu 0xf1ff
	v_cndmask_b32_e64 v153, v166, v167, s0
	v_cmp_u_f32_e64 s0, v118, v118
	s_delay_alu instid0(VALU_DEP_2) | instskip(SKIP_1) | instid1(VALU_DEP_2)
	v_lshrrev_b32_e32 v152, 16, v153
	s_wait_alu 0xf1ff
	v_cndmask_b32_e64 v118, v168, v169, s0
	s_delay_alu instid0(VALU_DEP_1)
	v_lshrrev_b32_e32 v153, 16, v118
	s_and_saveexec_b32 s7, vcc_lo
	s_cbranch_execz .LBB363_57
; %bb.56:                               ;   in Loop: Header=BB363_29 Depth=1
	v_cmp_gt_i32_e64 s0, s27, v83
	s_wait_alu 0xf1ff
	s_delay_alu instid0(VALU_DEP_1) | instskip(SKIP_2) | instid1(VALU_DEP_1)
	v_cndmask_b32_e64 v158, 0, v158, s0
	v_cmp_gt_i32_e64 s0, s27, v91
	s_wait_alu 0xf1ff
	v_cndmask_b32_e64 v159, 0, v159, s0
	v_cmp_gt_i32_e64 s0, s27, v90
	s_wait_alu 0xf1ff
	s_delay_alu instid0(VALU_DEP_1) | instskip(SKIP_2) | instid1(VALU_DEP_1)
	v_cndmask_b32_e64 v156, 0, v156, s0
	v_cmp_gt_i32_e64 s0, s27, v89
	s_wait_alu 0xf1ff
	v_cndmask_b32_e64 v157, 0, v157, s0
	;; [unrolled: 7-line block ×4, first 2 shown]
.LBB363_57:                             ;   in Loop: Header=BB363_29 Depth=1
	s_wait_alu 0xfffe
	s_or_b32 exec_lo, exec_lo, s7
	global_load_b64 v[13:14], v[13:14], off offset:3584
	s_wait_loadcnt 0x0
	v_bfe_u32 v115, v13, 16, 8
	v_bfe_u32 v16, v13, 8, 8
	;; [unrolled: 1-line block ×4, first 2 shown]
	s_delay_alu instid0(VALU_DEP_4)
	v_cvt_f32_fp8_e32 v115, v115
	v_and_b32_e32 v0, 0xff, v13
	v_lshrrev_b32_e32 v13, 24, v13
	v_cvt_f32_fp8_e32 v16, v16
	v_cvt_f32_fp8_e32 v118, v118
	v_mul_f32_e32 v115, s2, v115
	v_cvt_f32_fp8_e32 v0, v0
	v_and_b32_e32 v117, 0xff, v14
	v_cvt_f32_fp8_e32 v13, v13
	v_mul_f32_e32 v16, s2, v16
	v_bfe_u32 v164, v115, 16, 1
	v_mul_f32_e32 v0, s2, v0
	v_cvt_f32_fp8_e32 v117, v117
	v_mul_f32_e32 v13, s2, v13
	v_bfe_u32 v162, v16, 16, 1
	v_or_b32_e32 v163, 0x400000, v16
	v_bfe_u32 v160, v0, 16, 1
	v_or_b32_e32 v161, 0x400000, v0
	v_cmp_u_f32_e64 s0, v0, v0
	v_add3_u32 v162, v162, v16, 0x7fff
	v_dual_mul_f32 v117, s2, v117 :: v_dual_mul_f32 v118, s2, v118
	v_add3_u32 v160, v160, v0, 0x7fff
	v_or_b32_e32 v165, 0x400000, v115
	v_bfe_u32 v166, v13, 16, 1
	v_add3_u32 v164, v164, v115, 0x7fff
	v_lshrrev_b32_e32 v14, 24, v14
	s_wait_alu 0xf1ff
	v_cndmask_b32_e64 v0, v160, v161, s0
	v_cmp_u_f32_e64 s0, v16, v16
	v_cvt_f32_fp8_e32 v119, v119
	v_or_b32_e32 v167, 0x400000, v13
	v_bfe_u32 v168, v117, 16, 1
	v_add3_u32 v166, v166, v13, 0x7fff
	s_wait_alu 0xf1ff
	v_cndmask_b32_e64 v16, v162, v163, s0
	v_cmp_u_f32_e64 s0, v115, v115
	v_cvt_f32_fp8_e32 v14, v14
	v_mul_f32_e32 v119, s2, v119
	v_or_b32_e32 v169, 0x400000, v117
	v_bfe_u32 v170, v118, 16, 1
	s_wait_alu 0xf1ff
	v_cndmask_b32_e64 v115, v164, v165, s0
	v_cmp_u_f32_e64 s0, v13, v13
	v_add3_u32 v168, v168, v117, 0x7fff
	v_mul_f32_e32 v14, s2, v14
	v_or_b32_e32 v171, 0x400000, v118
	v_bfe_u32 v172, v119, 16, 1
	s_wait_alu 0xf1ff
	v_cndmask_b32_e64 v13, v166, v167, s0
	v_cmp_u_f32_e64 s0, v117, v117
	v_add3_u32 v170, v170, v118, 0x7fff
	v_or_b32_e32 v173, 0x400000, v119
	v_bfe_u32 v174, v14, 16, 1
	v_add3_u32 v172, v172, v119, 0x7fff
	s_wait_alu 0xf1ff
	v_cndmask_b32_e64 v117, v168, v169, s0
	v_cmp_u_f32_e64 s0, v118, v118
	v_or_b32_e32 v175, 0x400000, v14
	v_add3_u32 v174, v174, v14, 0x7fff
	v_lshrrev_b32_e32 v118, 16, v16
	v_lshrrev_b32_e32 v16, 16, v13
	s_wait_alu 0xf1ff
	v_cndmask_b32_e64 v160, v170, v171, s0
	v_cmp_u_f32_e64 s0, v119, v119
	v_lshrrev_b32_e32 v119, 16, v0
	v_lshrrev_b32_e32 v0, 16, v115
	;; [unrolled: 1-line block ×4, first 2 shown]
	s_wait_alu 0xf1ff
	v_cndmask_b32_e64 v161, v172, v173, s0
	v_cmp_u_f32_e64 s0, v14, v14
	s_delay_alu instid0(VALU_DEP_2) | instskip(SKIP_1) | instid1(VALU_DEP_2)
	v_lshrrev_b32_e32 v14, 16, v161
	s_wait_alu 0xf1ff
	v_cndmask_b32_e64 v162, v174, v175, s0
	s_delay_alu instid0(VALU_DEP_1)
	v_lshrrev_b32_e32 v13, 16, v162
	s_and_saveexec_b32 s0, vcc_lo
	s_cbranch_execz .LBB363_28
; %bb.58:                               ;   in Loop: Header=BB363_29 Depth=1
	v_cmp_gt_i32_e32 vcc_lo, s27, v83
	s_wait_alu 0xfffd
	v_cndmask_b32_e32 v119, 0, v119, vcc_lo
	v_cmp_gt_i32_e32 vcc_lo, s27, v91
	s_wait_alu 0xfffd
	v_cndmask_b32_e32 v118, 0, v118, vcc_lo
	;; [unrolled: 3-line block ×8, first 2 shown]
	s_branch .LBB363_28
.LBB363_59:
	s_or_b32 exec_lo, exec_lo, s6
.LBB363_60:
	s_wait_alu 0xfffe
	s_or_b32 exec_lo, exec_lo, s1
	ds_bpermute_b32 v0, v19, v33
	ds_bpermute_b32 v1, v19, v35
	;; [unrolled: 1-line block ×15, first 2 shown]
	s_mov_b32 s0, exec_lo
	s_wait_storecnt 0x0
	s_wait_loadcnt_dscnt 0x0
	s_barrier_signal -1
	s_barrier_wait -1
	global_inv scope:SCOPE_SE
	v_dual_add_f32 v0, v33, v0 :: v_dual_add_f32 v1, v35, v1
	v_dual_add_f32 v2, v34, v2 :: v_dual_add_f32 v3, v32, v3
	;; [unrolled: 1-line block ×3, first 2 shown]
	ds_bpermute_b32 v15, v18, v0
	v_dual_add_f32 v6, v29, v6 :: v_dual_add_f32 v7, v28, v7
	ds_bpermute_b32 v16, v18, v1
	v_dual_add_f32 v27, v27, v8 :: v_dual_add_f32 v26, v26, v9
	v_dual_add_f32 v25, v25, v10 :: v_dual_add_f32 v24, v24, v11
	;; [unrolled: 1-line block ×3, first 2 shown]
	v_add_f32_e32 v21, v21, v14
	ds_bpermute_b32 v17, v18, v2
	ds_bpermute_b32 v19, v18, v3
	;; [unrolled: 1-line block ×12, first 2 shown]
	s_wait_dscnt 0xd
	v_add_f32_e32 v14, v0, v15
	ds_bpermute_b32 v18, v18, v21
	s_wait_dscnt 0xd
	v_dual_add_f32 v13, v1, v16 :: v_dual_and_b32 v16, 28, v178
	v_lshrrev_b32_e32 v15, 2, v178
	s_wait_dscnt 0xb
	v_dual_add_f32 v12, v2, v17 :: v_dual_add_f32 v11, v3, v19
	s_wait_dscnt 0x9
	v_dual_add_f32 v10, v4, v29 :: v_dual_add_f32 v9, v5, v28
	;; [unrolled: 2-line block ×6, first 2 shown]
	s_wait_dscnt 0x0
	v_dual_add_f32 v2, v21, v18 :: v_dual_and_b32 v19, 0x3c3, v176
	v_add_nc_u32_e32 v16, 0x110, v16
	v_mul_u32_u24_e32 v17, 0x1e0, v177
	s_delay_alu instid0(VALU_DEP_3)
	v_cmpx_eq_u32_e32 64, v19
	s_cbranch_execz .LBB363_62
; %bb.61:
	s_delay_alu instid0(VALU_DEP_2) | instskip(NEXT) | instid1(VALU_DEP_1)
	v_add_nc_u32_e32 v18, v16, v17
	v_add_nc_u32_e32 v19, 0xfffffc40, v18
	;; [unrolled: 1-line block ×9, first 2 shown]
	ds_store_b32 v19, v14
	ds_store_b32 v21, v13
	;; [unrolled: 1-line block ×8, first 2 shown]
	v_add_nc_u32_e32 v19, 0xfffffd40, v18
	v_add_nc_u32_e32 v21, 0xfffffd60, v18
	;; [unrolled: 1-line block ×7, first 2 shown]
	ds_store_b32 v19, v6
	ds_store_b32 v21, v5
	ds_store_b32 v22, v4
	ds_store_b32 v23, v3
	ds_store_b32 v24, v0
	ds_store_b32 v25, v1
	ds_store_b32 v18, v2
.LBB363_62:
	s_wait_alu 0xfffe
	s_or_b32 exec_lo, exec_lo, s0
	v_lshlrev_b32_e32 v15, 2, v15
	s_mov_b32 s1, exec_lo
	v_cmp_eq_u32_e32 vcc_lo, 0, v20
	s_wait_loadcnt_dscnt 0x0
	s_barrier_signal -1
	v_add3_u32 v15, 0x110, v17, v15
	s_barrier_wait -1
	global_inv scope:SCOPE_SE
	v_cmpx_gt_u32_e32 64, v176
	s_cbranch_execz .LBB363_80
; %bb.63:
	s_and_saveexec_b32 s0, vcc_lo
	s_cbranch_execnz .LBB363_103
; %bb.64:
	s_wait_alu 0xfffe
	s_or_b32 exec_lo, exec_lo, s0
	s_and_saveexec_b32 s0, vcc_lo
	s_cbranch_execnz .LBB363_104
.LBB363_65:
	s_wait_alu 0xfffe
	s_or_b32 exec_lo, exec_lo, s0
	s_and_saveexec_b32 s0, vcc_lo
	s_cbranch_execnz .LBB363_105
.LBB363_66:
	s_wait_alu 0xfffe
	s_or_b32 exec_lo, exec_lo, s0
	s_and_saveexec_b32 s0, vcc_lo
	s_cbranch_execnz .LBB363_106
.LBB363_67:
	s_wait_alu 0xfffe
	s_or_b32 exec_lo, exec_lo, s0
	s_and_saveexec_b32 s0, vcc_lo
	s_cbranch_execnz .LBB363_107
.LBB363_68:
	s_wait_alu 0xfffe
	s_or_b32 exec_lo, exec_lo, s0
	s_and_saveexec_b32 s0, vcc_lo
	s_cbranch_execnz .LBB363_108
.LBB363_69:
	s_wait_alu 0xfffe
	s_or_b32 exec_lo, exec_lo, s0
	s_and_saveexec_b32 s0, vcc_lo
	s_cbranch_execnz .LBB363_109
.LBB363_70:
	s_wait_alu 0xfffe
	s_or_b32 exec_lo, exec_lo, s0
	s_and_saveexec_b32 s0, vcc_lo
	s_cbranch_execnz .LBB363_110
.LBB363_71:
	s_wait_alu 0xfffe
	s_or_b32 exec_lo, exec_lo, s0
	s_and_saveexec_b32 s0, vcc_lo
	s_cbranch_execnz .LBB363_111
.LBB363_72:
	s_wait_alu 0xfffe
	s_or_b32 exec_lo, exec_lo, s0
	s_and_saveexec_b32 s0, vcc_lo
	s_cbranch_execnz .LBB363_112
.LBB363_73:
	s_wait_alu 0xfffe
	s_or_b32 exec_lo, exec_lo, s0
	s_and_saveexec_b32 s0, vcc_lo
	s_cbranch_execnz .LBB363_113
.LBB363_74:
	s_wait_alu 0xfffe
	s_or_b32 exec_lo, exec_lo, s0
	s_and_saveexec_b32 s0, vcc_lo
	s_cbranch_execnz .LBB363_114
.LBB363_75:
	s_wait_alu 0xfffe
	s_or_b32 exec_lo, exec_lo, s0
	s_and_saveexec_b32 s0, vcc_lo
	s_cbranch_execnz .LBB363_115
.LBB363_76:
	s_wait_alu 0xfffe
	s_or_b32 exec_lo, exec_lo, s0
	s_and_saveexec_b32 s0, vcc_lo
	s_cbranch_execnz .LBB363_116
.LBB363_77:
	s_wait_alu 0xfffe
	s_or_b32 exec_lo, exec_lo, s0
	s_and_saveexec_b32 s0, vcc_lo
	s_cbranch_execz .LBB363_79
.LBB363_78:
	ds_load_b32 v17, v15 offset:448
	s_wait_dscnt 0x0
	v_add_f32_e32 v2, v2, v17
.LBB363_79:
	s_wait_alu 0xfffe
	s_or_b32 exec_lo, exec_lo, s0
.LBB363_80:
	s_wait_alu 0xfffe
	s_or_b32 exec_lo, exec_lo, s1
	v_and_b32_e32 v17, 0x3e3, v176
	s_mov_b32 s1, exec_lo
	s_wait_loadcnt 0x0
	s_barrier_signal -1
	s_barrier_wait -1
	global_inv scope:SCOPE_SE
	v_cmpx_eq_u32_e32 32, v17
	s_cbranch_execz .LBB363_82
; %bb.81:
	ds_store_2addr_b32 v16, v14, v13 offset1:8
	ds_store_2addr_b32 v16, v12, v11 offset0:16 offset1:24
	ds_store_2addr_b32 v16, v10, v9 offset0:32 offset1:40
	;; [unrolled: 1-line block ×6, first 2 shown]
	ds_store_b32 v16, v2 offset:448
.LBB363_82:
	s_wait_alu 0xfffe
	s_or_b32 exec_lo, exec_lo, s1
	s_delay_alu instid0(SALU_CYCLE_1)
	s_mov_b32 s1, exec_lo
	s_wait_loadcnt_dscnt 0x0
	s_barrier_signal -1
	s_barrier_wait -1
	global_inv scope:SCOPE_SE
	v_cmpx_gt_u32_e32 32, v176
	s_cbranch_execz .LBB363_100
; %bb.83:
	s_and_saveexec_b32 s0, vcc_lo
	s_cbranch_execnz .LBB363_117
; %bb.84:
	s_wait_alu 0xfffe
	s_or_b32 exec_lo, exec_lo, s0
	s_and_saveexec_b32 s0, vcc_lo
	s_cbranch_execnz .LBB363_118
.LBB363_85:
	s_wait_alu 0xfffe
	s_or_b32 exec_lo, exec_lo, s0
	s_and_saveexec_b32 s0, vcc_lo
	s_cbranch_execnz .LBB363_119
.LBB363_86:
	s_wait_alu 0xfffe
	s_or_b32 exec_lo, exec_lo, s0
	s_and_saveexec_b32 s0, vcc_lo
	s_cbranch_execnz .LBB363_120
.LBB363_87:
	s_wait_alu 0xfffe
	s_or_b32 exec_lo, exec_lo, s0
	s_and_saveexec_b32 s0, vcc_lo
	s_cbranch_execnz .LBB363_121
.LBB363_88:
	s_wait_alu 0xfffe
	s_or_b32 exec_lo, exec_lo, s0
	s_and_saveexec_b32 s0, vcc_lo
	s_cbranch_execnz .LBB363_122
.LBB363_89:
	s_wait_alu 0xfffe
	s_or_b32 exec_lo, exec_lo, s0
	s_and_saveexec_b32 s0, vcc_lo
	s_cbranch_execnz .LBB363_123
.LBB363_90:
	s_wait_alu 0xfffe
	s_or_b32 exec_lo, exec_lo, s0
	s_and_saveexec_b32 s0, vcc_lo
	s_cbranch_execnz .LBB363_124
.LBB363_91:
	s_wait_alu 0xfffe
	s_or_b32 exec_lo, exec_lo, s0
	s_and_saveexec_b32 s0, vcc_lo
	s_cbranch_execnz .LBB363_125
.LBB363_92:
	s_wait_alu 0xfffe
	s_or_b32 exec_lo, exec_lo, s0
	s_and_saveexec_b32 s0, vcc_lo
	s_cbranch_execnz .LBB363_126
.LBB363_93:
	s_wait_alu 0xfffe
	s_or_b32 exec_lo, exec_lo, s0
	s_and_saveexec_b32 s0, vcc_lo
	s_cbranch_execnz .LBB363_127
.LBB363_94:
	s_wait_alu 0xfffe
	s_or_b32 exec_lo, exec_lo, s0
	s_and_saveexec_b32 s0, vcc_lo
	s_cbranch_execnz .LBB363_128
.LBB363_95:
	s_wait_alu 0xfffe
	s_or_b32 exec_lo, exec_lo, s0
	s_and_saveexec_b32 s0, vcc_lo
	s_cbranch_execnz .LBB363_129
.LBB363_96:
	s_wait_alu 0xfffe
	s_or_b32 exec_lo, exec_lo, s0
	s_and_saveexec_b32 s0, vcc_lo
	s_cbranch_execnz .LBB363_130
.LBB363_97:
	s_wait_alu 0xfffe
	s_or_b32 exec_lo, exec_lo, s0
	s_and_saveexec_b32 s0, vcc_lo
	s_cbranch_execz .LBB363_99
.LBB363_98:
	ds_load_b32 v15, v15 offset:448
	s_wait_dscnt 0x0
	v_add_f32_e32 v2, v2, v15
.LBB363_99:
	s_wait_alu 0xfffe
	s_or_b32 exec_lo, exec_lo, s0
.LBB363_100:
	s_wait_alu 0xfffe
	s_or_b32 exec_lo, exec_lo, s1
	s_mov_b32 s1, 0
	s_wait_loadcnt 0x0
	s_barrier_signal -1
	s_barrier_wait -1
	global_inv scope:SCOPE_SE
	s_mov_b32 s0, exec_lo
	v_cmpx_eq_u32_e32 0, v17
	s_cbranch_execz .LBB363_102
; %bb.101:
	v_bfe_u32 v15, v14, 16, 1
	v_bfe_u32 v16, v13, 16, 1
	v_or_b32_e32 v18, 0x400000, v14
	v_cmp_u_f32_e32 vcc_lo, v14, v14
	v_or_b32_e32 v19, 0x400000, v13
	v_add3_u32 v15, v15, v14, 0x7fff
	v_add3_u32 v16, v16, v13, 0x7fff
	v_bfe_u32 v20, v12, 16, 1
	s_mul_i32 s2, s14, 0x78
	s_mul_i32 s6, s12, s16
	s_wait_alu 0xfffd
	v_cndmask_b32_e32 v14, v15, v18, vcc_lo
	v_cmp_u_f32_e32 vcc_lo, v13, v13
	v_bfe_u32 v15, v11, 16, 1
	v_or_b32_e32 v18, 0x400000, v12
	s_wait_alu 0xfffe
	s_ashr_i32 s3, s2, 31
	s_ashr_i32 s7, s6, 31
	s_wait_alu 0xfffd
	v_cndmask_b32_e32 v13, v16, v19, vcc_lo
	v_add3_u32 v16, v20, v12, 0x7fff
	v_cmp_u_f32_e32 vcc_lo, v12, v12
	v_add3_u32 v15, v15, v11, 0x7fff
	v_or_b32_e32 v19, 0x400000, v11
	v_bfe_u32 v20, v10, 16, 1
	s_wait_alu 0xfffe
	s_lshl_b64 s[2:3], s[2:3], 1
	s_wait_alu 0xfffd
	v_cndmask_b32_e32 v12, v16, v18, vcc_lo
	v_cmp_u_f32_e32 vcc_lo, v11, v11
	v_bfe_u32 v16, v9, 16, 1
	v_or_b32_e32 v18, 0x400000, v10
	s_lshl_b64 s[6:7], s[6:7], 1
	s_wait_kmcnt 0x0
	s_wait_alu 0xfffe
	s_add_nc_u64 s[2:3], s[4:5], s[2:3]
	s_wait_alu 0xfffd
	v_cndmask_b32_e32 v11, v15, v19, vcc_lo
	v_add3_u32 v15, v20, v10, 0x7fff
	v_cmp_u_f32_e32 vcc_lo, v10, v10
	v_add3_u32 v16, v16, v9, 0x7fff
	v_or_b32_e32 v19, 0x400000, v9
	v_bfe_u32 v20, v8, 16, 1
	v_lshrrev_b32_e32 v17, 1, v176
	s_wait_alu 0xfffd
	v_cndmask_b32_e32 v10, v15, v18, vcc_lo
	v_cmp_u_f32_e32 vcc_lo, v9, v9
	v_bfe_u32 v15, v7, 16, 1
	v_or_b32_e32 v18, 0x400000, v8
	s_wait_alu 0xfffe
	s_add_nc_u64 s[2:3], s[2:3], s[6:7]
	s_mul_i32 s0, s26, 0xf0
	s_wait_alu 0xfffd
	v_cndmask_b32_e32 v9, v16, v19, vcc_lo
	v_add3_u32 v16, v20, v8, 0x7fff
	v_cmp_u_f32_e32 vcc_lo, v8, v8
	v_add3_u32 v15, v15, v7, 0x7fff
	v_or_b32_e32 v19, 0x400000, v7
	v_bfe_u32 v20, v6, 16, 1
	s_wait_alu 0xfffe
	s_add_nc_u64 s[0:1], s[2:3], s[0:1]
	s_wait_alu 0xfffd
	v_cndmask_b32_e32 v8, v16, v18, vcc_lo
	v_cmp_u_f32_e32 vcc_lo, v7, v7
	v_or_b32_e32 v16, 0x400000, v6
	v_bfe_u32 v18, v5, 16, 1
	s_wait_alu 0xfffd
	v_cndmask_b32_e32 v7, v15, v19, vcc_lo
	v_add3_u32 v15, v20, v6, 0x7fff
	v_cmp_u_f32_e32 vcc_lo, v6, v6
	s_clause 0x7
	global_store_d16_hi_b16 v17, v14, s[0:1]
	global_store_d16_hi_b16 v17, v13, s[0:1] offset:16
	global_store_d16_hi_b16 v17, v12, s[0:1] offset:32
	;; [unrolled: 1-line block ×7, first 2 shown]
	v_bfe_u32 v7, v4, 16, 1
	v_add3_u32 v8, v18, v5, 0x7fff
	v_or_b32_e32 v9, 0x400000, v5
	s_wait_alu 0xfffd
	v_cndmask_b32_e32 v6, v15, v16, vcc_lo
	v_cmp_u_f32_e32 vcc_lo, v5, v5
	v_bfe_u32 v10, v3, 16, 1
	v_add3_u32 v7, v7, v4, 0x7fff
	v_or_b32_e32 v11, 0x400000, v4
	v_or_b32_e32 v12, 0x400000, v2
	s_wait_alu 0xfffd
	v_cndmask_b32_e32 v5, v8, v9, vcc_lo
	v_cmp_u_f32_e32 vcc_lo, v4, v4
	v_add3_u32 v8, v10, v3, 0x7fff
	v_or_b32_e32 v9, 0x400000, v3
	v_bfe_u32 v10, v1, 16, 1
	s_wait_alu 0xfffd
	v_cndmask_b32_e32 v4, v7, v11, vcc_lo
	v_bfe_u32 v7, v0, 16, 1
	v_cmp_u_f32_e32 vcc_lo, v3, v3
	v_add3_u32 v10, v10, v1, 0x7fff
	v_or_b32_e32 v11, 0x400000, v1
	s_delay_alu instid0(VALU_DEP_4)
	v_add3_u32 v7, v7, v0, 0x7fff
	s_wait_alu 0xfffd
	v_cndmask_b32_e32 v3, v8, v9, vcc_lo
	v_or_b32_e32 v9, 0x400000, v0
	v_cmp_u_f32_e32 vcc_lo, v0, v0
	v_bfe_u32 v8, v2, 16, 1
	s_wait_alu 0xfffd
	s_delay_alu instid0(VALU_DEP_3) | instskip(SKIP_1) | instid1(VALU_DEP_3)
	v_cndmask_b32_e32 v0, v7, v9, vcc_lo
	v_cmp_u_f32_e32 vcc_lo, v1, v1
	v_add3_u32 v8, v8, v2, 0x7fff
	s_wait_alu 0xfffd
	v_cndmask_b32_e32 v1, v10, v11, vcc_lo
	v_cmp_u_f32_e32 vcc_lo, v2, v2
	s_wait_alu 0xfffd
	v_cndmask_b32_e32 v2, v8, v12, vcc_lo
	s_clause 0x6
	global_store_d16_hi_b16 v17, v6, s[0:1] offset:128
	global_store_d16_hi_b16 v17, v5, s[0:1] offset:144
	;; [unrolled: 1-line block ×7, first 2 shown]
.LBB363_102:
	s_nop 0
	s_sendmsg sendmsg(MSG_DEALLOC_VGPRS)
	s_endpgm
.LBB363_103:
	ds_load_b32 v17, v15
	s_wait_dscnt 0x0
	v_add_f32_e32 v14, v14, v17
	s_wait_alu 0xfffe
	s_or_b32 exec_lo, exec_lo, s0
	s_and_saveexec_b32 s0, vcc_lo
	s_cbranch_execz .LBB363_65
.LBB363_104:
	ds_load_b32 v17, v15 offset:32
	s_wait_dscnt 0x0
	v_add_f32_e32 v13, v13, v17
	s_wait_alu 0xfffe
	s_or_b32 exec_lo, exec_lo, s0
	s_and_saveexec_b32 s0, vcc_lo
	s_cbranch_execz .LBB363_66
.LBB363_105:
	ds_load_b32 v17, v15 offset:64
	s_wait_dscnt 0x0
	v_add_f32_e32 v12, v12, v17
	s_wait_alu 0xfffe
	s_or_b32 exec_lo, exec_lo, s0
	s_and_saveexec_b32 s0, vcc_lo
	s_cbranch_execz .LBB363_67
.LBB363_106:
	ds_load_b32 v17, v15 offset:96
	s_wait_dscnt 0x0
	v_add_f32_e32 v11, v11, v17
	s_wait_alu 0xfffe
	s_or_b32 exec_lo, exec_lo, s0
	s_and_saveexec_b32 s0, vcc_lo
	s_cbranch_execz .LBB363_68
.LBB363_107:
	ds_load_b32 v17, v15 offset:128
	s_wait_dscnt 0x0
	v_add_f32_e32 v10, v10, v17
	s_wait_alu 0xfffe
	s_or_b32 exec_lo, exec_lo, s0
	s_and_saveexec_b32 s0, vcc_lo
	s_cbranch_execz .LBB363_69
.LBB363_108:
	ds_load_b32 v17, v15 offset:160
	s_wait_dscnt 0x0
	v_add_f32_e32 v9, v9, v17
	s_wait_alu 0xfffe
	s_or_b32 exec_lo, exec_lo, s0
	s_and_saveexec_b32 s0, vcc_lo
	s_cbranch_execz .LBB363_70
.LBB363_109:
	ds_load_b32 v17, v15 offset:192
	s_wait_dscnt 0x0
	v_add_f32_e32 v8, v8, v17
	s_wait_alu 0xfffe
	s_or_b32 exec_lo, exec_lo, s0
	s_and_saveexec_b32 s0, vcc_lo
	s_cbranch_execz .LBB363_71
.LBB363_110:
	ds_load_b32 v17, v15 offset:224
	s_wait_dscnt 0x0
	v_add_f32_e32 v7, v7, v17
	s_wait_alu 0xfffe
	s_or_b32 exec_lo, exec_lo, s0
	s_and_saveexec_b32 s0, vcc_lo
	s_cbranch_execz .LBB363_72
.LBB363_111:
	ds_load_b32 v17, v15 offset:256
	s_wait_dscnt 0x0
	v_add_f32_e32 v6, v6, v17
	s_wait_alu 0xfffe
	s_or_b32 exec_lo, exec_lo, s0
	s_and_saveexec_b32 s0, vcc_lo
	s_cbranch_execz .LBB363_73
.LBB363_112:
	ds_load_b32 v17, v15 offset:288
	s_wait_dscnt 0x0
	v_add_f32_e32 v5, v5, v17
	s_wait_alu 0xfffe
	s_or_b32 exec_lo, exec_lo, s0
	s_and_saveexec_b32 s0, vcc_lo
	s_cbranch_execz .LBB363_74
.LBB363_113:
	ds_load_b32 v17, v15 offset:320
	s_wait_dscnt 0x0
	v_add_f32_e32 v4, v4, v17
	s_wait_alu 0xfffe
	s_or_b32 exec_lo, exec_lo, s0
	s_and_saveexec_b32 s0, vcc_lo
	s_cbranch_execz .LBB363_75
.LBB363_114:
	ds_load_b32 v17, v15 offset:352
	s_wait_dscnt 0x0
	v_add_f32_e32 v3, v3, v17
	s_wait_alu 0xfffe
	s_or_b32 exec_lo, exec_lo, s0
	s_and_saveexec_b32 s0, vcc_lo
	s_cbranch_execz .LBB363_76
.LBB363_115:
	ds_load_b32 v17, v15 offset:384
	s_wait_dscnt 0x0
	v_add_f32_e32 v0, v0, v17
	s_wait_alu 0xfffe
	s_or_b32 exec_lo, exec_lo, s0
	s_and_saveexec_b32 s0, vcc_lo
	s_cbranch_execz .LBB363_77
.LBB363_116:
	ds_load_b32 v17, v15 offset:416
	s_wait_dscnt 0x0
	v_add_f32_e32 v1, v1, v17
	s_wait_alu 0xfffe
	s_or_b32 exec_lo, exec_lo, s0
	s_and_saveexec_b32 s0, vcc_lo
	s_cbranch_execnz .LBB363_78
	s_branch .LBB363_79
.LBB363_117:
	ds_load_b32 v16, v15
	s_wait_dscnt 0x0
	v_add_f32_e32 v14, v14, v16
	s_wait_alu 0xfffe
	s_or_b32 exec_lo, exec_lo, s0
	s_and_saveexec_b32 s0, vcc_lo
	s_cbranch_execz .LBB363_85
.LBB363_118:
	ds_load_b32 v16, v15 offset:32
	s_wait_dscnt 0x0
	v_add_f32_e32 v13, v13, v16
	s_wait_alu 0xfffe
	s_or_b32 exec_lo, exec_lo, s0
	s_and_saveexec_b32 s0, vcc_lo
	s_cbranch_execz .LBB363_86
.LBB363_119:
	ds_load_b32 v16, v15 offset:64
	s_wait_dscnt 0x0
	v_add_f32_e32 v12, v12, v16
	s_wait_alu 0xfffe
	s_or_b32 exec_lo, exec_lo, s0
	s_and_saveexec_b32 s0, vcc_lo
	s_cbranch_execz .LBB363_87
.LBB363_120:
	ds_load_b32 v16, v15 offset:96
	s_wait_dscnt 0x0
	v_add_f32_e32 v11, v11, v16
	s_wait_alu 0xfffe
	s_or_b32 exec_lo, exec_lo, s0
	s_and_saveexec_b32 s0, vcc_lo
	s_cbranch_execz .LBB363_88
.LBB363_121:
	ds_load_b32 v16, v15 offset:128
	s_wait_dscnt 0x0
	v_add_f32_e32 v10, v10, v16
	s_wait_alu 0xfffe
	s_or_b32 exec_lo, exec_lo, s0
	s_and_saveexec_b32 s0, vcc_lo
	s_cbranch_execz .LBB363_89
.LBB363_122:
	ds_load_b32 v16, v15 offset:160
	s_wait_dscnt 0x0
	v_add_f32_e32 v9, v9, v16
	s_wait_alu 0xfffe
	s_or_b32 exec_lo, exec_lo, s0
	s_and_saveexec_b32 s0, vcc_lo
	s_cbranch_execz .LBB363_90
.LBB363_123:
	ds_load_b32 v16, v15 offset:192
	s_wait_dscnt 0x0
	v_add_f32_e32 v8, v8, v16
	s_wait_alu 0xfffe
	s_or_b32 exec_lo, exec_lo, s0
	s_and_saveexec_b32 s0, vcc_lo
	s_cbranch_execz .LBB363_91
.LBB363_124:
	ds_load_b32 v16, v15 offset:224
	s_wait_dscnt 0x0
	v_add_f32_e32 v7, v7, v16
	s_wait_alu 0xfffe
	s_or_b32 exec_lo, exec_lo, s0
	s_and_saveexec_b32 s0, vcc_lo
	s_cbranch_execz .LBB363_92
.LBB363_125:
	ds_load_b32 v16, v15 offset:256
	s_wait_dscnt 0x0
	v_add_f32_e32 v6, v6, v16
	s_wait_alu 0xfffe
	s_or_b32 exec_lo, exec_lo, s0
	s_and_saveexec_b32 s0, vcc_lo
	s_cbranch_execz .LBB363_93
.LBB363_126:
	ds_load_b32 v16, v15 offset:288
	s_wait_dscnt 0x0
	v_add_f32_e32 v5, v5, v16
	s_wait_alu 0xfffe
	s_or_b32 exec_lo, exec_lo, s0
	s_and_saveexec_b32 s0, vcc_lo
	s_cbranch_execz .LBB363_94
.LBB363_127:
	ds_load_b32 v16, v15 offset:320
	s_wait_dscnt 0x0
	v_add_f32_e32 v4, v4, v16
	s_wait_alu 0xfffe
	s_or_b32 exec_lo, exec_lo, s0
	s_and_saveexec_b32 s0, vcc_lo
	s_cbranch_execz .LBB363_95
.LBB363_128:
	ds_load_b32 v16, v15 offset:352
	s_wait_dscnt 0x0
	v_add_f32_e32 v3, v3, v16
	s_wait_alu 0xfffe
	s_or_b32 exec_lo, exec_lo, s0
	s_and_saveexec_b32 s0, vcc_lo
	s_cbranch_execz .LBB363_96
.LBB363_129:
	ds_load_b32 v16, v15 offset:384
	s_wait_dscnt 0x0
	v_add_f32_e32 v0, v0, v16
	s_wait_alu 0xfffe
	s_or_b32 exec_lo, exec_lo, s0
	s_and_saveexec_b32 s0, vcc_lo
	s_cbranch_execz .LBB363_97
.LBB363_130:
	ds_load_b32 v16, v15 offset:416
	s_wait_dscnt 0x0
	v_add_f32_e32 v1, v1, v16
	s_wait_alu 0xfffe
	s_or_b32 exec_lo, exec_lo, s0
	s_and_saveexec_b32 s0, vcc_lo
	s_cbranch_execnz .LBB363_98
	s_branch .LBB363_99
	.section	.rodata,"a",@progbits
	.p2align	6, 0x0
	.amdhsa_kernel _ZN4vllm25paged_attention_v2_kernelI14__hip_bfloat16hLi120ELi32ELi128ELNS_18Fp8KVCacheDataTypeE1ELb0ELi512EEEvPfS3_PT_PKS4_PKT0_SA_ifPKiSC_iPKfiiiSE_SE_iiiii
		.amdhsa_group_segment_fixed_size 272
		.amdhsa_private_segment_fixed_size 296
		.amdhsa_kernarg_size 400
		.amdhsa_user_sgpr_count 2
		.amdhsa_user_sgpr_dispatch_ptr 0
		.amdhsa_user_sgpr_queue_ptr 0
		.amdhsa_user_sgpr_kernarg_segment_ptr 1
		.amdhsa_user_sgpr_dispatch_id 0
		.amdhsa_user_sgpr_private_segment_size 0
		.amdhsa_wavefront_size32 1
		.amdhsa_uses_dynamic_stack 0
		.amdhsa_enable_private_segment 1
		.amdhsa_system_sgpr_workgroup_id_x 1
		.amdhsa_system_sgpr_workgroup_id_y 1
		.amdhsa_system_sgpr_workgroup_id_z 1
		.amdhsa_system_sgpr_workgroup_info 0
		.amdhsa_system_vgpr_workitem_id 0
		.amdhsa_next_free_vgpr 192
		.amdhsa_next_free_sgpr 38
		.amdhsa_reserve_vcc 1
		.amdhsa_float_round_mode_32 0
		.amdhsa_float_round_mode_16_64 0
		.amdhsa_float_denorm_mode_32 3
		.amdhsa_float_denorm_mode_16_64 3
		.amdhsa_fp16_overflow 0
		.amdhsa_workgroup_processor_mode 1
		.amdhsa_memory_ordered 1
		.amdhsa_forward_progress 1
		.amdhsa_inst_pref_size 255
		.amdhsa_round_robin_scheduling 0
		.amdhsa_exception_fp_ieee_invalid_op 0
		.amdhsa_exception_fp_denorm_src 0
		.amdhsa_exception_fp_ieee_div_zero 0
		.amdhsa_exception_fp_ieee_overflow 0
		.amdhsa_exception_fp_ieee_underflow 0
		.amdhsa_exception_fp_ieee_inexact 0
		.amdhsa_exception_int_div_zero 0
	.end_amdhsa_kernel
	.section	.text._ZN4vllm25paged_attention_v2_kernelI14__hip_bfloat16hLi120ELi32ELi128ELNS_18Fp8KVCacheDataTypeE1ELb0ELi512EEEvPfS3_PT_PKS4_PKT0_SA_ifPKiSC_iPKfiiiSE_SE_iiiii,"axG",@progbits,_ZN4vllm25paged_attention_v2_kernelI14__hip_bfloat16hLi120ELi32ELi128ELNS_18Fp8KVCacheDataTypeE1ELb0ELi512EEEvPfS3_PT_PKS4_PKT0_SA_ifPKiSC_iPKfiiiSE_SE_iiiii,comdat
.Lfunc_end363:
	.size	_ZN4vllm25paged_attention_v2_kernelI14__hip_bfloat16hLi120ELi32ELi128ELNS_18Fp8KVCacheDataTypeE1ELb0ELi512EEEvPfS3_PT_PKS4_PKT0_SA_ifPKiSC_iPKfiiiSE_SE_iiiii, .Lfunc_end363-_ZN4vllm25paged_attention_v2_kernelI14__hip_bfloat16hLi120ELi32ELi128ELNS_18Fp8KVCacheDataTypeE1ELb0ELi512EEEvPfS3_PT_PKS4_PKT0_SA_ifPKiSC_iPKfiiiSE_SE_iiiii
                                        ; -- End function
	.set _ZN4vllm25paged_attention_v2_kernelI14__hip_bfloat16hLi120ELi32ELi128ELNS_18Fp8KVCacheDataTypeE1ELb0ELi512EEEvPfS3_PT_PKS4_PKT0_SA_ifPKiSC_iPKfiiiSE_SE_iiiii.num_vgpr, 192
	.set _ZN4vllm25paged_attention_v2_kernelI14__hip_bfloat16hLi120ELi32ELi128ELNS_18Fp8KVCacheDataTypeE1ELb0ELi512EEEvPfS3_PT_PKS4_PKT0_SA_ifPKiSC_iPKfiiiSE_SE_iiiii.num_agpr, 0
	.set _ZN4vllm25paged_attention_v2_kernelI14__hip_bfloat16hLi120ELi32ELi128ELNS_18Fp8KVCacheDataTypeE1ELb0ELi512EEEvPfS3_PT_PKS4_PKT0_SA_ifPKiSC_iPKfiiiSE_SE_iiiii.numbered_sgpr, 38
	.set _ZN4vllm25paged_attention_v2_kernelI14__hip_bfloat16hLi120ELi32ELi128ELNS_18Fp8KVCacheDataTypeE1ELb0ELi512EEEvPfS3_PT_PKS4_PKT0_SA_ifPKiSC_iPKfiiiSE_SE_iiiii.num_named_barrier, 0
	.set _ZN4vllm25paged_attention_v2_kernelI14__hip_bfloat16hLi120ELi32ELi128ELNS_18Fp8KVCacheDataTypeE1ELb0ELi512EEEvPfS3_PT_PKS4_PKT0_SA_ifPKiSC_iPKfiiiSE_SE_iiiii.private_seg_size, 296
	.set _ZN4vllm25paged_attention_v2_kernelI14__hip_bfloat16hLi120ELi32ELi128ELNS_18Fp8KVCacheDataTypeE1ELb0ELi512EEEvPfS3_PT_PKS4_PKT0_SA_ifPKiSC_iPKfiiiSE_SE_iiiii.uses_vcc, 1
	.set _ZN4vllm25paged_attention_v2_kernelI14__hip_bfloat16hLi120ELi32ELi128ELNS_18Fp8KVCacheDataTypeE1ELb0ELi512EEEvPfS3_PT_PKS4_PKT0_SA_ifPKiSC_iPKfiiiSE_SE_iiiii.uses_flat_scratch, 1
	.set _ZN4vllm25paged_attention_v2_kernelI14__hip_bfloat16hLi120ELi32ELi128ELNS_18Fp8KVCacheDataTypeE1ELb0ELi512EEEvPfS3_PT_PKS4_PKT0_SA_ifPKiSC_iPKfiiiSE_SE_iiiii.has_dyn_sized_stack, 0
	.set _ZN4vllm25paged_attention_v2_kernelI14__hip_bfloat16hLi120ELi32ELi128ELNS_18Fp8KVCacheDataTypeE1ELb0ELi512EEEvPfS3_PT_PKS4_PKT0_SA_ifPKiSC_iPKfiiiSE_SE_iiiii.has_recursion, 0
	.set _ZN4vllm25paged_attention_v2_kernelI14__hip_bfloat16hLi120ELi32ELi128ELNS_18Fp8KVCacheDataTypeE1ELb0ELi512EEEvPfS3_PT_PKS4_PKT0_SA_ifPKiSC_iPKfiiiSE_SE_iiiii.has_indirect_call, 0
	.section	.AMDGPU.csdata,"",@progbits
; Kernel info:
; codeLenInByte = 38356
; TotalNumSgprs: 40
; NumVgprs: 192
; ScratchSize: 296
; MemoryBound: 0
; FloatMode: 240
; IeeeMode: 1
; LDSByteSize: 272 bytes/workgroup (compile time only)
; SGPRBlocks: 0
; VGPRBlocks: 23
; NumSGPRsForWavesPerEU: 40
; NumVGPRsForWavesPerEU: 192
; Occupancy: 8
; WaveLimiterHint : 1
; COMPUTE_PGM_RSRC2:SCRATCH_EN: 1
; COMPUTE_PGM_RSRC2:USER_SGPR: 2
; COMPUTE_PGM_RSRC2:TRAP_HANDLER: 0
; COMPUTE_PGM_RSRC2:TGID_X_EN: 1
; COMPUTE_PGM_RSRC2:TGID_Y_EN: 1
; COMPUTE_PGM_RSRC2:TGID_Z_EN: 1
; COMPUTE_PGM_RSRC2:TIDIG_COMP_CNT: 0
	.section	.text._ZN4vllm25paged_attention_v2_kernelI14__hip_bfloat16hLi128ELi32ELi128ELNS_18Fp8KVCacheDataTypeE1ELb0ELi512EEEvPfS3_PT_PKS4_PKT0_SA_ifPKiSC_iPKfiiiSE_SE_iiiii,"axG",@progbits,_ZN4vllm25paged_attention_v2_kernelI14__hip_bfloat16hLi128ELi32ELi128ELNS_18Fp8KVCacheDataTypeE1ELb0ELi512EEEvPfS3_PT_PKS4_PKT0_SA_ifPKiSC_iPKfiiiSE_SE_iiiii,comdat
	.protected	_ZN4vllm25paged_attention_v2_kernelI14__hip_bfloat16hLi128ELi32ELi128ELNS_18Fp8KVCacheDataTypeE1ELb0ELi512EEEvPfS3_PT_PKS4_PKT0_SA_ifPKiSC_iPKfiiiSE_SE_iiiii ; -- Begin function _ZN4vllm25paged_attention_v2_kernelI14__hip_bfloat16hLi128ELi32ELi128ELNS_18Fp8KVCacheDataTypeE1ELb0ELi512EEEvPfS3_PT_PKS4_PKT0_SA_ifPKiSC_iPKfiiiSE_SE_iiiii
	.globl	_ZN4vllm25paged_attention_v2_kernelI14__hip_bfloat16hLi128ELi32ELi128ELNS_18Fp8KVCacheDataTypeE1ELb0ELi512EEEvPfS3_PT_PKS4_PKT0_SA_ifPKiSC_iPKfiiiSE_SE_iiiii
	.p2align	8
	.type	_ZN4vllm25paged_attention_v2_kernelI14__hip_bfloat16hLi128ELi32ELi128ELNS_18Fp8KVCacheDataTypeE1ELb0ELi512EEEvPfS3_PT_PKS4_PKT0_SA_ifPKiSC_iPKfiiiSE_SE_iiiii,@function
_ZN4vllm25paged_attention_v2_kernelI14__hip_bfloat16hLi128ELi32ELi128ELNS_18Fp8KVCacheDataTypeE1ELb0ELi512EEEvPfS3_PT_PKS4_PKT0_SA_ifPKiSC_iPKfiiiSE_SE_iiiii: ; @_ZN4vllm25paged_attention_v2_kernelI14__hip_bfloat16hLi128ELi32ELi128ELNS_18Fp8KVCacheDataTypeE1ELb0ELi512EEEvPfS3_PT_PKS4_PKT0_SA_ifPKiSC_iPKfiiiSE_SE_iiiii
; %bb.0:
	s_load_b64 s[2:3], s[0:1], 0x40
	s_and_b32 s15, ttmp7, 0xffff
	s_lshr_b32 s26, ttmp7, 16
	s_lshl_b32 s4, s15, 2
	s_lshl_b32 s28, s26, 9
	s_wait_kmcnt 0x0
	s_load_b32 s27, s[2:3], s4 offset:0x0
	s_wait_kmcnt 0x0
	s_cmp_ge_i32 s28, s27
	s_cbranch_scc1 .LBB364_106
; %bb.1:
	s_clause 0x1
	s_load_b32 s29, s[0:1], 0x90
	s_load_b64 s[8:9], s[0:1], 0x30
	v_mov_b32_e32 v185, v0
	s_wait_kmcnt 0x0
	s_abs_i32 s5, s29
	s_abs_i32 s2, s8
	s_delay_alu instid0(SALU_CYCLE_1) | instskip(SKIP_1) | instid1(SALU_CYCLE_2)
	s_cvt_f32_u32 s3, s2
	s_sub_co_i32 s4, 0, s2
	v_rcp_iflag_f32_e32 v0, s3
	s_delay_alu instid0(TRANS32_DEP_1) | instskip(SKIP_2) | instid1(SALU_CYCLE_2)
	v_readfirstlane_b32 s3, v0
	s_mul_f32 s3, s3, 0x4f7ffffe
	s_wait_alu 0xfffe
	s_cvt_u32_f32 s3, s3
	s_wait_alu 0xfffe
	s_delay_alu instid0(SALU_CYCLE_2) | instskip(NEXT) | instid1(SALU_CYCLE_1)
	s_mul_i32 s4, s4, s3
	s_mul_hi_u32 s4, s3, s4
	s_delay_alu instid0(SALU_CYCLE_1)
	s_add_co_i32 s3, s3, s4
	s_xor_b32 s4, s29, s8
	s_wait_alu 0xfffe
	s_mul_hi_u32 s3, s5, s3
	s_ashr_i32 s4, s4, 31
	s_wait_alu 0xfffe
	s_mul_i32 s6, s3, s2
	s_delay_alu instid0(SALU_CYCLE_1)
	s_sub_co_i32 s5, s5, s6
	s_add_co_i32 s6, s3, 1
	s_sub_co_i32 s7, s5, s2
	s_cmp_ge_u32 s5, s2
	s_cselect_b32 s3, s6, s3
	s_cselect_b32 s5, s7, s5
	s_wait_alu 0xfffe
	s_add_co_i32 s6, s3, 1
	s_cmp_ge_u32 s5, s2
	s_cselect_b32 s2, s6, s3
	s_load_b64 s[6:7], s[0:1], 0x50
	s_xor_b32 s2, s2, s4
	s_mov_b32 s3, 0
	s_wait_alu 0xfffe
	s_sub_co_i32 s11, s2, s4
	s_mov_b32 s8, s3
	s_abs_i32 s10, s11
	s_delay_alu instid0(SALU_CYCLE_1) | instskip(SKIP_1) | instid1(SALU_CYCLE_2)
	s_cvt_f32_u32 s2, s10
	s_wait_alu 0xfffe
	v_rcp_iflag_f32_e32 v0, s2
	s_delay_alu instid0(TRANS32_DEP_1) | instskip(SKIP_2) | instid1(SALU_CYCLE_2)
	v_readfirstlane_b32 s2, v0
	s_mul_f32 s2, s2, 0x4f7ffffe
	s_wait_alu 0xfffe
	s_cvt_u32_f32 s4, s2
	s_sub_co_i32 s2, 0, s10
	s_wait_alu 0xfffe
	s_delay_alu instid0(SALU_CYCLE_1)
	s_mul_i32 s2, s2, s4
	s_wait_alu 0xfffe
	s_mul_hi_u32 s5, s4, s2
	s_abs_i32 s2, ttmp9
	s_add_co_i32 s4, s4, s5
	s_mov_b32 s5, s3
	s_wait_kmcnt 0x0
	s_cmp_eq_u64 s[6:7], 0
	s_cbranch_scc1 .LBB364_3
; %bb.2:
	s_mov_b32 s12, ttmp9
	s_ashr_i32 s13, ttmp9, 31
	s_delay_alu instid0(SALU_CYCLE_1) | instskip(NEXT) | instid1(SALU_CYCLE_1)
	s_lshl_b64 s[12:13], s[12:13], 2
	s_add_nc_u64 s[6:7], s[6:7], s[12:13]
	s_load_b32 s8, s[6:7], 0x0
.LBB364_3:
	s_load_b96 s[12:14], s[0:1], 0x58
	s_mul_u64 s[4:5], s[2:3], s[4:5]
	s_ashr_i32 s3, ttmp9, 31
	s_ashr_i32 s4, s11, 31
	s_lshl_b32 s16, ttmp9, 7
	s_mov_b32 s6, exec_lo
	v_cmpx_gt_u32_e32 16, v185
	s_cbranch_execz .LBB364_5
; %bb.4:
	s_load_b64 s[18:19], s[0:1], 0x18
	s_wait_kmcnt 0x0
	s_mul_i32 s20, s12, s15
	s_ashr_i32 s17, s16, 31
	s_ashr_i32 s21, s20, 31
	v_lshlrev_b32_e32 v4, 4, v185
	s_lshl_b64 s[20:21], s[20:21], 1
	s_delay_alu instid0(SALU_CYCLE_1) | instskip(SKIP_1) | instid1(SALU_CYCLE_1)
	s_add_nc_u64 s[18:19], s[18:19], s[20:21]
	s_lshl_b64 s[20:21], s[16:17], 1
	s_add_nc_u64 s[18:19], s[18:19], s[20:21]
	global_load_b128 v[0:3], v4, s[18:19]
	s_wait_loadcnt 0x0
	ds_store_b128 v4, v[0:3]
.LBB364_5:
	s_or_b32 exec_lo, exec_lo, s6
	s_add_co_i32 s6, s27, 31
	s_lshl_b32 s31, s26, 4
	s_ashr_i32 s7, s6, 31
	s_wait_alu 0xfffe
	s_xor_b32 s3, s3, s4
	s_lshr_b32 s7, s7, 27
	s_add_co_i32 s4, s31, 16
	s_add_co_i32 s6, s6, s7
	s_clause 0x1
	s_load_b64 s[18:19], s[0:1], 0x38
	s_load_b32 s11, s[0:1], 0x48
	s_ashr_i32 s30, s6, 5
	s_mul_i32 s6, s5, s10
	s_min_i32 s17, s4, s30
	s_sub_co_i32 s2, s2, s6
	s_add_co_i32 s4, s5, 1
	s_wait_alu 0xfffe
	s_sub_co_i32 s6, s2, s10
	s_cmp_ge_u32 s2, s10
	v_lshrrev_b32_e32 v186, 5, v185
	s_cselect_b32 s20, s4, s5
	s_cselect_b32 s2, s6, s2
	s_wait_kmcnt 0x0
	s_clause 0x1
	s_load_b32 s12, s[0:1], 0x98
	s_load_b128 s[4:7], s[0:1], 0x68
	s_add_co_i32 s21, s20, 1
	s_cmp_ge_u32 s2, s10
	v_dual_mov_b32 v132, 0xff7fffff :: v_dual_and_b32 v187, 31, v185
	v_add_nc_u32_e32 v17, s31, v186
	s_cselect_b32 s2, s21, s20
	s_wait_dscnt 0x0
	s_wait_alu 0xfffe
	s_xor_b32 s2, s2, s3
	v_lshlrev_b32_e32 v22, 2, v187
	s_wait_alu 0xfffe
	s_sub_co_i32 s3, s2, s3
	v_cmp_gt_i32_e64 s2, s17, v17
	v_lshlrev_b32_e32 v39, 2, v17
	s_mul_i32 s20, s11, s15
	s_wait_alu 0xfffe
	s_mul_i32 s22, s3, s14
	s_ashr_i32 s21, s20, 31
	s_barrier_signal -1
	s_barrier_wait -1
	global_inv scope:SCOPE_SE
	s_and_saveexec_b32 s10, s2
	s_cbranch_execz .LBB364_9
; %bb.6:
	v_mov_b32_e32 v16, 0
	scratch_store_b32 off, v185, off offset:360 ; 4-byte Folded Spill
	s_load_b64 s[24:25], s[0:1], 0x20
	s_ashr_i32 s23, s22, 31
	s_cmp_neq_f32 s8, 0
	ds_load_b128 v[0:3], v16
	ds_load_b128 v[4:7], v16 offset:16
	ds_load_b128 v[8:11], v16 offset:32
	ds_load_b128 v[12:15], v16 offset:48
	ds_load_b128 v[18:21], v16 offset:64
	s_wait_kmcnt 0x0
	s_load_b32 s5, s[4:5], 0x0
	s_mov_b32 s14, s13
	s_cselect_b32 vcc_lo, -1, 0
	s_mov_b32 s11, 0
	v_dual_mov_b32 v143, v17 :: v_dual_mov_b32 v132, 0xff7fffff
	s_wait_dscnt 0x4
	v_lshlrev_b32_e32 v23, 16, v0
	v_and_b32_e32 v0, 0xffff0000, v0
	s_add_nc_u64 s[24:25], s[24:25], s[22:23]
	s_sub_co_i32 s23, 1, s27
	s_clause 0x1
	scratch_store_b32 off, v23, off
	scratch_store_b32 off, v0, off offset:4
	v_lshlrev_b32_e32 v0, 16, v1
	scratch_store_b32 off, v0, off offset:8 ; 4-byte Folded Spill
	v_and_b32_e32 v0, 0xffff0000, v1
	scratch_store_b32 off, v0, off offset:12 ; 4-byte Folded Spill
	v_lshlrev_b32_e32 v0, 16, v2
	scratch_store_b32 off, v0, off offset:16 ; 4-byte Folded Spill
	v_and_b32_e32 v0, 0xffff0000, v2
	scratch_store_b32 off, v0, off offset:20 ; 4-byte Folded Spill
	;; [unrolled: 4-line block ×3, first 2 shown]
	s_wait_dscnt 0x3
	v_lshlrev_b32_e32 v0, 16, v4
	scratch_store_b32 off, v0, off offset:32 ; 4-byte Folded Spill
	v_and_b32_e32 v0, 0xffff0000, v4
	s_wait_dscnt 0x2
	v_and_b32_e32 v4, 0xffff0000, v11
	s_clause 0x1
	scratch_store_b32 off, v0, off offset:36
	scratch_store_b32 off, v4, off offset:92
	v_lshlrev_b32_e32 v0, 16, v5
	s_wait_dscnt 0x1
	v_lshlrev_b32_e32 v4, 16, v12
	s_clause 0x1
	scratch_store_b32 off, v0, off offset:40
	scratch_store_b32 off, v4, off offset:96
	v_and_b32_e32 v0, 0xffff0000, v5
	v_and_b32_e32 v4, 0xffff0000, v12
	s_wait_dscnt 0x0
	v_and_b32_e32 v12, 0xffff0000, v21
	s_clause 0x2
	scratch_store_b32 off, v0, off offset:44
	scratch_store_b32 off, v4, off offset:100
	scratch_store_b32 off, v12, off offset:156
	v_lshlrev_b32_e32 v0, 16, v6
	v_lshlrev_b32_e32 v4, 16, v13
	s_clause 0x1
	scratch_store_b32 off, v0, off offset:48
	scratch_store_b32 off, v4, off offset:104
	v_and_b32_e32 v0, 0xffff0000, v6
	v_and_b32_e32 v4, 0xffff0000, v13
	s_clause 0x1
	scratch_store_b32 off, v0, off offset:52
	scratch_store_b32 off, v4, off offset:108
	v_lshlrev_b32_e32 v0, 16, v7
	v_lshlrev_b32_e32 v4, 16, v14
	s_clause 0x1
	scratch_store_b32 off, v0, off offset:56
	scratch_store_b32 off, v4, off offset:112
	v_and_b32_e32 v0, 0xffff0000, v7
	v_and_b32_e32 v4, 0xffff0000, v14
	s_clause 0x1
	scratch_store_b32 off, v0, off offset:60
	scratch_store_b32 off, v4, off offset:116
	v_lshlrev_b32_e32 v0, 16, v8
	v_lshlrev_b32_e32 v4, 16, v15
	scratch_store_b32 off, v0, off offset:64 ; 4-byte Folded Spill
	v_and_b32_e32 v0, 0xffff0000, v8
	v_and_b32_e32 v8, 0xffff0000, v15
	s_clause 0x1
	scratch_store_b32 off, v0, off offset:68
	scratch_store_b32 off, v8, off offset:124
	v_lshlrev_b32_e32 v0, 16, v9
	v_lshlrev_b32_e32 v8, 16, v18
	s_clause 0x1
	scratch_store_b32 off, v0, off offset:72
	scratch_store_b32 off, v8, off offset:128
	v_and_b32_e32 v0, 0xffff0000, v9
	v_and_b32_e32 v8, 0xffff0000, v18
	s_clause 0x1
	scratch_store_b32 off, v0, off offset:76
	scratch_store_b32 off, v8, off offset:132
	v_lshlrev_b32_e32 v0, 16, v10
	v_lshlrev_b32_e32 v8, 16, v19
	s_clause 0x1
	scratch_store_b32 off, v0, off offset:80
	scratch_store_b32 off, v8, off offset:136
	;; [unrolled: 10-line block ×3, first 2 shown]
	ds_load_b128 v[0:3], v16 offset:80
	v_and_b32_e32 v8, 0xffff0000, v20
	scratch_store_b32 off, v4, off offset:120 ; 4-byte Folded Spill
	ds_load_b128 v[4:7], v16 offset:96
	s_wait_dscnt 0x1
	v_lshlrev_b32_e32 v12, 16, v0
	scratch_store_b32 off, v8, off offset:148 ; 4-byte Folded Spill
	v_lshlrev_b32_e32 v8, 16, v21
	v_and_b32_e32 v0, 0xffff0000, v0
	s_clause 0x1
	scratch_store_b32 off, v8, off offset:152
	scratch_store_b32 off, v0, off offset:164
	v_lshlrev_b32_e32 v0, 16, v1
	scratch_store_b32 off, v12, off offset:160 ; 4-byte Folded Spill
	ds_load_b128 v[8:11], v16 offset:112
	ds_load_b128 v[12:15], v16 offset:128
	scratch_store_b32 off, v0, off offset:168 ; 4-byte Folded Spill
	v_and_b32_e32 v0, 0xffff0000, v1
	scratch_store_b32 off, v0, off offset:172 ; 4-byte Folded Spill
	v_lshlrev_b32_e32 v0, 16, v2
	scratch_store_b32 off, v0, off offset:176 ; 4-byte Folded Spill
	v_and_b32_e32 v0, 0xffff0000, v2
	scratch_store_b32 off, v0, off offset:180 ; 4-byte Folded Spill
	v_lshlrev_b32_e32 v0, 16, v3
	scratch_store_b32 off, v0, off offset:184 ; 4-byte Folded Spill
	v_and_b32_e32 v0, 0xffff0000, v3
	scratch_store_b32 off, v0, off offset:188 ; 4-byte Folded Spill
	s_wait_dscnt 0x2
	v_lshlrev_b32_e32 v0, 16, v4
	scratch_store_b32 off, v0, off offset:192 ; 4-byte Folded Spill
	v_and_b32_e32 v0, 0xffff0000, v4
	v_and_b32_e32 v4, 0xffff0000, v6
	s_clause 0x1
	scratch_store_b32 off, v0, off offset:196
	scratch_store_b32 off, v4, off offset:212
	v_lshlrev_b32_e32 v0, 16, v5
	v_lshlrev_b32_e32 v4, 16, v7
	s_clause 0x1
	scratch_store_b32 off, v0, off offset:200
	scratch_store_b32 off, v4, off offset:216
	v_and_b32_e32 v0, 0xffff0000, v5
	v_and_b32_e32 v4, 0xffff0000, v7
	s_clause 0x1
	scratch_store_b32 off, v0, off offset:204
	scratch_store_b32 off, v4, off offset:220
	v_lshlrev_b32_e32 v0, 16, v6
	s_wait_dscnt 0x1
	v_lshlrev_b32_e32 v4, 16, v8
	s_clause 0x1
	scratch_store_b32 off, v0, off offset:208
	scratch_store_b32 off, v4, off offset:224
	v_and_b32_e32 v4, 0xffff0000, v8
	v_and_b32_e32 v8, 0xffff0000, v11
	ds_load_b128 v[0:3], v16 offset:144
	s_clause 0x1
	scratch_store_b32 off, v4, off offset:228
	scratch_store_b32 off, v8, off offset:252
	v_lshlrev_b32_e32 v4, 16, v9
	s_wait_dscnt 0x1
	v_lshlrev_b32_e32 v8, 16, v12
	s_clause 0x1
	scratch_store_b32 off, v4, off offset:232
	scratch_store_b32 off, v8, off offset:256
	v_and_b32_e32 v4, 0xffff0000, v9
	v_and_b32_e32 v8, 0xffff0000, v12
	;; [unrolled: 1-line block ×3, first 2 shown]
	s_clause 0x2
	scratch_store_b32 off, v4, off offset:236
	scratch_store_b32 off, v8, off offset:260
	;; [unrolled: 1-line block ×3, first 2 shown]
	v_lshlrev_b32_e32 v4, 16, v10
	v_lshlrev_b32_e32 v8, 16, v13
	s_clause 0x1
	scratch_store_b32 off, v4, off offset:240
	scratch_store_b32 off, v8, off offset:264
	v_and_b32_e32 v4, 0xffff0000, v10
	v_and_b32_e32 v8, 0xffff0000, v13
	s_clause 0x1
	scratch_store_b32 off, v4, off offset:244
	scratch_store_b32 off, v8, off offset:268
	v_lshlrev_b32_e32 v4, 16, v11
	v_lshlrev_b32_e32 v8, 16, v14
	scratch_store_b32 off, v4, off offset:248 ; 4-byte Folded Spill
	ds_load_b128 v[4:7], v16 offset:160
	s_wait_dscnt 0x1
	v_lshlrev_b32_e32 v12, 16, v0
	scratch_store_b32 off, v8, off offset:272 ; 4-byte Folded Spill
	v_and_b32_e32 v8, 0xffff0000, v14
	v_and_b32_e32 v0, 0xffff0000, v0
	s_clause 0x1
	scratch_store_b32 off, v8, off offset:276
	scratch_store_b32 off, v0, off offset:292
	v_lshlrev_b32_e32 v8, 16, v15
	v_lshlrev_b32_e32 v0, 16, v1
	s_clause 0x1
	scratch_store_b32 off, v8, off offset:280
	scratch_store_b32 off, v0, off offset:296
	v_and_b32_e32 v0, 0xffff0000, v1
	scratch_store_b32 off, v12, off offset:288 ; 4-byte Folded Spill
	ds_load_b128 v[8:11], v16 offset:176
	ds_load_b128 v[12:15], v16 offset:192
	scratch_store_b32 off, v0, off offset:300 ; 4-byte Folded Spill
	v_lshlrev_b32_e32 v0, 16, v2
	scratch_store_b32 off, v0, off offset:304 ; 4-byte Folded Spill
	v_and_b32_e32 v0, 0xffff0000, v2
	scratch_store_b32 off, v0, off offset:308 ; 4-byte Folded Spill
	v_lshlrev_b32_e32 v0, 16, v3
	s_wait_dscnt 0x1
	v_lshlrev_b32_e32 v102, 16, v9
	scratch_store_b32 off, v0, off offset:312 ; 4-byte Folded Spill
	v_and_b32_e32 v0, 0xffff0000, v3
	v_and_b32_e32 v103, 0xffff0000, v9
	v_lshlrev_b32_e32 v104, 16, v10
	v_and_b32_e32 v105, 0xffff0000, v10
	v_lshlrev_b32_e32 v106, 16, v11
	scratch_store_b32 off, v0, off offset:316 ; 4-byte Folded Spill
	v_lshlrev_b32_e32 v0, 16, v4
	v_and_b32_e32 v107, 0xffff0000, v11
	s_wait_dscnt 0x0
	v_lshlrev_b32_e32 v108, 16, v12
	v_and_b32_e32 v109, 0xffff0000, v12
	v_lshlrev_b32_e32 v110, 16, v13
	scratch_store_b32 off, v0, off offset:320 ; 4-byte Folded Spill
	v_and_b32_e32 v0, 0xffff0000, v4
	v_and_b32_e32 v4, 0xffff0000, v7
	v_and_b32_e32 v111, 0xffff0000, v13
	v_lshlrev_b32_e32 v112, 16, v14
	v_and_b32_e32 v113, 0xffff0000, v14
	s_clause 0x1
	scratch_store_b32 off, v0, off offset:324
	scratch_store_b32 off, v4, off offset:348
	v_lshlrev_b32_e32 v0, 16, v5
	v_lshlrev_b32_e32 v4, 16, v8
	;; [unrolled: 1-line block ×3, first 2 shown]
	v_and_b32_e32 v115, 0xffff0000, v15
	s_clause 0x1
	scratch_store_b32 off, v0, off offset:328
	scratch_store_b32 off, v4, off offset:352
	v_and_b32_e32 v0, 0xffff0000, v5
	v_and_b32_e32 v4, 0xffff0000, v8
	ds_load_b128 v[8:11], v16 offset:240
	s_clause 0x1
	scratch_store_b32 off, v0, off offset:332
	scratch_store_b32 off, v4, off offset:356
	v_lshlrev_b32_e32 v0, 16, v6
	scratch_store_b32 off, v0, off offset:336 ; 4-byte Folded Spill
	v_and_b32_e32 v0, 0xffff0000, v6
	scratch_store_b32 off, v0, off offset:340 ; 4-byte Folded Spill
	v_lshlrev_b32_e32 v0, 16, v7
	ds_load_b128 v[4:7], v16 offset:224
	s_wait_dscnt 0x1
	v_lshlrev_b32_e32 v133, 16, v8
	v_and_b32_e32 v134, 0xffff0000, v8
	scratch_store_b32 off, v0, off offset:344 ; 4-byte Folded Spill
	ds_load_b128 v[0:3], v16 offset:208
	v_lshlrev_b32_e32 v135, 16, v9
	v_and_b32_e32 v136, 0xffff0000, v9
	v_lshlrev_b32_e32 v137, 16, v10
	v_and_b32_e32 v138, 0xffff0000, v10
	;; [unrolled: 2-line block ×3, first 2 shown]
	s_clause 0x2
	scratch_store_b32 off, v186, off offset:364
	scratch_store_b32 off, v22, off offset:372
	;; [unrolled: 1-line block ×3, first 2 shown]
	s_wait_dscnt 0x1
	v_lshlrev_b32_e32 v124, 16, v4
	v_and_b32_e32 v125, 0xffff0000, v4
	v_lshl_or_b32 v4, v186, 7, v22
	v_lshlrev_b32_e32 v126, 16, v5
	v_and_b32_e32 v127, 0xffff0000, v5
	s_wait_dscnt 0x0
	v_lshlrev_b32_e32 v116, 16, v0
	v_and_b32_e32 v117, 0xffff0000, v0
	v_lshlrev_b32_e32 v0, 4, v187
	v_lshlrev_b32_e32 v118, 16, v1
	v_and_b32_e32 v119, 0xffff0000, v1
	v_lshlrev_b32_e32 v122, 16, v3
	v_and_b32_e32 v123, 0xffff0000, v3
	v_add_co_u32 v1, s3, s24, v0
	v_lshlrev_b32_e32 v3, 5, v186
	v_lshlrev_b32_e32 v120, 16, v2
	v_and_b32_e32 v121, 0xffff0000, v2
	s_wait_alu 0xf1ff
	v_add_co_ci_u32_e64 v2, null, s25, 0, s3
	s_lshl_b64 s[24:25], s[20:21], 2
	v_add3_u32 v141, s28, v3, v187
	s_wait_alu 0xfffe
	s_add_nc_u64 s[24:25], s[18:19], s[24:25]
	v_lshlrev_b32_e32 v128, 16, v6
	s_wait_alu 0xfffe
	v_add_co_u32 v3, s3, s24, v39
	v_and_b32_e32 v129, 0xffff0000, v6
	v_lshlrev_b32_e32 v130, 16, v7
	v_and_b32_e32 v131, 0xffff0000, v7
	v_add_nc_u32_e32 v142, 0x120, v4
	s_wait_alu 0xf1ff
	v_add_co_ci_u32_e64 v4, null, s25, 0, s3
.LBB364_7:                              ; =>This Inner Loop Header: Depth=1
	global_load_b32 v0, v[3:4], off
	v_add_nc_u32_e32 v143, 4, v143
	s_delay_alu instid0(VALU_DEP_1)
	v_cmp_le_i32_e64 s4, s17, v143
	s_or_b32 s11, s4, s11
	s_wait_loadcnt 0x0
	v_mad_co_i64_i32 v[5:6], null, v0, s14, v[1:2]
	s_clause 0x7
	global_load_b128 v[7:10], v[5:6], off
	global_load_b128 v[18:21], v[5:6], off offset:512
	global_load_b128 v[23:26], v[5:6], off offset:1024
	;; [unrolled: 1-line block ×7, first 2 shown]
	s_wait_loadcnt 0x7
	v_and_b32_e32 v159, 0xff, v7
	v_bfe_u32 v158, v7, 8, 8
	v_bfe_u32 v144, v7, 16, 8
	v_lshrrev_b32_e32 v145, 24, v7
	v_lshrrev_b32_e32 v150, 24, v8
	v_cvt_f32_fp8_e32 v5, v159
	s_wait_loadcnt 0x6
	v_and_b32_e32 v160, 0xff, v18
	v_cvt_f32_fp8_e32 v144, v144
	v_and_b32_e32 v157, 0xff, v9
	v_cvt_f32_fp8_e32 v145, v145
	s_wait_kmcnt 0x0
	v_dual_mul_f32 v5, s5, v5 :: v_dual_and_b32 v162, 0xff, v19
	v_mul_f32_e32 v144, s5, v144
	v_cvt_f32_fp8_e32 v150, v150
	v_and_b32_e32 v147, 0xff, v8
	s_delay_alu instid0(VALU_DEP_4) | instskip(SKIP_1) | instid1(VALU_DEP_4)
	v_bfe_u32 v6, v5, 16, 1
	v_cmp_u_f32_e64 s3, v5, v5
	v_dual_mul_f32 v145, s5, v145 :: v_dual_mul_f32 v150, s5, v150
	s_delay_alu instid0(VALU_DEP_4) | instskip(NEXT) | instid1(VALU_DEP_4)
	v_cvt_f32_fp8_e32 v147, v147
	v_add3_u32 v6, v6, v5, 0x7fff
	v_or_b32_e32 v5, 0x400000, v5
	v_bfe_u32 v148, v8, 8, 8
	s_delay_alu instid0(VALU_DEP_4)
	v_dual_mul_f32 v147, s5, v147 :: v_dual_and_b32 v12, 0xff, v20
	v_bfe_u32 v149, v8, 16, 8
	s_wait_alu 0xf1ff
	v_cndmask_b32_e64 v5, v6, v5, s3
	v_cvt_f32_fp8_e32 v6, v158
	v_cvt_f32_fp8_e32 v148, v148
	v_and_b32_e32 v153, 0xff, v10
	v_cvt_f32_fp8_e32 v149, v149
	s_wait_loadcnt 0x5
	v_and_b32_e32 v22, 0xff, v23
	v_mul_f32_e32 v6, s5, v6
	v_mul_f32_e32 v148, s5, v148
	v_cvt_f32_fp8_e32 v157, v157
	v_mul_f32_e32 v149, s5, v149
	v_bfe_u32 v156, v9, 8, 8
	v_bfe_u32 v158, v6, 16, 1
	v_cmp_u_f32_e64 s3, v6, v6
	v_dual_mul_f32 v157, s5, v157 :: v_dual_and_b32 v178, 0xff, v24
	s_delay_alu instid0(VALU_DEP_4) | instskip(NEXT) | instid1(VALU_DEP_4)
	v_cvt_f32_fp8_e32 v156, v156
	v_add3_u32 v158, v158, v6, 0x7fff
	v_or_b32_e32 v6, 0x400000, v6
	v_bfe_u32 v155, v9, 16, 8
	s_delay_alu instid0(VALU_DEP_4)
	v_dual_mul_f32 v156, s5, v156 :: v_dual_and_b32 v15, 0xff, v25
	v_lshrrev_b32_e32 v154, 24, v9
	s_wait_alu 0xf1ff
	v_cndmask_b32_e64 v6, v158, v6, s3
	v_bfe_u32 v158, v144, 16, 1
	v_cmp_u_f32_e64 s3, v144, v144
	v_cvt_f32_fp8_e32 v155, v155
	v_bfe_u32 v8, v18, 8, 8
	v_bfe_u32 v161, v18, 16, 8
	v_add3_u32 v158, v158, v144, 0x7fff
	v_or_b32_e32 v144, 0x400000, v144
	v_lshrrev_b32_e32 v16, 24, v18
	v_dual_mul_f32 v155, s5, v155 :: v_dual_and_b32 v18, 0xff, v21
	v_cvt_f32_fp8_e32 v154, v154
	s_wait_alu 0xf1ff
	v_cndmask_b32_e64 v144, v158, v144, s3
	v_bfe_u32 v158, v145, 16, 1
	v_cmp_u_f32_e64 s3, v145, v145
	v_bfe_u32 v152, v10, 8, 8
	v_bfe_u32 v151, v10, 16, 8
	v_lshrrev_b32_e32 v146, 24, v10
	v_add3_u32 v158, v158, v145, 0x7fff
	v_or_b32_e32 v145, 0x400000, v145
	v_bfe_u32 v0, v19, 8, 8
	v_bfe_u32 v10, v19, 16, 8
	v_lshrrev_b32_e32 v11, 24, v19
	v_bfe_u32 v13, v20, 8, 8
	s_wait_alu 0xf1ff
	v_cndmask_b32_e64 v145, v158, v145, s3
	v_bfe_u32 v158, v147, 16, 1
	v_cmp_u_f32_e64 s3, v147, v147
	v_bfe_u32 v14, v20, 16, 8
	v_lshrrev_b32_e32 v169, 24, v20
	v_bfe_u32 v171, v21, 8, 8
	v_add3_u32 v158, v158, v147, 0x7fff
	v_or_b32_e32 v147, 0x400000, v147
	v_bfe_u32 v20, v21, 16, 8
	v_lshrrev_b32_e32 v173, 24, v21
	v_bfe_u32 v21, v23, 8, 8
	v_bfe_u32 v19, v23, 16, 8
	s_wait_alu 0xf1ff
	v_cndmask_b32_e64 v147, v158, v147, s3
	v_bfe_u32 v158, v148, 16, 1
	v_cmp_u_f32_e64 s3, v148, v148
	v_lshrrev_b32_e32 v177, 24, v23
	s_wait_loadcnt 0x4
	v_dual_mul_f32 v154, s5, v154 :: v_dual_and_b32 v23, 0xff, v28
	v_add3_u32 v158, v158, v148, 0x7fff
	v_or_b32_e32 v148, 0x400000, v148
	v_cvt_f32_fp8_e32 v153, v153
	v_and_b32_e32 v42, 0xff, v30
	v_cvt_f32_fp8_e32 v152, v152
	v_and_b32_e32 v189, 0xff, v26
	s_wait_alu 0xf1ff
	v_cndmask_b32_e64 v148, v158, v148, s3
	v_bfe_u32 v158, v149, 16, 1
	v_cmp_u_f32_e64 s3, v149, v149
	v_dual_mul_f32 v153, s5, v153 :: v_dual_mul_f32 v152, s5, v152
	v_cvt_f32_fp8_e32 v151, v151
	s_delay_alu instid0(VALU_DEP_4)
	v_add3_u32 v158, v158, v149, 0x7fff
	v_or_b32_e32 v149, 0x400000, v149
	s_wait_loadcnt 0x3
	v_and_b32_e32 v54, 0xff, v34
	v_cvt_f32_fp8_e32 v146, v146
	v_mul_f32_e32 v151, s5, v151
	v_and_b32_e32 v27, 0xff, v29
	s_wait_alu 0xf1ff
	v_cndmask_b32_e64 v149, v158, v149, s3
	v_bfe_u32 v158, v150, 16, 1
	v_cmp_u_f32_e64 s3, v150, v150
	v_mul_f32_e32 v146, s5, v146
	v_cvt_f32_fp8_e32 v8, v8
	s_wait_loadcnt 0x2
	v_and_b32_e32 v59, 0xff, v61
	v_add3_u32 v158, v158, v150, 0x7fff
	v_or_b32_e32 v150, 0x400000, v150
	v_lshrrev_b32_e32 v33, 24, v36
	v_mul_f32_e32 v8, s5, v8
	v_cvt_f32_fp8_e32 v0, v0
	s_wait_loadcnt 0x0
	v_bfe_u32 v88, v163, 8, 8
	s_wait_alu 0xf1ff
	v_cndmask_b32_e64 v150, v158, v150, s3
	v_bfe_u32 v158, v157, 16, 1
	v_cmp_u_f32_e64 s3, v157, v157
	v_cvt_f32_fp8_e32 v33, v33
	v_mul_f32_e32 v0, s5, v0
	v_bfe_u32 v89, v163, 16, 8
	v_add3_u32 v158, v158, v157, 0x7fff
	v_or_b32_e32 v157, 0x400000, v157
	v_mul_f32_e32 v33, s5, v33
	v_lshrrev_b32_e32 v90, 24, v163
	v_and_b32_e32 v91, 0xff, v164
	v_bfe_u32 v92, v164, 8, 8
	s_wait_alu 0xf1ff
	v_cndmask_b32_e64 v157, v158, v157, s3
	v_bfe_u32 v158, v156, 16, 1
	v_cmp_u_f32_e64 s3, v156, v156
	v_bfe_u32 v93, v164, 16, 8
	v_lshrrev_b32_e32 v94, 24, v164
	v_bfe_u32 v96, v165, 8, 8
	v_add3_u32 v158, v158, v156, 0x7fff
	v_or_b32_e32 v156, 0x400000, v156
	v_bfe_u32 v97, v165, 16, 8
	v_lshrrev_b32_e32 v98, 24, v165
	v_bfe_u32 v100, v166, 8, 8
	v_bfe_u32 v101, v166, 16, 8
	s_wait_alu 0xf1ff
	v_cndmask_b32_e64 v156, v158, v156, s3
	v_bfe_u32 v158, v155, 16, 1
	v_cmp_u_f32_e64 s3, v155, v155
	v_lshrrev_b32_e32 v7, 24, v166
	v_bfe_u32 v56, v60, 8, 8
	v_bfe_u32 v57, v60, 16, 8
	v_add3_u32 v158, v158, v155, 0x7fff
	v_or_b32_e32 v155, 0x400000, v155
	v_lshrrev_b32_e32 v58, 24, v60
	v_bfe_u32 v71, v61, 16, 8
	v_lshrrev_b32_e32 v72, 24, v61
	v_lshrrev_b32_e32 v65, 24, v68
	s_wait_alu 0xf1ff
	v_cndmask_b32_e64 v155, v158, v155, s3
	v_bfe_u32 v158, v154, 16, 1
	v_cmp_u_f32_e64 s3, v154, v154
	v_bfe_u32 v179, v24, 8, 8
	v_cvt_f32_fp8_e32 v65, v65
	v_bfe_u32 v180, v24, 16, 8
	v_add3_u32 v158, v158, v154, 0x7fff
	v_or_b32_e32 v154, 0x400000, v154
	v_lshrrev_b32_e32 v9, 24, v24
	v_mul_f32_e32 v65, s5, v65
	v_bfe_u32 v184, v25, 8, 8
	v_bfe_u32 v186, v25, 16, 8
	s_wait_alu 0xf1ff
	v_cndmask_b32_e64 v154, v158, v154, s3
	v_bfe_u32 v158, v153, 16, 1
	v_cmp_u_f32_e64 s3, v153, v153
	v_lshrrev_b32_e32 v187, 24, v25
	v_bfe_u32 v188, v26, 8, 8
	v_bfe_u32 v185, v26, 16, 8
	v_add3_u32 v158, v158, v153, 0x7fff
	v_or_b32_e32 v153, 0x400000, v153
	v_lshrrev_b32_e32 v183, 24, v26
	v_bfe_u32 v24, v28, 8, 8
	v_bfe_u32 v25, v28, 16, 8
	v_lshrrev_b32_e32 v26, 24, v28
	s_wait_alu 0xf1ff
	v_cndmask_b32_e64 v153, v158, v153, s3
	v_bfe_u32 v158, v152, 16, 1
	v_cmp_u_f32_e64 s3, v152, v152
	v_bfe_u32 v28, v29, 8, 8
	v_bfe_u32 v39, v29, 16, 8
	v_lshrrev_b32_e32 v40, 24, v29
	v_add3_u32 v158, v158, v152, 0x7fff
	v_or_b32_e32 v152, 0x400000, v152
	v_lshrrev_b32_e32 v29, 24, v35
	v_bfe_u32 v73, v67, 8, 8
	v_bfe_u32 v70, v67, 16, 8
	v_cvt_f32_fp8_e32 v7, v7
	s_wait_alu 0xf1ff
	v_cndmask_b32_e64 v152, v158, v152, s3
	v_bfe_u32 v158, v151, 16, 1
	v_cmp_u_f32_e64 s3, v151, v151
	v_cvt_f32_fp8_e32 v29, v29
	v_and_b32_e32 v76, 0xff, v67
	v_mul_f32_e32 v7, s5, v7
	v_add3_u32 v158, v158, v151, 0x7fff
	v_or_b32_e32 v151, 0x400000, v151
	v_bfe_u32 v43, v30, 8, 8
	v_bfe_u32 v45, v30, 16, 8
	v_lshrrev_b32_e32 v47, 24, v30
	v_bfe_u32 v50, v31, 8, 8
	s_wait_alu 0xf1ff
	v_cndmask_b32_e64 v151, v158, v151, s3
	v_bfe_u32 v158, v146, 16, 1
	v_cmp_u_f32_e64 s3, v146, v146
	v_bfe_u32 v52, v34, 8, 8
	v_bfe_u32 v49, v34, 16, 8
	v_lshrrev_b32_e32 v46, 24, v34
	v_add3_u32 v158, v158, v146, 0x7fff
	v_or_b32_e32 v146, 0x400000, v146
	v_bfe_u32 v51, v31, 16, 8
	v_lshrrev_b32_e32 v53, 24, v31
	v_bfe_u32 v41, v35, 8, 8
	v_bfe_u32 v38, v35, 16, 8
	s_wait_alu 0xf1ff
	v_cndmask_b32_e64 v146, v158, v146, s3
	v_cvt_f32_fp8_e32 v158, v160
	v_and_b32_e32 v55, 0xff, v60
	v_bfe_u32 v60, v61, 8, 8
	v_lshrrev_b32_e32 v61, 24, v67
	v_bfe_u32 v67, v69, 8, 8
	v_dual_mul_f32 v158, s5, v158 :: v_dual_mul_f32 v29, s5, v29
	v_bfe_u32 v32, v36, 16, 8
	s_delay_alu instid0(VALU_DEP_4) | instskip(NEXT) | instid1(VALU_DEP_4)
	v_cvt_f32_fp8_e32 v61, v61
	v_cvt_f32_fp8_e32 v67, v67
	s_delay_alu instid0(VALU_DEP_4)
	v_bfe_u32 v159, v158, 16, 1
	v_cmp_u_f32_e64 s3, v158, v158
	v_bfe_u32 v75, v62, 8, 8
	v_mul_f32_e32 v61, s5, v61
	v_mul_f32_e32 v67, s5, v67
	v_add3_u32 v159, v159, v158, 0x7fff
	v_or_b32_e32 v158, 0x400000, v158
	v_bfe_u32 v77, v62, 16, 8
	v_lshrrev_b32_e32 v79, 24, v62
	v_cvt_f32_fp8_e32 v32, v32
	v_bfe_u32 v84, v66, 8, 8
	s_wait_alu 0xf1ff
	v_cndmask_b32_e64 v158, v159, v158, s3
	v_bfe_u32 v159, v8, 16, 1
	v_cmp_u_f32_e64 s3, v8, v8
	v_mul_f32_e32 v32, s5, v32
	v_bfe_u32 v81, v66, 16, 8
	v_lshrrev_b32_e32 v78, 24, v66
	v_add3_u32 v159, v159, v8, 0x7fff
	v_or_b32_e32 v8, 0x400000, v8
	v_bfe_u32 v82, v63, 8, 8
	v_bfe_u32 v83, v63, 16, 8
	v_lshrrev_b32_e32 v85, 24, v63
	v_bfe_u32 v64, v68, 16, 8
	s_wait_alu 0xf1ff
	v_cndmask_b32_e64 v159, v159, v8, s3
	v_cvt_f32_fp8_e32 v8, v161
	v_and_b32_e32 v87, 0xff, v163
	v_cvt_f32_fp8_e32 v64, v64
	s_delay_alu instid0(VALU_DEP_3) | instskip(NEXT) | instid1(VALU_DEP_1)
	v_mul_f32_e32 v8, s5, v8
	v_bfe_u32 v160, v8, 16, 1
	v_cmp_u_f32_e64 s3, v8, v8
	s_delay_alu instid0(VALU_DEP_2) | instskip(SKIP_2) | instid1(VALU_DEP_1)
	v_add3_u32 v160, v160, v8, 0x7fff
	v_or_b32_e32 v8, 0x400000, v8
	s_wait_alu 0xf1ff
	v_cndmask_b32_e64 v160, v160, v8, s3
	v_cvt_f32_fp8_e32 v8, v16
	s_delay_alu instid0(VALU_DEP_1) | instskip(NEXT) | instid1(VALU_DEP_1)
	v_dual_mul_f32 v8, s5, v8 :: v_dual_and_b32 v95, 0xff, v165
	v_bfe_u32 v16, v8, 16, 1
	v_cmp_u_f32_e64 s3, v8, v8
	s_delay_alu instid0(VALU_DEP_2) | instskip(SKIP_2) | instid1(VALU_DEP_1)
	v_add3_u32 v16, v16, v8, 0x7fff
	v_or_b32_e32 v8, 0x400000, v8
	s_wait_alu 0xf1ff
	v_cndmask_b32_e64 v161, v16, v8, s3
	v_cvt_f32_fp8_e32 v8, v162
	s_delay_alu instid0(VALU_DEP_1) | instskip(NEXT) | instid1(VALU_DEP_1)
	v_dual_mul_f32 v8, s5, v8 :: v_dual_and_b32 v99, 0xff, v166
	v_bfe_u32 v16, v8, 16, 1
	v_cmp_u_f32_e64 s3, v8, v8
	s_delay_alu instid0(VALU_DEP_2) | instskip(SKIP_2) | instid1(VALU_DEP_1)
	v_add3_u32 v16, v16, v8, 0x7fff
	v_or_b32_e32 v8, 0x400000, v8
	s_wait_alu 0xf1ff
	v_cndmask_b32_e64 v162, v16, v8, s3
	v_bfe_u32 v8, v0, 16, 1
	v_cmp_u_f32_e64 s3, v0, v0
	s_delay_alu instid0(VALU_DEP_2) | instskip(SKIP_2) | instid1(VALU_DEP_1)
	v_add3_u32 v8, v8, v0, 0x7fff
	v_or_b32_e32 v0, 0x400000, v0
	s_wait_alu 0xf1ff
	v_cndmask_b32_e64 v163, v8, v0, s3
	v_cvt_f32_fp8_e32 v0, v10
	s_delay_alu instid0(VALU_DEP_1) | instskip(NEXT) | instid1(VALU_DEP_1)
	v_mul_f32_e32 v0, s5, v0
	v_bfe_u32 v8, v0, 16, 1
	v_cmp_u_f32_e64 s3, v0, v0
	s_delay_alu instid0(VALU_DEP_2) | instskip(SKIP_2) | instid1(VALU_DEP_1)
	v_add3_u32 v8, v8, v0, 0x7fff
	v_or_b32_e32 v0, 0x400000, v0
	s_wait_alu 0xf1ff
	v_cndmask_b32_e64 v164, v8, v0, s3
	v_cvt_f32_fp8_e32 v0, v11
	s_delay_alu instid0(VALU_DEP_1) | instskip(NEXT) | instid1(VALU_DEP_1)
	v_mul_f32_e32 v0, s5, v0
	;; [unrolled: 10-line block ×6, first 2 shown]
	v_bfe_u32 v8, v0, 16, 1
	v_cmp_u_f32_e64 s3, v0, v0
	s_delay_alu instid0(VALU_DEP_2) | instskip(SKIP_2) | instid1(VALU_DEP_1)
	v_add3_u32 v8, v8, v0, 0x7fff
	v_or_b32_e32 v0, 0x400000, v0
	s_wait_alu 0xf1ff
	v_cndmask_b32_e64 v169, v8, v0, s3
	v_cvt_f32_fp8_e32 v0, v18
	v_mul_f32_e32 v64, s5, v64
	s_delay_alu instid0(VALU_DEP_2) | instskip(NEXT) | instid1(VALU_DEP_1)
	v_mul_f32_e32 v0, s5, v0
	v_bfe_u32 v8, v0, 16, 1
	v_cmp_u_f32_e64 s3, v0, v0
	s_delay_alu instid0(VALU_DEP_2) | instskip(SKIP_2) | instid1(VALU_DEP_1)
	v_add3_u32 v8, v8, v0, 0x7fff
	v_or_b32_e32 v0, 0x400000, v0
	s_wait_alu 0xf1ff
	v_cndmask_b32_e64 v170, v8, v0, s3
	v_cvt_f32_fp8_e32 v0, v171
	s_delay_alu instid0(VALU_DEP_1) | instskip(NEXT) | instid1(VALU_DEP_1)
	v_mul_f32_e32 v0, s5, v0
	v_bfe_u32 v8, v0, 16, 1
	v_cmp_u_f32_e64 s3, v0, v0
	s_delay_alu instid0(VALU_DEP_2) | instskip(SKIP_2) | instid1(VALU_DEP_1)
	v_add3_u32 v8, v8, v0, 0x7fff
	v_or_b32_e32 v0, 0x400000, v0
	s_wait_alu 0xf1ff
	v_cndmask_b32_e64 v171, v8, v0, s3
	v_cvt_f32_fp8_e32 v0, v20
	s_delay_alu instid0(VALU_DEP_1) | instskip(NEXT) | instid1(VALU_DEP_1)
	;; [unrolled: 10-line block ×22, first 2 shown]
	v_mul_f32_e32 v0, s5, v0
	v_bfe_u32 v8, v0, 16, 1
	v_cmp_u_f32_e64 s3, v0, v0
	s_delay_alu instid0(VALU_DEP_2) | instskip(SKIP_2) | instid1(VALU_DEP_1)
	v_add3_u32 v8, v8, v0, 0x7fff
	v_or_b32_e32 v0, 0x400000, v0
	s_wait_alu 0xf1ff
	v_cndmask_b32_e64 v8, v8, v0, s3
	v_cvt_f32_fp8_e32 v0, v26
	s_delay_alu instid0(VALU_DEP_2) | instskip(NEXT) | instid1(VALU_DEP_2)
	v_and_b32_e32 v8, 0xffff0000, v8
	v_mul_f32_e32 v0, s5, v0
	s_delay_alu instid0(VALU_DEP_1) | instskip(SKIP_1) | instid1(VALU_DEP_2)
	v_bfe_u32 v9, v0, 16, 1
	v_cmp_u_f32_e64 s3, v0, v0
	v_add3_u32 v9, v9, v0, 0x7fff
	v_or_b32_e32 v0, 0x400000, v0
	s_wait_alu 0xf1ff
	s_delay_alu instid0(VALU_DEP_1) | instskip(SKIP_1) | instid1(VALU_DEP_1)
	v_cndmask_b32_e64 v15, v9, v0, s3
	v_cvt_f32_fp8_e32 v0, v27
	v_mul_f32_e32 v0, s5, v0
	s_delay_alu instid0(VALU_DEP_1) | instskip(SKIP_1) | instid1(VALU_DEP_2)
	v_bfe_u32 v9, v0, 16, 1
	v_cmp_u_f32_e64 s3, v0, v0
	v_add3_u32 v9, v9, v0, 0x7fff
	v_or_b32_e32 v0, 0x400000, v0
	s_wait_alu 0xf1ff
	s_delay_alu instid0(VALU_DEP_1) | instskip(SKIP_1) | instid1(VALU_DEP_1)
	v_cndmask_b32_e64 v16, v9, v0, s3
	v_cvt_f32_fp8_e32 v0, v28
	;; [unrolled: 10-line block ×3, first 2 shown]
	v_mul_f32_e32 v0, s5, v0
	s_delay_alu instid0(VALU_DEP_1) | instskip(SKIP_1) | instid1(VALU_DEP_2)
	v_bfe_u32 v10, v0, 16, 1
	v_cmp_u_f32_e64 s3, v0, v0
	v_add3_u32 v10, v10, v0, 0x7fff
	v_or_b32_e32 v0, 0x400000, v0
	s_wait_alu 0xf1ff
	s_delay_alu instid0(VALU_DEP_1) | instskip(SKIP_1) | instid1(VALU_DEP_2)
	v_cndmask_b32_e64 v0, v10, v0, s3
	v_cvt_f32_fp8_e32 v10, v40
	v_and_b32_e32 v0, 0xffff0000, v0
	s_delay_alu instid0(VALU_DEP_2) | instskip(NEXT) | instid1(VALU_DEP_1)
	v_mul_f32_e32 v10, s5, v10
	v_bfe_u32 v11, v10, 16, 1
	v_cmp_u_f32_e64 s3, v10, v10
	s_delay_alu instid0(VALU_DEP_2) | instskip(SKIP_2) | instid1(VALU_DEP_1)
	v_add3_u32 v11, v11, v10, 0x7fff
	v_or_b32_e32 v10, 0x400000, v10
	s_wait_alu 0xf1ff
	v_cndmask_b32_e64 v10, v11, v10, s3
	v_cvt_f32_fp8_e32 v11, v42
	s_delay_alu instid0(VALU_DEP_1) | instskip(NEXT) | instid1(VALU_DEP_1)
	v_dual_mul_f32 v11, s5, v11 :: v_dual_and_b32 v30, 0xff, v36
	v_cvt_f32_fp8_e32 v30, v30
	s_delay_alu instid0(VALU_DEP_2) | instskip(SKIP_1) | instid1(VALU_DEP_3)
	v_bfe_u32 v12, v11, 16, 1
	v_cmp_u_f32_e64 s3, v11, v11
	v_mul_f32_e32 v30, s5, v30
	s_delay_alu instid0(VALU_DEP_3) | instskip(SKIP_2) | instid1(VALU_DEP_1)
	v_add3_u32 v12, v12, v11, 0x7fff
	v_or_b32_e32 v11, 0x400000, v11
	s_wait_alu 0xf1ff
	v_cndmask_b32_e64 v11, v12, v11, s3
	v_cvt_f32_fp8_e32 v12, v43
	s_delay_alu instid0(VALU_DEP_1) | instskip(NEXT) | instid1(VALU_DEP_1)
	v_mul_f32_e32 v12, s5, v12
	v_bfe_u32 v13, v12, 16, 1
	v_cmp_u_f32_e64 s3, v12, v12
	s_delay_alu instid0(VALU_DEP_2) | instskip(SKIP_2) | instid1(VALU_DEP_1)
	v_add3_u32 v13, v13, v12, 0x7fff
	v_or_b32_e32 v12, 0x400000, v12
	s_wait_alu 0xf1ff
	v_cndmask_b32_e64 v12, v13, v12, s3
	v_cvt_f32_fp8_e32 v13, v45
	v_and_b32_e32 v48, 0xff, v31
	v_bfe_u32 v31, v36, 8, 8
	v_bfe_u32 v36, v37, 16, 8
	s_delay_alu instid0(VALU_DEP_4) | instskip(NEXT) | instid1(VALU_DEP_3)
	v_mul_f32_e32 v13, s5, v13
	v_cvt_f32_fp8_e32 v31, v31
	s_delay_alu instid0(VALU_DEP_3) | instskip(NEXT) | instid1(VALU_DEP_3)
	v_cvt_f32_fp8_e32 v36, v36
	v_bfe_u32 v14, v13, 16, 1
	v_cmp_u_f32_e64 s3, v13, v13
	s_delay_alu instid0(VALU_DEP_3) | instskip(NEXT) | instid1(VALU_DEP_3)
	v_dual_mul_f32 v31, s5, v31 :: v_dual_mul_f32 v36, s5, v36
	v_add3_u32 v14, v14, v13, 0x7fff
	v_or_b32_e32 v13, 0x400000, v13
	s_wait_alu 0xf1ff
	s_delay_alu instid0(VALU_DEP_1) | instskip(SKIP_1) | instid1(VALU_DEP_1)
	v_cndmask_b32_e64 v13, v14, v13, s3
	v_cvt_f32_fp8_e32 v14, v47
	v_mul_f32_e32 v14, s5, v14
	s_delay_alu instid0(VALU_DEP_1) | instskip(SKIP_1) | instid1(VALU_DEP_2)
	v_bfe_u32 v18, v14, 16, 1
	v_cmp_u_f32_e64 s3, v14, v14
	v_add3_u32 v18, v18, v14, 0x7fff
	v_or_b32_e32 v14, 0x400000, v14
	s_wait_alu 0xf1ff
	s_delay_alu instid0(VALU_DEP_1) | instskip(SKIP_1) | instid1(VALU_DEP_1)
	v_cndmask_b32_e64 v14, v18, v14, s3
	v_cvt_f32_fp8_e32 v18, v48
	v_mul_f32_e32 v18, s5, v18
	s_delay_alu instid0(VALU_DEP_1) | instskip(SKIP_1) | instid1(VALU_DEP_2)
	v_bfe_u32 v19, v18, 16, 1
	v_cmp_u_f32_e64 s3, v18, v18
	v_add3_u32 v19, v19, v18, 0x7fff
	v_or_b32_e32 v18, 0x400000, v18
	s_wait_alu 0xf1ff
	s_delay_alu instid0(VALU_DEP_1) | instskip(SKIP_1) | instid1(VALU_DEP_1)
	v_cndmask_b32_e64 v18, v19, v18, s3
	v_cvt_f32_fp8_e32 v19, v50
	v_dual_mul_f32 v19, s5, v19 :: v_dual_and_b32 v34, 0xff, v37
	s_delay_alu instid0(VALU_DEP_1) | instskip(NEXT) | instid1(VALU_DEP_2)
	v_cvt_f32_fp8_e32 v34, v34
	v_bfe_u32 v20, v19, 16, 1
	v_cmp_u_f32_e64 s3, v19, v19
	s_delay_alu instid0(VALU_DEP_3) | instskip(NEXT) | instid1(VALU_DEP_3)
	v_mul_f32_e32 v34, s5, v34
	v_add3_u32 v20, v20, v19, 0x7fff
	v_or_b32_e32 v19, 0x400000, v19
	s_wait_alu 0xf1ff
	s_delay_alu instid0(VALU_DEP_1) | instskip(SKIP_1) | instid1(VALU_DEP_1)
	v_cndmask_b32_e64 v19, v20, v19, s3
	v_cvt_f32_fp8_e32 v20, v51
	v_mul_f32_e32 v20, s5, v20
	s_delay_alu instid0(VALU_DEP_1) | instskip(SKIP_1) | instid1(VALU_DEP_2)
	v_bfe_u32 v21, v20, 16, 1
	v_cmp_u_f32_e64 s3, v20, v20
	v_add3_u32 v21, v21, v20, 0x7fff
	v_or_b32_e32 v20, 0x400000, v20
	s_wait_alu 0xf1ff
	s_delay_alu instid0(VALU_DEP_1) | instskip(SKIP_4) | instid1(VALU_DEP_4)
	v_cndmask_b32_e64 v20, v21, v20, s3
	v_cvt_f32_fp8_e32 v21, v53
	v_and_b32_e32 v44, 0xff, v35
	v_bfe_u32 v35, v37, 8, 8
	v_lshrrev_b32_e32 v37, 24, v37
	v_mul_f32_e32 v21, s5, v21
	s_delay_alu instid0(VALU_DEP_3) | instskip(NEXT) | instid1(VALU_DEP_3)
	v_cvt_f32_fp8_e32 v35, v35
	v_cvt_f32_fp8_e32 v37, v37
	s_delay_alu instid0(VALU_DEP_3) | instskip(SKIP_1) | instid1(VALU_DEP_4)
	v_bfe_u32 v22, v21, 16, 1
	v_cmp_u_f32_e64 s3, v21, v21
	v_mul_f32_e32 v35, s5, v35
	s_delay_alu instid0(VALU_DEP_4) | instskip(NEXT) | instid1(VALU_DEP_4)
	v_mul_f32_e32 v37, s5, v37
	v_add3_u32 v22, v22, v21, 0x7fff
	v_or_b32_e32 v21, 0x400000, v21
	s_wait_alu 0xf1ff
	s_delay_alu instid0(VALU_DEP_1) | instskip(SKIP_1) | instid1(VALU_DEP_1)
	v_cndmask_b32_e64 v21, v22, v21, s3
	v_cvt_f32_fp8_e32 v22, v54
	v_mul_f32_e32 v22, s5, v22
	s_delay_alu instid0(VALU_DEP_1) | instskip(SKIP_1) | instid1(VALU_DEP_2)
	v_bfe_u32 v23, v22, 16, 1
	v_cmp_u_f32_e64 s3, v22, v22
	v_add3_u32 v23, v23, v22, 0x7fff
	v_or_b32_e32 v22, 0x400000, v22
	s_wait_alu 0xf1ff
	s_delay_alu instid0(VALU_DEP_1) | instskip(SKIP_2) | instid1(VALU_DEP_2)
	v_cndmask_b32_e64 v22, v23, v22, s3
	v_cvt_f32_fp8_e32 v23, v52
	v_and_b32_e32 v74, 0xff, v62
	v_dual_mul_f32 v23, s5, v23 :: v_dual_and_b32 v62, 0xff, v68
	s_delay_alu instid0(VALU_DEP_1) | instskip(NEXT) | instid1(VALU_DEP_2)
	v_cvt_f32_fp8_e32 v62, v62
	v_bfe_u32 v24, v23, 16, 1
	v_cmp_u_f32_e64 s3, v23, v23
	s_delay_alu instid0(VALU_DEP_3) | instskip(NEXT) | instid1(VALU_DEP_3)
	v_mul_f32_e32 v62, s5, v62
	v_add3_u32 v24, v24, v23, 0x7fff
	v_or_b32_e32 v23, 0x400000, v23
	s_wait_alu 0xf1ff
	s_delay_alu instid0(VALU_DEP_1) | instskip(SKIP_1) | instid1(VALU_DEP_1)
	v_cndmask_b32_e64 v23, v24, v23, s3
	v_cvt_f32_fp8_e32 v24, v49
	v_mul_f32_e32 v24, s5, v24
	s_delay_alu instid0(VALU_DEP_1) | instskip(SKIP_1) | instid1(VALU_DEP_2)
	v_bfe_u32 v25, v24, 16, 1
	v_cmp_u_f32_e64 s3, v24, v24
	v_add3_u32 v25, v25, v24, 0x7fff
	v_or_b32_e32 v24, 0x400000, v24
	s_wait_alu 0xf1ff
	s_delay_alu instid0(VALU_DEP_1) | instskip(SKIP_4) | instid1(VALU_DEP_4)
	v_cndmask_b32_e64 v24, v25, v24, s3
	v_cvt_f32_fp8_e32 v25, v46
	v_and_b32_e32 v80, 0xff, v63
	v_bfe_u32 v63, v68, 8, 8
	v_bfe_u32 v68, v69, 16, 8
	v_mul_f32_e32 v25, s5, v25
	s_delay_alu instid0(VALU_DEP_3) | instskip(NEXT) | instid1(VALU_DEP_3)
	v_cvt_f32_fp8_e32 v63, v63
	v_cvt_f32_fp8_e32 v68, v68
	s_delay_alu instid0(VALU_DEP_3) | instskip(SKIP_1) | instid1(VALU_DEP_3)
	v_bfe_u32 v26, v25, 16, 1
	v_cmp_u_f32_e64 s3, v25, v25
	v_dual_mul_f32 v63, s5, v63 :: v_dual_mul_f32 v68, s5, v68
	s_delay_alu instid0(VALU_DEP_3) | instskip(SKIP_2) | instid1(VALU_DEP_1)
	v_add3_u32 v26, v26, v25, 0x7fff
	v_or_b32_e32 v25, 0x400000, v25
	s_wait_alu 0xf1ff
	v_cndmask_b32_e64 v25, v26, v25, s3
	v_cvt_f32_fp8_e32 v26, v44
	s_delay_alu instid0(VALU_DEP_1) | instskip(NEXT) | instid1(VALU_DEP_1)
	v_mul_f32_e32 v26, s5, v26
	v_bfe_u32 v27, v26, 16, 1
	v_cmp_u_f32_e64 s3, v26, v26
	s_delay_alu instid0(VALU_DEP_2) | instskip(SKIP_2) | instid1(VALU_DEP_1)
	v_add3_u32 v27, v27, v26, 0x7fff
	v_or_b32_e32 v26, 0x400000, v26
	s_wait_alu 0xf1ff
	v_cndmask_b32_e64 v26, v27, v26, s3
	v_cvt_f32_fp8_e32 v27, v41
	v_and_b32_e32 v86, 0xff, v66
	v_and_b32_e32 v66, 0xff, v69
	v_lshrrev_b32_e32 v69, 24, v69
	s_delay_alu instid0(VALU_DEP_4) | instskip(NEXT) | instid1(VALU_DEP_3)
	v_mul_f32_e32 v27, s5, v27
	v_cvt_f32_fp8_e32 v66, v66
	s_delay_alu instid0(VALU_DEP_3) | instskip(NEXT) | instid1(VALU_DEP_3)
	v_cvt_f32_fp8_e32 v69, v69
	v_bfe_u32 v28, v27, 16, 1
	v_cmp_u_f32_e64 s3, v27, v27
	s_delay_alu instid0(VALU_DEP_3) | instskip(NEXT) | instid1(VALU_DEP_3)
	v_dual_mul_f32 v66, s5, v66 :: v_dual_mul_f32 v69, s5, v69
	v_add3_u32 v28, v28, v27, 0x7fff
	v_or_b32_e32 v27, 0x400000, v27
	s_wait_alu 0xf1ff
	s_delay_alu instid0(VALU_DEP_1) | instskip(SKIP_1) | instid1(VALU_DEP_1)
	v_cndmask_b32_e64 v27, v28, v27, s3
	v_cvt_f32_fp8_e32 v28, v38
	v_mul_f32_e32 v28, s5, v28
	s_delay_alu instid0(VALU_DEP_1) | instskip(SKIP_1) | instid1(VALU_DEP_2)
	v_bfe_u32 v38, v28, 16, 1
	v_cmp_u_f32_e64 s3, v28, v28
	v_add3_u32 v38, v38, v28, 0x7fff
	v_or_b32_e32 v28, 0x400000, v28
	s_wait_alu 0xf1ff
	s_delay_alu instid0(VALU_DEP_1) | instskip(SKIP_2) | instid1(VALU_DEP_2)
	v_cndmask_b32_e64 v28, v38, v28, s3
	v_bfe_u32 v38, v29, 16, 1
	v_cmp_u_f32_e64 s3, v29, v29
	v_add3_u32 v38, v38, v29, 0x7fff
	v_or_b32_e32 v29, 0x400000, v29
	s_wait_alu 0xf1ff
	s_delay_alu instid0(VALU_DEP_1) | instskip(SKIP_2) | instid1(VALU_DEP_2)
	v_cndmask_b32_e64 v29, v38, v29, s3
	;; [unrolled: 7-line block ×9, first 2 shown]
	v_bfe_u32 v38, v37, 16, 1
	v_cmp_u_f32_e64 s3, v37, v37
	v_add3_u32 v38, v38, v37, 0x7fff
	v_or_b32_e32 v37, 0x400000, v37
	s_wait_alu 0xf1ff
	s_delay_alu instid0(VALU_DEP_1) | instskip(SKIP_1) | instid1(VALU_DEP_1)
	v_cndmask_b32_e64 v37, v38, v37, s3
	v_cvt_f32_fp8_e32 v38, v55
	v_mul_f32_e32 v38, s5, v38
	s_delay_alu instid0(VALU_DEP_1) | instskip(SKIP_1) | instid1(VALU_DEP_2)
	v_bfe_u32 v39, v38, 16, 1
	v_cmp_u_f32_e64 s3, v38, v38
	v_add3_u32 v39, v39, v38, 0x7fff
	v_or_b32_e32 v38, 0x400000, v38
	s_wait_alu 0xf1ff
	s_delay_alu instid0(VALU_DEP_1) | instskip(SKIP_1) | instid1(VALU_DEP_1)
	v_cndmask_b32_e64 v38, v39, v38, s3
	v_cvt_f32_fp8_e32 v39, v56
	v_mul_f32_e32 v39, s5, v39
	s_delay_alu instid0(VALU_DEP_1) | instskip(SKIP_1) | instid1(VALU_DEP_2)
	;; [unrolled: 10-line block ×16, first 2 shown]
	v_bfe_u32 v54, v53, 16, 1
	v_cmp_u_f32_e64 s3, v53, v53
	v_add3_u32 v54, v54, v53, 0x7fff
	v_or_b32_e32 v53, 0x400000, v53
	s_wait_alu 0xf1ff
	s_delay_alu instid0(VALU_DEP_1) | instskip(SKIP_4) | instid1(VALU_DEP_1)
	v_cndmask_b32_e64 v53, v54, v53, s3
	v_cvt_f32_fp8_e32 v54, v86
	v_and_b32_e32 v86, 0xffff0000, v5
	scratch_load_b32 v5, off, off offset:32 ; 4-byte Folded Reload
	v_mul_f32_e32 v54, s5, v54
	v_bfe_u32 v55, v54, 16, 1
	v_cmp_u_f32_e64 s3, v54, v54
	s_delay_alu instid0(VALU_DEP_2) | instskip(SKIP_2) | instid1(VALU_DEP_1)
	v_add3_u32 v55, v55, v54, 0x7fff
	v_or_b32_e32 v54, 0x400000, v54
	s_wait_alu 0xf1ff
	v_cndmask_b32_e64 v54, v55, v54, s3
	v_cvt_f32_fp8_e32 v55, v84
	s_delay_alu instid0(VALU_DEP_1) | instskip(NEXT) | instid1(VALU_DEP_1)
	v_mul_f32_e32 v55, s5, v55
	v_bfe_u32 v56, v55, 16, 1
	v_cmp_u_f32_e64 s3, v55, v55
	s_delay_alu instid0(VALU_DEP_2) | instskip(SKIP_2) | instid1(VALU_DEP_1)
	v_add3_u32 v56, v56, v55, 0x7fff
	v_or_b32_e32 v55, 0x400000, v55
	s_wait_alu 0xf1ff
	v_cndmask_b32_e64 v55, v56, v55, s3
	v_cvt_f32_fp8_e32 v56, v81
	s_delay_alu instid0(VALU_DEP_1) | instskip(NEXT) | instid1(VALU_DEP_1)
	;; [unrolled: 10-line block ×6, first 2 shown]
	v_mul_f32_e32 v60, s5, v60
	v_bfe_u32 v70, v60, 16, 1
	v_cmp_u_f32_e64 s3, v60, v60
	s_delay_alu instid0(VALU_DEP_2) | instskip(SKIP_2) | instid1(VALU_DEP_1)
	v_add3_u32 v70, v70, v60, 0x7fff
	v_or_b32_e32 v60, 0x400000, v60
	s_wait_alu 0xf1ff
	v_cndmask_b32_e64 v60, v70, v60, s3
	v_bfe_u32 v70, v61, 16, 1
	v_cmp_u_f32_e64 s3, v61, v61
	s_delay_alu instid0(VALU_DEP_2) | instskip(SKIP_2) | instid1(VALU_DEP_1)
	v_add3_u32 v70, v70, v61, 0x7fff
	v_or_b32_e32 v61, 0x400000, v61
	s_wait_alu 0xf1ff
	v_cndmask_b32_e64 v61, v70, v61, s3
	;; [unrolled: 7-line block ×10, first 2 shown]
	v_cvt_f32_fp8_e32 v70, v87
	scratch_load_b32 v87, off, off offset:40 ; 4-byte Folded Reload
	v_mul_f32_e32 v70, s5, v70
	s_delay_alu instid0(VALU_DEP_1) | instskip(SKIP_1) | instid1(VALU_DEP_2)
	v_bfe_u32 v71, v70, 16, 1
	v_cmp_u_f32_e64 s3, v70, v70
	v_add3_u32 v71, v71, v70, 0x7fff
	v_or_b32_e32 v70, 0x400000, v70
	s_wait_alu 0xf1ff
	s_delay_alu instid0(VALU_DEP_1) | instskip(SKIP_3) | instid1(VALU_DEP_1)
	v_cndmask_b32_e64 v70, v71, v70, s3
	v_cvt_f32_fp8_e32 v71, v88
	scratch_load_b32 v88, off, off offset:44 ; 4-byte Folded Reload
	v_mul_f32_e32 v71, s5, v71
	v_bfe_u32 v72, v71, 16, 1
	v_cmp_u_f32_e64 s3, v71, v71
	s_delay_alu instid0(VALU_DEP_2) | instskip(SKIP_2) | instid1(VALU_DEP_1)
	v_add3_u32 v72, v72, v71, 0x7fff
	v_or_b32_e32 v71, 0x400000, v71
	s_wait_alu 0xf1ff
	v_cndmask_b32_e64 v71, v72, v71, s3
	v_cvt_f32_fp8_e32 v72, v89
	scratch_load_b32 v89, off, off offset:48 ; 4-byte Folded Reload
	v_mul_f32_e32 v72, s5, v72
	s_delay_alu instid0(VALU_DEP_1) | instskip(SKIP_1) | instid1(VALU_DEP_2)
	v_bfe_u32 v73, v72, 16, 1
	v_cmp_u_f32_e64 s3, v72, v72
	v_add3_u32 v73, v73, v72, 0x7fff
	v_or_b32_e32 v72, 0x400000, v72
	s_wait_alu 0xf1ff
	s_delay_alu instid0(VALU_DEP_1) | instskip(SKIP_3) | instid1(VALU_DEP_1)
	v_cndmask_b32_e64 v72, v73, v72, s3
	v_cvt_f32_fp8_e32 v73, v90
	scratch_load_b32 v90, off, off offset:52 ; 4-byte Folded Reload
	v_mul_f32_e32 v73, s5, v73
	v_bfe_u32 v74, v73, 16, 1
	v_cmp_u_f32_e64 s3, v73, v73
	s_delay_alu instid0(VALU_DEP_2) | instskip(SKIP_2) | instid1(VALU_DEP_1)
	v_add3_u32 v74, v74, v73, 0x7fff
	v_or_b32_e32 v73, 0x400000, v73
	s_wait_alu 0xf1ff
	v_cndmask_b32_e64 v73, v74, v73, s3
	;; [unrolled: 21-line block ×3, first 2 shown]
	v_cvt_f32_fp8_e32 v76, v93
	s_delay_alu instid0(VALU_DEP_1) | instskip(NEXT) | instid1(VALU_DEP_1)
	v_mul_f32_e32 v76, s5, v76
	v_bfe_u32 v77, v76, 16, 1
	v_cmp_u_f32_e64 s3, v76, v76
	s_delay_alu instid0(VALU_DEP_2) | instskip(SKIP_2) | instid1(VALU_DEP_1)
	v_add3_u32 v77, v77, v76, 0x7fff
	v_or_b32_e32 v76, 0x400000, v76
	s_wait_alu 0xf1ff
	v_cndmask_b32_e64 v76, v77, v76, s3
	v_cvt_f32_fp8_e32 v77, v94
	s_delay_alu instid0(VALU_DEP_1) | instskip(NEXT) | instid1(VALU_DEP_1)
	v_mul_f32_e32 v77, s5, v77
	v_bfe_u32 v78, v77, 16, 1
	v_cmp_u_f32_e64 s3, v77, v77
	s_delay_alu instid0(VALU_DEP_2) | instskip(SKIP_2) | instid1(VALU_DEP_1)
	v_add3_u32 v78, v78, v77, 0x7fff
	v_or_b32_e32 v77, 0x400000, v77
	s_wait_alu 0xf1ff
	v_cndmask_b32_e64 v77, v78, v77, s3
	;; [unrolled: 10-line block ×9, first 2 shown]
	v_bfe_u32 v85, v7, 16, 1
	v_cmp_u_f32_e64 s3, v7, v7
	s_delay_alu instid0(VALU_DEP_2) | instskip(SKIP_2) | instid1(VALU_DEP_1)
	v_add3_u32 v85, v85, v7, 0x7fff
	v_or_b32_e32 v7, 0x400000, v7
	s_wait_alu 0xf1ff
	v_cndmask_b32_e64 v7, v85, v7, s3
	v_and_b32_e32 v85, 0xffff0000, v157
	v_cmp_gt_i32_e64 s3, s27, v141
	s_wait_loadcnt 0x6
	s_delay_alu instid0(VALU_DEP_2)
	v_mul_f32_e32 v5, v5, v85
	scratch_load_b32 v85, off, off          ; 4-byte Folded Reload
	s_wait_loadcnt 0x0
	v_fmac_f32_e32 v5, v85, v86
	v_and_b32_e32 v86, 0xffff0000, v6
	scratch_load_b32 v6, off, off offset:36 ; 4-byte Folded Reload
	v_and_b32_e32 v85, 0xffff0000, v156
	s_wait_loadcnt 0x0
	s_delay_alu instid0(VALU_DEP_1) | instskip(SKIP_3) | instid1(VALU_DEP_1)
	v_mul_f32_e32 v6, v6, v85
	scratch_load_b32 v85, off, off offset:4 ; 4-byte Folded Reload
	s_wait_loadcnt 0x0
	v_dual_fmac_f32 v6, v85, v86 :: v_dual_and_b32 v85, 0xffff0000, v155
	v_dual_mul_f32 v85, v87, v85 :: v_dual_and_b32 v86, 0xffff0000, v144
	scratch_load_b32 v87, off, off offset:8 ; 4-byte Folded Reload
	s_wait_loadcnt 0x0
	v_fmac_f32_e32 v85, v87, v86
	v_and_b32_e32 v86, 0xffff0000, v154
	s_delay_alu instid0(VALU_DEP_1) | instskip(SKIP_4) | instid1(VALU_DEP_2)
	v_dual_mul_f32 v86, v88, v86 :: v_dual_and_b32 v87, 0xffff0000, v145
	scratch_load_b32 v88, off, off offset:12 ; 4-byte Folded Reload
	s_wait_loadcnt 0x0
	v_dual_fmac_f32 v86, v88, v87 :: v_dual_and_b32 v87, 0xffff0000, v153
	v_and_b32_e32 v88, 0xffff0000, v147
	v_mul_f32_e32 v87, v89, v87
	scratch_load_b32 v89, off, off offset:16 ; 4-byte Folded Reload
	s_wait_loadcnt 0x0
	v_fmac_f32_e32 v87, v89, v88
	v_and_b32_e32 v88, 0xffff0000, v152
	v_and_b32_e32 v89, 0xffff0000, v148
	s_delay_alu instid0(VALU_DEP_2) | instskip(SKIP_4) | instid1(VALU_DEP_2)
	v_mul_f32_e32 v88, v90, v88
	scratch_load_b32 v90, off, off offset:20 ; 4-byte Folded Reload
	s_wait_loadcnt 0x0
	v_dual_fmac_f32 v88, v90, v89 :: v_dual_and_b32 v89, 0xffff0000, v151
	v_and_b32_e32 v90, 0xffff0000, v149
	v_mul_f32_e32 v89, v91, v89
	scratch_load_b32 v91, off, off offset:24 ; 4-byte Folded Reload
	s_wait_loadcnt 0x0
	v_fmac_f32_e32 v89, v91, v90
	v_and_b32_e32 v90, 0xffff0000, v146
	v_and_b32_e32 v91, 0xffff0000, v150
	s_delay_alu instid0(VALU_DEP_2)
	v_mul_f32_e32 v90, v92, v90
	scratch_load_b32 v92, off, off offset:28 ; 4-byte Folded Reload
	s_wait_loadcnt 0x0
	v_fmac_f32_e32 v90, v92, v91
	scratch_load_b32 v92, off, off offset:64 ; 4-byte Folded Reload
	v_and_b32_e32 v91, 0xffff0000, v158
	s_wait_loadcnt 0x0
	s_delay_alu instid0(VALU_DEP_1) | instskip(SKIP_3) | instid1(VALU_DEP_1)
	v_fmac_f32_e32 v5, v92, v91
	scratch_load_b32 v92, off, off offset:68 ; 4-byte Folded Reload
	v_and_b32_e32 v91, 0xffff0000, v159
	s_wait_loadcnt 0x0
	v_fmac_f32_e32 v6, v92, v91
	scratch_load_b32 v92, off, off offset:72 ; 4-byte Folded Reload
	v_and_b32_e32 v91, 0xffff0000, v160
	s_wait_loadcnt 0x0
	s_delay_alu instid0(VALU_DEP_1) | instskip(SKIP_3) | instid1(VALU_DEP_1)
	v_fmac_f32_e32 v85, v92, v91
	scratch_load_b32 v92, off, off offset:76 ; 4-byte Folded Reload
	v_and_b32_e32 v91, 0xffff0000, v161
	;; [unrolled: 9-line block ×17, first 2 shown]
	s_wait_loadcnt 0x0
	v_fmac_f32_e32 v6, v92, v91
	scratch_load_b32 v91, off, off offset:200 ; 4-byte Folded Reload
	s_wait_loadcnt 0x0
	v_dual_fmac_f32 v85, v91, v8 :: v_dual_and_b32 v8, 0xffff0000, v15
	scratch_load_b32 v15, off, off offset:204 ; 4-byte Folded Reload
	s_wait_loadcnt 0x0
	v_fmac_f32_e32 v86, v15, v8
	scratch_load_b32 v15, off, off offset:208 ; 4-byte Folded Reload
	v_and_b32_e32 v8, 0xffff0000, v16
	s_wait_loadcnt 0x0
	s_delay_alu instid0(VALU_DEP_1)
	v_dual_fmac_f32 v87, v15, v8 :: v_dual_and_b32 v8, 0xffff0000, v9
	scratch_load_b32 v9, off, off offset:212 ; 4-byte Folded Reload
	s_wait_loadcnt 0x0
	v_fmac_f32_e32 v88, v9, v8
	scratch_load_b32 v8, off, off offset:216 ; 4-byte Folded Reload
	s_wait_loadcnt 0x0
	v_dual_fmac_f32 v89, v8, v0 :: v_dual_and_b32 v0, 0xffff0000, v10
	scratch_load_b32 v8, off, off offset:220 ; 4-byte Folded Reload
	s_wait_loadcnt 0x0
	v_fmac_f32_e32 v90, v8, v0
	scratch_load_b32 v8, off, off offset:224 ; 4-byte Folded Reload
	v_and_b32_e32 v0, 0xffff0000, v11
	s_wait_loadcnt 0x0
	s_delay_alu instid0(VALU_DEP_1) | instskip(SKIP_3) | instid1(VALU_DEP_1)
	v_fmac_f32_e32 v5, v8, v0
	scratch_load_b32 v8, off, off offset:228 ; 4-byte Folded Reload
	v_and_b32_e32 v0, 0xffff0000, v12
	s_wait_loadcnt 0x0
	v_fmac_f32_e32 v6, v8, v0
	scratch_load_b32 v8, off, off offset:232 ; 4-byte Folded Reload
	v_and_b32_e32 v0, 0xffff0000, v13
	s_wait_loadcnt 0x0
	s_delay_alu instid0(VALU_DEP_1)
	v_dual_fmac_f32 v85, v8, v0 :: v_dual_and_b32 v0, 0xffff0000, v14
	scratch_load_b32 v8, off, off offset:236 ; 4-byte Folded Reload
	s_wait_loadcnt 0x0
	v_fmac_f32_e32 v86, v8, v0
	scratch_load_b32 v8, off, off offset:240 ; 4-byte Folded Reload
	v_and_b32_e32 v0, 0xffff0000, v18
	s_wait_loadcnt 0x0
	s_delay_alu instid0(VALU_DEP_1)
	v_dual_fmac_f32 v87, v8, v0 :: v_dual_and_b32 v0, 0xffff0000, v19
	scratch_load_b32 v8, off, off offset:244 ; 4-byte Folded Reload
	s_wait_loadcnt 0x0
	v_fmac_f32_e32 v88, v8, v0
	scratch_load_b32 v8, off, off offset:248 ; 4-byte Folded Reload
	v_and_b32_e32 v0, 0xffff0000, v20
	s_wait_loadcnt 0x0
	s_delay_alu instid0(VALU_DEP_1)
	v_dual_fmac_f32 v89, v8, v0 :: v_dual_and_b32 v0, 0xffff0000, v21
	scratch_load_b32 v8, off, off offset:252 ; 4-byte Folded Reload
	s_wait_loadcnt 0x0
	v_fmac_f32_e32 v90, v8, v0
	scratch_load_b32 v8, off, off offset:256 ; 4-byte Folded Reload
	v_and_b32_e32 v0, 0xffff0000, v22
	s_wait_loadcnt 0x0
	s_delay_alu instid0(VALU_DEP_1)
	v_dual_fmac_f32 v5, v8, v0 :: v_dual_and_b32 v0, 0xffff0000, v23
	scratch_load_b32 v8, off, off offset:260 ; 4-byte Folded Reload
	s_wait_loadcnt 0x0
	v_fmac_f32_e32 v6, v8, v0
	scratch_load_b32 v8, off, off offset:264 ; 4-byte Folded Reload
	v_and_b32_e32 v0, 0xffff0000, v24
	s_wait_loadcnt 0x0
	s_delay_alu instid0(VALU_DEP_1)
	v_dual_fmac_f32 v85, v8, v0 :: v_dual_and_b32 v0, 0xffff0000, v25
	scratch_load_b32 v8, off, off offset:268 ; 4-byte Folded Reload
	s_wait_loadcnt 0x0
	v_fmac_f32_e32 v86, v8, v0
	scratch_load_b32 v8, off, off offset:272 ; 4-byte Folded Reload
	v_and_b32_e32 v0, 0xffff0000, v26
	s_wait_loadcnt 0x0
	s_delay_alu instid0(VALU_DEP_1)
	v_dual_fmac_f32 v87, v8, v0 :: v_dual_and_b32 v0, 0xffff0000, v27
	scratch_load_b32 v8, off, off offset:276 ; 4-byte Folded Reload
	s_wait_loadcnt 0x0
	v_fmac_f32_e32 v88, v8, v0
	scratch_load_b32 v8, off, off offset:280 ; 4-byte Folded Reload
	v_and_b32_e32 v0, 0xffff0000, v28
	s_wait_loadcnt 0x0
	s_delay_alu instid0(VALU_DEP_1)
	v_dual_fmac_f32 v89, v8, v0 :: v_dual_and_b32 v0, 0xffff0000, v29
	scratch_load_b32 v8, off, off offset:284 ; 4-byte Folded Reload
	s_wait_loadcnt 0x0
	v_fmac_f32_e32 v90, v8, v0
	scratch_load_b32 v8, off, off offset:288 ; 4-byte Folded Reload
	v_and_b32_e32 v0, 0xffff0000, v30
	s_wait_loadcnt 0x0
	s_delay_alu instid0(VALU_DEP_1)
	v_dual_fmac_f32 v5, v8, v0 :: v_dual_and_b32 v0, 0xffff0000, v31
	scratch_load_b32 v8, off, off offset:292 ; 4-byte Folded Reload
	s_wait_loadcnt 0x0
	v_fmac_f32_e32 v6, v8, v0
	scratch_load_b32 v8, off, off offset:296 ; 4-byte Folded Reload
	v_and_b32_e32 v0, 0xffff0000, v32
	s_wait_loadcnt 0x0
	s_delay_alu instid0(VALU_DEP_1)
	v_dual_fmac_f32 v85, v8, v0 :: v_dual_and_b32 v0, 0xffff0000, v33
	scratch_load_b32 v8, off, off offset:300 ; 4-byte Folded Reload
	s_wait_loadcnt 0x0
	v_fmac_f32_e32 v86, v8, v0
	scratch_load_b32 v8, off, off offset:304 ; 4-byte Folded Reload
	v_and_b32_e32 v0, 0xffff0000, v34
	s_wait_loadcnt 0x0
	s_delay_alu instid0(VALU_DEP_1)
	v_dual_fmac_f32 v87, v8, v0 :: v_dual_and_b32 v0, 0xffff0000, v35
	scratch_load_b32 v8, off, off offset:308 ; 4-byte Folded Reload
	s_wait_loadcnt 0x0
	v_fmac_f32_e32 v88, v8, v0
	scratch_load_b32 v8, off, off offset:312 ; 4-byte Folded Reload
	v_and_b32_e32 v0, 0xffff0000, v36
	s_wait_loadcnt 0x0
	s_delay_alu instid0(VALU_DEP_1)
	v_dual_fmac_f32 v89, v8, v0 :: v_dual_and_b32 v0, 0xffff0000, v37
	scratch_load_b32 v8, off, off offset:316 ; 4-byte Folded Reload
	s_wait_loadcnt 0x0
	v_fmac_f32_e32 v90, v8, v0
	scratch_load_b32 v8, off, off offset:320 ; 4-byte Folded Reload
	v_and_b32_e32 v0, 0xffff0000, v38
	s_wait_loadcnt 0x0
	s_delay_alu instid0(VALU_DEP_1)
	v_dual_fmac_f32 v5, v8, v0 :: v_dual_and_b32 v0, 0xffff0000, v39
	scratch_load_b32 v8, off, off offset:324 ; 4-byte Folded Reload
	s_wait_loadcnt 0x0
	v_fmac_f32_e32 v6, v8, v0
	scratch_load_b32 v8, off, off offset:328 ; 4-byte Folded Reload
	v_and_b32_e32 v0, 0xffff0000, v40
	s_wait_loadcnt 0x0
	s_delay_alu instid0(VALU_DEP_1)
	v_dual_fmac_f32 v85, v8, v0 :: v_dual_and_b32 v0, 0xffff0000, v41
	scratch_load_b32 v8, off, off offset:332 ; 4-byte Folded Reload
	s_wait_loadcnt 0x0
	v_fmac_f32_e32 v86, v8, v0
	scratch_load_b32 v8, off, off offset:336 ; 4-byte Folded Reload
	v_and_b32_e32 v0, 0xffff0000, v42
	s_wait_loadcnt 0x0
	s_delay_alu instid0(VALU_DEP_1)
	v_dual_fmac_f32 v87, v8, v0 :: v_dual_and_b32 v0, 0xffff0000, v43
	scratch_load_b32 v8, off, off offset:340 ; 4-byte Folded Reload
	s_wait_loadcnt 0x0
	v_fmac_f32_e32 v88, v8, v0
	scratch_load_b32 v8, off, off offset:344 ; 4-byte Folded Reload
	v_and_b32_e32 v0, 0xffff0000, v44
	s_wait_loadcnt 0x0
	s_delay_alu instid0(VALU_DEP_1)
	v_dual_fmac_f32 v89, v8, v0 :: v_dual_and_b32 v0, 0xffff0000, v45
	scratch_load_b32 v8, off, off offset:348 ; 4-byte Folded Reload
	s_wait_loadcnt 0x0
	v_fmac_f32_e32 v90, v8, v0
	scratch_load_b32 v8, off, off offset:352 ; 4-byte Folded Reload
	v_and_b32_e32 v0, 0xffff0000, v46
	s_wait_loadcnt 0x0
	s_delay_alu instid0(VALU_DEP_1) | instskip(SKIP_4) | instid1(VALU_DEP_1)
	v_dual_fmac_f32 v5, v8, v0 :: v_dual_and_b32 v0, 0xffff0000, v47
	scratch_load_b32 v8, off, off offset:356 ; 4-byte Folded Reload
	s_wait_loadcnt 0x0
	v_fmac_f32_e32 v6, v8, v0
	v_and_b32_e32 v0, 0xffff0000, v48
	v_dual_fmac_f32 v85, v102, v0 :: v_dual_and_b32 v0, 0xffff0000, v49
	s_delay_alu instid0(VALU_DEP_1) | instskip(SKIP_1) | instid1(VALU_DEP_1)
	v_fmac_f32_e32 v86, v103, v0
	v_and_b32_e32 v0, 0xffff0000, v50
	v_dual_fmac_f32 v87, v104, v0 :: v_dual_and_b32 v0, 0xffff0000, v51
	s_delay_alu instid0(VALU_DEP_1) | instskip(SKIP_1) | instid1(VALU_DEP_1)
	;; [unrolled: 4-line block ×18, first 2 shown]
	v_fmac_f32_e32 v88, v138, v0
	v_and_b32_e32 v0, 0xffff0000, v84
	v_dual_fmac_f32 v89, v139, v0 :: v_dual_and_b32 v0, 0xffff0000, v7
	s_delay_alu instid0(VALU_DEP_1) | instskip(SKIP_2) | instid1(VALU_DEP_2)
	v_fmac_f32_e32 v90, v140, v0
	v_dual_add_f32 v0, v5, v6 :: v_dual_add_nc_u32 v5, s23, v141
	v_add_nc_u32_e32 v141, 0x80, v141
	v_add_f32_e32 v0, v0, v85
	s_delay_alu instid0(VALU_DEP_3) | instskip(NEXT) | instid1(VALU_DEP_1)
	v_cvt_f32_i32_e32 v5, v5
	v_dual_add_f32 v0, v86, v0 :: v_dual_mul_f32 v5, s8, v5
	s_delay_alu instid0(VALU_DEP_1) | instskip(NEXT) | instid1(VALU_DEP_1)
	v_dual_add_f32 v0, v87, v0 :: v_dual_cndmask_b32 v5, 0, v5
	v_add_f32_e32 v0, v88, v0
	s_delay_alu instid0(VALU_DEP_1) | instskip(NEXT) | instid1(VALU_DEP_1)
	v_add_f32_e32 v0, v89, v0
	v_add_f32_e32 v0, v90, v0
	s_delay_alu instid0(VALU_DEP_1) | instskip(SKIP_1) | instid1(VALU_DEP_1)
	v_fmac_f32_e32 v5, s9, v0
	v_max_num_f32_e32 v0, v132, v132
	v_max_num_f32_e32 v0, v0, v5
	s_wait_alu 0xf1ff
	v_cndmask_b32_e64 v5, 0, v5, s3
	s_delay_alu instid0(VALU_DEP_2)
	v_cndmask_b32_e64 v132, v132, v0, s3
	v_add_co_u32 v3, s3, v3, 16
	ds_store_b32 v142, v5
	s_wait_alu 0xf1ff
	v_add_co_ci_u32_e64 v4, null, 0, v4, s3
	v_add_nc_u32_e32 v142, 0x200, v142
	s_and_not1_b32 exec_lo, exec_lo, s11
	s_cbranch_execnz .LBB364_7
; %bb.8:
	s_or_b32 exec_lo, exec_lo, s11
	s_clause 0x3
	scratch_load_b32 v185, off, off offset:360
	scratch_load_b32 v186, off, off offset:364
	;; [unrolled: 1-line block ×4, first 2 shown]
	v_lshlrev_b32_e32 v39, 2, v17
.LBB364_9:
	s_or_b32 exec_lo, exec_lo, s10
	v_mbcnt_lo_u32_b32 v0, -1, 0
	s_load_b128 s[8:11], s[0:1], 0x0
	s_wait_kmcnt 0x0
	s_clause 0x1
	s_load_b64 s[4:5], s[0:1], 0x10
	s_load_b64 s[24:25], s[0:1], 0x28
	v_max_num_f32_e32 v4, v132, v132
	v_xor_b32_e32 v1, 16, v0
	v_xor_b32_e32 v3, 8, v0
	s_delay_alu instid0(VALU_DEP_2) | instskip(SKIP_2) | instid1(VALU_DEP_3)
	v_cmp_gt_i32_e32 vcc_lo, 32, v1
	s_wait_alu 0xfffd
	v_cndmask_b32_e32 v1, v0, v1, vcc_lo
	v_cmp_gt_i32_e32 vcc_lo, 32, v3
	s_delay_alu instid0(VALU_DEP_2)
	v_lshlrev_b32_e32 v1, 2, v1
	s_wait_alu 0xfffd
	v_cndmask_b32_e32 v3, v0, v3, vcc_lo
	ds_bpermute_b32 v2, v1, v132
	s_wait_dscnt 0x0
	v_dual_max_num_f32 v5, v2, v2 :: v_dual_lshlrev_b32 v2, 2, v3
	s_delay_alu instid0(VALU_DEP_1)
	v_max_num_f32_e32 v3, v4, v5
	v_xor_b32_e32 v5, 4, v0
	ds_bpermute_b32 v4, v2, v3
	v_cmp_gt_i32_e32 vcc_lo, 32, v5
	s_wait_alu 0xfffd
	v_cndmask_b32_e32 v5, v0, v5, vcc_lo
	s_wait_dscnt 0x0
	v_max_num_f32_e32 v6, v4, v4
	s_delay_alu instid0(VALU_DEP_1)
	v_dual_max_num_f32 v3, v3, v6 :: v_dual_lshlrev_b32 v4, 2, v5
	v_xor_b32_e32 v6, 2, v0
	ds_bpermute_b32 v5, v4, v3
	v_cmp_gt_i32_e32 vcc_lo, 32, v6
	s_wait_dscnt 0x0
	s_wait_alu 0xfffd
	v_dual_cndmask_b32 v6, v0, v6 :: v_dual_max_num_f32 v5, v5, v5
	s_delay_alu instid0(VALU_DEP_1) | instskip(NEXT) | instid1(VALU_DEP_2)
	v_max_num_f32_e32 v3, v3, v5
	v_lshlrev_b32_e32 v19, 2, v6
	v_xor_b32_e32 v6, 1, v0
	s_delay_alu instid0(VALU_DEP_1)
	v_cmp_gt_i32_e32 vcc_lo, 32, v6
	s_wait_alu 0xfffd
	v_cndmask_b32_e32 v6, v0, v6, vcc_lo
	ds_bpermute_b32 v5, v19, v3
	s_wait_loadcnt 0x1
	v_cmp_eq_u32_e32 vcc_lo, 0, v187
	s_wait_dscnt 0x0
	v_dual_max_num_f32 v5, v5, v5 :: v_dual_lshlrev_b32 v18, 2, v6
	s_delay_alu instid0(VALU_DEP_1)
	v_dual_max_num_f32 v0, v3, v5 :: v_dual_lshlrev_b32 v5, 2, v186
	ds_bpermute_b32 v3, v18, v0
	s_and_saveexec_b32 s0, vcc_lo
	s_cbranch_execz .LBB364_11
; %bb.10:
	s_wait_dscnt 0x0
	v_dual_max_num_f32 v3, v3, v3 :: v_dual_max_num_f32 v0, v0, v0
	s_delay_alu instid0(VALU_DEP_1)
	v_max_num_f32_e32 v0, v0, v3
	ds_store_b32 v5, v0 offset:256
.LBB364_11:
	s_or_b32 exec_lo, exec_lo, s0
	v_cmp_gt_u32_e64 s0, 4, v187
	v_mov_b32_e32 v0, 0xff7fffff
	s_wait_storecnt 0x0
	s_wait_loadcnt_dscnt 0x0
	s_barrier_signal -1
	s_barrier_wait -1
	global_inv scope:SCOPE_SE
	s_and_saveexec_b32 s1, s0
; %bb.12:
	ds_load_b32 v0, v22 offset:256
; %bb.13:
	s_or_b32 exec_lo, exec_lo, s1
	s_wait_dscnt 0x0
	ds_bpermute_b32 v3, v19, v0
	v_max_num_f32_e32 v0, v0, v0
	s_sub_co_i32 s1, s17, s31
	v_mov_b32_e32 v6, 0
	s_lshl_b32 s1, s1, 5
	s_delay_alu instid0(SALU_CYCLE_1) | instskip(NEXT) | instid1(SALU_CYCLE_1)
	s_add_co_i32 s1, s1, s28
	s_min_i32 s1, s1, s27
	s_delay_alu instid0(SALU_CYCLE_1) | instskip(SKIP_4) | instid1(VALU_DEP_1)
	s_sub_co_i32 s14, s1, s28
	s_wait_alu 0xfffe
	v_cmp_gt_i32_e64 s1, s14, v185
	s_wait_dscnt 0x0
	v_max_num_f32_e32 v3, v3, v3
	v_max_num_f32_e32 v0, v0, v3
	ds_bpermute_b32 v3, v18, v0
	s_wait_dscnt 0x0
	v_max_num_f32_e32 v3, v3, v3
	s_delay_alu instid0(VALU_DEP_1)
	v_max_num_f32_e32 v0, v0, v3
	v_lshl_add_u32 v3, v185, 2, 0x120
	ds_bpermute_b32 v0, v6, v0
	s_and_saveexec_b32 s23, s1
	s_cbranch_execz .LBB364_17
; %bb.14:
	v_lshl_add_u32 v7, v185, 2, 0x120
	v_mov_b32_e32 v6, 0
	v_mov_b32_e32 v8, v185
	s_mov_b32 s31, 0
.LBB364_15:                             ; =>This Inner Loop Header: Depth=1
	ds_load_b32 v9, v7
	v_add_nc_u32_e32 v8, 0x80, v8
	s_delay_alu instid0(VALU_DEP_1) | instskip(SKIP_4) | instid1(VALU_DEP_1)
	v_cmp_le_i32_e64 s3, s14, v8
	s_wait_alu 0xfffe
	s_or_b32 s31, s3, s31
	s_wait_dscnt 0x0
	v_sub_f32_e32 v9, v9, v0
	v_mul_f32_e32 v9, 0x3fb8aa3b, v9
	s_delay_alu instid0(VALU_DEP_1)
	v_exp_f32_e32 v9, v9
	ds_store_b32 v7, v9
	v_dual_add_f32 v6, v6, v9 :: v_dual_add_nc_u32 v7, 0x200, v7
	s_wait_alu 0xfffe
	s_and_not1_b32 exec_lo, exec_lo, s31
	s_cbranch_execnz .LBB364_15
; %bb.16:
	s_or_b32 exec_lo, exec_lo, s31
.LBB364_17:
	s_wait_alu 0xfffe
	s_or_b32 exec_lo, exec_lo, s23
	ds_bpermute_b32 v1, v1, v6
	s_wait_dscnt 0x0
	v_add_f32_e32 v1, v6, v1
	ds_bpermute_b32 v2, v2, v1
	s_wait_dscnt 0x0
	v_add_f32_e32 v1, v1, v2
	;; [unrolled: 3-line block ×5, first 2 shown]
	s_and_saveexec_b32 s3, vcc_lo
; %bb.18:
	ds_store_b32 v5, v1 offset:272
; %bb.19:
	s_wait_alu 0xfffe
	s_or_b32 exec_lo, exec_lo, s3
	s_wait_loadcnt_dscnt 0x0
	s_barrier_signal -1
	s_barrier_wait -1
	global_inv scope:SCOPE_SE
	s_and_saveexec_b32 s3, s0
; %bb.20:
	ds_load_b32 v1, v22 offset:272
; %bb.21:
	s_wait_alu 0xfffe
	s_or_b32 exec_lo, exec_lo, s3
	s_wait_dscnt 0x0
	ds_bpermute_b32 v2, v19, v1
	s_wait_dscnt 0x0
	v_add_f32_e32 v1, v1, v2
	ds_bpermute_b32 v2, v18, v1
	s_wait_dscnt 0x0
	v_dual_add_f32 v1, v1, v2 :: v_dual_mov_b32 v2, 0
	ds_bpermute_b32 v1, v2, v1
	s_and_saveexec_b32 s0, s1
	s_cbranch_execz .LBB364_24
; %bb.22:
	s_wait_dscnt 0x0
	v_add_f32_e32 v2, 0x358637bd, v1
	s_mov_b32 s1, 0
	s_delay_alu instid0(VALU_DEP_1) | instskip(SKIP_1) | instid1(VALU_DEP_2)
	v_div_scale_f32 v4, null, v2, v2, 1.0
	v_div_scale_f32 v7, vcc_lo, 1.0, v2, 1.0
	v_rcp_f32_e32 v5, v4
	s_delay_alu instid0(TRANS32_DEP_1) | instskip(NEXT) | instid1(VALU_DEP_1)
	v_fma_f32 v6, -v4, v5, 1.0
	v_fmac_f32_e32 v5, v6, v5
	s_delay_alu instid0(VALU_DEP_1) | instskip(NEXT) | instid1(VALU_DEP_1)
	v_mul_f32_e32 v6, v7, v5
	v_fma_f32 v8, -v4, v6, v7
	s_delay_alu instid0(VALU_DEP_1) | instskip(NEXT) | instid1(VALU_DEP_1)
	v_fmac_f32_e32 v6, v8, v5
	v_fma_f32 v4, -v4, v6, v7
	s_wait_alu 0xfffd
	s_delay_alu instid0(VALU_DEP_1) | instskip(NEXT) | instid1(VALU_DEP_1)
	v_div_fmas_f32 v4, v4, v5, v6
	v_div_fixup_f32 v2, v4, v2, 1.0
	v_mov_b32_e32 v4, v185
.LBB364_23:                             ; =>This Inner Loop Header: Depth=1
	ds_load_b32 v5, v3
	s_wait_dscnt 0x0
	v_dual_mul_f32 v5, v2, v5 :: v_dual_add_nc_u32 v4, 0x80, v4
	s_delay_alu instid0(VALU_DEP_1) | instskip(SKIP_3) | instid1(SALU_CYCLE_1)
	v_cmp_le_i32_e32 vcc_lo, s14, v4
	ds_store_b32 v3, v5
	v_add_nc_u32_e32 v3, 0x200, v3
	s_or_b32 s1, vcc_lo, s1
	s_and_not1_b32 exec_lo, exec_lo, s1
	s_cbranch_execnz .LBB364_23
.LBB364_24:
	s_or_b32 exec_lo, exec_lo, s0
	s_mul_i32 s0, s12, s15
	s_wait_loadcnt_dscnt 0x0
	s_mul_i32 s14, s0, s29
	s_mov_b32 s0, exec_lo
	s_barrier_signal -1
	s_barrier_wait -1
	global_inv scope:SCOPE_SE
	v_cmpx_eq_u32_e32 0, v185
	s_cbranch_execz .LBB364_26
; %bb.25:
	s_wait_alu 0xfffe
	s_ashr_i32 s15, s14, 31
	s_mul_i32 s34, s12, ttmp9
	s_lshl_b32 s1, s26, 2
	s_wait_alu 0xfffe
	s_lshl_b64 s[36:37], s[14:15], 2
	s_ashr_i32 s35, s34, 31
	v_mov_b32_e32 v2, s1
	s_add_nc_u64 s[10:11], s[10:11], s[36:37]
	s_lshl_b64 s[34:35], s[34:35], 2
	s_add_nc_u64 s[8:9], s[8:9], s[36:37]
	s_add_nc_u64 s[10:11], s[10:11], s[34:35]
	s_wait_alu 0xfffe
	s_add_nc_u64 s[8:9], s[8:9], s[34:35]
	s_clause 0x1
	global_store_b32 v2, v0, s[10:11]
	global_store_b32 v2, v1, s[8:9]
.LBB364_26:
	s_or_b32 exec_lo, exec_lo, s0
	v_dual_mov_b32 v34, 0 :: v_dual_mov_b32 v35, 0
	v_dual_mov_b32 v33, 0 :: v_dual_and_b32 v20, 3, v185
	v_dual_mov_b32 v36, 0 :: v_dual_mov_b32 v31, 0
	v_dual_mov_b32 v32, 0 :: v_dual_mov_b32 v29, 0
	;; [unrolled: 1-line block ×6, first 2 shown]
	v_mov_b32_e32 v22, 0
	s_and_saveexec_b32 s1, s2
	s_cbranch_execz .LBB364_62
; %bb.27:
	s_load_b32 s2, s[6:7], 0x0
	v_dual_mov_b32 v21, 0 :: v_dual_lshlrev_b32 v0, 3, v185
	v_dual_mov_b32 v22, 0 :: v_dual_lshlrev_b32 v1, 5, v20
	s_ashr_i32 s23, s22, 31
	s_delay_alu instid0(VALU_DEP_2)
	v_dual_mov_b32 v23, 0 :: v_dual_and_b32 v2, 24, v0
	v_dual_mov_b32 v25, 0 :: v_dual_and_b32 v0, 0xf8, v0
	s_wait_kmcnt 0x0
	s_wait_alu 0xfffe
	s_add_nc_u64 s[8:9], s[24:25], s[22:23]
	s_lshl_b64 s[6:7], s[20:21], 2
	v_lshl_add_u32 v3, v186, 5, s28
	v_lshl_or_b32 v1, v186, 7, v1
	s_wait_alu 0xfffe
	v_add_co_u32 v9, s0, s8, v0
	s_add_nc_u64 s[6:7], s[18:19], s[6:7]
	s_wait_alu 0xf1ff
	v_add_co_ci_u32_e64 v10, null, s9, 0, s0
	v_add_co_u32 v11, s0, s6, v39
	v_add3_u32 v37, v3, v2, 7
	v_dual_mov_b32 v27, 0 :: v_dual_add_nc_u32 v38, 0x120, v1
	s_wait_alu 0xf1ff
	v_add_co_ci_u32_e64 v12, null, s7, 0, s0
	v_dual_mov_b32 v24, 0 :: v_dual_mov_b32 v29, 0
	v_dual_mov_b32 v26, 0 :: v_dual_mov_b32 v31, 0
	;; [unrolled: 1-line block ×4, first 2 shown]
	v_mov_b32_e32 v32, 0
	v_mov_b32_e32 v36, 0
	;; [unrolled: 1-line block ×3, first 2 shown]
	s_mov_b32 s3, s13
	s_add_co_i32 s30, s30, -1
	s_mov_b32 s6, 0
	s_branch .LBB364_29
.LBB364_28:                             ;   in Loop: Header=BB364_29 Depth=1
	s_wait_alu 0xfffe
	s_or_b32 exec_lo, exec_lo, s0
	s_wait_dscnt 0x1
	v_bfe_u32 v87, v5, 16, 1
	v_bfe_u32 v88, v6, 16, 1
	v_or_b32_e32 v89, 0x400000, v5
	v_cmp_u_f32_e32 vcc_lo, v5, v5
	v_or_b32_e32 v90, 0x400000, v6
	v_add3_u32 v87, v87, v5, 0x7fff
	v_bfe_u32 v91, v7, 16, 1
	v_add3_u32 v88, v88, v6, 0x7fff
	v_bfe_u32 v92, v8, 16, 1
	s_wait_alu 0xfffd
	v_dual_cndmask_b32 v5, v87, v89 :: v_dual_lshlrev_b32 v162, 16, v162
	v_cmp_u_f32_e32 vcc_lo, v6, v6
	v_add3_u32 v87, v91, v7, 0x7fff
	s_wait_dscnt 0x0
	v_bfe_u32 v89, v1, 16, 1
	v_or_b32_e32 v91, 0x400000, v8
	s_wait_alu 0xfffd
	v_dual_cndmask_b32 v6, v88, v90 :: v_dual_lshlrev_b32 v147, 16, v147
	v_or_b32_e32 v88, 0x400000, v7
	v_cmp_u_f32_e32 vcc_lo, v7, v7
	v_add3_u32 v90, v92, v8, 0x7fff
	v_lshlrev_b32_e32 v140, 16, v140
	v_lshlrev_b32_e32 v131, 16, v131
	;; [unrolled: 1-line block ×3, first 2 shown]
	s_wait_alu 0xfffd
	v_cndmask_b32_e32 v7, v87, v88, vcc_lo
	v_cmp_u_f32_e32 vcc_lo, v8, v8
	v_add3_u32 v87, v89, v1, 0x7fff
	v_or_b32_e32 v88, 0x400000, v1
	v_bfe_u32 v89, v2, 16, 1
	s_wait_alu 0xfffd
	v_dual_cndmask_b32 v8, v90, v91 :: v_dual_lshlrev_b32 v121, 16, v121
	v_cmp_u_f32_e32 vcc_lo, v1, v1
	v_or_b32_e32 v90, 0x400000, v2
	v_add3_u32 v89, v89, v2, 0x7fff
	v_or_b32_e32 v91, 0x400000, v3
	v_and_b32_e32 v1, 0xffff0000, v6
	v_lshlrev_b32_e32 v6, 16, v168
	s_wait_alu 0xfffd
	v_cndmask_b32_e32 v87, v87, v88, vcc_lo
	v_bfe_u32 v88, v3, 16, 1
	v_cmp_u_f32_e32 vcc_lo, v2, v2
	v_and_b32_e32 v5, 0xffff0000, v5
	v_lshlrev_b32_e32 v102, 16, v102
	v_lshlrev_b32_e32 v93, 16, v93
	v_add3_u32 v88, v88, v3, 0x7fff
	s_wait_alu 0xfffd
	v_cndmask_b32_e32 v2, v89, v90, vcc_lo
	v_cmp_u_f32_e32 vcc_lo, v3, v3
	v_bfe_u32 v89, v4, 16, 1
	v_lshlrev_b32_e32 v75, 16, v75
	v_lshlrev_b32_e32 v71, 16, v71
	v_and_b32_e32 v2, 0xffff0000, v2
	s_wait_alu 0xfffd
	v_cndmask_b32_e32 v88, v88, v91, vcc_lo
	v_mul_f32_e32 v6, v1, v6
	v_add3_u32 v89, v89, v4, 0x7fff
	v_or_b32_e32 v91, 0x400000, v4
	v_cmp_u_f32_e32 vcc_lo, v4, v4
	v_lshlrev_b32_e32 v117, 16, v117
	v_bfe_u32 v3, v6, 16, 1
	v_or_b32_e32 v95, 0x400000, v6
	v_lshlrev_b32_e32 v63, 16, v63
	s_wait_alu 0xfffd
	v_cndmask_b32_e32 v4, v89, v91, vcc_lo
	v_cmp_u_f32_e32 vcc_lo, v6, v6
	v_add3_u32 v92, v3, v6, 0x7fff
	v_and_b32_e32 v3, 0xffff0000, v8
	v_lshlrev_b32_e32 v8, 16, v166
	v_lshlrev_b32_e32 v123, 16, v123
	;; [unrolled: 1-line block ×3, first 2 shown]
	s_wait_alu 0xfffd
	v_cndmask_b32_e32 v89, v92, v95, vcc_lo
	v_dual_mul_f32 v92, v3, v8 :: v_dual_lshlrev_b32 v47, 16, v47
	v_lshlrev_b32_e32 v8, 16, v164
	v_lshlrev_b32_e32 v90, 16, v167
	s_delay_alu instid0(VALU_DEP_4)
	v_and_b32_e32 v89, 0xffff0000, v89
	v_and_b32_e32 v4, 0xffff0000, v4
	;; [unrolled: 1-line block ×3, first 2 shown]
	v_lshlrev_b32_e32 v7, 16, v165
	v_dual_mul_f32 v165, v2, v8 :: v_dual_mul_f32 v90, v5, v90
	v_bfe_u32 v164, v92, 16, 1
	v_and_b32_e32 v8, 0xffff0000, v87
	s_delay_alu instid0(VALU_DEP_4) | instskip(NEXT) | instid1(VALU_DEP_4)
	v_mul_f32_e32 v7, v6, v7
	v_bfe_u32 v166, v165, 16, 1
	v_bfe_u32 v91, v90, 16, 1
	v_or_b32_e32 v95, 0x400000, v90
	v_cmp_u_f32_e32 vcc_lo, v90, v90
	v_lshlrev_b32_e32 v39, 16, v39
	v_lshlrev_b32_e32 v13, 16, v13
	v_add3_u32 v91, v91, v90, 0x7fff
	v_lshlrev_b32_e32 v112, 16, v112
	v_lshlrev_b32_e32 v104, 16, v104
	;; [unrolled: 1-line block ×3, first 2 shown]
	s_wait_alu 0xfffd
	v_dual_cndmask_b32 v90, v91, v95 :: v_dual_lshlrev_b32 v97, 16, v97
	v_add3_u32 v91, v164, v92, 0x7fff
	v_or_b32_e32 v95, 0x400000, v92
	v_bfe_u32 v164, v7, 16, 1
	v_cmp_u_f32_e32 vcc_lo, v92, v92
	v_mul_f32_e32 v84, v3, v84
	v_lshlrev_b32_e32 v62, 16, v62
	v_lshlrev_b32_e32 v73, 16, v73
	v_add3_u32 v92, v164, v7, 0x7fff
	s_wait_alu 0xfffd
	v_cndmask_b32_e32 v91, v91, v95, vcc_lo
	v_or_b32_e32 v95, 0x400000, v7
	v_cmp_u_f32_e32 vcc_lo, v7, v7
	v_and_b32_e32 v7, 0xffff0000, v88
	v_and_b32_e32 v90, 0xffff0000, v90
	;; [unrolled: 1-line block ×3, first 2 shown]
	v_or_b32_e32 v164, 0x400000, v165
	s_wait_alu 0xfffd
	v_cndmask_b32_e32 v92, v92, v95, vcc_lo
	v_cmp_u_f32_e32 vcc_lo, v165, v165
	v_lshlrev_b32_e32 v87, 16, v163
	v_add3_u32 v163, v166, v165, 0x7fff
	s_delay_alu instid0(VALU_DEP_4) | instskip(SKIP_3) | instid1(VALU_DEP_4)
	v_dual_add_f32 v89, v90, v89 :: v_dual_and_b32 v92, 0xffff0000, v92
	v_mul_f32_e32 v121, v7, v121
	v_dual_mul_f32 v102, v7, v102 :: v_dual_lshlrev_b32 v111, 16, v111
	v_lshlrev_b32_e32 v114, 16, v114
	v_dual_add_f32 v90, v92, v91 :: v_dual_lshlrev_b32 v91, 16, v160
	s_delay_alu instid0(VALU_DEP_3) | instskip(SKIP_1) | instid1(VALU_DEP_3)
	v_mul_f32_e32 v111, v4, v111
	v_dual_mul_f32 v93, v7, v93 :: v_dual_lshlrev_b32 v72, 16, v72
	v_add_f32_e32 v89, v90, v89
	s_wait_alu 0xfffd
	v_dual_mul_f32 v95, v4, v162 :: v_dual_cndmask_b32 v162, v163, v164
	v_mul_f32_e32 v87, v8, v87
	v_mul_f32_e32 v90, v1, v91
	v_lshlrev_b32_e32 v91, 16, v159
	s_delay_alu instid0(VALU_DEP_4)
	v_bfe_u32 v165, v95, 16, 1
	v_and_b32_e32 v92, 0xffff0000, v162
	v_bfe_u32 v166, v87, 16, 1
	v_or_b32_e32 v164, 0x400000, v87
	v_cmp_u_f32_e32 vcc_lo, v87, v87
	v_dual_mul_f32 v72, v4, v72 :: v_dual_lshlrev_b32 v79, 16, v79
	s_delay_alu instid0(VALU_DEP_4) | instskip(SKIP_1) | instid1(VALU_DEP_3)
	v_add3_u32 v163, v166, v87, 0x7fff
	v_dual_mul_f32 v75, v6, v75 :: v_dual_lshlrev_b32 v74, 16, v74
	v_mul_f32_e32 v79, v7, v79
	v_lshlrev_b32_e32 v81, 16, v81
	s_wait_alu 0xfffd
	v_cndmask_b32_e32 v87, v163, v164, vcc_lo
	v_or_b32_e32 v163, 0x400000, v95
	v_cmp_u_f32_e32 vcc_lo, v95, v95
	v_lshlrev_b32_e32 v149, 16, v149
	v_mul_f32_e32 v123, v8, v123
	v_and_b32_e32 v87, 0xffff0000, v87
	v_lshlrev_b32_e32 v88, 16, v161
	v_add3_u32 v161, v165, v95, 0x7fff
	v_lshlrev_b32_e32 v76, 16, v76
	v_lshlrev_b32_e32 v83, 16, v83
	v_add_f32_e32 v87, v87, v92
	s_wait_alu 0xfffd
	v_dual_mul_f32 v88, v7, v88 :: v_dual_cndmask_b32 v95, v161, v163
	v_dual_mul_f32 v74, v2, v74 :: v_dual_mul_f32 v81, v8, v81
	s_delay_alu instid0(VALU_DEP_3) | instskip(NEXT) | instid1(VALU_DEP_3)
	v_add_f32_e32 v87, v87, v89
	v_bfe_u32 v161, v88, 16, 1
	v_cmp_u_f32_e32 vcc_lo, v88, v88
	v_mul_f32_e32 v89, v5, v91
	v_lshlrev_b32_e32 v91, 16, v158
	v_bfe_u32 v92, v90, 16, 1
	v_add3_u32 v160, v161, v88, 0x7fff
	v_or_b32_e32 v161, 0x400000, v88
	v_or_b32_e32 v158, 0x400000, v90
	v_bfe_u32 v159, v89, 16, 1
	v_add3_u32 v92, v92, v90, 0x7fff
	s_wait_alu 0xfffd
	v_dual_mul_f32 v91, v3, v91 :: v_dual_cndmask_b32 v88, v160, v161
	v_cmp_u_f32_e32 vcc_lo, v90, v90
	v_lshlrev_b32_e32 v78, 16, v78
	v_mul_f32_e32 v76, v3, v76
	v_lshlrev_b32_e32 v154, 16, v154
	s_wait_alu 0xfffd
	v_dual_cndmask_b32 v90, v92, v158 :: v_dual_lshlrev_b32 v153, 16, v153
	v_add3_u32 v92, v159, v89, 0x7fff
	v_or_b32_e32 v158, 0x400000, v89
	v_cmp_u_f32_e32 vcc_lo, v89, v89
	v_lshlrev_b32_e32 v156, 16, v156
	v_bfe_u32 v159, v91, 16, 1
	v_dual_mul_f32 v154, v4, v154 :: v_dual_mul_f32 v153, v7, v153
	v_and_b32_e32 v90, 0xffff0000, v90
	s_wait_alu 0xfffd
	v_cndmask_b32_e32 v89, v92, v158, vcc_lo
	v_dual_mul_f32 v156, v2, v156 :: v_dual_lshlrev_b32 v157, 16, v157
	v_and_b32_e32 v88, 0xffff0000, v88
	v_add3_u32 v92, v159, v91, 0x7fff
	v_or_b32_e32 v158, 0x400000, v91
	s_delay_alu instid0(VALU_DEP_4)
	v_mul_f32_e32 v157, v6, v157
	v_cmp_u_f32_e32 vcc_lo, v91, v91
	v_bfe_u32 v162, v153, 16, 1
	v_bfe_u32 v161, v154, 16, 1
	v_mul_f32_e32 v83, v6, v83
	v_bfe_u32 v159, v157, 16, 1
	s_wait_alu 0xfffd
	v_cndmask_b32_e32 v91, v92, v158, vcc_lo
	v_or_b32_e32 v158, 0x400000, v157
	v_cmp_u_f32_e32 vcc_lo, v157, v157
	v_mul_f32_e32 v71, v7, v71
	v_add3_u32 v92, v159, v157, 0x7fff
	v_lshlrev_b32_e32 v155, 16, v155
	v_bfe_u32 v159, v156, 16, 1
	v_lshlrev_b32_e32 v68, 16, v68
	v_mul_f32_e32 v62, v1, v62
	s_wait_alu 0xfffd
	v_cndmask_b32_e32 v92, v92, v158, vcc_lo
	v_mul_f32_e32 v155, v8, v155
	v_add3_u32 v158, v159, v156, 0x7fff
	v_or_b32_e32 v159, 0x400000, v156
	v_cmp_u_f32_e32 vcc_lo, v156, v156
	v_mul_f32_e32 v73, v8, v73
	v_bfe_u32 v157, v155, 16, 1
	v_or_b32_e32 v160, 0x400000, v155
	s_wait_alu 0xfffd
	v_dual_cndmask_b32 v156, v158, v159 :: v_dual_lshlrev_b32 v57, 16, v57
	v_cmp_u_f32_e32 vcc_lo, v155, v155
	v_add3_u32 v157, v157, v155, 0x7fff
	v_add3_u32 v158, v162, v153, 0x7fff
	v_or_b32_e32 v159, 0x400000, v153
	v_and_b32_e32 v92, 0xffff0000, v92
	v_and_b32_e32 v91, 0xffff0000, v91
	s_wait_alu 0xfffd
	v_cndmask_b32_e32 v155, v157, v160, vcc_lo
	v_cmp_u_f32_e32 vcc_lo, v153, v153
	v_add3_u32 v157, v161, v154, 0x7fff
	v_or_b32_e32 v160, 0x400000, v154
	v_dual_mul_f32 v57, v8, v57 :: v_dual_lshlrev_b32 v42, 16, v42
	s_wait_alu 0xfffd
	v_cndmask_b32_e32 v153, v158, v159, vcc_lo
	v_cmp_u_f32_e32 vcc_lo, v154, v154
	v_and_b32_e32 v89, 0xffff0000, v89
	v_dual_mul_f32 v55, v7, v55 :: v_dual_lshlrev_b32 v146, 16, v146
	s_wait_alu 0xfffd
	v_dual_cndmask_b32 v154, v157, v160 :: v_dual_lshlrev_b32 v49, 16, v49
	s_delay_alu instid0(VALU_DEP_3) | instskip(SKIP_3) | instid1(VALU_DEP_4)
	v_dual_add_f32 v89, v89, v90 :: v_dual_add_f32 v90, v92, v91
	v_and_b32_e32 v91, 0xffff0000, v155
	v_and_b32_e32 v92, 0xffff0000, v156
	v_dual_mul_f32 v146, v4, v146 :: v_dual_and_b32 v95, 0xffff0000, v95
	v_add_f32_e32 v89, v90, v89
	v_mul_f32_e32 v47, v7, v47
	s_delay_alu instid0(VALU_DEP_4) | instskip(NEXT) | instid1(VALU_DEP_4)
	v_dual_add_f32 v90, v91, v92 :: v_dual_and_b32 v91, 0xffff0000, v153
	v_add_f32_e32 v88, v88, v95
	v_and_b32_e32 v92, 0xffff0000, v154
	s_delay_alu instid0(VALU_DEP_3) | instskip(SKIP_1) | instid1(VALU_DEP_3)
	v_dual_add_f32 v89, v90, v89 :: v_dual_lshlrev_b32 v152, 16, v152
	v_lshlrev_b32_e32 v95, 16, v151
	v_dual_add_f32 v87, v88, v87 :: v_dual_add_f32 v90, v91, v92
	s_delay_alu instid0(VALU_DEP_3) | instskip(NEXT) | instid1(VALU_DEP_3)
	v_dual_mul_f32 v91, v1, v152 :: v_dual_lshlrev_b32 v92, 16, v150
	v_mul_f32_e32 v88, v5, v95
	s_delay_alu instid0(VALU_DEP_3) | instskip(NEXT) | instid1(VALU_DEP_3)
	v_add_f32_e32 v22, v22, v87
	v_dual_add_f32 v89, v90, v89 :: v_dual_mul_f32 v92, v3, v92
	s_delay_alu instid0(VALU_DEP_4) | instskip(NEXT) | instid1(VALU_DEP_4)
	v_bfe_u32 v90, v91, 16, 1
	v_bfe_u32 v87, v88, 16, 1
	v_cmp_u_f32_e32 vcc_lo, v91, v91
	s_delay_alu instid0(VALU_DEP_4)
	v_add_f32_e32 v23, v23, v89
	v_or_b32_e32 v95, 0x400000, v88
	v_add3_u32 v89, v90, v91, 0x7fff
	v_or_b32_e32 v90, 0x400000, v91
	v_add3_u32 v87, v87, v88, 0x7fff
	v_lshlrev_b32_e32 v91, 16, v148
	v_bfe_u32 v150, v146, 16, 1
	s_wait_alu 0xfffd
	v_dual_mul_f32 v140, v2, v140 :: v_dual_cndmask_b32 v89, v89, v90
	v_bfe_u32 v90, v92, 16, 1
	v_cmp_u_f32_e32 vcc_lo, v88, v88
	v_lshlrev_b32_e32 v41, 16, v41
	v_mul_f32_e32 v39, v7, v39
	v_lshlrev_b32_e32 v15, 16, v15
	v_add3_u32 v90, v90, v92, 0x7fff
	s_wait_alu 0xfffd
	v_cndmask_b32_e32 v87, v87, v95, vcc_lo
	v_or_b32_e32 v95, 0x400000, v92
	v_cmp_u_f32_e32 vcc_lo, v92, v92
	v_mul_f32_e32 v92, v8, v147
	v_mul_f32_e32 v88, v6, v149
	;; [unrolled: 1-line block ×3, first 2 shown]
	s_wait_alu 0xfffd
	v_dual_mul_f32 v41, v8, v41 :: v_dual_cndmask_b32 v90, v90, v95
	v_bfe_u32 v149, v92, 16, 1
	v_bfe_u32 v148, v88, 16, 1
	v_or_b32_e32 v147, 0x400000, v88
	v_cmp_u_f32_e32 vcc_lo, v88, v88
	v_and_b32_e32 v90, 0xffff0000, v90
	v_lshlrev_b32_e32 v138, 16, v138
	v_add3_u32 v95, v148, v88, 0x7fff
	v_lshlrev_b32_e32 v51, 16, v51
	v_lshlrev_b32_e32 v45, 16, v45
	s_delay_alu instid0(VALU_DEP_4)
	v_dual_mul_f32 v138, v4, v138 :: v_dual_lshlrev_b32 v43, 16, v43
	s_wait_alu 0xfffd
	v_cndmask_b32_e32 v88, v95, v147, vcc_lo
	v_mul_f32_e32 v91, v2, v91
	v_mul_f32_e32 v51, v6, v51
	;; [unrolled: 1-line block ×3, first 2 shown]
	s_delay_alu instid0(VALU_DEP_4) | instskip(NEXT) | instid1(VALU_DEP_4)
	v_dual_mul_f32 v43, v6, v43 :: v_dual_and_b32 v88, 0xffff0000, v88
	v_bfe_u32 v148, v91, 16, 1
	v_or_b32_e32 v147, 0x400000, v91
	v_cmp_u_f32_e32 vcc_lo, v91, v91
	s_delay_alu instid0(VALU_DEP_4) | instskip(NEXT) | instid1(VALU_DEP_4)
	v_dual_add_f32 v88, v88, v90 :: v_dual_lshlrev_b32 v145, 16, v145
	v_add3_u32 v95, v148, v91, 0x7fff
	v_add3_u32 v148, v149, v92, 0x7fff
	v_or_b32_e32 v149, 0x400000, v92
	v_lshlrev_b32_e32 v90, 16, v144
	v_and_b32_e32 v87, 0xffff0000, v87
	s_wait_alu 0xfffd
	v_cndmask_b32_e32 v91, v95, v147, vcc_lo
	v_mul_f32_e32 v95, v7, v145
	v_cmp_u_f32_e32 vcc_lo, v92, v92
	v_add3_u32 v145, v150, v146, 0x7fff
	v_or_b32_e32 v147, 0x400000, v146
	v_and_b32_e32 v91, 0xffff0000, v91
	v_bfe_u32 v144, v138, 16, 1
	s_wait_alu 0xfffd
	v_cndmask_b32_e32 v92, v148, v149, vcc_lo
	v_bfe_u32 v148, v95, 16, 1
	v_cmp_u_f32_e32 vcc_lo, v146, v146
	v_add_nc_u32_e32 v17, 4, v17
	v_add_co_u32 v11, s0, v11, 16
	s_delay_alu instid0(VALU_DEP_4)
	v_add3_u32 v146, v148, v95, 0x7fff
	s_wait_alu 0xfffd
	v_cndmask_b32_e32 v145, v145, v147, vcc_lo
	v_or_b32_e32 v147, 0x400000, v95
	v_cmp_u_f32_e32 vcc_lo, v95, v95
	v_and_b32_e32 v89, 0xffff0000, v89
	v_lshlrev_b32_e32 v132, 16, v132
	v_add_nc_u32_e32 v37, 0x80, v37
	s_wait_alu 0xf1ff
	v_add_co_ci_u32_e64 v12, null, 0, v12, s0
	v_add_f32_e32 v87, v87, v89
	s_wait_alu 0xfffd
	v_dual_cndmask_b32 v92, v146, v147 :: v_dual_and_b32 v89, 0xffff0000, v92
	v_lshlrev_b32_e32 v130, 16, v130
	v_lshlrev_b32_e32 v133, 16, v133
	v_dual_add_f32 v87, v88, v87 :: v_dual_mul_f32 v88, v1, v90
	s_delay_alu instid0(VALU_DEP_4)
	v_add_f32_e32 v89, v89, v91
	v_lshlrev_b32_e32 v90, 16, v143
	v_mul_f32_e32 v130, v4, v130
	v_mul_f32_e32 v124, v2, v124
	v_bfe_u32 v95, v88, 16, 1
	v_add_f32_e32 v87, v89, v87
	v_mul_f32_e32 v89, v5, v90
	v_lshlrev_b32_e32 v90, 16, v142
	v_cmp_u_f32_e32 vcc_lo, v88, v88
	v_and_b32_e32 v91, 0xffff0000, v92
	v_and_b32_e32 v92, 0xffff0000, v145
	v_bfe_u32 v142, v89, 16, 1
	v_mul_f32_e32 v90, v3, v90
	v_lshlrev_b32_e32 v122, 16, v122
	v_lshlrev_b32_e32 v116, 16, v116
	v_add_f32_e32 v91, v91, v92
	v_add3_u32 v92, v95, v88, 0x7fff
	v_or_b32_e32 v95, 0x400000, v88
	v_mul_f32_e32 v122, v4, v122
	v_lshlrev_b32_e32 v110, 16, v110
	v_mul_f32_e32 v104, v8, v104
	v_lshlrev_b32_e32 v106, 16, v106
	s_wait_alu 0xfffd
	v_cndmask_b32_e32 v88, v92, v95, vcc_lo
	v_add3_u32 v92, v142, v89, 0x7fff
	v_or_b32_e32 v95, 0x400000, v89
	v_cmp_u_f32_e32 vcc_lo, v89, v89
	v_bfe_u32 v142, v90, 16, 1
	v_and_b32_e32 v88, 0xffff0000, v88
	v_mul_f32_e32 v106, v6, v106
	s_wait_alu 0xfffd
	v_dual_cndmask_b32 v89, v92, v95 :: v_dual_lshlrev_b32 v96, 16, v96
	v_add3_u32 v92, v142, v90, 0x7fff
	v_or_b32_e32 v95, 0x400000, v90
	v_cmp_u_f32_e32 vcc_lo, v90, v90
	v_lshlrev_b32_e32 v94, 16, v94
	v_and_b32_e32 v89, 0xffff0000, v89
	v_lshlrev_b32_e32 v141, 16, v141
	v_lshlrev_b32_e32 v98, 16, v98
	s_wait_alu 0xfffd
	v_cndmask_b32_e32 v90, v92, v95, vcc_lo
	v_mul_f32_e32 v94, v4, v94
	v_dual_add_f32 v88, v89, v88 :: v_dual_mul_f32 v141, v6, v141
	v_lshlrev_b32_e32 v86, 16, v86
	s_delay_alu instid0(VALU_DEP_4)
	v_and_b32_e32 v90, 0xffff0000, v90
	v_lshlrev_b32_e32 v82, 16, v82
	v_lshlrev_b32_e32 v80, 16, v80
	v_bfe_u32 v142, v141, 16, 1
	v_or_b32_e32 v95, 0x400000, v141
	v_cmp_u_f32_e32 vcc_lo, v141, v141
	v_mul_f32_e32 v86, v1, v86
	v_mul_f32_e32 v82, v2, v82
	v_add3_u32 v92, v142, v141, 0x7fff
	v_bfe_u32 v142, v140, 16, 1
	v_mul_f32_e32 v78, v1, v78
	v_mul_f32_e32 v80, v4, v80
	;; [unrolled: 1-line block ×3, first 2 shown]
	s_wait_alu 0xfffd
	v_cndmask_b32_e32 v92, v92, v95, vcc_lo
	v_add3_u32 v141, v142, v140, 0x7fff
	v_or_b32_e32 v142, 0x400000, v140
	v_cmp_u_f32_e32 vcc_lo, v140, v140
	v_lshlrev_b32_e32 v139, 16, v139
	v_dual_add_f32 v87, v91, v87 :: v_dual_and_b32 v92, 0xffff0000, v92
	v_lshlrev_b32_e32 v64, 16, v64
	s_wait_alu 0xfffd
	s_delay_alu instid0(VALU_DEP_3) | instskip(NEXT) | instid1(VALU_DEP_3)
	v_dual_cndmask_b32 v140, v141, v142 :: v_dual_mul_f32 v139, v8, v139
	v_add_f32_e32 v89, v92, v90
	v_lshlrev_b32_e32 v137, 16, v137
	v_or_b32_e32 v142, 0x400000, v138
	s_delay_alu instid0(VALU_DEP_4)
	v_and_b32_e32 v92, 0xffff0000, v140
	v_bfe_u32 v95, v139, 16, 1
	v_or_b32_e32 v143, 0x400000, v139
	v_cmp_u_f32_e32 vcc_lo, v139, v139
	v_add_f32_e32 v88, v89, v88
	v_add_f32_e32 v24, v24, v87
	v_add3_u32 v95, v95, v139, 0x7fff
	v_add3_u32 v139, v144, v138, 0x7fff
	v_lshlrev_b32_e32 v70, 16, v70
	v_lshlrev_b32_e32 v66, 16, v66
	;; [unrolled: 1-line block ×3, first 2 shown]
	s_wait_alu 0xfffd
	v_cndmask_b32_e32 v95, v95, v143, vcc_lo
	v_dual_mul_f32 v137, v7, v137 :: v_dual_mul_f32 v70, v1, v70
	s_delay_alu instid0(VALU_DEP_3) | instskip(NEXT) | instid1(VALU_DEP_3)
	v_dual_mul_f32 v66, v2, v66 :: v_dual_mul_f32 v77, v5, v77
	v_and_b32_e32 v90, 0xffff0000, v95
	s_delay_alu instid0(VALU_DEP_3)
	v_bfe_u32 v141, v137, 16, 1
	v_or_b32_e32 v143, 0x400000, v137
	v_cmp_u_f32_e32 vcc_lo, v137, v137
	v_mul_f32_e32 v64, v4, v64
	v_add_f32_e32 v89, v90, v92
	v_add3_u32 v141, v141, v137, 0x7fff
	v_lshlrev_b32_e32 v90, 16, v136
	v_lshlrev_b32_e32 v54, 16, v54
	;; [unrolled: 1-line block ×3, first 2 shown]
	s_wait_alu 0xfffd
	v_dual_cndmask_b32 v95, v141, v143 :: v_dual_lshlrev_b32 v58, 16, v58
	v_cmp_u_f32_e32 vcc_lo, v138, v138
	v_dual_mul_f32 v90, v1, v90 :: v_dual_lshlrev_b32 v69, 16, v69
	s_delay_alu instid0(VALU_DEP_3)
	v_mul_f32_e32 v58, v2, v58
	s_wait_alu 0xfffd
	v_dual_cndmask_b32 v137, v139, v142 :: v_dual_and_b32 v92, 0xffff0000, v95
	v_lshlrev_b32_e32 v95, 16, v135
	v_cmp_u_f32_e32 vcc_lo, v90, v90
	v_dual_mul_f32 v69, v5, v69 :: v_dual_lshlrev_b32 v56, 16, v56
	s_delay_alu instid0(VALU_DEP_4) | instskip(SKIP_1) | instid1(VALU_DEP_3)
	v_dual_mul_f32 v54, v1, v54 :: v_dual_and_b32 v135, 0xffff0000, v137
	v_dual_mul_f32 v67, v6, v67 :: v_dual_lshlrev_b32 v52, 16, v52
	v_mul_f32_e32 v56, v4, v56
	s_delay_alu instid0(VALU_DEP_3) | instskip(SKIP_4) | instid1(VALU_DEP_4)
	v_dual_add_f32 v91, v92, v135 :: v_dual_lshlrev_b32 v92, 16, v134
	v_add_f32_e32 v88, v89, v88
	v_mul_f32_e32 v89, v5, v95
	v_bfe_u32 v95, v90, 16, 1
	v_dual_mul_f32 v52, v3, v52 :: v_dual_lshlrev_b32 v65, 16, v65
	v_add_f32_e32 v88, v91, v88
	s_delay_alu instid0(VALU_DEP_4)
	v_bfe_u32 v87, v89, 16, 1
	v_mul_f32_e32 v91, v3, v92
	v_add3_u32 v92, v95, v90, 0x7fff
	v_or_b32_e32 v95, 0x400000, v90
	v_or_b32_e32 v134, 0x400000, v89
	v_add3_u32 v87, v87, v89, 0x7fff
	v_add_f32_e32 v25, v25, v88
	v_dual_mul_f32 v65, v8, v65 :: v_dual_lshlrev_b32 v50, 16, v50
	s_wait_alu 0xfffd
	v_cndmask_b32_e32 v90, v92, v95, vcc_lo
	v_bfe_u32 v135, v91, 16, 1
	v_cmp_u_f32_e32 vcc_lo, v89, v89
	v_or_b32_e32 v95, 0x400000, v91
	s_delay_alu instid0(VALU_DEP_4) | instskip(NEXT) | instid1(VALU_DEP_4)
	v_dual_mul_f32 v89, v6, v133 :: v_dual_and_b32 v90, 0xffff0000, v90
	v_add3_u32 v92, v135, v91, 0x7fff
	s_wait_alu 0xfffd
	v_cndmask_b32_e32 v87, v87, v134, vcc_lo
	v_cmp_u_f32_e32 vcc_lo, v91, v91
	v_bfe_u32 v133, v89, 16, 1
	v_bfe_u32 v135, v130, 16, 1
	v_dual_mul_f32 v63, v7, v63 :: v_dual_mul_f32 v50, v2, v50
	s_wait_alu 0xfffd
	v_dual_cndmask_b32 v91, v92, v95 :: v_dual_mul_f32 v92, v2, v132
	v_mul_f32_e32 v95, v8, v131
	v_add3_u32 v131, v133, v89, 0x7fff
	v_or_b32_e32 v132, 0x400000, v89
	v_cmp_u_f32_e32 vcc_lo, v89, v89
	v_bfe_u32 v133, v92, 16, 1
	v_bfe_u32 v134, v95, 16, 1
	v_and_b32_e32 v91, 0xffff0000, v91
	v_lshlrev_b32_e32 v48, 16, v48
	s_wait_alu 0xfffd
	v_cndmask_b32_e32 v89, v131, v132, vcc_lo
	v_add3_u32 v131, v133, v92, 0x7fff
	v_or_b32_e32 v132, 0x400000, v92
	v_cmp_u_f32_e32 vcc_lo, v92, v92
	v_add3_u32 v133, v134, v95, 0x7fff
	v_or_b32_e32 v134, 0x400000, v95
	v_dual_mul_f32 v48, v4, v48 :: v_dual_and_b32 v89, 0xffff0000, v89
	s_wait_alu 0xfffd
	v_cndmask_b32_e32 v92, v131, v132, vcc_lo
	v_cmp_u_f32_e32 vcc_lo, v95, v95
	v_add3_u32 v131, v135, v130, 0x7fff
	v_or_b32_e32 v132, 0x400000, v130
	v_add_f32_e32 v89, v89, v91
	v_lshlrev_b32_e32 v91, 16, v128
	s_wait_alu 0xfffd
	v_dual_cndmask_b32 v95, v133, v134 :: v_dual_and_b32 v92, 0xffff0000, v92
	v_cmp_u_f32_e32 vcc_lo, v130, v130
	v_dual_mul_f32 v42, v2, v42 :: v_dual_lshlrev_b32 v129, 16, v129
	v_lshlrev_b32_e32 v46, 16, v46
	v_lshlrev_b32_e32 v44, 16, v44
	s_wait_alu 0xfffd
	v_cndmask_b32_e32 v130, v131, v132, vcc_lo
	v_mul_f32_e32 v129, v7, v129
	v_dual_mul_f32 v46, v1, v46 :: v_dual_lshlrev_b32 v61, 16, v61
	v_mul_f32_e32 v44, v3, v44
	v_lshlrev_b32_e32 v40, 16, v40
	s_delay_alu instid0(VALU_DEP_4)
	v_bfe_u32 v131, v129, 16, 1
	v_or_b32_e32 v128, 0x400000, v129
	v_cmp_u_f32_e32 vcc_lo, v129, v129
	v_and_b32_e32 v87, 0xffff0000, v87
	v_mul_f32_e32 v61, v5, v61
	v_dual_mul_f32 v40, v4, v40 :: v_dual_lshlrev_b32 v59, 16, v59
	v_lshlrev_b32_e32 v14, 16, v14
	s_delay_alu instid0(VALU_DEP_4) | instskip(SKIP_3) | instid1(VALU_DEP_4)
	v_dual_add_f32 v87, v87, v90 :: v_dual_and_b32 v90, 0xffff0000, v95
	v_add3_u32 v95, v131, v129, 0x7fff
	v_bfe_u32 v131, v121, 16, 1
	v_bfe_u32 v129, v122, 16, 1
	v_add_f32_e32 v87, v89, v87
	v_dual_mul_f32 v89, v1, v91 :: v_dual_add_f32 v90, v90, v92
	s_wait_alu 0xfffd
	v_dual_cndmask_b32 v92, v95, v128 :: v_dual_lshlrev_b32 v91, 16, v127
	v_or_b32_e32 v128, 0x400000, v123
	s_delay_alu instid0(VALU_DEP_3) | instskip(SKIP_1) | instid1(VALU_DEP_4)
	v_bfe_u32 v95, v89, 16, 1
	v_add_f32_e32 v87, v90, v87
	v_mul_f32_e32 v90, v5, v91
	v_and_b32_e32 v92, 0xffff0000, v92
	v_lshlrev_b32_e32 v91, 16, v126
	v_add3_u32 v95, v95, v89, 0x7fff
	v_or_b32_e32 v126, 0x400000, v89
	v_bfe_u32 v127, v90, 16, 1
	v_cmp_u_f32_e32 vcc_lo, v89, v89
	v_mul_f32_e32 v91, v3, v91
	v_dual_mul_f32 v59, v6, v59 :: v_dual_lshlrev_b32 v0, 16, v0
	s_wait_alu 0xfffd
	v_dual_cndmask_b32 v89, v95, v126 :: v_dual_lshlrev_b32 v16, 16, v16
	v_add3_u32 v95, v127, v90, 0x7fff
	v_or_b32_e32 v126, 0x400000, v90
	v_bfe_u32 v127, v91, 16, 1
	v_cmp_u_f32_e32 vcc_lo, v90, v90
	v_dual_mul_f32 v0, v4, v0 :: v_dual_and_b32 v89, 0xffff0000, v89
	v_add_nc_u32_e32 v38, 0x200, v38
	s_wait_alu 0xfffd
	v_cndmask_b32_e32 v90, v95, v126, vcc_lo
	v_add3_u32 v95, v127, v91, 0x7fff
	v_or_b32_e32 v126, 0x400000, v91
	v_cmp_u_f32_e32 vcc_lo, v91, v91
	s_delay_alu instid0(VALU_DEP_4) | instskip(SKIP_1) | instid1(VALU_DEP_3)
	v_and_b32_e32 v90, 0xffff0000, v90
	s_wait_alu 0xfffd
	v_cndmask_b32_e32 v91, v95, v126, vcc_lo
	s_delay_alu instid0(VALU_DEP_2) | instskip(NEXT) | instid1(VALU_DEP_2)
	v_add_f32_e32 v89, v90, v89
	v_and_b32_e32 v91, 0xffff0000, v91
	v_lshlrev_b32_e32 v125, 16, v125
	s_delay_alu instid0(VALU_DEP_1) | instskip(NEXT) | instid1(VALU_DEP_1)
	v_mul_f32_e32 v125, v6, v125
	v_bfe_u32 v127, v125, 16, 1
	v_or_b32_e32 v126, 0x400000, v125
	v_cmp_u_f32_e32 vcc_lo, v125, v125
	s_delay_alu instid0(VALU_DEP_3) | instskip(SKIP_3) | instid1(VALU_DEP_3)
	v_add3_u32 v95, v127, v125, 0x7fff
	v_bfe_u32 v127, v124, 16, 1
	v_bfe_u32 v125, v123, 16, 1
	s_wait_alu 0xfffd
	v_cndmask_b32_e32 v95, v95, v126, vcc_lo
	s_delay_alu instid0(VALU_DEP_3)
	v_add3_u32 v126, v127, v124, 0x7fff
	v_or_b32_e32 v127, 0x400000, v124
	v_cmp_u_f32_e32 vcc_lo, v124, v124
	v_add3_u32 v125, v125, v123, 0x7fff
	v_and_b32_e32 v95, 0xffff0000, v95
	s_wait_alu 0xfffd
	v_cndmask_b32_e32 v124, v126, v127, vcc_lo
	v_cmp_u_f32_e32 vcc_lo, v123, v123
	v_add3_u32 v126, v131, v121, 0x7fff
	v_or_b32_e32 v127, 0x400000, v121
	s_delay_alu instid0(VALU_DEP_4)
	v_dual_add_f32 v90, v95, v91 :: v_dual_and_b32 v95, 0xffff0000, v124
	s_wait_alu 0xfffd
	v_cndmask_b32_e32 v123, v125, v128, vcc_lo
	v_cmp_u_f32_e32 vcc_lo, v121, v121
	v_add3_u32 v125, v129, v122, 0x7fff
	v_or_b32_e32 v128, 0x400000, v122
	v_add_f32_e32 v89, v90, v89
	v_and_b32_e32 v91, 0xffff0000, v123
	s_wait_alu 0xfffd
	v_cndmask_b32_e32 v121, v126, v127, vcc_lo
	v_cmp_u_f32_e32 vcc_lo, v122, v122
	s_delay_alu instid0(VALU_DEP_3) | instskip(SKIP_1) | instid1(VALU_DEP_3)
	v_dual_add_f32 v90, v91, v95 :: v_dual_and_b32 v123, 0xffff0000, v130
	s_wait_alu 0xfffd
	v_dual_cndmask_b32 v122, v125, v128 :: v_dual_and_b32 v91, 0xffff0000, v121
	s_delay_alu instid0(VALU_DEP_2) | instskip(NEXT) | instid1(VALU_DEP_2)
	v_dual_add_f32 v92, v92, v123 :: v_dual_add_f32 v89, v90, v89
	v_and_b32_e32 v95, 0xffff0000, v122
	s_delay_alu instid0(VALU_DEP_2) | instskip(NEXT) | instid1(VALU_DEP_2)
	v_dual_add_f32 v87, v92, v87 :: v_dual_mul_f32 v92, v5, v116
	v_dual_add_f32 v90, v91, v95 :: v_dual_mul_f32 v91, v1, v117
	s_delay_alu instid0(VALU_DEP_2) | instskip(NEXT) | instid1(VALU_DEP_3)
	v_add_f32_e32 v26, v26, v87
	v_bfe_u32 v87, v92, 16, 1
	v_or_b32_e32 v95, 0x400000, v92
	s_delay_alu instid0(VALU_DEP_4)
	v_add_f32_e32 v88, v90, v89
	v_bfe_u32 v89, v91, 16, 1
	v_lshlrev_b32_e32 v90, 16, v115
	v_cmp_u_f32_e32 vcc_lo, v91, v91
	v_add3_u32 v87, v87, v92, 0x7fff
	v_add_f32_e32 v27, v27, v88
	v_add3_u32 v88, v89, v91, 0x7fff
	v_or_b32_e32 v89, 0x400000, v91
	v_mul_f32_e32 v90, v3, v90
	v_mul_f32_e32 v91, v6, v114
	v_bfe_u32 v115, v111, 16, 1
	s_wait_alu 0xfffd
	v_cndmask_b32_e32 v88, v88, v89, vcc_lo
	v_bfe_u32 v89, v90, 16, 1
	v_cmp_u_f32_e32 vcc_lo, v92, v92
	v_lshlrev_b32_e32 v92, 16, v113
	v_bfe_u32 v113, v91, 16, 1
	v_and_b32_e32 v88, 0xffff0000, v88
	v_add3_u32 v89, v89, v90, 0x7fff
	s_wait_alu 0xfffd
	v_cndmask_b32_e32 v87, v87, v95, vcc_lo
	v_or_b32_e32 v95, 0x400000, v90
	v_mul_f32_e32 v92, v2, v92
	v_cmp_u_f32_e32 vcc_lo, v90, v90
	v_mul_f32_e32 v90, v8, v112
	v_or_b32_e32 v112, 0x400000, v91
	v_and_b32_e32 v87, 0xffff0000, v87
	s_wait_alu 0xfffd
	v_cndmask_b32_e32 v89, v89, v95, vcc_lo
	v_add3_u32 v95, v113, v91, 0x7fff
	v_bfe_u32 v113, v92, 16, 1
	v_cmp_u_f32_e32 vcc_lo, v91, v91
	v_bfe_u32 v114, v90, 16, 1
	v_and_b32_e32 v89, 0xffff0000, v89
	v_add_f32_e32 v87, v87, v88
	s_wait_alu 0xfffd
	v_cndmask_b32_e32 v91, v95, v112, vcc_lo
	v_add3_u32 v95, v113, v92, 0x7fff
	v_or_b32_e32 v112, 0x400000, v92
	v_cmp_u_f32_e32 vcc_lo, v92, v92
	v_add3_u32 v113, v114, v90, 0x7fff
	v_or_b32_e32 v114, 0x400000, v90
	s_wait_alu 0xfffd
	v_dual_cndmask_b32 v92, v95, v112 :: v_dual_and_b32 v91, 0xffff0000, v91
	v_mul_f32_e32 v95, v7, v110
	v_cmp_u_f32_e32 vcc_lo, v90, v90
	v_add3_u32 v110, v115, v111, 0x7fff
	v_or_b32_e32 v112, 0x400000, v111
	v_dual_add_f32 v88, v91, v89 :: v_dual_and_b32 v91, 0xffff0000, v92
	s_wait_alu 0xfffd
	v_cndmask_b32_e32 v90, v113, v114, vcc_lo
	v_bfe_u32 v113, v95, 16, 1
	v_cmp_u_f32_e32 vcc_lo, v111, v111
	v_add_f32_e32 v87, v88, v87
	v_mul_f32_e32 v7, v7, v13
	v_and_b32_e32 v89, 0xffff0000, v90
	v_add3_u32 v111, v113, v95, 0x7fff
	s_wait_alu 0xfffd
	v_cndmask_b32_e32 v110, v110, v112, vcc_lo
	v_or_b32_e32 v112, 0x400000, v95
	v_lshlrev_b32_e32 v90, 16, v109
	v_cmp_u_f32_e32 vcc_lo, v95, v95
	v_add_f32_e32 v89, v89, v91
	s_delay_alu instid0(VALU_DEP_3) | instskip(SKIP_2) | instid1(VALU_DEP_3)
	v_mul_f32_e32 v88, v1, v90
	s_wait_alu 0xfffd
	v_cndmask_b32_e32 v92, v111, v112, vcc_lo
	v_dual_add_f32 v87, v89, v87 :: v_dual_lshlrev_b32 v90, 16, v108
	v_or_b32_e32 v108, 0x400000, v104
	v_bfe_u32 v95, v88, 16, 1
	s_delay_alu instid0(VALU_DEP_4) | instskip(SKIP_3) | instid1(VALU_DEP_3)
	v_and_b32_e32 v91, 0xffff0000, v92
	v_and_b32_e32 v92, 0xffff0000, v110
	v_dual_mul_f32 v89, v5, v90 :: v_dual_lshlrev_b32 v90, 16, v107
	v_cmp_u_f32_e32 vcc_lo, v88, v88
	v_add_f32_e32 v91, v91, v92
	v_add3_u32 v92, v95, v88, 0x7fff
	v_or_b32_e32 v95, 0x400000, v88
	v_bfe_u32 v107, v89, 16, 1
	v_mul_f32_e32 v90, v3, v90
	s_wait_alu 0xfffd
	s_delay_alu instid0(VALU_DEP_3) | instskip(NEXT) | instid1(VALU_DEP_3)
	v_cndmask_b32_e32 v88, v92, v95, vcc_lo
	v_add3_u32 v92, v107, v89, 0x7fff
	v_or_b32_e32 v95, 0x400000, v89
	v_bfe_u32 v107, v90, 16, 1
	v_cmp_u_f32_e32 vcc_lo, v89, v89
	s_wait_alu 0xfffd
	s_delay_alu instid0(VALU_DEP_3) | instskip(NEXT) | instid1(VALU_DEP_3)
	v_dual_cndmask_b32 v89, v92, v95 :: v_dual_and_b32 v88, 0xffff0000, v88
	v_add3_u32 v92, v107, v90, 0x7fff
	v_or_b32_e32 v95, 0x400000, v90
	v_bfe_u32 v107, v106, 16, 1
	v_cmp_u_f32_e32 vcc_lo, v90, v90
	s_wait_alu 0xfffd
	s_delay_alu instid0(VALU_DEP_3) | instskip(NEXT) | instid1(VALU_DEP_3)
	v_dual_cndmask_b32 v90, v92, v95 :: v_dual_and_b32 v89, 0xffff0000, v89
	v_add3_u32 v92, v107, v106, 0x7fff
	v_or_b32_e32 v95, 0x400000, v106
	v_cmp_u_f32_e32 vcc_lo, v106, v106
	s_delay_alu instid0(VALU_DEP_4) | instskip(SKIP_4) | instid1(VALU_DEP_2)
	v_add_f32_e32 v88, v89, v88
	v_and_b32_e32 v90, 0xffff0000, v90
	s_wait_alu 0xfffd
	v_cndmask_b32_e32 v92, v92, v95, vcc_lo
	v_bfe_u32 v95, v104, 16, 1
	v_and_b32_e32 v92, 0xffff0000, v92
	s_delay_alu instid0(VALU_DEP_2) | instskip(NEXT) | instid1(VALU_DEP_2)
	v_add3_u32 v95, v95, v104, 0x7fff
	v_add_f32_e32 v89, v92, v90
	s_delay_alu instid0(VALU_DEP_1) | instskip(NEXT) | instid1(VALU_DEP_1)
	v_dual_add_f32 v88, v89, v88 :: v_dual_lshlrev_b32 v105, 16, v105
	v_mul_f32_e32 v105, v2, v105
	s_delay_alu instid0(VALU_DEP_1) | instskip(SKIP_1) | instid1(VALU_DEP_2)
	v_bfe_u32 v107, v105, 16, 1
	v_cmp_u_f32_e32 vcc_lo, v105, v105
	v_add3_u32 v106, v107, v105, 0x7fff
	v_or_b32_e32 v107, 0x400000, v105
	s_wait_alu 0xfffd
	s_delay_alu instid0(VALU_DEP_1) | instskip(SKIP_3) | instid1(VALU_DEP_3)
	v_cndmask_b32_e32 v105, v106, v107, vcc_lo
	v_cmp_u_f32_e32 vcc_lo, v104, v104
	v_bfe_u32 v106, v102, 16, 1
	s_wait_alu 0xfffd
	v_dual_cndmask_b32 v95, v95, v108 :: v_dual_and_b32 v92, 0xffff0000, v105
	s_delay_alu instid0(VALU_DEP_2) | instskip(SKIP_3) | instid1(VALU_DEP_2)
	v_add3_u32 v106, v106, v102, 0x7fff
	v_or_b32_e32 v108, 0x400000, v102
	v_cmp_u_f32_e32 vcc_lo, v102, v102
	s_wait_alu 0xfffd
	v_dual_cndmask_b32 v95, v106, v108 :: v_dual_and_b32 v90, 0xffff0000, v95
	s_delay_alu instid0(VALU_DEP_1) | instskip(NEXT) | instid1(VALU_DEP_2)
	v_dual_add_f32 v89, v90, v92 :: v_dual_lshlrev_b32 v90, 16, v101
	v_and_b32_e32 v92, 0xffff0000, v95
	v_lshlrev_b32_e32 v95, 16, v100
	s_delay_alu instid0(VALU_DEP_3) | instskip(NEXT) | instid1(VALU_DEP_4)
	v_dual_add_f32 v88, v89, v88 :: v_dual_lshlrev_b32 v103, 16, v103
	v_dual_mul_f32 v90, v1, v90 :: v_dual_add_f32 v87, v91, v87
	s_delay_alu instid0(VALU_DEP_3) | instskip(NEXT) | instid1(VALU_DEP_3)
	v_mul_f32_e32 v89, v5, v95
	v_mul_f32_e32 v103, v4, v103
	s_delay_alu instid0(VALU_DEP_3) | instskip(NEXT) | instid1(VALU_DEP_2)
	v_bfe_u32 v95, v90, 16, 1
	v_bfe_u32 v109, v103, 16, 1
	v_or_b32_e32 v107, 0x400000, v103
	v_cmp_u_f32_e32 vcc_lo, v103, v103
	s_delay_alu instid0(VALU_DEP_3) | instskip(SKIP_1) | instid1(VALU_DEP_1)
	v_add3_u32 v104, v109, v103, 0x7fff
	s_wait_alu 0xfffd
	v_cndmask_b32_e32 v102, v104, v107, vcc_lo
	v_cmp_u_f32_e32 vcc_lo, v90, v90
	s_delay_alu instid0(VALU_DEP_2) | instskip(NEXT) | instid1(VALU_DEP_1)
	v_and_b32_e32 v100, 0xffff0000, v102
	v_dual_add_f32 v91, v92, v100 :: v_dual_lshlrev_b32 v92, 16, v99
	v_or_b32_e32 v99, 0x400000, v89
	s_delay_alu instid0(VALU_DEP_2) | instskip(NEXT) | instid1(VALU_DEP_3)
	v_add_f32_e32 v88, v91, v88
	v_mul_f32_e32 v91, v3, v92
	v_add3_u32 v92, v95, v90, 0x7fff
	v_or_b32_e32 v95, 0x400000, v90
	s_delay_alu instid0(VALU_DEP_3) | instskip(SKIP_1) | instid1(VALU_DEP_2)
	v_bfe_u32 v100, v91, 16, 1
	s_wait_alu 0xfffd
	v_cndmask_b32_e32 v90, v92, v95, vcc_lo
	v_cmp_u_f32_e32 vcc_lo, v89, v89
	v_or_b32_e32 v95, 0x400000, v91
	v_add3_u32 v92, v100, v91, 0x7fff
	v_bfe_u32 v100, v94, 16, 1
	v_and_b32_e32 v90, 0xffff0000, v90
	v_add_f32_e32 v28, v28, v87
	v_bfe_u32 v87, v89, 16, 1
	s_delay_alu instid0(VALU_DEP_1) | instskip(SKIP_2) | instid1(VALU_DEP_2)
	v_add3_u32 v87, v87, v89, 0x7fff
	v_mul_f32_e32 v89, v6, v98
	s_wait_alu 0xfffd
	v_cndmask_b32_e32 v87, v87, v99, vcc_lo
	v_cmp_u_f32_e32 vcc_lo, v91, v91
	s_delay_alu instid0(VALU_DEP_3) | instskip(NEXT) | instid1(VALU_DEP_3)
	v_bfe_u32 v98, v89, 16, 1
	v_and_b32_e32 v87, 0xffff0000, v87
	s_wait_alu 0xfffd
	v_dual_cndmask_b32 v91, v92, v95 :: v_dual_mul_f32 v92, v2, v97
	v_mul_f32_e32 v95, v8, v96
	v_add3_u32 v96, v98, v89, 0x7fff
	v_or_b32_e32 v97, 0x400000, v89
	v_cmp_u_f32_e32 vcc_lo, v89, v89
	v_bfe_u32 v98, v92, 16, 1
	v_bfe_u32 v99, v95, 16, 1
	v_and_b32_e32 v91, 0xffff0000, v91
	v_add_f32_e32 v87, v87, v90
	s_wait_alu 0xfffd
	v_cndmask_b32_e32 v89, v96, v97, vcc_lo
	v_add3_u32 v96, v98, v92, 0x7fff
	v_or_b32_e32 v97, 0x400000, v92
	v_cmp_u_f32_e32 vcc_lo, v92, v92
	v_add3_u32 v98, v99, v95, 0x7fff
	v_or_b32_e32 v99, 0x400000, v95
	v_dual_mul_f32 v2, v2, v14 :: v_dual_and_b32 v89, 0xffff0000, v89
	s_wait_alu 0xfffd
	v_cndmask_b32_e32 v92, v96, v97, vcc_lo
	v_cmp_u_f32_e32 vcc_lo, v95, v95
	v_add3_u32 v96, v100, v94, 0x7fff
	v_or_b32_e32 v97, 0x400000, v94
	v_add_f32_e32 v89, v89, v91
	v_and_b32_e32 v91, 0xffff0000, v92
	s_wait_alu 0xfffd
	v_cndmask_b32_e32 v95, v98, v99, vcc_lo
	v_cmp_u_f32_e32 vcc_lo, v94, v94
	v_bfe_u32 v14, v2, 16, 1
	v_add_f32_e32 v87, v89, v87
	v_mul_f32_e32 v8, v8, v15
	v_and_b32_e32 v90, 0xffff0000, v95
	s_wait_alu 0xfffd
	v_cndmask_b32_e32 v94, v96, v97, vcc_lo
	v_bfe_u32 v96, v93, 16, 1
	v_or_b32_e32 v95, 0x400000, v93
	v_cmp_u_f32_e32 vcc_lo, v93, v93
	v_add_f32_e32 v89, v90, v91
	v_bfe_u32 v91, v86, 16, 1
	v_add3_u32 v92, v96, v93, 0x7fff
	v_or_b32_e32 v93, 0x400000, v81
	v_bfe_u32 v96, v79, 16, 1
	v_add_f32_e32 v87, v89, v87
	v_add3_u32 v13, v14, v2, 0x7fff
	s_wait_alu 0xfffd
	v_cndmask_b32_e32 v90, v92, v95, vcc_lo
	v_cmp_u_f32_e32 vcc_lo, v86, v86
	v_bfe_u32 v95, v80, 16, 1
	v_or_b32_e32 v14, 0x400000, v2
	v_lshlrev_b32_e32 v53, 16, v53
	v_and_b32_e32 v89, 0xffff0000, v90
	v_lshlrev_b32_e32 v85, 16, v85
	v_add3_u32 v90, v91, v86, 0x7fff
	v_or_b32_e32 v91, 0x400000, v86
	v_mul_f32_e32 v53, v5, v53
	v_or_b32_e32 v4, 0x400000, v8
	s_wait_alu 0xfffd
	s_delay_alu instid0(VALU_DEP_3) | instskip(NEXT) | instid1(VALU_DEP_1)
	v_dual_mul_f32 v85, v5, v85 :: v_dual_cndmask_b32 v86, v90, v91
	v_bfe_u32 v92, v85, 16, 1
	v_or_b32_e32 v91, 0x400000, v85
	v_cmp_u_f32_e32 vcc_lo, v85, v85
	s_delay_alu instid0(VALU_DEP_4) | instskip(NEXT) | instid1(VALU_DEP_4)
	v_and_b32_e32 v86, 0xffff0000, v86
	v_add3_u32 v90, v92, v85, 0x7fff
	v_bfe_u32 v92, v84, 16, 1
	s_wait_alu 0xfffd
	s_delay_alu instid0(VALU_DEP_2) | instskip(NEXT) | instid1(VALU_DEP_2)
	v_cndmask_b32_e32 v85, v90, v91, vcc_lo
	v_add3_u32 v90, v92, v84, 0x7fff
	v_or_b32_e32 v91, 0x400000, v84
	v_bfe_u32 v92, v83, 16, 1
	v_cmp_u_f32_e32 vcc_lo, v84, v84
	s_wait_alu 0xfffd
	s_delay_alu instid0(VALU_DEP_3) | instskip(NEXT) | instid1(VALU_DEP_3)
	v_dual_cndmask_b32 v84, v90, v91 :: v_dual_and_b32 v85, 0xffff0000, v85
	v_add3_u32 v90, v92, v83, 0x7fff
	v_or_b32_e32 v91, 0x400000, v83
	v_bfe_u32 v92, v82, 16, 1
	v_cmp_u_f32_e32 vcc_lo, v83, v83
	v_dual_add_f32 v85, v85, v86 :: v_dual_and_b32 v84, 0xffff0000, v84
	s_wait_alu 0xfffd
	v_cndmask_b32_e32 v83, v90, v91, vcc_lo
	v_bfe_u32 v90, v81, 16, 1
	v_add3_u32 v91, v92, v82, 0x7fff
	v_or_b32_e32 v92, 0x400000, v82
	v_cmp_u_f32_e32 vcc_lo, v82, v82
	v_and_b32_e32 v83, 0xffff0000, v83
	v_add3_u32 v90, v90, v81, 0x7fff
	s_wait_alu 0xfffd
	v_cndmask_b32_e32 v82, v91, v92, vcc_lo
	v_cmp_u_f32_e32 vcc_lo, v81, v81
	v_add3_u32 v91, v96, v79, 0x7fff
	v_or_b32_e32 v92, 0x400000, v79
	s_delay_alu instid0(VALU_DEP_4)
	v_dual_add_f32 v83, v83, v84 :: v_dual_and_b32 v82, 0xffff0000, v82
	s_wait_alu 0xfffd
	v_cndmask_b32_e32 v81, v90, v93, vcc_lo
	v_cmp_u_f32_e32 vcc_lo, v79, v79
	v_add3_u32 v90, v95, v80, 0x7fff
	v_or_b32_e32 v93, 0x400000, v80
	v_and_b32_e32 v84, 0xffff0000, v94
	v_and_b32_e32 v81, 0xffff0000, v81
	s_wait_alu 0xfffd
	v_cndmask_b32_e32 v79, v91, v92, vcc_lo
	v_cmp_u_f32_e32 vcc_lo, v80, v80
	v_add_f32_e32 v83, v83, v85
	v_add_f32_e32 v81, v81, v82
	s_wait_alu 0xfffd
	v_dual_cndmask_b32 v80, v90, v93 :: v_dual_and_b32 v79, 0xffff0000, v79
	v_add_f32_e32 v82, v89, v84
	v_cmp_u_f32_e32 vcc_lo, v78, v78
	v_add_f32_e32 v81, v81, v83
	v_bfe_u32 v83, v72, 16, 1
	v_and_b32_e32 v80, 0xffff0000, v80
	s_delay_alu instid0(VALU_DEP_1) | instskip(SKIP_1) | instid1(VALU_DEP_2)
	v_dual_add_f32 v79, v79, v80 :: v_dual_add_f32 v80, v82, v87
	v_or_b32_e32 v82, 0x400000, v77
	v_add_f32_e32 v79, v79, v81
	v_bfe_u32 v81, v78, 16, 1
	s_delay_alu instid0(VALU_DEP_4) | instskip(SKIP_1) | instid1(VALU_DEP_4)
	v_add_f32_e32 v30, v30, v80
	v_bfe_u32 v80, v77, 16, 1
	v_add_f32_e32 v31, v31, v79
	s_delay_alu instid0(VALU_DEP_4) | instskip(SKIP_1) | instid1(VALU_DEP_4)
	v_add3_u32 v79, v81, v78, 0x7fff
	v_or_b32_e32 v81, 0x400000, v78
	v_add3_u32 v80, v80, v77, 0x7fff
	s_wait_alu 0xfffd
	s_delay_alu instid0(VALU_DEP_2) | instskip(SKIP_3) | instid1(VALU_DEP_4)
	v_cndmask_b32_e32 v78, v79, v81, vcc_lo
	v_bfe_u32 v79, v76, 16, 1
	v_cmp_u_f32_e32 vcc_lo, v77, v77
	v_bfe_u32 v81, v75, 16, 1
	v_and_b32_e32 v78, 0xffff0000, v78
	s_delay_alu instid0(VALU_DEP_4)
	v_add3_u32 v79, v79, v76, 0x7fff
	s_wait_alu 0xfffd
	v_cndmask_b32_e32 v77, v80, v82, vcc_lo
	v_or_b32_e32 v80, 0x400000, v76
	v_cmp_u_f32_e32 vcc_lo, v76, v76
	v_bfe_u32 v82, v73, 16, 1
	s_wait_alu 0xfffd
	s_delay_alu instid0(VALU_DEP_3)
	v_dual_cndmask_b32 v76, v79, v80 :: v_dual_and_b32 v77, 0xffff0000, v77
	v_add3_u32 v79, v81, v75, 0x7fff
	v_or_b32_e32 v80, 0x400000, v75
	v_bfe_u32 v81, v74, 16, 1
	v_cmp_u_f32_e32 vcc_lo, v75, v75
	v_dual_add_f32 v77, v77, v78 :: v_dual_and_b32 v76, 0xffff0000, v76
	s_wait_alu 0xfffd
	v_cndmask_b32_e32 v75, v79, v80, vcc_lo
	v_add3_u32 v79, v81, v74, 0x7fff
	v_or_b32_e32 v80, 0x400000, v74
	v_cmp_u_f32_e32 vcc_lo, v74, v74
	v_add3_u32 v81, v82, v73, 0x7fff
	v_or_b32_e32 v82, 0x400000, v73
	s_wait_alu 0xfffd
	v_cndmask_b32_e32 v74, v79, v80, vcc_lo
	v_cmp_u_f32_e32 vcc_lo, v73, v73
	v_add3_u32 v79, v83, v72, 0x7fff
	v_or_b32_e32 v80, 0x400000, v72
	s_delay_alu instid0(VALU_DEP_4)
	v_and_b32_e32 v74, 0xffff0000, v74
	s_wait_alu 0xfffd
	v_cndmask_b32_e32 v73, v81, v82, vcc_lo
	v_bfe_u32 v81, v71, 16, 1
	v_cmp_u_f32_e32 vcc_lo, v72, v72
	s_wait_alu 0xfffd
	s_delay_alu instid0(VALU_DEP_3) | instskip(NEXT) | instid1(VALU_DEP_3)
	v_dual_cndmask_b32 v72, v79, v80 :: v_dual_and_b32 v73, 0xffff0000, v73
	v_add3_u32 v79, v81, v71, 0x7fff
	v_or_b32_e32 v80, 0x400000, v71
	v_cmp_u_f32_e32 vcc_lo, v71, v71
	s_delay_alu instid0(VALU_DEP_4) | instskip(SKIP_4) | instid1(VALU_DEP_2)
	v_dual_add_f32 v73, v73, v74 :: v_dual_and_b32 v72, 0xffff0000, v72
	v_bfe_u32 v74, v70, 16, 1
	s_wait_alu 0xfffd
	v_cndmask_b32_e32 v71, v79, v80, vcc_lo
	v_cmp_u_f32_e32 vcc_lo, v70, v70
	v_and_b32_e32 v71, 0xffff0000, v71
	s_delay_alu instid0(VALU_DEP_1) | instskip(SKIP_3) | instid1(VALU_DEP_3)
	v_add_f32_e32 v71, v71, v72
	v_and_b32_e32 v75, 0xffff0000, v75
	v_add3_u32 v72, v74, v70, 0x7fff
	v_or_b32_e32 v74, 0x400000, v70
	v_add_f32_e32 v75, v75, v76
	v_or_b32_e32 v76, 0x400000, v69
	s_wait_alu 0xfffd
	s_delay_alu instid0(VALU_DEP_3)
	v_cndmask_b32_e32 v70, v72, v74, vcc_lo
	v_bfe_u32 v72, v68, 16, 1
	v_cmp_u_f32_e32 vcc_lo, v69, v69
	v_add_f32_e32 v75, v75, v77
	v_or_b32_e32 v74, 0x400000, v68
	v_bfe_u32 v77, v64, 16, 1
	v_add3_u32 v72, v72, v68, 0x7fff
	s_delay_alu instid0(VALU_DEP_4) | instskip(SKIP_1) | instid1(VALU_DEP_1)
	v_dual_add_f32 v73, v73, v75 :: v_dual_and_b32 v70, 0xffff0000, v70
	v_bfe_u32 v75, v69, 16, 1
	v_add3_u32 v75, v75, v69, 0x7fff
	s_wait_alu 0xfffd
	s_delay_alu instid0(VALU_DEP_1)
	v_cndmask_b32_e32 v69, v75, v76, vcc_lo
	v_bfe_u32 v75, v67, 16, 1
	v_cmp_u_f32_e32 vcc_lo, v68, v68
	v_bfe_u32 v76, v65, 16, 1
	s_wait_alu 0xfffd
	v_dual_cndmask_b32 v68, v72, v74 :: v_dual_and_b32 v69, 0xffff0000, v69
	v_add3_u32 v72, v75, v67, 0x7fff
	v_or_b32_e32 v74, 0x400000, v67
	v_cmp_u_f32_e32 vcc_lo, v67, v67
	v_bfe_u32 v75, v66, 16, 1
	v_dual_add_f32 v69, v69, v70 :: v_dual_and_b32 v68, 0xffff0000, v68
	s_wait_alu 0xfffd
	v_cndmask_b32_e32 v67, v72, v74, vcc_lo
	s_delay_alu instid0(VALU_DEP_3)
	v_add3_u32 v72, v75, v66, 0x7fff
	v_or_b32_e32 v74, 0x400000, v66
	v_cmp_u_f32_e32 vcc_lo, v66, v66
	v_add_f32_e32 v29, v29, v88
	v_add3_u32 v75, v76, v65, 0x7fff
	v_or_b32_e32 v76, 0x400000, v65
	s_wait_alu 0xfffd
	v_dual_cndmask_b32 v66, v72, v74 :: v_dual_and_b32 v67, 0xffff0000, v67
	v_cmp_u_f32_e32 vcc_lo, v65, v65
	v_add3_u32 v72, v77, v64, 0x7fff
	v_or_b32_e32 v74, 0x400000, v64
	s_delay_alu instid0(VALU_DEP_4)
	v_dual_add_f32 v67, v67, v68 :: v_dual_and_b32 v66, 0xffff0000, v66
	s_wait_alu 0xfffd
	v_cndmask_b32_e32 v65, v75, v76, vcc_lo
	v_bfe_u32 v75, v63, 16, 1
	v_cmp_u_f32_e32 vcc_lo, v64, v64
	v_add_f32_e32 v67, v67, v69
	v_bfe_u32 v68, v56, 16, 1
	s_wait_alu 0xfffd
	v_dual_cndmask_b32 v64, v72, v74 :: v_dual_and_b32 v65, 0xffff0000, v65
	v_add3_u32 v72, v75, v63, 0x7fff
	v_or_b32_e32 v74, 0x400000, v63
	v_cmp_u_f32_e32 vcc_lo, v63, v63
	s_delay_alu instid0(VALU_DEP_4) | instskip(SKIP_1) | instid1(VALU_DEP_3)
	v_dual_add_f32 v65, v65, v66 :: v_dual_and_b32 v64, 0xffff0000, v64
	s_wait_alu 0xfffd
	v_dual_add_f32 v66, v71, v73 :: v_dual_cndmask_b32 v63, v72, v74
	s_delay_alu instid0(VALU_DEP_2) | instskip(NEXT) | instid1(VALU_DEP_2)
	v_add_f32_e32 v65, v65, v67
	v_dual_add_f32 v32, v32, v66 :: v_dual_lshlrev_b32 v67, 16, v60
	v_bfe_u32 v66, v61, 16, 1
	s_delay_alu instid0(VALU_DEP_4) | instskip(SKIP_1) | instid1(VALU_DEP_2)
	v_and_b32_e32 v63, 0xffff0000, v63
	v_cmp_u_f32_e32 vcc_lo, v62, v62
	v_add_f32_e32 v63, v63, v64
	v_bfe_u32 v64, v62, 16, 1
	s_delay_alu instid0(VALU_DEP_2) | instskip(NEXT) | instid1(VALU_DEP_2)
	v_add_f32_e32 v60, v63, v65
	v_add3_u32 v63, v64, v62, 0x7fff
	v_or_b32_e32 v64, 0x400000, v62
	v_add3_u32 v65, v66, v61, 0x7fff
	v_mul_f32_e32 v66, v3, v67
	v_or_b32_e32 v67, 0x400000, v61
	v_mul_f32_e32 v3, v3, v16
	s_wait_alu 0xfffd
	v_cndmask_b32_e32 v62, v63, v64, vcc_lo
	v_cmp_u_f32_e32 vcc_lo, v61, v61
	v_bfe_u32 v63, v66, 16, 1
	v_or_b32_e32 v64, 0x400000, v66
	s_delay_alu instid0(VALU_DEP_4)
	v_dual_add_f32 v33, v33, v60 :: v_dual_and_b32 v62, 0xffff0000, v62
	s_wait_alu 0xfffd
	v_cndmask_b32_e32 v61, v65, v67, vcc_lo
	v_add3_u32 v63, v63, v66, 0x7fff
	v_bfe_u32 v65, v59, 16, 1
	v_cmp_u_f32_e32 vcc_lo, v66, v66
	v_bfe_u32 v66, v58, 16, 1
	v_bfe_u32 v67, v57, 16, 1
	v_and_b32_e32 v61, 0xffff0000, v61
	s_wait_alu 0xfffd
	v_cndmask_b32_e32 v63, v63, v64, vcc_lo
	v_add3_u32 v64, v65, v59, 0x7fff
	v_or_b32_e32 v65, 0x400000, v59
	v_cmp_u_f32_e32 vcc_lo, v59, v59
	v_add_f32_e32 v61, v61, v62
	v_and_b32_e32 v63, 0xffff0000, v63
	v_bfe_u32 v62, v52, 16, 1
	s_wait_alu 0xfffd
	v_cndmask_b32_e32 v59, v64, v65, vcc_lo
	v_add3_u32 v64, v66, v58, 0x7fff
	v_or_b32_e32 v65, 0x400000, v58
	v_cmp_u_f32_e32 vcc_lo, v58, v58
	v_add3_u32 v66, v67, v57, 0x7fff
	v_or_b32_e32 v67, 0x400000, v57
	s_wait_alu 0xfffd
	v_dual_cndmask_b32 v58, v64, v65 :: v_dual_and_b32 v59, 0xffff0000, v59
	v_cmp_u_f32_e32 vcc_lo, v57, v57
	v_add3_u32 v64, v68, v56, 0x7fff
	v_or_b32_e32 v65, 0x400000, v56
	s_delay_alu instid0(VALU_DEP_4)
	v_dual_add_f32 v59, v59, v63 :: v_dual_and_b32 v58, 0xffff0000, v58
	s_wait_alu 0xfffd
	v_cndmask_b32_e32 v57, v66, v67, vcc_lo
	v_bfe_u32 v66, v55, 16, 1
	v_cmp_u_f32_e32 vcc_lo, v56, v56
	v_add_f32_e32 v59, v59, v61
	v_or_b32_e32 v61, 0x400000, v53
	v_and_b32_e32 v57, 0xffff0000, v57
	s_wait_alu 0xfffd
	v_cndmask_b32_e32 v56, v64, v65, vcc_lo
	v_add3_u32 v64, v66, v55, 0x7fff
	v_or_b32_e32 v65, 0x400000, v55
	v_cmp_u_f32_e32 vcc_lo, v55, v55
	s_delay_alu instid0(VALU_DEP_4) | instskip(SKIP_3) | instid1(VALU_DEP_3)
	v_dual_add_f32 v57, v57, v58 :: v_dual_and_b32 v56, 0xffff0000, v56
	v_bfe_u32 v58, v54, 16, 1
	s_wait_alu 0xfffd
	v_cndmask_b32_e32 v55, v64, v65, vcc_lo
	v_add_f32_e32 v57, v57, v59
	v_bfe_u32 v59, v53, 16, 1
	v_cmp_u_f32_e32 vcc_lo, v54, v54
	s_delay_alu instid0(VALU_DEP_4) | instskip(NEXT) | instid1(VALU_DEP_3)
	v_and_b32_e32 v55, 0xffff0000, v55
	v_add3_u32 v59, v59, v53, 0x7fff
	s_delay_alu instid0(VALU_DEP_2) | instskip(SKIP_3) | instid1(VALU_DEP_1)
	v_add_f32_e32 v55, v55, v56
	v_add3_u32 v56, v58, v54, 0x7fff
	v_or_b32_e32 v58, 0x400000, v54
	s_wait_alu 0xfffd
	v_cndmask_b32_e32 v54, v56, v58, vcc_lo
	v_cmp_u_f32_e32 vcc_lo, v53, v53
	v_add3_u32 v56, v62, v52, 0x7fff
	v_or_b32_e32 v58, 0x400000, v52
	v_bfe_u32 v62, v48, 16, 1
	s_wait_alu 0xfffd
	v_dual_cndmask_b32 v53, v59, v61 :: v_dual_and_b32 v54, 0xffff0000, v54
	v_bfe_u32 v59, v51, 16, 1
	v_cmp_u_f32_e32 vcc_lo, v52, v52
	v_bfe_u32 v61, v49, 16, 1
	s_wait_alu 0xfffd
	v_dual_cndmask_b32 v52, v56, v58 :: v_dual_and_b32 v53, 0xffff0000, v53
	v_add3_u32 v56, v59, v51, 0x7fff
	v_or_b32_e32 v58, 0x400000, v51
	v_bfe_u32 v59, v50, 16, 1
	v_cmp_u_f32_e32 vcc_lo, v51, v51
	v_dual_add_f32 v53, v53, v54 :: v_dual_and_b32 v52, 0xffff0000, v52
	v_or_b32_e32 v54, 0x400000, v47
	s_wait_alu 0xfffd
	v_cndmask_b32_e32 v51, v56, v58, vcc_lo
	v_add3_u32 v56, v59, v50, 0x7fff
	v_or_b32_e32 v58, 0x400000, v50
	v_cmp_u_f32_e32 vcc_lo, v50, v50
	v_add3_u32 v59, v61, v49, 0x7fff
	v_or_b32_e32 v61, 0x400000, v49
	s_wait_alu 0xfffd
	v_dual_cndmask_b32 v50, v56, v58 :: v_dual_and_b32 v51, 0xffff0000, v51
	v_cmp_u_f32_e32 vcc_lo, v49, v49
	v_add3_u32 v56, v62, v48, 0x7fff
	v_or_b32_e32 v58, 0x400000, v48
	s_delay_alu instid0(VALU_DEP_4) | instskip(SKIP_3) | instid1(VALU_DEP_3)
	v_dual_add_f32 v51, v51, v52 :: v_dual_and_b32 v50, 0xffff0000, v50
	s_wait_alu 0xfffd
	v_cndmask_b32_e32 v49, v59, v61, vcc_lo
	v_cmp_u_f32_e32 vcc_lo, v48, v48
	v_add_f32_e32 v51, v51, v53
	v_or_b32_e32 v53, 0x400000, v44
	s_wait_alu 0xfffd
	v_dual_cndmask_b32 v48, v56, v58 :: v_dual_and_b32 v49, 0xffff0000, v49
	v_bfe_u32 v56, v47, 16, 1
	v_cmp_u_f32_e32 vcc_lo, v47, v47
	s_delay_alu instid0(VALU_DEP_3) | instskip(SKIP_1) | instid1(VALU_DEP_4)
	v_add_f32_e32 v49, v49, v50
	v_bfe_u32 v50, v46, 16, 1
	v_add3_u32 v52, v56, v47, 0x7fff
	s_delay_alu instid0(VALU_DEP_3) | instskip(NEXT) | instid1(VALU_DEP_3)
	v_dual_add_f32 v49, v49, v51 :: v_dual_and_b32 v48, 0xffff0000, v48
	v_add3_u32 v50, v50, v46, 0x7fff
	s_wait_alu 0xfffd
	s_delay_alu instid0(VALU_DEP_3) | instskip(SKIP_3) | instid1(VALU_DEP_4)
	v_cndmask_b32_e32 v47, v52, v54, vcc_lo
	v_or_b32_e32 v51, 0x400000, v46
	v_bfe_u32 v52, v45, 16, 1
	v_cmp_u_f32_e32 vcc_lo, v46, v46
	v_and_b32_e32 v47, 0xffff0000, v47
	s_wait_alu 0xfffd
	v_cndmask_b32_e32 v46, v50, v51, vcc_lo
	v_bfe_u32 v50, v44, 16, 1
	v_add3_u32 v51, v52, v45, 0x7fff
	v_or_b32_e32 v52, 0x400000, v45
	v_cmp_u_f32_e32 vcc_lo, v45, v45
	v_and_b32_e32 v46, 0xffff0000, v46
	v_add3_u32 v50, v50, v44, 0x7fff
	s_wait_alu 0xfffd
	v_cndmask_b32_e32 v45, v51, v52, vcc_lo
	v_bfe_u32 v51, v43, 16, 1
	v_cmp_u_f32_e32 vcc_lo, v44, v44
	v_or_b32_e32 v52, 0x400000, v43
	s_delay_alu instid0(VALU_DEP_4) | instskip(NEXT) | instid1(VALU_DEP_4)
	v_and_b32_e32 v45, 0xffff0000, v45
	v_add3_u32 v51, v51, v43, 0x7fff
	s_wait_alu 0xfffd
	v_cndmask_b32_e32 v44, v50, v53, vcc_lo
	v_bfe_u32 v50, v42, 16, 1
	v_cmp_u_f32_e32 vcc_lo, v43, v43
	v_or_b32_e32 v53, 0x400000, v42
	s_delay_alu instid0(VALU_DEP_4) | instskip(NEXT) | instid1(VALU_DEP_4)
	v_dual_add_f32 v45, v45, v46 :: v_dual_and_b32 v44, 0xffff0000, v44
	v_add3_u32 v50, v50, v42, 0x7fff
	s_wait_alu 0xfffd
	v_cndmask_b32_e32 v43, v51, v52, vcc_lo
	v_bfe_u32 v51, v41, 16, 1
	v_cmp_u_f32_e32 vcc_lo, v42, v42
	v_bfe_u32 v52, v40, 16, 1
	s_wait_alu 0xfffd
	v_dual_cndmask_b32 v42, v50, v53 :: v_dual_and_b32 v43, 0xffff0000, v43
	v_add3_u32 v50, v51, v41, 0x7fff
	v_or_b32_e32 v51, 0x400000, v41
	v_cmp_u_f32_e32 vcc_lo, v41, v41
	v_add3_u32 v52, v52, v40, 0x7fff
	v_or_b32_e32 v53, 0x400000, v40
	v_dual_add_f32 v43, v43, v44 :: v_dual_and_b32 v42, 0xffff0000, v42
	s_wait_alu 0xfffd
	v_cndmask_b32_e32 v41, v50, v51, vcc_lo
	v_cmp_u_f32_e32 vcc_lo, v40, v40
	v_bfe_u32 v50, v39, 16, 1
	v_lshlrev_b32_e32 v44, 16, v119
	v_or_b32_e32 v51, 0x400000, v39
	v_and_b32_e32 v41, 0xffff0000, v41
	s_wait_alu 0xfffd
	v_cndmask_b32_e32 v40, v52, v53, vcc_lo
	v_lshlrev_b32_e32 v52, 16, v120
	v_add3_u32 v50, v50, v39, 0x7fff
	v_cmp_u_f32_e32 vcc_lo, v39, v39
	v_add_f32_e32 v43, v43, v45
	v_add_f32_e32 v41, v41, v42
	v_mul_f32_e32 v5, v5, v52
	v_dual_mul_f32 v1, v1, v44 :: v_dual_lshlrev_b32 v42, 16, v118
	s_wait_alu 0xfffd
	v_cndmask_b32_e32 v39, v50, v51, vcc_lo
	s_delay_alu instid0(VALU_DEP_3) | instskip(NEXT) | instid1(VALU_DEP_3)
	v_bfe_u32 v45, v5, 16, 1
	v_bfe_u32 v46, v1, 16, 1
	v_mul_f32_e32 v6, v6, v42
	v_cmp_u_f32_e32 vcc_lo, v5, v5
	v_and_b32_e32 v39, 0xffff0000, v39
	v_add3_u32 v44, v45, v5, 0x7fff
	v_or_b32_e32 v45, 0x400000, v5
	v_add3_u32 v42, v46, v1, 0x7fff
	s_wait_alu 0xfffd
	s_delay_alu instid0(VALU_DEP_2) | instskip(SKIP_3) | instid1(VALU_DEP_4)
	v_cndmask_b32_e32 v5, v44, v45, vcc_lo
	v_or_b32_e32 v44, 0x400000, v1
	v_bfe_u32 v45, v6, 16, 1
	v_cmp_u_f32_e32 vcc_lo, v1, v1
	v_and_b32_e32 v5, 0xffff0000, v5
	s_delay_alu instid0(VALU_DEP_3)
	v_add3_u32 v16, v45, v6, 0x7fff
	s_wait_alu 0xfffd
	v_cndmask_b32_e32 v1, v42, v44, vcc_lo
	v_or_b32_e32 v42, 0x400000, v6
	v_bfe_u32 v44, v3, 16, 1
	v_cmp_u_f32_e32 vcc_lo, v6, v6
	s_delay_alu instid0(VALU_DEP_4) | instskip(NEXT) | instid1(VALU_DEP_3)
	v_and_b32_e32 v1, 0xffff0000, v1
	v_add3_u32 v15, v44, v3, 0x7fff
	s_wait_alu 0xfffd
	v_cndmask_b32_e32 v6, v16, v42, vcc_lo
	v_or_b32_e32 v16, 0x400000, v3
	v_bfe_u32 v42, v8, 16, 1
	v_cmp_u_f32_e32 vcc_lo, v3, v3
	s_delay_alu instid0(VALU_DEP_4)
	v_dual_add_f32 v1, v5, v1 :: v_dual_and_b32 v6, 0xffff0000, v6
	s_wait_alu 0xfffd
	v_cndmask_b32_e32 v3, v15, v16, vcc_lo
	v_add3_u32 v15, v42, v8, 0x7fff
	v_cmp_u_f32_e32 vcc_lo, v8, v8
	v_bfe_u32 v42, v0, 16, 1
	v_bfe_u32 v16, v7, 16, 1
	s_wait_alu 0xfffd
	v_dual_cndmask_b32 v4, v15, v4 :: v_dual_and_b32 v3, 0xffff0000, v3
	v_cmp_u_f32_e32 vcc_lo, v2, v2
	s_delay_alu instid0(VALU_DEP_3) | instskip(SKIP_1) | instid1(VALU_DEP_4)
	v_add3_u32 v8, v16, v7, 0x7fff
	v_or_b32_e32 v15, 0x400000, v7
	v_dual_add_f32 v3, v6, v3 :: v_dual_and_b32 v4, 0xffff0000, v4
	s_wait_alu 0xfffd
	v_cndmask_b32_e32 v2, v13, v14, vcc_lo
	v_add3_u32 v13, v42, v0, 0x7fff
	v_or_b32_e32 v14, 0x400000, v0
	v_cmp_u_f32_e32 vcc_lo, v0, v0
	v_and_b32_e32 v6, 0xffff0000, v40
	v_dual_add_f32 v1, v3, v1 :: v_dual_and_b32 v2, 0xffff0000, v2
	s_wait_alu 0xfffd
	v_cndmask_b32_e32 v0, v13, v14, vcc_lo
	v_cmp_u_f32_e32 vcc_lo, v7, v7
	s_delay_alu instid0(VALU_DEP_3)
	v_add_f32_e32 v2, v4, v2
	v_add_f32_e32 v4, v47, v48
	;; [unrolled: 1-line block ×3, first 2 shown]
	s_wait_alu 0xfffd
	v_dual_cndmask_b32 v5, v8, v15 :: v_dual_and_b32 v0, 0xffff0000, v0
	v_add_f32_e32 v1, v2, v1
	v_add_f32_e32 v2, v55, v57
	v_cmp_le_i32_e32 vcc_lo, s17, v17
	s_delay_alu instid0(VALU_DEP_4) | instskip(SKIP_1) | instid1(VALU_DEP_4)
	v_and_b32_e32 v3, 0xffff0000, v5
	v_add_f32_e32 v5, v41, v43
	v_add_f32_e32 v35, v35, v2
	s_or_b32 s6, vcc_lo, s6
	s_delay_alu instid0(VALU_DEP_3) | instskip(NEXT) | instid1(VALU_DEP_3)
	v_dual_add_f32 v0, v3, v0 :: v_dual_add_f32 v3, v4, v49
	v_add_f32_e32 v4, v6, v5
	s_delay_alu instid0(VALU_DEP_2) | instskip(NEXT) | instid1(VALU_DEP_3)
	v_add_f32_e32 v0, v0, v1
	v_add_f32_e32 v36, v36, v3
	s_delay_alu instid0(VALU_DEP_3) | instskip(NEXT) | instid1(VALU_DEP_3)
	v_add_f32_e32 v34, v34, v4
	v_add_f32_e32 v21, v21, v0
	s_wait_alu 0xfffe
	s_and_not1_b32 exec_lo, exec_lo, s6
	s_cbranch_execz .LBB364_61
.LBB364_29:                             ; =>This Inner Loop Header: Depth=1
	global_load_b32 v0, v[11:12], off
	s_wait_alu 0xfffe
	v_cmp_eq_u32_e32 vcc_lo, s30, v17
	v_add_nc_u32_e32 v95, -1, v37
	s_wait_loadcnt 0x0
	v_mad_co_i64_i32 v[13:14], null, v0, s3, v[9:10]
	global_load_b64 v[15:16], v[13:14], off
	ds_load_2addr_b64 v[5:8], v38 offset1:1
	ds_load_2addr_b64 v[1:4], v38 offset0:2 offset1:3
	s_wait_loadcnt 0x0
	v_and_b32_e32 v41, 0xff, v16
	v_bfe_u32 v39, v15, 8, 8
	v_bfe_u32 v40, v15, 16, 8
	;; [unrolled: 1-line block ×4, first 2 shown]
	v_cvt_f32_fp8_e32 v41, v41
	v_and_b32_e32 v0, 0xff, v15
	v_cvt_f32_fp8_e32 v39, v39
	v_add_nc_u32_e32 v92, -6, v37
	v_lshrrev_b32_e32 v15, 24, v15
	v_mul_f32_e32 v41, s2, v41
	v_cvt_f32_fp8_e32 v0, v0
	v_add_nc_u32_e32 v87, -7, v37
	v_cvt_f32_fp8_e32 v40, v40
	v_mul_f32_e32 v39, s2, v39
	s_delay_alu instid0(VALU_DEP_4) | instskip(SKIP_1) | instid1(VALU_DEP_4)
	v_dual_mul_f32 v0, s2, v0 :: v_dual_add_nc_u32 v91, -5, v37
	v_cvt_f32_fp8_e32 v15, v15
	v_mul_f32_e32 v40, s2, v40
	s_delay_alu instid0(VALU_DEP_4)
	v_bfe_u32 v46, v39, 16, 1
	v_add_nc_u32_e32 v90, -4, v37
	v_bfe_u32 v44, v0, 16, 1
	v_or_b32_e32 v45, 0x400000, v0
	v_cmp_u_f32_e64 s0, v0, v0
	v_mul_f32_e32 v15, s2, v15
	v_or_b32_e32 v47, 0x400000, v39
	v_add3_u32 v44, v44, v0, 0x7fff
	v_bfe_u32 v48, v40, 16, 1
	v_add3_u32 v46, v46, v39, 0x7fff
	v_cvt_f32_fp8_e32 v42, v42
	v_or_b32_e32 v49, 0x400000, v40
	s_wait_alu 0xf1ff
	v_cndmask_b32_e64 v0, v44, v45, s0
	v_cmp_u_f32_e64 s0, v39, v39
	v_bfe_u32 v50, v15, 16, 1
	v_add3_u32 v48, v48, v40, 0x7fff
	v_dual_mul_f32 v42, s2, v42 :: v_dual_add_nc_u32 v89, -3, v37
	s_wait_alu 0xf1ff
	v_cndmask_b32_e64 v39, v46, v47, s0
	v_cmp_u_f32_e64 s0, v40, v40
	v_lshrrev_b32_e32 v16, 24, v16
	v_cvt_f32_fp8_e32 v43, v43
	v_or_b32_e32 v51, 0x400000, v15
	v_bfe_u32 v52, v41, 16, 1
	v_add3_u32 v50, v50, v15, 0x7fff
	s_wait_alu 0xf1ff
	v_cndmask_b32_e64 v40, v48, v49, s0
	v_cmp_u_f32_e64 s0, v15, v15
	v_dual_mul_f32 v43, s2, v43 :: v_dual_add_nc_u32 v88, -2, v37
	v_cvt_f32_fp8_e32 v16, v16
	v_or_b32_e32 v53, 0x400000, v41
	v_bfe_u32 v54, v42, 16, 1
	v_add3_u32 v52, v52, v41, 0x7fff
	s_wait_alu 0xf1ff
	v_cndmask_b32_e64 v15, v50, v51, s0
	v_cmp_u_f32_e64 s0, v41, v41
	v_mul_f32_e32 v16, s2, v16
	v_or_b32_e32 v55, 0x400000, v42
	v_bfe_u32 v56, v43, 16, 1
	v_add3_u32 v54, v54, v42, 0x7fff
	s_wait_alu 0xf1ff
	v_cndmask_b32_e64 v41, v52, v53, s0
	v_cmp_u_f32_e64 s0, v42, v42
	v_or_b32_e32 v57, 0x400000, v43
	v_bfe_u32 v58, v16, 16, 1
	v_add3_u32 v56, v56, v43, 0x7fff
	v_or_b32_e32 v59, 0x400000, v16
	s_wait_alu 0xf1ff
	v_cndmask_b32_e64 v42, v54, v55, s0
	v_cmp_u_f32_e64 s0, v43, v43
	v_add3_u32 v58, v58, v16, 0x7fff
	v_lshrrev_b32_e32 v45, 16, v0
	v_lshrrev_b32_e32 v46, 16, v39
	;; [unrolled: 1-line block ×3, first 2 shown]
	s_wait_alu 0xf1ff
	v_cndmask_b32_e64 v47, v56, v57, s0
	v_cmp_u_f32_e64 s0, v16, v16
	v_lshrrev_b32_e32 v44, 16, v15
	v_lshrrev_b32_e32 v41, 16, v41
	;; [unrolled: 1-line block ×4, first 2 shown]
	s_wait_alu 0xf1ff
	v_cndmask_b32_e64 v16, v58, v59, s0
	s_delay_alu instid0(VALU_DEP_1)
	v_lshrrev_b32_e32 v40, 16, v16
	s_and_saveexec_b32 s7, vcc_lo
	s_cbranch_execz .LBB364_31
; %bb.30:                               ;   in Loop: Header=BB364_29 Depth=1
	v_cmp_gt_i32_e64 s0, s27, v87
	s_wait_alu 0xf1ff
	s_delay_alu instid0(VALU_DEP_1) | instskip(SKIP_2) | instid1(VALU_DEP_1)
	v_cndmask_b32_e64 v45, 0, v45, s0
	v_cmp_gt_i32_e64 s0, s27, v92
	s_wait_alu 0xf1ff
	v_cndmask_b32_e64 v46, 0, v46, s0
	v_cmp_gt_i32_e64 s0, s27, v91
	s_wait_alu 0xf1ff
	s_delay_alu instid0(VALU_DEP_1) | instskip(SKIP_2) | instid1(VALU_DEP_1)
	v_cndmask_b32_e64 v43, 0, v43, s0
	v_cmp_gt_i32_e64 s0, s27, v90
	s_wait_alu 0xf1ff
	v_cndmask_b32_e64 v44, 0, v44, s0
	v_cmp_gt_i32_e64 s0, s27, v89
	s_wait_alu 0xf1ff
	s_delay_alu instid0(VALU_DEP_1) | instskip(SKIP_2) | instid1(VALU_DEP_1)
	v_cndmask_b32_e64 v41, 0, v41, s0
	v_cmp_gt_i32_e64 s0, s27, v88
	s_wait_alu 0xf1ff
	v_cndmask_b32_e64 v42, 0, v42, s0
	v_cmp_gt_i32_e64 s0, s27, v95
	s_wait_alu 0xf1ff
	s_delay_alu instid0(VALU_DEP_1) | instskip(SKIP_2) | instid1(VALU_DEP_1)
	v_cndmask_b32_e64 v39, 0, v39, s0
	v_cmp_gt_i32_e64 s0, s27, v37
	s_wait_alu 0xf1ff
	v_cndmask_b32_e64 v40, 0, v40, s0
.LBB364_31:                             ;   in Loop: Header=BB364_29 Depth=1
	s_wait_alu 0xfffe
	s_or_b32 exec_lo, exec_lo, s7
	global_load_b64 v[15:16], v[13:14], off offset:256
	s_wait_loadcnt 0x0
	v_bfe_u32 v50, v16, 8, 8
	v_bfe_u32 v47, v15, 8, 8
	;; [unrolled: 1-line block ×4, first 2 shown]
	s_delay_alu instid0(VALU_DEP_4)
	v_cvt_f32_fp8_e32 v50, v50
	v_and_b32_e32 v49, 0xff, v16
	v_cvt_f32_fp8_e32 v47, v47
	v_cvt_f32_fp8_e32 v48, v48
	v_lshrrev_b32_e32 v16, 24, v16
	v_mul_f32_e32 v50, s2, v50
	v_cvt_f32_fp8_e32 v49, v49
	v_and_b32_e32 v0, 0xff, v15
	v_lshrrev_b32_e32 v15, 24, v15
	v_cvt_f32_fp8_e32 v51, v51
	v_cvt_f32_fp8_e32 v16, v16
	v_mul_f32_e32 v49, s2, v49
	v_cvt_f32_fp8_e32 v0, v0
	v_cvt_f32_fp8_e32 v15, v15
	v_dual_mul_f32 v48, s2, v48 :: v_dual_mul_f32 v47, s2, v47
	s_delay_alu instid0(VALU_DEP_4) | instskip(NEXT) | instid1(VALU_DEP_3)
	v_bfe_u32 v60, v49, 16, 1
	v_dual_mul_f32 v0, s2, v0 :: v_dual_mul_f32 v15, s2, v15
	s_delay_alu instid0(VALU_DEP_3) | instskip(NEXT) | instid1(VALU_DEP_4)
	v_bfe_u32 v56, v48, 16, 1
	v_bfe_u32 v54, v47, 16, 1
	v_or_b32_e32 v55, 0x400000, v47
	s_delay_alu instid0(VALU_DEP_4)
	v_bfe_u32 v52, v0, 16, 1
	v_or_b32_e32 v53, 0x400000, v0
	v_cmp_u_f32_e64 s0, v0, v0
	v_add3_u32 v54, v54, v47, 0x7fff
	v_or_b32_e32 v57, 0x400000, v48
	v_add3_u32 v52, v52, v0, 0x7fff
	v_bfe_u32 v58, v15, 16, 1
	v_add3_u32 v56, v56, v48, 0x7fff
	v_or_b32_e32 v59, 0x400000, v15
	v_dual_mul_f32 v51, s2, v51 :: v_dual_mul_f32 v16, s2, v16
	s_wait_alu 0xf1ff
	v_cndmask_b32_e64 v0, v52, v53, s0
	v_cmp_u_f32_e64 s0, v47, v47
	v_add3_u32 v58, v58, v15, 0x7fff
	v_or_b32_e32 v61, 0x400000, v49
	v_bfe_u32 v62, v50, 16, 1
	v_add3_u32 v60, v60, v49, 0x7fff
	s_wait_alu 0xf1ff
	v_cndmask_b32_e64 v47, v54, v55, s0
	v_cmp_u_f32_e64 s0, v48, v48
	v_or_b32_e32 v63, 0x400000, v50
	v_bfe_u32 v64, v51, 16, 1
	v_add3_u32 v62, v62, v50, 0x7fff
	v_or_b32_e32 v65, 0x400000, v51
	s_wait_alu 0xf1ff
	v_cndmask_b32_e64 v48, v56, v57, s0
	v_cmp_u_f32_e64 s0, v15, v15
	v_bfe_u32 v66, v16, 16, 1
	v_add3_u32 v64, v64, v51, 0x7fff
	v_or_b32_e32 v67, 0x400000, v16
	v_lshrrev_b32_e32 v53, 16, v0
	s_wait_alu 0xf1ff
	v_cndmask_b32_e64 v15, v58, v59, s0
	v_cmp_u_f32_e64 s0, v49, v49
	v_add3_u32 v66, v66, v16, 0x7fff
	v_lshrrev_b32_e32 v54, 16, v47
	s_delay_alu instid0(VALU_DEP_4) | instskip(SKIP_3) | instid1(VALU_DEP_2)
	v_lshrrev_b32_e32 v52, 16, v15
	s_wait_alu 0xf1ff
	v_cndmask_b32_e64 v49, v60, v61, s0
	v_cmp_u_f32_e64 s0, v50, v50
	v_lshrrev_b32_e32 v49, 16, v49
	s_wait_alu 0xf1ff
	s_delay_alu instid0(VALU_DEP_2) | instskip(SKIP_2) | instid1(VALU_DEP_3)
	v_cndmask_b32_e64 v50, v62, v63, s0
	v_cmp_u_f32_e64 s0, v51, v51
	v_lshrrev_b32_e32 v51, 16, v48
	v_lshrrev_b32_e32 v50, 16, v50
	s_wait_alu 0xf1ff
	s_delay_alu instid0(VALU_DEP_3) | instskip(SKIP_1) | instid1(VALU_DEP_2)
	v_cndmask_b32_e64 v55, v64, v65, s0
	v_cmp_u_f32_e64 s0, v16, v16
	v_lshrrev_b32_e32 v47, 16, v55
	s_wait_alu 0xf1ff
	s_delay_alu instid0(VALU_DEP_2) | instskip(NEXT) | instid1(VALU_DEP_1)
	v_cndmask_b32_e64 v16, v66, v67, s0
	v_lshrrev_b32_e32 v48, 16, v16
	s_and_saveexec_b32 s7, vcc_lo
	s_cbranch_execz .LBB364_33
; %bb.32:                               ;   in Loop: Header=BB364_29 Depth=1
	v_cmp_gt_i32_e64 s0, s27, v87
	s_wait_alu 0xf1ff
	s_delay_alu instid0(VALU_DEP_1) | instskip(SKIP_2) | instid1(VALU_DEP_1)
	v_cndmask_b32_e64 v53, 0, v53, s0
	v_cmp_gt_i32_e64 s0, s27, v92
	s_wait_alu 0xf1ff
	v_cndmask_b32_e64 v54, 0, v54, s0
	v_cmp_gt_i32_e64 s0, s27, v91
	s_wait_alu 0xf1ff
	s_delay_alu instid0(VALU_DEP_1) | instskip(SKIP_2) | instid1(VALU_DEP_1)
	v_cndmask_b32_e64 v51, 0, v51, s0
	v_cmp_gt_i32_e64 s0, s27, v90
	s_wait_alu 0xf1ff
	v_cndmask_b32_e64 v52, 0, v52, s0
	;; [unrolled: 7-line block ×4, first 2 shown]
.LBB364_33:                             ;   in Loop: Header=BB364_29 Depth=1
	s_wait_alu 0xfffe
	s_or_b32 exec_lo, exec_lo, s7
	global_load_b64 v[15:16], v[13:14], off offset:512
	s_wait_loadcnt 0x0
	v_bfe_u32 v58, v16, 8, 8
	v_bfe_u32 v55, v15, 8, 8
	;; [unrolled: 1-line block ×4, first 2 shown]
	s_delay_alu instid0(VALU_DEP_4)
	v_cvt_f32_fp8_e32 v58, v58
	v_and_b32_e32 v57, 0xff, v16
	v_cvt_f32_fp8_e32 v55, v55
	v_cvt_f32_fp8_e32 v56, v56
	v_lshrrev_b32_e32 v16, 24, v16
	v_mul_f32_e32 v58, s2, v58
	v_cvt_f32_fp8_e32 v57, v57
	v_and_b32_e32 v0, 0xff, v15
	v_lshrrev_b32_e32 v15, 24, v15
	v_cvt_f32_fp8_e32 v59, v59
	v_cvt_f32_fp8_e32 v16, v16
	v_mul_f32_e32 v57, s2, v57
	v_cvt_f32_fp8_e32 v0, v0
	v_cvt_f32_fp8_e32 v15, v15
	v_dual_mul_f32 v56, s2, v56 :: v_dual_mul_f32 v55, s2, v55
	s_delay_alu instid0(VALU_DEP_4) | instskip(NEXT) | instid1(VALU_DEP_3)
	v_bfe_u32 v68, v57, 16, 1
	v_dual_mul_f32 v0, s2, v0 :: v_dual_mul_f32 v15, s2, v15
	s_delay_alu instid0(VALU_DEP_3) | instskip(NEXT) | instid1(VALU_DEP_4)
	v_bfe_u32 v64, v56, 16, 1
	v_bfe_u32 v62, v55, 16, 1
	v_or_b32_e32 v63, 0x400000, v55
	s_delay_alu instid0(VALU_DEP_4)
	v_bfe_u32 v60, v0, 16, 1
	v_or_b32_e32 v61, 0x400000, v0
	v_cmp_u_f32_e64 s0, v0, v0
	v_add3_u32 v62, v62, v55, 0x7fff
	v_or_b32_e32 v65, 0x400000, v56
	v_add3_u32 v60, v60, v0, 0x7fff
	v_bfe_u32 v66, v15, 16, 1
	v_add3_u32 v64, v64, v56, 0x7fff
	v_or_b32_e32 v67, 0x400000, v15
	v_dual_mul_f32 v59, s2, v59 :: v_dual_mul_f32 v16, s2, v16
	s_wait_alu 0xf1ff
	v_cndmask_b32_e64 v0, v60, v61, s0
	v_cmp_u_f32_e64 s0, v55, v55
	v_add3_u32 v66, v66, v15, 0x7fff
	v_or_b32_e32 v69, 0x400000, v57
	v_bfe_u32 v70, v58, 16, 1
	v_add3_u32 v68, v68, v57, 0x7fff
	s_wait_alu 0xf1ff
	v_cndmask_b32_e64 v55, v62, v63, s0
	v_cmp_u_f32_e64 s0, v56, v56
	v_or_b32_e32 v71, 0x400000, v58
	v_bfe_u32 v72, v59, 16, 1
	v_add3_u32 v70, v70, v58, 0x7fff
	v_or_b32_e32 v73, 0x400000, v59
	s_wait_alu 0xf1ff
	v_cndmask_b32_e64 v56, v64, v65, s0
	v_cmp_u_f32_e64 s0, v15, v15
	v_bfe_u32 v74, v16, 16, 1
	v_add3_u32 v72, v72, v59, 0x7fff
	v_or_b32_e32 v75, 0x400000, v16
	v_lshrrev_b32_e32 v61, 16, v0
	s_wait_alu 0xf1ff
	v_cndmask_b32_e64 v15, v66, v67, s0
	v_cmp_u_f32_e64 s0, v57, v57
	v_add3_u32 v74, v74, v16, 0x7fff
	v_lshrrev_b32_e32 v62, 16, v55
	s_delay_alu instid0(VALU_DEP_4) | instskip(SKIP_3) | instid1(VALU_DEP_2)
	v_lshrrev_b32_e32 v60, 16, v15
	s_wait_alu 0xf1ff
	v_cndmask_b32_e64 v57, v68, v69, s0
	v_cmp_u_f32_e64 s0, v58, v58
	v_lshrrev_b32_e32 v57, 16, v57
	s_wait_alu 0xf1ff
	s_delay_alu instid0(VALU_DEP_2) | instskip(SKIP_2) | instid1(VALU_DEP_3)
	v_cndmask_b32_e64 v58, v70, v71, s0
	v_cmp_u_f32_e64 s0, v59, v59
	v_lshrrev_b32_e32 v59, 16, v56
	v_lshrrev_b32_e32 v58, 16, v58
	s_wait_alu 0xf1ff
	s_delay_alu instid0(VALU_DEP_3) | instskip(SKIP_1) | instid1(VALU_DEP_2)
	v_cndmask_b32_e64 v63, v72, v73, s0
	v_cmp_u_f32_e64 s0, v16, v16
	v_lshrrev_b32_e32 v55, 16, v63
	s_wait_alu 0xf1ff
	s_delay_alu instid0(VALU_DEP_2) | instskip(NEXT) | instid1(VALU_DEP_1)
	v_cndmask_b32_e64 v16, v74, v75, s0
	v_lshrrev_b32_e32 v56, 16, v16
	s_and_saveexec_b32 s7, vcc_lo
	s_cbranch_execz .LBB364_35
; %bb.34:                               ;   in Loop: Header=BB364_29 Depth=1
	v_cmp_gt_i32_e64 s0, s27, v87
	s_wait_alu 0xf1ff
	s_delay_alu instid0(VALU_DEP_1) | instskip(SKIP_2) | instid1(VALU_DEP_1)
	v_cndmask_b32_e64 v61, 0, v61, s0
	v_cmp_gt_i32_e64 s0, s27, v92
	s_wait_alu 0xf1ff
	v_cndmask_b32_e64 v62, 0, v62, s0
	v_cmp_gt_i32_e64 s0, s27, v91
	s_wait_alu 0xf1ff
	s_delay_alu instid0(VALU_DEP_1) | instskip(SKIP_2) | instid1(VALU_DEP_1)
	v_cndmask_b32_e64 v59, 0, v59, s0
	v_cmp_gt_i32_e64 s0, s27, v90
	s_wait_alu 0xf1ff
	v_cndmask_b32_e64 v60, 0, v60, s0
	;; [unrolled: 7-line block ×4, first 2 shown]
.LBB364_35:                             ;   in Loop: Header=BB364_29 Depth=1
	s_wait_alu 0xfffe
	s_or_b32 exec_lo, exec_lo, s7
	global_load_b64 v[15:16], v[13:14], off offset:768
	s_wait_loadcnt 0x0
	v_bfe_u32 v66, v16, 8, 8
	v_bfe_u32 v63, v15, 8, 8
	;; [unrolled: 1-line block ×4, first 2 shown]
	s_delay_alu instid0(VALU_DEP_4)
	v_cvt_f32_fp8_e32 v66, v66
	v_and_b32_e32 v65, 0xff, v16
	v_cvt_f32_fp8_e32 v63, v63
	v_cvt_f32_fp8_e32 v64, v64
	v_lshrrev_b32_e32 v16, 24, v16
	v_mul_f32_e32 v66, s2, v66
	v_cvt_f32_fp8_e32 v65, v65
	v_and_b32_e32 v0, 0xff, v15
	v_lshrrev_b32_e32 v15, 24, v15
	v_cvt_f32_fp8_e32 v67, v67
	v_cvt_f32_fp8_e32 v16, v16
	v_mul_f32_e32 v65, s2, v65
	v_cvt_f32_fp8_e32 v0, v0
	v_cvt_f32_fp8_e32 v15, v15
	v_dual_mul_f32 v64, s2, v64 :: v_dual_mul_f32 v63, s2, v63
	s_delay_alu instid0(VALU_DEP_4) | instskip(NEXT) | instid1(VALU_DEP_3)
	v_bfe_u32 v76, v65, 16, 1
	v_dual_mul_f32 v0, s2, v0 :: v_dual_mul_f32 v15, s2, v15
	s_delay_alu instid0(VALU_DEP_3) | instskip(NEXT) | instid1(VALU_DEP_4)
	v_bfe_u32 v72, v64, 16, 1
	v_bfe_u32 v70, v63, 16, 1
	v_or_b32_e32 v71, 0x400000, v63
	s_delay_alu instid0(VALU_DEP_4)
	v_bfe_u32 v68, v0, 16, 1
	v_or_b32_e32 v69, 0x400000, v0
	v_cmp_u_f32_e64 s0, v0, v0
	v_add3_u32 v70, v70, v63, 0x7fff
	v_or_b32_e32 v73, 0x400000, v64
	v_add3_u32 v68, v68, v0, 0x7fff
	v_bfe_u32 v74, v15, 16, 1
	v_add3_u32 v72, v72, v64, 0x7fff
	v_or_b32_e32 v75, 0x400000, v15
	v_dual_mul_f32 v67, s2, v67 :: v_dual_mul_f32 v16, s2, v16
	s_wait_alu 0xf1ff
	v_cndmask_b32_e64 v0, v68, v69, s0
	v_cmp_u_f32_e64 s0, v63, v63
	v_add3_u32 v74, v74, v15, 0x7fff
	v_or_b32_e32 v77, 0x400000, v65
	v_bfe_u32 v78, v66, 16, 1
	v_add3_u32 v76, v76, v65, 0x7fff
	s_wait_alu 0xf1ff
	v_cndmask_b32_e64 v63, v70, v71, s0
	v_cmp_u_f32_e64 s0, v64, v64
	v_or_b32_e32 v79, 0x400000, v66
	v_bfe_u32 v80, v67, 16, 1
	v_add3_u32 v78, v78, v66, 0x7fff
	v_or_b32_e32 v81, 0x400000, v67
	s_wait_alu 0xf1ff
	v_cndmask_b32_e64 v64, v72, v73, s0
	v_cmp_u_f32_e64 s0, v15, v15
	v_bfe_u32 v82, v16, 16, 1
	v_add3_u32 v80, v80, v67, 0x7fff
	v_or_b32_e32 v83, 0x400000, v16
	v_lshrrev_b32_e32 v69, 16, v0
	s_wait_alu 0xf1ff
	v_cndmask_b32_e64 v15, v74, v75, s0
	v_cmp_u_f32_e64 s0, v65, v65
	v_add3_u32 v82, v82, v16, 0x7fff
	v_lshrrev_b32_e32 v70, 16, v63
	s_delay_alu instid0(VALU_DEP_4) | instskip(SKIP_3) | instid1(VALU_DEP_2)
	v_lshrrev_b32_e32 v68, 16, v15
	s_wait_alu 0xf1ff
	v_cndmask_b32_e64 v65, v76, v77, s0
	v_cmp_u_f32_e64 s0, v66, v66
	v_lshrrev_b32_e32 v65, 16, v65
	s_wait_alu 0xf1ff
	s_delay_alu instid0(VALU_DEP_2) | instskip(SKIP_2) | instid1(VALU_DEP_3)
	v_cndmask_b32_e64 v66, v78, v79, s0
	v_cmp_u_f32_e64 s0, v67, v67
	v_lshrrev_b32_e32 v67, 16, v64
	v_lshrrev_b32_e32 v66, 16, v66
	s_wait_alu 0xf1ff
	s_delay_alu instid0(VALU_DEP_3) | instskip(SKIP_1) | instid1(VALU_DEP_2)
	v_cndmask_b32_e64 v71, v80, v81, s0
	v_cmp_u_f32_e64 s0, v16, v16
	v_lshrrev_b32_e32 v63, 16, v71
	s_wait_alu 0xf1ff
	s_delay_alu instid0(VALU_DEP_2) | instskip(NEXT) | instid1(VALU_DEP_1)
	v_cndmask_b32_e64 v16, v82, v83, s0
	v_lshrrev_b32_e32 v64, 16, v16
	s_and_saveexec_b32 s7, vcc_lo
	s_cbranch_execz .LBB364_37
; %bb.36:                               ;   in Loop: Header=BB364_29 Depth=1
	v_cmp_gt_i32_e64 s0, s27, v87
	s_wait_alu 0xf1ff
	s_delay_alu instid0(VALU_DEP_1) | instskip(SKIP_2) | instid1(VALU_DEP_1)
	v_cndmask_b32_e64 v69, 0, v69, s0
	v_cmp_gt_i32_e64 s0, s27, v92
	s_wait_alu 0xf1ff
	v_cndmask_b32_e64 v70, 0, v70, s0
	v_cmp_gt_i32_e64 s0, s27, v91
	s_wait_alu 0xf1ff
	s_delay_alu instid0(VALU_DEP_1) | instskip(SKIP_2) | instid1(VALU_DEP_1)
	v_cndmask_b32_e64 v67, 0, v67, s0
	v_cmp_gt_i32_e64 s0, s27, v90
	s_wait_alu 0xf1ff
	v_cndmask_b32_e64 v68, 0, v68, s0
	;; [unrolled: 7-line block ×4, first 2 shown]
.LBB364_37:                             ;   in Loop: Header=BB364_29 Depth=1
	s_wait_alu 0xfffe
	s_or_b32 exec_lo, exec_lo, s7
	global_load_b64 v[15:16], v[13:14], off offset:1024
	s_wait_loadcnt 0x0
	v_bfe_u32 v74, v16, 8, 8
	v_bfe_u32 v71, v15, 8, 8
	v_bfe_u32 v72, v15, 16, 8
	v_bfe_u32 v75, v16, 16, 8
	s_delay_alu instid0(VALU_DEP_4)
	v_cvt_f32_fp8_e32 v74, v74
	v_and_b32_e32 v73, 0xff, v16
	v_cvt_f32_fp8_e32 v71, v71
	v_cvt_f32_fp8_e32 v72, v72
	v_lshrrev_b32_e32 v16, 24, v16
	v_mul_f32_e32 v74, s2, v74
	v_cvt_f32_fp8_e32 v73, v73
	v_and_b32_e32 v0, 0xff, v15
	v_lshrrev_b32_e32 v15, 24, v15
	v_cvt_f32_fp8_e32 v75, v75
	v_cvt_f32_fp8_e32 v16, v16
	v_mul_f32_e32 v73, s2, v73
	v_cvt_f32_fp8_e32 v0, v0
	v_cvt_f32_fp8_e32 v15, v15
	v_dual_mul_f32 v72, s2, v72 :: v_dual_mul_f32 v71, s2, v71
	s_delay_alu instid0(VALU_DEP_4) | instskip(NEXT) | instid1(VALU_DEP_3)
	v_bfe_u32 v84, v73, 16, 1
	v_dual_mul_f32 v0, s2, v0 :: v_dual_mul_f32 v15, s2, v15
	s_delay_alu instid0(VALU_DEP_3) | instskip(NEXT) | instid1(VALU_DEP_4)
	v_bfe_u32 v80, v72, 16, 1
	v_bfe_u32 v78, v71, 16, 1
	v_or_b32_e32 v79, 0x400000, v71
	s_delay_alu instid0(VALU_DEP_4)
	v_bfe_u32 v76, v0, 16, 1
	v_or_b32_e32 v77, 0x400000, v0
	v_cmp_u_f32_e64 s0, v0, v0
	v_add3_u32 v78, v78, v71, 0x7fff
	v_or_b32_e32 v81, 0x400000, v72
	v_add3_u32 v76, v76, v0, 0x7fff
	v_bfe_u32 v82, v15, 16, 1
	v_add3_u32 v80, v80, v72, 0x7fff
	v_or_b32_e32 v83, 0x400000, v15
	v_dual_mul_f32 v75, s2, v75 :: v_dual_mul_f32 v16, s2, v16
	s_wait_alu 0xf1ff
	v_cndmask_b32_e64 v0, v76, v77, s0
	v_cmp_u_f32_e64 s0, v71, v71
	v_add3_u32 v82, v82, v15, 0x7fff
	v_or_b32_e32 v85, 0x400000, v73
	v_bfe_u32 v86, v74, 16, 1
	v_add3_u32 v84, v84, v73, 0x7fff
	s_wait_alu 0xf1ff
	v_cndmask_b32_e64 v71, v78, v79, s0
	v_cmp_u_f32_e64 s0, v72, v72
	v_or_b32_e32 v93, 0x400000, v74
	v_bfe_u32 v94, v75, 16, 1
	v_add3_u32 v86, v86, v74, 0x7fff
	v_or_b32_e32 v96, 0x400000, v75
	s_wait_alu 0xf1ff
	v_cndmask_b32_e64 v72, v80, v81, s0
	v_cmp_u_f32_e64 s0, v15, v15
	v_bfe_u32 v97, v16, 16, 1
	v_add3_u32 v94, v94, v75, 0x7fff
	v_or_b32_e32 v98, 0x400000, v16
	v_lshrrev_b32_e32 v77, 16, v0
	s_wait_alu 0xf1ff
	v_cndmask_b32_e64 v15, v82, v83, s0
	v_cmp_u_f32_e64 s0, v73, v73
	v_add3_u32 v97, v97, v16, 0x7fff
	v_lshrrev_b32_e32 v78, 16, v71
	s_delay_alu instid0(VALU_DEP_4) | instskip(SKIP_3) | instid1(VALU_DEP_2)
	v_lshrrev_b32_e32 v76, 16, v15
	s_wait_alu 0xf1ff
	v_cndmask_b32_e64 v73, v84, v85, s0
	v_cmp_u_f32_e64 s0, v74, v74
	v_lshrrev_b32_e32 v73, 16, v73
	s_wait_alu 0xf1ff
	s_delay_alu instid0(VALU_DEP_2) | instskip(SKIP_2) | instid1(VALU_DEP_3)
	v_cndmask_b32_e64 v74, v86, v93, s0
	v_cmp_u_f32_e64 s0, v75, v75
	v_lshrrev_b32_e32 v75, 16, v72
	v_lshrrev_b32_e32 v74, 16, v74
	s_wait_alu 0xf1ff
	s_delay_alu instid0(VALU_DEP_3) | instskip(SKIP_1) | instid1(VALU_DEP_2)
	v_cndmask_b32_e64 v79, v94, v96, s0
	v_cmp_u_f32_e64 s0, v16, v16
	v_lshrrev_b32_e32 v71, 16, v79
	s_wait_alu 0xf1ff
	s_delay_alu instid0(VALU_DEP_2) | instskip(NEXT) | instid1(VALU_DEP_1)
	v_cndmask_b32_e64 v16, v97, v98, s0
	v_lshrrev_b32_e32 v72, 16, v16
	s_and_saveexec_b32 s7, vcc_lo
	s_cbranch_execz .LBB364_39
; %bb.38:                               ;   in Loop: Header=BB364_29 Depth=1
	v_cmp_gt_i32_e64 s0, s27, v87
	s_wait_alu 0xf1ff
	s_delay_alu instid0(VALU_DEP_1) | instskip(SKIP_2) | instid1(VALU_DEP_1)
	v_cndmask_b32_e64 v77, 0, v77, s0
	v_cmp_gt_i32_e64 s0, s27, v92
	s_wait_alu 0xf1ff
	v_cndmask_b32_e64 v78, 0, v78, s0
	v_cmp_gt_i32_e64 s0, s27, v91
	s_wait_alu 0xf1ff
	s_delay_alu instid0(VALU_DEP_1) | instskip(SKIP_2) | instid1(VALU_DEP_1)
	v_cndmask_b32_e64 v75, 0, v75, s0
	v_cmp_gt_i32_e64 s0, s27, v90
	s_wait_alu 0xf1ff
	v_cndmask_b32_e64 v76, 0, v76, s0
	;; [unrolled: 7-line block ×4, first 2 shown]
.LBB364_39:                             ;   in Loop: Header=BB364_29 Depth=1
	s_wait_alu 0xfffe
	s_or_b32 exec_lo, exec_lo, s7
	global_load_b64 v[15:16], v[13:14], off offset:1280
	s_wait_loadcnt 0x0
	v_bfe_u32 v82, v16, 8, 8
	v_bfe_u32 v79, v15, 8, 8
	;; [unrolled: 1-line block ×4, first 2 shown]
	s_delay_alu instid0(VALU_DEP_4)
	v_cvt_f32_fp8_e32 v82, v82
	v_and_b32_e32 v81, 0xff, v16
	v_cvt_f32_fp8_e32 v79, v79
	v_cvt_f32_fp8_e32 v80, v80
	v_lshrrev_b32_e32 v16, 24, v16
	v_mul_f32_e32 v82, s2, v82
	v_cvt_f32_fp8_e32 v81, v81
	v_and_b32_e32 v0, 0xff, v15
	v_lshrrev_b32_e32 v15, 24, v15
	v_cvt_f32_fp8_e32 v83, v83
	v_cvt_f32_fp8_e32 v16, v16
	v_mul_f32_e32 v81, s2, v81
	v_cvt_f32_fp8_e32 v0, v0
	v_cvt_f32_fp8_e32 v15, v15
	v_dual_mul_f32 v80, s2, v80 :: v_dual_mul_f32 v79, s2, v79
	s_delay_alu instid0(VALU_DEP_4) | instskip(NEXT) | instid1(VALU_DEP_3)
	v_bfe_u32 v99, v81, 16, 1
	v_dual_mul_f32 v0, s2, v0 :: v_dual_mul_f32 v15, s2, v15
	s_delay_alu instid0(VALU_DEP_3) | instskip(NEXT) | instid1(VALU_DEP_4)
	v_bfe_u32 v94, v80, 16, 1
	v_bfe_u32 v86, v79, 16, 1
	v_or_b32_e32 v93, 0x400000, v79
	s_delay_alu instid0(VALU_DEP_4)
	v_bfe_u32 v84, v0, 16, 1
	v_or_b32_e32 v85, 0x400000, v0
	v_cmp_u_f32_e64 s0, v0, v0
	v_add3_u32 v86, v86, v79, 0x7fff
	v_or_b32_e32 v96, 0x400000, v80
	v_add3_u32 v84, v84, v0, 0x7fff
	v_bfe_u32 v97, v15, 16, 1
	v_add3_u32 v94, v94, v80, 0x7fff
	v_or_b32_e32 v98, 0x400000, v15
	v_dual_mul_f32 v83, s2, v83 :: v_dual_mul_f32 v16, s2, v16
	s_wait_alu 0xf1ff
	v_cndmask_b32_e64 v0, v84, v85, s0
	v_cmp_u_f32_e64 s0, v79, v79
	v_add3_u32 v97, v97, v15, 0x7fff
	v_or_b32_e32 v100, 0x400000, v81
	v_bfe_u32 v101, v82, 16, 1
	v_add3_u32 v99, v99, v81, 0x7fff
	s_wait_alu 0xf1ff
	v_cndmask_b32_e64 v79, v86, v93, s0
	v_cmp_u_f32_e64 s0, v80, v80
	v_or_b32_e32 v102, 0x400000, v82
	v_bfe_u32 v103, v83, 16, 1
	v_add3_u32 v101, v101, v82, 0x7fff
	v_or_b32_e32 v104, 0x400000, v83
	s_wait_alu 0xf1ff
	v_cndmask_b32_e64 v80, v94, v96, s0
	v_cmp_u_f32_e64 s0, v15, v15
	v_bfe_u32 v105, v16, 16, 1
	v_add3_u32 v103, v103, v83, 0x7fff
	v_or_b32_e32 v106, 0x400000, v16
	v_lshrrev_b32_e32 v85, 16, v0
	s_wait_alu 0xf1ff
	v_cndmask_b32_e64 v15, v97, v98, s0
	v_cmp_u_f32_e64 s0, v81, v81
	v_add3_u32 v105, v105, v16, 0x7fff
	v_lshrrev_b32_e32 v86, 16, v79
	s_delay_alu instid0(VALU_DEP_4) | instskip(SKIP_3) | instid1(VALU_DEP_2)
	v_lshrrev_b32_e32 v84, 16, v15
	s_wait_alu 0xf1ff
	v_cndmask_b32_e64 v81, v99, v100, s0
	v_cmp_u_f32_e64 s0, v82, v82
	v_lshrrev_b32_e32 v81, 16, v81
	s_wait_alu 0xf1ff
	s_delay_alu instid0(VALU_DEP_2) | instskip(SKIP_2) | instid1(VALU_DEP_3)
	v_cndmask_b32_e64 v82, v101, v102, s0
	v_cmp_u_f32_e64 s0, v83, v83
	v_lshrrev_b32_e32 v83, 16, v80
	v_lshrrev_b32_e32 v82, 16, v82
	s_wait_alu 0xf1ff
	s_delay_alu instid0(VALU_DEP_3) | instskip(SKIP_1) | instid1(VALU_DEP_2)
	v_cndmask_b32_e64 v93, v103, v104, s0
	v_cmp_u_f32_e64 s0, v16, v16
	v_lshrrev_b32_e32 v79, 16, v93
	s_wait_alu 0xf1ff
	s_delay_alu instid0(VALU_DEP_2) | instskip(NEXT) | instid1(VALU_DEP_1)
	v_cndmask_b32_e64 v16, v105, v106, s0
	v_lshrrev_b32_e32 v80, 16, v16
	s_and_saveexec_b32 s7, vcc_lo
	s_cbranch_execz .LBB364_41
; %bb.40:                               ;   in Loop: Header=BB364_29 Depth=1
	v_cmp_gt_i32_e64 s0, s27, v87
	s_wait_alu 0xf1ff
	s_delay_alu instid0(VALU_DEP_1) | instskip(SKIP_2) | instid1(VALU_DEP_1)
	v_cndmask_b32_e64 v85, 0, v85, s0
	v_cmp_gt_i32_e64 s0, s27, v92
	s_wait_alu 0xf1ff
	v_cndmask_b32_e64 v86, 0, v86, s0
	v_cmp_gt_i32_e64 s0, s27, v91
	s_wait_alu 0xf1ff
	s_delay_alu instid0(VALU_DEP_1) | instskip(SKIP_2) | instid1(VALU_DEP_1)
	v_cndmask_b32_e64 v83, 0, v83, s0
	v_cmp_gt_i32_e64 s0, s27, v90
	s_wait_alu 0xf1ff
	v_cndmask_b32_e64 v84, 0, v84, s0
	v_cmp_gt_i32_e64 s0, s27, v89
	s_wait_alu 0xf1ff
	s_delay_alu instid0(VALU_DEP_1) | instskip(SKIP_2) | instid1(VALU_DEP_1)
	v_cndmask_b32_e64 v81, 0, v81, s0
	v_cmp_gt_i32_e64 s0, s27, v88
	s_wait_alu 0xf1ff
	v_cndmask_b32_e64 v82, 0, v82, s0
	v_cmp_gt_i32_e64 s0, s27, v95
	s_wait_alu 0xf1ff
	s_delay_alu instid0(VALU_DEP_1) | instskip(SKIP_2) | instid1(VALU_DEP_1)
	v_cndmask_b32_e64 v79, 0, v79, s0
	v_cmp_gt_i32_e64 s0, s27, v37
	s_wait_alu 0xf1ff
	v_cndmask_b32_e64 v80, 0, v80, s0
.LBB364_41:                             ;   in Loop: Header=BB364_29 Depth=1
	s_wait_alu 0xfffe
	s_or_b32 exec_lo, exec_lo, s7
	global_load_b64 v[15:16], v[13:14], off offset:1536
	s_wait_loadcnt 0x0
	v_bfe_u32 v93, v15, 8, 8
	v_bfe_u32 v97, v16, 8, 8
	;; [unrolled: 1-line block ×4, first 2 shown]
	s_delay_alu instid0(VALU_DEP_4)
	v_cvt_f32_fp8_e32 v93, v93
	v_and_b32_e32 v0, 0xff, v15
	v_cvt_f32_fp8_e32 v97, v97
	v_lshrrev_b32_e32 v15, 24, v15
	v_cvt_f32_fp8_e32 v94, v94
	v_mul_f32_e32 v93, s2, v93
	v_cvt_f32_fp8_e32 v0, v0
	v_cvt_f32_fp8_e32 v98, v98
	;; [unrolled: 1-line block ×3, first 2 shown]
	v_dual_mul_f32 v97, s2, v97 :: v_dual_and_b32 v96, 0xff, v16
	s_delay_alu instid0(VALU_DEP_4)
	v_mul_f32_e32 v0, s2, v0
	v_mul_f32_e32 v94, s2, v94
	v_bfe_u32 v101, v93, 16, 1
	v_mul_f32_e32 v15, s2, v15
	v_cvt_f32_fp8_e32 v96, v96
	v_bfe_u32 v99, v0, 16, 1
	v_or_b32_e32 v100, 0x400000, v0
	v_cmp_u_f32_e64 s0, v0, v0
	v_or_b32_e32 v102, 0x400000, v93
	v_bfe_u32 v103, v94, 16, 1
	v_add3_u32 v99, v99, v0, 0x7fff
	v_add3_u32 v101, v101, v93, 0x7fff
	v_mul_f32_e32 v96, s2, v96
	v_or_b32_e32 v104, 0x400000, v94
	v_bfe_u32 v105, v15, 16, 1
	s_wait_alu 0xf1ff
	v_cndmask_b32_e64 v0, v99, v100, s0
	v_cmp_u_f32_e64 s0, v93, v93
	v_add3_u32 v103, v103, v94, 0x7fff
	v_lshrrev_b32_e32 v16, 24, v16
	v_or_b32_e32 v106, 0x400000, v15
	v_bfe_u32 v107, v96, 16, 1
	s_wait_alu 0xf1ff
	v_cndmask_b32_e64 v93, v101, v102, s0
	v_cmp_u_f32_e64 s0, v94, v94
	v_add3_u32 v105, v105, v15, 0x7fff
	v_cvt_f32_fp8_e32 v16, v16
	v_mul_f32_e32 v98, s2, v98
	v_or_b32_e32 v108, 0x400000, v96
	s_wait_alu 0xf1ff
	v_cndmask_b32_e64 v94, v103, v104, s0
	v_cmp_u_f32_e64 s0, v15, v15
	v_bfe_u32 v109, v97, 16, 1
	v_add3_u32 v107, v107, v96, 0x7fff
	v_mul_f32_e32 v16, s2, v16
	v_or_b32_e32 v110, 0x400000, v97
	s_wait_alu 0xf1ff
	v_cndmask_b32_e64 v15, v105, v106, s0
	v_cmp_u_f32_e64 s0, v96, v96
	v_bfe_u32 v111, v98, 16, 1
	v_add3_u32 v109, v109, v97, 0x7fff
	v_or_b32_e32 v112, 0x400000, v98
	v_bfe_u32 v113, v16, 16, 1
	s_wait_alu 0xf1ff
	v_cndmask_b32_e64 v96, v107, v108, s0
	v_cmp_u_f32_e64 s0, v97, v97
	v_add3_u32 v111, v111, v98, 0x7fff
	v_or_b32_e32 v114, 0x400000, v16
	v_add3_u32 v113, v113, v16, 0x7fff
	v_lshrrev_b32_e32 v100, 16, v0
	s_wait_alu 0xf1ff
	v_cndmask_b32_e64 v97, v109, v110, s0
	v_cmp_u_f32_e64 s0, v98, v98
	v_lshrrev_b32_e32 v101, 16, v93
	v_lshrrev_b32_e32 v98, 16, v94
	;; [unrolled: 1-line block ×4, first 2 shown]
	s_wait_alu 0xf1ff
	v_cndmask_b32_e64 v102, v111, v112, s0
	v_cmp_u_f32_e64 s0, v16, v16
	v_lshrrev_b32_e32 v97, 16, v97
	s_delay_alu instid0(VALU_DEP_3) | instskip(SKIP_1) | instid1(VALU_DEP_3)
	v_lshrrev_b32_e32 v93, 16, v102
	s_wait_alu 0xf1ff
	v_cndmask_b32_e64 v16, v113, v114, s0
	s_delay_alu instid0(VALU_DEP_1)
	v_lshrrev_b32_e32 v94, 16, v16
	s_and_saveexec_b32 s7, vcc_lo
	s_cbranch_execz .LBB364_43
; %bb.42:                               ;   in Loop: Header=BB364_29 Depth=1
	v_cmp_gt_i32_e64 s0, s27, v87
	s_wait_alu 0xf1ff
	s_delay_alu instid0(VALU_DEP_1) | instskip(SKIP_2) | instid1(VALU_DEP_1)
	v_cndmask_b32_e64 v100, 0, v100, s0
	v_cmp_gt_i32_e64 s0, s27, v92
	s_wait_alu 0xf1ff
	v_cndmask_b32_e64 v101, 0, v101, s0
	v_cmp_gt_i32_e64 s0, s27, v91
	s_wait_alu 0xf1ff
	s_delay_alu instid0(VALU_DEP_1) | instskip(SKIP_2) | instid1(VALU_DEP_1)
	v_cndmask_b32_e64 v98, 0, v98, s0
	v_cmp_gt_i32_e64 s0, s27, v90
	s_wait_alu 0xf1ff
	v_cndmask_b32_e64 v99, 0, v99, s0
	;; [unrolled: 7-line block ×4, first 2 shown]
.LBB364_43:                             ;   in Loop: Header=BB364_29 Depth=1
	s_wait_alu 0xfffe
	s_or_b32 exec_lo, exec_lo, s7
	global_load_b64 v[15:16], v[13:14], off offset:1792
	s_wait_loadcnt 0x0
	v_bfe_u32 v105, v16, 8, 8
	v_bfe_u32 v102, v15, 8, 8
	;; [unrolled: 1-line block ×4, first 2 shown]
	s_delay_alu instid0(VALU_DEP_4)
	v_cvt_f32_fp8_e32 v105, v105
	v_and_b32_e32 v0, 0xff, v15
	v_lshrrev_b32_e32 v15, 24, v15
	v_cvt_f32_fp8_e32 v102, v102
	v_cvt_f32_fp8_e32 v103, v103
	v_mul_f32_e32 v105, s2, v105
	v_cvt_f32_fp8_e32 v0, v0
	v_cvt_f32_fp8_e32 v15, v15
	v_mul_f32_e32 v102, s2, v102
	v_dual_mul_f32 v103, s2, v103 :: v_dual_and_b32 v104, 0xff, v16
	s_delay_alu instid0(VALU_DEP_3) | instskip(NEXT) | instid1(VALU_DEP_3)
	v_dual_mul_f32 v0, s2, v0 :: v_dual_mul_f32 v15, s2, v15
	v_bfe_u32 v109, v102, 16, 1
	s_delay_alu instid0(VALU_DEP_3) | instskip(SKIP_1) | instid1(VALU_DEP_4)
	v_cvt_f32_fp8_e32 v104, v104
	v_or_b32_e32 v110, 0x400000, v102
	v_bfe_u32 v107, v0, 16, 1
	v_or_b32_e32 v108, 0x400000, v0
	v_cmp_u_f32_e64 s0, v0, v0
	v_bfe_u32 v111, v103, 16, 1
	v_add3_u32 v109, v109, v102, 0x7fff
	v_add3_u32 v107, v107, v0, 0x7fff
	v_mul_f32_e32 v104, s2, v104
	v_or_b32_e32 v112, 0x400000, v103
	v_bfe_u32 v113, v15, 16, 1
	v_add3_u32 v111, v111, v103, 0x7fff
	s_wait_alu 0xf1ff
	v_cndmask_b32_e64 v0, v107, v108, s0
	v_cmp_u_f32_e64 s0, v102, v102
	v_lshrrev_b32_e32 v16, 24, v16
	v_cvt_f32_fp8_e32 v106, v106
	v_or_b32_e32 v114, 0x400000, v15
	v_bfe_u32 v115, v104, 16, 1
	s_wait_alu 0xf1ff
	v_cndmask_b32_e64 v102, v109, v110, s0
	v_cmp_u_f32_e64 s0, v103, v103
	v_add3_u32 v113, v113, v15, 0x7fff
	v_cvt_f32_fp8_e32 v16, v16
	v_mul_f32_e32 v106, s2, v106
	v_or_b32_e32 v116, 0x400000, v104
	s_wait_alu 0xf1ff
	v_cndmask_b32_e64 v103, v111, v112, s0
	v_cmp_u_f32_e64 s0, v15, v15
	v_bfe_u32 v117, v105, 16, 1
	v_add3_u32 v115, v115, v104, 0x7fff
	v_mul_f32_e32 v16, s2, v16
	v_or_b32_e32 v118, 0x400000, v105
	s_wait_alu 0xf1ff
	v_cndmask_b32_e64 v15, v113, v114, s0
	v_cmp_u_f32_e64 s0, v104, v104
	v_bfe_u32 v119, v106, 16, 1
	v_add3_u32 v117, v117, v105, 0x7fff
	v_or_b32_e32 v120, 0x400000, v106
	v_bfe_u32 v121, v16, 16, 1
	s_wait_alu 0xf1ff
	v_cndmask_b32_e64 v104, v115, v116, s0
	v_cmp_u_f32_e64 s0, v105, v105
	v_add3_u32 v119, v119, v106, 0x7fff
	v_or_b32_e32 v122, 0x400000, v16
	v_add3_u32 v121, v121, v16, 0x7fff
	v_lshrrev_b32_e32 v108, 16, v0
	s_wait_alu 0xf1ff
	v_cndmask_b32_e64 v105, v117, v118, s0
	v_cmp_u_f32_e64 s0, v106, v106
	v_lshrrev_b32_e32 v109, 16, v102
	v_lshrrev_b32_e32 v106, 16, v103
	;; [unrolled: 1-line block ×4, first 2 shown]
	s_wait_alu 0xf1ff
	v_cndmask_b32_e64 v110, v119, v120, s0
	v_cmp_u_f32_e64 s0, v16, v16
	v_lshrrev_b32_e32 v105, 16, v105
	s_delay_alu instid0(VALU_DEP_3) | instskip(SKIP_1) | instid1(VALU_DEP_3)
	v_lshrrev_b32_e32 v102, 16, v110
	s_wait_alu 0xf1ff
	v_cndmask_b32_e64 v16, v121, v122, s0
	s_delay_alu instid0(VALU_DEP_1)
	v_lshrrev_b32_e32 v103, 16, v16
	s_and_saveexec_b32 s7, vcc_lo
	s_cbranch_execz .LBB364_45
; %bb.44:                               ;   in Loop: Header=BB364_29 Depth=1
	v_cmp_gt_i32_e64 s0, s27, v87
	s_wait_alu 0xf1ff
	s_delay_alu instid0(VALU_DEP_1) | instskip(SKIP_2) | instid1(VALU_DEP_1)
	v_cndmask_b32_e64 v108, 0, v108, s0
	v_cmp_gt_i32_e64 s0, s27, v92
	s_wait_alu 0xf1ff
	v_cndmask_b32_e64 v109, 0, v109, s0
	v_cmp_gt_i32_e64 s0, s27, v91
	s_wait_alu 0xf1ff
	s_delay_alu instid0(VALU_DEP_1) | instskip(SKIP_2) | instid1(VALU_DEP_1)
	v_cndmask_b32_e64 v106, 0, v106, s0
	v_cmp_gt_i32_e64 s0, s27, v90
	s_wait_alu 0xf1ff
	v_cndmask_b32_e64 v107, 0, v107, s0
	v_cmp_gt_i32_e64 s0, s27, v89
	s_wait_alu 0xf1ff
	s_delay_alu instid0(VALU_DEP_1) | instskip(SKIP_2) | instid1(VALU_DEP_1)
	v_cndmask_b32_e64 v104, 0, v104, s0
	v_cmp_gt_i32_e64 s0, s27, v88
	s_wait_alu 0xf1ff
	v_cndmask_b32_e64 v105, 0, v105, s0
	v_cmp_gt_i32_e64 s0, s27, v95
	s_wait_alu 0xf1ff
	s_delay_alu instid0(VALU_DEP_1) | instskip(SKIP_2) | instid1(VALU_DEP_1)
	v_cndmask_b32_e64 v102, 0, v102, s0
	v_cmp_gt_i32_e64 s0, s27, v37
	s_wait_alu 0xf1ff
	v_cndmask_b32_e64 v103, 0, v103, s0
.LBB364_45:                             ;   in Loop: Header=BB364_29 Depth=1
	s_wait_alu 0xfffe
	s_or_b32 exec_lo, exec_lo, s7
	global_load_b64 v[15:16], v[13:14], off offset:2048
	s_wait_loadcnt 0x0
	v_bfe_u32 v113, v16, 8, 8
	v_bfe_u32 v110, v15, 8, 8
	;; [unrolled: 1-line block ×4, first 2 shown]
	s_delay_alu instid0(VALU_DEP_4)
	v_cvt_f32_fp8_e32 v113, v113
	v_and_b32_e32 v0, 0xff, v15
	v_lshrrev_b32_e32 v15, 24, v15
	v_cvt_f32_fp8_e32 v110, v110
	v_cvt_f32_fp8_e32 v111, v111
	v_mul_f32_e32 v113, s2, v113
	v_cvt_f32_fp8_e32 v0, v0
	v_cvt_f32_fp8_e32 v15, v15
	v_mul_f32_e32 v110, s2, v110
	v_dual_mul_f32 v111, s2, v111 :: v_dual_and_b32 v112, 0xff, v16
	s_delay_alu instid0(VALU_DEP_3) | instskip(NEXT) | instid1(VALU_DEP_3)
	v_dual_mul_f32 v0, s2, v0 :: v_dual_mul_f32 v15, s2, v15
	v_bfe_u32 v117, v110, 16, 1
	s_delay_alu instid0(VALU_DEP_3) | instskip(SKIP_1) | instid1(VALU_DEP_4)
	v_cvt_f32_fp8_e32 v112, v112
	v_or_b32_e32 v118, 0x400000, v110
	v_bfe_u32 v115, v0, 16, 1
	v_or_b32_e32 v116, 0x400000, v0
	v_cmp_u_f32_e64 s0, v0, v0
	v_bfe_u32 v119, v111, 16, 1
	v_add3_u32 v117, v117, v110, 0x7fff
	v_add3_u32 v115, v115, v0, 0x7fff
	v_mul_f32_e32 v112, s2, v112
	v_or_b32_e32 v120, 0x400000, v111
	v_bfe_u32 v121, v15, 16, 1
	v_add3_u32 v119, v119, v111, 0x7fff
	s_wait_alu 0xf1ff
	v_cndmask_b32_e64 v0, v115, v116, s0
	v_cmp_u_f32_e64 s0, v110, v110
	v_lshrrev_b32_e32 v16, 24, v16
	v_cvt_f32_fp8_e32 v114, v114
	v_or_b32_e32 v122, 0x400000, v15
	v_bfe_u32 v123, v112, 16, 1
	s_wait_alu 0xf1ff
	v_cndmask_b32_e64 v110, v117, v118, s0
	v_cmp_u_f32_e64 s0, v111, v111
	v_add3_u32 v121, v121, v15, 0x7fff
	v_cvt_f32_fp8_e32 v16, v16
	v_mul_f32_e32 v114, s2, v114
	v_or_b32_e32 v124, 0x400000, v112
	s_wait_alu 0xf1ff
	v_cndmask_b32_e64 v111, v119, v120, s0
	v_cmp_u_f32_e64 s0, v15, v15
	v_bfe_u32 v125, v113, 16, 1
	v_add3_u32 v123, v123, v112, 0x7fff
	v_mul_f32_e32 v16, s2, v16
	v_or_b32_e32 v126, 0x400000, v113
	s_wait_alu 0xf1ff
	v_cndmask_b32_e64 v15, v121, v122, s0
	v_cmp_u_f32_e64 s0, v112, v112
	v_bfe_u32 v127, v114, 16, 1
	v_add3_u32 v125, v125, v113, 0x7fff
	v_or_b32_e32 v128, 0x400000, v114
	v_bfe_u32 v129, v16, 16, 1
	s_wait_alu 0xf1ff
	v_cndmask_b32_e64 v112, v123, v124, s0
	v_cmp_u_f32_e64 s0, v113, v113
	v_add3_u32 v127, v127, v114, 0x7fff
	v_or_b32_e32 v130, 0x400000, v16
	v_add3_u32 v129, v129, v16, 0x7fff
	v_lshrrev_b32_e32 v116, 16, v0
	s_wait_alu 0xf1ff
	v_cndmask_b32_e64 v113, v125, v126, s0
	v_cmp_u_f32_e64 s0, v114, v114
	v_lshrrev_b32_e32 v117, 16, v110
	v_lshrrev_b32_e32 v114, 16, v111
	;; [unrolled: 1-line block ×4, first 2 shown]
	s_wait_alu 0xf1ff
	v_cndmask_b32_e64 v118, v127, v128, s0
	v_cmp_u_f32_e64 s0, v16, v16
	v_lshrrev_b32_e32 v113, 16, v113
	s_delay_alu instid0(VALU_DEP_3) | instskip(SKIP_1) | instid1(VALU_DEP_3)
	v_lshrrev_b32_e32 v110, 16, v118
	s_wait_alu 0xf1ff
	v_cndmask_b32_e64 v16, v129, v130, s0
	s_delay_alu instid0(VALU_DEP_1)
	v_lshrrev_b32_e32 v111, 16, v16
	s_and_saveexec_b32 s7, vcc_lo
	s_cbranch_execz .LBB364_47
; %bb.46:                               ;   in Loop: Header=BB364_29 Depth=1
	v_cmp_gt_i32_e64 s0, s27, v87
	s_wait_alu 0xf1ff
	s_delay_alu instid0(VALU_DEP_1) | instskip(SKIP_2) | instid1(VALU_DEP_1)
	v_cndmask_b32_e64 v116, 0, v116, s0
	v_cmp_gt_i32_e64 s0, s27, v92
	s_wait_alu 0xf1ff
	v_cndmask_b32_e64 v117, 0, v117, s0
	v_cmp_gt_i32_e64 s0, s27, v91
	s_wait_alu 0xf1ff
	s_delay_alu instid0(VALU_DEP_1) | instskip(SKIP_2) | instid1(VALU_DEP_1)
	v_cndmask_b32_e64 v114, 0, v114, s0
	v_cmp_gt_i32_e64 s0, s27, v90
	s_wait_alu 0xf1ff
	v_cndmask_b32_e64 v115, 0, v115, s0
	;; [unrolled: 7-line block ×4, first 2 shown]
.LBB364_47:                             ;   in Loop: Header=BB364_29 Depth=1
	s_wait_alu 0xfffe
	s_or_b32 exec_lo, exec_lo, s7
	global_load_b64 v[15:16], v[13:14], off offset:2304
	s_wait_loadcnt 0x0
	v_bfe_u32 v121, v16, 8, 8
	v_bfe_u32 v118, v15, 8, 8
	;; [unrolled: 1-line block ×4, first 2 shown]
	s_delay_alu instid0(VALU_DEP_4)
	v_cvt_f32_fp8_e32 v121, v121
	v_and_b32_e32 v0, 0xff, v15
	v_lshrrev_b32_e32 v15, 24, v15
	v_cvt_f32_fp8_e32 v118, v118
	v_cvt_f32_fp8_e32 v119, v119
	v_mul_f32_e32 v121, s2, v121
	v_cvt_f32_fp8_e32 v0, v0
	v_cvt_f32_fp8_e32 v15, v15
	v_mul_f32_e32 v118, s2, v118
	v_dual_mul_f32 v119, s2, v119 :: v_dual_and_b32 v120, 0xff, v16
	s_delay_alu instid0(VALU_DEP_3) | instskip(NEXT) | instid1(VALU_DEP_3)
	v_dual_mul_f32 v0, s2, v0 :: v_dual_mul_f32 v15, s2, v15
	v_bfe_u32 v125, v118, 16, 1
	s_delay_alu instid0(VALU_DEP_3) | instskip(SKIP_1) | instid1(VALU_DEP_4)
	v_cvt_f32_fp8_e32 v120, v120
	v_or_b32_e32 v126, 0x400000, v118
	v_bfe_u32 v123, v0, 16, 1
	v_or_b32_e32 v124, 0x400000, v0
	v_cmp_u_f32_e64 s0, v0, v0
	v_bfe_u32 v127, v119, 16, 1
	v_add3_u32 v125, v125, v118, 0x7fff
	v_add3_u32 v123, v123, v0, 0x7fff
	v_mul_f32_e32 v120, s2, v120
	v_or_b32_e32 v128, 0x400000, v119
	v_bfe_u32 v129, v15, 16, 1
	v_add3_u32 v127, v127, v119, 0x7fff
	s_wait_alu 0xf1ff
	v_cndmask_b32_e64 v0, v123, v124, s0
	v_cmp_u_f32_e64 s0, v118, v118
	v_lshrrev_b32_e32 v16, 24, v16
	v_cvt_f32_fp8_e32 v122, v122
	v_or_b32_e32 v130, 0x400000, v15
	v_bfe_u32 v131, v120, 16, 1
	s_wait_alu 0xf1ff
	v_cndmask_b32_e64 v118, v125, v126, s0
	v_cmp_u_f32_e64 s0, v119, v119
	v_add3_u32 v129, v129, v15, 0x7fff
	v_cvt_f32_fp8_e32 v16, v16
	v_mul_f32_e32 v122, s2, v122
	v_or_b32_e32 v132, 0x400000, v120
	s_wait_alu 0xf1ff
	v_cndmask_b32_e64 v119, v127, v128, s0
	v_cmp_u_f32_e64 s0, v15, v15
	v_bfe_u32 v133, v121, 16, 1
	v_add3_u32 v131, v131, v120, 0x7fff
	v_mul_f32_e32 v16, s2, v16
	v_or_b32_e32 v134, 0x400000, v121
	s_wait_alu 0xf1ff
	v_cndmask_b32_e64 v15, v129, v130, s0
	v_cmp_u_f32_e64 s0, v120, v120
	v_bfe_u32 v135, v122, 16, 1
	v_add3_u32 v133, v133, v121, 0x7fff
	v_or_b32_e32 v136, 0x400000, v122
	v_bfe_u32 v137, v16, 16, 1
	s_wait_alu 0xf1ff
	v_cndmask_b32_e64 v120, v131, v132, s0
	v_cmp_u_f32_e64 s0, v121, v121
	v_add3_u32 v135, v135, v122, 0x7fff
	v_or_b32_e32 v138, 0x400000, v16
	v_add3_u32 v137, v137, v16, 0x7fff
	v_lshrrev_b32_e32 v127, 16, v0
	s_wait_alu 0xf1ff
	v_cndmask_b32_e64 v121, v133, v134, s0
	v_cmp_u_f32_e64 s0, v122, v122
	v_lshrrev_b32_e32 v128, 16, v118
	v_lshrrev_b32_e32 v125, 16, v119
	;; [unrolled: 1-line block ×4, first 2 shown]
	s_wait_alu 0xf1ff
	v_cndmask_b32_e64 v122, v135, v136, s0
	v_cmp_u_f32_e64 s0, v16, v16
	v_lshrrev_b32_e32 v124, 16, v121
	s_delay_alu instid0(VALU_DEP_3) | instskip(SKIP_1) | instid1(VALU_DEP_3)
	v_lshrrev_b32_e32 v121, 16, v122
	s_wait_alu 0xf1ff
	v_cndmask_b32_e64 v16, v137, v138, s0
	s_delay_alu instid0(VALU_DEP_1)
	v_lshrrev_b32_e32 v122, 16, v16
	s_and_saveexec_b32 s7, vcc_lo
	s_cbranch_execz .LBB364_49
; %bb.48:                               ;   in Loop: Header=BB364_29 Depth=1
	v_cmp_gt_i32_e64 s0, s27, v87
	s_wait_alu 0xf1ff
	s_delay_alu instid0(VALU_DEP_1) | instskip(SKIP_2) | instid1(VALU_DEP_1)
	v_cndmask_b32_e64 v127, 0, v127, s0
	v_cmp_gt_i32_e64 s0, s27, v92
	s_wait_alu 0xf1ff
	v_cndmask_b32_e64 v128, 0, v128, s0
	v_cmp_gt_i32_e64 s0, s27, v91
	s_wait_alu 0xf1ff
	s_delay_alu instid0(VALU_DEP_1) | instskip(SKIP_2) | instid1(VALU_DEP_1)
	v_cndmask_b32_e64 v125, 0, v125, s0
	v_cmp_gt_i32_e64 s0, s27, v90
	s_wait_alu 0xf1ff
	v_cndmask_b32_e64 v126, 0, v126, s0
	;; [unrolled: 7-line block ×4, first 2 shown]
.LBB364_49:                             ;   in Loop: Header=BB364_29 Depth=1
	s_wait_alu 0xfffe
	s_or_b32 exec_lo, exec_lo, s7
	global_load_b64 v[15:16], v[13:14], off offset:2560
	s_wait_loadcnt 0x0
	v_bfe_u32 v129, v16, 8, 8
	v_bfe_u32 v118, v15, 8, 8
	;; [unrolled: 1-line block ×4, first 2 shown]
	s_delay_alu instid0(VALU_DEP_4)
	v_cvt_f32_fp8_e32 v129, v129
	v_and_b32_e32 v0, 0xff, v15
	v_lshrrev_b32_e32 v15, 24, v15
	v_cvt_f32_fp8_e32 v118, v118
	v_cvt_f32_fp8_e32 v119, v119
	v_mul_f32_e32 v129, s2, v129
	v_cvt_f32_fp8_e32 v0, v0
	v_cvt_f32_fp8_e32 v15, v15
	v_mul_f32_e32 v118, s2, v118
	v_dual_mul_f32 v119, s2, v119 :: v_dual_and_b32 v120, 0xff, v16
	s_delay_alu instid0(VALU_DEP_3) | instskip(NEXT) | instid1(VALU_DEP_3)
	v_dual_mul_f32 v0, s2, v0 :: v_dual_mul_f32 v15, s2, v15
	v_bfe_u32 v133, v118, 16, 1
	s_delay_alu instid0(VALU_DEP_3) | instskip(SKIP_1) | instid1(VALU_DEP_4)
	v_cvt_f32_fp8_e32 v120, v120
	v_or_b32_e32 v134, 0x400000, v118
	v_bfe_u32 v131, v0, 16, 1
	v_or_b32_e32 v132, 0x400000, v0
	v_cmp_u_f32_e64 s0, v0, v0
	v_bfe_u32 v135, v119, 16, 1
	v_add3_u32 v133, v133, v118, 0x7fff
	v_add3_u32 v131, v131, v0, 0x7fff
	v_mul_f32_e32 v120, s2, v120
	v_or_b32_e32 v136, 0x400000, v119
	v_bfe_u32 v137, v15, 16, 1
	v_add3_u32 v135, v135, v119, 0x7fff
	s_wait_alu 0xf1ff
	v_cndmask_b32_e64 v0, v131, v132, s0
	v_cmp_u_f32_e64 s0, v118, v118
	v_lshrrev_b32_e32 v16, 24, v16
	v_cvt_f32_fp8_e32 v130, v130
	v_or_b32_e32 v138, 0x400000, v15
	v_bfe_u32 v139, v120, 16, 1
	s_wait_alu 0xf1ff
	v_cndmask_b32_e64 v118, v133, v134, s0
	v_cmp_u_f32_e64 s0, v119, v119
	v_add3_u32 v137, v137, v15, 0x7fff
	v_cvt_f32_fp8_e32 v16, v16
	v_mul_f32_e32 v130, s2, v130
	v_or_b32_e32 v140, 0x400000, v120
	s_wait_alu 0xf1ff
	v_cndmask_b32_e64 v119, v135, v136, s0
	v_cmp_u_f32_e64 s0, v15, v15
	v_bfe_u32 v141, v129, 16, 1
	v_add3_u32 v139, v139, v120, 0x7fff
	v_mul_f32_e32 v16, s2, v16
	v_or_b32_e32 v142, 0x400000, v129
	s_wait_alu 0xf1ff
	v_cndmask_b32_e64 v15, v137, v138, s0
	v_cmp_u_f32_e64 s0, v120, v120
	v_bfe_u32 v143, v130, 16, 1
	v_add3_u32 v141, v141, v129, 0x7fff
	v_or_b32_e32 v144, 0x400000, v130
	v_bfe_u32 v145, v16, 16, 1
	s_wait_alu 0xf1ff
	v_cndmask_b32_e64 v120, v139, v140, s0
	v_cmp_u_f32_e64 s0, v129, v129
	v_add3_u32 v143, v143, v130, 0x7fff
	v_or_b32_e32 v146, 0x400000, v16
	v_add3_u32 v145, v145, v16, 0x7fff
	v_lshrrev_b32_e32 v135, 16, v0
	s_wait_alu 0xf1ff
	v_cndmask_b32_e64 v129, v141, v142, s0
	v_cmp_u_f32_e64 s0, v130, v130
	v_lshrrev_b32_e32 v136, 16, v118
	v_lshrrev_b32_e32 v133, 16, v119
	v_lshrrev_b32_e32 v134, 16, v15
	v_lshrrev_b32_e32 v131, 16, v120
	s_wait_alu 0xf1ff
	v_cndmask_b32_e64 v130, v143, v144, s0
	v_cmp_u_f32_e64 s0, v16, v16
	v_lshrrev_b32_e32 v132, 16, v129
	s_delay_alu instid0(VALU_DEP_3) | instskip(SKIP_1) | instid1(VALU_DEP_3)
	v_lshrrev_b32_e32 v129, 16, v130
	s_wait_alu 0xf1ff
	v_cndmask_b32_e64 v16, v145, v146, s0
	s_delay_alu instid0(VALU_DEP_1)
	v_lshrrev_b32_e32 v130, 16, v16
	s_and_saveexec_b32 s7, vcc_lo
	s_cbranch_execz .LBB364_51
; %bb.50:                               ;   in Loop: Header=BB364_29 Depth=1
	v_cmp_gt_i32_e64 s0, s27, v87
	s_wait_alu 0xf1ff
	s_delay_alu instid0(VALU_DEP_1) | instskip(SKIP_2) | instid1(VALU_DEP_1)
	v_cndmask_b32_e64 v135, 0, v135, s0
	v_cmp_gt_i32_e64 s0, s27, v92
	s_wait_alu 0xf1ff
	v_cndmask_b32_e64 v136, 0, v136, s0
	v_cmp_gt_i32_e64 s0, s27, v91
	s_wait_alu 0xf1ff
	s_delay_alu instid0(VALU_DEP_1) | instskip(SKIP_2) | instid1(VALU_DEP_1)
	v_cndmask_b32_e64 v133, 0, v133, s0
	v_cmp_gt_i32_e64 s0, s27, v90
	s_wait_alu 0xf1ff
	v_cndmask_b32_e64 v134, 0, v134, s0
	;; [unrolled: 7-line block ×4, first 2 shown]
.LBB364_51:                             ;   in Loop: Header=BB364_29 Depth=1
	s_wait_alu 0xfffe
	s_or_b32 exec_lo, exec_lo, s7
	global_load_b64 v[15:16], v[13:14], off offset:2816
	s_wait_loadcnt 0x0
	v_bfe_u32 v137, v16, 8, 8
	v_bfe_u32 v118, v15, 8, 8
	;; [unrolled: 1-line block ×4, first 2 shown]
	s_delay_alu instid0(VALU_DEP_4)
	v_cvt_f32_fp8_e32 v137, v137
	v_and_b32_e32 v0, 0xff, v15
	v_lshrrev_b32_e32 v15, 24, v15
	v_cvt_f32_fp8_e32 v118, v118
	v_cvt_f32_fp8_e32 v119, v119
	v_mul_f32_e32 v137, s2, v137
	v_cvt_f32_fp8_e32 v0, v0
	v_cvt_f32_fp8_e32 v15, v15
	v_mul_f32_e32 v118, s2, v118
	v_dual_mul_f32 v119, s2, v119 :: v_dual_and_b32 v120, 0xff, v16
	s_delay_alu instid0(VALU_DEP_3) | instskip(NEXT) | instid1(VALU_DEP_3)
	v_dual_mul_f32 v0, s2, v0 :: v_dual_mul_f32 v15, s2, v15
	v_bfe_u32 v141, v118, 16, 1
	s_delay_alu instid0(VALU_DEP_3) | instskip(SKIP_1) | instid1(VALU_DEP_4)
	v_cvt_f32_fp8_e32 v120, v120
	v_or_b32_e32 v142, 0x400000, v118
	v_bfe_u32 v139, v0, 16, 1
	v_or_b32_e32 v140, 0x400000, v0
	v_cmp_u_f32_e64 s0, v0, v0
	v_bfe_u32 v143, v119, 16, 1
	v_add3_u32 v141, v141, v118, 0x7fff
	v_add3_u32 v139, v139, v0, 0x7fff
	v_mul_f32_e32 v120, s2, v120
	v_or_b32_e32 v144, 0x400000, v119
	v_bfe_u32 v145, v15, 16, 1
	v_add3_u32 v143, v143, v119, 0x7fff
	s_wait_alu 0xf1ff
	v_cndmask_b32_e64 v0, v139, v140, s0
	v_cmp_u_f32_e64 s0, v118, v118
	v_lshrrev_b32_e32 v16, 24, v16
	v_cvt_f32_fp8_e32 v138, v138
	v_or_b32_e32 v146, 0x400000, v15
	v_bfe_u32 v147, v120, 16, 1
	s_wait_alu 0xf1ff
	v_cndmask_b32_e64 v118, v141, v142, s0
	v_cmp_u_f32_e64 s0, v119, v119
	v_add3_u32 v145, v145, v15, 0x7fff
	v_cvt_f32_fp8_e32 v16, v16
	v_mul_f32_e32 v138, s2, v138
	v_or_b32_e32 v148, 0x400000, v120
	s_wait_alu 0xf1ff
	v_cndmask_b32_e64 v119, v143, v144, s0
	v_cmp_u_f32_e64 s0, v15, v15
	v_bfe_u32 v149, v137, 16, 1
	v_add3_u32 v147, v147, v120, 0x7fff
	v_mul_f32_e32 v16, s2, v16
	v_or_b32_e32 v150, 0x400000, v137
	s_wait_alu 0xf1ff
	v_cndmask_b32_e64 v15, v145, v146, s0
	v_cmp_u_f32_e64 s0, v120, v120
	v_bfe_u32 v151, v138, 16, 1
	v_add3_u32 v149, v149, v137, 0x7fff
	v_or_b32_e32 v152, 0x400000, v138
	v_bfe_u32 v153, v16, 16, 1
	s_wait_alu 0xf1ff
	v_cndmask_b32_e64 v120, v147, v148, s0
	v_cmp_u_f32_e64 s0, v137, v137
	v_add3_u32 v151, v151, v138, 0x7fff
	v_or_b32_e32 v154, 0x400000, v16
	v_add3_u32 v153, v153, v16, 0x7fff
	v_lshrrev_b32_e32 v143, 16, v0
	s_wait_alu 0xf1ff
	v_cndmask_b32_e64 v137, v149, v150, s0
	v_cmp_u_f32_e64 s0, v138, v138
	v_lshrrev_b32_e32 v144, 16, v118
	v_lshrrev_b32_e32 v141, 16, v119
	v_lshrrev_b32_e32 v142, 16, v15
	v_lshrrev_b32_e32 v139, 16, v120
	s_wait_alu 0xf1ff
	v_cndmask_b32_e64 v138, v151, v152, s0
	v_cmp_u_f32_e64 s0, v16, v16
	v_lshrrev_b32_e32 v140, 16, v137
	s_delay_alu instid0(VALU_DEP_3) | instskip(SKIP_1) | instid1(VALU_DEP_3)
	v_lshrrev_b32_e32 v137, 16, v138
	s_wait_alu 0xf1ff
	v_cndmask_b32_e64 v16, v153, v154, s0
	s_delay_alu instid0(VALU_DEP_1)
	v_lshrrev_b32_e32 v138, 16, v16
	s_and_saveexec_b32 s7, vcc_lo
	s_cbranch_execz .LBB364_53
; %bb.52:                               ;   in Loop: Header=BB364_29 Depth=1
	v_cmp_gt_i32_e64 s0, s27, v87
	s_wait_alu 0xf1ff
	s_delay_alu instid0(VALU_DEP_1) | instskip(SKIP_2) | instid1(VALU_DEP_1)
	v_cndmask_b32_e64 v143, 0, v143, s0
	v_cmp_gt_i32_e64 s0, s27, v92
	s_wait_alu 0xf1ff
	v_cndmask_b32_e64 v144, 0, v144, s0
	v_cmp_gt_i32_e64 s0, s27, v91
	s_wait_alu 0xf1ff
	s_delay_alu instid0(VALU_DEP_1) | instskip(SKIP_2) | instid1(VALU_DEP_1)
	v_cndmask_b32_e64 v141, 0, v141, s0
	v_cmp_gt_i32_e64 s0, s27, v90
	s_wait_alu 0xf1ff
	v_cndmask_b32_e64 v142, 0, v142, s0
	;; [unrolled: 7-line block ×4, first 2 shown]
.LBB364_53:                             ;   in Loop: Header=BB364_29 Depth=1
	s_wait_alu 0xfffe
	s_or_b32 exec_lo, exec_lo, s7
	global_load_b64 v[15:16], v[13:14], off offset:3072
	s_wait_loadcnt 0x0
	v_bfe_u32 v145, v16, 8, 8
	v_bfe_u32 v118, v15, 8, 8
	;; [unrolled: 1-line block ×4, first 2 shown]
	s_delay_alu instid0(VALU_DEP_4)
	v_cvt_f32_fp8_e32 v145, v145
	v_and_b32_e32 v0, 0xff, v15
	v_lshrrev_b32_e32 v15, 24, v15
	v_cvt_f32_fp8_e32 v118, v118
	v_cvt_f32_fp8_e32 v119, v119
	v_mul_f32_e32 v145, s2, v145
	v_cvt_f32_fp8_e32 v0, v0
	v_cvt_f32_fp8_e32 v15, v15
	v_mul_f32_e32 v118, s2, v118
	v_dual_mul_f32 v119, s2, v119 :: v_dual_and_b32 v120, 0xff, v16
	s_delay_alu instid0(VALU_DEP_3) | instskip(NEXT) | instid1(VALU_DEP_3)
	v_dual_mul_f32 v0, s2, v0 :: v_dual_mul_f32 v15, s2, v15
	v_bfe_u32 v149, v118, 16, 1
	s_delay_alu instid0(VALU_DEP_3) | instskip(SKIP_1) | instid1(VALU_DEP_4)
	v_cvt_f32_fp8_e32 v120, v120
	v_or_b32_e32 v150, 0x400000, v118
	v_bfe_u32 v147, v0, 16, 1
	v_or_b32_e32 v148, 0x400000, v0
	v_cmp_u_f32_e64 s0, v0, v0
	v_bfe_u32 v151, v119, 16, 1
	v_add3_u32 v149, v149, v118, 0x7fff
	v_add3_u32 v147, v147, v0, 0x7fff
	v_mul_f32_e32 v120, s2, v120
	v_or_b32_e32 v152, 0x400000, v119
	v_bfe_u32 v153, v15, 16, 1
	v_add3_u32 v151, v151, v119, 0x7fff
	s_wait_alu 0xf1ff
	v_cndmask_b32_e64 v0, v147, v148, s0
	v_cmp_u_f32_e64 s0, v118, v118
	v_lshrrev_b32_e32 v16, 24, v16
	v_cvt_f32_fp8_e32 v146, v146
	v_or_b32_e32 v154, 0x400000, v15
	v_bfe_u32 v155, v120, 16, 1
	s_wait_alu 0xf1ff
	v_cndmask_b32_e64 v118, v149, v150, s0
	v_cmp_u_f32_e64 s0, v119, v119
	v_add3_u32 v153, v153, v15, 0x7fff
	v_cvt_f32_fp8_e32 v16, v16
	v_mul_f32_e32 v146, s2, v146
	v_or_b32_e32 v156, 0x400000, v120
	s_wait_alu 0xf1ff
	v_cndmask_b32_e64 v119, v151, v152, s0
	v_cmp_u_f32_e64 s0, v15, v15
	v_bfe_u32 v157, v145, 16, 1
	v_add3_u32 v155, v155, v120, 0x7fff
	v_mul_f32_e32 v16, s2, v16
	v_or_b32_e32 v158, 0x400000, v145
	s_wait_alu 0xf1ff
	v_cndmask_b32_e64 v15, v153, v154, s0
	v_cmp_u_f32_e64 s0, v120, v120
	v_bfe_u32 v159, v146, 16, 1
	v_add3_u32 v157, v157, v145, 0x7fff
	v_or_b32_e32 v160, 0x400000, v146
	v_bfe_u32 v161, v16, 16, 1
	s_wait_alu 0xf1ff
	v_cndmask_b32_e64 v120, v155, v156, s0
	v_cmp_u_f32_e64 s0, v145, v145
	v_add3_u32 v159, v159, v146, 0x7fff
	v_or_b32_e32 v162, 0x400000, v16
	v_add3_u32 v161, v161, v16, 0x7fff
	v_lshrrev_b32_e32 v151, 16, v0
	s_wait_alu 0xf1ff
	v_cndmask_b32_e64 v145, v157, v158, s0
	v_cmp_u_f32_e64 s0, v146, v146
	v_lshrrev_b32_e32 v152, 16, v118
	v_lshrrev_b32_e32 v149, 16, v119
	;; [unrolled: 1-line block ×4, first 2 shown]
	s_wait_alu 0xf1ff
	v_cndmask_b32_e64 v146, v159, v160, s0
	v_cmp_u_f32_e64 s0, v16, v16
	v_lshrrev_b32_e32 v148, 16, v145
	s_delay_alu instid0(VALU_DEP_3) | instskip(SKIP_1) | instid1(VALU_DEP_3)
	v_lshrrev_b32_e32 v145, 16, v146
	s_wait_alu 0xf1ff
	v_cndmask_b32_e64 v16, v161, v162, s0
	s_delay_alu instid0(VALU_DEP_1)
	v_lshrrev_b32_e32 v146, 16, v16
	s_and_saveexec_b32 s7, vcc_lo
	s_cbranch_execz .LBB364_55
; %bb.54:                               ;   in Loop: Header=BB364_29 Depth=1
	v_cmp_gt_i32_e64 s0, s27, v87
	s_wait_alu 0xf1ff
	s_delay_alu instid0(VALU_DEP_1) | instskip(SKIP_2) | instid1(VALU_DEP_1)
	v_cndmask_b32_e64 v151, 0, v151, s0
	v_cmp_gt_i32_e64 s0, s27, v92
	s_wait_alu 0xf1ff
	v_cndmask_b32_e64 v152, 0, v152, s0
	v_cmp_gt_i32_e64 s0, s27, v91
	s_wait_alu 0xf1ff
	s_delay_alu instid0(VALU_DEP_1) | instskip(SKIP_2) | instid1(VALU_DEP_1)
	v_cndmask_b32_e64 v149, 0, v149, s0
	v_cmp_gt_i32_e64 s0, s27, v90
	s_wait_alu 0xf1ff
	v_cndmask_b32_e64 v150, 0, v150, s0
	;; [unrolled: 7-line block ×4, first 2 shown]
.LBB364_55:                             ;   in Loop: Header=BB364_29 Depth=1
	s_wait_alu 0xfffe
	s_or_b32 exec_lo, exec_lo, s7
	global_load_b64 v[15:16], v[13:14], off offset:3328
	s_wait_loadcnt 0x0
	v_bfe_u32 v153, v16, 8, 8
	v_bfe_u32 v118, v15, 8, 8
	;; [unrolled: 1-line block ×4, first 2 shown]
	s_delay_alu instid0(VALU_DEP_4)
	v_cvt_f32_fp8_e32 v153, v153
	v_and_b32_e32 v0, 0xff, v15
	v_lshrrev_b32_e32 v15, 24, v15
	v_cvt_f32_fp8_e32 v118, v118
	v_cvt_f32_fp8_e32 v119, v119
	v_mul_f32_e32 v153, s2, v153
	v_cvt_f32_fp8_e32 v0, v0
	v_cvt_f32_fp8_e32 v15, v15
	v_mul_f32_e32 v118, s2, v118
	v_dual_mul_f32 v119, s2, v119 :: v_dual_and_b32 v120, 0xff, v16
	s_delay_alu instid0(VALU_DEP_3) | instskip(NEXT) | instid1(VALU_DEP_3)
	v_dual_mul_f32 v0, s2, v0 :: v_dual_mul_f32 v15, s2, v15
	v_bfe_u32 v157, v118, 16, 1
	s_delay_alu instid0(VALU_DEP_3) | instskip(SKIP_1) | instid1(VALU_DEP_4)
	v_cvt_f32_fp8_e32 v120, v120
	v_or_b32_e32 v158, 0x400000, v118
	v_bfe_u32 v155, v0, 16, 1
	v_or_b32_e32 v156, 0x400000, v0
	v_cmp_u_f32_e64 s0, v0, v0
	v_bfe_u32 v159, v119, 16, 1
	v_add3_u32 v157, v157, v118, 0x7fff
	v_add3_u32 v155, v155, v0, 0x7fff
	v_mul_f32_e32 v120, s2, v120
	v_or_b32_e32 v160, 0x400000, v119
	v_bfe_u32 v161, v15, 16, 1
	v_add3_u32 v159, v159, v119, 0x7fff
	s_wait_alu 0xf1ff
	v_cndmask_b32_e64 v0, v155, v156, s0
	v_cmp_u_f32_e64 s0, v118, v118
	v_lshrrev_b32_e32 v16, 24, v16
	v_cvt_f32_fp8_e32 v154, v154
	v_or_b32_e32 v162, 0x400000, v15
	v_bfe_u32 v163, v120, 16, 1
	s_wait_alu 0xf1ff
	v_cndmask_b32_e64 v118, v157, v158, s0
	v_cmp_u_f32_e64 s0, v119, v119
	v_add3_u32 v161, v161, v15, 0x7fff
	v_cvt_f32_fp8_e32 v16, v16
	v_mul_f32_e32 v154, s2, v154
	v_or_b32_e32 v164, 0x400000, v120
	s_wait_alu 0xf1ff
	v_cndmask_b32_e64 v119, v159, v160, s0
	v_cmp_u_f32_e64 s0, v15, v15
	v_bfe_u32 v165, v153, 16, 1
	v_add3_u32 v163, v163, v120, 0x7fff
	v_mul_f32_e32 v16, s2, v16
	v_or_b32_e32 v166, 0x400000, v153
	s_wait_alu 0xf1ff
	v_cndmask_b32_e64 v15, v161, v162, s0
	v_cmp_u_f32_e64 s0, v120, v120
	v_bfe_u32 v167, v154, 16, 1
	v_add3_u32 v165, v165, v153, 0x7fff
	v_or_b32_e32 v168, 0x400000, v154
	v_bfe_u32 v169, v16, 16, 1
	s_wait_alu 0xf1ff
	v_cndmask_b32_e64 v120, v163, v164, s0
	v_cmp_u_f32_e64 s0, v153, v153
	v_add3_u32 v167, v167, v154, 0x7fff
	v_or_b32_e32 v170, 0x400000, v16
	v_add3_u32 v169, v169, v16, 0x7fff
	v_lshrrev_b32_e32 v159, 16, v0
	s_wait_alu 0xf1ff
	v_cndmask_b32_e64 v153, v165, v166, s0
	v_cmp_u_f32_e64 s0, v154, v154
	v_lshrrev_b32_e32 v160, 16, v118
	v_lshrrev_b32_e32 v157, 16, v119
	;; [unrolled: 1-line block ×4, first 2 shown]
	s_wait_alu 0xf1ff
	v_cndmask_b32_e64 v154, v167, v168, s0
	v_cmp_u_f32_e64 s0, v16, v16
	v_lshrrev_b32_e32 v156, 16, v153
	s_delay_alu instid0(VALU_DEP_3) | instskip(SKIP_1) | instid1(VALU_DEP_3)
	v_lshrrev_b32_e32 v153, 16, v154
	s_wait_alu 0xf1ff
	v_cndmask_b32_e64 v16, v169, v170, s0
	s_delay_alu instid0(VALU_DEP_1)
	v_lshrrev_b32_e32 v154, 16, v16
	s_and_saveexec_b32 s7, vcc_lo
	s_cbranch_execz .LBB364_57
; %bb.56:                               ;   in Loop: Header=BB364_29 Depth=1
	v_cmp_gt_i32_e64 s0, s27, v87
	s_wait_alu 0xf1ff
	s_delay_alu instid0(VALU_DEP_1) | instskip(SKIP_2) | instid1(VALU_DEP_1)
	v_cndmask_b32_e64 v159, 0, v159, s0
	v_cmp_gt_i32_e64 s0, s27, v92
	s_wait_alu 0xf1ff
	v_cndmask_b32_e64 v160, 0, v160, s0
	v_cmp_gt_i32_e64 s0, s27, v91
	s_wait_alu 0xf1ff
	s_delay_alu instid0(VALU_DEP_1) | instskip(SKIP_2) | instid1(VALU_DEP_1)
	v_cndmask_b32_e64 v157, 0, v157, s0
	v_cmp_gt_i32_e64 s0, s27, v90
	s_wait_alu 0xf1ff
	v_cndmask_b32_e64 v158, 0, v158, s0
	;; [unrolled: 7-line block ×4, first 2 shown]
.LBB364_57:                             ;   in Loop: Header=BB364_29 Depth=1
	s_wait_alu 0xfffe
	s_or_b32 exec_lo, exec_lo, s7
	global_load_b64 v[15:16], v[13:14], off offset:3584
	s_wait_loadcnt 0x0
	v_bfe_u32 v161, v16, 8, 8
	v_bfe_u32 v118, v15, 8, 8
	;; [unrolled: 1-line block ×4, first 2 shown]
	s_delay_alu instid0(VALU_DEP_4)
	v_cvt_f32_fp8_e32 v161, v161
	v_and_b32_e32 v0, 0xff, v15
	v_lshrrev_b32_e32 v15, 24, v15
	v_cvt_f32_fp8_e32 v118, v118
	v_cvt_f32_fp8_e32 v119, v119
	v_mul_f32_e32 v161, s2, v161
	v_cvt_f32_fp8_e32 v0, v0
	v_cvt_f32_fp8_e32 v15, v15
	v_mul_f32_e32 v118, s2, v118
	v_dual_mul_f32 v119, s2, v119 :: v_dual_and_b32 v120, 0xff, v16
	s_delay_alu instid0(VALU_DEP_3) | instskip(NEXT) | instid1(VALU_DEP_3)
	v_dual_mul_f32 v0, s2, v0 :: v_dual_mul_f32 v15, s2, v15
	v_bfe_u32 v165, v118, 16, 1
	s_delay_alu instid0(VALU_DEP_3) | instskip(SKIP_1) | instid1(VALU_DEP_4)
	v_cvt_f32_fp8_e32 v120, v120
	v_or_b32_e32 v166, 0x400000, v118
	v_bfe_u32 v163, v0, 16, 1
	v_or_b32_e32 v164, 0x400000, v0
	v_cmp_u_f32_e64 s0, v0, v0
	v_bfe_u32 v167, v119, 16, 1
	v_add3_u32 v165, v165, v118, 0x7fff
	v_add3_u32 v163, v163, v0, 0x7fff
	v_mul_f32_e32 v120, s2, v120
	v_or_b32_e32 v168, 0x400000, v119
	v_bfe_u32 v169, v15, 16, 1
	v_add3_u32 v167, v167, v119, 0x7fff
	s_wait_alu 0xf1ff
	v_cndmask_b32_e64 v0, v163, v164, s0
	v_cmp_u_f32_e64 s0, v118, v118
	v_lshrrev_b32_e32 v16, 24, v16
	v_cvt_f32_fp8_e32 v162, v162
	v_or_b32_e32 v170, 0x400000, v15
	v_bfe_u32 v171, v120, 16, 1
	s_wait_alu 0xf1ff
	v_cndmask_b32_e64 v118, v165, v166, s0
	v_cmp_u_f32_e64 s0, v119, v119
	v_add3_u32 v169, v169, v15, 0x7fff
	v_cvt_f32_fp8_e32 v16, v16
	v_mul_f32_e32 v162, s2, v162
	v_or_b32_e32 v172, 0x400000, v120
	s_wait_alu 0xf1ff
	v_cndmask_b32_e64 v119, v167, v168, s0
	v_cmp_u_f32_e64 s0, v15, v15
	v_bfe_u32 v173, v161, 16, 1
	v_add3_u32 v171, v171, v120, 0x7fff
	v_mul_f32_e32 v16, s2, v16
	v_or_b32_e32 v174, 0x400000, v161
	s_wait_alu 0xf1ff
	v_cndmask_b32_e64 v15, v169, v170, s0
	v_cmp_u_f32_e64 s0, v120, v120
	v_bfe_u32 v175, v162, 16, 1
	v_add3_u32 v173, v173, v161, 0x7fff
	v_or_b32_e32 v176, 0x400000, v162
	v_bfe_u32 v177, v16, 16, 1
	s_wait_alu 0xf1ff
	v_cndmask_b32_e64 v120, v171, v172, s0
	v_cmp_u_f32_e64 s0, v161, v161
	v_add3_u32 v175, v175, v162, 0x7fff
	v_or_b32_e32 v178, 0x400000, v16
	v_add3_u32 v177, v177, v16, 0x7fff
	v_lshrrev_b32_e32 v167, 16, v0
	s_wait_alu 0xf1ff
	v_cndmask_b32_e64 v161, v173, v174, s0
	v_cmp_u_f32_e64 s0, v162, v162
	v_lshrrev_b32_e32 v168, 16, v118
	v_lshrrev_b32_e32 v165, 16, v119
	;; [unrolled: 1-line block ×4, first 2 shown]
	s_wait_alu 0xf1ff
	v_cndmask_b32_e64 v162, v175, v176, s0
	v_cmp_u_f32_e64 s0, v16, v16
	v_lshrrev_b32_e32 v164, 16, v161
	s_delay_alu instid0(VALU_DEP_3) | instskip(SKIP_1) | instid1(VALU_DEP_3)
	v_lshrrev_b32_e32 v161, 16, v162
	s_wait_alu 0xf1ff
	v_cndmask_b32_e64 v16, v177, v178, s0
	s_delay_alu instid0(VALU_DEP_1)
	v_lshrrev_b32_e32 v162, 16, v16
	s_and_saveexec_b32 s7, vcc_lo
	s_cbranch_execz .LBB364_59
; %bb.58:                               ;   in Loop: Header=BB364_29 Depth=1
	v_cmp_gt_i32_e64 s0, s27, v87
	s_wait_alu 0xf1ff
	s_delay_alu instid0(VALU_DEP_1) | instskip(SKIP_2) | instid1(VALU_DEP_1)
	v_cndmask_b32_e64 v167, 0, v167, s0
	v_cmp_gt_i32_e64 s0, s27, v92
	s_wait_alu 0xf1ff
	v_cndmask_b32_e64 v168, 0, v168, s0
	v_cmp_gt_i32_e64 s0, s27, v91
	s_wait_alu 0xf1ff
	s_delay_alu instid0(VALU_DEP_1) | instskip(SKIP_2) | instid1(VALU_DEP_1)
	v_cndmask_b32_e64 v165, 0, v165, s0
	v_cmp_gt_i32_e64 s0, s27, v90
	s_wait_alu 0xf1ff
	v_cndmask_b32_e64 v166, 0, v166, s0
	v_cmp_gt_i32_e64 s0, s27, v89
	s_wait_alu 0xf1ff
	s_delay_alu instid0(VALU_DEP_1) | instskip(SKIP_2) | instid1(VALU_DEP_1)
	v_cndmask_b32_e64 v163, 0, v163, s0
	v_cmp_gt_i32_e64 s0, s27, v88
	s_wait_alu 0xf1ff
	v_cndmask_b32_e64 v164, 0, v164, s0
	v_cmp_gt_i32_e64 s0, s27, v95
	s_wait_alu 0xf1ff
	s_delay_alu instid0(VALU_DEP_1) | instskip(SKIP_2) | instid1(VALU_DEP_1)
	v_cndmask_b32_e64 v161, 0, v161, s0
	v_cmp_gt_i32_e64 s0, s27, v37
	s_wait_alu 0xf1ff
	v_cndmask_b32_e64 v162, 0, v162, s0
.LBB364_59:                             ;   in Loop: Header=BB364_29 Depth=1
	s_wait_alu 0xfffe
	s_or_b32 exec_lo, exec_lo, s7
	global_load_b64 v[13:14], v[13:14], off offset:3840
	s_wait_loadcnt 0x0
	v_bfe_u32 v15, v13, 8, 8
	v_bfe_u32 v119, v14, 8, 8
	;; [unrolled: 1-line block ×4, first 2 shown]
	s_delay_alu instid0(VALU_DEP_4)
	v_cvt_f32_fp8_e32 v15, v15
	v_and_b32_e32 v0, 0xff, v13
	v_cvt_f32_fp8_e32 v119, v119
	v_lshrrev_b32_e32 v13, 24, v13
	v_cvt_f32_fp8_e32 v16, v16
	v_mul_f32_e32 v15, s2, v15
	v_cvt_f32_fp8_e32 v0, v0
	v_cvt_f32_fp8_e32 v120, v120
	;; [unrolled: 1-line block ×3, first 2 shown]
	v_dual_mul_f32 v119, s2, v119 :: v_dual_and_b32 v118, 0xff, v14
	s_delay_alu instid0(VALU_DEP_4)
	v_mul_f32_e32 v0, s2, v0
	v_mul_f32_e32 v16, s2, v16
	v_bfe_u32 v171, v15, 16, 1
	v_mul_f32_e32 v13, s2, v13
	v_cvt_f32_fp8_e32 v118, v118
	v_bfe_u32 v169, v0, 16, 1
	v_or_b32_e32 v170, 0x400000, v0
	v_cmp_u_f32_e64 s0, v0, v0
	v_or_b32_e32 v172, 0x400000, v15
	v_bfe_u32 v173, v16, 16, 1
	v_add3_u32 v169, v169, v0, 0x7fff
	v_add3_u32 v171, v171, v15, 0x7fff
	v_mul_f32_e32 v118, s2, v118
	v_or_b32_e32 v174, 0x400000, v16
	v_bfe_u32 v175, v13, 16, 1
	s_wait_alu 0xf1ff
	v_cndmask_b32_e64 v0, v169, v170, s0
	v_cmp_u_f32_e64 s0, v15, v15
	v_add3_u32 v173, v173, v16, 0x7fff
	v_lshrrev_b32_e32 v14, 24, v14
	v_or_b32_e32 v176, 0x400000, v13
	v_bfe_u32 v177, v118, 16, 1
	s_wait_alu 0xf1ff
	v_cndmask_b32_e64 v15, v171, v172, s0
	v_cmp_u_f32_e64 s0, v16, v16
	v_add3_u32 v175, v175, v13, 0x7fff
	v_cvt_f32_fp8_e32 v14, v14
	v_mul_f32_e32 v120, s2, v120
	v_or_b32_e32 v178, 0x400000, v118
	s_wait_alu 0xf1ff
	v_cndmask_b32_e64 v16, v173, v174, s0
	v_cmp_u_f32_e64 s0, v13, v13
	v_bfe_u32 v179, v119, 16, 1
	v_add3_u32 v177, v177, v118, 0x7fff
	v_mul_f32_e32 v14, s2, v14
	v_or_b32_e32 v180, 0x400000, v119
	s_wait_alu 0xf1ff
	v_cndmask_b32_e64 v13, v175, v176, s0
	v_cmp_u_f32_e64 s0, v118, v118
	v_bfe_u32 v181, v120, 16, 1
	v_add3_u32 v179, v179, v119, 0x7fff
	v_or_b32_e32 v182, 0x400000, v120
	v_bfe_u32 v183, v14, 16, 1
	s_wait_alu 0xf1ff
	v_cndmask_b32_e64 v169, v177, v178, s0
	v_cmp_u_f32_e64 s0, v119, v119
	v_add3_u32 v181, v181, v120, 0x7fff
	v_or_b32_e32 v184, 0x400000, v14
	v_add3_u32 v183, v183, v14, 0x7fff
	v_lshrrev_b32_e32 v119, 16, v15
	s_wait_alu 0xf1ff
	v_cndmask_b32_e64 v170, v179, v180, s0
	v_cmp_u_f32_e64 s0, v120, v120
	v_lshrrev_b32_e32 v120, 16, v0
	v_lshrrev_b32_e32 v118, 16, v16
	;; [unrolled: 1-line block ×4, first 2 shown]
	s_wait_alu 0xf1ff
	v_cndmask_b32_e64 v171, v181, v182, s0
	v_cmp_u_f32_e64 s0, v14, v14
	v_lshrrev_b32_e32 v14, 16, v170
	s_delay_alu instid0(VALU_DEP_3) | instskip(SKIP_1) | instid1(VALU_DEP_3)
	v_lshrrev_b32_e32 v13, 16, v171
	s_wait_alu 0xf1ff
	v_cndmask_b32_e64 v172, v183, v184, s0
	s_delay_alu instid0(VALU_DEP_1)
	v_lshrrev_b32_e32 v0, 16, v172
	s_and_saveexec_b32 s0, vcc_lo
	s_cbranch_execz .LBB364_28
; %bb.60:                               ;   in Loop: Header=BB364_29 Depth=1
	v_cmp_gt_i32_e32 vcc_lo, s27, v87
	s_wait_alu 0xfffd
	v_cndmask_b32_e32 v120, 0, v120, vcc_lo
	v_cmp_gt_i32_e32 vcc_lo, s27, v92
	s_wait_alu 0xfffd
	v_cndmask_b32_e32 v119, 0, v119, vcc_lo
	;; [unrolled: 3-line block ×8, first 2 shown]
	s_branch .LBB364_28
.LBB364_61:
	s_or_b32 exec_lo, exec_lo, s6
.LBB364_62:
	s_wait_alu 0xfffe
	s_or_b32 exec_lo, exec_lo, s1
	ds_bpermute_b32 v0, v19, v34
	ds_bpermute_b32 v1, v19, v36
	;; [unrolled: 1-line block ×16, first 2 shown]
	s_mov_b32 s0, exec_lo
	s_wait_storecnt 0x0
	s_wait_loadcnt_dscnt 0x0
	s_barrier_signal -1
	s_barrier_wait -1
	v_dual_add_f32 v0, v34, v0 :: v_dual_add_f32 v1, v36, v1
	v_dual_add_f32 v2, v35, v2 :: v_dual_add_f32 v3, v33, v3
	;; [unrolled: 1-line block ×3, first 2 shown]
	ds_bpermute_b32 v16, v18, v0
	ds_bpermute_b32 v17, v18, v1
	v_dual_add_f32 v6, v30, v6 :: v_dual_add_f32 v7, v29, v7
	v_dual_add_f32 v28, v28, v8 :: v_dual_add_f32 v27, v27, v9
	;; [unrolled: 1-line block ×5, first 2 shown]
	ds_bpermute_b32 v19, v18, v2
	ds_bpermute_b32 v31, v18, v3
	;; [unrolled: 1-line block ×14, first 2 shown]
	s_wait_dscnt 0xe
	v_dual_add_f32 v15, v0, v16 :: v_dual_add_f32 v14, v1, v17
	v_and_b32_e32 v17, 28, v187
	v_lshrrev_b32_e32 v16, 2, v187
	s_wait_dscnt 0x0
	global_inv scope:SCOPE_SE
	v_add_f32_e32 v13, v2, v19
	v_dual_add_f32 v12, v3, v31 :: v_dual_add_f32 v11, v4, v30
	v_dual_add_f32 v10, v5, v29 :: v_dual_add_f32 v9, v6, v8
	;; [unrolled: 1-line block ×6, first 2 shown]
	v_dual_add_f32 v2, v21, v18 :: v_dual_and_b32 v19, 0x3c3, v185
	v_add_nc_u32_e32 v17, 0x120, v17
	v_lshlrev_b32_e32 v18, 9, v186
	s_delay_alu instid0(VALU_DEP_3)
	v_cmpx_eq_u32_e32 64, v19
	s_cbranch_execz .LBB364_64
; %bb.63:
	s_delay_alu instid0(VALU_DEP_2) | instskip(NEXT) | instid1(VALU_DEP_1)
	v_add_nc_u32_e32 v19, v17, v18
	v_add_nc_u32_e32 v21, 0xfffffc00, v19
	;; [unrolled: 1-line block ×9, first 2 shown]
	ds_store_b32 v21, v15
	ds_store_b32 v22, v14
	;; [unrolled: 1-line block ×8, first 2 shown]
	v_add_nc_u32_e32 v21, 0xfffffd00, v19
	v_add_nc_u32_e32 v22, 0xfffffd20, v19
	;; [unrolled: 1-line block ×8, first 2 shown]
	ds_store_b32 v21, v7
	ds_store_b32 v22, v6
	;; [unrolled: 1-line block ×8, first 2 shown]
.LBB364_64:
	s_wait_alu 0xfffe
	s_or_b32 exec_lo, exec_lo, s0
	v_lshlrev_b32_e32 v16, 2, v16
	s_mov_b32 s1, exec_lo
	v_cmp_eq_u32_e32 vcc_lo, 0, v20
	s_wait_loadcnt_dscnt 0x0
	s_barrier_signal -1
	v_add3_u32 v16, 0x120, v18, v16
	s_barrier_wait -1
	global_inv scope:SCOPE_SE
	v_cmpx_gt_u32_e32 64, v185
	s_cbranch_execz .LBB364_83
; %bb.65:
	s_and_saveexec_b32 s0, vcc_lo
	s_cbranch_execnz .LBB364_107
; %bb.66:
	s_wait_alu 0xfffe
	s_or_b32 exec_lo, exec_lo, s0
	s_and_saveexec_b32 s0, vcc_lo
	s_cbranch_execnz .LBB364_108
.LBB364_67:
	s_wait_alu 0xfffe
	s_or_b32 exec_lo, exec_lo, s0
	s_and_saveexec_b32 s0, vcc_lo
	s_cbranch_execnz .LBB364_109
.LBB364_68:
	s_wait_alu 0xfffe
	s_or_b32 exec_lo, exec_lo, s0
	s_and_saveexec_b32 s0, vcc_lo
	s_cbranch_execnz .LBB364_110
.LBB364_69:
	s_wait_alu 0xfffe
	s_or_b32 exec_lo, exec_lo, s0
	s_and_saveexec_b32 s0, vcc_lo
	s_cbranch_execnz .LBB364_111
.LBB364_70:
	s_wait_alu 0xfffe
	s_or_b32 exec_lo, exec_lo, s0
	s_and_saveexec_b32 s0, vcc_lo
	s_cbranch_execnz .LBB364_112
.LBB364_71:
	s_wait_alu 0xfffe
	s_or_b32 exec_lo, exec_lo, s0
	s_and_saveexec_b32 s0, vcc_lo
	s_cbranch_execnz .LBB364_113
.LBB364_72:
	s_wait_alu 0xfffe
	s_or_b32 exec_lo, exec_lo, s0
	s_and_saveexec_b32 s0, vcc_lo
	s_cbranch_execnz .LBB364_114
.LBB364_73:
	s_wait_alu 0xfffe
	s_or_b32 exec_lo, exec_lo, s0
	s_and_saveexec_b32 s0, vcc_lo
	s_cbranch_execnz .LBB364_115
.LBB364_74:
	s_wait_alu 0xfffe
	s_or_b32 exec_lo, exec_lo, s0
	s_and_saveexec_b32 s0, vcc_lo
	s_cbranch_execnz .LBB364_116
.LBB364_75:
	s_wait_alu 0xfffe
	s_or_b32 exec_lo, exec_lo, s0
	s_and_saveexec_b32 s0, vcc_lo
	s_cbranch_execnz .LBB364_117
.LBB364_76:
	s_wait_alu 0xfffe
	s_or_b32 exec_lo, exec_lo, s0
	s_and_saveexec_b32 s0, vcc_lo
	s_cbranch_execnz .LBB364_118
.LBB364_77:
	s_wait_alu 0xfffe
	s_or_b32 exec_lo, exec_lo, s0
	s_and_saveexec_b32 s0, vcc_lo
	s_cbranch_execnz .LBB364_119
.LBB364_78:
	s_wait_alu 0xfffe
	s_or_b32 exec_lo, exec_lo, s0
	s_and_saveexec_b32 s0, vcc_lo
	s_cbranch_execnz .LBB364_120
.LBB364_79:
	s_wait_alu 0xfffe
	s_or_b32 exec_lo, exec_lo, s0
	s_and_saveexec_b32 s0, vcc_lo
	s_cbranch_execnz .LBB364_121
.LBB364_80:
	s_wait_alu 0xfffe
	s_or_b32 exec_lo, exec_lo, s0
	s_and_saveexec_b32 s0, vcc_lo
	s_cbranch_execz .LBB364_82
.LBB364_81:
	ds_load_b32 v18, v16 offset:480
	s_wait_dscnt 0x0
	v_add_f32_e32 v2, v2, v18
.LBB364_82:
	s_wait_alu 0xfffe
	s_or_b32 exec_lo, exec_lo, s0
.LBB364_83:
	s_wait_alu 0xfffe
	s_or_b32 exec_lo, exec_lo, s1
	v_and_b32_e32 v18, 0x3e3, v185
	s_mov_b32 s1, exec_lo
	s_wait_loadcnt 0x0
	s_barrier_signal -1
	s_barrier_wait -1
	global_inv scope:SCOPE_SE
	v_cmpx_eq_u32_e32 32, v18
	s_cbranch_execz .LBB364_85
; %bb.84:
	ds_store_2addr_b32 v17, v15, v14 offset1:8
	ds_store_2addr_b32 v17, v13, v12 offset0:16 offset1:24
	ds_store_2addr_b32 v17, v11, v10 offset0:32 offset1:40
	;; [unrolled: 1-line block ×7, first 2 shown]
.LBB364_85:
	s_wait_alu 0xfffe
	s_or_b32 exec_lo, exec_lo, s1
	s_delay_alu instid0(SALU_CYCLE_1)
	s_mov_b32 s1, exec_lo
	s_wait_loadcnt_dscnt 0x0
	s_barrier_signal -1
	s_barrier_wait -1
	global_inv scope:SCOPE_SE
	v_cmpx_gt_u32_e32 32, v185
	s_cbranch_execz .LBB364_104
; %bb.86:
	s_and_saveexec_b32 s0, vcc_lo
	s_cbranch_execnz .LBB364_122
; %bb.87:
	s_wait_alu 0xfffe
	s_or_b32 exec_lo, exec_lo, s0
	s_and_saveexec_b32 s0, vcc_lo
	s_cbranch_execnz .LBB364_123
.LBB364_88:
	s_wait_alu 0xfffe
	s_or_b32 exec_lo, exec_lo, s0
	s_and_saveexec_b32 s0, vcc_lo
	s_cbranch_execnz .LBB364_124
.LBB364_89:
	s_wait_alu 0xfffe
	s_or_b32 exec_lo, exec_lo, s0
	s_and_saveexec_b32 s0, vcc_lo
	s_cbranch_execnz .LBB364_125
.LBB364_90:
	s_wait_alu 0xfffe
	s_or_b32 exec_lo, exec_lo, s0
	s_and_saveexec_b32 s0, vcc_lo
	s_cbranch_execnz .LBB364_126
.LBB364_91:
	s_wait_alu 0xfffe
	s_or_b32 exec_lo, exec_lo, s0
	s_and_saveexec_b32 s0, vcc_lo
	s_cbranch_execnz .LBB364_127
.LBB364_92:
	s_wait_alu 0xfffe
	s_or_b32 exec_lo, exec_lo, s0
	s_and_saveexec_b32 s0, vcc_lo
	s_cbranch_execnz .LBB364_128
.LBB364_93:
	s_wait_alu 0xfffe
	s_or_b32 exec_lo, exec_lo, s0
	s_and_saveexec_b32 s0, vcc_lo
	s_cbranch_execnz .LBB364_129
.LBB364_94:
	s_wait_alu 0xfffe
	s_or_b32 exec_lo, exec_lo, s0
	s_and_saveexec_b32 s0, vcc_lo
	s_cbranch_execnz .LBB364_130
.LBB364_95:
	s_wait_alu 0xfffe
	s_or_b32 exec_lo, exec_lo, s0
	s_and_saveexec_b32 s0, vcc_lo
	s_cbranch_execnz .LBB364_131
.LBB364_96:
	s_wait_alu 0xfffe
	s_or_b32 exec_lo, exec_lo, s0
	s_and_saveexec_b32 s0, vcc_lo
	s_cbranch_execnz .LBB364_132
.LBB364_97:
	s_wait_alu 0xfffe
	s_or_b32 exec_lo, exec_lo, s0
	s_and_saveexec_b32 s0, vcc_lo
	s_cbranch_execnz .LBB364_133
.LBB364_98:
	s_wait_alu 0xfffe
	s_or_b32 exec_lo, exec_lo, s0
	s_and_saveexec_b32 s0, vcc_lo
	s_cbranch_execnz .LBB364_134
.LBB364_99:
	s_wait_alu 0xfffe
	s_or_b32 exec_lo, exec_lo, s0
	s_and_saveexec_b32 s0, vcc_lo
	s_cbranch_execnz .LBB364_135
.LBB364_100:
	s_wait_alu 0xfffe
	s_or_b32 exec_lo, exec_lo, s0
	s_and_saveexec_b32 s0, vcc_lo
	s_cbranch_execnz .LBB364_136
.LBB364_101:
	s_wait_alu 0xfffe
	s_or_b32 exec_lo, exec_lo, s0
	s_and_saveexec_b32 s0, vcc_lo
	s_cbranch_execz .LBB364_103
.LBB364_102:
	ds_load_b32 v16, v16 offset:480
	s_wait_dscnt 0x0
	v_add_f32_e32 v2, v2, v16
.LBB364_103:
	s_wait_alu 0xfffe
	s_or_b32 exec_lo, exec_lo, s0
.LBB364_104:
	s_wait_alu 0xfffe
	s_or_b32 exec_lo, exec_lo, s1
	s_mov_b32 s1, 0
	s_wait_loadcnt 0x0
	s_barrier_signal -1
	s_barrier_wait -1
	global_inv scope:SCOPE_SE
	s_mov_b32 s0, exec_lo
	v_cmpx_eq_u32_e32 0, v18
	s_cbranch_execz .LBB364_106
; %bb.105:
	v_bfe_u32 v16, v15, 16, 1
	v_bfe_u32 v17, v14, 16, 1
	v_or_b32_e32 v19, 0x400000, v15
	v_cmp_u_f32_e32 vcc_lo, v15, v15
	v_or_b32_e32 v20, 0x400000, v14
	v_add3_u32 v16, v16, v15, 0x7fff
	v_add3_u32 v17, v17, v14, 0x7fff
	v_bfe_u32 v21, v13, 16, 1
	s_lshl_b32 s2, s14, 7
	s_mul_i32 s6, s12, s16
	s_wait_alu 0xfffd
	v_cndmask_b32_e32 v15, v16, v19, vcc_lo
	v_cmp_u_f32_e32 vcc_lo, v14, v14
	v_bfe_u32 v16, v12, 16, 1
	v_or_b32_e32 v19, 0x400000, v13
	s_wait_alu 0xfffe
	s_ashr_i32 s3, s2, 31
	s_ashr_i32 s7, s6, 31
	s_wait_alu 0xfffd
	v_cndmask_b32_e32 v14, v17, v20, vcc_lo
	v_add3_u32 v17, v21, v13, 0x7fff
	v_cmp_u_f32_e32 vcc_lo, v13, v13
	v_bfe_u32 v20, v11, 16, 1
	v_add3_u32 v16, v16, v12, 0x7fff
	v_or_b32_e32 v21, 0x400000, v12
	s_wait_alu 0xfffe
	s_lshl_b64 s[2:3], s[2:3], 1
	s_wait_alu 0xfffd
	v_cndmask_b32_e32 v13, v17, v19, vcc_lo
	v_cmp_u_f32_e32 vcc_lo, v12, v12
	v_add3_u32 v17, v20, v11, 0x7fff
	v_or_b32_e32 v19, 0x400000, v11
	v_bfe_u32 v20, v9, 16, 1
	s_lshl_b64 s[6:7], s[6:7], 1
	s_wait_alu 0xfffd
	v_cndmask_b32_e32 v12, v16, v21, vcc_lo
	v_bfe_u32 v16, v10, 16, 1
	v_cmp_u_f32_e32 vcc_lo, v11, v11
	v_add3_u32 v20, v20, v9, 0x7fff
	v_or_b32_e32 v21, 0x400000, v9
	s_wait_kmcnt 0x0
	s_wait_alu 0xfffe
	s_add_nc_u64 s[2:3], s[4:5], s[2:3]
	v_add3_u32 v16, v16, v10, 0x7fff
	s_wait_alu 0xfffd
	v_cndmask_b32_e32 v11, v17, v19, vcc_lo
	v_or_b32_e32 v19, 0x400000, v10
	v_cmp_u_f32_e32 vcc_lo, v10, v10
	v_bfe_u32 v17, v8, 16, 1
	v_or_b32_e32 v22, 0x400000, v8
	v_lshrrev_b32_e32 v18, 1, v185
	s_wait_alu 0xfffe
	s_add_nc_u64 s[2:3], s[2:3], s[6:7]
	s_wait_alu 0xfffd
	v_cndmask_b32_e32 v10, v16, v19, vcc_lo
	v_cmp_u_f32_e32 vcc_lo, v9, v9
	v_add3_u32 v17, v17, v8, 0x7fff
	v_bfe_u32 v16, v7, 16, 1
	s_lshl_b32 s0, s26, 8
	s_wait_alu 0xfffd
	v_cndmask_b32_e32 v9, v20, v21, vcc_lo
	v_cmp_u_f32_e32 vcc_lo, v8, v8
	s_wait_alu 0xfffe
	s_add_nc_u64 s[0:1], s[2:3], s[0:1]
	s_wait_alu 0xfffd
	v_cndmask_b32_e32 v8, v17, v22, vcc_lo
	v_bfe_u32 v17, v6, 16, 1
	s_clause 0x7
	global_store_d16_hi_b16 v18, v15, s[0:1]
	global_store_d16_hi_b16 v18, v14, s[0:1] offset:16
	global_store_d16_hi_b16 v18, v13, s[0:1] offset:32
	;; [unrolled: 1-line block ×7, first 2 shown]
	v_add3_u32 v8, v16, v7, 0x7fff
	v_or_b32_e32 v9, 0x400000, v7
	v_cmp_u_f32_e32 vcc_lo, v7, v7
	v_add3_u32 v10, v17, v6, 0x7fff
	v_or_b32_e32 v11, 0x400000, v6
	v_bfe_u32 v12, v5, 16, 1
	v_or_b32_e32 v13, 0x400000, v2
	s_wait_alu 0xfffd
	v_cndmask_b32_e32 v7, v8, v9, vcc_lo
	v_cmp_u_f32_e32 vcc_lo, v6, v6
	v_bfe_u32 v8, v4, 16, 1
	v_add3_u32 v9, v12, v5, 0x7fff
	v_or_b32_e32 v12, 0x400000, v4
	s_wait_alu 0xfffd
	v_cndmask_b32_e32 v6, v10, v11, vcc_lo
	v_or_b32_e32 v10, 0x400000, v5
	v_cmp_u_f32_e32 vcc_lo, v5, v5
	v_bfe_u32 v11, v3, 16, 1
	v_add3_u32 v8, v8, v4, 0x7fff
	s_wait_alu 0xfffd
	v_cndmask_b32_e32 v5, v9, v10, vcc_lo
	v_cmp_u_f32_e32 vcc_lo, v4, v4
	v_add3_u32 v9, v11, v3, 0x7fff
	v_or_b32_e32 v10, 0x400000, v3
	v_bfe_u32 v11, v1, 16, 1
	s_wait_alu 0xfffd
	v_cndmask_b32_e32 v4, v8, v12, vcc_lo
	v_bfe_u32 v8, v0, 16, 1
	v_cmp_u_f32_e32 vcc_lo, v3, v3
	v_add3_u32 v11, v11, v1, 0x7fff
	v_or_b32_e32 v12, 0x400000, v1
	s_delay_alu instid0(VALU_DEP_4)
	v_add3_u32 v8, v8, v0, 0x7fff
	s_wait_alu 0xfffd
	v_cndmask_b32_e32 v3, v9, v10, vcc_lo
	v_or_b32_e32 v10, 0x400000, v0
	v_cmp_u_f32_e32 vcc_lo, v0, v0
	v_bfe_u32 v9, v2, 16, 1
	s_wait_alu 0xfffd
	s_delay_alu instid0(VALU_DEP_3) | instskip(SKIP_1) | instid1(VALU_DEP_3)
	v_cndmask_b32_e32 v0, v8, v10, vcc_lo
	v_cmp_u_f32_e32 vcc_lo, v1, v1
	v_add3_u32 v9, v9, v2, 0x7fff
	s_wait_alu 0xfffd
	v_cndmask_b32_e32 v1, v11, v12, vcc_lo
	v_cmp_u_f32_e32 vcc_lo, v2, v2
	s_wait_alu 0xfffd
	v_cndmask_b32_e32 v2, v9, v13, vcc_lo
	s_clause 0x7
	global_store_d16_hi_b16 v18, v7, s[0:1] offset:128
	global_store_d16_hi_b16 v18, v6, s[0:1] offset:144
	;; [unrolled: 1-line block ×8, first 2 shown]
.LBB364_106:
	s_nop 0
	s_sendmsg sendmsg(MSG_DEALLOC_VGPRS)
	s_endpgm
.LBB364_107:
	ds_load_b32 v18, v16
	s_wait_dscnt 0x0
	v_add_f32_e32 v15, v15, v18
	s_wait_alu 0xfffe
	s_or_b32 exec_lo, exec_lo, s0
	s_and_saveexec_b32 s0, vcc_lo
	s_cbranch_execz .LBB364_67
.LBB364_108:
	ds_load_b32 v18, v16 offset:32
	s_wait_dscnt 0x0
	v_add_f32_e32 v14, v14, v18
	s_wait_alu 0xfffe
	s_or_b32 exec_lo, exec_lo, s0
	s_and_saveexec_b32 s0, vcc_lo
	s_cbranch_execz .LBB364_68
.LBB364_109:
	ds_load_b32 v18, v16 offset:64
	s_wait_dscnt 0x0
	v_add_f32_e32 v13, v13, v18
	s_wait_alu 0xfffe
	s_or_b32 exec_lo, exec_lo, s0
	s_and_saveexec_b32 s0, vcc_lo
	s_cbranch_execz .LBB364_69
.LBB364_110:
	ds_load_b32 v18, v16 offset:96
	s_wait_dscnt 0x0
	v_add_f32_e32 v12, v12, v18
	s_wait_alu 0xfffe
	s_or_b32 exec_lo, exec_lo, s0
	s_and_saveexec_b32 s0, vcc_lo
	s_cbranch_execz .LBB364_70
.LBB364_111:
	ds_load_b32 v18, v16 offset:128
	s_wait_dscnt 0x0
	v_add_f32_e32 v11, v11, v18
	s_wait_alu 0xfffe
	s_or_b32 exec_lo, exec_lo, s0
	s_and_saveexec_b32 s0, vcc_lo
	s_cbranch_execz .LBB364_71
.LBB364_112:
	ds_load_b32 v18, v16 offset:160
	s_wait_dscnt 0x0
	v_add_f32_e32 v10, v10, v18
	s_wait_alu 0xfffe
	s_or_b32 exec_lo, exec_lo, s0
	s_and_saveexec_b32 s0, vcc_lo
	s_cbranch_execz .LBB364_72
.LBB364_113:
	ds_load_b32 v18, v16 offset:192
	s_wait_dscnt 0x0
	v_add_f32_e32 v9, v9, v18
	s_wait_alu 0xfffe
	s_or_b32 exec_lo, exec_lo, s0
	s_and_saveexec_b32 s0, vcc_lo
	s_cbranch_execz .LBB364_73
.LBB364_114:
	ds_load_b32 v18, v16 offset:224
	s_wait_dscnt 0x0
	v_add_f32_e32 v8, v8, v18
	s_wait_alu 0xfffe
	s_or_b32 exec_lo, exec_lo, s0
	s_and_saveexec_b32 s0, vcc_lo
	s_cbranch_execz .LBB364_74
.LBB364_115:
	ds_load_b32 v18, v16 offset:256
	s_wait_dscnt 0x0
	v_add_f32_e32 v7, v7, v18
	s_wait_alu 0xfffe
	s_or_b32 exec_lo, exec_lo, s0
	s_and_saveexec_b32 s0, vcc_lo
	s_cbranch_execz .LBB364_75
.LBB364_116:
	ds_load_b32 v18, v16 offset:288
	s_wait_dscnt 0x0
	v_add_f32_e32 v6, v6, v18
	s_wait_alu 0xfffe
	s_or_b32 exec_lo, exec_lo, s0
	s_and_saveexec_b32 s0, vcc_lo
	s_cbranch_execz .LBB364_76
.LBB364_117:
	ds_load_b32 v18, v16 offset:320
	s_wait_dscnt 0x0
	v_add_f32_e32 v5, v5, v18
	s_wait_alu 0xfffe
	s_or_b32 exec_lo, exec_lo, s0
	s_and_saveexec_b32 s0, vcc_lo
	s_cbranch_execz .LBB364_77
.LBB364_118:
	ds_load_b32 v18, v16 offset:352
	s_wait_dscnt 0x0
	v_add_f32_e32 v4, v4, v18
	s_wait_alu 0xfffe
	s_or_b32 exec_lo, exec_lo, s0
	s_and_saveexec_b32 s0, vcc_lo
	s_cbranch_execz .LBB364_78
.LBB364_119:
	ds_load_b32 v18, v16 offset:384
	s_wait_dscnt 0x0
	v_add_f32_e32 v3, v3, v18
	s_wait_alu 0xfffe
	s_or_b32 exec_lo, exec_lo, s0
	s_and_saveexec_b32 s0, vcc_lo
	s_cbranch_execz .LBB364_79
.LBB364_120:
	ds_load_b32 v18, v16 offset:416
	s_wait_dscnt 0x0
	v_add_f32_e32 v0, v0, v18
	s_wait_alu 0xfffe
	s_or_b32 exec_lo, exec_lo, s0
	s_and_saveexec_b32 s0, vcc_lo
	s_cbranch_execz .LBB364_80
.LBB364_121:
	ds_load_b32 v18, v16 offset:448
	s_wait_dscnt 0x0
	v_add_f32_e32 v1, v1, v18
	s_wait_alu 0xfffe
	s_or_b32 exec_lo, exec_lo, s0
	s_and_saveexec_b32 s0, vcc_lo
	s_cbranch_execnz .LBB364_81
	s_branch .LBB364_82
.LBB364_122:
	ds_load_b32 v17, v16
	s_wait_dscnt 0x0
	v_add_f32_e32 v15, v15, v17
	s_wait_alu 0xfffe
	s_or_b32 exec_lo, exec_lo, s0
	s_and_saveexec_b32 s0, vcc_lo
	s_cbranch_execz .LBB364_88
.LBB364_123:
	ds_load_b32 v17, v16 offset:32
	s_wait_dscnt 0x0
	v_add_f32_e32 v14, v14, v17
	s_wait_alu 0xfffe
	s_or_b32 exec_lo, exec_lo, s0
	s_and_saveexec_b32 s0, vcc_lo
	s_cbranch_execz .LBB364_89
.LBB364_124:
	ds_load_b32 v17, v16 offset:64
	s_wait_dscnt 0x0
	v_add_f32_e32 v13, v13, v17
	s_wait_alu 0xfffe
	s_or_b32 exec_lo, exec_lo, s0
	s_and_saveexec_b32 s0, vcc_lo
	s_cbranch_execz .LBB364_90
.LBB364_125:
	ds_load_b32 v17, v16 offset:96
	s_wait_dscnt 0x0
	v_add_f32_e32 v12, v12, v17
	s_wait_alu 0xfffe
	s_or_b32 exec_lo, exec_lo, s0
	s_and_saveexec_b32 s0, vcc_lo
	s_cbranch_execz .LBB364_91
.LBB364_126:
	ds_load_b32 v17, v16 offset:128
	s_wait_dscnt 0x0
	v_add_f32_e32 v11, v11, v17
	s_wait_alu 0xfffe
	s_or_b32 exec_lo, exec_lo, s0
	s_and_saveexec_b32 s0, vcc_lo
	s_cbranch_execz .LBB364_92
.LBB364_127:
	ds_load_b32 v17, v16 offset:160
	s_wait_dscnt 0x0
	v_add_f32_e32 v10, v10, v17
	s_wait_alu 0xfffe
	s_or_b32 exec_lo, exec_lo, s0
	s_and_saveexec_b32 s0, vcc_lo
	s_cbranch_execz .LBB364_93
.LBB364_128:
	ds_load_b32 v17, v16 offset:192
	s_wait_dscnt 0x0
	v_add_f32_e32 v9, v9, v17
	s_wait_alu 0xfffe
	s_or_b32 exec_lo, exec_lo, s0
	s_and_saveexec_b32 s0, vcc_lo
	s_cbranch_execz .LBB364_94
.LBB364_129:
	ds_load_b32 v17, v16 offset:224
	s_wait_dscnt 0x0
	v_add_f32_e32 v8, v8, v17
	s_wait_alu 0xfffe
	s_or_b32 exec_lo, exec_lo, s0
	s_and_saveexec_b32 s0, vcc_lo
	s_cbranch_execz .LBB364_95
.LBB364_130:
	ds_load_b32 v17, v16 offset:256
	s_wait_dscnt 0x0
	v_add_f32_e32 v7, v7, v17
	s_wait_alu 0xfffe
	s_or_b32 exec_lo, exec_lo, s0
	s_and_saveexec_b32 s0, vcc_lo
	s_cbranch_execz .LBB364_96
.LBB364_131:
	ds_load_b32 v17, v16 offset:288
	s_wait_dscnt 0x0
	v_add_f32_e32 v6, v6, v17
	s_wait_alu 0xfffe
	s_or_b32 exec_lo, exec_lo, s0
	s_and_saveexec_b32 s0, vcc_lo
	s_cbranch_execz .LBB364_97
.LBB364_132:
	ds_load_b32 v17, v16 offset:320
	s_wait_dscnt 0x0
	v_add_f32_e32 v5, v5, v17
	s_wait_alu 0xfffe
	s_or_b32 exec_lo, exec_lo, s0
	s_and_saveexec_b32 s0, vcc_lo
	s_cbranch_execz .LBB364_98
.LBB364_133:
	ds_load_b32 v17, v16 offset:352
	s_wait_dscnt 0x0
	v_add_f32_e32 v4, v4, v17
	s_wait_alu 0xfffe
	s_or_b32 exec_lo, exec_lo, s0
	s_and_saveexec_b32 s0, vcc_lo
	s_cbranch_execz .LBB364_99
.LBB364_134:
	ds_load_b32 v17, v16 offset:384
	s_wait_dscnt 0x0
	v_add_f32_e32 v3, v3, v17
	s_wait_alu 0xfffe
	s_or_b32 exec_lo, exec_lo, s0
	s_and_saveexec_b32 s0, vcc_lo
	s_cbranch_execz .LBB364_100
.LBB364_135:
	ds_load_b32 v17, v16 offset:416
	s_wait_dscnt 0x0
	v_add_f32_e32 v0, v0, v17
	s_wait_alu 0xfffe
	s_or_b32 exec_lo, exec_lo, s0
	s_and_saveexec_b32 s0, vcc_lo
	s_cbranch_execz .LBB364_101
.LBB364_136:
	ds_load_b32 v17, v16 offset:448
	s_wait_dscnt 0x0
	v_add_f32_e32 v1, v1, v17
	s_wait_alu 0xfffe
	s_or_b32 exec_lo, exec_lo, s0
	s_and_saveexec_b32 s0, vcc_lo
	s_cbranch_execnz .LBB364_102
	s_branch .LBB364_103
	.section	.rodata,"a",@progbits
	.p2align	6, 0x0
	.amdhsa_kernel _ZN4vllm25paged_attention_v2_kernelI14__hip_bfloat16hLi128ELi32ELi128ELNS_18Fp8KVCacheDataTypeE1ELb0ELi512EEEvPfS3_PT_PKS4_PKT0_SA_ifPKiSC_iPKfiiiSE_SE_iiiii
		.amdhsa_group_segment_fixed_size 288
		.amdhsa_private_segment_fixed_size 380
		.amdhsa_kernarg_size 400
		.amdhsa_user_sgpr_count 2
		.amdhsa_user_sgpr_dispatch_ptr 0
		.amdhsa_user_sgpr_queue_ptr 0
		.amdhsa_user_sgpr_kernarg_segment_ptr 1
		.amdhsa_user_sgpr_dispatch_id 0
		.amdhsa_user_sgpr_private_segment_size 0
		.amdhsa_wavefront_size32 1
		.amdhsa_uses_dynamic_stack 0
		.amdhsa_enable_private_segment 1
		.amdhsa_system_sgpr_workgroup_id_x 1
		.amdhsa_system_sgpr_workgroup_id_y 1
		.amdhsa_system_sgpr_workgroup_id_z 1
		.amdhsa_system_sgpr_workgroup_info 0
		.amdhsa_system_vgpr_workitem_id 0
		.amdhsa_next_free_vgpr 192
		.amdhsa_next_free_sgpr 38
		.amdhsa_reserve_vcc 1
		.amdhsa_float_round_mode_32 0
		.amdhsa_float_round_mode_16_64 0
		.amdhsa_float_denorm_mode_32 3
		.amdhsa_float_denorm_mode_16_64 3
		.amdhsa_fp16_overflow 0
		.amdhsa_workgroup_processor_mode 1
		.amdhsa_memory_ordered 1
		.amdhsa_forward_progress 1
		.amdhsa_inst_pref_size 255
		.amdhsa_round_robin_scheduling 0
		.amdhsa_exception_fp_ieee_invalid_op 0
		.amdhsa_exception_fp_denorm_src 0
		.amdhsa_exception_fp_ieee_div_zero 0
		.amdhsa_exception_fp_ieee_overflow 0
		.amdhsa_exception_fp_ieee_underflow 0
		.amdhsa_exception_fp_ieee_inexact 0
		.amdhsa_exception_int_div_zero 0
	.end_amdhsa_kernel
	.section	.text._ZN4vllm25paged_attention_v2_kernelI14__hip_bfloat16hLi128ELi32ELi128ELNS_18Fp8KVCacheDataTypeE1ELb0ELi512EEEvPfS3_PT_PKS4_PKT0_SA_ifPKiSC_iPKfiiiSE_SE_iiiii,"axG",@progbits,_ZN4vllm25paged_attention_v2_kernelI14__hip_bfloat16hLi128ELi32ELi128ELNS_18Fp8KVCacheDataTypeE1ELb0ELi512EEEvPfS3_PT_PKS4_PKT0_SA_ifPKiSC_iPKfiiiSE_SE_iiiii,comdat
.Lfunc_end364:
	.size	_ZN4vllm25paged_attention_v2_kernelI14__hip_bfloat16hLi128ELi32ELi128ELNS_18Fp8KVCacheDataTypeE1ELb0ELi512EEEvPfS3_PT_PKS4_PKT0_SA_ifPKiSC_iPKfiiiSE_SE_iiiii, .Lfunc_end364-_ZN4vllm25paged_attention_v2_kernelI14__hip_bfloat16hLi128ELi32ELi128ELNS_18Fp8KVCacheDataTypeE1ELb0ELi512EEEvPfS3_PT_PKS4_PKT0_SA_ifPKiSC_iPKfiiiSE_SE_iiiii
                                        ; -- End function
	.set _ZN4vllm25paged_attention_v2_kernelI14__hip_bfloat16hLi128ELi32ELi128ELNS_18Fp8KVCacheDataTypeE1ELb0ELi512EEEvPfS3_PT_PKS4_PKT0_SA_ifPKiSC_iPKfiiiSE_SE_iiiii.num_vgpr, 192
	.set _ZN4vllm25paged_attention_v2_kernelI14__hip_bfloat16hLi128ELi32ELi128ELNS_18Fp8KVCacheDataTypeE1ELb0ELi512EEEvPfS3_PT_PKS4_PKT0_SA_ifPKiSC_iPKfiiiSE_SE_iiiii.num_agpr, 0
	.set _ZN4vllm25paged_attention_v2_kernelI14__hip_bfloat16hLi128ELi32ELi128ELNS_18Fp8KVCacheDataTypeE1ELb0ELi512EEEvPfS3_PT_PKS4_PKT0_SA_ifPKiSC_iPKfiiiSE_SE_iiiii.numbered_sgpr, 38
	.set _ZN4vllm25paged_attention_v2_kernelI14__hip_bfloat16hLi128ELi32ELi128ELNS_18Fp8KVCacheDataTypeE1ELb0ELi512EEEvPfS3_PT_PKS4_PKT0_SA_ifPKiSC_iPKfiiiSE_SE_iiiii.num_named_barrier, 0
	.set _ZN4vllm25paged_attention_v2_kernelI14__hip_bfloat16hLi128ELi32ELi128ELNS_18Fp8KVCacheDataTypeE1ELb0ELi512EEEvPfS3_PT_PKS4_PKT0_SA_ifPKiSC_iPKfiiiSE_SE_iiiii.private_seg_size, 380
	.set _ZN4vllm25paged_attention_v2_kernelI14__hip_bfloat16hLi128ELi32ELi128ELNS_18Fp8KVCacheDataTypeE1ELb0ELi512EEEvPfS3_PT_PKS4_PKT0_SA_ifPKiSC_iPKfiiiSE_SE_iiiii.uses_vcc, 1
	.set _ZN4vllm25paged_attention_v2_kernelI14__hip_bfloat16hLi128ELi32ELi128ELNS_18Fp8KVCacheDataTypeE1ELb0ELi512EEEvPfS3_PT_PKS4_PKT0_SA_ifPKiSC_iPKfiiiSE_SE_iiiii.uses_flat_scratch, 1
	.set _ZN4vllm25paged_attention_v2_kernelI14__hip_bfloat16hLi128ELi32ELi128ELNS_18Fp8KVCacheDataTypeE1ELb0ELi512EEEvPfS3_PT_PKS4_PKT0_SA_ifPKiSC_iPKfiiiSE_SE_iiiii.has_dyn_sized_stack, 0
	.set _ZN4vllm25paged_attention_v2_kernelI14__hip_bfloat16hLi128ELi32ELi128ELNS_18Fp8KVCacheDataTypeE1ELb0ELi512EEEvPfS3_PT_PKS4_PKT0_SA_ifPKiSC_iPKfiiiSE_SE_iiiii.has_recursion, 0
	.set _ZN4vllm25paged_attention_v2_kernelI14__hip_bfloat16hLi128ELi32ELi128ELNS_18Fp8KVCacheDataTypeE1ELb0ELi512EEEvPfS3_PT_PKS4_PKT0_SA_ifPKiSC_iPKfiiiSE_SE_iiiii.has_indirect_call, 0
	.section	.AMDGPU.csdata,"",@progbits
; Kernel info:
; codeLenInByte = 41296
; TotalNumSgprs: 40
; NumVgprs: 192
; ScratchSize: 380
; MemoryBound: 0
; FloatMode: 240
; IeeeMode: 1
; LDSByteSize: 288 bytes/workgroup (compile time only)
; SGPRBlocks: 0
; VGPRBlocks: 23
; NumSGPRsForWavesPerEU: 40
; NumVGPRsForWavesPerEU: 192
; Occupancy: 8
; WaveLimiterHint : 1
; COMPUTE_PGM_RSRC2:SCRATCH_EN: 1
; COMPUTE_PGM_RSRC2:USER_SGPR: 2
; COMPUTE_PGM_RSRC2:TRAP_HANDLER: 0
; COMPUTE_PGM_RSRC2:TGID_X_EN: 1
; COMPUTE_PGM_RSRC2:TGID_Y_EN: 1
; COMPUTE_PGM_RSRC2:TGID_Z_EN: 1
; COMPUTE_PGM_RSRC2:TIDIG_COMP_CNT: 0
	.section	.text._ZN4vllm25paged_attention_v2_kernelI14__hip_bfloat16hLi192ELi32ELi128ELNS_18Fp8KVCacheDataTypeE1ELb0ELi512EEEvPfS3_PT_PKS4_PKT0_SA_ifPKiSC_iPKfiiiSE_SE_iiiii,"axG",@progbits,_ZN4vllm25paged_attention_v2_kernelI14__hip_bfloat16hLi192ELi32ELi128ELNS_18Fp8KVCacheDataTypeE1ELb0ELi512EEEvPfS3_PT_PKS4_PKT0_SA_ifPKiSC_iPKfiiiSE_SE_iiiii,comdat
	.protected	_ZN4vllm25paged_attention_v2_kernelI14__hip_bfloat16hLi192ELi32ELi128ELNS_18Fp8KVCacheDataTypeE1ELb0ELi512EEEvPfS3_PT_PKS4_PKT0_SA_ifPKiSC_iPKfiiiSE_SE_iiiii ; -- Begin function _ZN4vllm25paged_attention_v2_kernelI14__hip_bfloat16hLi192ELi32ELi128ELNS_18Fp8KVCacheDataTypeE1ELb0ELi512EEEvPfS3_PT_PKS4_PKT0_SA_ifPKiSC_iPKfiiiSE_SE_iiiii
	.globl	_ZN4vllm25paged_attention_v2_kernelI14__hip_bfloat16hLi192ELi32ELi128ELNS_18Fp8KVCacheDataTypeE1ELb0ELi512EEEvPfS3_PT_PKS4_PKT0_SA_ifPKiSC_iPKfiiiSE_SE_iiiii
	.p2align	8
	.type	_ZN4vllm25paged_attention_v2_kernelI14__hip_bfloat16hLi192ELi32ELi128ELNS_18Fp8KVCacheDataTypeE1ELb0ELi512EEEvPfS3_PT_PKS4_PKT0_SA_ifPKiSC_iPKfiiiSE_SE_iiiii,@function
_ZN4vllm25paged_attention_v2_kernelI14__hip_bfloat16hLi192ELi32ELi128ELNS_18Fp8KVCacheDataTypeE1ELb0ELi512EEEvPfS3_PT_PKS4_PKT0_SA_ifPKiSC_iPKfiiiSE_SE_iiiii: ; @_ZN4vllm25paged_attention_v2_kernelI14__hip_bfloat16hLi192ELi32ELi128ELNS_18Fp8KVCacheDataTypeE1ELb0ELi512EEEvPfS3_PT_PKS4_PKT0_SA_ifPKiSC_iPKfiiiSE_SE_iiiii
; %bb.0:
	s_load_b64 s[2:3], s[0:1], 0x40
	s_and_b32 s15, ttmp7, 0xffff
	s_lshr_b32 s26, ttmp7, 16
	s_lshl_b32 s4, s15, 2
	s_lshl_b32 s28, s26, 9
	s_wait_kmcnt 0x0
	s_load_b32 s27, s[2:3], s4 offset:0x0
	s_wait_kmcnt 0x0
	s_cmp_ge_i32 s28, s27
	s_cbranch_scc1 .LBB365_138
; %bb.1:
	scratch_store_b32 off, v0, off offset:856 ; 4-byte Folded Spill
	s_clause 0x1
	s_load_b32 s29, s[0:1], 0x90
	s_load_b64 s[8:9], s[0:1], 0x30
	s_wait_kmcnt 0x0
	s_abs_i32 s5, s29
	s_abs_i32 s2, s8
	s_delay_alu instid0(SALU_CYCLE_1) | instskip(SKIP_1) | instid1(SALU_CYCLE_2)
	s_cvt_f32_u32 s3, s2
	s_sub_co_i32 s4, 0, s2
	v_rcp_iflag_f32_e32 v0, s3
	s_delay_alu instid0(TRANS32_DEP_1) | instskip(SKIP_2) | instid1(SALU_CYCLE_2)
	v_readfirstlane_b32 s3, v0
	s_mul_f32 s3, s3, 0x4f7ffffe
	s_wait_alu 0xfffe
	s_cvt_u32_f32 s3, s3
	s_wait_alu 0xfffe
	s_delay_alu instid0(SALU_CYCLE_2) | instskip(NEXT) | instid1(SALU_CYCLE_1)
	s_mul_i32 s4, s4, s3
	s_mul_hi_u32 s4, s3, s4
	s_delay_alu instid0(SALU_CYCLE_1)
	s_add_co_i32 s3, s3, s4
	s_xor_b32 s4, s29, s8
	s_wait_alu 0xfffe
	s_mul_hi_u32 s3, s5, s3
	s_ashr_i32 s4, s4, 31
	s_wait_alu 0xfffe
	s_mul_i32 s6, s3, s2
	s_delay_alu instid0(SALU_CYCLE_1)
	s_sub_co_i32 s5, s5, s6
	s_add_co_i32 s6, s3, 1
	s_sub_co_i32 s7, s5, s2
	s_cmp_ge_u32 s5, s2
	s_cselect_b32 s3, s6, s3
	s_cselect_b32 s5, s7, s5
	s_wait_alu 0xfffe
	s_add_co_i32 s6, s3, 1
	s_cmp_ge_u32 s5, s2
	s_cselect_b32 s2, s6, s3
	s_load_b64 s[6:7], s[0:1], 0x50
	s_xor_b32 s2, s2, s4
	s_mov_b32 s3, 0
	s_wait_alu 0xfffe
	s_sub_co_i32 s11, s2, s4
	s_mov_b32 s8, s3
	s_abs_i32 s10, s11
	s_delay_alu instid0(SALU_CYCLE_1) | instskip(SKIP_1) | instid1(SALU_CYCLE_2)
	s_cvt_f32_u32 s2, s10
	s_wait_alu 0xfffe
	v_rcp_iflag_f32_e32 v0, s2
	s_delay_alu instid0(TRANS32_DEP_1) | instskip(SKIP_2) | instid1(SALU_CYCLE_2)
	v_readfirstlane_b32 s2, v0
	s_mul_f32 s2, s2, 0x4f7ffffe
	s_wait_alu 0xfffe
	s_cvt_u32_f32 s4, s2
	s_sub_co_i32 s2, 0, s10
	s_wait_alu 0xfffe
	s_delay_alu instid0(SALU_CYCLE_1)
	s_mul_i32 s2, s2, s4
	s_wait_alu 0xfffe
	s_mul_hi_u32 s5, s4, s2
	s_abs_i32 s2, ttmp9
	s_add_co_i32 s4, s4, s5
	s_mov_b32 s5, s3
	s_wait_kmcnt 0x0
	s_cmp_eq_u64 s[6:7], 0
	s_cbranch_scc1 .LBB365_3
; %bb.2:
	s_mov_b32 s12, ttmp9
	s_ashr_i32 s13, ttmp9, 31
	s_delay_alu instid0(SALU_CYCLE_1) | instskip(NEXT) | instid1(SALU_CYCLE_1)
	s_lshl_b64 s[12:13], s[12:13], 2
	s_add_nc_u64 s[6:7], s[6:7], s[12:13]
	s_load_b32 s8, s[6:7], 0x0
.LBB365_3:
	scratch_load_b32 v0, off, off offset:856 ; 4-byte Folded Reload
	s_load_b96 s[12:14], s[0:1], 0x58
	s_mul_u64 s[4:5], s[2:3], s[4:5]
	s_ashr_i32 s3, ttmp9, 31
	s_ashr_i32 s4, s11, 31
	s_mul_i32 s16, ttmp9, 0xc0
	s_mov_b32 s6, exec_lo
	s_wait_loadcnt 0x0
	v_cmpx_gt_u32_e32 24, v0
	s_cbranch_execz .LBB365_5
; %bb.4:
	s_load_b64 s[18:19], s[0:1], 0x18
	s_wait_kmcnt 0x0
	s_mul_i32 s20, s12, s15
	s_ashr_i32 s17, s16, 31
	s_ashr_i32 s21, s20, 31
	v_lshlrev_b32_e32 v4, 4, v0
	s_lshl_b64 s[20:21], s[20:21], 1
	s_delay_alu instid0(SALU_CYCLE_1) | instskip(SKIP_1) | instid1(SALU_CYCLE_1)
	s_add_nc_u64 s[18:19], s[18:19], s[20:21]
	s_lshl_b64 s[20:21], s[16:17], 1
	s_add_nc_u64 s[18:19], s[18:19], s[20:21]
	global_load_b128 v[0:3], v4, s[18:19]
	s_wait_loadcnt 0x0
	ds_store_b128 v4, v[0:3]
	scratch_load_b32 v0, off, off offset:856 ; 4-byte Folded Reload
.LBB365_5:
	s_or_b32 exec_lo, exec_lo, s6
	s_add_co_i32 s6, s27, 31
	s_lshl_b32 s31, s26, 4
	s_ashr_i32 s7, s6, 31
	s_wait_alu 0xfffe
	s_xor_b32 s3, s3, s4
	s_lshr_b32 s7, s7, 27
	s_add_co_i32 s4, s31, 16
	s_add_co_i32 s6, s6, s7
	s_clause 0x1
	s_load_b64 s[18:19], s[0:1], 0x38
	s_load_b32 s11, s[0:1], 0x48
	s_ashr_i32 s30, s6, 5
	s_mul_i32 s6, s5, s10
	s_min_i32 s17, s4, s30
	s_sub_co_i32 s2, s2, s6
	s_add_co_i32 s4, s5, 1
	s_wait_alu 0xfffe
	s_sub_co_i32 s20, s2, s10
	s_cmp_ge_u32 s2, s10
	s_wait_loadcnt 0x0
	v_lshrrev_b32_e32 v1, 5, v0
	s_cselect_b32 s21, s4, s5
	s_wait_kmcnt 0x0
	s_clause 0x1
	s_load_b32 s12, s[0:1], 0x98
	s_load_b128 s[4:7], s[0:1], 0x68
	s_cselect_b32 s2, s20, s2
	s_add_co_i32 s20, s21, 1
	s_wait_alu 0xfffe
	s_cmp_ge_u32 s2, s10
	v_and_b32_e32 v0, 31, v0
	v_dual_mov_b32 v18, 0xff7fffff :: v_dual_add_nc_u32 v17, s31, v1
	s_cselect_b32 s2, s20, s21
	scratch_store_b32 off, v1, off offset:864 ; 4-byte Folded Spill
	s_wait_alu 0xfffe
	s_xor_b32 s2, s2, s3
	v_lshlrev_b32_e32 v20, 2, v0
	s_wait_alu 0xfffe
	s_sub_co_i32 s3, s2, s3
	v_cmp_gt_i32_e64 s2, s17, v17
	s_mul_i32 s22, s11, s15
	s_wait_alu 0xfffe
	s_mul_i32 s20, s3, s14
	s_ashr_i32 s23, s22, 31
	s_wait_storecnt_dscnt 0x0
	s_barrier_signal -1
	scratch_store_b32 off, v0, off offset:860 ; 4-byte Folded Spill
	s_barrier_wait -1
	s_wait_storecnt 0x0
	global_inv scope:SCOPE_SE
	s_and_saveexec_b32 s10, s2
	s_cbranch_execz .LBB365_9
; %bb.6:
	v_mov_b32_e32 v0, 0
	s_load_b64 s[24:25], s[0:1], 0x20
	s_ashr_i32 s21, s20, 31
	s_cmp_neq_f32 s8, 0
	s_mov_b32 s11, s13
	ds_load_b128 v[1:4], v0
	ds_load_b128 v[5:8], v0 offset:16
	ds_load_b128 v[9:12], v0 offset:32
	;; [unrolled: 1-line block ×3, first 2 shown]
	s_wait_kmcnt 0x0
	s_load_b32 s5, s[4:5], 0x0
	s_cselect_b32 vcc_lo, -1, 0
	s_mov_b32 s14, 0
	scratch_store_b32 off, v20, off offset:868 ; 4-byte Folded Spill
	v_mov_b32_e32 v66, v17
	s_add_nc_u64 s[24:25], s[24:25], s[20:21]
	s_wait_dscnt 0x3
	v_lshlrev_b32_e32 v18, 16, v1
	v_and_b32_e32 v1, 0xffff0000, v1
	s_sub_co_i32 s21, 1, s27
	s_clause 0x1
	scratch_store_b32 off, v18, off offset:68
	scratch_store_b32 off, v1, off offset:72
	v_dual_mov_b32 v18, 0xff7fffff :: v_dual_lshlrev_b32 v1, 16, v2
	scratch_store_b32 off, v1, off offset:76 ; 4-byte Folded Spill
	v_and_b32_e32 v1, 0xffff0000, v2
	scratch_store_b32 off, v1, off offset:80 ; 4-byte Folded Spill
	v_lshlrev_b32_e32 v1, 16, v3
	scratch_store_b32 off, v1, off offset:84 ; 4-byte Folded Spill
	v_and_b32_e32 v1, 0xffff0000, v3
	scratch_store_b32 off, v1, off offset:88 ; 4-byte Folded Spill
	v_lshlrev_b32_e32 v1, 16, v4
	scratch_store_b32 off, v1, off offset:92 ; 4-byte Folded Spill
	v_and_b32_e32 v1, 0xffff0000, v4
	scratch_store_b32 off, v1, off offset:96 ; 4-byte Folded Spill
	s_wait_dscnt 0x2
	v_lshlrev_b32_e32 v1, 16, v5
	scratch_store_b32 off, v1, off offset:100 ; 4-byte Folded Spill
	v_and_b32_e32 v1, 0xffff0000, v5
	scratch_store_b32 off, v1, off offset:104 ; 4-byte Folded Spill
	v_lshlrev_b32_e32 v1, 16, v6
	scratch_store_b32 off, v1, off offset:108 ; 4-byte Folded Spill
	v_and_b32_e32 v1, 0xffff0000, v6
	scratch_store_b32 off, v1, off offset:112 ; 4-byte Folded Spill
	v_lshlrev_b32_e32 v1, 16, v7
	scratch_store_b32 off, v1, off offset:116 ; 4-byte Folded Spill
	v_and_b32_e32 v1, 0xffff0000, v7
	scratch_store_b32 off, v1, off offset:120 ; 4-byte Folded Spill
	v_lshlrev_b32_e32 v1, 16, v8
	scratch_store_b32 off, v1, off offset:124 ; 4-byte Folded Spill
	v_and_b32_e32 v1, 0xffff0000, v8
	scratch_store_b32 off, v1, off offset:128 ; 4-byte Folded Spill
	s_wait_dscnt 0x1
	v_lshlrev_b32_e32 v1, 16, v9
	scratch_store_b32 off, v1, off offset:132 ; 4-byte Folded Spill
	v_and_b32_e32 v1, 0xffff0000, v9
	scratch_store_b32 off, v1, off offset:136 ; 4-byte Folded Spill
	v_lshlrev_b32_e32 v1, 16, v10
	;; [unrolled: 17-line block ×3, first 2 shown]
	scratch_store_b32 off, v1, off offset:180 ; 4-byte Folded Spill
	v_and_b32_e32 v1, 0xffff0000, v14
	scratch_store_b32 off, v1, off offset:188 ; 4-byte Folded Spill
	v_lshlrev_b32_e32 v1, 16, v15
	scratch_store_b32 off, v1, off offset:192 ; 4-byte Folded Spill
	v_and_b32_e32 v1, 0xffff0000, v15
	scratch_store_b32 off, v1, off offset:196 ; 4-byte Folded Spill
	v_lshlrev_b32_e32 v1, 16, v16
	scratch_store_b32 off, v1, off offset:200 ; 4-byte Folded Spill
	v_and_b32_e32 v1, 0xffff0000, v16
	scratch_store_b32 off, v1, off offset:204 ; 4-byte Folded Spill
	ds_load_b128 v[1:4], v0 offset:64
	s_wait_dscnt 0x0
	v_lshlrev_b32_e32 v5, 16, v1
	v_and_b32_e32 v1, 0xffff0000, v1
	s_clause 0x1
	scratch_store_b32 off, v5, off offset:208
	scratch_store_b32 off, v1, off offset:212
	v_lshlrev_b32_e32 v1, 16, v2
	scratch_store_b32 off, v1, off offset:216 ; 4-byte Folded Spill
	v_and_b32_e32 v1, 0xffff0000, v2
	scratch_store_b32 off, v1, off offset:220 ; 4-byte Folded Spill
	v_lshlrev_b32_e32 v1, 16, v3
	scratch_store_b32 off, v1, off offset:224 ; 4-byte Folded Spill
	v_and_b32_e32 v1, 0xffff0000, v3
	scratch_store_b32 off, v1, off offset:228 ; 4-byte Folded Spill
	v_lshlrev_b32_e32 v1, 16, v4
	scratch_store_b32 off, v1, off offset:232 ; 4-byte Folded Spill
	v_and_b32_e32 v1, 0xffff0000, v4
	scratch_store_b32 off, v1, off offset:236 ; 4-byte Folded Spill
	ds_load_b128 v[1:4], v0 offset:80
	s_wait_dscnt 0x0
	v_lshlrev_b32_e32 v5, 16, v1
	v_and_b32_e32 v1, 0xffff0000, v1
	s_clause 0x1
	scratch_store_b32 off, v5, off offset:240
	scratch_store_b32 off, v1, off offset:244
	v_lshlrev_b32_e32 v1, 16, v2
	;; [unrolled: 19-line block ×18, first 2 shown]
	scratch_store_b32 off, v1, off offset:760 ; 4-byte Folded Spill
	v_and_b32_e32 v1, 0xffff0000, v2
	scratch_store_b32 off, v1, off offset:764 ; 4-byte Folded Spill
	v_lshlrev_b32_e32 v1, 16, v3
	scratch_store_b32 off, v1, off offset:768 ; 4-byte Folded Spill
	v_and_b32_e32 v1, 0xffff0000, v3
	scratch_store_b32 off, v1, off offset:772 ; 4-byte Folded Spill
	v_lshlrev_b32_e32 v1, 16, v4
	scratch_store_b32 off, v1, off offset:776 ; 4-byte Folded Spill
	v_and_b32_e32 v1, 0xffff0000, v4
	scratch_store_b32 off, v1, off offset:780 ; 4-byte Folded Spill
	ds_load_b128 v[1:4], v0 offset:352
	s_wait_dscnt 0x0
	v_lshlrev_b32_e32 v5, 16, v1
	v_and_b32_e32 v1, 0xffff0000, v1
	scratch_store_b32 off, v1, off offset:788 ; 4-byte Folded Spill
	v_lshlrev_b32_e32 v1, 16, v2
	scratch_store_b32 off, v1, off offset:792 ; 4-byte Folded Spill
	v_and_b32_e32 v1, 0xffff0000, v2
	scratch_store_b32 off, v1, off offset:796 ; 4-byte Folded Spill
	v_lshlrev_b32_e32 v1, 16, v3
	scratch_store_b32 off, v1, off offset:800 ; 4-byte Folded Spill
	;; [unrolled: 4-line block ×3, first 2 shown]
	v_and_b32_e32 v1, 0xffff0000, v4
	scratch_store_b32 off, v1, off offset:812 ; 4-byte Folded Spill
	ds_load_b128 v[0:3], v0 offset:368
	s_wait_dscnt 0x0
	v_lshlrev_b32_e32 v4, 16, v0
	v_and_b32_e32 v0, 0xffff0000, v0
	s_clause 0x1
	scratch_store_b32 off, v4, off offset:816
	scratch_store_b32 off, v0, off offset:820
	v_lshlrev_b32_e32 v0, 16, v1
	scratch_store_b32 off, v0, off offset:824 ; 4-byte Folded Spill
	v_and_b32_e32 v0, 0xffff0000, v1
	scratch_store_b32 off, v0, off offset:828 ; 4-byte Folded Spill
	v_lshlrev_b32_e32 v0, 16, v2
	scratch_store_b32 off, v0, off offset:832 ; 4-byte Folded Spill
	v_and_b32_e32 v0, 0xffff0000, v2
	scratch_load_b32 v2, off, off offset:860 ; 4-byte Folded Reload
	scratch_store_b32 off, v0, off offset:836 ; 4-byte Folded Spill
	v_lshlrev_b32_e32 v0, 16, v3
	scratch_store_b32 off, v0, off offset:840 ; 4-byte Folded Spill
	v_and_b32_e32 v0, 0xffff0000, v3
	scratch_store_b32 off, v0, off offset:844 ; 4-byte Folded Spill
	s_wait_loadcnt 0x0
	v_lshlrev_b32_e32 v0, 4, v2
	s_delay_alu instid0(VALU_DEP_1)
	v_add_co_u32 v0, s3, s24, v0
	s_wait_alu 0xf1ff
	v_add_co_ci_u32_e64 v1, null, s25, 0, s3
	s_lshl_b64 s[24:25], s[22:23], 2
	s_wait_alu 0xfffe
	s_add_nc_u64 s[24:25], s[18:19], s[24:25]
	scratch_store_b64 off, v[0:1], off offset:848 ; 8-byte Folded Spill
	scratch_load_b32 v1, off, off offset:864 ; 4-byte Folded Reload
	s_wait_loadcnt 0x0
	v_lshlrev_b32_e32 v0, 5, v1
	s_delay_alu instid0(VALU_DEP_1) | instskip(SKIP_1) | instid1(VALU_DEP_1)
	v_add3_u32 v19, s28, v0, v2
	v_lshl_or_b32 v0, v1, 7, v20
	v_add_nc_u32_e32 v67, 0x1a0, v0
	v_lshlrev_b32_e32 v0, 2, v17
	s_wait_alu 0xfffe
	s_delay_alu instid0(VALU_DEP_1)
	v_add_co_u32 v36, s3, s24, v0
	s_wait_alu 0xf1ff
	v_add_co_ci_u32_e64 v37, null, s25, 0, s3
	v_mov_b32_e32 v0, v17
	s_clause 0x1
	scratch_store_b32 off, v5, off offset:784
	scratch_store_b64 off, v[0:1], off offset:168
.LBB365_7:                              ; =>This Inner Loop Header: Depth=1
	global_load_b32 v0, v[36:37], off
	scratch_load_b64 v[1:2], off, off offset:848 ; 8-byte Folded Reload
	v_add_nc_u32_e32 v66, 4, v66
	s_delay_alu instid0(VALU_DEP_1)
	v_cmp_le_i32_e64 s4, s17, v66
	s_or_b32 s14, s4, s14
	s_wait_loadcnt 0x0
	v_mad_co_i64_i32 v[5:6], null, v0, s11, v[1:2]
	global_load_b128 v[7:10], v[5:6], off
	s_wait_loadcnt 0x0
	v_bfe_u32 v0, v8, 8, 8
	v_and_b32_e32 v26, 0xff, v7
	v_bfe_u32 v4, v7, 8, 8
	v_bfe_u32 v136, v7, 16, 8
	v_lshrrev_b32_e32 v137, 24, v7
	scratch_store_b32 off, v0, off offset:20 ; 4-byte Folded Spill
	v_bfe_u32 v0, v9, 8, 8
	v_and_b32_e32 v156, 0xff, v8
	v_bfe_u32 v27, v8, 16, 8
	v_lshrrev_b32_e32 v30, 24, v8
	v_and_b32_e32 v160, 0xff, v9
	scratch_store_b32 off, v0, off offset:44 ; 4-byte Folded Spill
	v_bfe_u32 v0, v9, 16, 8
	scratch_store_b32 off, v0, off offset:48 ; 4-byte Folded Spill
	v_lshrrev_b32_e32 v0, 24, v9
	scratch_store_b32 off, v0, off offset:56 ; 4-byte Folded Spill
	v_and_b32_e32 v0, 0xff, v10
	scratch_store_b32 off, v0, off offset:60 ; 4-byte Folded Spill
	v_bfe_u32 v0, v10, 8, 8
	scratch_store_b32 off, v0, off offset:52 ; 4-byte Folded Spill
	v_bfe_u32 v0, v10, 16, 8
	scratch_store_b32 off, v0, off offset:36 ; 4-byte Folded Spill
	v_lshrrev_b32_e32 v0, 24, v10
	global_load_b128 v[7:10], v[5:6], off offset:512
	scratch_store_b32 off, v0, off offset:32 ; 4-byte Folded Spill
	s_wait_loadcnt 0x0
	v_and_b32_e32 v38, 0xff, v7
	v_bfe_u32 v39, v7, 8, 8
	v_bfe_u32 v40, v7, 16, 8
	v_lshrrev_b32_e32 v41, 24, v7
	v_and_b32_e32 v42, 0xff, v8
	v_bfe_u32 v43, v8, 8, 8
	v_bfe_u32 v44, v8, 16, 8
	v_lshrrev_b32_e32 v45, 24, v8
	;; [unrolled: 4-line block ×4, first 2 shown]
	global_load_b128 v[7:10], v[5:6], off offset:1024
	s_wait_loadcnt 0x0
	v_and_b32_e32 v69, 0xff, v7
	v_bfe_u32 v53, v7, 8, 8
	v_bfe_u32 v54, v7, 16, 8
	v_lshrrev_b32_e32 v55, 24, v7
	v_and_b32_e32 v56, 0xff, v8
	v_bfe_u32 v57, v8, 8, 8
	v_bfe_u32 v58, v8, 16, 8
	v_lshrrev_b32_e32 v59, 24, v8
	;; [unrolled: 4-line block ×4, first 2 shown]
	global_load_b128 v[7:10], v[5:6], off offset:1536
	scratch_store_b32 off, v0, off offset:64 ; 4-byte Folded Spill
	global_load_b128 v[0:3], v[5:6], off offset:5632
	s_wait_loadcnt 0x1
	v_and_b32_e32 v70, 0xff, v7
	v_bfe_u32 v71, v7, 8, 8
	v_bfe_u32 v72, v7, 16, 8
	v_lshrrev_b32_e32 v73, 24, v7
	v_and_b32_e32 v74, 0xff, v8
	v_bfe_u32 v75, v8, 8, 8
	v_bfe_u32 v76, v8, 16, 8
	v_lshrrev_b32_e32 v77, 24, v8
	;; [unrolled: 4-line block ×4, first 2 shown]
	global_load_b128 v[7:10], v[5:6], off offset:2048
	s_wait_loadcnt 0x1
	v_bfe_u32 v31, v0, 16, 8
	v_bfe_u32 v21, v1, 16, 8
	v_and_b32_e32 v20, 0xff, v2
	v_bfe_u32 v33, v2, 8, 8
	v_bfe_u32 v35, v2, 16, 8
	v_lshrrev_b32_e32 v29, 24, v2
	v_bfe_u32 v34, v3, 8, 8
	v_bfe_u32 v32, v3, 16, 8
	v_lshrrev_b32_e32 v93, 24, v3
	s_wait_loadcnt 0x0
	v_and_b32_e32 v102, 0xff, v7
	v_bfe_u32 v85, v7, 8, 8
	v_bfe_u32 v86, v7, 16, 8
	v_lshrrev_b32_e32 v87, 24, v7
	v_and_b32_e32 v88, 0xff, v8
	v_bfe_u32 v89, v8, 8, 8
	v_bfe_u32 v90, v8, 16, 8
	v_lshrrev_b32_e32 v91, 24, v8
	v_and_b32_e32 v92, 0xff, v9
	v_bfe_u32 v94, v9, 8, 8
	v_bfe_u32 v95, v9, 16, 8
	v_lshrrev_b32_e32 v96, 24, v9
	v_and_b32_e32 v97, 0xff, v10
	v_bfe_u32 v98, v10, 8, 8
	v_bfe_u32 v99, v10, 16, 8
	v_lshrrev_b32_e32 v100, 24, v10
	global_load_b128 v[7:10], v[5:6], off offset:2560
	s_wait_loadcnt 0x0
	v_and_b32_e32 v103, 0xff, v7
	v_bfe_u32 v104, v7, 8, 8
	v_bfe_u32 v105, v7, 16, 8
	v_lshrrev_b32_e32 v106, 24, v7
	v_and_b32_e32 v107, 0xff, v8
	v_bfe_u32 v108, v8, 8, 8
	v_bfe_u32 v109, v8, 16, 8
	v_lshrrev_b32_e32 v110, 24, v8
	v_and_b32_e32 v111, 0xff, v9
	v_bfe_u32 v112, v9, 8, 8
	v_bfe_u32 v113, v9, 16, 8
	v_lshrrev_b32_e32 v114, 24, v9
	v_and_b32_e32 v115, 0xff, v10
	v_bfe_u32 v116, v10, 8, 8
	v_bfe_u32 v117, v10, 16, 8
	v_lshrrev_b32_e32 v133, 24, v10
	global_load_b128 v[7:10], v[5:6], off offset:3072
	;; [unrolled: 18-line block ×6, first 2 shown]
	v_and_b32_e32 v5, 0xff, v0
	v_bfe_u32 v6, v0, 8, 8
	s_wait_loadcnt 0x0
	v_and_b32_e32 v181, 0xff, v7
	v_bfe_u32 v182, v7, 8, 8
	v_bfe_u32 v183, v7, 16, 8
	v_lshrrev_b32_e32 v184, 24, v7
	v_and_b32_e32 v185, 0xff, v8
	v_bfe_u32 v186, v8, 8, 8
	v_bfe_u32 v187, v8, 16, 8
	v_lshrrev_b32_e32 v188, 24, v8
	;; [unrolled: 4-line block ×4, first 2 shown]
	v_lshrrev_b32_e32 v8, 24, v0
	v_and_b32_e32 v10, 0xff, v1
	v_bfe_u32 v0, v1, 8, 8
	v_lshrrev_b32_e32 v9, 24, v1
	v_cvt_f32_fp8_e32 v1, v26
	s_delay_alu instid0(VALU_DEP_3) | instskip(SKIP_1) | instid1(VALU_DEP_1)
	v_cvt_f32_fp8_e32 v0, v0
	s_wait_kmcnt 0x0
	v_dual_mul_f32 v1, s5, v1 :: v_dual_mul_f32 v0, s5, v0
	s_delay_alu instid0(VALU_DEP_1) | instskip(SKIP_1) | instid1(VALU_DEP_2)
	v_bfe_u32 v2, v1, 16, 1
	v_cmp_u_f32_e64 s3, v1, v1
	v_add3_u32 v2, v2, v1, 0x7fff
	v_or_b32_e32 v1, 0x400000, v1
	s_wait_alu 0xf1ff
	s_delay_alu instid0(VALU_DEP_1) | instskip(SKIP_2) | instid1(VALU_DEP_1)
	v_cndmask_b32_e64 v1, v2, v1, s3
	scratch_store_b32 off, v1, off          ; 4-byte Folded Spill
	v_cvt_f32_fp8_e32 v1, v4
	v_mul_f32_e32 v1, s5, v1
	s_delay_alu instid0(VALU_DEP_1) | instskip(SKIP_1) | instid1(VALU_DEP_2)
	v_bfe_u32 v2, v1, 16, 1
	v_cmp_u_f32_e64 s3, v1, v1
	v_add3_u32 v2, v2, v1, 0x7fff
	v_or_b32_e32 v1, 0x400000, v1
	s_wait_alu 0xf1ff
	s_delay_alu instid0(VALU_DEP_1) | instskip(SKIP_2) | instid1(VALU_DEP_1)
	v_cndmask_b32_e64 v1, v2, v1, s3
	scratch_store_b32 off, v1, off offset:4 ; 4-byte Folded Spill
	v_cvt_f32_fp8_e32 v1, v136
	v_mul_f32_e32 v1, s5, v1
	s_delay_alu instid0(VALU_DEP_1) | instskip(SKIP_1) | instid1(VALU_DEP_2)
	v_bfe_u32 v2, v1, 16, 1
	v_cmp_u_f32_e64 s3, v1, v1
	v_add3_u32 v2, v2, v1, 0x7fff
	v_or_b32_e32 v1, 0x400000, v1
	s_wait_alu 0xf1ff
	s_delay_alu instid0(VALU_DEP_1) | instskip(SKIP_2) | instid1(VALU_DEP_1)
	v_cndmask_b32_e64 v1, v2, v1, s3
	scratch_store_b32 off, v1, off offset:8 ; 4-byte Folded Spill
	;; [unrolled: 11-line block ×3, first 2 shown]
	v_cvt_f32_fp8_e32 v1, v156
	v_mul_f32_e32 v1, s5, v1
	s_delay_alu instid0(VALU_DEP_1) | instskip(SKIP_1) | instid1(VALU_DEP_2)
	v_bfe_u32 v2, v1, 16, 1
	v_cmp_u_f32_e64 s3, v1, v1
	v_add3_u32 v2, v2, v1, 0x7fff
	v_or_b32_e32 v1, 0x400000, v1
	s_wait_alu 0xf1ff
	s_delay_alu instid0(VALU_DEP_1) | instskip(SKIP_4) | instid1(VALU_DEP_1)
	v_cndmask_b32_e64 v1, v2, v1, s3
	scratch_store_b32 off, v1, off offset:16 ; 4-byte Folded Spill
	scratch_load_b32 v1, off, off offset:20 th:TH_LOAD_LU ; 4-byte Folded Reload
	s_wait_loadcnt 0x0
	v_cvt_f32_fp8_e32 v1, v1
	v_mul_f32_e32 v1, s5, v1
	s_delay_alu instid0(VALU_DEP_1) | instskip(SKIP_1) | instid1(VALU_DEP_2)
	v_bfe_u32 v2, v1, 16, 1
	v_cmp_u_f32_e64 s3, v1, v1
	v_add3_u32 v2, v2, v1, 0x7fff
	v_or_b32_e32 v1, 0x400000, v1
	s_wait_alu 0xf1ff
	s_delay_alu instid0(VALU_DEP_1) | instskip(SKIP_2) | instid1(VALU_DEP_1)
	v_cndmask_b32_e64 v1, v2, v1, s3
	scratch_store_b32 off, v1, off offset:20 ; 4-byte Folded Spill
	v_cvt_f32_fp8_e32 v1, v27
	v_mul_f32_e32 v1, s5, v1
	s_delay_alu instid0(VALU_DEP_1) | instskip(SKIP_1) | instid1(VALU_DEP_2)
	v_bfe_u32 v2, v1, 16, 1
	v_cmp_u_f32_e64 s3, v1, v1
	v_add3_u32 v2, v2, v1, 0x7fff
	v_or_b32_e32 v1, 0x400000, v1
	s_wait_alu 0xf1ff
	s_delay_alu instid0(VALU_DEP_1) | instskip(SKIP_2) | instid1(VALU_DEP_1)
	v_cndmask_b32_e64 v1, v2, v1, s3
	scratch_store_b32 off, v1, off offset:24 ; 4-byte Folded Spill
	;; [unrolled: 11-line block ×3, first 2 shown]
	v_cvt_f32_fp8_e32 v1, v160
	v_mul_f32_e32 v1, s5, v1
	s_delay_alu instid0(VALU_DEP_1) | instskip(SKIP_1) | instid1(VALU_DEP_2)
	v_bfe_u32 v2, v1, 16, 1
	v_cmp_u_f32_e64 s3, v1, v1
	v_add3_u32 v2, v2, v1, 0x7fff
	v_or_b32_e32 v1, 0x400000, v1
	s_wait_alu 0xf1ff
	s_delay_alu instid0(VALU_DEP_1) | instskip(SKIP_4) | instid1(VALU_DEP_1)
	v_cndmask_b32_e64 v1, v2, v1, s3
	scratch_store_b32 off, v1, off offset:40 ; 4-byte Folded Spill
	scratch_load_b32 v1, off, off offset:44 th:TH_LOAD_LU ; 4-byte Folded Reload
	s_wait_loadcnt 0x0
	v_cvt_f32_fp8_e32 v1, v1
	v_mul_f32_e32 v1, s5, v1
	s_delay_alu instid0(VALU_DEP_1) | instskip(SKIP_1) | instid1(VALU_DEP_2)
	v_bfe_u32 v2, v1, 16, 1
	v_cmp_u_f32_e64 s3, v1, v1
	v_add3_u32 v2, v2, v1, 0x7fff
	v_or_b32_e32 v1, 0x400000, v1
	s_wait_alu 0xf1ff
	s_delay_alu instid0(VALU_DEP_1) | instskip(SKIP_4) | instid1(VALU_DEP_1)
	v_cndmask_b32_e64 v1, v2, v1, s3
	scratch_store_b32 off, v1, off offset:44 ; 4-byte Folded Spill
	scratch_load_b32 v1, off, off offset:48 th:TH_LOAD_LU ; 4-byte Folded Reload
	s_wait_loadcnt 0x0
	;; [unrolled: 13-line block ×5, first 2 shown]
	v_cvt_f32_fp8_e32 v1, v1
	v_mul_f32_e32 v1, s5, v1
	s_delay_alu instid0(VALU_DEP_1) | instskip(SKIP_1) | instid1(VALU_DEP_2)
	v_bfe_u32 v2, v1, 16, 1
	v_cmp_u_f32_e64 s3, v1, v1
	v_add3_u32 v2, v2, v1, 0x7fff
	v_or_b32_e32 v1, 0x400000, v1
	s_wait_alu 0xf1ff
	s_delay_alu instid0(VALU_DEP_1) | instskip(SKIP_3) | instid1(VALU_DEP_1)
	v_cndmask_b32_e64 v30, v2, v1, s3
	scratch_load_b32 v1, off, off offset:36 th:TH_LOAD_LU ; 4-byte Folded Reload
	s_wait_loadcnt 0x0
	v_cvt_f32_fp8_e32 v1, v1
	v_mul_f32_e32 v1, s5, v1
	s_delay_alu instid0(VALU_DEP_1) | instskip(SKIP_1) | instid1(VALU_DEP_2)
	v_bfe_u32 v2, v1, 16, 1
	v_cmp_u_f32_e64 s3, v1, v1
	v_add3_u32 v2, v2, v1, 0x7fff
	v_or_b32_e32 v1, 0x400000, v1
	s_wait_alu 0xf1ff
	s_delay_alu instid0(VALU_DEP_1) | instskip(SKIP_3) | instid1(VALU_DEP_1)
	v_cndmask_b32_e64 v27, v2, v1, s3
	scratch_load_b32 v1, off, off offset:32 th:TH_LOAD_LU ; 4-byte Folded Reload
	s_wait_loadcnt 0x0
	v_cvt_f32_fp8_e32 v1, v1
	v_mul_f32_e32 v1, s5, v1
	s_delay_alu instid0(VALU_DEP_1) | instskip(SKIP_1) | instid1(VALU_DEP_2)
	v_bfe_u32 v2, v1, 16, 1
	v_cmp_u_f32_e64 s3, v1, v1
	v_add3_u32 v2, v2, v1, 0x7fff
	v_or_b32_e32 v1, 0x400000, v1
	s_wait_alu 0xf1ff
	s_delay_alu instid0(VALU_DEP_1) | instskip(SKIP_1) | instid1(VALU_DEP_1)
	v_cndmask_b32_e64 v26, v2, v1, s3
	v_cvt_f32_fp8_e32 v1, v38
	v_dual_mul_f32 v1, s5, v1 :: v_dual_and_b32 v28, 0xff, v3
	s_delay_alu instid0(VALU_DEP_1) | instskip(SKIP_1) | instid1(VALU_DEP_2)
	v_bfe_u32 v2, v1, 16, 1
	v_cmp_u_f32_e64 s3, v1, v1
	v_add3_u32 v2, v2, v1, 0x7fff
	v_or_b32_e32 v1, 0x400000, v1
	s_wait_alu 0xf1ff
	s_delay_alu instid0(VALU_DEP_1) | instskip(SKIP_1) | instid1(VALU_DEP_2)
	v_cndmask_b32_e64 v3, v2, v1, s3
	v_cvt_f32_fp8_e32 v1, v39
	v_and_b32_e32 v3, 0xffff0000, v3
	s_delay_alu instid0(VALU_DEP_2) | instskip(NEXT) | instid1(VALU_DEP_1)
	v_mul_f32_e32 v1, s5, v1
	v_bfe_u32 v2, v1, 16, 1
	v_cmp_u_f32_e64 s3, v1, v1
	s_delay_alu instid0(VALU_DEP_2) | instskip(SKIP_2) | instid1(VALU_DEP_1)
	v_add3_u32 v2, v2, v1, 0x7fff
	v_or_b32_e32 v1, 0x400000, v1
	s_wait_alu 0xf1ff
	v_cndmask_b32_e64 v4, v2, v1, s3
	v_cvt_f32_fp8_e32 v1, v40
	s_delay_alu instid0(VALU_DEP_1) | instskip(NEXT) | instid1(VALU_DEP_1)
	v_mul_f32_e32 v1, s5, v1
	v_bfe_u32 v2, v1, 16, 1
	v_cmp_u_f32_e64 s3, v1, v1
	s_delay_alu instid0(VALU_DEP_2) | instskip(SKIP_2) | instid1(VALU_DEP_1)
	v_add3_u32 v2, v2, v1, 0x7fff
	v_or_b32_e32 v1, 0x400000, v1
	s_wait_alu 0xf1ff
	v_cndmask_b32_e64 v1, v2, v1, s3
	scratch_store_b32 off, v1, off offset:32 ; 4-byte Folded Spill
	v_cvt_f32_fp8_e32 v1, v41
	s_delay_alu instid0(VALU_DEP_1) | instskip(NEXT) | instid1(VALU_DEP_1)
	v_mul_f32_e32 v1, s5, v1
	v_bfe_u32 v2, v1, 16, 1
	v_cmp_u_f32_e64 s3, v1, v1
	s_delay_alu instid0(VALU_DEP_2) | instskip(SKIP_2) | instid1(VALU_DEP_1)
	v_add3_u32 v2, v2, v1, 0x7fff
	v_or_b32_e32 v1, 0x400000, v1
	s_wait_alu 0xf1ff
	v_cndmask_b32_e64 v1, v2, v1, s3
	scratch_store_b32 off, v1, off offset:36 ; 4-byte Folded Spill
	v_cvt_f32_fp8_e32 v1, v42
	s_delay_alu instid0(VALU_DEP_1) | instskip(NEXT) | instid1(VALU_DEP_1)
	v_mul_f32_e32 v1, s5, v1
	v_bfe_u32 v2, v1, 16, 1
	v_cmp_u_f32_e64 s3, v1, v1
	s_delay_alu instid0(VALU_DEP_2) | instskip(SKIP_2) | instid1(VALU_DEP_1)
	v_add3_u32 v2, v2, v1, 0x7fff
	v_or_b32_e32 v1, 0x400000, v1
	s_wait_alu 0xf1ff
	v_cndmask_b32_e64 v40, v2, v1, s3
	v_cvt_f32_fp8_e32 v1, v43
	s_delay_alu instid0(VALU_DEP_1) | instskip(NEXT) | instid1(VALU_DEP_1)
	v_mul_f32_e32 v1, s5, v1
	v_bfe_u32 v2, v1, 16, 1
	v_cmp_u_f32_e64 s3, v1, v1
	s_delay_alu instid0(VALU_DEP_2) | instskip(SKIP_2) | instid1(VALU_DEP_1)
	v_add3_u32 v2, v2, v1, 0x7fff
	v_or_b32_e32 v1, 0x400000, v1
	s_wait_alu 0xf1ff
	v_cndmask_b32_e64 v41, v2, v1, s3
	;; [unrolled: 10-line block ×26, first 2 shown]
	scratch_load_b32 v1, off, off offset:64 th:TH_LOAD_LU ; 4-byte Folded Reload
	s_wait_loadcnt 0x0
	v_cvt_f32_fp8_e32 v1, v1
	s_delay_alu instid0(VALU_DEP_1) | instskip(NEXT) | instid1(VALU_DEP_1)
	v_mul_f32_e32 v1, s5, v1
	v_bfe_u32 v2, v1, 16, 1
	v_cmp_u_f32_e64 s3, v1, v1
	s_delay_alu instid0(VALU_DEP_2) | instskip(SKIP_2) | instid1(VALU_DEP_1)
	v_add3_u32 v2, v2, v1, 0x7fff
	v_or_b32_e32 v1, 0x400000, v1
	s_wait_alu 0xf1ff
	v_cndmask_b32_e64 v39, v2, v1, s3
	v_cvt_f32_fp8_e32 v1, v135
	s_delay_alu instid0(VALU_DEP_1) | instskip(NEXT) | instid1(VALU_DEP_1)
	v_mul_f32_e32 v1, s5, v1
	v_bfe_u32 v2, v1, 16, 1
	v_cmp_u_f32_e64 s3, v1, v1
	s_delay_alu instid0(VALU_DEP_2) | instskip(SKIP_2) | instid1(VALU_DEP_1)
	v_add3_u32 v2, v2, v1, 0x7fff
	v_or_b32_e32 v1, 0x400000, v1
	s_wait_alu 0xf1ff
	v_cndmask_b32_e64 v38, v2, v1, s3
	;; [unrolled: 10-line block ×135, first 2 shown]
	v_bfe_u32 v1, v0, 16, 1
	v_cmp_u_f32_e64 s3, v0, v0
	s_delay_alu instid0(VALU_DEP_2) | instskip(SKIP_2) | instid1(VALU_DEP_1)
	v_add3_u32 v1, v1, v0, 0x7fff
	v_or_b32_e32 v0, 0x400000, v0
	s_wait_alu 0xf1ff
	v_cndmask_b32_e64 v17, v1, v0, s3
	v_cvt_f32_fp8_e32 v0, v21
	s_delay_alu instid0(VALU_DEP_1) | instskip(NEXT) | instid1(VALU_DEP_1)
	v_mul_f32_e32 v0, s5, v0
	v_bfe_u32 v1, v0, 16, 1
	v_cmp_u_f32_e64 s3, v0, v0
	s_delay_alu instid0(VALU_DEP_2) | instskip(SKIP_2) | instid1(VALU_DEP_1)
	v_add3_u32 v1, v1, v0, 0x7fff
	v_or_b32_e32 v0, 0x400000, v0
	s_wait_alu 0xf1ff
	v_cndmask_b32_e64 v10, v1, v0, s3
	v_cvt_f32_fp8_e32 v0, v9
	s_delay_alu instid0(VALU_DEP_1) | instskip(NEXT) | instid1(VALU_DEP_1)
	v_mul_f32_e32 v0, s5, v0
	;; [unrolled: 10-line block ×3, first 2 shown]
	v_bfe_u32 v1, v0, 16, 1
	v_cmp_u_f32_e64 s3, v0, v0
	s_delay_alu instid0(VALU_DEP_2) | instskip(SKIP_2) | instid1(VALU_DEP_1)
	v_add3_u32 v1, v1, v0, 0x7fff
	v_or_b32_e32 v0, 0x400000, v0
	s_wait_alu 0xf1ff
	v_cndmask_b32_e64 v9, v1, v0, s3
	v_cvt_f32_fp8_e32 v0, v33
	scratch_load_b32 v33, off, off offset:112 ; 4-byte Folded Reload
	v_mul_f32_e32 v0, s5, v0
	s_delay_alu instid0(VALU_DEP_1) | instskip(SKIP_1) | instid1(VALU_DEP_2)
	v_bfe_u32 v1, v0, 16, 1
	v_cmp_u_f32_e64 s3, v0, v0
	v_add3_u32 v1, v1, v0, 0x7fff
	v_or_b32_e32 v0, 0x400000, v0
	s_wait_alu 0xf1ff
	s_delay_alu instid0(VALU_DEP_1) | instskip(SKIP_1) | instid1(VALU_DEP_1)
	v_cndmask_b32_e64 v7, v1, v0, s3
	v_cvt_f32_fp8_e32 v0, v35
	v_mul_f32_e32 v0, s5, v0
	s_delay_alu instid0(VALU_DEP_1) | instskip(SKIP_1) | instid1(VALU_DEP_2)
	v_bfe_u32 v1, v0, 16, 1
	v_cmp_u_f32_e64 s3, v0, v0
	v_add3_u32 v1, v1, v0, 0x7fff
	v_or_b32_e32 v0, 0x400000, v0
	s_wait_alu 0xf1ff
	s_delay_alu instid0(VALU_DEP_1) | instskip(SKIP_1) | instid1(VALU_DEP_1)
	v_cndmask_b32_e64 v6, v1, v0, s3
	v_cvt_f32_fp8_e32 v0, v29
	;; [unrolled: 10-line block ×3, first 2 shown]
	v_mul_f32_e32 v0, s5, v0
	s_delay_alu instid0(VALU_DEP_1) | instskip(SKIP_1) | instid1(VALU_DEP_2)
	v_bfe_u32 v1, v0, 16, 1
	v_cmp_u_f32_e64 s3, v0, v0
	v_add3_u32 v1, v1, v0, 0x7fff
	v_or_b32_e32 v0, 0x400000, v0
	s_wait_alu 0xf1ff
	s_delay_alu instid0(VALU_DEP_1) | instskip(SKIP_4) | instid1(VALU_DEP_1)
	v_cndmask_b32_e64 v2, v1, v0, s3
	v_cvt_f32_fp8_e32 v0, v34
	scratch_load_b32 v34, off, off offset:116 ; 4-byte Folded Reload
	v_and_b32_e32 v2, 0xffff0000, v2
	v_mul_f32_e32 v0, s5, v0
	v_bfe_u32 v1, v0, 16, 1
	v_cmp_u_f32_e64 s3, v0, v0
	s_delay_alu instid0(VALU_DEP_2) | instskip(SKIP_2) | instid1(VALU_DEP_1)
	v_add3_u32 v1, v1, v0, 0x7fff
	v_or_b32_e32 v0, 0x400000, v0
	s_wait_alu 0xf1ff
	v_cndmask_b32_e64 v1, v1, v0, s3
	v_cvt_f32_fp8_e32 v0, v32
	scratch_load_b32 v32, off, off offset:108 ; 4-byte Folded Reload
	v_dual_mul_f32 v0, s5, v0 :: v_dual_and_b32 v1, 0xffff0000, v1
	s_delay_alu instid0(VALU_DEP_1) | instskip(SKIP_1) | instid1(VALU_DEP_2)
	v_bfe_u32 v20, v0, 16, 1
	v_cmp_u_f32_e64 s3, v0, v0
	v_add3_u32 v20, v20, v0, 0x7fff
	v_or_b32_e32 v0, 0x400000, v0
	s_wait_alu 0xf1ff
	s_delay_alu instid0(VALU_DEP_1) | instskip(SKIP_1) | instid1(VALU_DEP_2)
	v_cndmask_b32_e64 v0, v20, v0, s3
	v_cvt_f32_fp8_e32 v20, v93
	v_and_b32_e32 v0, 0xffff0000, v0
	s_delay_alu instid0(VALU_DEP_2) | instskip(NEXT) | instid1(VALU_DEP_1)
	v_mul_f32_e32 v21, s5, v20
	v_bfe_u32 v20, v21, 16, 1
	v_cmp_u_f32_e64 s3, v21, v21
	v_or_b32_e32 v28, 0x400000, v21
	s_delay_alu instid0(VALU_DEP_3)
	v_add3_u32 v20, v20, v21, 0x7fff
	scratch_load_b32 v21, off, off offset:40 th:TH_LOAD_LU ; 4-byte Folded Reload
	s_wait_alu 0xf1ff
	v_cndmask_b32_e64 v20, v20, v28, s3
	scratch_load_b32 v28, off, off th:TH_LOAD_LU ; 4-byte Folded Reload
	v_cmp_gt_i32_e64 s3, s27, v19
	s_wait_loadcnt 0x1
	v_and_b32_e32 v21, 0xffff0000, v21
	s_wait_loadcnt 0x0
	v_and_b32_e32 v29, 0xffff0000, v28
	scratch_load_b32 v28, off, off offset:100 ; 4-byte Folded Reload
	s_wait_loadcnt 0x0
	v_mul_f32_e32 v28, v28, v21
	scratch_load_b32 v21, off, off offset:68 ; 4-byte Folded Reload
	s_wait_loadcnt 0x0
	v_fmac_f32_e32 v28, v21, v29
	s_clause 0x1
	scratch_load_b32 v21, off, off offset:44 th:TH_LOAD_LU
	scratch_load_b32 v29, off, off offset:4 th:TH_LOAD_LU
	s_wait_loadcnt 0x1
	v_and_b32_e32 v21, 0xffff0000, v21
	s_wait_loadcnt 0x0
	v_and_b32_e32 v31, 0xffff0000, v29
	scratch_load_b32 v29, off, off offset:104 ; 4-byte Folded Reload
	s_wait_loadcnt 0x0
	v_mul_f32_e32 v29, v29, v21
	scratch_load_b32 v21, off, off offset:72 ; 4-byte Folded Reload
	s_wait_loadcnt 0x0
	v_fmac_f32_e32 v29, v21, v31
	s_clause 0x1
	scratch_load_b32 v21, off, off offset:48 th:TH_LOAD_LU
	scratch_load_b32 v31, off, off offset:8 th:TH_LOAD_LU
	s_wait_loadcnt 0x1
	v_and_b32_e32 v21, 0xffff0000, v21
	s_wait_loadcnt 0x0
	s_delay_alu instid0(VALU_DEP_1)
	v_dual_mul_f32 v32, v32, v21 :: v_dual_and_b32 v31, 0xffff0000, v31
	scratch_load_b32 v21, off, off offset:76 ; 4-byte Folded Reload
	s_wait_loadcnt 0x0
	v_fmac_f32_e32 v32, v21, v31
	s_clause 0x1
	scratch_load_b32 v21, off, off offset:56 th:TH_LOAD_LU
	scratch_load_b32 v31, off, off offset:12 th:TH_LOAD_LU
	s_wait_loadcnt 0x1
	v_and_b32_e32 v21, 0xffff0000, v21
	s_wait_loadcnt 0x0
	v_and_b32_e32 v31, 0xffff0000, v31
	s_delay_alu instid0(VALU_DEP_2)
	v_mul_f32_e32 v33, v33, v21
	scratch_load_b32 v21, off, off offset:80 ; 4-byte Folded Reload
	s_wait_loadcnt 0x0
	v_fmac_f32_e32 v33, v21, v31
	s_clause 0x1
	scratch_load_b32 v21, off, off offset:60 th:TH_LOAD_LU
	scratch_load_b32 v31, off, off offset:16 th:TH_LOAD_LU
	s_wait_loadcnt 0x1
	v_and_b32_e32 v21, 0xffff0000, v21
	s_wait_loadcnt 0x0
	s_delay_alu instid0(VALU_DEP_1)
	v_dual_mul_f32 v34, v34, v21 :: v_dual_and_b32 v31, 0xffff0000, v31
	scratch_load_b32 v21, off, off offset:84 ; 4-byte Folded Reload
	s_wait_loadcnt 0x0
	v_dual_fmac_f32 v34, v21, v31 :: v_dual_and_b32 v21, 0xffff0000, v30
	scratch_load_b32 v30, off, off offset:20 th:TH_LOAD_LU ; 4-byte Folded Reload
	s_wait_loadcnt 0x0
	v_and_b32_e32 v31, 0xffff0000, v30
	scratch_load_b32 v30, off, off offset:120 ; 4-byte Folded Reload
	s_wait_loadcnt 0x0
	v_mul_f32_e32 v30, v30, v21
	scratch_load_b32 v21, off, off offset:88 ; 4-byte Folded Reload
	s_wait_loadcnt 0x0
	v_fmac_f32_e32 v30, v21, v31
	v_and_b32_e32 v21, 0xffff0000, v27
	scratch_load_b32 v27, off, off offset:24 th:TH_LOAD_LU ; 4-byte Folded Reload
	s_wait_loadcnt 0x0
	v_and_b32_e32 v31, 0xffff0000, v27
	scratch_load_b32 v27, off, off offset:124 ; 4-byte Folded Reload
	s_wait_loadcnt 0x0
	v_mul_f32_e32 v27, v27, v21
	scratch_load_b32 v21, off, off offset:92 ; 4-byte Folded Reload
	s_wait_loadcnt 0x0
	v_fmac_f32_e32 v27, v21, v31
	v_and_b32_e32 v21, 0xffff0000, v26
	scratch_load_b32 v26, off, off offset:28 th:TH_LOAD_LU ; 4-byte Folded Reload
	s_wait_loadcnt 0x0
	v_and_b32_e32 v31, 0xffff0000, v26
	scratch_load_b32 v26, off, off offset:128 ; 4-byte Folded Reload
	s_wait_loadcnt 0x0
	v_mul_f32_e32 v26, v26, v21
	scratch_load_b32 v21, off, off offset:96 ; 4-byte Folded Reload
	s_wait_loadcnt 0x0
	v_fmac_f32_e32 v26, v21, v31
	scratch_load_b32 v21, off, off offset:132 ; 4-byte Folded Reload
	s_wait_loadcnt 0x0
	v_dual_fmac_f32 v28, v21, v3 :: v_dual_and_b32 v3, 0xffff0000, v4
	scratch_load_b32 v4, off, off offset:136 ; 4-byte Folded Reload
	s_wait_loadcnt 0x0
	v_fmac_f32_e32 v29, v4, v3
	s_clause 0x1
	scratch_load_b32 v3, off, off offset:32 th:TH_LOAD_LU
	scratch_load_b32 v4, off, off offset:140
	s_wait_loadcnt 0x1
	v_and_b32_e32 v3, 0xffff0000, v3
	s_wait_loadcnt 0x0
	s_delay_alu instid0(VALU_DEP_1)
	v_fmac_f32_e32 v32, v4, v3
	s_clause 0x1
	scratch_load_b32 v3, off, off offset:36 th:TH_LOAD_LU
	scratch_load_b32 v4, off, off offset:144
	s_wait_loadcnt 0x1
	v_and_b32_e32 v3, 0xffff0000, v3
	s_wait_loadcnt 0x0
	s_delay_alu instid0(VALU_DEP_1) | instskip(SKIP_3) | instid1(VALU_DEP_1)
	v_fmac_f32_e32 v33, v4, v3
	scratch_load_b32 v4, off, off offset:148 ; 4-byte Folded Reload
	v_and_b32_e32 v3, 0xffff0000, v40
	s_wait_loadcnt 0x0
	v_fmac_f32_e32 v34, v4, v3
	scratch_load_b32 v4, off, off offset:152 ; 4-byte Folded Reload
	v_and_b32_e32 v3, 0xffff0000, v41
	s_wait_loadcnt 0x0
	s_delay_alu instid0(VALU_DEP_1) | instskip(SKIP_3) | instid1(VALU_DEP_1)
	v_fmac_f32_e32 v30, v4, v3
	scratch_load_b32 v4, off, off offset:156 ; 4-byte Folded Reload
	v_and_b32_e32 v3, 0xffff0000, v42
	s_wait_loadcnt 0x0
	v_fmac_f32_e32 v27, v4, v3
	scratch_load_b32 v4, off, off offset:160 ; 4-byte Folded Reload
	;; [unrolled: 9-line block ×84, first 2 shown]
	v_and_b32_e32 v3, 0xffff0000, v5
	s_wait_loadcnt 0x0
	s_delay_alu instid0(VALU_DEP_1)
	v_fmac_f32_e32 v33, v4, v3
	scratch_load_b32 v3, off, off offset:832 ; 4-byte Folded Reload
	s_wait_loadcnt 0x0
	v_fmac_f32_e32 v34, v3, v2
	scratch_load_b32 v2, off, off offset:836 ; 4-byte Folded Reload
	s_wait_loadcnt 0x0
	;; [unrolled: 3-line block ×3, first 2 shown]
	v_fmac_f32_e32 v27, v1, v0
	scratch_load_b32 v1, off, off offset:844 ; 4-byte Folded Reload
	v_and_b32_e32 v0, 0xffff0000, v20
	s_wait_loadcnt 0x0
	s_delay_alu instid0(VALU_DEP_1) | instskip(SKIP_1) | instid1(VALU_DEP_1)
	v_fmac_f32_e32 v26, v1, v0
	v_dual_add_f32 v0, v28, v29 :: v_dual_add_nc_u32 v1, s21, v19
	v_dual_add_f32 v0, v0, v32 :: v_dual_add_nc_u32 v19, 0x80, v19
	s_delay_alu instid0(VALU_DEP_2) | instskip(NEXT) | instid1(VALU_DEP_1)
	v_cvt_f32_i32_e32 v1, v1
	v_dual_add_f32 v0, v33, v0 :: v_dual_mul_f32 v1, s8, v1
	s_delay_alu instid0(VALU_DEP_1) | instskip(NEXT) | instid1(VALU_DEP_1)
	v_dual_add_f32 v0, v34, v0 :: v_dual_cndmask_b32 v1, 0, v1
	v_add_f32_e32 v0, v30, v0
	s_delay_alu instid0(VALU_DEP_1) | instskip(NEXT) | instid1(VALU_DEP_1)
	v_add_f32_e32 v0, v27, v0
	v_add_f32_e32 v0, v26, v0
	s_delay_alu instid0(VALU_DEP_1) | instskip(NEXT) | instid1(VALU_DEP_1)
	v_dual_fmac_f32 v1, s9, v0 :: v_dual_max_num_f32 v0, v18, v18
	v_max_num_f32_e32 v0, v0, v1
	s_wait_alu 0xf1ff
	v_cndmask_b32_e64 v1, 0, v1, s3
	s_delay_alu instid0(VALU_DEP_2)
	v_cndmask_b32_e64 v18, v18, v0, s3
	v_add_co_u32 v36, s3, v36, 16
	ds_store_b32 v67, v1
	s_wait_alu 0xf1ff
	v_add_co_ci_u32_e64 v37, null, 0, v37, s3
	v_add_nc_u32_e32 v67, 0x200, v67
	s_and_not1_b32 exec_lo, exec_lo, s14
	s_cbranch_execnz .LBB365_7
; %bb.8:
	s_or_b32 exec_lo, exec_lo, s14
	s_clause 0x1
	scratch_load_b64 v[0:1], off, off offset:168
	scratch_load_b32 v20, off, off offset:868
	s_wait_loadcnt 0x1
	v_mov_b32_e32 v17, v0
.LBB365_9:
	s_or_b32 exec_lo, exec_lo, s10
	v_mbcnt_lo_u32_b32 v0, -1, 0
	s_load_b128 s[8:11], s[0:1], 0x0
	s_wait_kmcnt 0x0
	s_clause 0x1
	s_load_b64 s[4:5], s[0:1], 0x10
	s_load_b64 s[24:25], s[0:1], 0x28
	v_max_num_f32_e32 v4, v18, v18
	v_xor_b32_e32 v1, 16, v0
	v_xor_b32_e32 v3, 8, v0
	s_delay_alu instid0(VALU_DEP_2) | instskip(SKIP_2) | instid1(VALU_DEP_3)
	v_cmp_gt_i32_e32 vcc_lo, 32, v1
	s_wait_alu 0xfffd
	v_cndmask_b32_e32 v1, v0, v1, vcc_lo
	v_cmp_gt_i32_e32 vcc_lo, 32, v3
	s_delay_alu instid0(VALU_DEP_2)
	v_lshlrev_b32_e32 v1, 2, v1
	s_wait_alu 0xfffd
	v_cndmask_b32_e32 v3, v0, v3, vcc_lo
	ds_bpermute_b32 v2, v1, v18
	s_wait_dscnt 0x0
	v_dual_max_num_f32 v5, v2, v2 :: v_dual_lshlrev_b32 v2, 2, v3
	s_delay_alu instid0(VALU_DEP_1)
	v_max_num_f32_e32 v3, v4, v5
	v_xor_b32_e32 v5, 4, v0
	ds_bpermute_b32 v4, v2, v3
	v_cmp_gt_i32_e32 vcc_lo, 32, v5
	s_wait_alu 0xfffd
	v_cndmask_b32_e32 v5, v0, v5, vcc_lo
	s_wait_dscnt 0x0
	v_max_num_f32_e32 v6, v4, v4
	s_delay_alu instid0(VALU_DEP_1)
	v_dual_max_num_f32 v3, v3, v6 :: v_dual_lshlrev_b32 v4, 2, v5
	v_xor_b32_e32 v6, 2, v0
	ds_bpermute_b32 v5, v4, v3
	v_cmp_gt_i32_e32 vcc_lo, 32, v6
	s_wait_dscnt 0x0
	s_wait_alu 0xfffd
	v_dual_cndmask_b32 v6, v0, v6 :: v_dual_max_num_f32 v5, v5, v5
	s_delay_alu instid0(VALU_DEP_1) | instskip(SKIP_3) | instid1(VALU_DEP_1)
	v_dual_max_num_f32 v3, v3, v5 :: v_dual_lshlrev_b32 v6, 2, v6
	scratch_store_b32 off, v6, off offset:192 ; 4-byte Folded Spill
	ds_bpermute_b32 v5, v6, v3
	v_xor_b32_e32 v6, 1, v0
	v_cmp_gt_i32_e32 vcc_lo, 32, v6
	s_wait_dscnt 0x0
	s_wait_alu 0xfffd
	v_dual_cndmask_b32 v6, v0, v6 :: v_dual_max_num_f32 v5, v5, v5
	s_delay_alu instid0(VALU_DEP_1)
	v_dual_max_num_f32 v0, v3, v5 :: v_dual_lshlrev_b32 v3, 2, v6
	scratch_load_b32 v5, off, off offset:860 ; 4-byte Folded Reload
	scratch_store_b32 off, v3, off offset:188 ; 4-byte Folded Spill
	ds_bpermute_b32 v3, v3, v0
	s_wait_loadcnt 0x0
	v_cmp_eq_u32_e32 vcc_lo, 0, v5
	scratch_load_b32 v5, off, off offset:864 ; 4-byte Folded Reload
	s_wait_loadcnt 0x0
	v_lshlrev_b32_e32 v5, 2, v5
	s_and_saveexec_b32 s0, vcc_lo
	s_cbranch_execz .LBB365_11
; %bb.10:
	s_wait_dscnt 0x0
	v_dual_max_num_f32 v3, v3, v3 :: v_dual_max_num_f32 v0, v0, v0
	s_delay_alu instid0(VALU_DEP_1)
	v_max_num_f32_e32 v0, v0, v3
	ds_store_b32 v5, v0 offset:384
.LBB365_11:
	s_or_b32 exec_lo, exec_lo, s0
	scratch_load_b32 v0, off, off offset:860 ; 4-byte Folded Reload
	s_wait_storecnt 0x0
	s_wait_loadcnt_dscnt 0x0
	s_barrier_signal -1
	s_barrier_wait -1
	global_inv scope:SCOPE_SE
	v_cmp_gt_u32_e64 s0, 4, v0
	v_mov_b32_e32 v0, 0xff7fffff
	s_and_saveexec_b32 s1, s0
; %bb.12:
	ds_load_b32 v0, v20 offset:384
; %bb.13:
	s_or_b32 exec_lo, exec_lo, s1
	scratch_load_b32 v3, off, off offset:192 ; 4-byte Folded Reload
	s_sub_co_i32 s1, s17, s31
	v_mov_b32_e32 v6, 0
	s_lshl_b32 s1, s1, 5
	s_delay_alu instid0(SALU_CYCLE_1) | instskip(NEXT) | instid1(SALU_CYCLE_1)
	s_add_co_i32 s1, s1, s28
	s_min_i32 s1, s1, s27
	s_delay_alu instid0(SALU_CYCLE_1) | instskip(SKIP_4) | instid1(VALU_DEP_1)
	s_sub_co_i32 s14, s1, s28
	s_wait_loadcnt_dscnt 0x0
	ds_bpermute_b32 v3, v3, v0
	s_wait_dscnt 0x0
	v_dual_max_num_f32 v0, v0, v0 :: v_dual_max_num_f32 v3, v3, v3
	v_max_num_f32_e32 v0, v0, v3
	scratch_load_b32 v3, off, off offset:188 ; 4-byte Folded Reload
	s_wait_loadcnt 0x0
	ds_bpermute_b32 v3, v3, v0
	s_wait_dscnt 0x0
	v_max_num_f32_e32 v3, v3, v3
	s_delay_alu instid0(VALU_DEP_1)
	v_max_num_f32_e32 v0, v0, v3
	scratch_load_b32 v3, off, off offset:856 ; 4-byte Folded Reload
	ds_bpermute_b32 v0, v6, v0
	s_wait_loadcnt 0x0
	v_cmp_gt_i32_e64 s1, s14, v3
	v_lshl_add_u32 v3, v3, 2, 0x1a0
	s_and_saveexec_b32 s21, s1
	s_cbranch_execz .LBB365_17
; %bb.14:
	scratch_load_b32 v8, off, off offset:856 ; 4-byte Folded Reload
	v_mov_b32_e32 v6, 0
	s_mov_b32 s31, 0
	s_wait_loadcnt 0x0
	v_lshl_add_u32 v7, v8, 2, 0x1a0
.LBB365_15:                             ; =>This Inner Loop Header: Depth=1
	ds_load_b32 v9, v7
	v_add_nc_u32_e32 v8, 0x80, v8
	s_delay_alu instid0(VALU_DEP_1) | instskip(SKIP_4) | instid1(VALU_DEP_1)
	v_cmp_le_i32_e64 s3, s14, v8
	s_wait_alu 0xfffe
	s_or_b32 s31, s3, s31
	s_wait_dscnt 0x0
	v_sub_f32_e32 v9, v9, v0
	v_mul_f32_e32 v9, 0x3fb8aa3b, v9
	s_delay_alu instid0(VALU_DEP_1)
	v_exp_f32_e32 v9, v9
	ds_store_b32 v7, v9
	v_dual_add_f32 v6, v6, v9 :: v_dual_add_nc_u32 v7, 0x200, v7
	s_wait_alu 0xfffe
	s_and_not1_b32 exec_lo, exec_lo, s31
	s_cbranch_execnz .LBB365_15
; %bb.16:
	s_or_b32 exec_lo, exec_lo, s31
.LBB365_17:
	s_wait_alu 0xfffe
	s_or_b32 exec_lo, exec_lo, s21
	ds_bpermute_b32 v1, v1, v6
	s_wait_dscnt 0x0
	v_add_f32_e32 v1, v6, v1
	ds_bpermute_b32 v2, v2, v1
	s_wait_dscnt 0x0
	v_add_f32_e32 v1, v1, v2
	;; [unrolled: 3-line block ×3, first 2 shown]
	scratch_load_b32 v2, off, off offset:192 ; 4-byte Folded Reload
	s_wait_loadcnt 0x0
	ds_bpermute_b32 v2, v2, v1
	s_wait_dscnt 0x0
	v_add_f32_e32 v1, v1, v2
	scratch_load_b32 v2, off, off offset:188 ; 4-byte Folded Reload
	s_wait_loadcnt 0x0
	ds_bpermute_b32 v2, v2, v1
	s_wait_dscnt 0x0
	v_add_f32_e32 v1, v1, v2
	s_and_saveexec_b32 s3, vcc_lo
; %bb.18:
	ds_store_b32 v5, v1 offset:400
; %bb.19:
	s_wait_alu 0xfffe
	s_or_b32 exec_lo, exec_lo, s3
	s_wait_dscnt 0x0
	s_barrier_signal -1
	s_barrier_wait -1
	global_inv scope:SCOPE_SE
	s_and_saveexec_b32 s3, s0
; %bb.20:
	ds_load_b32 v1, v20 offset:400
; %bb.21:
	s_wait_alu 0xfffe
	s_or_b32 exec_lo, exec_lo, s3
	scratch_load_b32 v2, off, off offset:192 ; 4-byte Folded Reload
	s_wait_loadcnt_dscnt 0x0
	ds_bpermute_b32 v2, v2, v1
	s_wait_dscnt 0x0
	v_add_f32_e32 v1, v1, v2
	scratch_load_b32 v2, off, off offset:188 ; 4-byte Folded Reload
	s_wait_loadcnt 0x0
	ds_bpermute_b32 v2, v2, v1
	s_wait_dscnt 0x0
	v_dual_add_f32 v1, v1, v2 :: v_dual_mov_b32 v2, 0
	ds_bpermute_b32 v1, v2, v1
	s_and_saveexec_b32 s0, s1
	s_cbranch_execz .LBB365_24
; %bb.22:
	s_wait_dscnt 0x0
	v_add_f32_e32 v2, 0x358637bd, v1
	s_mov_b32 s1, 0
	s_delay_alu instid0(VALU_DEP_1) | instskip(SKIP_1) | instid1(VALU_DEP_2)
	v_div_scale_f32 v4, null, v2, v2, 1.0
	v_div_scale_f32 v7, vcc_lo, 1.0, v2, 1.0
	v_rcp_f32_e32 v5, v4
	s_delay_alu instid0(TRANS32_DEP_1) | instskip(NEXT) | instid1(VALU_DEP_1)
	v_fma_f32 v6, -v4, v5, 1.0
	v_fmac_f32_e32 v5, v6, v5
	s_delay_alu instid0(VALU_DEP_1) | instskip(NEXT) | instid1(VALU_DEP_1)
	v_mul_f32_e32 v6, v7, v5
	v_fma_f32 v8, -v4, v6, v7
	s_delay_alu instid0(VALU_DEP_1) | instskip(NEXT) | instid1(VALU_DEP_1)
	v_fmac_f32_e32 v6, v8, v5
	v_fma_f32 v4, -v4, v6, v7
	s_wait_alu 0xfffd
	s_delay_alu instid0(VALU_DEP_1) | instskip(NEXT) | instid1(VALU_DEP_1)
	v_div_fmas_f32 v4, v4, v5, v6
	v_div_fixup_f32 v2, v4, v2, 1.0
	scratch_load_b32 v4, off, off offset:856 ; 4-byte Folded Reload
.LBB365_23:                             ; =>This Inner Loop Header: Depth=1
	ds_load_b32 v5, v3
	s_wait_loadcnt_dscnt 0x0
	v_dual_mul_f32 v5, v2, v5 :: v_dual_add_nc_u32 v4, 0x80, v4
	s_delay_alu instid0(VALU_DEP_1) | instskip(SKIP_3) | instid1(SALU_CYCLE_1)
	v_cmp_le_i32_e32 vcc_lo, s14, v4
	ds_store_b32 v3, v5
	v_add_nc_u32_e32 v3, 0x200, v3
	s_or_b32 s1, vcc_lo, s1
	s_and_not1_b32 exec_lo, exec_lo, s1
	s_cbranch_execnz .LBB365_23
.LBB365_24:
	s_or_b32 exec_lo, exec_lo, s0
	s_wait_dscnt 0x0
	s_barrier_signal -1
	scratch_load_b32 v2, off, off offset:856 ; 4-byte Folded Reload
	s_mul_i32 s0, s12, s15
	s_barrier_wait -1
	s_mul_i32 s14, s0, s29
	s_mov_b32 s0, exec_lo
	s_wait_loadcnt 0x0
	global_inv scope:SCOPE_SE
	v_cmpx_eq_u32_e32 0, v2
	s_cbranch_execz .LBB365_26
; %bb.25:
	s_wait_alu 0xfffe
	s_ashr_i32 s15, s14, 31
	s_mul_i32 s34, s12, ttmp9
	s_lshl_b32 s1, s26, 2
	s_wait_alu 0xfffe
	s_lshl_b64 s[36:37], s[14:15], 2
	s_ashr_i32 s35, s34, 31
	v_mov_b32_e32 v2, s1
	s_add_nc_u64 s[10:11], s[10:11], s[36:37]
	s_lshl_b64 s[34:35], s[34:35], 2
	s_add_nc_u64 s[8:9], s[8:9], s[36:37]
	s_wait_alu 0xfffe
	s_add_nc_u64 s[10:11], s[10:11], s[34:35]
	s_add_nc_u64 s[8:9], s[8:9], s[34:35]
	s_clause 0x1
	global_store_b32 v2, v0, s[10:11]
	global_store_b32 v2, v1, s[8:9]
.LBB365_26:
	s_or_b32 exec_lo, exec_lo, s0
	v_dual_mov_b32 v41, 0 :: v_dual_mov_b32 v42, 0
	v_dual_mov_b32 v40, 0 :: v_dual_mov_b32 v39, 0
	;; [unrolled: 1-line block ×12, first 2 shown]
	s_and_saveexec_b32 s1, s2
	s_cbranch_execz .LBB365_78
; %bb.27:
	scratch_load_b32 v0, off, off offset:856 ; 4-byte Folded Reload
	s_load_b32 s6, s[6:7], 0x0
	s_ashr_i32 s21, s20, 31
	s_lshl_b32 s0, s28, 2
	s_wait_kmcnt 0x0
	s_wait_alu 0xfffe
	s_add_nc_u64 s[10:11], s[24:25], s[20:21]
	s_sub_co_i32 s8, 0x1a0, s0
	v_dual_mov_b32 v22, 0 :: v_dual_mov_b32 v23, 0
	v_dual_mov_b32 v24, 0 :: v_dual_mov_b32 v25, 0
	;; [unrolled: 1-line block ×10, first 2 shown]
	v_mov_b32_e32 v42, 0
	s_lshl_b64 s[2:3], s[22:23], 2
	s_mov_b32 s7, s13
	s_wait_alu 0xfffe
	s_add_nc_u64 s[2:3], s[18:19], s[2:3]
	s_mov_b32 s9, 0
	v_mov_b32_e32 v19, 0
	v_dual_mov_b32 v21, 0 :: v_dual_mov_b32 v20, 0
	s_wait_loadcnt 0x0
	v_lshlrev_b32_e32 v0, 3, v0
	s_delay_alu instid0(VALU_DEP_1)
	v_and_b32_e32 v1, 24, v0
	v_and_b32_e32 v0, 0xf8, v0
	scratch_store_b32 off, v1, off offset:176 ; 4-byte Folded Spill
	v_add_co_u32 v0, s0, s10, v0
	s_wait_alu 0xf1ff
	v_add_co_ci_u32_e64 v1, null, s11, 0, s0
	s_add_co_i32 s10, s30, -1
	scratch_store_b64 off, v[0:1], off offset:180 ; 8-byte Folded Spill
	s_branch .LBB365_29
.LBB365_28:                             ;   in Loop: Header=BB365_29 Depth=1
	s_wait_alu 0xfffe
	s_or_b32 exec_lo, exec_lo, s0
	s_wait_dscnt 0x1
	v_bfe_u32 v83, v5, 16, 1
	v_or_b32_e32 v84, 0x400000, v5
	v_cmp_u_f32_e32 vcc_lo, v5, v5
	v_lshlrev_b32_e32 v81, 16, v81
	v_lshlrev_b32_e32 v67, 16, v67
	v_add3_u32 v83, v83, v5, 0x7fff
	v_lshlrev_b32_e32 v69, 16, v69
	v_lshlrev_b32_e32 v70, 16, v70
	;; [unrolled: 1-line block ×4, first 2 shown]
	s_wait_alu 0xfffd
	v_cndmask_b32_e32 v5, v83, v84, vcc_lo
	v_bfe_u32 v83, v6, 16, 1
	v_or_b32_e32 v84, 0x400000, v6
	v_cmp_u_f32_e32 vcc_lo, v6, v6
	v_lshlrev_b32_e32 v54, 16, v54
	v_lshlrev_b32_e32 v58, 16, v58
	v_add3_u32 v83, v83, v6, 0x7fff
	v_lshlrev_b32_e32 v50, 16, v50
	v_lshlrev_b32_e32 v43, 16, v43
	;; [unrolled: 1-line block ×4, first 2 shown]
	s_wait_alu 0xfffd
	v_cndmask_b32_e32 v6, v83, v84, vcc_lo
	v_bfe_u32 v83, v7, 16, 1
	v_or_b32_e32 v84, 0x400000, v7
	v_cmp_u_f32_e32 vcc_lo, v7, v7
	v_lshlrev_b32_e32 v12, 16, v12
	v_lshlrev_b32_e32 v18, 16, v18
	v_add3_u32 v83, v83, v7, 0x7fff
	v_bfe_u32 v7, v8, 16, 1
	v_lshlrev_b32_e32 v72, 16, v72
	v_lshlrev_b32_e32 v74, 16, v74
	;; [unrolled: 1-line block ×3, first 2 shown]
	s_wait_alu 0xfffd
	v_cndmask_b32_e32 v83, v83, v84, vcc_lo
	v_add3_u32 v7, v7, v8, 0x7fff
	v_or_b32_e32 v84, 0x400000, v8
	v_cmp_u_f32_e32 vcc_lo, v8, v8
	s_wait_dscnt 0x0
	v_or_b32_e32 v8, 0x400000, v1
	v_lshlrev_b32_e32 v66, 16, v66
	v_lshlrev_b32_e32 v52, 16, v52
	;; [unrolled: 1-line block ×3, first 2 shown]
	s_wait_alu 0xfffd
	v_cndmask_b32_e32 v84, v7, v84, vcc_lo
	v_bfe_u32 v7, v1, 16, 1
	v_cmp_u_f32_e32 vcc_lo, v1, v1
	v_lshlrev_b32_e32 v0, 16, v0
	s_delay_alu instid0(VALU_DEP_3) | instskip(SKIP_1) | instid1(VALU_DEP_1)
	v_add3_u32 v7, v7, v1, 0x7fff
	s_wait_alu 0xfffd
	v_cndmask_b32_e32 v1, v7, v8, vcc_lo
	v_bfe_u32 v7, v2, 16, 1
	v_or_b32_e32 v8, 0x400000, v2
	v_cmp_u_f32_e32 vcc_lo, v2, v2
	s_delay_alu instid0(VALU_DEP_3) | instskip(SKIP_1) | instid1(VALU_DEP_1)
	v_add3_u32 v7, v7, v2, 0x7fff
	s_wait_alu 0xfffd
	v_cndmask_b32_e32 v2, v7, v8, vcc_lo
	v_bfe_u32 v7, v3, 16, 1
	v_or_b32_e32 v8, 0x400000, v3
	v_cmp_u_f32_e32 vcc_lo, v3, v3
	;; [unrolled: 7-line block ×3, first 2 shown]
	s_delay_alu instid0(VALU_DEP_3) | instskip(SKIP_2) | instid1(VALU_DEP_2)
	v_add3_u32 v7, v7, v4, 0x7fff
	v_lshlrev_b32_e32 v4, 16, v76
	s_wait_alu 0xfffd
	v_dual_cndmask_b32 v136, v7, v8 :: v_dual_and_b32 v7, 0xffff0000, v6
	s_delay_alu instid0(VALU_DEP_1) | instskip(SKIP_1) | instid1(VALU_DEP_2)
	v_mul_f32_e32 v4, v7, v4
	v_mul_f32_e32 v9, v7, v9
	v_bfe_u32 v6, v4, 16, 1
	v_or_b32_e32 v8, 0x400000, v4
	v_cmp_u_f32_e32 vcc_lo, v4, v4
	s_delay_alu instid0(VALU_DEP_3) | instskip(SKIP_2) | instid1(VALU_DEP_2)
	v_add3_u32 v6, v6, v4, 0x7fff
	v_lshlrev_b32_e32 v4, 16, v75
	s_wait_alu 0xfffd
	v_cndmask_b32_e32 v76, v6, v8, vcc_lo
	v_and_b32_e32 v8, 0xffff0000, v5
	v_lshlrev_b32_e32 v73, 16, v73
	v_lshlrev_b32_e32 v65, 16, v65
	s_delay_alu instid0(VALU_DEP_3) | instskip(SKIP_3) | instid1(VALU_DEP_4)
	v_dual_mul_f32 v4, v8, v4 :: v_dual_lshlrev_b32 v11, 16, v11
	v_mul_f32_e32 v67, v8, v67
	v_mul_f32_e32 v60, v8, v60
	;; [unrolled: 1-line block ×3, first 2 shown]
	v_bfe_u32 v5, v4, 16, 1
	v_or_b32_e32 v6, 0x400000, v4
	v_cmp_u_f32_e32 vcc_lo, v4, v4
	s_delay_alu instid0(VALU_DEP_3) | instskip(SKIP_1) | instid1(VALU_DEP_1)
	v_add3_u32 v5, v5, v4, 0x7fff
	s_wait_alu 0xfffd
	v_dual_cndmask_b32 v75, v5, v6 :: v_dual_and_b32 v4, 0xffff0000, v84
	v_lshlrev_b32_e32 v5, 16, v78
	v_and_b32_e32 v2, 0xffff0000, v2
	s_delay_alu instid0(VALU_DEP_3) | instskip(NEXT) | instid1(VALU_DEP_3)
	v_and_b32_e32 v75, 0xffff0000, v75
	v_mul_f32_e32 v5, v4, v5
	s_delay_alu instid0(VALU_DEP_1) | instskip(SKIP_2) | instid1(VALU_DEP_3)
	v_bfe_u32 v6, v5, 16, 1
	v_or_b32_e32 v78, 0x400000, v5
	v_cmp_u_f32_e32 vcc_lo, v5, v5
	v_add3_u32 v6, v6, v5, 0x7fff
	s_wait_alu 0xfffd
	s_delay_alu instid0(VALU_DEP_1)
	v_dual_cndmask_b32 v78, v6, v78 :: v_dual_lshlrev_b32 v5, 16, v77
	v_and_b32_e32 v6, 0xffff0000, v83
	v_and_b32_e32 v3, 0xffff0000, v3
	v_lshlrev_b32_e32 v82, 16, v82
	v_lshlrev_b32_e32 v68, 16, v68
	;; [unrolled: 1-line block ×3, first 2 shown]
	v_mul_f32_e32 v5, v6, v5
	v_mul_f32_e32 v81, v3, v81
	s_delay_alu instid0(VALU_DEP_4) | instskip(SKIP_1) | instid1(VALU_DEP_4)
	v_dual_mul_f32 v69, v6, v69 :: v_dual_mul_f32 v68, v7, v68
	v_mul_f32_e32 v54, v6, v54
	v_bfe_u32 v77, v5, 16, 1
	v_or_b32_e32 v83, 0x400000, v5
	v_cmp_u_f32_e32 vcc_lo, v5, v5
	v_mul_f32_e32 v43, v6, v43
	s_delay_alu instid0(VALU_DEP_4) | instskip(SKIP_2) | instid1(VALU_DEP_2)
	v_add3_u32 v77, v77, v5, 0x7fff
	v_lshlrev_b32_e32 v5, 16, v80
	s_wait_alu 0xfffd
	v_cndmask_b32_e32 v77, v77, v83, vcc_lo
	s_delay_alu instid0(VALU_DEP_2) | instskip(NEXT) | instid1(VALU_DEP_1)
	v_dual_mul_f32 v5, v2, v5 :: v_dual_and_b32 v76, 0xffff0000, v76
	v_bfe_u32 v80, v5, 16, 1
	v_or_b32_e32 v83, 0x400000, v5
	v_cmp_u_f32_e32 vcc_lo, v5, v5
	s_delay_alu instid0(VALU_DEP_4) | instskip(NEXT) | instid1(VALU_DEP_4)
	v_dual_add_f32 v75, v75, v76 :: v_dual_and_b32 v76, 0xffff0000, v77
	v_add3_u32 v80, v80, v5, 0x7fff
	v_and_b32_e32 v5, 0xffff0000, v1
	v_lshlrev_b32_e32 v1, 16, v79
	s_wait_alu 0xfffd
	s_delay_alu instid0(VALU_DEP_3) | instskip(NEXT) | instid1(VALU_DEP_2)
	v_dual_cndmask_b32 v80, v80, v83 :: v_dual_and_b32 v77, 0xffff0000, v78
	v_mul_f32_e32 v1, v5, v1
	s_delay_alu instid0(VALU_DEP_2) | instskip(NEXT) | instid1(VALU_DEP_3)
	v_add_f32_e32 v76, v76, v77
	v_dual_mul_f32 v70, v4, v70 :: v_dual_and_b32 v77, 0xffff0000, v80
	v_lshlrev_b32_e32 v44, 16, v44
	s_delay_alu instid0(VALU_DEP_4)
	v_bfe_u32 v79, v1, 16, 1
	v_or_b32_e32 v83, 0x400000, v1
	v_cmp_u_f32_e32 vcc_lo, v1, v1
	v_mul_f32_e32 v11, v4, v11
	v_mul_f32_e32 v44, v8, v44
	v_add3_u32 v79, v79, v1, 0x7fff
	v_and_b32_e32 v1, 0xffff0000, v136
	v_lshlrev_b32_e32 v71, 16, v71
	v_lshlrev_b32_e32 v61, 16, v61
	s_wait_alu 0xfffd
	v_dual_cndmask_b32 v79, v79, v83 :: v_dual_lshlrev_b32 v62, 16, v62
	v_mul_f32_e32 v82, v1, v82
	v_mul_f32_e32 v72, v2, v72
	;; [unrolled: 1-line block ×5, first 2 shown]
	v_bfe_u32 v83, v82, 16, 1
	v_or_b32_e32 v84, 0x400000, v82
	v_cmp_u_f32_e32 vcc_lo, v82, v82
	v_mul_f32_e32 v62, v4, v62
	v_mul_f32_e32 v64, v2, v64
	v_add3_u32 v83, v83, v82, 0x7fff
	v_mul_f32_e32 v66, v1, v66
	v_mul_f32_e32 v56, v5, v56
	v_lshlrev_b32_e32 v46, 16, v46
	v_lshlrev_b32_e32 v48, 16, v48
	s_wait_alu 0xfffd
	v_cndmask_b32_e32 v82, v83, v84, vcc_lo
	v_bfe_u32 v83, v81, 16, 1
	v_or_b32_e32 v84, 0x400000, v81
	v_cmp_u_f32_e32 vcc_lo, v81, v81
	v_mul_f32_e32 v46, v6, v46
	v_mul_f32_e32 v48, v5, v48
	v_add3_u32 v83, v83, v81, 0x7fff
	v_mul_f32_e32 v12, v5, v12
	v_dual_mul_f32 v10, v1, v10 :: v_dual_mul_f32 v17, v2, v17
	s_wait_alu 0xfffd
	s_delay_alu instid0(VALU_DEP_3) | instskip(SKIP_3) | instid1(VALU_DEP_2)
	v_cndmask_b32_e32 v81, v83, v84, vcc_lo
	v_add_f32_e32 v75, v76, v75
	v_and_b32_e32 v76, 0xffff0000, v79
	v_cmp_u_f32_e32 vcc_lo, v68, v68
	v_dual_add_f32 v76, v76, v77 :: v_dual_and_b32 v77, 0xffff0000, v82
	v_mul_f32_e32 v65, v3, v65
	v_mul_f32_e32 v58, v3, v58
	s_delay_alu instid0(VALU_DEP_3) | instskip(SKIP_3) | instid1(VALU_DEP_3)
	v_dual_mul_f32 v50, v3, v50 :: v_dual_add_f32 v75, v76, v75
	v_and_b32_e32 v76, 0xffff0000, v81
	v_mul_f32_e32 v18, v3, v18
	v_mul_f32_e32 v0, v3, v0
	v_add_f32_e32 v76, v76, v77
	s_delay_alu instid0(VALU_DEP_1) | instskip(SKIP_1) | instid1(VALU_DEP_2)
	v_add_f32_e32 v75, v76, v75
	v_or_b32_e32 v76, 0x400000, v68
	v_add_f32_e32 v20, v20, v75
	v_bfe_u32 v75, v68, 16, 1
	s_delay_alu instid0(VALU_DEP_1) | instskip(SKIP_1) | instid1(VALU_DEP_1)
	v_add3_u32 v75, v75, v68, 0x7fff
	s_wait_alu 0xfffd
	v_cndmask_b32_e32 v68, v75, v76, vcc_lo
	v_bfe_u32 v75, v67, 16, 1
	v_or_b32_e32 v76, 0x400000, v67
	v_cmp_u_f32_e32 vcc_lo, v67, v67
	s_delay_alu instid0(VALU_DEP_4) | instskip(NEXT) | instid1(VALU_DEP_4)
	v_dual_mul_f32 v73, v3, v73 :: v_dual_and_b32 v68, 0xffff0000, v68
	v_add3_u32 v75, v75, v67, 0x7fff
	s_wait_alu 0xfffd
	s_delay_alu instid0(VALU_DEP_1) | instskip(SKIP_3) | instid1(VALU_DEP_4)
	v_cndmask_b32_e32 v67, v75, v76, vcc_lo
	v_bfe_u32 v75, v70, 16, 1
	v_or_b32_e32 v76, 0x400000, v70
	v_cmp_u_f32_e32 vcc_lo, v70, v70
	v_and_b32_e32 v67, 0xffff0000, v67
	s_delay_alu instid0(VALU_DEP_4) | instskip(SKIP_1) | instid1(VALU_DEP_1)
	v_add3_u32 v75, v75, v70, 0x7fff
	s_wait_alu 0xfffd
	v_cndmask_b32_e32 v70, v75, v76, vcc_lo
	v_bfe_u32 v75, v69, 16, 1
	v_or_b32_e32 v76, 0x400000, v69
	v_cmp_u_f32_e32 vcc_lo, v69, v69
	s_delay_alu instid0(VALU_DEP_3) | instskip(SKIP_1) | instid1(VALU_DEP_1)
	v_add3_u32 v75, v75, v69, 0x7fff
	s_wait_alu 0xfffd
	v_cndmask_b32_e32 v69, v75, v76, vcc_lo
	v_bfe_u32 v75, v72, 16, 1
	v_or_b32_e32 v76, 0x400000, v72
	v_cmp_u_f32_e32 vcc_lo, v72, v72
	s_delay_alu instid0(VALU_DEP_3) | instskip(SKIP_1) | instid1(VALU_DEP_1)
	;; [unrolled: 7-line block ×3, first 2 shown]
	v_add3_u32 v75, v75, v71, 0x7fff
	s_wait_alu 0xfffd
	v_cndmask_b32_e32 v71, v75, v76, vcc_lo
	v_bfe_u32 v75, v74, 16, 1
	v_or_b32_e32 v76, 0x400000, v74
	v_cmp_u_f32_e32 vcc_lo, v74, v74
	v_dual_add_f32 v67, v67, v68 :: v_dual_and_b32 v68, 0xffff0000, v69
	s_delay_alu instid0(VALU_DEP_4) | instskip(SKIP_1) | instid1(VALU_DEP_1)
	v_add3_u32 v75, v75, v74, 0x7fff
	s_wait_alu 0xfffd
	v_dual_cndmask_b32 v74, v75, v76 :: v_dual_and_b32 v69, 0xffff0000, v70
	v_bfe_u32 v75, v73, 16, 1
	v_or_b32_e32 v76, 0x400000, v73
	v_cmp_u_f32_e32 vcc_lo, v73, v73
	s_delay_alu instid0(VALU_DEP_4) | instskip(NEXT) | instid1(VALU_DEP_4)
	v_dual_add_f32 v68, v68, v69 :: v_dual_and_b32 v69, 0xffff0000, v72
	v_add3_u32 v75, v75, v73, 0x7fff
	s_wait_alu 0xfffd
	s_delay_alu instid0(VALU_DEP_1) | instskip(NEXT) | instid1(VALU_DEP_3)
	v_cndmask_b32_e32 v73, v75, v76, vcc_lo
	v_add_f32_e32 v67, v68, v67
	v_and_b32_e32 v68, 0xffff0000, v71
	v_cmp_u_f32_e32 vcc_lo, v9, v9
	s_delay_alu instid0(VALU_DEP_2) | instskip(NEXT) | instid1(VALU_DEP_1)
	v_dual_add_f32 v68, v68, v69 :: v_dual_and_b32 v69, 0xffff0000, v74
	v_dual_add_f32 v67, v68, v67 :: v_dual_and_b32 v68, 0xffff0000, v73
	s_delay_alu instid0(VALU_DEP_1) | instskip(NEXT) | instid1(VALU_DEP_1)
	v_add_f32_e32 v68, v68, v69
	v_add_f32_e32 v67, v68, v67
	v_or_b32_e32 v68, 0x400000, v9
	s_delay_alu instid0(VALU_DEP_2) | instskip(SKIP_1) | instid1(VALU_DEP_1)
	v_add_f32_e32 v21, v21, v67
	v_bfe_u32 v67, v9, 16, 1
	v_add3_u32 v67, v67, v9, 0x7fff
	s_wait_alu 0xfffd
	s_delay_alu instid0(VALU_DEP_1) | instskip(SKIP_3) | instid1(VALU_DEP_4)
	v_cndmask_b32_e32 v9, v67, v68, vcc_lo
	v_bfe_u32 v67, v60, 16, 1
	v_or_b32_e32 v68, 0x400000, v60
	v_cmp_u_f32_e32 vcc_lo, v60, v60
	v_and_b32_e32 v9, 0xffff0000, v9
	s_delay_alu instid0(VALU_DEP_4) | instskip(SKIP_1) | instid1(VALU_DEP_1)
	v_add3_u32 v67, v67, v60, 0x7fff
	s_wait_alu 0xfffd
	v_cndmask_b32_e32 v60, v67, v68, vcc_lo
	v_bfe_u32 v67, v62, 16, 1
	v_or_b32_e32 v68, 0x400000, v62
	v_cmp_u_f32_e32 vcc_lo, v62, v62
	s_delay_alu instid0(VALU_DEP_4) | instskip(NEXT) | instid1(VALU_DEP_4)
	v_dual_mul_f32 v63, v5, v63 :: v_dual_and_b32 v60, 0xffff0000, v60
	v_add3_u32 v67, v67, v62, 0x7fff
	s_wait_alu 0xfffd
	s_delay_alu instid0(VALU_DEP_1) | instskip(SKIP_3) | instid1(VALU_DEP_3)
	v_dual_add_f32 v9, v60, v9 :: v_dual_cndmask_b32 v62, v67, v68
	v_bfe_u32 v67, v61, 16, 1
	v_or_b32_e32 v68, 0x400000, v61
	v_cmp_u_f32_e32 vcc_lo, v61, v61
	v_add3_u32 v67, v67, v61, 0x7fff
	s_wait_alu 0xfffd
	s_delay_alu instid0(VALU_DEP_1) | instskip(SKIP_3) | instid1(VALU_DEP_4)
	v_cndmask_b32_e32 v61, v67, v68, vcc_lo
	v_bfe_u32 v67, v64, 16, 1
	v_or_b32_e32 v68, 0x400000, v64
	v_cmp_u_f32_e32 vcc_lo, v64, v64
	v_and_b32_e32 v60, 0xffff0000, v61
	s_delay_alu instid0(VALU_DEP_4) | instskip(SKIP_1) | instid1(VALU_DEP_1)
	v_add3_u32 v67, v67, v64, 0x7fff
	s_wait_alu 0xfffd
	v_dual_cndmask_b32 v64, v67, v68 :: v_dual_and_b32 v61, 0xffff0000, v62
	v_bfe_u32 v67, v63, 16, 1
	v_or_b32_e32 v68, 0x400000, v63
	v_cmp_u_f32_e32 vcc_lo, v63, v63
	s_delay_alu instid0(VALU_DEP_4) | instskip(NEXT) | instid1(VALU_DEP_4)
	v_dual_add_f32 v60, v60, v61 :: v_dual_and_b32 v61, 0xffff0000, v64
	v_add3_u32 v67, v67, v63, 0x7fff
	s_delay_alu instid0(VALU_DEP_2) | instskip(SKIP_1) | instid1(VALU_DEP_2)
	v_add_f32_e32 v9, v60, v9
	s_wait_alu 0xfffd
	v_cndmask_b32_e32 v63, v67, v68, vcc_lo
	v_bfe_u32 v67, v66, 16, 1
	v_or_b32_e32 v68, 0x400000, v66
	v_cmp_u_f32_e32 vcc_lo, v66, v66
	s_delay_alu instid0(VALU_DEP_4) | instskip(NEXT) | instid1(VALU_DEP_4)
	v_and_b32_e32 v60, 0xffff0000, v63
	v_add3_u32 v67, v67, v66, 0x7fff
	s_wait_alu 0xfffd
	s_delay_alu instid0(VALU_DEP_1) | instskip(SKIP_3) | instid1(VALU_DEP_4)
	v_cndmask_b32_e32 v66, v67, v68, vcc_lo
	v_bfe_u32 v67, v65, 16, 1
	v_or_b32_e32 v68, 0x400000, v65
	v_cmp_u_f32_e32 vcc_lo, v65, v65
	v_dual_add_f32 v60, v60, v61 :: v_dual_and_b32 v61, 0xffff0000, v66
	s_delay_alu instid0(VALU_DEP_4) | instskip(NEXT) | instid1(VALU_DEP_2)
	v_add3_u32 v67, v67, v65, 0x7fff
	v_add_f32_e32 v9, v60, v9
	s_wait_alu 0xfffd
	s_delay_alu instid0(VALU_DEP_2) | instskip(NEXT) | instid1(VALU_DEP_1)
	v_cndmask_b32_e32 v65, v67, v68, vcc_lo
	v_and_b32_e32 v60, 0xffff0000, v65
	s_delay_alu instid0(VALU_DEP_1) | instskip(NEXT) | instid1(VALU_DEP_1)
	v_add_f32_e32 v60, v60, v61
	v_add_f32_e32 v9, v60, v9
	s_delay_alu instid0(VALU_DEP_1) | instskip(SKIP_1) | instid1(VALU_DEP_1)
	v_add_f32_e32 v22, v22, v9
	v_lshlrev_b32_e32 v9, 16, v53
	v_mul_f32_e32 v9, v7, v9
	s_delay_alu instid0(VALU_DEP_1) | instskip(SKIP_2) | instid1(VALU_DEP_3)
	v_bfe_u32 v53, v9, 16, 1
	v_or_b32_e32 v60, 0x400000, v9
	v_cmp_u_f32_e32 vcc_lo, v9, v9
	v_add3_u32 v53, v53, v9, 0x7fff
	s_wait_alu 0xfffd
	s_delay_alu instid0(VALU_DEP_1) | instskip(SKIP_3) | instid1(VALU_DEP_4)
	v_cndmask_b32_e32 v9, v53, v60, vcc_lo
	v_bfe_u32 v53, v52, 16, 1
	v_or_b32_e32 v60, 0x400000, v52
	v_cmp_u_f32_e32 vcc_lo, v52, v52
	v_and_b32_e32 v9, 0xffff0000, v9
	s_delay_alu instid0(VALU_DEP_4) | instskip(SKIP_1) | instid1(VALU_DEP_1)
	v_add3_u32 v53, v53, v52, 0x7fff
	s_wait_alu 0xfffd
	v_dual_cndmask_b32 v52, v53, v60 :: v_dual_lshlrev_b32 v53, 16, v55
	s_delay_alu instid0(VALU_DEP_1) | instskip(NEXT) | instid1(VALU_DEP_1)
	v_dual_mul_f32 v53, v4, v53 :: v_dual_and_b32 v52, 0xffff0000, v52
	v_add_f32_e32 v9, v52, v9
	s_delay_alu instid0(VALU_DEP_2) | instskip(SKIP_2) | instid1(VALU_DEP_3)
	v_bfe_u32 v55, v53, 16, 1
	v_or_b32_e32 v60, 0x400000, v53
	v_cmp_u_f32_e32 vcc_lo, v53, v53
	v_add3_u32 v55, v55, v53, 0x7fff
	s_wait_alu 0xfffd
	s_delay_alu instid0(VALU_DEP_1) | instskip(SKIP_3) | instid1(VALU_DEP_4)
	v_cndmask_b32_e32 v53, v55, v60, vcc_lo
	v_bfe_u32 v55, v54, 16, 1
	v_or_b32_e32 v60, 0x400000, v54
	v_cmp_u_f32_e32 vcc_lo, v54, v54
	v_and_b32_e32 v53, 0xffff0000, v53
	s_delay_alu instid0(VALU_DEP_4) | instskip(SKIP_1) | instid1(VALU_DEP_1)
	v_add3_u32 v55, v55, v54, 0x7fff
	s_wait_alu 0xfffd
	v_dual_cndmask_b32 v54, v55, v60 :: v_dual_lshlrev_b32 v55, 16, v57
	s_delay_alu instid0(VALU_DEP_1) | instskip(NEXT) | instid1(VALU_DEP_1)
	v_dual_mul_f32 v55, v2, v55 :: v_dual_and_b32 v52, 0xffff0000, v54
	v_add_f32_e32 v52, v52, v53
	s_delay_alu instid0(VALU_DEP_2) | instskip(SKIP_2) | instid1(VALU_DEP_4)
	v_bfe_u32 v57, v55, 16, 1
	v_or_b32_e32 v60, 0x400000, v55
	v_cmp_u_f32_e32 vcc_lo, v55, v55
	v_add_f32_e32 v9, v52, v9
	s_delay_alu instid0(VALU_DEP_4) | instskip(SKIP_1) | instid1(VALU_DEP_1)
	v_add3_u32 v57, v57, v55, 0x7fff
	s_wait_alu 0xfffd
	v_cndmask_b32_e32 v55, v57, v60, vcc_lo
	v_bfe_u32 v57, v56, 16, 1
	v_or_b32_e32 v60, 0x400000, v56
	v_cmp_u_f32_e32 vcc_lo, v56, v56
	s_delay_alu instid0(VALU_DEP_4) | instskip(NEXT) | instid1(VALU_DEP_4)
	v_and_b32_e32 v53, 0xffff0000, v55
	v_add3_u32 v57, v57, v56, 0x7fff
	s_wait_alu 0xfffd
	s_delay_alu instid0(VALU_DEP_1) | instskip(NEXT) | instid1(VALU_DEP_1)
	v_dual_cndmask_b32 v56, v57, v60 :: v_dual_lshlrev_b32 v57, 16, v59
	v_dual_mul_f32 v57, v1, v57 :: v_dual_and_b32 v52, 0xffff0000, v56
	s_delay_alu instid0(VALU_DEP_1) | instskip(NEXT) | instid1(VALU_DEP_2)
	v_add_f32_e32 v52, v52, v53
	v_bfe_u32 v59, v57, 16, 1
	v_or_b32_e32 v60, 0x400000, v57
	v_cmp_u_f32_e32 vcc_lo, v57, v57
	s_delay_alu instid0(VALU_DEP_4) | instskip(NEXT) | instid1(VALU_DEP_4)
	v_add_f32_e32 v9, v52, v9
	v_add3_u32 v59, v59, v57, 0x7fff
	s_wait_alu 0xfffd
	s_delay_alu instid0(VALU_DEP_1) | instskip(SKIP_3) | instid1(VALU_DEP_4)
	v_cndmask_b32_e32 v57, v59, v60, vcc_lo
	v_bfe_u32 v59, v58, 16, 1
	v_or_b32_e32 v60, 0x400000, v58
	v_cmp_u_f32_e32 vcc_lo, v58, v58
	v_and_b32_e32 v53, 0xffff0000, v57
	s_delay_alu instid0(VALU_DEP_4) | instskip(SKIP_1) | instid1(VALU_DEP_1)
	v_add3_u32 v59, v59, v58, 0x7fff
	s_wait_alu 0xfffd
	v_cndmask_b32_e32 v58, v59, v60, vcc_lo
	s_delay_alu instid0(VALU_DEP_1) | instskip(NEXT) | instid1(VALU_DEP_1)
	v_and_b32_e32 v52, 0xffff0000, v58
	v_add_f32_e32 v52, v52, v53
	s_delay_alu instid0(VALU_DEP_1) | instskip(NEXT) | instid1(VALU_DEP_1)
	v_add_f32_e32 v9, v52, v9
	v_add_f32_e32 v23, v23, v9
	v_lshlrev_b32_e32 v9, 16, v45
	s_delay_alu instid0(VALU_DEP_1) | instskip(NEXT) | instid1(VALU_DEP_1)
	v_mul_f32_e32 v9, v7, v9
	v_bfe_u32 v45, v9, 16, 1
	v_or_b32_e32 v52, 0x400000, v9
	v_cmp_u_f32_e32 vcc_lo, v9, v9
	s_delay_alu instid0(VALU_DEP_3) | instskip(SKIP_1) | instid1(VALU_DEP_1)
	v_add3_u32 v45, v45, v9, 0x7fff
	s_wait_alu 0xfffd
	v_cndmask_b32_e32 v9, v45, v52, vcc_lo
	v_bfe_u32 v45, v44, 16, 1
	v_or_b32_e32 v52, 0x400000, v44
	v_cmp_u_f32_e32 vcc_lo, v44, v44
	s_delay_alu instid0(VALU_DEP_4) | instskip(NEXT) | instid1(VALU_DEP_4)
	v_and_b32_e32 v9, 0xffff0000, v9
	v_add3_u32 v45, v45, v44, 0x7fff
	s_wait_alu 0xfffd
	s_delay_alu instid0(VALU_DEP_1) | instskip(NEXT) | instid1(VALU_DEP_1)
	v_dual_cndmask_b32 v44, v45, v52 :: v_dual_lshlrev_b32 v45, 16, v47
	v_dual_mul_f32 v45, v4, v45 :: v_dual_and_b32 v44, 0xffff0000, v44
	s_delay_alu instid0(VALU_DEP_1) | instskip(NEXT) | instid1(VALU_DEP_2)
	v_add_f32_e32 v9, v44, v9
	v_bfe_u32 v47, v45, 16, 1
	v_or_b32_e32 v52, 0x400000, v45
	v_cmp_u_f32_e32 vcc_lo, v45, v45
	s_delay_alu instid0(VALU_DEP_3) | instskip(SKIP_1) | instid1(VALU_DEP_1)
	v_add3_u32 v47, v47, v45, 0x7fff
	s_wait_alu 0xfffd
	v_cndmask_b32_e32 v45, v47, v52, vcc_lo
	v_bfe_u32 v47, v46, 16, 1
	v_or_b32_e32 v52, 0x400000, v46
	v_cmp_u_f32_e32 vcc_lo, v46, v46
	s_delay_alu instid0(VALU_DEP_4) | instskip(NEXT) | instid1(VALU_DEP_4)
	v_and_b32_e32 v45, 0xffff0000, v45
	v_add3_u32 v47, v47, v46, 0x7fff
	s_wait_alu 0xfffd
	s_delay_alu instid0(VALU_DEP_1) | instskip(NEXT) | instid1(VALU_DEP_1)
	v_dual_cndmask_b32 v46, v47, v52 :: v_dual_lshlrev_b32 v47, 16, v49
	v_dual_mul_f32 v47, v2, v47 :: v_dual_and_b32 v44, 0xffff0000, v46
	s_delay_alu instid0(VALU_DEP_1) | instskip(NEXT) | instid1(VALU_DEP_2)
	v_add_f32_e32 v44, v44, v45
	v_bfe_u32 v49, v47, 16, 1
	v_or_b32_e32 v52, 0x400000, v47
	v_cmp_u_f32_e32 vcc_lo, v47, v47
	s_delay_alu instid0(VALU_DEP_3) | instskip(SKIP_1) | instid1(VALU_DEP_1)
	v_add3_u32 v49, v49, v47, 0x7fff
	s_wait_alu 0xfffd
	v_cndmask_b32_e32 v47, v49, v52, vcc_lo
	v_bfe_u32 v49, v48, 16, 1
	v_or_b32_e32 v52, 0x400000, v48
	v_cmp_u_f32_e32 vcc_lo, v48, v48
	s_delay_alu instid0(VALU_DEP_4) | instskip(NEXT) | instid1(VALU_DEP_4)
	v_and_b32_e32 v45, 0xffff0000, v47
	v_add3_u32 v49, v49, v48, 0x7fff
	s_wait_alu 0xfffd
	s_delay_alu instid0(VALU_DEP_1) | instskip(NEXT) | instid1(VALU_DEP_1)
	v_dual_cndmask_b32 v48, v49, v52 :: v_dual_lshlrev_b32 v49, 16, v51
	v_dual_add_f32 v9, v44, v9 :: v_dual_and_b32 v44, 0xffff0000, v48
	s_delay_alu instid0(VALU_DEP_2) | instskip(NEXT) | instid1(VALU_DEP_2)
	v_mul_f32_e32 v49, v1, v49
	v_add_f32_e32 v44, v44, v45
	s_delay_alu instid0(VALU_DEP_2) | instskip(SKIP_2) | instid1(VALU_DEP_4)
	v_bfe_u32 v51, v49, 16, 1
	v_or_b32_e32 v52, 0x400000, v49
	v_cmp_u_f32_e32 vcc_lo, v49, v49
	v_add_f32_e32 v9, v44, v9
	s_delay_alu instid0(VALU_DEP_4) | instskip(SKIP_1) | instid1(VALU_DEP_1)
	v_add3_u32 v51, v51, v49, 0x7fff
	s_wait_alu 0xfffd
	v_cndmask_b32_e32 v49, v51, v52, vcc_lo
	v_bfe_u32 v51, v50, 16, 1
	v_or_b32_e32 v52, 0x400000, v50
	v_cmp_u_f32_e32 vcc_lo, v50, v50
	s_delay_alu instid0(VALU_DEP_4) | instskip(NEXT) | instid1(VALU_DEP_4)
	v_and_b32_e32 v45, 0xffff0000, v49
	v_add3_u32 v51, v51, v50, 0x7fff
	s_wait_alu 0xfffd
	s_delay_alu instid0(VALU_DEP_1) | instskip(NEXT) | instid1(VALU_DEP_1)
	v_cndmask_b32_e32 v50, v51, v52, vcc_lo
	v_and_b32_e32 v44, 0xffff0000, v50
	s_delay_alu instid0(VALU_DEP_1) | instskip(NEXT) | instid1(VALU_DEP_1)
	v_add_f32_e32 v44, v44, v45
	v_add_f32_e32 v9, v44, v9
	s_delay_alu instid0(VALU_DEP_1) | instskip(NEXT) | instid1(VALU_DEP_1)
	v_dual_add_f32 v24, v24, v9 :: v_dual_lshlrev_b32 v9, 16, v191
	v_mul_f32_e32 v9, v7, v9
	s_delay_alu instid0(VALU_DEP_1) | instskip(SKIP_2) | instid1(VALU_DEP_3)
	v_bfe_u32 v44, v9, 16, 1
	v_or_b32_e32 v45, 0x400000, v9
	v_cmp_u_f32_e32 vcc_lo, v9, v9
	v_add3_u32 v44, v44, v9, 0x7fff
	s_wait_alu 0xfffd
	s_delay_alu instid0(VALU_DEP_1) | instskip(NEXT) | instid1(VALU_DEP_1)
	v_dual_cndmask_b32 v9, v44, v45 :: v_dual_lshlrev_b32 v44, 16, v190
	v_mul_f32_e32 v44, v8, v44
	s_delay_alu instid0(VALU_DEP_1) | instskip(SKIP_2) | instid1(VALU_DEP_3)
	v_bfe_u32 v45, v44, 16, 1
	v_or_b32_e32 v46, 0x400000, v44
	v_cmp_u_f32_e32 vcc_lo, v44, v44
	v_add3_u32 v45, v45, v44, 0x7fff
	s_wait_alu 0xfffd
	s_delay_alu instid0(VALU_DEP_1) | instskip(SKIP_3) | instid1(VALU_DEP_4)
	v_cndmask_b32_e32 v44, v45, v46, vcc_lo
	v_bfe_u32 v45, v11, 16, 1
	v_or_b32_e32 v46, 0x400000, v11
	v_cmp_u_f32_e32 vcc_lo, v11, v11
	v_and_b32_e32 v44, 0xffff0000, v44
	s_delay_alu instid0(VALU_DEP_4) | instskip(SKIP_2) | instid1(VALU_DEP_2)
	v_add3_u32 v45, v45, v11, 0x7fff
	v_and_b32_e32 v9, 0xffff0000, v9
	s_wait_alu 0xfffd
	v_cndmask_b32_e32 v11, v45, v46, vcc_lo
	v_bfe_u32 v45, v43, 16, 1
	v_or_b32_e32 v46, 0x400000, v43
	v_cmp_u_f32_e32 vcc_lo, v43, v43
	s_delay_alu instid0(VALU_DEP_4) | instskip(NEXT) | instid1(VALU_DEP_4)
	v_and_b32_e32 v11, 0xffff0000, v11
	v_add3_u32 v45, v45, v43, 0x7fff
	s_wait_alu 0xfffd
	s_delay_alu instid0(VALU_DEP_1) | instskip(SKIP_3) | instid1(VALU_DEP_4)
	v_cndmask_b32_e32 v43, v45, v46, vcc_lo
	v_bfe_u32 v45, v17, 16, 1
	v_or_b32_e32 v46, 0x400000, v17
	v_cmp_u_f32_e32 vcc_lo, v17, v17
	v_and_b32_e32 v43, 0xffff0000, v43
	s_delay_alu instid0(VALU_DEP_4) | instskip(NEXT) | instid1(VALU_DEP_2)
	v_add3_u32 v45, v45, v17, 0x7fff
	v_add_f32_e32 v11, v43, v11
	s_wait_alu 0xfffd
	s_delay_alu instid0(VALU_DEP_2) | instskip(SKIP_3) | instid1(VALU_DEP_3)
	v_cndmask_b32_e32 v17, v45, v46, vcc_lo
	v_bfe_u32 v45, v12, 16, 1
	v_or_b32_e32 v46, 0x400000, v12
	v_cmp_u_f32_e32 vcc_lo, v12, v12
	v_add3_u32 v45, v45, v12, 0x7fff
	s_wait_alu 0xfffd
	s_delay_alu instid0(VALU_DEP_1) | instskip(SKIP_3) | instid1(VALU_DEP_3)
	v_cndmask_b32_e32 v12, v45, v46, vcc_lo
	v_bfe_u32 v45, v10, 16, 1
	v_or_b32_e32 v46, 0x400000, v10
	v_cmp_u_f32_e32 vcc_lo, v10, v10
	v_add3_u32 v45, v45, v10, 0x7fff
	s_wait_alu 0xfffd
	s_delay_alu instid0(VALU_DEP_1)
	v_cndmask_b32_e32 v10, v45, v46, vcc_lo
	v_bfe_u32 v45, v18, 16, 1
	v_add_f32_e32 v9, v44, v9
	v_or_b32_e32 v46, 0x400000, v18
	v_cmp_u_f32_e32 vcc_lo, v18, v18
	v_and_b32_e32 v10, 0xffff0000, v10
	v_add3_u32 v45, v45, v18, 0x7fff
	v_add_f32_e32 v9, v11, v9
	v_and_b32_e32 v11, 0xffff0000, v12
	v_and_b32_e32 v12, 0xffff0000, v17
	s_wait_alu 0xfffd
	s_delay_alu instid0(VALU_DEP_1) | instskip(NEXT) | instid1(VALU_DEP_1)
	v_dual_cndmask_b32 v18, v45, v46 :: v_dual_add_f32 v11, v11, v12
	v_add_f32_e32 v9, v11, v9
	s_delay_alu instid0(VALU_DEP_2) | instskip(NEXT) | instid1(VALU_DEP_1)
	v_and_b32_e32 v11, 0xffff0000, v18
	v_add_f32_e32 v10, v11, v10
	s_delay_alu instid0(VALU_DEP_1) | instskip(NEXT) | instid1(VALU_DEP_1)
	v_add_f32_e32 v9, v10, v9
	v_add_f32_e32 v25, v25, v9
	v_lshlrev_b32_e32 v9, 16, v184
	s_delay_alu instid0(VALU_DEP_1) | instskip(NEXT) | instid1(VALU_DEP_1)
	v_mul_f32_e32 v9, v7, v9
	v_bfe_u32 v10, v9, 16, 1
	v_or_b32_e32 v11, 0x400000, v9
	v_cmp_u_f32_e32 vcc_lo, v9, v9
	s_delay_alu instid0(VALU_DEP_3) | instskip(SKIP_1) | instid1(VALU_DEP_1)
	v_add3_u32 v10, v10, v9, 0x7fff
	s_wait_alu 0xfffd
	v_dual_cndmask_b32 v9, v10, v11 :: v_dual_lshlrev_b32 v10, 16, v182
	s_delay_alu instid0(VALU_DEP_1) | instskip(NEXT) | instid1(VALU_DEP_1)
	v_dual_mul_f32 v10, v8, v10 :: v_dual_and_b32 v9, 0xffff0000, v9
	v_bfe_u32 v11, v10, 16, 1
	v_or_b32_e32 v12, 0x400000, v10
	v_cmp_u_f32_e32 vcc_lo, v10, v10
	s_delay_alu instid0(VALU_DEP_3) | instskip(SKIP_1) | instid1(VALU_DEP_1)
	v_add3_u32 v11, v11, v10, 0x7fff
	s_wait_alu 0xfffd
	v_dual_cndmask_b32 v10, v11, v12 :: v_dual_lshlrev_b32 v11, 16, v186
	s_delay_alu instid0(VALU_DEP_1) | instskip(NEXT) | instid1(VALU_DEP_1)
	v_dual_mul_f32 v11, v4, v11 :: v_dual_and_b32 v10, 0xffff0000, v10
	v_add_f32_e32 v9, v10, v9
	s_delay_alu instid0(VALU_DEP_2) | instskip(SKIP_2) | instid1(VALU_DEP_3)
	v_bfe_u32 v12, v11, 16, 1
	v_or_b32_e32 v17, 0x400000, v11
	v_cmp_u_f32_e32 vcc_lo, v11, v11
	v_add3_u32 v12, v12, v11, 0x7fff
	s_wait_alu 0xfffd
	s_delay_alu instid0(VALU_DEP_1) | instskip(NEXT) | instid1(VALU_DEP_1)
	v_dual_cndmask_b32 v11, v12, v17 :: v_dual_lshlrev_b32 v12, 16, v183
	v_dual_mul_f32 v12, v6, v12 :: v_dual_and_b32 v11, 0xffff0000, v11
	s_delay_alu instid0(VALU_DEP_1) | instskip(SKIP_2) | instid1(VALU_DEP_3)
	v_bfe_u32 v17, v12, 16, 1
	v_or_b32_e32 v18, 0x400000, v12
	v_cmp_u_f32_e32 vcc_lo, v12, v12
	v_add3_u32 v17, v17, v12, 0x7fff
	s_wait_alu 0xfffd
	s_delay_alu instid0(VALU_DEP_1) | instskip(NEXT) | instid1(VALU_DEP_1)
	v_dual_cndmask_b32 v12, v17, v18 :: v_dual_lshlrev_b32 v17, 16, v188
	v_dual_mul_f32 v17, v2, v17 :: v_dual_and_b32 v10, 0xffff0000, v12
	s_delay_alu instid0(VALU_DEP_1) | instskip(NEXT) | instid1(VALU_DEP_2)
	v_add_f32_e32 v10, v10, v11
	v_bfe_u32 v18, v17, 16, 1
	v_or_b32_e32 v43, 0x400000, v17
	v_cmp_u_f32_e32 vcc_lo, v17, v17
	s_delay_alu instid0(VALU_DEP_4) | instskip(NEXT) | instid1(VALU_DEP_4)
	v_add_f32_e32 v9, v10, v9
	v_add3_u32 v18, v18, v17, 0x7fff
	s_wait_alu 0xfffd
	s_delay_alu instid0(VALU_DEP_1) | instskip(NEXT) | instid1(VALU_DEP_1)
	v_dual_cndmask_b32 v17, v18, v43 :: v_dual_lshlrev_b32 v18, 16, v185
	v_dual_mul_f32 v18, v5, v18 :: v_dual_and_b32 v11, 0xffff0000, v17
	s_delay_alu instid0(VALU_DEP_1) | instskip(SKIP_2) | instid1(VALU_DEP_3)
	v_bfe_u32 v43, v18, 16, 1
	v_or_b32_e32 v44, 0x400000, v18
	v_cmp_u_f32_e32 vcc_lo, v18, v18
	v_add3_u32 v43, v43, v18, 0x7fff
	s_wait_alu 0xfffd
	s_delay_alu instid0(VALU_DEP_1) | instskip(NEXT) | instid1(VALU_DEP_1)
	v_dual_cndmask_b32 v18, v43, v44 :: v_dual_lshlrev_b32 v43, 16, v189
	v_dual_mul_f32 v43, v1, v43 :: v_dual_and_b32 v10, 0xffff0000, v18
	s_delay_alu instid0(VALU_DEP_1) | instskip(NEXT) | instid1(VALU_DEP_2)
	v_add_f32_e32 v10, v10, v11
	v_bfe_u32 v44, v43, 16, 1
	v_or_b32_e32 v45, 0x400000, v43
	v_cmp_u_f32_e32 vcc_lo, v43, v43
	s_delay_alu instid0(VALU_DEP_4) | instskip(NEXT) | instid1(VALU_DEP_4)
	v_add_f32_e32 v9, v10, v9
	v_add3_u32 v44, v44, v43, 0x7fff
	s_wait_alu 0xfffd
	s_delay_alu instid0(VALU_DEP_1) | instskip(NEXT) | instid1(VALU_DEP_1)
	v_dual_cndmask_b32 v43, v44, v45 :: v_dual_lshlrev_b32 v44, 16, v187
	v_dual_mul_f32 v44, v3, v44 :: v_dual_and_b32 v11, 0xffff0000, v43
	s_delay_alu instid0(VALU_DEP_1) | instskip(SKIP_2) | instid1(VALU_DEP_3)
	v_bfe_u32 v45, v44, 16, 1
	v_or_b32_e32 v46, 0x400000, v44
	v_cmp_u_f32_e32 vcc_lo, v44, v44
	v_add3_u32 v45, v45, v44, 0x7fff
	s_wait_alu 0xfffd
	s_delay_alu instid0(VALU_DEP_1) | instskip(NEXT) | instid1(VALU_DEP_1)
	v_cndmask_b32_e32 v44, v45, v46, vcc_lo
	v_and_b32_e32 v10, 0xffff0000, v44
	s_delay_alu instid0(VALU_DEP_1) | instskip(NEXT) | instid1(VALU_DEP_1)
	v_add_f32_e32 v10, v10, v11
	v_add_f32_e32 v9, v10, v9
	s_delay_alu instid0(VALU_DEP_1) | instskip(NEXT) | instid1(VALU_DEP_1)
	v_dual_add_f32 v26, v26, v9 :: v_dual_lshlrev_b32 v9, 16, v176
	v_mul_f32_e32 v9, v7, v9
	s_delay_alu instid0(VALU_DEP_1) | instskip(SKIP_2) | instid1(VALU_DEP_3)
	v_bfe_u32 v10, v9, 16, 1
	v_or_b32_e32 v11, 0x400000, v9
	v_cmp_u_f32_e32 vcc_lo, v9, v9
	v_add3_u32 v10, v10, v9, 0x7fff
	s_wait_alu 0xfffd
	s_delay_alu instid0(VALU_DEP_1) | instskip(NEXT) | instid1(VALU_DEP_1)
	v_dual_cndmask_b32 v9, v10, v11 :: v_dual_lshlrev_b32 v10, 16, v174
	v_dual_mul_f32 v10, v8, v10 :: v_dual_and_b32 v9, 0xffff0000, v9
	s_delay_alu instid0(VALU_DEP_1) | instskip(SKIP_2) | instid1(VALU_DEP_3)
	v_bfe_u32 v11, v10, 16, 1
	v_or_b32_e32 v12, 0x400000, v10
	v_cmp_u_f32_e32 vcc_lo, v10, v10
	v_add3_u32 v11, v11, v10, 0x7fff
	s_wait_alu 0xfffd
	s_delay_alu instid0(VALU_DEP_1) | instskip(NEXT) | instid1(VALU_DEP_1)
	v_dual_cndmask_b32 v10, v11, v12 :: v_dual_lshlrev_b32 v11, 16, v178
	v_dual_mul_f32 v11, v4, v11 :: v_dual_and_b32 v10, 0xffff0000, v10
	s_delay_alu instid0(VALU_DEP_1) | instskip(NEXT) | instid1(VALU_DEP_2)
	v_add_f32_e32 v9, v10, v9
	v_bfe_u32 v12, v11, 16, 1
	v_or_b32_e32 v17, 0x400000, v11
	v_cmp_u_f32_e32 vcc_lo, v11, v11
	s_delay_alu instid0(VALU_DEP_3) | instskip(SKIP_1) | instid1(VALU_DEP_1)
	v_add3_u32 v12, v12, v11, 0x7fff
	s_wait_alu 0xfffd
	v_dual_cndmask_b32 v11, v12, v17 :: v_dual_lshlrev_b32 v12, 16, v175
	s_delay_alu instid0(VALU_DEP_1) | instskip(NEXT) | instid1(VALU_DEP_1)
	v_dual_mul_f32 v12, v6, v12 :: v_dual_and_b32 v11, 0xffff0000, v11
	v_bfe_u32 v17, v12, 16, 1
	v_or_b32_e32 v18, 0x400000, v12
	v_cmp_u_f32_e32 vcc_lo, v12, v12
	s_delay_alu instid0(VALU_DEP_3) | instskip(SKIP_1) | instid1(VALU_DEP_1)
	v_add3_u32 v17, v17, v12, 0x7fff
	s_wait_alu 0xfffd
	v_dual_cndmask_b32 v12, v17, v18 :: v_dual_lshlrev_b32 v17, 16, v180
	s_delay_alu instid0(VALU_DEP_1) | instskip(NEXT) | instid1(VALU_DEP_1)
	v_dual_mul_f32 v17, v2, v17 :: v_dual_and_b32 v10, 0xffff0000, v12
	v_add_f32_e32 v10, v10, v11
	s_delay_alu instid0(VALU_DEP_2) | instskip(SKIP_2) | instid1(VALU_DEP_4)
	v_bfe_u32 v18, v17, 16, 1
	v_or_b32_e32 v43, 0x400000, v17
	v_cmp_u_f32_e32 vcc_lo, v17, v17
	v_add_f32_e32 v9, v10, v9
	s_delay_alu instid0(VALU_DEP_4) | instskip(SKIP_1) | instid1(VALU_DEP_1)
	v_add3_u32 v18, v18, v17, 0x7fff
	s_wait_alu 0xfffd
	v_dual_cndmask_b32 v17, v18, v43 :: v_dual_lshlrev_b32 v18, 16, v177
	s_delay_alu instid0(VALU_DEP_1) | instskip(NEXT) | instid1(VALU_DEP_1)
	v_dual_mul_f32 v18, v5, v18 :: v_dual_and_b32 v11, 0xffff0000, v17
	v_bfe_u32 v43, v18, 16, 1
	v_or_b32_e32 v44, 0x400000, v18
	v_cmp_u_f32_e32 vcc_lo, v18, v18
	s_delay_alu instid0(VALU_DEP_3) | instskip(SKIP_1) | instid1(VALU_DEP_1)
	v_add3_u32 v43, v43, v18, 0x7fff
	s_wait_alu 0xfffd
	v_dual_cndmask_b32 v18, v43, v44 :: v_dual_lshlrev_b32 v43, 16, v181
	s_delay_alu instid0(VALU_DEP_1) | instskip(NEXT) | instid1(VALU_DEP_1)
	v_dual_mul_f32 v43, v1, v43 :: v_dual_and_b32 v10, 0xffff0000, v18
	v_add_f32_e32 v10, v10, v11
	s_delay_alu instid0(VALU_DEP_2) | instskip(SKIP_2) | instid1(VALU_DEP_4)
	v_bfe_u32 v44, v43, 16, 1
	v_or_b32_e32 v45, 0x400000, v43
	v_cmp_u_f32_e32 vcc_lo, v43, v43
	v_add_f32_e32 v9, v10, v9
	s_delay_alu instid0(VALU_DEP_4) | instskip(SKIP_1) | instid1(VALU_DEP_1)
	v_add3_u32 v44, v44, v43, 0x7fff
	s_wait_alu 0xfffd
	v_dual_cndmask_b32 v43, v44, v45 :: v_dual_lshlrev_b32 v44, 16, v179
	s_delay_alu instid0(VALU_DEP_1) | instskip(NEXT) | instid1(VALU_DEP_1)
	v_dual_mul_f32 v44, v3, v44 :: v_dual_and_b32 v11, 0xffff0000, v43
	v_bfe_u32 v45, v44, 16, 1
	v_or_b32_e32 v46, 0x400000, v44
	v_cmp_u_f32_e32 vcc_lo, v44, v44
	s_delay_alu instid0(VALU_DEP_3) | instskip(SKIP_1) | instid1(VALU_DEP_1)
	v_add3_u32 v45, v45, v44, 0x7fff
	s_wait_alu 0xfffd
	v_cndmask_b32_e32 v44, v45, v46, vcc_lo
	s_delay_alu instid0(VALU_DEP_1) | instskip(NEXT) | instid1(VALU_DEP_1)
	v_and_b32_e32 v10, 0xffff0000, v44
	v_add_f32_e32 v10, v10, v11
	s_delay_alu instid0(VALU_DEP_1) | instskip(NEXT) | instid1(VALU_DEP_1)
	v_add_f32_e32 v9, v10, v9
	v_add_f32_e32 v27, v27, v9
	v_lshlrev_b32_e32 v9, 16, v167
	s_delay_alu instid0(VALU_DEP_1) | instskip(NEXT) | instid1(VALU_DEP_1)
	v_mul_f32_e32 v9, v7, v9
	v_bfe_u32 v10, v9, 16, 1
	v_or_b32_e32 v11, 0x400000, v9
	v_cmp_u_f32_e32 vcc_lo, v9, v9
	s_delay_alu instid0(VALU_DEP_3) | instskip(SKIP_1) | instid1(VALU_DEP_1)
	v_add3_u32 v10, v10, v9, 0x7fff
	s_wait_alu 0xfffd
	v_dual_cndmask_b32 v9, v10, v11 :: v_dual_lshlrev_b32 v10, 16, v166
	s_delay_alu instid0(VALU_DEP_1) | instskip(NEXT) | instid1(VALU_DEP_1)
	v_dual_mul_f32 v10, v8, v10 :: v_dual_and_b32 v9, 0xffff0000, v9
	v_bfe_u32 v11, v10, 16, 1
	v_or_b32_e32 v12, 0x400000, v10
	v_cmp_u_f32_e32 vcc_lo, v10, v10
	s_delay_alu instid0(VALU_DEP_3) | instskip(SKIP_1) | instid1(VALU_DEP_1)
	v_add3_u32 v11, v11, v10, 0x7fff
	s_wait_alu 0xfffd
	v_dual_cndmask_b32 v10, v11, v12 :: v_dual_lshlrev_b32 v11, 16, v165
	s_delay_alu instid0(VALU_DEP_1) | instskip(NEXT) | instid1(VALU_DEP_1)
	v_dual_mul_f32 v11, v4, v11 :: v_dual_and_b32 v10, 0xffff0000, v10
	v_add_f32_e32 v9, v10, v9
	s_delay_alu instid0(VALU_DEP_2) | instskip(SKIP_2) | instid1(VALU_DEP_3)
	v_bfe_u32 v12, v11, 16, 1
	v_or_b32_e32 v17, 0x400000, v11
	v_cmp_u_f32_e32 vcc_lo, v11, v11
	v_add3_u32 v12, v12, v11, 0x7fff
	s_wait_alu 0xfffd
	s_delay_alu instid0(VALU_DEP_1) | instskip(NEXT) | instid1(VALU_DEP_1)
	v_dual_cndmask_b32 v11, v12, v17 :: v_dual_lshlrev_b32 v12, 16, v164
	v_dual_mul_f32 v12, v6, v12 :: v_dual_and_b32 v11, 0xffff0000, v11
	s_delay_alu instid0(VALU_DEP_1) | instskip(SKIP_2) | instid1(VALU_DEP_3)
	v_bfe_u32 v17, v12, 16, 1
	v_or_b32_e32 v18, 0x400000, v12
	v_cmp_u_f32_e32 vcc_lo, v12, v12
	v_add3_u32 v17, v17, v12, 0x7fff
	s_wait_alu 0xfffd
	s_delay_alu instid0(VALU_DEP_1) | instskip(NEXT) | instid1(VALU_DEP_1)
	v_dual_cndmask_b32 v12, v17, v18 :: v_dual_lshlrev_b32 v17, 16, v163
	v_dual_mul_f32 v17, v2, v17 :: v_dual_and_b32 v10, 0xffff0000, v12
	s_delay_alu instid0(VALU_DEP_1) | instskip(NEXT) | instid1(VALU_DEP_2)
	v_add_f32_e32 v10, v10, v11
	v_bfe_u32 v18, v17, 16, 1
	v_or_b32_e32 v43, 0x400000, v17
	v_cmp_u_f32_e32 vcc_lo, v17, v17
	s_delay_alu instid0(VALU_DEP_4) | instskip(NEXT) | instid1(VALU_DEP_4)
	v_add_f32_e32 v9, v10, v9
	v_add3_u32 v18, v18, v17, 0x7fff
	s_wait_alu 0xfffd
	s_delay_alu instid0(VALU_DEP_1) | instskip(NEXT) | instid1(VALU_DEP_1)
	v_dual_cndmask_b32 v17, v18, v43 :: v_dual_lshlrev_b32 v18, 16, v162
	v_dual_mul_f32 v18, v5, v18 :: v_dual_and_b32 v11, 0xffff0000, v17
	s_delay_alu instid0(VALU_DEP_1) | instskip(SKIP_2) | instid1(VALU_DEP_3)
	v_bfe_u32 v43, v18, 16, 1
	v_or_b32_e32 v44, 0x400000, v18
	v_cmp_u_f32_e32 vcc_lo, v18, v18
	v_add3_u32 v43, v43, v18, 0x7fff
	s_wait_alu 0xfffd
	s_delay_alu instid0(VALU_DEP_1) | instskip(NEXT) | instid1(VALU_DEP_1)
	v_dual_cndmask_b32 v18, v43, v44 :: v_dual_lshlrev_b32 v43, 16, v161
	v_dual_mul_f32 v43, v1, v43 :: v_dual_and_b32 v10, 0xffff0000, v18
	s_delay_alu instid0(VALU_DEP_1) | instskip(NEXT) | instid1(VALU_DEP_2)
	v_add_f32_e32 v10, v10, v11
	v_bfe_u32 v44, v43, 16, 1
	v_or_b32_e32 v45, 0x400000, v43
	v_cmp_u_f32_e32 vcc_lo, v43, v43
	s_delay_alu instid0(VALU_DEP_4) | instskip(NEXT) | instid1(VALU_DEP_4)
	v_add_f32_e32 v9, v10, v9
	v_add3_u32 v44, v44, v43, 0x7fff
	s_wait_alu 0xfffd
	s_delay_alu instid0(VALU_DEP_1) | instskip(NEXT) | instid1(VALU_DEP_1)
	v_dual_cndmask_b32 v43, v44, v45 :: v_dual_lshlrev_b32 v44, 16, v160
	v_dual_mul_f32 v44, v3, v44 :: v_dual_and_b32 v11, 0xffff0000, v43
	s_delay_alu instid0(VALU_DEP_1) | instskip(SKIP_2) | instid1(VALU_DEP_3)
	v_bfe_u32 v45, v44, 16, 1
	v_or_b32_e32 v46, 0x400000, v44
	v_cmp_u_f32_e32 vcc_lo, v44, v44
	v_add3_u32 v45, v45, v44, 0x7fff
	s_wait_alu 0xfffd
	s_delay_alu instid0(VALU_DEP_1) | instskip(NEXT) | instid1(VALU_DEP_1)
	v_cndmask_b32_e32 v44, v45, v46, vcc_lo
	v_and_b32_e32 v10, 0xffff0000, v44
	s_delay_alu instid0(VALU_DEP_1) | instskip(NEXT) | instid1(VALU_DEP_1)
	v_add_f32_e32 v10, v10, v11
	v_add_f32_e32 v9, v10, v9
	s_delay_alu instid0(VALU_DEP_1) | instskip(NEXT) | instid1(VALU_DEP_1)
	v_dual_add_f32 v28, v28, v9 :: v_dual_lshlrev_b32 v9, 16, v159
	v_mul_f32_e32 v9, v7, v9
	s_delay_alu instid0(VALU_DEP_1) | instskip(SKIP_2) | instid1(VALU_DEP_3)
	v_bfe_u32 v10, v9, 16, 1
	v_or_b32_e32 v11, 0x400000, v9
	v_cmp_u_f32_e32 vcc_lo, v9, v9
	v_add3_u32 v10, v10, v9, 0x7fff
	s_wait_alu 0xfffd
	s_delay_alu instid0(VALU_DEP_1) | instskip(NEXT) | instid1(VALU_DEP_1)
	v_dual_cndmask_b32 v9, v10, v11 :: v_dual_lshlrev_b32 v10, 16, v158
	v_dual_mul_f32 v10, v8, v10 :: v_dual_and_b32 v9, 0xffff0000, v9
	s_delay_alu instid0(VALU_DEP_1) | instskip(SKIP_2) | instid1(VALU_DEP_3)
	v_bfe_u32 v11, v10, 16, 1
	v_or_b32_e32 v12, 0x400000, v10
	v_cmp_u_f32_e32 vcc_lo, v10, v10
	v_add3_u32 v11, v11, v10, 0x7fff
	s_wait_alu 0xfffd
	s_delay_alu instid0(VALU_DEP_1) | instskip(NEXT) | instid1(VALU_DEP_1)
	v_dual_cndmask_b32 v10, v11, v12 :: v_dual_lshlrev_b32 v11, 16, v157
	v_dual_mul_f32 v11, v4, v11 :: v_dual_and_b32 v10, 0xffff0000, v10
	s_delay_alu instid0(VALU_DEP_1) | instskip(NEXT) | instid1(VALU_DEP_2)
	v_add_f32_e32 v9, v10, v9
	v_bfe_u32 v12, v11, 16, 1
	v_or_b32_e32 v17, 0x400000, v11
	v_cmp_u_f32_e32 vcc_lo, v11, v11
	s_delay_alu instid0(VALU_DEP_3) | instskip(SKIP_1) | instid1(VALU_DEP_1)
	v_add3_u32 v12, v12, v11, 0x7fff
	s_wait_alu 0xfffd
	v_dual_cndmask_b32 v11, v12, v17 :: v_dual_lshlrev_b32 v12, 16, v156
	s_delay_alu instid0(VALU_DEP_1) | instskip(NEXT) | instid1(VALU_DEP_1)
	v_dual_mul_f32 v12, v6, v12 :: v_dual_and_b32 v11, 0xffff0000, v11
	v_bfe_u32 v17, v12, 16, 1
	v_or_b32_e32 v18, 0x400000, v12
	v_cmp_u_f32_e32 vcc_lo, v12, v12
	s_delay_alu instid0(VALU_DEP_3) | instskip(SKIP_1) | instid1(VALU_DEP_1)
	v_add3_u32 v17, v17, v12, 0x7fff
	s_wait_alu 0xfffd
	v_dual_cndmask_b32 v12, v17, v18 :: v_dual_lshlrev_b32 v17, 16, v155
	s_delay_alu instid0(VALU_DEP_1) | instskip(NEXT) | instid1(VALU_DEP_1)
	v_dual_mul_f32 v17, v2, v17 :: v_dual_and_b32 v10, 0xffff0000, v12
	v_add_f32_e32 v10, v10, v11
	s_delay_alu instid0(VALU_DEP_2) | instskip(SKIP_2) | instid1(VALU_DEP_4)
	v_bfe_u32 v18, v17, 16, 1
	v_or_b32_e32 v43, 0x400000, v17
	v_cmp_u_f32_e32 vcc_lo, v17, v17
	v_add_f32_e32 v9, v10, v9
	s_delay_alu instid0(VALU_DEP_4) | instskip(SKIP_1) | instid1(VALU_DEP_1)
	v_add3_u32 v18, v18, v17, 0x7fff
	s_wait_alu 0xfffd
	v_dual_cndmask_b32 v17, v18, v43 :: v_dual_lshlrev_b32 v18, 16, v154
	s_delay_alu instid0(VALU_DEP_1) | instskip(NEXT) | instid1(VALU_DEP_1)
	v_dual_mul_f32 v18, v5, v18 :: v_dual_and_b32 v11, 0xffff0000, v17
	v_bfe_u32 v43, v18, 16, 1
	v_or_b32_e32 v44, 0x400000, v18
	v_cmp_u_f32_e32 vcc_lo, v18, v18
	s_delay_alu instid0(VALU_DEP_3) | instskip(SKIP_1) | instid1(VALU_DEP_1)
	v_add3_u32 v43, v43, v18, 0x7fff
	s_wait_alu 0xfffd
	v_cndmask_b32_e32 v18, v43, v44, vcc_lo
	s_delay_alu instid0(VALU_DEP_1) | instskip(NEXT) | instid1(VALU_DEP_1)
	v_and_b32_e32 v10, 0xffff0000, v18
	v_dual_add_f32 v10, v10, v11 :: v_dual_lshlrev_b32 v43, 16, v153
	s_delay_alu instid0(VALU_DEP_1) | instskip(NEXT) | instid1(VALU_DEP_2)
	v_mul_f32_e32 v43, v1, v43
	v_add_f32_e32 v9, v10, v9
	s_delay_alu instid0(VALU_DEP_2) | instskip(SKIP_2) | instid1(VALU_DEP_3)
	v_bfe_u32 v44, v43, 16, 1
	v_or_b32_e32 v45, 0x400000, v43
	v_cmp_u_f32_e32 vcc_lo, v43, v43
	v_add3_u32 v44, v44, v43, 0x7fff
	s_wait_alu 0xfffd
	s_delay_alu instid0(VALU_DEP_1) | instskip(NEXT) | instid1(VALU_DEP_1)
	v_dual_cndmask_b32 v43, v44, v45 :: v_dual_lshlrev_b32 v44, 16, v152
	v_dual_mul_f32 v44, v3, v44 :: v_dual_and_b32 v11, 0xffff0000, v43
	s_delay_alu instid0(VALU_DEP_1) | instskip(SKIP_2) | instid1(VALU_DEP_3)
	v_bfe_u32 v45, v44, 16, 1
	v_or_b32_e32 v46, 0x400000, v44
	v_cmp_u_f32_e32 vcc_lo, v44, v44
	v_add3_u32 v45, v45, v44, 0x7fff
	s_wait_alu 0xfffd
	s_delay_alu instid0(VALU_DEP_1) | instskip(NEXT) | instid1(VALU_DEP_1)
	v_cndmask_b32_e32 v44, v45, v46, vcc_lo
	v_and_b32_e32 v10, 0xffff0000, v44
	s_delay_alu instid0(VALU_DEP_1) | instskip(NEXT) | instid1(VALU_DEP_1)
	v_add_f32_e32 v10, v10, v11
	v_add_f32_e32 v9, v10, v9
	s_delay_alu instid0(VALU_DEP_1) | instskip(SKIP_1) | instid1(VALU_DEP_1)
	v_add_f32_e32 v29, v29, v9
	v_lshlrev_b32_e32 v9, 16, v151
	v_mul_f32_e32 v9, v7, v9
	s_delay_alu instid0(VALU_DEP_1) | instskip(SKIP_2) | instid1(VALU_DEP_3)
	v_bfe_u32 v10, v9, 16, 1
	v_or_b32_e32 v11, 0x400000, v9
	v_cmp_u_f32_e32 vcc_lo, v9, v9
	v_add3_u32 v10, v10, v9, 0x7fff
	s_wait_alu 0xfffd
	s_delay_alu instid0(VALU_DEP_1) | instskip(NEXT) | instid1(VALU_DEP_1)
	v_dual_cndmask_b32 v9, v10, v11 :: v_dual_lshlrev_b32 v10, 16, v150
	v_dual_mul_f32 v10, v8, v10 :: v_dual_and_b32 v9, 0xffff0000, v9
	s_delay_alu instid0(VALU_DEP_1) | instskip(SKIP_2) | instid1(VALU_DEP_3)
	v_bfe_u32 v11, v10, 16, 1
	v_or_b32_e32 v12, 0x400000, v10
	v_cmp_u_f32_e32 vcc_lo, v10, v10
	v_add3_u32 v11, v11, v10, 0x7fff
	s_wait_alu 0xfffd
	s_delay_alu instid0(VALU_DEP_1) | instskip(NEXT) | instid1(VALU_DEP_1)
	v_dual_cndmask_b32 v10, v11, v12 :: v_dual_lshlrev_b32 v11, 16, v149
	v_dual_mul_f32 v11, v4, v11 :: v_dual_and_b32 v10, 0xffff0000, v10
	s_delay_alu instid0(VALU_DEP_1) | instskip(NEXT) | instid1(VALU_DEP_2)
	v_add_f32_e32 v9, v10, v9
	v_bfe_u32 v12, v11, 16, 1
	v_or_b32_e32 v17, 0x400000, v11
	v_cmp_u_f32_e32 vcc_lo, v11, v11
	s_delay_alu instid0(VALU_DEP_3) | instskip(SKIP_1) | instid1(VALU_DEP_1)
	v_add3_u32 v12, v12, v11, 0x7fff
	s_wait_alu 0xfffd
	v_dual_cndmask_b32 v11, v12, v17 :: v_dual_lshlrev_b32 v12, 16, v148
	s_delay_alu instid0(VALU_DEP_1) | instskip(NEXT) | instid1(VALU_DEP_1)
	v_dual_mul_f32 v12, v6, v12 :: v_dual_and_b32 v11, 0xffff0000, v11
	v_bfe_u32 v17, v12, 16, 1
	v_or_b32_e32 v18, 0x400000, v12
	v_cmp_u_f32_e32 vcc_lo, v12, v12
	s_delay_alu instid0(VALU_DEP_3) | instskip(SKIP_1) | instid1(VALU_DEP_1)
	v_add3_u32 v17, v17, v12, 0x7fff
	s_wait_alu 0xfffd
	v_cndmask_b32_e32 v12, v17, v18, vcc_lo
	v_lshlrev_b32_e32 v17, 16, v146
	s_delay_alu instid0(VALU_DEP_1) | instskip(NEXT) | instid1(VALU_DEP_1)
	v_dual_mul_f32 v17, v2, v17 :: v_dual_and_b32 v10, 0xffff0000, v12
	v_add_f32_e32 v10, v10, v11
	s_delay_alu instid0(VALU_DEP_2) | instskip(SKIP_2) | instid1(VALU_DEP_4)
	v_bfe_u32 v18, v17, 16, 1
	v_or_b32_e32 v43, 0x400000, v17
	v_cmp_u_f32_e32 vcc_lo, v17, v17
	v_add_f32_e32 v9, v10, v9
	s_delay_alu instid0(VALU_DEP_4) | instskip(SKIP_1) | instid1(VALU_DEP_1)
	v_add3_u32 v18, v18, v17, 0x7fff
	s_wait_alu 0xfffd
	v_dual_cndmask_b32 v17, v18, v43 :: v_dual_lshlrev_b32 v18, 16, v145
	s_delay_alu instid0(VALU_DEP_1) | instskip(NEXT) | instid1(VALU_DEP_1)
	v_dual_mul_f32 v18, v5, v18 :: v_dual_and_b32 v11, 0xffff0000, v17
	v_bfe_u32 v43, v18, 16, 1
	v_or_b32_e32 v44, 0x400000, v18
	v_cmp_u_f32_e32 vcc_lo, v18, v18
	s_delay_alu instid0(VALU_DEP_3) | instskip(SKIP_1) | instid1(VALU_DEP_1)
	v_add3_u32 v43, v43, v18, 0x7fff
	s_wait_alu 0xfffd
	v_cndmask_b32_e32 v18, v43, v44, vcc_lo
	v_lshlrev_b32_e32 v43, 16, v144
	s_delay_alu instid0(VALU_DEP_1) | instskip(NEXT) | instid1(VALU_DEP_1)
	v_dual_mul_f32 v43, v1, v43 :: v_dual_and_b32 v10, 0xffff0000, v18
	v_add_f32_e32 v10, v10, v11
	s_delay_alu instid0(VALU_DEP_2) | instskip(SKIP_2) | instid1(VALU_DEP_4)
	v_bfe_u32 v44, v43, 16, 1
	v_or_b32_e32 v45, 0x400000, v43
	v_cmp_u_f32_e32 vcc_lo, v43, v43
	v_add_f32_e32 v9, v10, v9
	s_delay_alu instid0(VALU_DEP_4) | instskip(SKIP_1) | instid1(VALU_DEP_1)
	v_add3_u32 v44, v44, v43, 0x7fff
	s_wait_alu 0xfffd
	v_dual_cndmask_b32 v43, v44, v45 :: v_dual_lshlrev_b32 v44, 16, v143
	s_delay_alu instid0(VALU_DEP_1) | instskip(NEXT) | instid1(VALU_DEP_1)
	v_dual_mul_f32 v44, v3, v44 :: v_dual_and_b32 v11, 0xffff0000, v43
	v_bfe_u32 v45, v44, 16, 1
	v_or_b32_e32 v46, 0x400000, v44
	v_cmp_u_f32_e32 vcc_lo, v44, v44
	s_delay_alu instid0(VALU_DEP_3) | instskip(SKIP_1) | instid1(VALU_DEP_1)
	v_add3_u32 v45, v45, v44, 0x7fff
	s_wait_alu 0xfffd
	v_cndmask_b32_e32 v44, v45, v46, vcc_lo
	s_delay_alu instid0(VALU_DEP_1) | instskip(NEXT) | instid1(VALU_DEP_1)
	v_and_b32_e32 v10, 0xffff0000, v44
	v_add_f32_e32 v10, v10, v11
	s_delay_alu instid0(VALU_DEP_1) | instskip(NEXT) | instid1(VALU_DEP_1)
	v_add_f32_e32 v9, v10, v9
	v_dual_add_f32 v30, v30, v9 :: v_dual_lshlrev_b32 v9, 16, v135
	s_delay_alu instid0(VALU_DEP_1) | instskip(NEXT) | instid1(VALU_DEP_1)
	v_mul_f32_e32 v9, v7, v9
	v_bfe_u32 v10, v9, 16, 1
	v_or_b32_e32 v11, 0x400000, v9
	v_cmp_u_f32_e32 vcc_lo, v9, v9
	s_delay_alu instid0(VALU_DEP_3) | instskip(SKIP_1) | instid1(VALU_DEP_1)
	v_add3_u32 v10, v10, v9, 0x7fff
	s_wait_alu 0xfffd
	v_dual_cndmask_b32 v9, v10, v11 :: v_dual_lshlrev_b32 v10, 16, v134
	s_delay_alu instid0(VALU_DEP_1) | instskip(NEXT) | instid1(VALU_DEP_1)
	v_dual_mul_f32 v10, v8, v10 :: v_dual_and_b32 v9, 0xffff0000, v9
	v_bfe_u32 v11, v10, 16, 1
	v_or_b32_e32 v12, 0x400000, v10
	v_cmp_u_f32_e32 vcc_lo, v10, v10
	s_delay_alu instid0(VALU_DEP_3) | instskip(SKIP_1) | instid1(VALU_DEP_1)
	v_add3_u32 v11, v11, v10, 0x7fff
	s_wait_alu 0xfffd
	v_dual_cndmask_b32 v10, v11, v12 :: v_dual_lshlrev_b32 v11, 16, v133
	s_delay_alu instid0(VALU_DEP_1) | instskip(NEXT) | instid1(VALU_DEP_1)
	v_dual_mul_f32 v11, v4, v11 :: v_dual_and_b32 v10, 0xffff0000, v10
	v_add_f32_e32 v9, v10, v9
	s_delay_alu instid0(VALU_DEP_2) | instskip(SKIP_2) | instid1(VALU_DEP_3)
	v_bfe_u32 v12, v11, 16, 1
	v_or_b32_e32 v17, 0x400000, v11
	v_cmp_u_f32_e32 vcc_lo, v11, v11
	v_add3_u32 v12, v12, v11, 0x7fff
	s_wait_alu 0xfffd
	s_delay_alu instid0(VALU_DEP_1) | instskip(NEXT) | instid1(VALU_DEP_1)
	v_dual_cndmask_b32 v11, v12, v17 :: v_dual_lshlrev_b32 v12, 16, v132
	v_dual_mul_f32 v12, v6, v12 :: v_dual_and_b32 v11, 0xffff0000, v11
	s_delay_alu instid0(VALU_DEP_1) | instskip(SKIP_2) | instid1(VALU_DEP_3)
	v_bfe_u32 v17, v12, 16, 1
	v_or_b32_e32 v18, 0x400000, v12
	v_cmp_u_f32_e32 vcc_lo, v12, v12
	v_add3_u32 v17, v17, v12, 0x7fff
	s_wait_alu 0xfffd
	s_delay_alu instid0(VALU_DEP_1) | instskip(NEXT) | instid1(VALU_DEP_1)
	v_dual_cndmask_b32 v12, v17, v18 :: v_dual_lshlrev_b32 v17, 16, v131
	v_dual_mul_f32 v17, v2, v17 :: v_dual_and_b32 v10, 0xffff0000, v12
	s_delay_alu instid0(VALU_DEP_1) | instskip(NEXT) | instid1(VALU_DEP_2)
	v_add_f32_e32 v10, v10, v11
	v_bfe_u32 v18, v17, 16, 1
	v_or_b32_e32 v43, 0x400000, v17
	v_cmp_u_f32_e32 vcc_lo, v17, v17
	s_delay_alu instid0(VALU_DEP_4) | instskip(NEXT) | instid1(VALU_DEP_4)
	v_add_f32_e32 v9, v10, v9
	v_add3_u32 v18, v18, v17, 0x7fff
	s_wait_alu 0xfffd
	s_delay_alu instid0(VALU_DEP_1) | instskip(NEXT) | instid1(VALU_DEP_1)
	v_dual_cndmask_b32 v17, v18, v43 :: v_dual_lshlrev_b32 v18, 16, v130
	v_dual_mul_f32 v18, v5, v18 :: v_dual_and_b32 v11, 0xffff0000, v17
	s_delay_alu instid0(VALU_DEP_1) | instskip(SKIP_2) | instid1(VALU_DEP_3)
	v_bfe_u32 v43, v18, 16, 1
	v_or_b32_e32 v44, 0x400000, v18
	v_cmp_u_f32_e32 vcc_lo, v18, v18
	v_add3_u32 v43, v43, v18, 0x7fff
	s_wait_alu 0xfffd
	s_delay_alu instid0(VALU_DEP_1) | instskip(NEXT) | instid1(VALU_DEP_1)
	v_dual_cndmask_b32 v18, v43, v44 :: v_dual_lshlrev_b32 v43, 16, v129
	v_dual_mul_f32 v43, v1, v43 :: v_dual_and_b32 v10, 0xffff0000, v18
	s_delay_alu instid0(VALU_DEP_1) | instskip(NEXT) | instid1(VALU_DEP_2)
	v_add_f32_e32 v10, v10, v11
	v_bfe_u32 v44, v43, 16, 1
	v_or_b32_e32 v45, 0x400000, v43
	v_cmp_u_f32_e32 vcc_lo, v43, v43
	s_delay_alu instid0(VALU_DEP_4) | instskip(NEXT) | instid1(VALU_DEP_4)
	v_add_f32_e32 v9, v10, v9
	v_add3_u32 v44, v44, v43, 0x7fff
	s_wait_alu 0xfffd
	s_delay_alu instid0(VALU_DEP_1) | instskip(SKIP_3) | instid1(VALU_DEP_4)
	v_cndmask_b32_e32 v43, v44, v45, vcc_lo
	v_bfe_u32 v44, v0, 16, 1
	v_or_b32_e32 v45, 0x400000, v0
	v_cmp_u_f32_e32 vcc_lo, v0, v0
	v_and_b32_e32 v10, 0xffff0000, v43
	s_delay_alu instid0(VALU_DEP_4) | instskip(SKIP_1) | instid1(VALU_DEP_1)
	v_add3_u32 v44, v44, v0, 0x7fff
	s_wait_alu 0xfffd
	v_cndmask_b32_e32 v0, v44, v45, vcc_lo
	s_delay_alu instid0(VALU_DEP_1) | instskip(NEXT) | instid1(VALU_DEP_1)
	v_and_b32_e32 v0, 0xffff0000, v0
	v_add_f32_e32 v0, v0, v10
	s_delay_alu instid0(VALU_DEP_1) | instskip(NEXT) | instid1(VALU_DEP_1)
	v_add_f32_e32 v0, v0, v9
	v_add_f32_e32 v31, v31, v0
	v_lshlrev_b32_e32 v0, 16, v16
	s_delay_alu instid0(VALU_DEP_1) | instskip(NEXT) | instid1(VALU_DEP_1)
	v_mul_f32_e32 v0, v7, v0
	v_bfe_u32 v9, v0, 16, 1
	v_or_b32_e32 v10, 0x400000, v0
	v_cmp_u_f32_e32 vcc_lo, v0, v0
	s_delay_alu instid0(VALU_DEP_3) | instskip(SKIP_1) | instid1(VALU_DEP_1)
	v_add3_u32 v9, v9, v0, 0x7fff
	s_wait_alu 0xfffd
	v_dual_cndmask_b32 v0, v9, v10 :: v_dual_lshlrev_b32 v9, 16, v15
	s_delay_alu instid0(VALU_DEP_1) | instskip(NEXT) | instid1(VALU_DEP_1)
	v_dual_mul_f32 v9, v8, v9 :: v_dual_and_b32 v0, 0xffff0000, v0
	v_bfe_u32 v10, v9, 16, 1
	v_or_b32_e32 v11, 0x400000, v9
	v_cmp_u_f32_e32 vcc_lo, v9, v9
	s_delay_alu instid0(VALU_DEP_3) | instskip(SKIP_1) | instid1(VALU_DEP_1)
	v_add3_u32 v10, v10, v9, 0x7fff
	s_wait_alu 0xfffd
	v_dual_cndmask_b32 v9, v10, v11 :: v_dual_lshlrev_b32 v10, 16, v128
	s_delay_alu instid0(VALU_DEP_1) | instskip(NEXT) | instid1(VALU_DEP_1)
	v_dual_mul_f32 v10, v4, v10 :: v_dual_and_b32 v9, 0xffff0000, v9
	v_add_f32_e32 v0, v9, v0
	s_delay_alu instid0(VALU_DEP_2) | instskip(SKIP_2) | instid1(VALU_DEP_3)
	v_bfe_u32 v11, v10, 16, 1
	v_or_b32_e32 v12, 0x400000, v10
	v_cmp_u_f32_e32 vcc_lo, v10, v10
	v_add3_u32 v11, v11, v10, 0x7fff
	s_wait_alu 0xfffd
	s_delay_alu instid0(VALU_DEP_1) | instskip(NEXT) | instid1(VALU_DEP_1)
	v_dual_cndmask_b32 v10, v11, v12 :: v_dual_lshlrev_b32 v11, 16, v127
	v_dual_mul_f32 v11, v6, v11 :: v_dual_and_b32 v10, 0xffff0000, v10
	s_delay_alu instid0(VALU_DEP_1) | instskip(SKIP_2) | instid1(VALU_DEP_3)
	v_bfe_u32 v12, v11, 16, 1
	v_or_b32_e32 v15, 0x400000, v11
	v_cmp_u_f32_e32 vcc_lo, v11, v11
	v_add3_u32 v12, v12, v11, 0x7fff
	s_wait_alu 0xfffd
	s_delay_alu instid0(VALU_DEP_1) | instskip(NEXT) | instid1(VALU_DEP_1)
	v_dual_cndmask_b32 v11, v12, v15 :: v_dual_lshlrev_b32 v12, 16, v126
	v_dual_mul_f32 v12, v2, v12 :: v_dual_and_b32 v9, 0xffff0000, v11
	s_delay_alu instid0(VALU_DEP_1) | instskip(NEXT) | instid1(VALU_DEP_2)
	v_add_f32_e32 v9, v9, v10
	v_bfe_u32 v15, v12, 16, 1
	v_or_b32_e32 v16, 0x400000, v12
	v_cmp_u_f32_e32 vcc_lo, v12, v12
	s_delay_alu instid0(VALU_DEP_4) | instskip(NEXT) | instid1(VALU_DEP_4)
	v_add_f32_e32 v0, v9, v0
	v_add3_u32 v15, v15, v12, 0x7fff
	s_wait_alu 0xfffd
	s_delay_alu instid0(VALU_DEP_1) | instskip(NEXT) | instid1(VALU_DEP_1)
	v_dual_cndmask_b32 v12, v15, v16 :: v_dual_lshlrev_b32 v15, 16, v125
	v_dual_mul_f32 v15, v5, v15 :: v_dual_and_b32 v10, 0xffff0000, v12
	s_delay_alu instid0(VALU_DEP_1) | instskip(SKIP_2) | instid1(VALU_DEP_3)
	v_bfe_u32 v16, v15, 16, 1
	v_or_b32_e32 v17, 0x400000, v15
	v_cmp_u_f32_e32 vcc_lo, v15, v15
	v_add3_u32 v16, v16, v15, 0x7fff
	s_wait_alu 0xfffd
	s_delay_alu instid0(VALU_DEP_1) | instskip(NEXT) | instid1(VALU_DEP_1)
	v_dual_cndmask_b32 v15, v16, v17 :: v_dual_lshlrev_b32 v16, 16, v124
	v_dual_mul_f32 v16, v1, v16 :: v_dual_and_b32 v9, 0xffff0000, v15
	s_delay_alu instid0(VALU_DEP_1) | instskip(NEXT) | instid1(VALU_DEP_2)
	v_add_f32_e32 v9, v9, v10
	v_bfe_u32 v17, v16, 16, 1
	v_or_b32_e32 v18, 0x400000, v16
	v_cmp_u_f32_e32 vcc_lo, v16, v16
	s_delay_alu instid0(VALU_DEP_4) | instskip(NEXT) | instid1(VALU_DEP_4)
	v_add_f32_e32 v0, v9, v0
	v_add3_u32 v17, v17, v16, 0x7fff
	s_wait_alu 0xfffd
	s_delay_alu instid0(VALU_DEP_1) | instskip(NEXT) | instid1(VALU_DEP_1)
	v_dual_cndmask_b32 v16, v17, v18 :: v_dual_lshlrev_b32 v17, 16, v123
	v_dual_mul_f32 v17, v3, v17 :: v_dual_and_b32 v10, 0xffff0000, v16
	s_delay_alu instid0(VALU_DEP_1) | instskip(SKIP_2) | instid1(VALU_DEP_3)
	v_bfe_u32 v18, v17, 16, 1
	v_or_b32_e32 v43, 0x400000, v17
	v_cmp_u_f32_e32 vcc_lo, v17, v17
	v_add3_u32 v18, v18, v17, 0x7fff
	s_wait_alu 0xfffd
	s_delay_alu instid0(VALU_DEP_1) | instskip(NEXT) | instid1(VALU_DEP_1)
	v_cndmask_b32_e32 v17, v18, v43, vcc_lo
	v_and_b32_e32 v9, 0xffff0000, v17
	s_delay_alu instid0(VALU_DEP_1) | instskip(NEXT) | instid1(VALU_DEP_1)
	v_add_f32_e32 v9, v9, v10
	v_add_f32_e32 v0, v9, v0
	s_delay_alu instid0(VALU_DEP_1) | instskip(SKIP_1) | instid1(VALU_DEP_1)
	v_add_f32_e32 v32, v32, v0
	v_lshlrev_b32_e32 v0, 16, v122
	v_mul_f32_e32 v0, v7, v0
	s_delay_alu instid0(VALU_DEP_1) | instskip(SKIP_2) | instid1(VALU_DEP_3)
	v_bfe_u32 v9, v0, 16, 1
	v_or_b32_e32 v10, 0x400000, v0
	v_cmp_u_f32_e32 vcc_lo, v0, v0
	v_add3_u32 v9, v9, v0, 0x7fff
	s_wait_alu 0xfffd
	s_delay_alu instid0(VALU_DEP_1) | instskip(NEXT) | instid1(VALU_DEP_1)
	v_dual_cndmask_b32 v0, v9, v10 :: v_dual_lshlrev_b32 v9, 16, v121
	v_dual_mul_f32 v9, v8, v9 :: v_dual_and_b32 v0, 0xffff0000, v0
	s_delay_alu instid0(VALU_DEP_1) | instskip(SKIP_2) | instid1(VALU_DEP_3)
	v_bfe_u32 v10, v9, 16, 1
	v_or_b32_e32 v11, 0x400000, v9
	v_cmp_u_f32_e32 vcc_lo, v9, v9
	v_add3_u32 v10, v10, v9, 0x7fff
	s_wait_alu 0xfffd
	s_delay_alu instid0(VALU_DEP_1) | instskip(NEXT) | instid1(VALU_DEP_1)
	v_dual_cndmask_b32 v9, v10, v11 :: v_dual_lshlrev_b32 v10, 16, v120
	v_dual_mul_f32 v10, v4, v10 :: v_dual_and_b32 v9, 0xffff0000, v9
	s_delay_alu instid0(VALU_DEP_1) | instskip(NEXT) | instid1(VALU_DEP_2)
	v_add_f32_e32 v0, v9, v0
	v_bfe_u32 v11, v10, 16, 1
	v_or_b32_e32 v12, 0x400000, v10
	v_cmp_u_f32_e32 vcc_lo, v10, v10
	s_delay_alu instid0(VALU_DEP_3) | instskip(SKIP_1) | instid1(VALU_DEP_1)
	v_add3_u32 v11, v11, v10, 0x7fff
	s_wait_alu 0xfffd
	v_dual_cndmask_b32 v10, v11, v12 :: v_dual_lshlrev_b32 v11, 16, v119
	s_delay_alu instid0(VALU_DEP_1) | instskip(NEXT) | instid1(VALU_DEP_1)
	v_dual_mul_f32 v11, v6, v11 :: v_dual_and_b32 v10, 0xffff0000, v10
	v_bfe_u32 v12, v11, 16, 1
	v_or_b32_e32 v15, 0x400000, v11
	v_cmp_u_f32_e32 vcc_lo, v11, v11
	s_delay_alu instid0(VALU_DEP_3) | instskip(SKIP_1) | instid1(VALU_DEP_1)
	v_add3_u32 v12, v12, v11, 0x7fff
	s_wait_alu 0xfffd
	v_dual_cndmask_b32 v11, v12, v15 :: v_dual_lshlrev_b32 v12, 16, v118
	s_delay_alu instid0(VALU_DEP_1) | instskip(NEXT) | instid1(VALU_DEP_1)
	v_dual_mul_f32 v12, v2, v12 :: v_dual_and_b32 v9, 0xffff0000, v11
	v_add_f32_e32 v9, v9, v10
	s_delay_alu instid0(VALU_DEP_2) | instskip(SKIP_2) | instid1(VALU_DEP_4)
	v_bfe_u32 v15, v12, 16, 1
	v_or_b32_e32 v16, 0x400000, v12
	v_cmp_u_f32_e32 vcc_lo, v12, v12
	v_add_f32_e32 v0, v9, v0
	s_delay_alu instid0(VALU_DEP_4) | instskip(SKIP_1) | instid1(VALU_DEP_1)
	v_add3_u32 v15, v15, v12, 0x7fff
	s_wait_alu 0xfffd
	v_dual_cndmask_b32 v12, v15, v16 :: v_dual_lshlrev_b32 v15, 16, v117
	s_delay_alu instid0(VALU_DEP_1) | instskip(NEXT) | instid1(VALU_DEP_1)
	v_dual_mul_f32 v15, v5, v15 :: v_dual_and_b32 v10, 0xffff0000, v12
	v_bfe_u32 v16, v15, 16, 1
	v_or_b32_e32 v17, 0x400000, v15
	v_cmp_u_f32_e32 vcc_lo, v15, v15
	s_delay_alu instid0(VALU_DEP_3) | instskip(SKIP_1) | instid1(VALU_DEP_1)
	v_add3_u32 v16, v16, v15, 0x7fff
	s_wait_alu 0xfffd
	v_dual_cndmask_b32 v15, v16, v17 :: v_dual_lshlrev_b32 v16, 16, v116
	s_delay_alu instid0(VALU_DEP_1) | instskip(NEXT) | instid1(VALU_DEP_1)
	v_dual_mul_f32 v16, v1, v16 :: v_dual_and_b32 v9, 0xffff0000, v15
	v_add_f32_e32 v9, v9, v10
	s_delay_alu instid0(VALU_DEP_2) | instskip(SKIP_2) | instid1(VALU_DEP_4)
	v_bfe_u32 v17, v16, 16, 1
	v_or_b32_e32 v18, 0x400000, v16
	v_cmp_u_f32_e32 vcc_lo, v16, v16
	v_add_f32_e32 v0, v9, v0
	s_delay_alu instid0(VALU_DEP_4) | instskip(SKIP_1) | instid1(VALU_DEP_1)
	v_add3_u32 v17, v17, v16, 0x7fff
	s_wait_alu 0xfffd
	v_dual_cndmask_b32 v16, v17, v18 :: v_dual_lshlrev_b32 v17, 16, v115
	s_delay_alu instid0(VALU_DEP_1) | instskip(NEXT) | instid1(VALU_DEP_1)
	v_dual_mul_f32 v17, v3, v17 :: v_dual_and_b32 v10, 0xffff0000, v16
	v_bfe_u32 v18, v17, 16, 1
	v_or_b32_e32 v43, 0x400000, v17
	v_cmp_u_f32_e32 vcc_lo, v17, v17
	s_delay_alu instid0(VALU_DEP_3) | instskip(SKIP_1) | instid1(VALU_DEP_1)
	v_add3_u32 v18, v18, v17, 0x7fff
	s_wait_alu 0xfffd
	v_cndmask_b32_e32 v17, v18, v43, vcc_lo
	s_delay_alu instid0(VALU_DEP_1) | instskip(NEXT) | instid1(VALU_DEP_1)
	v_and_b32_e32 v9, 0xffff0000, v17
	v_add_f32_e32 v9, v9, v10
	s_delay_alu instid0(VALU_DEP_1) | instskip(NEXT) | instid1(VALU_DEP_1)
	v_add_f32_e32 v0, v9, v0
	v_dual_add_f32 v33, v33, v0 :: v_dual_lshlrev_b32 v0, 16, v114
	s_delay_alu instid0(VALU_DEP_1) | instskip(NEXT) | instid1(VALU_DEP_1)
	v_mul_f32_e32 v0, v7, v0
	v_bfe_u32 v9, v0, 16, 1
	v_or_b32_e32 v10, 0x400000, v0
	v_cmp_u_f32_e32 vcc_lo, v0, v0
	s_delay_alu instid0(VALU_DEP_3) | instskip(SKIP_1) | instid1(VALU_DEP_1)
	v_add3_u32 v9, v9, v0, 0x7fff
	s_wait_alu 0xfffd
	v_dual_cndmask_b32 v0, v9, v10 :: v_dual_lshlrev_b32 v9, 16, v113
	s_delay_alu instid0(VALU_DEP_1) | instskip(NEXT) | instid1(VALU_DEP_1)
	v_dual_mul_f32 v9, v8, v9 :: v_dual_and_b32 v0, 0xffff0000, v0
	v_bfe_u32 v10, v9, 16, 1
	v_or_b32_e32 v11, 0x400000, v9
	v_cmp_u_f32_e32 vcc_lo, v9, v9
	s_delay_alu instid0(VALU_DEP_3) | instskip(SKIP_1) | instid1(VALU_DEP_1)
	v_add3_u32 v10, v10, v9, 0x7fff
	s_wait_alu 0xfffd
	v_dual_cndmask_b32 v9, v10, v11 :: v_dual_lshlrev_b32 v10, 16, v112
	s_delay_alu instid0(VALU_DEP_1) | instskip(NEXT) | instid1(VALU_DEP_1)
	v_dual_mul_f32 v10, v4, v10 :: v_dual_and_b32 v9, 0xffff0000, v9
	v_add_f32_e32 v0, v9, v0
	s_delay_alu instid0(VALU_DEP_2) | instskip(SKIP_2) | instid1(VALU_DEP_3)
	v_bfe_u32 v11, v10, 16, 1
	v_or_b32_e32 v12, 0x400000, v10
	v_cmp_u_f32_e32 vcc_lo, v10, v10
	v_add3_u32 v11, v11, v10, 0x7fff
	s_wait_alu 0xfffd
	s_delay_alu instid0(VALU_DEP_1) | instskip(NEXT) | instid1(VALU_DEP_1)
	v_dual_cndmask_b32 v10, v11, v12 :: v_dual_lshlrev_b32 v11, 16, v111
	v_dual_mul_f32 v11, v6, v11 :: v_dual_and_b32 v10, 0xffff0000, v10
	s_delay_alu instid0(VALU_DEP_1) | instskip(SKIP_2) | instid1(VALU_DEP_3)
	v_bfe_u32 v12, v11, 16, 1
	v_or_b32_e32 v15, 0x400000, v11
	v_cmp_u_f32_e32 vcc_lo, v11, v11
	v_add3_u32 v12, v12, v11, 0x7fff
	s_wait_alu 0xfffd
	s_delay_alu instid0(VALU_DEP_1) | instskip(NEXT) | instid1(VALU_DEP_1)
	v_dual_cndmask_b32 v11, v12, v15 :: v_dual_lshlrev_b32 v12, 16, v110
	v_dual_mul_f32 v12, v2, v12 :: v_dual_and_b32 v9, 0xffff0000, v11
	s_delay_alu instid0(VALU_DEP_1) | instskip(NEXT) | instid1(VALU_DEP_2)
	v_add_f32_e32 v9, v9, v10
	v_bfe_u32 v15, v12, 16, 1
	v_or_b32_e32 v16, 0x400000, v12
	v_cmp_u_f32_e32 vcc_lo, v12, v12
	s_delay_alu instid0(VALU_DEP_4) | instskip(NEXT) | instid1(VALU_DEP_4)
	v_add_f32_e32 v0, v9, v0
	v_add3_u32 v15, v15, v12, 0x7fff
	s_wait_alu 0xfffd
	s_delay_alu instid0(VALU_DEP_1) | instskip(NEXT) | instid1(VALU_DEP_1)
	v_dual_cndmask_b32 v12, v15, v16 :: v_dual_lshlrev_b32 v15, 16, v109
	v_dual_mul_f32 v15, v5, v15 :: v_dual_and_b32 v10, 0xffff0000, v12
	s_delay_alu instid0(VALU_DEP_1) | instskip(SKIP_2) | instid1(VALU_DEP_3)
	v_bfe_u32 v16, v15, 16, 1
	v_or_b32_e32 v17, 0x400000, v15
	v_cmp_u_f32_e32 vcc_lo, v15, v15
	v_add3_u32 v16, v16, v15, 0x7fff
	s_wait_alu 0xfffd
	s_delay_alu instid0(VALU_DEP_1) | instskip(NEXT) | instid1(VALU_DEP_1)
	v_dual_cndmask_b32 v15, v16, v17 :: v_dual_lshlrev_b32 v16, 16, v108
	v_dual_mul_f32 v16, v1, v16 :: v_dual_and_b32 v9, 0xffff0000, v15
	s_delay_alu instid0(VALU_DEP_1) | instskip(NEXT) | instid1(VALU_DEP_2)
	v_add_f32_e32 v9, v9, v10
	v_bfe_u32 v17, v16, 16, 1
	v_or_b32_e32 v18, 0x400000, v16
	v_cmp_u_f32_e32 vcc_lo, v16, v16
	s_delay_alu instid0(VALU_DEP_4) | instskip(NEXT) | instid1(VALU_DEP_4)
	v_add_f32_e32 v0, v9, v0
	v_add3_u32 v17, v17, v16, 0x7fff
	s_wait_alu 0xfffd
	s_delay_alu instid0(VALU_DEP_1) | instskip(NEXT) | instid1(VALU_DEP_1)
	v_dual_cndmask_b32 v16, v17, v18 :: v_dual_lshlrev_b32 v17, 16, v107
	v_dual_mul_f32 v17, v3, v17 :: v_dual_and_b32 v10, 0xffff0000, v16
	s_delay_alu instid0(VALU_DEP_1) | instskip(SKIP_2) | instid1(VALU_DEP_3)
	v_bfe_u32 v18, v17, 16, 1
	v_or_b32_e32 v43, 0x400000, v17
	v_cmp_u_f32_e32 vcc_lo, v17, v17
	v_add3_u32 v18, v18, v17, 0x7fff
	s_wait_alu 0xfffd
	s_delay_alu instid0(VALU_DEP_1) | instskip(NEXT) | instid1(VALU_DEP_1)
	v_cndmask_b32_e32 v17, v18, v43, vcc_lo
	v_and_b32_e32 v9, 0xffff0000, v17
	s_delay_alu instid0(VALU_DEP_1) | instskip(NEXT) | instid1(VALU_DEP_1)
	v_add_f32_e32 v9, v9, v10
	v_add_f32_e32 v0, v9, v0
	s_delay_alu instid0(VALU_DEP_1) | instskip(SKIP_1) | instid1(VALU_DEP_1)
	v_add_f32_e32 v34, v34, v0
	v_lshlrev_b32_e32 v0, 16, v106
	v_mul_f32_e32 v0, v7, v0
	s_delay_alu instid0(VALU_DEP_1) | instskip(SKIP_2) | instid1(VALU_DEP_3)
	v_bfe_u32 v9, v0, 16, 1
	v_or_b32_e32 v10, 0x400000, v0
	v_cmp_u_f32_e32 vcc_lo, v0, v0
	v_add3_u32 v9, v9, v0, 0x7fff
	s_wait_alu 0xfffd
	s_delay_alu instid0(VALU_DEP_1) | instskip(NEXT) | instid1(VALU_DEP_1)
	v_dual_cndmask_b32 v0, v9, v10 :: v_dual_lshlrev_b32 v9, 16, v105
	v_dual_mul_f32 v9, v8, v9 :: v_dual_and_b32 v0, 0xffff0000, v0
	s_delay_alu instid0(VALU_DEP_1) | instskip(SKIP_2) | instid1(VALU_DEP_3)
	v_bfe_u32 v10, v9, 16, 1
	v_or_b32_e32 v11, 0x400000, v9
	v_cmp_u_f32_e32 vcc_lo, v9, v9
	v_add3_u32 v10, v10, v9, 0x7fff
	s_wait_alu 0xfffd
	s_delay_alu instid0(VALU_DEP_1) | instskip(NEXT) | instid1(VALU_DEP_1)
	v_dual_cndmask_b32 v9, v10, v11 :: v_dual_lshlrev_b32 v10, 16, v104
	v_dual_mul_f32 v10, v4, v10 :: v_dual_and_b32 v9, 0xffff0000, v9
	s_delay_alu instid0(VALU_DEP_1) | instskip(NEXT) | instid1(VALU_DEP_2)
	v_add_f32_e32 v0, v9, v0
	v_bfe_u32 v11, v10, 16, 1
	v_or_b32_e32 v12, 0x400000, v10
	v_cmp_u_f32_e32 vcc_lo, v10, v10
	s_delay_alu instid0(VALU_DEP_3) | instskip(SKIP_1) | instid1(VALU_DEP_1)
	v_add3_u32 v11, v11, v10, 0x7fff
	s_wait_alu 0xfffd
	v_dual_cndmask_b32 v10, v11, v12 :: v_dual_lshlrev_b32 v11, 16, v103
	s_delay_alu instid0(VALU_DEP_1) | instskip(NEXT) | instid1(VALU_DEP_1)
	v_dual_mul_f32 v11, v6, v11 :: v_dual_and_b32 v10, 0xffff0000, v10
	v_bfe_u32 v12, v11, 16, 1
	v_or_b32_e32 v15, 0x400000, v11
	v_cmp_u_f32_e32 vcc_lo, v11, v11
	s_delay_alu instid0(VALU_DEP_3) | instskip(SKIP_1) | instid1(VALU_DEP_1)
	v_add3_u32 v12, v12, v11, 0x7fff
	s_wait_alu 0xfffd
	v_dual_cndmask_b32 v11, v12, v15 :: v_dual_lshlrev_b32 v12, 16, v102
	s_delay_alu instid0(VALU_DEP_1) | instskip(NEXT) | instid1(VALU_DEP_1)
	v_dual_mul_f32 v12, v2, v12 :: v_dual_and_b32 v9, 0xffff0000, v11
	v_add_f32_e32 v9, v9, v10
	s_delay_alu instid0(VALU_DEP_2) | instskip(SKIP_2) | instid1(VALU_DEP_4)
	v_bfe_u32 v15, v12, 16, 1
	v_or_b32_e32 v16, 0x400000, v12
	v_cmp_u_f32_e32 vcc_lo, v12, v12
	v_add_f32_e32 v0, v9, v0
	s_delay_alu instid0(VALU_DEP_4) | instskip(SKIP_1) | instid1(VALU_DEP_1)
	v_add3_u32 v15, v15, v12, 0x7fff
	s_wait_alu 0xfffd
	v_dual_cndmask_b32 v12, v15, v16 :: v_dual_lshlrev_b32 v15, 16, v101
	s_delay_alu instid0(VALU_DEP_1) | instskip(NEXT) | instid1(VALU_DEP_1)
	v_dual_mul_f32 v15, v5, v15 :: v_dual_and_b32 v10, 0xffff0000, v12
	v_bfe_u32 v16, v15, 16, 1
	v_or_b32_e32 v17, 0x400000, v15
	v_cmp_u_f32_e32 vcc_lo, v15, v15
	s_delay_alu instid0(VALU_DEP_3) | instskip(SKIP_1) | instid1(VALU_DEP_1)
	v_add3_u32 v16, v16, v15, 0x7fff
	s_wait_alu 0xfffd
	v_dual_cndmask_b32 v15, v16, v17 :: v_dual_lshlrev_b32 v16, 16, v100
	s_delay_alu instid0(VALU_DEP_1) | instskip(NEXT) | instid1(VALU_DEP_1)
	v_dual_mul_f32 v16, v1, v16 :: v_dual_and_b32 v9, 0xffff0000, v15
	v_add_f32_e32 v9, v9, v10
	s_delay_alu instid0(VALU_DEP_2) | instskip(SKIP_2) | instid1(VALU_DEP_4)
	v_bfe_u32 v17, v16, 16, 1
	v_or_b32_e32 v18, 0x400000, v16
	v_cmp_u_f32_e32 vcc_lo, v16, v16
	v_add_f32_e32 v0, v9, v0
	s_delay_alu instid0(VALU_DEP_4) | instskip(SKIP_1) | instid1(VALU_DEP_1)
	v_add3_u32 v17, v17, v16, 0x7fff
	s_wait_alu 0xfffd
	v_dual_cndmask_b32 v16, v17, v18 :: v_dual_lshlrev_b32 v17, 16, v99
	s_delay_alu instid0(VALU_DEP_1) | instskip(NEXT) | instid1(VALU_DEP_1)
	v_dual_mul_f32 v17, v3, v17 :: v_dual_and_b32 v10, 0xffff0000, v16
	v_bfe_u32 v18, v17, 16, 1
	v_or_b32_e32 v43, 0x400000, v17
	v_cmp_u_f32_e32 vcc_lo, v17, v17
	s_delay_alu instid0(VALU_DEP_3) | instskip(SKIP_1) | instid1(VALU_DEP_1)
	v_add3_u32 v18, v18, v17, 0x7fff
	s_wait_alu 0xfffd
	v_cndmask_b32_e32 v17, v18, v43, vcc_lo
	s_delay_alu instid0(VALU_DEP_1) | instskip(NEXT) | instid1(VALU_DEP_1)
	v_and_b32_e32 v9, 0xffff0000, v17
	v_add_f32_e32 v9, v9, v10
	s_delay_alu instid0(VALU_DEP_1) | instskip(NEXT) | instid1(VALU_DEP_1)
	v_add_f32_e32 v0, v9, v0
	v_dual_add_f32 v35, v35, v0 :: v_dual_lshlrev_b32 v0, 16, v98
	s_delay_alu instid0(VALU_DEP_1) | instskip(NEXT) | instid1(VALU_DEP_1)
	v_mul_f32_e32 v0, v7, v0
	v_bfe_u32 v9, v0, 16, 1
	v_or_b32_e32 v10, 0x400000, v0
	v_cmp_u_f32_e32 vcc_lo, v0, v0
	s_delay_alu instid0(VALU_DEP_3) | instskip(SKIP_1) | instid1(VALU_DEP_1)
	v_add3_u32 v9, v9, v0, 0x7fff
	s_wait_alu 0xfffd
	v_dual_cndmask_b32 v0, v9, v10 :: v_dual_lshlrev_b32 v9, 16, v97
	s_delay_alu instid0(VALU_DEP_1) | instskip(NEXT) | instid1(VALU_DEP_1)
	v_dual_mul_f32 v9, v8, v9 :: v_dual_and_b32 v0, 0xffff0000, v0
	v_bfe_u32 v10, v9, 16, 1
	v_or_b32_e32 v11, 0x400000, v9
	v_cmp_u_f32_e32 vcc_lo, v9, v9
	s_delay_alu instid0(VALU_DEP_3) | instskip(SKIP_1) | instid1(VALU_DEP_1)
	v_add3_u32 v10, v10, v9, 0x7fff
	s_wait_alu 0xfffd
	v_dual_cndmask_b32 v9, v10, v11 :: v_dual_lshlrev_b32 v10, 16, v96
	s_delay_alu instid0(VALU_DEP_1) | instskip(NEXT) | instid1(VALU_DEP_1)
	v_dual_mul_f32 v10, v4, v10 :: v_dual_and_b32 v9, 0xffff0000, v9
	v_add_f32_e32 v0, v9, v0
	s_delay_alu instid0(VALU_DEP_2) | instskip(SKIP_2) | instid1(VALU_DEP_3)
	v_bfe_u32 v11, v10, 16, 1
	v_or_b32_e32 v12, 0x400000, v10
	v_cmp_u_f32_e32 vcc_lo, v10, v10
	v_add3_u32 v11, v11, v10, 0x7fff
	s_wait_alu 0xfffd
	s_delay_alu instid0(VALU_DEP_1) | instskip(NEXT) | instid1(VALU_DEP_1)
	v_dual_cndmask_b32 v10, v11, v12 :: v_dual_lshlrev_b32 v11, 16, v95
	v_dual_mul_f32 v11, v6, v11 :: v_dual_and_b32 v10, 0xffff0000, v10
	s_delay_alu instid0(VALU_DEP_1) | instskip(SKIP_2) | instid1(VALU_DEP_3)
	v_bfe_u32 v12, v11, 16, 1
	v_or_b32_e32 v15, 0x400000, v11
	v_cmp_u_f32_e32 vcc_lo, v11, v11
	v_add3_u32 v12, v12, v11, 0x7fff
	s_wait_alu 0xfffd
	s_delay_alu instid0(VALU_DEP_1) | instskip(NEXT) | instid1(VALU_DEP_1)
	v_dual_cndmask_b32 v11, v12, v15 :: v_dual_lshlrev_b32 v12, 16, v94
	v_dual_mul_f32 v12, v2, v12 :: v_dual_and_b32 v9, 0xffff0000, v11
	s_delay_alu instid0(VALU_DEP_1) | instskip(NEXT) | instid1(VALU_DEP_2)
	v_add_f32_e32 v9, v9, v10
	v_bfe_u32 v15, v12, 16, 1
	v_or_b32_e32 v16, 0x400000, v12
	v_cmp_u_f32_e32 vcc_lo, v12, v12
	s_delay_alu instid0(VALU_DEP_4) | instskip(NEXT) | instid1(VALU_DEP_4)
	v_add_f32_e32 v0, v9, v0
	v_add3_u32 v15, v15, v12, 0x7fff
	s_wait_alu 0xfffd
	s_delay_alu instid0(VALU_DEP_1) | instskip(NEXT) | instid1(VALU_DEP_1)
	v_dual_cndmask_b32 v12, v15, v16 :: v_dual_lshlrev_b32 v15, 16, v93
	v_dual_mul_f32 v15, v5, v15 :: v_dual_and_b32 v10, 0xffff0000, v12
	s_delay_alu instid0(VALU_DEP_1) | instskip(SKIP_2) | instid1(VALU_DEP_3)
	v_bfe_u32 v16, v15, 16, 1
	v_or_b32_e32 v17, 0x400000, v15
	v_cmp_u_f32_e32 vcc_lo, v15, v15
	v_add3_u32 v16, v16, v15, 0x7fff
	s_wait_alu 0xfffd
	s_delay_alu instid0(VALU_DEP_1) | instskip(NEXT) | instid1(VALU_DEP_1)
	v_dual_cndmask_b32 v15, v16, v17 :: v_dual_lshlrev_b32 v16, 16, v92
	v_dual_mul_f32 v16, v1, v16 :: v_dual_and_b32 v9, 0xffff0000, v15
	s_delay_alu instid0(VALU_DEP_1) | instskip(NEXT) | instid1(VALU_DEP_2)
	v_add_f32_e32 v9, v9, v10
	v_bfe_u32 v17, v16, 16, 1
	v_or_b32_e32 v18, 0x400000, v16
	v_cmp_u_f32_e32 vcc_lo, v16, v16
	s_delay_alu instid0(VALU_DEP_4) | instskip(NEXT) | instid1(VALU_DEP_4)
	v_add_f32_e32 v0, v9, v0
	v_add3_u32 v17, v17, v16, 0x7fff
	s_wait_alu 0xfffd
	s_delay_alu instid0(VALU_DEP_1) | instskip(NEXT) | instid1(VALU_DEP_1)
	v_dual_cndmask_b32 v16, v17, v18 :: v_dual_lshlrev_b32 v17, 16, v91
	v_dual_mul_f32 v17, v3, v17 :: v_dual_and_b32 v10, 0xffff0000, v16
	s_delay_alu instid0(VALU_DEP_1) | instskip(SKIP_2) | instid1(VALU_DEP_3)
	v_bfe_u32 v18, v17, 16, 1
	v_or_b32_e32 v43, 0x400000, v17
	v_cmp_u_f32_e32 vcc_lo, v17, v17
	v_add3_u32 v18, v18, v17, 0x7fff
	s_wait_alu 0xfffd
	s_delay_alu instid0(VALU_DEP_1) | instskip(NEXT) | instid1(VALU_DEP_1)
	v_cndmask_b32_e32 v17, v18, v43, vcc_lo
	v_and_b32_e32 v9, 0xffff0000, v17
	s_delay_alu instid0(VALU_DEP_1) | instskip(NEXT) | instid1(VALU_DEP_1)
	v_add_f32_e32 v9, v9, v10
	v_add_f32_e32 v0, v9, v0
	s_delay_alu instid0(VALU_DEP_1) | instskip(SKIP_1) | instid1(VALU_DEP_1)
	v_add_f32_e32 v36, v36, v0
	v_lshlrev_b32_e32 v0, 16, v90
	v_mul_f32_e32 v0, v7, v0
	s_delay_alu instid0(VALU_DEP_1) | instskip(SKIP_2) | instid1(VALU_DEP_3)
	v_bfe_u32 v9, v0, 16, 1
	v_or_b32_e32 v10, 0x400000, v0
	v_cmp_u_f32_e32 vcc_lo, v0, v0
	v_add3_u32 v9, v9, v0, 0x7fff
	s_wait_alu 0xfffd
	s_delay_alu instid0(VALU_DEP_1) | instskip(NEXT) | instid1(VALU_DEP_1)
	v_dual_cndmask_b32 v0, v9, v10 :: v_dual_lshlrev_b32 v9, 16, v89
	v_dual_mul_f32 v9, v8, v9 :: v_dual_and_b32 v0, 0xffff0000, v0
	s_delay_alu instid0(VALU_DEP_1) | instskip(SKIP_2) | instid1(VALU_DEP_3)
	v_bfe_u32 v10, v9, 16, 1
	v_or_b32_e32 v11, 0x400000, v9
	v_cmp_u_f32_e32 vcc_lo, v9, v9
	v_add3_u32 v10, v10, v9, 0x7fff
	s_wait_alu 0xfffd
	s_delay_alu instid0(VALU_DEP_1) | instskip(NEXT) | instid1(VALU_DEP_1)
	v_dual_cndmask_b32 v9, v10, v11 :: v_dual_lshlrev_b32 v10, 16, v88
	v_mul_f32_e32 v10, v4, v10
	s_delay_alu instid0(VALU_DEP_1) | instskip(SKIP_2) | instid1(VALU_DEP_3)
	v_bfe_u32 v11, v10, 16, 1
	v_or_b32_e32 v12, 0x400000, v10
	v_cmp_u_f32_e32 vcc_lo, v10, v10
	v_add3_u32 v11, v11, v10, 0x7fff
	s_wait_alu 0xfffd
	s_delay_alu instid0(VALU_DEP_1) | instskip(NEXT) | instid1(VALU_DEP_1)
	v_cndmask_b32_e32 v10, v11, v12, vcc_lo
	v_and_b32_e32 v10, 0xffff0000, v10
	v_and_b32_e32 v9, 0xffff0000, v9
	s_delay_alu instid0(VALU_DEP_1) | instskip(NEXT) | instid1(VALU_DEP_1)
	v_dual_add_f32 v0, v9, v0 :: v_dual_lshlrev_b32 v11, 16, v87
	v_mul_f32_e32 v11, v6, v11
	s_delay_alu instid0(VALU_DEP_1) | instskip(SKIP_2) | instid1(VALU_DEP_3)
	v_bfe_u32 v12, v11, 16, 1
	v_or_b32_e32 v15, 0x400000, v11
	v_cmp_u_f32_e32 vcc_lo, v11, v11
	v_add3_u32 v12, v12, v11, 0x7fff
	s_wait_alu 0xfffd
	s_delay_alu instid0(VALU_DEP_1) | instskip(NEXT) | instid1(VALU_DEP_1)
	v_dual_cndmask_b32 v11, v12, v15 :: v_dual_lshlrev_b32 v12, 16, v86
	v_dual_mul_f32 v12, v2, v12 :: v_dual_and_b32 v9, 0xffff0000, v11
	s_delay_alu instid0(VALU_DEP_1) | instskip(NEXT) | instid1(VALU_DEP_2)
	v_add_f32_e32 v9, v9, v10
	v_bfe_u32 v15, v12, 16, 1
	v_or_b32_e32 v16, 0x400000, v12
	v_cmp_u_f32_e32 vcc_lo, v12, v12
	s_delay_alu instid0(VALU_DEP_4) | instskip(NEXT) | instid1(VALU_DEP_4)
	v_add_f32_e32 v0, v9, v0
	v_add3_u32 v15, v15, v12, 0x7fff
	s_wait_alu 0xfffd
	s_delay_alu instid0(VALU_DEP_1) | instskip(NEXT) | instid1(VALU_DEP_1)
	v_dual_cndmask_b32 v12, v15, v16 :: v_dual_lshlrev_b32 v15, 16, v85
	v_dual_mul_f32 v15, v5, v15 :: v_dual_and_b32 v10, 0xffff0000, v12
	s_delay_alu instid0(VALU_DEP_1) | instskip(SKIP_2) | instid1(VALU_DEP_3)
	v_bfe_u32 v16, v15, 16, 1
	v_or_b32_e32 v17, 0x400000, v15
	v_cmp_u_f32_e32 vcc_lo, v15, v15
	v_add3_u32 v16, v16, v15, 0x7fff
	s_wait_alu 0xfffd
	s_delay_alu instid0(VALU_DEP_1) | instskip(SKIP_2) | instid1(VALU_DEP_1)
	v_cndmask_b32_e32 v15, v16, v17, vcc_lo
	scratch_load_b32 v16, off, off offset:164 th:TH_LOAD_LU ; 4-byte Folded Reload
	v_and_b32_e32 v9, 0xffff0000, v15
	v_add_f32_e32 v9, v9, v10
	s_delay_alu instid0(VALU_DEP_1) | instskip(SKIP_2) | instid1(VALU_DEP_1)
	v_add_f32_e32 v0, v9, v0
	s_wait_loadcnt 0x0
	v_lshlrev_b32_e32 v16, 16, v16
	v_mul_f32_e32 v16, v1, v16
	s_delay_alu instid0(VALU_DEP_1) | instskip(SKIP_2) | instid1(VALU_DEP_3)
	v_bfe_u32 v17, v16, 16, 1
	v_or_b32_e32 v18, 0x400000, v16
	v_cmp_u_f32_e32 vcc_lo, v16, v16
	v_add3_u32 v17, v17, v16, 0x7fff
	s_wait_alu 0xfffd
	s_delay_alu instid0(VALU_DEP_1) | instskip(SKIP_4) | instid1(VALU_DEP_1)
	v_cndmask_b32_e32 v16, v17, v18, vcc_lo
	scratch_load_b32 v17, off, off offset:160 th:TH_LOAD_LU ; 4-byte Folded Reload
	v_and_b32_e32 v10, 0xffff0000, v16
	s_wait_loadcnt 0x0
	v_lshlrev_b32_e32 v17, 16, v17
	v_mul_f32_e32 v17, v3, v17
	s_delay_alu instid0(VALU_DEP_1) | instskip(SKIP_2) | instid1(VALU_DEP_3)
	v_bfe_u32 v18, v17, 16, 1
	v_or_b32_e32 v43, 0x400000, v17
	v_cmp_u_f32_e32 vcc_lo, v17, v17
	v_add3_u32 v18, v18, v17, 0x7fff
	s_wait_alu 0xfffd
	s_delay_alu instid0(VALU_DEP_1) | instskip(NEXT) | instid1(VALU_DEP_1)
	v_cndmask_b32_e32 v17, v18, v43, vcc_lo
	v_and_b32_e32 v9, 0xffff0000, v17
	s_delay_alu instid0(VALU_DEP_1) | instskip(NEXT) | instid1(VALU_DEP_1)
	v_add_f32_e32 v9, v9, v10
	v_add_f32_e32 v0, v9, v0
	s_delay_alu instid0(VALU_DEP_1) | instskip(SKIP_3) | instid1(VALU_DEP_1)
	v_add_f32_e32 v37, v37, v0
	scratch_load_b32 v0, off, off offset:156 th:TH_LOAD_LU ; 4-byte Folded Reload
	s_wait_loadcnt 0x0
	v_lshlrev_b32_e32 v0, 16, v0
	v_mul_f32_e32 v0, v7, v0
	s_delay_alu instid0(VALU_DEP_1) | instskip(SKIP_2) | instid1(VALU_DEP_3)
	v_bfe_u32 v9, v0, 16, 1
	v_or_b32_e32 v10, 0x400000, v0
	v_cmp_u_f32_e32 vcc_lo, v0, v0
	v_add3_u32 v9, v9, v0, 0x7fff
	s_wait_alu 0xfffd
	s_delay_alu instid0(VALU_DEP_1) | instskip(SKIP_4) | instid1(VALU_DEP_1)
	v_cndmask_b32_e32 v0, v9, v10, vcc_lo
	scratch_load_b32 v9, off, off offset:152 th:TH_LOAD_LU ; 4-byte Folded Reload
	v_and_b32_e32 v0, 0xffff0000, v0
	s_wait_loadcnt 0x0
	v_lshlrev_b32_e32 v9, 16, v9
	v_mul_f32_e32 v9, v8, v9
	s_delay_alu instid0(VALU_DEP_1) | instskip(SKIP_2) | instid1(VALU_DEP_3)
	v_bfe_u32 v10, v9, 16, 1
	v_or_b32_e32 v11, 0x400000, v9
	v_cmp_u_f32_e32 vcc_lo, v9, v9
	v_add3_u32 v10, v10, v9, 0x7fff
	s_wait_alu 0xfffd
	s_delay_alu instid0(VALU_DEP_1) | instskip(SKIP_2) | instid1(VALU_DEP_1)
	v_cndmask_b32_e32 v9, v10, v11, vcc_lo
	scratch_load_b32 v10, off, off offset:148 th:TH_LOAD_LU ; 4-byte Folded Reload
	v_and_b32_e32 v9, 0xffff0000, v9
	v_add_f32_e32 v0, v9, v0
	s_wait_loadcnt 0x0
	v_lshlrev_b32_e32 v10, 16, v10
	s_delay_alu instid0(VALU_DEP_1) | instskip(NEXT) | instid1(VALU_DEP_1)
	v_mul_f32_e32 v10, v4, v10
	v_bfe_u32 v11, v10, 16, 1
	v_or_b32_e32 v12, 0x400000, v10
	v_cmp_u_f32_e32 vcc_lo, v10, v10
	s_delay_alu instid0(VALU_DEP_3) | instskip(SKIP_1) | instid1(VALU_DEP_1)
	v_add3_u32 v11, v11, v10, 0x7fff
	s_wait_alu 0xfffd
	v_cndmask_b32_e32 v10, v11, v12, vcc_lo
	scratch_load_b32 v11, off, off offset:144 th:TH_LOAD_LU ; 4-byte Folded Reload
	v_and_b32_e32 v10, 0xffff0000, v10
	s_wait_loadcnt 0x0
	v_lshlrev_b32_e32 v11, 16, v11
	s_delay_alu instid0(VALU_DEP_1) | instskip(NEXT) | instid1(VALU_DEP_1)
	v_mul_f32_e32 v11, v6, v11
	v_bfe_u32 v12, v11, 16, 1
	v_or_b32_e32 v15, 0x400000, v11
	v_cmp_u_f32_e32 vcc_lo, v11, v11
	s_delay_alu instid0(VALU_DEP_3) | instskip(SKIP_1) | instid1(VALU_DEP_1)
	v_add3_u32 v12, v12, v11, 0x7fff
	s_wait_alu 0xfffd
	v_cndmask_b32_e32 v11, v12, v15, vcc_lo
	scratch_load_b32 v12, off, off offset:140 th:TH_LOAD_LU ; 4-byte Folded Reload
	v_and_b32_e32 v9, 0xffff0000, v11
	s_delay_alu instid0(VALU_DEP_1) | instskip(NEXT) | instid1(VALU_DEP_1)
	v_add_f32_e32 v9, v9, v10
	v_add_f32_e32 v0, v9, v0
	s_wait_loadcnt 0x0
	v_lshlrev_b32_e32 v12, 16, v12
	s_delay_alu instid0(VALU_DEP_1) | instskip(NEXT) | instid1(VALU_DEP_1)
	v_mul_f32_e32 v12, v2, v12
	v_bfe_u32 v15, v12, 16, 1
	v_or_b32_e32 v16, 0x400000, v12
	v_cmp_u_f32_e32 vcc_lo, v12, v12
	s_delay_alu instid0(VALU_DEP_3) | instskip(SKIP_1) | instid1(VALU_DEP_1)
	v_add3_u32 v15, v15, v12, 0x7fff
	s_wait_alu 0xfffd
	v_cndmask_b32_e32 v12, v15, v16, vcc_lo
	scratch_load_b32 v15, off, off offset:136 th:TH_LOAD_LU ; 4-byte Folded Reload
	v_and_b32_e32 v10, 0xffff0000, v12
	s_wait_loadcnt 0x0
	v_lshlrev_b32_e32 v15, 16, v15
	s_delay_alu instid0(VALU_DEP_1) | instskip(NEXT) | instid1(VALU_DEP_1)
	v_mul_f32_e32 v15, v5, v15
	v_bfe_u32 v16, v15, 16, 1
	v_or_b32_e32 v17, 0x400000, v15
	v_cmp_u_f32_e32 vcc_lo, v15, v15
	s_delay_alu instid0(VALU_DEP_3) | instskip(SKIP_1) | instid1(VALU_DEP_1)
	v_add3_u32 v16, v16, v15, 0x7fff
	s_wait_alu 0xfffd
	v_cndmask_b32_e32 v15, v16, v17, vcc_lo
	scratch_load_b32 v16, off, off offset:132 th:TH_LOAD_LU ; 4-byte Folded Reload
	v_and_b32_e32 v9, 0xffff0000, v15
	s_delay_alu instid0(VALU_DEP_1) | instskip(NEXT) | instid1(VALU_DEP_1)
	v_add_f32_e32 v9, v9, v10
	v_add_f32_e32 v0, v9, v0
	s_wait_loadcnt 0x0
	v_lshlrev_b32_e32 v16, 16, v16
	s_delay_alu instid0(VALU_DEP_1) | instskip(NEXT) | instid1(VALU_DEP_1)
	v_mul_f32_e32 v16, v1, v16
	v_bfe_u32 v17, v16, 16, 1
	v_or_b32_e32 v18, 0x400000, v16
	v_cmp_u_f32_e32 vcc_lo, v16, v16
	s_delay_alu instid0(VALU_DEP_3) | instskip(SKIP_1) | instid1(VALU_DEP_1)
	v_add3_u32 v17, v17, v16, 0x7fff
	s_wait_alu 0xfffd
	v_cndmask_b32_e32 v16, v17, v18, vcc_lo
	scratch_load_b32 v17, off, off offset:128 th:TH_LOAD_LU ; 4-byte Folded Reload
	v_and_b32_e32 v10, 0xffff0000, v16
	s_wait_loadcnt 0x0
	v_lshlrev_b32_e32 v17, 16, v17
	s_delay_alu instid0(VALU_DEP_1) | instskip(NEXT) | instid1(VALU_DEP_1)
	v_mul_f32_e32 v17, v3, v17
	v_bfe_u32 v18, v17, 16, 1
	v_or_b32_e32 v43, 0x400000, v17
	v_cmp_u_f32_e32 vcc_lo, v17, v17
	s_delay_alu instid0(VALU_DEP_3) | instskip(SKIP_1) | instid1(VALU_DEP_1)
	v_add3_u32 v18, v18, v17, 0x7fff
	s_wait_alu 0xfffd
	v_cndmask_b32_e32 v17, v18, v43, vcc_lo
	s_delay_alu instid0(VALU_DEP_1) | instskip(NEXT) | instid1(VALU_DEP_1)
	v_and_b32_e32 v9, 0xffff0000, v17
	v_add_f32_e32 v9, v9, v10
	s_delay_alu instid0(VALU_DEP_1) | instskip(NEXT) | instid1(VALU_DEP_1)
	v_add_f32_e32 v0, v9, v0
	v_add_f32_e32 v38, v38, v0
	scratch_load_b32 v0, off, off offset:124 th:TH_LOAD_LU ; 4-byte Folded Reload
	s_wait_loadcnt 0x0
	v_lshlrev_b32_e32 v0, 16, v0
	s_delay_alu instid0(VALU_DEP_1) | instskip(NEXT) | instid1(VALU_DEP_1)
	v_mul_f32_e32 v0, v7, v0
	v_bfe_u32 v9, v0, 16, 1
	v_or_b32_e32 v10, 0x400000, v0
	v_cmp_u_f32_e32 vcc_lo, v0, v0
	s_delay_alu instid0(VALU_DEP_3) | instskip(SKIP_1) | instid1(VALU_DEP_1)
	v_add3_u32 v9, v9, v0, 0x7fff
	s_wait_alu 0xfffd
	v_cndmask_b32_e32 v0, v9, v10, vcc_lo
	scratch_load_b32 v9, off, off offset:120 th:TH_LOAD_LU ; 4-byte Folded Reload
	v_and_b32_e32 v0, 0xffff0000, v0
	s_wait_loadcnt 0x0
	v_lshlrev_b32_e32 v9, 16, v9
	s_delay_alu instid0(VALU_DEP_1) | instskip(NEXT) | instid1(VALU_DEP_1)
	v_mul_f32_e32 v9, v8, v9
	v_bfe_u32 v10, v9, 16, 1
	v_or_b32_e32 v11, 0x400000, v9
	v_cmp_u_f32_e32 vcc_lo, v9, v9
	s_delay_alu instid0(VALU_DEP_3) | instskip(SKIP_1) | instid1(VALU_DEP_1)
	v_add3_u32 v10, v10, v9, 0x7fff
	s_wait_alu 0xfffd
	v_cndmask_b32_e32 v9, v10, v11, vcc_lo
	scratch_load_b32 v10, off, off offset:116 th:TH_LOAD_LU ; 4-byte Folded Reload
	v_and_b32_e32 v9, 0xffff0000, v9
	s_delay_alu instid0(VALU_DEP_1) | instskip(SKIP_2) | instid1(VALU_DEP_1)
	v_add_f32_e32 v0, v9, v0
	s_wait_loadcnt 0x0
	v_lshlrev_b32_e32 v10, 16, v10
	v_mul_f32_e32 v10, v4, v10
	s_delay_alu instid0(VALU_DEP_1) | instskip(SKIP_2) | instid1(VALU_DEP_3)
	v_bfe_u32 v11, v10, 16, 1
	v_or_b32_e32 v12, 0x400000, v10
	v_cmp_u_f32_e32 vcc_lo, v10, v10
	v_add3_u32 v11, v11, v10, 0x7fff
	s_wait_alu 0xfffd
	s_delay_alu instid0(VALU_DEP_1) | instskip(SKIP_4) | instid1(VALU_DEP_1)
	v_cndmask_b32_e32 v10, v11, v12, vcc_lo
	scratch_load_b32 v11, off, off offset:112 th:TH_LOAD_LU ; 4-byte Folded Reload
	v_and_b32_e32 v10, 0xffff0000, v10
	s_wait_loadcnt 0x0
	v_lshlrev_b32_e32 v11, 16, v11
	v_mul_f32_e32 v11, v6, v11
	s_delay_alu instid0(VALU_DEP_1) | instskip(SKIP_2) | instid1(VALU_DEP_3)
	v_bfe_u32 v12, v11, 16, 1
	v_or_b32_e32 v15, 0x400000, v11
	v_cmp_u_f32_e32 vcc_lo, v11, v11
	v_add3_u32 v12, v12, v11, 0x7fff
	s_wait_alu 0xfffd
	s_delay_alu instid0(VALU_DEP_1) | instskip(SKIP_2) | instid1(VALU_DEP_1)
	v_cndmask_b32_e32 v11, v12, v15, vcc_lo
	scratch_load_b32 v12, off, off offset:108 th:TH_LOAD_LU ; 4-byte Folded Reload
	v_and_b32_e32 v9, 0xffff0000, v11
	v_add_f32_e32 v9, v9, v10
	s_delay_alu instid0(VALU_DEP_1) | instskip(SKIP_2) | instid1(VALU_DEP_1)
	v_add_f32_e32 v0, v9, v0
	s_wait_loadcnt 0x0
	v_lshlrev_b32_e32 v12, 16, v12
	v_mul_f32_e32 v12, v2, v12
	s_delay_alu instid0(VALU_DEP_1) | instskip(SKIP_2) | instid1(VALU_DEP_3)
	v_bfe_u32 v15, v12, 16, 1
	v_or_b32_e32 v16, 0x400000, v12
	v_cmp_u_f32_e32 vcc_lo, v12, v12
	v_add3_u32 v15, v15, v12, 0x7fff
	s_wait_alu 0xfffd
	s_delay_alu instid0(VALU_DEP_1) | instskip(SKIP_4) | instid1(VALU_DEP_1)
	v_cndmask_b32_e32 v12, v15, v16, vcc_lo
	scratch_load_b32 v15, off, off offset:104 th:TH_LOAD_LU ; 4-byte Folded Reload
	v_and_b32_e32 v10, 0xffff0000, v12
	s_wait_loadcnt 0x0
	v_lshlrev_b32_e32 v15, 16, v15
	v_mul_f32_e32 v15, v5, v15
	s_delay_alu instid0(VALU_DEP_1) | instskip(SKIP_2) | instid1(VALU_DEP_3)
	v_bfe_u32 v16, v15, 16, 1
	v_or_b32_e32 v17, 0x400000, v15
	v_cmp_u_f32_e32 vcc_lo, v15, v15
	v_add3_u32 v16, v16, v15, 0x7fff
	s_wait_alu 0xfffd
	s_delay_alu instid0(VALU_DEP_1) | instskip(SKIP_2) | instid1(VALU_DEP_1)
	v_cndmask_b32_e32 v15, v16, v17, vcc_lo
	scratch_load_b32 v16, off, off offset:100 th:TH_LOAD_LU ; 4-byte Folded Reload
	v_and_b32_e32 v9, 0xffff0000, v15
	v_add_f32_e32 v9, v9, v10
	s_delay_alu instid0(VALU_DEP_1) | instskip(SKIP_2) | instid1(VALU_DEP_1)
	v_add_f32_e32 v0, v9, v0
	s_wait_loadcnt 0x0
	v_lshlrev_b32_e32 v16, 16, v16
	v_mul_f32_e32 v16, v1, v16
	s_delay_alu instid0(VALU_DEP_1) | instskip(SKIP_2) | instid1(VALU_DEP_3)
	v_bfe_u32 v17, v16, 16, 1
	v_or_b32_e32 v18, 0x400000, v16
	v_cmp_u_f32_e32 vcc_lo, v16, v16
	v_add3_u32 v17, v17, v16, 0x7fff
	s_wait_alu 0xfffd
	s_delay_alu instid0(VALU_DEP_1) | instskip(SKIP_4) | instid1(VALU_DEP_1)
	v_cndmask_b32_e32 v16, v17, v18, vcc_lo
	scratch_load_b32 v17, off, off offset:96 th:TH_LOAD_LU ; 4-byte Folded Reload
	v_and_b32_e32 v10, 0xffff0000, v16
	s_wait_loadcnt 0x0
	v_lshlrev_b32_e32 v17, 16, v17
	v_mul_f32_e32 v17, v3, v17
	s_delay_alu instid0(VALU_DEP_1) | instskip(SKIP_2) | instid1(VALU_DEP_3)
	v_bfe_u32 v18, v17, 16, 1
	v_or_b32_e32 v43, 0x400000, v17
	v_cmp_u_f32_e32 vcc_lo, v17, v17
	v_add3_u32 v18, v18, v17, 0x7fff
	s_wait_alu 0xfffd
	s_delay_alu instid0(VALU_DEP_1) | instskip(NEXT) | instid1(VALU_DEP_1)
	v_cndmask_b32_e32 v17, v18, v43, vcc_lo
	v_and_b32_e32 v9, 0xffff0000, v17
	s_delay_alu instid0(VALU_DEP_1) | instskip(NEXT) | instid1(VALU_DEP_1)
	v_add_f32_e32 v9, v9, v10
	v_add_f32_e32 v0, v9, v0
	s_delay_alu instid0(VALU_DEP_1) | instskip(SKIP_3) | instid1(VALU_DEP_1)
	v_add_f32_e32 v39, v39, v0
	scratch_load_b32 v0, off, off offset:92 th:TH_LOAD_LU ; 4-byte Folded Reload
	s_wait_loadcnt 0x0
	v_lshlrev_b32_e32 v0, 16, v0
	v_mul_f32_e32 v0, v7, v0
	s_delay_alu instid0(VALU_DEP_1) | instskip(SKIP_2) | instid1(VALU_DEP_3)
	v_bfe_u32 v9, v0, 16, 1
	v_or_b32_e32 v10, 0x400000, v0
	v_cmp_u_f32_e32 vcc_lo, v0, v0
	v_add3_u32 v9, v9, v0, 0x7fff
	s_wait_alu 0xfffd
	s_delay_alu instid0(VALU_DEP_1) | instskip(SKIP_4) | instid1(VALU_DEP_1)
	v_cndmask_b32_e32 v0, v9, v10, vcc_lo
	scratch_load_b32 v9, off, off offset:88 th:TH_LOAD_LU ; 4-byte Folded Reload
	v_and_b32_e32 v0, 0xffff0000, v0
	s_wait_loadcnt 0x0
	v_lshlrev_b32_e32 v9, 16, v9
	v_mul_f32_e32 v9, v8, v9
	s_delay_alu instid0(VALU_DEP_1) | instskip(SKIP_2) | instid1(VALU_DEP_3)
	v_bfe_u32 v10, v9, 16, 1
	v_or_b32_e32 v11, 0x400000, v9
	v_cmp_u_f32_e32 vcc_lo, v9, v9
	v_add3_u32 v10, v10, v9, 0x7fff
	s_wait_alu 0xfffd
	s_delay_alu instid0(VALU_DEP_1) | instskip(SKIP_2) | instid1(VALU_DEP_1)
	v_cndmask_b32_e32 v9, v10, v11, vcc_lo
	scratch_load_b32 v10, off, off offset:84 th:TH_LOAD_LU ; 4-byte Folded Reload
	v_and_b32_e32 v9, 0xffff0000, v9
	v_add_f32_e32 v0, v9, v0
	s_wait_loadcnt 0x0
	v_lshlrev_b32_e32 v10, 16, v10
	s_delay_alu instid0(VALU_DEP_1) | instskip(NEXT) | instid1(VALU_DEP_1)
	v_mul_f32_e32 v10, v4, v10
	v_bfe_u32 v11, v10, 16, 1
	v_or_b32_e32 v12, 0x400000, v10
	v_cmp_u_f32_e32 vcc_lo, v10, v10
	s_delay_alu instid0(VALU_DEP_3) | instskip(SKIP_1) | instid1(VALU_DEP_1)
	v_add3_u32 v11, v11, v10, 0x7fff
	s_wait_alu 0xfffd
	v_cndmask_b32_e32 v10, v11, v12, vcc_lo
	scratch_load_b32 v11, off, off offset:80 th:TH_LOAD_LU ; 4-byte Folded Reload
	v_and_b32_e32 v10, 0xffff0000, v10
	s_wait_loadcnt 0x0
	v_lshlrev_b32_e32 v11, 16, v11
	s_delay_alu instid0(VALU_DEP_1) | instskip(NEXT) | instid1(VALU_DEP_1)
	v_mul_f32_e32 v11, v6, v11
	v_bfe_u32 v12, v11, 16, 1
	v_or_b32_e32 v15, 0x400000, v11
	v_cmp_u_f32_e32 vcc_lo, v11, v11
	s_delay_alu instid0(VALU_DEP_3) | instskip(SKIP_1) | instid1(VALU_DEP_1)
	v_add3_u32 v12, v12, v11, 0x7fff
	s_wait_alu 0xfffd
	v_cndmask_b32_e32 v11, v12, v15, vcc_lo
	scratch_load_b32 v12, off, off offset:76 th:TH_LOAD_LU ; 4-byte Folded Reload
	v_and_b32_e32 v9, 0xffff0000, v11
	s_delay_alu instid0(VALU_DEP_1) | instskip(NEXT) | instid1(VALU_DEP_1)
	v_add_f32_e32 v9, v9, v10
	v_add_f32_e32 v0, v9, v0
	s_wait_loadcnt 0x0
	v_lshlrev_b32_e32 v12, 16, v12
	s_delay_alu instid0(VALU_DEP_1) | instskip(NEXT) | instid1(VALU_DEP_1)
	v_mul_f32_e32 v12, v2, v12
	v_bfe_u32 v15, v12, 16, 1
	v_or_b32_e32 v16, 0x400000, v12
	v_cmp_u_f32_e32 vcc_lo, v12, v12
	s_delay_alu instid0(VALU_DEP_3) | instskip(SKIP_1) | instid1(VALU_DEP_1)
	v_add3_u32 v15, v15, v12, 0x7fff
	s_wait_alu 0xfffd
	v_cndmask_b32_e32 v12, v15, v16, vcc_lo
	scratch_load_b32 v15, off, off offset:72 th:TH_LOAD_LU ; 4-byte Folded Reload
	v_and_b32_e32 v10, 0xffff0000, v12
	s_wait_loadcnt 0x0
	v_lshlrev_b32_e32 v15, 16, v15
	s_delay_alu instid0(VALU_DEP_1) | instskip(NEXT) | instid1(VALU_DEP_1)
	v_mul_f32_e32 v15, v5, v15
	v_bfe_u32 v16, v15, 16, 1
	v_or_b32_e32 v17, 0x400000, v15
	v_cmp_u_f32_e32 vcc_lo, v15, v15
	s_delay_alu instid0(VALU_DEP_3) | instskip(SKIP_1) | instid1(VALU_DEP_1)
	v_add3_u32 v16, v16, v15, 0x7fff
	s_wait_alu 0xfffd
	v_cndmask_b32_e32 v15, v16, v17, vcc_lo
	scratch_load_b32 v16, off, off offset:68 th:TH_LOAD_LU ; 4-byte Folded Reload
	v_and_b32_e32 v9, 0xffff0000, v15
	s_delay_alu instid0(VALU_DEP_1) | instskip(NEXT) | instid1(VALU_DEP_1)
	v_add_f32_e32 v9, v9, v10
	v_add_f32_e32 v0, v9, v0
	s_wait_loadcnt 0x0
	v_lshlrev_b32_e32 v16, 16, v16
	s_delay_alu instid0(VALU_DEP_1) | instskip(NEXT) | instid1(VALU_DEP_1)
	v_mul_f32_e32 v16, v1, v16
	v_bfe_u32 v17, v16, 16, 1
	v_or_b32_e32 v18, 0x400000, v16
	v_cmp_u_f32_e32 vcc_lo, v16, v16
	s_delay_alu instid0(VALU_DEP_3) | instskip(SKIP_1) | instid1(VALU_DEP_1)
	v_add3_u32 v17, v17, v16, 0x7fff
	s_wait_alu 0xfffd
	v_cndmask_b32_e32 v16, v17, v18, vcc_lo
	scratch_load_b32 v17, off, off offset:64 th:TH_LOAD_LU ; 4-byte Folded Reload
	v_and_b32_e32 v10, 0xffff0000, v16
	s_wait_loadcnt 0x0
	v_lshlrev_b32_e32 v17, 16, v17
	s_delay_alu instid0(VALU_DEP_1) | instskip(NEXT) | instid1(VALU_DEP_1)
	v_mul_f32_e32 v17, v3, v17
	v_bfe_u32 v18, v17, 16, 1
	v_or_b32_e32 v43, 0x400000, v17
	v_cmp_u_f32_e32 vcc_lo, v17, v17
	s_delay_alu instid0(VALU_DEP_3) | instskip(SKIP_1) | instid1(VALU_DEP_1)
	v_add3_u32 v18, v18, v17, 0x7fff
	s_wait_alu 0xfffd
	v_cndmask_b32_e32 v17, v18, v43, vcc_lo
	s_delay_alu instid0(VALU_DEP_1) | instskip(NEXT) | instid1(VALU_DEP_1)
	v_and_b32_e32 v9, 0xffff0000, v17
	v_add_f32_e32 v9, v9, v10
	s_delay_alu instid0(VALU_DEP_1) | instskip(NEXT) | instid1(VALU_DEP_1)
	v_add_f32_e32 v0, v9, v0
	v_add_f32_e32 v40, v40, v0
	scratch_load_b32 v0, off, off offset:60 th:TH_LOAD_LU ; 4-byte Folded Reload
	s_wait_loadcnt 0x0
	v_lshlrev_b32_e32 v0, 16, v0
	s_delay_alu instid0(VALU_DEP_1) | instskip(NEXT) | instid1(VALU_DEP_1)
	v_mul_f32_e32 v0, v7, v0
	v_bfe_u32 v9, v0, 16, 1
	v_or_b32_e32 v10, 0x400000, v0
	v_cmp_u_f32_e32 vcc_lo, v0, v0
	s_delay_alu instid0(VALU_DEP_3) | instskip(SKIP_1) | instid1(VALU_DEP_1)
	v_add3_u32 v9, v9, v0, 0x7fff
	s_wait_alu 0xfffd
	v_cndmask_b32_e32 v0, v9, v10, vcc_lo
	scratch_load_b32 v9, off, off offset:56 th:TH_LOAD_LU ; 4-byte Folded Reload
	s_wait_loadcnt 0x0
	v_lshlrev_b32_e32 v9, 16, v9
	s_delay_alu instid0(VALU_DEP_1) | instskip(NEXT) | instid1(VALU_DEP_1)
	v_dual_mul_f32 v9, v8, v9 :: v_dual_and_b32 v0, 0xffff0000, v0
	v_bfe_u32 v10, v9, 16, 1
	v_or_b32_e32 v11, 0x400000, v9
	v_cmp_u_f32_e32 vcc_lo, v9, v9
	s_delay_alu instid0(VALU_DEP_3) | instskip(SKIP_1) | instid1(VALU_DEP_1)
	v_add3_u32 v10, v10, v9, 0x7fff
	s_wait_alu 0xfffd
	v_cndmask_b32_e32 v9, v10, v11, vcc_lo
	scratch_load_b32 v10, off, off offset:52 th:TH_LOAD_LU ; 4-byte Folded Reload
	s_wait_loadcnt 0x0
	v_lshlrev_b32_e32 v10, 16, v10
	s_delay_alu instid0(VALU_DEP_1) | instskip(NEXT) | instid1(VALU_DEP_1)
	v_mul_f32_e32 v10, v4, v10
	v_bfe_u32 v11, v10, 16, 1
	v_or_b32_e32 v12, 0x400000, v10
	v_cmp_u_f32_e32 vcc_lo, v10, v10
	s_delay_alu instid0(VALU_DEP_3) | instskip(SKIP_1) | instid1(VALU_DEP_1)
	v_add3_u32 v11, v11, v10, 0x7fff
	s_wait_alu 0xfffd
	v_cndmask_b32_e32 v10, v11, v12, vcc_lo
	scratch_load_b32 v11, off, off offset:48 th:TH_LOAD_LU ; 4-byte Folded Reload
	v_and_b32_e32 v10, 0xffff0000, v10
	s_wait_loadcnt 0x0
	v_lshlrev_b32_e32 v11, 16, v11
	s_delay_alu instid0(VALU_DEP_1) | instskip(NEXT) | instid1(VALU_DEP_1)
	v_mul_f32_e32 v11, v6, v11
	v_bfe_u32 v12, v11, 16, 1
	v_or_b32_e32 v15, 0x400000, v11
	v_cmp_u_f32_e32 vcc_lo, v11, v11
	s_delay_alu instid0(VALU_DEP_3) | instskip(SKIP_1) | instid1(VALU_DEP_1)
	v_add3_u32 v12, v12, v11, 0x7fff
	s_wait_alu 0xfffd
	v_cndmask_b32_e32 v11, v12, v15, vcc_lo
	scratch_load_b32 v12, off, off offset:44 th:TH_LOAD_LU ; 4-byte Folded Reload
	s_wait_loadcnt 0x0
	v_lshlrev_b32_e32 v12, 16, v12
	s_delay_alu instid0(VALU_DEP_1) | instskip(NEXT) | instid1(VALU_DEP_1)
	v_mul_f32_e32 v12, v2, v12
	v_bfe_u32 v15, v12, 16, 1
	v_or_b32_e32 v16, 0x400000, v12
	v_cmp_u_f32_e32 vcc_lo, v12, v12
	s_delay_alu instid0(VALU_DEP_3) | instskip(SKIP_1) | instid1(VALU_DEP_1)
	v_add3_u32 v15, v15, v12, 0x7fff
	s_wait_alu 0xfffd
	v_cndmask_b32_e32 v12, v15, v16, vcc_lo
	scratch_load_b32 v15, off, off offset:40 th:TH_LOAD_LU ; 4-byte Folded Reload
	s_wait_loadcnt 0x0
	v_lshlrev_b32_e32 v15, 16, v15
	s_delay_alu instid0(VALU_DEP_1) | instskip(NEXT) | instid1(VALU_DEP_1)
	v_mul_f32_e32 v15, v5, v15
	v_bfe_u32 v16, v15, 16, 1
	v_or_b32_e32 v17, 0x400000, v15
	v_cmp_u_f32_e32 vcc_lo, v15, v15
	s_delay_alu instid0(VALU_DEP_3) | instskip(SKIP_1) | instid1(VALU_DEP_1)
	v_add3_u32 v16, v16, v15, 0x7fff
	s_wait_alu 0xfffd
	v_cndmask_b32_e32 v15, v16, v17, vcc_lo
	scratch_load_b32 v16, off, off offset:36 th:TH_LOAD_LU ; 4-byte Folded Reload
	s_wait_loadcnt 0x0
	v_lshlrev_b32_e32 v16, 16, v16
	s_delay_alu instid0(VALU_DEP_1) | instskip(NEXT) | instid1(VALU_DEP_1)
	v_dual_mul_f32 v16, v1, v16 :: v_dual_and_b32 v9, 0xffff0000, v9
	v_bfe_u32 v17, v16, 16, 1
	v_or_b32_e32 v18, 0x400000, v16
	v_cmp_u_f32_e32 vcc_lo, v16, v16
	s_delay_alu instid0(VALU_DEP_4) | instskip(NEXT) | instid1(VALU_DEP_4)
	v_dual_add_f32 v0, v9, v0 :: v_dual_and_b32 v9, 0xffff0000, v11
	v_add3_u32 v17, v17, v16, 0x7fff
	s_delay_alu instid0(VALU_DEP_2) | instskip(SKIP_1) | instid1(VALU_DEP_2)
	v_add_f32_e32 v9, v9, v10
	s_wait_alu 0xfffd
	v_cndmask_b32_e32 v16, v17, v18, vcc_lo
	scratch_load_b32 v17, off, off offset:32 th:TH_LOAD_LU ; 4-byte Folded Reload
	v_and_b32_e32 v10, 0xffff0000, v12
	v_dual_add_f32 v0, v9, v0 :: v_dual_and_b32 v9, 0xffff0000, v15
	s_delay_alu instid0(VALU_DEP_1) | instskip(SKIP_1) | instid1(VALU_DEP_1)
	v_dual_add_f32 v9, v9, v10 :: v_dual_and_b32 v10, 0xffff0000, v16
	s_wait_loadcnt 0x0
	v_dual_add_f32 v0, v9, v0 :: v_dual_lshlrev_b32 v17, 16, v17
	s_delay_alu instid0(VALU_DEP_1) | instskip(NEXT) | instid1(VALU_DEP_1)
	v_mul_f32_e32 v17, v3, v17
	v_bfe_u32 v18, v17, 16, 1
	v_or_b32_e32 v43, 0x400000, v17
	v_cmp_u_f32_e32 vcc_lo, v17, v17
	s_delay_alu instid0(VALU_DEP_3) | instskip(SKIP_1) | instid1(VALU_DEP_1)
	v_add3_u32 v18, v18, v17, 0x7fff
	s_wait_alu 0xfffd
	v_cndmask_b32_e32 v17, v18, v43, vcc_lo
	s_delay_alu instid0(VALU_DEP_1) | instskip(NEXT) | instid1(VALU_DEP_1)
	v_and_b32_e32 v9, 0xffff0000, v17
	v_add_f32_e32 v9, v9, v10
	s_delay_alu instid0(VALU_DEP_1) | instskip(NEXT) | instid1(VALU_DEP_1)
	v_add_f32_e32 v0, v9, v0
	v_add_f32_e32 v42, v42, v0
	scratch_load_b32 v0, off, off offset:28 th:TH_LOAD_LU ; 4-byte Folded Reload
	s_wait_loadcnt 0x0
	v_lshlrev_b32_e32 v0, 16, v0
	s_delay_alu instid0(VALU_DEP_1) | instskip(NEXT) | instid1(VALU_DEP_1)
	v_mul_f32_e32 v0, v7, v0
	v_bfe_u32 v9, v0, 16, 1
	v_or_b32_e32 v10, 0x400000, v0
	v_cmp_u_f32_e32 vcc_lo, v0, v0
	s_delay_alu instid0(VALU_DEP_3) | instskip(SKIP_1) | instid1(VALU_DEP_1)
	v_add3_u32 v9, v9, v0, 0x7fff
	s_wait_alu 0xfffd
	v_cndmask_b32_e32 v0, v9, v10, vcc_lo
	scratch_load_b32 v9, off, off offset:24 th:TH_LOAD_LU ; 4-byte Folded Reload
	s_wait_loadcnt 0x0
	v_lshlrev_b32_e32 v9, 16, v9
	s_delay_alu instid0(VALU_DEP_1) | instskip(NEXT) | instid1(VALU_DEP_1)
	v_dual_mul_f32 v9, v8, v9 :: v_dual_and_b32 v0, 0xffff0000, v0
	v_bfe_u32 v10, v9, 16, 1
	v_or_b32_e32 v11, 0x400000, v9
	v_cmp_u_f32_e32 vcc_lo, v9, v9
	s_delay_alu instid0(VALU_DEP_3) | instskip(SKIP_1) | instid1(VALU_DEP_1)
	v_add3_u32 v10, v10, v9, 0x7fff
	s_wait_alu 0xfffd
	v_cndmask_b32_e32 v9, v10, v11, vcc_lo
	scratch_load_b32 v10, off, off offset:20 th:TH_LOAD_LU ; 4-byte Folded Reload
	s_wait_loadcnt 0x0
	v_lshlrev_b32_e32 v10, 16, v10
	s_delay_alu instid0(VALU_DEP_1) | instskip(NEXT) | instid1(VALU_DEP_1)
	v_mul_f32_e32 v10, v4, v10
	v_bfe_u32 v11, v10, 16, 1
	v_or_b32_e32 v12, 0x400000, v10
	v_cmp_u_f32_e32 vcc_lo, v10, v10
	s_delay_alu instid0(VALU_DEP_3) | instskip(SKIP_1) | instid1(VALU_DEP_1)
	v_add3_u32 v11, v11, v10, 0x7fff
	s_wait_alu 0xfffd
	v_cndmask_b32_e32 v10, v11, v12, vcc_lo
	scratch_load_b32 v11, off, off offset:16 th:TH_LOAD_LU ; 4-byte Folded Reload
	v_and_b32_e32 v10, 0xffff0000, v10
	s_wait_loadcnt 0x0
	v_lshlrev_b32_e32 v11, 16, v11
	s_delay_alu instid0(VALU_DEP_1) | instskip(NEXT) | instid1(VALU_DEP_1)
	v_mul_f32_e32 v11, v6, v11
	v_bfe_u32 v12, v11, 16, 1
	v_or_b32_e32 v15, 0x400000, v11
	v_cmp_u_f32_e32 vcc_lo, v11, v11
	s_delay_alu instid0(VALU_DEP_3) | instskip(SKIP_1) | instid1(VALU_DEP_1)
	v_add3_u32 v12, v12, v11, 0x7fff
	s_wait_alu 0xfffd
	v_cndmask_b32_e32 v11, v12, v15, vcc_lo
	scratch_load_b32 v12, off, off offset:12 th:TH_LOAD_LU ; 4-byte Folded Reload
	s_wait_loadcnt 0x0
	v_lshlrev_b32_e32 v12, 16, v12
	s_delay_alu instid0(VALU_DEP_1) | instskip(NEXT) | instid1(VALU_DEP_1)
	v_mul_f32_e32 v12, v2, v12
	v_bfe_u32 v15, v12, 16, 1
	v_or_b32_e32 v16, 0x400000, v12
	v_cmp_u_f32_e32 vcc_lo, v12, v12
	s_delay_alu instid0(VALU_DEP_3) | instskip(SKIP_1) | instid1(VALU_DEP_1)
	v_add3_u32 v15, v15, v12, 0x7fff
	s_wait_alu 0xfffd
	v_cndmask_b32_e32 v12, v15, v16, vcc_lo
	scratch_load_b32 v15, off, off offset:8 th:TH_LOAD_LU ; 4-byte Folded Reload
	v_and_b32_e32 v9, 0xffff0000, v9
	s_wait_loadcnt 0x0
	s_delay_alu instid0(VALU_DEP_1) | instskip(NEXT) | instid1(VALU_DEP_1)
	v_dual_add_f32 v0, v9, v0 :: v_dual_lshlrev_b32 v15, 16, v15
	v_mul_f32_e32 v15, v5, v15
	s_delay_alu instid0(VALU_DEP_1) | instskip(SKIP_2) | instid1(VALU_DEP_3)
	v_bfe_u32 v16, v15, 16, 1
	v_or_b32_e32 v17, 0x400000, v15
	v_cmp_u_f32_e32 vcc_lo, v15, v15
	v_add3_u32 v16, v16, v15, 0x7fff
	s_wait_alu 0xfffd
	s_delay_alu instid0(VALU_DEP_1) | instskip(SKIP_3) | instid1(VALU_DEP_1)
	v_cndmask_b32_e32 v15, v16, v17, vcc_lo
	scratch_load_b32 v16, off, off offset:4 th:TH_LOAD_LU ; 4-byte Folded Reload
	s_wait_loadcnt 0x0
	v_lshlrev_b32_e32 v16, 16, v16
	v_mul_f32_e32 v16, v1, v16
	s_delay_alu instid0(VALU_DEP_1) | instskip(SKIP_2) | instid1(VALU_DEP_3)
	v_bfe_u32 v17, v16, 16, 1
	v_or_b32_e32 v18, 0x400000, v16
	v_cmp_u_f32_e32 vcc_lo, v16, v16
	v_add3_u32 v17, v17, v16, 0x7fff
	s_wait_alu 0xfffd
	s_delay_alu instid0(VALU_DEP_1) | instskip(SKIP_2) | instid1(VALU_DEP_1)
	v_cndmask_b32_e32 v16, v17, v18, vcc_lo
	scratch_load_b32 v17, off, off th:TH_LOAD_LU ; 4-byte Folded Reload
	v_and_b32_e32 v9, 0xffff0000, v11
	v_dual_add_f32 v9, v9, v10 :: v_dual_and_b32 v10, 0xffff0000, v12
	s_delay_alu instid0(VALU_DEP_1) | instskip(NEXT) | instid1(VALU_DEP_1)
	v_dual_add_f32 v0, v9, v0 :: v_dual_and_b32 v9, 0xffff0000, v15
	v_dual_add_f32 v9, v9, v10 :: v_dual_and_b32 v10, 0xffff0000, v16
	s_wait_loadcnt 0x0
	s_delay_alu instid0(VALU_DEP_1) | instskip(NEXT) | instid1(VALU_DEP_1)
	v_dual_add_f32 v0, v9, v0 :: v_dual_lshlrev_b32 v17, 16, v17
	v_mul_f32_e32 v17, v3, v17
	s_delay_alu instid0(VALU_DEP_1) | instskip(SKIP_2) | instid1(VALU_DEP_3)
	v_bfe_u32 v18, v17, 16, 1
	v_or_b32_e32 v43, 0x400000, v17
	v_cmp_u_f32_e32 vcc_lo, v17, v17
	v_add3_u32 v18, v18, v17, 0x7fff
	s_wait_alu 0xfffd
	s_delay_alu instid0(VALU_DEP_1) | instskip(NEXT) | instid1(VALU_DEP_1)
	v_cndmask_b32_e32 v17, v18, v43, vcc_lo
	v_and_b32_e32 v9, 0xffff0000, v17
	scratch_load_b64 v[17:18], off, off offset:168 th:TH_LOAD_LU ; 8-byte Folded Reload
	v_add_f32_e32 v9, v9, v10
	s_delay_alu instid0(VALU_DEP_1) | instskip(NEXT) | instid1(VALU_DEP_1)
	v_add_f32_e32 v0, v9, v0
	v_add_f32_e32 v41, v41, v0
	v_lshlrev_b32_e32 v0, 16, v172
	s_delay_alu instid0(VALU_DEP_1) | instskip(NEXT) | instid1(VALU_DEP_1)
	v_mul_f32_e32 v0, v8, v0
	v_bfe_u32 v8, v0, 16, 1
	v_or_b32_e32 v9, 0x400000, v0
	v_cmp_u_f32_e32 vcc_lo, v0, v0
	s_delay_alu instid0(VALU_DEP_3) | instskip(SKIP_1) | instid1(VALU_DEP_1)
	v_add3_u32 v8, v8, v0, 0x7fff
	s_wait_alu 0xfffd
	v_cndmask_b32_e32 v0, v8, v9, vcc_lo
	v_lshlrev_b32_e32 v8, 16, v171
	s_delay_alu instid0(VALU_DEP_2) | instskip(NEXT) | instid1(VALU_DEP_2)
	v_and_b32_e32 v0, 0xffff0000, v0
	v_mul_f32_e32 v7, v7, v8
	s_delay_alu instid0(VALU_DEP_1) | instskip(SKIP_2) | instid1(VALU_DEP_3)
	v_bfe_u32 v8, v7, 16, 1
	v_or_b32_e32 v9, 0x400000, v7
	v_cmp_u_f32_e32 vcc_lo, v7, v7
	v_add3_u32 v8, v8, v7, 0x7fff
	s_wait_alu 0xfffd
	s_delay_alu instid0(VALU_DEP_1) | instskip(NEXT) | instid1(VALU_DEP_1)
	v_dual_cndmask_b32 v7, v8, v9 :: v_dual_lshlrev_b32 v8, 16, v170
	v_mul_f32_e32 v6, v6, v8
	s_delay_alu instid0(VALU_DEP_1) | instskip(SKIP_2) | instid1(VALU_DEP_3)
	v_bfe_u32 v8, v6, 16, 1
	v_or_b32_e32 v9, 0x400000, v6
	v_cmp_u_f32_e32 vcc_lo, v6, v6
	v_add3_u32 v8, v8, v6, 0x7fff
	s_wait_alu 0xfffd
	s_delay_alu instid0(VALU_DEP_1) | instskip(SKIP_1) | instid1(VALU_DEP_1)
	v_cndmask_b32_e32 v6, v8, v9, vcc_lo
	v_lshlrev_b32_e32 v8, 16, v169
	v_mul_f32_e32 v4, v4, v8
	s_delay_alu instid0(VALU_DEP_1) | instskip(SKIP_2) | instid1(VALU_DEP_3)
	v_bfe_u32 v8, v4, 16, 1
	v_or_b32_e32 v9, 0x400000, v4
	v_cmp_u_f32_e32 vcc_lo, v4, v4
	v_add3_u32 v8, v8, v4, 0x7fff
	s_wait_alu 0xfffd
	s_delay_alu instid0(VALU_DEP_1) | instskip(SKIP_1) | instid1(VALU_DEP_1)
	v_cndmask_b32_e32 v4, v8, v9, vcc_lo
	v_lshlrev_b32_e32 v8, 16, v168
	v_dual_mul_f32 v5, v5, v8 :: v_dual_and_b32 v6, 0xffff0000, v6
	s_delay_alu instid0(VALU_DEP_1) | instskip(SKIP_2) | instid1(VALU_DEP_3)
	v_bfe_u32 v8, v5, 16, 1
	v_or_b32_e32 v9, 0x400000, v5
	v_cmp_u_f32_e32 vcc_lo, v5, v5
	v_add3_u32 v8, v8, v5, 0x7fff
	s_wait_alu 0xfffd
	s_delay_alu instid0(VALU_DEP_1) | instskip(NEXT) | instid1(VALU_DEP_1)
	v_dual_cndmask_b32 v5, v8, v9 :: v_dual_lshlrev_b32 v8, 16, v14
	v_mul_f32_e32 v2, v2, v8
	s_delay_alu instid0(VALU_DEP_1) | instskip(SKIP_2) | instid1(VALU_DEP_3)
	v_bfe_u32 v8, v2, 16, 1
	v_or_b32_e32 v9, 0x400000, v2
	v_cmp_u_f32_e32 vcc_lo, v2, v2
	v_add3_u32 v8, v8, v2, 0x7fff
	s_wait_alu 0xfffd
	s_delay_alu instid0(VALU_DEP_1) | instskip(SKIP_1) | instid1(VALU_DEP_1)
	v_cndmask_b32_e32 v2, v8, v9, vcc_lo
	v_lshlrev_b32_e32 v8, 16, v13
	v_mul_f32_e32 v3, v3, v8
	v_and_b32_e32 v4, 0xffff0000, v4
	v_and_b32_e32 v7, 0xffff0000, v7
	s_delay_alu instid0(VALU_DEP_3) | instskip(SKIP_3) | instid1(VALU_DEP_4)
	v_bfe_u32 v8, v3, 16, 1
	v_or_b32_e32 v9, 0x400000, v3
	v_cmp_u_f32_e32 vcc_lo, v3, v3
	v_add_f32_e32 v4, v6, v4
	v_add3_u32 v8, v8, v3, 0x7fff
	s_wait_alu 0xfffd
	s_delay_alu instid0(VALU_DEP_1) | instskip(SKIP_1) | instid1(VALU_DEP_1)
	v_cndmask_b32_e32 v3, v8, v9, vcc_lo
	v_lshlrev_b32_e32 v8, 16, v173
	v_dual_mul_f32 v1, v1, v8 :: v_dual_and_b32 v2, 0xffff0000, v2
	s_delay_alu instid0(VALU_DEP_1) | instskip(SKIP_2) | instid1(VALU_DEP_3)
	v_bfe_u32 v8, v1, 16, 1
	v_or_b32_e32 v9, 0x400000, v1
	v_cmp_u_f32_e32 vcc_lo, v1, v1
	v_add3_u32 v8, v8, v1, 0x7fff
	s_wait_alu 0xfffd
	s_delay_alu instid0(VALU_DEP_1) | instskip(NEXT) | instid1(VALU_DEP_1)
	v_cndmask_b32_e32 v1, v8, v9, vcc_lo
	v_dual_add_f32 v0, v0, v7 :: v_dual_and_b32 v1, 0xffff0000, v1
	s_delay_alu instid0(VALU_DEP_1) | instskip(SKIP_2) | instid1(VALU_DEP_1)
	v_add_f32_e32 v0, v4, v0
	v_and_b32_e32 v4, 0xffff0000, v5
	s_wait_loadcnt 0x0
	v_dual_add_f32 v2, v4, v2 :: v_dual_add_nc_u32 v17, 4, v17
	s_delay_alu instid0(VALU_DEP_1) | instskip(SKIP_1) | instid1(VALU_DEP_3)
	v_add_f32_e32 v0, v2, v0
	v_and_b32_e32 v2, 0xffff0000, v3
	v_cmp_le_i32_e32 vcc_lo, s17, v17
	s_delay_alu instid0(VALU_DEP_2) | instskip(SKIP_1) | instid1(VALU_DEP_1)
	v_add_f32_e32 v1, v2, v1
	s_or_b32 s9, vcc_lo, s9
	v_add_f32_e32 v0, v1, v0
	s_delay_alu instid0(VALU_DEP_1)
	v_add_f32_e32 v19, v19, v0
	s_wait_alu 0xfffe
	s_and_not1_b32 exec_lo, exec_lo, s9
	s_cbranch_execz .LBB365_77
.LBB365_29:                             ; =>This Inner Loop Header: Depth=1
	v_ashrrev_i32_e32 v18, 31, v17
	s_delay_alu instid0(VALU_DEP_1) | instskip(SKIP_1) | instid1(VALU_DEP_1)
	v_lshlrev_b64_e32 v[0:1], 2, v[17:18]
	s_wait_alu 0xfffe
	v_add_co_u32 v0, vcc_lo, s2, v0
	s_wait_alu 0xfffd
	s_delay_alu instid0(VALU_DEP_2)
	v_add_co_ci_u32_e64 v1, null, s3, v1, vcc_lo
	v_cmp_eq_u32_e32 vcc_lo, s10, v17
	global_load_b32 v0, v[0:1], off
	scratch_load_b64 v[1:2], off, off offset:180 ; 8-byte Folded Reload
	s_wait_loadcnt 0x0
	v_mad_co_i64_i32 v[13:14], null, v0, s7, v[1:2]
	global_load_b64 v[9:10], v[13:14], off
	scratch_load_b32 v0, off, off offset:176 ; 4-byte Folded Reload
	s_wait_loadcnt 0x1
	v_bfe_u32 v11, v9, 8, 8
	s_wait_loadcnt 0x0
	v_lshl_or_b32 v136, v17, 5, v0
	v_dual_mov_b32 v0, v17 :: v_dual_and_b32 v15, 0xff, v10
	v_bfe_u32 v12, v9, 16, 8
	v_cvt_f32_fp8_e32 v11, v11
	v_bfe_u32 v16, v10, 8, 8
	scratch_store_b64 off, v[0:1], off offset:168 ; 8-byte Folded Spill
	v_lshl_add_u32 v0, v136, 2, s8
	v_cvt_f32_fp8_e32 v12, v12
	v_cvt_f32_fp8_e32 v15, v15
	ds_load_2addr_b64 v[5:8], v0 offset1:1
	ds_load_2addr_b64 v[1:4], v0 offset0:2 offset1:3
	v_dual_mul_f32 v11, s6, v11 :: v_dual_and_b32 v0, 0xff, v9
	v_lshrrev_b32_e32 v9, 24, v9
	v_dual_mul_f32 v12, s6, v12 :: v_dual_mul_f32 v15, s6, v15
	s_delay_alu instid0(VALU_DEP_3) | instskip(NEXT) | instid1(VALU_DEP_4)
	v_cvt_f32_fp8_e32 v0, v0
	v_bfe_u32 v44, v11, 16, 1
	s_delay_alu instid0(VALU_DEP_4)
	v_cvt_f32_fp8_e32 v9, v9
	v_or_b32_e32 v45, 0x400000, v11
	v_bfe_u32 v46, v12, 16, 1
	v_mul_f32_e32 v0, s6, v0
	v_add3_u32 v44, v44, v11, 0x7fff
	v_mul_f32_e32 v9, s6, v9
	v_bfe_u32 v17, v10, 16, 8
	v_cvt_f32_fp8_e32 v16, v16
	v_bfe_u32 v18, v0, 16, 1
	v_or_b32_e32 v43, 0x400000, v0
	v_cmp_u_f32_e64 s0, v0, v0
	v_or_b32_e32 v47, 0x400000, v12
	v_bfe_u32 v48, v9, 16, 1
	v_add3_u32 v18, v18, v0, 0x7fff
	v_add3_u32 v46, v46, v12, 0x7fff
	v_lshrrev_b32_e32 v10, 24, v10
	v_cvt_f32_fp8_e32 v17, v17
	v_mul_f32_e32 v16, s6, v16
	s_wait_alu 0xf1ff
	v_cndmask_b32_e64 v0, v18, v43, s0
	v_cmp_u_f32_e64 s0, v11, v11
	v_or_b32_e32 v49, 0x400000, v9
	v_bfe_u32 v50, v15, 16, 1
	v_add3_u32 v48, v48, v9, 0x7fff
	v_lshrrev_b32_e32 v0, 16, v0
	s_wait_alu 0xf1ff
	v_cndmask_b32_e64 v11, v44, v45, s0
	v_cmp_u_f32_e64 s0, v12, v12
	v_cvt_f32_fp8_e32 v10, v10
	v_mul_f32_e32 v17, s6, v17
	scratch_store_b32 off, v0, off offset:24 ; 4-byte Folded Spill
	v_lshrrev_b32_e32 v0, 16, v11
	s_wait_alu 0xf1ff
	v_cndmask_b32_e64 v12, v46, v47, s0
	v_cmp_u_f32_e64 s0, v9, v9
	v_or_b32_e32 v51, 0x400000, v15
	v_bfe_u32 v52, v16, 16, 1
	v_add3_u32 v50, v50, v15, 0x7fff
	scratch_store_b32 off, v0, off offset:28 ; 4-byte Folded Spill
	s_wait_alu 0xf1ff
	v_cndmask_b32_e64 v9, v48, v49, s0
	v_cmp_u_f32_e64 s0, v15, v15
	v_lshrrev_b32_e32 v0, 16, v12
	v_mul_f32_e32 v10, s6, v10
	v_or_b32_e32 v53, 0x400000, v16
	v_bfe_u32 v54, v17, 16, 1
	v_add3_u32 v52, v52, v16, 0x7fff
	s_wait_alu 0xf1ff
	v_cndmask_b32_e64 v15, v50, v51, s0
	v_cmp_u_f32_e64 s0, v16, v16
	scratch_store_b32 off, v0, off offset:16 ; 4-byte Folded Spill
	v_lshrrev_b32_e32 v0, 16, v9
	v_or_b32_e32 v55, 0x400000, v17
	v_bfe_u32 v56, v10, 16, 1
	v_add3_u32 v54, v54, v17, 0x7fff
	s_wait_alu 0xf1ff
	v_cndmask_b32_e64 v16, v52, v53, s0
	v_cmp_u_f32_e64 s0, v17, v17
	scratch_store_b32 off, v0, off offset:20 ; 4-byte Folded Spill
	v_lshrrev_b32_e32 v0, 16, v15
	v_or_b32_e32 v57, 0x400000, v10
	v_add3_u32 v56, v56, v10, 0x7fff
	s_wait_alu 0xf1ff
	v_cndmask_b32_e64 v17, v54, v55, s0
	v_cmp_u_f32_e64 s0, v10, v10
	scratch_store_b32 off, v0, off offset:8 ; 4-byte Folded Spill
	v_lshrrev_b32_e32 v0, 16, v16
	v_or_b32_e32 v142, 1, v136
	v_or_b32_e32 v141, 2, v136
	s_wait_alu 0xf1ff
	v_cndmask_b32_e64 v10, v56, v57, s0
	v_or_b32_e32 v140, 3, v136
	scratch_store_b32 off, v0, off offset:12 ; 4-byte Folded Spill
	v_lshrrev_b32_e32 v0, 16, v17
	v_or_b32_e32 v139, 4, v136
	v_or_b32_e32 v138, 5, v136
	;; [unrolled: 1-line block ×4, first 2 shown]
	scratch_store_b32 off, v0, off          ; 4-byte Folded Spill
	v_lshrrev_b32_e32 v0, 16, v10
	scratch_store_b32 off, v0, off offset:4 ; 4-byte Folded Spill
	s_and_saveexec_b32 s11, vcc_lo
	s_cbranch_execz .LBB365_31
; %bb.30:                               ;   in Loop: Header=BB365_29 Depth=1
	scratch_load_b32 v0, off, off offset:24 ; 4-byte Folded Reload
	v_cmp_gt_i32_e64 s0, s27, v136
	s_wait_loadcnt 0x0
	s_wait_alu 0xf1ff
	s_delay_alu instid0(VALU_DEP_1)
	v_cndmask_b32_e64 v0, 0, v0, s0
	v_cmp_gt_i32_e64 s0, s27, v142
	scratch_store_b32 off, v0, off offset:24 ; 4-byte Folded Spill
	scratch_load_b32 v0, off, off offset:28 ; 4-byte Folded Reload
	s_wait_loadcnt 0x0
	s_wait_alu 0xf1ff
	v_cndmask_b32_e64 v0, 0, v0, s0
	v_cmp_gt_i32_e64 s0, s27, v141
	scratch_store_b32 off, v0, off offset:28 ; 4-byte Folded Spill
	scratch_load_b32 v0, off, off offset:16 ; 4-byte Folded Reload
	s_wait_loadcnt 0x0
	s_wait_alu 0xf1ff
	v_cndmask_b32_e64 v0, 0, v0, s0
	v_cmp_gt_i32_e64 s0, s27, v140
	scratch_store_b32 off, v0, off offset:16 ; 4-byte Folded Spill
	scratch_load_b32 v0, off, off offset:20 ; 4-byte Folded Reload
	s_wait_loadcnt 0x0
	s_wait_alu 0xf1ff
	v_cndmask_b32_e64 v0, 0, v0, s0
	v_cmp_gt_i32_e64 s0, s27, v139
	scratch_store_b32 off, v0, off offset:20 ; 4-byte Folded Spill
	scratch_load_b32 v0, off, off offset:8  ; 4-byte Folded Reload
	s_wait_loadcnt 0x0
	s_wait_alu 0xf1ff
	v_cndmask_b32_e64 v0, 0, v0, s0
	v_cmp_gt_i32_e64 s0, s27, v138
	scratch_store_b32 off, v0, off offset:8 ; 4-byte Folded Spill
	scratch_load_b32 v0, off, off offset:12 ; 4-byte Folded Reload
	s_wait_loadcnt 0x0
	s_wait_alu 0xf1ff
	v_cndmask_b32_e64 v0, 0, v0, s0
	v_cmp_gt_i32_e64 s0, s27, v137
	scratch_store_b32 off, v0, off offset:12 ; 4-byte Folded Spill
	scratch_load_b32 v0, off, off           ; 4-byte Folded Reload
	s_wait_loadcnt 0x0
	s_wait_alu 0xf1ff
	v_cndmask_b32_e64 v0, 0, v0, s0
	v_cmp_gt_i32_e64 s0, s27, v147
	scratch_store_b32 off, v0, off          ; 4-byte Folded Spill
	scratch_load_b32 v0, off, off offset:4  ; 4-byte Folded Reload
	s_wait_loadcnt 0x0
	s_wait_alu 0xf1ff
	v_cndmask_b32_e64 v0, 0, v0, s0
	scratch_store_b32 off, v0, off offset:4 ; 4-byte Folded Spill
.LBB365_31:                             ;   in Loop: Header=BB365_29 Depth=1
	s_wait_alu 0xfffe
	s_or_b32 exec_lo, exec_lo, s11
	global_load_b64 v[9:10], v[13:14], off offset:256
	s_wait_loadcnt 0x0
	v_bfe_u32 v11, v9, 8, 8
	v_bfe_u32 v12, v9, 16, 8
	;; [unrolled: 1-line block ×4, first 2 shown]
	s_delay_alu instid0(VALU_DEP_4)
	v_cvt_f32_fp8_e32 v11, v11
	v_and_b32_e32 v0, 0xff, v9
	v_lshrrev_b32_e32 v9, 24, v9
	v_cvt_f32_fp8_e32 v12, v12
	v_cvt_f32_fp8_e32 v16, v16
	v_mul_f32_e32 v11, s6, v11
	v_cvt_f32_fp8_e32 v0, v0
	v_and_b32_e32 v15, 0xff, v10
	v_cvt_f32_fp8_e32 v9, v9
	v_mul_f32_e32 v12, s6, v12
	v_bfe_u32 v44, v11, 16, 1
	v_mul_f32_e32 v0, s6, v0
	v_cvt_f32_fp8_e32 v15, v15
	v_mul_f32_e32 v9, s6, v9
	v_or_b32_e32 v45, 0x400000, v11
	v_bfe_u32 v46, v12, 16, 1
	v_bfe_u32 v18, v0, 16, 1
	v_or_b32_e32 v43, 0x400000, v0
	v_cmp_u_f32_e64 s0, v0, v0
	v_add3_u32 v44, v44, v11, 0x7fff
	v_dual_mul_f32 v15, s6, v15 :: v_dual_mul_f32 v16, s6, v16
	v_add3_u32 v18, v18, v0, 0x7fff
	v_or_b32_e32 v47, 0x400000, v12
	v_bfe_u32 v48, v9, 16, 1
	v_add3_u32 v46, v46, v12, 0x7fff
	v_lshrrev_b32_e32 v10, 24, v10
	s_wait_alu 0xf1ff
	v_cndmask_b32_e64 v0, v18, v43, s0
	v_cmp_u_f32_e64 s0, v11, v11
	v_cvt_f32_fp8_e32 v17, v17
	v_or_b32_e32 v49, 0x400000, v9
	v_bfe_u32 v50, v15, 16, 1
	v_lshrrev_b32_e32 v0, 16, v0
	s_wait_alu 0xf1ff
	v_cndmask_b32_e64 v11, v44, v45, s0
	v_cmp_u_f32_e64 s0, v12, v12
	v_add3_u32 v48, v48, v9, 0x7fff
	v_cvt_f32_fp8_e32 v10, v10
	scratch_store_b32 off, v0, off offset:56 ; 4-byte Folded Spill
	v_lshrrev_b32_e32 v0, 16, v11
	s_wait_alu 0xf1ff
	v_cndmask_b32_e64 v12, v46, v47, s0
	v_cmp_u_f32_e64 s0, v9, v9
	v_dual_mul_f32 v17, s6, v17 :: v_dual_mul_f32 v10, s6, v10
	v_or_b32_e32 v51, 0x400000, v15
	v_bfe_u32 v52, v16, 16, 1
	v_add3_u32 v50, v50, v15, 0x7fff
	s_wait_alu 0xf1ff
	v_cndmask_b32_e64 v9, v48, v49, s0
	v_cmp_u_f32_e64 s0, v15, v15
	scratch_store_b32 off, v0, off offset:60 ; 4-byte Folded Spill
	v_lshrrev_b32_e32 v0, 16, v12
	v_or_b32_e32 v53, 0x400000, v16
	v_bfe_u32 v54, v17, 16, 1
	v_add3_u32 v52, v52, v16, 0x7fff
	s_wait_alu 0xf1ff
	v_cndmask_b32_e64 v15, v50, v51, s0
	v_cmp_u_f32_e64 s0, v16, v16
	scratch_store_b32 off, v0, off offset:48 ; 4-byte Folded Spill
	v_lshrrev_b32_e32 v0, 16, v9
	;; [unrolled: 8-line block ×3, first 2 shown]
	v_or_b32_e32 v57, 0x400000, v10
	v_add3_u32 v56, v56, v10, 0x7fff
	s_wait_alu 0xf1ff
	v_cndmask_b32_e64 v17, v54, v55, s0
	v_cmp_u_f32_e64 s0, v10, v10
	scratch_store_b32 off, v0, off offset:40 ; 4-byte Folded Spill
	v_lshrrev_b32_e32 v0, 16, v16
	s_wait_alu 0xf1ff
	v_cndmask_b32_e64 v10, v56, v57, s0
	scratch_store_b32 off, v0, off offset:44 ; 4-byte Folded Spill
	v_lshrrev_b32_e32 v0, 16, v17
	scratch_store_b32 off, v0, off offset:32 ; 4-byte Folded Spill
	v_lshrrev_b32_e32 v0, 16, v10
	scratch_store_b32 off, v0, off offset:36 ; 4-byte Folded Spill
	s_and_saveexec_b32 s11, vcc_lo
	s_cbranch_execz .LBB365_33
; %bb.32:                               ;   in Loop: Header=BB365_29 Depth=1
	scratch_load_b32 v0, off, off offset:56 ; 4-byte Folded Reload
	v_cmp_gt_i32_e64 s0, s27, v136
	s_wait_loadcnt 0x0
	s_wait_alu 0xf1ff
	s_delay_alu instid0(VALU_DEP_1)
	v_cndmask_b32_e64 v0, 0, v0, s0
	v_cmp_gt_i32_e64 s0, s27, v142
	scratch_store_b32 off, v0, off offset:56 ; 4-byte Folded Spill
	scratch_load_b32 v0, off, off offset:60 ; 4-byte Folded Reload
	s_wait_loadcnt 0x0
	s_wait_alu 0xf1ff
	v_cndmask_b32_e64 v0, 0, v0, s0
	v_cmp_gt_i32_e64 s0, s27, v141
	scratch_store_b32 off, v0, off offset:60 ; 4-byte Folded Spill
	scratch_load_b32 v0, off, off offset:48 ; 4-byte Folded Reload
	s_wait_loadcnt 0x0
	s_wait_alu 0xf1ff
	;; [unrolled: 6-line block ×7, first 2 shown]
	v_cndmask_b32_e64 v0, 0, v0, s0
	scratch_store_b32 off, v0, off offset:36 ; 4-byte Folded Spill
.LBB365_33:                             ;   in Loop: Header=BB365_29 Depth=1
	s_wait_alu 0xfffe
	s_or_b32 exec_lo, exec_lo, s11
	global_load_b64 v[9:10], v[13:14], off offset:512
	s_wait_loadcnt 0x0
	v_bfe_u32 v11, v9, 8, 8
	v_bfe_u32 v12, v9, 16, 8
	;; [unrolled: 1-line block ×4, first 2 shown]
	s_delay_alu instid0(VALU_DEP_4)
	v_cvt_f32_fp8_e32 v11, v11
	v_and_b32_e32 v0, 0xff, v9
	v_lshrrev_b32_e32 v9, 24, v9
	v_cvt_f32_fp8_e32 v12, v12
	v_cvt_f32_fp8_e32 v16, v16
	v_mul_f32_e32 v11, s6, v11
	v_cvt_f32_fp8_e32 v0, v0
	v_and_b32_e32 v15, 0xff, v10
	v_cvt_f32_fp8_e32 v9, v9
	v_mul_f32_e32 v12, s6, v12
	v_bfe_u32 v44, v11, 16, 1
	v_mul_f32_e32 v0, s6, v0
	v_cvt_f32_fp8_e32 v15, v15
	v_mul_f32_e32 v9, s6, v9
	v_or_b32_e32 v45, 0x400000, v11
	v_bfe_u32 v46, v12, 16, 1
	v_bfe_u32 v18, v0, 16, 1
	v_or_b32_e32 v43, 0x400000, v0
	v_cmp_u_f32_e64 s0, v0, v0
	v_add3_u32 v44, v44, v11, 0x7fff
	v_dual_mul_f32 v15, s6, v15 :: v_dual_mul_f32 v16, s6, v16
	v_add3_u32 v18, v18, v0, 0x7fff
	v_or_b32_e32 v47, 0x400000, v12
	v_bfe_u32 v48, v9, 16, 1
	v_add3_u32 v46, v46, v12, 0x7fff
	v_lshrrev_b32_e32 v10, 24, v10
	s_wait_alu 0xf1ff
	v_cndmask_b32_e64 v0, v18, v43, s0
	v_cmp_u_f32_e64 s0, v11, v11
	v_cvt_f32_fp8_e32 v17, v17
	v_or_b32_e32 v49, 0x400000, v9
	v_bfe_u32 v50, v15, 16, 1
	v_lshrrev_b32_e32 v0, 16, v0
	s_wait_alu 0xf1ff
	v_cndmask_b32_e64 v11, v44, v45, s0
	v_cmp_u_f32_e64 s0, v12, v12
	v_add3_u32 v48, v48, v9, 0x7fff
	v_cvt_f32_fp8_e32 v10, v10
	scratch_store_b32 off, v0, off offset:88 ; 4-byte Folded Spill
	v_lshrrev_b32_e32 v0, 16, v11
	s_wait_alu 0xf1ff
	v_cndmask_b32_e64 v12, v46, v47, s0
	v_cmp_u_f32_e64 s0, v9, v9
	v_dual_mul_f32 v17, s6, v17 :: v_dual_mul_f32 v10, s6, v10
	v_or_b32_e32 v51, 0x400000, v15
	v_bfe_u32 v52, v16, 16, 1
	v_add3_u32 v50, v50, v15, 0x7fff
	s_wait_alu 0xf1ff
	v_cndmask_b32_e64 v9, v48, v49, s0
	v_cmp_u_f32_e64 s0, v15, v15
	scratch_store_b32 off, v0, off offset:92 ; 4-byte Folded Spill
	v_lshrrev_b32_e32 v0, 16, v12
	v_or_b32_e32 v53, 0x400000, v16
	v_bfe_u32 v54, v17, 16, 1
	v_add3_u32 v52, v52, v16, 0x7fff
	s_wait_alu 0xf1ff
	v_cndmask_b32_e64 v15, v50, v51, s0
	v_cmp_u_f32_e64 s0, v16, v16
	scratch_store_b32 off, v0, off offset:80 ; 4-byte Folded Spill
	v_lshrrev_b32_e32 v0, 16, v9
	;; [unrolled: 8-line block ×3, first 2 shown]
	v_or_b32_e32 v57, 0x400000, v10
	v_add3_u32 v56, v56, v10, 0x7fff
	s_wait_alu 0xf1ff
	v_cndmask_b32_e64 v17, v54, v55, s0
	v_cmp_u_f32_e64 s0, v10, v10
	scratch_store_b32 off, v0, off offset:72 ; 4-byte Folded Spill
	v_lshrrev_b32_e32 v0, 16, v16
	s_wait_alu 0xf1ff
	v_cndmask_b32_e64 v10, v56, v57, s0
	scratch_store_b32 off, v0, off offset:76 ; 4-byte Folded Spill
	v_lshrrev_b32_e32 v0, 16, v17
	scratch_store_b32 off, v0, off offset:64 ; 4-byte Folded Spill
	v_lshrrev_b32_e32 v0, 16, v10
	scratch_store_b32 off, v0, off offset:68 ; 4-byte Folded Spill
	s_and_saveexec_b32 s11, vcc_lo
	s_cbranch_execz .LBB365_35
; %bb.34:                               ;   in Loop: Header=BB365_29 Depth=1
	scratch_load_b32 v0, off, off offset:88 ; 4-byte Folded Reload
	v_cmp_gt_i32_e64 s0, s27, v136
	s_wait_loadcnt 0x0
	s_wait_alu 0xf1ff
	s_delay_alu instid0(VALU_DEP_1)
	v_cndmask_b32_e64 v0, 0, v0, s0
	v_cmp_gt_i32_e64 s0, s27, v142
	scratch_store_b32 off, v0, off offset:88 ; 4-byte Folded Spill
	scratch_load_b32 v0, off, off offset:92 ; 4-byte Folded Reload
	s_wait_loadcnt 0x0
	s_wait_alu 0xf1ff
	v_cndmask_b32_e64 v0, 0, v0, s0
	v_cmp_gt_i32_e64 s0, s27, v141
	scratch_store_b32 off, v0, off offset:92 ; 4-byte Folded Spill
	scratch_load_b32 v0, off, off offset:80 ; 4-byte Folded Reload
	s_wait_loadcnt 0x0
	s_wait_alu 0xf1ff
	;; [unrolled: 6-line block ×7, first 2 shown]
	v_cndmask_b32_e64 v0, 0, v0, s0
	scratch_store_b32 off, v0, off offset:68 ; 4-byte Folded Spill
.LBB365_35:                             ;   in Loop: Header=BB365_29 Depth=1
	s_wait_alu 0xfffe
	s_or_b32 exec_lo, exec_lo, s11
	global_load_b64 v[9:10], v[13:14], off offset:768
	s_wait_loadcnt 0x0
	v_bfe_u32 v11, v9, 8, 8
	v_bfe_u32 v12, v9, 16, 8
	;; [unrolled: 1-line block ×4, first 2 shown]
	s_delay_alu instid0(VALU_DEP_4)
	v_cvt_f32_fp8_e32 v11, v11
	v_and_b32_e32 v0, 0xff, v9
	v_lshrrev_b32_e32 v9, 24, v9
	v_cvt_f32_fp8_e32 v12, v12
	v_cvt_f32_fp8_e32 v16, v16
	v_mul_f32_e32 v11, s6, v11
	v_cvt_f32_fp8_e32 v0, v0
	v_and_b32_e32 v15, 0xff, v10
	v_cvt_f32_fp8_e32 v9, v9
	v_mul_f32_e32 v12, s6, v12
	v_bfe_u32 v44, v11, 16, 1
	v_mul_f32_e32 v0, s6, v0
	v_cvt_f32_fp8_e32 v15, v15
	v_mul_f32_e32 v9, s6, v9
	v_or_b32_e32 v45, 0x400000, v11
	v_bfe_u32 v46, v12, 16, 1
	v_bfe_u32 v18, v0, 16, 1
	v_or_b32_e32 v43, 0x400000, v0
	v_cmp_u_f32_e64 s0, v0, v0
	v_add3_u32 v44, v44, v11, 0x7fff
	v_dual_mul_f32 v15, s6, v15 :: v_dual_mul_f32 v16, s6, v16
	v_add3_u32 v18, v18, v0, 0x7fff
	v_or_b32_e32 v47, 0x400000, v12
	v_bfe_u32 v48, v9, 16, 1
	v_add3_u32 v46, v46, v12, 0x7fff
	v_lshrrev_b32_e32 v10, 24, v10
	s_wait_alu 0xf1ff
	v_cndmask_b32_e64 v0, v18, v43, s0
	v_cmp_u_f32_e64 s0, v11, v11
	v_cvt_f32_fp8_e32 v17, v17
	v_or_b32_e32 v49, 0x400000, v9
	v_bfe_u32 v50, v15, 16, 1
	v_lshrrev_b32_e32 v0, 16, v0
	s_wait_alu 0xf1ff
	v_cndmask_b32_e64 v11, v44, v45, s0
	v_cmp_u_f32_e64 s0, v12, v12
	v_add3_u32 v48, v48, v9, 0x7fff
	v_cvt_f32_fp8_e32 v10, v10
	scratch_store_b32 off, v0, off offset:120 ; 4-byte Folded Spill
	v_lshrrev_b32_e32 v0, 16, v11
	s_wait_alu 0xf1ff
	v_cndmask_b32_e64 v12, v46, v47, s0
	v_cmp_u_f32_e64 s0, v9, v9
	v_dual_mul_f32 v17, s6, v17 :: v_dual_mul_f32 v10, s6, v10
	v_or_b32_e32 v51, 0x400000, v15
	v_bfe_u32 v52, v16, 16, 1
	v_add3_u32 v50, v50, v15, 0x7fff
	s_wait_alu 0xf1ff
	v_cndmask_b32_e64 v9, v48, v49, s0
	v_cmp_u_f32_e64 s0, v15, v15
	scratch_store_b32 off, v0, off offset:124 ; 4-byte Folded Spill
	v_lshrrev_b32_e32 v0, 16, v12
	v_or_b32_e32 v53, 0x400000, v16
	v_bfe_u32 v54, v17, 16, 1
	v_add3_u32 v52, v52, v16, 0x7fff
	s_wait_alu 0xf1ff
	v_cndmask_b32_e64 v15, v50, v51, s0
	v_cmp_u_f32_e64 s0, v16, v16
	scratch_store_b32 off, v0, off offset:112 ; 4-byte Folded Spill
	v_lshrrev_b32_e32 v0, 16, v9
	;; [unrolled: 8-line block ×3, first 2 shown]
	v_or_b32_e32 v57, 0x400000, v10
	v_add3_u32 v56, v56, v10, 0x7fff
	s_wait_alu 0xf1ff
	v_cndmask_b32_e64 v17, v54, v55, s0
	v_cmp_u_f32_e64 s0, v10, v10
	scratch_store_b32 off, v0, off offset:104 ; 4-byte Folded Spill
	v_lshrrev_b32_e32 v0, 16, v16
	s_wait_alu 0xf1ff
	v_cndmask_b32_e64 v10, v56, v57, s0
	scratch_store_b32 off, v0, off offset:108 ; 4-byte Folded Spill
	v_lshrrev_b32_e32 v0, 16, v17
	scratch_store_b32 off, v0, off offset:96 ; 4-byte Folded Spill
	v_lshrrev_b32_e32 v0, 16, v10
	scratch_store_b32 off, v0, off offset:100 ; 4-byte Folded Spill
	s_and_saveexec_b32 s11, vcc_lo
	s_cbranch_execz .LBB365_37
; %bb.36:                               ;   in Loop: Header=BB365_29 Depth=1
	scratch_load_b32 v0, off, off offset:120 ; 4-byte Folded Reload
	v_cmp_gt_i32_e64 s0, s27, v136
	s_wait_loadcnt 0x0
	s_wait_alu 0xf1ff
	s_delay_alu instid0(VALU_DEP_1)
	v_cndmask_b32_e64 v0, 0, v0, s0
	v_cmp_gt_i32_e64 s0, s27, v142
	scratch_store_b32 off, v0, off offset:120 ; 4-byte Folded Spill
	scratch_load_b32 v0, off, off offset:124 ; 4-byte Folded Reload
	s_wait_loadcnt 0x0
	s_wait_alu 0xf1ff
	v_cndmask_b32_e64 v0, 0, v0, s0
	v_cmp_gt_i32_e64 s0, s27, v141
	scratch_store_b32 off, v0, off offset:124 ; 4-byte Folded Spill
	scratch_load_b32 v0, off, off offset:112 ; 4-byte Folded Reload
	s_wait_loadcnt 0x0
	s_wait_alu 0xf1ff
	;; [unrolled: 6-line block ×7, first 2 shown]
	v_cndmask_b32_e64 v0, 0, v0, s0
	scratch_store_b32 off, v0, off offset:100 ; 4-byte Folded Spill
.LBB365_37:                             ;   in Loop: Header=BB365_29 Depth=1
	s_wait_alu 0xfffe
	s_or_b32 exec_lo, exec_lo, s11
	global_load_b64 v[9:10], v[13:14], off offset:1024
	s_wait_loadcnt 0x0
	v_bfe_u32 v11, v9, 8, 8
	v_bfe_u32 v12, v9, 16, 8
	;; [unrolled: 1-line block ×4, first 2 shown]
	s_delay_alu instid0(VALU_DEP_4)
	v_cvt_f32_fp8_e32 v11, v11
	v_and_b32_e32 v0, 0xff, v9
	v_lshrrev_b32_e32 v9, 24, v9
	v_cvt_f32_fp8_e32 v12, v12
	v_cvt_f32_fp8_e32 v16, v16
	v_mul_f32_e32 v11, s6, v11
	v_cvt_f32_fp8_e32 v0, v0
	v_and_b32_e32 v15, 0xff, v10
	v_cvt_f32_fp8_e32 v9, v9
	v_mul_f32_e32 v12, s6, v12
	v_bfe_u32 v44, v11, 16, 1
	v_mul_f32_e32 v0, s6, v0
	v_cvt_f32_fp8_e32 v15, v15
	v_mul_f32_e32 v9, s6, v9
	v_or_b32_e32 v45, 0x400000, v11
	v_bfe_u32 v46, v12, 16, 1
	v_bfe_u32 v18, v0, 16, 1
	v_or_b32_e32 v43, 0x400000, v0
	v_cmp_u_f32_e64 s0, v0, v0
	v_add3_u32 v44, v44, v11, 0x7fff
	v_dual_mul_f32 v15, s6, v15 :: v_dual_mul_f32 v16, s6, v16
	v_add3_u32 v18, v18, v0, 0x7fff
	v_or_b32_e32 v47, 0x400000, v12
	v_bfe_u32 v48, v9, 16, 1
	v_add3_u32 v46, v46, v12, 0x7fff
	v_lshrrev_b32_e32 v10, 24, v10
	s_wait_alu 0xf1ff
	v_cndmask_b32_e64 v0, v18, v43, s0
	v_cmp_u_f32_e64 s0, v11, v11
	v_cvt_f32_fp8_e32 v17, v17
	v_or_b32_e32 v49, 0x400000, v9
	v_bfe_u32 v50, v15, 16, 1
	v_lshrrev_b32_e32 v0, 16, v0
	s_wait_alu 0xf1ff
	v_cndmask_b32_e64 v11, v44, v45, s0
	v_cmp_u_f32_e64 s0, v12, v12
	v_add3_u32 v48, v48, v9, 0x7fff
	v_cvt_f32_fp8_e32 v10, v10
	scratch_store_b32 off, v0, off offset:152 ; 4-byte Folded Spill
	v_lshrrev_b32_e32 v0, 16, v11
	s_wait_alu 0xf1ff
	v_cndmask_b32_e64 v12, v46, v47, s0
	v_cmp_u_f32_e64 s0, v9, v9
	v_dual_mul_f32 v17, s6, v17 :: v_dual_mul_f32 v10, s6, v10
	v_or_b32_e32 v51, 0x400000, v15
	v_bfe_u32 v52, v16, 16, 1
	v_add3_u32 v50, v50, v15, 0x7fff
	s_wait_alu 0xf1ff
	v_cndmask_b32_e64 v9, v48, v49, s0
	v_cmp_u_f32_e64 s0, v15, v15
	scratch_store_b32 off, v0, off offset:156 ; 4-byte Folded Spill
	v_lshrrev_b32_e32 v0, 16, v12
	v_or_b32_e32 v53, 0x400000, v16
	v_bfe_u32 v54, v17, 16, 1
	v_add3_u32 v52, v52, v16, 0x7fff
	s_wait_alu 0xf1ff
	v_cndmask_b32_e64 v15, v50, v51, s0
	v_cmp_u_f32_e64 s0, v16, v16
	scratch_store_b32 off, v0, off offset:144 ; 4-byte Folded Spill
	v_lshrrev_b32_e32 v0, 16, v9
	;; [unrolled: 8-line block ×3, first 2 shown]
	v_or_b32_e32 v57, 0x400000, v10
	v_add3_u32 v56, v56, v10, 0x7fff
	s_wait_alu 0xf1ff
	v_cndmask_b32_e64 v17, v54, v55, s0
	v_cmp_u_f32_e64 s0, v10, v10
	scratch_store_b32 off, v0, off offset:136 ; 4-byte Folded Spill
	v_lshrrev_b32_e32 v0, 16, v16
	s_wait_alu 0xf1ff
	v_cndmask_b32_e64 v10, v56, v57, s0
	scratch_store_b32 off, v0, off offset:140 ; 4-byte Folded Spill
	v_lshrrev_b32_e32 v0, 16, v17
	scratch_store_b32 off, v0, off offset:128 ; 4-byte Folded Spill
	v_lshrrev_b32_e32 v0, 16, v10
	scratch_store_b32 off, v0, off offset:132 ; 4-byte Folded Spill
	s_and_saveexec_b32 s11, vcc_lo
	s_cbranch_execz .LBB365_39
; %bb.38:                               ;   in Loop: Header=BB365_29 Depth=1
	scratch_load_b32 v0, off, off offset:152 ; 4-byte Folded Reload
	v_cmp_gt_i32_e64 s0, s27, v136
	s_wait_loadcnt 0x0
	s_wait_alu 0xf1ff
	s_delay_alu instid0(VALU_DEP_1)
	v_cndmask_b32_e64 v0, 0, v0, s0
	v_cmp_gt_i32_e64 s0, s27, v142
	scratch_store_b32 off, v0, off offset:152 ; 4-byte Folded Spill
	scratch_load_b32 v0, off, off offset:156 ; 4-byte Folded Reload
	s_wait_loadcnt 0x0
	s_wait_alu 0xf1ff
	v_cndmask_b32_e64 v0, 0, v0, s0
	v_cmp_gt_i32_e64 s0, s27, v141
	scratch_store_b32 off, v0, off offset:156 ; 4-byte Folded Spill
	scratch_load_b32 v0, off, off offset:144 ; 4-byte Folded Reload
	s_wait_loadcnt 0x0
	s_wait_alu 0xf1ff
	;; [unrolled: 6-line block ×7, first 2 shown]
	v_cndmask_b32_e64 v0, 0, v0, s0
	scratch_store_b32 off, v0, off offset:132 ; 4-byte Folded Spill
.LBB365_39:                             ;   in Loop: Header=BB365_29 Depth=1
	s_wait_alu 0xfffe
	s_or_b32 exec_lo, exec_lo, s11
	global_load_b64 v[9:10], v[13:14], off offset:1280
	s_wait_loadcnt 0x0
	v_bfe_u32 v11, v9, 8, 8
	v_bfe_u32 v12, v9, 16, 8
	;; [unrolled: 1-line block ×4, first 2 shown]
	s_delay_alu instid0(VALU_DEP_4)
	v_cvt_f32_fp8_e32 v11, v11
	v_and_b32_e32 v0, 0xff, v9
	v_lshrrev_b32_e32 v9, 24, v9
	v_cvt_f32_fp8_e32 v12, v12
	v_cvt_f32_fp8_e32 v16, v16
	v_mul_f32_e32 v11, s6, v11
	v_cvt_f32_fp8_e32 v0, v0
	v_and_b32_e32 v15, 0xff, v10
	v_cvt_f32_fp8_e32 v9, v9
	v_mul_f32_e32 v12, s6, v12
	v_bfe_u32 v44, v11, 16, 1
	v_mul_f32_e32 v0, s6, v0
	v_cvt_f32_fp8_e32 v15, v15
	v_mul_f32_e32 v9, s6, v9
	v_or_b32_e32 v45, 0x400000, v11
	v_bfe_u32 v46, v12, 16, 1
	v_bfe_u32 v18, v0, 16, 1
	v_or_b32_e32 v43, 0x400000, v0
	v_cmp_u_f32_e64 s0, v0, v0
	v_add3_u32 v44, v44, v11, 0x7fff
	v_dual_mul_f32 v15, s6, v15 :: v_dual_mul_f32 v16, s6, v16
	v_add3_u32 v18, v18, v0, 0x7fff
	v_or_b32_e32 v47, 0x400000, v12
	v_bfe_u32 v48, v9, 16, 1
	v_add3_u32 v46, v46, v12, 0x7fff
	v_lshrrev_b32_e32 v10, 24, v10
	s_wait_alu 0xf1ff
	v_cndmask_b32_e64 v0, v18, v43, s0
	v_cmp_u_f32_e64 s0, v11, v11
	v_cvt_f32_fp8_e32 v17, v17
	v_or_b32_e32 v49, 0x400000, v9
	v_bfe_u32 v50, v15, 16, 1
	v_add3_u32 v48, v48, v9, 0x7fff
	s_wait_alu 0xf1ff
	v_cndmask_b32_e64 v11, v44, v45, s0
	v_cmp_u_f32_e64 s0, v12, v12
	v_cvt_f32_fp8_e32 v10, v10
	v_mul_f32_e32 v17, s6, v17
	v_or_b32_e32 v51, 0x400000, v15
	v_bfe_u32 v52, v16, 16, 1
	s_wait_alu 0xf1ff
	v_cndmask_b32_e64 v12, v46, v47, s0
	v_cmp_u_f32_e64 s0, v9, v9
	v_add3_u32 v50, v50, v15, 0x7fff
	v_mul_f32_e32 v10, s6, v10
	v_or_b32_e32 v53, 0x400000, v16
	v_bfe_u32 v54, v17, 16, 1
	s_wait_alu 0xf1ff
	v_cndmask_b32_e64 v9, v48, v49, s0
	v_cmp_u_f32_e64 s0, v15, v15
	v_add3_u32 v52, v52, v16, 0x7fff
	v_or_b32_e32 v55, 0x400000, v17
	v_bfe_u32 v56, v10, 16, 1
	v_add3_u32 v54, v54, v17, 0x7fff
	s_wait_alu 0xf1ff
	v_cndmask_b32_e64 v15, v50, v51, s0
	v_cmp_u_f32_e64 s0, v16, v16
	v_or_b32_e32 v57, 0x400000, v10
	v_add3_u32 v56, v56, v10, 0x7fff
	v_lshrrev_b32_e32 v89, 16, v0
	v_lshrrev_b32_e32 v90, 16, v11
	s_wait_alu 0xf1ff
	v_cndmask_b32_e64 v16, v52, v53, s0
	v_cmp_u_f32_e64 s0, v17, v17
	v_lshrrev_b32_e32 v87, 16, v12
	v_lshrrev_b32_e32 v88, 16, v9
	;; [unrolled: 1-line block ×4, first 2 shown]
	s_wait_alu 0xf1ff
	v_cndmask_b32_e64 v17, v54, v55, s0
	v_cmp_u_f32_e64 s0, v10, v10
	s_delay_alu instid0(VALU_DEP_2) | instskip(SKIP_1) | instid1(VALU_DEP_2)
	v_lshrrev_b32_e32 v0, 16, v17
	s_wait_alu 0xf1ff
	v_cndmask_b32_e64 v10, v56, v57, s0
	scratch_store_b32 off, v0, off offset:160 ; 4-byte Folded Spill
	v_lshrrev_b32_e32 v0, 16, v10
	scratch_store_b32 off, v0, off offset:164 ; 4-byte Folded Spill
	s_and_saveexec_b32 s11, vcc_lo
	s_cbranch_execz .LBB365_41
; %bb.40:                               ;   in Loop: Header=BB365_29 Depth=1
	scratch_load_b32 v0, off, off offset:160 ; 4-byte Folded Reload
	v_cmp_gt_i32_e64 s0, s27, v136
	s_wait_alu 0xf1ff
	s_delay_alu instid0(VALU_DEP_1) | instskip(SKIP_2) | instid1(VALU_DEP_1)
	v_cndmask_b32_e64 v89, 0, v89, s0
	v_cmp_gt_i32_e64 s0, s27, v142
	s_wait_alu 0xf1ff
	v_cndmask_b32_e64 v90, 0, v90, s0
	v_cmp_gt_i32_e64 s0, s27, v141
	s_wait_alu 0xf1ff
	s_delay_alu instid0(VALU_DEP_1) | instskip(SKIP_2) | instid1(VALU_DEP_1)
	v_cndmask_b32_e64 v87, 0, v87, s0
	v_cmp_gt_i32_e64 s0, s27, v140
	s_wait_alu 0xf1ff
	v_cndmask_b32_e64 v88, 0, v88, s0
	;; [unrolled: 7-line block ×3, first 2 shown]
	v_cmp_gt_i32_e64 s0, s27, v137
	s_wait_loadcnt 0x0
	s_wait_alu 0xf1ff
	s_delay_alu instid0(VALU_DEP_1)
	v_cndmask_b32_e64 v0, 0, v0, s0
	v_cmp_gt_i32_e64 s0, s27, v147
	scratch_store_b32 off, v0, off offset:160 ; 4-byte Folded Spill
	scratch_load_b32 v0, off, off offset:164 ; 4-byte Folded Reload
	s_wait_loadcnt 0x0
	s_wait_alu 0xf1ff
	v_cndmask_b32_e64 v0, 0, v0, s0
	scratch_store_b32 off, v0, off offset:164 ; 4-byte Folded Spill
.LBB365_41:                             ;   in Loop: Header=BB365_29 Depth=1
	s_wait_alu 0xfffe
	s_or_b32 exec_lo, exec_lo, s11
	global_load_b64 v[9:10], v[13:14], off offset:1536
	s_wait_loadcnt 0x0
	v_bfe_u32 v11, v9, 8, 8
	v_bfe_u32 v12, v9, 16, 8
	;; [unrolled: 1-line block ×4, first 2 shown]
	s_delay_alu instid0(VALU_DEP_4)
	v_cvt_f32_fp8_e32 v11, v11
	v_and_b32_e32 v0, 0xff, v9
	v_lshrrev_b32_e32 v9, 24, v9
	v_cvt_f32_fp8_e32 v12, v12
	v_cvt_f32_fp8_e32 v16, v16
	v_mul_f32_e32 v11, s6, v11
	v_cvt_f32_fp8_e32 v0, v0
	v_and_b32_e32 v15, 0xff, v10
	v_cvt_f32_fp8_e32 v9, v9
	v_mul_f32_e32 v12, s6, v12
	v_bfe_u32 v44, v11, 16, 1
	v_mul_f32_e32 v0, s6, v0
	v_cvt_f32_fp8_e32 v15, v15
	v_mul_f32_e32 v9, s6, v9
	v_or_b32_e32 v45, 0x400000, v11
	v_bfe_u32 v46, v12, 16, 1
	v_bfe_u32 v18, v0, 16, 1
	v_or_b32_e32 v43, 0x400000, v0
	v_cmp_u_f32_e64 s0, v0, v0
	v_add3_u32 v44, v44, v11, 0x7fff
	v_dual_mul_f32 v15, s6, v15 :: v_dual_mul_f32 v16, s6, v16
	v_add3_u32 v18, v18, v0, 0x7fff
	v_or_b32_e32 v47, 0x400000, v12
	v_bfe_u32 v48, v9, 16, 1
	v_add3_u32 v46, v46, v12, 0x7fff
	v_lshrrev_b32_e32 v10, 24, v10
	s_wait_alu 0xf1ff
	v_cndmask_b32_e64 v0, v18, v43, s0
	v_cmp_u_f32_e64 s0, v11, v11
	v_cvt_f32_fp8_e32 v17, v17
	v_or_b32_e32 v49, 0x400000, v9
	v_bfe_u32 v50, v15, 16, 1
	v_add3_u32 v48, v48, v9, 0x7fff
	s_wait_alu 0xf1ff
	v_cndmask_b32_e64 v11, v44, v45, s0
	v_cmp_u_f32_e64 s0, v12, v12
	v_cvt_f32_fp8_e32 v10, v10
	v_mul_f32_e32 v17, s6, v17
	v_or_b32_e32 v51, 0x400000, v15
	v_bfe_u32 v52, v16, 16, 1
	s_wait_alu 0xf1ff
	v_cndmask_b32_e64 v12, v46, v47, s0
	v_cmp_u_f32_e64 s0, v9, v9
	v_add3_u32 v50, v50, v15, 0x7fff
	v_mul_f32_e32 v10, s6, v10
	v_or_b32_e32 v53, 0x400000, v16
	v_bfe_u32 v54, v17, 16, 1
	s_wait_alu 0xf1ff
	v_cndmask_b32_e64 v9, v48, v49, s0
	v_cmp_u_f32_e64 s0, v15, v15
	v_add3_u32 v52, v52, v16, 0x7fff
	v_or_b32_e32 v55, 0x400000, v17
	v_bfe_u32 v56, v10, 16, 1
	v_add3_u32 v54, v54, v17, 0x7fff
	s_wait_alu 0xf1ff
	v_cndmask_b32_e64 v15, v50, v51, s0
	v_cmp_u_f32_e64 s0, v16, v16
	v_or_b32_e32 v57, 0x400000, v10
	v_add3_u32 v56, v56, v10, 0x7fff
	v_lshrrev_b32_e32 v97, 16, v0
	v_lshrrev_b32_e32 v98, 16, v11
	s_wait_alu 0xf1ff
	v_cndmask_b32_e64 v16, v52, v53, s0
	v_cmp_u_f32_e64 s0, v17, v17
	v_lshrrev_b32_e32 v95, 16, v12
	v_lshrrev_b32_e32 v96, 16, v9
	;; [unrolled: 1-line block ×4, first 2 shown]
	s_wait_alu 0xf1ff
	v_cndmask_b32_e64 v17, v54, v55, s0
	v_cmp_u_f32_e64 s0, v10, v10
	s_delay_alu instid0(VALU_DEP_2) | instskip(SKIP_1) | instid1(VALU_DEP_2)
	v_lshrrev_b32_e32 v91, 16, v17
	s_wait_alu 0xf1ff
	v_cndmask_b32_e64 v10, v56, v57, s0
	s_delay_alu instid0(VALU_DEP_1)
	v_lshrrev_b32_e32 v92, 16, v10
	s_and_saveexec_b32 s11, vcc_lo
	s_cbranch_execz .LBB365_43
; %bb.42:                               ;   in Loop: Header=BB365_29 Depth=1
	v_cmp_gt_i32_e64 s0, s27, v136
	s_wait_alu 0xf1ff
	s_delay_alu instid0(VALU_DEP_1) | instskip(SKIP_2) | instid1(VALU_DEP_1)
	v_cndmask_b32_e64 v97, 0, v97, s0
	v_cmp_gt_i32_e64 s0, s27, v142
	s_wait_alu 0xf1ff
	v_cndmask_b32_e64 v98, 0, v98, s0
	v_cmp_gt_i32_e64 s0, s27, v141
	s_wait_alu 0xf1ff
	s_delay_alu instid0(VALU_DEP_1) | instskip(SKIP_2) | instid1(VALU_DEP_1)
	v_cndmask_b32_e64 v95, 0, v95, s0
	v_cmp_gt_i32_e64 s0, s27, v140
	s_wait_alu 0xf1ff
	v_cndmask_b32_e64 v96, 0, v96, s0
	;; [unrolled: 7-line block ×4, first 2 shown]
.LBB365_43:                             ;   in Loop: Header=BB365_29 Depth=1
	s_wait_alu 0xfffe
	s_or_b32 exec_lo, exec_lo, s11
	global_load_b64 v[9:10], v[13:14], off offset:1792
	s_wait_loadcnt 0x0
	v_bfe_u32 v11, v9, 8, 8
	v_bfe_u32 v12, v9, 16, 8
	;; [unrolled: 1-line block ×4, first 2 shown]
	s_delay_alu instid0(VALU_DEP_4)
	v_cvt_f32_fp8_e32 v11, v11
	v_and_b32_e32 v0, 0xff, v9
	v_lshrrev_b32_e32 v9, 24, v9
	v_cvt_f32_fp8_e32 v12, v12
	v_cvt_f32_fp8_e32 v16, v16
	v_mul_f32_e32 v11, s6, v11
	v_cvt_f32_fp8_e32 v0, v0
	v_and_b32_e32 v15, 0xff, v10
	v_cvt_f32_fp8_e32 v9, v9
	v_mul_f32_e32 v12, s6, v12
	v_bfe_u32 v44, v11, 16, 1
	v_mul_f32_e32 v0, s6, v0
	v_cvt_f32_fp8_e32 v15, v15
	v_mul_f32_e32 v9, s6, v9
	v_or_b32_e32 v45, 0x400000, v11
	v_bfe_u32 v46, v12, 16, 1
	v_bfe_u32 v18, v0, 16, 1
	v_or_b32_e32 v43, 0x400000, v0
	v_cmp_u_f32_e64 s0, v0, v0
	v_add3_u32 v44, v44, v11, 0x7fff
	v_dual_mul_f32 v15, s6, v15 :: v_dual_mul_f32 v16, s6, v16
	v_add3_u32 v18, v18, v0, 0x7fff
	v_or_b32_e32 v47, 0x400000, v12
	v_bfe_u32 v48, v9, 16, 1
	v_add3_u32 v46, v46, v12, 0x7fff
	v_lshrrev_b32_e32 v10, 24, v10
	s_wait_alu 0xf1ff
	v_cndmask_b32_e64 v0, v18, v43, s0
	v_cmp_u_f32_e64 s0, v11, v11
	v_cvt_f32_fp8_e32 v17, v17
	v_or_b32_e32 v49, 0x400000, v9
	v_bfe_u32 v50, v15, 16, 1
	v_add3_u32 v48, v48, v9, 0x7fff
	s_wait_alu 0xf1ff
	v_cndmask_b32_e64 v11, v44, v45, s0
	v_cmp_u_f32_e64 s0, v12, v12
	v_cvt_f32_fp8_e32 v10, v10
	v_mul_f32_e32 v17, s6, v17
	v_or_b32_e32 v51, 0x400000, v15
	v_bfe_u32 v52, v16, 16, 1
	s_wait_alu 0xf1ff
	v_cndmask_b32_e64 v12, v46, v47, s0
	v_cmp_u_f32_e64 s0, v9, v9
	v_add3_u32 v50, v50, v15, 0x7fff
	v_mul_f32_e32 v10, s6, v10
	v_or_b32_e32 v53, 0x400000, v16
	v_bfe_u32 v54, v17, 16, 1
	s_wait_alu 0xf1ff
	v_cndmask_b32_e64 v9, v48, v49, s0
	v_cmp_u_f32_e64 s0, v15, v15
	v_add3_u32 v52, v52, v16, 0x7fff
	v_or_b32_e32 v55, 0x400000, v17
	v_bfe_u32 v56, v10, 16, 1
	v_add3_u32 v54, v54, v17, 0x7fff
	s_wait_alu 0xf1ff
	v_cndmask_b32_e64 v15, v50, v51, s0
	v_cmp_u_f32_e64 s0, v16, v16
	v_or_b32_e32 v57, 0x400000, v10
	v_add3_u32 v56, v56, v10, 0x7fff
	v_lshrrev_b32_e32 v105, 16, v0
	v_lshrrev_b32_e32 v106, 16, v11
	s_wait_alu 0xf1ff
	v_cndmask_b32_e64 v16, v52, v53, s0
	v_cmp_u_f32_e64 s0, v17, v17
	v_lshrrev_b32_e32 v103, 16, v12
	v_lshrrev_b32_e32 v104, 16, v9
	;; [unrolled: 1-line block ×4, first 2 shown]
	s_wait_alu 0xf1ff
	v_cndmask_b32_e64 v17, v54, v55, s0
	v_cmp_u_f32_e64 s0, v10, v10
	s_delay_alu instid0(VALU_DEP_2) | instskip(SKIP_1) | instid1(VALU_DEP_2)
	v_lshrrev_b32_e32 v99, 16, v17
	s_wait_alu 0xf1ff
	v_cndmask_b32_e64 v10, v56, v57, s0
	s_delay_alu instid0(VALU_DEP_1)
	v_lshrrev_b32_e32 v100, 16, v10
	s_and_saveexec_b32 s11, vcc_lo
	s_cbranch_execz .LBB365_45
; %bb.44:                               ;   in Loop: Header=BB365_29 Depth=1
	v_cmp_gt_i32_e64 s0, s27, v136
	s_wait_alu 0xf1ff
	s_delay_alu instid0(VALU_DEP_1) | instskip(SKIP_2) | instid1(VALU_DEP_1)
	v_cndmask_b32_e64 v105, 0, v105, s0
	v_cmp_gt_i32_e64 s0, s27, v142
	s_wait_alu 0xf1ff
	v_cndmask_b32_e64 v106, 0, v106, s0
	v_cmp_gt_i32_e64 s0, s27, v141
	s_wait_alu 0xf1ff
	s_delay_alu instid0(VALU_DEP_1) | instskip(SKIP_2) | instid1(VALU_DEP_1)
	v_cndmask_b32_e64 v103, 0, v103, s0
	v_cmp_gt_i32_e64 s0, s27, v140
	s_wait_alu 0xf1ff
	v_cndmask_b32_e64 v104, 0, v104, s0
	;; [unrolled: 7-line block ×4, first 2 shown]
.LBB365_45:                             ;   in Loop: Header=BB365_29 Depth=1
	s_wait_alu 0xfffe
	s_or_b32 exec_lo, exec_lo, s11
	global_load_b64 v[9:10], v[13:14], off offset:2048
	s_wait_loadcnt 0x0
	v_bfe_u32 v11, v9, 8, 8
	v_bfe_u32 v12, v9, 16, 8
	;; [unrolled: 1-line block ×4, first 2 shown]
	s_delay_alu instid0(VALU_DEP_4)
	v_cvt_f32_fp8_e32 v11, v11
	v_and_b32_e32 v0, 0xff, v9
	v_lshrrev_b32_e32 v9, 24, v9
	v_cvt_f32_fp8_e32 v12, v12
	v_cvt_f32_fp8_e32 v16, v16
	v_mul_f32_e32 v11, s6, v11
	v_cvt_f32_fp8_e32 v0, v0
	v_and_b32_e32 v15, 0xff, v10
	v_cvt_f32_fp8_e32 v9, v9
	v_mul_f32_e32 v12, s6, v12
	v_bfe_u32 v44, v11, 16, 1
	v_mul_f32_e32 v0, s6, v0
	v_cvt_f32_fp8_e32 v15, v15
	v_mul_f32_e32 v9, s6, v9
	v_or_b32_e32 v45, 0x400000, v11
	v_bfe_u32 v46, v12, 16, 1
	v_bfe_u32 v18, v0, 16, 1
	v_or_b32_e32 v43, 0x400000, v0
	v_cmp_u_f32_e64 s0, v0, v0
	v_add3_u32 v44, v44, v11, 0x7fff
	v_dual_mul_f32 v15, s6, v15 :: v_dual_mul_f32 v16, s6, v16
	v_add3_u32 v18, v18, v0, 0x7fff
	v_or_b32_e32 v47, 0x400000, v12
	v_bfe_u32 v48, v9, 16, 1
	v_add3_u32 v46, v46, v12, 0x7fff
	v_lshrrev_b32_e32 v10, 24, v10
	s_wait_alu 0xf1ff
	v_cndmask_b32_e64 v0, v18, v43, s0
	v_cmp_u_f32_e64 s0, v11, v11
	v_cvt_f32_fp8_e32 v17, v17
	v_or_b32_e32 v49, 0x400000, v9
	v_bfe_u32 v50, v15, 16, 1
	v_add3_u32 v48, v48, v9, 0x7fff
	s_wait_alu 0xf1ff
	v_cndmask_b32_e64 v11, v44, v45, s0
	v_cmp_u_f32_e64 s0, v12, v12
	v_cvt_f32_fp8_e32 v10, v10
	v_mul_f32_e32 v17, s6, v17
	v_or_b32_e32 v51, 0x400000, v15
	v_bfe_u32 v52, v16, 16, 1
	s_wait_alu 0xf1ff
	v_cndmask_b32_e64 v12, v46, v47, s0
	v_cmp_u_f32_e64 s0, v9, v9
	v_add3_u32 v50, v50, v15, 0x7fff
	v_mul_f32_e32 v10, s6, v10
	v_or_b32_e32 v53, 0x400000, v16
	v_bfe_u32 v54, v17, 16, 1
	s_wait_alu 0xf1ff
	v_cndmask_b32_e64 v9, v48, v49, s0
	v_cmp_u_f32_e64 s0, v15, v15
	v_add3_u32 v52, v52, v16, 0x7fff
	v_or_b32_e32 v55, 0x400000, v17
	v_bfe_u32 v56, v10, 16, 1
	v_add3_u32 v54, v54, v17, 0x7fff
	s_wait_alu 0xf1ff
	v_cndmask_b32_e64 v15, v50, v51, s0
	v_cmp_u_f32_e64 s0, v16, v16
	v_or_b32_e32 v57, 0x400000, v10
	v_add3_u32 v56, v56, v10, 0x7fff
	v_lshrrev_b32_e32 v113, 16, v0
	v_lshrrev_b32_e32 v114, 16, v11
	s_wait_alu 0xf1ff
	v_cndmask_b32_e64 v16, v52, v53, s0
	v_cmp_u_f32_e64 s0, v17, v17
	v_lshrrev_b32_e32 v111, 16, v12
	v_lshrrev_b32_e32 v112, 16, v9
	;; [unrolled: 1-line block ×4, first 2 shown]
	s_wait_alu 0xf1ff
	v_cndmask_b32_e64 v17, v54, v55, s0
	v_cmp_u_f32_e64 s0, v10, v10
	s_delay_alu instid0(VALU_DEP_2) | instskip(SKIP_1) | instid1(VALU_DEP_2)
	v_lshrrev_b32_e32 v107, 16, v17
	s_wait_alu 0xf1ff
	v_cndmask_b32_e64 v10, v56, v57, s0
	s_delay_alu instid0(VALU_DEP_1)
	v_lshrrev_b32_e32 v108, 16, v10
	s_and_saveexec_b32 s11, vcc_lo
	s_cbranch_execz .LBB365_47
; %bb.46:                               ;   in Loop: Header=BB365_29 Depth=1
	v_cmp_gt_i32_e64 s0, s27, v136
	s_wait_alu 0xf1ff
	s_delay_alu instid0(VALU_DEP_1) | instskip(SKIP_2) | instid1(VALU_DEP_1)
	v_cndmask_b32_e64 v113, 0, v113, s0
	v_cmp_gt_i32_e64 s0, s27, v142
	s_wait_alu 0xf1ff
	v_cndmask_b32_e64 v114, 0, v114, s0
	v_cmp_gt_i32_e64 s0, s27, v141
	s_wait_alu 0xf1ff
	s_delay_alu instid0(VALU_DEP_1) | instskip(SKIP_2) | instid1(VALU_DEP_1)
	v_cndmask_b32_e64 v111, 0, v111, s0
	v_cmp_gt_i32_e64 s0, s27, v140
	s_wait_alu 0xf1ff
	v_cndmask_b32_e64 v112, 0, v112, s0
	;; [unrolled: 7-line block ×4, first 2 shown]
.LBB365_47:                             ;   in Loop: Header=BB365_29 Depth=1
	s_wait_alu 0xfffe
	s_or_b32 exec_lo, exec_lo, s11
	global_load_b64 v[9:10], v[13:14], off offset:2304
	s_wait_loadcnt 0x0
	v_bfe_u32 v11, v9, 8, 8
	v_bfe_u32 v12, v9, 16, 8
	;; [unrolled: 1-line block ×4, first 2 shown]
	s_delay_alu instid0(VALU_DEP_4)
	v_cvt_f32_fp8_e32 v11, v11
	v_and_b32_e32 v0, 0xff, v9
	v_lshrrev_b32_e32 v9, 24, v9
	v_cvt_f32_fp8_e32 v12, v12
	v_cvt_f32_fp8_e32 v16, v16
	v_mul_f32_e32 v11, s6, v11
	v_cvt_f32_fp8_e32 v0, v0
	v_and_b32_e32 v15, 0xff, v10
	v_cvt_f32_fp8_e32 v9, v9
	v_mul_f32_e32 v12, s6, v12
	v_bfe_u32 v44, v11, 16, 1
	v_mul_f32_e32 v0, s6, v0
	v_cvt_f32_fp8_e32 v15, v15
	v_mul_f32_e32 v9, s6, v9
	v_or_b32_e32 v45, 0x400000, v11
	v_bfe_u32 v46, v12, 16, 1
	v_bfe_u32 v18, v0, 16, 1
	v_or_b32_e32 v43, 0x400000, v0
	v_cmp_u_f32_e64 s0, v0, v0
	v_add3_u32 v44, v44, v11, 0x7fff
	v_dual_mul_f32 v15, s6, v15 :: v_dual_mul_f32 v16, s6, v16
	v_add3_u32 v18, v18, v0, 0x7fff
	v_or_b32_e32 v47, 0x400000, v12
	v_bfe_u32 v48, v9, 16, 1
	v_add3_u32 v46, v46, v12, 0x7fff
	v_lshrrev_b32_e32 v10, 24, v10
	s_wait_alu 0xf1ff
	v_cndmask_b32_e64 v0, v18, v43, s0
	v_cmp_u_f32_e64 s0, v11, v11
	v_cvt_f32_fp8_e32 v17, v17
	v_or_b32_e32 v49, 0x400000, v9
	v_bfe_u32 v50, v15, 16, 1
	v_add3_u32 v48, v48, v9, 0x7fff
	s_wait_alu 0xf1ff
	v_cndmask_b32_e64 v11, v44, v45, s0
	v_cmp_u_f32_e64 s0, v12, v12
	v_cvt_f32_fp8_e32 v10, v10
	v_mul_f32_e32 v17, s6, v17
	v_or_b32_e32 v51, 0x400000, v15
	v_bfe_u32 v52, v16, 16, 1
	s_wait_alu 0xf1ff
	v_cndmask_b32_e64 v12, v46, v47, s0
	v_cmp_u_f32_e64 s0, v9, v9
	v_add3_u32 v50, v50, v15, 0x7fff
	v_mul_f32_e32 v10, s6, v10
	v_or_b32_e32 v53, 0x400000, v16
	v_bfe_u32 v54, v17, 16, 1
	s_wait_alu 0xf1ff
	v_cndmask_b32_e64 v9, v48, v49, s0
	v_cmp_u_f32_e64 s0, v15, v15
	v_add3_u32 v52, v52, v16, 0x7fff
	v_or_b32_e32 v55, 0x400000, v17
	v_bfe_u32 v56, v10, 16, 1
	v_add3_u32 v54, v54, v17, 0x7fff
	s_wait_alu 0xf1ff
	v_cndmask_b32_e64 v15, v50, v51, s0
	v_cmp_u_f32_e64 s0, v16, v16
	v_or_b32_e32 v57, 0x400000, v10
	v_add3_u32 v56, v56, v10, 0x7fff
	v_lshrrev_b32_e32 v121, 16, v0
	v_lshrrev_b32_e32 v122, 16, v11
	s_wait_alu 0xf1ff
	v_cndmask_b32_e64 v16, v52, v53, s0
	v_cmp_u_f32_e64 s0, v17, v17
	v_lshrrev_b32_e32 v119, 16, v12
	v_lshrrev_b32_e32 v120, 16, v9
	;; [unrolled: 1-line block ×4, first 2 shown]
	s_wait_alu 0xf1ff
	v_cndmask_b32_e64 v17, v54, v55, s0
	v_cmp_u_f32_e64 s0, v10, v10
	s_delay_alu instid0(VALU_DEP_2) | instskip(SKIP_1) | instid1(VALU_DEP_2)
	v_lshrrev_b32_e32 v115, 16, v17
	s_wait_alu 0xf1ff
	v_cndmask_b32_e64 v10, v56, v57, s0
	s_delay_alu instid0(VALU_DEP_1)
	v_lshrrev_b32_e32 v116, 16, v10
	s_and_saveexec_b32 s11, vcc_lo
	s_cbranch_execz .LBB365_49
; %bb.48:                               ;   in Loop: Header=BB365_29 Depth=1
	v_cmp_gt_i32_e64 s0, s27, v136
	s_wait_alu 0xf1ff
	s_delay_alu instid0(VALU_DEP_1) | instskip(SKIP_2) | instid1(VALU_DEP_1)
	v_cndmask_b32_e64 v121, 0, v121, s0
	v_cmp_gt_i32_e64 s0, s27, v142
	s_wait_alu 0xf1ff
	v_cndmask_b32_e64 v122, 0, v122, s0
	v_cmp_gt_i32_e64 s0, s27, v141
	s_wait_alu 0xf1ff
	s_delay_alu instid0(VALU_DEP_1) | instskip(SKIP_2) | instid1(VALU_DEP_1)
	v_cndmask_b32_e64 v119, 0, v119, s0
	v_cmp_gt_i32_e64 s0, s27, v140
	s_wait_alu 0xf1ff
	v_cndmask_b32_e64 v120, 0, v120, s0
	;; [unrolled: 7-line block ×4, first 2 shown]
.LBB365_49:                             ;   in Loop: Header=BB365_29 Depth=1
	s_wait_alu 0xfffe
	s_or_b32 exec_lo, exec_lo, s11
	global_load_b64 v[9:10], v[13:14], off offset:2560
	s_wait_loadcnt 0x0
	v_bfe_u32 v11, v9, 8, 8
	v_bfe_u32 v12, v9, 16, 8
	;; [unrolled: 1-line block ×4, first 2 shown]
	s_delay_alu instid0(VALU_DEP_4)
	v_cvt_f32_fp8_e32 v11, v11
	v_and_b32_e32 v0, 0xff, v9
	v_lshrrev_b32_e32 v9, 24, v9
	v_cvt_f32_fp8_e32 v12, v12
	v_cvt_f32_fp8_e32 v16, v16
	v_mul_f32_e32 v11, s6, v11
	v_cvt_f32_fp8_e32 v0, v0
	v_and_b32_e32 v15, 0xff, v10
	v_cvt_f32_fp8_e32 v9, v9
	v_mul_f32_e32 v12, s6, v12
	v_bfe_u32 v44, v11, 16, 1
	v_mul_f32_e32 v0, s6, v0
	v_cvt_f32_fp8_e32 v15, v15
	v_mul_f32_e32 v9, s6, v9
	v_or_b32_e32 v45, 0x400000, v11
	v_bfe_u32 v46, v12, 16, 1
	v_bfe_u32 v18, v0, 16, 1
	v_or_b32_e32 v43, 0x400000, v0
	v_cmp_u_f32_e64 s0, v0, v0
	v_add3_u32 v44, v44, v11, 0x7fff
	v_dual_mul_f32 v15, s6, v15 :: v_dual_mul_f32 v16, s6, v16
	v_add3_u32 v18, v18, v0, 0x7fff
	v_or_b32_e32 v47, 0x400000, v12
	v_bfe_u32 v48, v9, 16, 1
	v_add3_u32 v46, v46, v12, 0x7fff
	v_lshrrev_b32_e32 v10, 24, v10
	s_wait_alu 0xf1ff
	v_cndmask_b32_e64 v0, v18, v43, s0
	v_cmp_u_f32_e64 s0, v11, v11
	v_cvt_f32_fp8_e32 v17, v17
	v_or_b32_e32 v49, 0x400000, v9
	v_bfe_u32 v50, v15, 16, 1
	v_add3_u32 v48, v48, v9, 0x7fff
	s_wait_alu 0xf1ff
	v_cndmask_b32_e64 v11, v44, v45, s0
	v_cmp_u_f32_e64 s0, v12, v12
	v_cvt_f32_fp8_e32 v10, v10
	v_mul_f32_e32 v17, s6, v17
	v_or_b32_e32 v51, 0x400000, v15
	v_bfe_u32 v52, v16, 16, 1
	s_wait_alu 0xf1ff
	v_cndmask_b32_e64 v12, v46, v47, s0
	v_cmp_u_f32_e64 s0, v9, v9
	v_add3_u32 v50, v50, v15, 0x7fff
	v_mul_f32_e32 v10, s6, v10
	v_or_b32_e32 v53, 0x400000, v16
	v_bfe_u32 v54, v17, 16, 1
	s_wait_alu 0xf1ff
	v_cndmask_b32_e64 v9, v48, v49, s0
	v_cmp_u_f32_e64 s0, v15, v15
	v_add3_u32 v52, v52, v16, 0x7fff
	v_or_b32_e32 v55, 0x400000, v17
	v_bfe_u32 v56, v10, 16, 1
	v_add3_u32 v54, v54, v17, 0x7fff
	s_wait_alu 0xf1ff
	v_cndmask_b32_e64 v18, v50, v51, s0
	v_cmp_u_f32_e64 s0, v16, v16
	v_or_b32_e32 v57, 0x400000, v10
	v_add3_u32 v56, v56, v10, 0x7fff
	v_lshrrev_b32_e32 v15, 16, v0
	v_lshrrev_b32_e32 v16, 16, v11
	s_wait_alu 0xf1ff
	v_cndmask_b32_e64 v43, v52, v53, s0
	v_cmp_u_f32_e64 s0, v17, v17
	v_lshrrev_b32_e32 v127, 16, v12
	v_lshrrev_b32_e32 v128, 16, v9
	v_lshrrev_b32_e32 v125, 16, v18
	v_lshrrev_b32_e32 v126, 16, v43
	s_wait_alu 0xf1ff
	v_cndmask_b32_e64 v17, v54, v55, s0
	v_cmp_u_f32_e64 s0, v10, v10
	s_delay_alu instid0(VALU_DEP_2) | instskip(SKIP_1) | instid1(VALU_DEP_2)
	v_lshrrev_b32_e32 v123, 16, v17
	s_wait_alu 0xf1ff
	v_cndmask_b32_e64 v10, v56, v57, s0
	s_delay_alu instid0(VALU_DEP_1)
	v_lshrrev_b32_e32 v124, 16, v10
	s_and_saveexec_b32 s11, vcc_lo
	s_cbranch_execz .LBB365_51
; %bb.50:                               ;   in Loop: Header=BB365_29 Depth=1
	v_cmp_gt_i32_e64 s0, s27, v136
	s_wait_alu 0xf1ff
	s_delay_alu instid0(VALU_DEP_1) | instskip(SKIP_2) | instid1(VALU_DEP_1)
	v_cndmask_b32_e64 v15, 0, v15, s0
	v_cmp_gt_i32_e64 s0, s27, v142
	s_wait_alu 0xf1ff
	v_cndmask_b32_e64 v16, 0, v16, s0
	v_cmp_gt_i32_e64 s0, s27, v141
	s_wait_alu 0xf1ff
	s_delay_alu instid0(VALU_DEP_1) | instskip(SKIP_2) | instid1(VALU_DEP_1)
	v_cndmask_b32_e64 v127, 0, v127, s0
	v_cmp_gt_i32_e64 s0, s27, v140
	s_wait_alu 0xf1ff
	v_cndmask_b32_e64 v128, 0, v128, s0
	;; [unrolled: 7-line block ×4, first 2 shown]
.LBB365_51:                             ;   in Loop: Header=BB365_29 Depth=1
	s_wait_alu 0xfffe
	s_or_b32 exec_lo, exec_lo, s11
	global_load_b64 v[9:10], v[13:14], off offset:2816
	s_wait_loadcnt 0x0
	v_bfe_u32 v11, v9, 8, 8
	v_bfe_u32 v12, v9, 16, 8
	;; [unrolled: 1-line block ×4, first 2 shown]
	s_delay_alu instid0(VALU_DEP_4)
	v_cvt_f32_fp8_e32 v11, v11
	v_and_b32_e32 v0, 0xff, v9
	v_lshrrev_b32_e32 v9, 24, v9
	v_cvt_f32_fp8_e32 v12, v12
	v_cvt_f32_fp8_e32 v18, v18
	v_mul_f32_e32 v11, s6, v11
	v_cvt_f32_fp8_e32 v0, v0
	v_and_b32_e32 v17, 0xff, v10
	v_cvt_f32_fp8_e32 v9, v9
	v_mul_f32_e32 v12, s6, v12
	v_bfe_u32 v46, v11, 16, 1
	v_mul_f32_e32 v0, s6, v0
	v_cvt_f32_fp8_e32 v17, v17
	v_mul_f32_e32 v9, s6, v9
	v_or_b32_e32 v47, 0x400000, v11
	v_bfe_u32 v48, v12, 16, 1
	v_bfe_u32 v44, v0, 16, 1
	v_or_b32_e32 v45, 0x400000, v0
	v_cmp_u_f32_e64 s0, v0, v0
	v_add3_u32 v46, v46, v11, 0x7fff
	v_dual_mul_f32 v17, s6, v17 :: v_dual_mul_f32 v18, s6, v18
	v_add3_u32 v44, v44, v0, 0x7fff
	v_or_b32_e32 v49, 0x400000, v12
	v_bfe_u32 v50, v9, 16, 1
	v_add3_u32 v48, v48, v12, 0x7fff
	v_lshrrev_b32_e32 v10, 24, v10
	s_wait_alu 0xf1ff
	v_cndmask_b32_e64 v0, v44, v45, s0
	v_cmp_u_f32_e64 s0, v11, v11
	v_cvt_f32_fp8_e32 v43, v43
	v_or_b32_e32 v51, 0x400000, v9
	v_bfe_u32 v52, v17, 16, 1
	v_add3_u32 v50, v50, v9, 0x7fff
	s_wait_alu 0xf1ff
	v_cndmask_b32_e64 v11, v46, v47, s0
	v_cmp_u_f32_e64 s0, v12, v12
	v_cvt_f32_fp8_e32 v10, v10
	v_mul_f32_e32 v43, s6, v43
	v_or_b32_e32 v53, 0x400000, v17
	v_bfe_u32 v54, v18, 16, 1
	s_wait_alu 0xf1ff
	v_cndmask_b32_e64 v12, v48, v49, s0
	v_cmp_u_f32_e64 s0, v9, v9
	v_add3_u32 v52, v52, v17, 0x7fff
	v_mul_f32_e32 v10, s6, v10
	v_or_b32_e32 v55, 0x400000, v18
	v_bfe_u32 v56, v43, 16, 1
	s_wait_alu 0xf1ff
	v_cndmask_b32_e64 v9, v50, v51, s0
	v_cmp_u_f32_e64 s0, v17, v17
	v_add3_u32 v54, v54, v18, 0x7fff
	v_or_b32_e32 v57, 0x400000, v43
	v_bfe_u32 v58, v10, 16, 1
	v_add3_u32 v56, v56, v43, 0x7fff
	s_wait_alu 0xf1ff
	v_cndmask_b32_e64 v17, v52, v53, s0
	v_cmp_u_f32_e64 s0, v18, v18
	v_or_b32_e32 v59, 0x400000, v10
	v_add3_u32 v58, v58, v10, 0x7fff
	v_lshrrev_b32_e32 v134, 16, v0
	v_lshrrev_b32_e32 v135, 16, v11
	s_wait_alu 0xf1ff
	v_cndmask_b32_e64 v18, v54, v55, s0
	v_cmp_u_f32_e64 s0, v43, v43
	v_lshrrev_b32_e32 v132, 16, v12
	v_lshrrev_b32_e32 v133, 16, v9
	v_lshrrev_b32_e32 v130, 16, v17
	v_lshrrev_b32_e32 v131, 16, v18
	s_wait_alu 0xf1ff
	v_cndmask_b32_e64 v43, v56, v57, s0
	v_cmp_u_f32_e64 s0, v10, v10
	s_delay_alu instid0(VALU_DEP_2) | instskip(SKIP_1) | instid1(VALU_DEP_2)
	v_lshrrev_b32_e32 v0, 16, v43
	s_wait_alu 0xf1ff
	v_cndmask_b32_e64 v10, v58, v59, s0
	s_delay_alu instid0(VALU_DEP_1)
	v_lshrrev_b32_e32 v129, 16, v10
	s_and_saveexec_b32 s11, vcc_lo
	s_cbranch_execz .LBB365_53
; %bb.52:                               ;   in Loop: Header=BB365_29 Depth=1
	v_cmp_gt_i32_e64 s0, s27, v136
	s_wait_alu 0xf1ff
	s_delay_alu instid0(VALU_DEP_1) | instskip(SKIP_2) | instid1(VALU_DEP_1)
	v_cndmask_b32_e64 v134, 0, v134, s0
	v_cmp_gt_i32_e64 s0, s27, v142
	s_wait_alu 0xf1ff
	v_cndmask_b32_e64 v135, 0, v135, s0
	v_cmp_gt_i32_e64 s0, s27, v141
	s_wait_alu 0xf1ff
	s_delay_alu instid0(VALU_DEP_1) | instskip(SKIP_2) | instid1(VALU_DEP_1)
	v_cndmask_b32_e64 v132, 0, v132, s0
	v_cmp_gt_i32_e64 s0, s27, v140
	s_wait_alu 0xf1ff
	v_cndmask_b32_e64 v133, 0, v133, s0
	v_cmp_gt_i32_e64 s0, s27, v139
	s_wait_alu 0xf1ff
	s_delay_alu instid0(VALU_DEP_1) | instskip(SKIP_2) | instid1(VALU_DEP_1)
	v_cndmask_b32_e64 v130, 0, v130, s0
	v_cmp_gt_i32_e64 s0, s27, v138
	s_wait_alu 0xf1ff
	v_cndmask_b32_e64 v131, 0, v131, s0
	v_cmp_gt_i32_e64 s0, s27, v137
	s_wait_alu 0xf1ff
	s_delay_alu instid0(VALU_DEP_1) | instskip(SKIP_2) | instid1(VALU_DEP_1)
	v_cndmask_b32_e64 v0, 0, v0, s0
	v_cmp_gt_i32_e64 s0, s27, v147
	s_wait_alu 0xf1ff
	v_cndmask_b32_e64 v129, 0, v129, s0
.LBB365_53:                             ;   in Loop: Header=BB365_29 Depth=1
	s_wait_alu 0xfffe
	s_or_b32 exec_lo, exec_lo, s11
	global_load_b64 v[9:10], v[13:14], off offset:3072
	s_wait_loadcnt 0x0
	v_bfe_u32 v12, v9, 8, 8
	v_bfe_u32 v17, v9, 16, 8
	;; [unrolled: 1-line block ×4, first 2 shown]
	s_delay_alu instid0(VALU_DEP_4)
	v_cvt_f32_fp8_e32 v12, v12
	v_and_b32_e32 v11, 0xff, v9
	v_lshrrev_b32_e32 v9, 24, v9
	v_cvt_f32_fp8_e32 v17, v17
	v_cvt_f32_fp8_e32 v44, v44
	v_mul_f32_e32 v12, s6, v12
	v_cvt_f32_fp8_e32 v11, v11
	v_and_b32_e32 v18, 0xff, v10
	v_cvt_f32_fp8_e32 v9, v9
	v_lshrrev_b32_e32 v10, 24, v10
	v_bfe_u32 v47, v12, 16, 1
	v_mul_f32_e32 v11, s6, v11
	v_cvt_f32_fp8_e32 v18, v18
	v_mul_f32_e32 v17, s6, v17
	v_dual_mul_f32 v9, s6, v9 :: v_dual_mul_f32 v44, s6, v44
	s_delay_alu instid0(VALU_DEP_4)
	v_bfe_u32 v45, v11, 16, 1
	v_or_b32_e32 v46, 0x400000, v11
	v_cmp_u_f32_e64 s0, v11, v11
	v_mul_f32_e32 v18, s6, v18
	v_or_b32_e32 v48, 0x400000, v12
	v_add3_u32 v45, v45, v11, 0x7fff
	v_bfe_u32 v49, v17, 16, 1
	v_add3_u32 v47, v47, v12, 0x7fff
	v_cvt_f32_fp8_e32 v43, v43
	v_or_b32_e32 v50, 0x400000, v17
	s_wait_alu 0xf1ff
	v_cndmask_b32_e64 v11, v45, v46, s0
	v_cmp_u_f32_e64 s0, v12, v12
	v_bfe_u32 v51, v9, 16, 1
	v_add3_u32 v49, v49, v17, 0x7fff
	v_cvt_f32_fp8_e32 v10, v10
	v_mul_f32_e32 v43, s6, v43
	s_wait_alu 0xf1ff
	v_cndmask_b32_e64 v12, v47, v48, s0
	v_cmp_u_f32_e64 s0, v17, v17
	v_or_b32_e32 v52, 0x400000, v9
	v_bfe_u32 v53, v18, 16, 1
	v_add3_u32 v51, v51, v9, 0x7fff
	v_mul_f32_e32 v10, s6, v10
	s_wait_alu 0xf1ff
	v_cndmask_b32_e64 v17, v49, v50, s0
	v_cmp_u_f32_e64 s0, v9, v9
	v_or_b32_e32 v54, 0x400000, v18
	v_bfe_u32 v55, v43, 16, 1
	v_add3_u32 v53, v53, v18, 0x7fff
	v_or_b32_e32 v56, 0x400000, v43
	s_wait_alu 0xf1ff
	v_cndmask_b32_e64 v9, v51, v52, s0
	v_cmp_u_f32_e64 s0, v18, v18
	v_bfe_u32 v57, v44, 16, 1
	v_add3_u32 v55, v55, v43, 0x7fff
	v_or_b32_e32 v58, 0x400000, v44
	v_bfe_u32 v59, v10, 16, 1
	s_wait_alu 0xf1ff
	v_cndmask_b32_e64 v18, v53, v54, s0
	v_cmp_u_f32_e64 s0, v43, v43
	v_add3_u32 v57, v57, v44, 0x7fff
	v_or_b32_e32 v60, 0x400000, v10
	v_add3_u32 v59, v59, v10, 0x7fff
	v_lshrrev_b32_e32 v150, 16, v11
	s_wait_alu 0xf1ff
	v_cndmask_b32_e64 v43, v55, v56, s0
	v_cmp_u_f32_e64 s0, v44, v44
	v_lshrrev_b32_e32 v151, 16, v12
	v_lshrrev_b32_e32 v148, 16, v17
	;; [unrolled: 1-line block ×4, first 2 shown]
	s_wait_alu 0xf1ff
	v_cndmask_b32_e64 v44, v57, v58, s0
	v_cmp_u_f32_e64 s0, v10, v10
	v_lshrrev_b32_e32 v146, 16, v43
	s_delay_alu instid0(VALU_DEP_3) | instskip(SKIP_1) | instid1(VALU_DEP_3)
	v_lshrrev_b32_e32 v143, 16, v44
	s_wait_alu 0xf1ff
	v_cndmask_b32_e64 v10, v59, v60, s0
	s_delay_alu instid0(VALU_DEP_1)
	v_lshrrev_b32_e32 v144, 16, v10
	s_and_saveexec_b32 s11, vcc_lo
	s_cbranch_execz .LBB365_55
; %bb.54:                               ;   in Loop: Header=BB365_29 Depth=1
	v_cmp_gt_i32_e64 s0, s27, v136
	s_wait_alu 0xf1ff
	s_delay_alu instid0(VALU_DEP_1) | instskip(SKIP_2) | instid1(VALU_DEP_1)
	v_cndmask_b32_e64 v150, 0, v150, s0
	v_cmp_gt_i32_e64 s0, s27, v142
	s_wait_alu 0xf1ff
	v_cndmask_b32_e64 v151, 0, v151, s0
	v_cmp_gt_i32_e64 s0, s27, v141
	s_wait_alu 0xf1ff
	s_delay_alu instid0(VALU_DEP_1) | instskip(SKIP_2) | instid1(VALU_DEP_1)
	v_cndmask_b32_e64 v148, 0, v148, s0
	v_cmp_gt_i32_e64 s0, s27, v140
	s_wait_alu 0xf1ff
	v_cndmask_b32_e64 v149, 0, v149, s0
	;; [unrolled: 7-line block ×4, first 2 shown]
.LBB365_55:                             ;   in Loop: Header=BB365_29 Depth=1
	s_wait_alu 0xfffe
	s_or_b32 exec_lo, exec_lo, s11
	global_load_b64 v[9:10], v[13:14], off offset:3328
	s_wait_loadcnt 0x0
	v_bfe_u32 v12, v9, 8, 8
	v_bfe_u32 v17, v9, 16, 8
	;; [unrolled: 1-line block ×4, first 2 shown]
	s_delay_alu instid0(VALU_DEP_4)
	v_cvt_f32_fp8_e32 v12, v12
	v_and_b32_e32 v11, 0xff, v9
	v_lshrrev_b32_e32 v9, 24, v9
	v_cvt_f32_fp8_e32 v17, v17
	v_cvt_f32_fp8_e32 v44, v44
	v_mul_f32_e32 v12, s6, v12
	v_cvt_f32_fp8_e32 v11, v11
	v_and_b32_e32 v18, 0xff, v10
	v_cvt_f32_fp8_e32 v9, v9
	v_lshrrev_b32_e32 v10, 24, v10
	v_bfe_u32 v47, v12, 16, 1
	v_mul_f32_e32 v11, s6, v11
	v_cvt_f32_fp8_e32 v18, v18
	v_mul_f32_e32 v17, s6, v17
	v_dual_mul_f32 v9, s6, v9 :: v_dual_mul_f32 v44, s6, v44
	s_delay_alu instid0(VALU_DEP_4)
	v_bfe_u32 v45, v11, 16, 1
	v_or_b32_e32 v46, 0x400000, v11
	v_cmp_u_f32_e64 s0, v11, v11
	v_mul_f32_e32 v18, s6, v18
	v_or_b32_e32 v48, 0x400000, v12
	v_add3_u32 v45, v45, v11, 0x7fff
	v_bfe_u32 v49, v17, 16, 1
	v_add3_u32 v47, v47, v12, 0x7fff
	v_cvt_f32_fp8_e32 v43, v43
	v_or_b32_e32 v50, 0x400000, v17
	s_wait_alu 0xf1ff
	v_cndmask_b32_e64 v11, v45, v46, s0
	v_cmp_u_f32_e64 s0, v12, v12
	v_bfe_u32 v51, v9, 16, 1
	v_add3_u32 v49, v49, v17, 0x7fff
	v_cvt_f32_fp8_e32 v10, v10
	v_mul_f32_e32 v43, s6, v43
	s_wait_alu 0xf1ff
	v_cndmask_b32_e64 v12, v47, v48, s0
	v_cmp_u_f32_e64 s0, v17, v17
	v_or_b32_e32 v52, 0x400000, v9
	v_bfe_u32 v53, v18, 16, 1
	v_add3_u32 v51, v51, v9, 0x7fff
	v_mul_f32_e32 v10, s6, v10
	s_wait_alu 0xf1ff
	v_cndmask_b32_e64 v17, v49, v50, s0
	v_cmp_u_f32_e64 s0, v9, v9
	v_or_b32_e32 v54, 0x400000, v18
	v_bfe_u32 v55, v43, 16, 1
	v_add3_u32 v53, v53, v18, 0x7fff
	v_or_b32_e32 v56, 0x400000, v43
	s_wait_alu 0xf1ff
	v_cndmask_b32_e64 v9, v51, v52, s0
	v_cmp_u_f32_e64 s0, v18, v18
	v_bfe_u32 v57, v44, 16, 1
	v_add3_u32 v55, v55, v43, 0x7fff
	v_or_b32_e32 v58, 0x400000, v44
	v_bfe_u32 v59, v10, 16, 1
	s_wait_alu 0xf1ff
	v_cndmask_b32_e64 v18, v53, v54, s0
	v_cmp_u_f32_e64 s0, v43, v43
	v_add3_u32 v57, v57, v44, 0x7fff
	v_or_b32_e32 v60, 0x400000, v10
	v_add3_u32 v59, v59, v10, 0x7fff
	v_lshrrev_b32_e32 v158, 16, v11
	s_wait_alu 0xf1ff
	v_cndmask_b32_e64 v43, v55, v56, s0
	v_cmp_u_f32_e64 s0, v44, v44
	v_lshrrev_b32_e32 v159, 16, v12
	v_lshrrev_b32_e32 v156, 16, v17
	;; [unrolled: 1-line block ×4, first 2 shown]
	s_wait_alu 0xf1ff
	v_cndmask_b32_e64 v44, v57, v58, s0
	v_cmp_u_f32_e64 s0, v10, v10
	v_lshrrev_b32_e32 v155, 16, v43
	s_delay_alu instid0(VALU_DEP_3) | instskip(SKIP_1) | instid1(VALU_DEP_3)
	v_lshrrev_b32_e32 v152, 16, v44
	s_wait_alu 0xf1ff
	v_cndmask_b32_e64 v10, v59, v60, s0
	s_delay_alu instid0(VALU_DEP_1)
	v_lshrrev_b32_e32 v153, 16, v10
	s_and_saveexec_b32 s11, vcc_lo
	s_cbranch_execz .LBB365_57
; %bb.56:                               ;   in Loop: Header=BB365_29 Depth=1
	v_cmp_gt_i32_e64 s0, s27, v136
	s_wait_alu 0xf1ff
	s_delay_alu instid0(VALU_DEP_1) | instskip(SKIP_2) | instid1(VALU_DEP_1)
	v_cndmask_b32_e64 v158, 0, v158, s0
	v_cmp_gt_i32_e64 s0, s27, v142
	s_wait_alu 0xf1ff
	v_cndmask_b32_e64 v159, 0, v159, s0
	v_cmp_gt_i32_e64 s0, s27, v141
	s_wait_alu 0xf1ff
	s_delay_alu instid0(VALU_DEP_1) | instskip(SKIP_2) | instid1(VALU_DEP_1)
	v_cndmask_b32_e64 v156, 0, v156, s0
	v_cmp_gt_i32_e64 s0, s27, v140
	s_wait_alu 0xf1ff
	v_cndmask_b32_e64 v157, 0, v157, s0
	;; [unrolled: 7-line block ×4, first 2 shown]
.LBB365_57:                             ;   in Loop: Header=BB365_29 Depth=1
	s_wait_alu 0xfffe
	s_or_b32 exec_lo, exec_lo, s11
	global_load_b64 v[9:10], v[13:14], off offset:3584
	s_wait_loadcnt 0x0
	v_bfe_u32 v12, v9, 8, 8
	v_bfe_u32 v17, v9, 16, 8
	;; [unrolled: 1-line block ×4, first 2 shown]
	s_delay_alu instid0(VALU_DEP_4)
	v_cvt_f32_fp8_e32 v12, v12
	v_and_b32_e32 v11, 0xff, v9
	v_lshrrev_b32_e32 v9, 24, v9
	v_cvt_f32_fp8_e32 v17, v17
	v_cvt_f32_fp8_e32 v44, v44
	v_mul_f32_e32 v12, s6, v12
	v_cvt_f32_fp8_e32 v11, v11
	v_and_b32_e32 v18, 0xff, v10
	v_cvt_f32_fp8_e32 v9, v9
	v_lshrrev_b32_e32 v10, 24, v10
	v_bfe_u32 v47, v12, 16, 1
	v_mul_f32_e32 v11, s6, v11
	v_cvt_f32_fp8_e32 v18, v18
	v_mul_f32_e32 v17, s6, v17
	v_dual_mul_f32 v9, s6, v9 :: v_dual_mul_f32 v44, s6, v44
	s_delay_alu instid0(VALU_DEP_4)
	v_bfe_u32 v45, v11, 16, 1
	v_or_b32_e32 v46, 0x400000, v11
	v_cmp_u_f32_e64 s0, v11, v11
	v_mul_f32_e32 v18, s6, v18
	v_or_b32_e32 v48, 0x400000, v12
	v_add3_u32 v45, v45, v11, 0x7fff
	v_bfe_u32 v49, v17, 16, 1
	v_add3_u32 v47, v47, v12, 0x7fff
	v_cvt_f32_fp8_e32 v43, v43
	v_or_b32_e32 v50, 0x400000, v17
	s_wait_alu 0xf1ff
	v_cndmask_b32_e64 v11, v45, v46, s0
	v_cmp_u_f32_e64 s0, v12, v12
	v_bfe_u32 v51, v9, 16, 1
	v_add3_u32 v49, v49, v17, 0x7fff
	v_cvt_f32_fp8_e32 v10, v10
	v_mul_f32_e32 v43, s6, v43
	s_wait_alu 0xf1ff
	v_cndmask_b32_e64 v12, v47, v48, s0
	v_cmp_u_f32_e64 s0, v17, v17
	v_or_b32_e32 v52, 0x400000, v9
	v_bfe_u32 v53, v18, 16, 1
	v_add3_u32 v51, v51, v9, 0x7fff
	v_mul_f32_e32 v10, s6, v10
	s_wait_alu 0xf1ff
	v_cndmask_b32_e64 v17, v49, v50, s0
	v_cmp_u_f32_e64 s0, v9, v9
	v_or_b32_e32 v54, 0x400000, v18
	v_bfe_u32 v55, v43, 16, 1
	v_add3_u32 v53, v53, v18, 0x7fff
	v_or_b32_e32 v56, 0x400000, v43
	s_wait_alu 0xf1ff
	v_cndmask_b32_e64 v9, v51, v52, s0
	v_cmp_u_f32_e64 s0, v18, v18
	v_bfe_u32 v57, v44, 16, 1
	v_add3_u32 v55, v55, v43, 0x7fff
	v_or_b32_e32 v58, 0x400000, v44
	v_bfe_u32 v59, v10, 16, 1
	s_wait_alu 0xf1ff
	v_cndmask_b32_e64 v18, v53, v54, s0
	v_cmp_u_f32_e64 s0, v43, v43
	v_add3_u32 v57, v57, v44, 0x7fff
	v_or_b32_e32 v60, 0x400000, v10
	v_add3_u32 v59, v59, v10, 0x7fff
	v_lshrrev_b32_e32 v166, 16, v11
	s_wait_alu 0xf1ff
	v_cndmask_b32_e64 v43, v55, v56, s0
	v_cmp_u_f32_e64 s0, v44, v44
	v_lshrrev_b32_e32 v167, 16, v12
	v_lshrrev_b32_e32 v164, 16, v17
	;; [unrolled: 1-line block ×4, first 2 shown]
	s_wait_alu 0xf1ff
	v_cndmask_b32_e64 v44, v57, v58, s0
	v_cmp_u_f32_e64 s0, v10, v10
	v_lshrrev_b32_e32 v163, 16, v43
	s_delay_alu instid0(VALU_DEP_3) | instskip(SKIP_1) | instid1(VALU_DEP_3)
	v_lshrrev_b32_e32 v160, 16, v44
	s_wait_alu 0xf1ff
	v_cndmask_b32_e64 v10, v59, v60, s0
	s_delay_alu instid0(VALU_DEP_1)
	v_lshrrev_b32_e32 v161, 16, v10
	s_and_saveexec_b32 s11, vcc_lo
	s_cbranch_execz .LBB365_59
; %bb.58:                               ;   in Loop: Header=BB365_29 Depth=1
	v_cmp_gt_i32_e64 s0, s27, v136
	s_wait_alu 0xf1ff
	s_delay_alu instid0(VALU_DEP_1) | instskip(SKIP_2) | instid1(VALU_DEP_1)
	v_cndmask_b32_e64 v166, 0, v166, s0
	v_cmp_gt_i32_e64 s0, s27, v142
	s_wait_alu 0xf1ff
	v_cndmask_b32_e64 v167, 0, v167, s0
	v_cmp_gt_i32_e64 s0, s27, v141
	s_wait_alu 0xf1ff
	s_delay_alu instid0(VALU_DEP_1) | instskip(SKIP_2) | instid1(VALU_DEP_1)
	v_cndmask_b32_e64 v164, 0, v164, s0
	v_cmp_gt_i32_e64 s0, s27, v140
	s_wait_alu 0xf1ff
	v_cndmask_b32_e64 v165, 0, v165, s0
	;; [unrolled: 7-line block ×4, first 2 shown]
.LBB365_59:                             ;   in Loop: Header=BB365_29 Depth=1
	s_wait_alu 0xfffe
	s_or_b32 exec_lo, exec_lo, s11
	global_load_b64 v[9:10], v[13:14], off offset:3840
	s_wait_loadcnt 0x0
	v_and_b32_e32 v11, 0xff, v9
	s_delay_alu instid0(VALU_DEP_1) | instskip(NEXT) | instid1(VALU_DEP_1)
	v_cvt_f32_fp8_e32 v11, v11
	v_mul_f32_e32 v11, s6, v11
	s_delay_alu instid0(VALU_DEP_1) | instskip(SKIP_2) | instid1(VALU_DEP_3)
	v_bfe_u32 v12, v11, 16, 1
	v_or_b32_e32 v17, 0x400000, v11
	v_cmp_u_f32_e64 s0, v11, v11
	v_add3_u32 v12, v12, v11, 0x7fff
	s_wait_alu 0xf1ff
	s_delay_alu instid0(VALU_DEP_1) | instskip(NEXT) | instid1(VALU_DEP_1)
	v_cndmask_b32_e64 v11, v12, v17, s0
	v_lshrrev_b32_e32 v174, 16, v11
	v_bfe_u32 v11, v9, 8, 8
	s_delay_alu instid0(VALU_DEP_1) | instskip(NEXT) | instid1(VALU_DEP_1)
	v_cvt_f32_fp8_e32 v11, v11
	v_mul_f32_e32 v11, s6, v11
	s_delay_alu instid0(VALU_DEP_1) | instskip(SKIP_2) | instid1(VALU_DEP_3)
	v_bfe_u32 v12, v11, 16, 1
	v_or_b32_e32 v17, 0x400000, v11
	v_cmp_u_f32_e64 s0, v11, v11
	v_add3_u32 v12, v12, v11, 0x7fff
	s_wait_alu 0xf1ff
	s_delay_alu instid0(VALU_DEP_1) | instskip(NEXT) | instid1(VALU_DEP_1)
	v_cndmask_b32_e64 v11, v12, v17, s0
	v_lshrrev_b32_e32 v176, 16, v11
	v_bfe_u32 v11, v9, 16, 8
	v_lshrrev_b32_e32 v9, 24, v9
	s_delay_alu instid0(VALU_DEP_2) | instskip(NEXT) | instid1(VALU_DEP_2)
	v_cvt_f32_fp8_e32 v11, v11
	v_cvt_f32_fp8_e32 v9, v9
	s_delay_alu instid0(VALU_DEP_2) | instskip(NEXT) | instid1(VALU_DEP_2)
	v_mul_f32_e32 v11, s6, v11
	v_mul_f32_e32 v9, s6, v9
	s_delay_alu instid0(VALU_DEP_2) | instskip(SKIP_2) | instid1(VALU_DEP_3)
	v_bfe_u32 v12, v11, 16, 1
	v_or_b32_e32 v17, 0x400000, v11
	v_cmp_u_f32_e64 s0, v11, v11
	v_add3_u32 v12, v12, v11, 0x7fff
	s_wait_alu 0xf1ff
	s_delay_alu instid0(VALU_DEP_1) | instskip(SKIP_2) | instid1(VALU_DEP_3)
	v_cndmask_b32_e64 v11, v12, v17, s0
	v_or_b32_e32 v12, 0x400000, v9
	v_cmp_u_f32_e64 s0, v9, v9
	v_lshrrev_b32_e32 v175, 16, v11
	v_bfe_u32 v11, v9, 16, 1
	s_delay_alu instid0(VALU_DEP_1) | instskip(SKIP_1) | instid1(VALU_DEP_1)
	v_add3_u32 v11, v11, v9, 0x7fff
	s_wait_alu 0xf1ff
	v_cndmask_b32_e64 v9, v11, v12, s0
	s_delay_alu instid0(VALU_DEP_1) | instskip(SKIP_1) | instid1(VALU_DEP_1)
	v_lshrrev_b32_e32 v178, 16, v9
	v_and_b32_e32 v9, 0xff, v10
	v_cvt_f32_fp8_e32 v9, v9
	s_delay_alu instid0(VALU_DEP_1) | instskip(NEXT) | instid1(VALU_DEP_1)
	v_mul_f32_e32 v9, s6, v9
	v_bfe_u32 v11, v9, 16, 1
	v_or_b32_e32 v12, 0x400000, v9
	v_cmp_u_f32_e64 s0, v9, v9
	s_delay_alu instid0(VALU_DEP_3) | instskip(SKIP_1) | instid1(VALU_DEP_1)
	v_add3_u32 v11, v11, v9, 0x7fff
	s_wait_alu 0xf1ff
	v_cndmask_b32_e64 v9, v11, v12, s0
	s_delay_alu instid0(VALU_DEP_1) | instskip(SKIP_1) | instid1(VALU_DEP_1)
	v_lshrrev_b32_e32 v177, 16, v9
	v_bfe_u32 v9, v10, 8, 8
	v_cvt_f32_fp8_e32 v9, v9
	s_delay_alu instid0(VALU_DEP_1) | instskip(NEXT) | instid1(VALU_DEP_1)
	v_mul_f32_e32 v9, s6, v9
	v_bfe_u32 v11, v9, 16, 1
	v_or_b32_e32 v12, 0x400000, v9
	v_cmp_u_f32_e64 s0, v9, v9
	s_delay_alu instid0(VALU_DEP_3) | instskip(SKIP_1) | instid1(VALU_DEP_1)
	v_add3_u32 v11, v11, v9, 0x7fff
	s_wait_alu 0xf1ff
	v_cndmask_b32_e64 v9, v11, v12, s0
	s_delay_alu instid0(VALU_DEP_1) | instskip(SKIP_1) | instid1(VALU_DEP_1)
	v_lshrrev_b32_e32 v180, 16, v9
	v_bfe_u32 v9, v10, 16, 8
	v_cvt_f32_fp8_e32 v9, v9
	s_delay_alu instid0(VALU_DEP_1) | instskip(NEXT) | instid1(VALU_DEP_1)
	v_mul_f32_e32 v9, s6, v9
	v_bfe_u32 v11, v9, 16, 1
	v_or_b32_e32 v12, 0x400000, v9
	v_cmp_u_f32_e64 s0, v9, v9
	s_delay_alu instid0(VALU_DEP_3) | instskip(SKIP_1) | instid1(VALU_DEP_1)
	v_add3_u32 v11, v11, v9, 0x7fff
	s_wait_alu 0xf1ff
	v_cndmask_b32_e64 v9, v11, v12, s0
	s_delay_alu instid0(VALU_DEP_1) | instskip(SKIP_1) | instid1(VALU_DEP_1)
	v_lshrrev_b32_e32 v179, 16, v9
	v_lshrrev_b32_e32 v9, 24, v10
	v_cvt_f32_fp8_e32 v9, v9
	s_delay_alu instid0(VALU_DEP_1) | instskip(NEXT) | instid1(VALU_DEP_1)
	v_mul_f32_e32 v9, s6, v9
	v_bfe_u32 v10, v9, 16, 1
	v_or_b32_e32 v11, 0x400000, v9
	v_cmp_u_f32_e64 s0, v9, v9
	s_delay_alu instid0(VALU_DEP_3) | instskip(SKIP_1) | instid1(VALU_DEP_1)
	v_add3_u32 v10, v10, v9, 0x7fff
	s_wait_alu 0xf1ff
	v_cndmask_b32_e64 v9, v10, v11, s0
	s_delay_alu instid0(VALU_DEP_1)
	v_lshrrev_b32_e32 v181, 16, v9
	s_and_saveexec_b32 s11, vcc_lo
	s_cbranch_execz .LBB365_61
; %bb.60:                               ;   in Loop: Header=BB365_29 Depth=1
	v_cmp_gt_i32_e64 s0, s27, v136
	s_wait_alu 0xf1ff
	s_delay_alu instid0(VALU_DEP_1) | instskip(SKIP_2) | instid1(VALU_DEP_1)
	v_cndmask_b32_e64 v174, 0, v174, s0
	v_cmp_gt_i32_e64 s0, s27, v142
	s_wait_alu 0xf1ff
	v_cndmask_b32_e64 v176, 0, v176, s0
	v_cmp_gt_i32_e64 s0, s27, v141
	s_wait_alu 0xf1ff
	s_delay_alu instid0(VALU_DEP_1) | instskip(SKIP_2) | instid1(VALU_DEP_1)
	v_cndmask_b32_e64 v175, 0, v175, s0
	v_cmp_gt_i32_e64 s0, s27, v140
	s_wait_alu 0xf1ff
	v_cndmask_b32_e64 v178, 0, v178, s0
	;; [unrolled: 7-line block ×4, first 2 shown]
.LBB365_61:                             ;   in Loop: Header=BB365_29 Depth=1
	s_wait_alu 0xfffe
	s_or_b32 exec_lo, exec_lo, s11
	global_load_b64 v[9:10], v[13:14], off offset:4096
	s_wait_loadcnt 0x0
	v_and_b32_e32 v11, 0xff, v9
	s_delay_alu instid0(VALU_DEP_1) | instskip(NEXT) | instid1(VALU_DEP_1)
	v_cvt_f32_fp8_e32 v11, v11
	v_mul_f32_e32 v11, s6, v11
	s_delay_alu instid0(VALU_DEP_1) | instskip(SKIP_2) | instid1(VALU_DEP_3)
	v_bfe_u32 v12, v11, 16, 1
	v_or_b32_e32 v17, 0x400000, v11
	v_cmp_u_f32_e64 s0, v11, v11
	v_add3_u32 v12, v12, v11, 0x7fff
	s_wait_alu 0xf1ff
	s_delay_alu instid0(VALU_DEP_1) | instskip(NEXT) | instid1(VALU_DEP_1)
	v_cndmask_b32_e64 v11, v12, v17, s0
	v_lshrrev_b32_e32 v182, 16, v11
	v_bfe_u32 v11, v9, 8, 8
	s_delay_alu instid0(VALU_DEP_1) | instskip(NEXT) | instid1(VALU_DEP_1)
	v_cvt_f32_fp8_e32 v11, v11
	v_mul_f32_e32 v11, s6, v11
	s_delay_alu instid0(VALU_DEP_1) | instskip(SKIP_2) | instid1(VALU_DEP_3)
	v_bfe_u32 v12, v11, 16, 1
	v_or_b32_e32 v17, 0x400000, v11
	v_cmp_u_f32_e64 s0, v11, v11
	v_add3_u32 v12, v12, v11, 0x7fff
	s_wait_alu 0xf1ff
	s_delay_alu instid0(VALU_DEP_1) | instskip(NEXT) | instid1(VALU_DEP_1)
	v_cndmask_b32_e64 v11, v12, v17, s0
	v_lshrrev_b32_e32 v184, 16, v11
	v_bfe_u32 v11, v9, 16, 8
	v_lshrrev_b32_e32 v9, 24, v9
	s_delay_alu instid0(VALU_DEP_2) | instskip(NEXT) | instid1(VALU_DEP_2)
	v_cvt_f32_fp8_e32 v11, v11
	v_cvt_f32_fp8_e32 v9, v9
	s_delay_alu instid0(VALU_DEP_2) | instskip(NEXT) | instid1(VALU_DEP_2)
	v_mul_f32_e32 v11, s6, v11
	v_mul_f32_e32 v9, s6, v9
	s_delay_alu instid0(VALU_DEP_2) | instskip(SKIP_2) | instid1(VALU_DEP_3)
	v_bfe_u32 v12, v11, 16, 1
	v_or_b32_e32 v17, 0x400000, v11
	v_cmp_u_f32_e64 s0, v11, v11
	v_add3_u32 v12, v12, v11, 0x7fff
	s_wait_alu 0xf1ff
	s_delay_alu instid0(VALU_DEP_1) | instskip(SKIP_2) | instid1(VALU_DEP_3)
	v_cndmask_b32_e64 v11, v12, v17, s0
	v_or_b32_e32 v12, 0x400000, v9
	v_cmp_u_f32_e64 s0, v9, v9
	v_lshrrev_b32_e32 v183, 16, v11
	v_bfe_u32 v11, v9, 16, 1
	s_delay_alu instid0(VALU_DEP_1) | instskip(SKIP_1) | instid1(VALU_DEP_1)
	v_add3_u32 v11, v11, v9, 0x7fff
	s_wait_alu 0xf1ff
	v_cndmask_b32_e64 v9, v11, v12, s0
	s_delay_alu instid0(VALU_DEP_1) | instskip(SKIP_1) | instid1(VALU_DEP_1)
	v_lshrrev_b32_e32 v186, 16, v9
	v_and_b32_e32 v9, 0xff, v10
	v_cvt_f32_fp8_e32 v9, v9
	s_delay_alu instid0(VALU_DEP_1) | instskip(NEXT) | instid1(VALU_DEP_1)
	v_mul_f32_e32 v9, s6, v9
	v_bfe_u32 v11, v9, 16, 1
	v_or_b32_e32 v12, 0x400000, v9
	v_cmp_u_f32_e64 s0, v9, v9
	s_delay_alu instid0(VALU_DEP_3) | instskip(SKIP_1) | instid1(VALU_DEP_1)
	v_add3_u32 v11, v11, v9, 0x7fff
	s_wait_alu 0xf1ff
	v_cndmask_b32_e64 v9, v11, v12, s0
	s_delay_alu instid0(VALU_DEP_1) | instskip(SKIP_1) | instid1(VALU_DEP_1)
	v_lshrrev_b32_e32 v185, 16, v9
	v_bfe_u32 v9, v10, 8, 8
	v_cvt_f32_fp8_e32 v9, v9
	s_delay_alu instid0(VALU_DEP_1) | instskip(NEXT) | instid1(VALU_DEP_1)
	v_mul_f32_e32 v9, s6, v9
	v_bfe_u32 v11, v9, 16, 1
	v_or_b32_e32 v12, 0x400000, v9
	v_cmp_u_f32_e64 s0, v9, v9
	s_delay_alu instid0(VALU_DEP_3) | instskip(SKIP_1) | instid1(VALU_DEP_1)
	v_add3_u32 v11, v11, v9, 0x7fff
	s_wait_alu 0xf1ff
	v_cndmask_b32_e64 v9, v11, v12, s0
	s_delay_alu instid0(VALU_DEP_1) | instskip(SKIP_1) | instid1(VALU_DEP_1)
	v_lshrrev_b32_e32 v188, 16, v9
	v_bfe_u32 v9, v10, 16, 8
	v_cvt_f32_fp8_e32 v9, v9
	s_delay_alu instid0(VALU_DEP_1) | instskip(NEXT) | instid1(VALU_DEP_1)
	v_mul_f32_e32 v9, s6, v9
	v_bfe_u32 v11, v9, 16, 1
	v_or_b32_e32 v12, 0x400000, v9
	v_cmp_u_f32_e64 s0, v9, v9
	s_delay_alu instid0(VALU_DEP_3) | instskip(SKIP_1) | instid1(VALU_DEP_1)
	v_add3_u32 v11, v11, v9, 0x7fff
	s_wait_alu 0xf1ff
	v_cndmask_b32_e64 v9, v11, v12, s0
	s_delay_alu instid0(VALU_DEP_1) | instskip(SKIP_1) | instid1(VALU_DEP_1)
	v_lshrrev_b32_e32 v187, 16, v9
	v_lshrrev_b32_e32 v9, 24, v10
	v_cvt_f32_fp8_e32 v9, v9
	s_delay_alu instid0(VALU_DEP_1) | instskip(NEXT) | instid1(VALU_DEP_1)
	v_mul_f32_e32 v9, s6, v9
	v_bfe_u32 v10, v9, 16, 1
	v_or_b32_e32 v11, 0x400000, v9
	v_cmp_u_f32_e64 s0, v9, v9
	s_delay_alu instid0(VALU_DEP_3) | instskip(SKIP_1) | instid1(VALU_DEP_1)
	v_add3_u32 v10, v10, v9, 0x7fff
	s_wait_alu 0xf1ff
	v_cndmask_b32_e64 v9, v10, v11, s0
	s_delay_alu instid0(VALU_DEP_1)
	v_lshrrev_b32_e32 v189, 16, v9
	s_and_saveexec_b32 s11, vcc_lo
	s_cbranch_execz .LBB365_63
; %bb.62:                               ;   in Loop: Header=BB365_29 Depth=1
	v_cmp_gt_i32_e64 s0, s27, v136
	s_wait_alu 0xf1ff
	s_delay_alu instid0(VALU_DEP_1) | instskip(SKIP_2) | instid1(VALU_DEP_1)
	v_cndmask_b32_e64 v182, 0, v182, s0
	v_cmp_gt_i32_e64 s0, s27, v142
	s_wait_alu 0xf1ff
	v_cndmask_b32_e64 v184, 0, v184, s0
	v_cmp_gt_i32_e64 s0, s27, v141
	s_wait_alu 0xf1ff
	s_delay_alu instid0(VALU_DEP_1) | instskip(SKIP_2) | instid1(VALU_DEP_1)
	v_cndmask_b32_e64 v183, 0, v183, s0
	v_cmp_gt_i32_e64 s0, s27, v140
	s_wait_alu 0xf1ff
	v_cndmask_b32_e64 v186, 0, v186, s0
	;; [unrolled: 7-line block ×4, first 2 shown]
.LBB365_63:                             ;   in Loop: Header=BB365_29 Depth=1
	s_wait_alu 0xfffe
	s_or_b32 exec_lo, exec_lo, s11
	global_load_b64 v[9:10], v[13:14], off offset:4352
	s_wait_loadcnt 0x0
	v_and_b32_e32 v11, 0xff, v9
	s_delay_alu instid0(VALU_DEP_1) | instskip(NEXT) | instid1(VALU_DEP_1)
	v_cvt_f32_fp8_e32 v11, v11
	v_mul_f32_e32 v11, s6, v11
	s_delay_alu instid0(VALU_DEP_1) | instskip(SKIP_2) | instid1(VALU_DEP_3)
	v_bfe_u32 v12, v11, 16, 1
	v_or_b32_e32 v17, 0x400000, v11
	v_cmp_u_f32_e64 s0, v11, v11
	v_add3_u32 v12, v12, v11, 0x7fff
	s_wait_alu 0xf1ff
	s_delay_alu instid0(VALU_DEP_1) | instskip(NEXT) | instid1(VALU_DEP_1)
	v_cndmask_b32_e64 v11, v12, v17, s0
	v_lshrrev_b32_e32 v190, 16, v11
	v_bfe_u32 v11, v9, 8, 8
	s_delay_alu instid0(VALU_DEP_1) | instskip(NEXT) | instid1(VALU_DEP_1)
	v_cvt_f32_fp8_e32 v11, v11
	v_mul_f32_e32 v11, s6, v11
	s_delay_alu instid0(VALU_DEP_1) | instskip(SKIP_2) | instid1(VALU_DEP_3)
	v_bfe_u32 v12, v11, 16, 1
	v_or_b32_e32 v17, 0x400000, v11
	v_cmp_u_f32_e64 s0, v11, v11
	v_add3_u32 v12, v12, v11, 0x7fff
	s_wait_alu 0xf1ff
	s_delay_alu instid0(VALU_DEP_1) | instskip(NEXT) | instid1(VALU_DEP_1)
	v_cndmask_b32_e64 v11, v12, v17, s0
	v_lshrrev_b32_e32 v191, 16, v11
	v_bfe_u32 v11, v9, 16, 8
	v_lshrrev_b32_e32 v9, 24, v9
	s_delay_alu instid0(VALU_DEP_2) | instskip(NEXT) | instid1(VALU_DEP_2)
	v_cvt_f32_fp8_e32 v11, v11
	v_cvt_f32_fp8_e32 v9, v9
	s_delay_alu instid0(VALU_DEP_2) | instskip(NEXT) | instid1(VALU_DEP_2)
	v_mul_f32_e32 v11, s6, v11
	v_mul_f32_e32 v9, s6, v9
	s_delay_alu instid0(VALU_DEP_2) | instskip(SKIP_2) | instid1(VALU_DEP_3)
	v_bfe_u32 v12, v11, 16, 1
	v_or_b32_e32 v17, 0x400000, v11
	v_cmp_u_f32_e64 s0, v11, v11
	v_add3_u32 v12, v12, v11, 0x7fff
	s_wait_alu 0xf1ff
	s_delay_alu instid0(VALU_DEP_1) | instskip(SKIP_2) | instid1(VALU_DEP_3)
	v_cndmask_b32_e64 v11, v12, v17, s0
	v_or_b32_e32 v12, 0x400000, v9
	v_cmp_u_f32_e64 s0, v9, v9
	v_lshrrev_b32_e32 v43, 16, v11
	v_bfe_u32 v11, v9, 16, 1
	s_delay_alu instid0(VALU_DEP_1) | instskip(SKIP_1) | instid1(VALU_DEP_1)
	v_add3_u32 v11, v11, v9, 0x7fff
	s_wait_alu 0xf1ff
	v_cndmask_b32_e64 v9, v11, v12, s0
	s_delay_alu instid0(VALU_DEP_1) | instskip(SKIP_1) | instid1(VALU_DEP_1)
	v_lshrrev_b32_e32 v11, 16, v9
	v_and_b32_e32 v9, 0xff, v10
	v_cvt_f32_fp8_e32 v9, v9
	s_delay_alu instid0(VALU_DEP_1) | instskip(NEXT) | instid1(VALU_DEP_1)
	v_mul_f32_e32 v9, s6, v9
	v_bfe_u32 v12, v9, 16, 1
	v_or_b32_e32 v17, 0x400000, v9
	v_cmp_u_f32_e64 s0, v9, v9
	s_delay_alu instid0(VALU_DEP_3) | instskip(SKIP_1) | instid1(VALU_DEP_1)
	v_add3_u32 v12, v12, v9, 0x7fff
	s_wait_alu 0xf1ff
	v_cndmask_b32_e64 v9, v12, v17, s0
	s_delay_alu instid0(VALU_DEP_1) | instskip(SKIP_1) | instid1(VALU_DEP_1)
	v_lshrrev_b32_e32 v12, 16, v9
	v_bfe_u32 v9, v10, 8, 8
	v_cvt_f32_fp8_e32 v9, v9
	s_delay_alu instid0(VALU_DEP_1) | instskip(NEXT) | instid1(VALU_DEP_1)
	v_mul_f32_e32 v9, s6, v9
	v_bfe_u32 v17, v9, 16, 1
	v_or_b32_e32 v18, 0x400000, v9
	v_cmp_u_f32_e64 s0, v9, v9
	s_delay_alu instid0(VALU_DEP_3) | instskip(SKIP_1) | instid1(VALU_DEP_1)
	v_add3_u32 v17, v17, v9, 0x7fff
	s_wait_alu 0xf1ff
	v_cndmask_b32_e64 v9, v17, v18, s0
	s_delay_alu instid0(VALU_DEP_1) | instskip(SKIP_1) | instid1(VALU_DEP_1)
	v_lshrrev_b32_e32 v17, 16, v9
	v_bfe_u32 v9, v10, 16, 8
	v_cvt_f32_fp8_e32 v9, v9
	s_delay_alu instid0(VALU_DEP_1) | instskip(NEXT) | instid1(VALU_DEP_1)
	v_mul_f32_e32 v9, s6, v9
	v_bfe_u32 v18, v9, 16, 1
	v_or_b32_e32 v44, 0x400000, v9
	v_cmp_u_f32_e64 s0, v9, v9
	s_delay_alu instid0(VALU_DEP_3) | instskip(SKIP_1) | instid1(VALU_DEP_1)
	v_add3_u32 v18, v18, v9, 0x7fff
	s_wait_alu 0xf1ff
	v_cndmask_b32_e64 v9, v18, v44, s0
	s_delay_alu instid0(VALU_DEP_1) | instskip(SKIP_1) | instid1(VALU_DEP_1)
	v_lshrrev_b32_e32 v18, 16, v9
	v_lshrrev_b32_e32 v9, 24, v10
	v_cvt_f32_fp8_e32 v9, v9
	s_delay_alu instid0(VALU_DEP_1) | instskip(NEXT) | instid1(VALU_DEP_1)
	v_mul_f32_e32 v9, s6, v9
	v_bfe_u32 v10, v9, 16, 1
	v_or_b32_e32 v44, 0x400000, v9
	v_cmp_u_f32_e64 s0, v9, v9
	s_delay_alu instid0(VALU_DEP_3) | instskip(SKIP_1) | instid1(VALU_DEP_1)
	v_add3_u32 v10, v10, v9, 0x7fff
	s_wait_alu 0xf1ff
	v_cndmask_b32_e64 v9, v10, v44, s0
	s_delay_alu instid0(VALU_DEP_1)
	v_lshrrev_b32_e32 v10, 16, v9
	s_and_saveexec_b32 s11, vcc_lo
	s_cbranch_execz .LBB365_65
; %bb.64:                               ;   in Loop: Header=BB365_29 Depth=1
	v_cmp_gt_i32_e64 s0, s27, v136
	s_wait_alu 0xf1ff
	s_delay_alu instid0(VALU_DEP_1) | instskip(SKIP_2) | instid1(VALU_DEP_1)
	v_cndmask_b32_e64 v190, 0, v190, s0
	v_cmp_gt_i32_e64 s0, s27, v142
	s_wait_alu 0xf1ff
	v_cndmask_b32_e64 v191, 0, v191, s0
	v_cmp_gt_i32_e64 s0, s27, v141
	s_wait_alu 0xf1ff
	s_delay_alu instid0(VALU_DEP_1) | instskip(SKIP_2) | instid1(VALU_DEP_1)
	v_cndmask_b32_e64 v43, 0, v43, s0
	v_cmp_gt_i32_e64 s0, s27, v140
	s_wait_alu 0xf1ff
	v_cndmask_b32_e64 v11, 0, v11, s0
	;; [unrolled: 7-line block ×4, first 2 shown]
.LBB365_65:                             ;   in Loop: Header=BB365_29 Depth=1
	s_wait_alu 0xfffe
	s_or_b32 exec_lo, exec_lo, s11
	global_load_b64 v[50:51], v[13:14], off offset:4608
	s_wait_loadcnt 0x0
	v_and_b32_e32 v9, 0xff, v50
	s_delay_alu instid0(VALU_DEP_1) | instskip(NEXT) | instid1(VALU_DEP_1)
	v_cvt_f32_fp8_e32 v9, v9
	v_mul_f32_e32 v9, s6, v9
	s_delay_alu instid0(VALU_DEP_1) | instskip(SKIP_2) | instid1(VALU_DEP_3)
	v_bfe_u32 v44, v9, 16, 1
	v_or_b32_e32 v45, 0x400000, v9
	v_cmp_u_f32_e64 s0, v9, v9
	v_add3_u32 v44, v44, v9, 0x7fff
	s_wait_alu 0xf1ff
	s_delay_alu instid0(VALU_DEP_1) | instskip(NEXT) | instid1(VALU_DEP_1)
	v_cndmask_b32_e64 v9, v44, v45, s0
	v_lshrrev_b32_e32 v44, 16, v9
	v_bfe_u32 v9, v50, 8, 8
	s_delay_alu instid0(VALU_DEP_1) | instskip(NEXT) | instid1(VALU_DEP_1)
	v_cvt_f32_fp8_e32 v9, v9
	v_mul_f32_e32 v9, s6, v9
	s_delay_alu instid0(VALU_DEP_1) | instskip(SKIP_2) | instid1(VALU_DEP_3)
	v_bfe_u32 v45, v9, 16, 1
	v_or_b32_e32 v46, 0x400000, v9
	v_cmp_u_f32_e64 s0, v9, v9
	v_add3_u32 v45, v45, v9, 0x7fff
	s_wait_alu 0xf1ff
	s_delay_alu instid0(VALU_DEP_1) | instskip(NEXT) | instid1(VALU_DEP_1)
	v_cndmask_b32_e64 v9, v45, v46, s0
	v_lshrrev_b32_e32 v45, 16, v9
	v_bfe_u32 v9, v50, 16, 8
	s_delay_alu instid0(VALU_DEP_1) | instskip(NEXT) | instid1(VALU_DEP_1)
	v_cvt_f32_fp8_e32 v9, v9
	v_mul_f32_e32 v9, s6, v9
	s_delay_alu instid0(VALU_DEP_1) | instskip(SKIP_2) | instid1(VALU_DEP_3)
	v_bfe_u32 v46, v9, 16, 1
	v_or_b32_e32 v47, 0x400000, v9
	v_cmp_u_f32_e64 s0, v9, v9
	v_add3_u32 v46, v46, v9, 0x7fff
	s_wait_alu 0xf1ff
	s_delay_alu instid0(VALU_DEP_1) | instskip(NEXT) | instid1(VALU_DEP_1)
	v_cndmask_b32_e64 v9, v46, v47, s0
	v_lshrrev_b32_e32 v46, 16, v9
	v_lshrrev_b32_e32 v9, 24, v50
	s_delay_alu instid0(VALU_DEP_1) | instskip(NEXT) | instid1(VALU_DEP_1)
	v_cvt_f32_fp8_e32 v9, v9
	v_mul_f32_e32 v9, s6, v9
	s_delay_alu instid0(VALU_DEP_1) | instskip(SKIP_2) | instid1(VALU_DEP_3)
	v_bfe_u32 v47, v9, 16, 1
	v_or_b32_e32 v48, 0x400000, v9
	v_cmp_u_f32_e64 s0, v9, v9
	v_add3_u32 v47, v47, v9, 0x7fff
	s_wait_alu 0xf1ff
	s_delay_alu instid0(VALU_DEP_1) | instskip(NEXT) | instid1(VALU_DEP_1)
	v_cndmask_b32_e64 v9, v47, v48, s0
	v_lshrrev_b32_e32 v47, 16, v9
	v_and_b32_e32 v9, 0xff, v51
	s_delay_alu instid0(VALU_DEP_1) | instskip(NEXT) | instid1(VALU_DEP_1)
	v_cvt_f32_fp8_e32 v9, v9
	v_mul_f32_e32 v9, s6, v9
	s_delay_alu instid0(VALU_DEP_1) | instskip(SKIP_2) | instid1(VALU_DEP_3)
	v_bfe_u32 v48, v9, 16, 1
	v_or_b32_e32 v49, 0x400000, v9
	v_cmp_u_f32_e64 s0, v9, v9
	v_add3_u32 v48, v48, v9, 0x7fff
	s_wait_alu 0xf1ff
	s_delay_alu instid0(VALU_DEP_1) | instskip(NEXT) | instid1(VALU_DEP_1)
	v_cndmask_b32_e64 v9, v48, v49, s0
	v_lshrrev_b32_e32 v48, 16, v9
	v_bfe_u32 v9, v51, 8, 8
	s_delay_alu instid0(VALU_DEP_1) | instskip(NEXT) | instid1(VALU_DEP_1)
	v_cvt_f32_fp8_e32 v9, v9
	v_mul_f32_e32 v9, s6, v9
	s_delay_alu instid0(VALU_DEP_1) | instskip(SKIP_2) | instid1(VALU_DEP_3)
	v_bfe_u32 v49, v9, 16, 1
	v_or_b32_e32 v50, 0x400000, v9
	v_cmp_u_f32_e64 s0, v9, v9
	v_add3_u32 v49, v49, v9, 0x7fff
	s_wait_alu 0xf1ff
	s_delay_alu instid0(VALU_DEP_1) | instskip(NEXT) | instid1(VALU_DEP_1)
	v_cndmask_b32_e64 v9, v49, v50, s0
	v_lshrrev_b32_e32 v49, 16, v9
	v_bfe_u32 v9, v51, 16, 8
	s_delay_alu instid0(VALU_DEP_1) | instskip(NEXT) | instid1(VALU_DEP_1)
	v_cvt_f32_fp8_e32 v9, v9
	v_mul_f32_e32 v9, s6, v9
	s_delay_alu instid0(VALU_DEP_1) | instskip(SKIP_2) | instid1(VALU_DEP_3)
	v_bfe_u32 v50, v9, 16, 1
	v_or_b32_e32 v52, 0x400000, v9
	v_cmp_u_f32_e64 s0, v9, v9
	v_add3_u32 v50, v50, v9, 0x7fff
	s_wait_alu 0xf1ff
	s_delay_alu instid0(VALU_DEP_1) | instskip(NEXT) | instid1(VALU_DEP_1)
	v_cndmask_b32_e64 v9, v50, v52, s0
	v_lshrrev_b32_e32 v50, 16, v9
	v_lshrrev_b32_e32 v9, 24, v51
	s_delay_alu instid0(VALU_DEP_1) | instskip(NEXT) | instid1(VALU_DEP_1)
	v_cvt_f32_fp8_e32 v9, v9
	v_mul_f32_e32 v9, s6, v9
	s_delay_alu instid0(VALU_DEP_1) | instskip(SKIP_2) | instid1(VALU_DEP_3)
	v_bfe_u32 v51, v9, 16, 1
	v_or_b32_e32 v52, 0x400000, v9
	v_cmp_u_f32_e64 s0, v9, v9
	v_add3_u32 v51, v51, v9, 0x7fff
	s_wait_alu 0xf1ff
	s_delay_alu instid0(VALU_DEP_1) | instskip(NEXT) | instid1(VALU_DEP_1)
	v_cndmask_b32_e64 v9, v51, v52, s0
	v_lshrrev_b32_e32 v51, 16, v9
	s_and_saveexec_b32 s11, vcc_lo
	s_cbranch_execz .LBB365_67
; %bb.66:                               ;   in Loop: Header=BB365_29 Depth=1
	v_cmp_gt_i32_e64 s0, s27, v136
	s_wait_alu 0xf1ff
	s_delay_alu instid0(VALU_DEP_1) | instskip(SKIP_2) | instid1(VALU_DEP_1)
	v_cndmask_b32_e64 v44, 0, v44, s0
	v_cmp_gt_i32_e64 s0, s27, v142
	s_wait_alu 0xf1ff
	v_cndmask_b32_e64 v45, 0, v45, s0
	v_cmp_gt_i32_e64 s0, s27, v141
	s_wait_alu 0xf1ff
	s_delay_alu instid0(VALU_DEP_1) | instskip(SKIP_2) | instid1(VALU_DEP_1)
	v_cndmask_b32_e64 v46, 0, v46, s0
	v_cmp_gt_i32_e64 s0, s27, v140
	s_wait_alu 0xf1ff
	v_cndmask_b32_e64 v47, 0, v47, s0
	;; [unrolled: 7-line block ×4, first 2 shown]
.LBB365_67:                             ;   in Loop: Header=BB365_29 Depth=1
	s_wait_alu 0xfffe
	s_or_b32 exec_lo, exec_lo, s11
	global_load_b64 v[58:59], v[13:14], off offset:4864
	s_wait_loadcnt 0x0
	v_and_b32_e32 v9, 0xff, v58
	s_delay_alu instid0(VALU_DEP_1) | instskip(NEXT) | instid1(VALU_DEP_1)
	v_cvt_f32_fp8_e32 v9, v9
	v_mul_f32_e32 v9, s6, v9
	s_delay_alu instid0(VALU_DEP_1) | instskip(SKIP_2) | instid1(VALU_DEP_3)
	v_bfe_u32 v52, v9, 16, 1
	v_or_b32_e32 v53, 0x400000, v9
	v_cmp_u_f32_e64 s0, v9, v9
	v_add3_u32 v52, v52, v9, 0x7fff
	s_wait_alu 0xf1ff
	s_delay_alu instid0(VALU_DEP_1) | instskip(NEXT) | instid1(VALU_DEP_1)
	v_cndmask_b32_e64 v9, v52, v53, s0
	v_lshrrev_b32_e32 v52, 16, v9
	v_bfe_u32 v9, v58, 8, 8
	s_delay_alu instid0(VALU_DEP_1) | instskip(NEXT) | instid1(VALU_DEP_1)
	v_cvt_f32_fp8_e32 v9, v9
	v_mul_f32_e32 v9, s6, v9
	s_delay_alu instid0(VALU_DEP_1) | instskip(SKIP_2) | instid1(VALU_DEP_3)
	v_bfe_u32 v53, v9, 16, 1
	v_or_b32_e32 v54, 0x400000, v9
	v_cmp_u_f32_e64 s0, v9, v9
	v_add3_u32 v53, v53, v9, 0x7fff
	s_wait_alu 0xf1ff
	s_delay_alu instid0(VALU_DEP_1) | instskip(NEXT) | instid1(VALU_DEP_1)
	v_cndmask_b32_e64 v9, v53, v54, s0
	v_lshrrev_b32_e32 v53, 16, v9
	v_bfe_u32 v9, v58, 16, 8
	s_delay_alu instid0(VALU_DEP_1) | instskip(NEXT) | instid1(VALU_DEP_1)
	v_cvt_f32_fp8_e32 v9, v9
	v_mul_f32_e32 v9, s6, v9
	s_delay_alu instid0(VALU_DEP_1) | instskip(SKIP_2) | instid1(VALU_DEP_3)
	v_bfe_u32 v54, v9, 16, 1
	v_or_b32_e32 v55, 0x400000, v9
	v_cmp_u_f32_e64 s0, v9, v9
	v_add3_u32 v54, v54, v9, 0x7fff
	s_wait_alu 0xf1ff
	s_delay_alu instid0(VALU_DEP_1) | instskip(NEXT) | instid1(VALU_DEP_1)
	v_cndmask_b32_e64 v9, v54, v55, s0
	v_lshrrev_b32_e32 v54, 16, v9
	v_lshrrev_b32_e32 v9, 24, v58
	s_delay_alu instid0(VALU_DEP_1) | instskip(NEXT) | instid1(VALU_DEP_1)
	v_cvt_f32_fp8_e32 v9, v9
	v_mul_f32_e32 v9, s6, v9
	s_delay_alu instid0(VALU_DEP_1) | instskip(SKIP_2) | instid1(VALU_DEP_3)
	v_bfe_u32 v55, v9, 16, 1
	v_or_b32_e32 v56, 0x400000, v9
	v_cmp_u_f32_e64 s0, v9, v9
	v_add3_u32 v55, v55, v9, 0x7fff
	s_wait_alu 0xf1ff
	s_delay_alu instid0(VALU_DEP_1) | instskip(NEXT) | instid1(VALU_DEP_1)
	v_cndmask_b32_e64 v9, v55, v56, s0
	v_lshrrev_b32_e32 v55, 16, v9
	v_and_b32_e32 v9, 0xff, v59
	s_delay_alu instid0(VALU_DEP_1) | instskip(NEXT) | instid1(VALU_DEP_1)
	v_cvt_f32_fp8_e32 v9, v9
	v_mul_f32_e32 v9, s6, v9
	s_delay_alu instid0(VALU_DEP_1) | instskip(SKIP_2) | instid1(VALU_DEP_3)
	v_bfe_u32 v56, v9, 16, 1
	v_or_b32_e32 v57, 0x400000, v9
	v_cmp_u_f32_e64 s0, v9, v9
	v_add3_u32 v56, v56, v9, 0x7fff
	s_wait_alu 0xf1ff
	s_delay_alu instid0(VALU_DEP_1) | instskip(NEXT) | instid1(VALU_DEP_1)
	v_cndmask_b32_e64 v9, v56, v57, s0
	v_lshrrev_b32_e32 v56, 16, v9
	v_bfe_u32 v9, v59, 8, 8
	s_delay_alu instid0(VALU_DEP_1) | instskip(NEXT) | instid1(VALU_DEP_1)
	v_cvt_f32_fp8_e32 v9, v9
	v_mul_f32_e32 v9, s6, v9
	s_delay_alu instid0(VALU_DEP_1) | instskip(SKIP_2) | instid1(VALU_DEP_3)
	v_bfe_u32 v57, v9, 16, 1
	v_or_b32_e32 v58, 0x400000, v9
	v_cmp_u_f32_e64 s0, v9, v9
	v_add3_u32 v57, v57, v9, 0x7fff
	s_wait_alu 0xf1ff
	s_delay_alu instid0(VALU_DEP_1) | instskip(NEXT) | instid1(VALU_DEP_1)
	v_cndmask_b32_e64 v9, v57, v58, s0
	v_lshrrev_b32_e32 v57, 16, v9
	v_bfe_u32 v9, v59, 16, 8
	s_delay_alu instid0(VALU_DEP_1) | instskip(NEXT) | instid1(VALU_DEP_1)
	v_cvt_f32_fp8_e32 v9, v9
	v_mul_f32_e32 v9, s6, v9
	s_delay_alu instid0(VALU_DEP_1) | instskip(SKIP_2) | instid1(VALU_DEP_3)
	v_bfe_u32 v58, v9, 16, 1
	v_or_b32_e32 v60, 0x400000, v9
	v_cmp_u_f32_e64 s0, v9, v9
	v_add3_u32 v58, v58, v9, 0x7fff
	s_wait_alu 0xf1ff
	s_delay_alu instid0(VALU_DEP_1) | instskip(NEXT) | instid1(VALU_DEP_1)
	v_cndmask_b32_e64 v9, v58, v60, s0
	v_lshrrev_b32_e32 v58, 16, v9
	v_lshrrev_b32_e32 v9, 24, v59
	s_delay_alu instid0(VALU_DEP_1) | instskip(NEXT) | instid1(VALU_DEP_1)
	v_cvt_f32_fp8_e32 v9, v9
	v_mul_f32_e32 v9, s6, v9
	s_delay_alu instid0(VALU_DEP_1) | instskip(SKIP_2) | instid1(VALU_DEP_3)
	v_bfe_u32 v59, v9, 16, 1
	v_or_b32_e32 v60, 0x400000, v9
	v_cmp_u_f32_e64 s0, v9, v9
	v_add3_u32 v59, v59, v9, 0x7fff
	s_wait_alu 0xf1ff
	s_delay_alu instid0(VALU_DEP_1) | instskip(NEXT) | instid1(VALU_DEP_1)
	v_cndmask_b32_e64 v9, v59, v60, s0
	v_lshrrev_b32_e32 v59, 16, v9
	s_and_saveexec_b32 s11, vcc_lo
	s_cbranch_execz .LBB365_69
; %bb.68:                               ;   in Loop: Header=BB365_29 Depth=1
	v_cmp_gt_i32_e64 s0, s27, v136
	s_wait_alu 0xf1ff
	s_delay_alu instid0(VALU_DEP_1) | instskip(SKIP_2) | instid1(VALU_DEP_1)
	v_cndmask_b32_e64 v52, 0, v52, s0
	v_cmp_gt_i32_e64 s0, s27, v142
	s_wait_alu 0xf1ff
	v_cndmask_b32_e64 v53, 0, v53, s0
	v_cmp_gt_i32_e64 s0, s27, v141
	s_wait_alu 0xf1ff
	s_delay_alu instid0(VALU_DEP_1) | instskip(SKIP_2) | instid1(VALU_DEP_1)
	v_cndmask_b32_e64 v54, 0, v54, s0
	v_cmp_gt_i32_e64 s0, s27, v140
	s_wait_alu 0xf1ff
	v_cndmask_b32_e64 v55, 0, v55, s0
	;; [unrolled: 7-line block ×4, first 2 shown]
.LBB365_69:                             ;   in Loop: Header=BB365_29 Depth=1
	s_wait_alu 0xfffe
	s_or_b32 exec_lo, exec_lo, s11
	global_load_b64 v[65:66], v[13:14], off offset:5120
	s_wait_loadcnt 0x0
	v_and_b32_e32 v9, 0xff, v65
	s_delay_alu instid0(VALU_DEP_1) | instskip(NEXT) | instid1(VALU_DEP_1)
	v_cvt_f32_fp8_e32 v9, v9
	v_mul_f32_e32 v9, s6, v9
	s_delay_alu instid0(VALU_DEP_1) | instskip(SKIP_2) | instid1(VALU_DEP_3)
	v_bfe_u32 v60, v9, 16, 1
	v_or_b32_e32 v61, 0x400000, v9
	v_cmp_u_f32_e64 s0, v9, v9
	v_add3_u32 v60, v60, v9, 0x7fff
	s_wait_alu 0xf1ff
	s_delay_alu instid0(VALU_DEP_1) | instskip(NEXT) | instid1(VALU_DEP_1)
	v_cndmask_b32_e64 v9, v60, v61, s0
	v_lshrrev_b32_e32 v60, 16, v9
	v_bfe_u32 v9, v65, 8, 8
	s_delay_alu instid0(VALU_DEP_1) | instskip(NEXT) | instid1(VALU_DEP_1)
	v_cvt_f32_fp8_e32 v9, v9
	v_mul_f32_e32 v9, s6, v9
	s_delay_alu instid0(VALU_DEP_1) | instskip(SKIP_2) | instid1(VALU_DEP_3)
	v_bfe_u32 v61, v9, 16, 1
	v_or_b32_e32 v62, 0x400000, v9
	v_cmp_u_f32_e64 s0, v9, v9
	v_add3_u32 v61, v61, v9, 0x7fff
	s_wait_alu 0xf1ff
	s_delay_alu instid0(VALU_DEP_1) | instskip(SKIP_1) | instid1(VALU_DEP_2)
	v_cndmask_b32_e64 v9, v61, v62, s0
	v_bfe_u32 v61, v65, 16, 8
	v_lshrrev_b32_e32 v9, 16, v9
	s_delay_alu instid0(VALU_DEP_2) | instskip(NEXT) | instid1(VALU_DEP_1)
	v_cvt_f32_fp8_e32 v61, v61
	v_mul_f32_e32 v61, s6, v61
	s_delay_alu instid0(VALU_DEP_1) | instskip(SKIP_2) | instid1(VALU_DEP_3)
	v_bfe_u32 v62, v61, 16, 1
	v_or_b32_e32 v63, 0x400000, v61
	v_cmp_u_f32_e64 s0, v61, v61
	v_add3_u32 v62, v62, v61, 0x7fff
	s_wait_alu 0xf1ff
	s_delay_alu instid0(VALU_DEP_1) | instskip(SKIP_1) | instid1(VALU_DEP_2)
	v_cndmask_b32_e64 v61, v62, v63, s0
	v_lshrrev_b32_e32 v62, 24, v65
	v_lshrrev_b32_e32 v61, 16, v61
	s_delay_alu instid0(VALU_DEP_2) | instskip(NEXT) | instid1(VALU_DEP_1)
	v_cvt_f32_fp8_e32 v62, v62
	v_mul_f32_e32 v62, s6, v62
	s_delay_alu instid0(VALU_DEP_1) | instskip(SKIP_2) | instid1(VALU_DEP_3)
	v_bfe_u32 v63, v62, 16, 1
	v_or_b32_e32 v64, 0x400000, v62
	v_cmp_u_f32_e64 s0, v62, v62
	v_add3_u32 v63, v63, v62, 0x7fff
	s_wait_alu 0xf1ff
	s_delay_alu instid0(VALU_DEP_1) | instskip(SKIP_1) | instid1(VALU_DEP_2)
	v_cndmask_b32_e64 v62, v63, v64, s0
	v_and_b32_e32 v63, 0xff, v66
	v_lshrrev_b32_e32 v62, 16, v62
	s_delay_alu instid0(VALU_DEP_2) | instskip(NEXT) | instid1(VALU_DEP_1)
	v_cvt_f32_fp8_e32 v63, v63
	v_mul_f32_e32 v63, s6, v63
	s_delay_alu instid0(VALU_DEP_1) | instskip(SKIP_2) | instid1(VALU_DEP_3)
	v_bfe_u32 v64, v63, 16, 1
	v_or_b32_e32 v65, 0x400000, v63
	v_cmp_u_f32_e64 s0, v63, v63
	v_add3_u32 v64, v64, v63, 0x7fff
	s_wait_alu 0xf1ff
	s_delay_alu instid0(VALU_DEP_1) | instskip(SKIP_1) | instid1(VALU_DEP_2)
	v_cndmask_b32_e64 v63, v64, v65, s0
	v_bfe_u32 v64, v66, 8, 8
	v_lshrrev_b32_e32 v63, 16, v63
	s_delay_alu instid0(VALU_DEP_2) | instskip(NEXT) | instid1(VALU_DEP_1)
	v_cvt_f32_fp8_e32 v64, v64
	v_mul_f32_e32 v64, s6, v64
	s_delay_alu instid0(VALU_DEP_1) | instskip(SKIP_2) | instid1(VALU_DEP_3)
	v_bfe_u32 v65, v64, 16, 1
	v_or_b32_e32 v67, 0x400000, v64
	v_cmp_u_f32_e64 s0, v64, v64
	v_add3_u32 v65, v65, v64, 0x7fff
	s_wait_alu 0xf1ff
	s_delay_alu instid0(VALU_DEP_1) | instskip(SKIP_2) | instid1(VALU_DEP_3)
	v_cndmask_b32_e64 v64, v65, v67, s0
	v_bfe_u32 v65, v66, 16, 8
	v_lshrrev_b32_e32 v66, 24, v66
	v_lshrrev_b32_e32 v64, 16, v64
	s_delay_alu instid0(VALU_DEP_3) | instskip(NEXT) | instid1(VALU_DEP_3)
	v_cvt_f32_fp8_e32 v65, v65
	v_cvt_f32_fp8_e32 v66, v66
	s_delay_alu instid0(VALU_DEP_1) | instskip(NEXT) | instid1(VALU_DEP_1)
	v_dual_mul_f32 v65, s6, v65 :: v_dual_mul_f32 v66, s6, v66
	v_bfe_u32 v67, v65, 16, 1
	v_or_b32_e32 v68, 0x400000, v65
	v_cmp_u_f32_e64 s0, v65, v65
	s_delay_alu instid0(VALU_DEP_3) | instskip(SKIP_1) | instid1(VALU_DEP_1)
	v_add3_u32 v67, v67, v65, 0x7fff
	s_wait_alu 0xf1ff
	v_cndmask_b32_e64 v65, v67, v68, s0
	v_bfe_u32 v67, v66, 16, 1
	v_or_b32_e32 v68, 0x400000, v66
	v_cmp_u_f32_e64 s0, v66, v66
	s_delay_alu instid0(VALU_DEP_4) | instskip(NEXT) | instid1(VALU_DEP_4)
	v_lshrrev_b32_e32 v65, 16, v65
	v_add3_u32 v67, v67, v66, 0x7fff
	s_wait_alu 0xf1ff
	s_delay_alu instid0(VALU_DEP_1) | instskip(NEXT) | instid1(VALU_DEP_1)
	v_cndmask_b32_e64 v66, v67, v68, s0
	v_lshrrev_b32_e32 v66, 16, v66
	s_and_saveexec_b32 s11, vcc_lo
	s_cbranch_execz .LBB365_71
; %bb.70:                               ;   in Loop: Header=BB365_29 Depth=1
	v_cmp_gt_i32_e64 s0, s27, v136
	s_wait_alu 0xf1ff
	s_delay_alu instid0(VALU_DEP_1) | instskip(SKIP_2) | instid1(VALU_DEP_1)
	v_cndmask_b32_e64 v60, 0, v60, s0
	v_cmp_gt_i32_e64 s0, s27, v142
	s_wait_alu 0xf1ff
	v_cndmask_b32_e64 v9, 0, v9, s0
	v_cmp_gt_i32_e64 s0, s27, v141
	s_wait_alu 0xf1ff
	s_delay_alu instid0(VALU_DEP_1) | instskip(SKIP_2) | instid1(VALU_DEP_1)
	v_cndmask_b32_e64 v61, 0, v61, s0
	v_cmp_gt_i32_e64 s0, s27, v140
	s_wait_alu 0xf1ff
	v_cndmask_b32_e64 v62, 0, v62, s0
	;; [unrolled: 7-line block ×4, first 2 shown]
.LBB365_71:                             ;   in Loop: Header=BB365_29 Depth=1
	s_wait_alu 0xfffe
	s_or_b32 exec_lo, exec_lo, s11
	global_load_b64 v[73:74], v[13:14], off offset:5376
	s_wait_loadcnt 0x0
	v_and_b32_e32 v67, 0xff, v73
	s_delay_alu instid0(VALU_DEP_1) | instskip(NEXT) | instid1(VALU_DEP_1)
	v_cvt_f32_fp8_e32 v67, v67
	v_mul_f32_e32 v67, s6, v67
	s_delay_alu instid0(VALU_DEP_1) | instskip(SKIP_2) | instid1(VALU_DEP_3)
	v_bfe_u32 v68, v67, 16, 1
	v_or_b32_e32 v69, 0x400000, v67
	v_cmp_u_f32_e64 s0, v67, v67
	v_add3_u32 v68, v68, v67, 0x7fff
	s_wait_alu 0xf1ff
	s_delay_alu instid0(VALU_DEP_1) | instskip(SKIP_1) | instid1(VALU_DEP_2)
	v_cndmask_b32_e64 v67, v68, v69, s0
	v_bfe_u32 v68, v73, 8, 8
	v_lshrrev_b32_e32 v67, 16, v67
	s_delay_alu instid0(VALU_DEP_2) | instskip(NEXT) | instid1(VALU_DEP_1)
	v_cvt_f32_fp8_e32 v68, v68
	v_mul_f32_e32 v68, s6, v68
	s_delay_alu instid0(VALU_DEP_1) | instskip(SKIP_2) | instid1(VALU_DEP_3)
	v_bfe_u32 v69, v68, 16, 1
	v_or_b32_e32 v70, 0x400000, v68
	v_cmp_u_f32_e64 s0, v68, v68
	v_add3_u32 v69, v69, v68, 0x7fff
	s_wait_alu 0xf1ff
	s_delay_alu instid0(VALU_DEP_1) | instskip(SKIP_1) | instid1(VALU_DEP_2)
	v_cndmask_b32_e64 v68, v69, v70, s0
	v_bfe_u32 v69, v73, 16, 8
	v_lshrrev_b32_e32 v68, 16, v68
	s_delay_alu instid0(VALU_DEP_2) | instskip(NEXT) | instid1(VALU_DEP_1)
	v_cvt_f32_fp8_e32 v69, v69
	v_mul_f32_e32 v69, s6, v69
	s_delay_alu instid0(VALU_DEP_1) | instskip(SKIP_2) | instid1(VALU_DEP_3)
	v_bfe_u32 v70, v69, 16, 1
	v_or_b32_e32 v71, 0x400000, v69
	v_cmp_u_f32_e64 s0, v69, v69
	v_add3_u32 v70, v70, v69, 0x7fff
	s_wait_alu 0xf1ff
	s_delay_alu instid0(VALU_DEP_1) | instskip(SKIP_1) | instid1(VALU_DEP_2)
	v_cndmask_b32_e64 v69, v70, v71, s0
	v_lshrrev_b32_e32 v70, 24, v73
	v_lshrrev_b32_e32 v69, 16, v69
	s_delay_alu instid0(VALU_DEP_2) | instskip(NEXT) | instid1(VALU_DEP_1)
	v_cvt_f32_fp8_e32 v70, v70
	v_mul_f32_e32 v70, s6, v70
	s_delay_alu instid0(VALU_DEP_1) | instskip(SKIP_2) | instid1(VALU_DEP_3)
	v_bfe_u32 v71, v70, 16, 1
	v_or_b32_e32 v72, 0x400000, v70
	v_cmp_u_f32_e64 s0, v70, v70
	v_add3_u32 v71, v71, v70, 0x7fff
	s_wait_alu 0xf1ff
	s_delay_alu instid0(VALU_DEP_1) | instskip(SKIP_1) | instid1(VALU_DEP_2)
	v_cndmask_b32_e64 v70, v71, v72, s0
	v_and_b32_e32 v71, 0xff, v74
	v_lshrrev_b32_e32 v70, 16, v70
	s_delay_alu instid0(VALU_DEP_2) | instskip(NEXT) | instid1(VALU_DEP_1)
	v_cvt_f32_fp8_e32 v71, v71
	v_mul_f32_e32 v71, s6, v71
	s_delay_alu instid0(VALU_DEP_1) | instskip(SKIP_2) | instid1(VALU_DEP_3)
	v_bfe_u32 v72, v71, 16, 1
	v_or_b32_e32 v73, 0x400000, v71
	v_cmp_u_f32_e64 s0, v71, v71
	v_add3_u32 v72, v72, v71, 0x7fff
	s_wait_alu 0xf1ff
	s_delay_alu instid0(VALU_DEP_1) | instskip(SKIP_1) | instid1(VALU_DEP_2)
	v_cndmask_b32_e64 v71, v72, v73, s0
	v_bfe_u32 v72, v74, 8, 8
	v_lshrrev_b32_e32 v71, 16, v71
	s_delay_alu instid0(VALU_DEP_2) | instskip(NEXT) | instid1(VALU_DEP_1)
	v_cvt_f32_fp8_e32 v72, v72
	v_mul_f32_e32 v72, s6, v72
	s_delay_alu instid0(VALU_DEP_1) | instskip(SKIP_2) | instid1(VALU_DEP_3)
	v_bfe_u32 v73, v72, 16, 1
	v_or_b32_e32 v75, 0x400000, v72
	v_cmp_u_f32_e64 s0, v72, v72
	v_add3_u32 v73, v73, v72, 0x7fff
	s_wait_alu 0xf1ff
	s_delay_alu instid0(VALU_DEP_1) | instskip(SKIP_2) | instid1(VALU_DEP_3)
	v_cndmask_b32_e64 v72, v73, v75, s0
	v_bfe_u32 v73, v74, 16, 8
	v_lshrrev_b32_e32 v74, 24, v74
	v_lshrrev_b32_e32 v72, 16, v72
	s_delay_alu instid0(VALU_DEP_3) | instskip(NEXT) | instid1(VALU_DEP_3)
	v_cvt_f32_fp8_e32 v73, v73
	v_cvt_f32_fp8_e32 v74, v74
	s_delay_alu instid0(VALU_DEP_1) | instskip(NEXT) | instid1(VALU_DEP_1)
	v_dual_mul_f32 v73, s6, v73 :: v_dual_mul_f32 v74, s6, v74
	v_bfe_u32 v75, v73, 16, 1
	v_or_b32_e32 v76, 0x400000, v73
	v_cmp_u_f32_e64 s0, v73, v73
	s_delay_alu instid0(VALU_DEP_3) | instskip(SKIP_1) | instid1(VALU_DEP_1)
	v_add3_u32 v75, v75, v73, 0x7fff
	s_wait_alu 0xf1ff
	v_cndmask_b32_e64 v73, v75, v76, s0
	v_bfe_u32 v75, v74, 16, 1
	v_or_b32_e32 v76, 0x400000, v74
	v_cmp_u_f32_e64 s0, v74, v74
	s_delay_alu instid0(VALU_DEP_4) | instskip(NEXT) | instid1(VALU_DEP_4)
	v_lshrrev_b32_e32 v73, 16, v73
	v_add3_u32 v75, v75, v74, 0x7fff
	s_wait_alu 0xf1ff
	s_delay_alu instid0(VALU_DEP_1) | instskip(NEXT) | instid1(VALU_DEP_1)
	v_cndmask_b32_e64 v74, v75, v76, s0
	v_lshrrev_b32_e32 v74, 16, v74
	s_and_saveexec_b32 s11, vcc_lo
	s_cbranch_execz .LBB365_73
; %bb.72:                               ;   in Loop: Header=BB365_29 Depth=1
	v_cmp_gt_i32_e64 s0, s27, v136
	s_wait_alu 0xf1ff
	s_delay_alu instid0(VALU_DEP_1) | instskip(SKIP_2) | instid1(VALU_DEP_1)
	v_cndmask_b32_e64 v67, 0, v67, s0
	v_cmp_gt_i32_e64 s0, s27, v142
	s_wait_alu 0xf1ff
	v_cndmask_b32_e64 v68, 0, v68, s0
	v_cmp_gt_i32_e64 s0, s27, v141
	s_wait_alu 0xf1ff
	s_delay_alu instid0(VALU_DEP_1) | instskip(SKIP_2) | instid1(VALU_DEP_1)
	v_cndmask_b32_e64 v69, 0, v69, s0
	v_cmp_gt_i32_e64 s0, s27, v140
	s_wait_alu 0xf1ff
	v_cndmask_b32_e64 v70, 0, v70, s0
	;; [unrolled: 7-line block ×4, first 2 shown]
.LBB365_73:                             ;   in Loop: Header=BB365_29 Depth=1
	s_wait_alu 0xfffe
	s_or_b32 exec_lo, exec_lo, s11
	global_load_b64 v[81:82], v[13:14], off offset:5632
	s_wait_loadcnt 0x0
	v_and_b32_e32 v75, 0xff, v81
	s_delay_alu instid0(VALU_DEP_1) | instskip(NEXT) | instid1(VALU_DEP_1)
	v_cvt_f32_fp8_e32 v75, v75
	v_mul_f32_e32 v75, s6, v75
	s_delay_alu instid0(VALU_DEP_1) | instskip(SKIP_2) | instid1(VALU_DEP_3)
	v_bfe_u32 v76, v75, 16, 1
	v_or_b32_e32 v77, 0x400000, v75
	v_cmp_u_f32_e64 s0, v75, v75
	v_add3_u32 v76, v76, v75, 0x7fff
	s_wait_alu 0xf1ff
	s_delay_alu instid0(VALU_DEP_1) | instskip(SKIP_1) | instid1(VALU_DEP_2)
	v_cndmask_b32_e64 v75, v76, v77, s0
	v_bfe_u32 v76, v81, 8, 8
	v_lshrrev_b32_e32 v75, 16, v75
	s_delay_alu instid0(VALU_DEP_2) | instskip(NEXT) | instid1(VALU_DEP_1)
	v_cvt_f32_fp8_e32 v76, v76
	v_mul_f32_e32 v76, s6, v76
	s_delay_alu instid0(VALU_DEP_1) | instskip(SKIP_2) | instid1(VALU_DEP_3)
	v_bfe_u32 v77, v76, 16, 1
	v_or_b32_e32 v78, 0x400000, v76
	v_cmp_u_f32_e64 s0, v76, v76
	v_add3_u32 v77, v77, v76, 0x7fff
	s_wait_alu 0xf1ff
	s_delay_alu instid0(VALU_DEP_1) | instskip(SKIP_1) | instid1(VALU_DEP_2)
	v_cndmask_b32_e64 v76, v77, v78, s0
	v_bfe_u32 v77, v81, 16, 8
	v_lshrrev_b32_e32 v76, 16, v76
	s_delay_alu instid0(VALU_DEP_2) | instskip(NEXT) | instid1(VALU_DEP_1)
	v_cvt_f32_fp8_e32 v77, v77
	v_mul_f32_e32 v77, s6, v77
	s_delay_alu instid0(VALU_DEP_1) | instskip(SKIP_2) | instid1(VALU_DEP_3)
	v_bfe_u32 v78, v77, 16, 1
	v_or_b32_e32 v79, 0x400000, v77
	v_cmp_u_f32_e64 s0, v77, v77
	v_add3_u32 v78, v78, v77, 0x7fff
	s_wait_alu 0xf1ff
	s_delay_alu instid0(VALU_DEP_1) | instskip(SKIP_1) | instid1(VALU_DEP_2)
	v_cndmask_b32_e64 v77, v78, v79, s0
	v_lshrrev_b32_e32 v78, 24, v81
	v_lshrrev_b32_e32 v77, 16, v77
	s_delay_alu instid0(VALU_DEP_2) | instskip(NEXT) | instid1(VALU_DEP_1)
	v_cvt_f32_fp8_e32 v78, v78
	v_mul_f32_e32 v78, s6, v78
	s_delay_alu instid0(VALU_DEP_1) | instskip(SKIP_2) | instid1(VALU_DEP_3)
	v_bfe_u32 v79, v78, 16, 1
	v_or_b32_e32 v80, 0x400000, v78
	v_cmp_u_f32_e64 s0, v78, v78
	v_add3_u32 v79, v79, v78, 0x7fff
	s_wait_alu 0xf1ff
	s_delay_alu instid0(VALU_DEP_1) | instskip(SKIP_1) | instid1(VALU_DEP_2)
	v_cndmask_b32_e64 v78, v79, v80, s0
	v_and_b32_e32 v79, 0xff, v82
	v_lshrrev_b32_e32 v78, 16, v78
	s_delay_alu instid0(VALU_DEP_2) | instskip(NEXT) | instid1(VALU_DEP_1)
	v_cvt_f32_fp8_e32 v79, v79
	v_mul_f32_e32 v79, s6, v79
	s_delay_alu instid0(VALU_DEP_1) | instskip(SKIP_2) | instid1(VALU_DEP_3)
	v_bfe_u32 v80, v79, 16, 1
	v_or_b32_e32 v81, 0x400000, v79
	v_cmp_u_f32_e64 s0, v79, v79
	v_add3_u32 v80, v80, v79, 0x7fff
	s_wait_alu 0xf1ff
	s_delay_alu instid0(VALU_DEP_1) | instskip(SKIP_1) | instid1(VALU_DEP_2)
	v_cndmask_b32_e64 v79, v80, v81, s0
	v_bfe_u32 v80, v82, 8, 8
	v_lshrrev_b32_e32 v79, 16, v79
	s_delay_alu instid0(VALU_DEP_2) | instskip(NEXT) | instid1(VALU_DEP_1)
	v_cvt_f32_fp8_e32 v80, v80
	v_mul_f32_e32 v80, s6, v80
	s_delay_alu instid0(VALU_DEP_1) | instskip(SKIP_2) | instid1(VALU_DEP_3)
	v_bfe_u32 v81, v80, 16, 1
	v_or_b32_e32 v83, 0x400000, v80
	v_cmp_u_f32_e64 s0, v80, v80
	v_add3_u32 v81, v81, v80, 0x7fff
	s_wait_alu 0xf1ff
	s_delay_alu instid0(VALU_DEP_1) | instskip(SKIP_2) | instid1(VALU_DEP_3)
	v_cndmask_b32_e64 v80, v81, v83, s0
	v_bfe_u32 v81, v82, 16, 8
	v_lshrrev_b32_e32 v82, 24, v82
	v_lshrrev_b32_e32 v80, 16, v80
	s_delay_alu instid0(VALU_DEP_3) | instskip(NEXT) | instid1(VALU_DEP_3)
	v_cvt_f32_fp8_e32 v81, v81
	v_cvt_f32_fp8_e32 v82, v82
	s_delay_alu instid0(VALU_DEP_1) | instskip(NEXT) | instid1(VALU_DEP_1)
	v_dual_mul_f32 v81, s6, v81 :: v_dual_mul_f32 v82, s6, v82
	v_bfe_u32 v83, v81, 16, 1
	v_or_b32_e32 v84, 0x400000, v81
	v_cmp_u_f32_e64 s0, v81, v81
	s_delay_alu instid0(VALU_DEP_3) | instskip(SKIP_1) | instid1(VALU_DEP_1)
	v_add3_u32 v83, v83, v81, 0x7fff
	s_wait_alu 0xf1ff
	v_cndmask_b32_e64 v81, v83, v84, s0
	v_bfe_u32 v83, v82, 16, 1
	v_or_b32_e32 v84, 0x400000, v82
	v_cmp_u_f32_e64 s0, v82, v82
	s_delay_alu instid0(VALU_DEP_4) | instskip(NEXT) | instid1(VALU_DEP_4)
	v_lshrrev_b32_e32 v81, 16, v81
	v_add3_u32 v83, v83, v82, 0x7fff
	s_wait_alu 0xf1ff
	s_delay_alu instid0(VALU_DEP_1) | instskip(NEXT) | instid1(VALU_DEP_1)
	v_cndmask_b32_e64 v82, v83, v84, s0
	v_lshrrev_b32_e32 v82, 16, v82
	s_and_saveexec_b32 s11, vcc_lo
	s_cbranch_execz .LBB365_75
; %bb.74:                               ;   in Loop: Header=BB365_29 Depth=1
	v_cmp_gt_i32_e64 s0, s27, v136
	s_wait_alu 0xf1ff
	s_delay_alu instid0(VALU_DEP_1) | instskip(SKIP_2) | instid1(VALU_DEP_1)
	v_cndmask_b32_e64 v75, 0, v75, s0
	v_cmp_gt_i32_e64 s0, s27, v142
	s_wait_alu 0xf1ff
	v_cndmask_b32_e64 v76, 0, v76, s0
	v_cmp_gt_i32_e64 s0, s27, v141
	s_wait_alu 0xf1ff
	s_delay_alu instid0(VALU_DEP_1) | instskip(SKIP_2) | instid1(VALU_DEP_1)
	v_cndmask_b32_e64 v77, 0, v77, s0
	v_cmp_gt_i32_e64 s0, s27, v140
	s_wait_alu 0xf1ff
	v_cndmask_b32_e64 v78, 0, v78, s0
	;; [unrolled: 7-line block ×4, first 2 shown]
.LBB365_75:                             ;   in Loop: Header=BB365_29 Depth=1
	s_wait_alu 0xfffe
	s_or_b32 exec_lo, exec_lo, s11
	global_load_b64 v[83:84], v[13:14], off offset:5888
	s_wait_loadcnt 0x0
	v_and_b32_e32 v13, 0xff, v83
	s_delay_alu instid0(VALU_DEP_1) | instskip(NEXT) | instid1(VALU_DEP_1)
	v_cvt_f32_fp8_e32 v13, v13
	v_mul_f32_e32 v13, s6, v13
	s_delay_alu instid0(VALU_DEP_1) | instskip(SKIP_2) | instid1(VALU_DEP_3)
	v_bfe_u32 v14, v13, 16, 1
	v_or_b32_e32 v168, 0x400000, v13
	v_cmp_u_f32_e64 s0, v13, v13
	v_add3_u32 v14, v14, v13, 0x7fff
	s_wait_alu 0xf1ff
	s_delay_alu instid0(VALU_DEP_1) | instskip(NEXT) | instid1(VALU_DEP_1)
	v_cndmask_b32_e64 v13, v14, v168, s0
	v_lshrrev_b32_e32 v172, 16, v13
	v_bfe_u32 v13, v83, 8, 8
	s_delay_alu instid0(VALU_DEP_1) | instskip(NEXT) | instid1(VALU_DEP_1)
	v_cvt_f32_fp8_e32 v13, v13
	v_mul_f32_e32 v13, s6, v13
	s_delay_alu instid0(VALU_DEP_1) | instskip(SKIP_2) | instid1(VALU_DEP_3)
	v_bfe_u32 v14, v13, 16, 1
	v_or_b32_e32 v168, 0x400000, v13
	v_cmp_u_f32_e64 s0, v13, v13
	v_add3_u32 v14, v14, v13, 0x7fff
	s_wait_alu 0xf1ff
	s_delay_alu instid0(VALU_DEP_1) | instskip(NEXT) | instid1(VALU_DEP_1)
	v_cndmask_b32_e64 v13, v14, v168, s0
	v_lshrrev_b32_e32 v171, 16, v13
	v_bfe_u32 v13, v83, 16, 8
	s_delay_alu instid0(VALU_DEP_1) | instskip(NEXT) | instid1(VALU_DEP_1)
	v_cvt_f32_fp8_e32 v13, v13
	v_mul_f32_e32 v13, s6, v13
	s_delay_alu instid0(VALU_DEP_1) | instskip(SKIP_2) | instid1(VALU_DEP_3)
	v_bfe_u32 v14, v13, 16, 1
	v_or_b32_e32 v168, 0x400000, v13
	v_cmp_u_f32_e64 s0, v13, v13
	v_add3_u32 v14, v14, v13, 0x7fff
	s_wait_alu 0xf1ff
	s_delay_alu instid0(VALU_DEP_1) | instskip(NEXT) | instid1(VALU_DEP_1)
	v_cndmask_b32_e64 v13, v14, v168, s0
	v_lshrrev_b32_e32 v170, 16, v13
	v_lshrrev_b32_e32 v13, 24, v83
	s_delay_alu instid0(VALU_DEP_1) | instskip(NEXT) | instid1(VALU_DEP_1)
	v_cvt_f32_fp8_e32 v13, v13
	v_mul_f32_e32 v13, s6, v13
	s_delay_alu instid0(VALU_DEP_1) | instskip(SKIP_2) | instid1(VALU_DEP_3)
	v_bfe_u32 v14, v13, 16, 1
	v_or_b32_e32 v83, 0x400000, v13
	v_cmp_u_f32_e64 s0, v13, v13
	v_add3_u32 v14, v14, v13, 0x7fff
	s_wait_alu 0xf1ff
	s_delay_alu instid0(VALU_DEP_1) | instskip(NEXT) | instid1(VALU_DEP_1)
	v_cndmask_b32_e64 v13, v14, v83, s0
	v_lshrrev_b32_e32 v169, 16, v13
	v_and_b32_e32 v13, 0xff, v84
	s_delay_alu instid0(VALU_DEP_1) | instskip(NEXT) | instid1(VALU_DEP_1)
	v_cvt_f32_fp8_e32 v13, v13
	v_mul_f32_e32 v13, s6, v13
	s_delay_alu instid0(VALU_DEP_1) | instskip(SKIP_2) | instid1(VALU_DEP_3)
	v_bfe_u32 v14, v13, 16, 1
	v_or_b32_e32 v83, 0x400000, v13
	v_cmp_u_f32_e64 s0, v13, v13
	v_add3_u32 v14, v14, v13, 0x7fff
	s_wait_alu 0xf1ff
	s_delay_alu instid0(VALU_DEP_1) | instskip(NEXT) | instid1(VALU_DEP_1)
	v_cndmask_b32_e64 v13, v14, v83, s0
	v_lshrrev_b32_e32 v168, 16, v13
	v_bfe_u32 v13, v84, 8, 8
	s_delay_alu instid0(VALU_DEP_1) | instskip(NEXT) | instid1(VALU_DEP_1)
	v_cvt_f32_fp8_e32 v13, v13
	v_mul_f32_e32 v13, s6, v13
	s_delay_alu instid0(VALU_DEP_1) | instskip(SKIP_2) | instid1(VALU_DEP_3)
	v_bfe_u32 v14, v13, 16, 1
	v_or_b32_e32 v83, 0x400000, v13
	v_cmp_u_f32_e64 s0, v13, v13
	v_add3_u32 v14, v14, v13, 0x7fff
	s_wait_alu 0xf1ff
	s_delay_alu instid0(VALU_DEP_1) | instskip(NEXT) | instid1(VALU_DEP_1)
	v_cndmask_b32_e64 v13, v14, v83, s0
	v_lshrrev_b32_e32 v14, 16, v13
	v_bfe_u32 v13, v84, 16, 8
	s_delay_alu instid0(VALU_DEP_1) | instskip(NEXT) | instid1(VALU_DEP_1)
	v_cvt_f32_fp8_e32 v13, v13
	v_mul_f32_e32 v13, s6, v13
	s_delay_alu instid0(VALU_DEP_1) | instskip(SKIP_2) | instid1(VALU_DEP_3)
	v_bfe_u32 v83, v13, 16, 1
	v_or_b32_e32 v173, 0x400000, v13
	v_cmp_u_f32_e64 s0, v13, v13
	v_add3_u32 v83, v83, v13, 0x7fff
	s_wait_alu 0xf1ff
	s_delay_alu instid0(VALU_DEP_1) | instskip(SKIP_1) | instid1(VALU_DEP_2)
	v_cndmask_b32_e64 v13, v83, v173, s0
	v_lshrrev_b32_e32 v83, 24, v84
	v_lshrrev_b32_e32 v13, 16, v13
	s_delay_alu instid0(VALU_DEP_2) | instskip(NEXT) | instid1(VALU_DEP_1)
	v_cvt_f32_fp8_e32 v83, v83
	v_mul_f32_e32 v83, s6, v83
	s_delay_alu instid0(VALU_DEP_1) | instskip(SKIP_2) | instid1(VALU_DEP_3)
	v_bfe_u32 v84, v83, 16, 1
	v_or_b32_e32 v173, 0x400000, v83
	v_cmp_u_f32_e64 s0, v83, v83
	v_add3_u32 v84, v84, v83, 0x7fff
	s_wait_alu 0xf1ff
	s_delay_alu instid0(VALU_DEP_1) | instskip(NEXT) | instid1(VALU_DEP_1)
	v_cndmask_b32_e64 v83, v84, v173, s0
	v_lshrrev_b32_e32 v173, 16, v83
	s_and_saveexec_b32 s0, vcc_lo
	s_cbranch_execz .LBB365_28
; %bb.76:                               ;   in Loop: Header=BB365_29 Depth=1
	v_cmp_gt_i32_e32 vcc_lo, s27, v136
	s_wait_alu 0xfffd
	v_cndmask_b32_e32 v172, 0, v172, vcc_lo
	v_cmp_gt_i32_e32 vcc_lo, s27, v142
	s_wait_alu 0xfffd
	v_cndmask_b32_e32 v171, 0, v171, vcc_lo
	;; [unrolled: 3-line block ×8, first 2 shown]
	s_branch .LBB365_28
.LBB365_77:
	s_or_b32 exec_lo, exec_lo, s9
.LBB365_78:
	s_wait_alu 0xfffe
	s_or_b32 exec_lo, exec_lo, s1
	s_clause 0x1
	scratch_load_b32 v46, off, off offset:192 th:TH_LOAD_LU
	scratch_load_b32 v51, off, off offset:188 th:TH_LOAD_LU
	s_mov_b32 s0, exec_lo
	s_wait_loadcnt 0x1
	ds_bpermute_b32 v0, v46, v41
	ds_bpermute_b32 v1, v46, v42
	;; [unrolled: 1-line block ×18, first 2 shown]
	s_wait_dscnt 0x10
	v_dual_add_f32 v0, v41, v0 :: v_dual_add_f32 v1, v42, v1
	s_wait_dscnt 0xe
	v_dual_add_f32 v2, v40, v2 :: v_dual_add_f32 v3, v39, v3
	ds_bpermute_b32 v42, v46, v24
	s_wait_loadcnt 0x0
	ds_bpermute_b32 v16, v51, v0
	ds_bpermute_b32 v17, v51, v1
	;; [unrolled: 1-line block ×5, first 2 shown]
	s_wait_dscnt 0x13
	v_add_f32_e32 v10, v32, v10
	s_wait_dscnt 0xf
	v_dual_add_f32 v4, v38, v4 :: v_dual_add_f32 v5, v37, v5
	s_wait_dscnt 0xe
	v_add_f32_e32 v27, v27, v15
	s_wait_dscnt 0xc
	v_dual_add_f32 v26, v26, v43 :: v_dual_add_f32 v23, v23, v44
	s_wait_dscnt 0xa
	v_dual_add_f32 v6, v36, v6 :: v_dual_add_f32 v7, v35, v7
	;; [unrolled: 2-line block ×3, first 2 shown]
	ds_bpermute_b32 v33, v51, v4
	ds_bpermute_b32 v34, v51, v5
	;; [unrolled: 1-line block ×4, first 2 shown]
	s_wait_dscnt 0x9
	v_add_f32_e32 v24, v24, v42
	s_wait_dscnt 0x8
	v_add_f32_e32 v32, v0, v16
	s_wait_dscnt 0x6
	v_dual_add_f32 v18, v1, v17 :: v_dual_add_f32 v17, v2, v40
	ds_bpermute_b32 v0, v46, v22
	ds_bpermute_b32 v2, v46, v21
	s_wait_dscnt 0x6
	v_dual_add_f32 v16, v3, v41 :: v_dual_add_f32 v25, v25, v39
	v_add_f32_e32 v1, v31, v11
	v_add_f32_e32 v3, v30, v12
	ds_bpermute_b32 v11, v46, v20
	ds_bpermute_b32 v12, v46, v19
	;; [unrolled: 1-line block ×7, first 2 shown]
	v_dual_add_f32 v29, v29, v13 :: v_dual_add_f32 v28, v28, v14
	ds_bpermute_b32 v37, v51, v8
	ds_bpermute_b32 v38, v51, v9
	;; [unrolled: 1-line block ×5, first 2 shown]
	s_wait_dscnt 0xd
	v_add_f32_e32 v0, v22, v0
	s_wait_dscnt 0xc
	v_add_f32_e32 v2, v21, v2
	v_dual_add_f32 v22, v4, v33 :: v_dual_add_f32 v21, v6, v35
	ds_bpermute_b32 v41, v51, v28
	ds_bpermute_b32 v39, v51, v27
	s_wait_dscnt 0xd
	v_add_f32_e32 v47, v20, v11
	ds_bpermute_b32 v48, v51, v0
	s_wait_dscnt 0xd
	v_add_f32_e32 v49, v19, v12
	ds_bpermute_b32 v50, v51, v2
	v_dual_add_f32 v20, v5, v34 :: v_dual_add_f32 v19, v7, v36
	s_wait_dscnt 0xc
	v_dual_add_f32 v5, v24, v44 :: v_dual_add_f32 v4, v23, v46
	scratch_load_b32 v23, off, off offset:860 th:TH_LOAD_LU ; 4-byte Folded Reload
	s_wait_dscnt 0xb
	v_add_f32_e32 v11, v3, v31
	s_wait_dscnt 0x9
	v_dual_add_f32 v7, v26, v42 :: v_dual_add_f32 v6, v25, v43
	scratch_load_b32 v25, off, off offset:864 th:TH_LOAD_LU ; 4-byte Folded Reload
	ds_bpermute_b32 v33, v51, v47
	ds_bpermute_b32 v34, v51, v49
	s_wait_dscnt 0x9
	v_dual_add_f32 v15, v8, v37 :: v_dual_add_f32 v14, v9, v38
	s_wait_dscnt 0x6
	v_dual_add_f32 v13, v10, v45 :: v_dual_add_f32 v12, v1, v30
	;; [unrolled: 2-line block ×4, first 2 shown]
	s_wait_dscnt 0x2
	v_add_f32_e32 v0, v2, v50
	scratch_load_b32 v2, off, off offset:856 ; 4-byte Folded Reload
	s_wait_storecnt 0x0
	s_wait_loadcnt_dscnt 0x0
	s_barrier_signal -1
	s_barrier_wait -1
	global_inv scope:SCOPE_SE
	v_dual_add_f32 v1, v47, v33 :: v_dual_and_b32 v24, 28, v23
	v_lshrrev_b32_e32 v23, 2, v23
	v_mul_u32_u24_e32 v25, 0x300, v25
	s_delay_alu instid0(VALU_DEP_3) | instskip(SKIP_2) | instid1(VALU_DEP_2)
	v_add_nc_u32_e32 v24, 0x1a0, v24
	v_and_b32_e32 v26, 0x3c3, v2
	v_add_f32_e32 v2, v49, v34
	v_cmpx_eq_u32_e32 64, v26
	s_cbranch_execz .LBB365_80
; %bb.79:
	v_add_nc_u32_e32 v26, v24, v25
	s_delay_alu instid0(VALU_DEP_1)
	v_add_nc_u32_e32 v27, 0xfffffa00, v26
	v_add_nc_u32_e32 v28, 0xfffffa20, v26
	v_add_nc_u32_e32 v29, 0xfffffa40, v26
	v_add_nc_u32_e32 v30, 0xfffffa60, v26
	v_add_nc_u32_e32 v31, 0xfffffa80, v26
	v_add_nc_u32_e32 v33, 0xfffffaa0, v26
	v_add_nc_u32_e32 v34, 0xfffffac0, v26
	v_add_nc_u32_e32 v35, 0xfffffae0, v26
	ds_store_b32 v27, v32
	ds_store_b32 v28, v18
	ds_store_b32 v29, v17
	ds_store_b32 v30, v16
	ds_store_b32 v31, v22
	ds_store_b32 v33, v20
	ds_store_b32 v34, v21
	ds_store_b32 v35, v19
	v_add_nc_u32_e32 v27, 0xfffffb00, v26
	v_add_nc_u32_e32 v28, 0xfffffb20, v26
	v_add_nc_u32_e32 v29, 0xfffffb40, v26
	v_add_nc_u32_e32 v30, 0xfffffb60, v26
	v_add_nc_u32_e32 v31, 0xfffffb80, v26
	v_add_nc_u32_e32 v33, 0xfffffba0, v26
	v_add_nc_u32_e32 v34, 0xfffffbc0, v26
	v_add_nc_u32_e32 v35, 0xfffffbe0, v26
	ds_store_b32 v27, v15
	ds_store_b32 v28, v14
	ds_store_b32 v29, v13
	ds_store_b32 v30, v12
	ds_store_b32 v31, v11
	ds_store_b32 v33, v10
	ds_store_b32 v34, v9
	ds_store_b32 v35, v8
	;; [unrolled: 16-line block ×3, first 2 shown]
.LBB365_80:
	s_wait_alu 0xfffe
	s_or_b32 exec_lo, exec_lo, s0
	scratch_load_b32 v27, off, off offset:856 ; 4-byte Folded Reload
	v_lshlrev_b32_e32 v23, 2, v23
	s_mov_b32 s1, exec_lo
	s_wait_loadcnt_dscnt 0x0
	s_barrier_signal -1
	s_barrier_wait -1
	v_add3_u32 v23, 0x1a0, v25, v23
	global_inv scope:SCOPE_SE
	v_and_b32_e32 v26, 3, v27
	s_delay_alu instid0(VALU_DEP_1)
	v_cmp_eq_u32_e32 vcc_lo, 0, v26
	v_cmpx_gt_u32_e32 64, v27
	s_cbranch_execz .LBB365_107
; %bb.81:
	s_and_saveexec_b32 s0, vcc_lo
	s_cbranch_execnz .LBB365_139
; %bb.82:
	s_wait_alu 0xfffe
	s_or_b32 exec_lo, exec_lo, s0
	s_and_saveexec_b32 s0, vcc_lo
	s_cbranch_execnz .LBB365_140
.LBB365_83:
	s_wait_alu 0xfffe
	s_or_b32 exec_lo, exec_lo, s0
	s_and_saveexec_b32 s0, vcc_lo
	s_cbranch_execnz .LBB365_141
.LBB365_84:
	s_wait_alu 0xfffe
	s_or_b32 exec_lo, exec_lo, s0
	s_and_saveexec_b32 s0, vcc_lo
	s_cbranch_execnz .LBB365_142
.LBB365_85:
	s_wait_alu 0xfffe
	s_or_b32 exec_lo, exec_lo, s0
	s_and_saveexec_b32 s0, vcc_lo
	s_cbranch_execnz .LBB365_143
.LBB365_86:
	s_wait_alu 0xfffe
	s_or_b32 exec_lo, exec_lo, s0
	s_and_saveexec_b32 s0, vcc_lo
	s_cbranch_execnz .LBB365_144
.LBB365_87:
	s_wait_alu 0xfffe
	s_or_b32 exec_lo, exec_lo, s0
	s_and_saveexec_b32 s0, vcc_lo
	s_cbranch_execnz .LBB365_145
.LBB365_88:
	s_wait_alu 0xfffe
	s_or_b32 exec_lo, exec_lo, s0
	s_and_saveexec_b32 s0, vcc_lo
	s_cbranch_execnz .LBB365_146
.LBB365_89:
	s_wait_alu 0xfffe
	s_or_b32 exec_lo, exec_lo, s0
	s_and_saveexec_b32 s0, vcc_lo
	s_cbranch_execnz .LBB365_147
.LBB365_90:
	s_wait_alu 0xfffe
	s_or_b32 exec_lo, exec_lo, s0
	s_and_saveexec_b32 s0, vcc_lo
	s_cbranch_execnz .LBB365_148
.LBB365_91:
	s_wait_alu 0xfffe
	s_or_b32 exec_lo, exec_lo, s0
	s_and_saveexec_b32 s0, vcc_lo
	s_cbranch_execnz .LBB365_149
.LBB365_92:
	s_wait_alu 0xfffe
	s_or_b32 exec_lo, exec_lo, s0
	s_and_saveexec_b32 s0, vcc_lo
	s_cbranch_execnz .LBB365_150
.LBB365_93:
	s_wait_alu 0xfffe
	s_or_b32 exec_lo, exec_lo, s0
	s_and_saveexec_b32 s0, vcc_lo
	s_cbranch_execnz .LBB365_151
.LBB365_94:
	s_wait_alu 0xfffe
	s_or_b32 exec_lo, exec_lo, s0
	s_and_saveexec_b32 s0, vcc_lo
	s_cbranch_execnz .LBB365_152
.LBB365_95:
	s_wait_alu 0xfffe
	s_or_b32 exec_lo, exec_lo, s0
	s_and_saveexec_b32 s0, vcc_lo
	s_cbranch_execnz .LBB365_153
.LBB365_96:
	s_wait_alu 0xfffe
	s_or_b32 exec_lo, exec_lo, s0
	s_and_saveexec_b32 s0, vcc_lo
	s_cbranch_execnz .LBB365_154
.LBB365_97:
	s_wait_alu 0xfffe
	s_or_b32 exec_lo, exec_lo, s0
	s_and_saveexec_b32 s0, vcc_lo
	s_cbranch_execnz .LBB365_155
.LBB365_98:
	s_wait_alu 0xfffe
	s_or_b32 exec_lo, exec_lo, s0
	s_and_saveexec_b32 s0, vcc_lo
	s_cbranch_execnz .LBB365_156
.LBB365_99:
	s_wait_alu 0xfffe
	s_or_b32 exec_lo, exec_lo, s0
	s_and_saveexec_b32 s0, vcc_lo
	s_cbranch_execnz .LBB365_157
.LBB365_100:
	s_wait_alu 0xfffe
	s_or_b32 exec_lo, exec_lo, s0
	s_and_saveexec_b32 s0, vcc_lo
	s_cbranch_execnz .LBB365_158
.LBB365_101:
	s_wait_alu 0xfffe
	s_or_b32 exec_lo, exec_lo, s0
	s_and_saveexec_b32 s0, vcc_lo
	s_cbranch_execnz .LBB365_159
.LBB365_102:
	s_wait_alu 0xfffe
	s_or_b32 exec_lo, exec_lo, s0
	s_and_saveexec_b32 s0, vcc_lo
	s_cbranch_execnz .LBB365_160
.LBB365_103:
	s_wait_alu 0xfffe
	s_or_b32 exec_lo, exec_lo, s0
	s_and_saveexec_b32 s0, vcc_lo
	s_cbranch_execnz .LBB365_161
.LBB365_104:
	s_wait_alu 0xfffe
	s_or_b32 exec_lo, exec_lo, s0
	s_and_saveexec_b32 s0, vcc_lo
	s_cbranch_execz .LBB365_106
.LBB365_105:
	ds_load_b32 v25, v23 offset:736
	s_wait_dscnt 0x0
	v_add_f32_e32 v2, v2, v25
.LBB365_106:
	s_wait_alu 0xfffe
	s_or_b32 exec_lo, exec_lo, s0
.LBB365_107:
	s_wait_alu 0xfffe
	s_or_b32 exec_lo, exec_lo, s1
	scratch_load_b32 v25, off, off offset:856 ; 4-byte Folded Reload
	s_mov_b32 s1, exec_lo
	s_wait_loadcnt 0x0
	s_barrier_signal -1
	s_barrier_wait -1
	global_inv scope:SCOPE_SE
	v_and_b32_e32 v25, 0x3e3, v25
	s_delay_alu instid0(VALU_DEP_1)
	v_cmpx_eq_u32_e32 32, v25
	s_cbranch_execz .LBB365_109
; %bb.108:
	ds_store_2addr_b32 v24, v32, v18 offset1:8
	ds_store_2addr_b32 v24, v17, v16 offset0:16 offset1:24
	ds_store_2addr_b32 v24, v22, v20 offset0:32 offset1:40
	;; [unrolled: 1-line block ×11, first 2 shown]
.LBB365_109:
	s_wait_alu 0xfffe
	s_or_b32 exec_lo, exec_lo, s1
	scratch_load_b32 v24, off, off offset:856 ; 4-byte Folded Reload
	s_mov_b32 s1, exec_lo
	s_wait_loadcnt_dscnt 0x0
	s_barrier_signal -1
	s_barrier_wait -1
	global_inv scope:SCOPE_SE
	v_cmpx_gt_u32_e32 32, v24
	s_cbranch_execz .LBB365_136
; %bb.110:
	s_and_saveexec_b32 s0, vcc_lo
	s_cbranch_execnz .LBB365_162
; %bb.111:
	s_wait_alu 0xfffe
	s_or_b32 exec_lo, exec_lo, s0
	s_and_saveexec_b32 s0, vcc_lo
	s_cbranch_execnz .LBB365_163
.LBB365_112:
	s_wait_alu 0xfffe
	s_or_b32 exec_lo, exec_lo, s0
	s_and_saveexec_b32 s0, vcc_lo
	s_cbranch_execnz .LBB365_164
.LBB365_113:
	s_wait_alu 0xfffe
	s_or_b32 exec_lo, exec_lo, s0
	s_and_saveexec_b32 s0, vcc_lo
	s_cbranch_execnz .LBB365_165
.LBB365_114:
	s_wait_alu 0xfffe
	s_or_b32 exec_lo, exec_lo, s0
	s_and_saveexec_b32 s0, vcc_lo
	s_cbranch_execnz .LBB365_166
.LBB365_115:
	s_wait_alu 0xfffe
	s_or_b32 exec_lo, exec_lo, s0
	s_and_saveexec_b32 s0, vcc_lo
	s_cbranch_execnz .LBB365_167
.LBB365_116:
	s_wait_alu 0xfffe
	s_or_b32 exec_lo, exec_lo, s0
	s_and_saveexec_b32 s0, vcc_lo
	s_cbranch_execnz .LBB365_168
.LBB365_117:
	s_wait_alu 0xfffe
	s_or_b32 exec_lo, exec_lo, s0
	s_and_saveexec_b32 s0, vcc_lo
	s_cbranch_execnz .LBB365_169
.LBB365_118:
	s_wait_alu 0xfffe
	s_or_b32 exec_lo, exec_lo, s0
	s_and_saveexec_b32 s0, vcc_lo
	s_cbranch_execnz .LBB365_170
.LBB365_119:
	s_wait_alu 0xfffe
	s_or_b32 exec_lo, exec_lo, s0
	s_and_saveexec_b32 s0, vcc_lo
	s_cbranch_execnz .LBB365_171
.LBB365_120:
	s_wait_alu 0xfffe
	s_or_b32 exec_lo, exec_lo, s0
	s_and_saveexec_b32 s0, vcc_lo
	s_cbranch_execnz .LBB365_172
.LBB365_121:
	s_wait_alu 0xfffe
	s_or_b32 exec_lo, exec_lo, s0
	s_and_saveexec_b32 s0, vcc_lo
	s_cbranch_execnz .LBB365_173
.LBB365_122:
	s_wait_alu 0xfffe
	s_or_b32 exec_lo, exec_lo, s0
	s_and_saveexec_b32 s0, vcc_lo
	s_cbranch_execnz .LBB365_174
.LBB365_123:
	s_wait_alu 0xfffe
	s_or_b32 exec_lo, exec_lo, s0
	s_and_saveexec_b32 s0, vcc_lo
	s_cbranch_execnz .LBB365_175
.LBB365_124:
	s_wait_alu 0xfffe
	s_or_b32 exec_lo, exec_lo, s0
	s_and_saveexec_b32 s0, vcc_lo
	s_cbranch_execnz .LBB365_176
.LBB365_125:
	s_wait_alu 0xfffe
	s_or_b32 exec_lo, exec_lo, s0
	s_and_saveexec_b32 s0, vcc_lo
	s_cbranch_execnz .LBB365_177
.LBB365_126:
	s_wait_alu 0xfffe
	s_or_b32 exec_lo, exec_lo, s0
	s_and_saveexec_b32 s0, vcc_lo
	s_cbranch_execnz .LBB365_178
.LBB365_127:
	s_wait_alu 0xfffe
	s_or_b32 exec_lo, exec_lo, s0
	s_and_saveexec_b32 s0, vcc_lo
	s_cbranch_execnz .LBB365_179
.LBB365_128:
	s_wait_alu 0xfffe
	s_or_b32 exec_lo, exec_lo, s0
	s_and_saveexec_b32 s0, vcc_lo
	s_cbranch_execnz .LBB365_180
.LBB365_129:
	s_wait_alu 0xfffe
	s_or_b32 exec_lo, exec_lo, s0
	s_and_saveexec_b32 s0, vcc_lo
	s_cbranch_execnz .LBB365_181
.LBB365_130:
	s_wait_alu 0xfffe
	s_or_b32 exec_lo, exec_lo, s0
	s_and_saveexec_b32 s0, vcc_lo
	s_cbranch_execnz .LBB365_182
.LBB365_131:
	s_wait_alu 0xfffe
	s_or_b32 exec_lo, exec_lo, s0
	s_and_saveexec_b32 s0, vcc_lo
	s_cbranch_execnz .LBB365_183
.LBB365_132:
	s_wait_alu 0xfffe
	s_or_b32 exec_lo, exec_lo, s0
	s_and_saveexec_b32 s0, vcc_lo
	s_cbranch_execnz .LBB365_184
.LBB365_133:
	s_wait_alu 0xfffe
	s_or_b32 exec_lo, exec_lo, s0
	s_and_saveexec_b32 s0, vcc_lo
	s_cbranch_execz .LBB365_135
.LBB365_134:
	ds_load_b32 v23, v23 offset:736
	s_wait_dscnt 0x0
	v_add_f32_e32 v2, v2, v23
.LBB365_135:
	s_wait_alu 0xfffe
	s_or_b32 exec_lo, exec_lo, s0
.LBB365_136:
	s_wait_alu 0xfffe
	s_or_b32 exec_lo, exec_lo, s1
	s_mov_b32 s1, 0
	s_wait_loadcnt 0x0
	s_barrier_signal -1
	s_barrier_wait -1
	global_inv scope:SCOPE_SE
	s_mov_b32 s0, exec_lo
	v_cmpx_eq_u32_e32 0, v25
	s_cbranch_execz .LBB365_138
; %bb.137:
	scratch_load_b32 v25, off, off offset:856 th:TH_LOAD_LU ; 4-byte Folded Reload
	v_bfe_u32 v23, v32, 16, 1
	v_bfe_u32 v24, v18, 16, 1
	v_or_b32_e32 v26, 0x400000, v32
	v_cmp_u_f32_e32 vcc_lo, v32, v32
	v_or_b32_e32 v27, 0x400000, v18
	v_add3_u32 v23, v23, v32, 0x7fff
	v_add3_u32 v24, v24, v18, 0x7fff
	v_bfe_u32 v28, v17, 16, 1
	v_or_b32_e32 v29, 0x400000, v16
	s_mul_i32 s2, s14, 0xc0
	s_wait_alu 0xfffd
	v_cndmask_b32_e32 v23, v23, v26, vcc_lo
	v_cmp_u_f32_e32 vcc_lo, v18, v18
	v_bfe_u32 v26, v16, 16, 1
	s_mul_i32 s6, s12, s16
	s_wait_alu 0xfffe
	s_ashr_i32 s3, s2, 31
	v_or_b32_e32 v30, 0x400000, v19
	s_wait_alu 0xfffd
	v_cndmask_b32_e32 v18, v24, v27, vcc_lo
	v_add3_u32 v24, v28, v17, 0x7fff
	v_or_b32_e32 v27, 0x400000, v17
	v_cmp_u_f32_e32 vcc_lo, v17, v17
	v_bfe_u32 v28, v22, 16, 1
	v_add3_u32 v26, v26, v16, 0x7fff
	s_ashr_i32 s7, s6, 31
	s_wait_alu 0xfffe
	s_lshl_b64 s[2:3], s[2:3], 1
	s_wait_alu 0xfffd
	v_cndmask_b32_e32 v17, v24, v27, vcc_lo
	v_cmp_u_f32_e32 vcc_lo, v16, v16
	v_add3_u32 v24, v28, v22, 0x7fff
	v_or_b32_e32 v27, 0x400000, v22
	v_bfe_u32 v28, v21, 16, 1
	s_lshl_b64 s[6:7], s[6:7], 1
	s_wait_alu 0xfffd
	v_cndmask_b32_e32 v16, v26, v29, vcc_lo
	v_bfe_u32 v26, v20, 16, 1
	v_cmp_u_f32_e32 vcc_lo, v22, v22
	v_add3_u32 v28, v28, v21, 0x7fff
	v_or_b32_e32 v29, 0x400000, v21
	s_wait_kmcnt 0x0
	s_wait_alu 0xfffe
	s_add_nc_u64 s[2:3], s[4:5], s[2:3]
	v_add3_u32 v26, v26, v20, 0x7fff
	s_wait_alu 0xfffd
	v_cndmask_b32_e32 v22, v24, v27, vcc_lo
	v_or_b32_e32 v27, 0x400000, v20
	v_cmp_u_f32_e32 vcc_lo, v20, v20
	v_bfe_u32 v24, v19, 16, 1
	s_wait_alu 0xfffe
	s_add_nc_u64 s[2:3], s[2:3], s[6:7]
	s_mul_i32 s0, s26, 0x180
	s_wait_alu 0xfffd
	v_cndmask_b32_e32 v20, v26, v27, vcc_lo
	v_cmp_u_f32_e32 vcc_lo, v21, v21
	v_add3_u32 v24, v24, v19, 0x7fff
	s_wait_alu 0xfffe
	s_add_nc_u64 s[0:1], s[2:3], s[0:1]
	v_bfe_u32 v26, v14, 16, 1
	s_wait_alu 0xfffd
	v_cndmask_b32_e32 v21, v28, v29, vcc_lo
	v_cmp_u_f32_e32 vcc_lo, v19, v19
	s_wait_alu 0xfffd
	v_cndmask_b32_e32 v19, v24, v30, vcc_lo
	v_bfe_u32 v24, v15, 16, 1
	v_cmp_u_f32_e32 vcc_lo, v15, v15
	s_wait_loadcnt 0x0
	v_lshrrev_b32_e32 v25, 1, v25
	s_clause 0x7
	global_store_d16_hi_b16 v25, v23, s[0:1]
	global_store_d16_hi_b16 v25, v18, s[0:1] offset:16
	global_store_d16_hi_b16 v25, v17, s[0:1] offset:32
	;; [unrolled: 1-line block ×7, first 2 shown]
	v_add3_u32 v16, v24, v15, 0x7fff
	v_or_b32_e32 v17, 0x400000, v15
	v_add3_u32 v18, v26, v14, 0x7fff
	v_or_b32_e32 v19, 0x400000, v14
	v_bfe_u32 v20, v13, 16, 1
	v_or_b32_e32 v21, 0x400000, v8
	s_wait_alu 0xfffd
	v_cndmask_b32_e32 v15, v16, v17, vcc_lo
	v_cmp_u_f32_e32 vcc_lo, v14, v14
	v_bfe_u32 v16, v12, 16, 1
	v_add3_u32 v17, v20, v13, 0x7fff
	v_or_b32_e32 v20, 0x400000, v12
	s_wait_alu 0xfffd
	v_cndmask_b32_e32 v14, v18, v19, vcc_lo
	v_or_b32_e32 v18, 0x400000, v13
	v_cmp_u_f32_e32 vcc_lo, v13, v13
	v_bfe_u32 v19, v11, 16, 1
	v_add3_u32 v16, v16, v12, 0x7fff
	s_wait_alu 0xfffd
	v_cndmask_b32_e32 v13, v17, v18, vcc_lo
	v_cmp_u_f32_e32 vcc_lo, v12, v12
	v_add3_u32 v17, v19, v11, 0x7fff
	v_or_b32_e32 v18, 0x400000, v11
	v_bfe_u32 v19, v9, 16, 1
	s_wait_alu 0xfffd
	v_cndmask_b32_e32 v12, v16, v20, vcc_lo
	v_bfe_u32 v16, v10, 16, 1
	v_cmp_u_f32_e32 vcc_lo, v11, v11
	v_add3_u32 v19, v19, v9, 0x7fff
	v_or_b32_e32 v20, 0x400000, v9
	s_delay_alu instid0(VALU_DEP_4)
	v_add3_u32 v16, v16, v10, 0x7fff
	s_wait_alu 0xfffd
	v_cndmask_b32_e32 v11, v17, v18, vcc_lo
	v_or_b32_e32 v18, 0x400000, v10
	v_cmp_u_f32_e32 vcc_lo, v10, v10
	v_bfe_u32 v17, v8, 16, 1
	s_wait_alu 0xfffd
	s_delay_alu instid0(VALU_DEP_3) | instskip(SKIP_1) | instid1(VALU_DEP_3)
	v_cndmask_b32_e32 v10, v16, v18, vcc_lo
	v_cmp_u_f32_e32 vcc_lo, v9, v9
	v_add3_u32 v17, v17, v8, 0x7fff
	v_bfe_u32 v16, v7, 16, 1
	s_wait_alu 0xfffd
	v_cndmask_b32_e32 v9, v19, v20, vcc_lo
	v_cmp_u_f32_e32 vcc_lo, v8, v8
	s_wait_alu 0xfffd
	v_cndmask_b32_e32 v8, v17, v21, vcc_lo
	v_bfe_u32 v17, v6, 16, 1
	s_clause 0x7
	global_store_d16_hi_b16 v25, v15, s[0:1] offset:128
	global_store_d16_hi_b16 v25, v14, s[0:1] offset:144
	;; [unrolled: 1-line block ×8, first 2 shown]
	v_add3_u32 v8, v16, v7, 0x7fff
	v_or_b32_e32 v9, 0x400000, v7
	v_cmp_u_f32_e32 vcc_lo, v7, v7
	v_add3_u32 v10, v17, v6, 0x7fff
	v_or_b32_e32 v11, 0x400000, v6
	v_bfe_u32 v12, v5, 16, 1
	v_or_b32_e32 v13, 0x400000, v2
	s_wait_alu 0xfffd
	v_cndmask_b32_e32 v7, v8, v9, vcc_lo
	v_cmp_u_f32_e32 vcc_lo, v6, v6
	v_bfe_u32 v8, v4, 16, 1
	v_add3_u32 v9, v12, v5, 0x7fff
	v_or_b32_e32 v12, 0x400000, v4
	s_wait_alu 0xfffd
	v_cndmask_b32_e32 v6, v10, v11, vcc_lo
	v_or_b32_e32 v10, 0x400000, v5
	v_cmp_u_f32_e32 vcc_lo, v5, v5
	v_bfe_u32 v11, v3, 16, 1
	v_add3_u32 v8, v8, v4, 0x7fff
	s_wait_alu 0xfffd
	v_cndmask_b32_e32 v5, v9, v10, vcc_lo
	v_cmp_u_f32_e32 vcc_lo, v4, v4
	v_add3_u32 v9, v11, v3, 0x7fff
	v_or_b32_e32 v10, 0x400000, v3
	v_bfe_u32 v11, v1, 16, 1
	s_wait_alu 0xfffd
	v_cndmask_b32_e32 v4, v8, v12, vcc_lo
	v_bfe_u32 v8, v0, 16, 1
	v_cmp_u_f32_e32 vcc_lo, v3, v3
	v_add3_u32 v11, v11, v1, 0x7fff
	v_or_b32_e32 v12, 0x400000, v1
	s_delay_alu instid0(VALU_DEP_4)
	v_add3_u32 v8, v8, v0, 0x7fff
	s_wait_alu 0xfffd
	v_cndmask_b32_e32 v3, v9, v10, vcc_lo
	v_or_b32_e32 v10, 0x400000, v0
	v_cmp_u_f32_e32 vcc_lo, v0, v0
	v_bfe_u32 v9, v2, 16, 1
	s_wait_alu 0xfffd
	s_delay_alu instid0(VALU_DEP_3) | instskip(SKIP_1) | instid1(VALU_DEP_3)
	v_cndmask_b32_e32 v0, v8, v10, vcc_lo
	v_cmp_u_f32_e32 vcc_lo, v1, v1
	v_add3_u32 v9, v9, v2, 0x7fff
	s_wait_alu 0xfffd
	v_cndmask_b32_e32 v1, v11, v12, vcc_lo
	v_cmp_u_f32_e32 vcc_lo, v2, v2
	s_wait_alu 0xfffd
	v_cndmask_b32_e32 v2, v9, v13, vcc_lo
	s_clause 0x7
	global_store_d16_hi_b16 v25, v7, s[0:1] offset:256
	global_store_d16_hi_b16 v25, v6, s[0:1] offset:272
	;; [unrolled: 1-line block ×8, first 2 shown]
.LBB365_138:
	s_nop 0
	s_sendmsg sendmsg(MSG_DEALLOC_VGPRS)
	s_endpgm
.LBB365_139:
	ds_load_b32 v25, v23
	s_wait_dscnt 0x0
	v_add_f32_e32 v32, v32, v25
	s_wait_alu 0xfffe
	s_or_b32 exec_lo, exec_lo, s0
	s_and_saveexec_b32 s0, vcc_lo
	s_cbranch_execz .LBB365_83
.LBB365_140:
	ds_load_b32 v25, v23 offset:32
	s_wait_dscnt 0x0
	v_add_f32_e32 v18, v18, v25
	s_wait_alu 0xfffe
	s_or_b32 exec_lo, exec_lo, s0
	s_and_saveexec_b32 s0, vcc_lo
	s_cbranch_execz .LBB365_84
.LBB365_141:
	ds_load_b32 v25, v23 offset:64
	s_wait_dscnt 0x0
	v_add_f32_e32 v17, v17, v25
	s_wait_alu 0xfffe
	s_or_b32 exec_lo, exec_lo, s0
	s_and_saveexec_b32 s0, vcc_lo
	s_cbranch_execz .LBB365_85
.LBB365_142:
	ds_load_b32 v25, v23 offset:96
	s_wait_dscnt 0x0
	v_add_f32_e32 v16, v16, v25
	s_wait_alu 0xfffe
	s_or_b32 exec_lo, exec_lo, s0
	s_and_saveexec_b32 s0, vcc_lo
	s_cbranch_execz .LBB365_86
.LBB365_143:
	ds_load_b32 v25, v23 offset:128
	s_wait_dscnt 0x0
	v_add_f32_e32 v22, v22, v25
	s_wait_alu 0xfffe
	s_or_b32 exec_lo, exec_lo, s0
	s_and_saveexec_b32 s0, vcc_lo
	s_cbranch_execz .LBB365_87
.LBB365_144:
	ds_load_b32 v25, v23 offset:160
	s_wait_dscnt 0x0
	v_add_f32_e32 v20, v20, v25
	s_wait_alu 0xfffe
	s_or_b32 exec_lo, exec_lo, s0
	s_and_saveexec_b32 s0, vcc_lo
	s_cbranch_execz .LBB365_88
.LBB365_145:
	ds_load_b32 v25, v23 offset:192
	s_wait_dscnt 0x0
	v_add_f32_e32 v21, v21, v25
	s_wait_alu 0xfffe
	s_or_b32 exec_lo, exec_lo, s0
	s_and_saveexec_b32 s0, vcc_lo
	s_cbranch_execz .LBB365_89
.LBB365_146:
	ds_load_b32 v25, v23 offset:224
	s_wait_dscnt 0x0
	v_add_f32_e32 v19, v19, v25
	s_wait_alu 0xfffe
	s_or_b32 exec_lo, exec_lo, s0
	s_and_saveexec_b32 s0, vcc_lo
	s_cbranch_execz .LBB365_90
.LBB365_147:
	ds_load_b32 v25, v23 offset:256
	s_wait_dscnt 0x0
	v_add_f32_e32 v15, v15, v25
	s_wait_alu 0xfffe
	s_or_b32 exec_lo, exec_lo, s0
	s_and_saveexec_b32 s0, vcc_lo
	s_cbranch_execz .LBB365_91
.LBB365_148:
	ds_load_b32 v25, v23 offset:288
	s_wait_dscnt 0x0
	v_add_f32_e32 v14, v14, v25
	s_wait_alu 0xfffe
	s_or_b32 exec_lo, exec_lo, s0
	s_and_saveexec_b32 s0, vcc_lo
	s_cbranch_execz .LBB365_92
.LBB365_149:
	ds_load_b32 v25, v23 offset:320
	s_wait_dscnt 0x0
	v_add_f32_e32 v13, v13, v25
	s_wait_alu 0xfffe
	s_or_b32 exec_lo, exec_lo, s0
	s_and_saveexec_b32 s0, vcc_lo
	s_cbranch_execz .LBB365_93
.LBB365_150:
	ds_load_b32 v25, v23 offset:352
	s_wait_dscnt 0x0
	v_add_f32_e32 v12, v12, v25
	s_wait_alu 0xfffe
	s_or_b32 exec_lo, exec_lo, s0
	s_and_saveexec_b32 s0, vcc_lo
	s_cbranch_execz .LBB365_94
.LBB365_151:
	ds_load_b32 v25, v23 offset:384
	s_wait_dscnt 0x0
	v_add_f32_e32 v11, v11, v25
	s_wait_alu 0xfffe
	s_or_b32 exec_lo, exec_lo, s0
	s_and_saveexec_b32 s0, vcc_lo
	s_cbranch_execz .LBB365_95
.LBB365_152:
	ds_load_b32 v25, v23 offset:416
	s_wait_dscnt 0x0
	v_add_f32_e32 v10, v10, v25
	s_wait_alu 0xfffe
	s_or_b32 exec_lo, exec_lo, s0
	s_and_saveexec_b32 s0, vcc_lo
	s_cbranch_execz .LBB365_96
.LBB365_153:
	ds_load_b32 v25, v23 offset:448
	s_wait_dscnt 0x0
	v_add_f32_e32 v9, v9, v25
	s_wait_alu 0xfffe
	s_or_b32 exec_lo, exec_lo, s0
	s_and_saveexec_b32 s0, vcc_lo
	s_cbranch_execz .LBB365_97
.LBB365_154:
	ds_load_b32 v25, v23 offset:480
	s_wait_dscnt 0x0
	v_add_f32_e32 v8, v8, v25
	s_wait_alu 0xfffe
	s_or_b32 exec_lo, exec_lo, s0
	s_and_saveexec_b32 s0, vcc_lo
	s_cbranch_execz .LBB365_98
.LBB365_155:
	ds_load_b32 v25, v23 offset:512
	s_wait_dscnt 0x0
	v_add_f32_e32 v7, v7, v25
	s_wait_alu 0xfffe
	s_or_b32 exec_lo, exec_lo, s0
	s_and_saveexec_b32 s0, vcc_lo
	s_cbranch_execz .LBB365_99
.LBB365_156:
	ds_load_b32 v25, v23 offset:544
	s_wait_dscnt 0x0
	v_add_f32_e32 v6, v6, v25
	s_wait_alu 0xfffe
	s_or_b32 exec_lo, exec_lo, s0
	s_and_saveexec_b32 s0, vcc_lo
	s_cbranch_execz .LBB365_100
.LBB365_157:
	ds_load_b32 v25, v23 offset:576
	s_wait_dscnt 0x0
	v_add_f32_e32 v5, v5, v25
	s_wait_alu 0xfffe
	s_or_b32 exec_lo, exec_lo, s0
	s_and_saveexec_b32 s0, vcc_lo
	s_cbranch_execz .LBB365_101
.LBB365_158:
	ds_load_b32 v25, v23 offset:608
	s_wait_dscnt 0x0
	v_add_f32_e32 v4, v4, v25
	s_wait_alu 0xfffe
	s_or_b32 exec_lo, exec_lo, s0
	s_and_saveexec_b32 s0, vcc_lo
	s_cbranch_execz .LBB365_102
.LBB365_159:
	ds_load_b32 v25, v23 offset:640
	s_wait_dscnt 0x0
	v_add_f32_e32 v3, v3, v25
	s_wait_alu 0xfffe
	s_or_b32 exec_lo, exec_lo, s0
	s_and_saveexec_b32 s0, vcc_lo
	s_cbranch_execz .LBB365_103
.LBB365_160:
	ds_load_b32 v25, v23 offset:672
	s_wait_dscnt 0x0
	v_add_f32_e32 v0, v0, v25
	s_wait_alu 0xfffe
	s_or_b32 exec_lo, exec_lo, s0
	s_and_saveexec_b32 s0, vcc_lo
	s_cbranch_execz .LBB365_104
.LBB365_161:
	ds_load_b32 v25, v23 offset:704
	s_wait_dscnt 0x0
	v_add_f32_e32 v1, v1, v25
	s_wait_alu 0xfffe
	s_or_b32 exec_lo, exec_lo, s0
	s_and_saveexec_b32 s0, vcc_lo
	s_cbranch_execnz .LBB365_105
	s_branch .LBB365_106
.LBB365_162:
	ds_load_b32 v24, v23
	s_wait_dscnt 0x0
	v_add_f32_e32 v32, v32, v24
	s_wait_alu 0xfffe
	s_or_b32 exec_lo, exec_lo, s0
	s_and_saveexec_b32 s0, vcc_lo
	s_cbranch_execz .LBB365_112
.LBB365_163:
	ds_load_b32 v24, v23 offset:32
	s_wait_dscnt 0x0
	v_add_f32_e32 v18, v18, v24
	s_wait_alu 0xfffe
	s_or_b32 exec_lo, exec_lo, s0
	s_and_saveexec_b32 s0, vcc_lo
	s_cbranch_execz .LBB365_113
.LBB365_164:
	ds_load_b32 v24, v23 offset:64
	s_wait_dscnt 0x0
	v_add_f32_e32 v17, v17, v24
	s_wait_alu 0xfffe
	s_or_b32 exec_lo, exec_lo, s0
	s_and_saveexec_b32 s0, vcc_lo
	s_cbranch_execz .LBB365_114
.LBB365_165:
	ds_load_b32 v24, v23 offset:96
	s_wait_dscnt 0x0
	v_add_f32_e32 v16, v16, v24
	s_wait_alu 0xfffe
	s_or_b32 exec_lo, exec_lo, s0
	s_and_saveexec_b32 s0, vcc_lo
	s_cbranch_execz .LBB365_115
.LBB365_166:
	ds_load_b32 v24, v23 offset:128
	s_wait_dscnt 0x0
	v_add_f32_e32 v22, v22, v24
	s_wait_alu 0xfffe
	s_or_b32 exec_lo, exec_lo, s0
	s_and_saveexec_b32 s0, vcc_lo
	s_cbranch_execz .LBB365_116
.LBB365_167:
	ds_load_b32 v24, v23 offset:160
	s_wait_dscnt 0x0
	v_add_f32_e32 v20, v20, v24
	s_wait_alu 0xfffe
	s_or_b32 exec_lo, exec_lo, s0
	s_and_saveexec_b32 s0, vcc_lo
	s_cbranch_execz .LBB365_117
.LBB365_168:
	ds_load_b32 v24, v23 offset:192
	s_wait_dscnt 0x0
	v_add_f32_e32 v21, v21, v24
	s_wait_alu 0xfffe
	s_or_b32 exec_lo, exec_lo, s0
	s_and_saveexec_b32 s0, vcc_lo
	s_cbranch_execz .LBB365_118
.LBB365_169:
	ds_load_b32 v24, v23 offset:224
	s_wait_dscnt 0x0
	v_add_f32_e32 v19, v19, v24
	s_wait_alu 0xfffe
	s_or_b32 exec_lo, exec_lo, s0
	s_and_saveexec_b32 s0, vcc_lo
	s_cbranch_execz .LBB365_119
.LBB365_170:
	ds_load_b32 v24, v23 offset:256
	s_wait_dscnt 0x0
	v_add_f32_e32 v15, v15, v24
	s_wait_alu 0xfffe
	s_or_b32 exec_lo, exec_lo, s0
	s_and_saveexec_b32 s0, vcc_lo
	s_cbranch_execz .LBB365_120
.LBB365_171:
	ds_load_b32 v24, v23 offset:288
	s_wait_dscnt 0x0
	v_add_f32_e32 v14, v14, v24
	s_wait_alu 0xfffe
	s_or_b32 exec_lo, exec_lo, s0
	s_and_saveexec_b32 s0, vcc_lo
	s_cbranch_execz .LBB365_121
.LBB365_172:
	ds_load_b32 v24, v23 offset:320
	s_wait_dscnt 0x0
	v_add_f32_e32 v13, v13, v24
	s_wait_alu 0xfffe
	s_or_b32 exec_lo, exec_lo, s0
	s_and_saveexec_b32 s0, vcc_lo
	s_cbranch_execz .LBB365_122
.LBB365_173:
	ds_load_b32 v24, v23 offset:352
	s_wait_dscnt 0x0
	v_add_f32_e32 v12, v12, v24
	s_wait_alu 0xfffe
	s_or_b32 exec_lo, exec_lo, s0
	s_and_saveexec_b32 s0, vcc_lo
	s_cbranch_execz .LBB365_123
.LBB365_174:
	ds_load_b32 v24, v23 offset:384
	s_wait_dscnt 0x0
	v_add_f32_e32 v11, v11, v24
	s_wait_alu 0xfffe
	s_or_b32 exec_lo, exec_lo, s0
	s_and_saveexec_b32 s0, vcc_lo
	s_cbranch_execz .LBB365_124
.LBB365_175:
	ds_load_b32 v24, v23 offset:416
	s_wait_dscnt 0x0
	v_add_f32_e32 v10, v10, v24
	s_wait_alu 0xfffe
	s_or_b32 exec_lo, exec_lo, s0
	s_and_saveexec_b32 s0, vcc_lo
	s_cbranch_execz .LBB365_125
.LBB365_176:
	ds_load_b32 v24, v23 offset:448
	s_wait_dscnt 0x0
	v_add_f32_e32 v9, v9, v24
	s_wait_alu 0xfffe
	s_or_b32 exec_lo, exec_lo, s0
	s_and_saveexec_b32 s0, vcc_lo
	s_cbranch_execz .LBB365_126
.LBB365_177:
	ds_load_b32 v24, v23 offset:480
	s_wait_dscnt 0x0
	v_add_f32_e32 v8, v8, v24
	s_wait_alu 0xfffe
	s_or_b32 exec_lo, exec_lo, s0
	s_and_saveexec_b32 s0, vcc_lo
	s_cbranch_execz .LBB365_127
.LBB365_178:
	ds_load_b32 v24, v23 offset:512
	s_wait_dscnt 0x0
	v_add_f32_e32 v7, v7, v24
	s_wait_alu 0xfffe
	s_or_b32 exec_lo, exec_lo, s0
	s_and_saveexec_b32 s0, vcc_lo
	s_cbranch_execz .LBB365_128
.LBB365_179:
	ds_load_b32 v24, v23 offset:544
	s_wait_dscnt 0x0
	v_add_f32_e32 v6, v6, v24
	s_wait_alu 0xfffe
	s_or_b32 exec_lo, exec_lo, s0
	s_and_saveexec_b32 s0, vcc_lo
	s_cbranch_execz .LBB365_129
.LBB365_180:
	ds_load_b32 v24, v23 offset:576
	s_wait_dscnt 0x0
	v_add_f32_e32 v5, v5, v24
	s_wait_alu 0xfffe
	s_or_b32 exec_lo, exec_lo, s0
	s_and_saveexec_b32 s0, vcc_lo
	s_cbranch_execz .LBB365_130
.LBB365_181:
	ds_load_b32 v24, v23 offset:608
	s_wait_dscnt 0x0
	v_add_f32_e32 v4, v4, v24
	s_wait_alu 0xfffe
	s_or_b32 exec_lo, exec_lo, s0
	s_and_saveexec_b32 s0, vcc_lo
	s_cbranch_execz .LBB365_131
.LBB365_182:
	ds_load_b32 v24, v23 offset:640
	s_wait_dscnt 0x0
	v_add_f32_e32 v3, v3, v24
	s_wait_alu 0xfffe
	s_or_b32 exec_lo, exec_lo, s0
	s_and_saveexec_b32 s0, vcc_lo
	s_cbranch_execz .LBB365_132
.LBB365_183:
	ds_load_b32 v24, v23 offset:672
	s_wait_dscnt 0x0
	v_add_f32_e32 v0, v0, v24
	s_wait_alu 0xfffe
	s_or_b32 exec_lo, exec_lo, s0
	s_and_saveexec_b32 s0, vcc_lo
	s_cbranch_execz .LBB365_133
.LBB365_184:
	ds_load_b32 v24, v23 offset:704
	s_wait_dscnt 0x0
	v_add_f32_e32 v1, v1, v24
	s_wait_alu 0xfffe
	s_or_b32 exec_lo, exec_lo, s0
	s_and_saveexec_b32 s0, vcc_lo
	s_cbranch_execnz .LBB365_134
	s_branch .LBB365_135
	.section	.rodata,"a",@progbits
	.p2align	6, 0x0
	.amdhsa_kernel _ZN4vllm25paged_attention_v2_kernelI14__hip_bfloat16hLi192ELi32ELi128ELNS_18Fp8KVCacheDataTypeE1ELb0ELi512EEEvPfS3_PT_PKS4_PKT0_SA_ifPKiSC_iPKfiiiSE_SE_iiiii
		.amdhsa_group_segment_fixed_size 416
		.amdhsa_private_segment_fixed_size 876
		.amdhsa_kernarg_size 400
		.amdhsa_user_sgpr_count 2
		.amdhsa_user_sgpr_dispatch_ptr 0
		.amdhsa_user_sgpr_queue_ptr 0
		.amdhsa_user_sgpr_kernarg_segment_ptr 1
		.amdhsa_user_sgpr_dispatch_id 0
		.amdhsa_user_sgpr_private_segment_size 0
		.amdhsa_wavefront_size32 1
		.amdhsa_uses_dynamic_stack 0
		.amdhsa_enable_private_segment 1
		.amdhsa_system_sgpr_workgroup_id_x 1
		.amdhsa_system_sgpr_workgroup_id_y 1
		.amdhsa_system_sgpr_workgroup_id_z 1
		.amdhsa_system_sgpr_workgroup_info 0
		.amdhsa_system_vgpr_workitem_id 0
		.amdhsa_next_free_vgpr 192
		.amdhsa_next_free_sgpr 38
		.amdhsa_reserve_vcc 1
		.amdhsa_float_round_mode_32 0
		.amdhsa_float_round_mode_16_64 0
		.amdhsa_float_denorm_mode_32 3
		.amdhsa_float_denorm_mode_16_64 3
		.amdhsa_fp16_overflow 0
		.amdhsa_workgroup_processor_mode 1
		.amdhsa_memory_ordered 1
		.amdhsa_forward_progress 1
		.amdhsa_inst_pref_size 255
		.amdhsa_round_robin_scheduling 0
		.amdhsa_exception_fp_ieee_invalid_op 0
		.amdhsa_exception_fp_denorm_src 0
		.amdhsa_exception_fp_ieee_div_zero 0
		.amdhsa_exception_fp_ieee_overflow 0
		.amdhsa_exception_fp_ieee_underflow 0
		.amdhsa_exception_fp_ieee_inexact 0
		.amdhsa_exception_int_div_zero 0
	.end_amdhsa_kernel
	.section	.text._ZN4vllm25paged_attention_v2_kernelI14__hip_bfloat16hLi192ELi32ELi128ELNS_18Fp8KVCacheDataTypeE1ELb0ELi512EEEvPfS3_PT_PKS4_PKT0_SA_ifPKiSC_iPKfiiiSE_SE_iiiii,"axG",@progbits,_ZN4vllm25paged_attention_v2_kernelI14__hip_bfloat16hLi192ELi32ELi128ELNS_18Fp8KVCacheDataTypeE1ELb0ELi512EEEvPfS3_PT_PKS4_PKT0_SA_ifPKiSC_iPKfiiiSE_SE_iiiii,comdat
.Lfunc_end365:
	.size	_ZN4vllm25paged_attention_v2_kernelI14__hip_bfloat16hLi192ELi32ELi128ELNS_18Fp8KVCacheDataTypeE1ELb0ELi512EEEvPfS3_PT_PKS4_PKT0_SA_ifPKiSC_iPKfiiiSE_SE_iiiii, .Lfunc_end365-_ZN4vllm25paged_attention_v2_kernelI14__hip_bfloat16hLi192ELi32ELi128ELNS_18Fp8KVCacheDataTypeE1ELb0ELi512EEEvPfS3_PT_PKS4_PKT0_SA_ifPKiSC_iPKfiiiSE_SE_iiiii
                                        ; -- End function
	.set _ZN4vllm25paged_attention_v2_kernelI14__hip_bfloat16hLi192ELi32ELi128ELNS_18Fp8KVCacheDataTypeE1ELb0ELi512EEEvPfS3_PT_PKS4_PKT0_SA_ifPKiSC_iPKfiiiSE_SE_iiiii.num_vgpr, 192
	.set _ZN4vllm25paged_attention_v2_kernelI14__hip_bfloat16hLi192ELi32ELi128ELNS_18Fp8KVCacheDataTypeE1ELb0ELi512EEEvPfS3_PT_PKS4_PKT0_SA_ifPKiSC_iPKfiiiSE_SE_iiiii.num_agpr, 0
	.set _ZN4vllm25paged_attention_v2_kernelI14__hip_bfloat16hLi192ELi32ELi128ELNS_18Fp8KVCacheDataTypeE1ELb0ELi512EEEvPfS3_PT_PKS4_PKT0_SA_ifPKiSC_iPKfiiiSE_SE_iiiii.numbered_sgpr, 38
	.set _ZN4vllm25paged_attention_v2_kernelI14__hip_bfloat16hLi192ELi32ELi128ELNS_18Fp8KVCacheDataTypeE1ELb0ELi512EEEvPfS3_PT_PKS4_PKT0_SA_ifPKiSC_iPKfiiiSE_SE_iiiii.num_named_barrier, 0
	.set _ZN4vllm25paged_attention_v2_kernelI14__hip_bfloat16hLi192ELi32ELi128ELNS_18Fp8KVCacheDataTypeE1ELb0ELi512EEEvPfS3_PT_PKS4_PKT0_SA_ifPKiSC_iPKfiiiSE_SE_iiiii.private_seg_size, 876
	.set _ZN4vllm25paged_attention_v2_kernelI14__hip_bfloat16hLi192ELi32ELi128ELNS_18Fp8KVCacheDataTypeE1ELb0ELi512EEEvPfS3_PT_PKS4_PKT0_SA_ifPKiSC_iPKfiiiSE_SE_iiiii.uses_vcc, 1
	.set _ZN4vllm25paged_attention_v2_kernelI14__hip_bfloat16hLi192ELi32ELi128ELNS_18Fp8KVCacheDataTypeE1ELb0ELi512EEEvPfS3_PT_PKS4_PKT0_SA_ifPKiSC_iPKfiiiSE_SE_iiiii.uses_flat_scratch, 1
	.set _ZN4vllm25paged_attention_v2_kernelI14__hip_bfloat16hLi192ELi32ELi128ELNS_18Fp8KVCacheDataTypeE1ELb0ELi512EEEvPfS3_PT_PKS4_PKT0_SA_ifPKiSC_iPKfiiiSE_SE_iiiii.has_dyn_sized_stack, 0
	.set _ZN4vllm25paged_attention_v2_kernelI14__hip_bfloat16hLi192ELi32ELi128ELNS_18Fp8KVCacheDataTypeE1ELb0ELi512EEEvPfS3_PT_PKS4_PKT0_SA_ifPKiSC_iPKfiiiSE_SE_iiiii.has_recursion, 0
	.set _ZN4vllm25paged_attention_v2_kernelI14__hip_bfloat16hLi192ELi32ELi128ELNS_18Fp8KVCacheDataTypeE1ELb0ELi512EEEvPfS3_PT_PKS4_PKT0_SA_ifPKiSC_iPKfiiiSE_SE_iiiii.has_indirect_call, 0
	.section	.AMDGPU.csdata,"",@progbits
; Kernel info:
; codeLenInByte = 67332
; TotalNumSgprs: 40
; NumVgprs: 192
; ScratchSize: 876
; MemoryBound: 0
; FloatMode: 240
; IeeeMode: 1
; LDSByteSize: 416 bytes/workgroup (compile time only)
; SGPRBlocks: 0
; VGPRBlocks: 23
; NumSGPRsForWavesPerEU: 40
; NumVGPRsForWavesPerEU: 192
; Occupancy: 8
; WaveLimiterHint : 1
; COMPUTE_PGM_RSRC2:SCRATCH_EN: 1
; COMPUTE_PGM_RSRC2:USER_SGPR: 2
; COMPUTE_PGM_RSRC2:TRAP_HANDLER: 0
; COMPUTE_PGM_RSRC2:TGID_X_EN: 1
; COMPUTE_PGM_RSRC2:TGID_Y_EN: 1
; COMPUTE_PGM_RSRC2:TGID_Z_EN: 1
; COMPUTE_PGM_RSRC2:TIDIG_COMP_CNT: 0
	.section	.text._ZN4vllm25paged_attention_v2_kernelI14__hip_bfloat16hLi256ELi32ELi128ELNS_18Fp8KVCacheDataTypeE1ELb0ELi512EEEvPfS3_PT_PKS4_PKT0_SA_ifPKiSC_iPKfiiiSE_SE_iiiii,"axG",@progbits,_ZN4vllm25paged_attention_v2_kernelI14__hip_bfloat16hLi256ELi32ELi128ELNS_18Fp8KVCacheDataTypeE1ELb0ELi512EEEvPfS3_PT_PKS4_PKT0_SA_ifPKiSC_iPKfiiiSE_SE_iiiii,comdat
	.protected	_ZN4vllm25paged_attention_v2_kernelI14__hip_bfloat16hLi256ELi32ELi128ELNS_18Fp8KVCacheDataTypeE1ELb0ELi512EEEvPfS3_PT_PKS4_PKT0_SA_ifPKiSC_iPKfiiiSE_SE_iiiii ; -- Begin function _ZN4vllm25paged_attention_v2_kernelI14__hip_bfloat16hLi256ELi32ELi128ELNS_18Fp8KVCacheDataTypeE1ELb0ELi512EEEvPfS3_PT_PKS4_PKT0_SA_ifPKiSC_iPKfiiiSE_SE_iiiii
	.globl	_ZN4vllm25paged_attention_v2_kernelI14__hip_bfloat16hLi256ELi32ELi128ELNS_18Fp8KVCacheDataTypeE1ELb0ELi512EEEvPfS3_PT_PKS4_PKT0_SA_ifPKiSC_iPKfiiiSE_SE_iiiii
	.p2align	8
	.type	_ZN4vllm25paged_attention_v2_kernelI14__hip_bfloat16hLi256ELi32ELi128ELNS_18Fp8KVCacheDataTypeE1ELb0ELi512EEEvPfS3_PT_PKS4_PKT0_SA_ifPKiSC_iPKfiiiSE_SE_iiiii,@function
_ZN4vllm25paged_attention_v2_kernelI14__hip_bfloat16hLi256ELi32ELi128ELNS_18Fp8KVCacheDataTypeE1ELb0ELi512EEEvPfS3_PT_PKS4_PKT0_SA_ifPKiSC_iPKfiiiSE_SE_iiiii: ; @_ZN4vllm25paged_attention_v2_kernelI14__hip_bfloat16hLi256ELi32ELi128ELNS_18Fp8KVCacheDataTypeE1ELb0ELi512EEEvPfS3_PT_PKS4_PKT0_SA_ifPKiSC_iPKfiiiSE_SE_iiiii
; %bb.0:
	s_load_b64 s[2:3], s[0:1], 0x40
	s_and_b32 s29, ttmp7, 0xffff
	s_lshr_b32 s28, ttmp7, 16
	s_lshl_b32 s4, s29, 2
	s_lshl_b32 s16, s28, 9
	s_wait_kmcnt 0x0
	s_load_b32 s17, s[2:3], s4 offset:0x0
	s_wait_kmcnt 0x0
	s_cmp_ge_i32 s16, s17
	s_cbranch_scc1 .LBB366_170
; %bb.1:
	s_clause 0x1
	s_load_b32 s31, s[0:1], 0x90
	s_load_b64 s[8:9], s[0:1], 0x30
	s_wait_kmcnt 0x0
	s_abs_i32 s5, s31
	s_abs_i32 s2, s8
	s_delay_alu instid0(SALU_CYCLE_1) | instskip(SKIP_1) | instid1(SALU_CYCLE_2)
	s_cvt_f32_u32 s3, s2
	s_sub_co_i32 s4, 0, s2
	v_rcp_iflag_f32_e32 v1, s3
	s_delay_alu instid0(TRANS32_DEP_1) | instskip(SKIP_2) | instid1(SALU_CYCLE_2)
	v_readfirstlane_b32 s3, v1
	s_mul_f32 s3, s3, 0x4f7ffffe
	s_wait_alu 0xfffe
	s_cvt_u32_f32 s3, s3
	s_wait_alu 0xfffe
	s_delay_alu instid0(SALU_CYCLE_2) | instskip(NEXT) | instid1(SALU_CYCLE_1)
	s_mul_i32 s4, s4, s3
	s_mul_hi_u32 s4, s3, s4
	s_delay_alu instid0(SALU_CYCLE_1)
	s_add_co_i32 s3, s3, s4
	s_xor_b32 s4, s31, s8
	s_wait_alu 0xfffe
	s_mul_hi_u32 s3, s5, s3
	s_ashr_i32 s4, s4, 31
	s_wait_alu 0xfffe
	s_mul_i32 s6, s3, s2
	s_delay_alu instid0(SALU_CYCLE_1)
	s_sub_co_i32 s5, s5, s6
	s_add_co_i32 s6, s3, 1
	s_sub_co_i32 s7, s5, s2
	s_cmp_ge_u32 s5, s2
	s_cselect_b32 s3, s6, s3
	s_cselect_b32 s5, s7, s5
	s_wait_alu 0xfffe
	s_add_co_i32 s6, s3, 1
	s_cmp_ge_u32 s5, s2
	s_mov_b32 s5, 0
	s_cselect_b32 s2, s6, s3
	s_load_b64 s[6:7], s[0:1], 0x50
	s_xor_b32 s2, s2, s4
	s_mov_b32 s8, s5
	s_wait_alu 0xfffe
	s_sub_co_i32 s11, s2, s4
	s_abs_i32 s4, ttmp9
	s_abs_i32 s10, s11
	s_delay_alu instid0(SALU_CYCLE_1) | instskip(SKIP_2) | instid1(SALU_CYCLE_1)
	s_cvt_f32_u32 s2, s10
	s_sub_co_i32 s3, 0, s10
	s_wait_alu 0xfffe
	v_rcp_iflag_f32_e32 v1, s2
	s_delay_alu instid0(TRANS32_DEP_1) | instskip(SKIP_2) | instid1(SALU_CYCLE_2)
	v_readfirstlane_b32 s2, v1
	s_mul_f32 s2, s2, 0x4f7ffffe
	s_wait_alu 0xfffe
	s_cvt_u32_f32 s2, s2
	s_wait_alu 0xfffe
	s_delay_alu instid0(SALU_CYCLE_2)
	s_mul_i32 s3, s3, s2
	s_wait_alu 0xfffe
	s_mul_hi_u32 s3, s2, s3
	s_wait_alu 0xfffe
	s_add_co_i32 s2, s2, s3
	s_mov_b32 s3, s5
	s_wait_kmcnt 0x0
	s_cmp_eq_u64 s[6:7], 0
	s_cbranch_scc1 .LBB366_3
; %bb.2:
	s_mov_b32 s12, ttmp9
	s_ashr_i32 s13, ttmp9, 31
	s_delay_alu instid0(SALU_CYCLE_1) | instskip(NEXT) | instid1(SALU_CYCLE_1)
	s_lshl_b64 s[12:13], s[12:13], 2
	s_add_nc_u64 s[6:7], s[6:7], s[12:13]
	s_load_b32 s8, s[6:7], 0x0
.LBB366_3:
	s_load_b96 s[12:14], s[0:1], 0x58
	s_mul_u64 s[2:3], s[4:5], s[2:3]
	v_cmp_gt_u32_e64 s2, 32, v0
	s_ashr_i32 s5, ttmp9, 31
	s_ashr_i32 s6, s11, 31
	s_lshl_b32 s18, ttmp9, 8
	s_wait_alu 0xfffe
	s_and_saveexec_b32 s7, s2
	s_cbranch_execz .LBB366_5
; %bb.4:
	s_load_b64 s[20:21], s[0:1], 0x18
	s_wait_kmcnt 0x0
	s_mul_i32 s22, s12, s29
	s_ashr_i32 s19, s18, 31
	s_ashr_i32 s23, s22, 31
	v_lshlrev_b32_e32 v4, 4, v0
	s_lshl_b64 s[22:23], s[22:23], 1
	s_delay_alu instid0(SALU_CYCLE_1) | instskip(SKIP_1) | instid1(SALU_CYCLE_1)
	s_add_nc_u64 s[20:21], s[20:21], s[22:23]
	s_lshl_b64 s[22:23], s[18:19], 1
	s_add_nc_u64 s[20:21], s[20:21], s[22:23]
	global_load_b128 v[5:8], v4, s[20:21]
	s_wait_loadcnt 0x0
	ds_store_b128 v4, v[5:8]
.LBB366_5:
	s_or_b32 exec_lo, exec_lo, s7
	s_add_co_i32 s7, s17, 31
	s_lshl_b32 s33, s28, 4
	s_ashr_i32 s11, s7, 31
	s_xor_b32 s15, s5, s6
	s_lshr_b32 s11, s11, 27
	s_mul_i32 s6, s3, s10
	s_add_co_i32 s7, s7, s11
	s_add_co_i32 s5, s33, 16
	s_ashr_i32 s30, s7, 5
	s_sub_co_i32 s20, s4, s6
	s_clause 0x1
	s_load_b64 s[22:23], s[0:1], 0x38
	s_load_b32 s11, s[0:1], 0x48
	s_min_i32 s19, s5, s30
	s_add_co_i32 s4, s3, 1
	s_sub_co_i32 s21, s20, s10
	s_cmp_ge_u32 s20, s10
	v_lshrrev_b32_e32 v1, 5, v0
	s_cselect_b32 s3, s4, s3
	s_wait_kmcnt 0x0
	s_clause 0x1
	s_load_b32 s12, s[0:1], 0x98
	s_load_b128 s[4:7], s[0:1], 0x68
	s_cselect_b32 s20, s21, s20
	s_add_co_i32 s21, s3, 1
	s_cmp_ge_u32 s20, s10
	s_clause 0x1
	scratch_store_b32 off, v0, off offset:1328
	scratch_store_b32 off, v1, off offset:1336
	v_and_b32_e32 v0, 31, v0
	v_add_nc_u32_e32 v166, s33, v1
	s_cselect_b32 s3, s21, s3
	v_mov_b32_e32 v90, 0xff7fffff
	s_wait_alu 0xfffe
	s_xor_b32 s3, s3, s15
	v_lshlrev_b32_e32 v18, 2, v0
	s_wait_alu 0xfffe
	s_sub_co_i32 s10, s3, s15
	v_cmp_gt_i32_e64 s3, s19, v166
	s_mul_i32 s24, s11, s29
	s_mul_i32 s20, s10, s14
	s_ashr_i32 s25, s24, 31
	s_wait_storecnt_dscnt 0x0
	s_barrier_signal -1
	scratch_store_b32 off, v0, off offset:1332 ; 4-byte Folded Spill
	s_barrier_wait -1
	s_wait_storecnt 0x0
	global_inv scope:SCOPE_SE
	s_and_saveexec_b32 s10, s3
	s_cbranch_execz .LBB366_9
; %bb.6:
	scratch_load_b32 v17, off, off offset:1332 ; 4-byte Folded Reload
	s_load_b64 s[14:15], s[0:1], 0x20
	s_ashr_i32 s21, s20, 31
	s_cmp_neq_f32 s8, 0
	s_mov_b32 s11, s13
	v_mov_b32_e32 v0, 0
	v_mov_b32_e32 v90, 0xff7fffff
	s_cselect_b32 vcc_lo, -1, 0
	s_lshl_b64 s[26:27], s[24:25], 2
	v_mov_b32_e32 v93, v166
	s_add_nc_u64 s[26:27], s[22:23], s[26:27]
	s_wait_kmcnt 0x0
	s_add_nc_u64 s[14:15], s[14:15], s[20:21]
	s_wait_loadcnt 0x0
	v_lshlrev_b32_e32 v1, 4, v17
	s_delay_alu instid0(VALU_DEP_1)
	v_add_co_u32 v1, s14, s14, v1
	s_wait_alu 0xf1ff
	v_add_co_ci_u32_e64 v2, null, s15, 0, s14
	s_mov_b32 s14, 0
	s_sub_co_i32 s15, 1, s17
	scratch_store_b64 off, v[1:2], off offset:296 ; 8-byte Folded Spill
	ds_load_b128 v[1:4], v0
	ds_load_b128 v[5:8], v0 offset:16
	ds_load_b128 v[9:12], v0 offset:32
	;; [unrolled: 1-line block ×3, first 2 shown]
	s_load_b32 s5, s[4:5], 0x0
	scratch_store_b32 off, v18, off offset:1340 ; 4-byte Folded Spill
	s_wait_dscnt 0x3
	v_lshlrev_b32_e32 v19, 16, v1
	v_and_b32_e32 v1, 0xffff0000, v1
	s_clause 0x1
	scratch_store_b32 off, v19, off offset:304
	scratch_store_b32 off, v1, off offset:308
	v_lshlrev_b32_e32 v1, 16, v2
	scratch_store_b32 off, v1, off offset:312 ; 4-byte Folded Spill
	v_and_b32_e32 v1, 0xffff0000, v2
	scratch_store_b32 off, v1, off offset:316 ; 4-byte Folded Spill
	v_lshlrev_b32_e32 v1, 16, v3
	scratch_store_b32 off, v1, off offset:320 ; 4-byte Folded Spill
	v_and_b32_e32 v1, 0xffff0000, v3
	scratch_store_b32 off, v1, off offset:324 ; 4-byte Folded Spill
	v_lshlrev_b32_e32 v1, 16, v4
	scratch_store_b32 off, v1, off offset:328 ; 4-byte Folded Spill
	v_and_b32_e32 v1, 0xffff0000, v4
	scratch_store_b32 off, v1, off offset:332 ; 4-byte Folded Spill
	s_wait_dscnt 0x2
	v_lshlrev_b32_e32 v1, 16, v5
	scratch_store_b32 off, v1, off offset:336 ; 4-byte Folded Spill
	v_and_b32_e32 v1, 0xffff0000, v5
	scratch_store_b32 off, v1, off offset:340 ; 4-byte Folded Spill
	v_lshlrev_b32_e32 v1, 16, v6
	scratch_store_b32 off, v1, off offset:344 ; 4-byte Folded Spill
	v_and_b32_e32 v1, 0xffff0000, v6
	scratch_store_b32 off, v1, off offset:348 ; 4-byte Folded Spill
	v_lshlrev_b32_e32 v1, 16, v7
	scratch_store_b32 off, v1, off offset:352 ; 4-byte Folded Spill
	v_and_b32_e32 v1, 0xffff0000, v7
	scratch_store_b32 off, v1, off offset:356 ; 4-byte Folded Spill
	v_lshlrev_b32_e32 v1, 16, v8
	scratch_store_b32 off, v1, off offset:360 ; 4-byte Folded Spill
	v_and_b32_e32 v1, 0xffff0000, v8
	scratch_store_b32 off, v1, off offset:364 ; 4-byte Folded Spill
	s_wait_dscnt 0x1
	v_lshlrev_b32_e32 v1, 16, v9
	scratch_store_b32 off, v1, off offset:368 ; 4-byte Folded Spill
	v_and_b32_e32 v1, 0xffff0000, v9
	scratch_store_b32 off, v1, off offset:372 ; 4-byte Folded Spill
	;; [unrolled: 17-line block ×3, first 2 shown]
	v_lshlrev_b32_e32 v1, 16, v14
	scratch_store_b32 off, v1, off offset:408 ; 4-byte Folded Spill
	v_and_b32_e32 v1, 0xffff0000, v14
	scratch_store_b32 off, v1, off offset:412 ; 4-byte Folded Spill
	v_lshlrev_b32_e32 v1, 16, v15
	scratch_store_b32 off, v1, off offset:416 ; 4-byte Folded Spill
	v_and_b32_e32 v1, 0xffff0000, v15
	scratch_store_b32 off, v1, off offset:420 ; 4-byte Folded Spill
	v_lshlrev_b32_e32 v1, 16, v16
	scratch_store_b32 off, v1, off offset:424 ; 4-byte Folded Spill
	v_and_b32_e32 v1, 0xffff0000, v16
	scratch_store_b32 off, v1, off offset:428 ; 4-byte Folded Spill
	ds_load_b128 v[1:4], v0 offset:64
	s_wait_dscnt 0x0
	v_lshlrev_b32_e32 v5, 16, v1
	v_and_b32_e32 v1, 0xffff0000, v1
	s_clause 0x1
	scratch_store_b32 off, v5, off offset:432
	scratch_store_b32 off, v1, off offset:436
	v_lshlrev_b32_e32 v1, 16, v2
	scratch_store_b32 off, v1, off offset:440 ; 4-byte Folded Spill
	v_and_b32_e32 v1, 0xffff0000, v2
	scratch_store_b32 off, v1, off offset:444 ; 4-byte Folded Spill
	v_lshlrev_b32_e32 v1, 16, v3
	scratch_store_b32 off, v1, off offset:448 ; 4-byte Folded Spill
	v_and_b32_e32 v1, 0xffff0000, v3
	scratch_store_b32 off, v1, off offset:452 ; 4-byte Folded Spill
	v_lshlrev_b32_e32 v1, 16, v4
	scratch_store_b32 off, v1, off offset:456 ; 4-byte Folded Spill
	v_and_b32_e32 v1, 0xffff0000, v4
	scratch_store_b32 off, v1, off offset:460 ; 4-byte Folded Spill
	ds_load_b128 v[1:4], v0 offset:80
	s_wait_dscnt 0x0
	v_lshlrev_b32_e32 v5, 16, v1
	v_and_b32_e32 v1, 0xffff0000, v1
	s_clause 0x1
	scratch_store_b32 off, v5, off offset:464
	scratch_store_b32 off, v1, off offset:468
	;; [unrolled: 19-line block ×28, first 2 shown]
	v_lshlrev_b32_e32 v0, 16, v1
	scratch_store_b32 off, v0, off offset:1304 ; 4-byte Folded Spill
	v_and_b32_e32 v0, 0xffff0000, v1
	scratch_load_b32 v1, off, off offset:1336 ; 4-byte Folded Reload
	scratch_store_b32 off, v0, off offset:1308 ; 4-byte Folded Spill
	v_lshlrev_b32_e32 v0, 16, v2
	scratch_store_b32 off, v0, off offset:1312 ; 4-byte Folded Spill
	v_and_b32_e32 v0, 0xffff0000, v2
	scratch_store_b32 off, v0, off offset:1316 ; 4-byte Folded Spill
	v_lshlrev_b32_e32 v0, 16, v3
	scratch_store_b32 off, v0, off offset:1320 ; 4-byte Folded Spill
	v_and_b32_e32 v0, 0xffff0000, v3
	scratch_store_b32 off, v0, off offset:1324 ; 4-byte Folded Spill
	s_wait_loadcnt 0x0
	v_lshlrev_b32_e32 v0, 5, v1
	s_delay_alu instid0(VALU_DEP_1) | instskip(SKIP_1) | instid1(VALU_DEP_1)
	v_add3_u32 v91, s16, v0, v17
	v_lshl_or_b32 v0, v1, 7, v18
	v_add_nc_u32_e32 v92, 0x220, v0
	v_lshlrev_b32_e32 v0, 2, v166
	s_delay_alu instid0(VALU_DEP_1) | instskip(NEXT) | instid1(VALU_DEP_1)
	v_add_co_u32 v7, s4, s26, v0
	v_add_co_ci_u32_e64 v8, null, s27, 0, s4
.LBB366_7:                              ; =>This Inner Loop Header: Depth=1
	global_load_b32 v0, v[7:8], off
	scratch_load_b64 v[1:2], off, off offset:296 ; 8-byte Folded Reload
	v_add_nc_u32_e32 v93, 4, v93
	s_wait_loadcnt 0x0
	v_mad_co_i64_i32 v[10:11], null, v0, s11, v[1:2]
	v_add_nc_u32_e32 v0, s15, v91
	s_delay_alu instid0(VALU_DEP_1) | instskip(NEXT) | instid1(VALU_DEP_1)
	v_cvt_f32_i32_e32 v0, v0
	v_mul_f32_e32 v0, s8, v0
	s_delay_alu instid0(VALU_DEP_1) | instskip(SKIP_3) | instid1(VALU_DEP_1)
	v_cndmask_b32_e32 v94, 0, v0, vcc_lo
	global_load_b128 v[0:3], v[10:11], off
	s_wait_loadcnt 0x0
	v_and_b32_e32 v4, 0xff, v0
	v_cvt_f32_fp8_e32 v4, v4
	s_wait_kmcnt 0x0
	s_delay_alu instid0(VALU_DEP_1) | instskip(NEXT) | instid1(VALU_DEP_1)
	v_mul_f32_e32 v4, s5, v4
	v_bfe_u32 v5, v4, 16, 1
	v_or_b32_e32 v6, 0x400000, v4
	v_cmp_u_f32_e64 s4, v4, v4
	s_delay_alu instid0(VALU_DEP_3) | instskip(SKIP_2) | instid1(VALU_DEP_2)
	v_add3_u32 v5, v5, v4, 0x7fff
	v_bfe_u32 v4, v0, 8, 8
	s_wait_alu 0xf1ff
	v_cndmask_b32_e64 v154, v5, v6, s4
	s_delay_alu instid0(VALU_DEP_2) | instskip(NEXT) | instid1(VALU_DEP_1)
	v_cvt_f32_fp8_e32 v4, v4
	v_mul_f32_e32 v4, s5, v4
	s_delay_alu instid0(VALU_DEP_1) | instskip(SKIP_2) | instid1(VALU_DEP_3)
	v_bfe_u32 v5, v4, 16, 1
	v_or_b32_e32 v6, 0x400000, v4
	v_cmp_u_f32_e64 s4, v4, v4
	v_add3_u32 v5, v5, v4, 0x7fff
	v_bfe_u32 v4, v0, 16, 8
	v_lshrrev_b32_e32 v0, 24, v0
	s_wait_alu 0xf1ff
	s_delay_alu instid0(VALU_DEP_3) | instskip(NEXT) | instid1(VALU_DEP_3)
	v_cndmask_b32_e64 v155, v5, v6, s4
	v_cvt_f32_fp8_e32 v4, v4
	s_delay_alu instid0(VALU_DEP_3) | instskip(NEXT) | instid1(VALU_DEP_2)
	v_cvt_f32_fp8_e32 v0, v0
	v_mul_f32_e32 v4, s5, v4
	s_delay_alu instid0(VALU_DEP_2) | instskip(NEXT) | instid1(VALU_DEP_2)
	v_mul_f32_e32 v0, s5, v0
	v_bfe_u32 v5, v4, 16, 1
	v_or_b32_e32 v6, 0x400000, v4
	v_cmp_u_f32_e64 s4, v4, v4
	s_delay_alu instid0(VALU_DEP_3) | instskip(SKIP_2) | instid1(VALU_DEP_2)
	v_add3_u32 v5, v5, v4, 0x7fff
	v_bfe_u32 v4, v0, 16, 1
	s_wait_alu 0xf1ff
	v_cndmask_b32_e64 v156, v5, v6, s4
	s_delay_alu instid0(VALU_DEP_2) | instskip(SKIP_4) | instid1(VALU_DEP_2)
	v_add3_u32 v4, v4, v0, 0x7fff
	v_or_b32_e32 v5, 0x400000, v0
	v_cmp_u_f32_e64 s4, v0, v0
	v_and_b32_e32 v0, 0xff, v1
	s_wait_alu 0xf1ff
	v_cndmask_b32_e64 v157, v4, v5, s4
	s_delay_alu instid0(VALU_DEP_2) | instskip(NEXT) | instid1(VALU_DEP_1)
	v_cvt_f32_fp8_e32 v0, v0
	v_mul_f32_e32 v0, s5, v0
	s_delay_alu instid0(VALU_DEP_1) | instskip(SKIP_2) | instid1(VALU_DEP_3)
	v_bfe_u32 v4, v0, 16, 1
	v_or_b32_e32 v5, 0x400000, v0
	v_cmp_u_f32_e64 s4, v0, v0
	v_add3_u32 v4, v4, v0, 0x7fff
	v_bfe_u32 v0, v1, 8, 8
	s_wait_alu 0xf1ff
	s_delay_alu instid0(VALU_DEP_2) | instskip(NEXT) | instid1(VALU_DEP_2)
	v_cndmask_b32_e64 v158, v4, v5, s4
	v_cvt_f32_fp8_e32 v0, v0
	s_delay_alu instid0(VALU_DEP_1) | instskip(NEXT) | instid1(VALU_DEP_1)
	v_mul_f32_e32 v0, s5, v0
	v_bfe_u32 v4, v0, 16, 1
	v_or_b32_e32 v5, 0x400000, v0
	v_cmp_u_f32_e64 s4, v0, v0
	s_delay_alu instid0(VALU_DEP_3) | instskip(SKIP_2) | instid1(VALU_DEP_2)
	v_add3_u32 v4, v4, v0, 0x7fff
	v_bfe_u32 v0, v1, 16, 8
	s_wait_alu 0xf1ff
	v_cndmask_b32_e64 v159, v4, v5, s4
	s_delay_alu instid0(VALU_DEP_2) | instskip(NEXT) | instid1(VALU_DEP_1)
	v_cvt_f32_fp8_e32 v0, v0
	v_mul_f32_e32 v0, s5, v0
	s_delay_alu instid0(VALU_DEP_1) | instskip(SKIP_2) | instid1(VALU_DEP_3)
	v_bfe_u32 v4, v0, 16, 1
	v_or_b32_e32 v5, 0x400000, v0
	v_cmp_u_f32_e64 s4, v0, v0
	v_add3_u32 v4, v4, v0, 0x7fff
	v_lshrrev_b32_e32 v0, 24, v1
	s_wait_alu 0xf1ff
	s_delay_alu instid0(VALU_DEP_2) | instskip(NEXT) | instid1(VALU_DEP_2)
	v_cndmask_b32_e64 v160, v4, v5, s4
	v_cvt_f32_fp8_e32 v0, v0
	s_delay_alu instid0(VALU_DEP_1) | instskip(NEXT) | instid1(VALU_DEP_1)
	v_mul_f32_e32 v0, s5, v0
	v_bfe_u32 v1, v0, 16, 1
	v_or_b32_e32 v4, 0x400000, v0
	v_cmp_u_f32_e64 s4, v0, v0
	s_delay_alu instid0(VALU_DEP_3) | instskip(SKIP_1) | instid1(VALU_DEP_1)
	v_add3_u32 v1, v1, v0, 0x7fff
	s_wait_alu 0xf1ff
	v_cndmask_b32_e64 v0, v1, v4, s4
	scratch_store_b32 off, v0, off offset:24 ; 4-byte Folded Spill
	v_and_b32_e32 v0, 0xff, v2
	s_delay_alu instid0(VALU_DEP_1) | instskip(NEXT) | instid1(VALU_DEP_1)
	v_cvt_f32_fp8_e32 v0, v0
	v_mul_f32_e32 v0, s5, v0
	s_delay_alu instid0(VALU_DEP_1) | instskip(SKIP_2) | instid1(VALU_DEP_3)
	v_bfe_u32 v1, v0, 16, 1
	v_or_b32_e32 v4, 0x400000, v0
	v_cmp_u_f32_e64 s4, v0, v0
	v_add3_u32 v1, v1, v0, 0x7fff
	v_bfe_u32 v0, v2, 8, 8
	s_wait_alu 0xf1ff
	s_delay_alu instid0(VALU_DEP_2) | instskip(NEXT) | instid1(VALU_DEP_2)
	v_cndmask_b32_e64 v165, v1, v4, s4
	v_cvt_f32_fp8_e32 v0, v0
	s_delay_alu instid0(VALU_DEP_1) | instskip(NEXT) | instid1(VALU_DEP_1)
	v_mul_f32_e32 v0, s5, v0
	v_bfe_u32 v1, v0, 16, 1
	v_or_b32_e32 v4, 0x400000, v0
	v_cmp_u_f32_e64 s4, v0, v0
	s_delay_alu instid0(VALU_DEP_3) | instskip(SKIP_2) | instid1(VALU_DEP_2)
	v_add3_u32 v1, v1, v0, 0x7fff
	v_bfe_u32 v0, v2, 16, 8
	s_wait_alu 0xf1ff
	v_cndmask_b32_e64 v177, v1, v4, s4
	s_delay_alu instid0(VALU_DEP_2) | instskip(NEXT) | instid1(VALU_DEP_1)
	v_cvt_f32_fp8_e32 v0, v0
	v_mul_f32_e32 v0, s5, v0
	s_delay_alu instid0(VALU_DEP_1) | instskip(SKIP_2) | instid1(VALU_DEP_3)
	v_bfe_u32 v1, v0, 16, 1
	v_or_b32_e32 v4, 0x400000, v0
	v_cmp_u_f32_e64 s4, v0, v0
	v_add3_u32 v1, v1, v0, 0x7fff
	s_wait_alu 0xf1ff
	s_delay_alu instid0(VALU_DEP_1) | instskip(SKIP_2) | instid1(VALU_DEP_1)
	v_cndmask_b32_e64 v0, v1, v4, s4
	scratch_store_b32 off, v0, off offset:12 ; 4-byte Folded Spill
	v_lshrrev_b32_e32 v0, 24, v2
	v_cvt_f32_fp8_e32 v0, v0
	s_delay_alu instid0(VALU_DEP_1) | instskip(NEXT) | instid1(VALU_DEP_1)
	v_mul_f32_e32 v0, s5, v0
	v_bfe_u32 v1, v0, 16, 1
	v_or_b32_e32 v2, 0x400000, v0
	v_cmp_u_f32_e64 s4, v0, v0
	s_delay_alu instid0(VALU_DEP_3) | instskip(SKIP_1) | instid1(VALU_DEP_1)
	v_add3_u32 v1, v1, v0, 0x7fff
	s_wait_alu 0xf1ff
	v_cndmask_b32_e64 v0, v1, v2, s4
	scratch_store_b32 off, v0, off offset:20 ; 4-byte Folded Spill
	v_and_b32_e32 v0, 0xff, v3
	s_delay_alu instid0(VALU_DEP_1) | instskip(NEXT) | instid1(VALU_DEP_1)
	v_cvt_f32_fp8_e32 v0, v0
	v_mul_f32_e32 v0, s5, v0
	s_delay_alu instid0(VALU_DEP_1) | instskip(SKIP_2) | instid1(VALU_DEP_3)
	v_bfe_u32 v1, v0, 16, 1
	v_or_b32_e32 v2, 0x400000, v0
	v_cmp_u_f32_e64 s4, v0, v0
	v_add3_u32 v1, v1, v0, 0x7fff
	s_wait_alu 0xf1ff
	s_delay_alu instid0(VALU_DEP_1) | instskip(SKIP_2) | instid1(VALU_DEP_1)
	v_cndmask_b32_e64 v0, v1, v2, s4
	scratch_store_b32 off, v0, off offset:4 ; 4-byte Folded Spill
	v_bfe_u32 v0, v3, 8, 8
	v_cvt_f32_fp8_e32 v0, v0
	s_delay_alu instid0(VALU_DEP_1) | instskip(NEXT) | instid1(VALU_DEP_1)
	v_mul_f32_e32 v0, s5, v0
	v_bfe_u32 v1, v0, 16, 1
	v_or_b32_e32 v2, 0x400000, v0
	v_cmp_u_f32_e64 s4, v0, v0
	s_delay_alu instid0(VALU_DEP_3) | instskip(SKIP_1) | instid1(VALU_DEP_1)
	v_add3_u32 v1, v1, v0, 0x7fff
	s_wait_alu 0xf1ff
	v_cndmask_b32_e64 v0, v1, v2, s4
	scratch_store_b32 off, v0, off offset:16 ; 4-byte Folded Spill
	v_bfe_u32 v0, v3, 16, 8
	s_delay_alu instid0(VALU_DEP_1) | instskip(NEXT) | instid1(VALU_DEP_1)
	v_cvt_f32_fp8_e32 v0, v0
	v_mul_f32_e32 v0, s5, v0
	s_delay_alu instid0(VALU_DEP_1) | instskip(SKIP_2) | instid1(VALU_DEP_3)
	v_bfe_u32 v1, v0, 16, 1
	v_or_b32_e32 v2, 0x400000, v0
	v_cmp_u_f32_e64 s4, v0, v0
	v_add3_u32 v1, v1, v0, 0x7fff
	s_wait_alu 0xf1ff
	s_delay_alu instid0(VALU_DEP_1) | instskip(SKIP_2) | instid1(VALU_DEP_1)
	v_cndmask_b32_e64 v0, v1, v2, s4
	scratch_store_b32 off, v0, off          ; 4-byte Folded Spill
	v_lshrrev_b32_e32 v0, 24, v3
	v_cvt_f32_fp8_e32 v0, v0
	s_delay_alu instid0(VALU_DEP_1) | instskip(NEXT) | instid1(VALU_DEP_1)
	v_mul_f32_e32 v0, s5, v0
	v_bfe_u32 v1, v0, 16, 1
	v_or_b32_e32 v2, 0x400000, v0
	v_cmp_u_f32_e64 s4, v0, v0
	s_delay_alu instid0(VALU_DEP_3) | instskip(SKIP_1) | instid1(VALU_DEP_1)
	v_add3_u32 v1, v1, v0, 0x7fff
	s_wait_alu 0xf1ff
	v_cndmask_b32_e64 v0, v1, v2, s4
	global_load_b128 v[1:4], v[10:11], off offset:512
	scratch_store_b32 off, v0, off offset:8 ; 4-byte Folded Spill
	s_wait_loadcnt 0x0
	v_and_b32_e32 v0, 0xff, v1
	s_delay_alu instid0(VALU_DEP_1) | instskip(NEXT) | instid1(VALU_DEP_1)
	v_cvt_f32_fp8_e32 v0, v0
	v_mul_f32_e32 v0, s5, v0
	s_delay_alu instid0(VALU_DEP_1) | instskip(SKIP_2) | instid1(VALU_DEP_3)
	v_bfe_u32 v5, v0, 16, 1
	v_or_b32_e32 v6, 0x400000, v0
	v_cmp_u_f32_e64 s4, v0, v0
	v_add3_u32 v5, v5, v0, 0x7fff
	s_wait_alu 0xf1ff
	s_delay_alu instid0(VALU_DEP_1) | instskip(SKIP_2) | instid1(VALU_DEP_1)
	v_cndmask_b32_e64 v0, v5, v6, s4
	scratch_store_b32 off, v0, off offset:28 ; 4-byte Folded Spill
	v_bfe_u32 v0, v1, 8, 8
	v_cvt_f32_fp8_e32 v0, v0
	s_delay_alu instid0(VALU_DEP_1) | instskip(NEXT) | instid1(VALU_DEP_1)
	v_mul_f32_e32 v0, s5, v0
	v_bfe_u32 v5, v0, 16, 1
	v_or_b32_e32 v6, 0x400000, v0
	v_cmp_u_f32_e64 s4, v0, v0
	s_delay_alu instid0(VALU_DEP_3) | instskip(SKIP_1) | instid1(VALU_DEP_1)
	v_add3_u32 v5, v5, v0, 0x7fff
	s_wait_alu 0xf1ff
	v_cndmask_b32_e64 v0, v5, v6, s4
	scratch_store_b32 off, v0, off offset:32 ; 4-byte Folded Spill
	v_bfe_u32 v0, v1, 16, 8
	s_delay_alu instid0(VALU_DEP_1) | instskip(NEXT) | instid1(VALU_DEP_1)
	v_cvt_f32_fp8_e32 v0, v0
	v_mul_f32_e32 v0, s5, v0
	s_delay_alu instid0(VALU_DEP_1) | instskip(SKIP_2) | instid1(VALU_DEP_3)
	v_bfe_u32 v5, v0, 16, 1
	v_or_b32_e32 v6, 0x400000, v0
	v_cmp_u_f32_e64 s4, v0, v0
	v_add3_u32 v5, v5, v0, 0x7fff
	s_wait_alu 0xf1ff
	s_delay_alu instid0(VALU_DEP_1) | instskip(SKIP_2) | instid1(VALU_DEP_1)
	v_cndmask_b32_e64 v0, v5, v6, s4
	scratch_store_b32 off, v0, off offset:36 ; 4-byte Folded Spill
	v_lshrrev_b32_e32 v0, 24, v1
	v_cvt_f32_fp8_e32 v0, v0
	s_delay_alu instid0(VALU_DEP_1) | instskip(NEXT) | instid1(VALU_DEP_1)
	v_mul_f32_e32 v0, s5, v0
	v_bfe_u32 v1, v0, 16, 1
	v_or_b32_e32 v5, 0x400000, v0
	v_cmp_u_f32_e64 s4, v0, v0
	s_delay_alu instid0(VALU_DEP_3) | instskip(SKIP_1) | instid1(VALU_DEP_1)
	v_add3_u32 v1, v1, v0, 0x7fff
	s_wait_alu 0xf1ff
	v_cndmask_b32_e64 v0, v1, v5, s4
	scratch_store_b32 off, v0, off offset:40 ; 4-byte Folded Spill
	v_and_b32_e32 v0, 0xff, v2
	s_delay_alu instid0(VALU_DEP_1) | instskip(NEXT) | instid1(VALU_DEP_1)
	v_cvt_f32_fp8_e32 v0, v0
	v_mul_f32_e32 v0, s5, v0
	s_delay_alu instid0(VALU_DEP_1) | instskip(SKIP_2) | instid1(VALU_DEP_3)
	v_bfe_u32 v1, v0, 16, 1
	v_or_b32_e32 v5, 0x400000, v0
	v_cmp_u_f32_e64 s4, v0, v0
	v_add3_u32 v1, v1, v0, 0x7fff
	s_wait_alu 0xf1ff
	s_delay_alu instid0(VALU_DEP_1) | instskip(SKIP_2) | instid1(VALU_DEP_1)
	v_cndmask_b32_e64 v0, v1, v5, s4
	scratch_store_b32 off, v0, off offset:44 ; 4-byte Folded Spill
	v_bfe_u32 v0, v2, 8, 8
	v_cvt_f32_fp8_e32 v0, v0
	s_delay_alu instid0(VALU_DEP_1) | instskip(NEXT) | instid1(VALU_DEP_1)
	v_mul_f32_e32 v0, s5, v0
	v_bfe_u32 v1, v0, 16, 1
	v_or_b32_e32 v5, 0x400000, v0
	v_cmp_u_f32_e64 s4, v0, v0
	s_delay_alu instid0(VALU_DEP_3) | instskip(SKIP_1) | instid1(VALU_DEP_1)
	v_add3_u32 v1, v1, v0, 0x7fff
	s_wait_alu 0xf1ff
	v_cndmask_b32_e64 v0, v1, v5, s4
	scratch_store_b32 off, v0, off offset:48 ; 4-byte Folded Spill
	v_bfe_u32 v0, v2, 16, 8
	s_delay_alu instid0(VALU_DEP_1) | instskip(NEXT) | instid1(VALU_DEP_1)
	v_cvt_f32_fp8_e32 v0, v0
	v_mul_f32_e32 v0, s5, v0
	s_delay_alu instid0(VALU_DEP_1) | instskip(SKIP_2) | instid1(VALU_DEP_3)
	v_bfe_u32 v1, v0, 16, 1
	v_or_b32_e32 v5, 0x400000, v0
	v_cmp_u_f32_e64 s4, v0, v0
	v_add3_u32 v1, v1, v0, 0x7fff
	s_wait_alu 0xf1ff
	s_delay_alu instid0(VALU_DEP_1) | instskip(SKIP_2) | instid1(VALU_DEP_1)
	v_cndmask_b32_e64 v0, v1, v5, s4
	scratch_store_b32 off, v0, off offset:52 ; 4-byte Folded Spill
	v_lshrrev_b32_e32 v0, 24, v2
	v_cvt_f32_fp8_e32 v0, v0
	s_delay_alu instid0(VALU_DEP_1) | instskip(NEXT) | instid1(VALU_DEP_1)
	v_mul_f32_e32 v0, s5, v0
	v_bfe_u32 v1, v0, 16, 1
	v_or_b32_e32 v2, 0x400000, v0
	v_cmp_u_f32_e64 s4, v0, v0
	s_delay_alu instid0(VALU_DEP_3) | instskip(SKIP_1) | instid1(VALU_DEP_1)
	v_add3_u32 v1, v1, v0, 0x7fff
	s_wait_alu 0xf1ff
	v_cndmask_b32_e64 v0, v1, v2, s4
	scratch_store_b32 off, v0, off offset:56 ; 4-byte Folded Spill
	;; [unrolled: 50-line block ×4, first 2 shown]
	global_load_b128 v[0:3], v[10:11], off offset:1024
	s_wait_loadcnt 0x0
	v_and_b32_e32 v4, 0xff, v0
	s_delay_alu instid0(VALU_DEP_1) | instskip(NEXT) | instid1(VALU_DEP_1)
	v_cvt_f32_fp8_e32 v4, v4
	v_mul_f32_e32 v4, s5, v4
	s_delay_alu instid0(VALU_DEP_1) | instskip(SKIP_2) | instid1(VALU_DEP_3)
	v_bfe_u32 v5, v4, 16, 1
	v_or_b32_e32 v6, 0x400000, v4
	v_cmp_u_f32_e64 s4, v4, v4
	v_add3_u32 v5, v5, v4, 0x7fff
	s_wait_alu 0xf1ff
	s_delay_alu instid0(VALU_DEP_1) | instskip(SKIP_2) | instid1(VALU_DEP_1)
	v_cndmask_b32_e64 v4, v5, v6, s4
	scratch_store_b32 off, v4, off offset:92 ; 4-byte Folded Spill
	v_bfe_u32 v4, v0, 8, 8
	v_cvt_f32_fp8_e32 v4, v4
	s_delay_alu instid0(VALU_DEP_1) | instskip(NEXT) | instid1(VALU_DEP_1)
	v_mul_f32_e32 v4, s5, v4
	v_bfe_u32 v5, v4, 16, 1
	v_or_b32_e32 v6, 0x400000, v4
	v_cmp_u_f32_e64 s4, v4, v4
	s_delay_alu instid0(VALU_DEP_3) | instskip(SKIP_1) | instid1(VALU_DEP_1)
	v_add3_u32 v5, v5, v4, 0x7fff
	s_wait_alu 0xf1ff
	v_cndmask_b32_e64 v4, v5, v6, s4
	scratch_store_b32 off, v4, off offset:100 ; 4-byte Folded Spill
	v_bfe_u32 v4, v0, 16, 8
	v_lshrrev_b32_e32 v0, 24, v0
	s_delay_alu instid0(VALU_DEP_2) | instskip(NEXT) | instid1(VALU_DEP_2)
	v_cvt_f32_fp8_e32 v4, v4
	v_cvt_f32_fp8_e32 v0, v0
	s_delay_alu instid0(VALU_DEP_2) | instskip(NEXT) | instid1(VALU_DEP_2)
	v_mul_f32_e32 v4, s5, v4
	v_mul_f32_e32 v0, s5, v0
	s_delay_alu instid0(VALU_DEP_2) | instskip(SKIP_2) | instid1(VALU_DEP_3)
	v_bfe_u32 v5, v4, 16, 1
	v_or_b32_e32 v6, 0x400000, v4
	v_cmp_u_f32_e64 s4, v4, v4
	v_add3_u32 v5, v5, v4, 0x7fff
	s_wait_alu 0xf1ff
	s_delay_alu instid0(VALU_DEP_1) | instskip(SKIP_4) | instid1(VALU_DEP_1)
	v_cndmask_b32_e64 v4, v5, v6, s4
	v_or_b32_e32 v5, 0x400000, v0
	v_cmp_u_f32_e64 s4, v0, v0
	scratch_store_b32 off, v4, off offset:96 ; 4-byte Folded Spill
	v_bfe_u32 v4, v0, 16, 1
	v_add3_u32 v4, v4, v0, 0x7fff
	s_wait_alu 0xf1ff
	s_delay_alu instid0(VALU_DEP_1) | instskip(SKIP_2) | instid1(VALU_DEP_1)
	v_cndmask_b32_e64 v0, v4, v5, s4
	scratch_store_b32 off, v0, off offset:108 ; 4-byte Folded Spill
	v_and_b32_e32 v0, 0xff, v1
	v_cvt_f32_fp8_e32 v0, v0
	s_delay_alu instid0(VALU_DEP_1) | instskip(NEXT) | instid1(VALU_DEP_1)
	v_mul_f32_e32 v0, s5, v0
	v_bfe_u32 v4, v0, 16, 1
	v_or_b32_e32 v5, 0x400000, v0
	v_cmp_u_f32_e64 s4, v0, v0
	s_delay_alu instid0(VALU_DEP_3) | instskip(SKIP_1) | instid1(VALU_DEP_1)
	v_add3_u32 v4, v4, v0, 0x7fff
	s_wait_alu 0xf1ff
	v_cndmask_b32_e64 v0, v4, v5, s4
	scratch_store_b32 off, v0, off offset:104 ; 4-byte Folded Spill
	v_bfe_u32 v0, v1, 8, 8
	s_delay_alu instid0(VALU_DEP_1) | instskip(NEXT) | instid1(VALU_DEP_1)
	v_cvt_f32_fp8_e32 v0, v0
	v_mul_f32_e32 v0, s5, v0
	s_delay_alu instid0(VALU_DEP_1) | instskip(SKIP_2) | instid1(VALU_DEP_3)
	v_bfe_u32 v4, v0, 16, 1
	v_or_b32_e32 v5, 0x400000, v0
	v_cmp_u_f32_e64 s4, v0, v0
	v_add3_u32 v4, v4, v0, 0x7fff
	s_wait_alu 0xf1ff
	s_delay_alu instid0(VALU_DEP_1) | instskip(SKIP_2) | instid1(VALU_DEP_1)
	v_cndmask_b32_e64 v0, v4, v5, s4
	scratch_store_b32 off, v0, off offset:116 ; 4-byte Folded Spill
	v_bfe_u32 v0, v1, 16, 8
	v_cvt_f32_fp8_e32 v0, v0
	s_delay_alu instid0(VALU_DEP_1) | instskip(NEXT) | instid1(VALU_DEP_1)
	v_mul_f32_e32 v0, s5, v0
	v_bfe_u32 v4, v0, 16, 1
	v_or_b32_e32 v5, 0x400000, v0
	v_cmp_u_f32_e64 s4, v0, v0
	s_delay_alu instid0(VALU_DEP_3) | instskip(SKIP_1) | instid1(VALU_DEP_1)
	v_add3_u32 v4, v4, v0, 0x7fff
	s_wait_alu 0xf1ff
	v_cndmask_b32_e64 v0, v4, v5, s4
	scratch_store_b32 off, v0, off offset:112 ; 4-byte Folded Spill
	v_lshrrev_b32_e32 v0, 24, v1
	s_delay_alu instid0(VALU_DEP_1) | instskip(NEXT) | instid1(VALU_DEP_1)
	v_cvt_f32_fp8_e32 v0, v0
	v_mul_f32_e32 v0, s5, v0
	s_delay_alu instid0(VALU_DEP_1) | instskip(SKIP_2) | instid1(VALU_DEP_3)
	v_bfe_u32 v1, v0, 16, 1
	v_or_b32_e32 v4, 0x400000, v0
	v_cmp_u_f32_e64 s4, v0, v0
	v_add3_u32 v1, v1, v0, 0x7fff
	s_wait_alu 0xf1ff
	s_delay_alu instid0(VALU_DEP_1) | instskip(SKIP_2) | instid1(VALU_DEP_1)
	v_cndmask_b32_e64 v0, v1, v4, s4
	scratch_store_b32 off, v0, off offset:124 ; 4-byte Folded Spill
	v_and_b32_e32 v0, 0xff, v2
	v_cvt_f32_fp8_e32 v0, v0
	s_delay_alu instid0(VALU_DEP_1) | instskip(NEXT) | instid1(VALU_DEP_1)
	v_mul_f32_e32 v0, s5, v0
	v_bfe_u32 v1, v0, 16, 1
	v_or_b32_e32 v4, 0x400000, v0
	v_cmp_u_f32_e64 s4, v0, v0
	s_delay_alu instid0(VALU_DEP_3) | instskip(SKIP_1) | instid1(VALU_DEP_1)
	v_add3_u32 v1, v1, v0, 0x7fff
	s_wait_alu 0xf1ff
	v_cndmask_b32_e64 v0, v1, v4, s4
	scratch_store_b32 off, v0, off offset:120 ; 4-byte Folded Spill
	v_bfe_u32 v0, v2, 8, 8
	s_delay_alu instid0(VALU_DEP_1) | instskip(NEXT) | instid1(VALU_DEP_1)
	v_cvt_f32_fp8_e32 v0, v0
	v_mul_f32_e32 v0, s5, v0
	s_delay_alu instid0(VALU_DEP_1) | instskip(SKIP_2) | instid1(VALU_DEP_3)
	v_bfe_u32 v1, v0, 16, 1
	v_or_b32_e32 v4, 0x400000, v0
	v_cmp_u_f32_e64 s4, v0, v0
	v_add3_u32 v1, v1, v0, 0x7fff
	s_wait_alu 0xf1ff
	s_delay_alu instid0(VALU_DEP_1) | instskip(SKIP_2) | instid1(VALU_DEP_1)
	v_cndmask_b32_e64 v0, v1, v4, s4
	scratch_store_b32 off, v0, off offset:132 ; 4-byte Folded Spill
	v_bfe_u32 v0, v2, 16, 8
	v_cvt_f32_fp8_e32 v0, v0
	s_delay_alu instid0(VALU_DEP_1) | instskip(NEXT) | instid1(VALU_DEP_1)
	v_mul_f32_e32 v0, s5, v0
	v_bfe_u32 v1, v0, 16, 1
	v_or_b32_e32 v4, 0x400000, v0
	v_cmp_u_f32_e64 s4, v0, v0
	s_delay_alu instid0(VALU_DEP_3) | instskip(SKIP_1) | instid1(VALU_DEP_1)
	v_add3_u32 v1, v1, v0, 0x7fff
	s_wait_alu 0xf1ff
	v_cndmask_b32_e64 v0, v1, v4, s4
	scratch_store_b32 off, v0, off offset:128 ; 4-byte Folded Spill
	v_lshrrev_b32_e32 v0, 24, v2
	s_delay_alu instid0(VALU_DEP_1) | instskip(NEXT) | instid1(VALU_DEP_1)
	v_cvt_f32_fp8_e32 v0, v0
	v_mul_f32_e32 v0, s5, v0
	s_delay_alu instid0(VALU_DEP_1) | instskip(SKIP_2) | instid1(VALU_DEP_3)
	v_bfe_u32 v1, v0, 16, 1
	v_or_b32_e32 v2, 0x400000, v0
	v_cmp_u_f32_e64 s4, v0, v0
	;; [unrolled: 50-line block ×3, first 2 shown]
	v_add3_u32 v1, v1, v0, 0x7fff
	s_wait_alu 0xf1ff
	s_delay_alu instid0(VALU_DEP_1) | instskip(SKIP_4) | instid1(VALU_DEP_1)
	v_cndmask_b32_e64 v0, v1, v2, s4
	global_load_b128 v[1:4], v[10:11], off offset:1536
	scratch_store_b32 off, v0, off offset:152 ; 4-byte Folded Spill
	s_wait_loadcnt 0x0
	v_and_b32_e32 v0, 0xff, v1
	v_cvt_f32_fp8_e32 v0, v0
	s_delay_alu instid0(VALU_DEP_1) | instskip(NEXT) | instid1(VALU_DEP_1)
	v_mul_f32_e32 v0, s5, v0
	v_bfe_u32 v5, v0, 16, 1
	v_or_b32_e32 v6, 0x400000, v0
	v_cmp_u_f32_e64 s4, v0, v0
	s_delay_alu instid0(VALU_DEP_3) | instskip(SKIP_1) | instid1(VALU_DEP_1)
	v_add3_u32 v5, v5, v0, 0x7fff
	s_wait_alu 0xf1ff
	v_cndmask_b32_e64 v0, v5, v6, s4
	scratch_store_b32 off, v0, off offset:156 ; 4-byte Folded Spill
	v_bfe_u32 v0, v1, 8, 8
	s_delay_alu instid0(VALU_DEP_1) | instskip(NEXT) | instid1(VALU_DEP_1)
	v_cvt_f32_fp8_e32 v0, v0
	v_mul_f32_e32 v0, s5, v0
	s_delay_alu instid0(VALU_DEP_1) | instskip(SKIP_2) | instid1(VALU_DEP_3)
	v_bfe_u32 v5, v0, 16, 1
	v_or_b32_e32 v6, 0x400000, v0
	v_cmp_u_f32_e64 s4, v0, v0
	v_add3_u32 v5, v5, v0, 0x7fff
	s_wait_alu 0xf1ff
	s_delay_alu instid0(VALU_DEP_1) | instskip(SKIP_2) | instid1(VALU_DEP_1)
	v_cndmask_b32_e64 v0, v5, v6, s4
	scratch_store_b32 off, v0, off offset:160 ; 4-byte Folded Spill
	v_bfe_u32 v0, v1, 16, 8
	v_cvt_f32_fp8_e32 v0, v0
	s_delay_alu instid0(VALU_DEP_1) | instskip(NEXT) | instid1(VALU_DEP_1)
	v_mul_f32_e32 v0, s5, v0
	v_bfe_u32 v5, v0, 16, 1
	v_or_b32_e32 v6, 0x400000, v0
	v_cmp_u_f32_e64 s4, v0, v0
	s_delay_alu instid0(VALU_DEP_3) | instskip(SKIP_1) | instid1(VALU_DEP_1)
	v_add3_u32 v5, v5, v0, 0x7fff
	s_wait_alu 0xf1ff
	v_cndmask_b32_e64 v0, v5, v6, s4
	scratch_store_b32 off, v0, off offset:164 ; 4-byte Folded Spill
	v_lshrrev_b32_e32 v0, 24, v1
	s_delay_alu instid0(VALU_DEP_1) | instskip(NEXT) | instid1(VALU_DEP_1)
	v_cvt_f32_fp8_e32 v0, v0
	v_mul_f32_e32 v0, s5, v0
	s_delay_alu instid0(VALU_DEP_1) | instskip(SKIP_2) | instid1(VALU_DEP_3)
	v_bfe_u32 v1, v0, 16, 1
	v_or_b32_e32 v5, 0x400000, v0
	v_cmp_u_f32_e64 s4, v0, v0
	v_add3_u32 v1, v1, v0, 0x7fff
	s_wait_alu 0xf1ff
	s_delay_alu instid0(VALU_DEP_1) | instskip(SKIP_2) | instid1(VALU_DEP_1)
	v_cndmask_b32_e64 v0, v1, v5, s4
	scratch_store_b32 off, v0, off offset:168 ; 4-byte Folded Spill
	v_and_b32_e32 v0, 0xff, v2
	v_cvt_f32_fp8_e32 v0, v0
	s_delay_alu instid0(VALU_DEP_1) | instskip(NEXT) | instid1(VALU_DEP_1)
	v_mul_f32_e32 v0, s5, v0
	v_bfe_u32 v1, v0, 16, 1
	v_or_b32_e32 v5, 0x400000, v0
	v_cmp_u_f32_e64 s4, v0, v0
	s_delay_alu instid0(VALU_DEP_3) | instskip(SKIP_1) | instid1(VALU_DEP_1)
	v_add3_u32 v1, v1, v0, 0x7fff
	s_wait_alu 0xf1ff
	v_cndmask_b32_e64 v0, v1, v5, s4
	scratch_store_b32 off, v0, off offset:172 ; 4-byte Folded Spill
	v_bfe_u32 v0, v2, 8, 8
	s_delay_alu instid0(VALU_DEP_1) | instskip(NEXT) | instid1(VALU_DEP_1)
	v_cvt_f32_fp8_e32 v0, v0
	v_mul_f32_e32 v0, s5, v0
	s_delay_alu instid0(VALU_DEP_1) | instskip(SKIP_2) | instid1(VALU_DEP_3)
	v_bfe_u32 v1, v0, 16, 1
	v_or_b32_e32 v5, 0x400000, v0
	v_cmp_u_f32_e64 s4, v0, v0
	v_add3_u32 v1, v1, v0, 0x7fff
	s_wait_alu 0xf1ff
	s_delay_alu instid0(VALU_DEP_1) | instskip(SKIP_2) | instid1(VALU_DEP_1)
	v_cndmask_b32_e64 v0, v1, v5, s4
	scratch_store_b32 off, v0, off offset:176 ; 4-byte Folded Spill
	v_bfe_u32 v0, v2, 16, 8
	v_cvt_f32_fp8_e32 v0, v0
	s_delay_alu instid0(VALU_DEP_1) | instskip(NEXT) | instid1(VALU_DEP_1)
	v_mul_f32_e32 v0, s5, v0
	v_bfe_u32 v1, v0, 16, 1
	v_or_b32_e32 v5, 0x400000, v0
	v_cmp_u_f32_e64 s4, v0, v0
	s_delay_alu instid0(VALU_DEP_3) | instskip(SKIP_1) | instid1(VALU_DEP_1)
	v_add3_u32 v1, v1, v0, 0x7fff
	s_wait_alu 0xf1ff
	v_cndmask_b32_e64 v0, v1, v5, s4
	scratch_store_b32 off, v0, off offset:180 ; 4-byte Folded Spill
	v_lshrrev_b32_e32 v0, 24, v2
	s_delay_alu instid0(VALU_DEP_1) | instskip(NEXT) | instid1(VALU_DEP_1)
	v_cvt_f32_fp8_e32 v0, v0
	v_mul_f32_e32 v0, s5, v0
	s_delay_alu instid0(VALU_DEP_1) | instskip(SKIP_2) | instid1(VALU_DEP_3)
	v_bfe_u32 v1, v0, 16, 1
	v_or_b32_e32 v2, 0x400000, v0
	v_cmp_u_f32_e64 s4, v0, v0
	v_add3_u32 v1, v1, v0, 0x7fff
	s_wait_alu 0xf1ff
	s_delay_alu instid0(VALU_DEP_1) | instskip(SKIP_2) | instid1(VALU_DEP_1)
	v_cndmask_b32_e64 v0, v1, v2, s4
	scratch_store_b32 off, v0, off offset:184 ; 4-byte Folded Spill
	v_and_b32_e32 v0, 0xff, v3
	v_cvt_f32_fp8_e32 v0, v0
	s_delay_alu instid0(VALU_DEP_1) | instskip(NEXT) | instid1(VALU_DEP_1)
	v_mul_f32_e32 v0, s5, v0
	v_bfe_u32 v1, v0, 16, 1
	v_or_b32_e32 v2, 0x400000, v0
	v_cmp_u_f32_e64 s4, v0, v0
	s_delay_alu instid0(VALU_DEP_3) | instskip(SKIP_1) | instid1(VALU_DEP_1)
	v_add3_u32 v1, v1, v0, 0x7fff
	s_wait_alu 0xf1ff
	v_cndmask_b32_e64 v0, v1, v2, s4
	scratch_store_b32 off, v0, off offset:188 ; 4-byte Folded Spill
	v_bfe_u32 v0, v3, 8, 8
	s_delay_alu instid0(VALU_DEP_1) | instskip(NEXT) | instid1(VALU_DEP_1)
	v_cvt_f32_fp8_e32 v0, v0
	v_mul_f32_e32 v0, s5, v0
	s_delay_alu instid0(VALU_DEP_1) | instskip(SKIP_2) | instid1(VALU_DEP_3)
	v_bfe_u32 v1, v0, 16, 1
	v_or_b32_e32 v2, 0x400000, v0
	v_cmp_u_f32_e64 s4, v0, v0
	v_add3_u32 v1, v1, v0, 0x7fff
	s_wait_alu 0xf1ff
	s_delay_alu instid0(VALU_DEP_1) | instskip(SKIP_2) | instid1(VALU_DEP_1)
	v_cndmask_b32_e64 v0, v1, v2, s4
	scratch_store_b32 off, v0, off offset:192 ; 4-byte Folded Spill
	v_bfe_u32 v0, v3, 16, 8
	v_cvt_f32_fp8_e32 v0, v0
	s_delay_alu instid0(VALU_DEP_1) | instskip(NEXT) | instid1(VALU_DEP_1)
	v_mul_f32_e32 v0, s5, v0
	v_bfe_u32 v1, v0, 16, 1
	v_or_b32_e32 v2, 0x400000, v0
	v_cmp_u_f32_e64 s4, v0, v0
	s_delay_alu instid0(VALU_DEP_3) | instskip(SKIP_1) | instid1(VALU_DEP_1)
	v_add3_u32 v1, v1, v0, 0x7fff
	s_wait_alu 0xf1ff
	v_cndmask_b32_e64 v0, v1, v2, s4
	scratch_store_b32 off, v0, off offset:196 ; 4-byte Folded Spill
	v_lshrrev_b32_e32 v0, 24, v3
	s_delay_alu instid0(VALU_DEP_1) | instskip(NEXT) | instid1(VALU_DEP_1)
	v_cvt_f32_fp8_e32 v0, v0
	v_mul_f32_e32 v0, s5, v0
	s_delay_alu instid0(VALU_DEP_1) | instskip(SKIP_2) | instid1(VALU_DEP_3)
	v_bfe_u32 v1, v0, 16, 1
	v_or_b32_e32 v2, 0x400000, v0
	v_cmp_u_f32_e64 s4, v0, v0
	v_add3_u32 v1, v1, v0, 0x7fff
	s_wait_alu 0xf1ff
	s_delay_alu instid0(VALU_DEP_1) | instskip(SKIP_2) | instid1(VALU_DEP_1)
	v_cndmask_b32_e64 v0, v1, v2, s4
	scratch_store_b32 off, v0, off offset:200 ; 4-byte Folded Spill
	v_and_b32_e32 v0, 0xff, v4
	v_cvt_f32_fp8_e32 v0, v0
	s_delay_alu instid0(VALU_DEP_1) | instskip(NEXT) | instid1(VALU_DEP_1)
	v_mul_f32_e32 v0, s5, v0
	v_bfe_u32 v1, v0, 16, 1
	v_or_b32_e32 v2, 0x400000, v0
	v_cmp_u_f32_e64 s4, v0, v0
	s_delay_alu instid0(VALU_DEP_3) | instskip(SKIP_1) | instid1(VALU_DEP_1)
	v_add3_u32 v1, v1, v0, 0x7fff
	s_wait_alu 0xf1ff
	v_cndmask_b32_e64 v0, v1, v2, s4
	scratch_store_b32 off, v0, off offset:204 ; 4-byte Folded Spill
	v_bfe_u32 v0, v4, 8, 8
	s_delay_alu instid0(VALU_DEP_1) | instskip(NEXT) | instid1(VALU_DEP_1)
	v_cvt_f32_fp8_e32 v0, v0
	v_mul_f32_e32 v0, s5, v0
	s_delay_alu instid0(VALU_DEP_1) | instskip(SKIP_2) | instid1(VALU_DEP_3)
	v_bfe_u32 v1, v0, 16, 1
	v_or_b32_e32 v2, 0x400000, v0
	v_cmp_u_f32_e64 s4, v0, v0
	v_add3_u32 v1, v1, v0, 0x7fff
	s_wait_alu 0xf1ff
	s_delay_alu instid0(VALU_DEP_1) | instskip(SKIP_2) | instid1(VALU_DEP_1)
	v_cndmask_b32_e64 v0, v1, v2, s4
	scratch_store_b32 off, v0, off offset:208 ; 4-byte Folded Spill
	v_bfe_u32 v0, v4, 16, 8
	v_cvt_f32_fp8_e32 v0, v0
	s_delay_alu instid0(VALU_DEP_1) | instskip(NEXT) | instid1(VALU_DEP_1)
	v_mul_f32_e32 v0, s5, v0
	v_bfe_u32 v1, v0, 16, 1
	v_or_b32_e32 v2, 0x400000, v0
	v_cmp_u_f32_e64 s4, v0, v0
	s_delay_alu instid0(VALU_DEP_3) | instskip(SKIP_1) | instid1(VALU_DEP_1)
	v_add3_u32 v1, v1, v0, 0x7fff
	s_wait_alu 0xf1ff
	v_cndmask_b32_e64 v0, v1, v2, s4
	scratch_store_b32 off, v0, off offset:212 ; 4-byte Folded Spill
	v_lshrrev_b32_e32 v0, 24, v4
	s_delay_alu instid0(VALU_DEP_1) | instskip(NEXT) | instid1(VALU_DEP_1)
	v_cvt_f32_fp8_e32 v0, v0
	v_mul_f32_e32 v0, s5, v0
	s_delay_alu instid0(VALU_DEP_1) | instskip(SKIP_2) | instid1(VALU_DEP_3)
	v_bfe_u32 v1, v0, 16, 1
	v_or_b32_e32 v2, 0x400000, v0
	v_cmp_u_f32_e64 s4, v0, v0
	v_add3_u32 v1, v1, v0, 0x7fff
	s_wait_alu 0xf1ff
	s_delay_alu instid0(VALU_DEP_1) | instskip(SKIP_4) | instid1(VALU_DEP_1)
	v_cndmask_b32_e64 v0, v1, v2, s4
	scratch_store_b32 off, v0, off offset:216 ; 4-byte Folded Spill
	global_load_b128 v[0:3], v[10:11], off offset:2048
	s_wait_loadcnt 0x0
	v_and_b32_e32 v4, 0xff, v0
	v_cvt_f32_fp8_e32 v4, v4
	s_delay_alu instid0(VALU_DEP_1) | instskip(NEXT) | instid1(VALU_DEP_1)
	v_mul_f32_e32 v4, s5, v4
	v_bfe_u32 v5, v4, 16, 1
	v_or_b32_e32 v6, 0x400000, v4
	v_cmp_u_f32_e64 s4, v4, v4
	s_delay_alu instid0(VALU_DEP_3) | instskip(SKIP_1) | instid1(VALU_DEP_1)
	v_add3_u32 v5, v5, v4, 0x7fff
	s_wait_alu 0xf1ff
	v_cndmask_b32_e64 v4, v5, v6, s4
	scratch_store_b32 off, v4, off offset:220 ; 4-byte Folded Spill
	v_bfe_u32 v4, v0, 8, 8
	s_delay_alu instid0(VALU_DEP_1) | instskip(NEXT) | instid1(VALU_DEP_1)
	v_cvt_f32_fp8_e32 v4, v4
	v_mul_f32_e32 v4, s5, v4
	s_delay_alu instid0(VALU_DEP_1) | instskip(SKIP_2) | instid1(VALU_DEP_3)
	v_bfe_u32 v5, v4, 16, 1
	v_or_b32_e32 v6, 0x400000, v4
	v_cmp_u_f32_e64 s4, v4, v4
	v_add3_u32 v5, v5, v4, 0x7fff
	s_wait_alu 0xf1ff
	s_delay_alu instid0(VALU_DEP_1) | instskip(SKIP_3) | instid1(VALU_DEP_2)
	v_cndmask_b32_e64 v4, v5, v6, s4
	scratch_store_b32 off, v4, off offset:228 ; 4-byte Folded Spill
	v_bfe_u32 v4, v0, 16, 8
	v_lshrrev_b32_e32 v0, 24, v0
	v_cvt_f32_fp8_e32 v4, v4
	s_delay_alu instid0(VALU_DEP_2) | instskip(NEXT) | instid1(VALU_DEP_2)
	v_cvt_f32_fp8_e32 v0, v0
	v_mul_f32_e32 v4, s5, v4
	s_delay_alu instid0(VALU_DEP_2) | instskip(NEXT) | instid1(VALU_DEP_2)
	v_mul_f32_e32 v0, s5, v0
	v_bfe_u32 v5, v4, 16, 1
	v_or_b32_e32 v6, 0x400000, v4
	v_cmp_u_f32_e64 s4, v4, v4
	s_delay_alu instid0(VALU_DEP_3) | instskip(SKIP_1) | instid1(VALU_DEP_1)
	v_add3_u32 v5, v5, v4, 0x7fff
	s_wait_alu 0xf1ff
	v_cndmask_b32_e64 v4, v5, v6, s4
	v_or_b32_e32 v5, 0x400000, v0
	v_cmp_u_f32_e64 s4, v0, v0
	scratch_store_b32 off, v4, off offset:224 ; 4-byte Folded Spill
	v_bfe_u32 v4, v0, 16, 1
	s_delay_alu instid0(VALU_DEP_1) | instskip(SKIP_1) | instid1(VALU_DEP_1)
	v_add3_u32 v4, v4, v0, 0x7fff
	s_wait_alu 0xf1ff
	v_cndmask_b32_e64 v0, v4, v5, s4
	scratch_store_b32 off, v0, off offset:236 ; 4-byte Folded Spill
	v_and_b32_e32 v0, 0xff, v1
	s_delay_alu instid0(VALU_DEP_1) | instskip(NEXT) | instid1(VALU_DEP_1)
	v_cvt_f32_fp8_e32 v0, v0
	v_mul_f32_e32 v0, s5, v0
	s_delay_alu instid0(VALU_DEP_1) | instskip(SKIP_2) | instid1(VALU_DEP_3)
	v_bfe_u32 v4, v0, 16, 1
	v_or_b32_e32 v5, 0x400000, v0
	v_cmp_u_f32_e64 s4, v0, v0
	v_add3_u32 v4, v4, v0, 0x7fff
	s_wait_alu 0xf1ff
	s_delay_alu instid0(VALU_DEP_1) | instskip(SKIP_2) | instid1(VALU_DEP_1)
	v_cndmask_b32_e64 v0, v4, v5, s4
	scratch_store_b32 off, v0, off offset:232 ; 4-byte Folded Spill
	v_bfe_u32 v0, v1, 8, 8
	v_cvt_f32_fp8_e32 v0, v0
	s_delay_alu instid0(VALU_DEP_1) | instskip(NEXT) | instid1(VALU_DEP_1)
	v_mul_f32_e32 v0, s5, v0
	v_bfe_u32 v4, v0, 16, 1
	v_or_b32_e32 v5, 0x400000, v0
	v_cmp_u_f32_e64 s4, v0, v0
	s_delay_alu instid0(VALU_DEP_3) | instskip(SKIP_1) | instid1(VALU_DEP_1)
	v_add3_u32 v4, v4, v0, 0x7fff
	s_wait_alu 0xf1ff
	v_cndmask_b32_e64 v0, v4, v5, s4
	scratch_store_b32 off, v0, off offset:244 ; 4-byte Folded Spill
	v_bfe_u32 v0, v1, 16, 8
	s_delay_alu instid0(VALU_DEP_1) | instskip(NEXT) | instid1(VALU_DEP_1)
	v_cvt_f32_fp8_e32 v0, v0
	v_mul_f32_e32 v0, s5, v0
	s_delay_alu instid0(VALU_DEP_1) | instskip(SKIP_2) | instid1(VALU_DEP_3)
	v_bfe_u32 v4, v0, 16, 1
	v_or_b32_e32 v5, 0x400000, v0
	v_cmp_u_f32_e64 s4, v0, v0
	v_add3_u32 v4, v4, v0, 0x7fff
	s_wait_alu 0xf1ff
	s_delay_alu instid0(VALU_DEP_1) | instskip(SKIP_2) | instid1(VALU_DEP_1)
	v_cndmask_b32_e64 v0, v4, v5, s4
	scratch_store_b32 off, v0, off offset:240 ; 4-byte Folded Spill
	v_lshrrev_b32_e32 v0, 24, v1
	v_cvt_f32_fp8_e32 v0, v0
	s_delay_alu instid0(VALU_DEP_1) | instskip(NEXT) | instid1(VALU_DEP_1)
	v_mul_f32_e32 v0, s5, v0
	v_bfe_u32 v1, v0, 16, 1
	v_or_b32_e32 v4, 0x400000, v0
	v_cmp_u_f32_e64 s4, v0, v0
	s_delay_alu instid0(VALU_DEP_3) | instskip(SKIP_1) | instid1(VALU_DEP_1)
	v_add3_u32 v1, v1, v0, 0x7fff
	s_wait_alu 0xf1ff
	v_cndmask_b32_e64 v0, v1, v4, s4
	scratch_store_b32 off, v0, off offset:252 ; 4-byte Folded Spill
	v_and_b32_e32 v0, 0xff, v2
	s_delay_alu instid0(VALU_DEP_1) | instskip(NEXT) | instid1(VALU_DEP_1)
	v_cvt_f32_fp8_e32 v0, v0
	v_mul_f32_e32 v0, s5, v0
	s_delay_alu instid0(VALU_DEP_1) | instskip(SKIP_2) | instid1(VALU_DEP_3)
	v_bfe_u32 v1, v0, 16, 1
	v_or_b32_e32 v4, 0x400000, v0
	v_cmp_u_f32_e64 s4, v0, v0
	v_add3_u32 v1, v1, v0, 0x7fff
	s_wait_alu 0xf1ff
	s_delay_alu instid0(VALU_DEP_1) | instskip(SKIP_2) | instid1(VALU_DEP_1)
	v_cndmask_b32_e64 v0, v1, v4, s4
	scratch_store_b32 off, v0, off offset:248 ; 4-byte Folded Spill
	v_bfe_u32 v0, v2, 8, 8
	v_cvt_f32_fp8_e32 v0, v0
	s_delay_alu instid0(VALU_DEP_1) | instskip(NEXT) | instid1(VALU_DEP_1)
	v_mul_f32_e32 v0, s5, v0
	v_bfe_u32 v1, v0, 16, 1
	v_or_b32_e32 v4, 0x400000, v0
	v_cmp_u_f32_e64 s4, v0, v0
	s_delay_alu instid0(VALU_DEP_3) | instskip(SKIP_1) | instid1(VALU_DEP_1)
	v_add3_u32 v1, v1, v0, 0x7fff
	s_wait_alu 0xf1ff
	v_cndmask_b32_e64 v0, v1, v4, s4
	scratch_store_b32 off, v0, off offset:260 ; 4-byte Folded Spill
	v_bfe_u32 v0, v2, 16, 8
	s_delay_alu instid0(VALU_DEP_1) | instskip(NEXT) | instid1(VALU_DEP_1)
	v_cvt_f32_fp8_e32 v0, v0
	v_mul_f32_e32 v0, s5, v0
	s_delay_alu instid0(VALU_DEP_1) | instskip(SKIP_2) | instid1(VALU_DEP_3)
	v_bfe_u32 v1, v0, 16, 1
	v_or_b32_e32 v4, 0x400000, v0
	v_cmp_u_f32_e64 s4, v0, v0
	v_add3_u32 v1, v1, v0, 0x7fff
	s_wait_alu 0xf1ff
	s_delay_alu instid0(VALU_DEP_1) | instskip(SKIP_2) | instid1(VALU_DEP_1)
	v_cndmask_b32_e64 v0, v1, v4, s4
	scratch_store_b32 off, v0, off offset:256 ; 4-byte Folded Spill
	v_lshrrev_b32_e32 v0, 24, v2
	v_cvt_f32_fp8_e32 v0, v0
	s_delay_alu instid0(VALU_DEP_1) | instskip(NEXT) | instid1(VALU_DEP_1)
	v_mul_f32_e32 v0, s5, v0
	v_bfe_u32 v1, v0, 16, 1
	v_or_b32_e32 v2, 0x400000, v0
	v_cmp_u_f32_e64 s4, v0, v0
	s_delay_alu instid0(VALU_DEP_3) | instskip(SKIP_1) | instid1(VALU_DEP_1)
	;; [unrolled: 50-line block ×3, first 2 shown]
	v_add3_u32 v1, v1, v0, 0x7fff
	s_wait_alu 0xf1ff
	v_cndmask_b32_e64 v0, v1, v2, s4
	global_load_b128 v[1:4], v[10:11], off offset:2560
	scratch_store_b32 off, v0, off offset:280 ; 4-byte Folded Spill
	s_wait_loadcnt 0x0
	v_and_b32_e32 v0, 0xff, v1
	s_delay_alu instid0(VALU_DEP_1) | instskip(NEXT) | instid1(VALU_DEP_1)
	v_cvt_f32_fp8_e32 v0, v0
	v_mul_f32_e32 v0, s5, v0
	s_delay_alu instid0(VALU_DEP_1) | instskip(SKIP_2) | instid1(VALU_DEP_3)
	v_bfe_u32 v5, v0, 16, 1
	v_or_b32_e32 v6, 0x400000, v0
	v_cmp_u_f32_e64 s4, v0, v0
	v_add3_u32 v5, v5, v0, 0x7fff
	s_wait_alu 0xf1ff
	s_delay_alu instid0(VALU_DEP_1) | instskip(SKIP_2) | instid1(VALU_DEP_1)
	v_cndmask_b32_e64 v0, v5, v6, s4
	scratch_store_b32 off, v0, off offset:284 ; 4-byte Folded Spill
	v_bfe_u32 v0, v1, 8, 8
	v_cvt_f32_fp8_e32 v0, v0
	s_delay_alu instid0(VALU_DEP_1) | instskip(NEXT) | instid1(VALU_DEP_1)
	v_mul_f32_e32 v0, s5, v0
	v_bfe_u32 v5, v0, 16, 1
	v_or_b32_e32 v6, 0x400000, v0
	v_cmp_u_f32_e64 s4, v0, v0
	s_delay_alu instid0(VALU_DEP_3) | instskip(SKIP_1) | instid1(VALU_DEP_1)
	v_add3_u32 v5, v5, v0, 0x7fff
	s_wait_alu 0xf1ff
	v_cndmask_b32_e64 v0, v5, v6, s4
	scratch_store_b32 off, v0, off offset:288 ; 4-byte Folded Spill
	v_bfe_u32 v0, v1, 16, 8
	s_delay_alu instid0(VALU_DEP_1) | instskip(NEXT) | instid1(VALU_DEP_1)
	v_cvt_f32_fp8_e32 v0, v0
	v_mul_f32_e32 v0, s5, v0
	s_delay_alu instid0(VALU_DEP_1) | instskip(SKIP_2) | instid1(VALU_DEP_3)
	v_bfe_u32 v5, v0, 16, 1
	v_or_b32_e32 v6, 0x400000, v0
	v_cmp_u_f32_e64 s4, v0, v0
	v_add3_u32 v5, v5, v0, 0x7fff
	s_wait_alu 0xf1ff
	s_delay_alu instid0(VALU_DEP_1) | instskip(SKIP_2) | instid1(VALU_DEP_1)
	v_cndmask_b32_e64 v0, v5, v6, s4
	scratch_store_b32 off, v0, off offset:292 ; 4-byte Folded Spill
	v_lshrrev_b32_e32 v0, 24, v1
	v_cvt_f32_fp8_e32 v0, v0
	s_delay_alu instid0(VALU_DEP_1) | instskip(NEXT) | instid1(VALU_DEP_1)
	v_mul_f32_e32 v0, s5, v0
	v_bfe_u32 v1, v0, 16, 1
	v_or_b32_e32 v5, 0x400000, v0
	v_cmp_u_f32_e64 s4, v0, v0
	s_delay_alu instid0(VALU_DEP_3) | instskip(SKIP_2) | instid1(VALU_DEP_2)
	v_add3_u32 v1, v1, v0, 0x7fff
	v_and_b32_e32 v0, 0xff, v2
	s_wait_alu 0xf1ff
	v_cndmask_b32_e64 v178, v1, v5, s4
	s_delay_alu instid0(VALU_DEP_2) | instskip(NEXT) | instid1(VALU_DEP_1)
	v_cvt_f32_fp8_e32 v0, v0
	v_mul_f32_e32 v0, s5, v0
	s_delay_alu instid0(VALU_DEP_1) | instskip(SKIP_2) | instid1(VALU_DEP_3)
	v_bfe_u32 v1, v0, 16, 1
	v_or_b32_e32 v5, 0x400000, v0
	v_cmp_u_f32_e64 s4, v0, v0
	v_add3_u32 v1, v1, v0, 0x7fff
	v_bfe_u32 v0, v2, 8, 8
	s_wait_alu 0xf1ff
	s_delay_alu instid0(VALU_DEP_2) | instskip(NEXT) | instid1(VALU_DEP_2)
	v_cndmask_b32_e64 v179, v1, v5, s4
	v_cvt_f32_fp8_e32 v0, v0
	s_delay_alu instid0(VALU_DEP_1) | instskip(NEXT) | instid1(VALU_DEP_1)
	v_mul_f32_e32 v0, s5, v0
	v_bfe_u32 v1, v0, 16, 1
	v_or_b32_e32 v5, 0x400000, v0
	v_cmp_u_f32_e64 s4, v0, v0
	s_delay_alu instid0(VALU_DEP_3) | instskip(SKIP_2) | instid1(VALU_DEP_2)
	v_add3_u32 v1, v1, v0, 0x7fff
	v_bfe_u32 v0, v2, 16, 8
	s_wait_alu 0xf1ff
	v_cndmask_b32_e64 v180, v1, v5, s4
	s_delay_alu instid0(VALU_DEP_2) | instskip(NEXT) | instid1(VALU_DEP_1)
	v_cvt_f32_fp8_e32 v0, v0
	v_mul_f32_e32 v0, s5, v0
	s_delay_alu instid0(VALU_DEP_1) | instskip(SKIP_2) | instid1(VALU_DEP_3)
	v_bfe_u32 v1, v0, 16, 1
	v_or_b32_e32 v5, 0x400000, v0
	v_cmp_u_f32_e64 s4, v0, v0
	v_add3_u32 v1, v1, v0, 0x7fff
	v_lshrrev_b32_e32 v0, 24, v2
	s_wait_alu 0xf1ff
	s_delay_alu instid0(VALU_DEP_2) | instskip(NEXT) | instid1(VALU_DEP_2)
	v_cndmask_b32_e64 v181, v1, v5, s4
	v_cvt_f32_fp8_e32 v0, v0
	s_delay_alu instid0(VALU_DEP_1) | instskip(NEXT) | instid1(VALU_DEP_1)
	v_mul_f32_e32 v0, s5, v0
	v_bfe_u32 v1, v0, 16, 1
	v_or_b32_e32 v2, 0x400000, v0
	v_cmp_u_f32_e64 s4, v0, v0
	s_delay_alu instid0(VALU_DEP_3) | instskip(SKIP_2) | instid1(VALU_DEP_2)
	v_add3_u32 v1, v1, v0, 0x7fff
	v_and_b32_e32 v0, 0xff, v3
	s_wait_alu 0xf1ff
	v_cndmask_b32_e64 v182, v1, v2, s4
	s_delay_alu instid0(VALU_DEP_2) | instskip(NEXT) | instid1(VALU_DEP_1)
	v_cvt_f32_fp8_e32 v0, v0
	v_mul_f32_e32 v0, s5, v0
	s_delay_alu instid0(VALU_DEP_1) | instskip(SKIP_2) | instid1(VALU_DEP_3)
	v_bfe_u32 v1, v0, 16, 1
	v_or_b32_e32 v2, 0x400000, v0
	v_cmp_u_f32_e64 s4, v0, v0
	v_add3_u32 v1, v1, v0, 0x7fff
	v_bfe_u32 v0, v3, 8, 8
	s_wait_alu 0xf1ff
	s_delay_alu instid0(VALU_DEP_2) | instskip(NEXT) | instid1(VALU_DEP_2)
	v_cndmask_b32_e64 v183, v1, v2, s4
	v_cvt_f32_fp8_e32 v0, v0
	s_delay_alu instid0(VALU_DEP_1) | instskip(NEXT) | instid1(VALU_DEP_1)
	v_mul_f32_e32 v0, s5, v0
	v_bfe_u32 v1, v0, 16, 1
	v_or_b32_e32 v2, 0x400000, v0
	v_cmp_u_f32_e64 s4, v0, v0
	s_delay_alu instid0(VALU_DEP_3) | instskip(SKIP_2) | instid1(VALU_DEP_2)
	v_add3_u32 v1, v1, v0, 0x7fff
	v_bfe_u32 v0, v3, 16, 8
	s_wait_alu 0xf1ff
	v_cndmask_b32_e64 v184, v1, v2, s4
	s_delay_alu instid0(VALU_DEP_2) | instskip(NEXT) | instid1(VALU_DEP_1)
	v_cvt_f32_fp8_e32 v0, v0
	v_mul_f32_e32 v0, s5, v0
	s_delay_alu instid0(VALU_DEP_1) | instskip(SKIP_2) | instid1(VALU_DEP_3)
	v_bfe_u32 v1, v0, 16, 1
	v_or_b32_e32 v2, 0x400000, v0
	v_cmp_u_f32_e64 s4, v0, v0
	v_add3_u32 v1, v1, v0, 0x7fff
	v_lshrrev_b32_e32 v0, 24, v3
	s_wait_alu 0xf1ff
	s_delay_alu instid0(VALU_DEP_2) | instskip(NEXT) | instid1(VALU_DEP_2)
	v_cndmask_b32_e64 v185, v1, v2, s4
	;; [unrolled: 46-line block ×3, first 2 shown]
	v_cvt_f32_fp8_e32 v0, v0
	s_delay_alu instid0(VALU_DEP_1) | instskip(NEXT) | instid1(VALU_DEP_1)
	v_mul_f32_e32 v0, s5, v0
	v_bfe_u32 v1, v0, 16, 1
	v_or_b32_e32 v2, 0x400000, v0
	v_cmp_u_f32_e64 s4, v0, v0
	s_delay_alu instid0(VALU_DEP_3) | instskip(SKIP_1) | instid1(VALU_DEP_1)
	v_add3_u32 v1, v1, v0, 0x7fff
	s_wait_alu 0xf1ff
	v_cndmask_b32_e64 v190, v1, v2, s4
	global_load_b128 v[0:3], v[10:11], off offset:3072
	s_wait_loadcnt 0x0
	v_and_b32_e32 v4, 0xff, v0
	s_delay_alu instid0(VALU_DEP_1) | instskip(NEXT) | instid1(VALU_DEP_1)
	v_cvt_f32_fp8_e32 v4, v4
	v_mul_f32_e32 v4, s5, v4
	s_delay_alu instid0(VALU_DEP_1) | instskip(SKIP_2) | instid1(VALU_DEP_3)
	v_bfe_u32 v5, v4, 16, 1
	v_or_b32_e32 v6, 0x400000, v4
	v_cmp_u_f32_e64 s4, v4, v4
	v_add3_u32 v5, v5, v4, 0x7fff
	v_bfe_u32 v4, v0, 8, 8
	s_wait_alu 0xf1ff
	s_delay_alu instid0(VALU_DEP_2) | instskip(NEXT) | instid1(VALU_DEP_2)
	v_cndmask_b32_e64 v191, v5, v6, s4
	v_cvt_f32_fp8_e32 v4, v4
	s_delay_alu instid0(VALU_DEP_1) | instskip(NEXT) | instid1(VALU_DEP_1)
	v_mul_f32_e32 v4, s5, v4
	v_bfe_u32 v5, v4, 16, 1
	v_or_b32_e32 v6, 0x400000, v4
	v_cmp_u_f32_e64 s4, v4, v4
	s_delay_alu instid0(VALU_DEP_3) | instskip(SKIP_3) | instid1(VALU_DEP_3)
	v_add3_u32 v5, v5, v4, 0x7fff
	v_bfe_u32 v4, v0, 16, 8
	v_lshrrev_b32_e32 v0, 24, v0
	s_wait_alu 0xf1ff
	v_cndmask_b32_e64 v175, v5, v6, s4
	s_delay_alu instid0(VALU_DEP_3) | instskip(NEXT) | instid1(VALU_DEP_3)
	v_cvt_f32_fp8_e32 v4, v4
	v_cvt_f32_fp8_e32 v0, v0
	s_delay_alu instid0(VALU_DEP_2) | instskip(NEXT) | instid1(VALU_DEP_2)
	v_mul_f32_e32 v4, s5, v4
	v_mul_f32_e32 v0, s5, v0
	s_delay_alu instid0(VALU_DEP_2) | instskip(SKIP_2) | instid1(VALU_DEP_3)
	v_bfe_u32 v5, v4, 16, 1
	v_or_b32_e32 v6, 0x400000, v4
	v_cmp_u_f32_e64 s4, v4, v4
	v_add3_u32 v5, v5, v4, 0x7fff
	v_bfe_u32 v4, v0, 16, 1
	s_wait_alu 0xf1ff
	s_delay_alu instid0(VALU_DEP_2) | instskip(NEXT) | instid1(VALU_DEP_2)
	v_cndmask_b32_e64 v176, v5, v6, s4
	v_add3_u32 v4, v4, v0, 0x7fff
	v_or_b32_e32 v5, 0x400000, v0
	v_cmp_u_f32_e64 s4, v0, v0
	v_and_b32_e32 v0, 0xff, v1
	s_wait_alu 0xf1ff
	s_delay_alu instid0(VALU_DEP_2) | instskip(NEXT) | instid1(VALU_DEP_2)
	v_cndmask_b32_e64 v173, v4, v5, s4
	v_cvt_f32_fp8_e32 v0, v0
	s_delay_alu instid0(VALU_DEP_1) | instskip(NEXT) | instid1(VALU_DEP_1)
	v_mul_f32_e32 v0, s5, v0
	v_bfe_u32 v4, v0, 16, 1
	v_or_b32_e32 v5, 0x400000, v0
	v_cmp_u_f32_e64 s4, v0, v0
	s_delay_alu instid0(VALU_DEP_3) | instskip(SKIP_2) | instid1(VALU_DEP_2)
	v_add3_u32 v4, v4, v0, 0x7fff
	v_bfe_u32 v0, v1, 8, 8
	s_wait_alu 0xf1ff
	v_cndmask_b32_e64 v174, v4, v5, s4
	s_delay_alu instid0(VALU_DEP_2) | instskip(NEXT) | instid1(VALU_DEP_1)
	v_cvt_f32_fp8_e32 v0, v0
	v_mul_f32_e32 v0, s5, v0
	s_delay_alu instid0(VALU_DEP_1) | instskip(SKIP_2) | instid1(VALU_DEP_3)
	v_bfe_u32 v4, v0, 16, 1
	v_or_b32_e32 v5, 0x400000, v0
	v_cmp_u_f32_e64 s4, v0, v0
	v_add3_u32 v4, v4, v0, 0x7fff
	v_bfe_u32 v0, v1, 16, 8
	s_wait_alu 0xf1ff
	s_delay_alu instid0(VALU_DEP_2) | instskip(NEXT) | instid1(VALU_DEP_2)
	v_cndmask_b32_e64 v171, v4, v5, s4
	v_cvt_f32_fp8_e32 v0, v0
	s_delay_alu instid0(VALU_DEP_1) | instskip(NEXT) | instid1(VALU_DEP_1)
	v_mul_f32_e32 v0, s5, v0
	v_bfe_u32 v4, v0, 16, 1
	v_or_b32_e32 v5, 0x400000, v0
	v_cmp_u_f32_e64 s4, v0, v0
	s_delay_alu instid0(VALU_DEP_3) | instskip(SKIP_2) | instid1(VALU_DEP_2)
	v_add3_u32 v4, v4, v0, 0x7fff
	v_lshrrev_b32_e32 v0, 24, v1
	s_wait_alu 0xf1ff
	v_cndmask_b32_e64 v172, v4, v5, s4
	s_delay_alu instid0(VALU_DEP_2) | instskip(NEXT) | instid1(VALU_DEP_1)
	v_cvt_f32_fp8_e32 v0, v0
	v_mul_f32_e32 v0, s5, v0
	s_delay_alu instid0(VALU_DEP_1) | instskip(SKIP_2) | instid1(VALU_DEP_3)
	v_bfe_u32 v1, v0, 16, 1
	v_or_b32_e32 v4, 0x400000, v0
	v_cmp_u_f32_e64 s4, v0, v0
	v_add3_u32 v1, v1, v0, 0x7fff
	v_and_b32_e32 v0, 0xff, v2
	s_wait_alu 0xf1ff
	s_delay_alu instid0(VALU_DEP_2) | instskip(NEXT) | instid1(VALU_DEP_2)
	v_cndmask_b32_e64 v169, v1, v4, s4
	v_cvt_f32_fp8_e32 v0, v0
	s_delay_alu instid0(VALU_DEP_1) | instskip(NEXT) | instid1(VALU_DEP_1)
	v_mul_f32_e32 v0, s5, v0
	v_bfe_u32 v1, v0, 16, 1
	v_or_b32_e32 v4, 0x400000, v0
	v_cmp_u_f32_e64 s4, v0, v0
	s_delay_alu instid0(VALU_DEP_3) | instskip(SKIP_2) | instid1(VALU_DEP_2)
	v_add3_u32 v1, v1, v0, 0x7fff
	v_bfe_u32 v0, v2, 8, 8
	s_wait_alu 0xf1ff
	v_cndmask_b32_e64 v170, v1, v4, s4
	s_delay_alu instid0(VALU_DEP_2) | instskip(NEXT) | instid1(VALU_DEP_1)
	v_cvt_f32_fp8_e32 v0, v0
	v_mul_f32_e32 v0, s5, v0
	s_delay_alu instid0(VALU_DEP_1) | instskip(SKIP_2) | instid1(VALU_DEP_3)
	v_bfe_u32 v1, v0, 16, 1
	v_or_b32_e32 v4, 0x400000, v0
	v_cmp_u_f32_e64 s4, v0, v0
	v_add3_u32 v1, v1, v0, 0x7fff
	v_bfe_u32 v0, v2, 16, 8
	s_wait_alu 0xf1ff
	s_delay_alu instid0(VALU_DEP_2) | instskip(NEXT) | instid1(VALU_DEP_2)
	v_cndmask_b32_e64 v168, v1, v4, s4
	v_cvt_f32_fp8_e32 v0, v0
	s_delay_alu instid0(VALU_DEP_1) | instskip(NEXT) | instid1(VALU_DEP_1)
	v_mul_f32_e32 v0, s5, v0
	v_bfe_u32 v1, v0, 16, 1
	v_or_b32_e32 v4, 0x400000, v0
	v_cmp_u_f32_e64 s4, v0, v0
	s_delay_alu instid0(VALU_DEP_3) | instskip(SKIP_2) | instid1(VALU_DEP_2)
	v_add3_u32 v1, v1, v0, 0x7fff
	v_lshrrev_b32_e32 v0, 24, v2
	s_wait_alu 0xf1ff
	v_cndmask_b32_e64 v167, v1, v4, s4
	s_delay_alu instid0(VALU_DEP_2) | instskip(NEXT) | instid1(VALU_DEP_1)
	v_cvt_f32_fp8_e32 v0, v0
	v_mul_f32_e32 v0, s5, v0
	s_delay_alu instid0(VALU_DEP_1) | instskip(SKIP_2) | instid1(VALU_DEP_3)
	v_bfe_u32 v1, v0, 16, 1
	v_or_b32_e32 v2, 0x400000, v0
	v_cmp_u_f32_e64 s4, v0, v0
	v_add3_u32 v1, v1, v0, 0x7fff
	v_and_b32_e32 v0, 0xff, v3
	s_wait_alu 0xf1ff
	s_delay_alu instid0(VALU_DEP_2) | instskip(NEXT) | instid1(VALU_DEP_2)
	v_cndmask_b32_e64 v163, v1, v2, s4
	v_cvt_f32_fp8_e32 v0, v0
	s_delay_alu instid0(VALU_DEP_1) | instskip(NEXT) | instid1(VALU_DEP_1)
	v_dual_mul_f32 v0, s5, v0 :: v_dual_and_b32 v163, 0xffff0000, v163
	v_bfe_u32 v1, v0, 16, 1
	v_or_b32_e32 v2, 0x400000, v0
	v_cmp_u_f32_e64 s4, v0, v0
	s_delay_alu instid0(VALU_DEP_3) | instskip(SKIP_2) | instid1(VALU_DEP_2)
	v_add3_u32 v1, v1, v0, 0x7fff
	v_bfe_u32 v0, v3, 8, 8
	s_wait_alu 0xf1ff
	v_cndmask_b32_e64 v164, v1, v2, s4
	s_delay_alu instid0(VALU_DEP_2) | instskip(NEXT) | instid1(VALU_DEP_1)
	v_cvt_f32_fp8_e32 v0, v0
	v_mul_f32_e32 v0, s5, v0
	s_delay_alu instid0(VALU_DEP_1) | instskip(SKIP_2) | instid1(VALU_DEP_3)
	v_bfe_u32 v1, v0, 16, 1
	v_or_b32_e32 v2, 0x400000, v0
	v_cmp_u_f32_e64 s4, v0, v0
	v_add3_u32 v1, v1, v0, 0x7fff
	v_bfe_u32 v0, v3, 16, 8
	s_wait_alu 0xf1ff
	s_delay_alu instid0(VALU_DEP_2) | instskip(NEXT) | instid1(VALU_DEP_2)
	v_cndmask_b32_e64 v162, v1, v2, s4
	v_cvt_f32_fp8_e32 v0, v0
	s_delay_alu instid0(VALU_DEP_2) | instskip(NEXT) | instid1(VALU_DEP_2)
	v_and_b32_e32 v162, 0xffff0000, v162
	v_mul_f32_e32 v0, s5, v0
	s_delay_alu instid0(VALU_DEP_1) | instskip(SKIP_2) | instid1(VALU_DEP_3)
	v_bfe_u32 v1, v0, 16, 1
	v_or_b32_e32 v2, 0x400000, v0
	v_cmp_u_f32_e64 s4, v0, v0
	v_add3_u32 v1, v1, v0, 0x7fff
	v_lshrrev_b32_e32 v0, 24, v3
	s_wait_alu 0xf1ff
	s_delay_alu instid0(VALU_DEP_2) | instskip(NEXT) | instid1(VALU_DEP_2)
	v_cndmask_b32_e64 v161, v1, v2, s4
	v_cvt_f32_fp8_e32 v0, v0
	s_delay_alu instid0(VALU_DEP_1) | instskip(NEXT) | instid1(VALU_DEP_1)
	v_mul_f32_e32 v0, s5, v0
	v_bfe_u32 v1, v0, 16, 1
	v_or_b32_e32 v2, 0x400000, v0
	v_cmp_u_f32_e64 s4, v0, v0
	s_delay_alu instid0(VALU_DEP_3) | instskip(SKIP_1) | instid1(VALU_DEP_1)
	v_add3_u32 v1, v1, v0, 0x7fff
	s_wait_alu 0xf1ff
	v_cndmask_b32_e64 v153, v1, v2, s4
	global_load_b128 v[1:4], v[10:11], off offset:3584
	v_and_b32_e32 v153, 0xffff0000, v153
	s_wait_loadcnt 0x0
	v_and_b32_e32 v0, 0xff, v1
	s_delay_alu instid0(VALU_DEP_1) | instskip(NEXT) | instid1(VALU_DEP_1)
	v_cvt_f32_fp8_e32 v0, v0
	v_mul_f32_e32 v0, s5, v0
	s_delay_alu instid0(VALU_DEP_1) | instskip(SKIP_2) | instid1(VALU_DEP_3)
	v_bfe_u32 v5, v0, 16, 1
	v_or_b32_e32 v6, 0x400000, v0
	v_cmp_u_f32_e64 s4, v0, v0
	v_add3_u32 v5, v5, v0, 0x7fff
	v_bfe_u32 v0, v1, 8, 8
	s_wait_alu 0xf1ff
	s_delay_alu instid0(VALU_DEP_2) | instskip(NEXT) | instid1(VALU_DEP_2)
	v_cndmask_b32_e64 v152, v5, v6, s4
	v_cvt_f32_fp8_e32 v0, v0
	s_delay_alu instid0(VALU_DEP_2) | instskip(NEXT) | instid1(VALU_DEP_2)
	v_and_b32_e32 v152, 0xffff0000, v152
	v_mul_f32_e32 v0, s5, v0
	s_delay_alu instid0(VALU_DEP_1) | instskip(SKIP_2) | instid1(VALU_DEP_3)
	v_bfe_u32 v5, v0, 16, 1
	v_or_b32_e32 v6, 0x400000, v0
	v_cmp_u_f32_e64 s4, v0, v0
	v_add3_u32 v5, v5, v0, 0x7fff
	v_bfe_u32 v0, v1, 16, 8
	s_wait_alu 0xf1ff
	s_delay_alu instid0(VALU_DEP_2) | instskip(NEXT) | instid1(VALU_DEP_2)
	v_cndmask_b32_e64 v151, v5, v6, s4
	v_cvt_f32_fp8_e32 v0, v0
	s_delay_alu instid0(VALU_DEP_1) | instskip(NEXT) | instid1(VALU_DEP_1)
	v_dual_mul_f32 v0, s5, v0 :: v_dual_and_b32 v151, 0xffff0000, v151
	v_bfe_u32 v5, v0, 16, 1
	v_or_b32_e32 v6, 0x400000, v0
	v_cmp_u_f32_e64 s4, v0, v0
	s_delay_alu instid0(VALU_DEP_3) | instskip(SKIP_2) | instid1(VALU_DEP_2)
	v_add3_u32 v5, v5, v0, 0x7fff
	v_lshrrev_b32_e32 v0, 24, v1
	s_wait_alu 0xf1ff
	v_cndmask_b32_e64 v150, v5, v6, s4
	s_delay_alu instid0(VALU_DEP_2) | instskip(NEXT) | instid1(VALU_DEP_2)
	v_cvt_f32_fp8_e32 v0, v0
	v_and_b32_e32 v150, 0xffff0000, v150
	s_delay_alu instid0(VALU_DEP_2) | instskip(NEXT) | instid1(VALU_DEP_1)
	v_mul_f32_e32 v0, s5, v0
	v_bfe_u32 v1, v0, 16, 1
	v_or_b32_e32 v5, 0x400000, v0
	v_cmp_u_f32_e64 s4, v0, v0
	s_delay_alu instid0(VALU_DEP_3) | instskip(SKIP_2) | instid1(VALU_DEP_2)
	v_add3_u32 v1, v1, v0, 0x7fff
	v_and_b32_e32 v0, 0xff, v2
	s_wait_alu 0xf1ff
	v_cndmask_b32_e64 v149, v1, v5, s4
	s_delay_alu instid0(VALU_DEP_2) | instskip(NEXT) | instid1(VALU_DEP_1)
	v_cvt_f32_fp8_e32 v0, v0
	v_dual_mul_f32 v0, s5, v0 :: v_dual_and_b32 v149, 0xffff0000, v149
	s_delay_alu instid0(VALU_DEP_1) | instskip(SKIP_2) | instid1(VALU_DEP_3)
	v_bfe_u32 v1, v0, 16, 1
	v_or_b32_e32 v5, 0x400000, v0
	v_cmp_u_f32_e64 s4, v0, v0
	v_add3_u32 v1, v1, v0, 0x7fff
	v_bfe_u32 v0, v2, 8, 8
	s_wait_alu 0xf1ff
	s_delay_alu instid0(VALU_DEP_2) | instskip(NEXT) | instid1(VALU_DEP_2)
	v_cndmask_b32_e64 v148, v1, v5, s4
	v_cvt_f32_fp8_e32 v0, v0
	s_delay_alu instid0(VALU_DEP_2) | instskip(NEXT) | instid1(VALU_DEP_2)
	v_and_b32_e32 v148, 0xffff0000, v148
	v_mul_f32_e32 v0, s5, v0
	s_delay_alu instid0(VALU_DEP_1) | instskip(SKIP_2) | instid1(VALU_DEP_3)
	v_bfe_u32 v1, v0, 16, 1
	v_or_b32_e32 v5, 0x400000, v0
	v_cmp_u_f32_e64 s4, v0, v0
	v_add3_u32 v1, v1, v0, 0x7fff
	v_bfe_u32 v0, v2, 16, 8
	s_wait_alu 0xf1ff
	s_delay_alu instid0(VALU_DEP_2) | instskip(NEXT) | instid1(VALU_DEP_2)
	v_cndmask_b32_e64 v147, v1, v5, s4
	v_cvt_f32_fp8_e32 v0, v0
	s_delay_alu instid0(VALU_DEP_1) | instskip(NEXT) | instid1(VALU_DEP_1)
	v_dual_mul_f32 v0, s5, v0 :: v_dual_and_b32 v147, 0xffff0000, v147
	v_bfe_u32 v1, v0, 16, 1
	v_or_b32_e32 v5, 0x400000, v0
	v_cmp_u_f32_e64 s4, v0, v0
	s_delay_alu instid0(VALU_DEP_3) | instskip(SKIP_2) | instid1(VALU_DEP_2)
	v_add3_u32 v1, v1, v0, 0x7fff
	v_lshrrev_b32_e32 v0, 24, v2
	s_wait_alu 0xf1ff
	v_cndmask_b32_e64 v146, v1, v5, s4
	s_delay_alu instid0(VALU_DEP_2) | instskip(NEXT) | instid1(VALU_DEP_2)
	v_cvt_f32_fp8_e32 v0, v0
	v_and_b32_e32 v146, 0xffff0000, v146
	s_delay_alu instid0(VALU_DEP_2) | instskip(NEXT) | instid1(VALU_DEP_1)
	v_mul_f32_e32 v0, s5, v0
	v_bfe_u32 v1, v0, 16, 1
	v_or_b32_e32 v2, 0x400000, v0
	v_cmp_u_f32_e64 s4, v0, v0
	s_delay_alu instid0(VALU_DEP_3) | instskip(SKIP_2) | instid1(VALU_DEP_2)
	v_add3_u32 v1, v1, v0, 0x7fff
	v_and_b32_e32 v0, 0xff, v3
	s_wait_alu 0xf1ff
	v_cndmask_b32_e64 v145, v1, v2, s4
	s_delay_alu instid0(VALU_DEP_2) | instskip(NEXT) | instid1(VALU_DEP_1)
	v_cvt_f32_fp8_e32 v0, v0
	v_dual_mul_f32 v0, s5, v0 :: v_dual_and_b32 v145, 0xffff0000, v145
	;; [unrolled: 49-line block ×3, first 2 shown]
	s_delay_alu instid0(VALU_DEP_1) | instskip(SKIP_2) | instid1(VALU_DEP_3)
	v_bfe_u32 v1, v0, 16, 1
	v_or_b32_e32 v2, 0x400000, v0
	v_cmp_u_f32_e64 s4, v0, v0
	v_add3_u32 v1, v1, v0, 0x7fff
	v_bfe_u32 v0, v4, 8, 8
	s_wait_alu 0xf1ff
	s_delay_alu instid0(VALU_DEP_2) | instskip(NEXT) | instid1(VALU_DEP_2)
	v_cndmask_b32_e64 v140, v1, v2, s4
	v_cvt_f32_fp8_e32 v0, v0
	s_delay_alu instid0(VALU_DEP_2) | instskip(NEXT) | instid1(VALU_DEP_2)
	v_and_b32_e32 v140, 0xffff0000, v140
	v_mul_f32_e32 v0, s5, v0
	s_delay_alu instid0(VALU_DEP_1) | instskip(SKIP_2) | instid1(VALU_DEP_3)
	v_bfe_u32 v1, v0, 16, 1
	v_or_b32_e32 v2, 0x400000, v0
	v_cmp_u_f32_e64 s4, v0, v0
	v_add3_u32 v1, v1, v0, 0x7fff
	v_bfe_u32 v0, v4, 16, 8
	s_wait_alu 0xf1ff
	s_delay_alu instid0(VALU_DEP_2) | instskip(NEXT) | instid1(VALU_DEP_2)
	v_cndmask_b32_e64 v139, v1, v2, s4
	v_cvt_f32_fp8_e32 v0, v0
	s_delay_alu instid0(VALU_DEP_1) | instskip(NEXT) | instid1(VALU_DEP_1)
	v_dual_mul_f32 v0, s5, v0 :: v_dual_and_b32 v139, 0xffff0000, v139
	v_bfe_u32 v1, v0, 16, 1
	v_or_b32_e32 v2, 0x400000, v0
	v_cmp_u_f32_e64 s4, v0, v0
	s_delay_alu instid0(VALU_DEP_3) | instskip(SKIP_2) | instid1(VALU_DEP_2)
	v_add3_u32 v1, v1, v0, 0x7fff
	v_lshrrev_b32_e32 v0, 24, v4
	s_wait_alu 0xf1ff
	v_cndmask_b32_e64 v138, v1, v2, s4
	s_delay_alu instid0(VALU_DEP_2) | instskip(NEXT) | instid1(VALU_DEP_2)
	v_cvt_f32_fp8_e32 v0, v0
	v_and_b32_e32 v138, 0xffff0000, v138
	s_delay_alu instid0(VALU_DEP_2) | instskip(NEXT) | instid1(VALU_DEP_1)
	v_mul_f32_e32 v0, s5, v0
	v_bfe_u32 v1, v0, 16, 1
	v_or_b32_e32 v2, 0x400000, v0
	v_cmp_u_f32_e64 s4, v0, v0
	s_delay_alu instid0(VALU_DEP_3) | instskip(SKIP_1) | instid1(VALU_DEP_1)
	v_add3_u32 v1, v1, v0, 0x7fff
	s_wait_alu 0xf1ff
	v_cndmask_b32_e64 v137, v1, v2, s4
	global_load_b128 v[0:3], v[10:11], off offset:4096
	v_and_b32_e32 v137, 0xffff0000, v137
	s_wait_loadcnt 0x0
	v_and_b32_e32 v4, 0xff, v0
	s_delay_alu instid0(VALU_DEP_1) | instskip(NEXT) | instid1(VALU_DEP_1)
	v_cvt_f32_fp8_e32 v4, v4
	v_mul_f32_e32 v4, s5, v4
	s_delay_alu instid0(VALU_DEP_1) | instskip(SKIP_2) | instid1(VALU_DEP_3)
	v_bfe_u32 v5, v4, 16, 1
	v_or_b32_e32 v6, 0x400000, v4
	v_cmp_u_f32_e64 s4, v4, v4
	v_add3_u32 v5, v5, v4, 0x7fff
	v_bfe_u32 v4, v0, 8, 8
	s_wait_alu 0xf1ff
	s_delay_alu instid0(VALU_DEP_2) | instskip(NEXT) | instid1(VALU_DEP_2)
	v_cndmask_b32_e64 v136, v5, v6, s4
	v_cvt_f32_fp8_e32 v4, v4
	s_delay_alu instid0(VALU_DEP_2) | instskip(NEXT) | instid1(VALU_DEP_2)
	v_and_b32_e32 v136, 0xffff0000, v136
	v_mul_f32_e32 v4, s5, v4
	s_delay_alu instid0(VALU_DEP_1) | instskip(SKIP_2) | instid1(VALU_DEP_3)
	v_bfe_u32 v5, v4, 16, 1
	v_or_b32_e32 v6, 0x400000, v4
	v_cmp_u_f32_e64 s4, v4, v4
	v_add3_u32 v5, v5, v4, 0x7fff
	v_bfe_u32 v4, v0, 16, 8
	v_lshrrev_b32_e32 v0, 24, v0
	s_wait_alu 0xf1ff
	s_delay_alu instid0(VALU_DEP_3) | instskip(NEXT) | instid1(VALU_DEP_3)
	v_cndmask_b32_e64 v134, v5, v6, s4
	v_cvt_f32_fp8_e32 v4, v4
	s_delay_alu instid0(VALU_DEP_3) | instskip(NEXT) | instid1(VALU_DEP_3)
	v_cvt_f32_fp8_e32 v0, v0
	v_and_b32_e32 v134, 0xffff0000, v134
	s_delay_alu instid0(VALU_DEP_3) | instskip(NEXT) | instid1(VALU_DEP_3)
	v_mul_f32_e32 v4, s5, v4
	v_mul_f32_e32 v0, s5, v0
	s_delay_alu instid0(VALU_DEP_2) | instskip(SKIP_2) | instid1(VALU_DEP_3)
	v_bfe_u32 v5, v4, 16, 1
	v_or_b32_e32 v6, 0x400000, v4
	v_cmp_u_f32_e64 s4, v4, v4
	v_add3_u32 v5, v5, v4, 0x7fff
	v_bfe_u32 v4, v0, 16, 1
	s_wait_alu 0xf1ff
	s_delay_alu instid0(VALU_DEP_2) | instskip(NEXT) | instid1(VALU_DEP_2)
	v_cndmask_b32_e64 v135, v5, v6, s4
	v_add3_u32 v4, v4, v0, 0x7fff
	v_or_b32_e32 v5, 0x400000, v0
	v_cmp_u_f32_e64 s4, v0, v0
	v_and_b32_e32 v0, 0xff, v1
	s_wait_alu 0xf1ff
	s_delay_alu instid0(VALU_DEP_2) | instskip(NEXT) | instid1(VALU_DEP_2)
	v_cndmask_b32_e64 v132, v4, v5, s4
	v_cvt_f32_fp8_e32 v0, v0
	s_delay_alu instid0(VALU_DEP_2) | instskip(NEXT) | instid1(VALU_DEP_2)
	v_and_b32_e32 v132, 0xffff0000, v132
	v_mul_f32_e32 v0, s5, v0
	s_delay_alu instid0(VALU_DEP_1) | instskip(SKIP_2) | instid1(VALU_DEP_3)
	v_bfe_u32 v4, v0, 16, 1
	v_or_b32_e32 v5, 0x400000, v0
	v_cmp_u_f32_e64 s4, v0, v0
	v_add3_u32 v4, v4, v0, 0x7fff
	v_bfe_u32 v0, v1, 8, 8
	s_wait_alu 0xf1ff
	s_delay_alu instid0(VALU_DEP_2) | instskip(NEXT) | instid1(VALU_DEP_2)
	v_cndmask_b32_e64 v133, v4, v5, s4
	v_cvt_f32_fp8_e32 v0, v0
	s_delay_alu instid0(VALU_DEP_1) | instskip(NEXT) | instid1(VALU_DEP_1)
	v_mul_f32_e32 v0, s5, v0
	v_bfe_u32 v4, v0, 16, 1
	v_or_b32_e32 v5, 0x400000, v0
	v_cmp_u_f32_e64 s4, v0, v0
	s_delay_alu instid0(VALU_DEP_3) | instskip(SKIP_2) | instid1(VALU_DEP_2)
	v_add3_u32 v4, v4, v0, 0x7fff
	v_bfe_u32 v0, v1, 16, 8
	s_wait_alu 0xf1ff
	v_cndmask_b32_e64 v130, v4, v5, s4
	s_delay_alu instid0(VALU_DEP_2) | instskip(NEXT) | instid1(VALU_DEP_2)
	v_cvt_f32_fp8_e32 v0, v0
	v_and_b32_e32 v130, 0xffff0000, v130
	s_delay_alu instid0(VALU_DEP_2) | instskip(NEXT) | instid1(VALU_DEP_1)
	v_mul_f32_e32 v0, s5, v0
	v_bfe_u32 v4, v0, 16, 1
	v_or_b32_e32 v5, 0x400000, v0
	v_cmp_u_f32_e64 s4, v0, v0
	s_delay_alu instid0(VALU_DEP_3) | instskip(SKIP_2) | instid1(VALU_DEP_2)
	v_add3_u32 v4, v4, v0, 0x7fff
	v_lshrrev_b32_e32 v0, 24, v1
	s_wait_alu 0xf1ff
	v_cndmask_b32_e64 v131, v4, v5, s4
	s_delay_alu instid0(VALU_DEP_2) | instskip(NEXT) | instid1(VALU_DEP_1)
	v_cvt_f32_fp8_e32 v0, v0
	v_mul_f32_e32 v0, s5, v0
	s_delay_alu instid0(VALU_DEP_1) | instskip(SKIP_2) | instid1(VALU_DEP_3)
	v_bfe_u32 v1, v0, 16, 1
	v_or_b32_e32 v4, 0x400000, v0
	v_cmp_u_f32_e64 s4, v0, v0
	v_add3_u32 v1, v1, v0, 0x7fff
	v_and_b32_e32 v0, 0xff, v2
	s_wait_alu 0xf1ff
	s_delay_alu instid0(VALU_DEP_2) | instskip(NEXT) | instid1(VALU_DEP_2)
	v_cndmask_b32_e64 v128, v1, v4, s4
	v_cvt_f32_fp8_e32 v0, v0
	s_delay_alu instid0(VALU_DEP_2) | instskip(NEXT) | instid1(VALU_DEP_2)
	v_and_b32_e32 v128, 0xffff0000, v128
	v_mul_f32_e32 v0, s5, v0
	s_delay_alu instid0(VALU_DEP_1) | instskip(SKIP_2) | instid1(VALU_DEP_3)
	v_bfe_u32 v1, v0, 16, 1
	v_or_b32_e32 v4, 0x400000, v0
	v_cmp_u_f32_e64 s4, v0, v0
	v_add3_u32 v1, v1, v0, 0x7fff
	v_bfe_u32 v0, v2, 8, 8
	s_wait_alu 0xf1ff
	s_delay_alu instid0(VALU_DEP_2) | instskip(NEXT) | instid1(VALU_DEP_2)
	v_cndmask_b32_e64 v129, v1, v4, s4
	v_cvt_f32_fp8_e32 v0, v0
	s_delay_alu instid0(VALU_DEP_1) | instskip(NEXT) | instid1(VALU_DEP_1)
	v_mul_f32_e32 v0, s5, v0
	v_bfe_u32 v1, v0, 16, 1
	v_or_b32_e32 v4, 0x400000, v0
	v_cmp_u_f32_e64 s4, v0, v0
	s_delay_alu instid0(VALU_DEP_3) | instskip(SKIP_2) | instid1(VALU_DEP_2)
	v_add3_u32 v1, v1, v0, 0x7fff
	v_bfe_u32 v0, v2, 16, 8
	s_wait_alu 0xf1ff
	v_cndmask_b32_e64 v126, v1, v4, s4
	s_delay_alu instid0(VALU_DEP_2) | instskip(NEXT) | instid1(VALU_DEP_2)
	v_cvt_f32_fp8_e32 v0, v0
	v_and_b32_e32 v126, 0xffff0000, v126
	s_delay_alu instid0(VALU_DEP_2) | instskip(NEXT) | instid1(VALU_DEP_1)
	v_mul_f32_e32 v0, s5, v0
	v_bfe_u32 v1, v0, 16, 1
	v_or_b32_e32 v4, 0x400000, v0
	v_cmp_u_f32_e64 s4, v0, v0
	s_delay_alu instid0(VALU_DEP_3) | instskip(SKIP_2) | instid1(VALU_DEP_2)
	v_add3_u32 v1, v1, v0, 0x7fff
	v_lshrrev_b32_e32 v0, 24, v2
	s_wait_alu 0xf1ff
	v_cndmask_b32_e64 v127, v1, v4, s4
	s_delay_alu instid0(VALU_DEP_2) | instskip(NEXT) | instid1(VALU_DEP_1)
	v_cvt_f32_fp8_e32 v0, v0
	v_mul_f32_e32 v0, s5, v0
	s_delay_alu instid0(VALU_DEP_1) | instskip(SKIP_2) | instid1(VALU_DEP_3)
	v_bfe_u32 v1, v0, 16, 1
	v_or_b32_e32 v2, 0x400000, v0
	v_cmp_u_f32_e64 s4, v0, v0
	v_add3_u32 v1, v1, v0, 0x7fff
	;; [unrolled: 49-line block ×3, first 2 shown]
	s_wait_alu 0xf1ff
	s_delay_alu instid0(VALU_DEP_1) | instskip(SKIP_4) | instid1(VALU_DEP_1)
	v_cndmask_b32_e64 v121, v1, v2, s4
	global_load_b128 v[1:4], v[10:11], off offset:4608
	v_and_b32_e32 v121, 0xffff0000, v121
	s_wait_loadcnt 0x0
	v_and_b32_e32 v0, 0xff, v1
	v_cvt_f32_fp8_e32 v0, v0
	s_delay_alu instid0(VALU_DEP_1) | instskip(NEXT) | instid1(VALU_DEP_1)
	v_mul_f32_e32 v0, s5, v0
	v_bfe_u32 v5, v0, 16, 1
	v_or_b32_e32 v6, 0x400000, v0
	v_cmp_u_f32_e64 s4, v0, v0
	s_delay_alu instid0(VALU_DEP_3) | instskip(SKIP_2) | instid1(VALU_DEP_2)
	v_add3_u32 v5, v5, v0, 0x7fff
	v_bfe_u32 v0, v1, 8, 8
	s_wait_alu 0xf1ff
	v_cndmask_b32_e64 v120, v5, v6, s4
	s_delay_alu instid0(VALU_DEP_2) | instskip(NEXT) | instid1(VALU_DEP_2)
	v_cvt_f32_fp8_e32 v0, v0
	v_and_b32_e32 v120, 0xffff0000, v120
	s_delay_alu instid0(VALU_DEP_2) | instskip(NEXT) | instid1(VALU_DEP_1)
	v_mul_f32_e32 v0, s5, v0
	v_bfe_u32 v5, v0, 16, 1
	v_or_b32_e32 v6, 0x400000, v0
	v_cmp_u_f32_e64 s4, v0, v0
	s_delay_alu instid0(VALU_DEP_3) | instskip(SKIP_2) | instid1(VALU_DEP_2)
	v_add3_u32 v5, v5, v0, 0x7fff
	v_bfe_u32 v0, v1, 16, 8
	s_wait_alu 0xf1ff
	v_cndmask_b32_e64 v119, v5, v6, s4
	s_delay_alu instid0(VALU_DEP_2) | instskip(NEXT) | instid1(VALU_DEP_1)
	v_cvt_f32_fp8_e32 v0, v0
	v_dual_mul_f32 v0, s5, v0 :: v_dual_and_b32 v119, 0xffff0000, v119
	s_delay_alu instid0(VALU_DEP_1) | instskip(SKIP_2) | instid1(VALU_DEP_3)
	v_bfe_u32 v5, v0, 16, 1
	v_or_b32_e32 v6, 0x400000, v0
	v_cmp_u_f32_e64 s4, v0, v0
	v_add3_u32 v5, v5, v0, 0x7fff
	v_lshrrev_b32_e32 v0, 24, v1
	s_wait_alu 0xf1ff
	s_delay_alu instid0(VALU_DEP_2) | instskip(NEXT) | instid1(VALU_DEP_2)
	v_cndmask_b32_e64 v118, v5, v6, s4
	v_cvt_f32_fp8_e32 v0, v0
	s_delay_alu instid0(VALU_DEP_2) | instskip(NEXT) | instid1(VALU_DEP_2)
	v_and_b32_e32 v118, 0xffff0000, v118
	v_mul_f32_e32 v0, s5, v0
	s_delay_alu instid0(VALU_DEP_1) | instskip(SKIP_2) | instid1(VALU_DEP_3)
	v_bfe_u32 v1, v0, 16, 1
	v_or_b32_e32 v5, 0x400000, v0
	v_cmp_u_f32_e64 s4, v0, v0
	v_add3_u32 v1, v1, v0, 0x7fff
	v_and_b32_e32 v0, 0xff, v2
	s_wait_alu 0xf1ff
	s_delay_alu instid0(VALU_DEP_2) | instskip(NEXT) | instid1(VALU_DEP_2)
	v_cndmask_b32_e64 v117, v1, v5, s4
	v_cvt_f32_fp8_e32 v0, v0
	s_delay_alu instid0(VALU_DEP_1) | instskip(NEXT) | instid1(VALU_DEP_1)
	v_dual_mul_f32 v0, s5, v0 :: v_dual_and_b32 v117, 0xffff0000, v117
	v_bfe_u32 v1, v0, 16, 1
	v_or_b32_e32 v5, 0x400000, v0
	v_cmp_u_f32_e64 s4, v0, v0
	s_delay_alu instid0(VALU_DEP_3) | instskip(SKIP_2) | instid1(VALU_DEP_2)
	v_add3_u32 v1, v1, v0, 0x7fff
	v_bfe_u32 v0, v2, 8, 8
	s_wait_alu 0xf1ff
	v_cndmask_b32_e64 v116, v1, v5, s4
	s_delay_alu instid0(VALU_DEP_2) | instskip(NEXT) | instid1(VALU_DEP_2)
	v_cvt_f32_fp8_e32 v0, v0
	v_and_b32_e32 v116, 0xffff0000, v116
	s_delay_alu instid0(VALU_DEP_2) | instskip(NEXT) | instid1(VALU_DEP_1)
	v_mul_f32_e32 v0, s5, v0
	v_bfe_u32 v1, v0, 16, 1
	v_or_b32_e32 v5, 0x400000, v0
	v_cmp_u_f32_e64 s4, v0, v0
	s_delay_alu instid0(VALU_DEP_3) | instskip(SKIP_2) | instid1(VALU_DEP_2)
	v_add3_u32 v1, v1, v0, 0x7fff
	v_bfe_u32 v0, v2, 16, 8
	s_wait_alu 0xf1ff
	v_cndmask_b32_e64 v115, v1, v5, s4
	s_delay_alu instid0(VALU_DEP_2) | instskip(NEXT) | instid1(VALU_DEP_1)
	v_cvt_f32_fp8_e32 v0, v0
	v_dual_mul_f32 v0, s5, v0 :: v_dual_and_b32 v115, 0xffff0000, v115
	s_delay_alu instid0(VALU_DEP_1) | instskip(SKIP_2) | instid1(VALU_DEP_3)
	v_bfe_u32 v1, v0, 16, 1
	v_or_b32_e32 v5, 0x400000, v0
	v_cmp_u_f32_e64 s4, v0, v0
	v_add3_u32 v1, v1, v0, 0x7fff
	v_lshrrev_b32_e32 v0, 24, v2
	s_wait_alu 0xf1ff
	s_delay_alu instid0(VALU_DEP_2) | instskip(NEXT) | instid1(VALU_DEP_2)
	v_cndmask_b32_e64 v114, v1, v5, s4
	v_cvt_f32_fp8_e32 v0, v0
	s_delay_alu instid0(VALU_DEP_2) | instskip(NEXT) | instid1(VALU_DEP_2)
	v_and_b32_e32 v114, 0xffff0000, v114
	v_mul_f32_e32 v0, s5, v0
	s_delay_alu instid0(VALU_DEP_1) | instskip(SKIP_2) | instid1(VALU_DEP_3)
	v_bfe_u32 v1, v0, 16, 1
	v_or_b32_e32 v2, 0x400000, v0
	v_cmp_u_f32_e64 s4, v0, v0
	v_add3_u32 v1, v1, v0, 0x7fff
	v_and_b32_e32 v0, 0xff, v3
	s_wait_alu 0xf1ff
	s_delay_alu instid0(VALU_DEP_2) | instskip(NEXT) | instid1(VALU_DEP_2)
	v_cndmask_b32_e64 v113, v1, v2, s4
	v_cvt_f32_fp8_e32 v0, v0
	s_delay_alu instid0(VALU_DEP_1) | instskip(NEXT) | instid1(VALU_DEP_1)
	v_dual_mul_f32 v0, s5, v0 :: v_dual_and_b32 v113, 0xffff0000, v113
	;; [unrolled: 49-line block ×3, first 2 shown]
	v_bfe_u32 v1, v0, 16, 1
	v_or_b32_e32 v2, 0x400000, v0
	v_cmp_u_f32_e64 s4, v0, v0
	s_delay_alu instid0(VALU_DEP_3) | instskip(SKIP_2) | instid1(VALU_DEP_2)
	v_add3_u32 v1, v1, v0, 0x7fff
	v_bfe_u32 v0, v4, 8, 8
	s_wait_alu 0xf1ff
	v_cndmask_b32_e64 v108, v1, v2, s4
	s_delay_alu instid0(VALU_DEP_2) | instskip(NEXT) | instid1(VALU_DEP_2)
	v_cvt_f32_fp8_e32 v0, v0
	v_and_b32_e32 v108, 0xffff0000, v108
	s_delay_alu instid0(VALU_DEP_2) | instskip(NEXT) | instid1(VALU_DEP_1)
	v_mul_f32_e32 v0, s5, v0
	v_bfe_u32 v1, v0, 16, 1
	v_or_b32_e32 v2, 0x400000, v0
	v_cmp_u_f32_e64 s4, v0, v0
	s_delay_alu instid0(VALU_DEP_3) | instskip(SKIP_2) | instid1(VALU_DEP_2)
	v_add3_u32 v1, v1, v0, 0x7fff
	v_bfe_u32 v0, v4, 16, 8
	s_wait_alu 0xf1ff
	v_cndmask_b32_e64 v107, v1, v2, s4
	s_delay_alu instid0(VALU_DEP_2) | instskip(NEXT) | instid1(VALU_DEP_1)
	v_cvt_f32_fp8_e32 v0, v0
	v_dual_mul_f32 v0, s5, v0 :: v_dual_and_b32 v107, 0xffff0000, v107
	s_delay_alu instid0(VALU_DEP_1) | instskip(SKIP_2) | instid1(VALU_DEP_3)
	v_bfe_u32 v1, v0, 16, 1
	v_or_b32_e32 v2, 0x400000, v0
	v_cmp_u_f32_e64 s4, v0, v0
	v_add3_u32 v1, v1, v0, 0x7fff
	v_lshrrev_b32_e32 v0, 24, v4
	s_wait_alu 0xf1ff
	s_delay_alu instid0(VALU_DEP_2) | instskip(NEXT) | instid1(VALU_DEP_2)
	v_cndmask_b32_e64 v106, v1, v2, s4
	v_cvt_f32_fp8_e32 v0, v0
	s_delay_alu instid0(VALU_DEP_2) | instskip(NEXT) | instid1(VALU_DEP_2)
	v_and_b32_e32 v106, 0xffff0000, v106
	v_mul_f32_e32 v0, s5, v0
	s_delay_alu instid0(VALU_DEP_1) | instskip(SKIP_2) | instid1(VALU_DEP_3)
	v_bfe_u32 v1, v0, 16, 1
	v_or_b32_e32 v2, 0x400000, v0
	v_cmp_u_f32_e64 s4, v0, v0
	v_add3_u32 v1, v1, v0, 0x7fff
	s_wait_alu 0xf1ff
	s_delay_alu instid0(VALU_DEP_1) | instskip(SKIP_4) | instid1(VALU_DEP_1)
	v_cndmask_b32_e64 v105, v1, v2, s4
	global_load_b128 v[0:3], v[10:11], off offset:5120
	v_and_b32_e32 v105, 0xffff0000, v105
	s_wait_loadcnt 0x0
	v_and_b32_e32 v4, 0xff, v0
	v_cvt_f32_fp8_e32 v4, v4
	s_delay_alu instid0(VALU_DEP_1) | instskip(NEXT) | instid1(VALU_DEP_1)
	v_mul_f32_e32 v4, s5, v4
	v_bfe_u32 v5, v4, 16, 1
	v_or_b32_e32 v6, 0x400000, v4
	v_cmp_u_f32_e64 s4, v4, v4
	s_delay_alu instid0(VALU_DEP_3) | instskip(SKIP_2) | instid1(VALU_DEP_2)
	v_add3_u32 v5, v5, v4, 0x7fff
	v_bfe_u32 v4, v0, 8, 8
	s_wait_alu 0xf1ff
	v_cndmask_b32_e64 v104, v5, v6, s4
	s_delay_alu instid0(VALU_DEP_2) | instskip(NEXT) | instid1(VALU_DEP_2)
	v_cvt_f32_fp8_e32 v4, v4
	v_and_b32_e32 v104, 0xffff0000, v104
	s_delay_alu instid0(VALU_DEP_2) | instskip(NEXT) | instid1(VALU_DEP_1)
	v_mul_f32_e32 v4, s5, v4
	v_bfe_u32 v5, v4, 16, 1
	v_or_b32_e32 v6, 0x400000, v4
	v_cmp_u_f32_e64 s4, v4, v4
	s_delay_alu instid0(VALU_DEP_3) | instskip(SKIP_3) | instid1(VALU_DEP_3)
	v_add3_u32 v5, v5, v4, 0x7fff
	v_bfe_u32 v4, v0, 16, 8
	v_lshrrev_b32_e32 v0, 24, v0
	s_wait_alu 0xf1ff
	v_cndmask_b32_e64 v102, v5, v6, s4
	s_delay_alu instid0(VALU_DEP_3) | instskip(NEXT) | instid1(VALU_DEP_3)
	v_cvt_f32_fp8_e32 v4, v4
	v_cvt_f32_fp8_e32 v0, v0
	s_delay_alu instid0(VALU_DEP_3) | instskip(NEXT) | instid1(VALU_DEP_3)
	v_and_b32_e32 v102, 0xffff0000, v102
	v_mul_f32_e32 v4, s5, v4
	s_delay_alu instid0(VALU_DEP_3) | instskip(NEXT) | instid1(VALU_DEP_2)
	v_mul_f32_e32 v0, s5, v0
	v_bfe_u32 v5, v4, 16, 1
	v_or_b32_e32 v6, 0x400000, v4
	v_cmp_u_f32_e64 s4, v4, v4
	s_delay_alu instid0(VALU_DEP_3) | instskip(SKIP_2) | instid1(VALU_DEP_2)
	v_add3_u32 v5, v5, v4, 0x7fff
	v_bfe_u32 v4, v0, 16, 1
	s_wait_alu 0xf1ff
	v_cndmask_b32_e64 v103, v5, v6, s4
	s_delay_alu instid0(VALU_DEP_2) | instskip(SKIP_4) | instid1(VALU_DEP_2)
	v_add3_u32 v4, v4, v0, 0x7fff
	v_or_b32_e32 v5, 0x400000, v0
	v_cmp_u_f32_e64 s4, v0, v0
	v_and_b32_e32 v0, 0xff, v1
	s_wait_alu 0xf1ff
	v_cndmask_b32_e64 v100, v4, v5, s4
	s_delay_alu instid0(VALU_DEP_2) | instskip(NEXT) | instid1(VALU_DEP_2)
	v_cvt_f32_fp8_e32 v0, v0
	v_and_b32_e32 v100, 0xffff0000, v100
	s_delay_alu instid0(VALU_DEP_2) | instskip(NEXT) | instid1(VALU_DEP_1)
	v_mul_f32_e32 v0, s5, v0
	v_bfe_u32 v4, v0, 16, 1
	v_or_b32_e32 v5, 0x400000, v0
	v_cmp_u_f32_e64 s4, v0, v0
	s_delay_alu instid0(VALU_DEP_3) | instskip(SKIP_2) | instid1(VALU_DEP_2)
	v_add3_u32 v4, v4, v0, 0x7fff
	v_bfe_u32 v0, v1, 8, 8
	s_wait_alu 0xf1ff
	v_cndmask_b32_e64 v101, v4, v5, s4
	s_delay_alu instid0(VALU_DEP_2) | instskip(NEXT) | instid1(VALU_DEP_1)
	v_cvt_f32_fp8_e32 v0, v0
	v_mul_f32_e32 v0, s5, v0
	s_delay_alu instid0(VALU_DEP_1) | instskip(SKIP_2) | instid1(VALU_DEP_3)
	v_bfe_u32 v4, v0, 16, 1
	v_or_b32_e32 v5, 0x400000, v0
	v_cmp_u_f32_e64 s4, v0, v0
	v_add3_u32 v4, v4, v0, 0x7fff
	v_bfe_u32 v0, v1, 16, 8
	s_wait_alu 0xf1ff
	s_delay_alu instid0(VALU_DEP_2) | instskip(NEXT) | instid1(VALU_DEP_2)
	v_cndmask_b32_e64 v98, v4, v5, s4
	v_cvt_f32_fp8_e32 v0, v0
	s_delay_alu instid0(VALU_DEP_2) | instskip(NEXT) | instid1(VALU_DEP_2)
	v_and_b32_e32 v98, 0xffff0000, v98
	v_mul_f32_e32 v0, s5, v0
	s_delay_alu instid0(VALU_DEP_1) | instskip(SKIP_2) | instid1(VALU_DEP_3)
	v_bfe_u32 v4, v0, 16, 1
	v_or_b32_e32 v5, 0x400000, v0
	v_cmp_u_f32_e64 s4, v0, v0
	v_add3_u32 v4, v4, v0, 0x7fff
	v_lshrrev_b32_e32 v0, 24, v1
	s_wait_alu 0xf1ff
	s_delay_alu instid0(VALU_DEP_2) | instskip(NEXT) | instid1(VALU_DEP_2)
	v_cndmask_b32_e64 v99, v4, v5, s4
	v_cvt_f32_fp8_e32 v0, v0
	s_delay_alu instid0(VALU_DEP_1) | instskip(NEXT) | instid1(VALU_DEP_1)
	v_mul_f32_e32 v0, s5, v0
	v_bfe_u32 v1, v0, 16, 1
	v_or_b32_e32 v4, 0x400000, v0
	v_cmp_u_f32_e64 s4, v0, v0
	s_delay_alu instid0(VALU_DEP_3) | instskip(SKIP_2) | instid1(VALU_DEP_2)
	v_add3_u32 v1, v1, v0, 0x7fff
	v_and_b32_e32 v0, 0xff, v2
	s_wait_alu 0xf1ff
	v_cndmask_b32_e64 v96, v1, v4, s4
	s_delay_alu instid0(VALU_DEP_2) | instskip(NEXT) | instid1(VALU_DEP_2)
	v_cvt_f32_fp8_e32 v0, v0
	v_and_b32_e32 v96, 0xffff0000, v96
	s_delay_alu instid0(VALU_DEP_2) | instskip(NEXT) | instid1(VALU_DEP_1)
	v_mul_f32_e32 v0, s5, v0
	v_bfe_u32 v1, v0, 16, 1
	v_or_b32_e32 v4, 0x400000, v0
	v_cmp_u_f32_e64 s4, v0, v0
	s_delay_alu instid0(VALU_DEP_3) | instskip(SKIP_2) | instid1(VALU_DEP_2)
	v_add3_u32 v1, v1, v0, 0x7fff
	v_bfe_u32 v0, v2, 8, 8
	s_wait_alu 0xf1ff
	v_cndmask_b32_e64 v97, v1, v4, s4
	s_delay_alu instid0(VALU_DEP_2) | instskip(NEXT) | instid1(VALU_DEP_1)
	v_cvt_f32_fp8_e32 v0, v0
	v_mul_f32_e32 v0, s5, v0
	s_delay_alu instid0(VALU_DEP_1) | instskip(SKIP_2) | instid1(VALU_DEP_3)
	v_bfe_u32 v1, v0, 16, 1
	v_or_b32_e32 v4, 0x400000, v0
	v_cmp_u_f32_e64 s4, v0, v0
	v_add3_u32 v1, v1, v0, 0x7fff
	v_bfe_u32 v0, v2, 16, 8
	s_wait_alu 0xf1ff
	s_delay_alu instid0(VALU_DEP_2) | instskip(NEXT) | instid1(VALU_DEP_2)
	v_cndmask_b32_e64 v82, v1, v4, s4
	v_cvt_f32_fp8_e32 v0, v0
	s_delay_alu instid0(VALU_DEP_2) | instskip(NEXT) | instid1(VALU_DEP_2)
	v_and_b32_e32 v82, 0xffff0000, v82
	v_mul_f32_e32 v0, s5, v0
	s_delay_alu instid0(VALU_DEP_1) | instskip(SKIP_2) | instid1(VALU_DEP_3)
	v_bfe_u32 v1, v0, 16, 1
	v_or_b32_e32 v4, 0x400000, v0
	v_cmp_u_f32_e64 s4, v0, v0
	v_add3_u32 v1, v1, v0, 0x7fff
	v_lshrrev_b32_e32 v0, 24, v2
	s_wait_alu 0xf1ff
	s_delay_alu instid0(VALU_DEP_2) | instskip(NEXT) | instid1(VALU_DEP_2)
	v_cndmask_b32_e64 v95, v1, v4, s4
	v_cvt_f32_fp8_e32 v0, v0
	s_delay_alu instid0(VALU_DEP_1) | instskip(NEXT) | instid1(VALU_DEP_1)
	v_mul_f32_e32 v0, s5, v0
	v_bfe_u32 v1, v0, 16, 1
	v_or_b32_e32 v2, 0x400000, v0
	v_cmp_u_f32_e64 s4, v0, v0
	s_delay_alu instid0(VALU_DEP_3) | instskip(SKIP_2) | instid1(VALU_DEP_2)
	v_add3_u32 v1, v1, v0, 0x7fff
	v_and_b32_e32 v0, 0xff, v3
	s_wait_alu 0xf1ff
	v_cndmask_b32_e64 v84, v1, v2, s4
	s_delay_alu instid0(VALU_DEP_2) | instskip(NEXT) | instid1(VALU_DEP_2)
	v_cvt_f32_fp8_e32 v0, v0
	v_and_b32_e32 v84, 0xffff0000, v84
	s_delay_alu instid0(VALU_DEP_2) | instskip(NEXT) | instid1(VALU_DEP_1)
	v_mul_f32_e32 v0, s5, v0
	v_bfe_u32 v1, v0, 16, 1
	v_or_b32_e32 v2, 0x400000, v0
	v_cmp_u_f32_e64 s4, v0, v0
	s_delay_alu instid0(VALU_DEP_3) | instskip(SKIP_2) | instid1(VALU_DEP_2)
	v_add3_u32 v1, v1, v0, 0x7fff
	v_bfe_u32 v0, v3, 8, 8
	s_wait_alu 0xf1ff
	v_cndmask_b32_e64 v83, v1, v2, s4
	s_delay_alu instid0(VALU_DEP_2) | instskip(NEXT) | instid1(VALU_DEP_1)
	v_cvt_f32_fp8_e32 v0, v0
	v_mul_f32_e32 v0, s5, v0
	s_delay_alu instid0(VALU_DEP_1) | instskip(SKIP_2) | instid1(VALU_DEP_3)
	v_bfe_u32 v1, v0, 16, 1
	v_or_b32_e32 v2, 0x400000, v0
	v_cmp_u_f32_e64 s4, v0, v0
	v_add3_u32 v1, v1, v0, 0x7fff
	v_bfe_u32 v0, v3, 16, 8
	s_wait_alu 0xf1ff
	s_delay_alu instid0(VALU_DEP_2) | instskip(NEXT) | instid1(VALU_DEP_2)
	v_cndmask_b32_e64 v86, v1, v2, s4
	v_cvt_f32_fp8_e32 v0, v0
	s_delay_alu instid0(VALU_DEP_1) | instskip(NEXT) | instid1(VALU_DEP_1)
	v_mul_f32_e32 v0, s5, v0
	v_bfe_u32 v1, v0, 16, 1
	v_or_b32_e32 v2, 0x400000, v0
	v_cmp_u_f32_e64 s4, v0, v0
	s_delay_alu instid0(VALU_DEP_3) | instskip(SKIP_2) | instid1(VALU_DEP_2)
	v_add3_u32 v1, v1, v0, 0x7fff
	v_lshrrev_b32_e32 v0, 24, v3
	s_wait_alu 0xf1ff
	v_cndmask_b32_e64 v85, v1, v2, s4
	s_delay_alu instid0(VALU_DEP_2) | instskip(NEXT) | instid1(VALU_DEP_1)
	v_cvt_f32_fp8_e32 v0, v0
	v_mul_f32_e32 v0, s5, v0
	s_delay_alu instid0(VALU_DEP_1) | instskip(SKIP_2) | instid1(VALU_DEP_3)
	v_bfe_u32 v1, v0, 16, 1
	v_or_b32_e32 v2, 0x400000, v0
	v_cmp_u_f32_e64 s4, v0, v0
	v_add3_u32 v1, v1, v0, 0x7fff
	s_wait_alu 0xf1ff
	s_delay_alu instid0(VALU_DEP_1) | instskip(SKIP_3) | instid1(VALU_DEP_1)
	v_cndmask_b32_e64 v87, v1, v2, s4
	global_load_b128 v[1:4], v[10:11], off offset:5632
	s_wait_loadcnt 0x0
	v_and_b32_e32 v0, 0xff, v1
	v_cvt_f32_fp8_e32 v0, v0
	s_delay_alu instid0(VALU_DEP_1) | instskip(NEXT) | instid1(VALU_DEP_1)
	v_mul_f32_e32 v0, s5, v0
	v_bfe_u32 v5, v0, 16, 1
	v_or_b32_e32 v6, 0x400000, v0
	v_cmp_u_f32_e64 s4, v0, v0
	s_delay_alu instid0(VALU_DEP_3) | instskip(SKIP_2) | instid1(VALU_DEP_2)
	v_add3_u32 v5, v5, v0, 0x7fff
	v_bfe_u32 v0, v1, 8, 8
	s_wait_alu 0xf1ff
	v_cndmask_b32_e64 v88, v5, v6, s4
	s_delay_alu instid0(VALU_DEP_2) | instskip(NEXT) | instid1(VALU_DEP_1)
	v_cvt_f32_fp8_e32 v0, v0
	v_mul_f32_e32 v0, s5, v0
	s_delay_alu instid0(VALU_DEP_1) | instskip(SKIP_2) | instid1(VALU_DEP_3)
	v_bfe_u32 v5, v0, 16, 1
	v_or_b32_e32 v6, 0x400000, v0
	v_cmp_u_f32_e64 s4, v0, v0
	v_add3_u32 v5, v5, v0, 0x7fff
	v_bfe_u32 v0, v1, 16, 8
	s_wait_alu 0xf1ff
	s_delay_alu instid0(VALU_DEP_2) | instskip(NEXT) | instid1(VALU_DEP_2)
	v_cndmask_b32_e64 v89, v5, v6, s4
	v_cvt_f32_fp8_e32 v0, v0
	s_delay_alu instid0(VALU_DEP_1) | instskip(NEXT) | instid1(VALU_DEP_1)
	v_mul_f32_e32 v0, s5, v0
	v_bfe_u32 v5, v0, 16, 1
	v_or_b32_e32 v6, 0x400000, v0
	v_cmp_u_f32_e64 s4, v0, v0
	s_delay_alu instid0(VALU_DEP_3) | instskip(SKIP_2) | instid1(VALU_DEP_2)
	v_add3_u32 v5, v5, v0, 0x7fff
	v_lshrrev_b32_e32 v0, 24, v1
	s_wait_alu 0xf1ff
	v_cndmask_b32_e64 v81, v5, v6, s4
	s_delay_alu instid0(VALU_DEP_2) | instskip(NEXT) | instid1(VALU_DEP_1)
	v_cvt_f32_fp8_e32 v0, v0
	v_dual_mul_f32 v0, s5, v0 :: v_dual_and_b32 v81, 0xffff0000, v81
	s_delay_alu instid0(VALU_DEP_1) | instskip(SKIP_2) | instid1(VALU_DEP_3)
	v_bfe_u32 v1, v0, 16, 1
	v_or_b32_e32 v5, 0x400000, v0
	v_cmp_u_f32_e64 s4, v0, v0
	v_add3_u32 v1, v1, v0, 0x7fff
	v_and_b32_e32 v0, 0xff, v2
	s_wait_alu 0xf1ff
	s_delay_alu instid0(VALU_DEP_2) | instskip(NEXT) | instid1(VALU_DEP_2)
	v_cndmask_b32_e64 v80, v1, v5, s4
	v_cvt_f32_fp8_e32 v0, v0
	s_delay_alu instid0(VALU_DEP_2) | instskip(NEXT) | instid1(VALU_DEP_2)
	v_and_b32_e32 v80, 0xffff0000, v80
	v_mul_f32_e32 v0, s5, v0
	s_delay_alu instid0(VALU_DEP_1) | instskip(SKIP_2) | instid1(VALU_DEP_3)
	v_bfe_u32 v1, v0, 16, 1
	v_or_b32_e32 v5, 0x400000, v0
	v_cmp_u_f32_e64 s4, v0, v0
	v_add3_u32 v1, v1, v0, 0x7fff
	v_bfe_u32 v0, v2, 8, 8
	s_wait_alu 0xf1ff
	s_delay_alu instid0(VALU_DEP_2) | instskip(NEXT) | instid1(VALU_DEP_2)
	v_cndmask_b32_e64 v79, v1, v5, s4
	v_cvt_f32_fp8_e32 v0, v0
	s_delay_alu instid0(VALU_DEP_1) | instskip(NEXT) | instid1(VALU_DEP_1)
	v_dual_mul_f32 v0, s5, v0 :: v_dual_and_b32 v79, 0xffff0000, v79
	v_bfe_u32 v1, v0, 16, 1
	v_or_b32_e32 v5, 0x400000, v0
	v_cmp_u_f32_e64 s4, v0, v0
	s_delay_alu instid0(VALU_DEP_3) | instskip(SKIP_2) | instid1(VALU_DEP_2)
	v_add3_u32 v1, v1, v0, 0x7fff
	v_bfe_u32 v0, v2, 16, 8
	s_wait_alu 0xf1ff
	v_cndmask_b32_e64 v78, v1, v5, s4
	s_delay_alu instid0(VALU_DEP_2) | instskip(NEXT) | instid1(VALU_DEP_2)
	v_cvt_f32_fp8_e32 v0, v0
	v_and_b32_e32 v78, 0xffff0000, v78
	s_delay_alu instid0(VALU_DEP_2) | instskip(NEXT) | instid1(VALU_DEP_1)
	v_mul_f32_e32 v0, s5, v0
	v_bfe_u32 v1, v0, 16, 1
	v_or_b32_e32 v5, 0x400000, v0
	v_cmp_u_f32_e64 s4, v0, v0
	s_delay_alu instid0(VALU_DEP_3) | instskip(SKIP_2) | instid1(VALU_DEP_2)
	v_add3_u32 v1, v1, v0, 0x7fff
	v_lshrrev_b32_e32 v0, 24, v2
	s_wait_alu 0xf1ff
	v_cndmask_b32_e64 v77, v1, v5, s4
	s_delay_alu instid0(VALU_DEP_2) | instskip(NEXT) | instid1(VALU_DEP_1)
	v_cvt_f32_fp8_e32 v0, v0
	v_dual_mul_f32 v0, s5, v0 :: v_dual_and_b32 v77, 0xffff0000, v77
	s_delay_alu instid0(VALU_DEP_1) | instskip(SKIP_2) | instid1(VALU_DEP_3)
	v_bfe_u32 v1, v0, 16, 1
	v_or_b32_e32 v2, 0x400000, v0
	v_cmp_u_f32_e64 s4, v0, v0
	v_add3_u32 v1, v1, v0, 0x7fff
	v_and_b32_e32 v0, 0xff, v3
	s_wait_alu 0xf1ff
	s_delay_alu instid0(VALU_DEP_2) | instskip(NEXT) | instid1(VALU_DEP_2)
	v_cndmask_b32_e64 v76, v1, v2, s4
	v_cvt_f32_fp8_e32 v0, v0
	s_delay_alu instid0(VALU_DEP_2) | instskip(NEXT) | instid1(VALU_DEP_2)
	v_and_b32_e32 v76, 0xffff0000, v76
	v_mul_f32_e32 v0, s5, v0
	s_delay_alu instid0(VALU_DEP_1) | instskip(SKIP_2) | instid1(VALU_DEP_3)
	v_bfe_u32 v1, v0, 16, 1
	v_or_b32_e32 v2, 0x400000, v0
	v_cmp_u_f32_e64 s4, v0, v0
	v_add3_u32 v1, v1, v0, 0x7fff
	v_bfe_u32 v0, v3, 8, 8
	s_wait_alu 0xf1ff
	s_delay_alu instid0(VALU_DEP_2) | instskip(NEXT) | instid1(VALU_DEP_2)
	v_cndmask_b32_e64 v75, v1, v2, s4
	v_cvt_f32_fp8_e32 v0, v0
	s_delay_alu instid0(VALU_DEP_1) | instskip(NEXT) | instid1(VALU_DEP_1)
	v_dual_mul_f32 v0, s5, v0 :: v_dual_and_b32 v75, 0xffff0000, v75
	v_bfe_u32 v1, v0, 16, 1
	v_or_b32_e32 v2, 0x400000, v0
	v_cmp_u_f32_e64 s4, v0, v0
	s_delay_alu instid0(VALU_DEP_3) | instskip(SKIP_2) | instid1(VALU_DEP_2)
	v_add3_u32 v1, v1, v0, 0x7fff
	v_bfe_u32 v0, v3, 16, 8
	s_wait_alu 0xf1ff
	v_cndmask_b32_e64 v74, v1, v2, s4
	s_delay_alu instid0(VALU_DEP_2) | instskip(NEXT) | instid1(VALU_DEP_2)
	v_cvt_f32_fp8_e32 v0, v0
	v_and_b32_e32 v74, 0xffff0000, v74
	s_delay_alu instid0(VALU_DEP_2) | instskip(NEXT) | instid1(VALU_DEP_1)
	;; [unrolled: 49-line block ×3, first 2 shown]
	v_mul_f32_e32 v0, s5, v0
	v_bfe_u32 v1, v0, 16, 1
	v_or_b32_e32 v2, 0x400000, v0
	v_cmp_u_f32_e64 s4, v0, v0
	s_delay_alu instid0(VALU_DEP_3) | instskip(SKIP_2) | instid1(VALU_DEP_2)
	v_add3_u32 v1, v1, v0, 0x7fff
	v_lshrrev_b32_e32 v0, 24, v4
	s_wait_alu 0xf1ff
	v_cndmask_b32_e64 v69, v1, v2, s4
	s_delay_alu instid0(VALU_DEP_2) | instskip(NEXT) | instid1(VALU_DEP_1)
	v_cvt_f32_fp8_e32 v0, v0
	v_dual_mul_f32 v0, s5, v0 :: v_dual_and_b32 v69, 0xffff0000, v69
	s_delay_alu instid0(VALU_DEP_1) | instskip(SKIP_2) | instid1(VALU_DEP_3)
	v_bfe_u32 v1, v0, 16, 1
	v_or_b32_e32 v2, 0x400000, v0
	v_cmp_u_f32_e64 s4, v0, v0
	v_add3_u32 v1, v1, v0, 0x7fff
	s_wait_alu 0xf1ff
	s_delay_alu instid0(VALU_DEP_1) | instskip(SKIP_4) | instid1(VALU_DEP_1)
	v_cndmask_b32_e64 v68, v1, v2, s4
	global_load_b128 v[0:3], v[10:11], off offset:6144
	v_and_b32_e32 v68, 0xffff0000, v68
	s_wait_loadcnt 0x0
	v_and_b32_e32 v4, 0xff, v0
	v_cvt_f32_fp8_e32 v4, v4
	s_delay_alu instid0(VALU_DEP_1) | instskip(NEXT) | instid1(VALU_DEP_1)
	v_mul_f32_e32 v4, s5, v4
	v_bfe_u32 v5, v4, 16, 1
	v_or_b32_e32 v6, 0x400000, v4
	v_cmp_u_f32_e64 s4, v4, v4
	s_delay_alu instid0(VALU_DEP_3) | instskip(SKIP_2) | instid1(VALU_DEP_2)
	v_add3_u32 v5, v5, v4, 0x7fff
	v_bfe_u32 v4, v0, 8, 8
	s_wait_alu 0xf1ff
	v_cndmask_b32_e64 v67, v5, v6, s4
	s_delay_alu instid0(VALU_DEP_2) | instskip(NEXT) | instid1(VALU_DEP_1)
	v_cvt_f32_fp8_e32 v4, v4
	v_dual_mul_f32 v4, s5, v4 :: v_dual_and_b32 v67, 0xffff0000, v67
	s_delay_alu instid0(VALU_DEP_1) | instskip(SKIP_2) | instid1(VALU_DEP_3)
	v_bfe_u32 v5, v4, 16, 1
	v_or_b32_e32 v6, 0x400000, v4
	v_cmp_u_f32_e64 s4, v4, v4
	v_add3_u32 v5, v5, v4, 0x7fff
	v_bfe_u32 v4, v0, 16, 8
	v_lshrrev_b32_e32 v0, 24, v0
	s_wait_alu 0xf1ff
	s_delay_alu instid0(VALU_DEP_3) | instskip(NEXT) | instid1(VALU_DEP_3)
	v_cndmask_b32_e64 v65, v5, v6, s4
	v_cvt_f32_fp8_e32 v4, v4
	s_delay_alu instid0(VALU_DEP_3) | instskip(NEXT) | instid1(VALU_DEP_2)
	v_cvt_f32_fp8_e32 v0, v0
	v_dual_mul_f32 v4, s5, v4 :: v_dual_and_b32 v65, 0xffff0000, v65
	s_delay_alu instid0(VALU_DEP_2) | instskip(NEXT) | instid1(VALU_DEP_2)
	v_mul_f32_e32 v0, s5, v0
	v_bfe_u32 v5, v4, 16, 1
	v_or_b32_e32 v6, 0x400000, v4
	v_cmp_u_f32_e64 s4, v4, v4
	s_delay_alu instid0(VALU_DEP_3) | instskip(SKIP_2) | instid1(VALU_DEP_2)
	v_add3_u32 v5, v5, v4, 0x7fff
	v_bfe_u32 v4, v0, 16, 1
	s_wait_alu 0xf1ff
	v_cndmask_b32_e64 v66, v5, v6, s4
	s_delay_alu instid0(VALU_DEP_2) | instskip(SKIP_4) | instid1(VALU_DEP_2)
	v_add3_u32 v4, v4, v0, 0x7fff
	v_or_b32_e32 v5, 0x400000, v0
	v_cmp_u_f32_e64 s4, v0, v0
	v_and_b32_e32 v0, 0xff, v1
	s_wait_alu 0xf1ff
	v_cndmask_b32_e64 v63, v4, v5, s4
	s_delay_alu instid0(VALU_DEP_2) | instskip(NEXT) | instid1(VALU_DEP_1)
	v_cvt_f32_fp8_e32 v0, v0
	v_dual_mul_f32 v0, s5, v0 :: v_dual_and_b32 v63, 0xffff0000, v63
	s_delay_alu instid0(VALU_DEP_1) | instskip(SKIP_2) | instid1(VALU_DEP_3)
	v_bfe_u32 v4, v0, 16, 1
	v_or_b32_e32 v5, 0x400000, v0
	v_cmp_u_f32_e64 s4, v0, v0
	v_add3_u32 v4, v4, v0, 0x7fff
	v_bfe_u32 v0, v1, 8, 8
	s_wait_alu 0xf1ff
	s_delay_alu instid0(VALU_DEP_2) | instskip(NEXT) | instid1(VALU_DEP_2)
	v_cndmask_b32_e64 v64, v4, v5, s4
	v_cvt_f32_fp8_e32 v0, v0
	s_delay_alu instid0(VALU_DEP_1) | instskip(NEXT) | instid1(VALU_DEP_1)
	v_mul_f32_e32 v0, s5, v0
	v_bfe_u32 v4, v0, 16, 1
	v_or_b32_e32 v5, 0x400000, v0
	v_cmp_u_f32_e64 s4, v0, v0
	s_delay_alu instid0(VALU_DEP_3) | instskip(SKIP_2) | instid1(VALU_DEP_2)
	v_add3_u32 v4, v4, v0, 0x7fff
	v_bfe_u32 v0, v1, 16, 8
	s_wait_alu 0xf1ff
	v_cndmask_b32_e64 v61, v4, v5, s4
	s_delay_alu instid0(VALU_DEP_2) | instskip(NEXT) | instid1(VALU_DEP_1)
	v_cvt_f32_fp8_e32 v0, v0
	v_dual_mul_f32 v0, s5, v0 :: v_dual_and_b32 v61, 0xffff0000, v61
	s_delay_alu instid0(VALU_DEP_1) | instskip(SKIP_2) | instid1(VALU_DEP_3)
	v_bfe_u32 v4, v0, 16, 1
	v_or_b32_e32 v5, 0x400000, v0
	v_cmp_u_f32_e64 s4, v0, v0
	v_add3_u32 v4, v4, v0, 0x7fff
	v_lshrrev_b32_e32 v0, 24, v1
	s_wait_alu 0xf1ff
	s_delay_alu instid0(VALU_DEP_2) | instskip(NEXT) | instid1(VALU_DEP_2)
	v_cndmask_b32_e64 v62, v4, v5, s4
	v_cvt_f32_fp8_e32 v0, v0
	s_delay_alu instid0(VALU_DEP_1) | instskip(NEXT) | instid1(VALU_DEP_1)
	v_mul_f32_e32 v0, s5, v0
	v_bfe_u32 v1, v0, 16, 1
	v_or_b32_e32 v4, 0x400000, v0
	v_cmp_u_f32_e64 s4, v0, v0
	s_delay_alu instid0(VALU_DEP_3) | instskip(SKIP_2) | instid1(VALU_DEP_2)
	v_add3_u32 v1, v1, v0, 0x7fff
	v_and_b32_e32 v0, 0xff, v2
	s_wait_alu 0xf1ff
	v_cndmask_b32_e64 v59, v1, v4, s4
	s_delay_alu instid0(VALU_DEP_2) | instskip(NEXT) | instid1(VALU_DEP_1)
	v_cvt_f32_fp8_e32 v0, v0
	v_dual_mul_f32 v0, s5, v0 :: v_dual_and_b32 v59, 0xffff0000, v59
	s_delay_alu instid0(VALU_DEP_1) | instskip(SKIP_2) | instid1(VALU_DEP_3)
	v_bfe_u32 v1, v0, 16, 1
	v_or_b32_e32 v4, 0x400000, v0
	v_cmp_u_f32_e64 s4, v0, v0
	v_add3_u32 v1, v1, v0, 0x7fff
	v_bfe_u32 v0, v2, 8, 8
	s_wait_alu 0xf1ff
	s_delay_alu instid0(VALU_DEP_2) | instskip(NEXT) | instid1(VALU_DEP_2)
	v_cndmask_b32_e64 v60, v1, v4, s4
	v_cvt_f32_fp8_e32 v0, v0
	s_delay_alu instid0(VALU_DEP_1) | instskip(NEXT) | instid1(VALU_DEP_1)
	v_mul_f32_e32 v0, s5, v0
	v_bfe_u32 v1, v0, 16, 1
	v_or_b32_e32 v4, 0x400000, v0
	v_cmp_u_f32_e64 s4, v0, v0
	s_delay_alu instid0(VALU_DEP_3) | instskip(SKIP_2) | instid1(VALU_DEP_2)
	v_add3_u32 v1, v1, v0, 0x7fff
	v_bfe_u32 v0, v2, 16, 8
	s_wait_alu 0xf1ff
	v_cndmask_b32_e64 v57, v1, v4, s4
	s_delay_alu instid0(VALU_DEP_2) | instskip(NEXT) | instid1(VALU_DEP_1)
	v_cvt_f32_fp8_e32 v0, v0
	v_dual_mul_f32 v0, s5, v0 :: v_dual_and_b32 v57, 0xffff0000, v57
	s_delay_alu instid0(VALU_DEP_1) | instskip(SKIP_2) | instid1(VALU_DEP_3)
	v_bfe_u32 v1, v0, 16, 1
	v_or_b32_e32 v4, 0x400000, v0
	v_cmp_u_f32_e64 s4, v0, v0
	v_add3_u32 v1, v1, v0, 0x7fff
	v_lshrrev_b32_e32 v0, 24, v2
	s_wait_alu 0xf1ff
	s_delay_alu instid0(VALU_DEP_2) | instskip(NEXT) | instid1(VALU_DEP_2)
	v_cndmask_b32_e64 v58, v1, v4, s4
	v_cvt_f32_fp8_e32 v0, v0
	s_delay_alu instid0(VALU_DEP_1) | instskip(NEXT) | instid1(VALU_DEP_1)
	v_mul_f32_e32 v0, s5, v0
	v_bfe_u32 v1, v0, 16, 1
	v_or_b32_e32 v2, 0x400000, v0
	v_cmp_u_f32_e64 s4, v0, v0
	s_delay_alu instid0(VALU_DEP_3) | instskip(SKIP_2) | instid1(VALU_DEP_2)
	v_add3_u32 v1, v1, v0, 0x7fff
	v_and_b32_e32 v0, 0xff, v3
	s_wait_alu 0xf1ff
	v_cndmask_b32_e64 v55, v1, v2, s4
	s_delay_alu instid0(VALU_DEP_2) | instskip(NEXT) | instid1(VALU_DEP_1)
	v_cvt_f32_fp8_e32 v0, v0
	v_dual_mul_f32 v0, s5, v0 :: v_dual_and_b32 v55, 0xffff0000, v55
	s_delay_alu instid0(VALU_DEP_1) | instskip(SKIP_2) | instid1(VALU_DEP_3)
	v_bfe_u32 v1, v0, 16, 1
	v_or_b32_e32 v2, 0x400000, v0
	v_cmp_u_f32_e64 s4, v0, v0
	v_add3_u32 v1, v1, v0, 0x7fff
	v_bfe_u32 v0, v3, 8, 8
	s_wait_alu 0xf1ff
	s_delay_alu instid0(VALU_DEP_2) | instskip(NEXT) | instid1(VALU_DEP_2)
	v_cndmask_b32_e64 v56, v1, v2, s4
	v_cvt_f32_fp8_e32 v0, v0
	s_delay_alu instid0(VALU_DEP_1) | instskip(NEXT) | instid1(VALU_DEP_1)
	v_mul_f32_e32 v0, s5, v0
	v_bfe_u32 v1, v0, 16, 1
	v_or_b32_e32 v2, 0x400000, v0
	v_cmp_u_f32_e64 s4, v0, v0
	s_delay_alu instid0(VALU_DEP_3) | instskip(SKIP_2) | instid1(VALU_DEP_2)
	v_add3_u32 v1, v1, v0, 0x7fff
	v_bfe_u32 v0, v3, 16, 8
	s_wait_alu 0xf1ff
	v_cndmask_b32_e64 v53, v1, v2, s4
	s_delay_alu instid0(VALU_DEP_2) | instskip(NEXT) | instid1(VALU_DEP_1)
	v_cvt_f32_fp8_e32 v0, v0
	v_dual_mul_f32 v0, s5, v0 :: v_dual_and_b32 v53, 0xffff0000, v53
	s_delay_alu instid0(VALU_DEP_1) | instskip(SKIP_2) | instid1(VALU_DEP_3)
	v_bfe_u32 v1, v0, 16, 1
	v_or_b32_e32 v2, 0x400000, v0
	v_cmp_u_f32_e64 s4, v0, v0
	v_add3_u32 v1, v1, v0, 0x7fff
	v_lshrrev_b32_e32 v0, 24, v3
	s_wait_alu 0xf1ff
	s_delay_alu instid0(VALU_DEP_2) | instskip(NEXT) | instid1(VALU_DEP_2)
	v_cndmask_b32_e64 v54, v1, v2, s4
	v_cvt_f32_fp8_e32 v0, v0
	s_delay_alu instid0(VALU_DEP_1) | instskip(NEXT) | instid1(VALU_DEP_1)
	v_mul_f32_e32 v0, s5, v0
	v_bfe_u32 v1, v0, 16, 1
	v_or_b32_e32 v2, 0x400000, v0
	v_cmp_u_f32_e64 s4, v0, v0
	s_delay_alu instid0(VALU_DEP_3) | instskip(SKIP_1) | instid1(VALU_DEP_1)
	v_add3_u32 v1, v1, v0, 0x7fff
	s_wait_alu 0xf1ff
	v_cndmask_b32_e64 v52, v1, v2, s4
	global_load_b128 v[1:4], v[10:11], off offset:6656
	v_and_b32_e32 v52, 0xffff0000, v52
	s_wait_loadcnt 0x0
	v_and_b32_e32 v0, 0xff, v1
	s_delay_alu instid0(VALU_DEP_1) | instskip(NEXT) | instid1(VALU_DEP_1)
	v_cvt_f32_fp8_e32 v0, v0
	v_mul_f32_e32 v0, s5, v0
	s_delay_alu instid0(VALU_DEP_1) | instskip(SKIP_2) | instid1(VALU_DEP_3)
	v_bfe_u32 v5, v0, 16, 1
	v_or_b32_e32 v6, 0x400000, v0
	v_cmp_u_f32_e64 s4, v0, v0
	v_add3_u32 v5, v5, v0, 0x7fff
	v_bfe_u32 v0, v1, 8, 8
	s_wait_alu 0xf1ff
	s_delay_alu instid0(VALU_DEP_2) | instskip(NEXT) | instid1(VALU_DEP_2)
	v_cndmask_b32_e64 v51, v5, v6, s4
	v_cvt_f32_fp8_e32 v0, v0
	s_delay_alu instid0(VALU_DEP_1) | instskip(NEXT) | instid1(VALU_DEP_1)
	v_dual_mul_f32 v0, s5, v0 :: v_dual_and_b32 v51, 0xffff0000, v51
	v_bfe_u32 v5, v0, 16, 1
	v_or_b32_e32 v6, 0x400000, v0
	v_cmp_u_f32_e64 s4, v0, v0
	s_delay_alu instid0(VALU_DEP_3) | instskip(SKIP_2) | instid1(VALU_DEP_2)
	v_add3_u32 v5, v5, v0, 0x7fff
	v_bfe_u32 v0, v1, 16, 8
	s_wait_alu 0xf1ff
	v_cndmask_b32_e64 v50, v5, v6, s4
	s_delay_alu instid0(VALU_DEP_2) | instskip(NEXT) | instid1(VALU_DEP_2)
	v_cvt_f32_fp8_e32 v0, v0
	v_and_b32_e32 v50, 0xffff0000, v50
	s_delay_alu instid0(VALU_DEP_2) | instskip(NEXT) | instid1(VALU_DEP_1)
	v_mul_f32_e32 v0, s5, v0
	v_bfe_u32 v5, v0, 16, 1
	v_or_b32_e32 v6, 0x400000, v0
	v_cmp_u_f32_e64 s4, v0, v0
	s_delay_alu instid0(VALU_DEP_3) | instskip(SKIP_2) | instid1(VALU_DEP_2)
	v_add3_u32 v5, v5, v0, 0x7fff
	v_lshrrev_b32_e32 v0, 24, v1
	s_wait_alu 0xf1ff
	v_cndmask_b32_e64 v49, v5, v6, s4
	s_delay_alu instid0(VALU_DEP_2) | instskip(NEXT) | instid1(VALU_DEP_1)
	v_cvt_f32_fp8_e32 v0, v0
	v_dual_mul_f32 v0, s5, v0 :: v_dual_and_b32 v49, 0xffff0000, v49
	s_delay_alu instid0(VALU_DEP_1) | instskip(SKIP_2) | instid1(VALU_DEP_3)
	v_bfe_u32 v1, v0, 16, 1
	v_or_b32_e32 v5, 0x400000, v0
	v_cmp_u_f32_e64 s4, v0, v0
	v_add3_u32 v1, v1, v0, 0x7fff
	v_and_b32_e32 v0, 0xff, v2
	s_wait_alu 0xf1ff
	s_delay_alu instid0(VALU_DEP_2) | instskip(NEXT) | instid1(VALU_DEP_2)
	v_cndmask_b32_e64 v48, v1, v5, s4
	v_cvt_f32_fp8_e32 v0, v0
	s_delay_alu instid0(VALU_DEP_2) | instskip(NEXT) | instid1(VALU_DEP_2)
	v_and_b32_e32 v48, 0xffff0000, v48
	v_mul_f32_e32 v0, s5, v0
	s_delay_alu instid0(VALU_DEP_1) | instskip(SKIP_2) | instid1(VALU_DEP_3)
	v_bfe_u32 v1, v0, 16, 1
	v_or_b32_e32 v5, 0x400000, v0
	v_cmp_u_f32_e64 s4, v0, v0
	v_add3_u32 v1, v1, v0, 0x7fff
	v_bfe_u32 v0, v2, 8, 8
	s_wait_alu 0xf1ff
	s_delay_alu instid0(VALU_DEP_2) | instskip(NEXT) | instid1(VALU_DEP_2)
	v_cndmask_b32_e64 v47, v1, v5, s4
	v_cvt_f32_fp8_e32 v0, v0
	s_delay_alu instid0(VALU_DEP_1) | instskip(NEXT) | instid1(VALU_DEP_1)
	v_dual_mul_f32 v0, s5, v0 :: v_dual_and_b32 v47, 0xffff0000, v47
	v_bfe_u32 v1, v0, 16, 1
	v_or_b32_e32 v5, 0x400000, v0
	v_cmp_u_f32_e64 s4, v0, v0
	s_delay_alu instid0(VALU_DEP_3) | instskip(SKIP_2) | instid1(VALU_DEP_2)
	v_add3_u32 v1, v1, v0, 0x7fff
	v_bfe_u32 v0, v2, 16, 8
	s_wait_alu 0xf1ff
	v_cndmask_b32_e64 v46, v1, v5, s4
	s_delay_alu instid0(VALU_DEP_2) | instskip(NEXT) | instid1(VALU_DEP_2)
	v_cvt_f32_fp8_e32 v0, v0
	v_and_b32_e32 v46, 0xffff0000, v46
	s_delay_alu instid0(VALU_DEP_2) | instskip(NEXT) | instid1(VALU_DEP_1)
	v_mul_f32_e32 v0, s5, v0
	v_bfe_u32 v1, v0, 16, 1
	v_or_b32_e32 v5, 0x400000, v0
	v_cmp_u_f32_e64 s4, v0, v0
	s_delay_alu instid0(VALU_DEP_3) | instskip(SKIP_2) | instid1(VALU_DEP_2)
	v_add3_u32 v1, v1, v0, 0x7fff
	v_lshrrev_b32_e32 v0, 24, v2
	s_wait_alu 0xf1ff
	v_cndmask_b32_e64 v45, v1, v5, s4
	s_delay_alu instid0(VALU_DEP_2) | instskip(NEXT) | instid1(VALU_DEP_1)
	v_cvt_f32_fp8_e32 v0, v0
	v_dual_mul_f32 v0, s5, v0 :: v_dual_and_b32 v45, 0xffff0000, v45
	s_delay_alu instid0(VALU_DEP_1) | instskip(SKIP_2) | instid1(VALU_DEP_3)
	v_bfe_u32 v1, v0, 16, 1
	v_or_b32_e32 v2, 0x400000, v0
	v_cmp_u_f32_e64 s4, v0, v0
	v_add3_u32 v1, v1, v0, 0x7fff
	v_and_b32_e32 v0, 0xff, v3
	s_wait_alu 0xf1ff
	s_delay_alu instid0(VALU_DEP_2) | instskip(NEXT) | instid1(VALU_DEP_2)
	v_cndmask_b32_e64 v44, v1, v2, s4
	v_cvt_f32_fp8_e32 v0, v0
	s_delay_alu instid0(VALU_DEP_2) | instskip(NEXT) | instid1(VALU_DEP_2)
	v_and_b32_e32 v44, 0xffff0000, v44
	;; [unrolled: 49-line block ×3, first 2 shown]
	v_mul_f32_e32 v0, s5, v0
	s_delay_alu instid0(VALU_DEP_1) | instskip(SKIP_2) | instid1(VALU_DEP_3)
	v_bfe_u32 v1, v0, 16, 1
	v_or_b32_e32 v2, 0x400000, v0
	v_cmp_u_f32_e64 s4, v0, v0
	v_add3_u32 v1, v1, v0, 0x7fff
	v_bfe_u32 v0, v4, 8, 8
	s_wait_alu 0xf1ff
	s_delay_alu instid0(VALU_DEP_2) | instskip(NEXT) | instid1(VALU_DEP_2)
	v_cndmask_b32_e64 v39, v1, v2, s4
	v_cvt_f32_fp8_e32 v0, v0
	s_delay_alu instid0(VALU_DEP_1) | instskip(NEXT) | instid1(VALU_DEP_1)
	v_dual_mul_f32 v0, s5, v0 :: v_dual_and_b32 v39, 0xffff0000, v39
	v_bfe_u32 v1, v0, 16, 1
	v_or_b32_e32 v2, 0x400000, v0
	v_cmp_u_f32_e64 s4, v0, v0
	s_delay_alu instid0(VALU_DEP_3) | instskip(SKIP_2) | instid1(VALU_DEP_2)
	v_add3_u32 v1, v1, v0, 0x7fff
	v_bfe_u32 v0, v4, 16, 8
	s_wait_alu 0xf1ff
	v_cndmask_b32_e64 v38, v1, v2, s4
	s_delay_alu instid0(VALU_DEP_2) | instskip(NEXT) | instid1(VALU_DEP_2)
	v_cvt_f32_fp8_e32 v0, v0
	v_and_b32_e32 v38, 0xffff0000, v38
	s_delay_alu instid0(VALU_DEP_2) | instskip(NEXT) | instid1(VALU_DEP_1)
	v_mul_f32_e32 v0, s5, v0
	v_bfe_u32 v1, v0, 16, 1
	v_or_b32_e32 v2, 0x400000, v0
	v_cmp_u_f32_e64 s4, v0, v0
	s_delay_alu instid0(VALU_DEP_3) | instskip(SKIP_2) | instid1(VALU_DEP_2)
	v_add3_u32 v1, v1, v0, 0x7fff
	v_lshrrev_b32_e32 v0, 24, v4
	s_wait_alu 0xf1ff
	v_cndmask_b32_e64 v37, v1, v2, s4
	s_delay_alu instid0(VALU_DEP_2) | instskip(NEXT) | instid1(VALU_DEP_1)
	v_cvt_f32_fp8_e32 v0, v0
	v_dual_mul_f32 v0, s5, v0 :: v_dual_and_b32 v37, 0xffff0000, v37
	s_delay_alu instid0(VALU_DEP_1) | instskip(SKIP_2) | instid1(VALU_DEP_3)
	v_bfe_u32 v1, v0, 16, 1
	v_or_b32_e32 v2, 0x400000, v0
	v_cmp_u_f32_e64 s4, v0, v0
	v_add3_u32 v1, v1, v0, 0x7fff
	s_wait_alu 0xf1ff
	s_delay_alu instid0(VALU_DEP_1) | instskip(SKIP_4) | instid1(VALU_DEP_1)
	v_cndmask_b32_e64 v36, v1, v2, s4
	global_load_b128 v[0:3], v[10:11], off offset:7168
	v_and_b32_e32 v36, 0xffff0000, v36
	s_wait_loadcnt 0x0
	v_and_b32_e32 v4, 0xff, v0
	v_cvt_f32_fp8_e32 v4, v4
	s_delay_alu instid0(VALU_DEP_1) | instskip(NEXT) | instid1(VALU_DEP_1)
	v_mul_f32_e32 v4, s5, v4
	v_bfe_u32 v5, v4, 16, 1
	v_or_b32_e32 v6, 0x400000, v4
	v_cmp_u_f32_e64 s4, v4, v4
	s_delay_alu instid0(VALU_DEP_3) | instskip(SKIP_2) | instid1(VALU_DEP_2)
	v_add3_u32 v5, v5, v4, 0x7fff
	v_bfe_u32 v4, v0, 8, 8
	s_wait_alu 0xf1ff
	v_cndmask_b32_e64 v35, v5, v6, s4
	s_delay_alu instid0(VALU_DEP_2) | instskip(NEXT) | instid1(VALU_DEP_1)
	v_cvt_f32_fp8_e32 v4, v4
	v_dual_mul_f32 v4, s5, v4 :: v_dual_and_b32 v35, 0xffff0000, v35
	s_delay_alu instid0(VALU_DEP_1) | instskip(SKIP_2) | instid1(VALU_DEP_3)
	v_bfe_u32 v5, v4, 16, 1
	v_or_b32_e32 v6, 0x400000, v4
	v_cmp_u_f32_e64 s4, v4, v4
	v_add3_u32 v5, v5, v4, 0x7fff
	v_bfe_u32 v4, v0, 16, 8
	v_lshrrev_b32_e32 v0, 24, v0
	s_wait_alu 0xf1ff
	s_delay_alu instid0(VALU_DEP_3) | instskip(NEXT) | instid1(VALU_DEP_3)
	v_cndmask_b32_e64 v33, v5, v6, s4
	v_cvt_f32_fp8_e32 v4, v4
	s_delay_alu instid0(VALU_DEP_3) | instskip(NEXT) | instid1(VALU_DEP_2)
	v_cvt_f32_fp8_e32 v0, v0
	v_dual_mul_f32 v4, s5, v4 :: v_dual_and_b32 v33, 0xffff0000, v33
	s_delay_alu instid0(VALU_DEP_2) | instskip(NEXT) | instid1(VALU_DEP_2)
	v_mul_f32_e32 v0, s5, v0
	v_bfe_u32 v5, v4, 16, 1
	v_or_b32_e32 v6, 0x400000, v4
	v_cmp_u_f32_e64 s4, v4, v4
	s_delay_alu instid0(VALU_DEP_3) | instskip(SKIP_2) | instid1(VALU_DEP_2)
	v_add3_u32 v5, v5, v4, 0x7fff
	v_bfe_u32 v4, v0, 16, 1
	s_wait_alu 0xf1ff
	v_cndmask_b32_e64 v34, v5, v6, s4
	s_delay_alu instid0(VALU_DEP_2) | instskip(SKIP_4) | instid1(VALU_DEP_2)
	v_add3_u32 v4, v4, v0, 0x7fff
	v_or_b32_e32 v5, 0x400000, v0
	v_cmp_u_f32_e64 s4, v0, v0
	v_and_b32_e32 v0, 0xff, v1
	s_wait_alu 0xf1ff
	v_cndmask_b32_e64 v31, v4, v5, s4
	s_delay_alu instid0(VALU_DEP_2) | instskip(NEXT) | instid1(VALU_DEP_1)
	v_cvt_f32_fp8_e32 v0, v0
	v_dual_mul_f32 v0, s5, v0 :: v_dual_and_b32 v31, 0xffff0000, v31
	s_delay_alu instid0(VALU_DEP_1) | instskip(SKIP_2) | instid1(VALU_DEP_3)
	v_bfe_u32 v4, v0, 16, 1
	v_or_b32_e32 v5, 0x400000, v0
	v_cmp_u_f32_e64 s4, v0, v0
	v_add3_u32 v4, v4, v0, 0x7fff
	v_bfe_u32 v0, v1, 8, 8
	s_wait_alu 0xf1ff
	s_delay_alu instid0(VALU_DEP_2) | instskip(NEXT) | instid1(VALU_DEP_2)
	v_cndmask_b32_e64 v32, v4, v5, s4
	v_cvt_f32_fp8_e32 v0, v0
	s_delay_alu instid0(VALU_DEP_1) | instskip(NEXT) | instid1(VALU_DEP_1)
	v_mul_f32_e32 v0, s5, v0
	v_bfe_u32 v4, v0, 16, 1
	v_or_b32_e32 v5, 0x400000, v0
	v_cmp_u_f32_e64 s4, v0, v0
	s_delay_alu instid0(VALU_DEP_3) | instskip(SKIP_2) | instid1(VALU_DEP_2)
	v_add3_u32 v4, v4, v0, 0x7fff
	v_bfe_u32 v0, v1, 16, 8
	s_wait_alu 0xf1ff
	v_cndmask_b32_e64 v29, v4, v5, s4
	s_delay_alu instid0(VALU_DEP_2) | instskip(NEXT) | instid1(VALU_DEP_1)
	v_cvt_f32_fp8_e32 v0, v0
	v_dual_mul_f32 v0, s5, v0 :: v_dual_and_b32 v29, 0xffff0000, v29
	s_delay_alu instid0(VALU_DEP_1) | instskip(SKIP_2) | instid1(VALU_DEP_3)
	v_bfe_u32 v4, v0, 16, 1
	v_or_b32_e32 v5, 0x400000, v0
	v_cmp_u_f32_e64 s4, v0, v0
	v_add3_u32 v4, v4, v0, 0x7fff
	v_lshrrev_b32_e32 v0, 24, v1
	s_wait_alu 0xf1ff
	s_delay_alu instid0(VALU_DEP_2) | instskip(NEXT) | instid1(VALU_DEP_2)
	v_cndmask_b32_e64 v30, v4, v5, s4
	v_cvt_f32_fp8_e32 v0, v0
	s_delay_alu instid0(VALU_DEP_1) | instskip(NEXT) | instid1(VALU_DEP_1)
	v_mul_f32_e32 v0, s5, v0
	v_bfe_u32 v1, v0, 16, 1
	v_or_b32_e32 v4, 0x400000, v0
	v_cmp_u_f32_e64 s4, v0, v0
	s_delay_alu instid0(VALU_DEP_3) | instskip(SKIP_2) | instid1(VALU_DEP_2)
	v_add3_u32 v1, v1, v0, 0x7fff
	v_and_b32_e32 v0, 0xff, v2
	s_wait_alu 0xf1ff
	v_cndmask_b32_e64 v27, v1, v4, s4
	s_delay_alu instid0(VALU_DEP_2) | instskip(NEXT) | instid1(VALU_DEP_1)
	v_cvt_f32_fp8_e32 v0, v0
	v_dual_mul_f32 v0, s5, v0 :: v_dual_and_b32 v27, 0xffff0000, v27
	s_delay_alu instid0(VALU_DEP_1) | instskip(SKIP_2) | instid1(VALU_DEP_3)
	v_bfe_u32 v1, v0, 16, 1
	v_or_b32_e32 v4, 0x400000, v0
	v_cmp_u_f32_e64 s4, v0, v0
	v_add3_u32 v1, v1, v0, 0x7fff
	v_bfe_u32 v0, v2, 8, 8
	s_wait_alu 0xf1ff
	s_delay_alu instid0(VALU_DEP_2) | instskip(NEXT) | instid1(VALU_DEP_2)
	v_cndmask_b32_e64 v28, v1, v4, s4
	v_cvt_f32_fp8_e32 v0, v0
	s_delay_alu instid0(VALU_DEP_1) | instskip(NEXT) | instid1(VALU_DEP_1)
	v_mul_f32_e32 v0, s5, v0
	v_bfe_u32 v1, v0, 16, 1
	v_or_b32_e32 v4, 0x400000, v0
	v_cmp_u_f32_e64 s4, v0, v0
	s_delay_alu instid0(VALU_DEP_3) | instskip(SKIP_2) | instid1(VALU_DEP_2)
	v_add3_u32 v1, v1, v0, 0x7fff
	v_bfe_u32 v0, v2, 16, 8
	s_wait_alu 0xf1ff
	v_cndmask_b32_e64 v25, v1, v4, s4
	s_delay_alu instid0(VALU_DEP_2) | instskip(NEXT) | instid1(VALU_DEP_1)
	v_cvt_f32_fp8_e32 v0, v0
	v_dual_mul_f32 v0, s5, v0 :: v_dual_and_b32 v25, 0xffff0000, v25
	s_delay_alu instid0(VALU_DEP_1) | instskip(SKIP_2) | instid1(VALU_DEP_3)
	v_bfe_u32 v1, v0, 16, 1
	v_or_b32_e32 v4, 0x400000, v0
	v_cmp_u_f32_e64 s4, v0, v0
	v_add3_u32 v1, v1, v0, 0x7fff
	v_lshrrev_b32_e32 v0, 24, v2
	s_wait_alu 0xf1ff
	s_delay_alu instid0(VALU_DEP_2) | instskip(NEXT) | instid1(VALU_DEP_2)
	v_cndmask_b32_e64 v26, v1, v4, s4
	v_cvt_f32_fp8_e32 v0, v0
	s_delay_alu instid0(VALU_DEP_1) | instskip(NEXT) | instid1(VALU_DEP_1)
	v_mul_f32_e32 v0, s5, v0
	v_bfe_u32 v1, v0, 16, 1
	v_or_b32_e32 v2, 0x400000, v0
	v_cmp_u_f32_e64 s4, v0, v0
	s_delay_alu instid0(VALU_DEP_3) | instskip(SKIP_2) | instid1(VALU_DEP_2)
	v_add3_u32 v1, v1, v0, 0x7fff
	v_and_b32_e32 v0, 0xff, v3
	s_wait_alu 0xf1ff
	v_cndmask_b32_e64 v23, v1, v2, s4
	s_delay_alu instid0(VALU_DEP_2) | instskip(NEXT) | instid1(VALU_DEP_1)
	v_cvt_f32_fp8_e32 v0, v0
	v_dual_mul_f32 v0, s5, v0 :: v_dual_and_b32 v23, 0xffff0000, v23
	s_delay_alu instid0(VALU_DEP_1) | instskip(SKIP_2) | instid1(VALU_DEP_3)
	v_bfe_u32 v1, v0, 16, 1
	v_or_b32_e32 v2, 0x400000, v0
	v_cmp_u_f32_e64 s4, v0, v0
	v_add3_u32 v1, v1, v0, 0x7fff
	v_bfe_u32 v0, v3, 8, 8
	s_wait_alu 0xf1ff
	s_delay_alu instid0(VALU_DEP_2) | instskip(NEXT) | instid1(VALU_DEP_2)
	v_cndmask_b32_e64 v24, v1, v2, s4
	v_cvt_f32_fp8_e32 v0, v0
	s_delay_alu instid0(VALU_DEP_1) | instskip(NEXT) | instid1(VALU_DEP_1)
	v_mul_f32_e32 v0, s5, v0
	v_bfe_u32 v1, v0, 16, 1
	v_or_b32_e32 v2, 0x400000, v0
	v_cmp_u_f32_e64 s4, v0, v0
	s_delay_alu instid0(VALU_DEP_3) | instskip(SKIP_2) | instid1(VALU_DEP_2)
	v_add3_u32 v1, v1, v0, 0x7fff
	v_bfe_u32 v0, v3, 16, 8
	s_wait_alu 0xf1ff
	v_cndmask_b32_e64 v21, v1, v2, s4
	s_delay_alu instid0(VALU_DEP_2) | instskip(NEXT) | instid1(VALU_DEP_1)
	v_cvt_f32_fp8_e32 v0, v0
	v_dual_mul_f32 v0, s5, v0 :: v_dual_and_b32 v21, 0xffff0000, v21
	s_delay_alu instid0(VALU_DEP_1) | instskip(SKIP_2) | instid1(VALU_DEP_3)
	v_bfe_u32 v1, v0, 16, 1
	v_or_b32_e32 v2, 0x400000, v0
	v_cmp_u_f32_e64 s4, v0, v0
	v_add3_u32 v1, v1, v0, 0x7fff
	v_lshrrev_b32_e32 v0, 24, v3
	s_wait_alu 0xf1ff
	s_delay_alu instid0(VALU_DEP_2) | instskip(NEXT) | instid1(VALU_DEP_2)
	v_cndmask_b32_e64 v22, v1, v2, s4
	v_cvt_f32_fp8_e32 v0, v0
	s_delay_alu instid0(VALU_DEP_1) | instskip(NEXT) | instid1(VALU_DEP_1)
	v_mul_f32_e32 v0, s5, v0
	v_bfe_u32 v1, v0, 16, 1
	v_or_b32_e32 v2, 0x400000, v0
	v_cmp_u_f32_e64 s4, v0, v0
	s_delay_alu instid0(VALU_DEP_3) | instskip(SKIP_1) | instid1(VALU_DEP_1)
	v_add3_u32 v1, v1, v0, 0x7fff
	s_wait_alu 0xf1ff
	v_cndmask_b32_e64 v20, v1, v2, s4
	global_load_b128 v[1:4], v[10:11], off offset:7680
	v_and_b32_e32 v20, 0xffff0000, v20
	s_wait_loadcnt 0x0
	v_and_b32_e32 v0, 0xff, v1
	s_delay_alu instid0(VALU_DEP_1) | instskip(NEXT) | instid1(VALU_DEP_1)
	v_cvt_f32_fp8_e32 v0, v0
	v_mul_f32_e32 v0, s5, v0
	s_delay_alu instid0(VALU_DEP_1) | instskip(SKIP_2) | instid1(VALU_DEP_3)
	v_bfe_u32 v5, v0, 16, 1
	v_or_b32_e32 v6, 0x400000, v0
	v_cmp_u_f32_e64 s4, v0, v0
	v_add3_u32 v5, v5, v0, 0x7fff
	v_bfe_u32 v0, v1, 8, 8
	s_wait_alu 0xf1ff
	s_delay_alu instid0(VALU_DEP_2) | instskip(NEXT) | instid1(VALU_DEP_2)
	v_cndmask_b32_e64 v19, v5, v6, s4
	v_cvt_f32_fp8_e32 v0, v0
	s_delay_alu instid0(VALU_DEP_1) | instskip(NEXT) | instid1(VALU_DEP_1)
	v_dual_mul_f32 v0, s5, v0 :: v_dual_and_b32 v19, 0xffff0000, v19
	v_bfe_u32 v5, v0, 16, 1
	v_or_b32_e32 v6, 0x400000, v0
	v_cmp_u_f32_e64 s4, v0, v0
	s_delay_alu instid0(VALU_DEP_3) | instskip(SKIP_2) | instid1(VALU_DEP_2)
	v_add3_u32 v5, v5, v0, 0x7fff
	v_bfe_u32 v0, v1, 16, 8
	s_wait_alu 0xf1ff
	v_cndmask_b32_e64 v18, v5, v6, s4
	s_delay_alu instid0(VALU_DEP_2) | instskip(NEXT) | instid1(VALU_DEP_2)
	v_cvt_f32_fp8_e32 v0, v0
	v_and_b32_e32 v18, 0xffff0000, v18
	s_delay_alu instid0(VALU_DEP_2) | instskip(NEXT) | instid1(VALU_DEP_1)
	v_mul_f32_e32 v0, s5, v0
	v_bfe_u32 v5, v0, 16, 1
	v_or_b32_e32 v6, 0x400000, v0
	v_cmp_u_f32_e64 s4, v0, v0
	s_delay_alu instid0(VALU_DEP_3) | instskip(SKIP_2) | instid1(VALU_DEP_2)
	v_add3_u32 v5, v5, v0, 0x7fff
	v_lshrrev_b32_e32 v0, 24, v1
	s_wait_alu 0xf1ff
	v_cndmask_b32_e64 v17, v5, v6, s4
	s_delay_alu instid0(VALU_DEP_2) | instskip(NEXT) | instid1(VALU_DEP_1)
	v_cvt_f32_fp8_e32 v0, v0
	v_dual_mul_f32 v0, s5, v0 :: v_dual_and_b32 v17, 0xffff0000, v17
	s_delay_alu instid0(VALU_DEP_1) | instskip(SKIP_2) | instid1(VALU_DEP_3)
	v_bfe_u32 v1, v0, 16, 1
	v_or_b32_e32 v5, 0x400000, v0
	v_cmp_u_f32_e64 s4, v0, v0
	v_add3_u32 v1, v1, v0, 0x7fff
	v_and_b32_e32 v0, 0xff, v2
	s_wait_alu 0xf1ff
	s_delay_alu instid0(VALU_DEP_2) | instskip(NEXT) | instid1(VALU_DEP_2)
	v_cndmask_b32_e64 v16, v1, v5, s4
	v_cvt_f32_fp8_e32 v0, v0
	s_delay_alu instid0(VALU_DEP_2) | instskip(NEXT) | instid1(VALU_DEP_2)
	v_and_b32_e32 v16, 0xffff0000, v16
	v_mul_f32_e32 v0, s5, v0
	s_delay_alu instid0(VALU_DEP_1) | instskip(SKIP_2) | instid1(VALU_DEP_3)
	v_bfe_u32 v1, v0, 16, 1
	v_or_b32_e32 v5, 0x400000, v0
	v_cmp_u_f32_e64 s4, v0, v0
	v_add3_u32 v1, v1, v0, 0x7fff
	v_bfe_u32 v0, v2, 8, 8
	s_wait_alu 0xf1ff
	s_delay_alu instid0(VALU_DEP_2) | instskip(NEXT) | instid1(VALU_DEP_2)
	v_cndmask_b32_e64 v15, v1, v5, s4
	v_cvt_f32_fp8_e32 v0, v0
	s_delay_alu instid0(VALU_DEP_1) | instskip(NEXT) | instid1(VALU_DEP_1)
	v_dual_mul_f32 v0, s5, v0 :: v_dual_and_b32 v15, 0xffff0000, v15
	v_bfe_u32 v1, v0, 16, 1
	v_or_b32_e32 v5, 0x400000, v0
	v_cmp_u_f32_e64 s4, v0, v0
	s_delay_alu instid0(VALU_DEP_3) | instskip(SKIP_2) | instid1(VALU_DEP_2)
	v_add3_u32 v1, v1, v0, 0x7fff
	v_bfe_u32 v0, v2, 16, 8
	s_wait_alu 0xf1ff
	v_cndmask_b32_e64 v14, v1, v5, s4
	s_delay_alu instid0(VALU_DEP_2) | instskip(NEXT) | instid1(VALU_DEP_2)
	v_cvt_f32_fp8_e32 v0, v0
	v_and_b32_e32 v14, 0xffff0000, v14
	s_delay_alu instid0(VALU_DEP_2) | instskip(NEXT) | instid1(VALU_DEP_1)
	v_mul_f32_e32 v0, s5, v0
	v_bfe_u32 v1, v0, 16, 1
	v_or_b32_e32 v5, 0x400000, v0
	v_cmp_u_f32_e64 s4, v0, v0
	s_delay_alu instid0(VALU_DEP_3) | instskip(SKIP_2) | instid1(VALU_DEP_2)
	v_add3_u32 v1, v1, v0, 0x7fff
	v_lshrrev_b32_e32 v0, 24, v2
	s_wait_alu 0xf1ff
	v_cndmask_b32_e64 v13, v1, v5, s4
	s_delay_alu instid0(VALU_DEP_2) | instskip(NEXT) | instid1(VALU_DEP_1)
	v_cvt_f32_fp8_e32 v0, v0
	v_dual_mul_f32 v0, s5, v0 :: v_dual_and_b32 v13, 0xffff0000, v13
	s_delay_alu instid0(VALU_DEP_1) | instskip(SKIP_2) | instid1(VALU_DEP_3)
	v_bfe_u32 v1, v0, 16, 1
	v_or_b32_e32 v2, 0x400000, v0
	v_cmp_u_f32_e64 s4, v0, v0
	v_add3_u32 v1, v1, v0, 0x7fff
	v_and_b32_e32 v0, 0xff, v3
	s_wait_alu 0xf1ff
	s_delay_alu instid0(VALU_DEP_2) | instskip(NEXT) | instid1(VALU_DEP_2)
	v_cndmask_b32_e64 v12, v1, v2, s4
	v_cvt_f32_fp8_e32 v0, v0
	s_delay_alu instid0(VALU_DEP_2) | instskip(NEXT) | instid1(VALU_DEP_2)
	v_and_b32_e32 v12, 0xffff0000, v12
	v_mul_f32_e32 v0, s5, v0
	s_delay_alu instid0(VALU_DEP_1) | instskip(SKIP_2) | instid1(VALU_DEP_3)
	v_bfe_u32 v1, v0, 16, 1
	v_or_b32_e32 v2, 0x400000, v0
	v_cmp_u_f32_e64 s4, v0, v0
	v_add3_u32 v1, v1, v0, 0x7fff
	v_bfe_u32 v0, v3, 8, 8
	s_wait_alu 0xf1ff
	s_delay_alu instid0(VALU_DEP_2) | instskip(NEXT) | instid1(VALU_DEP_2)
	v_cndmask_b32_e64 v11, v1, v2, s4
	v_cvt_f32_fp8_e32 v0, v0
	s_delay_alu instid0(VALU_DEP_1) | instskip(NEXT) | instid1(VALU_DEP_1)
	v_dual_mul_f32 v0, s5, v0 :: v_dual_and_b32 v11, 0xffff0000, v11
	v_bfe_u32 v1, v0, 16, 1
	v_or_b32_e32 v2, 0x400000, v0
	v_cmp_u_f32_e64 s4, v0, v0
	s_delay_alu instid0(VALU_DEP_3) | instskip(SKIP_2) | instid1(VALU_DEP_2)
	v_add3_u32 v1, v1, v0, 0x7fff
	v_bfe_u32 v0, v3, 16, 8
	s_wait_alu 0xf1ff
	v_cndmask_b32_e64 v10, v1, v2, s4
	s_delay_alu instid0(VALU_DEP_2) | instskip(NEXT) | instid1(VALU_DEP_2)
	v_cvt_f32_fp8_e32 v0, v0
	v_and_b32_e32 v10, 0xffff0000, v10
	s_delay_alu instid0(VALU_DEP_2) | instskip(NEXT) | instid1(VALU_DEP_1)
	v_mul_f32_e32 v0, s5, v0
	v_bfe_u32 v1, v0, 16, 1
	v_or_b32_e32 v2, 0x400000, v0
	v_cmp_u_f32_e64 s4, v0, v0
	s_delay_alu instid0(VALU_DEP_3) | instskip(SKIP_2) | instid1(VALU_DEP_2)
	v_add3_u32 v1, v1, v0, 0x7fff
	v_lshrrev_b32_e32 v0, 24, v3
	s_wait_alu 0xf1ff
	v_cndmask_b32_e64 v6, v1, v2, s4
	s_delay_alu instid0(VALU_DEP_2) | instskip(NEXT) | instid1(VALU_DEP_2)
	v_cvt_f32_fp8_e32 v0, v0
	v_and_b32_e32 v6, 0xffff0000, v6
	s_delay_alu instid0(VALU_DEP_2) | instskip(NEXT) | instid1(VALU_DEP_1)
	v_mul_f32_e32 v0, s5, v0
	v_bfe_u32 v1, v0, 16, 1
	v_or_b32_e32 v2, 0x400000, v0
	v_cmp_u_f32_e64 s4, v0, v0
	s_delay_alu instid0(VALU_DEP_3) | instskip(SKIP_2) | instid1(VALU_DEP_2)
	v_add3_u32 v1, v1, v0, 0x7fff
	v_and_b32_e32 v0, 0xff, v4
	s_wait_alu 0xf1ff
	v_cndmask_b32_e64 v5, v1, v2, s4
	s_delay_alu instid0(VALU_DEP_2) | instskip(NEXT) | instid1(VALU_DEP_1)
	v_cvt_f32_fp8_e32 v0, v0
	v_dual_mul_f32 v0, s5, v0 :: v_dual_and_b32 v5, 0xffff0000, v5
	s_delay_alu instid0(VALU_DEP_1) | instskip(SKIP_2) | instid1(VALU_DEP_3)
	v_bfe_u32 v1, v0, 16, 1
	v_or_b32_e32 v2, 0x400000, v0
	v_cmp_u_f32_e64 s4, v0, v0
	v_add3_u32 v1, v1, v0, 0x7fff
	v_bfe_u32 v0, v4, 8, 8
	s_wait_alu 0xf1ff
	s_delay_alu instid0(VALU_DEP_2) | instskip(NEXT) | instid1(VALU_DEP_2)
	v_cndmask_b32_e64 v3, v1, v2, s4
	v_cvt_f32_fp8_e32 v0, v0
	s_delay_alu instid0(VALU_DEP_1) | instskip(NEXT) | instid1(VALU_DEP_1)
	v_dual_mul_f32 v0, s5, v0 :: v_dual_and_b32 v3, 0xffff0000, v3
	v_bfe_u32 v1, v0, 16, 1
	v_or_b32_e32 v2, 0x400000, v0
	v_cmp_u_f32_e64 s4, v0, v0
	s_delay_alu instid0(VALU_DEP_3) | instskip(SKIP_3) | instid1(VALU_DEP_3)
	v_add3_u32 v1, v1, v0, 0x7fff
	v_bfe_u32 v0, v4, 16, 8
	v_lshrrev_b32_e32 v4, 24, v4
	s_wait_alu 0xf1ff
	v_cndmask_b32_e64 v2, v1, v2, s4
	s_delay_alu instid0(VALU_DEP_3) | instskip(NEXT) | instid1(VALU_DEP_2)
	v_cvt_f32_fp8_e32 v0, v0
	v_and_b32_e32 v2, 0xffff0000, v2
	s_delay_alu instid0(VALU_DEP_2) | instskip(NEXT) | instid1(VALU_DEP_1)
	v_mul_f32_e32 v0, s5, v0
	v_bfe_u32 v1, v0, 16, 1
	v_or_b32_e32 v9, 0x400000, v0
	v_cmp_u_f32_e64 s4, v0, v0
	s_delay_alu instid0(VALU_DEP_3) | instskip(SKIP_2) | instid1(VALU_DEP_2)
	v_add3_u32 v1, v1, v0, 0x7fff
	v_cvt_f32_fp8_e32 v0, v4
	s_wait_alu 0xf1ff
	v_cndmask_b32_e64 v1, v1, v9, s4
	s_delay_alu instid0(VALU_DEP_2) | instskip(NEXT) | instid1(VALU_DEP_2)
	v_mul_f32_e32 v9, s5, v0
	v_and_b32_e32 v1, 0xffff0000, v1
	s_delay_alu instid0(VALU_DEP_2) | instskip(SKIP_1) | instid1(VALU_DEP_2)
	v_bfe_u32 v0, v9, 16, 1
	v_cmp_u_f32_e64 s4, v9, v9
	v_add3_u32 v4, v0, v9, 0x7fff
	v_or_b32_e32 v0, 0x400000, v9
	v_and_b32_e32 v9, 0xffff0000, v154
	v_and_b32_e32 v154, 0xffff0000, v155
	;; [unrolled: 1-line block ×4, first 2 shown]
	s_wait_alu 0xf1ff
	v_cndmask_b32_e64 v0, v4, v0, s4
	scratch_load_b32 v4, off, off offset:24 th:TH_LOAD_LU ; 4-byte Folded Reload
	v_and_b32_e32 v157, 0xffff0000, v158
	v_and_b32_e32 v158, 0xffff0000, v159
	;; [unrolled: 1-line block ×4, first 2 shown]
	v_cmp_gt_i32_e64 s4, s17, v91
	v_add_nc_u32_e32 v91, 0x80, v91
	s_wait_loadcnt 0x0
	v_and_b32_e32 v160, 0xffff0000, v4
	v_and_b32_e32 v4, 0xffff0000, v165
	;; [unrolled: 1-line block ×3, first 2 shown]
	scratch_load_b32 v177, off, off offset:336 ; 4-byte Folded Reload
	s_wait_loadcnt 0x0
	v_mul_f32_e32 v4, v177, v4
	scratch_load_b32 v177, off, off offset:304 ; 4-byte Folded Reload
	s_wait_loadcnt 0x0
	v_fmac_f32_e32 v4, v177, v9
	s_clause 0x1
	scratch_load_b32 v9, off, off offset:340
	scratch_load_b32 v177, off, off offset:344
	s_wait_loadcnt 0x1
	v_mul_f32_e32 v9, v9, v165
	scratch_load_b32 v165, off, off offset:308 ; 4-byte Folded Reload
	s_wait_loadcnt 0x0
	v_fmac_f32_e32 v9, v165, v154
	s_clause 0x1
	scratch_load_b32 v154, off, off offset:12 th:TH_LOAD_LU
	scratch_load_b32 v165, off, off offset:20 th:TH_LOAD_LU
	s_wait_loadcnt 0x1
	v_and_b32_e32 v154, 0xffff0000, v154
	s_wait_loadcnt 0x0
	s_delay_alu instid0(VALU_DEP_1)
	v_dual_mul_f32 v154, v177, v154 :: v_dual_and_b32 v165, 0xffff0000, v165
	scratch_load_b32 v177, off, off offset:312 ; 4-byte Folded Reload
	s_wait_loadcnt 0x0
	v_fmac_f32_e32 v154, v177, v155
	s_clause 0x1
	scratch_load_b32 v155, off, off offset:348
	scratch_load_b32 v177, off, off offset:352
	s_wait_loadcnt 0x1
	v_mul_f32_e32 v155, v155, v165
	scratch_load_b32 v165, off, off offset:316 ; 4-byte Folded Reload
	s_wait_loadcnt 0x0
	v_fmac_f32_e32 v155, v165, v156
	s_clause 0x1
	scratch_load_b32 v156, off, off offset:4 th:TH_LOAD_LU
	scratch_load_b32 v165, off, off offset:16 th:TH_LOAD_LU
	s_wait_loadcnt 0x1
	v_and_b32_e32 v156, 0xffff0000, v156
	s_wait_loadcnt 0x0
	s_delay_alu instid0(VALU_DEP_1)
	v_dual_mul_f32 v156, v177, v156 :: v_dual_and_b32 v165, 0xffff0000, v165
	scratch_load_b32 v177, off, off offset:320 ; 4-byte Folded Reload
	s_wait_loadcnt 0x0
	v_fmac_f32_e32 v156, v177, v157
	s_clause 0x1
	scratch_load_b32 v157, off, off offset:356
	scratch_load_b32 v177, off, off offset:360
	s_wait_loadcnt 0x1
	v_mul_f32_e32 v157, v157, v165
	scratch_load_b32 v165, off, off offset:324 ; 4-byte Folded Reload
	s_wait_loadcnt 0x0
	v_fmac_f32_e32 v157, v165, v158
	s_clause 0x1
	scratch_load_b32 v158, off, off th:TH_LOAD_LU
	scratch_load_b32 v165, off, off offset:8 th:TH_LOAD_LU
	s_wait_loadcnt 0x1
	v_and_b32_e32 v158, 0xffff0000, v158
	s_wait_loadcnt 0x0
	s_delay_alu instid0(VALU_DEP_1)
	v_dual_mul_f32 v158, v177, v158 :: v_dual_and_b32 v165, 0xffff0000, v165
	scratch_load_b32 v177, off, off offset:328 ; 4-byte Folded Reload
	s_wait_loadcnt 0x0
	v_fmac_f32_e32 v158, v177, v159
	s_clause 0x1
	scratch_load_b32 v159, off, off offset:364
	scratch_load_b32 v177, off, off offset:368
	s_wait_loadcnt 0x1
	v_mul_f32_e32 v159, v159, v165
	scratch_load_b32 v165, off, off offset:332 ; 4-byte Folded Reload
	s_wait_loadcnt 0x0
	v_fmac_f32_e32 v159, v165, v160
	s_clause 0x1
	scratch_load_b32 v160, off, off offset:28 th:TH_LOAD_LU
	scratch_load_b32 v165, off, off offset:32 th:TH_LOAD_LU
	s_wait_loadcnt 0x1
	v_and_b32_e32 v160, 0xffff0000, v160
	s_wait_loadcnt 0x0
	s_delay_alu instid0(VALU_DEP_1)
	v_dual_fmac_f32 v4, v177, v160 :: v_dual_and_b32 v165, 0xffff0000, v165
	s_clause 0x1
	scratch_load_b32 v160, off, off offset:372
	scratch_load_b32 v177, off, off offset:376
	s_wait_loadcnt 0x1
	v_fmac_f32_e32 v9, v160, v165
	s_clause 0x1
	scratch_load_b32 v160, off, off offset:36 th:TH_LOAD_LU
	scratch_load_b32 v165, off, off offset:40 th:TH_LOAD_LU
	s_wait_loadcnt 0x1
	v_and_b32_e32 v160, 0xffff0000, v160
	s_wait_loadcnt 0x0
	s_delay_alu instid0(VALU_DEP_1)
	v_dual_fmac_f32 v154, v177, v160 :: v_dual_and_b32 v165, 0xffff0000, v165
	s_clause 0x1
	scratch_load_b32 v160, off, off offset:380
	scratch_load_b32 v177, off, off offset:384
	s_wait_loadcnt 0x1
	v_fmac_f32_e32 v155, v160, v165
	s_clause 0x1
	scratch_load_b32 v160, off, off offset:44 th:TH_LOAD_LU
	scratch_load_b32 v165, off, off offset:48 th:TH_LOAD_LU
	s_wait_loadcnt 0x1
	v_and_b32_e32 v160, 0xffff0000, v160
	s_wait_loadcnt 0x0
	s_delay_alu instid0(VALU_DEP_1)
	v_dual_fmac_f32 v156, v177, v160 :: v_dual_and_b32 v165, 0xffff0000, v165
	s_clause 0x1
	scratch_load_b32 v160, off, off offset:388
	scratch_load_b32 v177, off, off offset:392
	s_wait_loadcnt 0x1
	v_fmac_f32_e32 v157, v160, v165
	s_clause 0x1
	scratch_load_b32 v160, off, off offset:52 th:TH_LOAD_LU
	scratch_load_b32 v165, off, off offset:56 th:TH_LOAD_LU
	s_wait_loadcnt 0x1
	v_and_b32_e32 v160, 0xffff0000, v160
	s_wait_loadcnt 0x0
	s_delay_alu instid0(VALU_DEP_1)
	v_dual_fmac_f32 v158, v177, v160 :: v_dual_and_b32 v165, 0xffff0000, v165
	s_clause 0x1
	scratch_load_b32 v160, off, off offset:396
	scratch_load_b32 v177, off, off offset:400
	s_wait_loadcnt 0x1
	v_fmac_f32_e32 v159, v160, v165
	s_clause 0x1
	scratch_load_b32 v160, off, off offset:60 th:TH_LOAD_LU
	scratch_load_b32 v165, off, off offset:64 th:TH_LOAD_LU
	s_wait_loadcnt 0x1
	v_and_b32_e32 v160, 0xffff0000, v160
	s_wait_loadcnt 0x0
	s_delay_alu instid0(VALU_DEP_1)
	v_dual_fmac_f32 v4, v177, v160 :: v_dual_and_b32 v165, 0xffff0000, v165
	s_clause 0x1
	scratch_load_b32 v160, off, off offset:404
	scratch_load_b32 v177, off, off offset:408
	s_wait_loadcnt 0x1
	v_fmac_f32_e32 v9, v160, v165
	s_clause 0x1
	scratch_load_b32 v160, off, off offset:68 th:TH_LOAD_LU
	scratch_load_b32 v165, off, off offset:72 th:TH_LOAD_LU
	s_wait_loadcnt 0x1
	v_and_b32_e32 v160, 0xffff0000, v160
	s_wait_loadcnt 0x0
	s_delay_alu instid0(VALU_DEP_1)
	v_dual_fmac_f32 v154, v177, v160 :: v_dual_and_b32 v165, 0xffff0000, v165
	s_clause 0x1
	scratch_load_b32 v160, off, off offset:412
	scratch_load_b32 v177, off, off offset:416
	s_wait_loadcnt 0x1
	v_fmac_f32_e32 v155, v160, v165
	s_clause 0x1
	scratch_load_b32 v160, off, off offset:76 th:TH_LOAD_LU
	scratch_load_b32 v165, off, off offset:80 th:TH_LOAD_LU
	s_wait_loadcnt 0x1
	v_and_b32_e32 v160, 0xffff0000, v160
	s_wait_loadcnt 0x0
	s_delay_alu instid0(VALU_DEP_1)
	v_dual_fmac_f32 v156, v177, v160 :: v_dual_and_b32 v165, 0xffff0000, v165
	s_clause 0x1
	scratch_load_b32 v160, off, off offset:420
	scratch_load_b32 v177, off, off offset:424
	s_wait_loadcnt 0x1
	v_fmac_f32_e32 v157, v160, v165
	s_clause 0x1
	scratch_load_b32 v160, off, off offset:84 th:TH_LOAD_LU
	scratch_load_b32 v165, off, off offset:88 th:TH_LOAD_LU
	s_wait_loadcnt 0x1
	v_and_b32_e32 v160, 0xffff0000, v160
	s_wait_loadcnt 0x0
	s_delay_alu instid0(VALU_DEP_1)
	v_dual_fmac_f32 v158, v177, v160 :: v_dual_and_b32 v165, 0xffff0000, v165
	s_clause 0x1
	scratch_load_b32 v160, off, off offset:428
	scratch_load_b32 v177, off, off offset:432
	s_wait_loadcnt 0x1
	v_fmac_f32_e32 v159, v160, v165
	s_clause 0x1
	scratch_load_b32 v160, off, off offset:92 th:TH_LOAD_LU
	scratch_load_b32 v165, off, off offset:100 th:TH_LOAD_LU
	s_wait_loadcnt 0x1
	v_and_b32_e32 v160, 0xffff0000, v160
	s_wait_loadcnt 0x0
	s_delay_alu instid0(VALU_DEP_1)
	v_dual_fmac_f32 v4, v177, v160 :: v_dual_and_b32 v165, 0xffff0000, v165
	s_clause 0x1
	scratch_load_b32 v160, off, off offset:436
	scratch_load_b32 v177, off, off offset:440
	s_wait_loadcnt 0x1
	v_fmac_f32_e32 v9, v160, v165
	s_clause 0x1
	scratch_load_b32 v160, off, off offset:96 th:TH_LOAD_LU
	scratch_load_b32 v165, off, off offset:108 th:TH_LOAD_LU
	s_wait_loadcnt 0x1
	v_and_b32_e32 v160, 0xffff0000, v160
	s_wait_loadcnt 0x0
	s_delay_alu instid0(VALU_DEP_1)
	v_dual_fmac_f32 v154, v177, v160 :: v_dual_and_b32 v165, 0xffff0000, v165
	s_clause 0x1
	scratch_load_b32 v160, off, off offset:444
	scratch_load_b32 v177, off, off offset:448
	s_wait_loadcnt 0x1
	v_fmac_f32_e32 v155, v160, v165
	s_clause 0x1
	scratch_load_b32 v160, off, off offset:104 th:TH_LOAD_LU
	scratch_load_b32 v165, off, off offset:116 th:TH_LOAD_LU
	s_wait_loadcnt 0x1
	v_and_b32_e32 v160, 0xffff0000, v160
	s_wait_loadcnt 0x0
	s_delay_alu instid0(VALU_DEP_1)
	v_dual_fmac_f32 v156, v177, v160 :: v_dual_and_b32 v165, 0xffff0000, v165
	s_clause 0x1
	scratch_load_b32 v160, off, off offset:452
	scratch_load_b32 v177, off, off offset:456
	s_wait_loadcnt 0x1
	v_fmac_f32_e32 v157, v160, v165
	s_clause 0x1
	scratch_load_b32 v160, off, off offset:112 th:TH_LOAD_LU
	scratch_load_b32 v165, off, off offset:124 th:TH_LOAD_LU
	s_wait_loadcnt 0x1
	v_and_b32_e32 v160, 0xffff0000, v160
	s_wait_loadcnt 0x0
	s_delay_alu instid0(VALU_DEP_1)
	v_dual_fmac_f32 v158, v177, v160 :: v_dual_and_b32 v165, 0xffff0000, v165
	s_clause 0x1
	scratch_load_b32 v160, off, off offset:460
	scratch_load_b32 v177, off, off offset:464
	s_wait_loadcnt 0x1
	v_fmac_f32_e32 v159, v160, v165
	s_clause 0x1
	scratch_load_b32 v160, off, off offset:120 th:TH_LOAD_LU
	scratch_load_b32 v165, off, off offset:132 th:TH_LOAD_LU
	s_wait_loadcnt 0x1
	v_and_b32_e32 v160, 0xffff0000, v160
	s_wait_loadcnt 0x0
	s_delay_alu instid0(VALU_DEP_1)
	v_dual_fmac_f32 v4, v177, v160 :: v_dual_and_b32 v165, 0xffff0000, v165
	s_clause 0x1
	scratch_load_b32 v160, off, off offset:468
	scratch_load_b32 v177, off, off offset:472
	s_wait_loadcnt 0x1
	v_fmac_f32_e32 v9, v160, v165
	s_clause 0x1
	scratch_load_b32 v160, off, off offset:128 th:TH_LOAD_LU
	scratch_load_b32 v165, off, off offset:140 th:TH_LOAD_LU
	s_wait_loadcnt 0x1
	v_and_b32_e32 v160, 0xffff0000, v160
	s_wait_loadcnt 0x0
	s_delay_alu instid0(VALU_DEP_1)
	v_dual_fmac_f32 v154, v177, v160 :: v_dual_and_b32 v165, 0xffff0000, v165
	s_clause 0x1
	scratch_load_b32 v160, off, off offset:476
	scratch_load_b32 v177, off, off offset:480
	s_wait_loadcnt 0x1
	v_fmac_f32_e32 v155, v160, v165
	s_clause 0x1
	scratch_load_b32 v160, off, off offset:136 th:TH_LOAD_LU
	scratch_load_b32 v165, off, off offset:148 th:TH_LOAD_LU
	s_wait_loadcnt 0x1
	v_and_b32_e32 v160, 0xffff0000, v160
	s_wait_loadcnt 0x0
	s_delay_alu instid0(VALU_DEP_1)
	v_dual_fmac_f32 v156, v177, v160 :: v_dual_and_b32 v165, 0xffff0000, v165
	s_clause 0x1
	scratch_load_b32 v160, off, off offset:484
	scratch_load_b32 v177, off, off offset:488
	s_wait_loadcnt 0x1
	v_fmac_f32_e32 v157, v160, v165
	s_clause 0x1
	scratch_load_b32 v160, off, off offset:144 th:TH_LOAD_LU
	scratch_load_b32 v165, off, off offset:152 th:TH_LOAD_LU
	s_wait_loadcnt 0x1
	v_and_b32_e32 v160, 0xffff0000, v160
	s_wait_loadcnt 0x0
	s_delay_alu instid0(VALU_DEP_1)
	v_dual_fmac_f32 v158, v177, v160 :: v_dual_and_b32 v165, 0xffff0000, v165
	s_clause 0x1
	scratch_load_b32 v160, off, off offset:492
	scratch_load_b32 v177, off, off offset:496
	s_wait_loadcnt 0x1
	v_fmac_f32_e32 v159, v160, v165
	s_clause 0x1
	scratch_load_b32 v160, off, off offset:156 th:TH_LOAD_LU
	scratch_load_b32 v165, off, off offset:160 th:TH_LOAD_LU
	s_wait_loadcnt 0x1
	v_and_b32_e32 v160, 0xffff0000, v160
	s_wait_loadcnt 0x0
	s_delay_alu instid0(VALU_DEP_1)
	v_dual_fmac_f32 v4, v177, v160 :: v_dual_and_b32 v165, 0xffff0000, v165
	s_clause 0x1
	scratch_load_b32 v160, off, off offset:500
	scratch_load_b32 v177, off, off offset:504
	s_wait_loadcnt 0x1
	v_fmac_f32_e32 v9, v160, v165
	s_clause 0x1
	scratch_load_b32 v160, off, off offset:164 th:TH_LOAD_LU
	scratch_load_b32 v165, off, off offset:168 th:TH_LOAD_LU
	s_wait_loadcnt 0x1
	v_and_b32_e32 v160, 0xffff0000, v160
	s_wait_loadcnt 0x0
	s_delay_alu instid0(VALU_DEP_1)
	v_dual_fmac_f32 v154, v177, v160 :: v_dual_and_b32 v165, 0xffff0000, v165
	s_clause 0x1
	scratch_load_b32 v160, off, off offset:508
	scratch_load_b32 v177, off, off offset:512
	s_wait_loadcnt 0x1
	v_fmac_f32_e32 v155, v160, v165
	s_clause 0x1
	scratch_load_b32 v160, off, off offset:172 th:TH_LOAD_LU
	scratch_load_b32 v165, off, off offset:176 th:TH_LOAD_LU
	s_wait_loadcnt 0x1
	v_and_b32_e32 v160, 0xffff0000, v160
	s_wait_loadcnt 0x0
	s_delay_alu instid0(VALU_DEP_1)
	v_dual_fmac_f32 v156, v177, v160 :: v_dual_and_b32 v165, 0xffff0000, v165
	s_clause 0x1
	scratch_load_b32 v160, off, off offset:516
	scratch_load_b32 v177, off, off offset:520
	s_wait_loadcnt 0x1
	v_fmac_f32_e32 v157, v160, v165
	s_clause 0x1
	scratch_load_b32 v160, off, off offset:180 th:TH_LOAD_LU
	scratch_load_b32 v165, off, off offset:184 th:TH_LOAD_LU
	s_wait_loadcnt 0x1
	v_and_b32_e32 v160, 0xffff0000, v160
	s_wait_loadcnt 0x0
	s_delay_alu instid0(VALU_DEP_1)
	v_dual_fmac_f32 v158, v177, v160 :: v_dual_and_b32 v165, 0xffff0000, v165
	s_clause 0x1
	scratch_load_b32 v160, off, off offset:524
	scratch_load_b32 v177, off, off offset:528
	s_wait_loadcnt 0x1
	v_fmac_f32_e32 v159, v160, v165
	s_clause 0x1
	scratch_load_b32 v160, off, off offset:188 th:TH_LOAD_LU
	scratch_load_b32 v165, off, off offset:192 th:TH_LOAD_LU
	s_wait_loadcnt 0x1
	v_and_b32_e32 v160, 0xffff0000, v160
	s_wait_loadcnt 0x0
	s_delay_alu instid0(VALU_DEP_1)
	v_dual_fmac_f32 v4, v177, v160 :: v_dual_and_b32 v165, 0xffff0000, v165
	s_clause 0x1
	scratch_load_b32 v160, off, off offset:532
	scratch_load_b32 v177, off, off offset:536
	s_wait_loadcnt 0x1
	v_fmac_f32_e32 v9, v160, v165
	s_clause 0x1
	scratch_load_b32 v160, off, off offset:196 th:TH_LOAD_LU
	scratch_load_b32 v165, off, off offset:200 th:TH_LOAD_LU
	s_wait_loadcnt 0x1
	v_and_b32_e32 v160, 0xffff0000, v160
	s_wait_loadcnt 0x0
	s_delay_alu instid0(VALU_DEP_1)
	v_dual_fmac_f32 v154, v177, v160 :: v_dual_and_b32 v165, 0xffff0000, v165
	s_clause 0x1
	scratch_load_b32 v160, off, off offset:540
	scratch_load_b32 v177, off, off offset:544
	s_wait_loadcnt 0x1
	v_fmac_f32_e32 v155, v160, v165
	s_clause 0x1
	scratch_load_b32 v160, off, off offset:204 th:TH_LOAD_LU
	scratch_load_b32 v165, off, off offset:208 th:TH_LOAD_LU
	s_wait_loadcnt 0x1
	v_and_b32_e32 v160, 0xffff0000, v160
	s_wait_loadcnt 0x0
	s_delay_alu instid0(VALU_DEP_1)
	v_dual_fmac_f32 v156, v177, v160 :: v_dual_and_b32 v165, 0xffff0000, v165
	s_clause 0x1
	scratch_load_b32 v160, off, off offset:548
	scratch_load_b32 v177, off, off offset:552
	s_wait_loadcnt 0x1
	v_fmac_f32_e32 v157, v160, v165
	s_clause 0x1
	scratch_load_b32 v160, off, off offset:212 th:TH_LOAD_LU
	scratch_load_b32 v165, off, off offset:216 th:TH_LOAD_LU
	s_wait_loadcnt 0x1
	v_and_b32_e32 v160, 0xffff0000, v160
	s_wait_loadcnt 0x0
	s_delay_alu instid0(VALU_DEP_1)
	v_dual_fmac_f32 v158, v177, v160 :: v_dual_and_b32 v165, 0xffff0000, v165
	s_clause 0x1
	scratch_load_b32 v160, off, off offset:556
	scratch_load_b32 v177, off, off offset:560
	s_wait_loadcnt 0x1
	v_fmac_f32_e32 v159, v160, v165
	s_clause 0x1
	scratch_load_b32 v160, off, off offset:220 th:TH_LOAD_LU
	scratch_load_b32 v165, off, off offset:228 th:TH_LOAD_LU
	s_wait_loadcnt 0x1
	v_and_b32_e32 v160, 0xffff0000, v160
	s_wait_loadcnt 0x0
	s_delay_alu instid0(VALU_DEP_1)
	v_dual_fmac_f32 v4, v177, v160 :: v_dual_and_b32 v165, 0xffff0000, v165
	s_clause 0x1
	scratch_load_b32 v160, off, off offset:564
	scratch_load_b32 v177, off, off offset:568
	s_wait_loadcnt 0x1
	v_fmac_f32_e32 v9, v160, v165
	s_clause 0x1
	scratch_load_b32 v160, off, off offset:224 th:TH_LOAD_LU
	scratch_load_b32 v165, off, off offset:236 th:TH_LOAD_LU
	s_wait_loadcnt 0x1
	v_and_b32_e32 v160, 0xffff0000, v160
	s_wait_loadcnt 0x0
	s_delay_alu instid0(VALU_DEP_1)
	v_dual_fmac_f32 v154, v177, v160 :: v_dual_and_b32 v165, 0xffff0000, v165
	s_clause 0x1
	scratch_load_b32 v160, off, off offset:572
	scratch_load_b32 v177, off, off offset:576
	s_wait_loadcnt 0x1
	v_fmac_f32_e32 v155, v160, v165
	s_clause 0x1
	scratch_load_b32 v160, off, off offset:232 th:TH_LOAD_LU
	scratch_load_b32 v165, off, off offset:244 th:TH_LOAD_LU
	s_wait_loadcnt 0x1
	v_and_b32_e32 v160, 0xffff0000, v160
	s_wait_loadcnt 0x0
	s_delay_alu instid0(VALU_DEP_1)
	v_dual_fmac_f32 v156, v177, v160 :: v_dual_and_b32 v165, 0xffff0000, v165
	s_clause 0x1
	scratch_load_b32 v160, off, off offset:580
	scratch_load_b32 v177, off, off offset:584
	s_wait_loadcnt 0x1
	v_fmac_f32_e32 v157, v160, v165
	s_clause 0x1
	scratch_load_b32 v160, off, off offset:240 th:TH_LOAD_LU
	scratch_load_b32 v165, off, off offset:252 th:TH_LOAD_LU
	s_wait_loadcnt 0x1
	v_and_b32_e32 v160, 0xffff0000, v160
	s_wait_loadcnt 0x0
	s_delay_alu instid0(VALU_DEP_1)
	v_dual_fmac_f32 v158, v177, v160 :: v_dual_and_b32 v165, 0xffff0000, v165
	s_clause 0x1
	scratch_load_b32 v160, off, off offset:588
	scratch_load_b32 v177, off, off offset:592
	s_wait_loadcnt 0x1
	v_fmac_f32_e32 v159, v160, v165
	s_clause 0x1
	scratch_load_b32 v160, off, off offset:248 th:TH_LOAD_LU
	scratch_load_b32 v165, off, off offset:260 th:TH_LOAD_LU
	s_wait_loadcnt 0x1
	v_and_b32_e32 v160, 0xffff0000, v160
	s_wait_loadcnt 0x0
	s_delay_alu instid0(VALU_DEP_1)
	v_dual_fmac_f32 v4, v177, v160 :: v_dual_and_b32 v165, 0xffff0000, v165
	s_clause 0x1
	scratch_load_b32 v160, off, off offset:596
	scratch_load_b32 v177, off, off offset:600
	s_wait_loadcnt 0x1
	v_fmac_f32_e32 v9, v160, v165
	s_clause 0x1
	scratch_load_b32 v160, off, off offset:256 th:TH_LOAD_LU
	scratch_load_b32 v165, off, off offset:268 th:TH_LOAD_LU
	s_wait_loadcnt 0x1
	v_and_b32_e32 v160, 0xffff0000, v160
	s_wait_loadcnt 0x0
	s_delay_alu instid0(VALU_DEP_1)
	v_dual_fmac_f32 v154, v177, v160 :: v_dual_and_b32 v165, 0xffff0000, v165
	s_clause 0x1
	scratch_load_b32 v160, off, off offset:604
	scratch_load_b32 v177, off, off offset:608
	s_wait_loadcnt 0x1
	v_fmac_f32_e32 v155, v160, v165
	s_clause 0x1
	scratch_load_b32 v160, off, off offset:264 th:TH_LOAD_LU
	scratch_load_b32 v165, off, off offset:276 th:TH_LOAD_LU
	s_wait_loadcnt 0x1
	v_and_b32_e32 v160, 0xffff0000, v160
	s_wait_loadcnt 0x0
	s_delay_alu instid0(VALU_DEP_1)
	v_dual_fmac_f32 v156, v177, v160 :: v_dual_and_b32 v165, 0xffff0000, v165
	s_clause 0x1
	scratch_load_b32 v160, off, off offset:612
	scratch_load_b32 v177, off, off offset:616
	s_wait_loadcnt 0x1
	v_fmac_f32_e32 v157, v160, v165
	s_clause 0x1
	scratch_load_b32 v160, off, off offset:272 th:TH_LOAD_LU
	scratch_load_b32 v165, off, off offset:280 th:TH_LOAD_LU
	s_wait_loadcnt 0x1
	v_and_b32_e32 v160, 0xffff0000, v160
	s_wait_loadcnt 0x0
	s_delay_alu instid0(VALU_DEP_1)
	v_dual_fmac_f32 v158, v177, v160 :: v_dual_and_b32 v165, 0xffff0000, v165
	s_clause 0x1
	scratch_load_b32 v160, off, off offset:620
	scratch_load_b32 v177, off, off offset:624
	s_wait_loadcnt 0x1
	v_fmac_f32_e32 v159, v160, v165
	s_clause 0x1
	scratch_load_b32 v160, off, off offset:284 th:TH_LOAD_LU
	scratch_load_b32 v165, off, off offset:288 th:TH_LOAD_LU
	s_wait_loadcnt 0x1
	v_and_b32_e32 v160, 0xffff0000, v160
	s_wait_loadcnt 0x0
	s_delay_alu instid0(VALU_DEP_1)
	v_dual_fmac_f32 v4, v177, v160 :: v_dual_and_b32 v165, 0xffff0000, v165
	s_clause 0x1
	scratch_load_b32 v160, off, off offset:628
	scratch_load_b32 v177, off, off offset:632
	s_wait_loadcnt 0x1
	v_fmac_f32_e32 v9, v160, v165
	scratch_load_b32 v160, off, off offset:292 th:TH_LOAD_LU ; 4-byte Folded Reload
	v_and_b32_e32 v165, 0xffff0000, v178
	s_wait_loadcnt 0x0
	v_and_b32_e32 v160, 0xffff0000, v160
	s_delay_alu instid0(VALU_DEP_1)
	v_fmac_f32_e32 v154, v177, v160
	s_clause 0x1
	scratch_load_b32 v160, off, off offset:636
	scratch_load_b32 v177, off, off offset:640
	s_wait_loadcnt 0x1
	v_dual_fmac_f32 v155, v160, v165 :: v_dual_and_b32 v160, 0xffff0000, v179
	v_and_b32_e32 v165, 0xffff0000, v180
	s_wait_loadcnt 0x0
	s_delay_alu instid0(VALU_DEP_2)
	v_fmac_f32_e32 v156, v177, v160
	s_clause 0x1
	scratch_load_b32 v160, off, off offset:644
	scratch_load_b32 v177, off, off offset:648
	s_wait_loadcnt 0x1
	v_fmac_f32_e32 v157, v160, v165
	v_and_b32_e32 v160, 0xffff0000, v181
	s_wait_loadcnt 0x0
	s_delay_alu instid0(VALU_DEP_1)
	v_dual_fmac_f32 v158, v177, v160 :: v_dual_and_b32 v165, 0xffff0000, v182
	s_clause 0x1
	scratch_load_b32 v160, off, off offset:652
	scratch_load_b32 v177, off, off offset:656
	s_wait_loadcnt 0x1
	v_dual_fmac_f32 v159, v160, v165 :: v_dual_and_b32 v160, 0xffff0000, v183
	v_and_b32_e32 v165, 0xffff0000, v184
	s_wait_loadcnt 0x0
	s_delay_alu instid0(VALU_DEP_2)
	v_fmac_f32_e32 v4, v177, v160
	s_clause 0x1
	scratch_load_b32 v160, off, off offset:660
	scratch_load_b32 v177, off, off offset:664
	s_wait_loadcnt 0x1
	v_fmac_f32_e32 v9, v160, v165
	v_and_b32_e32 v160, 0xffff0000, v185
	s_wait_loadcnt 0x0
	s_delay_alu instid0(VALU_DEP_1)
	v_dual_fmac_f32 v154, v177, v160 :: v_dual_and_b32 v165, 0xffff0000, v186
	;; [unrolled: 18-line block ×3, first 2 shown]
	scratch_load_b32 v160, off, off offset:684 ; 4-byte Folded Reload
	s_wait_loadcnt 0x0
	v_fmac_f32_e32 v159, v160, v165
	v_and_b32_e32 v165, 0xffff0000, v175
	scratch_load_b32 v175, off, off offset:688 ; 4-byte Folded Reload
	v_and_b32_e32 v160, 0xffff0000, v191
	s_wait_loadcnt 0x0
	s_delay_alu instid0(VALU_DEP_1)
	v_fmac_f32_e32 v4, v175, v160
	scratch_load_b32 v160, off, off offset:692 ; 4-byte Folded Reload
	s_wait_loadcnt 0x0
	v_fmac_f32_e32 v9, v160, v165
	v_and_b32_e32 v165, 0xffff0000, v173
	scratch_load_b32 v173, off, off offset:696 ; 4-byte Folded Reload
	v_and_b32_e32 v160, 0xffff0000, v176
	s_wait_loadcnt 0x0
	s_delay_alu instid0(VALU_DEP_1)
	v_fmac_f32_e32 v154, v173, v160
	;; [unrolled: 9-line block ×5, first 2 shown]
	scratch_load_b32 v160, off, off offset:724 ; 4-byte Folded Reload
	s_wait_loadcnt 0x0
	v_fmac_f32_e32 v9, v160, v165
	scratch_load_b32 v165, off, off offset:728 ; 4-byte Folded Reload
	v_and_b32_e32 v160, 0xffff0000, v167
	s_wait_loadcnt 0x0
	s_delay_alu instid0(VALU_DEP_1)
	v_fmac_f32_e32 v154, v165, v160
	scratch_load_b32 v160, off, off offset:732 ; 4-byte Folded Reload
	s_wait_loadcnt 0x0
	v_fmac_f32_e32 v155, v160, v163
	scratch_load_b32 v163, off, off offset:736 ; 4-byte Folded Reload
	v_and_b32_e32 v160, 0xffff0000, v164
	s_wait_loadcnt 0x0
	s_delay_alu instid0(VALU_DEP_1)
	v_fmac_f32_e32 v156, v163, v160
	scratch_load_b32 v160, off, off offset:740 ; 4-byte Folded Reload
	s_wait_loadcnt 0x0
	v_dual_fmac_f32 v157, v160, v162 :: v_dual_and_b32 v160, 0xffff0000, v161
	scratch_load_b32 v161, off, off offset:744 ; 4-byte Folded Reload
	s_wait_loadcnt 0x0
	v_fmac_f32_e32 v158, v161, v160
	scratch_load_b32 v160, off, off offset:748 ; 4-byte Folded Reload
	s_wait_loadcnt 0x0
	v_fmac_f32_e32 v159, v160, v153
	;; [unrolled: 3-line block ×19, first 2 shown]
	scratch_load_b32 v136, off, off offset:820 ; 4-byte Folded Reload
	s_wait_loadcnt 0x0
	v_dual_fmac_f32 v9, v136, v134 :: v_dual_and_b32 v134, 0xffff0000, v135
	scratch_load_b32 v135, off, off offset:824 ; 4-byte Folded Reload
	s_wait_loadcnt 0x0
	v_fmac_f32_e32 v154, v135, v134
	scratch_load_b32 v134, off, off offset:828 ; 4-byte Folded Reload
	s_wait_loadcnt 0x0
	v_dual_fmac_f32 v155, v134, v132 :: v_dual_and_b32 v132, 0xffff0000, v133
	scratch_load_b32 v133, off, off offset:832 ; 4-byte Folded Reload
	s_wait_loadcnt 0x0
	v_fmac_f32_e32 v156, v133, v132
	;; [unrolled: 6-line block ×7, first 2 shown]
	scratch_load_b32 v122, off, off offset:876 ; 4-byte Folded Reload
	s_wait_loadcnt 0x0
	v_fmac_f32_e32 v159, v122, v121
	scratch_load_b32 v121, off, off offset:880 ; 4-byte Folded Reload
	s_wait_loadcnt 0x0
	v_fmac_f32_e32 v4, v121, v120
	;; [unrolled: 3-line block ×18, first 2 shown]
	scratch_load_b32 v104, off, off offset:948 ; 4-byte Folded Reload
	s_wait_loadcnt 0x0
	v_dual_fmac_f32 v9, v104, v102 :: v_dual_and_b32 v102, 0xffff0000, v103
	scratch_load_b32 v103, off, off offset:952 ; 4-byte Folded Reload
	s_wait_loadcnt 0x0
	v_fmac_f32_e32 v154, v103, v102
	scratch_load_b32 v102, off, off offset:956 ; 4-byte Folded Reload
	s_wait_loadcnt 0x0
	v_dual_fmac_f32 v155, v102, v100 :: v_dual_and_b32 v100, 0xffff0000, v101
	scratch_load_b32 v101, off, off offset:960 ; 4-byte Folded Reload
	s_wait_loadcnt 0x0
	v_fmac_f32_e32 v156, v101, v100
	;; [unrolled: 6-line block ×5, first 2 shown]
	scratch_load_b32 v82, off, off offset:988 ; 4-byte Folded Reload
	s_wait_loadcnt 0x0
	v_fmac_f32_e32 v155, v82, v84
	scratch_load_b32 v84, off, off offset:992 ; 4-byte Folded Reload
	v_and_b32_e32 v82, 0xffff0000, v83
	v_and_b32_e32 v83, 0xffff0000, v86
	s_wait_loadcnt 0x0
	s_delay_alu instid0(VALU_DEP_2)
	v_fmac_f32_e32 v156, v84, v82
	s_clause 0x1
	scratch_load_b32 v82, off, off offset:996
	scratch_load_b32 v84, off, off offset:1000
	s_wait_loadcnt 0x1
	v_dual_fmac_f32 v157, v82, v83 :: v_dual_and_b32 v82, 0xffff0000, v85
	s_wait_loadcnt 0x0
	s_delay_alu instid0(VALU_DEP_1)
	v_dual_fmac_f32 v158, v84, v82 :: v_dual_and_b32 v83, 0xffff0000, v87
	s_clause 0x1
	scratch_load_b32 v82, off, off offset:1004
	scratch_load_b32 v84, off, off offset:1008
	s_wait_loadcnt 0x1
	v_dual_fmac_f32 v159, v82, v83 :: v_dual_and_b32 v82, 0xffff0000, v88
	s_wait_loadcnt 0x0
	s_delay_alu instid0(VALU_DEP_1)
	v_dual_fmac_f32 v4, v84, v82 :: v_dual_and_b32 v83, 0xffff0000, v89
	scratch_load_b32 v82, off, off offset:1012 ; 4-byte Folded Reload
	s_wait_loadcnt 0x0
	v_fmac_f32_e32 v9, v82, v83
	scratch_load_b32 v82, off, off offset:1016 ; 4-byte Folded Reload
	s_wait_loadcnt 0x0
	v_fmac_f32_e32 v154, v82, v81
	scratch_load_b32 v81, off, off offset:1020 ; 4-byte Folded Reload
	s_wait_loadcnt 0x0
	v_fmac_f32_e32 v155, v81, v80
	scratch_load_b32 v80, off, off offset:1024 ; 4-byte Folded Reload
	s_wait_loadcnt 0x0
	v_fmac_f32_e32 v156, v80, v79
	scratch_load_b32 v79, off, off offset:1028 ; 4-byte Folded Reload
	s_wait_loadcnt 0x0
	v_fmac_f32_e32 v157, v79, v78
	scratch_load_b32 v78, off, off offset:1032 ; 4-byte Folded Reload
	s_wait_loadcnt 0x0
	v_fmac_f32_e32 v158, v78, v77
	scratch_load_b32 v77, off, off offset:1036 ; 4-byte Folded Reload
	s_wait_loadcnt 0x0
	v_fmac_f32_e32 v159, v77, v76
	scratch_load_b32 v76, off, off offset:1040 ; 4-byte Folded Reload
	s_wait_loadcnt 0x0
	v_fmac_f32_e32 v4, v76, v75
	scratch_load_b32 v75, off, off offset:1044 ; 4-byte Folded Reload
	s_wait_loadcnt 0x0
	v_fmac_f32_e32 v9, v75, v74
	scratch_load_b32 v74, off, off offset:1048 ; 4-byte Folded Reload
	s_wait_loadcnt 0x0
	v_fmac_f32_e32 v154, v74, v73
	scratch_load_b32 v73, off, off offset:1052 ; 4-byte Folded Reload
	s_wait_loadcnt 0x0
	v_fmac_f32_e32 v155, v73, v72
	scratch_load_b32 v72, off, off offset:1056 ; 4-byte Folded Reload
	s_wait_loadcnt 0x0
	v_fmac_f32_e32 v156, v72, v71
	scratch_load_b32 v71, off, off offset:1060 ; 4-byte Folded Reload
	s_wait_loadcnt 0x0
	v_fmac_f32_e32 v157, v71, v70
	scratch_load_b32 v70, off, off offset:1064 ; 4-byte Folded Reload
	s_wait_loadcnt 0x0
	v_fmac_f32_e32 v158, v70, v69
	scratch_load_b32 v69, off, off offset:1068 ; 4-byte Folded Reload
	s_wait_loadcnt 0x0
	v_fmac_f32_e32 v159, v69, v68
	scratch_load_b32 v68, off, off offset:1072 ; 4-byte Folded Reload
	s_wait_loadcnt 0x0
	v_fmac_f32_e32 v4, v68, v67
	scratch_load_b32 v67, off, off offset:1076 ; 4-byte Folded Reload
	s_wait_loadcnt 0x0
	v_fmac_f32_e32 v9, v67, v65
	v_and_b32_e32 v65, 0xffff0000, v66
	scratch_load_b32 v66, off, off offset:1080 ; 4-byte Folded Reload
	s_wait_loadcnt 0x0
	v_fmac_f32_e32 v154, v66, v65
	scratch_load_b32 v65, off, off offset:1084 ; 4-byte Folded Reload
	s_wait_loadcnt 0x0
	v_fmac_f32_e32 v155, v65, v63
	v_and_b32_e32 v63, 0xffff0000, v64
	scratch_load_b32 v64, off, off offset:1088 ; 4-byte Folded Reload
	s_wait_loadcnt 0x0
	v_fmac_f32_e32 v156, v64, v63
	scratch_load_b32 v63, off, off offset:1092 ; 4-byte Folded Reload
	s_wait_loadcnt 0x0
	v_fmac_f32_e32 v157, v61, v63
	;; [unrolled: 7-line block ×7, first 2 shown]
	scratch_load_b32 v52, off, off offset:1136 ; 4-byte Folded Reload
	s_wait_loadcnt 0x0
	v_fmac_f32_e32 v4, v51, v52
	scratch_load_b32 v51, off, off offset:1140 ; 4-byte Folded Reload
	s_wait_loadcnt 0x0
	v_fmac_f32_e32 v9, v50, v51
	;; [unrolled: 3-line block ×18, first 2 shown]
	v_and_b32_e32 v33, 0xffff0000, v34
	scratch_load_b32 v34, off, off offset:1208 ; 4-byte Folded Reload
	s_wait_loadcnt 0x0
	v_fmac_f32_e32 v154, v33, v34
	scratch_load_b32 v33, off, off offset:1212 ; 4-byte Folded Reload
	s_wait_loadcnt 0x0
	v_fmac_f32_e32 v155, v31, v33
	v_and_b32_e32 v31, 0xffff0000, v32
	scratch_load_b32 v32, off, off offset:1216 ; 4-byte Folded Reload
	s_wait_loadcnt 0x0
	v_fmac_f32_e32 v156, v31, v32
	scratch_load_b32 v31, off, off offset:1220 ; 4-byte Folded Reload
	s_wait_loadcnt 0x0
	v_fmac_f32_e32 v157, v29, v31
	;; [unrolled: 7-line block ×7, first 2 shown]
	scratch_load_b32 v20, off, off offset:1264 ; 4-byte Folded Reload
	s_wait_loadcnt 0x0
	v_fmac_f32_e32 v4, v19, v20
	scratch_load_b32 v19, off, off offset:1268 ; 4-byte Folded Reload
	s_wait_loadcnt 0x0
	v_fmac_f32_e32 v9, v18, v19
	;; [unrolled: 3-line block ×16, first 2 shown]
	v_add_f32_e32 v0, v4, v9
	s_delay_alu instid0(VALU_DEP_1) | instskip(NEXT) | instid1(VALU_DEP_1)
	v_add_f32_e32 v0, v0, v154
	v_add_f32_e32 v0, v155, v0
	s_delay_alu instid0(VALU_DEP_1) | instskip(NEXT) | instid1(VALU_DEP_1)
	v_add_f32_e32 v0, v156, v0
	v_add_f32_e32 v0, v157, v0
	s_delay_alu instid0(VALU_DEP_1) | instskip(NEXT) | instid1(VALU_DEP_1)
	v_add_f32_e32 v0, v158, v0
	v_add_f32_e32 v0, v159, v0
	s_delay_alu instid0(VALU_DEP_1) | instskip(SKIP_1) | instid1(VALU_DEP_1)
	v_fmac_f32_e32 v94, s9, v0
	s_wait_alu 0xf1ff
	v_cndmask_b32_e64 v0, 0, v94, s4
	ds_store_b32 v92, v0
	v_max_num_f32_e32 v0, v90, v90
	v_add_nc_u32_e32 v92, 0x200, v92
	s_delay_alu instid0(VALU_DEP_2) | instskip(NEXT) | instid1(VALU_DEP_1)
	v_max_num_f32_e32 v0, v0, v94
	v_cndmask_b32_e64 v90, v90, v0, s4
	v_add_co_u32 v7, s4, v7, 16
	s_wait_alu 0xf1ff
	v_add_co_ci_u32_e64 v8, null, 0, v8, s4
	v_cmp_le_i32_e64 s4, s19, v93
	s_or_b32 s14, s4, s14
	s_wait_alu 0xfffe
	s_and_not1_b32 exec_lo, exec_lo, s14
	s_cbranch_execnz .LBB366_7
; %bb.8:
	s_or_b32 exec_lo, exec_lo, s14
	scratch_load_b32 v18, off, off offset:1340 ; 4-byte Folded Reload
.LBB366_9:
	s_or_b32 exec_lo, exec_lo, s10
	v_mbcnt_lo_u32_b32 v0, -1, 0
	s_clause 0x2
	s_load_b128 s[8:11], s[0:1], 0x0
	s_load_b64 s[14:15], s[0:1], 0x10
	s_load_b64 s[26:27], s[0:1], 0x28
	v_max_num_f32_e32 v4, v90, v90
	v_xor_b32_e32 v1, 16, v0
	v_xor_b32_e32 v3, 8, v0
	s_delay_alu instid0(VALU_DEP_2) | instskip(SKIP_2) | instid1(VALU_DEP_3)
	v_cmp_gt_i32_e32 vcc_lo, 32, v1
	s_wait_alu 0xfffd
	v_cndmask_b32_e32 v1, v0, v1, vcc_lo
	v_cmp_gt_i32_e32 vcc_lo, 32, v3
	s_delay_alu instid0(VALU_DEP_2)
	v_lshlrev_b32_e32 v1, 2, v1
	s_wait_alu 0xfffd
	v_cndmask_b32_e32 v3, v0, v3, vcc_lo
	ds_bpermute_b32 v2, v1, v90
	s_wait_dscnt 0x0
	v_dual_max_num_f32 v5, v2, v2 :: v_dual_lshlrev_b32 v2, 2, v3
	s_delay_alu instid0(VALU_DEP_1)
	v_max_num_f32_e32 v3, v4, v5
	v_xor_b32_e32 v5, 4, v0
	ds_bpermute_b32 v4, v2, v3
	v_cmp_gt_i32_e32 vcc_lo, 32, v5
	s_wait_alu 0xfffd
	v_cndmask_b32_e32 v5, v0, v5, vcc_lo
	s_wait_dscnt 0x0
	v_max_num_f32_e32 v6, v4, v4
	s_delay_alu instid0(VALU_DEP_1)
	v_dual_max_num_f32 v3, v3, v6 :: v_dual_lshlrev_b32 v4, 2, v5
	v_xor_b32_e32 v6, 2, v0
	ds_bpermute_b32 v5, v4, v3
	v_cmp_gt_i32_e32 vcc_lo, 32, v6
	s_wait_dscnt 0x0
	s_wait_alu 0xfffd
	v_dual_cndmask_b32 v6, v0, v6 :: v_dual_max_num_f32 v5, v5, v5
	s_delay_alu instid0(VALU_DEP_1) | instskip(SKIP_3) | instid1(VALU_DEP_1)
	v_dual_max_num_f32 v3, v3, v5 :: v_dual_lshlrev_b32 v6, 2, v6
	scratch_store_b32 off, v6, off offset:480 ; 4-byte Folded Spill
	ds_bpermute_b32 v5, v6, v3
	v_xor_b32_e32 v6, 1, v0
	v_cmp_gt_i32_e32 vcc_lo, 32, v6
	s_wait_dscnt 0x0
	s_wait_alu 0xfffd
	v_dual_cndmask_b32 v6, v0, v6 :: v_dual_max_num_f32 v5, v5, v5
	s_delay_alu instid0(VALU_DEP_1)
	v_dual_max_num_f32 v0, v3, v5 :: v_dual_lshlrev_b32 v3, 2, v6
	scratch_load_b32 v5, off, off offset:1332 ; 4-byte Folded Reload
	scratch_store_b32 off, v3, off offset:476 ; 4-byte Folded Spill
	ds_bpermute_b32 v3, v3, v0
	s_wait_loadcnt 0x0
	v_cmp_eq_u32_e32 vcc_lo, 0, v5
	scratch_load_b32 v5, off, off offset:1336 ; 4-byte Folded Reload
	s_wait_loadcnt 0x0
	v_lshlrev_b32_e32 v5, 2, v5
	s_and_saveexec_b32 s0, vcc_lo
	s_cbranch_execz .LBB366_11
; %bb.10:
	s_wait_dscnt 0x0
	v_dual_max_num_f32 v3, v3, v3 :: v_dual_max_num_f32 v0, v0, v0
	s_delay_alu instid0(VALU_DEP_1)
	v_max_num_f32_e32 v0, v0, v3
	ds_store_b32 v5, v0 offset:512
.LBB366_11:
	s_or_b32 exec_lo, exec_lo, s0
	scratch_load_b32 v0, off, off offset:1332 ; 4-byte Folded Reload
	s_wait_storecnt 0x0
	s_wait_loadcnt_dscnt 0x0
	s_barrier_signal -1
	s_barrier_wait -1
	global_inv scope:SCOPE_SE
	v_cmp_gt_u32_e64 s0, 4, v0
	v_mov_b32_e32 v0, 0xff7fffff
	s_and_saveexec_b32 s1, s0
; %bb.12:
	ds_load_b32 v0, v18 offset:512
; %bb.13:
	s_or_b32 exec_lo, exec_lo, s1
	scratch_load_b32 v3, off, off offset:480 ; 4-byte Folded Reload
	s_sub_co_i32 s1, s19, s33
	v_mov_b32_e32 v6, 0
	s_lshl_b32 s1, s1, 5
	s_delay_alu instid0(SALU_CYCLE_1) | instskip(NEXT) | instid1(SALU_CYCLE_1)
	s_add_co_i32 s1, s1, s16
	s_min_i32 s1, s1, s17
	s_wait_kmcnt 0x0
	s_sub_co_i32 s5, s1, s16
	s_wait_loadcnt_dscnt 0x0
	ds_bpermute_b32 v3, v3, v0
	s_wait_dscnt 0x0
	v_dual_max_num_f32 v0, v0, v0 :: v_dual_max_num_f32 v3, v3, v3
	s_delay_alu instid0(VALU_DEP_1)
	v_max_num_f32_e32 v0, v0, v3
	scratch_load_b32 v3, off, off offset:476 ; 4-byte Folded Reload
	s_wait_loadcnt 0x0
	ds_bpermute_b32 v3, v3, v0
	s_wait_dscnt 0x0
	v_max_num_f32_e32 v3, v3, v3
	s_delay_alu instid0(VALU_DEP_1)
	v_max_num_f32_e32 v0, v0, v3
	scratch_load_b32 v3, off, off offset:1328 ; 4-byte Folded Reload
	ds_bpermute_b32 v0, v6, v0
	s_wait_loadcnt 0x0
	s_wait_alu 0xfffe
	v_cmp_gt_i32_e64 s1, s5, v3
	v_lshl_add_u32 v3, v3, 2, 0x220
	s_and_saveexec_b32 s21, s1
	s_cbranch_execz .LBB366_17
; %bb.14:
	scratch_load_b32 v8, off, off offset:1328 ; 4-byte Folded Reload
	v_mov_b32_e32 v6, 0
	s_mov_b32 s33, 0
	s_wait_loadcnt 0x0
	v_lshl_add_u32 v7, v8, 2, 0x220
.LBB366_15:                             ; =>This Inner Loop Header: Depth=1
	ds_load_b32 v9, v7
	v_add_nc_u32_e32 v8, 0x80, v8
	s_delay_alu instid0(VALU_DEP_1) | instskip(SKIP_4) | instid1(VALU_DEP_1)
	v_cmp_le_i32_e64 s4, s5, v8
	s_wait_alu 0xfffe
	s_or_b32 s33, s4, s33
	s_wait_dscnt 0x0
	v_sub_f32_e32 v9, v9, v0
	v_mul_f32_e32 v9, 0x3fb8aa3b, v9
	s_delay_alu instid0(VALU_DEP_1)
	v_exp_f32_e32 v9, v9
	ds_store_b32 v7, v9
	v_dual_add_f32 v6, v6, v9 :: v_dual_add_nc_u32 v7, 0x200, v7
	s_wait_alu 0xfffe
	s_and_not1_b32 exec_lo, exec_lo, s33
	s_cbranch_execnz .LBB366_15
; %bb.16:
	s_or_b32 exec_lo, exec_lo, s33
.LBB366_17:
	s_delay_alu instid0(SALU_CYCLE_1)
	s_or_b32 exec_lo, exec_lo, s21
	ds_bpermute_b32 v1, v1, v6
	s_wait_dscnt 0x0
	v_add_f32_e32 v1, v6, v1
	ds_bpermute_b32 v2, v2, v1
	s_wait_dscnt 0x0
	v_add_f32_e32 v1, v1, v2
	;; [unrolled: 3-line block ×3, first 2 shown]
	scratch_load_b32 v2, off, off offset:480 ; 4-byte Folded Reload
	s_wait_loadcnt 0x0
	ds_bpermute_b32 v2, v2, v1
	s_wait_dscnt 0x0
	v_add_f32_e32 v1, v1, v2
	scratch_load_b32 v2, off, off offset:476 ; 4-byte Folded Reload
	s_wait_loadcnt 0x0
	ds_bpermute_b32 v2, v2, v1
	s_wait_dscnt 0x0
	v_add_f32_e32 v1, v1, v2
	s_and_saveexec_b32 s4, vcc_lo
; %bb.18:
	ds_store_b32 v5, v1 offset:528
; %bb.19:
	s_wait_alu 0xfffe
	s_or_b32 exec_lo, exec_lo, s4
	s_wait_dscnt 0x0
	s_barrier_signal -1
	s_barrier_wait -1
	global_inv scope:SCOPE_SE
	s_and_saveexec_b32 s4, s0
; %bb.20:
	ds_load_b32 v1, v18 offset:528
; %bb.21:
	s_wait_alu 0xfffe
	s_or_b32 exec_lo, exec_lo, s4
	scratch_load_b32 v2, off, off offset:480 ; 4-byte Folded Reload
	s_wait_loadcnt_dscnt 0x0
	ds_bpermute_b32 v2, v2, v1
	s_wait_dscnt 0x0
	v_add_f32_e32 v1, v1, v2
	scratch_load_b32 v2, off, off offset:476 ; 4-byte Folded Reload
	s_wait_loadcnt 0x0
	ds_bpermute_b32 v2, v2, v1
	s_wait_dscnt 0x0
	v_dual_add_f32 v1, v1, v2 :: v_dual_mov_b32 v2, 0
	ds_bpermute_b32 v1, v2, v1
	s_and_saveexec_b32 s0, s1
	s_cbranch_execz .LBB366_24
; %bb.22:
	s_wait_dscnt 0x0
	v_add_f32_e32 v2, 0x358637bd, v1
	s_mov_b32 s1, 0
	s_delay_alu instid0(VALU_DEP_1) | instskip(SKIP_1) | instid1(VALU_DEP_2)
	v_div_scale_f32 v4, null, v2, v2, 1.0
	v_div_scale_f32 v7, vcc_lo, 1.0, v2, 1.0
	v_rcp_f32_e32 v5, v4
	s_delay_alu instid0(TRANS32_DEP_1) | instskip(NEXT) | instid1(VALU_DEP_1)
	v_fma_f32 v6, -v4, v5, 1.0
	v_fmac_f32_e32 v5, v6, v5
	s_delay_alu instid0(VALU_DEP_1) | instskip(NEXT) | instid1(VALU_DEP_1)
	v_mul_f32_e32 v6, v7, v5
	v_fma_f32 v8, -v4, v6, v7
	s_delay_alu instid0(VALU_DEP_1) | instskip(NEXT) | instid1(VALU_DEP_1)
	v_fmac_f32_e32 v6, v8, v5
	v_fma_f32 v4, -v4, v6, v7
	s_wait_alu 0xfffd
	s_delay_alu instid0(VALU_DEP_1) | instskip(NEXT) | instid1(VALU_DEP_1)
	v_div_fmas_f32 v4, v4, v5, v6
	v_div_fixup_f32 v2, v4, v2, 1.0
	scratch_load_b32 v4, off, off offset:1328 ; 4-byte Folded Reload
.LBB366_23:                             ; =>This Inner Loop Header: Depth=1
	ds_load_b32 v5, v3
	s_wait_loadcnt_dscnt 0x0
	v_dual_mul_f32 v5, v2, v5 :: v_dual_add_nc_u32 v4, 0x80, v4
	s_delay_alu instid0(VALU_DEP_1) | instskip(SKIP_3) | instid1(SALU_CYCLE_1)
	v_cmp_le_i32_e32 vcc_lo, s5, v4
	ds_store_b32 v3, v5
	v_add_nc_u32_e32 v3, 0x200, v3
	s_or_b32 s1, vcc_lo, s1
	s_and_not1_b32 exec_lo, exec_lo, s1
	s_cbranch_execnz .LBB366_23
.LBB366_24:
	s_or_b32 exec_lo, exec_lo, s0
	s_wait_dscnt 0x0
	s_barrier_signal -1
	scratch_load_b32 v2, off, off offset:1328 ; 4-byte Folded Reload
	s_mul_i32 s0, s12, s29
	s_barrier_wait -1
	s_mul_i32 s4, s0, s31
	s_mov_b32 s0, exec_lo
	s_wait_loadcnt 0x0
	global_inv scope:SCOPE_SE
	v_cmpx_eq_u32_e32 0, v2
	s_cbranch_execz .LBB366_26
; %bb.25:
	s_wait_alu 0xfffe
	s_ashr_i32 s5, s4, 31
	s_mul_i32 s34, s12, ttmp9
	s_lshl_b32 s1, s28, 2
	s_wait_alu 0xfffe
	s_lshl_b64 s[36:37], s[4:5], 2
	s_ashr_i32 s35, s34, 31
	v_mov_b32_e32 v2, s1
	s_add_nc_u64 s[10:11], s[10:11], s[36:37]
	s_lshl_b64 s[28:29], s[34:35], 2
	s_add_nc_u64 s[8:9], s[8:9], s[36:37]
	s_wait_alu 0xfffe
	s_add_nc_u64 s[10:11], s[10:11], s[28:29]
	s_add_nc_u64 s[8:9], s[8:9], s[28:29]
	s_clause 0x1
	global_store_b32 v2, v0, s[10:11]
	global_store_b32 v2, v1, s[8:9]
.LBB366_26:
	s_or_b32 exec_lo, exec_lo, s0
	v_dual_mov_b32 v48, 0 :: v_dual_mov_b32 v49, 0
	v_dual_mov_b32 v47, 0 :: v_dual_mov_b32 v46, 0
	;; [unrolled: 1-line block ×16, first 2 shown]
	s_and_saveexec_b32 s1, s3
	s_cbranch_execz .LBB366_94
; %bb.27:
	scratch_load_b32 v0, off, off offset:1328 ; 4-byte Folded Reload
	s_load_b32 s10, s[6:7], 0x0
	v_dual_mov_b32 v21, 0 :: v_dual_mov_b32 v22, 0
	v_dual_mov_b32 v23, 0 :: v_dual_mov_b32 v24, 0
	;; [unrolled: 1-line block ×14, first 2 shown]
	v_mov_b32_e32 v49, 0
	s_lshl_b64 s[8:9], s[24:25], 2
	s_lshl_b32 s0, s16, 2
	s_ashr_i32 s21, s20, 31
	s_wait_alu 0xfffe
	s_add_nc_u64 s[8:9], s[22:23], s[8:9]
	s_sub_co_i32 s3, 0x220, s0
	s_mov_b32 s5, s13
	s_add_nc_u64 s[6:7], s[26:27], s[20:21]
	s_add_co_i32 s13, s30, -1
	s_mov_b32 s11, 0
	v_dual_mov_b32 v19, 0 :: v_dual_mov_b32 v18, 0
	v_mov_b32_e32 v20, 0
	s_wait_loadcnt 0x0
	v_lshlrev_b32_e32 v0, 3, v0
	s_delay_alu instid0(VALU_DEP_1)
	v_and_b32_e32 v1, 24, v0
	scratch_store_b32 off, v1, off offset:464 ; 4-byte Folded Spill
	v_and_b32_e32 v1, 0xf8, v0
	v_or_b32_e32 v0, 0x1f00, v0
	s_clause 0x1
	scratch_store_b32 off, v1, off offset:468
	scratch_store_b32 off, v0, off offset:472
	s_branch .LBB366_29
.LBB366_28:                             ;   in Loop: Header=BB366_29 Depth=1
	s_wait_alu 0xfffe
	s_or_b32 exec_lo, exec_lo, s0
	s_wait_dscnt 0x1
	v_bfe_u32 v163, v5, 16, 1
	v_or_b32_e32 v164, 0x400000, v5
	v_cmp_u_f32_e32 vcc_lo, v5, v5
	v_lshlrev_b32_e32 v151, 16, v151
	v_lshlrev_b32_e32 v141, 16, v141
	v_add3_u32 v163, v163, v5, 0x7fff
	v_lshlrev_b32_e32 v143, 16, v143
	v_lshlrev_b32_e32 v145, 16, v145
	;; [unrolled: 1-line block ×4, first 2 shown]
	s_wait_alu 0xfffd
	v_cndmask_b32_e32 v5, v163, v164, vcc_lo
	v_bfe_u32 v163, v6, 16, 1
	v_or_b32_e32 v164, 0x400000, v6
	v_cmp_u_f32_e32 vcc_lo, v6, v6
	v_lshlrev_b32_e32 v123, 16, v123
	v_lshlrev_b32_e32 v125, 16, v125
	v_add3_u32 v163, v163, v6, 0x7fff
	v_lshlrev_b32_e32 v129, 16, v129
	v_lshlrev_b32_e32 v115, 16, v115
	;; [unrolled: 1-line block ×3, first 2 shown]
	s_wait_alu 0xfffd
	v_dual_cndmask_b32 v6, v163, v164 :: v_dual_lshlrev_b32 v119, 16, v119
	v_bfe_u32 v163, v7, 16, 1
	v_or_b32_e32 v164, 0x400000, v7
	v_cmp_u_f32_e32 vcc_lo, v7, v7
	v_lshlrev_b32_e32 v121, 16, v121
	v_lshlrev_b32_e32 v107, 16, v107
	v_add3_u32 v163, v163, v7, 0x7fff
	v_bfe_u32 v7, v8, 16, 1
	v_lshlrev_b32_e32 v113, 16, v113
	v_lshlrev_b32_e32 v101, 16, v101
	;; [unrolled: 1-line block ×3, first 2 shown]
	s_wait_alu 0xfffd
	v_cndmask_b32_e32 v163, v163, v164, vcc_lo
	v_add3_u32 v7, v7, v8, 0x7fff
	v_or_b32_e32 v164, 0x400000, v8
	v_cmp_u_f32_e32 vcc_lo, v8, v8
	s_wait_dscnt 0x0
	v_or_b32_e32 v8, 0x400000, v1
	v_lshlrev_b32_e32 v51, 16, v51
	v_lshlrev_b32_e32 v14, 16, v14
	;; [unrolled: 1-line block ×3, first 2 shown]
	s_wait_alu 0xfffd
	v_cndmask_b32_e32 v164, v7, v164, vcc_lo
	v_bfe_u32 v7, v1, 16, 1
	v_cmp_u_f32_e32 vcc_lo, v1, v1
	v_lshlrev_b32_e32 v162, 16, v162
	v_lshlrev_b32_e32 v147, 16, v147
	;; [unrolled: 1-line block ×3, first 2 shown]
	v_add3_u32 v7, v7, v1, 0x7fff
	v_lshlrev_b32_e32 v9, 16, v9
	v_lshlrev_b32_e32 v50, 16, v50
	s_wait_alu 0xfffd
	s_delay_alu instid0(VALU_DEP_3) | instskip(SKIP_3) | instid1(VALU_DEP_3)
	v_dual_cndmask_b32 v1, v7, v8 :: v_dual_add_nc_u32 v166, 4, v166
	v_bfe_u32 v7, v2, 16, 1
	v_or_b32_e32 v8, 0x400000, v2
	v_cmp_u_f32_e32 vcc_lo, v2, v2
	v_add3_u32 v7, v7, v2, 0x7fff
	s_wait_alu 0xfffd
	s_delay_alu instid0(VALU_DEP_1) | instskip(SKIP_3) | instid1(VALU_DEP_3)
	v_cndmask_b32_e32 v2, v7, v8, vcc_lo
	v_bfe_u32 v7, v3, 16, 1
	v_or_b32_e32 v8, 0x400000, v3
	v_cmp_u_f32_e32 vcc_lo, v3, v3
	v_add3_u32 v7, v7, v3, 0x7fff
	s_wait_alu 0xfffd
	s_delay_alu instid0(VALU_DEP_1) | instskip(SKIP_3) | instid1(VALU_DEP_3)
	v_cndmask_b32_e32 v3, v7, v8, vcc_lo
	v_bfe_u32 v7, v4, 16, 1
	v_or_b32_e32 v8, 0x400000, v4
	v_cmp_u_f32_e32 vcc_lo, v4, v4
	v_add3_u32 v7, v7, v4, 0x7fff
	v_lshlrev_b32_e32 v4, 16, v155
	s_wait_alu 0xfffd
	s_delay_alu instid0(VALU_DEP_2) | instskip(NEXT) | instid1(VALU_DEP_1)
	v_dual_cndmask_b32 v170, v7, v8 :: v_dual_and_b32 v7, 0xffff0000, v6
	v_dual_mul_f32 v4, v7, v4 :: v_dual_lshlrev_b32 v105, 16, v105
	s_delay_alu instid0(VALU_DEP_1) | instskip(SKIP_2) | instid1(VALU_DEP_3)
	v_bfe_u32 v6, v4, 16, 1
	v_or_b32_e32 v8, 0x400000, v4
	v_cmp_u_f32_e32 vcc_lo, v4, v4
	v_add3_u32 v6, v6, v4, 0x7fff
	s_wait_alu 0xfffd
	s_delay_alu instid0(VALU_DEP_1) | instskip(SKIP_2) | instid1(VALU_DEP_2)
	v_dual_cndmask_b32 v155, v6, v8 :: v_dual_lshlrev_b32 v4, 16, v154
	v_and_b32_e32 v8, 0xffff0000, v5
	v_lshlrev_b32_e32 v148, 16, v148
	v_dual_mul_f32 v4, v8, v4 :: v_dual_lshlrev_b32 v127, 16, v127
	s_delay_alu instid0(VALU_DEP_2) | instskip(SKIP_2) | instid1(VALU_DEP_4)
	v_dual_mul_f32 v148, v7, v148 :: v_dual_mul_f32 v147, v8, v147
	v_mul_f32_e32 v123, v8, v123
	v_mul_f32_e32 v14, v8, v14
	v_bfe_u32 v5, v4, 16, 1
	v_or_b32_e32 v6, 0x400000, v4
	v_cmp_u_f32_e32 vcc_lo, v4, v4
	v_mul_f32_e32 v115, v8, v115
	v_mul_f32_e32 v107, v8, v107
	v_add3_u32 v5, v5, v4, 0x7fff
	v_and_b32_e32 v4, 0xffff0000, v164
	s_wait_alu 0xfffd
	s_delay_alu instid0(VALU_DEP_2) | instskip(SKIP_1) | instid1(VALU_DEP_2)
	v_dual_cndmask_b32 v154, v5, v6 :: v_dual_lshlrev_b32 v5, 16, v157
	v_and_b32_e32 v3, 0xffff0000, v3
	v_dual_mul_f32 v5, v4, v5 :: v_dual_and_b32 v154, 0xffff0000, v154
	s_delay_alu instid0(VALU_DEP_2) | instskip(SKIP_2) | instid1(VALU_DEP_4)
	v_dual_mul_f32 v145, v3, v145 :: v_dual_and_b32 v2, 0xffff0000, v2
	v_mul_f32_e32 v137, v3, v137
	v_mul_f32_e32 v129, v3, v129
	v_bfe_u32 v6, v5, 16, 1
	v_or_b32_e32 v157, 0x400000, v5
	v_cmp_u_f32_e32 vcc_lo, v5, v5
	v_mul_f32_e32 v121, v3, v121
	v_mul_f32_e32 v113, v3, v113
	v_add3_u32 v6, v6, v5, 0x7fff
	v_lshlrev_b32_e32 v5, 16, v156
	v_mul_f32_e32 v105, v3, v105
	s_wait_alu 0xfffd
	s_delay_alu instid0(VALU_DEP_3) | instskip(SKIP_2) | instid1(VALU_DEP_2)
	v_dual_mul_f32 v50, v3, v50 :: v_dual_cndmask_b32 v157, v6, v157
	v_and_b32_e32 v6, 0xffff0000, v163
	v_and_b32_e32 v155, 0xffff0000, v155
	v_dual_mul_f32 v149, v6, v149 :: v_dual_lshlrev_b32 v150, 16, v150
	v_mul_f32_e32 v5, v6, v5
	s_delay_alu instid0(VALU_DEP_3)
	v_add_f32_e32 v154, v154, v155
	v_mul_f32_e32 v133, v6, v133
	v_mul_f32_e32 v125, v6, v125
	;; [unrolled: 1-line block ×3, first 2 shown]
	v_bfe_u32 v156, v5, 16, 1
	v_or_b32_e32 v163, 0x400000, v5
	v_cmp_u_f32_e32 vcc_lo, v5, v5
	v_mul_f32_e32 v101, v6, v101
	s_delay_alu instid0(VALU_DEP_4) | instskip(SKIP_2) | instid1(VALU_DEP_1)
	v_add3_u32 v156, v156, v5, 0x7fff
	v_lshlrev_b32_e32 v5, 16, v159
	s_wait_alu 0xfffd
	v_dual_cndmask_b32 v156, v156, v163 :: v_dual_mul_f32 v5, v2, v5
	v_dual_mul_f32 v150, v4, v150 :: v_dual_lshlrev_b32 v153, 16, v153
	v_lshlrev_b32_e32 v139, 16, v139
	s_delay_alu instid0(VALU_DEP_3) | instskip(NEXT) | instid1(VALU_DEP_4)
	v_and_b32_e32 v155, 0xffff0000, v156
	v_bfe_u32 v159, v5, 16, 1
	v_or_b32_e32 v163, 0x400000, v5
	v_cmp_u_f32_e32 vcc_lo, v5, v5
	v_and_b32_e32 v156, 0xffff0000, v157
	v_lshlrev_b32_e32 v135, 16, v135
	v_add3_u32 v159, v159, v5, 0x7fff
	v_and_b32_e32 v5, 0xffff0000, v1
	v_lshlrev_b32_e32 v1, 16, v158
	v_add_f32_e32 v155, v155, v156
	v_lshlrev_b32_e32 v161, 16, v161
	s_wait_alu 0xfffd
	v_cndmask_b32_e32 v159, v159, v163, vcc_lo
	v_mul_f32_e32 v139, v8, v139
	v_dual_mul_f32 v1, v5, v1 :: v_dual_add_f32 v154, v155, v154
	s_delay_alu instid0(VALU_DEP_3) | instskip(SKIP_1) | instid1(VALU_DEP_3)
	v_dual_mul_f32 v161, v3, v161 :: v_dual_and_b32 v156, 0xffff0000, v159
	v_lshlrev_b32_e32 v109, 16, v109
	v_bfe_u32 v158, v1, 16, 1
	v_or_b32_e32 v163, 0x400000, v1
	v_cmp_u_f32_e32 vcc_lo, v1, v1
	s_delay_alu instid0(VALU_DEP_4) | instskip(NEXT) | instid1(VALU_DEP_4)
	v_mul_f32_e32 v109, v6, v109
	v_add3_u32 v158, v158, v1, 0x7fff
	v_and_b32_e32 v1, 0xffff0000, v170
	v_mul_f32_e32 v141, v6, v141
	v_lshlrev_b32_e32 v131, 16, v131
	v_lshlrev_b32_e32 v111, 16, v111
	s_wait_alu 0xfffd
	v_cndmask_b32_e32 v158, v158, v163, vcc_lo
	v_mul_f32_e32 v162, v1, v162
	v_dual_mul_f32 v151, v5, v151 :: v_dual_lshlrev_b32 v152, 16, v152
	v_mul_f32_e32 v9, v1, v9
	s_delay_alu instid0(VALU_DEP_4) | instskip(NEXT) | instid1(VALU_DEP_4)
	v_and_b32_e32 v155, 0xffff0000, v158
	v_bfe_u32 v163, v162, 16, 1
	v_or_b32_e32 v164, 0x400000, v162
	v_cmp_u_f32_e32 vcc_lo, v162, v162
	v_mul_f32_e32 v152, v2, v152
	v_add_f32_e32 v155, v155, v156
	v_add3_u32 v163, v163, v162, 0x7fff
	v_mul_f32_e32 v143, v5, v143
	v_mul_f32_e32 v131, v8, v131
	v_mul_f32_e32 v135, v5, v135
	s_wait_alu 0xfffd
	v_dual_mul_f32 v127, v5, v127 :: v_dual_cndmask_b32 v162, v163, v164
	v_bfe_u32 v163, v161, 16, 1
	v_or_b32_e32 v164, 0x400000, v161
	v_cmp_u_f32_e32 vcc_lo, v161, v161
	v_mul_f32_e32 v0, v1, v0
	v_and_b32_e32 v156, 0xffff0000, v162
	v_add3_u32 v163, v163, v161, 0x7fff
	v_mul_f32_e32 v119, v5, v119
	v_mul_f32_e32 v111, v5, v111
	;; [unrolled: 1-line block ×4, first 2 shown]
	s_wait_alu 0xfffd
	v_cndmask_b32_e32 v161, v163, v164, vcc_lo
	v_add_f32_e32 v154, v155, v154
	v_cmp_u_f32_e32 vcc_lo, v148, v148
	s_delay_alu instid0(VALU_DEP_3) | instskip(NEXT) | instid1(VALU_DEP_1)
	v_and_b32_e32 v155, 0xffff0000, v161
	v_add_f32_e32 v155, v155, v156
	s_delay_alu instid0(VALU_DEP_1) | instskip(SKIP_1) | instid1(VALU_DEP_2)
	v_add_f32_e32 v154, v155, v154
	v_or_b32_e32 v155, 0x400000, v148
	v_add_f32_e32 v19, v19, v154
	v_bfe_u32 v154, v148, 16, 1
	s_delay_alu instid0(VALU_DEP_1) | instskip(SKIP_1) | instid1(VALU_DEP_1)
	v_add3_u32 v154, v154, v148, 0x7fff
	s_wait_alu 0xfffd
	v_cndmask_b32_e32 v148, v154, v155, vcc_lo
	v_bfe_u32 v154, v147, 16, 1
	v_or_b32_e32 v155, 0x400000, v147
	v_cmp_u_f32_e32 vcc_lo, v147, v147
	s_delay_alu instid0(VALU_DEP_4) | instskip(NEXT) | instid1(VALU_DEP_4)
	v_and_b32_e32 v148, 0xffff0000, v148
	v_add3_u32 v154, v154, v147, 0x7fff
	s_wait_alu 0xfffd
	s_delay_alu instid0(VALU_DEP_1) | instskip(SKIP_3) | instid1(VALU_DEP_4)
	v_cndmask_b32_e32 v147, v154, v155, vcc_lo
	v_bfe_u32 v154, v150, 16, 1
	v_or_b32_e32 v155, 0x400000, v150
	v_cmp_u_f32_e32 vcc_lo, v150, v150
	v_and_b32_e32 v147, 0xffff0000, v147
	s_delay_alu instid0(VALU_DEP_4) | instskip(SKIP_1) | instid1(VALU_DEP_1)
	v_add3_u32 v154, v154, v150, 0x7fff
	s_wait_alu 0xfffd
	v_dual_add_f32 v147, v147, v148 :: v_dual_cndmask_b32 v150, v154, v155
	v_bfe_u32 v154, v149, 16, 1
	v_or_b32_e32 v155, 0x400000, v149
	v_cmp_u_f32_e32 vcc_lo, v149, v149
	s_delay_alu instid0(VALU_DEP_3) | instskip(SKIP_1) | instid1(VALU_DEP_1)
	v_add3_u32 v154, v154, v149, 0x7fff
	s_wait_alu 0xfffd
	v_cndmask_b32_e32 v149, v154, v155, vcc_lo
	v_bfe_u32 v154, v152, 16, 1
	v_or_b32_e32 v155, 0x400000, v152
	v_cmp_u_f32_e32 vcc_lo, v152, v152
	s_delay_alu instid0(VALU_DEP_4) | instskip(NEXT) | instid1(VALU_DEP_4)
	v_and_b32_e32 v148, 0xffff0000, v149
	v_add3_u32 v154, v154, v152, 0x7fff
	s_wait_alu 0xfffd
	s_delay_alu instid0(VALU_DEP_1) | instskip(SKIP_3) | instid1(VALU_DEP_4)
	v_dual_cndmask_b32 v152, v154, v155 :: v_dual_and_b32 v149, 0xffff0000, v150
	v_bfe_u32 v154, v151, 16, 1
	v_or_b32_e32 v155, 0x400000, v151
	v_cmp_u_f32_e32 vcc_lo, v151, v151
	v_dual_add_f32 v148, v148, v149 :: v_dual_and_b32 v149, 0xffff0000, v152
	s_delay_alu instid0(VALU_DEP_4) | instskip(NEXT) | instid1(VALU_DEP_2)
	v_add3_u32 v154, v154, v151, 0x7fff
	v_add_f32_e32 v147, v148, v147
	s_wait_alu 0xfffd
	s_delay_alu instid0(VALU_DEP_2) | instskip(SKIP_3) | instid1(VALU_DEP_4)
	v_cndmask_b32_e32 v151, v154, v155, vcc_lo
	v_bfe_u32 v154, v9, 16, 1
	v_or_b32_e32 v155, 0x400000, v9
	v_cmp_u_f32_e32 vcc_lo, v9, v9
	v_dual_mul_f32 v153, v3, v153 :: v_dual_and_b32 v148, 0xffff0000, v151
	s_delay_alu instid0(VALU_DEP_4) | instskip(SKIP_1) | instid1(VALU_DEP_1)
	v_add3_u32 v154, v154, v9, 0x7fff
	s_wait_alu 0xfffd
	v_dual_add_f32 v148, v148, v149 :: v_dual_cndmask_b32 v9, v154, v155
	s_delay_alu instid0(VALU_DEP_3) | instskip(SKIP_2) | instid1(VALU_DEP_4)
	v_bfe_u32 v154, v153, 16, 1
	v_or_b32_e32 v155, 0x400000, v153
	v_cmp_u_f32_e32 vcc_lo, v153, v153
	v_add_f32_e32 v147, v148, v147
	v_and_b32_e32 v9, 0xffff0000, v9
	v_add3_u32 v154, v154, v153, 0x7fff
	s_wait_alu 0xfffd
	s_delay_alu instid0(VALU_DEP_1) | instskip(NEXT) | instid1(VALU_DEP_1)
	v_cndmask_b32_e32 v153, v154, v155, vcc_lo
	v_and_b32_e32 v148, 0xffff0000, v153
	s_delay_alu instid0(VALU_DEP_1) | instskip(NEXT) | instid1(VALU_DEP_1)
	v_add_f32_e32 v9, v148, v9
	v_add_f32_e32 v9, v9, v147
	s_delay_alu instid0(VALU_DEP_1) | instskip(NEXT) | instid1(VALU_DEP_1)
	v_dual_add_f32 v20, v20, v9 :: v_dual_lshlrev_b32 v9, 16, v140
	v_mul_f32_e32 v9, v7, v9
	s_delay_alu instid0(VALU_DEP_1) | instskip(SKIP_2) | instid1(VALU_DEP_3)
	v_bfe_u32 v140, v9, 16, 1
	v_or_b32_e32 v147, 0x400000, v9
	v_cmp_u_f32_e32 vcc_lo, v9, v9
	v_add3_u32 v140, v140, v9, 0x7fff
	s_wait_alu 0xfffd
	s_delay_alu instid0(VALU_DEP_1) | instskip(SKIP_3) | instid1(VALU_DEP_4)
	v_cndmask_b32_e32 v9, v140, v147, vcc_lo
	v_bfe_u32 v140, v139, 16, 1
	v_or_b32_e32 v147, 0x400000, v139
	v_cmp_u_f32_e32 vcc_lo, v139, v139
	v_and_b32_e32 v9, 0xffff0000, v9
	s_delay_alu instid0(VALU_DEP_4) | instskip(SKIP_1) | instid1(VALU_DEP_1)
	v_add3_u32 v140, v140, v139, 0x7fff
	s_wait_alu 0xfffd
	v_dual_cndmask_b32 v139, v140, v147 :: v_dual_lshlrev_b32 v140, 16, v142
	s_delay_alu instid0(VALU_DEP_1) | instskip(NEXT) | instid1(VALU_DEP_1)
	v_dual_mul_f32 v140, v4, v140 :: v_dual_and_b32 v139, 0xffff0000, v139
	v_add_f32_e32 v9, v139, v9
	s_delay_alu instid0(VALU_DEP_2) | instskip(SKIP_2) | instid1(VALU_DEP_3)
	v_bfe_u32 v142, v140, 16, 1
	v_or_b32_e32 v147, 0x400000, v140
	v_cmp_u_f32_e32 vcc_lo, v140, v140
	v_add3_u32 v142, v142, v140, 0x7fff
	s_wait_alu 0xfffd
	s_delay_alu instid0(VALU_DEP_1) | instskip(SKIP_3) | instid1(VALU_DEP_4)
	v_cndmask_b32_e32 v140, v142, v147, vcc_lo
	v_bfe_u32 v142, v141, 16, 1
	v_or_b32_e32 v147, 0x400000, v141
	v_cmp_u_f32_e32 vcc_lo, v141, v141
	v_and_b32_e32 v140, 0xffff0000, v140
	s_delay_alu instid0(VALU_DEP_4) | instskip(SKIP_1) | instid1(VALU_DEP_1)
	v_add3_u32 v142, v142, v141, 0x7fff
	s_wait_alu 0xfffd
	v_dual_cndmask_b32 v141, v142, v147 :: v_dual_lshlrev_b32 v142, 16, v144
	s_delay_alu instid0(VALU_DEP_1) | instskip(NEXT) | instid1(VALU_DEP_1)
	v_dual_mul_f32 v142, v2, v142 :: v_dual_and_b32 v139, 0xffff0000, v141
	v_add_f32_e32 v139, v139, v140
	s_delay_alu instid0(VALU_DEP_2) | instskip(SKIP_2) | instid1(VALU_DEP_4)
	v_bfe_u32 v144, v142, 16, 1
	v_or_b32_e32 v147, 0x400000, v142
	v_cmp_u_f32_e32 vcc_lo, v142, v142
	v_add_f32_e32 v9, v139, v9
	s_delay_alu instid0(VALU_DEP_4) | instskip(SKIP_1) | instid1(VALU_DEP_1)
	v_add3_u32 v144, v144, v142, 0x7fff
	s_wait_alu 0xfffd
	v_cndmask_b32_e32 v142, v144, v147, vcc_lo
	v_bfe_u32 v144, v143, 16, 1
	v_or_b32_e32 v147, 0x400000, v143
	v_cmp_u_f32_e32 vcc_lo, v143, v143
	s_delay_alu instid0(VALU_DEP_4) | instskip(NEXT) | instid1(VALU_DEP_4)
	v_and_b32_e32 v140, 0xffff0000, v142
	v_add3_u32 v144, v144, v143, 0x7fff
	s_wait_alu 0xfffd
	s_delay_alu instid0(VALU_DEP_1) | instskip(NEXT) | instid1(VALU_DEP_1)
	v_dual_cndmask_b32 v143, v144, v147 :: v_dual_lshlrev_b32 v144, 16, v146
	v_dual_mul_f32 v144, v1, v144 :: v_dual_and_b32 v139, 0xffff0000, v143
	s_delay_alu instid0(VALU_DEP_1) | instskip(NEXT) | instid1(VALU_DEP_2)
	v_add_f32_e32 v139, v139, v140
	v_bfe_u32 v146, v144, 16, 1
	v_or_b32_e32 v147, 0x400000, v144
	v_cmp_u_f32_e32 vcc_lo, v144, v144
	s_delay_alu instid0(VALU_DEP_4) | instskip(NEXT) | instid1(VALU_DEP_4)
	v_add_f32_e32 v9, v139, v9
	v_add3_u32 v146, v146, v144, 0x7fff
	s_wait_alu 0xfffd
	s_delay_alu instid0(VALU_DEP_1) | instskip(SKIP_3) | instid1(VALU_DEP_4)
	v_cndmask_b32_e32 v144, v146, v147, vcc_lo
	v_bfe_u32 v146, v145, 16, 1
	v_or_b32_e32 v147, 0x400000, v145
	v_cmp_u_f32_e32 vcc_lo, v145, v145
	v_and_b32_e32 v140, 0xffff0000, v144
	s_delay_alu instid0(VALU_DEP_4) | instskip(SKIP_1) | instid1(VALU_DEP_1)
	v_add3_u32 v146, v146, v145, 0x7fff
	s_wait_alu 0xfffd
	v_cndmask_b32_e32 v145, v146, v147, vcc_lo
	s_delay_alu instid0(VALU_DEP_1) | instskip(NEXT) | instid1(VALU_DEP_1)
	v_and_b32_e32 v139, 0xffff0000, v145
	v_add_f32_e32 v139, v139, v140
	s_delay_alu instid0(VALU_DEP_1) | instskip(NEXT) | instid1(VALU_DEP_1)
	v_add_f32_e32 v9, v139, v9
	v_add_f32_e32 v21, v21, v9
	v_lshlrev_b32_e32 v9, 16, v132
	s_delay_alu instid0(VALU_DEP_1) | instskip(NEXT) | instid1(VALU_DEP_1)
	v_mul_f32_e32 v9, v7, v9
	v_bfe_u32 v132, v9, 16, 1
	v_or_b32_e32 v139, 0x400000, v9
	v_cmp_u_f32_e32 vcc_lo, v9, v9
	s_delay_alu instid0(VALU_DEP_3) | instskip(SKIP_1) | instid1(VALU_DEP_1)
	v_add3_u32 v132, v132, v9, 0x7fff
	s_wait_alu 0xfffd
	v_cndmask_b32_e32 v9, v132, v139, vcc_lo
	v_bfe_u32 v132, v131, 16, 1
	v_or_b32_e32 v139, 0x400000, v131
	v_cmp_u_f32_e32 vcc_lo, v131, v131
	s_delay_alu instid0(VALU_DEP_4) | instskip(NEXT) | instid1(VALU_DEP_4)
	v_and_b32_e32 v9, 0xffff0000, v9
	v_add3_u32 v132, v132, v131, 0x7fff
	s_wait_alu 0xfffd
	s_delay_alu instid0(VALU_DEP_1) | instskip(NEXT) | instid1(VALU_DEP_1)
	v_dual_cndmask_b32 v131, v132, v139 :: v_dual_lshlrev_b32 v132, 16, v134
	v_dual_mul_f32 v132, v4, v132 :: v_dual_and_b32 v131, 0xffff0000, v131
	s_delay_alu instid0(VALU_DEP_1) | instskip(NEXT) | instid1(VALU_DEP_2)
	v_add_f32_e32 v9, v131, v9
	v_bfe_u32 v134, v132, 16, 1
	v_or_b32_e32 v139, 0x400000, v132
	v_cmp_u_f32_e32 vcc_lo, v132, v132
	s_delay_alu instid0(VALU_DEP_3) | instskip(SKIP_1) | instid1(VALU_DEP_1)
	v_add3_u32 v134, v134, v132, 0x7fff
	s_wait_alu 0xfffd
	v_cndmask_b32_e32 v132, v134, v139, vcc_lo
	v_bfe_u32 v134, v133, 16, 1
	v_or_b32_e32 v139, 0x400000, v133
	v_cmp_u_f32_e32 vcc_lo, v133, v133
	s_delay_alu instid0(VALU_DEP_4) | instskip(NEXT) | instid1(VALU_DEP_4)
	v_and_b32_e32 v132, 0xffff0000, v132
	v_add3_u32 v134, v134, v133, 0x7fff
	s_wait_alu 0xfffd
	s_delay_alu instid0(VALU_DEP_1) | instskip(NEXT) | instid1(VALU_DEP_1)
	v_dual_cndmask_b32 v133, v134, v139 :: v_dual_lshlrev_b32 v134, 16, v136
	v_dual_mul_f32 v134, v2, v134 :: v_dual_and_b32 v131, 0xffff0000, v133
	s_delay_alu instid0(VALU_DEP_1) | instskip(NEXT) | instid1(VALU_DEP_2)
	v_add_f32_e32 v131, v131, v132
	v_bfe_u32 v136, v134, 16, 1
	v_or_b32_e32 v139, 0x400000, v134
	v_cmp_u_f32_e32 vcc_lo, v134, v134
	s_delay_alu instid0(VALU_DEP_4) | instskip(NEXT) | instid1(VALU_DEP_4)
	v_add_f32_e32 v9, v131, v9
	v_add3_u32 v136, v136, v134, 0x7fff
	s_wait_alu 0xfffd
	s_delay_alu instid0(VALU_DEP_1) | instskip(SKIP_3) | instid1(VALU_DEP_4)
	v_cndmask_b32_e32 v134, v136, v139, vcc_lo
	v_bfe_u32 v136, v135, 16, 1
	v_or_b32_e32 v139, 0x400000, v135
	v_cmp_u_f32_e32 vcc_lo, v135, v135
	v_and_b32_e32 v132, 0xffff0000, v134
	s_delay_alu instid0(VALU_DEP_4) | instskip(SKIP_1) | instid1(VALU_DEP_1)
	v_add3_u32 v136, v136, v135, 0x7fff
	s_wait_alu 0xfffd
	v_dual_cndmask_b32 v135, v136, v139 :: v_dual_lshlrev_b32 v136, 16, v138
	s_delay_alu instid0(VALU_DEP_1) | instskip(NEXT) | instid1(VALU_DEP_1)
	v_dual_mul_f32 v136, v1, v136 :: v_dual_and_b32 v131, 0xffff0000, v135
	v_add_f32_e32 v131, v131, v132
	s_delay_alu instid0(VALU_DEP_2) | instskip(SKIP_2) | instid1(VALU_DEP_4)
	v_bfe_u32 v138, v136, 16, 1
	v_or_b32_e32 v139, 0x400000, v136
	v_cmp_u_f32_e32 vcc_lo, v136, v136
	v_add_f32_e32 v9, v131, v9
	s_delay_alu instid0(VALU_DEP_4) | instskip(SKIP_1) | instid1(VALU_DEP_1)
	v_add3_u32 v138, v138, v136, 0x7fff
	s_wait_alu 0xfffd
	v_cndmask_b32_e32 v136, v138, v139, vcc_lo
	v_bfe_u32 v138, v137, 16, 1
	v_or_b32_e32 v139, 0x400000, v137
	v_cmp_u_f32_e32 vcc_lo, v137, v137
	s_delay_alu instid0(VALU_DEP_4) | instskip(NEXT) | instid1(VALU_DEP_4)
	v_and_b32_e32 v132, 0xffff0000, v136
	v_add3_u32 v138, v138, v137, 0x7fff
	s_wait_alu 0xfffd
	s_delay_alu instid0(VALU_DEP_1) | instskip(NEXT) | instid1(VALU_DEP_1)
	v_cndmask_b32_e32 v137, v138, v139, vcc_lo
	v_and_b32_e32 v131, 0xffff0000, v137
	s_delay_alu instid0(VALU_DEP_1) | instskip(NEXT) | instid1(VALU_DEP_1)
	v_add_f32_e32 v131, v131, v132
	v_add_f32_e32 v9, v131, v9
	s_delay_alu instid0(VALU_DEP_1) | instskip(NEXT) | instid1(VALU_DEP_1)
	v_dual_add_f32 v22, v22, v9 :: v_dual_lshlrev_b32 v9, 16, v124
	v_mul_f32_e32 v9, v7, v9
	s_delay_alu instid0(VALU_DEP_1) | instskip(SKIP_2) | instid1(VALU_DEP_3)
	v_bfe_u32 v124, v9, 16, 1
	v_or_b32_e32 v131, 0x400000, v9
	v_cmp_u_f32_e32 vcc_lo, v9, v9
	v_add3_u32 v124, v124, v9, 0x7fff
	s_wait_alu 0xfffd
	s_delay_alu instid0(VALU_DEP_1) | instskip(SKIP_3) | instid1(VALU_DEP_4)
	v_cndmask_b32_e32 v9, v124, v131, vcc_lo
	v_bfe_u32 v124, v123, 16, 1
	v_or_b32_e32 v131, 0x400000, v123
	v_cmp_u_f32_e32 vcc_lo, v123, v123
	v_and_b32_e32 v9, 0xffff0000, v9
	s_delay_alu instid0(VALU_DEP_4) | instskip(SKIP_1) | instid1(VALU_DEP_1)
	v_add3_u32 v124, v124, v123, 0x7fff
	s_wait_alu 0xfffd
	v_dual_cndmask_b32 v123, v124, v131 :: v_dual_lshlrev_b32 v124, 16, v126
	s_delay_alu instid0(VALU_DEP_1) | instskip(NEXT) | instid1(VALU_DEP_1)
	v_dual_mul_f32 v124, v4, v124 :: v_dual_and_b32 v123, 0xffff0000, v123
	v_add_f32_e32 v9, v123, v9
	s_delay_alu instid0(VALU_DEP_2) | instskip(SKIP_2) | instid1(VALU_DEP_3)
	v_bfe_u32 v126, v124, 16, 1
	v_or_b32_e32 v131, 0x400000, v124
	v_cmp_u_f32_e32 vcc_lo, v124, v124
	v_add3_u32 v126, v126, v124, 0x7fff
	s_wait_alu 0xfffd
	s_delay_alu instid0(VALU_DEP_1) | instskip(SKIP_3) | instid1(VALU_DEP_4)
	v_cndmask_b32_e32 v124, v126, v131, vcc_lo
	v_bfe_u32 v126, v125, 16, 1
	v_or_b32_e32 v131, 0x400000, v125
	v_cmp_u_f32_e32 vcc_lo, v125, v125
	v_and_b32_e32 v124, 0xffff0000, v124
	s_delay_alu instid0(VALU_DEP_4) | instskip(SKIP_1) | instid1(VALU_DEP_1)
	v_add3_u32 v126, v126, v125, 0x7fff
	s_wait_alu 0xfffd
	v_dual_cndmask_b32 v125, v126, v131 :: v_dual_lshlrev_b32 v126, 16, v128
	s_delay_alu instid0(VALU_DEP_1) | instskip(NEXT) | instid1(VALU_DEP_1)
	v_dual_mul_f32 v126, v2, v126 :: v_dual_and_b32 v123, 0xffff0000, v125
	v_add_f32_e32 v123, v123, v124
	s_delay_alu instid0(VALU_DEP_2) | instskip(SKIP_2) | instid1(VALU_DEP_4)
	v_bfe_u32 v128, v126, 16, 1
	v_or_b32_e32 v131, 0x400000, v126
	v_cmp_u_f32_e32 vcc_lo, v126, v126
	v_add_f32_e32 v9, v123, v9
	s_delay_alu instid0(VALU_DEP_4) | instskip(SKIP_1) | instid1(VALU_DEP_1)
	v_add3_u32 v128, v128, v126, 0x7fff
	s_wait_alu 0xfffd
	v_cndmask_b32_e32 v126, v128, v131, vcc_lo
	v_bfe_u32 v128, v127, 16, 1
	v_or_b32_e32 v131, 0x400000, v127
	v_cmp_u_f32_e32 vcc_lo, v127, v127
	s_delay_alu instid0(VALU_DEP_4) | instskip(NEXT) | instid1(VALU_DEP_4)
	v_and_b32_e32 v124, 0xffff0000, v126
	v_add3_u32 v128, v128, v127, 0x7fff
	s_wait_alu 0xfffd
	s_delay_alu instid0(VALU_DEP_1) | instskip(NEXT) | instid1(VALU_DEP_1)
	v_dual_cndmask_b32 v127, v128, v131 :: v_dual_lshlrev_b32 v128, 16, v130
	v_dual_mul_f32 v128, v1, v128 :: v_dual_and_b32 v123, 0xffff0000, v127
	s_delay_alu instid0(VALU_DEP_1) | instskip(NEXT) | instid1(VALU_DEP_2)
	v_add_f32_e32 v123, v123, v124
	v_bfe_u32 v130, v128, 16, 1
	v_or_b32_e32 v131, 0x400000, v128
	v_cmp_u_f32_e32 vcc_lo, v128, v128
	s_delay_alu instid0(VALU_DEP_4) | instskip(NEXT) | instid1(VALU_DEP_4)
	v_add_f32_e32 v9, v123, v9
	v_add3_u32 v130, v130, v128, 0x7fff
	s_wait_alu 0xfffd
	s_delay_alu instid0(VALU_DEP_1) | instskip(SKIP_3) | instid1(VALU_DEP_4)
	v_cndmask_b32_e32 v128, v130, v131, vcc_lo
	v_bfe_u32 v130, v129, 16, 1
	v_or_b32_e32 v131, 0x400000, v129
	v_cmp_u_f32_e32 vcc_lo, v129, v129
	v_and_b32_e32 v124, 0xffff0000, v128
	s_delay_alu instid0(VALU_DEP_4) | instskip(SKIP_1) | instid1(VALU_DEP_1)
	v_add3_u32 v130, v130, v129, 0x7fff
	s_wait_alu 0xfffd
	v_cndmask_b32_e32 v129, v130, v131, vcc_lo
	s_delay_alu instid0(VALU_DEP_1) | instskip(NEXT) | instid1(VALU_DEP_1)
	v_and_b32_e32 v123, 0xffff0000, v129
	v_add_f32_e32 v123, v123, v124
	s_delay_alu instid0(VALU_DEP_1) | instskip(NEXT) | instid1(VALU_DEP_1)
	v_add_f32_e32 v9, v123, v9
	v_add_f32_e32 v23, v23, v9
	v_lshlrev_b32_e32 v9, 16, v116
	s_delay_alu instid0(VALU_DEP_1) | instskip(NEXT) | instid1(VALU_DEP_1)
	v_mul_f32_e32 v9, v7, v9
	v_bfe_u32 v116, v9, 16, 1
	v_or_b32_e32 v123, 0x400000, v9
	v_cmp_u_f32_e32 vcc_lo, v9, v9
	s_delay_alu instid0(VALU_DEP_3) | instskip(SKIP_1) | instid1(VALU_DEP_1)
	v_add3_u32 v116, v116, v9, 0x7fff
	s_wait_alu 0xfffd
	v_cndmask_b32_e32 v9, v116, v123, vcc_lo
	v_bfe_u32 v116, v115, 16, 1
	v_or_b32_e32 v123, 0x400000, v115
	v_cmp_u_f32_e32 vcc_lo, v115, v115
	s_delay_alu instid0(VALU_DEP_4) | instskip(NEXT) | instid1(VALU_DEP_4)
	v_and_b32_e32 v9, 0xffff0000, v9
	v_add3_u32 v116, v116, v115, 0x7fff
	s_wait_alu 0xfffd
	s_delay_alu instid0(VALU_DEP_1) | instskip(NEXT) | instid1(VALU_DEP_1)
	v_dual_cndmask_b32 v115, v116, v123 :: v_dual_lshlrev_b32 v116, 16, v118
	v_dual_mul_f32 v116, v4, v116 :: v_dual_and_b32 v115, 0xffff0000, v115
	s_delay_alu instid0(VALU_DEP_1) | instskip(NEXT) | instid1(VALU_DEP_2)
	v_add_f32_e32 v9, v115, v9
	v_bfe_u32 v118, v116, 16, 1
	v_or_b32_e32 v123, 0x400000, v116
	v_cmp_u_f32_e32 vcc_lo, v116, v116
	s_delay_alu instid0(VALU_DEP_3) | instskip(SKIP_1) | instid1(VALU_DEP_1)
	v_add3_u32 v118, v118, v116, 0x7fff
	s_wait_alu 0xfffd
	v_cndmask_b32_e32 v116, v118, v123, vcc_lo
	v_bfe_u32 v118, v117, 16, 1
	v_or_b32_e32 v123, 0x400000, v117
	v_cmp_u_f32_e32 vcc_lo, v117, v117
	s_delay_alu instid0(VALU_DEP_4) | instskip(NEXT) | instid1(VALU_DEP_4)
	v_and_b32_e32 v116, 0xffff0000, v116
	v_add3_u32 v118, v118, v117, 0x7fff
	s_wait_alu 0xfffd
	s_delay_alu instid0(VALU_DEP_1) | instskip(NEXT) | instid1(VALU_DEP_1)
	v_dual_cndmask_b32 v117, v118, v123 :: v_dual_lshlrev_b32 v118, 16, v120
	v_dual_mul_f32 v118, v2, v118 :: v_dual_and_b32 v115, 0xffff0000, v117
	s_delay_alu instid0(VALU_DEP_1) | instskip(NEXT) | instid1(VALU_DEP_2)
	v_add_f32_e32 v115, v115, v116
	v_bfe_u32 v120, v118, 16, 1
	v_or_b32_e32 v123, 0x400000, v118
	v_cmp_u_f32_e32 vcc_lo, v118, v118
	s_delay_alu instid0(VALU_DEP_4) | instskip(NEXT) | instid1(VALU_DEP_4)
	v_add_f32_e32 v9, v115, v9
	v_add3_u32 v120, v120, v118, 0x7fff
	s_wait_alu 0xfffd
	s_delay_alu instid0(VALU_DEP_1) | instskip(SKIP_3) | instid1(VALU_DEP_4)
	v_cndmask_b32_e32 v118, v120, v123, vcc_lo
	v_bfe_u32 v120, v119, 16, 1
	v_or_b32_e32 v123, 0x400000, v119
	v_cmp_u_f32_e32 vcc_lo, v119, v119
	v_and_b32_e32 v116, 0xffff0000, v118
	s_delay_alu instid0(VALU_DEP_4) | instskip(SKIP_1) | instid1(VALU_DEP_1)
	v_add3_u32 v120, v120, v119, 0x7fff
	s_wait_alu 0xfffd
	v_dual_cndmask_b32 v119, v120, v123 :: v_dual_lshlrev_b32 v120, 16, v122
	s_delay_alu instid0(VALU_DEP_1) | instskip(NEXT) | instid1(VALU_DEP_1)
	v_dual_mul_f32 v120, v1, v120 :: v_dual_and_b32 v115, 0xffff0000, v119
	v_add_f32_e32 v115, v115, v116
	s_delay_alu instid0(VALU_DEP_2) | instskip(SKIP_2) | instid1(VALU_DEP_4)
	v_bfe_u32 v122, v120, 16, 1
	v_or_b32_e32 v123, 0x400000, v120
	v_cmp_u_f32_e32 vcc_lo, v120, v120
	v_add_f32_e32 v9, v115, v9
	s_delay_alu instid0(VALU_DEP_4) | instskip(SKIP_1) | instid1(VALU_DEP_1)
	v_add3_u32 v122, v122, v120, 0x7fff
	s_wait_alu 0xfffd
	v_cndmask_b32_e32 v120, v122, v123, vcc_lo
	v_bfe_u32 v122, v121, 16, 1
	v_or_b32_e32 v123, 0x400000, v121
	v_cmp_u_f32_e32 vcc_lo, v121, v121
	s_delay_alu instid0(VALU_DEP_4) | instskip(NEXT) | instid1(VALU_DEP_4)
	v_and_b32_e32 v116, 0xffff0000, v120
	v_add3_u32 v122, v122, v121, 0x7fff
	s_wait_alu 0xfffd
	s_delay_alu instid0(VALU_DEP_1) | instskip(NEXT) | instid1(VALU_DEP_1)
	v_cndmask_b32_e32 v121, v122, v123, vcc_lo
	v_and_b32_e32 v115, 0xffff0000, v121
	s_delay_alu instid0(VALU_DEP_1) | instskip(NEXT) | instid1(VALU_DEP_1)
	v_add_f32_e32 v115, v115, v116
	v_add_f32_e32 v9, v115, v9
	s_delay_alu instid0(VALU_DEP_1) | instskip(NEXT) | instid1(VALU_DEP_1)
	v_dual_add_f32 v24, v24, v9 :: v_dual_lshlrev_b32 v9, 16, v108
	v_mul_f32_e32 v9, v7, v9
	s_delay_alu instid0(VALU_DEP_1) | instskip(SKIP_2) | instid1(VALU_DEP_3)
	v_bfe_u32 v108, v9, 16, 1
	v_or_b32_e32 v115, 0x400000, v9
	v_cmp_u_f32_e32 vcc_lo, v9, v9
	v_add3_u32 v108, v108, v9, 0x7fff
	s_wait_alu 0xfffd
	s_delay_alu instid0(VALU_DEP_1) | instskip(SKIP_3) | instid1(VALU_DEP_4)
	v_cndmask_b32_e32 v9, v108, v115, vcc_lo
	v_bfe_u32 v108, v107, 16, 1
	v_or_b32_e32 v115, 0x400000, v107
	v_cmp_u_f32_e32 vcc_lo, v107, v107
	v_and_b32_e32 v9, 0xffff0000, v9
	s_delay_alu instid0(VALU_DEP_4) | instskip(SKIP_1) | instid1(VALU_DEP_1)
	v_add3_u32 v108, v108, v107, 0x7fff
	s_wait_alu 0xfffd
	v_dual_cndmask_b32 v107, v108, v115 :: v_dual_lshlrev_b32 v108, 16, v110
	s_delay_alu instid0(VALU_DEP_1) | instskip(NEXT) | instid1(VALU_DEP_1)
	v_dual_mul_f32 v108, v4, v108 :: v_dual_and_b32 v107, 0xffff0000, v107
	v_add_f32_e32 v9, v107, v9
	s_delay_alu instid0(VALU_DEP_2) | instskip(SKIP_2) | instid1(VALU_DEP_3)
	v_bfe_u32 v110, v108, 16, 1
	v_or_b32_e32 v115, 0x400000, v108
	v_cmp_u_f32_e32 vcc_lo, v108, v108
	v_add3_u32 v110, v110, v108, 0x7fff
	s_wait_alu 0xfffd
	s_delay_alu instid0(VALU_DEP_1) | instskip(SKIP_3) | instid1(VALU_DEP_4)
	v_cndmask_b32_e32 v108, v110, v115, vcc_lo
	v_bfe_u32 v110, v109, 16, 1
	v_or_b32_e32 v115, 0x400000, v109
	v_cmp_u_f32_e32 vcc_lo, v109, v109
	v_and_b32_e32 v108, 0xffff0000, v108
	s_delay_alu instid0(VALU_DEP_4) | instskip(SKIP_1) | instid1(VALU_DEP_1)
	v_add3_u32 v110, v110, v109, 0x7fff
	s_wait_alu 0xfffd
	v_dual_cndmask_b32 v109, v110, v115 :: v_dual_lshlrev_b32 v110, 16, v112
	s_delay_alu instid0(VALU_DEP_1) | instskip(NEXT) | instid1(VALU_DEP_1)
	v_dual_mul_f32 v110, v2, v110 :: v_dual_and_b32 v107, 0xffff0000, v109
	v_add_f32_e32 v107, v107, v108
	s_delay_alu instid0(VALU_DEP_2) | instskip(SKIP_2) | instid1(VALU_DEP_4)
	v_bfe_u32 v112, v110, 16, 1
	v_or_b32_e32 v115, 0x400000, v110
	v_cmp_u_f32_e32 vcc_lo, v110, v110
	v_add_f32_e32 v9, v107, v9
	s_delay_alu instid0(VALU_DEP_4) | instskip(SKIP_1) | instid1(VALU_DEP_1)
	v_add3_u32 v112, v112, v110, 0x7fff
	s_wait_alu 0xfffd
	v_cndmask_b32_e32 v110, v112, v115, vcc_lo
	v_bfe_u32 v112, v111, 16, 1
	v_or_b32_e32 v115, 0x400000, v111
	v_cmp_u_f32_e32 vcc_lo, v111, v111
	s_delay_alu instid0(VALU_DEP_4) | instskip(NEXT) | instid1(VALU_DEP_4)
	v_and_b32_e32 v108, 0xffff0000, v110
	v_add3_u32 v112, v112, v111, 0x7fff
	s_wait_alu 0xfffd
	s_delay_alu instid0(VALU_DEP_1) | instskip(NEXT) | instid1(VALU_DEP_1)
	v_dual_cndmask_b32 v111, v112, v115 :: v_dual_lshlrev_b32 v112, 16, v114
	v_dual_mul_f32 v112, v1, v112 :: v_dual_and_b32 v107, 0xffff0000, v111
	s_delay_alu instid0(VALU_DEP_1) | instskip(NEXT) | instid1(VALU_DEP_2)
	v_add_f32_e32 v107, v107, v108
	v_bfe_u32 v114, v112, 16, 1
	v_or_b32_e32 v115, 0x400000, v112
	v_cmp_u_f32_e32 vcc_lo, v112, v112
	s_delay_alu instid0(VALU_DEP_4) | instskip(NEXT) | instid1(VALU_DEP_4)
	v_add_f32_e32 v9, v107, v9
	v_add3_u32 v114, v114, v112, 0x7fff
	s_wait_alu 0xfffd
	s_delay_alu instid0(VALU_DEP_1) | instskip(SKIP_3) | instid1(VALU_DEP_4)
	v_cndmask_b32_e32 v112, v114, v115, vcc_lo
	v_bfe_u32 v114, v113, 16, 1
	v_or_b32_e32 v115, 0x400000, v113
	v_cmp_u_f32_e32 vcc_lo, v113, v113
	v_and_b32_e32 v108, 0xffff0000, v112
	s_delay_alu instid0(VALU_DEP_4) | instskip(SKIP_1) | instid1(VALU_DEP_1)
	v_add3_u32 v114, v114, v113, 0x7fff
	s_wait_alu 0xfffd
	v_cndmask_b32_e32 v113, v114, v115, vcc_lo
	s_delay_alu instid0(VALU_DEP_1) | instskip(NEXT) | instid1(VALU_DEP_1)
	v_and_b32_e32 v107, 0xffff0000, v113
	v_add_f32_e32 v107, v107, v108
	s_delay_alu instid0(VALU_DEP_1) | instskip(NEXT) | instid1(VALU_DEP_1)
	v_add_f32_e32 v9, v107, v9
	v_add_f32_e32 v25, v25, v9
	v_lshlrev_b32_e32 v9, 16, v15
	s_delay_alu instid0(VALU_DEP_1) | instskip(NEXT) | instid1(VALU_DEP_1)
	v_mul_f32_e32 v9, v7, v9
	v_bfe_u32 v15, v9, 16, 1
	v_or_b32_e32 v107, 0x400000, v9
	v_cmp_u_f32_e32 vcc_lo, v9, v9
	s_delay_alu instid0(VALU_DEP_3) | instskip(SKIP_1) | instid1(VALU_DEP_1)
	v_add3_u32 v15, v15, v9, 0x7fff
	s_wait_alu 0xfffd
	v_cndmask_b32_e32 v9, v15, v107, vcc_lo
	v_bfe_u32 v15, v14, 16, 1
	v_or_b32_e32 v107, 0x400000, v14
	v_cmp_u_f32_e32 vcc_lo, v14, v14
	s_delay_alu instid0(VALU_DEP_4) | instskip(NEXT) | instid1(VALU_DEP_4)
	v_and_b32_e32 v9, 0xffff0000, v9
	v_add3_u32 v15, v15, v14, 0x7fff
	s_wait_alu 0xfffd
	s_delay_alu instid0(VALU_DEP_1) | instskip(NEXT) | instid1(VALU_DEP_1)
	v_dual_cndmask_b32 v14, v15, v107 :: v_dual_lshlrev_b32 v15, 16, v102
	v_dual_mul_f32 v15, v4, v15 :: v_dual_and_b32 v14, 0xffff0000, v14
	s_delay_alu instid0(VALU_DEP_1) | instskip(NEXT) | instid1(VALU_DEP_2)
	v_add_f32_e32 v9, v14, v9
	v_bfe_u32 v102, v15, 16, 1
	v_or_b32_e32 v107, 0x400000, v15
	v_cmp_u_f32_e32 vcc_lo, v15, v15
	s_delay_alu instid0(VALU_DEP_3) | instskip(SKIP_1) | instid1(VALU_DEP_1)
	v_add3_u32 v102, v102, v15, 0x7fff
	s_wait_alu 0xfffd
	v_cndmask_b32_e32 v15, v102, v107, vcc_lo
	v_bfe_u32 v102, v101, 16, 1
	v_or_b32_e32 v107, 0x400000, v101
	v_cmp_u_f32_e32 vcc_lo, v101, v101
	s_delay_alu instid0(VALU_DEP_4) | instskip(NEXT) | instid1(VALU_DEP_4)
	v_and_b32_e32 v15, 0xffff0000, v15
	v_add3_u32 v102, v102, v101, 0x7fff
	s_wait_alu 0xfffd
	s_delay_alu instid0(VALU_DEP_1) | instskip(NEXT) | instid1(VALU_DEP_1)
	v_dual_cndmask_b32 v101, v102, v107 :: v_dual_lshlrev_b32 v102, 16, v104
	v_and_b32_e32 v14, 0xffff0000, v101
	s_delay_alu instid0(VALU_DEP_2) | instskip(NEXT) | instid1(VALU_DEP_2)
	v_mul_f32_e32 v102, v2, v102
	v_add_f32_e32 v14, v14, v15
	s_delay_alu instid0(VALU_DEP_2) | instskip(SKIP_2) | instid1(VALU_DEP_4)
	v_bfe_u32 v104, v102, 16, 1
	v_or_b32_e32 v107, 0x400000, v102
	v_cmp_u_f32_e32 vcc_lo, v102, v102
	v_add_f32_e32 v9, v14, v9
	s_delay_alu instid0(VALU_DEP_4) | instskip(SKIP_1) | instid1(VALU_DEP_1)
	v_add3_u32 v104, v104, v102, 0x7fff
	s_wait_alu 0xfffd
	v_cndmask_b32_e32 v102, v104, v107, vcc_lo
	v_bfe_u32 v104, v103, 16, 1
	v_or_b32_e32 v107, 0x400000, v103
	v_cmp_u_f32_e32 vcc_lo, v103, v103
	s_delay_alu instid0(VALU_DEP_4) | instskip(NEXT) | instid1(VALU_DEP_4)
	v_and_b32_e32 v15, 0xffff0000, v102
	v_add3_u32 v104, v104, v103, 0x7fff
	s_wait_alu 0xfffd
	s_delay_alu instid0(VALU_DEP_1) | instskip(NEXT) | instid1(VALU_DEP_1)
	v_dual_cndmask_b32 v103, v104, v107 :: v_dual_lshlrev_b32 v104, 16, v106
	v_and_b32_e32 v14, 0xffff0000, v103
	s_delay_alu instid0(VALU_DEP_2) | instskip(NEXT) | instid1(VALU_DEP_2)
	v_mul_f32_e32 v104, v1, v104
	v_add_f32_e32 v14, v14, v15
	s_delay_alu instid0(VALU_DEP_2) | instskip(SKIP_2) | instid1(VALU_DEP_4)
	v_bfe_u32 v106, v104, 16, 1
	v_or_b32_e32 v107, 0x400000, v104
	v_cmp_u_f32_e32 vcc_lo, v104, v104
	v_add_f32_e32 v9, v14, v9
	s_delay_alu instid0(VALU_DEP_4) | instskip(SKIP_1) | instid1(VALU_DEP_1)
	v_add3_u32 v106, v106, v104, 0x7fff
	s_wait_alu 0xfffd
	v_cndmask_b32_e32 v104, v106, v107, vcc_lo
	v_bfe_u32 v106, v105, 16, 1
	v_or_b32_e32 v107, 0x400000, v105
	v_cmp_u_f32_e32 vcc_lo, v105, v105
	s_delay_alu instid0(VALU_DEP_4) | instskip(NEXT) | instid1(VALU_DEP_4)
	v_and_b32_e32 v15, 0xffff0000, v104
	v_add3_u32 v106, v106, v105, 0x7fff
	s_wait_alu 0xfffd
	s_delay_alu instid0(VALU_DEP_1) | instskip(NEXT) | instid1(VALU_DEP_1)
	v_cndmask_b32_e32 v105, v106, v107, vcc_lo
	v_and_b32_e32 v14, 0xffff0000, v105
	s_delay_alu instid0(VALU_DEP_1) | instskip(NEXT) | instid1(VALU_DEP_1)
	v_add_f32_e32 v14, v14, v15
	v_add_f32_e32 v9, v14, v9
	s_delay_alu instid0(VALU_DEP_1) | instskip(NEXT) | instid1(VALU_DEP_1)
	v_dual_add_f32 v26, v26, v9 :: v_dual_lshlrev_b32 v9, 16, v95
	v_mul_f32_e32 v9, v7, v9
	s_delay_alu instid0(VALU_DEP_1) | instskip(SKIP_2) | instid1(VALU_DEP_3)
	v_bfe_u32 v14, v9, 16, 1
	v_or_b32_e32 v15, 0x400000, v9
	v_cmp_u_f32_e32 vcc_lo, v9, v9
	v_add3_u32 v14, v14, v9, 0x7fff
	s_wait_alu 0xfffd
	s_delay_alu instid0(VALU_DEP_1) | instskip(NEXT) | instid1(VALU_DEP_1)
	v_dual_cndmask_b32 v9, v14, v15 :: v_dual_lshlrev_b32 v14, 16, v94
	v_dual_mul_f32 v14, v8, v14 :: v_dual_and_b32 v9, 0xffff0000, v9
	s_delay_alu instid0(VALU_DEP_1) | instskip(SKIP_2) | instid1(VALU_DEP_3)
	v_bfe_u32 v15, v14, 16, 1
	v_or_b32_e32 v94, 0x400000, v14
	v_cmp_u_f32_e32 vcc_lo, v14, v14
	v_add3_u32 v15, v15, v14, 0x7fff
	s_wait_alu 0xfffd
	s_delay_alu instid0(VALU_DEP_1) | instskip(NEXT) | instid1(VALU_DEP_1)
	v_dual_cndmask_b32 v14, v15, v94 :: v_dual_lshlrev_b32 v15, 16, v97
	v_dual_mul_f32 v15, v4, v15 :: v_dual_and_b32 v14, 0xffff0000, v14
	s_delay_alu instid0(VALU_DEP_1) | instskip(NEXT) | instid1(VALU_DEP_2)
	v_add_f32_e32 v9, v14, v9
	v_bfe_u32 v94, v15, 16, 1
	v_or_b32_e32 v95, 0x400000, v15
	v_cmp_u_f32_e32 vcc_lo, v15, v15
	s_delay_alu instid0(VALU_DEP_3) | instskip(SKIP_1) | instid1(VALU_DEP_1)
	v_add3_u32 v94, v94, v15, 0x7fff
	s_wait_alu 0xfffd
	v_dual_cndmask_b32 v15, v94, v95 :: v_dual_lshlrev_b32 v94, 16, v96
	s_delay_alu instid0(VALU_DEP_1) | instskip(NEXT) | instid1(VALU_DEP_1)
	v_dual_mul_f32 v94, v6, v94 :: v_dual_and_b32 v15, 0xffff0000, v15
	v_bfe_u32 v95, v94, 16, 1
	v_or_b32_e32 v96, 0x400000, v94
	v_cmp_u_f32_e32 vcc_lo, v94, v94
	s_delay_alu instid0(VALU_DEP_3) | instskip(SKIP_1) | instid1(VALU_DEP_1)
	v_add3_u32 v95, v95, v94, 0x7fff
	s_wait_alu 0xfffd
	v_dual_cndmask_b32 v94, v95, v96 :: v_dual_lshlrev_b32 v95, 16, v99
	s_delay_alu instid0(VALU_DEP_1) | instskip(NEXT) | instid1(VALU_DEP_1)
	v_dual_mul_f32 v95, v2, v95 :: v_dual_and_b32 v14, 0xffff0000, v94
	v_add_f32_e32 v14, v14, v15
	s_delay_alu instid0(VALU_DEP_2) | instskip(SKIP_2) | instid1(VALU_DEP_4)
	v_bfe_u32 v96, v95, 16, 1
	v_or_b32_e32 v97, 0x400000, v95
	v_cmp_u_f32_e32 vcc_lo, v95, v95
	v_add_f32_e32 v9, v14, v9
	s_delay_alu instid0(VALU_DEP_4) | instskip(SKIP_1) | instid1(VALU_DEP_1)
	v_add3_u32 v96, v96, v95, 0x7fff
	s_wait_alu 0xfffd
	v_dual_cndmask_b32 v95, v96, v97 :: v_dual_lshlrev_b32 v96, 16, v98
	s_delay_alu instid0(VALU_DEP_1) | instskip(NEXT) | instid1(VALU_DEP_1)
	v_dual_mul_f32 v96, v5, v96 :: v_dual_and_b32 v15, 0xffff0000, v95
	v_bfe_u32 v97, v96, 16, 1
	v_or_b32_e32 v98, 0x400000, v96
	v_cmp_u_f32_e32 vcc_lo, v96, v96
	s_delay_alu instid0(VALU_DEP_3) | instskip(SKIP_1) | instid1(VALU_DEP_1)
	v_add3_u32 v97, v97, v96, 0x7fff
	s_wait_alu 0xfffd
	v_cndmask_b32_e32 v96, v97, v98, vcc_lo
	v_bfe_u32 v97, v0, 16, 1
	v_or_b32_e32 v98, 0x400000, v0
	v_cmp_u_f32_e32 vcc_lo, v0, v0
	s_delay_alu instid0(VALU_DEP_4) | instskip(NEXT) | instid1(VALU_DEP_4)
	v_and_b32_e32 v14, 0xffff0000, v96
	v_add3_u32 v97, v97, v0, 0x7fff
	s_delay_alu instid0(VALU_DEP_2) | instskip(SKIP_1) | instid1(VALU_DEP_2)
	v_add_f32_e32 v14, v14, v15
	s_wait_alu 0xfffd
	v_dual_cndmask_b32 v0, v97, v98 :: v_dual_lshlrev_b32 v97, 16, v100
	s_delay_alu instid0(VALU_DEP_1) | instskip(NEXT) | instid1(VALU_DEP_2)
	v_dual_add_f32 v9, v14, v9 :: v_dual_and_b32 v0, 0xffff0000, v0
	v_mul_f32_e32 v97, v3, v97
	s_delay_alu instid0(VALU_DEP_1) | instskip(SKIP_2) | instid1(VALU_DEP_3)
	v_bfe_u32 v98, v97, 16, 1
	v_or_b32_e32 v99, 0x400000, v97
	v_cmp_u_f32_e32 vcc_lo, v97, v97
	v_add3_u32 v98, v98, v97, 0x7fff
	s_wait_alu 0xfffd
	s_delay_alu instid0(VALU_DEP_1) | instskip(NEXT) | instid1(VALU_DEP_1)
	v_cndmask_b32_e32 v97, v98, v99, vcc_lo
	v_and_b32_e32 v14, 0xffff0000, v97
	s_delay_alu instid0(VALU_DEP_1) | instskip(NEXT) | instid1(VALU_DEP_1)
	v_add_f32_e32 v0, v14, v0
	v_add_f32_e32 v0, v0, v9
	s_delay_alu instid0(VALU_DEP_1) | instskip(NEXT) | instid1(VALU_DEP_1)
	v_dual_add_f32 v27, v27, v0 :: v_dual_lshlrev_b32 v0, 16, v87
	v_mul_f32_e32 v0, v7, v0
	s_delay_alu instid0(VALU_DEP_1) | instskip(SKIP_2) | instid1(VALU_DEP_3)
	v_bfe_u32 v9, v0, 16, 1
	v_or_b32_e32 v14, 0x400000, v0
	v_cmp_u_f32_e32 vcc_lo, v0, v0
	v_add3_u32 v9, v9, v0, 0x7fff
	s_wait_alu 0xfffd
	s_delay_alu instid0(VALU_DEP_1) | instskip(SKIP_1) | instid1(VALU_DEP_1)
	v_cndmask_b32_e32 v0, v9, v14, vcc_lo
	v_lshlrev_b32_e32 v9, 16, v86
	v_dual_mul_f32 v9, v8, v9 :: v_dual_and_b32 v0, 0xffff0000, v0
	s_delay_alu instid0(VALU_DEP_1) | instskip(SKIP_2) | instid1(VALU_DEP_3)
	v_bfe_u32 v14, v9, 16, 1
	v_or_b32_e32 v15, 0x400000, v9
	v_cmp_u_f32_e32 vcc_lo, v9, v9
	v_add3_u32 v14, v14, v9, 0x7fff
	s_wait_alu 0xfffd
	s_delay_alu instid0(VALU_DEP_1) | instskip(NEXT) | instid1(VALU_DEP_1)
	v_dual_cndmask_b32 v9, v14, v15 :: v_dual_lshlrev_b32 v14, 16, v89
	v_dual_mul_f32 v14, v4, v14 :: v_dual_and_b32 v9, 0xffff0000, v9
	s_delay_alu instid0(VALU_DEP_1) | instskip(NEXT) | instid1(VALU_DEP_2)
	v_add_f32_e32 v0, v9, v0
	v_bfe_u32 v15, v14, 16, 1
	v_or_b32_e32 v86, 0x400000, v14
	v_cmp_u_f32_e32 vcc_lo, v14, v14
	s_delay_alu instid0(VALU_DEP_3) | instskip(SKIP_1) | instid1(VALU_DEP_1)
	v_add3_u32 v15, v15, v14, 0x7fff
	s_wait_alu 0xfffd
	v_dual_cndmask_b32 v14, v15, v86 :: v_dual_lshlrev_b32 v15, 16, v88
	s_delay_alu instid0(VALU_DEP_1) | instskip(NEXT) | instid1(VALU_DEP_1)
	v_dual_mul_f32 v15, v6, v15 :: v_dual_and_b32 v14, 0xffff0000, v14
	v_bfe_u32 v86, v15, 16, 1
	v_or_b32_e32 v87, 0x400000, v15
	v_cmp_u_f32_e32 vcc_lo, v15, v15
	s_delay_alu instid0(VALU_DEP_3) | instskip(SKIP_1) | instid1(VALU_DEP_1)
	v_add3_u32 v86, v86, v15, 0x7fff
	s_wait_alu 0xfffd
	v_cndmask_b32_e32 v15, v86, v87, vcc_lo
	v_lshlrev_b32_e32 v86, 16, v91
	s_delay_alu instid0(VALU_DEP_1) | instskip(NEXT) | instid1(VALU_DEP_1)
	v_dual_mul_f32 v86, v2, v86 :: v_dual_and_b32 v9, 0xffff0000, v15
	v_add_f32_e32 v9, v9, v14
	s_delay_alu instid0(VALU_DEP_2) | instskip(SKIP_2) | instid1(VALU_DEP_4)
	v_bfe_u32 v87, v86, 16, 1
	v_or_b32_e32 v88, 0x400000, v86
	v_cmp_u_f32_e32 vcc_lo, v86, v86
	v_add_f32_e32 v0, v9, v0
	s_delay_alu instid0(VALU_DEP_4) | instskip(SKIP_1) | instid1(VALU_DEP_1)
	v_add3_u32 v87, v87, v86, 0x7fff
	s_wait_alu 0xfffd
	v_dual_cndmask_b32 v86, v87, v88 :: v_dual_lshlrev_b32 v87, 16, v90
	s_delay_alu instid0(VALU_DEP_1) | instskip(NEXT) | instid1(VALU_DEP_1)
	v_dual_mul_f32 v87, v5, v87 :: v_dual_and_b32 v14, 0xffff0000, v86
	v_bfe_u32 v88, v87, 16, 1
	v_or_b32_e32 v89, 0x400000, v87
	v_cmp_u_f32_e32 vcc_lo, v87, v87
	s_delay_alu instid0(VALU_DEP_3) | instskip(SKIP_1) | instid1(VALU_DEP_1)
	v_add3_u32 v88, v88, v87, 0x7fff
	s_wait_alu 0xfffd
	v_cndmask_b32_e32 v87, v88, v89, vcc_lo
	v_lshlrev_b32_e32 v88, 16, v93
	s_delay_alu instid0(VALU_DEP_1) | instskip(NEXT) | instid1(VALU_DEP_1)
	v_dual_mul_f32 v88, v1, v88 :: v_dual_and_b32 v9, 0xffff0000, v87
	v_add_f32_e32 v9, v9, v14
	s_delay_alu instid0(VALU_DEP_2) | instskip(SKIP_2) | instid1(VALU_DEP_4)
	v_bfe_u32 v89, v88, 16, 1
	v_or_b32_e32 v90, 0x400000, v88
	v_cmp_u_f32_e32 vcc_lo, v88, v88
	v_add_f32_e32 v0, v9, v0
	s_delay_alu instid0(VALU_DEP_4) | instskip(SKIP_1) | instid1(VALU_DEP_1)
	v_add3_u32 v89, v89, v88, 0x7fff
	s_wait_alu 0xfffd
	v_dual_cndmask_b32 v88, v89, v90 :: v_dual_lshlrev_b32 v89, 16, v92
	s_delay_alu instid0(VALU_DEP_1) | instskip(NEXT) | instid1(VALU_DEP_1)
	v_dual_mul_f32 v89, v3, v89 :: v_dual_and_b32 v14, 0xffff0000, v88
	v_bfe_u32 v90, v89, 16, 1
	v_or_b32_e32 v91, 0x400000, v89
	v_cmp_u_f32_e32 vcc_lo, v89, v89
	s_delay_alu instid0(VALU_DEP_3) | instskip(SKIP_1) | instid1(VALU_DEP_1)
	v_add3_u32 v90, v90, v89, 0x7fff
	s_wait_alu 0xfffd
	v_cndmask_b32_e32 v89, v90, v91, vcc_lo
	s_delay_alu instid0(VALU_DEP_1) | instskip(NEXT) | instid1(VALU_DEP_1)
	v_and_b32_e32 v9, 0xffff0000, v89
	v_add_f32_e32 v9, v9, v14
	s_delay_alu instid0(VALU_DEP_1) | instskip(NEXT) | instid1(VALU_DEP_1)
	v_add_f32_e32 v0, v9, v0
	v_add_f32_e32 v28, v28, v0
	v_lshlrev_b32_e32 v0, 16, v79
	s_delay_alu instid0(VALU_DEP_1) | instskip(NEXT) | instid1(VALU_DEP_1)
	v_mul_f32_e32 v0, v7, v0
	v_bfe_u32 v9, v0, 16, 1
	v_or_b32_e32 v14, 0x400000, v0
	v_cmp_u_f32_e32 vcc_lo, v0, v0
	s_delay_alu instid0(VALU_DEP_3) | instskip(SKIP_1) | instid1(VALU_DEP_1)
	v_add3_u32 v9, v9, v0, 0x7fff
	s_wait_alu 0xfffd
	v_cndmask_b32_e32 v0, v9, v14, vcc_lo
	v_lshlrev_b32_e32 v9, 16, v78
	s_delay_alu instid0(VALU_DEP_1) | instskip(NEXT) | instid1(VALU_DEP_1)
	v_dual_mul_f32 v9, v8, v9 :: v_dual_and_b32 v0, 0xffff0000, v0
	v_bfe_u32 v14, v9, 16, 1
	v_or_b32_e32 v15, 0x400000, v9
	v_cmp_u_f32_e32 vcc_lo, v9, v9
	s_delay_alu instid0(VALU_DEP_3) | instskip(SKIP_1) | instid1(VALU_DEP_1)
	v_add3_u32 v14, v14, v9, 0x7fff
	s_wait_alu 0xfffd
	v_dual_cndmask_b32 v9, v14, v15 :: v_dual_lshlrev_b32 v14, 16, v81
	s_delay_alu instid0(VALU_DEP_1) | instskip(NEXT) | instid1(VALU_DEP_1)
	v_dual_mul_f32 v14, v4, v14 :: v_dual_and_b32 v9, 0xffff0000, v9
	v_add_f32_e32 v0, v9, v0
	s_delay_alu instid0(VALU_DEP_2) | instskip(SKIP_2) | instid1(VALU_DEP_3)
	v_bfe_u32 v15, v14, 16, 1
	v_or_b32_e32 v78, 0x400000, v14
	v_cmp_u_f32_e32 vcc_lo, v14, v14
	v_add3_u32 v15, v15, v14, 0x7fff
	s_wait_alu 0xfffd
	s_delay_alu instid0(VALU_DEP_1) | instskip(NEXT) | instid1(VALU_DEP_1)
	v_dual_cndmask_b32 v14, v15, v78 :: v_dual_lshlrev_b32 v15, 16, v80
	v_dual_mul_f32 v15, v6, v15 :: v_dual_and_b32 v14, 0xffff0000, v14
	s_delay_alu instid0(VALU_DEP_1) | instskip(SKIP_2) | instid1(VALU_DEP_3)
	v_bfe_u32 v78, v15, 16, 1
	v_or_b32_e32 v79, 0x400000, v15
	v_cmp_u_f32_e32 vcc_lo, v15, v15
	v_add3_u32 v78, v78, v15, 0x7fff
	s_wait_alu 0xfffd
	s_delay_alu instid0(VALU_DEP_1) | instskip(SKIP_1) | instid1(VALU_DEP_1)
	v_cndmask_b32_e32 v15, v78, v79, vcc_lo
	v_lshlrev_b32_e32 v78, 16, v83
	v_dual_mul_f32 v78, v2, v78 :: v_dual_and_b32 v9, 0xffff0000, v15
	s_delay_alu instid0(VALU_DEP_1) | instskip(NEXT) | instid1(VALU_DEP_2)
	v_add_f32_e32 v9, v9, v14
	v_bfe_u32 v79, v78, 16, 1
	v_or_b32_e32 v80, 0x400000, v78
	v_cmp_u_f32_e32 vcc_lo, v78, v78
	s_delay_alu instid0(VALU_DEP_4) | instskip(NEXT) | instid1(VALU_DEP_4)
	v_add_f32_e32 v0, v9, v0
	v_add3_u32 v79, v79, v78, 0x7fff
	s_wait_alu 0xfffd
	s_delay_alu instid0(VALU_DEP_1) | instskip(NEXT) | instid1(VALU_DEP_1)
	v_dual_cndmask_b32 v78, v79, v80 :: v_dual_lshlrev_b32 v79, 16, v82
	v_dual_mul_f32 v79, v5, v79 :: v_dual_and_b32 v14, 0xffff0000, v78
	s_delay_alu instid0(VALU_DEP_1) | instskip(SKIP_2) | instid1(VALU_DEP_3)
	v_bfe_u32 v80, v79, 16, 1
	v_or_b32_e32 v81, 0x400000, v79
	v_cmp_u_f32_e32 vcc_lo, v79, v79
	v_add3_u32 v80, v80, v79, 0x7fff
	s_wait_alu 0xfffd
	s_delay_alu instid0(VALU_DEP_1) | instskip(SKIP_1) | instid1(VALU_DEP_1)
	v_cndmask_b32_e32 v79, v80, v81, vcc_lo
	v_lshlrev_b32_e32 v80, 16, v85
	v_dual_mul_f32 v80, v1, v80 :: v_dual_and_b32 v9, 0xffff0000, v79
	s_delay_alu instid0(VALU_DEP_1) | instskip(NEXT) | instid1(VALU_DEP_2)
	v_add_f32_e32 v9, v9, v14
	v_bfe_u32 v81, v80, 16, 1
	v_or_b32_e32 v82, 0x400000, v80
	v_cmp_u_f32_e32 vcc_lo, v80, v80
	s_delay_alu instid0(VALU_DEP_4) | instskip(NEXT) | instid1(VALU_DEP_4)
	v_add_f32_e32 v0, v9, v0
	v_add3_u32 v81, v81, v80, 0x7fff
	s_wait_alu 0xfffd
	s_delay_alu instid0(VALU_DEP_1) | instskip(NEXT) | instid1(VALU_DEP_1)
	v_dual_cndmask_b32 v80, v81, v82 :: v_dual_lshlrev_b32 v81, 16, v84
	v_dual_mul_f32 v81, v3, v81 :: v_dual_and_b32 v14, 0xffff0000, v80
	s_delay_alu instid0(VALU_DEP_1) | instskip(SKIP_2) | instid1(VALU_DEP_3)
	v_bfe_u32 v82, v81, 16, 1
	v_or_b32_e32 v83, 0x400000, v81
	v_cmp_u_f32_e32 vcc_lo, v81, v81
	v_add3_u32 v82, v82, v81, 0x7fff
	s_wait_alu 0xfffd
	s_delay_alu instid0(VALU_DEP_1) | instskip(NEXT) | instid1(VALU_DEP_1)
	v_cndmask_b32_e32 v81, v82, v83, vcc_lo
	v_and_b32_e32 v9, 0xffff0000, v81
	s_delay_alu instid0(VALU_DEP_1) | instskip(NEXT) | instid1(VALU_DEP_1)
	v_add_f32_e32 v9, v9, v14
	v_add_f32_e32 v0, v9, v0
	s_delay_alu instid0(VALU_DEP_1) | instskip(NEXT) | instid1(VALU_DEP_1)
	v_dual_add_f32 v29, v29, v0 :: v_dual_lshlrev_b32 v0, 16, v67
	v_mul_f32_e32 v0, v7, v0
	s_delay_alu instid0(VALU_DEP_1) | instskip(SKIP_2) | instid1(VALU_DEP_3)
	v_bfe_u32 v9, v0, 16, 1
	v_or_b32_e32 v14, 0x400000, v0
	v_cmp_u_f32_e32 vcc_lo, v0, v0
	v_add3_u32 v9, v9, v0, 0x7fff
	s_wait_alu 0xfffd
	s_delay_alu instid0(VALU_DEP_1) | instskip(SKIP_1) | instid1(VALU_DEP_1)
	v_cndmask_b32_e32 v0, v9, v14, vcc_lo
	v_lshlrev_b32_e32 v9, 16, v66
	v_dual_mul_f32 v9, v8, v9 :: v_dual_and_b32 v0, 0xffff0000, v0
	s_delay_alu instid0(VALU_DEP_1) | instskip(SKIP_2) | instid1(VALU_DEP_3)
	v_bfe_u32 v14, v9, 16, 1
	v_or_b32_e32 v15, 0x400000, v9
	v_cmp_u_f32_e32 vcc_lo, v9, v9
	v_add3_u32 v14, v14, v9, 0x7fff
	s_wait_alu 0xfffd
	s_delay_alu instid0(VALU_DEP_1) | instskip(NEXT) | instid1(VALU_DEP_1)
	v_dual_cndmask_b32 v9, v14, v15 :: v_dual_lshlrev_b32 v14, 16, v69
	v_dual_mul_f32 v14, v4, v14 :: v_dual_and_b32 v9, 0xffff0000, v9
	s_delay_alu instid0(VALU_DEP_1) | instskip(NEXT) | instid1(VALU_DEP_2)
	v_add_f32_e32 v0, v9, v0
	v_bfe_u32 v15, v14, 16, 1
	v_or_b32_e32 v66, 0x400000, v14
	v_cmp_u_f32_e32 vcc_lo, v14, v14
	s_delay_alu instid0(VALU_DEP_3) | instskip(SKIP_1) | instid1(VALU_DEP_1)
	v_add3_u32 v15, v15, v14, 0x7fff
	s_wait_alu 0xfffd
	v_dual_cndmask_b32 v14, v15, v66 :: v_dual_lshlrev_b32 v15, 16, v68
	s_delay_alu instid0(VALU_DEP_1) | instskip(NEXT) | instid1(VALU_DEP_1)
	v_dual_mul_f32 v15, v6, v15 :: v_dual_and_b32 v14, 0xffff0000, v14
	v_bfe_u32 v66, v15, 16, 1
	v_or_b32_e32 v67, 0x400000, v15
	v_cmp_u_f32_e32 vcc_lo, v15, v15
	s_delay_alu instid0(VALU_DEP_3) | instskip(SKIP_1) | instid1(VALU_DEP_1)
	v_add3_u32 v66, v66, v15, 0x7fff
	s_wait_alu 0xfffd
	v_cndmask_b32_e32 v15, v66, v67, vcc_lo
	v_lshlrev_b32_e32 v66, 16, v71
	s_delay_alu instid0(VALU_DEP_1) | instskip(NEXT) | instid1(VALU_DEP_1)
	v_dual_mul_f32 v66, v2, v66 :: v_dual_and_b32 v9, 0xffff0000, v15
	v_add_f32_e32 v9, v9, v14
	s_delay_alu instid0(VALU_DEP_2) | instskip(SKIP_2) | instid1(VALU_DEP_4)
	v_bfe_u32 v67, v66, 16, 1
	v_or_b32_e32 v68, 0x400000, v66
	v_cmp_u_f32_e32 vcc_lo, v66, v66
	v_add_f32_e32 v0, v9, v0
	s_delay_alu instid0(VALU_DEP_4) | instskip(SKIP_1) | instid1(VALU_DEP_1)
	v_add3_u32 v67, v67, v66, 0x7fff
	s_wait_alu 0xfffd
	v_dual_cndmask_b32 v66, v67, v68 :: v_dual_lshlrev_b32 v67, 16, v70
	s_delay_alu instid0(VALU_DEP_1) | instskip(NEXT) | instid1(VALU_DEP_1)
	v_dual_mul_f32 v67, v5, v67 :: v_dual_and_b32 v14, 0xffff0000, v66
	v_bfe_u32 v68, v67, 16, 1
	v_or_b32_e32 v69, 0x400000, v67
	v_cmp_u_f32_e32 vcc_lo, v67, v67
	s_delay_alu instid0(VALU_DEP_3) | instskip(SKIP_1) | instid1(VALU_DEP_1)
	v_add3_u32 v68, v68, v67, 0x7fff
	s_wait_alu 0xfffd
	v_cndmask_b32_e32 v67, v68, v69, vcc_lo
	v_lshlrev_b32_e32 v68, 16, v73
	s_delay_alu instid0(VALU_DEP_1) | instskip(NEXT) | instid1(VALU_DEP_1)
	v_dual_mul_f32 v68, v1, v68 :: v_dual_and_b32 v9, 0xffff0000, v67
	v_add_f32_e32 v9, v9, v14
	s_delay_alu instid0(VALU_DEP_2) | instskip(SKIP_2) | instid1(VALU_DEP_4)
	v_bfe_u32 v69, v68, 16, 1
	v_or_b32_e32 v70, 0x400000, v68
	v_cmp_u_f32_e32 vcc_lo, v68, v68
	v_add_f32_e32 v0, v9, v0
	s_delay_alu instid0(VALU_DEP_4) | instskip(SKIP_1) | instid1(VALU_DEP_1)
	v_add3_u32 v69, v69, v68, 0x7fff
	s_wait_alu 0xfffd
	v_dual_cndmask_b32 v68, v69, v70 :: v_dual_lshlrev_b32 v69, 16, v72
	s_delay_alu instid0(VALU_DEP_1) | instskip(NEXT) | instid1(VALU_DEP_1)
	v_dual_mul_f32 v69, v3, v69 :: v_dual_and_b32 v14, 0xffff0000, v68
	v_bfe_u32 v70, v69, 16, 1
	v_or_b32_e32 v71, 0x400000, v69
	v_cmp_u_f32_e32 vcc_lo, v69, v69
	s_delay_alu instid0(VALU_DEP_3) | instskip(SKIP_1) | instid1(VALU_DEP_1)
	v_add3_u32 v70, v70, v69, 0x7fff
	s_wait_alu 0xfffd
	v_cndmask_b32_e32 v69, v70, v71, vcc_lo
	s_delay_alu instid0(VALU_DEP_1) | instskip(NEXT) | instid1(VALU_DEP_1)
	v_and_b32_e32 v9, 0xffff0000, v69
	v_add_f32_e32 v9, v9, v14
	s_delay_alu instid0(VALU_DEP_1) | instskip(NEXT) | instid1(VALU_DEP_1)
	v_add_f32_e32 v0, v9, v0
	v_add_f32_e32 v30, v30, v0
	v_lshlrev_b32_e32 v0, 16, v59
	s_delay_alu instid0(VALU_DEP_1) | instskip(NEXT) | instid1(VALU_DEP_1)
	v_mul_f32_e32 v0, v7, v0
	v_bfe_u32 v9, v0, 16, 1
	v_or_b32_e32 v14, 0x400000, v0
	v_cmp_u_f32_e32 vcc_lo, v0, v0
	s_delay_alu instid0(VALU_DEP_3) | instskip(SKIP_1) | instid1(VALU_DEP_1)
	v_add3_u32 v9, v9, v0, 0x7fff
	s_wait_alu 0xfffd
	v_cndmask_b32_e32 v0, v9, v14, vcc_lo
	v_lshlrev_b32_e32 v9, 16, v58
	s_delay_alu instid0(VALU_DEP_1) | instskip(NEXT) | instid1(VALU_DEP_1)
	v_dual_mul_f32 v9, v8, v9 :: v_dual_and_b32 v0, 0xffff0000, v0
	v_bfe_u32 v14, v9, 16, 1
	v_or_b32_e32 v15, 0x400000, v9
	v_cmp_u_f32_e32 vcc_lo, v9, v9
	s_delay_alu instid0(VALU_DEP_3) | instskip(SKIP_1) | instid1(VALU_DEP_1)
	v_add3_u32 v14, v14, v9, 0x7fff
	s_wait_alu 0xfffd
	v_dual_cndmask_b32 v9, v14, v15 :: v_dual_lshlrev_b32 v14, 16, v61
	s_delay_alu instid0(VALU_DEP_1) | instskip(NEXT) | instid1(VALU_DEP_1)
	v_dual_mul_f32 v14, v4, v14 :: v_dual_and_b32 v9, 0xffff0000, v9
	v_add_f32_e32 v0, v9, v0
	s_delay_alu instid0(VALU_DEP_2) | instskip(SKIP_2) | instid1(VALU_DEP_3)
	v_bfe_u32 v15, v14, 16, 1
	v_or_b32_e32 v58, 0x400000, v14
	v_cmp_u_f32_e32 vcc_lo, v14, v14
	v_add3_u32 v15, v15, v14, 0x7fff
	s_wait_alu 0xfffd
	s_delay_alu instid0(VALU_DEP_1) | instskip(NEXT) | instid1(VALU_DEP_1)
	v_dual_cndmask_b32 v14, v15, v58 :: v_dual_lshlrev_b32 v15, 16, v60
	v_dual_mul_f32 v15, v6, v15 :: v_dual_and_b32 v14, 0xffff0000, v14
	s_delay_alu instid0(VALU_DEP_1) | instskip(SKIP_2) | instid1(VALU_DEP_3)
	v_bfe_u32 v58, v15, 16, 1
	v_or_b32_e32 v59, 0x400000, v15
	v_cmp_u_f32_e32 vcc_lo, v15, v15
	v_add3_u32 v58, v58, v15, 0x7fff
	s_wait_alu 0xfffd
	s_delay_alu instid0(VALU_DEP_1) | instskip(SKIP_1) | instid1(VALU_DEP_1)
	v_cndmask_b32_e32 v15, v58, v59, vcc_lo
	v_lshlrev_b32_e32 v58, 16, v63
	v_dual_mul_f32 v58, v2, v58 :: v_dual_and_b32 v9, 0xffff0000, v15
	s_delay_alu instid0(VALU_DEP_1) | instskip(NEXT) | instid1(VALU_DEP_2)
	v_add_f32_e32 v9, v9, v14
	v_bfe_u32 v59, v58, 16, 1
	v_or_b32_e32 v60, 0x400000, v58
	v_cmp_u_f32_e32 vcc_lo, v58, v58
	s_delay_alu instid0(VALU_DEP_4) | instskip(NEXT) | instid1(VALU_DEP_4)
	v_add_f32_e32 v0, v9, v0
	v_add3_u32 v59, v59, v58, 0x7fff
	s_wait_alu 0xfffd
	s_delay_alu instid0(VALU_DEP_1) | instskip(NEXT) | instid1(VALU_DEP_1)
	v_dual_cndmask_b32 v58, v59, v60 :: v_dual_lshlrev_b32 v59, 16, v62
	v_dual_mul_f32 v59, v5, v59 :: v_dual_and_b32 v14, 0xffff0000, v58
	s_delay_alu instid0(VALU_DEP_1) | instskip(SKIP_2) | instid1(VALU_DEP_3)
	v_bfe_u32 v60, v59, 16, 1
	v_or_b32_e32 v61, 0x400000, v59
	v_cmp_u_f32_e32 vcc_lo, v59, v59
	v_add3_u32 v60, v60, v59, 0x7fff
	s_wait_alu 0xfffd
	s_delay_alu instid0(VALU_DEP_1) | instskip(SKIP_1) | instid1(VALU_DEP_1)
	v_cndmask_b32_e32 v59, v60, v61, vcc_lo
	v_lshlrev_b32_e32 v60, 16, v65
	v_dual_mul_f32 v60, v1, v60 :: v_dual_and_b32 v9, 0xffff0000, v59
	s_delay_alu instid0(VALU_DEP_1) | instskip(NEXT) | instid1(VALU_DEP_2)
	v_add_f32_e32 v9, v9, v14
	v_bfe_u32 v61, v60, 16, 1
	v_or_b32_e32 v62, 0x400000, v60
	v_cmp_u_f32_e32 vcc_lo, v60, v60
	s_delay_alu instid0(VALU_DEP_4) | instskip(NEXT) | instid1(VALU_DEP_4)
	v_add_f32_e32 v0, v9, v0
	v_add3_u32 v61, v61, v60, 0x7fff
	s_wait_alu 0xfffd
	s_delay_alu instid0(VALU_DEP_1) | instskip(NEXT) | instid1(VALU_DEP_1)
	v_dual_cndmask_b32 v60, v61, v62 :: v_dual_lshlrev_b32 v61, 16, v64
	v_dual_mul_f32 v61, v3, v61 :: v_dual_and_b32 v14, 0xffff0000, v60
	s_delay_alu instid0(VALU_DEP_1) | instskip(SKIP_2) | instid1(VALU_DEP_3)
	v_bfe_u32 v62, v61, 16, 1
	v_or_b32_e32 v63, 0x400000, v61
	v_cmp_u_f32_e32 vcc_lo, v61, v61
	v_add3_u32 v62, v62, v61, 0x7fff
	s_wait_alu 0xfffd
	s_delay_alu instid0(VALU_DEP_1) | instskip(NEXT) | instid1(VALU_DEP_1)
	v_cndmask_b32_e32 v61, v62, v63, vcc_lo
	v_and_b32_e32 v9, 0xffff0000, v61
	s_delay_alu instid0(VALU_DEP_1) | instskip(NEXT) | instid1(VALU_DEP_1)
	v_add_f32_e32 v9, v9, v14
	v_add_f32_e32 v0, v9, v0
	s_delay_alu instid0(VALU_DEP_1) | instskip(SKIP_1) | instid1(VALU_DEP_1)
	v_add_f32_e32 v31, v31, v0
	v_lshlrev_b32_e32 v0, 16, v16
	v_mul_f32_e32 v0, v7, v0
	s_delay_alu instid0(VALU_DEP_1) | instskip(SKIP_2) | instid1(VALU_DEP_3)
	v_bfe_u32 v9, v0, 16, 1
	v_or_b32_e32 v14, 0x400000, v0
	v_cmp_u_f32_e32 vcc_lo, v0, v0
	v_add3_u32 v9, v9, v0, 0x7fff
	s_wait_alu 0xfffd
	s_delay_alu instid0(VALU_DEP_1) | instskip(NEXT) | instid1(VALU_DEP_1)
	v_dual_cndmask_b32 v0, v9, v14 :: v_dual_lshlrev_b32 v9, 16, v52
	v_dual_mul_f32 v9, v8, v9 :: v_dual_and_b32 v0, 0xffff0000, v0
	s_delay_alu instid0(VALU_DEP_1) | instskip(SKIP_2) | instid1(VALU_DEP_3)
	v_bfe_u32 v14, v9, 16, 1
	v_or_b32_e32 v15, 0x400000, v9
	v_cmp_u_f32_e32 vcc_lo, v9, v9
	v_add3_u32 v14, v14, v9, 0x7fff
	s_wait_alu 0xfffd
	s_delay_alu instid0(VALU_DEP_1) | instskip(NEXT) | instid1(VALU_DEP_1)
	v_dual_cndmask_b32 v9, v14, v15 :: v_dual_lshlrev_b32 v14, 16, v53
	v_dual_mul_f32 v14, v4, v14 :: v_dual_and_b32 v9, 0xffff0000, v9
	s_delay_alu instid0(VALU_DEP_1) | instskip(NEXT) | instid1(VALU_DEP_2)
	v_add_f32_e32 v0, v9, v0
	v_bfe_u32 v15, v14, 16, 1
	v_or_b32_e32 v16, 0x400000, v14
	v_cmp_u_f32_e32 vcc_lo, v14, v14
	s_delay_alu instid0(VALU_DEP_3) | instskip(SKIP_1) | instid1(VALU_DEP_1)
	v_add3_u32 v15, v15, v14, 0x7fff
	s_wait_alu 0xfffd
	v_dual_cndmask_b32 v14, v15, v16 :: v_dual_lshlrev_b32 v15, 16, v17
	s_delay_alu instid0(VALU_DEP_1) | instskip(NEXT) | instid1(VALU_DEP_1)
	v_dual_mul_f32 v15, v6, v15 :: v_dual_and_b32 v14, 0xffff0000, v14
	v_bfe_u32 v16, v15, 16, 1
	v_or_b32_e32 v17, 0x400000, v15
	v_cmp_u_f32_e32 vcc_lo, v15, v15
	s_delay_alu instid0(VALU_DEP_3) | instskip(SKIP_1) | instid1(VALU_DEP_1)
	v_add3_u32 v16, v16, v15, 0x7fff
	s_wait_alu 0xfffd
	v_dual_cndmask_b32 v15, v16, v17 :: v_dual_lshlrev_b32 v16, 16, v55
	s_delay_alu instid0(VALU_DEP_1) | instskip(NEXT) | instid1(VALU_DEP_1)
	v_dual_mul_f32 v16, v2, v16 :: v_dual_and_b32 v9, 0xffff0000, v15
	v_add_f32_e32 v9, v9, v14
	s_delay_alu instid0(VALU_DEP_2) | instskip(SKIP_2) | instid1(VALU_DEP_4)
	v_bfe_u32 v17, v16, 16, 1
	v_or_b32_e32 v52, 0x400000, v16
	v_cmp_u_f32_e32 vcc_lo, v16, v16
	v_add_f32_e32 v0, v9, v0
	s_delay_alu instid0(VALU_DEP_4) | instskip(SKIP_1) | instid1(VALU_DEP_1)
	v_add3_u32 v17, v17, v16, 0x7fff
	s_wait_alu 0xfffd
	v_dual_cndmask_b32 v16, v17, v52 :: v_dual_lshlrev_b32 v17, 16, v54
	s_delay_alu instid0(VALU_DEP_1) | instskip(NEXT) | instid1(VALU_DEP_1)
	v_dual_mul_f32 v17, v5, v17 :: v_dual_and_b32 v14, 0xffff0000, v16
	v_bfe_u32 v52, v17, 16, 1
	v_or_b32_e32 v53, 0x400000, v17
	v_cmp_u_f32_e32 vcc_lo, v17, v17
	s_delay_alu instid0(VALU_DEP_3) | instskip(SKIP_1) | instid1(VALU_DEP_1)
	v_add3_u32 v52, v52, v17, 0x7fff
	s_wait_alu 0xfffd
	v_cndmask_b32_e32 v17, v52, v53, vcc_lo
	v_lshlrev_b32_e32 v52, 16, v57
	s_delay_alu instid0(VALU_DEP_1) | instskip(NEXT) | instid1(VALU_DEP_1)
	v_dual_mul_f32 v52, v1, v52 :: v_dual_and_b32 v9, 0xffff0000, v17
	v_add_f32_e32 v9, v9, v14
	s_delay_alu instid0(VALU_DEP_2) | instskip(SKIP_2) | instid1(VALU_DEP_4)
	v_bfe_u32 v53, v52, 16, 1
	v_or_b32_e32 v54, 0x400000, v52
	v_cmp_u_f32_e32 vcc_lo, v52, v52
	v_add_f32_e32 v0, v9, v0
	s_delay_alu instid0(VALU_DEP_4) | instskip(SKIP_1) | instid1(VALU_DEP_1)
	v_add3_u32 v53, v53, v52, 0x7fff
	s_wait_alu 0xfffd
	v_dual_cndmask_b32 v52, v53, v54 :: v_dual_lshlrev_b32 v53, 16, v56
	s_delay_alu instid0(VALU_DEP_1) | instskip(NEXT) | instid1(VALU_DEP_1)
	v_dual_mul_f32 v53, v3, v53 :: v_dual_and_b32 v14, 0xffff0000, v52
	v_bfe_u32 v54, v53, 16, 1
	v_or_b32_e32 v55, 0x400000, v53
	v_cmp_u_f32_e32 vcc_lo, v53, v53
	s_delay_alu instid0(VALU_DEP_3) | instskip(SKIP_1) | instid1(VALU_DEP_1)
	v_add3_u32 v54, v54, v53, 0x7fff
	s_wait_alu 0xfffd
	v_cndmask_b32_e32 v53, v54, v55, vcc_lo
	s_delay_alu instid0(VALU_DEP_1) | instskip(NEXT) | instid1(VALU_DEP_1)
	v_and_b32_e32 v9, 0xffff0000, v53
	v_add_f32_e32 v9, v9, v14
	s_delay_alu instid0(VALU_DEP_1) | instskip(NEXT) | instid1(VALU_DEP_1)
	v_add_f32_e32 v0, v9, v0
	v_add_f32_e32 v32, v32, v0
	v_lshlrev_b32_e32 v0, 16, v187
	s_delay_alu instid0(VALU_DEP_1) | instskip(NEXT) | instid1(VALU_DEP_1)
	v_mul_f32_e32 v0, v7, v0
	v_bfe_u32 v9, v0, 16, 1
	v_or_b32_e32 v14, 0x400000, v0
	v_cmp_u_f32_e32 vcc_lo, v0, v0
	s_delay_alu instid0(VALU_DEP_3) | instskip(SKIP_1) | instid1(VALU_DEP_1)
	v_add3_u32 v9, v9, v0, 0x7fff
	s_wait_alu 0xfffd
	v_cndmask_b32_e32 v0, v9, v14, vcc_lo
	v_lshlrev_b32_e32 v9, 16, v186
	s_delay_alu instid0(VALU_DEP_1) | instskip(NEXT) | instid1(VALU_DEP_1)
	v_dual_mul_f32 v9, v8, v9 :: v_dual_and_b32 v0, 0xffff0000, v0
	v_bfe_u32 v14, v9, 16, 1
	v_or_b32_e32 v15, 0x400000, v9
	v_cmp_u_f32_e32 vcc_lo, v9, v9
	s_delay_alu instid0(VALU_DEP_3) | instskip(SKIP_1) | instid1(VALU_DEP_1)
	v_add3_u32 v14, v14, v9, 0x7fff
	s_wait_alu 0xfffd
	v_dual_cndmask_b32 v9, v14, v15 :: v_dual_lshlrev_b32 v14, 16, v189
	s_delay_alu instid0(VALU_DEP_1) | instskip(NEXT) | instid1(VALU_DEP_1)
	v_dual_mul_f32 v14, v4, v14 :: v_dual_and_b32 v9, 0xffff0000, v9
	v_add_f32_e32 v0, v9, v0
	s_delay_alu instid0(VALU_DEP_2) | instskip(SKIP_2) | instid1(VALU_DEP_3)
	v_bfe_u32 v15, v14, 16, 1
	v_or_b32_e32 v16, 0x400000, v14
	v_cmp_u_f32_e32 vcc_lo, v14, v14
	v_add3_u32 v15, v15, v14, 0x7fff
	s_wait_alu 0xfffd
	s_delay_alu instid0(VALU_DEP_1) | instskip(SKIP_1) | instid1(VALU_DEP_1)
	v_cndmask_b32_e32 v14, v15, v16, vcc_lo
	v_lshlrev_b32_e32 v15, 16, v188
	v_dual_mul_f32 v15, v6, v15 :: v_dual_and_b32 v14, 0xffff0000, v14
	s_delay_alu instid0(VALU_DEP_1) | instskip(SKIP_2) | instid1(VALU_DEP_3)
	v_bfe_u32 v16, v15, 16, 1
	v_or_b32_e32 v17, 0x400000, v15
	v_cmp_u_f32_e32 vcc_lo, v15, v15
	v_add3_u32 v16, v16, v15, 0x7fff
	s_wait_alu 0xfffd
	s_delay_alu instid0(VALU_DEP_1) | instskip(NEXT) | instid1(VALU_DEP_1)
	v_dual_cndmask_b32 v15, v16, v17 :: v_dual_lshlrev_b32 v16, 16, v191
	v_dual_mul_f32 v16, v2, v16 :: v_dual_and_b32 v9, 0xffff0000, v15
	s_delay_alu instid0(VALU_DEP_1) | instskip(NEXT) | instid1(VALU_DEP_2)
	v_add_f32_e32 v9, v9, v14
	v_bfe_u32 v17, v16, 16, 1
	v_or_b32_e32 v52, 0x400000, v16
	v_cmp_u_f32_e32 vcc_lo, v16, v16
	s_delay_alu instid0(VALU_DEP_4) | instskip(NEXT) | instid1(VALU_DEP_4)
	v_add_f32_e32 v0, v9, v0
	v_add3_u32 v17, v17, v16, 0x7fff
	s_wait_alu 0xfffd
	s_delay_alu instid0(VALU_DEP_1) | instskip(NEXT) | instid1(VALU_DEP_1)
	v_dual_cndmask_b32 v16, v17, v52 :: v_dual_lshlrev_b32 v17, 16, v190
	v_dual_mul_f32 v17, v5, v17 :: v_dual_and_b32 v14, 0xffff0000, v16
	s_delay_alu instid0(VALU_DEP_1) | instskip(SKIP_2) | instid1(VALU_DEP_3)
	v_bfe_u32 v52, v17, 16, 1
	v_or_b32_e32 v53, 0x400000, v17
	v_cmp_u_f32_e32 vcc_lo, v17, v17
	v_add3_u32 v52, v52, v17, 0x7fff
	s_wait_alu 0xfffd
	s_delay_alu instid0(VALU_DEP_1) | instskip(SKIP_3) | instid1(VALU_DEP_4)
	v_cndmask_b32_e32 v17, v52, v53, vcc_lo
	v_bfe_u32 v52, v51, 16, 1
	v_or_b32_e32 v53, 0x400000, v51
	v_cmp_u_f32_e32 vcc_lo, v51, v51
	v_and_b32_e32 v9, 0xffff0000, v17
	s_delay_alu instid0(VALU_DEP_4) | instskip(NEXT) | instid1(VALU_DEP_2)
	v_add3_u32 v52, v52, v51, 0x7fff
	v_add_f32_e32 v9, v9, v14
	s_wait_alu 0xfffd
	s_delay_alu instid0(VALU_DEP_2)
	v_cndmask_b32_e32 v51, v52, v53, vcc_lo
	v_bfe_u32 v52, v50, 16, 1
	v_or_b32_e32 v53, 0x400000, v50
	v_cmp_u_f32_e32 vcc_lo, v50, v50
	v_add_f32_e32 v0, v9, v0
	v_and_b32_e32 v14, 0xffff0000, v51
	v_add3_u32 v52, v52, v50, 0x7fff
	s_wait_alu 0xfffd
	s_delay_alu instid0(VALU_DEP_1) | instskip(NEXT) | instid1(VALU_DEP_1)
	v_cndmask_b32_e32 v50, v52, v53, vcc_lo
	v_and_b32_e32 v9, 0xffff0000, v50
	s_delay_alu instid0(VALU_DEP_1) | instskip(NEXT) | instid1(VALU_DEP_1)
	v_add_f32_e32 v9, v9, v14
	v_add_f32_e32 v0, v9, v0
	s_delay_alu instid0(VALU_DEP_1) | instskip(SKIP_1) | instid1(VALU_DEP_1)
	v_add_f32_e32 v33, v33, v0
	v_lshlrev_b32_e32 v0, 16, v180
	v_mul_f32_e32 v0, v7, v0
	s_delay_alu instid0(VALU_DEP_1) | instskip(SKIP_2) | instid1(VALU_DEP_3)
	v_bfe_u32 v9, v0, 16, 1
	v_or_b32_e32 v14, 0x400000, v0
	v_cmp_u_f32_e32 vcc_lo, v0, v0
	v_add3_u32 v9, v9, v0, 0x7fff
	s_wait_alu 0xfffd
	s_delay_alu instid0(VALU_DEP_1) | instskip(SKIP_1) | instid1(VALU_DEP_1)
	v_cndmask_b32_e32 v0, v9, v14, vcc_lo
	v_lshlrev_b32_e32 v9, 16, v178
	v_dual_mul_f32 v9, v8, v9 :: v_dual_and_b32 v0, 0xffff0000, v0
	s_delay_alu instid0(VALU_DEP_1) | instskip(SKIP_2) | instid1(VALU_DEP_3)
	v_bfe_u32 v14, v9, 16, 1
	v_or_b32_e32 v15, 0x400000, v9
	v_cmp_u_f32_e32 vcc_lo, v9, v9
	v_add3_u32 v14, v14, v9, 0x7fff
	s_wait_alu 0xfffd
	s_delay_alu instid0(VALU_DEP_1) | instskip(NEXT) | instid1(VALU_DEP_1)
	v_dual_cndmask_b32 v9, v14, v15 :: v_dual_lshlrev_b32 v14, 16, v182
	v_dual_mul_f32 v14, v4, v14 :: v_dual_and_b32 v9, 0xffff0000, v9
	s_delay_alu instid0(VALU_DEP_1) | instskip(NEXT) | instid1(VALU_DEP_2)
	v_add_f32_e32 v0, v9, v0
	v_bfe_u32 v15, v14, 16, 1
	v_or_b32_e32 v16, 0x400000, v14
	v_cmp_u_f32_e32 vcc_lo, v14, v14
	s_delay_alu instid0(VALU_DEP_3) | instskip(SKIP_1) | instid1(VALU_DEP_1)
	v_add3_u32 v15, v15, v14, 0x7fff
	s_wait_alu 0xfffd
	v_dual_cndmask_b32 v14, v15, v16 :: v_dual_lshlrev_b32 v15, 16, v179
	s_delay_alu instid0(VALU_DEP_1) | instskip(NEXT) | instid1(VALU_DEP_1)
	v_dual_mul_f32 v15, v6, v15 :: v_dual_and_b32 v14, 0xffff0000, v14
	v_bfe_u32 v16, v15, 16, 1
	v_or_b32_e32 v17, 0x400000, v15
	v_cmp_u_f32_e32 vcc_lo, v15, v15
	s_delay_alu instid0(VALU_DEP_3) | instskip(SKIP_1) | instid1(VALU_DEP_1)
	v_add3_u32 v16, v16, v15, 0x7fff
	s_wait_alu 0xfffd
	v_dual_cndmask_b32 v15, v16, v17 :: v_dual_lshlrev_b32 v16, 16, v184
	s_delay_alu instid0(VALU_DEP_1) | instskip(NEXT) | instid1(VALU_DEP_1)
	v_dual_mul_f32 v16, v2, v16 :: v_dual_and_b32 v9, 0xffff0000, v15
	v_add_f32_e32 v9, v9, v14
	s_delay_alu instid0(VALU_DEP_2) | instskip(SKIP_2) | instid1(VALU_DEP_4)
	v_bfe_u32 v17, v16, 16, 1
	v_or_b32_e32 v50, 0x400000, v16
	v_cmp_u_f32_e32 vcc_lo, v16, v16
	v_add_f32_e32 v0, v9, v0
	s_delay_alu instid0(VALU_DEP_4) | instskip(SKIP_1) | instid1(VALU_DEP_1)
	v_add3_u32 v17, v17, v16, 0x7fff
	s_wait_alu 0xfffd
	v_dual_cndmask_b32 v16, v17, v50 :: v_dual_lshlrev_b32 v17, 16, v181
	s_delay_alu instid0(VALU_DEP_1) | instskip(NEXT) | instid1(VALU_DEP_1)
	v_dual_mul_f32 v17, v5, v17 :: v_dual_and_b32 v14, 0xffff0000, v16
	v_bfe_u32 v50, v17, 16, 1
	v_or_b32_e32 v51, 0x400000, v17
	v_cmp_u_f32_e32 vcc_lo, v17, v17
	s_delay_alu instid0(VALU_DEP_3) | instskip(SKIP_1) | instid1(VALU_DEP_1)
	v_add3_u32 v50, v50, v17, 0x7fff
	s_wait_alu 0xfffd
	v_dual_cndmask_b32 v17, v50, v51 :: v_dual_lshlrev_b32 v50, 16, v185
	s_delay_alu instid0(VALU_DEP_1) | instskip(NEXT) | instid1(VALU_DEP_1)
	v_dual_mul_f32 v50, v1, v50 :: v_dual_and_b32 v9, 0xffff0000, v17
	v_add_f32_e32 v9, v9, v14
	s_delay_alu instid0(VALU_DEP_2) | instskip(SKIP_2) | instid1(VALU_DEP_4)
	v_bfe_u32 v51, v50, 16, 1
	v_or_b32_e32 v52, 0x400000, v50
	v_cmp_u_f32_e32 vcc_lo, v50, v50
	v_add_f32_e32 v0, v9, v0
	s_delay_alu instid0(VALU_DEP_4) | instskip(SKIP_1) | instid1(VALU_DEP_1)
	v_add3_u32 v51, v51, v50, 0x7fff
	s_wait_alu 0xfffd
	v_dual_cndmask_b32 v50, v51, v52 :: v_dual_lshlrev_b32 v51, 16, v183
	s_delay_alu instid0(VALU_DEP_1) | instskip(NEXT) | instid1(VALU_DEP_1)
	v_dual_mul_f32 v51, v3, v51 :: v_dual_and_b32 v14, 0xffff0000, v50
	v_bfe_u32 v52, v51, 16, 1
	v_or_b32_e32 v53, 0x400000, v51
	v_cmp_u_f32_e32 vcc_lo, v51, v51
	s_delay_alu instid0(VALU_DEP_3) | instskip(SKIP_1) | instid1(VALU_DEP_1)
	v_add3_u32 v52, v52, v51, 0x7fff
	s_wait_alu 0xfffd
	v_cndmask_b32_e32 v51, v52, v53, vcc_lo
	s_delay_alu instid0(VALU_DEP_1) | instskip(NEXT) | instid1(VALU_DEP_1)
	v_and_b32_e32 v9, 0xffff0000, v51
	v_add_f32_e32 v9, v9, v14
	s_delay_alu instid0(VALU_DEP_1) | instskip(NEXT) | instid1(VALU_DEP_1)
	v_add_f32_e32 v0, v9, v0
	v_add_f32_e32 v34, v34, v0
	scratch_load_b32 v0, off, off offset:460 th:TH_LOAD_LU ; 4-byte Folded Reload
	s_wait_loadcnt 0x0
	v_lshlrev_b32_e32 v0, 16, v0
	s_delay_alu instid0(VALU_DEP_1) | instskip(NEXT) | instid1(VALU_DEP_1)
	v_mul_f32_e32 v0, v7, v0
	v_bfe_u32 v9, v0, 16, 1
	v_or_b32_e32 v14, 0x400000, v0
	v_cmp_u_f32_e32 vcc_lo, v0, v0
	s_delay_alu instid0(VALU_DEP_3) | instskip(SKIP_1) | instid1(VALU_DEP_1)
	v_add3_u32 v9, v9, v0, 0x7fff
	s_wait_alu 0xfffd
	v_cndmask_b32_e32 v0, v9, v14, vcc_lo
	scratch_load_b32 v9, off, off offset:452 th:TH_LOAD_LU ; 4-byte Folded Reload
	v_and_b32_e32 v0, 0xffff0000, v0
	s_wait_loadcnt 0x0
	v_lshlrev_b32_e32 v9, 16, v9
	s_delay_alu instid0(VALU_DEP_1) | instskip(NEXT) | instid1(VALU_DEP_1)
	v_mul_f32_e32 v9, v8, v9
	v_bfe_u32 v14, v9, 16, 1
	v_or_b32_e32 v15, 0x400000, v9
	v_cmp_u_f32_e32 vcc_lo, v9, v9
	s_delay_alu instid0(VALU_DEP_3) | instskip(SKIP_1) | instid1(VALU_DEP_1)
	v_add3_u32 v14, v14, v9, 0x7fff
	s_wait_alu 0xfffd
	v_dual_cndmask_b32 v9, v14, v15 :: v_dual_lshlrev_b32 v14, 16, v165
	s_delay_alu instid0(VALU_DEP_1) | instskip(NEXT) | instid1(VALU_DEP_1)
	v_dual_mul_f32 v14, v4, v14 :: v_dual_and_b32 v9, 0xffff0000, v9
	v_add_f32_e32 v0, v9, v0
	s_delay_alu instid0(VALU_DEP_2) | instskip(SKIP_2) | instid1(VALU_DEP_3)
	v_bfe_u32 v15, v14, 16, 1
	v_or_b32_e32 v16, 0x400000, v14
	v_cmp_u_f32_e32 vcc_lo, v14, v14
	v_add3_u32 v15, v15, v14, 0x7fff
	s_wait_alu 0xfffd
	s_delay_alu instid0(VALU_DEP_1) | instskip(SKIP_4) | instid1(VALU_DEP_1)
	v_cndmask_b32_e32 v14, v15, v16, vcc_lo
	scratch_load_b32 v15, off, off offset:456 th:TH_LOAD_LU ; 4-byte Folded Reload
	v_and_b32_e32 v14, 0xffff0000, v14
	s_wait_loadcnt 0x0
	v_lshlrev_b32_e32 v15, 16, v15
	v_mul_f32_e32 v15, v6, v15
	s_delay_alu instid0(VALU_DEP_1) | instskip(SKIP_2) | instid1(VALU_DEP_3)
	v_bfe_u32 v16, v15, 16, 1
	v_or_b32_e32 v17, 0x400000, v15
	v_cmp_u_f32_e32 vcc_lo, v15, v15
	v_add3_u32 v16, v16, v15, 0x7fff
	s_wait_alu 0xfffd
	s_delay_alu instid0(VALU_DEP_1) | instskip(NEXT) | instid1(VALU_DEP_1)
	v_dual_cndmask_b32 v15, v16, v17 :: v_dual_lshlrev_b32 v16, 16, v168
	v_dual_mul_f32 v16, v2, v16 :: v_dual_and_b32 v9, 0xffff0000, v15
	s_delay_alu instid0(VALU_DEP_1) | instskip(NEXT) | instid1(VALU_DEP_2)
	v_add_f32_e32 v9, v9, v14
	v_bfe_u32 v17, v16, 16, 1
	v_or_b32_e32 v50, 0x400000, v16
	v_cmp_u_f32_e32 vcc_lo, v16, v16
	s_delay_alu instid0(VALU_DEP_4) | instskip(NEXT) | instid1(VALU_DEP_4)
	v_add_f32_e32 v0, v9, v0
	v_add3_u32 v17, v17, v16, 0x7fff
	s_wait_alu 0xfffd
	s_delay_alu instid0(VALU_DEP_1) | instskip(NEXT) | instid1(VALU_DEP_1)
	v_dual_cndmask_b32 v16, v17, v50 :: v_dual_lshlrev_b32 v17, 16, v160
	v_dual_mul_f32 v17, v5, v17 :: v_dual_and_b32 v14, 0xffff0000, v16
	s_delay_alu instid0(VALU_DEP_1) | instskip(SKIP_2) | instid1(VALU_DEP_3)
	v_bfe_u32 v50, v17, 16, 1
	v_or_b32_e32 v51, 0x400000, v17
	v_cmp_u_f32_e32 vcc_lo, v17, v17
	v_add3_u32 v50, v50, v17, 0x7fff
	s_wait_alu 0xfffd
	s_delay_alu instid0(VALU_DEP_1) | instskip(NEXT) | instid1(VALU_DEP_1)
	v_dual_cndmask_b32 v17, v50, v51 :: v_dual_lshlrev_b32 v50, 16, v169
	v_dual_mul_f32 v50, v1, v50 :: v_dual_and_b32 v9, 0xffff0000, v17
	s_delay_alu instid0(VALU_DEP_1) | instskip(NEXT) | instid1(VALU_DEP_2)
	v_add_f32_e32 v9, v9, v14
	v_bfe_u32 v51, v50, 16, 1
	v_or_b32_e32 v52, 0x400000, v50
	v_cmp_u_f32_e32 vcc_lo, v50, v50
	s_delay_alu instid0(VALU_DEP_4) | instskip(NEXT) | instid1(VALU_DEP_4)
	v_add_f32_e32 v0, v9, v0
	v_add3_u32 v51, v51, v50, 0x7fff
	s_wait_alu 0xfffd
	s_delay_alu instid0(VALU_DEP_1) | instskip(NEXT) | instid1(VALU_DEP_1)
	v_dual_cndmask_b32 v50, v51, v52 :: v_dual_lshlrev_b32 v51, 16, v167
	v_dual_mul_f32 v51, v3, v51 :: v_dual_and_b32 v14, 0xffff0000, v50
	s_delay_alu instid0(VALU_DEP_1) | instskip(SKIP_2) | instid1(VALU_DEP_3)
	v_bfe_u32 v52, v51, 16, 1
	v_or_b32_e32 v53, 0x400000, v51
	v_cmp_u_f32_e32 vcc_lo, v51, v51
	v_add3_u32 v52, v52, v51, 0x7fff
	s_wait_alu 0xfffd
	s_delay_alu instid0(VALU_DEP_1) | instskip(NEXT) | instid1(VALU_DEP_1)
	v_cndmask_b32_e32 v51, v52, v53, vcc_lo
	v_and_b32_e32 v9, 0xffff0000, v51
	s_delay_alu instid0(VALU_DEP_1) | instskip(NEXT) | instid1(VALU_DEP_1)
	v_add_f32_e32 v9, v9, v14
	v_add_f32_e32 v0, v9, v0
	s_delay_alu instid0(VALU_DEP_1) | instskip(SKIP_3) | instid1(VALU_DEP_1)
	v_add_f32_e32 v35, v35, v0
	scratch_load_b32 v0, off, off offset:448 th:TH_LOAD_LU ; 4-byte Folded Reload
	s_wait_loadcnt 0x0
	v_lshlrev_b32_e32 v0, 16, v0
	v_mul_f32_e32 v0, v7, v0
	s_delay_alu instid0(VALU_DEP_1) | instskip(SKIP_2) | instid1(VALU_DEP_3)
	v_bfe_u32 v9, v0, 16, 1
	v_or_b32_e32 v14, 0x400000, v0
	v_cmp_u_f32_e32 vcc_lo, v0, v0
	v_add3_u32 v9, v9, v0, 0x7fff
	s_wait_alu 0xfffd
	s_delay_alu instid0(VALU_DEP_1) | instskip(SKIP_4) | instid1(VALU_DEP_1)
	v_cndmask_b32_e32 v0, v9, v14, vcc_lo
	scratch_load_b32 v9, off, off offset:444 th:TH_LOAD_LU ; 4-byte Folded Reload
	v_and_b32_e32 v0, 0xffff0000, v0
	s_wait_loadcnt 0x0
	v_lshlrev_b32_e32 v9, 16, v9
	v_mul_f32_e32 v9, v8, v9
	s_delay_alu instid0(VALU_DEP_1) | instskip(SKIP_2) | instid1(VALU_DEP_3)
	v_bfe_u32 v14, v9, 16, 1
	v_or_b32_e32 v15, 0x400000, v9
	v_cmp_u_f32_e32 vcc_lo, v9, v9
	v_add3_u32 v14, v14, v9, 0x7fff
	s_wait_alu 0xfffd
	s_delay_alu instid0(VALU_DEP_1) | instskip(SKIP_2) | instid1(VALU_DEP_1)
	v_cndmask_b32_e32 v9, v14, v15, vcc_lo
	scratch_load_b32 v14, off, off offset:440 th:TH_LOAD_LU ; 4-byte Folded Reload
	v_and_b32_e32 v9, 0xffff0000, v9
	v_add_f32_e32 v0, v9, v0
	s_wait_loadcnt 0x0
	v_lshlrev_b32_e32 v14, 16, v14
	s_delay_alu instid0(VALU_DEP_1) | instskip(NEXT) | instid1(VALU_DEP_1)
	v_mul_f32_e32 v14, v4, v14
	v_bfe_u32 v15, v14, 16, 1
	v_or_b32_e32 v16, 0x400000, v14
	v_cmp_u_f32_e32 vcc_lo, v14, v14
	s_delay_alu instid0(VALU_DEP_3) | instskip(SKIP_1) | instid1(VALU_DEP_1)
	v_add3_u32 v15, v15, v14, 0x7fff
	s_wait_alu 0xfffd
	v_cndmask_b32_e32 v14, v15, v16, vcc_lo
	scratch_load_b32 v15, off, off offset:436 th:TH_LOAD_LU ; 4-byte Folded Reload
	v_and_b32_e32 v14, 0xffff0000, v14
	s_wait_loadcnt 0x0
	v_lshlrev_b32_e32 v15, 16, v15
	s_delay_alu instid0(VALU_DEP_1) | instskip(NEXT) | instid1(VALU_DEP_1)
	v_mul_f32_e32 v15, v6, v15
	v_bfe_u32 v16, v15, 16, 1
	v_or_b32_e32 v17, 0x400000, v15
	v_cmp_u_f32_e32 vcc_lo, v15, v15
	s_delay_alu instid0(VALU_DEP_3) | instskip(SKIP_1) | instid1(VALU_DEP_1)
	v_add3_u32 v16, v16, v15, 0x7fff
	s_wait_alu 0xfffd
	v_cndmask_b32_e32 v15, v16, v17, vcc_lo
	scratch_load_b32 v16, off, off offset:432 th:TH_LOAD_LU ; 4-byte Folded Reload
	v_and_b32_e32 v9, 0xffff0000, v15
	s_delay_alu instid0(VALU_DEP_1) | instskip(NEXT) | instid1(VALU_DEP_1)
	v_add_f32_e32 v9, v9, v14
	v_add_f32_e32 v0, v9, v0
	s_wait_loadcnt 0x0
	v_lshlrev_b32_e32 v16, 16, v16
	s_delay_alu instid0(VALU_DEP_1) | instskip(NEXT) | instid1(VALU_DEP_1)
	v_mul_f32_e32 v16, v2, v16
	v_bfe_u32 v17, v16, 16, 1
	v_or_b32_e32 v50, 0x400000, v16
	v_cmp_u_f32_e32 vcc_lo, v16, v16
	s_delay_alu instid0(VALU_DEP_3) | instskip(SKIP_1) | instid1(VALU_DEP_1)
	v_add3_u32 v17, v17, v16, 0x7fff
	s_wait_alu 0xfffd
	v_cndmask_b32_e32 v16, v17, v50, vcc_lo
	scratch_load_b32 v17, off, off offset:428 th:TH_LOAD_LU ; 4-byte Folded Reload
	v_and_b32_e32 v14, 0xffff0000, v16
	s_wait_loadcnt 0x0
	v_lshlrev_b32_e32 v17, 16, v17
	s_delay_alu instid0(VALU_DEP_1) | instskip(NEXT) | instid1(VALU_DEP_1)
	v_mul_f32_e32 v17, v5, v17
	v_bfe_u32 v50, v17, 16, 1
	v_or_b32_e32 v51, 0x400000, v17
	v_cmp_u_f32_e32 vcc_lo, v17, v17
	s_delay_alu instid0(VALU_DEP_3) | instskip(SKIP_1) | instid1(VALU_DEP_1)
	v_add3_u32 v50, v50, v17, 0x7fff
	s_wait_alu 0xfffd
	v_cndmask_b32_e32 v17, v50, v51, vcc_lo
	scratch_load_b32 v50, off, off offset:424 th:TH_LOAD_LU ; 4-byte Folded Reload
	v_and_b32_e32 v9, 0xffff0000, v17
	s_delay_alu instid0(VALU_DEP_1) | instskip(NEXT) | instid1(VALU_DEP_1)
	v_add_f32_e32 v9, v9, v14
	v_add_f32_e32 v0, v9, v0
	s_wait_loadcnt 0x0
	v_lshlrev_b32_e32 v50, 16, v50
	s_delay_alu instid0(VALU_DEP_1) | instskip(NEXT) | instid1(VALU_DEP_1)
	v_mul_f32_e32 v50, v1, v50
	v_bfe_u32 v51, v50, 16, 1
	v_or_b32_e32 v52, 0x400000, v50
	v_cmp_u_f32_e32 vcc_lo, v50, v50
	s_delay_alu instid0(VALU_DEP_3) | instskip(SKIP_1) | instid1(VALU_DEP_1)
	v_add3_u32 v51, v51, v50, 0x7fff
	s_wait_alu 0xfffd
	v_cndmask_b32_e32 v50, v51, v52, vcc_lo
	scratch_load_b32 v51, off, off offset:420 th:TH_LOAD_LU ; 4-byte Folded Reload
	v_and_b32_e32 v14, 0xffff0000, v50
	s_wait_loadcnt 0x0
	v_lshlrev_b32_e32 v51, 16, v51
	s_delay_alu instid0(VALU_DEP_1) | instskip(NEXT) | instid1(VALU_DEP_1)
	v_mul_f32_e32 v51, v3, v51
	v_bfe_u32 v52, v51, 16, 1
	v_or_b32_e32 v53, 0x400000, v51
	v_cmp_u_f32_e32 vcc_lo, v51, v51
	s_delay_alu instid0(VALU_DEP_3) | instskip(SKIP_1) | instid1(VALU_DEP_1)
	v_add3_u32 v52, v52, v51, 0x7fff
	s_wait_alu 0xfffd
	v_cndmask_b32_e32 v51, v52, v53, vcc_lo
	s_delay_alu instid0(VALU_DEP_1) | instskip(NEXT) | instid1(VALU_DEP_1)
	v_and_b32_e32 v9, 0xffff0000, v51
	v_add_f32_e32 v9, v9, v14
	s_delay_alu instid0(VALU_DEP_1) | instskip(NEXT) | instid1(VALU_DEP_1)
	v_add_f32_e32 v0, v9, v0
	v_add_f32_e32 v36, v36, v0
	scratch_load_b32 v0, off, off offset:416 th:TH_LOAD_LU ; 4-byte Folded Reload
	s_wait_loadcnt 0x0
	v_lshlrev_b32_e32 v0, 16, v0
	s_delay_alu instid0(VALU_DEP_1) | instskip(NEXT) | instid1(VALU_DEP_1)
	v_mul_f32_e32 v0, v7, v0
	v_bfe_u32 v9, v0, 16, 1
	v_or_b32_e32 v14, 0x400000, v0
	v_cmp_u_f32_e32 vcc_lo, v0, v0
	s_delay_alu instid0(VALU_DEP_3) | instskip(SKIP_1) | instid1(VALU_DEP_1)
	v_add3_u32 v9, v9, v0, 0x7fff
	s_wait_alu 0xfffd
	v_cndmask_b32_e32 v0, v9, v14, vcc_lo
	scratch_load_b32 v9, off, off offset:412 th:TH_LOAD_LU ; 4-byte Folded Reload
	v_and_b32_e32 v0, 0xffff0000, v0
	s_wait_loadcnt 0x0
	v_lshlrev_b32_e32 v9, 16, v9
	s_delay_alu instid0(VALU_DEP_1) | instskip(NEXT) | instid1(VALU_DEP_1)
	v_mul_f32_e32 v9, v8, v9
	v_bfe_u32 v14, v9, 16, 1
	v_or_b32_e32 v15, 0x400000, v9
	v_cmp_u_f32_e32 vcc_lo, v9, v9
	s_delay_alu instid0(VALU_DEP_3) | instskip(SKIP_1) | instid1(VALU_DEP_1)
	v_add3_u32 v14, v14, v9, 0x7fff
	s_wait_alu 0xfffd
	v_cndmask_b32_e32 v9, v14, v15, vcc_lo
	scratch_load_b32 v14, off, off offset:408 th:TH_LOAD_LU ; 4-byte Folded Reload
	v_and_b32_e32 v9, 0xffff0000, v9
	s_delay_alu instid0(VALU_DEP_1) | instskip(SKIP_2) | instid1(VALU_DEP_1)
	v_add_f32_e32 v0, v9, v0
	s_wait_loadcnt 0x0
	v_lshlrev_b32_e32 v14, 16, v14
	v_mul_f32_e32 v14, v4, v14
	s_delay_alu instid0(VALU_DEP_1) | instskip(SKIP_2) | instid1(VALU_DEP_3)
	v_bfe_u32 v15, v14, 16, 1
	v_or_b32_e32 v16, 0x400000, v14
	v_cmp_u_f32_e32 vcc_lo, v14, v14
	v_add3_u32 v15, v15, v14, 0x7fff
	s_wait_alu 0xfffd
	s_delay_alu instid0(VALU_DEP_1) | instskip(SKIP_4) | instid1(VALU_DEP_1)
	v_cndmask_b32_e32 v14, v15, v16, vcc_lo
	scratch_load_b32 v15, off, off offset:404 th:TH_LOAD_LU ; 4-byte Folded Reload
	v_and_b32_e32 v14, 0xffff0000, v14
	s_wait_loadcnt 0x0
	v_lshlrev_b32_e32 v15, 16, v15
	v_mul_f32_e32 v15, v6, v15
	s_delay_alu instid0(VALU_DEP_1) | instskip(SKIP_2) | instid1(VALU_DEP_3)
	v_bfe_u32 v16, v15, 16, 1
	v_or_b32_e32 v17, 0x400000, v15
	v_cmp_u_f32_e32 vcc_lo, v15, v15
	v_add3_u32 v16, v16, v15, 0x7fff
	s_wait_alu 0xfffd
	s_delay_alu instid0(VALU_DEP_1) | instskip(SKIP_2) | instid1(VALU_DEP_1)
	v_cndmask_b32_e32 v15, v16, v17, vcc_lo
	scratch_load_b32 v16, off, off offset:400 th:TH_LOAD_LU ; 4-byte Folded Reload
	v_and_b32_e32 v9, 0xffff0000, v15
	v_add_f32_e32 v9, v9, v14
	s_delay_alu instid0(VALU_DEP_1) | instskip(SKIP_2) | instid1(VALU_DEP_1)
	v_add_f32_e32 v0, v9, v0
	s_wait_loadcnt 0x0
	v_lshlrev_b32_e32 v16, 16, v16
	v_mul_f32_e32 v16, v2, v16
	s_delay_alu instid0(VALU_DEP_1) | instskip(SKIP_2) | instid1(VALU_DEP_3)
	v_bfe_u32 v17, v16, 16, 1
	v_or_b32_e32 v50, 0x400000, v16
	v_cmp_u_f32_e32 vcc_lo, v16, v16
	v_add3_u32 v17, v17, v16, 0x7fff
	s_wait_alu 0xfffd
	s_delay_alu instid0(VALU_DEP_1) | instskip(SKIP_4) | instid1(VALU_DEP_1)
	v_cndmask_b32_e32 v16, v17, v50, vcc_lo
	scratch_load_b32 v17, off, off offset:396 th:TH_LOAD_LU ; 4-byte Folded Reload
	v_and_b32_e32 v14, 0xffff0000, v16
	s_wait_loadcnt 0x0
	v_lshlrev_b32_e32 v17, 16, v17
	v_mul_f32_e32 v17, v5, v17
	s_delay_alu instid0(VALU_DEP_1) | instskip(SKIP_2) | instid1(VALU_DEP_3)
	v_bfe_u32 v50, v17, 16, 1
	v_or_b32_e32 v51, 0x400000, v17
	v_cmp_u_f32_e32 vcc_lo, v17, v17
	v_add3_u32 v50, v50, v17, 0x7fff
	s_wait_alu 0xfffd
	s_delay_alu instid0(VALU_DEP_1) | instskip(SKIP_2) | instid1(VALU_DEP_1)
	v_cndmask_b32_e32 v17, v50, v51, vcc_lo
	scratch_load_b32 v50, off, off offset:392 th:TH_LOAD_LU ; 4-byte Folded Reload
	v_and_b32_e32 v9, 0xffff0000, v17
	v_add_f32_e32 v9, v9, v14
	s_delay_alu instid0(VALU_DEP_1) | instskip(SKIP_2) | instid1(VALU_DEP_1)
	v_add_f32_e32 v0, v9, v0
	s_wait_loadcnt 0x0
	v_lshlrev_b32_e32 v50, 16, v50
	v_mul_f32_e32 v50, v1, v50
	s_delay_alu instid0(VALU_DEP_1) | instskip(SKIP_2) | instid1(VALU_DEP_3)
	v_bfe_u32 v51, v50, 16, 1
	v_or_b32_e32 v52, 0x400000, v50
	v_cmp_u_f32_e32 vcc_lo, v50, v50
	v_add3_u32 v51, v51, v50, 0x7fff
	s_wait_alu 0xfffd
	s_delay_alu instid0(VALU_DEP_1) | instskip(SKIP_4) | instid1(VALU_DEP_1)
	v_cndmask_b32_e32 v50, v51, v52, vcc_lo
	scratch_load_b32 v51, off, off offset:388 th:TH_LOAD_LU ; 4-byte Folded Reload
	v_and_b32_e32 v14, 0xffff0000, v50
	s_wait_loadcnt 0x0
	v_lshlrev_b32_e32 v51, 16, v51
	v_mul_f32_e32 v51, v3, v51
	s_delay_alu instid0(VALU_DEP_1) | instskip(SKIP_2) | instid1(VALU_DEP_3)
	v_bfe_u32 v52, v51, 16, 1
	v_or_b32_e32 v53, 0x400000, v51
	v_cmp_u_f32_e32 vcc_lo, v51, v51
	v_add3_u32 v52, v52, v51, 0x7fff
	s_wait_alu 0xfffd
	s_delay_alu instid0(VALU_DEP_1) | instskip(NEXT) | instid1(VALU_DEP_1)
	v_cndmask_b32_e32 v51, v52, v53, vcc_lo
	v_and_b32_e32 v9, 0xffff0000, v51
	s_delay_alu instid0(VALU_DEP_1) | instskip(NEXT) | instid1(VALU_DEP_1)
	v_add_f32_e32 v9, v9, v14
	v_add_f32_e32 v0, v9, v0
	s_delay_alu instid0(VALU_DEP_1) | instskip(SKIP_3) | instid1(VALU_DEP_1)
	v_add_f32_e32 v37, v37, v0
	scratch_load_b32 v0, off, off offset:384 th:TH_LOAD_LU ; 4-byte Folded Reload
	s_wait_loadcnt 0x0
	v_lshlrev_b32_e32 v0, 16, v0
	v_mul_f32_e32 v0, v7, v0
	s_delay_alu instid0(VALU_DEP_1) | instskip(SKIP_2) | instid1(VALU_DEP_3)
	v_bfe_u32 v9, v0, 16, 1
	v_or_b32_e32 v14, 0x400000, v0
	v_cmp_u_f32_e32 vcc_lo, v0, v0
	v_add3_u32 v9, v9, v0, 0x7fff
	s_wait_alu 0xfffd
	s_delay_alu instid0(VALU_DEP_1) | instskip(SKIP_4) | instid1(VALU_DEP_1)
	v_cndmask_b32_e32 v0, v9, v14, vcc_lo
	scratch_load_b32 v9, off, off offset:380 th:TH_LOAD_LU ; 4-byte Folded Reload
	v_and_b32_e32 v0, 0xffff0000, v0
	s_wait_loadcnt 0x0
	v_lshlrev_b32_e32 v9, 16, v9
	v_mul_f32_e32 v9, v8, v9
	s_delay_alu instid0(VALU_DEP_1) | instskip(SKIP_2) | instid1(VALU_DEP_3)
	v_bfe_u32 v14, v9, 16, 1
	v_or_b32_e32 v15, 0x400000, v9
	v_cmp_u_f32_e32 vcc_lo, v9, v9
	v_add3_u32 v14, v14, v9, 0x7fff
	s_wait_alu 0xfffd
	s_delay_alu instid0(VALU_DEP_1) | instskip(SKIP_2) | instid1(VALU_DEP_1)
	v_cndmask_b32_e32 v9, v14, v15, vcc_lo
	scratch_load_b32 v14, off, off offset:376 th:TH_LOAD_LU ; 4-byte Folded Reload
	v_and_b32_e32 v9, 0xffff0000, v9
	v_add_f32_e32 v0, v9, v0
	s_wait_loadcnt 0x0
	v_lshlrev_b32_e32 v14, 16, v14
	s_delay_alu instid0(VALU_DEP_1) | instskip(NEXT) | instid1(VALU_DEP_1)
	v_mul_f32_e32 v14, v4, v14
	v_bfe_u32 v15, v14, 16, 1
	v_or_b32_e32 v16, 0x400000, v14
	v_cmp_u_f32_e32 vcc_lo, v14, v14
	s_delay_alu instid0(VALU_DEP_3) | instskip(SKIP_1) | instid1(VALU_DEP_1)
	v_add3_u32 v15, v15, v14, 0x7fff
	s_wait_alu 0xfffd
	v_cndmask_b32_e32 v14, v15, v16, vcc_lo
	scratch_load_b32 v15, off, off offset:372 th:TH_LOAD_LU ; 4-byte Folded Reload
	v_and_b32_e32 v14, 0xffff0000, v14
	s_wait_loadcnt 0x0
	v_lshlrev_b32_e32 v15, 16, v15
	s_delay_alu instid0(VALU_DEP_1) | instskip(NEXT) | instid1(VALU_DEP_1)
	v_mul_f32_e32 v15, v6, v15
	v_bfe_u32 v16, v15, 16, 1
	v_or_b32_e32 v17, 0x400000, v15
	v_cmp_u_f32_e32 vcc_lo, v15, v15
	s_delay_alu instid0(VALU_DEP_3) | instskip(SKIP_1) | instid1(VALU_DEP_1)
	v_add3_u32 v16, v16, v15, 0x7fff
	s_wait_alu 0xfffd
	v_cndmask_b32_e32 v15, v16, v17, vcc_lo
	scratch_load_b32 v16, off, off offset:368 th:TH_LOAD_LU ; 4-byte Folded Reload
	v_and_b32_e32 v9, 0xffff0000, v15
	s_delay_alu instid0(VALU_DEP_1) | instskip(NEXT) | instid1(VALU_DEP_1)
	v_add_f32_e32 v9, v9, v14
	v_add_f32_e32 v0, v9, v0
	s_wait_loadcnt 0x0
	v_lshlrev_b32_e32 v16, 16, v16
	s_delay_alu instid0(VALU_DEP_1) | instskip(NEXT) | instid1(VALU_DEP_1)
	v_mul_f32_e32 v16, v2, v16
	v_bfe_u32 v17, v16, 16, 1
	v_or_b32_e32 v50, 0x400000, v16
	v_cmp_u_f32_e32 vcc_lo, v16, v16
	s_delay_alu instid0(VALU_DEP_3) | instskip(SKIP_1) | instid1(VALU_DEP_1)
	v_add3_u32 v17, v17, v16, 0x7fff
	s_wait_alu 0xfffd
	v_cndmask_b32_e32 v16, v17, v50, vcc_lo
	scratch_load_b32 v17, off, off offset:364 th:TH_LOAD_LU ; 4-byte Folded Reload
	v_and_b32_e32 v14, 0xffff0000, v16
	s_wait_loadcnt 0x0
	v_lshlrev_b32_e32 v17, 16, v17
	s_delay_alu instid0(VALU_DEP_1) | instskip(NEXT) | instid1(VALU_DEP_1)
	v_mul_f32_e32 v17, v5, v17
	v_bfe_u32 v50, v17, 16, 1
	v_or_b32_e32 v51, 0x400000, v17
	v_cmp_u_f32_e32 vcc_lo, v17, v17
	s_delay_alu instid0(VALU_DEP_3) | instskip(SKIP_1) | instid1(VALU_DEP_1)
	v_add3_u32 v50, v50, v17, 0x7fff
	s_wait_alu 0xfffd
	v_cndmask_b32_e32 v17, v50, v51, vcc_lo
	scratch_load_b32 v50, off, off offset:360 th:TH_LOAD_LU ; 4-byte Folded Reload
	v_and_b32_e32 v9, 0xffff0000, v17
	s_delay_alu instid0(VALU_DEP_1) | instskip(NEXT) | instid1(VALU_DEP_1)
	v_add_f32_e32 v9, v9, v14
	v_add_f32_e32 v0, v9, v0
	s_wait_loadcnt 0x0
	v_lshlrev_b32_e32 v50, 16, v50
	s_delay_alu instid0(VALU_DEP_1) | instskip(NEXT) | instid1(VALU_DEP_1)
	v_mul_f32_e32 v50, v1, v50
	v_bfe_u32 v51, v50, 16, 1
	v_or_b32_e32 v52, 0x400000, v50
	v_cmp_u_f32_e32 vcc_lo, v50, v50
	s_delay_alu instid0(VALU_DEP_3) | instskip(SKIP_1) | instid1(VALU_DEP_1)
	v_add3_u32 v51, v51, v50, 0x7fff
	s_wait_alu 0xfffd
	v_cndmask_b32_e32 v50, v51, v52, vcc_lo
	scratch_load_b32 v51, off, off offset:356 th:TH_LOAD_LU ; 4-byte Folded Reload
	v_and_b32_e32 v14, 0xffff0000, v50
	s_wait_loadcnt 0x0
	v_lshlrev_b32_e32 v51, 16, v51
	s_delay_alu instid0(VALU_DEP_1) | instskip(NEXT) | instid1(VALU_DEP_1)
	v_mul_f32_e32 v51, v3, v51
	v_bfe_u32 v52, v51, 16, 1
	v_or_b32_e32 v53, 0x400000, v51
	v_cmp_u_f32_e32 vcc_lo, v51, v51
	s_delay_alu instid0(VALU_DEP_3) | instskip(SKIP_1) | instid1(VALU_DEP_1)
	v_add3_u32 v52, v52, v51, 0x7fff
	s_wait_alu 0xfffd
	v_cndmask_b32_e32 v51, v52, v53, vcc_lo
	s_delay_alu instid0(VALU_DEP_1) | instskip(NEXT) | instid1(VALU_DEP_1)
	v_and_b32_e32 v9, 0xffff0000, v51
	v_add_f32_e32 v9, v9, v14
	s_delay_alu instid0(VALU_DEP_1) | instskip(NEXT) | instid1(VALU_DEP_1)
	v_add_f32_e32 v0, v9, v0
	v_add_f32_e32 v38, v38, v0
	scratch_load_b32 v0, off, off offset:352 th:TH_LOAD_LU ; 4-byte Folded Reload
	s_wait_loadcnt 0x0
	v_lshlrev_b32_e32 v0, 16, v0
	s_delay_alu instid0(VALU_DEP_1) | instskip(NEXT) | instid1(VALU_DEP_1)
	v_mul_f32_e32 v0, v7, v0
	v_bfe_u32 v9, v0, 16, 1
	v_or_b32_e32 v14, 0x400000, v0
	v_cmp_u_f32_e32 vcc_lo, v0, v0
	s_delay_alu instid0(VALU_DEP_3) | instskip(SKIP_1) | instid1(VALU_DEP_1)
	v_add3_u32 v9, v9, v0, 0x7fff
	s_wait_alu 0xfffd
	v_cndmask_b32_e32 v0, v9, v14, vcc_lo
	scratch_load_b32 v9, off, off offset:348 th:TH_LOAD_LU ; 4-byte Folded Reload
	v_and_b32_e32 v0, 0xffff0000, v0
	s_wait_loadcnt 0x0
	v_lshlrev_b32_e32 v9, 16, v9
	s_delay_alu instid0(VALU_DEP_1) | instskip(NEXT) | instid1(VALU_DEP_1)
	v_mul_f32_e32 v9, v8, v9
	v_bfe_u32 v14, v9, 16, 1
	v_or_b32_e32 v15, 0x400000, v9
	v_cmp_u_f32_e32 vcc_lo, v9, v9
	s_delay_alu instid0(VALU_DEP_3) | instskip(SKIP_1) | instid1(VALU_DEP_1)
	v_add3_u32 v14, v14, v9, 0x7fff
	s_wait_alu 0xfffd
	v_cndmask_b32_e32 v9, v14, v15, vcc_lo
	scratch_load_b32 v14, off, off offset:344 th:TH_LOAD_LU ; 4-byte Folded Reload
	v_and_b32_e32 v9, 0xffff0000, v9
	s_delay_alu instid0(VALU_DEP_1) | instskip(SKIP_2) | instid1(VALU_DEP_1)
	v_add_f32_e32 v0, v9, v0
	s_wait_loadcnt 0x0
	v_lshlrev_b32_e32 v14, 16, v14
	v_mul_f32_e32 v14, v4, v14
	s_delay_alu instid0(VALU_DEP_1) | instskip(SKIP_2) | instid1(VALU_DEP_3)
	v_bfe_u32 v15, v14, 16, 1
	v_or_b32_e32 v16, 0x400000, v14
	v_cmp_u_f32_e32 vcc_lo, v14, v14
	v_add3_u32 v15, v15, v14, 0x7fff
	s_wait_alu 0xfffd
	s_delay_alu instid0(VALU_DEP_1) | instskip(SKIP_4) | instid1(VALU_DEP_1)
	v_cndmask_b32_e32 v14, v15, v16, vcc_lo
	scratch_load_b32 v15, off, off offset:340 th:TH_LOAD_LU ; 4-byte Folded Reload
	v_and_b32_e32 v14, 0xffff0000, v14
	s_wait_loadcnt 0x0
	v_lshlrev_b32_e32 v15, 16, v15
	v_mul_f32_e32 v15, v6, v15
	s_delay_alu instid0(VALU_DEP_1) | instskip(SKIP_2) | instid1(VALU_DEP_3)
	v_bfe_u32 v16, v15, 16, 1
	v_or_b32_e32 v17, 0x400000, v15
	v_cmp_u_f32_e32 vcc_lo, v15, v15
	v_add3_u32 v16, v16, v15, 0x7fff
	s_wait_alu 0xfffd
	s_delay_alu instid0(VALU_DEP_1) | instskip(SKIP_2) | instid1(VALU_DEP_1)
	v_cndmask_b32_e32 v15, v16, v17, vcc_lo
	scratch_load_b32 v16, off, off offset:336 th:TH_LOAD_LU ; 4-byte Folded Reload
	v_and_b32_e32 v9, 0xffff0000, v15
	v_add_f32_e32 v9, v9, v14
	s_delay_alu instid0(VALU_DEP_1) | instskip(SKIP_2) | instid1(VALU_DEP_1)
	v_add_f32_e32 v0, v9, v0
	s_wait_loadcnt 0x0
	v_lshlrev_b32_e32 v16, 16, v16
	v_mul_f32_e32 v16, v2, v16
	s_delay_alu instid0(VALU_DEP_1) | instskip(SKIP_2) | instid1(VALU_DEP_3)
	v_bfe_u32 v17, v16, 16, 1
	v_or_b32_e32 v50, 0x400000, v16
	v_cmp_u_f32_e32 vcc_lo, v16, v16
	v_add3_u32 v17, v17, v16, 0x7fff
	s_wait_alu 0xfffd
	s_delay_alu instid0(VALU_DEP_1) | instskip(SKIP_4) | instid1(VALU_DEP_1)
	v_cndmask_b32_e32 v16, v17, v50, vcc_lo
	scratch_load_b32 v17, off, off offset:332 th:TH_LOAD_LU ; 4-byte Folded Reload
	v_and_b32_e32 v14, 0xffff0000, v16
	s_wait_loadcnt 0x0
	v_lshlrev_b32_e32 v17, 16, v17
	v_mul_f32_e32 v17, v5, v17
	s_delay_alu instid0(VALU_DEP_1) | instskip(SKIP_2) | instid1(VALU_DEP_3)
	v_bfe_u32 v50, v17, 16, 1
	v_or_b32_e32 v51, 0x400000, v17
	v_cmp_u_f32_e32 vcc_lo, v17, v17
	v_add3_u32 v50, v50, v17, 0x7fff
	s_wait_alu 0xfffd
	s_delay_alu instid0(VALU_DEP_1) | instskip(SKIP_2) | instid1(VALU_DEP_1)
	v_cndmask_b32_e32 v17, v50, v51, vcc_lo
	scratch_load_b32 v50, off, off offset:328 th:TH_LOAD_LU ; 4-byte Folded Reload
	v_and_b32_e32 v9, 0xffff0000, v17
	v_add_f32_e32 v9, v9, v14
	s_delay_alu instid0(VALU_DEP_1) | instskip(SKIP_2) | instid1(VALU_DEP_1)
	v_add_f32_e32 v0, v9, v0
	s_wait_loadcnt 0x0
	v_lshlrev_b32_e32 v50, 16, v50
	v_mul_f32_e32 v50, v1, v50
	s_delay_alu instid0(VALU_DEP_1) | instskip(SKIP_2) | instid1(VALU_DEP_3)
	v_bfe_u32 v51, v50, 16, 1
	v_or_b32_e32 v52, 0x400000, v50
	v_cmp_u_f32_e32 vcc_lo, v50, v50
	v_add3_u32 v51, v51, v50, 0x7fff
	s_wait_alu 0xfffd
	s_delay_alu instid0(VALU_DEP_1) | instskip(SKIP_4) | instid1(VALU_DEP_1)
	v_cndmask_b32_e32 v50, v51, v52, vcc_lo
	scratch_load_b32 v51, off, off offset:324 th:TH_LOAD_LU ; 4-byte Folded Reload
	v_and_b32_e32 v14, 0xffff0000, v50
	s_wait_loadcnt 0x0
	v_lshlrev_b32_e32 v51, 16, v51
	v_mul_f32_e32 v51, v3, v51
	s_delay_alu instid0(VALU_DEP_1) | instskip(SKIP_2) | instid1(VALU_DEP_3)
	v_bfe_u32 v52, v51, 16, 1
	v_or_b32_e32 v53, 0x400000, v51
	v_cmp_u_f32_e32 vcc_lo, v51, v51
	v_add3_u32 v52, v52, v51, 0x7fff
	s_wait_alu 0xfffd
	s_delay_alu instid0(VALU_DEP_1) | instskip(NEXT) | instid1(VALU_DEP_1)
	v_cndmask_b32_e32 v51, v52, v53, vcc_lo
	v_and_b32_e32 v9, 0xffff0000, v51
	s_delay_alu instid0(VALU_DEP_1) | instskip(NEXT) | instid1(VALU_DEP_1)
	v_add_f32_e32 v9, v9, v14
	v_add_f32_e32 v0, v9, v0
	s_delay_alu instid0(VALU_DEP_1) | instskip(SKIP_3) | instid1(VALU_DEP_1)
	v_add_f32_e32 v39, v39, v0
	scratch_load_b32 v0, off, off offset:320 th:TH_LOAD_LU ; 4-byte Folded Reload
	s_wait_loadcnt 0x0
	v_lshlrev_b32_e32 v0, 16, v0
	v_mul_f32_e32 v0, v7, v0
	s_delay_alu instid0(VALU_DEP_1) | instskip(SKIP_2) | instid1(VALU_DEP_3)
	v_bfe_u32 v9, v0, 16, 1
	v_or_b32_e32 v14, 0x400000, v0
	v_cmp_u_f32_e32 vcc_lo, v0, v0
	v_add3_u32 v9, v9, v0, 0x7fff
	s_wait_alu 0xfffd
	s_delay_alu instid0(VALU_DEP_1) | instskip(SKIP_4) | instid1(VALU_DEP_1)
	v_cndmask_b32_e32 v0, v9, v14, vcc_lo
	scratch_load_b32 v9, off, off offset:316 th:TH_LOAD_LU ; 4-byte Folded Reload
	v_and_b32_e32 v0, 0xffff0000, v0
	s_wait_loadcnt 0x0
	v_lshlrev_b32_e32 v9, 16, v9
	v_mul_f32_e32 v9, v8, v9
	s_delay_alu instid0(VALU_DEP_1) | instskip(SKIP_2) | instid1(VALU_DEP_3)
	v_bfe_u32 v14, v9, 16, 1
	v_or_b32_e32 v15, 0x400000, v9
	v_cmp_u_f32_e32 vcc_lo, v9, v9
	v_add3_u32 v14, v14, v9, 0x7fff
	s_wait_alu 0xfffd
	s_delay_alu instid0(VALU_DEP_1) | instskip(SKIP_2) | instid1(VALU_DEP_1)
	v_cndmask_b32_e32 v9, v14, v15, vcc_lo
	scratch_load_b32 v14, off, off offset:312 th:TH_LOAD_LU ; 4-byte Folded Reload
	v_and_b32_e32 v9, 0xffff0000, v9
	v_add_f32_e32 v0, v9, v0
	s_wait_loadcnt 0x0
	v_lshlrev_b32_e32 v14, 16, v14
	s_delay_alu instid0(VALU_DEP_1) | instskip(NEXT) | instid1(VALU_DEP_1)
	v_mul_f32_e32 v14, v4, v14
	v_bfe_u32 v15, v14, 16, 1
	v_or_b32_e32 v16, 0x400000, v14
	v_cmp_u_f32_e32 vcc_lo, v14, v14
	s_delay_alu instid0(VALU_DEP_3) | instskip(SKIP_1) | instid1(VALU_DEP_1)
	v_add3_u32 v15, v15, v14, 0x7fff
	s_wait_alu 0xfffd
	v_cndmask_b32_e32 v14, v15, v16, vcc_lo
	scratch_load_b32 v15, off, off offset:308 th:TH_LOAD_LU ; 4-byte Folded Reload
	v_and_b32_e32 v14, 0xffff0000, v14
	s_wait_loadcnt 0x0
	v_lshlrev_b32_e32 v15, 16, v15
	s_delay_alu instid0(VALU_DEP_1) | instskip(NEXT) | instid1(VALU_DEP_1)
	v_mul_f32_e32 v15, v6, v15
	v_bfe_u32 v16, v15, 16, 1
	v_or_b32_e32 v17, 0x400000, v15
	v_cmp_u_f32_e32 vcc_lo, v15, v15
	s_delay_alu instid0(VALU_DEP_3) | instskip(SKIP_1) | instid1(VALU_DEP_1)
	v_add3_u32 v16, v16, v15, 0x7fff
	s_wait_alu 0xfffd
	v_cndmask_b32_e32 v15, v16, v17, vcc_lo
	scratch_load_b32 v16, off, off offset:304 th:TH_LOAD_LU ; 4-byte Folded Reload
	v_and_b32_e32 v9, 0xffff0000, v15
	s_delay_alu instid0(VALU_DEP_1) | instskip(NEXT) | instid1(VALU_DEP_1)
	v_add_f32_e32 v9, v9, v14
	v_add_f32_e32 v0, v9, v0
	s_wait_loadcnt 0x0
	v_lshlrev_b32_e32 v16, 16, v16
	s_delay_alu instid0(VALU_DEP_1) | instskip(NEXT) | instid1(VALU_DEP_1)
	v_mul_f32_e32 v16, v2, v16
	v_bfe_u32 v17, v16, 16, 1
	v_or_b32_e32 v50, 0x400000, v16
	v_cmp_u_f32_e32 vcc_lo, v16, v16
	s_delay_alu instid0(VALU_DEP_3) | instskip(SKIP_1) | instid1(VALU_DEP_1)
	v_add3_u32 v17, v17, v16, 0x7fff
	s_wait_alu 0xfffd
	v_cndmask_b32_e32 v16, v17, v50, vcc_lo
	scratch_load_b32 v17, off, off offset:296 th:TH_LOAD_LU ; 4-byte Folded Reload
	v_and_b32_e32 v14, 0xffff0000, v16
	s_wait_loadcnt 0x0
	v_lshlrev_b32_e32 v17, 16, v17
	s_delay_alu instid0(VALU_DEP_1) | instskip(NEXT) | instid1(VALU_DEP_1)
	v_mul_f32_e32 v17, v5, v17
	v_bfe_u32 v50, v17, 16, 1
	v_or_b32_e32 v51, 0x400000, v17
	v_cmp_u_f32_e32 vcc_lo, v17, v17
	s_delay_alu instid0(VALU_DEP_3) | instskip(SKIP_1) | instid1(VALU_DEP_1)
	v_add3_u32 v50, v50, v17, 0x7fff
	s_wait_alu 0xfffd
	v_cndmask_b32_e32 v17, v50, v51, vcc_lo
	scratch_load_b32 v50, off, off offset:292 th:TH_LOAD_LU ; 4-byte Folded Reload
	v_and_b32_e32 v9, 0xffff0000, v17
	s_delay_alu instid0(VALU_DEP_1) | instskip(NEXT) | instid1(VALU_DEP_1)
	v_add_f32_e32 v9, v9, v14
	v_add_f32_e32 v0, v9, v0
	s_wait_loadcnt 0x0
	v_lshlrev_b32_e32 v50, 16, v50
	s_delay_alu instid0(VALU_DEP_1) | instskip(NEXT) | instid1(VALU_DEP_1)
	v_mul_f32_e32 v50, v1, v50
	v_bfe_u32 v51, v50, 16, 1
	v_or_b32_e32 v52, 0x400000, v50
	v_cmp_u_f32_e32 vcc_lo, v50, v50
	s_delay_alu instid0(VALU_DEP_3) | instskip(SKIP_1) | instid1(VALU_DEP_1)
	v_add3_u32 v51, v51, v50, 0x7fff
	s_wait_alu 0xfffd
	v_cndmask_b32_e32 v50, v51, v52, vcc_lo
	scratch_load_b32 v51, off, off offset:288 th:TH_LOAD_LU ; 4-byte Folded Reload
	v_and_b32_e32 v14, 0xffff0000, v50
	s_wait_loadcnt 0x0
	v_lshlrev_b32_e32 v51, 16, v51
	s_delay_alu instid0(VALU_DEP_1) | instskip(NEXT) | instid1(VALU_DEP_1)
	v_mul_f32_e32 v51, v3, v51
	v_bfe_u32 v52, v51, 16, 1
	v_or_b32_e32 v53, 0x400000, v51
	v_cmp_u_f32_e32 vcc_lo, v51, v51
	s_delay_alu instid0(VALU_DEP_3) | instskip(SKIP_1) | instid1(VALU_DEP_1)
	v_add3_u32 v52, v52, v51, 0x7fff
	s_wait_alu 0xfffd
	v_cndmask_b32_e32 v51, v52, v53, vcc_lo
	s_delay_alu instid0(VALU_DEP_1) | instskip(NEXT) | instid1(VALU_DEP_1)
	v_and_b32_e32 v9, 0xffff0000, v51
	v_add_f32_e32 v9, v9, v14
	s_delay_alu instid0(VALU_DEP_1) | instskip(NEXT) | instid1(VALU_DEP_1)
	v_add_f32_e32 v0, v9, v0
	v_add_f32_e32 v40, v40, v0
	scratch_load_b32 v0, off, off offset:284 th:TH_LOAD_LU ; 4-byte Folded Reload
	s_wait_loadcnt 0x0
	v_lshlrev_b32_e32 v0, 16, v0
	s_delay_alu instid0(VALU_DEP_1) | instskip(NEXT) | instid1(VALU_DEP_1)
	v_mul_f32_e32 v0, v7, v0
	v_bfe_u32 v9, v0, 16, 1
	v_or_b32_e32 v14, 0x400000, v0
	v_cmp_u_f32_e32 vcc_lo, v0, v0
	s_delay_alu instid0(VALU_DEP_3) | instskip(SKIP_1) | instid1(VALU_DEP_1)
	v_add3_u32 v9, v9, v0, 0x7fff
	s_wait_alu 0xfffd
	v_cndmask_b32_e32 v0, v9, v14, vcc_lo
	scratch_load_b32 v9, off, off offset:280 th:TH_LOAD_LU ; 4-byte Folded Reload
	v_and_b32_e32 v0, 0xffff0000, v0
	s_wait_loadcnt 0x0
	v_lshlrev_b32_e32 v9, 16, v9
	s_delay_alu instid0(VALU_DEP_1) | instskip(NEXT) | instid1(VALU_DEP_1)
	v_mul_f32_e32 v9, v8, v9
	v_bfe_u32 v14, v9, 16, 1
	v_or_b32_e32 v15, 0x400000, v9
	v_cmp_u_f32_e32 vcc_lo, v9, v9
	s_delay_alu instid0(VALU_DEP_3) | instskip(SKIP_1) | instid1(VALU_DEP_1)
	v_add3_u32 v14, v14, v9, 0x7fff
	s_wait_alu 0xfffd
	v_cndmask_b32_e32 v9, v14, v15, vcc_lo
	scratch_load_b32 v14, off, off offset:276 th:TH_LOAD_LU ; 4-byte Folded Reload
	v_and_b32_e32 v9, 0xffff0000, v9
	s_delay_alu instid0(VALU_DEP_1) | instskip(SKIP_2) | instid1(VALU_DEP_1)
	v_add_f32_e32 v0, v9, v0
	s_wait_loadcnt 0x0
	v_lshlrev_b32_e32 v14, 16, v14
	v_mul_f32_e32 v14, v4, v14
	s_delay_alu instid0(VALU_DEP_1) | instskip(SKIP_2) | instid1(VALU_DEP_3)
	v_bfe_u32 v15, v14, 16, 1
	v_or_b32_e32 v16, 0x400000, v14
	v_cmp_u_f32_e32 vcc_lo, v14, v14
	v_add3_u32 v15, v15, v14, 0x7fff
	s_wait_alu 0xfffd
	s_delay_alu instid0(VALU_DEP_1) | instskip(SKIP_4) | instid1(VALU_DEP_1)
	v_cndmask_b32_e32 v14, v15, v16, vcc_lo
	scratch_load_b32 v15, off, off offset:272 th:TH_LOAD_LU ; 4-byte Folded Reload
	v_and_b32_e32 v14, 0xffff0000, v14
	s_wait_loadcnt 0x0
	v_lshlrev_b32_e32 v15, 16, v15
	v_mul_f32_e32 v15, v6, v15
	s_delay_alu instid0(VALU_DEP_1) | instskip(SKIP_2) | instid1(VALU_DEP_3)
	v_bfe_u32 v16, v15, 16, 1
	v_or_b32_e32 v17, 0x400000, v15
	v_cmp_u_f32_e32 vcc_lo, v15, v15
	v_add3_u32 v16, v16, v15, 0x7fff
	s_wait_alu 0xfffd
	s_delay_alu instid0(VALU_DEP_1) | instskip(SKIP_2) | instid1(VALU_DEP_1)
	v_cndmask_b32_e32 v15, v16, v17, vcc_lo
	scratch_load_b32 v16, off, off offset:268 th:TH_LOAD_LU ; 4-byte Folded Reload
	v_and_b32_e32 v9, 0xffff0000, v15
	v_add_f32_e32 v9, v9, v14
	s_delay_alu instid0(VALU_DEP_1) | instskip(SKIP_2) | instid1(VALU_DEP_1)
	v_add_f32_e32 v0, v9, v0
	s_wait_loadcnt 0x0
	v_lshlrev_b32_e32 v16, 16, v16
	v_mul_f32_e32 v16, v2, v16
	s_delay_alu instid0(VALU_DEP_1) | instskip(SKIP_2) | instid1(VALU_DEP_3)
	v_bfe_u32 v17, v16, 16, 1
	v_or_b32_e32 v50, 0x400000, v16
	v_cmp_u_f32_e32 vcc_lo, v16, v16
	v_add3_u32 v17, v17, v16, 0x7fff
	s_wait_alu 0xfffd
	s_delay_alu instid0(VALU_DEP_1) | instskip(SKIP_4) | instid1(VALU_DEP_1)
	v_cndmask_b32_e32 v16, v17, v50, vcc_lo
	scratch_load_b32 v17, off, off offset:264 th:TH_LOAD_LU ; 4-byte Folded Reload
	v_and_b32_e32 v14, 0xffff0000, v16
	s_wait_loadcnt 0x0
	v_lshlrev_b32_e32 v17, 16, v17
	v_mul_f32_e32 v17, v5, v17
	s_delay_alu instid0(VALU_DEP_1) | instskip(SKIP_2) | instid1(VALU_DEP_3)
	v_bfe_u32 v50, v17, 16, 1
	v_or_b32_e32 v51, 0x400000, v17
	v_cmp_u_f32_e32 vcc_lo, v17, v17
	v_add3_u32 v50, v50, v17, 0x7fff
	s_wait_alu 0xfffd
	s_delay_alu instid0(VALU_DEP_1) | instskip(SKIP_2) | instid1(VALU_DEP_1)
	v_cndmask_b32_e32 v17, v50, v51, vcc_lo
	scratch_load_b32 v50, off, off offset:260 th:TH_LOAD_LU ; 4-byte Folded Reload
	v_and_b32_e32 v9, 0xffff0000, v17
	v_add_f32_e32 v9, v9, v14
	s_delay_alu instid0(VALU_DEP_1) | instskip(SKIP_2) | instid1(VALU_DEP_1)
	v_add_f32_e32 v0, v9, v0
	s_wait_loadcnt 0x0
	v_lshlrev_b32_e32 v50, 16, v50
	v_mul_f32_e32 v50, v1, v50
	s_delay_alu instid0(VALU_DEP_1) | instskip(SKIP_2) | instid1(VALU_DEP_3)
	v_bfe_u32 v51, v50, 16, 1
	v_or_b32_e32 v52, 0x400000, v50
	v_cmp_u_f32_e32 vcc_lo, v50, v50
	v_add3_u32 v51, v51, v50, 0x7fff
	s_wait_alu 0xfffd
	s_delay_alu instid0(VALU_DEP_1) | instskip(SKIP_4) | instid1(VALU_DEP_1)
	v_cndmask_b32_e32 v50, v51, v52, vcc_lo
	scratch_load_b32 v51, off, off offset:256 th:TH_LOAD_LU ; 4-byte Folded Reload
	v_and_b32_e32 v14, 0xffff0000, v50
	s_wait_loadcnt 0x0
	v_lshlrev_b32_e32 v51, 16, v51
	v_mul_f32_e32 v51, v3, v51
	s_delay_alu instid0(VALU_DEP_1) | instskip(SKIP_2) | instid1(VALU_DEP_3)
	v_bfe_u32 v52, v51, 16, 1
	v_or_b32_e32 v53, 0x400000, v51
	v_cmp_u_f32_e32 vcc_lo, v51, v51
	v_add3_u32 v52, v52, v51, 0x7fff
	s_wait_alu 0xfffd
	s_delay_alu instid0(VALU_DEP_1) | instskip(NEXT) | instid1(VALU_DEP_1)
	v_cndmask_b32_e32 v51, v52, v53, vcc_lo
	v_and_b32_e32 v9, 0xffff0000, v51
	s_delay_alu instid0(VALU_DEP_1) | instskip(NEXT) | instid1(VALU_DEP_1)
	v_add_f32_e32 v9, v9, v14
	v_add_f32_e32 v0, v9, v0
	s_delay_alu instid0(VALU_DEP_1) | instskip(SKIP_3) | instid1(VALU_DEP_1)
	v_add_f32_e32 v41, v41, v0
	scratch_load_b32 v0, off, off offset:252 th:TH_LOAD_LU ; 4-byte Folded Reload
	s_wait_loadcnt 0x0
	v_lshlrev_b32_e32 v0, 16, v0
	v_mul_f32_e32 v0, v7, v0
	s_delay_alu instid0(VALU_DEP_1) | instskip(SKIP_2) | instid1(VALU_DEP_3)
	v_bfe_u32 v9, v0, 16, 1
	v_or_b32_e32 v14, 0x400000, v0
	v_cmp_u_f32_e32 vcc_lo, v0, v0
	v_add3_u32 v9, v9, v0, 0x7fff
	s_wait_alu 0xfffd
	s_delay_alu instid0(VALU_DEP_1) | instskip(SKIP_4) | instid1(VALU_DEP_1)
	v_cndmask_b32_e32 v0, v9, v14, vcc_lo
	scratch_load_b32 v9, off, off offset:248 th:TH_LOAD_LU ; 4-byte Folded Reload
	v_and_b32_e32 v0, 0xffff0000, v0
	s_wait_loadcnt 0x0
	v_lshlrev_b32_e32 v9, 16, v9
	v_mul_f32_e32 v9, v8, v9
	s_delay_alu instid0(VALU_DEP_1) | instskip(SKIP_2) | instid1(VALU_DEP_3)
	v_bfe_u32 v14, v9, 16, 1
	v_or_b32_e32 v15, 0x400000, v9
	v_cmp_u_f32_e32 vcc_lo, v9, v9
	v_add3_u32 v14, v14, v9, 0x7fff
	s_wait_alu 0xfffd
	s_delay_alu instid0(VALU_DEP_1) | instskip(SKIP_2) | instid1(VALU_DEP_1)
	v_cndmask_b32_e32 v9, v14, v15, vcc_lo
	scratch_load_b32 v14, off, off offset:244 th:TH_LOAD_LU ; 4-byte Folded Reload
	v_and_b32_e32 v9, 0xffff0000, v9
	v_add_f32_e32 v0, v9, v0
	s_wait_loadcnt 0x0
	v_lshlrev_b32_e32 v14, 16, v14
	s_delay_alu instid0(VALU_DEP_1) | instskip(NEXT) | instid1(VALU_DEP_1)
	v_mul_f32_e32 v14, v4, v14
	v_bfe_u32 v15, v14, 16, 1
	v_or_b32_e32 v16, 0x400000, v14
	v_cmp_u_f32_e32 vcc_lo, v14, v14
	s_delay_alu instid0(VALU_DEP_3) | instskip(SKIP_1) | instid1(VALU_DEP_1)
	v_add3_u32 v15, v15, v14, 0x7fff
	s_wait_alu 0xfffd
	v_cndmask_b32_e32 v14, v15, v16, vcc_lo
	scratch_load_b32 v15, off, off offset:240 th:TH_LOAD_LU ; 4-byte Folded Reload
	v_and_b32_e32 v14, 0xffff0000, v14
	s_wait_loadcnt 0x0
	v_lshlrev_b32_e32 v15, 16, v15
	s_delay_alu instid0(VALU_DEP_1) | instskip(NEXT) | instid1(VALU_DEP_1)
	v_mul_f32_e32 v15, v6, v15
	v_bfe_u32 v16, v15, 16, 1
	v_or_b32_e32 v17, 0x400000, v15
	v_cmp_u_f32_e32 vcc_lo, v15, v15
	s_delay_alu instid0(VALU_DEP_3) | instskip(SKIP_1) | instid1(VALU_DEP_1)
	v_add3_u32 v16, v16, v15, 0x7fff
	s_wait_alu 0xfffd
	v_cndmask_b32_e32 v15, v16, v17, vcc_lo
	scratch_load_b32 v16, off, off offset:236 th:TH_LOAD_LU ; 4-byte Folded Reload
	v_and_b32_e32 v9, 0xffff0000, v15
	s_delay_alu instid0(VALU_DEP_1) | instskip(NEXT) | instid1(VALU_DEP_1)
	v_add_f32_e32 v9, v9, v14
	v_add_f32_e32 v0, v9, v0
	s_wait_loadcnt 0x0
	v_lshlrev_b32_e32 v16, 16, v16
	s_delay_alu instid0(VALU_DEP_1) | instskip(NEXT) | instid1(VALU_DEP_1)
	v_mul_f32_e32 v16, v2, v16
	v_bfe_u32 v17, v16, 16, 1
	v_or_b32_e32 v50, 0x400000, v16
	v_cmp_u_f32_e32 vcc_lo, v16, v16
	s_delay_alu instid0(VALU_DEP_3) | instskip(SKIP_1) | instid1(VALU_DEP_1)
	v_add3_u32 v17, v17, v16, 0x7fff
	s_wait_alu 0xfffd
	v_cndmask_b32_e32 v16, v17, v50, vcc_lo
	scratch_load_b32 v17, off, off offset:232 th:TH_LOAD_LU ; 4-byte Folded Reload
	v_and_b32_e32 v14, 0xffff0000, v16
	s_wait_loadcnt 0x0
	v_lshlrev_b32_e32 v17, 16, v17
	s_delay_alu instid0(VALU_DEP_1) | instskip(NEXT) | instid1(VALU_DEP_1)
	v_mul_f32_e32 v17, v5, v17
	v_bfe_u32 v50, v17, 16, 1
	v_or_b32_e32 v51, 0x400000, v17
	v_cmp_u_f32_e32 vcc_lo, v17, v17
	s_delay_alu instid0(VALU_DEP_3) | instskip(SKIP_1) | instid1(VALU_DEP_1)
	v_add3_u32 v50, v50, v17, 0x7fff
	s_wait_alu 0xfffd
	v_cndmask_b32_e32 v17, v50, v51, vcc_lo
	scratch_load_b32 v50, off, off offset:228 th:TH_LOAD_LU ; 4-byte Folded Reload
	v_and_b32_e32 v9, 0xffff0000, v17
	s_delay_alu instid0(VALU_DEP_1) | instskip(NEXT) | instid1(VALU_DEP_1)
	v_add_f32_e32 v9, v9, v14
	v_add_f32_e32 v0, v9, v0
	s_wait_loadcnt 0x0
	v_lshlrev_b32_e32 v50, 16, v50
	s_delay_alu instid0(VALU_DEP_1) | instskip(NEXT) | instid1(VALU_DEP_1)
	v_mul_f32_e32 v50, v1, v50
	v_bfe_u32 v51, v50, 16, 1
	v_or_b32_e32 v52, 0x400000, v50
	v_cmp_u_f32_e32 vcc_lo, v50, v50
	s_delay_alu instid0(VALU_DEP_3) | instskip(SKIP_1) | instid1(VALU_DEP_1)
	v_add3_u32 v51, v51, v50, 0x7fff
	s_wait_alu 0xfffd
	v_cndmask_b32_e32 v50, v51, v52, vcc_lo
	scratch_load_b32 v51, off, off offset:224 th:TH_LOAD_LU ; 4-byte Folded Reload
	v_and_b32_e32 v14, 0xffff0000, v50
	s_wait_loadcnt 0x0
	v_lshlrev_b32_e32 v51, 16, v51
	s_delay_alu instid0(VALU_DEP_1) | instskip(NEXT) | instid1(VALU_DEP_1)
	v_mul_f32_e32 v51, v3, v51
	v_bfe_u32 v52, v51, 16, 1
	v_or_b32_e32 v53, 0x400000, v51
	v_cmp_u_f32_e32 vcc_lo, v51, v51
	s_delay_alu instid0(VALU_DEP_3) | instskip(SKIP_1) | instid1(VALU_DEP_1)
	v_add3_u32 v52, v52, v51, 0x7fff
	s_wait_alu 0xfffd
	v_cndmask_b32_e32 v51, v52, v53, vcc_lo
	s_delay_alu instid0(VALU_DEP_1) | instskip(NEXT) | instid1(VALU_DEP_1)
	v_and_b32_e32 v9, 0xffff0000, v51
	v_add_f32_e32 v9, v9, v14
	s_delay_alu instid0(VALU_DEP_1) | instskip(NEXT) | instid1(VALU_DEP_1)
	v_add_f32_e32 v0, v9, v0
	v_add_f32_e32 v42, v42, v0
	scratch_load_b32 v0, off, off offset:220 th:TH_LOAD_LU ; 4-byte Folded Reload
	s_wait_loadcnt 0x0
	v_lshlrev_b32_e32 v0, 16, v0
	s_delay_alu instid0(VALU_DEP_1) | instskip(NEXT) | instid1(VALU_DEP_1)
	v_mul_f32_e32 v0, v7, v0
	v_bfe_u32 v9, v0, 16, 1
	v_or_b32_e32 v14, 0x400000, v0
	v_cmp_u_f32_e32 vcc_lo, v0, v0
	s_delay_alu instid0(VALU_DEP_3) | instskip(SKIP_1) | instid1(VALU_DEP_1)
	v_add3_u32 v9, v9, v0, 0x7fff
	s_wait_alu 0xfffd
	v_cndmask_b32_e32 v0, v9, v14, vcc_lo
	scratch_load_b32 v9, off, off offset:216 th:TH_LOAD_LU ; 4-byte Folded Reload
	v_and_b32_e32 v0, 0xffff0000, v0
	s_wait_loadcnt 0x0
	v_lshlrev_b32_e32 v9, 16, v9
	s_delay_alu instid0(VALU_DEP_1) | instskip(NEXT) | instid1(VALU_DEP_1)
	v_mul_f32_e32 v9, v8, v9
	v_bfe_u32 v14, v9, 16, 1
	v_or_b32_e32 v15, 0x400000, v9
	v_cmp_u_f32_e32 vcc_lo, v9, v9
	s_delay_alu instid0(VALU_DEP_3) | instskip(SKIP_1) | instid1(VALU_DEP_1)
	v_add3_u32 v14, v14, v9, 0x7fff
	s_wait_alu 0xfffd
	v_cndmask_b32_e32 v9, v14, v15, vcc_lo
	scratch_load_b32 v14, off, off offset:212 th:TH_LOAD_LU ; 4-byte Folded Reload
	v_and_b32_e32 v9, 0xffff0000, v9
	s_delay_alu instid0(VALU_DEP_1) | instskip(SKIP_2) | instid1(VALU_DEP_1)
	v_add_f32_e32 v0, v9, v0
	s_wait_loadcnt 0x0
	v_lshlrev_b32_e32 v14, 16, v14
	v_mul_f32_e32 v14, v4, v14
	s_delay_alu instid0(VALU_DEP_1) | instskip(SKIP_2) | instid1(VALU_DEP_3)
	v_bfe_u32 v15, v14, 16, 1
	v_or_b32_e32 v16, 0x400000, v14
	v_cmp_u_f32_e32 vcc_lo, v14, v14
	v_add3_u32 v15, v15, v14, 0x7fff
	s_wait_alu 0xfffd
	s_delay_alu instid0(VALU_DEP_1) | instskip(SKIP_4) | instid1(VALU_DEP_1)
	v_cndmask_b32_e32 v14, v15, v16, vcc_lo
	scratch_load_b32 v15, off, off offset:208 th:TH_LOAD_LU ; 4-byte Folded Reload
	v_and_b32_e32 v14, 0xffff0000, v14
	s_wait_loadcnt 0x0
	v_lshlrev_b32_e32 v15, 16, v15
	v_mul_f32_e32 v15, v6, v15
	s_delay_alu instid0(VALU_DEP_1) | instskip(SKIP_2) | instid1(VALU_DEP_3)
	v_bfe_u32 v16, v15, 16, 1
	v_or_b32_e32 v17, 0x400000, v15
	v_cmp_u_f32_e32 vcc_lo, v15, v15
	v_add3_u32 v16, v16, v15, 0x7fff
	s_wait_alu 0xfffd
	s_delay_alu instid0(VALU_DEP_1) | instskip(SKIP_2) | instid1(VALU_DEP_1)
	v_cndmask_b32_e32 v15, v16, v17, vcc_lo
	scratch_load_b32 v16, off, off offset:204 th:TH_LOAD_LU ; 4-byte Folded Reload
	v_and_b32_e32 v9, 0xffff0000, v15
	v_add_f32_e32 v9, v9, v14
	s_delay_alu instid0(VALU_DEP_1) | instskip(SKIP_2) | instid1(VALU_DEP_1)
	v_add_f32_e32 v0, v9, v0
	s_wait_loadcnt 0x0
	v_lshlrev_b32_e32 v16, 16, v16
	v_mul_f32_e32 v16, v2, v16
	s_delay_alu instid0(VALU_DEP_1) | instskip(SKIP_2) | instid1(VALU_DEP_3)
	v_bfe_u32 v17, v16, 16, 1
	v_or_b32_e32 v50, 0x400000, v16
	v_cmp_u_f32_e32 vcc_lo, v16, v16
	v_add3_u32 v17, v17, v16, 0x7fff
	s_wait_alu 0xfffd
	s_delay_alu instid0(VALU_DEP_1) | instskip(SKIP_4) | instid1(VALU_DEP_1)
	v_cndmask_b32_e32 v16, v17, v50, vcc_lo
	scratch_load_b32 v17, off, off offset:200 th:TH_LOAD_LU ; 4-byte Folded Reload
	v_and_b32_e32 v14, 0xffff0000, v16
	s_wait_loadcnt 0x0
	v_lshlrev_b32_e32 v17, 16, v17
	v_mul_f32_e32 v17, v5, v17
	s_delay_alu instid0(VALU_DEP_1) | instskip(SKIP_2) | instid1(VALU_DEP_3)
	v_bfe_u32 v50, v17, 16, 1
	v_or_b32_e32 v51, 0x400000, v17
	v_cmp_u_f32_e32 vcc_lo, v17, v17
	v_add3_u32 v50, v50, v17, 0x7fff
	s_wait_alu 0xfffd
	s_delay_alu instid0(VALU_DEP_1) | instskip(SKIP_2) | instid1(VALU_DEP_1)
	v_cndmask_b32_e32 v17, v50, v51, vcc_lo
	scratch_load_b32 v50, off, off offset:196 th:TH_LOAD_LU ; 4-byte Folded Reload
	v_and_b32_e32 v9, 0xffff0000, v17
	v_add_f32_e32 v9, v9, v14
	s_delay_alu instid0(VALU_DEP_1) | instskip(SKIP_2) | instid1(VALU_DEP_1)
	v_add_f32_e32 v0, v9, v0
	s_wait_loadcnt 0x0
	v_lshlrev_b32_e32 v50, 16, v50
	v_mul_f32_e32 v50, v1, v50
	s_delay_alu instid0(VALU_DEP_1) | instskip(SKIP_2) | instid1(VALU_DEP_3)
	v_bfe_u32 v51, v50, 16, 1
	v_or_b32_e32 v52, 0x400000, v50
	v_cmp_u_f32_e32 vcc_lo, v50, v50
	v_add3_u32 v51, v51, v50, 0x7fff
	s_wait_alu 0xfffd
	s_delay_alu instid0(VALU_DEP_1) | instskip(SKIP_4) | instid1(VALU_DEP_1)
	v_cndmask_b32_e32 v50, v51, v52, vcc_lo
	scratch_load_b32 v51, off, off offset:192 th:TH_LOAD_LU ; 4-byte Folded Reload
	v_and_b32_e32 v14, 0xffff0000, v50
	s_wait_loadcnt 0x0
	v_lshlrev_b32_e32 v51, 16, v51
	v_mul_f32_e32 v51, v3, v51
	s_delay_alu instid0(VALU_DEP_1) | instskip(SKIP_2) | instid1(VALU_DEP_3)
	v_bfe_u32 v52, v51, 16, 1
	v_or_b32_e32 v53, 0x400000, v51
	v_cmp_u_f32_e32 vcc_lo, v51, v51
	v_add3_u32 v52, v52, v51, 0x7fff
	s_wait_alu 0xfffd
	s_delay_alu instid0(VALU_DEP_1) | instskip(NEXT) | instid1(VALU_DEP_1)
	v_cndmask_b32_e32 v51, v52, v53, vcc_lo
	v_and_b32_e32 v9, 0xffff0000, v51
	s_delay_alu instid0(VALU_DEP_1) | instskip(NEXT) | instid1(VALU_DEP_1)
	v_add_f32_e32 v9, v9, v14
	v_add_f32_e32 v0, v9, v0
	s_delay_alu instid0(VALU_DEP_1) | instskip(SKIP_3) | instid1(VALU_DEP_1)
	v_add_f32_e32 v43, v43, v0
	scratch_load_b32 v0, off, off offset:188 th:TH_LOAD_LU ; 4-byte Folded Reload
	s_wait_loadcnt 0x0
	v_lshlrev_b32_e32 v0, 16, v0
	v_mul_f32_e32 v0, v7, v0
	s_delay_alu instid0(VALU_DEP_1) | instskip(SKIP_2) | instid1(VALU_DEP_3)
	v_bfe_u32 v9, v0, 16, 1
	v_or_b32_e32 v14, 0x400000, v0
	v_cmp_u_f32_e32 vcc_lo, v0, v0
	v_add3_u32 v9, v9, v0, 0x7fff
	s_wait_alu 0xfffd
	s_delay_alu instid0(VALU_DEP_1) | instskip(SKIP_4) | instid1(VALU_DEP_1)
	v_cndmask_b32_e32 v0, v9, v14, vcc_lo
	scratch_load_b32 v9, off, off offset:184 th:TH_LOAD_LU ; 4-byte Folded Reload
	v_and_b32_e32 v0, 0xffff0000, v0
	s_wait_loadcnt 0x0
	v_lshlrev_b32_e32 v9, 16, v9
	v_mul_f32_e32 v9, v8, v9
	s_delay_alu instid0(VALU_DEP_1) | instskip(SKIP_2) | instid1(VALU_DEP_3)
	v_bfe_u32 v14, v9, 16, 1
	v_or_b32_e32 v15, 0x400000, v9
	v_cmp_u_f32_e32 vcc_lo, v9, v9
	v_add3_u32 v14, v14, v9, 0x7fff
	s_wait_alu 0xfffd
	s_delay_alu instid0(VALU_DEP_1) | instskip(SKIP_2) | instid1(VALU_DEP_1)
	v_cndmask_b32_e32 v9, v14, v15, vcc_lo
	scratch_load_b32 v14, off, off offset:180 th:TH_LOAD_LU ; 4-byte Folded Reload
	v_and_b32_e32 v9, 0xffff0000, v9
	v_add_f32_e32 v0, v9, v0
	s_wait_loadcnt 0x0
	v_lshlrev_b32_e32 v14, 16, v14
	s_delay_alu instid0(VALU_DEP_1) | instskip(NEXT) | instid1(VALU_DEP_1)
	v_mul_f32_e32 v14, v4, v14
	v_bfe_u32 v15, v14, 16, 1
	v_or_b32_e32 v16, 0x400000, v14
	v_cmp_u_f32_e32 vcc_lo, v14, v14
	s_delay_alu instid0(VALU_DEP_3) | instskip(SKIP_1) | instid1(VALU_DEP_1)
	v_add3_u32 v15, v15, v14, 0x7fff
	s_wait_alu 0xfffd
	v_cndmask_b32_e32 v14, v15, v16, vcc_lo
	scratch_load_b32 v15, off, off offset:176 th:TH_LOAD_LU ; 4-byte Folded Reload
	v_and_b32_e32 v14, 0xffff0000, v14
	s_wait_loadcnt 0x0
	v_lshlrev_b32_e32 v15, 16, v15
	s_delay_alu instid0(VALU_DEP_1) | instskip(NEXT) | instid1(VALU_DEP_1)
	v_mul_f32_e32 v15, v6, v15
	v_bfe_u32 v16, v15, 16, 1
	v_or_b32_e32 v17, 0x400000, v15
	v_cmp_u_f32_e32 vcc_lo, v15, v15
	s_delay_alu instid0(VALU_DEP_3) | instskip(SKIP_1) | instid1(VALU_DEP_1)
	v_add3_u32 v16, v16, v15, 0x7fff
	s_wait_alu 0xfffd
	v_cndmask_b32_e32 v15, v16, v17, vcc_lo
	scratch_load_b32 v16, off, off offset:172 th:TH_LOAD_LU ; 4-byte Folded Reload
	v_and_b32_e32 v9, 0xffff0000, v15
	s_delay_alu instid0(VALU_DEP_1) | instskip(NEXT) | instid1(VALU_DEP_1)
	v_add_f32_e32 v9, v9, v14
	v_add_f32_e32 v0, v9, v0
	s_wait_loadcnt 0x0
	v_lshlrev_b32_e32 v16, 16, v16
	s_delay_alu instid0(VALU_DEP_1) | instskip(NEXT) | instid1(VALU_DEP_1)
	v_mul_f32_e32 v16, v2, v16
	v_bfe_u32 v17, v16, 16, 1
	v_or_b32_e32 v50, 0x400000, v16
	v_cmp_u_f32_e32 vcc_lo, v16, v16
	s_delay_alu instid0(VALU_DEP_3) | instskip(SKIP_1) | instid1(VALU_DEP_1)
	v_add3_u32 v17, v17, v16, 0x7fff
	s_wait_alu 0xfffd
	v_cndmask_b32_e32 v16, v17, v50, vcc_lo
	scratch_load_b32 v17, off, off offset:168 th:TH_LOAD_LU ; 4-byte Folded Reload
	v_and_b32_e32 v14, 0xffff0000, v16
	s_wait_loadcnt 0x0
	v_lshlrev_b32_e32 v17, 16, v17
	s_delay_alu instid0(VALU_DEP_1) | instskip(NEXT) | instid1(VALU_DEP_1)
	v_mul_f32_e32 v17, v5, v17
	v_bfe_u32 v50, v17, 16, 1
	v_or_b32_e32 v51, 0x400000, v17
	v_cmp_u_f32_e32 vcc_lo, v17, v17
	s_delay_alu instid0(VALU_DEP_3) | instskip(SKIP_1) | instid1(VALU_DEP_1)
	v_add3_u32 v50, v50, v17, 0x7fff
	s_wait_alu 0xfffd
	v_cndmask_b32_e32 v17, v50, v51, vcc_lo
	scratch_load_b32 v50, off, off offset:164 th:TH_LOAD_LU ; 4-byte Folded Reload
	v_and_b32_e32 v9, 0xffff0000, v17
	s_delay_alu instid0(VALU_DEP_1) | instskip(NEXT) | instid1(VALU_DEP_1)
	v_add_f32_e32 v9, v9, v14
	v_add_f32_e32 v0, v9, v0
	s_wait_loadcnt 0x0
	v_lshlrev_b32_e32 v50, 16, v50
	s_delay_alu instid0(VALU_DEP_1) | instskip(NEXT) | instid1(VALU_DEP_1)
	v_mul_f32_e32 v50, v1, v50
	v_bfe_u32 v51, v50, 16, 1
	v_or_b32_e32 v52, 0x400000, v50
	v_cmp_u_f32_e32 vcc_lo, v50, v50
	s_delay_alu instid0(VALU_DEP_3) | instskip(SKIP_1) | instid1(VALU_DEP_1)
	v_add3_u32 v51, v51, v50, 0x7fff
	s_wait_alu 0xfffd
	v_cndmask_b32_e32 v50, v51, v52, vcc_lo
	scratch_load_b32 v51, off, off offset:160 th:TH_LOAD_LU ; 4-byte Folded Reload
	v_and_b32_e32 v14, 0xffff0000, v50
	s_wait_loadcnt 0x0
	v_lshlrev_b32_e32 v51, 16, v51
	s_delay_alu instid0(VALU_DEP_1) | instskip(NEXT) | instid1(VALU_DEP_1)
	v_mul_f32_e32 v51, v3, v51
	v_bfe_u32 v52, v51, 16, 1
	v_or_b32_e32 v53, 0x400000, v51
	v_cmp_u_f32_e32 vcc_lo, v51, v51
	s_delay_alu instid0(VALU_DEP_3) | instskip(SKIP_1) | instid1(VALU_DEP_1)
	v_add3_u32 v52, v52, v51, 0x7fff
	s_wait_alu 0xfffd
	v_cndmask_b32_e32 v51, v52, v53, vcc_lo
	s_delay_alu instid0(VALU_DEP_1) | instskip(NEXT) | instid1(VALU_DEP_1)
	v_and_b32_e32 v9, 0xffff0000, v51
	v_add_f32_e32 v9, v9, v14
	s_delay_alu instid0(VALU_DEP_1) | instskip(NEXT) | instid1(VALU_DEP_1)
	v_add_f32_e32 v0, v9, v0
	v_add_f32_e32 v44, v44, v0
	scratch_load_b32 v0, off, off offset:156 th:TH_LOAD_LU ; 4-byte Folded Reload
	s_wait_loadcnt 0x0
	v_lshlrev_b32_e32 v0, 16, v0
	s_delay_alu instid0(VALU_DEP_1) | instskip(NEXT) | instid1(VALU_DEP_1)
	v_mul_f32_e32 v0, v7, v0
	v_bfe_u32 v9, v0, 16, 1
	v_or_b32_e32 v14, 0x400000, v0
	v_cmp_u_f32_e32 vcc_lo, v0, v0
	s_delay_alu instid0(VALU_DEP_3) | instskip(SKIP_1) | instid1(VALU_DEP_1)
	v_add3_u32 v9, v9, v0, 0x7fff
	s_wait_alu 0xfffd
	v_cndmask_b32_e32 v0, v9, v14, vcc_lo
	scratch_load_b32 v9, off, off offset:152 th:TH_LOAD_LU ; 4-byte Folded Reload
	v_and_b32_e32 v0, 0xffff0000, v0
	s_wait_loadcnt 0x0
	v_lshlrev_b32_e32 v9, 16, v9
	s_delay_alu instid0(VALU_DEP_1) | instskip(NEXT) | instid1(VALU_DEP_1)
	v_mul_f32_e32 v9, v8, v9
	v_bfe_u32 v14, v9, 16, 1
	v_or_b32_e32 v15, 0x400000, v9
	v_cmp_u_f32_e32 vcc_lo, v9, v9
	s_delay_alu instid0(VALU_DEP_3) | instskip(SKIP_1) | instid1(VALU_DEP_1)
	v_add3_u32 v14, v14, v9, 0x7fff
	s_wait_alu 0xfffd
	v_cndmask_b32_e32 v9, v14, v15, vcc_lo
	scratch_load_b32 v14, off, off offset:148 th:TH_LOAD_LU ; 4-byte Folded Reload
	v_and_b32_e32 v9, 0xffff0000, v9
	s_delay_alu instid0(VALU_DEP_1) | instskip(SKIP_2) | instid1(VALU_DEP_1)
	v_add_f32_e32 v0, v9, v0
	s_wait_loadcnt 0x0
	v_lshlrev_b32_e32 v14, 16, v14
	v_mul_f32_e32 v14, v4, v14
	s_delay_alu instid0(VALU_DEP_1) | instskip(SKIP_2) | instid1(VALU_DEP_3)
	v_bfe_u32 v15, v14, 16, 1
	v_or_b32_e32 v16, 0x400000, v14
	v_cmp_u_f32_e32 vcc_lo, v14, v14
	v_add3_u32 v15, v15, v14, 0x7fff
	s_wait_alu 0xfffd
	s_delay_alu instid0(VALU_DEP_1) | instskip(SKIP_4) | instid1(VALU_DEP_1)
	v_cndmask_b32_e32 v14, v15, v16, vcc_lo
	scratch_load_b32 v15, off, off offset:144 th:TH_LOAD_LU ; 4-byte Folded Reload
	v_and_b32_e32 v14, 0xffff0000, v14
	s_wait_loadcnt 0x0
	v_lshlrev_b32_e32 v15, 16, v15
	v_mul_f32_e32 v15, v6, v15
	s_delay_alu instid0(VALU_DEP_1) | instskip(SKIP_2) | instid1(VALU_DEP_3)
	v_bfe_u32 v16, v15, 16, 1
	v_or_b32_e32 v17, 0x400000, v15
	v_cmp_u_f32_e32 vcc_lo, v15, v15
	v_add3_u32 v16, v16, v15, 0x7fff
	s_wait_alu 0xfffd
	s_delay_alu instid0(VALU_DEP_1) | instskip(SKIP_2) | instid1(VALU_DEP_1)
	v_cndmask_b32_e32 v15, v16, v17, vcc_lo
	scratch_load_b32 v16, off, off offset:140 th:TH_LOAD_LU ; 4-byte Folded Reload
	v_and_b32_e32 v9, 0xffff0000, v15
	v_add_f32_e32 v9, v9, v14
	s_delay_alu instid0(VALU_DEP_1) | instskip(SKIP_2) | instid1(VALU_DEP_1)
	v_add_f32_e32 v0, v9, v0
	s_wait_loadcnt 0x0
	v_lshlrev_b32_e32 v16, 16, v16
	v_mul_f32_e32 v16, v2, v16
	s_delay_alu instid0(VALU_DEP_1) | instskip(SKIP_2) | instid1(VALU_DEP_3)
	v_bfe_u32 v17, v16, 16, 1
	v_or_b32_e32 v50, 0x400000, v16
	v_cmp_u_f32_e32 vcc_lo, v16, v16
	v_add3_u32 v17, v17, v16, 0x7fff
	s_wait_alu 0xfffd
	s_delay_alu instid0(VALU_DEP_1) | instskip(SKIP_4) | instid1(VALU_DEP_1)
	v_cndmask_b32_e32 v16, v17, v50, vcc_lo
	scratch_load_b32 v17, off, off offset:136 th:TH_LOAD_LU ; 4-byte Folded Reload
	v_and_b32_e32 v14, 0xffff0000, v16
	s_wait_loadcnt 0x0
	v_lshlrev_b32_e32 v17, 16, v17
	v_mul_f32_e32 v17, v5, v17
	s_delay_alu instid0(VALU_DEP_1) | instskip(SKIP_2) | instid1(VALU_DEP_3)
	v_bfe_u32 v50, v17, 16, 1
	v_or_b32_e32 v51, 0x400000, v17
	v_cmp_u_f32_e32 vcc_lo, v17, v17
	v_add3_u32 v50, v50, v17, 0x7fff
	s_wait_alu 0xfffd
	s_delay_alu instid0(VALU_DEP_1) | instskip(SKIP_2) | instid1(VALU_DEP_1)
	v_cndmask_b32_e32 v17, v50, v51, vcc_lo
	scratch_load_b32 v50, off, off offset:132 th:TH_LOAD_LU ; 4-byte Folded Reload
	v_and_b32_e32 v9, 0xffff0000, v17
	v_add_f32_e32 v9, v9, v14
	s_delay_alu instid0(VALU_DEP_1) | instskip(SKIP_2) | instid1(VALU_DEP_1)
	v_add_f32_e32 v0, v9, v0
	s_wait_loadcnt 0x0
	v_lshlrev_b32_e32 v50, 16, v50
	v_mul_f32_e32 v50, v1, v50
	s_delay_alu instid0(VALU_DEP_1) | instskip(SKIP_2) | instid1(VALU_DEP_3)
	v_bfe_u32 v51, v50, 16, 1
	v_or_b32_e32 v52, 0x400000, v50
	v_cmp_u_f32_e32 vcc_lo, v50, v50
	v_add3_u32 v51, v51, v50, 0x7fff
	s_wait_alu 0xfffd
	s_delay_alu instid0(VALU_DEP_1) | instskip(SKIP_4) | instid1(VALU_DEP_1)
	v_cndmask_b32_e32 v50, v51, v52, vcc_lo
	scratch_load_b32 v51, off, off offset:128 th:TH_LOAD_LU ; 4-byte Folded Reload
	v_and_b32_e32 v14, 0xffff0000, v50
	s_wait_loadcnt 0x0
	v_lshlrev_b32_e32 v51, 16, v51
	v_mul_f32_e32 v51, v3, v51
	s_delay_alu instid0(VALU_DEP_1) | instskip(SKIP_2) | instid1(VALU_DEP_3)
	v_bfe_u32 v52, v51, 16, 1
	v_or_b32_e32 v53, 0x400000, v51
	v_cmp_u_f32_e32 vcc_lo, v51, v51
	v_add3_u32 v52, v52, v51, 0x7fff
	s_wait_alu 0xfffd
	s_delay_alu instid0(VALU_DEP_1) | instskip(NEXT) | instid1(VALU_DEP_1)
	v_cndmask_b32_e32 v51, v52, v53, vcc_lo
	v_and_b32_e32 v9, 0xffff0000, v51
	s_delay_alu instid0(VALU_DEP_1) | instskip(NEXT) | instid1(VALU_DEP_1)
	v_add_f32_e32 v9, v9, v14
	v_add_f32_e32 v0, v9, v0
	s_delay_alu instid0(VALU_DEP_1) | instskip(SKIP_3) | instid1(VALU_DEP_1)
	v_add_f32_e32 v45, v45, v0
	scratch_load_b32 v0, off, off offset:124 th:TH_LOAD_LU ; 4-byte Folded Reload
	s_wait_loadcnt 0x0
	v_lshlrev_b32_e32 v0, 16, v0
	v_mul_f32_e32 v0, v7, v0
	s_delay_alu instid0(VALU_DEP_1) | instskip(SKIP_2) | instid1(VALU_DEP_3)
	v_bfe_u32 v9, v0, 16, 1
	v_or_b32_e32 v14, 0x400000, v0
	v_cmp_u_f32_e32 vcc_lo, v0, v0
	v_add3_u32 v9, v9, v0, 0x7fff
	s_wait_alu 0xfffd
	s_delay_alu instid0(VALU_DEP_1) | instskip(SKIP_4) | instid1(VALU_DEP_1)
	v_cndmask_b32_e32 v0, v9, v14, vcc_lo
	scratch_load_b32 v9, off, off offset:120 th:TH_LOAD_LU ; 4-byte Folded Reload
	v_and_b32_e32 v0, 0xffff0000, v0
	s_wait_loadcnt 0x0
	v_lshlrev_b32_e32 v9, 16, v9
	v_mul_f32_e32 v9, v8, v9
	s_delay_alu instid0(VALU_DEP_1) | instskip(SKIP_2) | instid1(VALU_DEP_3)
	v_bfe_u32 v14, v9, 16, 1
	v_or_b32_e32 v15, 0x400000, v9
	v_cmp_u_f32_e32 vcc_lo, v9, v9
	v_add3_u32 v14, v14, v9, 0x7fff
	s_wait_alu 0xfffd
	s_delay_alu instid0(VALU_DEP_1) | instskip(SKIP_2) | instid1(VALU_DEP_1)
	v_cndmask_b32_e32 v9, v14, v15, vcc_lo
	scratch_load_b32 v14, off, off offset:116 th:TH_LOAD_LU ; 4-byte Folded Reload
	v_and_b32_e32 v9, 0xffff0000, v9
	v_add_f32_e32 v0, v9, v0
	s_wait_loadcnt 0x0
	v_lshlrev_b32_e32 v14, 16, v14
	s_delay_alu instid0(VALU_DEP_1) | instskip(NEXT) | instid1(VALU_DEP_1)
	v_mul_f32_e32 v14, v4, v14
	v_bfe_u32 v15, v14, 16, 1
	v_or_b32_e32 v16, 0x400000, v14
	v_cmp_u_f32_e32 vcc_lo, v14, v14
	s_delay_alu instid0(VALU_DEP_3) | instskip(SKIP_1) | instid1(VALU_DEP_1)
	v_add3_u32 v15, v15, v14, 0x7fff
	s_wait_alu 0xfffd
	v_cndmask_b32_e32 v14, v15, v16, vcc_lo
	scratch_load_b32 v15, off, off offset:112 th:TH_LOAD_LU ; 4-byte Folded Reload
	v_and_b32_e32 v14, 0xffff0000, v14
	s_wait_loadcnt 0x0
	v_lshlrev_b32_e32 v15, 16, v15
	s_delay_alu instid0(VALU_DEP_1) | instskip(NEXT) | instid1(VALU_DEP_1)
	v_mul_f32_e32 v15, v6, v15
	v_bfe_u32 v16, v15, 16, 1
	v_or_b32_e32 v17, 0x400000, v15
	v_cmp_u_f32_e32 vcc_lo, v15, v15
	s_delay_alu instid0(VALU_DEP_3) | instskip(SKIP_1) | instid1(VALU_DEP_1)
	v_add3_u32 v16, v16, v15, 0x7fff
	s_wait_alu 0xfffd
	v_cndmask_b32_e32 v15, v16, v17, vcc_lo
	scratch_load_b32 v16, off, off offset:108 th:TH_LOAD_LU ; 4-byte Folded Reload
	v_and_b32_e32 v9, 0xffff0000, v15
	s_delay_alu instid0(VALU_DEP_1) | instskip(NEXT) | instid1(VALU_DEP_1)
	v_add_f32_e32 v9, v9, v14
	v_add_f32_e32 v0, v9, v0
	s_wait_loadcnt 0x0
	v_lshlrev_b32_e32 v16, 16, v16
	s_delay_alu instid0(VALU_DEP_1) | instskip(NEXT) | instid1(VALU_DEP_1)
	v_mul_f32_e32 v16, v2, v16
	v_bfe_u32 v17, v16, 16, 1
	v_or_b32_e32 v50, 0x400000, v16
	v_cmp_u_f32_e32 vcc_lo, v16, v16
	s_delay_alu instid0(VALU_DEP_3) | instskip(SKIP_1) | instid1(VALU_DEP_1)
	v_add3_u32 v17, v17, v16, 0x7fff
	s_wait_alu 0xfffd
	v_cndmask_b32_e32 v16, v17, v50, vcc_lo
	scratch_load_b32 v17, off, off offset:104 th:TH_LOAD_LU ; 4-byte Folded Reload
	v_and_b32_e32 v14, 0xffff0000, v16
	s_wait_loadcnt 0x0
	v_lshlrev_b32_e32 v17, 16, v17
	s_delay_alu instid0(VALU_DEP_1) | instskip(NEXT) | instid1(VALU_DEP_1)
	v_mul_f32_e32 v17, v5, v17
	v_bfe_u32 v50, v17, 16, 1
	v_or_b32_e32 v51, 0x400000, v17
	v_cmp_u_f32_e32 vcc_lo, v17, v17
	s_delay_alu instid0(VALU_DEP_3) | instskip(SKIP_1) | instid1(VALU_DEP_1)
	v_add3_u32 v50, v50, v17, 0x7fff
	s_wait_alu 0xfffd
	v_cndmask_b32_e32 v17, v50, v51, vcc_lo
	scratch_load_b32 v50, off, off offset:100 th:TH_LOAD_LU ; 4-byte Folded Reload
	v_and_b32_e32 v9, 0xffff0000, v17
	s_delay_alu instid0(VALU_DEP_1) | instskip(NEXT) | instid1(VALU_DEP_1)
	v_add_f32_e32 v9, v9, v14
	v_add_f32_e32 v0, v9, v0
	s_wait_loadcnt 0x0
	v_lshlrev_b32_e32 v50, 16, v50
	s_delay_alu instid0(VALU_DEP_1) | instskip(NEXT) | instid1(VALU_DEP_1)
	v_mul_f32_e32 v50, v1, v50
	v_bfe_u32 v51, v50, 16, 1
	v_or_b32_e32 v52, 0x400000, v50
	v_cmp_u_f32_e32 vcc_lo, v50, v50
	s_delay_alu instid0(VALU_DEP_3) | instskip(SKIP_1) | instid1(VALU_DEP_1)
	v_add3_u32 v51, v51, v50, 0x7fff
	s_wait_alu 0xfffd
	v_cndmask_b32_e32 v50, v51, v52, vcc_lo
	scratch_load_b32 v51, off, off offset:96 th:TH_LOAD_LU ; 4-byte Folded Reload
	v_and_b32_e32 v14, 0xffff0000, v50
	s_wait_loadcnt 0x0
	v_lshlrev_b32_e32 v51, 16, v51
	s_delay_alu instid0(VALU_DEP_1) | instskip(NEXT) | instid1(VALU_DEP_1)
	v_mul_f32_e32 v51, v3, v51
	v_bfe_u32 v52, v51, 16, 1
	v_or_b32_e32 v53, 0x400000, v51
	v_cmp_u_f32_e32 vcc_lo, v51, v51
	s_delay_alu instid0(VALU_DEP_3) | instskip(SKIP_1) | instid1(VALU_DEP_1)
	v_add3_u32 v52, v52, v51, 0x7fff
	s_wait_alu 0xfffd
	v_cndmask_b32_e32 v51, v52, v53, vcc_lo
	s_delay_alu instid0(VALU_DEP_1) | instskip(NEXT) | instid1(VALU_DEP_1)
	v_and_b32_e32 v9, 0xffff0000, v51
	v_add_f32_e32 v9, v9, v14
	s_delay_alu instid0(VALU_DEP_1) | instskip(NEXT) | instid1(VALU_DEP_1)
	v_add_f32_e32 v0, v9, v0
	v_add_f32_e32 v46, v46, v0
	scratch_load_b32 v0, off, off offset:92 th:TH_LOAD_LU ; 4-byte Folded Reload
	s_wait_loadcnt 0x0
	v_lshlrev_b32_e32 v0, 16, v0
	s_delay_alu instid0(VALU_DEP_1) | instskip(NEXT) | instid1(VALU_DEP_1)
	v_mul_f32_e32 v0, v7, v0
	v_bfe_u32 v9, v0, 16, 1
	v_or_b32_e32 v14, 0x400000, v0
	v_cmp_u_f32_e32 vcc_lo, v0, v0
	s_delay_alu instid0(VALU_DEP_3) | instskip(SKIP_1) | instid1(VALU_DEP_1)
	v_add3_u32 v9, v9, v0, 0x7fff
	s_wait_alu 0xfffd
	v_cndmask_b32_e32 v0, v9, v14, vcc_lo
	scratch_load_b32 v9, off, off offset:88 th:TH_LOAD_LU ; 4-byte Folded Reload
	v_and_b32_e32 v0, 0xffff0000, v0
	s_wait_loadcnt 0x0
	v_lshlrev_b32_e32 v9, 16, v9
	s_delay_alu instid0(VALU_DEP_1) | instskip(NEXT) | instid1(VALU_DEP_1)
	v_mul_f32_e32 v9, v8, v9
	v_bfe_u32 v14, v9, 16, 1
	v_or_b32_e32 v15, 0x400000, v9
	v_cmp_u_f32_e32 vcc_lo, v9, v9
	s_delay_alu instid0(VALU_DEP_3) | instskip(SKIP_1) | instid1(VALU_DEP_1)
	v_add3_u32 v14, v14, v9, 0x7fff
	s_wait_alu 0xfffd
	v_cndmask_b32_e32 v9, v14, v15, vcc_lo
	scratch_load_b32 v14, off, off offset:84 th:TH_LOAD_LU ; 4-byte Folded Reload
	v_and_b32_e32 v9, 0xffff0000, v9
	s_delay_alu instid0(VALU_DEP_1) | instskip(SKIP_2) | instid1(VALU_DEP_1)
	v_add_f32_e32 v0, v9, v0
	s_wait_loadcnt 0x0
	v_lshlrev_b32_e32 v14, 16, v14
	v_mul_f32_e32 v14, v4, v14
	s_delay_alu instid0(VALU_DEP_1) | instskip(SKIP_2) | instid1(VALU_DEP_3)
	v_bfe_u32 v15, v14, 16, 1
	v_or_b32_e32 v16, 0x400000, v14
	v_cmp_u_f32_e32 vcc_lo, v14, v14
	v_add3_u32 v15, v15, v14, 0x7fff
	s_wait_alu 0xfffd
	s_delay_alu instid0(VALU_DEP_1) | instskip(SKIP_4) | instid1(VALU_DEP_1)
	v_cndmask_b32_e32 v14, v15, v16, vcc_lo
	scratch_load_b32 v15, off, off offset:80 th:TH_LOAD_LU ; 4-byte Folded Reload
	v_and_b32_e32 v14, 0xffff0000, v14
	s_wait_loadcnt 0x0
	v_lshlrev_b32_e32 v15, 16, v15
	v_mul_f32_e32 v15, v6, v15
	s_delay_alu instid0(VALU_DEP_1) | instskip(SKIP_2) | instid1(VALU_DEP_3)
	v_bfe_u32 v16, v15, 16, 1
	v_or_b32_e32 v17, 0x400000, v15
	v_cmp_u_f32_e32 vcc_lo, v15, v15
	v_add3_u32 v16, v16, v15, 0x7fff
	s_wait_alu 0xfffd
	s_delay_alu instid0(VALU_DEP_1) | instskip(SKIP_2) | instid1(VALU_DEP_1)
	v_cndmask_b32_e32 v15, v16, v17, vcc_lo
	scratch_load_b32 v16, off, off offset:76 th:TH_LOAD_LU ; 4-byte Folded Reload
	v_and_b32_e32 v9, 0xffff0000, v15
	v_add_f32_e32 v9, v9, v14
	s_delay_alu instid0(VALU_DEP_1) | instskip(SKIP_2) | instid1(VALU_DEP_1)
	v_add_f32_e32 v0, v9, v0
	s_wait_loadcnt 0x0
	v_lshlrev_b32_e32 v16, 16, v16
	v_mul_f32_e32 v16, v2, v16
	s_delay_alu instid0(VALU_DEP_1) | instskip(SKIP_2) | instid1(VALU_DEP_3)
	v_bfe_u32 v17, v16, 16, 1
	v_or_b32_e32 v50, 0x400000, v16
	v_cmp_u_f32_e32 vcc_lo, v16, v16
	v_add3_u32 v17, v17, v16, 0x7fff
	s_wait_alu 0xfffd
	s_delay_alu instid0(VALU_DEP_1) | instskip(SKIP_4) | instid1(VALU_DEP_1)
	v_cndmask_b32_e32 v16, v17, v50, vcc_lo
	scratch_load_b32 v17, off, off offset:72 th:TH_LOAD_LU ; 4-byte Folded Reload
	v_and_b32_e32 v14, 0xffff0000, v16
	s_wait_loadcnt 0x0
	v_lshlrev_b32_e32 v17, 16, v17
	v_mul_f32_e32 v17, v5, v17
	s_delay_alu instid0(VALU_DEP_1) | instskip(SKIP_2) | instid1(VALU_DEP_3)
	v_bfe_u32 v50, v17, 16, 1
	v_or_b32_e32 v51, 0x400000, v17
	v_cmp_u_f32_e32 vcc_lo, v17, v17
	v_add3_u32 v50, v50, v17, 0x7fff
	s_wait_alu 0xfffd
	s_delay_alu instid0(VALU_DEP_1) | instskip(SKIP_2) | instid1(VALU_DEP_1)
	v_cndmask_b32_e32 v17, v50, v51, vcc_lo
	scratch_load_b32 v50, off, off offset:68 th:TH_LOAD_LU ; 4-byte Folded Reload
	v_and_b32_e32 v9, 0xffff0000, v17
	v_add_f32_e32 v9, v9, v14
	s_delay_alu instid0(VALU_DEP_1) | instskip(SKIP_2) | instid1(VALU_DEP_1)
	v_add_f32_e32 v0, v9, v0
	s_wait_loadcnt 0x0
	v_lshlrev_b32_e32 v50, 16, v50
	v_mul_f32_e32 v50, v1, v50
	s_delay_alu instid0(VALU_DEP_1) | instskip(SKIP_2) | instid1(VALU_DEP_3)
	v_bfe_u32 v51, v50, 16, 1
	v_or_b32_e32 v52, 0x400000, v50
	v_cmp_u_f32_e32 vcc_lo, v50, v50
	v_add3_u32 v51, v51, v50, 0x7fff
	s_wait_alu 0xfffd
	s_delay_alu instid0(VALU_DEP_1) | instskip(SKIP_4) | instid1(VALU_DEP_1)
	v_cndmask_b32_e32 v50, v51, v52, vcc_lo
	scratch_load_b32 v51, off, off offset:64 th:TH_LOAD_LU ; 4-byte Folded Reload
	v_and_b32_e32 v14, 0xffff0000, v50
	s_wait_loadcnt 0x0
	v_lshlrev_b32_e32 v51, 16, v51
	v_mul_f32_e32 v51, v3, v51
	s_delay_alu instid0(VALU_DEP_1) | instskip(SKIP_2) | instid1(VALU_DEP_3)
	v_bfe_u32 v52, v51, 16, 1
	v_or_b32_e32 v53, 0x400000, v51
	v_cmp_u_f32_e32 vcc_lo, v51, v51
	v_add3_u32 v52, v52, v51, 0x7fff
	s_wait_alu 0xfffd
	s_delay_alu instid0(VALU_DEP_1) | instskip(NEXT) | instid1(VALU_DEP_1)
	v_cndmask_b32_e32 v51, v52, v53, vcc_lo
	v_and_b32_e32 v9, 0xffff0000, v51
	s_delay_alu instid0(VALU_DEP_1) | instskip(NEXT) | instid1(VALU_DEP_1)
	v_add_f32_e32 v9, v9, v14
	v_add_f32_e32 v0, v9, v0
	s_delay_alu instid0(VALU_DEP_1) | instskip(SKIP_3) | instid1(VALU_DEP_1)
	v_add_f32_e32 v47, v47, v0
	scratch_load_b32 v0, off, off offset:60 th:TH_LOAD_LU ; 4-byte Folded Reload
	s_wait_loadcnt 0x0
	v_lshlrev_b32_e32 v0, 16, v0
	v_mul_f32_e32 v0, v7, v0
	s_delay_alu instid0(VALU_DEP_1) | instskip(SKIP_2) | instid1(VALU_DEP_3)
	v_bfe_u32 v9, v0, 16, 1
	v_or_b32_e32 v14, 0x400000, v0
	v_cmp_u_f32_e32 vcc_lo, v0, v0
	v_add3_u32 v9, v9, v0, 0x7fff
	s_wait_alu 0xfffd
	s_delay_alu instid0(VALU_DEP_1) | instskip(SKIP_4) | instid1(VALU_DEP_1)
	v_cndmask_b32_e32 v0, v9, v14, vcc_lo
	scratch_load_b32 v9, off, off offset:56 th:TH_LOAD_LU ; 4-byte Folded Reload
	v_and_b32_e32 v0, 0xffff0000, v0
	s_wait_loadcnt 0x0
	v_lshlrev_b32_e32 v9, 16, v9
	v_mul_f32_e32 v9, v8, v9
	s_delay_alu instid0(VALU_DEP_1) | instskip(SKIP_2) | instid1(VALU_DEP_3)
	v_bfe_u32 v14, v9, 16, 1
	v_or_b32_e32 v15, 0x400000, v9
	v_cmp_u_f32_e32 vcc_lo, v9, v9
	v_add3_u32 v14, v14, v9, 0x7fff
	s_wait_alu 0xfffd
	s_delay_alu instid0(VALU_DEP_1) | instskip(SKIP_2) | instid1(VALU_DEP_1)
	v_cndmask_b32_e32 v9, v14, v15, vcc_lo
	scratch_load_b32 v14, off, off offset:52 th:TH_LOAD_LU ; 4-byte Folded Reload
	v_and_b32_e32 v9, 0xffff0000, v9
	v_add_f32_e32 v0, v9, v0
	s_wait_loadcnt 0x0
	v_lshlrev_b32_e32 v14, 16, v14
	s_delay_alu instid0(VALU_DEP_1) | instskip(NEXT) | instid1(VALU_DEP_1)
	v_mul_f32_e32 v14, v4, v14
	v_bfe_u32 v15, v14, 16, 1
	v_or_b32_e32 v16, 0x400000, v14
	v_cmp_u_f32_e32 vcc_lo, v14, v14
	s_delay_alu instid0(VALU_DEP_3) | instskip(SKIP_1) | instid1(VALU_DEP_1)
	v_add3_u32 v15, v15, v14, 0x7fff
	s_wait_alu 0xfffd
	v_cndmask_b32_e32 v14, v15, v16, vcc_lo
	scratch_load_b32 v15, off, off offset:48 th:TH_LOAD_LU ; 4-byte Folded Reload
	v_and_b32_e32 v14, 0xffff0000, v14
	s_wait_loadcnt 0x0
	v_lshlrev_b32_e32 v15, 16, v15
	s_delay_alu instid0(VALU_DEP_1) | instskip(NEXT) | instid1(VALU_DEP_1)
	v_mul_f32_e32 v15, v6, v15
	v_bfe_u32 v16, v15, 16, 1
	v_or_b32_e32 v17, 0x400000, v15
	v_cmp_u_f32_e32 vcc_lo, v15, v15
	s_delay_alu instid0(VALU_DEP_3) | instskip(SKIP_1) | instid1(VALU_DEP_1)
	v_add3_u32 v16, v16, v15, 0x7fff
	s_wait_alu 0xfffd
	v_cndmask_b32_e32 v15, v16, v17, vcc_lo
	scratch_load_b32 v16, off, off offset:44 th:TH_LOAD_LU ; 4-byte Folded Reload
	v_and_b32_e32 v9, 0xffff0000, v15
	s_delay_alu instid0(VALU_DEP_1) | instskip(NEXT) | instid1(VALU_DEP_1)
	v_add_f32_e32 v9, v9, v14
	v_add_f32_e32 v0, v9, v0
	s_wait_loadcnt 0x0
	v_lshlrev_b32_e32 v16, 16, v16
	s_delay_alu instid0(VALU_DEP_1) | instskip(NEXT) | instid1(VALU_DEP_1)
	v_mul_f32_e32 v16, v2, v16
	v_bfe_u32 v17, v16, 16, 1
	v_or_b32_e32 v50, 0x400000, v16
	v_cmp_u_f32_e32 vcc_lo, v16, v16
	s_delay_alu instid0(VALU_DEP_3) | instskip(SKIP_1) | instid1(VALU_DEP_1)
	v_add3_u32 v17, v17, v16, 0x7fff
	s_wait_alu 0xfffd
	v_cndmask_b32_e32 v16, v17, v50, vcc_lo
	scratch_load_b32 v17, off, off offset:40 th:TH_LOAD_LU ; 4-byte Folded Reload
	v_and_b32_e32 v14, 0xffff0000, v16
	s_wait_loadcnt 0x0
	v_lshlrev_b32_e32 v17, 16, v17
	s_delay_alu instid0(VALU_DEP_1) | instskip(NEXT) | instid1(VALU_DEP_1)
	v_mul_f32_e32 v17, v5, v17
	v_bfe_u32 v50, v17, 16, 1
	v_or_b32_e32 v51, 0x400000, v17
	v_cmp_u_f32_e32 vcc_lo, v17, v17
	s_delay_alu instid0(VALU_DEP_3) | instskip(SKIP_1) | instid1(VALU_DEP_1)
	v_add3_u32 v50, v50, v17, 0x7fff
	s_wait_alu 0xfffd
	v_cndmask_b32_e32 v17, v50, v51, vcc_lo
	scratch_load_b32 v50, off, off offset:36 th:TH_LOAD_LU ; 4-byte Folded Reload
	v_and_b32_e32 v9, 0xffff0000, v17
	s_delay_alu instid0(VALU_DEP_1) | instskip(NEXT) | instid1(VALU_DEP_1)
	v_add_f32_e32 v9, v9, v14
	v_add_f32_e32 v0, v9, v0
	s_wait_loadcnt 0x0
	v_lshlrev_b32_e32 v50, 16, v50
	s_delay_alu instid0(VALU_DEP_1) | instskip(NEXT) | instid1(VALU_DEP_1)
	v_mul_f32_e32 v50, v1, v50
	v_bfe_u32 v51, v50, 16, 1
	v_or_b32_e32 v52, 0x400000, v50
	v_cmp_u_f32_e32 vcc_lo, v50, v50
	s_delay_alu instid0(VALU_DEP_3) | instskip(SKIP_1) | instid1(VALU_DEP_1)
	v_add3_u32 v51, v51, v50, 0x7fff
	s_wait_alu 0xfffd
	v_cndmask_b32_e32 v50, v51, v52, vcc_lo
	scratch_load_b32 v51, off, off offset:32 th:TH_LOAD_LU ; 4-byte Folded Reload
	v_and_b32_e32 v14, 0xffff0000, v50
	s_wait_loadcnt 0x0
	v_lshlrev_b32_e32 v51, 16, v51
	s_delay_alu instid0(VALU_DEP_1) | instskip(NEXT) | instid1(VALU_DEP_1)
	v_mul_f32_e32 v51, v3, v51
	v_bfe_u32 v52, v51, 16, 1
	v_or_b32_e32 v53, 0x400000, v51
	v_cmp_u_f32_e32 vcc_lo, v51, v51
	s_delay_alu instid0(VALU_DEP_3) | instskip(SKIP_1) | instid1(VALU_DEP_1)
	v_add3_u32 v52, v52, v51, 0x7fff
	s_wait_alu 0xfffd
	v_cndmask_b32_e32 v51, v52, v53, vcc_lo
	s_delay_alu instid0(VALU_DEP_1) | instskip(NEXT) | instid1(VALU_DEP_1)
	v_and_b32_e32 v9, 0xffff0000, v51
	v_add_f32_e32 v9, v9, v14
	s_delay_alu instid0(VALU_DEP_1) | instskip(NEXT) | instid1(VALU_DEP_1)
	v_add_f32_e32 v0, v9, v0
	v_add_f32_e32 v49, v49, v0
	scratch_load_b32 v0, off, off offset:28 th:TH_LOAD_LU ; 4-byte Folded Reload
	s_wait_loadcnt 0x0
	v_lshlrev_b32_e32 v0, 16, v0
	s_delay_alu instid0(VALU_DEP_1) | instskip(NEXT) | instid1(VALU_DEP_1)
	v_mul_f32_e32 v0, v7, v0
	v_bfe_u32 v9, v0, 16, 1
	v_or_b32_e32 v14, 0x400000, v0
	v_cmp_u_f32_e32 vcc_lo, v0, v0
	s_delay_alu instid0(VALU_DEP_3) | instskip(SKIP_1) | instid1(VALU_DEP_1)
	v_add3_u32 v9, v9, v0, 0x7fff
	s_wait_alu 0xfffd
	v_cndmask_b32_e32 v0, v9, v14, vcc_lo
	scratch_load_b32 v9, off, off offset:24 th:TH_LOAD_LU ; 4-byte Folded Reload
	v_and_b32_e32 v0, 0xffff0000, v0
	s_wait_loadcnt 0x0
	v_lshlrev_b32_e32 v9, 16, v9
	s_delay_alu instid0(VALU_DEP_1) | instskip(NEXT) | instid1(VALU_DEP_1)
	v_mul_f32_e32 v9, v8, v9
	v_bfe_u32 v14, v9, 16, 1
	v_or_b32_e32 v15, 0x400000, v9
	v_cmp_u_f32_e32 vcc_lo, v9, v9
	s_delay_alu instid0(VALU_DEP_3) | instskip(SKIP_1) | instid1(VALU_DEP_1)
	v_add3_u32 v14, v14, v9, 0x7fff
	s_wait_alu 0xfffd
	v_cndmask_b32_e32 v9, v14, v15, vcc_lo
	scratch_load_b32 v14, off, off offset:20 th:TH_LOAD_LU ; 4-byte Folded Reload
	v_and_b32_e32 v9, 0xffff0000, v9
	s_delay_alu instid0(VALU_DEP_1) | instskip(SKIP_2) | instid1(VALU_DEP_1)
	v_add_f32_e32 v0, v9, v0
	s_wait_loadcnt 0x0
	v_lshlrev_b32_e32 v14, 16, v14
	v_mul_f32_e32 v14, v4, v14
	s_delay_alu instid0(VALU_DEP_1) | instskip(SKIP_2) | instid1(VALU_DEP_3)
	v_bfe_u32 v15, v14, 16, 1
	v_or_b32_e32 v16, 0x400000, v14
	v_cmp_u_f32_e32 vcc_lo, v14, v14
	v_add3_u32 v15, v15, v14, 0x7fff
	s_wait_alu 0xfffd
	s_delay_alu instid0(VALU_DEP_1) | instskip(SKIP_4) | instid1(VALU_DEP_1)
	v_cndmask_b32_e32 v14, v15, v16, vcc_lo
	scratch_load_b32 v15, off, off offset:16 th:TH_LOAD_LU ; 4-byte Folded Reload
	v_and_b32_e32 v14, 0xffff0000, v14
	s_wait_loadcnt 0x0
	v_lshlrev_b32_e32 v15, 16, v15
	v_mul_f32_e32 v15, v6, v15
	s_delay_alu instid0(VALU_DEP_1) | instskip(SKIP_2) | instid1(VALU_DEP_3)
	v_bfe_u32 v16, v15, 16, 1
	v_or_b32_e32 v17, 0x400000, v15
	v_cmp_u_f32_e32 vcc_lo, v15, v15
	v_add3_u32 v16, v16, v15, 0x7fff
	s_wait_alu 0xfffd
	s_delay_alu instid0(VALU_DEP_1) | instskip(SKIP_2) | instid1(VALU_DEP_1)
	v_cndmask_b32_e32 v15, v16, v17, vcc_lo
	scratch_load_b32 v16, off, off offset:12 th:TH_LOAD_LU ; 4-byte Folded Reload
	v_and_b32_e32 v9, 0xffff0000, v15
	v_add_f32_e32 v9, v9, v14
	s_delay_alu instid0(VALU_DEP_1) | instskip(SKIP_2) | instid1(VALU_DEP_1)
	v_add_f32_e32 v0, v9, v0
	s_wait_loadcnt 0x0
	v_lshlrev_b32_e32 v16, 16, v16
	v_mul_f32_e32 v16, v2, v16
	s_delay_alu instid0(VALU_DEP_1) | instskip(SKIP_2) | instid1(VALU_DEP_3)
	v_bfe_u32 v17, v16, 16, 1
	v_or_b32_e32 v50, 0x400000, v16
	v_cmp_u_f32_e32 vcc_lo, v16, v16
	v_add3_u32 v17, v17, v16, 0x7fff
	s_wait_alu 0xfffd
	s_delay_alu instid0(VALU_DEP_1) | instskip(SKIP_4) | instid1(VALU_DEP_1)
	v_cndmask_b32_e32 v16, v17, v50, vcc_lo
	scratch_load_b32 v17, off, off offset:8 th:TH_LOAD_LU ; 4-byte Folded Reload
	v_and_b32_e32 v14, 0xffff0000, v16
	s_wait_loadcnt 0x0
	v_lshlrev_b32_e32 v17, 16, v17
	v_mul_f32_e32 v17, v5, v17
	s_delay_alu instid0(VALU_DEP_1) | instskip(SKIP_2) | instid1(VALU_DEP_3)
	v_bfe_u32 v50, v17, 16, 1
	v_or_b32_e32 v51, 0x400000, v17
	v_cmp_u_f32_e32 vcc_lo, v17, v17
	v_add3_u32 v50, v50, v17, 0x7fff
	s_wait_alu 0xfffd
	s_delay_alu instid0(VALU_DEP_1) | instskip(SKIP_2) | instid1(VALU_DEP_1)
	v_cndmask_b32_e32 v17, v50, v51, vcc_lo
	scratch_load_b32 v50, off, off offset:4 th:TH_LOAD_LU ; 4-byte Folded Reload
	v_and_b32_e32 v9, 0xffff0000, v17
	v_add_f32_e32 v9, v9, v14
	s_delay_alu instid0(VALU_DEP_1) | instskip(SKIP_2) | instid1(VALU_DEP_1)
	v_add_f32_e32 v0, v9, v0
	s_wait_loadcnt 0x0
	v_lshlrev_b32_e32 v50, 16, v50
	v_mul_f32_e32 v50, v1, v50
	s_delay_alu instid0(VALU_DEP_1) | instskip(SKIP_2) | instid1(VALU_DEP_3)
	v_bfe_u32 v51, v50, 16, 1
	v_or_b32_e32 v52, 0x400000, v50
	v_cmp_u_f32_e32 vcc_lo, v50, v50
	v_add3_u32 v51, v51, v50, 0x7fff
	s_wait_alu 0xfffd
	s_delay_alu instid0(VALU_DEP_1) | instskip(SKIP_4) | instid1(VALU_DEP_1)
	v_cndmask_b32_e32 v50, v51, v52, vcc_lo
	scratch_load_b32 v51, off, off th:TH_LOAD_LU ; 4-byte Folded Reload
	v_and_b32_e32 v14, 0xffff0000, v50
	s_wait_loadcnt 0x0
	v_lshlrev_b32_e32 v51, 16, v51
	v_mul_f32_e32 v51, v3, v51
	s_delay_alu instid0(VALU_DEP_1) | instskip(SKIP_2) | instid1(VALU_DEP_3)
	v_bfe_u32 v52, v51, 16, 1
	v_or_b32_e32 v53, 0x400000, v51
	v_cmp_u_f32_e32 vcc_lo, v51, v51
	v_add3_u32 v52, v52, v51, 0x7fff
	s_wait_alu 0xfffd
	s_delay_alu instid0(VALU_DEP_1) | instskip(NEXT) | instid1(VALU_DEP_1)
	v_cndmask_b32_e32 v51, v52, v53, vcc_lo
	v_and_b32_e32 v9, 0xffff0000, v51
	s_delay_alu instid0(VALU_DEP_1) | instskip(NEXT) | instid1(VALU_DEP_1)
	v_add_f32_e32 v9, v9, v14
	v_add_f32_e32 v0, v9, v0
	s_delay_alu instid0(VALU_DEP_1) | instskip(SKIP_1) | instid1(VALU_DEP_1)
	v_add_f32_e32 v48, v48, v0
	v_lshlrev_b32_e32 v0, 16, v76
	v_mul_f32_e32 v0, v8, v0
	s_delay_alu instid0(VALU_DEP_1) | instskip(SKIP_2) | instid1(VALU_DEP_3)
	v_bfe_u32 v8, v0, 16, 1
	v_or_b32_e32 v9, 0x400000, v0
	v_cmp_u_f32_e32 vcc_lo, v0, v0
	v_add3_u32 v8, v8, v0, 0x7fff
	s_wait_alu 0xfffd
	s_delay_alu instid0(VALU_DEP_1) | instskip(SKIP_1) | instid1(VALU_DEP_2)
	v_cndmask_b32_e32 v0, v8, v9, vcc_lo
	v_lshlrev_b32_e32 v8, 16, v75
	v_and_b32_e32 v0, 0xffff0000, v0
	s_delay_alu instid0(VALU_DEP_2) | instskip(NEXT) | instid1(VALU_DEP_1)
	v_mul_f32_e32 v7, v7, v8
	v_bfe_u32 v8, v7, 16, 1
	v_or_b32_e32 v9, 0x400000, v7
	v_cmp_u_f32_e32 vcc_lo, v7, v7
	s_delay_alu instid0(VALU_DEP_3) | instskip(SKIP_1) | instid1(VALU_DEP_1)
	v_add3_u32 v8, v8, v7, 0x7fff
	s_wait_alu 0xfffd
	v_dual_cndmask_b32 v7, v8, v9 :: v_dual_lshlrev_b32 v8, 16, v74
	s_delay_alu instid0(VALU_DEP_1) | instskip(NEXT) | instid1(VALU_DEP_1)
	v_dual_mul_f32 v6, v6, v8 :: v_dual_and_b32 v7, 0xffff0000, v7
	v_add_f32_e32 v0, v0, v7
	s_delay_alu instid0(VALU_DEP_2) | instskip(SKIP_2) | instid1(VALU_DEP_3)
	v_bfe_u32 v8, v6, 16, 1
	v_or_b32_e32 v9, 0x400000, v6
	v_cmp_u_f32_e32 vcc_lo, v6, v6
	v_add3_u32 v8, v8, v6, 0x7fff
	s_wait_alu 0xfffd
	s_delay_alu instid0(VALU_DEP_1) | instskip(SKIP_1) | instid1(VALU_DEP_2)
	v_cndmask_b32_e32 v6, v8, v9, vcc_lo
	v_lshlrev_b32_e32 v8, 16, v13
	v_and_b32_e32 v6, 0xffff0000, v6
	s_delay_alu instid0(VALU_DEP_2) | instskip(NEXT) | instid1(VALU_DEP_1)
	v_mul_f32_e32 v4, v4, v8
	v_bfe_u32 v8, v4, 16, 1
	v_or_b32_e32 v9, 0x400000, v4
	v_cmp_u_f32_e32 vcc_lo, v4, v4
	s_delay_alu instid0(VALU_DEP_3) | instskip(SKIP_1) | instid1(VALU_DEP_1)
	v_add3_u32 v8, v8, v4, 0x7fff
	s_wait_alu 0xfffd
	v_cndmask_b32_e32 v4, v8, v9, vcc_lo
	v_lshlrev_b32_e32 v8, 16, v12
	s_delay_alu instid0(VALU_DEP_2) | instskip(NEXT) | instid1(VALU_DEP_2)
	v_and_b32_e32 v4, 0xffff0000, v4
	v_mul_f32_e32 v5, v5, v8
	s_delay_alu instid0(VALU_DEP_2) | instskip(NEXT) | instid1(VALU_DEP_2)
	v_add_f32_e32 v4, v6, v4
	v_bfe_u32 v8, v5, 16, 1
	v_or_b32_e32 v9, 0x400000, v5
	v_cmp_u_f32_e32 vcc_lo, v5, v5
	s_delay_alu instid0(VALU_DEP_4) | instskip(NEXT) | instid1(VALU_DEP_4)
	v_add_f32_e32 v0, v4, v0
	v_add3_u32 v8, v8, v5, 0x7fff
	s_wait_alu 0xfffd
	s_delay_alu instid0(VALU_DEP_1) | instskip(NEXT) | instid1(VALU_DEP_1)
	v_dual_cndmask_b32 v5, v8, v9 :: v_dual_lshlrev_b32 v8, 16, v11
	v_and_b32_e32 v4, 0xffff0000, v5
	s_delay_alu instid0(VALU_DEP_2) | instskip(NEXT) | instid1(VALU_DEP_1)
	v_mul_f32_e32 v2, v2, v8
	v_bfe_u32 v8, v2, 16, 1
	v_or_b32_e32 v9, 0x400000, v2
	v_cmp_u_f32_e32 vcc_lo, v2, v2
	s_delay_alu instid0(VALU_DEP_3) | instskip(SKIP_1) | instid1(VALU_DEP_1)
	v_add3_u32 v8, v8, v2, 0x7fff
	s_wait_alu 0xfffd
	v_cndmask_b32_e32 v2, v8, v9, vcc_lo
	v_lshlrev_b32_e32 v8, 16, v10
	s_delay_alu instid0(VALU_DEP_1) | instskip(NEXT) | instid1(VALU_DEP_1)
	v_dual_mul_f32 v3, v3, v8 :: v_dual_and_b32 v2, 0xffff0000, v2
	v_add_f32_e32 v2, v4, v2
	s_delay_alu instid0(VALU_DEP_2) | instskip(SKIP_2) | instid1(VALU_DEP_4)
	v_bfe_u32 v8, v3, 16, 1
	v_or_b32_e32 v9, 0x400000, v3
	v_cmp_u_f32_e32 vcc_lo, v3, v3
	v_add_f32_e32 v0, v2, v0
	s_delay_alu instid0(VALU_DEP_4) | instskip(SKIP_1) | instid1(VALU_DEP_1)
	v_add3_u32 v8, v8, v3, 0x7fff
	s_wait_alu 0xfffd
	v_cndmask_b32_e32 v3, v8, v9, vcc_lo
	v_lshlrev_b32_e32 v8, 16, v77
	s_delay_alu instid0(VALU_DEP_1) | instskip(NEXT) | instid1(VALU_DEP_1)
	v_dual_mul_f32 v1, v1, v8 :: v_dual_and_b32 v2, 0xffff0000, v3
	v_bfe_u32 v8, v1, 16, 1
	v_or_b32_e32 v9, 0x400000, v1
	v_cmp_u_f32_e32 vcc_lo, v1, v1
	s_delay_alu instid0(VALU_DEP_3) | instskip(SKIP_1) | instid1(VALU_DEP_1)
	v_add3_u32 v8, v8, v1, 0x7fff
	s_wait_alu 0xfffd
	v_cndmask_b32_e32 v1, v8, v9, vcc_lo
	v_cmp_le_i32_e32 vcc_lo, s19, v166
	s_delay_alu instid0(VALU_DEP_2) | instskip(SKIP_1) | instid1(VALU_DEP_1)
	v_and_b32_e32 v1, 0xffff0000, v1
	s_or_b32 s11, vcc_lo, s11
	v_add_f32_e32 v1, v2, v1
	s_delay_alu instid0(VALU_DEP_1) | instskip(NEXT) | instid1(VALU_DEP_1)
	v_add_f32_e32 v0, v1, v0
	v_add_f32_e32 v18, v18, v0
	s_wait_alu 0xfffe
	s_and_not1_b32 exec_lo, exec_lo, s11
	s_cbranch_execz .LBB366_93
.LBB366_29:                             ; =>This Inner Loop Header: Depth=1
	v_ashrrev_i32_e32 v167, 31, v166
	s_delay_alu instid0(VALU_DEP_1) | instskip(SKIP_1) | instid1(VALU_DEP_1)
	v_lshlrev_b64_e32 v[0:1], 2, v[166:167]
	s_wait_alu 0xfffe
	v_add_co_u32 v0, vcc_lo, s8, v0
	s_wait_alu 0xfffd
	s_delay_alu instid0(VALU_DEP_2)
	v_add_co_ci_u32_e64 v1, null, s9, v1, vcc_lo
	global_load_b32 v0, v[0:1], off
	s_wait_loadcnt 0x0
	v_mad_co_i64_i32 v[10:11], null, v0, s5, s[6:7]
	scratch_load_b32 v0, off, off offset:468 ; 4-byte Folded Reload
	s_wait_loadcnt 0x0
	v_add_co_u32 v12, vcc_lo, v10, v0
	s_wait_alu 0xfffd
	v_add_co_ci_u32_e64 v13, null, 0, v11, vcc_lo
	v_cmp_eq_u32_e32 vcc_lo, s13, v166
	global_load_b64 v[14:15], v[12:13], off
	scratch_load_b32 v0, off, off offset:464 ; 4-byte Folded Reload
	s_wait_loadcnt 0x1
	v_bfe_u32 v9, v14, 8, 8
	s_wait_loadcnt 0x0
	v_lshl_or_b32 v170, v166, 5, v0
	v_bfe_u32 v16, v14, 16, 8
	v_bfe_u32 v51, v15, 16, 8
	;; [unrolled: 1-line block ×3, first 2 shown]
	v_cvt_f32_fp8_e32 v9, v9
	v_lshl_add_u32 v0, v170, 2, s3
	v_cvt_f32_fp8_e32 v16, v16
	v_cvt_f32_fp8_e32 v51, v51
	ds_load_2addr_b64 v[5:8], v0 offset1:1
	ds_load_2addr_b64 v[1:4], v0 offset0:2 offset1:3
	s_wait_kmcnt 0x0
	v_dual_mul_f32 v9, s10, v9 :: v_dual_and_b32 v0, 0xff, v14
	v_lshrrev_b32_e32 v14, 24, v14
	v_cvt_f32_fp8_e32 v50, v50
	v_or_b32_e32 v176, 1, v170
	s_delay_alu instid0(VALU_DEP_4)
	v_cvt_f32_fp8_e32 v0, v0
	v_and_b32_e32 v17, 0xff, v15
	v_cvt_f32_fp8_e32 v14, v14
	v_bfe_u32 v54, v9, 16, 1
	v_or_b32_e32 v55, 0x400000, v9
	v_mul_f32_e32 v0, s10, v0
	v_cvt_f32_fp8_e32 v17, v17
	v_mul_f32_e32 v16, s10, v16
	v_dual_mul_f32 v14, s10, v14 :: v_dual_mul_f32 v51, s10, v51
	s_delay_alu instid0(VALU_DEP_4)
	v_bfe_u32 v52, v0, 16, 1
	v_or_b32_e32 v53, 0x400000, v0
	v_cmp_u_f32_e64 s0, v0, v0
	v_mul_f32_e32 v17, s10, v17
	v_bfe_u32 v56, v16, 16, 1
	v_add3_u32 v52, v52, v0, 0x7fff
	v_add3_u32 v54, v54, v9, 0x7fff
	v_lshrrev_b32_e32 v15, 24, v15
	v_or_b32_e32 v57, 0x400000, v16
	v_bfe_u32 v58, v14, 16, 1
	s_wait_alu 0xf1ff
	v_cndmask_b32_e64 v0, v52, v53, s0
	v_cmp_u_f32_e64 s0, v9, v9
	v_add3_u32 v56, v56, v16, 0x7fff
	v_cvt_f32_fp8_e32 v15, v15
	v_mul_f32_e32 v50, s10, v50
	v_lshrrev_b32_e32 v0, 16, v0
	s_wait_alu 0xf1ff
	v_cndmask_b32_e64 v9, v54, v55, s0
	v_cmp_u_f32_e64 s0, v16, v16
	v_or_b32_e32 v59, 0x400000, v14
	v_bfe_u32 v60, v17, 16, 1
	v_add3_u32 v58, v58, v14, 0x7fff
	scratch_store_b32 off, v0, off offset:24 ; 4-byte Folded Spill
	s_wait_alu 0xf1ff
	v_cndmask_b32_e64 v16, v56, v57, s0
	v_cmp_u_f32_e64 s0, v14, v14
	v_lshrrev_b32_e32 v0, 16, v9
	v_mul_f32_e32 v15, s10, v15
	v_or_b32_e32 v61, 0x400000, v17
	v_bfe_u32 v62, v50, 16, 1
	v_add3_u32 v60, v60, v17, 0x7fff
	s_wait_alu 0xf1ff
	v_cndmask_b32_e64 v14, v58, v59, s0
	v_cmp_u_f32_e64 s0, v17, v17
	scratch_store_b32 off, v0, off offset:28 ; 4-byte Folded Spill
	v_lshrrev_b32_e32 v0, 16, v16
	v_or_b32_e32 v63, 0x400000, v50
	v_bfe_u32 v64, v51, 16, 1
	v_add3_u32 v62, v62, v50, 0x7fff
	s_wait_alu 0xf1ff
	v_cndmask_b32_e64 v17, v60, v61, s0
	v_cmp_u_f32_e64 s0, v50, v50
	scratch_store_b32 off, v0, off offset:16 ; 4-byte Folded Spill
	v_lshrrev_b32_e32 v0, 16, v14
	;; [unrolled: 8-line block ×3, first 2 shown]
	v_or_b32_e32 v67, 0x400000, v15
	v_add3_u32 v66, v66, v15, 0x7fff
	s_wait_alu 0xf1ff
	v_cndmask_b32_e64 v51, v64, v65, s0
	v_cmp_u_f32_e64 s0, v15, v15
	scratch_store_b32 off, v0, off offset:8 ; 4-byte Folded Spill
	v_lshrrev_b32_e32 v0, 16, v50
	v_or_b32_e32 v175, 2, v170
	v_or_b32_e32 v174, 3, v170
	s_wait_alu 0xf1ff
	v_cndmask_b32_e64 v15, v66, v67, s0
	v_or_b32_e32 v173, 4, v170
	scratch_store_b32 off, v0, off offset:12 ; 4-byte Folded Spill
	v_lshrrev_b32_e32 v0, 16, v51
	v_or_b32_e32 v172, 5, v170
	v_or_b32_e32 v171, 6, v170
	;; [unrolled: 1-line block ×3, first 2 shown]
	scratch_store_b32 off, v0, off          ; 4-byte Folded Spill
	v_lshrrev_b32_e32 v0, 16, v15
	scratch_store_b32 off, v0, off offset:4 ; 4-byte Folded Spill
	s_and_saveexec_b32 s20, vcc_lo
	s_cbranch_execz .LBB366_31
; %bb.30:                               ;   in Loop: Header=BB366_29 Depth=1
	scratch_load_b32 v0, off, off offset:24 ; 4-byte Folded Reload
	v_cmp_gt_i32_e64 s0, s17, v170
	s_wait_loadcnt 0x0
	s_wait_alu 0xf1ff
	s_delay_alu instid0(VALU_DEP_1)
	v_cndmask_b32_e64 v0, 0, v0, s0
	v_cmp_gt_i32_e64 s0, s17, v176
	scratch_store_b32 off, v0, off offset:24 ; 4-byte Folded Spill
	scratch_load_b32 v0, off, off offset:28 ; 4-byte Folded Reload
	s_wait_loadcnt 0x0
	s_wait_alu 0xf1ff
	v_cndmask_b32_e64 v0, 0, v0, s0
	v_cmp_gt_i32_e64 s0, s17, v175
	scratch_store_b32 off, v0, off offset:28 ; 4-byte Folded Spill
	scratch_load_b32 v0, off, off offset:16 ; 4-byte Folded Reload
	s_wait_loadcnt 0x0
	s_wait_alu 0xf1ff
	v_cndmask_b32_e64 v0, 0, v0, s0
	v_cmp_gt_i32_e64 s0, s17, v174
	scratch_store_b32 off, v0, off offset:16 ; 4-byte Folded Spill
	scratch_load_b32 v0, off, off offset:20 ; 4-byte Folded Reload
	s_wait_loadcnt 0x0
	s_wait_alu 0xf1ff
	v_cndmask_b32_e64 v0, 0, v0, s0
	v_cmp_gt_i32_e64 s0, s17, v173
	scratch_store_b32 off, v0, off offset:20 ; 4-byte Folded Spill
	scratch_load_b32 v0, off, off offset:8  ; 4-byte Folded Reload
	s_wait_loadcnt 0x0
	s_wait_alu 0xf1ff
	v_cndmask_b32_e64 v0, 0, v0, s0
	v_cmp_gt_i32_e64 s0, s17, v172
	scratch_store_b32 off, v0, off offset:8 ; 4-byte Folded Spill
	scratch_load_b32 v0, off, off offset:12 ; 4-byte Folded Reload
	s_wait_loadcnt 0x0
	s_wait_alu 0xf1ff
	v_cndmask_b32_e64 v0, 0, v0, s0
	v_cmp_gt_i32_e64 s0, s17, v171
	scratch_store_b32 off, v0, off offset:12 ; 4-byte Folded Spill
	scratch_load_b32 v0, off, off           ; 4-byte Folded Reload
	s_wait_loadcnt 0x0
	s_wait_alu 0xf1ff
	v_cndmask_b32_e64 v0, 0, v0, s0
	v_cmp_gt_i32_e64 s0, s17, v177
	scratch_store_b32 off, v0, off          ; 4-byte Folded Spill
	scratch_load_b32 v0, off, off offset:4  ; 4-byte Folded Reload
	s_wait_loadcnt 0x0
	s_wait_alu 0xf1ff
	v_cndmask_b32_e64 v0, 0, v0, s0
	scratch_store_b32 off, v0, off offset:4 ; 4-byte Folded Spill
.LBB366_31:                             ;   in Loop: Header=BB366_29 Depth=1
	s_or_b32 exec_lo, exec_lo, s20
	global_load_b64 v[14:15], v[12:13], off offset:256
	s_wait_loadcnt 0x0
	v_bfe_u32 v9, v14, 8, 8
	v_bfe_u32 v16, v14, 16, 8
	;; [unrolled: 1-line block ×4, first 2 shown]
	s_delay_alu instid0(VALU_DEP_4)
	v_cvt_f32_fp8_e32 v9, v9
	v_and_b32_e32 v0, 0xff, v14
	v_lshrrev_b32_e32 v14, 24, v14
	v_cvt_f32_fp8_e32 v16, v16
	v_cvt_f32_fp8_e32 v51, v51
	v_mul_f32_e32 v9, s10, v9
	v_cvt_f32_fp8_e32 v0, v0
	v_and_b32_e32 v17, 0xff, v15
	v_cvt_f32_fp8_e32 v14, v14
	v_lshrrev_b32_e32 v15, 24, v15
	v_bfe_u32 v54, v9, 16, 1
	v_mul_f32_e32 v0, s10, v0
	v_cvt_f32_fp8_e32 v17, v17
	v_mul_f32_e32 v16, s10, v16
	v_dual_mul_f32 v14, s10, v14 :: v_dual_mul_f32 v51, s10, v51
	s_delay_alu instid0(VALU_DEP_4)
	v_bfe_u32 v52, v0, 16, 1
	v_or_b32_e32 v53, 0x400000, v0
	v_cmp_u_f32_e64 s0, v0, v0
	v_mul_f32_e32 v17, s10, v17
	v_or_b32_e32 v55, 0x400000, v9
	v_add3_u32 v52, v52, v0, 0x7fff
	v_bfe_u32 v56, v16, 16, 1
	v_add3_u32 v54, v54, v9, 0x7fff
	v_cvt_f32_fp8_e32 v50, v50
	v_or_b32_e32 v57, 0x400000, v16
	s_wait_alu 0xf1ff
	v_cndmask_b32_e64 v0, v52, v53, s0
	v_cmp_u_f32_e64 s0, v9, v9
	v_bfe_u32 v58, v14, 16, 1
	v_add3_u32 v56, v56, v16, 0x7fff
	v_cvt_f32_fp8_e32 v15, v15
	v_lshrrev_b32_e32 v0, 16, v0
	s_wait_alu 0xf1ff
	v_cndmask_b32_e64 v9, v54, v55, s0
	v_cmp_u_f32_e64 s0, v16, v16
	v_dual_mul_f32 v50, s10, v50 :: v_dual_mul_f32 v15, s10, v15
	v_or_b32_e32 v59, 0x400000, v14
	v_bfe_u32 v60, v17, 16, 1
	v_add3_u32 v58, v58, v14, 0x7fff
	s_wait_alu 0xf1ff
	v_cndmask_b32_e64 v16, v56, v57, s0
	v_cmp_u_f32_e64 s0, v14, v14
	scratch_store_b32 off, v0, off offset:56 ; 4-byte Folded Spill
	v_lshrrev_b32_e32 v0, 16, v9
	v_or_b32_e32 v61, 0x400000, v17
	v_bfe_u32 v62, v50, 16, 1
	v_add3_u32 v60, v60, v17, 0x7fff
	s_wait_alu 0xf1ff
	v_cndmask_b32_e64 v14, v58, v59, s0
	v_cmp_u_f32_e64 s0, v17, v17
	scratch_store_b32 off, v0, off offset:60 ; 4-byte Folded Spill
	v_lshrrev_b32_e32 v0, 16, v16
	;; [unrolled: 8-line block ×4, first 2 shown]
	v_or_b32_e32 v67, 0x400000, v15
	v_add3_u32 v66, v66, v15, 0x7fff
	s_wait_alu 0xf1ff
	v_cndmask_b32_e64 v51, v64, v65, s0
	v_cmp_u_f32_e64 s0, v15, v15
	scratch_store_b32 off, v0, off offset:40 ; 4-byte Folded Spill
	v_lshrrev_b32_e32 v0, 16, v50
	s_wait_alu 0xf1ff
	v_cndmask_b32_e64 v15, v66, v67, s0
	scratch_store_b32 off, v0, off offset:44 ; 4-byte Folded Spill
	v_lshrrev_b32_e32 v0, 16, v51
	scratch_store_b32 off, v0, off offset:32 ; 4-byte Folded Spill
	v_lshrrev_b32_e32 v0, 16, v15
	scratch_store_b32 off, v0, off offset:36 ; 4-byte Folded Spill
	s_and_saveexec_b32 s20, vcc_lo
	s_cbranch_execz .LBB366_33
; %bb.32:                               ;   in Loop: Header=BB366_29 Depth=1
	scratch_load_b32 v0, off, off offset:56 ; 4-byte Folded Reload
	v_cmp_gt_i32_e64 s0, s17, v170
	s_wait_loadcnt 0x0
	s_wait_alu 0xf1ff
	s_delay_alu instid0(VALU_DEP_1)
	v_cndmask_b32_e64 v0, 0, v0, s0
	v_cmp_gt_i32_e64 s0, s17, v176
	scratch_store_b32 off, v0, off offset:56 ; 4-byte Folded Spill
	scratch_load_b32 v0, off, off offset:60 ; 4-byte Folded Reload
	s_wait_loadcnt 0x0
	s_wait_alu 0xf1ff
	v_cndmask_b32_e64 v0, 0, v0, s0
	v_cmp_gt_i32_e64 s0, s17, v175
	scratch_store_b32 off, v0, off offset:60 ; 4-byte Folded Spill
	scratch_load_b32 v0, off, off offset:48 ; 4-byte Folded Reload
	s_wait_loadcnt 0x0
	s_wait_alu 0xf1ff
	;; [unrolled: 6-line block ×7, first 2 shown]
	v_cndmask_b32_e64 v0, 0, v0, s0
	scratch_store_b32 off, v0, off offset:36 ; 4-byte Folded Spill
.LBB366_33:                             ;   in Loop: Header=BB366_29 Depth=1
	s_or_b32 exec_lo, exec_lo, s20
	global_load_b64 v[14:15], v[12:13], off offset:512
	s_wait_loadcnt 0x0
	v_bfe_u32 v9, v14, 8, 8
	v_bfe_u32 v16, v14, 16, 8
	;; [unrolled: 1-line block ×4, first 2 shown]
	s_delay_alu instid0(VALU_DEP_4)
	v_cvt_f32_fp8_e32 v9, v9
	v_and_b32_e32 v0, 0xff, v14
	v_lshrrev_b32_e32 v14, 24, v14
	v_cvt_f32_fp8_e32 v16, v16
	v_cvt_f32_fp8_e32 v51, v51
	v_mul_f32_e32 v9, s10, v9
	v_cvt_f32_fp8_e32 v0, v0
	v_and_b32_e32 v17, 0xff, v15
	v_cvt_f32_fp8_e32 v14, v14
	v_lshrrev_b32_e32 v15, 24, v15
	v_bfe_u32 v54, v9, 16, 1
	v_mul_f32_e32 v0, s10, v0
	v_cvt_f32_fp8_e32 v17, v17
	v_mul_f32_e32 v16, s10, v16
	v_dual_mul_f32 v14, s10, v14 :: v_dual_mul_f32 v51, s10, v51
	s_delay_alu instid0(VALU_DEP_4)
	v_bfe_u32 v52, v0, 16, 1
	v_or_b32_e32 v53, 0x400000, v0
	v_cmp_u_f32_e64 s0, v0, v0
	v_mul_f32_e32 v17, s10, v17
	v_or_b32_e32 v55, 0x400000, v9
	v_add3_u32 v52, v52, v0, 0x7fff
	v_bfe_u32 v56, v16, 16, 1
	v_add3_u32 v54, v54, v9, 0x7fff
	v_cvt_f32_fp8_e32 v50, v50
	v_or_b32_e32 v57, 0x400000, v16
	s_wait_alu 0xf1ff
	v_cndmask_b32_e64 v0, v52, v53, s0
	v_cmp_u_f32_e64 s0, v9, v9
	v_bfe_u32 v58, v14, 16, 1
	v_add3_u32 v56, v56, v16, 0x7fff
	v_cvt_f32_fp8_e32 v15, v15
	v_lshrrev_b32_e32 v0, 16, v0
	s_wait_alu 0xf1ff
	v_cndmask_b32_e64 v9, v54, v55, s0
	v_cmp_u_f32_e64 s0, v16, v16
	v_dual_mul_f32 v50, s10, v50 :: v_dual_mul_f32 v15, s10, v15
	v_or_b32_e32 v59, 0x400000, v14
	v_bfe_u32 v60, v17, 16, 1
	v_add3_u32 v58, v58, v14, 0x7fff
	s_wait_alu 0xf1ff
	v_cndmask_b32_e64 v16, v56, v57, s0
	v_cmp_u_f32_e64 s0, v14, v14
	scratch_store_b32 off, v0, off offset:88 ; 4-byte Folded Spill
	v_lshrrev_b32_e32 v0, 16, v9
	v_or_b32_e32 v61, 0x400000, v17
	v_bfe_u32 v62, v50, 16, 1
	v_add3_u32 v60, v60, v17, 0x7fff
	s_wait_alu 0xf1ff
	v_cndmask_b32_e64 v14, v58, v59, s0
	v_cmp_u_f32_e64 s0, v17, v17
	scratch_store_b32 off, v0, off offset:92 ; 4-byte Folded Spill
	v_lshrrev_b32_e32 v0, 16, v16
	;; [unrolled: 8-line block ×4, first 2 shown]
	v_or_b32_e32 v67, 0x400000, v15
	v_add3_u32 v66, v66, v15, 0x7fff
	s_wait_alu 0xf1ff
	v_cndmask_b32_e64 v51, v64, v65, s0
	v_cmp_u_f32_e64 s0, v15, v15
	scratch_store_b32 off, v0, off offset:72 ; 4-byte Folded Spill
	v_lshrrev_b32_e32 v0, 16, v50
	s_wait_alu 0xf1ff
	v_cndmask_b32_e64 v15, v66, v67, s0
	scratch_store_b32 off, v0, off offset:76 ; 4-byte Folded Spill
	v_lshrrev_b32_e32 v0, 16, v51
	scratch_store_b32 off, v0, off offset:64 ; 4-byte Folded Spill
	v_lshrrev_b32_e32 v0, 16, v15
	scratch_store_b32 off, v0, off offset:68 ; 4-byte Folded Spill
	s_and_saveexec_b32 s20, vcc_lo
	s_cbranch_execz .LBB366_35
; %bb.34:                               ;   in Loop: Header=BB366_29 Depth=1
	scratch_load_b32 v0, off, off offset:88 ; 4-byte Folded Reload
	v_cmp_gt_i32_e64 s0, s17, v170
	s_wait_loadcnt 0x0
	s_wait_alu 0xf1ff
	s_delay_alu instid0(VALU_DEP_1)
	v_cndmask_b32_e64 v0, 0, v0, s0
	v_cmp_gt_i32_e64 s0, s17, v176
	scratch_store_b32 off, v0, off offset:88 ; 4-byte Folded Spill
	scratch_load_b32 v0, off, off offset:92 ; 4-byte Folded Reload
	s_wait_loadcnt 0x0
	s_wait_alu 0xf1ff
	v_cndmask_b32_e64 v0, 0, v0, s0
	v_cmp_gt_i32_e64 s0, s17, v175
	scratch_store_b32 off, v0, off offset:92 ; 4-byte Folded Spill
	scratch_load_b32 v0, off, off offset:80 ; 4-byte Folded Reload
	s_wait_loadcnt 0x0
	s_wait_alu 0xf1ff
	;; [unrolled: 6-line block ×7, first 2 shown]
	v_cndmask_b32_e64 v0, 0, v0, s0
	scratch_store_b32 off, v0, off offset:68 ; 4-byte Folded Spill
.LBB366_35:                             ;   in Loop: Header=BB366_29 Depth=1
	s_or_b32 exec_lo, exec_lo, s20
	global_load_b64 v[14:15], v[12:13], off offset:768
	s_wait_loadcnt 0x0
	v_bfe_u32 v9, v14, 8, 8
	v_bfe_u32 v16, v14, 16, 8
	;; [unrolled: 1-line block ×4, first 2 shown]
	s_delay_alu instid0(VALU_DEP_4)
	v_cvt_f32_fp8_e32 v9, v9
	v_and_b32_e32 v0, 0xff, v14
	v_lshrrev_b32_e32 v14, 24, v14
	v_cvt_f32_fp8_e32 v16, v16
	v_cvt_f32_fp8_e32 v51, v51
	v_mul_f32_e32 v9, s10, v9
	v_cvt_f32_fp8_e32 v0, v0
	v_and_b32_e32 v17, 0xff, v15
	v_cvt_f32_fp8_e32 v14, v14
	v_lshrrev_b32_e32 v15, 24, v15
	v_bfe_u32 v54, v9, 16, 1
	v_mul_f32_e32 v0, s10, v0
	v_cvt_f32_fp8_e32 v17, v17
	v_mul_f32_e32 v16, s10, v16
	v_dual_mul_f32 v14, s10, v14 :: v_dual_mul_f32 v51, s10, v51
	s_delay_alu instid0(VALU_DEP_4)
	v_bfe_u32 v52, v0, 16, 1
	v_or_b32_e32 v53, 0x400000, v0
	v_cmp_u_f32_e64 s0, v0, v0
	v_mul_f32_e32 v17, s10, v17
	v_or_b32_e32 v55, 0x400000, v9
	v_add3_u32 v52, v52, v0, 0x7fff
	v_bfe_u32 v56, v16, 16, 1
	v_add3_u32 v54, v54, v9, 0x7fff
	v_cvt_f32_fp8_e32 v50, v50
	v_or_b32_e32 v57, 0x400000, v16
	s_wait_alu 0xf1ff
	v_cndmask_b32_e64 v0, v52, v53, s0
	v_cmp_u_f32_e64 s0, v9, v9
	v_bfe_u32 v58, v14, 16, 1
	v_add3_u32 v56, v56, v16, 0x7fff
	v_cvt_f32_fp8_e32 v15, v15
	v_lshrrev_b32_e32 v0, 16, v0
	s_wait_alu 0xf1ff
	v_cndmask_b32_e64 v9, v54, v55, s0
	v_cmp_u_f32_e64 s0, v16, v16
	v_dual_mul_f32 v50, s10, v50 :: v_dual_mul_f32 v15, s10, v15
	v_or_b32_e32 v59, 0x400000, v14
	v_bfe_u32 v60, v17, 16, 1
	v_add3_u32 v58, v58, v14, 0x7fff
	s_wait_alu 0xf1ff
	v_cndmask_b32_e64 v16, v56, v57, s0
	v_cmp_u_f32_e64 s0, v14, v14
	scratch_store_b32 off, v0, off offset:120 ; 4-byte Folded Spill
	v_lshrrev_b32_e32 v0, 16, v9
	v_or_b32_e32 v61, 0x400000, v17
	v_bfe_u32 v62, v50, 16, 1
	v_add3_u32 v60, v60, v17, 0x7fff
	s_wait_alu 0xf1ff
	v_cndmask_b32_e64 v14, v58, v59, s0
	v_cmp_u_f32_e64 s0, v17, v17
	scratch_store_b32 off, v0, off offset:124 ; 4-byte Folded Spill
	v_lshrrev_b32_e32 v0, 16, v16
	;; [unrolled: 8-line block ×4, first 2 shown]
	v_or_b32_e32 v67, 0x400000, v15
	v_add3_u32 v66, v66, v15, 0x7fff
	s_wait_alu 0xf1ff
	v_cndmask_b32_e64 v51, v64, v65, s0
	v_cmp_u_f32_e64 s0, v15, v15
	scratch_store_b32 off, v0, off offset:104 ; 4-byte Folded Spill
	v_lshrrev_b32_e32 v0, 16, v50
	s_wait_alu 0xf1ff
	v_cndmask_b32_e64 v15, v66, v67, s0
	scratch_store_b32 off, v0, off offset:108 ; 4-byte Folded Spill
	v_lshrrev_b32_e32 v0, 16, v51
	scratch_store_b32 off, v0, off offset:96 ; 4-byte Folded Spill
	v_lshrrev_b32_e32 v0, 16, v15
	scratch_store_b32 off, v0, off offset:100 ; 4-byte Folded Spill
	s_and_saveexec_b32 s20, vcc_lo
	s_cbranch_execz .LBB366_37
; %bb.36:                               ;   in Loop: Header=BB366_29 Depth=1
	scratch_load_b32 v0, off, off offset:120 ; 4-byte Folded Reload
	v_cmp_gt_i32_e64 s0, s17, v170
	s_wait_loadcnt 0x0
	s_wait_alu 0xf1ff
	s_delay_alu instid0(VALU_DEP_1)
	v_cndmask_b32_e64 v0, 0, v0, s0
	v_cmp_gt_i32_e64 s0, s17, v176
	scratch_store_b32 off, v0, off offset:120 ; 4-byte Folded Spill
	scratch_load_b32 v0, off, off offset:124 ; 4-byte Folded Reload
	s_wait_loadcnt 0x0
	s_wait_alu 0xf1ff
	v_cndmask_b32_e64 v0, 0, v0, s0
	v_cmp_gt_i32_e64 s0, s17, v175
	scratch_store_b32 off, v0, off offset:124 ; 4-byte Folded Spill
	scratch_load_b32 v0, off, off offset:112 ; 4-byte Folded Reload
	s_wait_loadcnt 0x0
	s_wait_alu 0xf1ff
	;; [unrolled: 6-line block ×7, first 2 shown]
	v_cndmask_b32_e64 v0, 0, v0, s0
	scratch_store_b32 off, v0, off offset:100 ; 4-byte Folded Spill
.LBB366_37:                             ;   in Loop: Header=BB366_29 Depth=1
	s_or_b32 exec_lo, exec_lo, s20
	global_load_b64 v[14:15], v[12:13], off offset:1024
	s_wait_loadcnt 0x0
	v_bfe_u32 v9, v14, 8, 8
	v_bfe_u32 v16, v14, 16, 8
	;; [unrolled: 1-line block ×4, first 2 shown]
	s_delay_alu instid0(VALU_DEP_4)
	v_cvt_f32_fp8_e32 v9, v9
	v_and_b32_e32 v0, 0xff, v14
	v_lshrrev_b32_e32 v14, 24, v14
	v_cvt_f32_fp8_e32 v16, v16
	v_cvt_f32_fp8_e32 v51, v51
	v_mul_f32_e32 v9, s10, v9
	v_cvt_f32_fp8_e32 v0, v0
	v_and_b32_e32 v17, 0xff, v15
	v_cvt_f32_fp8_e32 v14, v14
	v_lshrrev_b32_e32 v15, 24, v15
	v_bfe_u32 v54, v9, 16, 1
	v_mul_f32_e32 v0, s10, v0
	v_cvt_f32_fp8_e32 v17, v17
	v_mul_f32_e32 v16, s10, v16
	v_dual_mul_f32 v14, s10, v14 :: v_dual_mul_f32 v51, s10, v51
	s_delay_alu instid0(VALU_DEP_4)
	v_bfe_u32 v52, v0, 16, 1
	v_or_b32_e32 v53, 0x400000, v0
	v_cmp_u_f32_e64 s0, v0, v0
	v_mul_f32_e32 v17, s10, v17
	v_or_b32_e32 v55, 0x400000, v9
	v_add3_u32 v52, v52, v0, 0x7fff
	v_bfe_u32 v56, v16, 16, 1
	v_add3_u32 v54, v54, v9, 0x7fff
	v_cvt_f32_fp8_e32 v50, v50
	v_or_b32_e32 v57, 0x400000, v16
	s_wait_alu 0xf1ff
	v_cndmask_b32_e64 v0, v52, v53, s0
	v_cmp_u_f32_e64 s0, v9, v9
	v_bfe_u32 v58, v14, 16, 1
	v_add3_u32 v56, v56, v16, 0x7fff
	v_cvt_f32_fp8_e32 v15, v15
	v_lshrrev_b32_e32 v0, 16, v0
	s_wait_alu 0xf1ff
	v_cndmask_b32_e64 v9, v54, v55, s0
	v_cmp_u_f32_e64 s0, v16, v16
	v_dual_mul_f32 v50, s10, v50 :: v_dual_mul_f32 v15, s10, v15
	v_or_b32_e32 v59, 0x400000, v14
	v_bfe_u32 v60, v17, 16, 1
	v_add3_u32 v58, v58, v14, 0x7fff
	s_wait_alu 0xf1ff
	v_cndmask_b32_e64 v16, v56, v57, s0
	v_cmp_u_f32_e64 s0, v14, v14
	scratch_store_b32 off, v0, off offset:152 ; 4-byte Folded Spill
	v_lshrrev_b32_e32 v0, 16, v9
	v_or_b32_e32 v61, 0x400000, v17
	v_bfe_u32 v62, v50, 16, 1
	v_add3_u32 v60, v60, v17, 0x7fff
	s_wait_alu 0xf1ff
	v_cndmask_b32_e64 v14, v58, v59, s0
	v_cmp_u_f32_e64 s0, v17, v17
	scratch_store_b32 off, v0, off offset:156 ; 4-byte Folded Spill
	v_lshrrev_b32_e32 v0, 16, v16
	;; [unrolled: 8-line block ×4, first 2 shown]
	v_or_b32_e32 v67, 0x400000, v15
	v_add3_u32 v66, v66, v15, 0x7fff
	s_wait_alu 0xf1ff
	v_cndmask_b32_e64 v51, v64, v65, s0
	v_cmp_u_f32_e64 s0, v15, v15
	scratch_store_b32 off, v0, off offset:136 ; 4-byte Folded Spill
	v_lshrrev_b32_e32 v0, 16, v50
	s_wait_alu 0xf1ff
	v_cndmask_b32_e64 v15, v66, v67, s0
	scratch_store_b32 off, v0, off offset:140 ; 4-byte Folded Spill
	v_lshrrev_b32_e32 v0, 16, v51
	scratch_store_b32 off, v0, off offset:128 ; 4-byte Folded Spill
	v_lshrrev_b32_e32 v0, 16, v15
	scratch_store_b32 off, v0, off offset:132 ; 4-byte Folded Spill
	s_and_saveexec_b32 s20, vcc_lo
	s_cbranch_execz .LBB366_39
; %bb.38:                               ;   in Loop: Header=BB366_29 Depth=1
	scratch_load_b32 v0, off, off offset:152 ; 4-byte Folded Reload
	v_cmp_gt_i32_e64 s0, s17, v170
	s_wait_loadcnt 0x0
	s_wait_alu 0xf1ff
	s_delay_alu instid0(VALU_DEP_1)
	v_cndmask_b32_e64 v0, 0, v0, s0
	v_cmp_gt_i32_e64 s0, s17, v176
	scratch_store_b32 off, v0, off offset:152 ; 4-byte Folded Spill
	scratch_load_b32 v0, off, off offset:156 ; 4-byte Folded Reload
	s_wait_loadcnt 0x0
	s_wait_alu 0xf1ff
	v_cndmask_b32_e64 v0, 0, v0, s0
	v_cmp_gt_i32_e64 s0, s17, v175
	scratch_store_b32 off, v0, off offset:156 ; 4-byte Folded Spill
	scratch_load_b32 v0, off, off offset:144 ; 4-byte Folded Reload
	s_wait_loadcnt 0x0
	s_wait_alu 0xf1ff
	;; [unrolled: 6-line block ×7, first 2 shown]
	v_cndmask_b32_e64 v0, 0, v0, s0
	scratch_store_b32 off, v0, off offset:132 ; 4-byte Folded Spill
.LBB366_39:                             ;   in Loop: Header=BB366_29 Depth=1
	s_or_b32 exec_lo, exec_lo, s20
	global_load_b64 v[14:15], v[12:13], off offset:1280
	s_wait_loadcnt 0x0
	v_bfe_u32 v9, v14, 8, 8
	v_bfe_u32 v16, v14, 16, 8
	v_bfe_u32 v51, v15, 16, 8
	v_bfe_u32 v50, v15, 8, 8
	s_delay_alu instid0(VALU_DEP_4)
	v_cvt_f32_fp8_e32 v9, v9
	v_and_b32_e32 v0, 0xff, v14
	v_lshrrev_b32_e32 v14, 24, v14
	v_cvt_f32_fp8_e32 v16, v16
	v_cvt_f32_fp8_e32 v51, v51
	v_mul_f32_e32 v9, s10, v9
	v_cvt_f32_fp8_e32 v0, v0
	v_and_b32_e32 v17, 0xff, v15
	v_cvt_f32_fp8_e32 v14, v14
	v_lshrrev_b32_e32 v15, 24, v15
	v_bfe_u32 v54, v9, 16, 1
	v_mul_f32_e32 v0, s10, v0
	v_cvt_f32_fp8_e32 v17, v17
	v_mul_f32_e32 v16, s10, v16
	v_dual_mul_f32 v14, s10, v14 :: v_dual_mul_f32 v51, s10, v51
	s_delay_alu instid0(VALU_DEP_4)
	v_bfe_u32 v52, v0, 16, 1
	v_or_b32_e32 v53, 0x400000, v0
	v_cmp_u_f32_e64 s0, v0, v0
	v_mul_f32_e32 v17, s10, v17
	v_or_b32_e32 v55, 0x400000, v9
	v_add3_u32 v52, v52, v0, 0x7fff
	v_bfe_u32 v56, v16, 16, 1
	v_add3_u32 v54, v54, v9, 0x7fff
	v_cvt_f32_fp8_e32 v50, v50
	v_or_b32_e32 v57, 0x400000, v16
	s_wait_alu 0xf1ff
	v_cndmask_b32_e64 v0, v52, v53, s0
	v_cmp_u_f32_e64 s0, v9, v9
	v_bfe_u32 v58, v14, 16, 1
	v_add3_u32 v56, v56, v16, 0x7fff
	v_cvt_f32_fp8_e32 v15, v15
	v_lshrrev_b32_e32 v0, 16, v0
	s_wait_alu 0xf1ff
	v_cndmask_b32_e64 v9, v54, v55, s0
	v_cmp_u_f32_e64 s0, v16, v16
	v_dual_mul_f32 v50, s10, v50 :: v_dual_mul_f32 v15, s10, v15
	v_or_b32_e32 v59, 0x400000, v14
	v_bfe_u32 v60, v17, 16, 1
	v_add3_u32 v58, v58, v14, 0x7fff
	s_wait_alu 0xf1ff
	v_cndmask_b32_e64 v16, v56, v57, s0
	v_cmp_u_f32_e64 s0, v14, v14
	scratch_store_b32 off, v0, off offset:184 ; 4-byte Folded Spill
	v_lshrrev_b32_e32 v0, 16, v9
	v_or_b32_e32 v61, 0x400000, v17
	v_bfe_u32 v62, v50, 16, 1
	v_add3_u32 v60, v60, v17, 0x7fff
	s_wait_alu 0xf1ff
	v_cndmask_b32_e64 v14, v58, v59, s0
	v_cmp_u_f32_e64 s0, v17, v17
	scratch_store_b32 off, v0, off offset:188 ; 4-byte Folded Spill
	v_lshrrev_b32_e32 v0, 16, v16
	;; [unrolled: 8-line block ×4, first 2 shown]
	v_or_b32_e32 v67, 0x400000, v15
	v_add3_u32 v66, v66, v15, 0x7fff
	s_wait_alu 0xf1ff
	v_cndmask_b32_e64 v51, v64, v65, s0
	v_cmp_u_f32_e64 s0, v15, v15
	scratch_store_b32 off, v0, off offset:168 ; 4-byte Folded Spill
	v_lshrrev_b32_e32 v0, 16, v50
	s_wait_alu 0xf1ff
	v_cndmask_b32_e64 v15, v66, v67, s0
	scratch_store_b32 off, v0, off offset:172 ; 4-byte Folded Spill
	v_lshrrev_b32_e32 v0, 16, v51
	scratch_store_b32 off, v0, off offset:160 ; 4-byte Folded Spill
	v_lshrrev_b32_e32 v0, 16, v15
	scratch_store_b32 off, v0, off offset:164 ; 4-byte Folded Spill
	s_and_saveexec_b32 s20, vcc_lo
	s_cbranch_execz .LBB366_41
; %bb.40:                               ;   in Loop: Header=BB366_29 Depth=1
	scratch_load_b32 v0, off, off offset:184 ; 4-byte Folded Reload
	v_cmp_gt_i32_e64 s0, s17, v170
	s_wait_loadcnt 0x0
	s_wait_alu 0xf1ff
	s_delay_alu instid0(VALU_DEP_1)
	v_cndmask_b32_e64 v0, 0, v0, s0
	v_cmp_gt_i32_e64 s0, s17, v176
	scratch_store_b32 off, v0, off offset:184 ; 4-byte Folded Spill
	scratch_load_b32 v0, off, off offset:188 ; 4-byte Folded Reload
	s_wait_loadcnt 0x0
	s_wait_alu 0xf1ff
	v_cndmask_b32_e64 v0, 0, v0, s0
	v_cmp_gt_i32_e64 s0, s17, v175
	scratch_store_b32 off, v0, off offset:188 ; 4-byte Folded Spill
	scratch_load_b32 v0, off, off offset:176 ; 4-byte Folded Reload
	s_wait_loadcnt 0x0
	s_wait_alu 0xf1ff
	;; [unrolled: 6-line block ×7, first 2 shown]
	v_cndmask_b32_e64 v0, 0, v0, s0
	scratch_store_b32 off, v0, off offset:164 ; 4-byte Folded Spill
.LBB366_41:                             ;   in Loop: Header=BB366_29 Depth=1
	s_or_b32 exec_lo, exec_lo, s20
	global_load_b64 v[14:15], v[12:13], off offset:1536
	s_wait_loadcnt 0x0
	v_bfe_u32 v9, v14, 8, 8
	v_bfe_u32 v16, v14, 16, 8
	;; [unrolled: 1-line block ×4, first 2 shown]
	s_delay_alu instid0(VALU_DEP_4)
	v_cvt_f32_fp8_e32 v9, v9
	v_and_b32_e32 v0, 0xff, v14
	v_lshrrev_b32_e32 v14, 24, v14
	v_cvt_f32_fp8_e32 v16, v16
	v_cvt_f32_fp8_e32 v51, v51
	v_mul_f32_e32 v9, s10, v9
	v_cvt_f32_fp8_e32 v0, v0
	v_and_b32_e32 v17, 0xff, v15
	v_cvt_f32_fp8_e32 v14, v14
	v_lshrrev_b32_e32 v15, 24, v15
	v_bfe_u32 v54, v9, 16, 1
	v_mul_f32_e32 v0, s10, v0
	v_cvt_f32_fp8_e32 v17, v17
	v_mul_f32_e32 v16, s10, v16
	v_dual_mul_f32 v14, s10, v14 :: v_dual_mul_f32 v51, s10, v51
	s_delay_alu instid0(VALU_DEP_4)
	v_bfe_u32 v52, v0, 16, 1
	v_or_b32_e32 v53, 0x400000, v0
	v_cmp_u_f32_e64 s0, v0, v0
	v_mul_f32_e32 v17, s10, v17
	v_or_b32_e32 v55, 0x400000, v9
	v_add3_u32 v52, v52, v0, 0x7fff
	v_bfe_u32 v56, v16, 16, 1
	v_add3_u32 v54, v54, v9, 0x7fff
	v_cvt_f32_fp8_e32 v50, v50
	v_or_b32_e32 v57, 0x400000, v16
	s_wait_alu 0xf1ff
	v_cndmask_b32_e64 v0, v52, v53, s0
	v_cmp_u_f32_e64 s0, v9, v9
	v_bfe_u32 v58, v14, 16, 1
	v_add3_u32 v56, v56, v16, 0x7fff
	v_cvt_f32_fp8_e32 v15, v15
	v_lshrrev_b32_e32 v0, 16, v0
	s_wait_alu 0xf1ff
	v_cndmask_b32_e64 v9, v54, v55, s0
	v_cmp_u_f32_e64 s0, v16, v16
	v_dual_mul_f32 v50, s10, v50 :: v_dual_mul_f32 v15, s10, v15
	v_or_b32_e32 v59, 0x400000, v14
	v_bfe_u32 v60, v17, 16, 1
	v_add3_u32 v58, v58, v14, 0x7fff
	s_wait_alu 0xf1ff
	v_cndmask_b32_e64 v16, v56, v57, s0
	v_cmp_u_f32_e64 s0, v14, v14
	scratch_store_b32 off, v0, off offset:216 ; 4-byte Folded Spill
	v_lshrrev_b32_e32 v0, 16, v9
	v_or_b32_e32 v61, 0x400000, v17
	v_bfe_u32 v62, v50, 16, 1
	v_add3_u32 v60, v60, v17, 0x7fff
	s_wait_alu 0xf1ff
	v_cndmask_b32_e64 v14, v58, v59, s0
	v_cmp_u_f32_e64 s0, v17, v17
	scratch_store_b32 off, v0, off offset:220 ; 4-byte Folded Spill
	v_lshrrev_b32_e32 v0, 16, v16
	;; [unrolled: 8-line block ×4, first 2 shown]
	v_or_b32_e32 v67, 0x400000, v15
	v_add3_u32 v66, v66, v15, 0x7fff
	s_wait_alu 0xf1ff
	v_cndmask_b32_e64 v51, v64, v65, s0
	v_cmp_u_f32_e64 s0, v15, v15
	scratch_store_b32 off, v0, off offset:200 ; 4-byte Folded Spill
	v_lshrrev_b32_e32 v0, 16, v50
	s_wait_alu 0xf1ff
	v_cndmask_b32_e64 v15, v66, v67, s0
	scratch_store_b32 off, v0, off offset:204 ; 4-byte Folded Spill
	v_lshrrev_b32_e32 v0, 16, v51
	scratch_store_b32 off, v0, off offset:192 ; 4-byte Folded Spill
	v_lshrrev_b32_e32 v0, 16, v15
	scratch_store_b32 off, v0, off offset:196 ; 4-byte Folded Spill
	s_and_saveexec_b32 s20, vcc_lo
	s_cbranch_execz .LBB366_43
; %bb.42:                               ;   in Loop: Header=BB366_29 Depth=1
	scratch_load_b32 v0, off, off offset:216 ; 4-byte Folded Reload
	v_cmp_gt_i32_e64 s0, s17, v170
	s_wait_loadcnt 0x0
	s_wait_alu 0xf1ff
	s_delay_alu instid0(VALU_DEP_1)
	v_cndmask_b32_e64 v0, 0, v0, s0
	v_cmp_gt_i32_e64 s0, s17, v176
	scratch_store_b32 off, v0, off offset:216 ; 4-byte Folded Spill
	scratch_load_b32 v0, off, off offset:220 ; 4-byte Folded Reload
	s_wait_loadcnt 0x0
	s_wait_alu 0xf1ff
	v_cndmask_b32_e64 v0, 0, v0, s0
	v_cmp_gt_i32_e64 s0, s17, v175
	scratch_store_b32 off, v0, off offset:220 ; 4-byte Folded Spill
	scratch_load_b32 v0, off, off offset:208 ; 4-byte Folded Reload
	s_wait_loadcnt 0x0
	s_wait_alu 0xf1ff
	v_cndmask_b32_e64 v0, 0, v0, s0
	v_cmp_gt_i32_e64 s0, s17, v174
	scratch_store_b32 off, v0, off offset:208 ; 4-byte Folded Spill
	scratch_load_b32 v0, off, off offset:212 ; 4-byte Folded Reload
	s_wait_loadcnt 0x0
	s_wait_alu 0xf1ff
	v_cndmask_b32_e64 v0, 0, v0, s0
	v_cmp_gt_i32_e64 s0, s17, v173
	scratch_store_b32 off, v0, off offset:212 ; 4-byte Folded Spill
	scratch_load_b32 v0, off, off offset:200 ; 4-byte Folded Reload
	s_wait_loadcnt 0x0
	s_wait_alu 0xf1ff
	v_cndmask_b32_e64 v0, 0, v0, s0
	v_cmp_gt_i32_e64 s0, s17, v172
	scratch_store_b32 off, v0, off offset:200 ; 4-byte Folded Spill
	scratch_load_b32 v0, off, off offset:204 ; 4-byte Folded Reload
	s_wait_loadcnt 0x0
	s_wait_alu 0xf1ff
	v_cndmask_b32_e64 v0, 0, v0, s0
	v_cmp_gt_i32_e64 s0, s17, v171
	scratch_store_b32 off, v0, off offset:204 ; 4-byte Folded Spill
	scratch_load_b32 v0, off, off offset:192 ; 4-byte Folded Reload
	s_wait_loadcnt 0x0
	s_wait_alu 0xf1ff
	v_cndmask_b32_e64 v0, 0, v0, s0
	v_cmp_gt_i32_e64 s0, s17, v177
	scratch_store_b32 off, v0, off offset:192 ; 4-byte Folded Spill
	scratch_load_b32 v0, off, off offset:196 ; 4-byte Folded Reload
	s_wait_loadcnt 0x0
	s_wait_alu 0xf1ff
	v_cndmask_b32_e64 v0, 0, v0, s0
	scratch_store_b32 off, v0, off offset:196 ; 4-byte Folded Spill
.LBB366_43:                             ;   in Loop: Header=BB366_29 Depth=1
	s_or_b32 exec_lo, exec_lo, s20
	global_load_b64 v[14:15], v[12:13], off offset:1792
	s_wait_loadcnt 0x0
	v_bfe_u32 v9, v14, 8, 8
	v_bfe_u32 v16, v14, 16, 8
	;; [unrolled: 1-line block ×4, first 2 shown]
	s_delay_alu instid0(VALU_DEP_4)
	v_cvt_f32_fp8_e32 v9, v9
	v_and_b32_e32 v0, 0xff, v14
	v_lshrrev_b32_e32 v14, 24, v14
	v_cvt_f32_fp8_e32 v16, v16
	v_cvt_f32_fp8_e32 v51, v51
	v_mul_f32_e32 v9, s10, v9
	v_cvt_f32_fp8_e32 v0, v0
	v_and_b32_e32 v17, 0xff, v15
	v_cvt_f32_fp8_e32 v14, v14
	v_lshrrev_b32_e32 v15, 24, v15
	v_bfe_u32 v54, v9, 16, 1
	v_mul_f32_e32 v0, s10, v0
	v_cvt_f32_fp8_e32 v17, v17
	v_mul_f32_e32 v16, s10, v16
	v_dual_mul_f32 v14, s10, v14 :: v_dual_mul_f32 v51, s10, v51
	s_delay_alu instid0(VALU_DEP_4)
	v_bfe_u32 v52, v0, 16, 1
	v_or_b32_e32 v53, 0x400000, v0
	v_cmp_u_f32_e64 s0, v0, v0
	v_mul_f32_e32 v17, s10, v17
	v_or_b32_e32 v55, 0x400000, v9
	v_add3_u32 v52, v52, v0, 0x7fff
	v_bfe_u32 v56, v16, 16, 1
	v_add3_u32 v54, v54, v9, 0x7fff
	v_cvt_f32_fp8_e32 v50, v50
	v_or_b32_e32 v57, 0x400000, v16
	s_wait_alu 0xf1ff
	v_cndmask_b32_e64 v0, v52, v53, s0
	v_cmp_u_f32_e64 s0, v9, v9
	v_bfe_u32 v58, v14, 16, 1
	v_add3_u32 v56, v56, v16, 0x7fff
	v_cvt_f32_fp8_e32 v15, v15
	v_lshrrev_b32_e32 v0, 16, v0
	s_wait_alu 0xf1ff
	v_cndmask_b32_e64 v9, v54, v55, s0
	v_cmp_u_f32_e64 s0, v16, v16
	v_dual_mul_f32 v50, s10, v50 :: v_dual_mul_f32 v15, s10, v15
	v_or_b32_e32 v59, 0x400000, v14
	v_bfe_u32 v60, v17, 16, 1
	v_add3_u32 v58, v58, v14, 0x7fff
	s_wait_alu 0xf1ff
	v_cndmask_b32_e64 v16, v56, v57, s0
	v_cmp_u_f32_e64 s0, v14, v14
	scratch_store_b32 off, v0, off offset:248 ; 4-byte Folded Spill
	v_lshrrev_b32_e32 v0, 16, v9
	v_or_b32_e32 v61, 0x400000, v17
	v_bfe_u32 v62, v50, 16, 1
	v_add3_u32 v60, v60, v17, 0x7fff
	s_wait_alu 0xf1ff
	v_cndmask_b32_e64 v14, v58, v59, s0
	v_cmp_u_f32_e64 s0, v17, v17
	scratch_store_b32 off, v0, off offset:252 ; 4-byte Folded Spill
	v_lshrrev_b32_e32 v0, 16, v16
	;; [unrolled: 8-line block ×4, first 2 shown]
	v_or_b32_e32 v67, 0x400000, v15
	v_add3_u32 v66, v66, v15, 0x7fff
	s_wait_alu 0xf1ff
	v_cndmask_b32_e64 v51, v64, v65, s0
	v_cmp_u_f32_e64 s0, v15, v15
	scratch_store_b32 off, v0, off offset:232 ; 4-byte Folded Spill
	v_lshrrev_b32_e32 v0, 16, v50
	s_wait_alu 0xf1ff
	v_cndmask_b32_e64 v15, v66, v67, s0
	scratch_store_b32 off, v0, off offset:236 ; 4-byte Folded Spill
	v_lshrrev_b32_e32 v0, 16, v51
	scratch_store_b32 off, v0, off offset:224 ; 4-byte Folded Spill
	v_lshrrev_b32_e32 v0, 16, v15
	scratch_store_b32 off, v0, off offset:228 ; 4-byte Folded Spill
	s_and_saveexec_b32 s20, vcc_lo
	s_cbranch_execz .LBB366_45
; %bb.44:                               ;   in Loop: Header=BB366_29 Depth=1
	scratch_load_b32 v0, off, off offset:248 ; 4-byte Folded Reload
	v_cmp_gt_i32_e64 s0, s17, v170
	s_wait_loadcnt 0x0
	s_wait_alu 0xf1ff
	s_delay_alu instid0(VALU_DEP_1)
	v_cndmask_b32_e64 v0, 0, v0, s0
	v_cmp_gt_i32_e64 s0, s17, v176
	scratch_store_b32 off, v0, off offset:248 ; 4-byte Folded Spill
	scratch_load_b32 v0, off, off offset:252 ; 4-byte Folded Reload
	s_wait_loadcnt 0x0
	s_wait_alu 0xf1ff
	v_cndmask_b32_e64 v0, 0, v0, s0
	v_cmp_gt_i32_e64 s0, s17, v175
	scratch_store_b32 off, v0, off offset:252 ; 4-byte Folded Spill
	scratch_load_b32 v0, off, off offset:240 ; 4-byte Folded Reload
	s_wait_loadcnt 0x0
	s_wait_alu 0xf1ff
	;; [unrolled: 6-line block ×7, first 2 shown]
	v_cndmask_b32_e64 v0, 0, v0, s0
	scratch_store_b32 off, v0, off offset:228 ; 4-byte Folded Spill
.LBB366_45:                             ;   in Loop: Header=BB366_29 Depth=1
	s_or_b32 exec_lo, exec_lo, s20
	global_load_b64 v[14:15], v[12:13], off offset:2048
	s_wait_loadcnt 0x0
	v_bfe_u32 v9, v14, 8, 8
	v_bfe_u32 v16, v14, 16, 8
	;; [unrolled: 1-line block ×4, first 2 shown]
	s_delay_alu instid0(VALU_DEP_4)
	v_cvt_f32_fp8_e32 v9, v9
	v_and_b32_e32 v0, 0xff, v14
	v_lshrrev_b32_e32 v14, 24, v14
	v_cvt_f32_fp8_e32 v16, v16
	v_cvt_f32_fp8_e32 v51, v51
	v_mul_f32_e32 v9, s10, v9
	v_cvt_f32_fp8_e32 v0, v0
	v_and_b32_e32 v17, 0xff, v15
	v_cvt_f32_fp8_e32 v14, v14
	v_lshrrev_b32_e32 v15, 24, v15
	v_bfe_u32 v54, v9, 16, 1
	v_mul_f32_e32 v0, s10, v0
	v_cvt_f32_fp8_e32 v17, v17
	v_mul_f32_e32 v16, s10, v16
	v_dual_mul_f32 v14, s10, v14 :: v_dual_mul_f32 v51, s10, v51
	s_delay_alu instid0(VALU_DEP_4)
	v_bfe_u32 v52, v0, 16, 1
	v_or_b32_e32 v53, 0x400000, v0
	v_cmp_u_f32_e64 s0, v0, v0
	v_mul_f32_e32 v17, s10, v17
	v_or_b32_e32 v55, 0x400000, v9
	v_add3_u32 v52, v52, v0, 0x7fff
	v_bfe_u32 v56, v16, 16, 1
	v_add3_u32 v54, v54, v9, 0x7fff
	v_cvt_f32_fp8_e32 v50, v50
	v_or_b32_e32 v57, 0x400000, v16
	s_wait_alu 0xf1ff
	v_cndmask_b32_e64 v0, v52, v53, s0
	v_cmp_u_f32_e64 s0, v9, v9
	v_bfe_u32 v58, v14, 16, 1
	v_add3_u32 v56, v56, v16, 0x7fff
	v_cvt_f32_fp8_e32 v15, v15
	v_lshrrev_b32_e32 v0, 16, v0
	s_wait_alu 0xf1ff
	v_cndmask_b32_e64 v9, v54, v55, s0
	v_cmp_u_f32_e64 s0, v16, v16
	v_dual_mul_f32 v50, s10, v50 :: v_dual_mul_f32 v15, s10, v15
	v_or_b32_e32 v59, 0x400000, v14
	v_bfe_u32 v60, v17, 16, 1
	v_add3_u32 v58, v58, v14, 0x7fff
	s_wait_alu 0xf1ff
	v_cndmask_b32_e64 v16, v56, v57, s0
	v_cmp_u_f32_e64 s0, v14, v14
	scratch_store_b32 off, v0, off offset:280 ; 4-byte Folded Spill
	v_lshrrev_b32_e32 v0, 16, v9
	v_or_b32_e32 v61, 0x400000, v17
	v_bfe_u32 v62, v50, 16, 1
	v_add3_u32 v60, v60, v17, 0x7fff
	s_wait_alu 0xf1ff
	v_cndmask_b32_e64 v14, v58, v59, s0
	v_cmp_u_f32_e64 s0, v17, v17
	scratch_store_b32 off, v0, off offset:284 ; 4-byte Folded Spill
	v_lshrrev_b32_e32 v0, 16, v16
	;; [unrolled: 8-line block ×4, first 2 shown]
	v_or_b32_e32 v67, 0x400000, v15
	v_add3_u32 v66, v66, v15, 0x7fff
	s_wait_alu 0xf1ff
	v_cndmask_b32_e64 v51, v64, v65, s0
	v_cmp_u_f32_e64 s0, v15, v15
	scratch_store_b32 off, v0, off offset:264 ; 4-byte Folded Spill
	v_lshrrev_b32_e32 v0, 16, v50
	s_wait_alu 0xf1ff
	v_cndmask_b32_e64 v15, v66, v67, s0
	scratch_store_b32 off, v0, off offset:268 ; 4-byte Folded Spill
	v_lshrrev_b32_e32 v0, 16, v51
	scratch_store_b32 off, v0, off offset:256 ; 4-byte Folded Spill
	v_lshrrev_b32_e32 v0, 16, v15
	scratch_store_b32 off, v0, off offset:260 ; 4-byte Folded Spill
	s_and_saveexec_b32 s20, vcc_lo
	s_cbranch_execz .LBB366_47
; %bb.46:                               ;   in Loop: Header=BB366_29 Depth=1
	scratch_load_b32 v0, off, off offset:280 ; 4-byte Folded Reload
	v_cmp_gt_i32_e64 s0, s17, v170
	s_wait_loadcnt 0x0
	s_wait_alu 0xf1ff
	s_delay_alu instid0(VALU_DEP_1)
	v_cndmask_b32_e64 v0, 0, v0, s0
	v_cmp_gt_i32_e64 s0, s17, v176
	scratch_store_b32 off, v0, off offset:280 ; 4-byte Folded Spill
	scratch_load_b32 v0, off, off offset:284 ; 4-byte Folded Reload
	s_wait_loadcnt 0x0
	s_wait_alu 0xf1ff
	v_cndmask_b32_e64 v0, 0, v0, s0
	v_cmp_gt_i32_e64 s0, s17, v175
	scratch_store_b32 off, v0, off offset:284 ; 4-byte Folded Spill
	scratch_load_b32 v0, off, off offset:272 ; 4-byte Folded Reload
	s_wait_loadcnt 0x0
	s_wait_alu 0xf1ff
	;; [unrolled: 6-line block ×7, first 2 shown]
	v_cndmask_b32_e64 v0, 0, v0, s0
	scratch_store_b32 off, v0, off offset:260 ; 4-byte Folded Spill
.LBB366_47:                             ;   in Loop: Header=BB366_29 Depth=1
	s_or_b32 exec_lo, exec_lo, s20
	global_load_b64 v[14:15], v[12:13], off offset:2304
	s_wait_loadcnt 0x0
	v_bfe_u32 v9, v14, 8, 8
	v_bfe_u32 v16, v14, 16, 8
	v_bfe_u32 v51, v15, 16, 8
	v_bfe_u32 v50, v15, 8, 8
	s_delay_alu instid0(VALU_DEP_4)
	v_cvt_f32_fp8_e32 v9, v9
	v_and_b32_e32 v0, 0xff, v14
	v_lshrrev_b32_e32 v14, 24, v14
	v_cvt_f32_fp8_e32 v16, v16
	v_cvt_f32_fp8_e32 v51, v51
	v_mul_f32_e32 v9, s10, v9
	v_cvt_f32_fp8_e32 v0, v0
	v_and_b32_e32 v17, 0xff, v15
	v_cvt_f32_fp8_e32 v14, v14
	v_lshrrev_b32_e32 v15, 24, v15
	v_bfe_u32 v54, v9, 16, 1
	v_mul_f32_e32 v0, s10, v0
	v_cvt_f32_fp8_e32 v17, v17
	v_mul_f32_e32 v16, s10, v16
	v_dual_mul_f32 v14, s10, v14 :: v_dual_mul_f32 v51, s10, v51
	s_delay_alu instid0(VALU_DEP_4)
	v_bfe_u32 v52, v0, 16, 1
	v_or_b32_e32 v53, 0x400000, v0
	v_cmp_u_f32_e64 s0, v0, v0
	v_mul_f32_e32 v17, s10, v17
	v_or_b32_e32 v55, 0x400000, v9
	v_add3_u32 v52, v52, v0, 0x7fff
	v_bfe_u32 v56, v16, 16, 1
	v_add3_u32 v54, v54, v9, 0x7fff
	v_cvt_f32_fp8_e32 v50, v50
	v_or_b32_e32 v57, 0x400000, v16
	s_wait_alu 0xf1ff
	v_cndmask_b32_e64 v0, v52, v53, s0
	v_cmp_u_f32_e64 s0, v9, v9
	v_bfe_u32 v58, v14, 16, 1
	v_add3_u32 v56, v56, v16, 0x7fff
	v_cvt_f32_fp8_e32 v15, v15
	v_lshrrev_b32_e32 v0, 16, v0
	s_wait_alu 0xf1ff
	v_cndmask_b32_e64 v9, v54, v55, s0
	v_cmp_u_f32_e64 s0, v16, v16
	v_dual_mul_f32 v50, s10, v50 :: v_dual_mul_f32 v15, s10, v15
	v_or_b32_e32 v59, 0x400000, v14
	v_bfe_u32 v60, v17, 16, 1
	v_add3_u32 v58, v58, v14, 0x7fff
	s_wait_alu 0xf1ff
	v_cndmask_b32_e64 v16, v56, v57, s0
	v_cmp_u_f32_e64 s0, v14, v14
	scratch_store_b32 off, v0, off offset:316 ; 4-byte Folded Spill
	v_lshrrev_b32_e32 v0, 16, v9
	v_or_b32_e32 v61, 0x400000, v17
	v_bfe_u32 v62, v50, 16, 1
	v_add3_u32 v60, v60, v17, 0x7fff
	s_wait_alu 0xf1ff
	v_cndmask_b32_e64 v14, v58, v59, s0
	v_cmp_u_f32_e64 s0, v17, v17
	scratch_store_b32 off, v0, off offset:320 ; 4-byte Folded Spill
	v_lshrrev_b32_e32 v0, 16, v16
	;; [unrolled: 8-line block ×4, first 2 shown]
	v_or_b32_e32 v67, 0x400000, v15
	v_add3_u32 v66, v66, v15, 0x7fff
	s_wait_alu 0xf1ff
	v_cndmask_b32_e64 v51, v64, v65, s0
	v_cmp_u_f32_e64 s0, v15, v15
	scratch_store_b32 off, v0, off offset:296 ; 4-byte Folded Spill
	v_lshrrev_b32_e32 v0, 16, v50
	s_wait_alu 0xf1ff
	v_cndmask_b32_e64 v15, v66, v67, s0
	scratch_store_b32 off, v0, off offset:304 ; 4-byte Folded Spill
	v_lshrrev_b32_e32 v0, 16, v51
	scratch_store_b32 off, v0, off offset:288 ; 4-byte Folded Spill
	v_lshrrev_b32_e32 v0, 16, v15
	scratch_store_b32 off, v0, off offset:292 ; 4-byte Folded Spill
	s_and_saveexec_b32 s20, vcc_lo
	s_cbranch_execz .LBB366_49
; %bb.48:                               ;   in Loop: Header=BB366_29 Depth=1
	scratch_load_b32 v0, off, off offset:316 ; 4-byte Folded Reload
	v_cmp_gt_i32_e64 s0, s17, v170
	s_wait_loadcnt 0x0
	s_wait_alu 0xf1ff
	s_delay_alu instid0(VALU_DEP_1)
	v_cndmask_b32_e64 v0, 0, v0, s0
	v_cmp_gt_i32_e64 s0, s17, v176
	scratch_store_b32 off, v0, off offset:316 ; 4-byte Folded Spill
	scratch_load_b32 v0, off, off offset:320 ; 4-byte Folded Reload
	s_wait_loadcnt 0x0
	s_wait_alu 0xf1ff
	v_cndmask_b32_e64 v0, 0, v0, s0
	v_cmp_gt_i32_e64 s0, s17, v175
	scratch_store_b32 off, v0, off offset:320 ; 4-byte Folded Spill
	scratch_load_b32 v0, off, off offset:308 ; 4-byte Folded Reload
	s_wait_loadcnt 0x0
	s_wait_alu 0xf1ff
	;; [unrolled: 6-line block ×7, first 2 shown]
	v_cndmask_b32_e64 v0, 0, v0, s0
	scratch_store_b32 off, v0, off offset:292 ; 4-byte Folded Spill
.LBB366_49:                             ;   in Loop: Header=BB366_29 Depth=1
	s_or_b32 exec_lo, exec_lo, s20
	global_load_b64 v[14:15], v[12:13], off offset:2560
	s_wait_loadcnt 0x0
	v_bfe_u32 v9, v14, 8, 8
	v_bfe_u32 v16, v14, 16, 8
	;; [unrolled: 1-line block ×4, first 2 shown]
	s_delay_alu instid0(VALU_DEP_4)
	v_cvt_f32_fp8_e32 v9, v9
	v_and_b32_e32 v0, 0xff, v14
	v_lshrrev_b32_e32 v14, 24, v14
	v_cvt_f32_fp8_e32 v16, v16
	v_cvt_f32_fp8_e32 v51, v51
	v_mul_f32_e32 v9, s10, v9
	v_cvt_f32_fp8_e32 v0, v0
	v_and_b32_e32 v17, 0xff, v15
	v_cvt_f32_fp8_e32 v14, v14
	v_lshrrev_b32_e32 v15, 24, v15
	v_bfe_u32 v54, v9, 16, 1
	v_mul_f32_e32 v0, s10, v0
	v_cvt_f32_fp8_e32 v17, v17
	v_mul_f32_e32 v16, s10, v16
	v_dual_mul_f32 v14, s10, v14 :: v_dual_mul_f32 v51, s10, v51
	s_delay_alu instid0(VALU_DEP_4)
	v_bfe_u32 v52, v0, 16, 1
	v_or_b32_e32 v53, 0x400000, v0
	v_cmp_u_f32_e64 s0, v0, v0
	v_mul_f32_e32 v17, s10, v17
	v_or_b32_e32 v55, 0x400000, v9
	v_add3_u32 v52, v52, v0, 0x7fff
	v_bfe_u32 v56, v16, 16, 1
	v_add3_u32 v54, v54, v9, 0x7fff
	v_cvt_f32_fp8_e32 v50, v50
	v_or_b32_e32 v57, 0x400000, v16
	s_wait_alu 0xf1ff
	v_cndmask_b32_e64 v0, v52, v53, s0
	v_cmp_u_f32_e64 s0, v9, v9
	v_bfe_u32 v58, v14, 16, 1
	v_add3_u32 v56, v56, v16, 0x7fff
	v_cvt_f32_fp8_e32 v15, v15
	v_lshrrev_b32_e32 v0, 16, v0
	s_wait_alu 0xf1ff
	v_cndmask_b32_e64 v9, v54, v55, s0
	v_cmp_u_f32_e64 s0, v16, v16
	v_dual_mul_f32 v50, s10, v50 :: v_dual_mul_f32 v15, s10, v15
	v_or_b32_e32 v59, 0x400000, v14
	v_bfe_u32 v60, v17, 16, 1
	v_add3_u32 v58, v58, v14, 0x7fff
	s_wait_alu 0xf1ff
	v_cndmask_b32_e64 v16, v56, v57, s0
	v_cmp_u_f32_e64 s0, v14, v14
	scratch_store_b32 off, v0, off offset:348 ; 4-byte Folded Spill
	v_lshrrev_b32_e32 v0, 16, v9
	v_or_b32_e32 v61, 0x400000, v17
	v_bfe_u32 v62, v50, 16, 1
	v_add3_u32 v60, v60, v17, 0x7fff
	s_wait_alu 0xf1ff
	v_cndmask_b32_e64 v14, v58, v59, s0
	v_cmp_u_f32_e64 s0, v17, v17
	scratch_store_b32 off, v0, off offset:352 ; 4-byte Folded Spill
	v_lshrrev_b32_e32 v0, 16, v16
	v_or_b32_e32 v63, 0x400000, v50
	v_bfe_u32 v64, v51, 16, 1
	v_add3_u32 v62, v62, v50, 0x7fff
	s_wait_alu 0xf1ff
	v_cndmask_b32_e64 v17, v60, v61, s0
	v_cmp_u_f32_e64 s0, v50, v50
	scratch_store_b32 off, v0, off offset:340 ; 4-byte Folded Spill
	v_lshrrev_b32_e32 v0, 16, v14
	v_or_b32_e32 v65, 0x400000, v51
	v_bfe_u32 v66, v15, 16, 1
	v_add3_u32 v64, v64, v51, 0x7fff
	s_wait_alu 0xf1ff
	v_cndmask_b32_e64 v50, v62, v63, s0
	v_cmp_u_f32_e64 s0, v51, v51
	scratch_store_b32 off, v0, off offset:344 ; 4-byte Folded Spill
	v_lshrrev_b32_e32 v0, 16, v17
	v_or_b32_e32 v67, 0x400000, v15
	v_add3_u32 v66, v66, v15, 0x7fff
	s_wait_alu 0xf1ff
	v_cndmask_b32_e64 v51, v64, v65, s0
	v_cmp_u_f32_e64 s0, v15, v15
	scratch_store_b32 off, v0, off offset:332 ; 4-byte Folded Spill
	v_lshrrev_b32_e32 v0, 16, v50
	s_wait_alu 0xf1ff
	v_cndmask_b32_e64 v15, v66, v67, s0
	scratch_store_b32 off, v0, off offset:336 ; 4-byte Folded Spill
	v_lshrrev_b32_e32 v0, 16, v51
	scratch_store_b32 off, v0, off offset:324 ; 4-byte Folded Spill
	v_lshrrev_b32_e32 v0, 16, v15
	scratch_store_b32 off, v0, off offset:328 ; 4-byte Folded Spill
	s_and_saveexec_b32 s20, vcc_lo
	s_cbranch_execz .LBB366_51
; %bb.50:                               ;   in Loop: Header=BB366_29 Depth=1
	scratch_load_b32 v0, off, off offset:348 ; 4-byte Folded Reload
	v_cmp_gt_i32_e64 s0, s17, v170
	s_wait_loadcnt 0x0
	s_wait_alu 0xf1ff
	s_delay_alu instid0(VALU_DEP_1)
	v_cndmask_b32_e64 v0, 0, v0, s0
	v_cmp_gt_i32_e64 s0, s17, v176
	scratch_store_b32 off, v0, off offset:348 ; 4-byte Folded Spill
	scratch_load_b32 v0, off, off offset:352 ; 4-byte Folded Reload
	s_wait_loadcnt 0x0
	s_wait_alu 0xf1ff
	v_cndmask_b32_e64 v0, 0, v0, s0
	v_cmp_gt_i32_e64 s0, s17, v175
	scratch_store_b32 off, v0, off offset:352 ; 4-byte Folded Spill
	scratch_load_b32 v0, off, off offset:340 ; 4-byte Folded Reload
	s_wait_loadcnt 0x0
	s_wait_alu 0xf1ff
	v_cndmask_b32_e64 v0, 0, v0, s0
	v_cmp_gt_i32_e64 s0, s17, v174
	scratch_store_b32 off, v0, off offset:340 ; 4-byte Folded Spill
	scratch_load_b32 v0, off, off offset:344 ; 4-byte Folded Reload
	s_wait_loadcnt 0x0
	s_wait_alu 0xf1ff
	v_cndmask_b32_e64 v0, 0, v0, s0
	v_cmp_gt_i32_e64 s0, s17, v173
	scratch_store_b32 off, v0, off offset:344 ; 4-byte Folded Spill
	scratch_load_b32 v0, off, off offset:332 ; 4-byte Folded Reload
	s_wait_loadcnt 0x0
	s_wait_alu 0xf1ff
	v_cndmask_b32_e64 v0, 0, v0, s0
	v_cmp_gt_i32_e64 s0, s17, v172
	scratch_store_b32 off, v0, off offset:332 ; 4-byte Folded Spill
	scratch_load_b32 v0, off, off offset:336 ; 4-byte Folded Reload
	s_wait_loadcnt 0x0
	s_wait_alu 0xf1ff
	v_cndmask_b32_e64 v0, 0, v0, s0
	v_cmp_gt_i32_e64 s0, s17, v171
	scratch_store_b32 off, v0, off offset:336 ; 4-byte Folded Spill
	scratch_load_b32 v0, off, off offset:324 ; 4-byte Folded Reload
	s_wait_loadcnt 0x0
	s_wait_alu 0xf1ff
	v_cndmask_b32_e64 v0, 0, v0, s0
	v_cmp_gt_i32_e64 s0, s17, v177
	scratch_store_b32 off, v0, off offset:324 ; 4-byte Folded Spill
	scratch_load_b32 v0, off, off offset:328 ; 4-byte Folded Reload
	s_wait_loadcnt 0x0
	s_wait_alu 0xf1ff
	v_cndmask_b32_e64 v0, 0, v0, s0
	scratch_store_b32 off, v0, off offset:328 ; 4-byte Folded Spill
.LBB366_51:                             ;   in Loop: Header=BB366_29 Depth=1
	s_or_b32 exec_lo, exec_lo, s20
	global_load_b64 v[14:15], v[12:13], off offset:2816
	s_wait_loadcnt 0x0
	v_bfe_u32 v9, v14, 8, 8
	v_bfe_u32 v16, v14, 16, 8
	;; [unrolled: 1-line block ×4, first 2 shown]
	s_delay_alu instid0(VALU_DEP_4)
	v_cvt_f32_fp8_e32 v9, v9
	v_and_b32_e32 v0, 0xff, v14
	v_lshrrev_b32_e32 v14, 24, v14
	v_cvt_f32_fp8_e32 v16, v16
	v_cvt_f32_fp8_e32 v51, v51
	v_mul_f32_e32 v9, s10, v9
	v_cvt_f32_fp8_e32 v0, v0
	v_and_b32_e32 v17, 0xff, v15
	v_cvt_f32_fp8_e32 v14, v14
	v_lshrrev_b32_e32 v15, 24, v15
	v_bfe_u32 v54, v9, 16, 1
	v_mul_f32_e32 v0, s10, v0
	v_cvt_f32_fp8_e32 v17, v17
	v_mul_f32_e32 v16, s10, v16
	v_dual_mul_f32 v14, s10, v14 :: v_dual_mul_f32 v51, s10, v51
	s_delay_alu instid0(VALU_DEP_4)
	v_bfe_u32 v52, v0, 16, 1
	v_or_b32_e32 v53, 0x400000, v0
	v_cmp_u_f32_e64 s0, v0, v0
	v_mul_f32_e32 v17, s10, v17
	v_or_b32_e32 v55, 0x400000, v9
	v_add3_u32 v52, v52, v0, 0x7fff
	v_bfe_u32 v56, v16, 16, 1
	v_add3_u32 v54, v54, v9, 0x7fff
	v_cvt_f32_fp8_e32 v50, v50
	v_or_b32_e32 v57, 0x400000, v16
	s_wait_alu 0xf1ff
	v_cndmask_b32_e64 v0, v52, v53, s0
	v_cmp_u_f32_e64 s0, v9, v9
	v_bfe_u32 v58, v14, 16, 1
	v_add3_u32 v56, v56, v16, 0x7fff
	v_cvt_f32_fp8_e32 v15, v15
	v_lshrrev_b32_e32 v0, 16, v0
	s_wait_alu 0xf1ff
	v_cndmask_b32_e64 v9, v54, v55, s0
	v_cmp_u_f32_e64 s0, v16, v16
	v_dual_mul_f32 v50, s10, v50 :: v_dual_mul_f32 v15, s10, v15
	v_or_b32_e32 v59, 0x400000, v14
	v_bfe_u32 v60, v17, 16, 1
	v_add3_u32 v58, v58, v14, 0x7fff
	s_wait_alu 0xf1ff
	v_cndmask_b32_e64 v16, v56, v57, s0
	v_cmp_u_f32_e64 s0, v14, v14
	scratch_store_b32 off, v0, off offset:380 ; 4-byte Folded Spill
	v_lshrrev_b32_e32 v0, 16, v9
	v_or_b32_e32 v61, 0x400000, v17
	v_bfe_u32 v62, v50, 16, 1
	v_add3_u32 v60, v60, v17, 0x7fff
	s_wait_alu 0xf1ff
	v_cndmask_b32_e64 v14, v58, v59, s0
	v_cmp_u_f32_e64 s0, v17, v17
	scratch_store_b32 off, v0, off offset:384 ; 4-byte Folded Spill
	v_lshrrev_b32_e32 v0, 16, v16
	;; [unrolled: 8-line block ×4, first 2 shown]
	v_or_b32_e32 v67, 0x400000, v15
	v_add3_u32 v66, v66, v15, 0x7fff
	s_wait_alu 0xf1ff
	v_cndmask_b32_e64 v51, v64, v65, s0
	v_cmp_u_f32_e64 s0, v15, v15
	scratch_store_b32 off, v0, off offset:364 ; 4-byte Folded Spill
	v_lshrrev_b32_e32 v0, 16, v50
	s_wait_alu 0xf1ff
	v_cndmask_b32_e64 v15, v66, v67, s0
	scratch_store_b32 off, v0, off offset:368 ; 4-byte Folded Spill
	v_lshrrev_b32_e32 v0, 16, v51
	scratch_store_b32 off, v0, off offset:356 ; 4-byte Folded Spill
	v_lshrrev_b32_e32 v0, 16, v15
	scratch_store_b32 off, v0, off offset:360 ; 4-byte Folded Spill
	s_and_saveexec_b32 s20, vcc_lo
	s_cbranch_execz .LBB366_53
; %bb.52:                               ;   in Loop: Header=BB366_29 Depth=1
	scratch_load_b32 v0, off, off offset:380 ; 4-byte Folded Reload
	v_cmp_gt_i32_e64 s0, s17, v170
	s_wait_loadcnt 0x0
	s_wait_alu 0xf1ff
	s_delay_alu instid0(VALU_DEP_1)
	v_cndmask_b32_e64 v0, 0, v0, s0
	v_cmp_gt_i32_e64 s0, s17, v176
	scratch_store_b32 off, v0, off offset:380 ; 4-byte Folded Spill
	scratch_load_b32 v0, off, off offset:384 ; 4-byte Folded Reload
	s_wait_loadcnt 0x0
	s_wait_alu 0xf1ff
	v_cndmask_b32_e64 v0, 0, v0, s0
	v_cmp_gt_i32_e64 s0, s17, v175
	scratch_store_b32 off, v0, off offset:384 ; 4-byte Folded Spill
	scratch_load_b32 v0, off, off offset:372 ; 4-byte Folded Reload
	s_wait_loadcnt 0x0
	s_wait_alu 0xf1ff
	;; [unrolled: 6-line block ×7, first 2 shown]
	v_cndmask_b32_e64 v0, 0, v0, s0
	scratch_store_b32 off, v0, off offset:360 ; 4-byte Folded Spill
.LBB366_53:                             ;   in Loop: Header=BB366_29 Depth=1
	s_or_b32 exec_lo, exec_lo, s20
	global_load_b64 v[14:15], v[12:13], off offset:3072
	s_wait_loadcnt 0x0
	v_bfe_u32 v9, v14, 8, 8
	v_bfe_u32 v16, v14, 16, 8
	v_bfe_u32 v51, v15, 16, 8
	v_bfe_u32 v50, v15, 8, 8
	s_delay_alu instid0(VALU_DEP_4)
	v_cvt_f32_fp8_e32 v9, v9
	v_and_b32_e32 v0, 0xff, v14
	v_lshrrev_b32_e32 v14, 24, v14
	v_cvt_f32_fp8_e32 v16, v16
	v_cvt_f32_fp8_e32 v51, v51
	v_mul_f32_e32 v9, s10, v9
	v_cvt_f32_fp8_e32 v0, v0
	v_and_b32_e32 v17, 0xff, v15
	v_cvt_f32_fp8_e32 v14, v14
	v_lshrrev_b32_e32 v15, 24, v15
	v_bfe_u32 v54, v9, 16, 1
	v_mul_f32_e32 v0, s10, v0
	v_cvt_f32_fp8_e32 v17, v17
	v_mul_f32_e32 v16, s10, v16
	v_dual_mul_f32 v14, s10, v14 :: v_dual_mul_f32 v51, s10, v51
	s_delay_alu instid0(VALU_DEP_4)
	v_bfe_u32 v52, v0, 16, 1
	v_or_b32_e32 v53, 0x400000, v0
	v_cmp_u_f32_e64 s0, v0, v0
	v_mul_f32_e32 v17, s10, v17
	v_or_b32_e32 v55, 0x400000, v9
	v_add3_u32 v52, v52, v0, 0x7fff
	v_bfe_u32 v56, v16, 16, 1
	v_add3_u32 v54, v54, v9, 0x7fff
	v_cvt_f32_fp8_e32 v50, v50
	v_or_b32_e32 v57, 0x400000, v16
	s_wait_alu 0xf1ff
	v_cndmask_b32_e64 v0, v52, v53, s0
	v_cmp_u_f32_e64 s0, v9, v9
	v_bfe_u32 v58, v14, 16, 1
	v_add3_u32 v56, v56, v16, 0x7fff
	v_cvt_f32_fp8_e32 v15, v15
	v_lshrrev_b32_e32 v0, 16, v0
	s_wait_alu 0xf1ff
	v_cndmask_b32_e64 v9, v54, v55, s0
	v_cmp_u_f32_e64 s0, v16, v16
	v_dual_mul_f32 v50, s10, v50 :: v_dual_mul_f32 v15, s10, v15
	v_or_b32_e32 v59, 0x400000, v14
	v_bfe_u32 v60, v17, 16, 1
	v_add3_u32 v58, v58, v14, 0x7fff
	s_wait_alu 0xf1ff
	v_cndmask_b32_e64 v16, v56, v57, s0
	v_cmp_u_f32_e64 s0, v14, v14
	scratch_store_b32 off, v0, off offset:412 ; 4-byte Folded Spill
	v_lshrrev_b32_e32 v0, 16, v9
	v_or_b32_e32 v61, 0x400000, v17
	v_bfe_u32 v62, v50, 16, 1
	v_add3_u32 v60, v60, v17, 0x7fff
	s_wait_alu 0xf1ff
	v_cndmask_b32_e64 v14, v58, v59, s0
	v_cmp_u_f32_e64 s0, v17, v17
	scratch_store_b32 off, v0, off offset:416 ; 4-byte Folded Spill
	v_lshrrev_b32_e32 v0, 16, v16
	v_or_b32_e32 v63, 0x400000, v50
	v_bfe_u32 v64, v51, 16, 1
	v_add3_u32 v62, v62, v50, 0x7fff
	s_wait_alu 0xf1ff
	v_cndmask_b32_e64 v17, v60, v61, s0
	v_cmp_u_f32_e64 s0, v50, v50
	scratch_store_b32 off, v0, off offset:404 ; 4-byte Folded Spill
	v_lshrrev_b32_e32 v0, 16, v14
	v_or_b32_e32 v65, 0x400000, v51
	v_bfe_u32 v66, v15, 16, 1
	v_add3_u32 v64, v64, v51, 0x7fff
	s_wait_alu 0xf1ff
	v_cndmask_b32_e64 v50, v62, v63, s0
	v_cmp_u_f32_e64 s0, v51, v51
	scratch_store_b32 off, v0, off offset:408 ; 4-byte Folded Spill
	v_lshrrev_b32_e32 v0, 16, v17
	v_or_b32_e32 v67, 0x400000, v15
	v_add3_u32 v66, v66, v15, 0x7fff
	s_wait_alu 0xf1ff
	v_cndmask_b32_e64 v51, v64, v65, s0
	v_cmp_u_f32_e64 s0, v15, v15
	scratch_store_b32 off, v0, off offset:396 ; 4-byte Folded Spill
	v_lshrrev_b32_e32 v0, 16, v50
	s_wait_alu 0xf1ff
	v_cndmask_b32_e64 v15, v66, v67, s0
	scratch_store_b32 off, v0, off offset:400 ; 4-byte Folded Spill
	v_lshrrev_b32_e32 v0, 16, v51
	scratch_store_b32 off, v0, off offset:388 ; 4-byte Folded Spill
	v_lshrrev_b32_e32 v0, 16, v15
	scratch_store_b32 off, v0, off offset:392 ; 4-byte Folded Spill
	s_and_saveexec_b32 s20, vcc_lo
	s_cbranch_execz .LBB366_55
; %bb.54:                               ;   in Loop: Header=BB366_29 Depth=1
	scratch_load_b32 v0, off, off offset:412 ; 4-byte Folded Reload
	v_cmp_gt_i32_e64 s0, s17, v170
	s_wait_loadcnt 0x0
	s_wait_alu 0xf1ff
	s_delay_alu instid0(VALU_DEP_1)
	v_cndmask_b32_e64 v0, 0, v0, s0
	v_cmp_gt_i32_e64 s0, s17, v176
	scratch_store_b32 off, v0, off offset:412 ; 4-byte Folded Spill
	scratch_load_b32 v0, off, off offset:416 ; 4-byte Folded Reload
	s_wait_loadcnt 0x0
	s_wait_alu 0xf1ff
	v_cndmask_b32_e64 v0, 0, v0, s0
	v_cmp_gt_i32_e64 s0, s17, v175
	scratch_store_b32 off, v0, off offset:416 ; 4-byte Folded Spill
	scratch_load_b32 v0, off, off offset:404 ; 4-byte Folded Reload
	s_wait_loadcnt 0x0
	s_wait_alu 0xf1ff
	;; [unrolled: 6-line block ×7, first 2 shown]
	v_cndmask_b32_e64 v0, 0, v0, s0
	scratch_store_b32 off, v0, off offset:392 ; 4-byte Folded Spill
.LBB366_55:                             ;   in Loop: Header=BB366_29 Depth=1
	s_or_b32 exec_lo, exec_lo, s20
	global_load_b64 v[14:15], v[12:13], off offset:3328
	s_wait_loadcnt 0x0
	v_bfe_u32 v9, v14, 8, 8
	v_bfe_u32 v16, v14, 16, 8
	;; [unrolled: 1-line block ×4, first 2 shown]
	s_delay_alu instid0(VALU_DEP_4)
	v_cvt_f32_fp8_e32 v9, v9
	v_and_b32_e32 v0, 0xff, v14
	v_lshrrev_b32_e32 v14, 24, v14
	v_cvt_f32_fp8_e32 v16, v16
	v_cvt_f32_fp8_e32 v51, v51
	v_mul_f32_e32 v9, s10, v9
	v_cvt_f32_fp8_e32 v0, v0
	v_and_b32_e32 v17, 0xff, v15
	v_cvt_f32_fp8_e32 v14, v14
	v_lshrrev_b32_e32 v15, 24, v15
	v_bfe_u32 v54, v9, 16, 1
	v_mul_f32_e32 v0, s10, v0
	v_cvt_f32_fp8_e32 v17, v17
	v_mul_f32_e32 v16, s10, v16
	v_dual_mul_f32 v14, s10, v14 :: v_dual_mul_f32 v51, s10, v51
	s_delay_alu instid0(VALU_DEP_4)
	v_bfe_u32 v52, v0, 16, 1
	v_or_b32_e32 v53, 0x400000, v0
	v_cmp_u_f32_e64 s0, v0, v0
	v_mul_f32_e32 v17, s10, v17
	v_or_b32_e32 v55, 0x400000, v9
	v_add3_u32 v52, v52, v0, 0x7fff
	v_bfe_u32 v56, v16, 16, 1
	v_add3_u32 v54, v54, v9, 0x7fff
	v_cvt_f32_fp8_e32 v50, v50
	v_or_b32_e32 v57, 0x400000, v16
	s_wait_alu 0xf1ff
	v_cndmask_b32_e64 v0, v52, v53, s0
	v_cmp_u_f32_e64 s0, v9, v9
	v_bfe_u32 v58, v14, 16, 1
	v_add3_u32 v56, v56, v16, 0x7fff
	v_cvt_f32_fp8_e32 v15, v15
	v_lshrrev_b32_e32 v0, 16, v0
	s_wait_alu 0xf1ff
	v_cndmask_b32_e64 v9, v54, v55, s0
	v_cmp_u_f32_e64 s0, v16, v16
	v_dual_mul_f32 v50, s10, v50 :: v_dual_mul_f32 v15, s10, v15
	v_or_b32_e32 v59, 0x400000, v14
	v_bfe_u32 v60, v17, 16, 1
	v_add3_u32 v58, v58, v14, 0x7fff
	s_wait_alu 0xf1ff
	v_cndmask_b32_e64 v16, v56, v57, s0
	v_cmp_u_f32_e64 s0, v14, v14
	scratch_store_b32 off, v0, off offset:444 ; 4-byte Folded Spill
	v_lshrrev_b32_e32 v0, 16, v9
	v_or_b32_e32 v61, 0x400000, v17
	v_bfe_u32 v62, v50, 16, 1
	v_add3_u32 v60, v60, v17, 0x7fff
	s_wait_alu 0xf1ff
	v_cndmask_b32_e64 v14, v58, v59, s0
	v_cmp_u_f32_e64 s0, v17, v17
	scratch_store_b32 off, v0, off offset:448 ; 4-byte Folded Spill
	v_lshrrev_b32_e32 v0, 16, v16
	;; [unrolled: 8-line block ×4, first 2 shown]
	v_or_b32_e32 v67, 0x400000, v15
	v_add3_u32 v66, v66, v15, 0x7fff
	s_wait_alu 0xf1ff
	v_cndmask_b32_e64 v51, v64, v65, s0
	v_cmp_u_f32_e64 s0, v15, v15
	scratch_store_b32 off, v0, off offset:428 ; 4-byte Folded Spill
	v_lshrrev_b32_e32 v0, 16, v50
	s_wait_alu 0xf1ff
	v_cndmask_b32_e64 v15, v66, v67, s0
	scratch_store_b32 off, v0, off offset:432 ; 4-byte Folded Spill
	v_lshrrev_b32_e32 v0, 16, v51
	scratch_store_b32 off, v0, off offset:420 ; 4-byte Folded Spill
	v_lshrrev_b32_e32 v0, 16, v15
	scratch_store_b32 off, v0, off offset:424 ; 4-byte Folded Spill
	s_and_saveexec_b32 s20, vcc_lo
	s_cbranch_execz .LBB366_57
; %bb.56:                               ;   in Loop: Header=BB366_29 Depth=1
	scratch_load_b32 v0, off, off offset:444 ; 4-byte Folded Reload
	v_cmp_gt_i32_e64 s0, s17, v170
	s_wait_loadcnt 0x0
	s_wait_alu 0xf1ff
	s_delay_alu instid0(VALU_DEP_1)
	v_cndmask_b32_e64 v0, 0, v0, s0
	v_cmp_gt_i32_e64 s0, s17, v176
	scratch_store_b32 off, v0, off offset:444 ; 4-byte Folded Spill
	scratch_load_b32 v0, off, off offset:448 ; 4-byte Folded Reload
	s_wait_loadcnt 0x0
	s_wait_alu 0xf1ff
	v_cndmask_b32_e64 v0, 0, v0, s0
	v_cmp_gt_i32_e64 s0, s17, v175
	scratch_store_b32 off, v0, off offset:448 ; 4-byte Folded Spill
	scratch_load_b32 v0, off, off offset:436 ; 4-byte Folded Reload
	s_wait_loadcnt 0x0
	s_wait_alu 0xf1ff
	;; [unrolled: 6-line block ×7, first 2 shown]
	v_cndmask_b32_e64 v0, 0, v0, s0
	scratch_store_b32 off, v0, off offset:424 ; 4-byte Folded Spill
.LBB366_57:                             ;   in Loop: Header=BB366_29 Depth=1
	s_or_b32 exec_lo, exec_lo, s20
	global_load_b64 v[14:15], v[12:13], off offset:3584
	s_wait_loadcnt 0x0
	v_and_b32_e32 v0, 0xff, v14
	s_delay_alu instid0(VALU_DEP_1) | instskip(NEXT) | instid1(VALU_DEP_1)
	v_cvt_f32_fp8_e32 v0, v0
	v_mul_f32_e32 v0, s10, v0
	s_delay_alu instid0(VALU_DEP_1) | instskip(SKIP_2) | instid1(VALU_DEP_3)
	v_bfe_u32 v9, v0, 16, 1
	v_or_b32_e32 v16, 0x400000, v0
	v_cmp_u_f32_e64 s0, v0, v0
	v_add3_u32 v9, v9, v0, 0x7fff
	s_wait_alu 0xf1ff
	s_delay_alu instid0(VALU_DEP_1) | instskip(NEXT) | instid1(VALU_DEP_1)
	v_cndmask_b32_e64 v0, v9, v16, s0
	v_lshrrev_b32_e32 v0, 16, v0
	scratch_store_b32 off, v0, off offset:452 ; 4-byte Folded Spill
	v_bfe_u32 v0, v14, 8, 8
	s_delay_alu instid0(VALU_DEP_1) | instskip(NEXT) | instid1(VALU_DEP_1)
	v_cvt_f32_fp8_e32 v0, v0
	v_mul_f32_e32 v0, s10, v0
	s_delay_alu instid0(VALU_DEP_1) | instskip(SKIP_2) | instid1(VALU_DEP_3)
	v_bfe_u32 v9, v0, 16, 1
	v_or_b32_e32 v16, 0x400000, v0
	v_cmp_u_f32_e64 s0, v0, v0
	v_add3_u32 v9, v9, v0, 0x7fff
	s_wait_alu 0xf1ff
	s_delay_alu instid0(VALU_DEP_1) | instskip(NEXT) | instid1(VALU_DEP_1)
	v_cndmask_b32_e64 v0, v9, v16, s0
	v_lshrrev_b32_e32 v0, 16, v0
	scratch_store_b32 off, v0, off offset:460 ; 4-byte Folded Spill
	v_bfe_u32 v0, v14, 16, 8
	s_delay_alu instid0(VALU_DEP_1) | instskip(NEXT) | instid1(VALU_DEP_1)
	v_cvt_f32_fp8_e32 v0, v0
	v_mul_f32_e32 v0, s10, v0
	s_delay_alu instid0(VALU_DEP_1) | instskip(SKIP_2) | instid1(VALU_DEP_3)
	v_bfe_u32 v9, v0, 16, 1
	v_or_b32_e32 v16, 0x400000, v0
	v_cmp_u_f32_e64 s0, v0, v0
	v_add3_u32 v9, v9, v0, 0x7fff
	s_wait_alu 0xf1ff
	s_delay_alu instid0(VALU_DEP_1) | instskip(NEXT) | instid1(VALU_DEP_1)
	v_cndmask_b32_e64 v0, v9, v16, s0
	v_lshrrev_b32_e32 v0, 16, v0
	scratch_store_b32 off, v0, off offset:456 ; 4-byte Folded Spill
	v_lshrrev_b32_e32 v0, 24, v14
	s_delay_alu instid0(VALU_DEP_1) | instskip(NEXT) | instid1(VALU_DEP_1)
	v_cvt_f32_fp8_e32 v0, v0
	v_mul_f32_e32 v0, s10, v0
	s_delay_alu instid0(VALU_DEP_1) | instskip(SKIP_2) | instid1(VALU_DEP_3)
	v_bfe_u32 v9, v0, 16, 1
	v_or_b32_e32 v14, 0x400000, v0
	v_cmp_u_f32_e64 s0, v0, v0
	v_add3_u32 v9, v9, v0, 0x7fff
	s_wait_alu 0xf1ff
	s_delay_alu instid0(VALU_DEP_1) | instskip(NEXT) | instid1(VALU_DEP_1)
	v_cndmask_b32_e64 v0, v9, v14, s0
	v_lshrrev_b32_e32 v165, 16, v0
	v_and_b32_e32 v0, 0xff, v15
	s_delay_alu instid0(VALU_DEP_1) | instskip(NEXT) | instid1(VALU_DEP_1)
	v_cvt_f32_fp8_e32 v0, v0
	v_mul_f32_e32 v0, s10, v0
	s_delay_alu instid0(VALU_DEP_1) | instskip(SKIP_2) | instid1(VALU_DEP_3)
	v_bfe_u32 v9, v0, 16, 1
	v_or_b32_e32 v14, 0x400000, v0
	v_cmp_u_f32_e64 s0, v0, v0
	v_add3_u32 v9, v9, v0, 0x7fff
	s_wait_alu 0xf1ff
	s_delay_alu instid0(VALU_DEP_1) | instskip(NEXT) | instid1(VALU_DEP_1)
	v_cndmask_b32_e64 v0, v9, v14, s0
	v_lshrrev_b32_e32 v160, 16, v0
	v_bfe_u32 v0, v15, 8, 8
	s_delay_alu instid0(VALU_DEP_1) | instskip(NEXT) | instid1(VALU_DEP_1)
	v_cvt_f32_fp8_e32 v0, v0
	v_mul_f32_e32 v0, s10, v0
	s_delay_alu instid0(VALU_DEP_1) | instskip(SKIP_2) | instid1(VALU_DEP_3)
	v_bfe_u32 v9, v0, 16, 1
	v_or_b32_e32 v14, 0x400000, v0
	v_cmp_u_f32_e64 s0, v0, v0
	v_add3_u32 v9, v9, v0, 0x7fff
	s_wait_alu 0xf1ff
	s_delay_alu instid0(VALU_DEP_1) | instskip(NEXT) | instid1(VALU_DEP_1)
	v_cndmask_b32_e64 v0, v9, v14, s0
	v_lshrrev_b32_e32 v168, 16, v0
	v_bfe_u32 v0, v15, 16, 8
	s_delay_alu instid0(VALU_DEP_1) | instskip(NEXT) | instid1(VALU_DEP_1)
	v_cvt_f32_fp8_e32 v0, v0
	v_mul_f32_e32 v0, s10, v0
	s_delay_alu instid0(VALU_DEP_1) | instskip(SKIP_2) | instid1(VALU_DEP_3)
	v_bfe_u32 v9, v0, 16, 1
	v_or_b32_e32 v14, 0x400000, v0
	v_cmp_u_f32_e64 s0, v0, v0
	v_add3_u32 v9, v9, v0, 0x7fff
	s_wait_alu 0xf1ff
	s_delay_alu instid0(VALU_DEP_1) | instskip(NEXT) | instid1(VALU_DEP_1)
	v_cndmask_b32_e64 v0, v9, v14, s0
	v_lshrrev_b32_e32 v167, 16, v0
	v_lshrrev_b32_e32 v0, 24, v15
	s_delay_alu instid0(VALU_DEP_1) | instskip(NEXT) | instid1(VALU_DEP_1)
	v_cvt_f32_fp8_e32 v0, v0
	v_mul_f32_e32 v0, s10, v0
	s_delay_alu instid0(VALU_DEP_1) | instskip(SKIP_2) | instid1(VALU_DEP_3)
	v_bfe_u32 v9, v0, 16, 1
	v_or_b32_e32 v14, 0x400000, v0
	v_cmp_u_f32_e64 s0, v0, v0
	v_add3_u32 v9, v9, v0, 0x7fff
	s_wait_alu 0xf1ff
	s_delay_alu instid0(VALU_DEP_1) | instskip(NEXT) | instid1(VALU_DEP_1)
	v_cndmask_b32_e64 v0, v9, v14, s0
	v_lshrrev_b32_e32 v169, 16, v0
	s_and_saveexec_b32 s20, vcc_lo
	s_cbranch_execz .LBB366_59
; %bb.58:                               ;   in Loop: Header=BB366_29 Depth=1
	scratch_load_b32 v0, off, off offset:452 ; 4-byte Folded Reload
	v_cmp_gt_i32_e64 s0, s17, v170
	s_wait_loadcnt 0x0
	s_wait_alu 0xf1ff
	s_delay_alu instid0(VALU_DEP_1)
	v_cndmask_b32_e64 v0, 0, v0, s0
	v_cmp_gt_i32_e64 s0, s17, v176
	scratch_store_b32 off, v0, off offset:452 ; 4-byte Folded Spill
	scratch_load_b32 v0, off, off offset:460 ; 4-byte Folded Reload
	s_wait_loadcnt 0x0
	s_wait_alu 0xf1ff
	v_cndmask_b32_e64 v0, 0, v0, s0
	v_cmp_gt_i32_e64 s0, s17, v175
	scratch_store_b32 off, v0, off offset:460 ; 4-byte Folded Spill
	scratch_load_b32 v0, off, off offset:456 ; 4-byte Folded Reload
	s_wait_loadcnt 0x0
	s_wait_alu 0xf1ff
	v_cndmask_b32_e64 v0, 0, v0, s0
	v_cmp_gt_i32_e64 s0, s17, v174
	scratch_store_b32 off, v0, off offset:456 ; 4-byte Folded Spill
	s_wait_alu 0xf1ff
	v_cndmask_b32_e64 v165, 0, v165, s0
	v_cmp_gt_i32_e64 s0, s17, v173
	s_wait_alu 0xf1ff
	s_delay_alu instid0(VALU_DEP_1) | instskip(SKIP_2) | instid1(VALU_DEP_1)
	v_cndmask_b32_e64 v160, 0, v160, s0
	v_cmp_gt_i32_e64 s0, s17, v172
	s_wait_alu 0xf1ff
	v_cndmask_b32_e64 v168, 0, v168, s0
	v_cmp_gt_i32_e64 s0, s17, v171
	s_wait_alu 0xf1ff
	s_delay_alu instid0(VALU_DEP_1) | instskip(SKIP_2) | instid1(VALU_DEP_1)
	v_cndmask_b32_e64 v167, 0, v167, s0
	v_cmp_gt_i32_e64 s0, s17, v177
	s_wait_alu 0xf1ff
	v_cndmask_b32_e64 v169, 0, v169, s0
.LBB366_59:                             ;   in Loop: Header=BB366_29 Depth=1
	s_or_b32 exec_lo, exec_lo, s20
	global_load_b64 v[14:15], v[12:13], off offset:3840
	s_wait_loadcnt 0x0
	v_and_b32_e32 v0, 0xff, v14
	s_delay_alu instid0(VALU_DEP_1) | instskip(NEXT) | instid1(VALU_DEP_1)
	v_cvt_f32_fp8_e32 v0, v0
	v_mul_f32_e32 v0, s10, v0
	s_delay_alu instid0(VALU_DEP_1) | instskip(SKIP_2) | instid1(VALU_DEP_3)
	v_bfe_u32 v9, v0, 16, 1
	v_or_b32_e32 v16, 0x400000, v0
	v_cmp_u_f32_e64 s0, v0, v0
	v_add3_u32 v9, v9, v0, 0x7fff
	s_wait_alu 0xf1ff
	s_delay_alu instid0(VALU_DEP_1) | instskip(NEXT) | instid1(VALU_DEP_1)
	v_cndmask_b32_e64 v0, v9, v16, s0
	v_lshrrev_b32_e32 v178, 16, v0
	v_bfe_u32 v0, v14, 8, 8
	s_delay_alu instid0(VALU_DEP_1) | instskip(NEXT) | instid1(VALU_DEP_1)
	v_cvt_f32_fp8_e32 v0, v0
	v_mul_f32_e32 v0, s10, v0
	s_delay_alu instid0(VALU_DEP_1) | instskip(SKIP_2) | instid1(VALU_DEP_3)
	v_bfe_u32 v9, v0, 16, 1
	v_or_b32_e32 v16, 0x400000, v0
	v_cmp_u_f32_e64 s0, v0, v0
	v_add3_u32 v9, v9, v0, 0x7fff
	s_wait_alu 0xf1ff
	s_delay_alu instid0(VALU_DEP_1) | instskip(NEXT) | instid1(VALU_DEP_1)
	v_cndmask_b32_e64 v0, v9, v16, s0
	v_lshrrev_b32_e32 v180, 16, v0
	v_bfe_u32 v0, v14, 16, 8
	s_delay_alu instid0(VALU_DEP_1) | instskip(NEXT) | instid1(VALU_DEP_1)
	v_cvt_f32_fp8_e32 v0, v0
	v_mul_f32_e32 v0, s10, v0
	s_delay_alu instid0(VALU_DEP_1) | instskip(SKIP_2) | instid1(VALU_DEP_3)
	v_bfe_u32 v9, v0, 16, 1
	v_or_b32_e32 v16, 0x400000, v0
	v_cmp_u_f32_e64 s0, v0, v0
	v_add3_u32 v9, v9, v0, 0x7fff
	s_wait_alu 0xf1ff
	s_delay_alu instid0(VALU_DEP_1) | instskip(NEXT) | instid1(VALU_DEP_1)
	v_cndmask_b32_e64 v0, v9, v16, s0
	v_lshrrev_b32_e32 v179, 16, v0
	v_lshrrev_b32_e32 v0, 24, v14
	s_delay_alu instid0(VALU_DEP_1) | instskip(NEXT) | instid1(VALU_DEP_1)
	v_cvt_f32_fp8_e32 v0, v0
	v_mul_f32_e32 v0, s10, v0
	s_delay_alu instid0(VALU_DEP_1) | instskip(SKIP_2) | instid1(VALU_DEP_3)
	v_bfe_u32 v9, v0, 16, 1
	v_or_b32_e32 v14, 0x400000, v0
	v_cmp_u_f32_e64 s0, v0, v0
	v_add3_u32 v9, v9, v0, 0x7fff
	s_wait_alu 0xf1ff
	s_delay_alu instid0(VALU_DEP_1) | instskip(NEXT) | instid1(VALU_DEP_1)
	v_cndmask_b32_e64 v0, v9, v14, s0
	v_lshrrev_b32_e32 v182, 16, v0
	v_and_b32_e32 v0, 0xff, v15
	s_delay_alu instid0(VALU_DEP_1) | instskip(NEXT) | instid1(VALU_DEP_1)
	v_cvt_f32_fp8_e32 v0, v0
	v_mul_f32_e32 v0, s10, v0
	s_delay_alu instid0(VALU_DEP_1) | instskip(SKIP_2) | instid1(VALU_DEP_3)
	v_bfe_u32 v9, v0, 16, 1
	v_or_b32_e32 v14, 0x400000, v0
	v_cmp_u_f32_e64 s0, v0, v0
	v_add3_u32 v9, v9, v0, 0x7fff
	s_wait_alu 0xf1ff
	s_delay_alu instid0(VALU_DEP_1) | instskip(NEXT) | instid1(VALU_DEP_1)
	v_cndmask_b32_e64 v0, v9, v14, s0
	v_lshrrev_b32_e32 v181, 16, v0
	v_bfe_u32 v0, v15, 8, 8
	s_delay_alu instid0(VALU_DEP_1) | instskip(NEXT) | instid1(VALU_DEP_1)
	v_cvt_f32_fp8_e32 v0, v0
	v_mul_f32_e32 v0, s10, v0
	s_delay_alu instid0(VALU_DEP_1) | instskip(SKIP_2) | instid1(VALU_DEP_3)
	v_bfe_u32 v9, v0, 16, 1
	v_or_b32_e32 v14, 0x400000, v0
	v_cmp_u_f32_e64 s0, v0, v0
	v_add3_u32 v9, v9, v0, 0x7fff
	s_wait_alu 0xf1ff
	s_delay_alu instid0(VALU_DEP_1) | instskip(NEXT) | instid1(VALU_DEP_1)
	v_cndmask_b32_e64 v0, v9, v14, s0
	v_lshrrev_b32_e32 v184, 16, v0
	v_bfe_u32 v0, v15, 16, 8
	s_delay_alu instid0(VALU_DEP_1) | instskip(NEXT) | instid1(VALU_DEP_1)
	v_cvt_f32_fp8_e32 v0, v0
	v_mul_f32_e32 v0, s10, v0
	s_delay_alu instid0(VALU_DEP_1) | instskip(SKIP_2) | instid1(VALU_DEP_3)
	v_bfe_u32 v9, v0, 16, 1
	v_or_b32_e32 v14, 0x400000, v0
	v_cmp_u_f32_e64 s0, v0, v0
	v_add3_u32 v9, v9, v0, 0x7fff
	s_wait_alu 0xf1ff
	s_delay_alu instid0(VALU_DEP_1) | instskip(NEXT) | instid1(VALU_DEP_1)
	v_cndmask_b32_e64 v0, v9, v14, s0
	v_lshrrev_b32_e32 v183, 16, v0
	v_lshrrev_b32_e32 v0, 24, v15
	s_delay_alu instid0(VALU_DEP_1) | instskip(NEXT) | instid1(VALU_DEP_1)
	v_cvt_f32_fp8_e32 v0, v0
	v_mul_f32_e32 v0, s10, v0
	s_delay_alu instid0(VALU_DEP_1) | instskip(SKIP_2) | instid1(VALU_DEP_3)
	v_bfe_u32 v9, v0, 16, 1
	v_or_b32_e32 v14, 0x400000, v0
	v_cmp_u_f32_e64 s0, v0, v0
	v_add3_u32 v9, v9, v0, 0x7fff
	s_wait_alu 0xf1ff
	s_delay_alu instid0(VALU_DEP_1) | instskip(NEXT) | instid1(VALU_DEP_1)
	v_cndmask_b32_e64 v0, v9, v14, s0
	v_lshrrev_b32_e32 v185, 16, v0
	s_and_saveexec_b32 s20, vcc_lo
	s_cbranch_execz .LBB366_61
; %bb.60:                               ;   in Loop: Header=BB366_29 Depth=1
	v_cmp_gt_i32_e64 s0, s17, v170
	s_wait_alu 0xf1ff
	s_delay_alu instid0(VALU_DEP_1) | instskip(SKIP_2) | instid1(VALU_DEP_1)
	v_cndmask_b32_e64 v178, 0, v178, s0
	v_cmp_gt_i32_e64 s0, s17, v176
	s_wait_alu 0xf1ff
	v_cndmask_b32_e64 v180, 0, v180, s0
	v_cmp_gt_i32_e64 s0, s17, v175
	s_wait_alu 0xf1ff
	s_delay_alu instid0(VALU_DEP_1) | instskip(SKIP_2) | instid1(VALU_DEP_1)
	v_cndmask_b32_e64 v179, 0, v179, s0
	v_cmp_gt_i32_e64 s0, s17, v174
	s_wait_alu 0xf1ff
	v_cndmask_b32_e64 v182, 0, v182, s0
	;; [unrolled: 7-line block ×4, first 2 shown]
.LBB366_61:                             ;   in Loop: Header=BB366_29 Depth=1
	s_or_b32 exec_lo, exec_lo, s20
	global_load_b64 v[14:15], v[12:13], off offset:4096
	s_wait_loadcnt 0x0
	v_and_b32_e32 v0, 0xff, v14
	s_delay_alu instid0(VALU_DEP_1) | instskip(NEXT) | instid1(VALU_DEP_1)
	v_cvt_f32_fp8_e32 v0, v0
	v_mul_f32_e32 v0, s10, v0
	s_delay_alu instid0(VALU_DEP_1) | instskip(SKIP_2) | instid1(VALU_DEP_3)
	v_bfe_u32 v9, v0, 16, 1
	v_or_b32_e32 v16, 0x400000, v0
	v_cmp_u_f32_e64 s0, v0, v0
	v_add3_u32 v9, v9, v0, 0x7fff
	s_wait_alu 0xf1ff
	s_delay_alu instid0(VALU_DEP_1) | instskip(NEXT) | instid1(VALU_DEP_1)
	v_cndmask_b32_e64 v0, v9, v16, s0
	v_lshrrev_b32_e32 v186, 16, v0
	v_bfe_u32 v0, v14, 8, 8
	s_delay_alu instid0(VALU_DEP_1) | instskip(NEXT) | instid1(VALU_DEP_1)
	v_cvt_f32_fp8_e32 v0, v0
	v_mul_f32_e32 v0, s10, v0
	s_delay_alu instid0(VALU_DEP_1) | instskip(SKIP_2) | instid1(VALU_DEP_3)
	v_bfe_u32 v9, v0, 16, 1
	v_or_b32_e32 v16, 0x400000, v0
	v_cmp_u_f32_e64 s0, v0, v0
	v_add3_u32 v9, v9, v0, 0x7fff
	s_wait_alu 0xf1ff
	s_delay_alu instid0(VALU_DEP_1) | instskip(NEXT) | instid1(VALU_DEP_1)
	v_cndmask_b32_e64 v0, v9, v16, s0
	v_lshrrev_b32_e32 v187, 16, v0
	v_bfe_u32 v0, v14, 16, 8
	s_delay_alu instid0(VALU_DEP_1) | instskip(NEXT) | instid1(VALU_DEP_1)
	v_cvt_f32_fp8_e32 v0, v0
	v_mul_f32_e32 v0, s10, v0
	s_delay_alu instid0(VALU_DEP_1) | instskip(SKIP_2) | instid1(VALU_DEP_3)
	v_bfe_u32 v9, v0, 16, 1
	v_or_b32_e32 v16, 0x400000, v0
	v_cmp_u_f32_e64 s0, v0, v0
	v_add3_u32 v9, v9, v0, 0x7fff
	s_wait_alu 0xf1ff
	s_delay_alu instid0(VALU_DEP_1) | instskip(NEXT) | instid1(VALU_DEP_1)
	v_cndmask_b32_e64 v0, v9, v16, s0
	v_lshrrev_b32_e32 v188, 16, v0
	v_lshrrev_b32_e32 v0, 24, v14
	s_delay_alu instid0(VALU_DEP_1) | instskip(NEXT) | instid1(VALU_DEP_1)
	v_cvt_f32_fp8_e32 v0, v0
	v_mul_f32_e32 v0, s10, v0
	s_delay_alu instid0(VALU_DEP_1) | instskip(SKIP_2) | instid1(VALU_DEP_3)
	v_bfe_u32 v9, v0, 16, 1
	v_or_b32_e32 v14, 0x400000, v0
	v_cmp_u_f32_e64 s0, v0, v0
	v_add3_u32 v9, v9, v0, 0x7fff
	s_wait_alu 0xf1ff
	s_delay_alu instid0(VALU_DEP_1) | instskip(NEXT) | instid1(VALU_DEP_1)
	v_cndmask_b32_e64 v0, v9, v14, s0
	v_lshrrev_b32_e32 v189, 16, v0
	v_and_b32_e32 v0, 0xff, v15
	s_delay_alu instid0(VALU_DEP_1) | instskip(NEXT) | instid1(VALU_DEP_1)
	v_cvt_f32_fp8_e32 v0, v0
	v_mul_f32_e32 v0, s10, v0
	s_delay_alu instid0(VALU_DEP_1) | instskip(SKIP_2) | instid1(VALU_DEP_3)
	v_bfe_u32 v9, v0, 16, 1
	v_or_b32_e32 v14, 0x400000, v0
	v_cmp_u_f32_e64 s0, v0, v0
	v_add3_u32 v9, v9, v0, 0x7fff
	s_wait_alu 0xf1ff
	s_delay_alu instid0(VALU_DEP_1) | instskip(NEXT) | instid1(VALU_DEP_1)
	v_cndmask_b32_e64 v0, v9, v14, s0
	v_lshrrev_b32_e32 v190, 16, v0
	v_bfe_u32 v0, v15, 8, 8
	s_delay_alu instid0(VALU_DEP_1) | instskip(NEXT) | instid1(VALU_DEP_1)
	v_cvt_f32_fp8_e32 v0, v0
	v_mul_f32_e32 v0, s10, v0
	s_delay_alu instid0(VALU_DEP_1) | instskip(SKIP_2) | instid1(VALU_DEP_3)
	v_bfe_u32 v9, v0, 16, 1
	v_or_b32_e32 v14, 0x400000, v0
	v_cmp_u_f32_e64 s0, v0, v0
	v_add3_u32 v9, v9, v0, 0x7fff
	s_wait_alu 0xf1ff
	s_delay_alu instid0(VALU_DEP_1) | instskip(NEXT) | instid1(VALU_DEP_1)
	v_cndmask_b32_e64 v0, v9, v14, s0
	v_lshrrev_b32_e32 v191, 16, v0
	v_bfe_u32 v0, v15, 16, 8
	s_delay_alu instid0(VALU_DEP_1) | instskip(NEXT) | instid1(VALU_DEP_1)
	v_cvt_f32_fp8_e32 v0, v0
	v_mul_f32_e32 v0, s10, v0
	s_delay_alu instid0(VALU_DEP_1) | instskip(SKIP_2) | instid1(VALU_DEP_3)
	v_bfe_u32 v9, v0, 16, 1
	v_or_b32_e32 v14, 0x400000, v0
	v_cmp_u_f32_e64 s0, v0, v0
	v_add3_u32 v9, v9, v0, 0x7fff
	s_wait_alu 0xf1ff
	s_delay_alu instid0(VALU_DEP_1) | instskip(NEXT) | instid1(VALU_DEP_1)
	v_cndmask_b32_e64 v0, v9, v14, s0
	v_lshrrev_b32_e32 v50, 16, v0
	v_lshrrev_b32_e32 v0, 24, v15
	s_delay_alu instid0(VALU_DEP_1) | instskip(NEXT) | instid1(VALU_DEP_1)
	v_cvt_f32_fp8_e32 v0, v0
	v_mul_f32_e32 v0, s10, v0
	s_delay_alu instid0(VALU_DEP_1) | instskip(SKIP_2) | instid1(VALU_DEP_3)
	v_bfe_u32 v9, v0, 16, 1
	v_or_b32_e32 v14, 0x400000, v0
	v_cmp_u_f32_e64 s0, v0, v0
	v_add3_u32 v9, v9, v0, 0x7fff
	s_wait_alu 0xf1ff
	s_delay_alu instid0(VALU_DEP_1) | instskip(NEXT) | instid1(VALU_DEP_1)
	v_cndmask_b32_e64 v0, v9, v14, s0
	v_lshrrev_b32_e32 v51, 16, v0
	s_and_saveexec_b32 s20, vcc_lo
	s_cbranch_execz .LBB366_63
; %bb.62:                               ;   in Loop: Header=BB366_29 Depth=1
	v_cmp_gt_i32_e64 s0, s17, v170
	s_wait_alu 0xf1ff
	s_delay_alu instid0(VALU_DEP_1) | instskip(SKIP_2) | instid1(VALU_DEP_1)
	v_cndmask_b32_e64 v186, 0, v186, s0
	v_cmp_gt_i32_e64 s0, s17, v176
	s_wait_alu 0xf1ff
	v_cndmask_b32_e64 v187, 0, v187, s0
	v_cmp_gt_i32_e64 s0, s17, v175
	s_wait_alu 0xf1ff
	s_delay_alu instid0(VALU_DEP_1) | instskip(SKIP_2) | instid1(VALU_DEP_1)
	v_cndmask_b32_e64 v188, 0, v188, s0
	v_cmp_gt_i32_e64 s0, s17, v174
	s_wait_alu 0xf1ff
	v_cndmask_b32_e64 v189, 0, v189, s0
	;; [unrolled: 7-line block ×4, first 2 shown]
.LBB366_63:                             ;   in Loop: Header=BB366_29 Depth=1
	s_or_b32 exec_lo, exec_lo, s20
	global_load_b64 v[14:15], v[12:13], off offset:4352
	s_wait_loadcnt 0x0
	v_and_b32_e32 v0, 0xff, v14
	s_delay_alu instid0(VALU_DEP_1) | instskip(NEXT) | instid1(VALU_DEP_1)
	v_cvt_f32_fp8_e32 v0, v0
	v_mul_f32_e32 v0, s10, v0
	s_delay_alu instid0(VALU_DEP_1) | instskip(SKIP_2) | instid1(VALU_DEP_3)
	v_bfe_u32 v9, v0, 16, 1
	v_or_b32_e32 v16, 0x400000, v0
	v_cmp_u_f32_e64 s0, v0, v0
	v_add3_u32 v9, v9, v0, 0x7fff
	s_wait_alu 0xf1ff
	s_delay_alu instid0(VALU_DEP_1) | instskip(NEXT) | instid1(VALU_DEP_1)
	v_cndmask_b32_e64 v0, v9, v16, s0
	v_lshrrev_b32_e32 v52, 16, v0
	v_bfe_u32 v0, v14, 8, 8
	s_delay_alu instid0(VALU_DEP_1) | instskip(NEXT) | instid1(VALU_DEP_1)
	v_cvt_f32_fp8_e32 v0, v0
	v_mul_f32_e32 v0, s10, v0
	s_delay_alu instid0(VALU_DEP_1) | instskip(SKIP_2) | instid1(VALU_DEP_3)
	v_bfe_u32 v9, v0, 16, 1
	v_or_b32_e32 v16, 0x400000, v0
	v_cmp_u_f32_e64 s0, v0, v0
	v_add3_u32 v9, v9, v0, 0x7fff
	s_wait_alu 0xf1ff
	s_delay_alu instid0(VALU_DEP_1) | instskip(NEXT) | instid1(VALU_DEP_1)
	v_cndmask_b32_e64 v0, v9, v16, s0
	v_lshrrev_b32_e32 v16, 16, v0
	v_bfe_u32 v0, v14, 16, 8
	s_delay_alu instid0(VALU_DEP_1) | instskip(NEXT) | instid1(VALU_DEP_1)
	v_cvt_f32_fp8_e32 v0, v0
	v_mul_f32_e32 v0, s10, v0
	s_delay_alu instid0(VALU_DEP_1) | instskip(SKIP_2) | instid1(VALU_DEP_3)
	v_bfe_u32 v9, v0, 16, 1
	v_or_b32_e32 v17, 0x400000, v0
	v_cmp_u_f32_e64 s0, v0, v0
	v_add3_u32 v9, v9, v0, 0x7fff
	s_wait_alu 0xf1ff
	s_delay_alu instid0(VALU_DEP_1) | instskip(NEXT) | instid1(VALU_DEP_1)
	v_cndmask_b32_e64 v0, v9, v17, s0
	v_lshrrev_b32_e32 v17, 16, v0
	v_lshrrev_b32_e32 v0, 24, v14
	s_delay_alu instid0(VALU_DEP_1) | instskip(NEXT) | instid1(VALU_DEP_1)
	v_cvt_f32_fp8_e32 v0, v0
	v_mul_f32_e32 v0, s10, v0
	s_delay_alu instid0(VALU_DEP_1) | instskip(SKIP_2) | instid1(VALU_DEP_3)
	v_bfe_u32 v9, v0, 16, 1
	v_or_b32_e32 v14, 0x400000, v0
	v_cmp_u_f32_e64 s0, v0, v0
	v_add3_u32 v9, v9, v0, 0x7fff
	s_wait_alu 0xf1ff
	s_delay_alu instid0(VALU_DEP_1) | instskip(NEXT) | instid1(VALU_DEP_1)
	v_cndmask_b32_e64 v0, v9, v14, s0
	v_lshrrev_b32_e32 v53, 16, v0
	v_and_b32_e32 v0, 0xff, v15
	s_delay_alu instid0(VALU_DEP_1) | instskip(NEXT) | instid1(VALU_DEP_1)
	v_cvt_f32_fp8_e32 v0, v0
	v_mul_f32_e32 v0, s10, v0
	s_delay_alu instid0(VALU_DEP_1) | instskip(SKIP_2) | instid1(VALU_DEP_3)
	v_bfe_u32 v9, v0, 16, 1
	v_or_b32_e32 v14, 0x400000, v0
	v_cmp_u_f32_e64 s0, v0, v0
	v_add3_u32 v9, v9, v0, 0x7fff
	s_wait_alu 0xf1ff
	s_delay_alu instid0(VALU_DEP_1) | instskip(NEXT) | instid1(VALU_DEP_1)
	v_cndmask_b32_e64 v0, v9, v14, s0
	v_lshrrev_b32_e32 v54, 16, v0
	v_bfe_u32 v0, v15, 8, 8
	s_delay_alu instid0(VALU_DEP_1) | instskip(NEXT) | instid1(VALU_DEP_1)
	v_cvt_f32_fp8_e32 v0, v0
	v_mul_f32_e32 v0, s10, v0
	s_delay_alu instid0(VALU_DEP_1) | instskip(SKIP_2) | instid1(VALU_DEP_3)
	v_bfe_u32 v9, v0, 16, 1
	v_or_b32_e32 v14, 0x400000, v0
	v_cmp_u_f32_e64 s0, v0, v0
	v_add3_u32 v9, v9, v0, 0x7fff
	s_wait_alu 0xf1ff
	s_delay_alu instid0(VALU_DEP_1) | instskip(NEXT) | instid1(VALU_DEP_1)
	v_cndmask_b32_e64 v0, v9, v14, s0
	v_lshrrev_b32_e32 v55, 16, v0
	v_bfe_u32 v0, v15, 16, 8
	s_delay_alu instid0(VALU_DEP_1) | instskip(NEXT) | instid1(VALU_DEP_1)
	v_cvt_f32_fp8_e32 v0, v0
	v_mul_f32_e32 v0, s10, v0
	s_delay_alu instid0(VALU_DEP_1) | instskip(SKIP_2) | instid1(VALU_DEP_3)
	v_bfe_u32 v9, v0, 16, 1
	v_or_b32_e32 v14, 0x400000, v0
	v_cmp_u_f32_e64 s0, v0, v0
	v_add3_u32 v9, v9, v0, 0x7fff
	s_wait_alu 0xf1ff
	s_delay_alu instid0(VALU_DEP_1) | instskip(NEXT) | instid1(VALU_DEP_1)
	v_cndmask_b32_e64 v0, v9, v14, s0
	v_lshrrev_b32_e32 v56, 16, v0
	v_lshrrev_b32_e32 v0, 24, v15
	s_delay_alu instid0(VALU_DEP_1) | instskip(NEXT) | instid1(VALU_DEP_1)
	v_cvt_f32_fp8_e32 v0, v0
	v_mul_f32_e32 v0, s10, v0
	s_delay_alu instid0(VALU_DEP_1) | instskip(SKIP_2) | instid1(VALU_DEP_3)
	v_bfe_u32 v9, v0, 16, 1
	v_or_b32_e32 v14, 0x400000, v0
	v_cmp_u_f32_e64 s0, v0, v0
	v_add3_u32 v9, v9, v0, 0x7fff
	s_wait_alu 0xf1ff
	s_delay_alu instid0(VALU_DEP_1) | instskip(NEXT) | instid1(VALU_DEP_1)
	v_cndmask_b32_e64 v0, v9, v14, s0
	v_lshrrev_b32_e32 v57, 16, v0
	s_and_saveexec_b32 s20, vcc_lo
	s_cbranch_execz .LBB366_65
; %bb.64:                               ;   in Loop: Header=BB366_29 Depth=1
	v_cmp_gt_i32_e64 s0, s17, v170
	s_wait_alu 0xf1ff
	s_delay_alu instid0(VALU_DEP_1) | instskip(SKIP_2) | instid1(VALU_DEP_1)
	v_cndmask_b32_e64 v52, 0, v52, s0
	v_cmp_gt_i32_e64 s0, s17, v176
	s_wait_alu 0xf1ff
	v_cndmask_b32_e64 v16, 0, v16, s0
	v_cmp_gt_i32_e64 s0, s17, v175
	s_wait_alu 0xf1ff
	s_delay_alu instid0(VALU_DEP_1) | instskip(SKIP_2) | instid1(VALU_DEP_1)
	v_cndmask_b32_e64 v17, 0, v17, s0
	v_cmp_gt_i32_e64 s0, s17, v174
	s_wait_alu 0xf1ff
	v_cndmask_b32_e64 v53, 0, v53, s0
	;; [unrolled: 7-line block ×4, first 2 shown]
.LBB366_65:                             ;   in Loop: Header=BB366_29 Depth=1
	s_or_b32 exec_lo, exec_lo, s20
	global_load_b64 v[14:15], v[12:13], off offset:4608
	s_wait_loadcnt 0x0
	v_and_b32_e32 v0, 0xff, v14
	s_delay_alu instid0(VALU_DEP_1) | instskip(NEXT) | instid1(VALU_DEP_1)
	v_cvt_f32_fp8_e32 v0, v0
	v_mul_f32_e32 v0, s10, v0
	s_delay_alu instid0(VALU_DEP_1) | instskip(SKIP_2) | instid1(VALU_DEP_3)
	v_bfe_u32 v9, v0, 16, 1
	v_or_b32_e32 v58, 0x400000, v0
	v_cmp_u_f32_e64 s0, v0, v0
	v_add3_u32 v9, v9, v0, 0x7fff
	s_wait_alu 0xf1ff
	s_delay_alu instid0(VALU_DEP_1) | instskip(NEXT) | instid1(VALU_DEP_1)
	v_cndmask_b32_e64 v0, v9, v58, s0
	v_lshrrev_b32_e32 v58, 16, v0
	v_bfe_u32 v0, v14, 8, 8
	s_delay_alu instid0(VALU_DEP_1) | instskip(NEXT) | instid1(VALU_DEP_1)
	v_cvt_f32_fp8_e32 v0, v0
	v_mul_f32_e32 v0, s10, v0
	s_delay_alu instid0(VALU_DEP_1) | instskip(SKIP_2) | instid1(VALU_DEP_3)
	v_bfe_u32 v9, v0, 16, 1
	v_or_b32_e32 v59, 0x400000, v0
	v_cmp_u_f32_e64 s0, v0, v0
	v_add3_u32 v9, v9, v0, 0x7fff
	s_wait_alu 0xf1ff
	s_delay_alu instid0(VALU_DEP_1) | instskip(NEXT) | instid1(VALU_DEP_1)
	v_cndmask_b32_e64 v0, v9, v59, s0
	v_lshrrev_b32_e32 v59, 16, v0
	v_bfe_u32 v0, v14, 16, 8
	s_delay_alu instid0(VALU_DEP_1) | instskip(NEXT) | instid1(VALU_DEP_1)
	v_cvt_f32_fp8_e32 v0, v0
	v_mul_f32_e32 v0, s10, v0
	s_delay_alu instid0(VALU_DEP_1) | instskip(SKIP_2) | instid1(VALU_DEP_3)
	v_bfe_u32 v9, v0, 16, 1
	v_or_b32_e32 v60, 0x400000, v0
	v_cmp_u_f32_e64 s0, v0, v0
	v_add3_u32 v9, v9, v0, 0x7fff
	s_wait_alu 0xf1ff
	s_delay_alu instid0(VALU_DEP_1) | instskip(NEXT) | instid1(VALU_DEP_1)
	v_cndmask_b32_e64 v0, v9, v60, s0
	v_lshrrev_b32_e32 v60, 16, v0
	v_lshrrev_b32_e32 v0, 24, v14
	s_delay_alu instid0(VALU_DEP_1) | instskip(NEXT) | instid1(VALU_DEP_1)
	v_cvt_f32_fp8_e32 v0, v0
	v_mul_f32_e32 v0, s10, v0
	s_delay_alu instid0(VALU_DEP_1) | instskip(SKIP_2) | instid1(VALU_DEP_3)
	v_bfe_u32 v9, v0, 16, 1
	v_or_b32_e32 v14, 0x400000, v0
	v_cmp_u_f32_e64 s0, v0, v0
	v_add3_u32 v9, v9, v0, 0x7fff
	s_wait_alu 0xf1ff
	s_delay_alu instid0(VALU_DEP_1) | instskip(NEXT) | instid1(VALU_DEP_1)
	v_cndmask_b32_e64 v0, v9, v14, s0
	v_lshrrev_b32_e32 v61, 16, v0
	v_and_b32_e32 v0, 0xff, v15
	s_delay_alu instid0(VALU_DEP_1) | instskip(NEXT) | instid1(VALU_DEP_1)
	v_cvt_f32_fp8_e32 v0, v0
	v_mul_f32_e32 v0, s10, v0
	s_delay_alu instid0(VALU_DEP_1) | instskip(SKIP_2) | instid1(VALU_DEP_3)
	v_bfe_u32 v9, v0, 16, 1
	v_or_b32_e32 v14, 0x400000, v0
	v_cmp_u_f32_e64 s0, v0, v0
	v_add3_u32 v9, v9, v0, 0x7fff
	s_wait_alu 0xf1ff
	s_delay_alu instid0(VALU_DEP_1) | instskip(NEXT) | instid1(VALU_DEP_1)
	v_cndmask_b32_e64 v0, v9, v14, s0
	v_lshrrev_b32_e32 v62, 16, v0
	v_bfe_u32 v0, v15, 8, 8
	s_delay_alu instid0(VALU_DEP_1) | instskip(NEXT) | instid1(VALU_DEP_1)
	v_cvt_f32_fp8_e32 v0, v0
	v_mul_f32_e32 v0, s10, v0
	s_delay_alu instid0(VALU_DEP_1) | instskip(SKIP_2) | instid1(VALU_DEP_3)
	v_bfe_u32 v9, v0, 16, 1
	v_or_b32_e32 v14, 0x400000, v0
	v_cmp_u_f32_e64 s0, v0, v0
	v_add3_u32 v9, v9, v0, 0x7fff
	s_wait_alu 0xf1ff
	s_delay_alu instid0(VALU_DEP_1) | instskip(NEXT) | instid1(VALU_DEP_1)
	v_cndmask_b32_e64 v0, v9, v14, s0
	v_lshrrev_b32_e32 v63, 16, v0
	v_bfe_u32 v0, v15, 16, 8
	s_delay_alu instid0(VALU_DEP_1) | instskip(NEXT) | instid1(VALU_DEP_1)
	v_cvt_f32_fp8_e32 v0, v0
	v_mul_f32_e32 v0, s10, v0
	s_delay_alu instid0(VALU_DEP_1) | instskip(SKIP_2) | instid1(VALU_DEP_3)
	v_bfe_u32 v9, v0, 16, 1
	v_or_b32_e32 v14, 0x400000, v0
	v_cmp_u_f32_e64 s0, v0, v0
	v_add3_u32 v9, v9, v0, 0x7fff
	s_wait_alu 0xf1ff
	s_delay_alu instid0(VALU_DEP_1) | instskip(NEXT) | instid1(VALU_DEP_1)
	v_cndmask_b32_e64 v0, v9, v14, s0
	v_lshrrev_b32_e32 v64, 16, v0
	v_lshrrev_b32_e32 v0, 24, v15
	s_delay_alu instid0(VALU_DEP_1) | instskip(NEXT) | instid1(VALU_DEP_1)
	v_cvt_f32_fp8_e32 v0, v0
	v_mul_f32_e32 v0, s10, v0
	s_delay_alu instid0(VALU_DEP_1) | instskip(SKIP_2) | instid1(VALU_DEP_3)
	v_bfe_u32 v9, v0, 16, 1
	v_or_b32_e32 v14, 0x400000, v0
	v_cmp_u_f32_e64 s0, v0, v0
	v_add3_u32 v9, v9, v0, 0x7fff
	s_wait_alu 0xf1ff
	s_delay_alu instid0(VALU_DEP_1) | instskip(NEXT) | instid1(VALU_DEP_1)
	v_cndmask_b32_e64 v0, v9, v14, s0
	v_lshrrev_b32_e32 v65, 16, v0
	s_and_saveexec_b32 s20, vcc_lo
	s_cbranch_execz .LBB366_67
; %bb.66:                               ;   in Loop: Header=BB366_29 Depth=1
	v_cmp_gt_i32_e64 s0, s17, v170
	s_wait_alu 0xf1ff
	s_delay_alu instid0(VALU_DEP_1) | instskip(SKIP_2) | instid1(VALU_DEP_1)
	v_cndmask_b32_e64 v58, 0, v58, s0
	v_cmp_gt_i32_e64 s0, s17, v176
	s_wait_alu 0xf1ff
	v_cndmask_b32_e64 v59, 0, v59, s0
	v_cmp_gt_i32_e64 s0, s17, v175
	s_wait_alu 0xf1ff
	s_delay_alu instid0(VALU_DEP_1) | instskip(SKIP_2) | instid1(VALU_DEP_1)
	v_cndmask_b32_e64 v60, 0, v60, s0
	v_cmp_gt_i32_e64 s0, s17, v174
	s_wait_alu 0xf1ff
	v_cndmask_b32_e64 v61, 0, v61, s0
	v_cmp_gt_i32_e64 s0, s17, v173
	s_wait_alu 0xf1ff
	s_delay_alu instid0(VALU_DEP_1) | instskip(SKIP_2) | instid1(VALU_DEP_1)
	v_cndmask_b32_e64 v62, 0, v62, s0
	v_cmp_gt_i32_e64 s0, s17, v172
	s_wait_alu 0xf1ff
	v_cndmask_b32_e64 v63, 0, v63, s0
	v_cmp_gt_i32_e64 s0, s17, v171
	s_wait_alu 0xf1ff
	s_delay_alu instid0(VALU_DEP_1) | instskip(SKIP_2) | instid1(VALU_DEP_1)
	v_cndmask_b32_e64 v64, 0, v64, s0
	v_cmp_gt_i32_e64 s0, s17, v177
	s_wait_alu 0xf1ff
	v_cndmask_b32_e64 v65, 0, v65, s0
.LBB366_67:                             ;   in Loop: Header=BB366_29 Depth=1
	s_or_b32 exec_lo, exec_lo, s20
	global_load_b64 v[14:15], v[12:13], off offset:4864
	s_wait_loadcnt 0x0
	v_and_b32_e32 v0, 0xff, v14
	s_delay_alu instid0(VALU_DEP_1) | instskip(NEXT) | instid1(VALU_DEP_1)
	v_cvt_f32_fp8_e32 v0, v0
	v_mul_f32_e32 v0, s10, v0
	s_delay_alu instid0(VALU_DEP_1) | instskip(SKIP_2) | instid1(VALU_DEP_3)
	v_bfe_u32 v9, v0, 16, 1
	v_or_b32_e32 v66, 0x400000, v0
	v_cmp_u_f32_e64 s0, v0, v0
	v_add3_u32 v9, v9, v0, 0x7fff
	s_wait_alu 0xf1ff
	s_delay_alu instid0(VALU_DEP_1) | instskip(NEXT) | instid1(VALU_DEP_1)
	v_cndmask_b32_e64 v0, v9, v66, s0
	v_lshrrev_b32_e32 v66, 16, v0
	v_bfe_u32 v0, v14, 8, 8
	s_delay_alu instid0(VALU_DEP_1) | instskip(NEXT) | instid1(VALU_DEP_1)
	v_cvt_f32_fp8_e32 v0, v0
	v_mul_f32_e32 v0, s10, v0
	s_delay_alu instid0(VALU_DEP_1) | instskip(SKIP_2) | instid1(VALU_DEP_3)
	v_bfe_u32 v9, v0, 16, 1
	v_or_b32_e32 v67, 0x400000, v0
	v_cmp_u_f32_e64 s0, v0, v0
	v_add3_u32 v9, v9, v0, 0x7fff
	s_wait_alu 0xf1ff
	s_delay_alu instid0(VALU_DEP_1) | instskip(NEXT) | instid1(VALU_DEP_1)
	v_cndmask_b32_e64 v0, v9, v67, s0
	v_lshrrev_b32_e32 v67, 16, v0
	v_bfe_u32 v0, v14, 16, 8
	s_delay_alu instid0(VALU_DEP_1) | instskip(NEXT) | instid1(VALU_DEP_1)
	v_cvt_f32_fp8_e32 v0, v0
	v_mul_f32_e32 v0, s10, v0
	s_delay_alu instid0(VALU_DEP_1) | instskip(SKIP_2) | instid1(VALU_DEP_3)
	v_bfe_u32 v9, v0, 16, 1
	v_or_b32_e32 v68, 0x400000, v0
	v_cmp_u_f32_e64 s0, v0, v0
	v_add3_u32 v9, v9, v0, 0x7fff
	s_wait_alu 0xf1ff
	s_delay_alu instid0(VALU_DEP_1) | instskip(NEXT) | instid1(VALU_DEP_1)
	v_cndmask_b32_e64 v0, v9, v68, s0
	v_lshrrev_b32_e32 v68, 16, v0
	v_lshrrev_b32_e32 v0, 24, v14
	s_delay_alu instid0(VALU_DEP_1) | instskip(NEXT) | instid1(VALU_DEP_1)
	v_cvt_f32_fp8_e32 v0, v0
	v_mul_f32_e32 v0, s10, v0
	s_delay_alu instid0(VALU_DEP_1) | instskip(SKIP_2) | instid1(VALU_DEP_3)
	v_bfe_u32 v9, v0, 16, 1
	v_or_b32_e32 v14, 0x400000, v0
	v_cmp_u_f32_e64 s0, v0, v0
	v_add3_u32 v9, v9, v0, 0x7fff
	s_wait_alu 0xf1ff
	s_delay_alu instid0(VALU_DEP_1) | instskip(NEXT) | instid1(VALU_DEP_1)
	v_cndmask_b32_e64 v0, v9, v14, s0
	v_lshrrev_b32_e32 v69, 16, v0
	v_and_b32_e32 v0, 0xff, v15
	s_delay_alu instid0(VALU_DEP_1) | instskip(NEXT) | instid1(VALU_DEP_1)
	v_cvt_f32_fp8_e32 v0, v0
	v_mul_f32_e32 v0, s10, v0
	s_delay_alu instid0(VALU_DEP_1) | instskip(SKIP_2) | instid1(VALU_DEP_3)
	v_bfe_u32 v9, v0, 16, 1
	v_or_b32_e32 v14, 0x400000, v0
	v_cmp_u_f32_e64 s0, v0, v0
	v_add3_u32 v9, v9, v0, 0x7fff
	s_wait_alu 0xf1ff
	s_delay_alu instid0(VALU_DEP_1) | instskip(NEXT) | instid1(VALU_DEP_1)
	v_cndmask_b32_e64 v0, v9, v14, s0
	v_lshrrev_b32_e32 v70, 16, v0
	v_bfe_u32 v0, v15, 8, 8
	s_delay_alu instid0(VALU_DEP_1) | instskip(NEXT) | instid1(VALU_DEP_1)
	v_cvt_f32_fp8_e32 v0, v0
	v_mul_f32_e32 v0, s10, v0
	s_delay_alu instid0(VALU_DEP_1) | instskip(SKIP_2) | instid1(VALU_DEP_3)
	v_bfe_u32 v9, v0, 16, 1
	v_or_b32_e32 v14, 0x400000, v0
	v_cmp_u_f32_e64 s0, v0, v0
	v_add3_u32 v9, v9, v0, 0x7fff
	s_wait_alu 0xf1ff
	s_delay_alu instid0(VALU_DEP_1) | instskip(NEXT) | instid1(VALU_DEP_1)
	v_cndmask_b32_e64 v0, v9, v14, s0
	v_lshrrev_b32_e32 v71, 16, v0
	v_bfe_u32 v0, v15, 16, 8
	s_delay_alu instid0(VALU_DEP_1) | instskip(NEXT) | instid1(VALU_DEP_1)
	v_cvt_f32_fp8_e32 v0, v0
	v_mul_f32_e32 v0, s10, v0
	s_delay_alu instid0(VALU_DEP_1) | instskip(SKIP_2) | instid1(VALU_DEP_3)
	v_bfe_u32 v9, v0, 16, 1
	v_or_b32_e32 v14, 0x400000, v0
	v_cmp_u_f32_e64 s0, v0, v0
	v_add3_u32 v9, v9, v0, 0x7fff
	s_wait_alu 0xf1ff
	s_delay_alu instid0(VALU_DEP_1) | instskip(NEXT) | instid1(VALU_DEP_1)
	v_cndmask_b32_e64 v0, v9, v14, s0
	v_lshrrev_b32_e32 v72, 16, v0
	v_lshrrev_b32_e32 v0, 24, v15
	s_delay_alu instid0(VALU_DEP_1) | instskip(NEXT) | instid1(VALU_DEP_1)
	v_cvt_f32_fp8_e32 v0, v0
	v_mul_f32_e32 v0, s10, v0
	s_delay_alu instid0(VALU_DEP_1) | instskip(SKIP_2) | instid1(VALU_DEP_3)
	v_bfe_u32 v9, v0, 16, 1
	v_or_b32_e32 v14, 0x400000, v0
	v_cmp_u_f32_e64 s0, v0, v0
	v_add3_u32 v9, v9, v0, 0x7fff
	s_wait_alu 0xf1ff
	s_delay_alu instid0(VALU_DEP_1) | instskip(NEXT) | instid1(VALU_DEP_1)
	v_cndmask_b32_e64 v0, v9, v14, s0
	v_lshrrev_b32_e32 v73, 16, v0
	s_and_saveexec_b32 s20, vcc_lo
	s_cbranch_execz .LBB366_69
; %bb.68:                               ;   in Loop: Header=BB366_29 Depth=1
	v_cmp_gt_i32_e64 s0, s17, v170
	s_wait_alu 0xf1ff
	s_delay_alu instid0(VALU_DEP_1) | instskip(SKIP_2) | instid1(VALU_DEP_1)
	v_cndmask_b32_e64 v66, 0, v66, s0
	v_cmp_gt_i32_e64 s0, s17, v176
	s_wait_alu 0xf1ff
	v_cndmask_b32_e64 v67, 0, v67, s0
	v_cmp_gt_i32_e64 s0, s17, v175
	s_wait_alu 0xf1ff
	s_delay_alu instid0(VALU_DEP_1) | instskip(SKIP_2) | instid1(VALU_DEP_1)
	v_cndmask_b32_e64 v68, 0, v68, s0
	v_cmp_gt_i32_e64 s0, s17, v174
	s_wait_alu 0xf1ff
	v_cndmask_b32_e64 v69, 0, v69, s0
	;; [unrolled: 7-line block ×4, first 2 shown]
.LBB366_69:                             ;   in Loop: Header=BB366_29 Depth=1
	s_or_b32 exec_lo, exec_lo, s20
	global_load_b64 v[14:15], v[12:13], off offset:5120
	s_wait_loadcnt 0x0
	v_and_b32_e32 v0, 0xff, v14
	s_delay_alu instid0(VALU_DEP_1) | instskip(NEXT) | instid1(VALU_DEP_1)
	v_cvt_f32_fp8_e32 v0, v0
	v_mul_f32_e32 v0, s10, v0
	s_delay_alu instid0(VALU_DEP_1) | instskip(SKIP_2) | instid1(VALU_DEP_3)
	v_bfe_u32 v9, v0, 16, 1
	v_or_b32_e32 v74, 0x400000, v0
	v_cmp_u_f32_e64 s0, v0, v0
	v_add3_u32 v9, v9, v0, 0x7fff
	s_wait_alu 0xf1ff
	s_delay_alu instid0(VALU_DEP_1) | instskip(NEXT) | instid1(VALU_DEP_1)
	v_cndmask_b32_e64 v0, v9, v74, s0
	v_lshrrev_b32_e32 v78, 16, v0
	v_bfe_u32 v0, v14, 8, 8
	s_delay_alu instid0(VALU_DEP_1) | instskip(NEXT) | instid1(VALU_DEP_1)
	v_cvt_f32_fp8_e32 v0, v0
	v_mul_f32_e32 v0, s10, v0
	s_delay_alu instid0(VALU_DEP_1) | instskip(SKIP_2) | instid1(VALU_DEP_3)
	v_bfe_u32 v9, v0, 16, 1
	v_or_b32_e32 v74, 0x400000, v0
	v_cmp_u_f32_e64 s0, v0, v0
	v_add3_u32 v9, v9, v0, 0x7fff
	s_wait_alu 0xf1ff
	s_delay_alu instid0(VALU_DEP_1) | instskip(NEXT) | instid1(VALU_DEP_1)
	v_cndmask_b32_e64 v0, v9, v74, s0
	v_lshrrev_b32_e32 v79, 16, v0
	v_bfe_u32 v0, v14, 16, 8
	s_delay_alu instid0(VALU_DEP_1) | instskip(NEXT) | instid1(VALU_DEP_1)
	v_cvt_f32_fp8_e32 v0, v0
	v_mul_f32_e32 v0, s10, v0
	s_delay_alu instid0(VALU_DEP_1) | instskip(SKIP_2) | instid1(VALU_DEP_3)
	v_bfe_u32 v9, v0, 16, 1
	v_or_b32_e32 v74, 0x400000, v0
	v_cmp_u_f32_e64 s0, v0, v0
	v_add3_u32 v9, v9, v0, 0x7fff
	s_wait_alu 0xf1ff
	s_delay_alu instid0(VALU_DEP_1) | instskip(NEXT) | instid1(VALU_DEP_1)
	v_cndmask_b32_e64 v0, v9, v74, s0
	v_lshrrev_b32_e32 v80, 16, v0
	v_lshrrev_b32_e32 v0, 24, v14
	s_delay_alu instid0(VALU_DEP_1) | instskip(NEXT) | instid1(VALU_DEP_1)
	v_cvt_f32_fp8_e32 v0, v0
	v_mul_f32_e32 v0, s10, v0
	s_delay_alu instid0(VALU_DEP_1) | instskip(SKIP_2) | instid1(VALU_DEP_3)
	v_bfe_u32 v9, v0, 16, 1
	v_or_b32_e32 v14, 0x400000, v0
	v_cmp_u_f32_e64 s0, v0, v0
	v_add3_u32 v9, v9, v0, 0x7fff
	s_wait_alu 0xf1ff
	s_delay_alu instid0(VALU_DEP_1) | instskip(NEXT) | instid1(VALU_DEP_1)
	v_cndmask_b32_e64 v0, v9, v14, s0
	v_lshrrev_b32_e32 v81, 16, v0
	v_and_b32_e32 v0, 0xff, v15
	s_delay_alu instid0(VALU_DEP_1) | instskip(NEXT) | instid1(VALU_DEP_1)
	v_cvt_f32_fp8_e32 v0, v0
	v_mul_f32_e32 v0, s10, v0
	s_delay_alu instid0(VALU_DEP_1) | instskip(SKIP_2) | instid1(VALU_DEP_3)
	v_bfe_u32 v9, v0, 16, 1
	v_or_b32_e32 v14, 0x400000, v0
	v_cmp_u_f32_e64 s0, v0, v0
	v_add3_u32 v9, v9, v0, 0x7fff
	s_wait_alu 0xf1ff
	s_delay_alu instid0(VALU_DEP_1) | instskip(NEXT) | instid1(VALU_DEP_1)
	v_cndmask_b32_e64 v0, v9, v14, s0
	v_lshrrev_b32_e32 v82, 16, v0
	v_bfe_u32 v0, v15, 8, 8
	s_delay_alu instid0(VALU_DEP_1) | instskip(NEXT) | instid1(VALU_DEP_1)
	v_cvt_f32_fp8_e32 v0, v0
	v_mul_f32_e32 v0, s10, v0
	s_delay_alu instid0(VALU_DEP_1) | instskip(SKIP_2) | instid1(VALU_DEP_3)
	v_bfe_u32 v9, v0, 16, 1
	v_or_b32_e32 v14, 0x400000, v0
	v_cmp_u_f32_e64 s0, v0, v0
	v_add3_u32 v9, v9, v0, 0x7fff
	s_wait_alu 0xf1ff
	s_delay_alu instid0(VALU_DEP_1) | instskip(NEXT) | instid1(VALU_DEP_1)
	v_cndmask_b32_e64 v0, v9, v14, s0
	v_lshrrev_b32_e32 v83, 16, v0
	v_bfe_u32 v0, v15, 16, 8
	s_delay_alu instid0(VALU_DEP_1) | instskip(NEXT) | instid1(VALU_DEP_1)
	v_cvt_f32_fp8_e32 v0, v0
	v_mul_f32_e32 v0, s10, v0
	s_delay_alu instid0(VALU_DEP_1) | instskip(SKIP_2) | instid1(VALU_DEP_3)
	v_bfe_u32 v9, v0, 16, 1
	v_or_b32_e32 v14, 0x400000, v0
	v_cmp_u_f32_e64 s0, v0, v0
	v_add3_u32 v9, v9, v0, 0x7fff
	s_wait_alu 0xf1ff
	s_delay_alu instid0(VALU_DEP_1) | instskip(NEXT) | instid1(VALU_DEP_1)
	v_cndmask_b32_e64 v0, v9, v14, s0
	v_lshrrev_b32_e32 v84, 16, v0
	v_lshrrev_b32_e32 v0, 24, v15
	s_delay_alu instid0(VALU_DEP_1) | instskip(NEXT) | instid1(VALU_DEP_1)
	v_cvt_f32_fp8_e32 v0, v0
	v_mul_f32_e32 v0, s10, v0
	s_delay_alu instid0(VALU_DEP_1) | instskip(SKIP_2) | instid1(VALU_DEP_3)
	v_bfe_u32 v9, v0, 16, 1
	v_or_b32_e32 v14, 0x400000, v0
	v_cmp_u_f32_e64 s0, v0, v0
	v_add3_u32 v9, v9, v0, 0x7fff
	s_wait_alu 0xf1ff
	s_delay_alu instid0(VALU_DEP_1) | instskip(NEXT) | instid1(VALU_DEP_1)
	v_cndmask_b32_e64 v0, v9, v14, s0
	v_lshrrev_b32_e32 v85, 16, v0
	s_and_saveexec_b32 s20, vcc_lo
	s_cbranch_execz .LBB366_71
; %bb.70:                               ;   in Loop: Header=BB366_29 Depth=1
	v_cmp_gt_i32_e64 s0, s17, v170
	s_wait_alu 0xf1ff
	s_delay_alu instid0(VALU_DEP_1) | instskip(SKIP_2) | instid1(VALU_DEP_1)
	v_cndmask_b32_e64 v78, 0, v78, s0
	v_cmp_gt_i32_e64 s0, s17, v176
	s_wait_alu 0xf1ff
	v_cndmask_b32_e64 v79, 0, v79, s0
	v_cmp_gt_i32_e64 s0, s17, v175
	s_wait_alu 0xf1ff
	s_delay_alu instid0(VALU_DEP_1) | instskip(SKIP_2) | instid1(VALU_DEP_1)
	v_cndmask_b32_e64 v80, 0, v80, s0
	v_cmp_gt_i32_e64 s0, s17, v174
	s_wait_alu 0xf1ff
	v_cndmask_b32_e64 v81, 0, v81, s0
	;; [unrolled: 7-line block ×4, first 2 shown]
.LBB366_71:                             ;   in Loop: Header=BB366_29 Depth=1
	s_or_b32 exec_lo, exec_lo, s20
	global_load_b64 v[14:15], v[12:13], off offset:5376
	s_wait_loadcnt 0x0
	v_and_b32_e32 v0, 0xff, v14
	s_delay_alu instid0(VALU_DEP_1) | instskip(NEXT) | instid1(VALU_DEP_1)
	v_cvt_f32_fp8_e32 v0, v0
	v_mul_f32_e32 v0, s10, v0
	s_delay_alu instid0(VALU_DEP_1) | instskip(SKIP_2) | instid1(VALU_DEP_3)
	v_bfe_u32 v9, v0, 16, 1
	v_or_b32_e32 v74, 0x400000, v0
	v_cmp_u_f32_e64 s0, v0, v0
	v_add3_u32 v9, v9, v0, 0x7fff
	s_wait_alu 0xf1ff
	s_delay_alu instid0(VALU_DEP_1) | instskip(NEXT) | instid1(VALU_DEP_1)
	v_cndmask_b32_e64 v0, v9, v74, s0
	v_lshrrev_b32_e32 v86, 16, v0
	v_bfe_u32 v0, v14, 8, 8
	s_delay_alu instid0(VALU_DEP_1) | instskip(NEXT) | instid1(VALU_DEP_1)
	v_cvt_f32_fp8_e32 v0, v0
	v_mul_f32_e32 v0, s10, v0
	s_delay_alu instid0(VALU_DEP_1) | instskip(SKIP_2) | instid1(VALU_DEP_3)
	v_bfe_u32 v9, v0, 16, 1
	v_or_b32_e32 v74, 0x400000, v0
	v_cmp_u_f32_e64 s0, v0, v0
	v_add3_u32 v9, v9, v0, 0x7fff
	s_wait_alu 0xf1ff
	s_delay_alu instid0(VALU_DEP_1) | instskip(NEXT) | instid1(VALU_DEP_1)
	v_cndmask_b32_e64 v0, v9, v74, s0
	v_lshrrev_b32_e32 v87, 16, v0
	v_bfe_u32 v0, v14, 16, 8
	s_delay_alu instid0(VALU_DEP_1) | instskip(NEXT) | instid1(VALU_DEP_1)
	v_cvt_f32_fp8_e32 v0, v0
	v_mul_f32_e32 v0, s10, v0
	s_delay_alu instid0(VALU_DEP_1) | instskip(SKIP_2) | instid1(VALU_DEP_3)
	v_bfe_u32 v9, v0, 16, 1
	v_or_b32_e32 v74, 0x400000, v0
	v_cmp_u_f32_e64 s0, v0, v0
	v_add3_u32 v9, v9, v0, 0x7fff
	s_wait_alu 0xf1ff
	s_delay_alu instid0(VALU_DEP_1) | instskip(NEXT) | instid1(VALU_DEP_1)
	v_cndmask_b32_e64 v0, v9, v74, s0
	v_lshrrev_b32_e32 v88, 16, v0
	v_lshrrev_b32_e32 v0, 24, v14
	s_delay_alu instid0(VALU_DEP_1) | instskip(NEXT) | instid1(VALU_DEP_1)
	v_cvt_f32_fp8_e32 v0, v0
	v_mul_f32_e32 v0, s10, v0
	s_delay_alu instid0(VALU_DEP_1) | instskip(SKIP_2) | instid1(VALU_DEP_3)
	v_bfe_u32 v9, v0, 16, 1
	v_or_b32_e32 v14, 0x400000, v0
	v_cmp_u_f32_e64 s0, v0, v0
	v_add3_u32 v9, v9, v0, 0x7fff
	s_wait_alu 0xf1ff
	s_delay_alu instid0(VALU_DEP_1) | instskip(NEXT) | instid1(VALU_DEP_1)
	v_cndmask_b32_e64 v0, v9, v14, s0
	v_lshrrev_b32_e32 v89, 16, v0
	v_and_b32_e32 v0, 0xff, v15
	s_delay_alu instid0(VALU_DEP_1) | instskip(NEXT) | instid1(VALU_DEP_1)
	v_cvt_f32_fp8_e32 v0, v0
	v_mul_f32_e32 v0, s10, v0
	s_delay_alu instid0(VALU_DEP_1) | instskip(SKIP_2) | instid1(VALU_DEP_3)
	v_bfe_u32 v9, v0, 16, 1
	v_or_b32_e32 v14, 0x400000, v0
	v_cmp_u_f32_e64 s0, v0, v0
	v_add3_u32 v9, v9, v0, 0x7fff
	s_wait_alu 0xf1ff
	s_delay_alu instid0(VALU_DEP_1) | instskip(NEXT) | instid1(VALU_DEP_1)
	v_cndmask_b32_e64 v0, v9, v14, s0
	v_lshrrev_b32_e32 v90, 16, v0
	v_bfe_u32 v0, v15, 8, 8
	s_delay_alu instid0(VALU_DEP_1) | instskip(NEXT) | instid1(VALU_DEP_1)
	v_cvt_f32_fp8_e32 v0, v0
	v_mul_f32_e32 v0, s10, v0
	s_delay_alu instid0(VALU_DEP_1) | instskip(SKIP_2) | instid1(VALU_DEP_3)
	v_bfe_u32 v9, v0, 16, 1
	v_or_b32_e32 v14, 0x400000, v0
	v_cmp_u_f32_e64 s0, v0, v0
	v_add3_u32 v9, v9, v0, 0x7fff
	s_wait_alu 0xf1ff
	s_delay_alu instid0(VALU_DEP_1) | instskip(NEXT) | instid1(VALU_DEP_1)
	v_cndmask_b32_e64 v0, v9, v14, s0
	v_lshrrev_b32_e32 v91, 16, v0
	v_bfe_u32 v0, v15, 16, 8
	s_delay_alu instid0(VALU_DEP_1) | instskip(NEXT) | instid1(VALU_DEP_1)
	v_cvt_f32_fp8_e32 v0, v0
	v_mul_f32_e32 v0, s10, v0
	s_delay_alu instid0(VALU_DEP_1) | instskip(SKIP_2) | instid1(VALU_DEP_3)
	v_bfe_u32 v9, v0, 16, 1
	v_or_b32_e32 v14, 0x400000, v0
	v_cmp_u_f32_e64 s0, v0, v0
	v_add3_u32 v9, v9, v0, 0x7fff
	s_wait_alu 0xf1ff
	s_delay_alu instid0(VALU_DEP_1) | instskip(NEXT) | instid1(VALU_DEP_1)
	v_cndmask_b32_e64 v0, v9, v14, s0
	v_lshrrev_b32_e32 v92, 16, v0
	v_lshrrev_b32_e32 v0, 24, v15
	s_delay_alu instid0(VALU_DEP_1) | instskip(NEXT) | instid1(VALU_DEP_1)
	v_cvt_f32_fp8_e32 v0, v0
	v_mul_f32_e32 v0, s10, v0
	s_delay_alu instid0(VALU_DEP_1) | instskip(SKIP_2) | instid1(VALU_DEP_3)
	v_bfe_u32 v9, v0, 16, 1
	v_or_b32_e32 v14, 0x400000, v0
	v_cmp_u_f32_e64 s0, v0, v0
	v_add3_u32 v9, v9, v0, 0x7fff
	s_wait_alu 0xf1ff
	s_delay_alu instid0(VALU_DEP_1) | instskip(NEXT) | instid1(VALU_DEP_1)
	v_cndmask_b32_e64 v0, v9, v14, s0
	v_lshrrev_b32_e32 v93, 16, v0
	s_and_saveexec_b32 s20, vcc_lo
	s_cbranch_execz .LBB366_73
; %bb.72:                               ;   in Loop: Header=BB366_29 Depth=1
	v_cmp_gt_i32_e64 s0, s17, v170
	s_wait_alu 0xf1ff
	s_delay_alu instid0(VALU_DEP_1) | instskip(SKIP_2) | instid1(VALU_DEP_1)
	v_cndmask_b32_e64 v86, 0, v86, s0
	v_cmp_gt_i32_e64 s0, s17, v176
	s_wait_alu 0xf1ff
	v_cndmask_b32_e64 v87, 0, v87, s0
	v_cmp_gt_i32_e64 s0, s17, v175
	s_wait_alu 0xf1ff
	s_delay_alu instid0(VALU_DEP_1) | instskip(SKIP_2) | instid1(VALU_DEP_1)
	v_cndmask_b32_e64 v88, 0, v88, s0
	v_cmp_gt_i32_e64 s0, s17, v174
	s_wait_alu 0xf1ff
	v_cndmask_b32_e64 v89, 0, v89, s0
	;; [unrolled: 7-line block ×4, first 2 shown]
.LBB366_73:                             ;   in Loop: Header=BB366_29 Depth=1
	s_or_b32 exec_lo, exec_lo, s20
	global_load_b64 v[14:15], v[12:13], off offset:5632
	s_wait_loadcnt 0x0
	v_and_b32_e32 v0, 0xff, v14
	s_delay_alu instid0(VALU_DEP_1) | instskip(NEXT) | instid1(VALU_DEP_1)
	v_cvt_f32_fp8_e32 v0, v0
	v_mul_f32_e32 v0, s10, v0
	s_delay_alu instid0(VALU_DEP_1) | instskip(SKIP_2) | instid1(VALU_DEP_3)
	v_bfe_u32 v9, v0, 16, 1
	v_or_b32_e32 v74, 0x400000, v0
	v_cmp_u_f32_e64 s0, v0, v0
	v_add3_u32 v9, v9, v0, 0x7fff
	s_wait_alu 0xf1ff
	s_delay_alu instid0(VALU_DEP_1) | instskip(NEXT) | instid1(VALU_DEP_1)
	v_cndmask_b32_e64 v0, v9, v74, s0
	v_lshrrev_b32_e32 v94, 16, v0
	v_bfe_u32 v0, v14, 8, 8
	s_delay_alu instid0(VALU_DEP_1) | instskip(NEXT) | instid1(VALU_DEP_1)
	v_cvt_f32_fp8_e32 v0, v0
	v_mul_f32_e32 v0, s10, v0
	s_delay_alu instid0(VALU_DEP_1) | instskip(SKIP_2) | instid1(VALU_DEP_3)
	v_bfe_u32 v9, v0, 16, 1
	v_or_b32_e32 v74, 0x400000, v0
	v_cmp_u_f32_e64 s0, v0, v0
	v_add3_u32 v9, v9, v0, 0x7fff
	s_wait_alu 0xf1ff
	s_delay_alu instid0(VALU_DEP_1) | instskip(NEXT) | instid1(VALU_DEP_1)
	v_cndmask_b32_e64 v0, v9, v74, s0
	v_lshrrev_b32_e32 v95, 16, v0
	v_bfe_u32 v0, v14, 16, 8
	s_delay_alu instid0(VALU_DEP_1) | instskip(NEXT) | instid1(VALU_DEP_1)
	v_cvt_f32_fp8_e32 v0, v0
	v_mul_f32_e32 v0, s10, v0
	s_delay_alu instid0(VALU_DEP_1) | instskip(SKIP_2) | instid1(VALU_DEP_3)
	v_bfe_u32 v9, v0, 16, 1
	v_or_b32_e32 v74, 0x400000, v0
	v_cmp_u_f32_e64 s0, v0, v0
	v_add3_u32 v9, v9, v0, 0x7fff
	s_wait_alu 0xf1ff
	s_delay_alu instid0(VALU_DEP_1) | instskip(NEXT) | instid1(VALU_DEP_1)
	v_cndmask_b32_e64 v0, v9, v74, s0
	v_lshrrev_b32_e32 v96, 16, v0
	v_lshrrev_b32_e32 v0, 24, v14
	s_delay_alu instid0(VALU_DEP_1) | instskip(NEXT) | instid1(VALU_DEP_1)
	v_cvt_f32_fp8_e32 v0, v0
	v_mul_f32_e32 v0, s10, v0
	s_delay_alu instid0(VALU_DEP_1) | instskip(SKIP_2) | instid1(VALU_DEP_3)
	v_bfe_u32 v9, v0, 16, 1
	v_or_b32_e32 v14, 0x400000, v0
	v_cmp_u_f32_e64 s0, v0, v0
	v_add3_u32 v9, v9, v0, 0x7fff
	s_wait_alu 0xf1ff
	s_delay_alu instid0(VALU_DEP_1) | instskip(NEXT) | instid1(VALU_DEP_1)
	v_cndmask_b32_e64 v0, v9, v14, s0
	v_lshrrev_b32_e32 v97, 16, v0
	v_and_b32_e32 v0, 0xff, v15
	s_delay_alu instid0(VALU_DEP_1) | instskip(NEXT) | instid1(VALU_DEP_1)
	v_cvt_f32_fp8_e32 v0, v0
	v_mul_f32_e32 v0, s10, v0
	s_delay_alu instid0(VALU_DEP_1) | instskip(SKIP_2) | instid1(VALU_DEP_3)
	v_bfe_u32 v9, v0, 16, 1
	v_or_b32_e32 v14, 0x400000, v0
	v_cmp_u_f32_e64 s0, v0, v0
	v_add3_u32 v9, v9, v0, 0x7fff
	s_wait_alu 0xf1ff
	s_delay_alu instid0(VALU_DEP_1) | instskip(NEXT) | instid1(VALU_DEP_1)
	v_cndmask_b32_e64 v0, v9, v14, s0
	v_lshrrev_b32_e32 v98, 16, v0
	v_bfe_u32 v0, v15, 8, 8
	s_delay_alu instid0(VALU_DEP_1) | instskip(NEXT) | instid1(VALU_DEP_1)
	v_cvt_f32_fp8_e32 v0, v0
	v_mul_f32_e32 v0, s10, v0
	s_delay_alu instid0(VALU_DEP_1) | instskip(SKIP_2) | instid1(VALU_DEP_3)
	v_bfe_u32 v9, v0, 16, 1
	v_or_b32_e32 v14, 0x400000, v0
	v_cmp_u_f32_e64 s0, v0, v0
	v_add3_u32 v9, v9, v0, 0x7fff
	s_wait_alu 0xf1ff
	s_delay_alu instid0(VALU_DEP_1) | instskip(NEXT) | instid1(VALU_DEP_1)
	v_cndmask_b32_e64 v0, v9, v14, s0
	v_lshrrev_b32_e32 v99, 16, v0
	v_bfe_u32 v0, v15, 16, 8
	s_delay_alu instid0(VALU_DEP_1) | instskip(NEXT) | instid1(VALU_DEP_1)
	v_cvt_f32_fp8_e32 v0, v0
	v_mul_f32_e32 v0, s10, v0
	s_delay_alu instid0(VALU_DEP_1) | instskip(SKIP_2) | instid1(VALU_DEP_3)
	v_bfe_u32 v9, v0, 16, 1
	v_or_b32_e32 v14, 0x400000, v0
	v_cmp_u_f32_e64 s0, v0, v0
	v_add3_u32 v9, v9, v0, 0x7fff
	s_wait_alu 0xf1ff
	s_delay_alu instid0(VALU_DEP_1) | instskip(NEXT) | instid1(VALU_DEP_1)
	v_cndmask_b32_e64 v0, v9, v14, s0
	v_lshrrev_b32_e32 v100, 16, v0
	v_lshrrev_b32_e32 v0, 24, v15
	s_delay_alu instid0(VALU_DEP_1) | instskip(NEXT) | instid1(VALU_DEP_1)
	v_cvt_f32_fp8_e32 v0, v0
	v_mul_f32_e32 v0, s10, v0
	s_delay_alu instid0(VALU_DEP_1) | instskip(SKIP_2) | instid1(VALU_DEP_3)
	v_bfe_u32 v9, v0, 16, 1
	v_or_b32_e32 v14, 0x400000, v0
	v_cmp_u_f32_e64 s0, v0, v0
	v_add3_u32 v9, v9, v0, 0x7fff
	s_wait_alu 0xf1ff
	s_delay_alu instid0(VALU_DEP_1) | instskip(NEXT) | instid1(VALU_DEP_1)
	v_cndmask_b32_e64 v0, v9, v14, s0
	v_lshrrev_b32_e32 v0, 16, v0
	s_and_saveexec_b32 s20, vcc_lo
	s_cbranch_execz .LBB366_75
; %bb.74:                               ;   in Loop: Header=BB366_29 Depth=1
	v_cmp_gt_i32_e64 s0, s17, v170
	s_wait_alu 0xf1ff
	s_delay_alu instid0(VALU_DEP_1) | instskip(SKIP_2) | instid1(VALU_DEP_1)
	v_cndmask_b32_e64 v94, 0, v94, s0
	v_cmp_gt_i32_e64 s0, s17, v176
	s_wait_alu 0xf1ff
	v_cndmask_b32_e64 v95, 0, v95, s0
	v_cmp_gt_i32_e64 s0, s17, v175
	s_wait_alu 0xf1ff
	s_delay_alu instid0(VALU_DEP_1) | instskip(SKIP_2) | instid1(VALU_DEP_1)
	v_cndmask_b32_e64 v96, 0, v96, s0
	v_cmp_gt_i32_e64 s0, s17, v174
	s_wait_alu 0xf1ff
	v_cndmask_b32_e64 v97, 0, v97, s0
	;; [unrolled: 7-line block ×4, first 2 shown]
.LBB366_75:                             ;   in Loop: Header=BB366_29 Depth=1
	s_or_b32 exec_lo, exec_lo, s20
	global_load_b64 v[74:75], v[12:13], off offset:5888
	s_wait_loadcnt 0x0
	v_and_b32_e32 v9, 0xff, v74
	s_delay_alu instid0(VALU_DEP_1) | instskip(NEXT) | instid1(VALU_DEP_1)
	v_cvt_f32_fp8_e32 v9, v9
	v_mul_f32_e32 v9, s10, v9
	s_delay_alu instid0(VALU_DEP_1) | instskip(SKIP_2) | instid1(VALU_DEP_3)
	v_bfe_u32 v14, v9, 16, 1
	v_or_b32_e32 v15, 0x400000, v9
	v_cmp_u_f32_e64 s0, v9, v9
	v_add3_u32 v14, v14, v9, 0x7fff
	s_wait_alu 0xf1ff
	s_delay_alu instid0(VALU_DEP_1) | instskip(NEXT) | instid1(VALU_DEP_1)
	v_cndmask_b32_e64 v9, v14, v15, s0
	v_lshrrev_b32_e32 v14, 16, v9
	v_bfe_u32 v9, v74, 8, 8
	s_delay_alu instid0(VALU_DEP_1) | instskip(NEXT) | instid1(VALU_DEP_1)
	v_cvt_f32_fp8_e32 v9, v9
	v_mul_f32_e32 v9, s10, v9
	s_delay_alu instid0(VALU_DEP_1) | instskip(SKIP_2) | instid1(VALU_DEP_3)
	v_bfe_u32 v15, v9, 16, 1
	v_or_b32_e32 v76, 0x400000, v9
	v_cmp_u_f32_e64 s0, v9, v9
	v_add3_u32 v15, v15, v9, 0x7fff
	s_wait_alu 0xf1ff
	s_delay_alu instid0(VALU_DEP_1) | instskip(NEXT) | instid1(VALU_DEP_1)
	v_cndmask_b32_e64 v9, v15, v76, s0
	v_lshrrev_b32_e32 v15, 16, v9
	v_bfe_u32 v9, v74, 16, 8
	s_delay_alu instid0(VALU_DEP_1) | instskip(NEXT) | instid1(VALU_DEP_1)
	v_cvt_f32_fp8_e32 v9, v9
	v_mul_f32_e32 v9, s10, v9
	s_delay_alu instid0(VALU_DEP_1) | instskip(SKIP_2) | instid1(VALU_DEP_3)
	v_bfe_u32 v76, v9, 16, 1
	v_or_b32_e32 v77, 0x400000, v9
	v_cmp_u_f32_e64 s0, v9, v9
	v_add3_u32 v76, v76, v9, 0x7fff
	s_wait_alu 0xf1ff
	s_delay_alu instid0(VALU_DEP_1) | instskip(NEXT) | instid1(VALU_DEP_1)
	v_cndmask_b32_e64 v9, v76, v77, s0
	v_lshrrev_b32_e32 v101, 16, v9
	v_lshrrev_b32_e32 v9, 24, v74
	s_delay_alu instid0(VALU_DEP_1) | instskip(NEXT) | instid1(VALU_DEP_1)
	v_cvt_f32_fp8_e32 v9, v9
	v_mul_f32_e32 v9, s10, v9
	s_delay_alu instid0(VALU_DEP_1) | instskip(SKIP_2) | instid1(VALU_DEP_3)
	v_bfe_u32 v74, v9, 16, 1
	v_or_b32_e32 v76, 0x400000, v9
	v_cmp_u_f32_e64 s0, v9, v9
	v_add3_u32 v74, v74, v9, 0x7fff
	s_wait_alu 0xf1ff
	s_delay_alu instid0(VALU_DEP_1) | instskip(NEXT) | instid1(VALU_DEP_1)
	v_cndmask_b32_e64 v9, v74, v76, s0
	v_lshrrev_b32_e32 v102, 16, v9
	v_and_b32_e32 v9, 0xff, v75
	s_delay_alu instid0(VALU_DEP_1) | instskip(NEXT) | instid1(VALU_DEP_1)
	v_cvt_f32_fp8_e32 v9, v9
	v_mul_f32_e32 v9, s10, v9
	s_delay_alu instid0(VALU_DEP_1) | instskip(SKIP_2) | instid1(VALU_DEP_3)
	v_bfe_u32 v74, v9, 16, 1
	v_or_b32_e32 v76, 0x400000, v9
	v_cmp_u_f32_e64 s0, v9, v9
	v_add3_u32 v74, v74, v9, 0x7fff
	s_wait_alu 0xf1ff
	s_delay_alu instid0(VALU_DEP_1) | instskip(NEXT) | instid1(VALU_DEP_1)
	v_cndmask_b32_e64 v9, v74, v76, s0
	v_lshrrev_b32_e32 v103, 16, v9
	v_bfe_u32 v9, v75, 8, 8
	s_delay_alu instid0(VALU_DEP_1) | instskip(NEXT) | instid1(VALU_DEP_1)
	v_cvt_f32_fp8_e32 v9, v9
	v_mul_f32_e32 v9, s10, v9
	s_delay_alu instid0(VALU_DEP_1) | instskip(SKIP_2) | instid1(VALU_DEP_3)
	v_bfe_u32 v74, v9, 16, 1
	v_or_b32_e32 v76, 0x400000, v9
	v_cmp_u_f32_e64 s0, v9, v9
	v_add3_u32 v74, v74, v9, 0x7fff
	s_wait_alu 0xf1ff
	s_delay_alu instid0(VALU_DEP_1) | instskip(NEXT) | instid1(VALU_DEP_1)
	v_cndmask_b32_e64 v9, v74, v76, s0
	v_lshrrev_b32_e32 v104, 16, v9
	v_bfe_u32 v9, v75, 16, 8
	s_delay_alu instid0(VALU_DEP_1) | instskip(NEXT) | instid1(VALU_DEP_1)
	v_cvt_f32_fp8_e32 v9, v9
	v_mul_f32_e32 v9, s10, v9
	s_delay_alu instid0(VALU_DEP_1) | instskip(SKIP_2) | instid1(VALU_DEP_3)
	v_bfe_u32 v74, v9, 16, 1
	v_or_b32_e32 v76, 0x400000, v9
	v_cmp_u_f32_e64 s0, v9, v9
	v_add3_u32 v74, v74, v9, 0x7fff
	s_wait_alu 0xf1ff
	s_delay_alu instid0(VALU_DEP_1) | instskip(NEXT) | instid1(VALU_DEP_1)
	v_cndmask_b32_e64 v9, v74, v76, s0
	v_lshrrev_b32_e32 v105, 16, v9
	v_lshrrev_b32_e32 v9, 24, v75
	s_delay_alu instid0(VALU_DEP_1) | instskip(NEXT) | instid1(VALU_DEP_1)
	v_cvt_f32_fp8_e32 v9, v9
	v_mul_f32_e32 v9, s10, v9
	s_delay_alu instid0(VALU_DEP_1) | instskip(SKIP_2) | instid1(VALU_DEP_3)
	v_bfe_u32 v74, v9, 16, 1
	v_or_b32_e32 v75, 0x400000, v9
	v_cmp_u_f32_e64 s0, v9, v9
	v_add3_u32 v74, v74, v9, 0x7fff
	s_wait_alu 0xf1ff
	s_delay_alu instid0(VALU_DEP_1) | instskip(NEXT) | instid1(VALU_DEP_1)
	v_cndmask_b32_e64 v9, v74, v75, s0
	v_lshrrev_b32_e32 v106, 16, v9
	s_and_saveexec_b32 s20, vcc_lo
	s_cbranch_execz .LBB366_77
; %bb.76:                               ;   in Loop: Header=BB366_29 Depth=1
	v_cmp_gt_i32_e64 s0, s17, v170
	s_wait_alu 0xf1ff
	s_delay_alu instid0(VALU_DEP_1) | instskip(SKIP_2) | instid1(VALU_DEP_1)
	v_cndmask_b32_e64 v14, 0, v14, s0
	v_cmp_gt_i32_e64 s0, s17, v176
	s_wait_alu 0xf1ff
	v_cndmask_b32_e64 v15, 0, v15, s0
	v_cmp_gt_i32_e64 s0, s17, v175
	s_wait_alu 0xf1ff
	s_delay_alu instid0(VALU_DEP_1) | instskip(SKIP_2) | instid1(VALU_DEP_1)
	v_cndmask_b32_e64 v101, 0, v101, s0
	v_cmp_gt_i32_e64 s0, s17, v174
	s_wait_alu 0xf1ff
	v_cndmask_b32_e64 v102, 0, v102, s0
	;; [unrolled: 7-line block ×4, first 2 shown]
.LBB366_77:                             ;   in Loop: Header=BB366_29 Depth=1
	s_or_b32 exec_lo, exec_lo, s20
	global_load_b64 v[74:75], v[12:13], off offset:6144
	s_wait_loadcnt 0x0
	v_and_b32_e32 v9, 0xff, v74
	s_delay_alu instid0(VALU_DEP_1) | instskip(NEXT) | instid1(VALU_DEP_1)
	v_cvt_f32_fp8_e32 v9, v9
	v_mul_f32_e32 v9, s10, v9
	s_delay_alu instid0(VALU_DEP_1) | instskip(SKIP_2) | instid1(VALU_DEP_3)
	v_bfe_u32 v76, v9, 16, 1
	v_or_b32_e32 v77, 0x400000, v9
	v_cmp_u_f32_e64 s0, v9, v9
	v_add3_u32 v76, v76, v9, 0x7fff
	s_wait_alu 0xf1ff
	s_delay_alu instid0(VALU_DEP_1) | instskip(NEXT) | instid1(VALU_DEP_1)
	v_cndmask_b32_e64 v9, v76, v77, s0
	v_lshrrev_b32_e32 v107, 16, v9
	v_bfe_u32 v9, v74, 8, 8
	s_delay_alu instid0(VALU_DEP_1) | instskip(NEXT) | instid1(VALU_DEP_1)
	v_cvt_f32_fp8_e32 v9, v9
	v_mul_f32_e32 v9, s10, v9
	s_delay_alu instid0(VALU_DEP_1) | instskip(SKIP_2) | instid1(VALU_DEP_3)
	v_bfe_u32 v76, v9, 16, 1
	v_or_b32_e32 v77, 0x400000, v9
	v_cmp_u_f32_e64 s0, v9, v9
	v_add3_u32 v76, v76, v9, 0x7fff
	s_wait_alu 0xf1ff
	s_delay_alu instid0(VALU_DEP_1) | instskip(NEXT) | instid1(VALU_DEP_1)
	v_cndmask_b32_e64 v9, v76, v77, s0
	v_lshrrev_b32_e32 v108, 16, v9
	v_bfe_u32 v9, v74, 16, 8
	s_delay_alu instid0(VALU_DEP_1) | instskip(NEXT) | instid1(VALU_DEP_1)
	v_cvt_f32_fp8_e32 v9, v9
	v_mul_f32_e32 v9, s10, v9
	s_delay_alu instid0(VALU_DEP_1) | instskip(SKIP_2) | instid1(VALU_DEP_3)
	v_bfe_u32 v76, v9, 16, 1
	v_or_b32_e32 v77, 0x400000, v9
	v_cmp_u_f32_e64 s0, v9, v9
	v_add3_u32 v76, v76, v9, 0x7fff
	s_wait_alu 0xf1ff
	s_delay_alu instid0(VALU_DEP_1) | instskip(NEXT) | instid1(VALU_DEP_1)
	v_cndmask_b32_e64 v9, v76, v77, s0
	v_lshrrev_b32_e32 v109, 16, v9
	v_lshrrev_b32_e32 v9, 24, v74
	s_delay_alu instid0(VALU_DEP_1) | instskip(NEXT) | instid1(VALU_DEP_1)
	v_cvt_f32_fp8_e32 v9, v9
	v_mul_f32_e32 v9, s10, v9
	s_delay_alu instid0(VALU_DEP_1) | instskip(SKIP_2) | instid1(VALU_DEP_3)
	v_bfe_u32 v74, v9, 16, 1
	v_or_b32_e32 v76, 0x400000, v9
	v_cmp_u_f32_e64 s0, v9, v9
	v_add3_u32 v74, v74, v9, 0x7fff
	s_wait_alu 0xf1ff
	s_delay_alu instid0(VALU_DEP_1) | instskip(NEXT) | instid1(VALU_DEP_1)
	v_cndmask_b32_e64 v9, v74, v76, s0
	v_lshrrev_b32_e32 v110, 16, v9
	v_and_b32_e32 v9, 0xff, v75
	s_delay_alu instid0(VALU_DEP_1) | instskip(NEXT) | instid1(VALU_DEP_1)
	v_cvt_f32_fp8_e32 v9, v9
	v_mul_f32_e32 v9, s10, v9
	s_delay_alu instid0(VALU_DEP_1) | instskip(SKIP_2) | instid1(VALU_DEP_3)
	v_bfe_u32 v74, v9, 16, 1
	v_or_b32_e32 v76, 0x400000, v9
	v_cmp_u_f32_e64 s0, v9, v9
	v_add3_u32 v74, v74, v9, 0x7fff
	s_wait_alu 0xf1ff
	s_delay_alu instid0(VALU_DEP_1) | instskip(NEXT) | instid1(VALU_DEP_1)
	v_cndmask_b32_e64 v9, v74, v76, s0
	v_lshrrev_b32_e32 v111, 16, v9
	v_bfe_u32 v9, v75, 8, 8
	s_delay_alu instid0(VALU_DEP_1) | instskip(NEXT) | instid1(VALU_DEP_1)
	v_cvt_f32_fp8_e32 v9, v9
	v_mul_f32_e32 v9, s10, v9
	s_delay_alu instid0(VALU_DEP_1) | instskip(SKIP_2) | instid1(VALU_DEP_3)
	v_bfe_u32 v74, v9, 16, 1
	v_or_b32_e32 v76, 0x400000, v9
	v_cmp_u_f32_e64 s0, v9, v9
	v_add3_u32 v74, v74, v9, 0x7fff
	s_wait_alu 0xf1ff
	s_delay_alu instid0(VALU_DEP_1) | instskip(NEXT) | instid1(VALU_DEP_1)
	v_cndmask_b32_e64 v9, v74, v76, s0
	v_lshrrev_b32_e32 v112, 16, v9
	v_bfe_u32 v9, v75, 16, 8
	s_delay_alu instid0(VALU_DEP_1) | instskip(NEXT) | instid1(VALU_DEP_1)
	v_cvt_f32_fp8_e32 v9, v9
	v_mul_f32_e32 v9, s10, v9
	s_delay_alu instid0(VALU_DEP_1) | instskip(SKIP_2) | instid1(VALU_DEP_3)
	v_bfe_u32 v74, v9, 16, 1
	v_or_b32_e32 v76, 0x400000, v9
	v_cmp_u_f32_e64 s0, v9, v9
	v_add3_u32 v74, v74, v9, 0x7fff
	s_wait_alu 0xf1ff
	s_delay_alu instid0(VALU_DEP_1) | instskip(NEXT) | instid1(VALU_DEP_1)
	v_cndmask_b32_e64 v9, v74, v76, s0
	v_lshrrev_b32_e32 v113, 16, v9
	v_lshrrev_b32_e32 v9, 24, v75
	s_delay_alu instid0(VALU_DEP_1) | instskip(NEXT) | instid1(VALU_DEP_1)
	v_cvt_f32_fp8_e32 v9, v9
	v_mul_f32_e32 v9, s10, v9
	s_delay_alu instid0(VALU_DEP_1) | instskip(SKIP_2) | instid1(VALU_DEP_3)
	v_bfe_u32 v74, v9, 16, 1
	v_or_b32_e32 v75, 0x400000, v9
	v_cmp_u_f32_e64 s0, v9, v9
	v_add3_u32 v74, v74, v9, 0x7fff
	s_wait_alu 0xf1ff
	s_delay_alu instid0(VALU_DEP_1) | instskip(NEXT) | instid1(VALU_DEP_1)
	v_cndmask_b32_e64 v9, v74, v75, s0
	v_lshrrev_b32_e32 v114, 16, v9
	s_and_saveexec_b32 s20, vcc_lo
	s_cbranch_execz .LBB366_79
; %bb.78:                               ;   in Loop: Header=BB366_29 Depth=1
	v_cmp_gt_i32_e64 s0, s17, v170
	s_wait_alu 0xf1ff
	s_delay_alu instid0(VALU_DEP_1) | instskip(SKIP_2) | instid1(VALU_DEP_1)
	v_cndmask_b32_e64 v107, 0, v107, s0
	v_cmp_gt_i32_e64 s0, s17, v176
	s_wait_alu 0xf1ff
	v_cndmask_b32_e64 v108, 0, v108, s0
	v_cmp_gt_i32_e64 s0, s17, v175
	s_wait_alu 0xf1ff
	s_delay_alu instid0(VALU_DEP_1) | instskip(SKIP_2) | instid1(VALU_DEP_1)
	v_cndmask_b32_e64 v109, 0, v109, s0
	v_cmp_gt_i32_e64 s0, s17, v174
	s_wait_alu 0xf1ff
	v_cndmask_b32_e64 v110, 0, v110, s0
	;; [unrolled: 7-line block ×4, first 2 shown]
.LBB366_79:                             ;   in Loop: Header=BB366_29 Depth=1
	s_or_b32 exec_lo, exec_lo, s20
	global_load_b64 v[74:75], v[12:13], off offset:6400
	s_wait_loadcnt 0x0
	v_and_b32_e32 v9, 0xff, v74
	s_delay_alu instid0(VALU_DEP_1) | instskip(NEXT) | instid1(VALU_DEP_1)
	v_cvt_f32_fp8_e32 v9, v9
	v_mul_f32_e32 v9, s10, v9
	s_delay_alu instid0(VALU_DEP_1) | instskip(SKIP_2) | instid1(VALU_DEP_3)
	v_bfe_u32 v76, v9, 16, 1
	v_or_b32_e32 v77, 0x400000, v9
	v_cmp_u_f32_e64 s0, v9, v9
	v_add3_u32 v76, v76, v9, 0x7fff
	s_wait_alu 0xf1ff
	s_delay_alu instid0(VALU_DEP_1) | instskip(NEXT) | instid1(VALU_DEP_1)
	v_cndmask_b32_e64 v9, v76, v77, s0
	v_lshrrev_b32_e32 v115, 16, v9
	v_bfe_u32 v9, v74, 8, 8
	s_delay_alu instid0(VALU_DEP_1) | instskip(NEXT) | instid1(VALU_DEP_1)
	v_cvt_f32_fp8_e32 v9, v9
	v_mul_f32_e32 v9, s10, v9
	s_delay_alu instid0(VALU_DEP_1) | instskip(SKIP_2) | instid1(VALU_DEP_3)
	v_bfe_u32 v76, v9, 16, 1
	v_or_b32_e32 v77, 0x400000, v9
	v_cmp_u_f32_e64 s0, v9, v9
	v_add3_u32 v76, v76, v9, 0x7fff
	s_wait_alu 0xf1ff
	s_delay_alu instid0(VALU_DEP_1) | instskip(NEXT) | instid1(VALU_DEP_1)
	v_cndmask_b32_e64 v9, v76, v77, s0
	v_lshrrev_b32_e32 v116, 16, v9
	v_bfe_u32 v9, v74, 16, 8
	s_delay_alu instid0(VALU_DEP_1) | instskip(NEXT) | instid1(VALU_DEP_1)
	v_cvt_f32_fp8_e32 v9, v9
	v_mul_f32_e32 v9, s10, v9
	s_delay_alu instid0(VALU_DEP_1) | instskip(SKIP_2) | instid1(VALU_DEP_3)
	v_bfe_u32 v76, v9, 16, 1
	v_or_b32_e32 v77, 0x400000, v9
	v_cmp_u_f32_e64 s0, v9, v9
	v_add3_u32 v76, v76, v9, 0x7fff
	s_wait_alu 0xf1ff
	s_delay_alu instid0(VALU_DEP_1) | instskip(NEXT) | instid1(VALU_DEP_1)
	v_cndmask_b32_e64 v9, v76, v77, s0
	v_lshrrev_b32_e32 v117, 16, v9
	v_lshrrev_b32_e32 v9, 24, v74
	s_delay_alu instid0(VALU_DEP_1) | instskip(NEXT) | instid1(VALU_DEP_1)
	v_cvt_f32_fp8_e32 v9, v9
	v_mul_f32_e32 v9, s10, v9
	s_delay_alu instid0(VALU_DEP_1) | instskip(SKIP_2) | instid1(VALU_DEP_3)
	v_bfe_u32 v74, v9, 16, 1
	v_or_b32_e32 v76, 0x400000, v9
	v_cmp_u_f32_e64 s0, v9, v9
	v_add3_u32 v74, v74, v9, 0x7fff
	s_wait_alu 0xf1ff
	s_delay_alu instid0(VALU_DEP_1) | instskip(NEXT) | instid1(VALU_DEP_1)
	v_cndmask_b32_e64 v9, v74, v76, s0
	v_lshrrev_b32_e32 v118, 16, v9
	v_and_b32_e32 v9, 0xff, v75
	s_delay_alu instid0(VALU_DEP_1) | instskip(NEXT) | instid1(VALU_DEP_1)
	v_cvt_f32_fp8_e32 v9, v9
	v_mul_f32_e32 v9, s10, v9
	s_delay_alu instid0(VALU_DEP_1) | instskip(SKIP_2) | instid1(VALU_DEP_3)
	v_bfe_u32 v74, v9, 16, 1
	v_or_b32_e32 v76, 0x400000, v9
	v_cmp_u_f32_e64 s0, v9, v9
	v_add3_u32 v74, v74, v9, 0x7fff
	s_wait_alu 0xf1ff
	s_delay_alu instid0(VALU_DEP_1) | instskip(NEXT) | instid1(VALU_DEP_1)
	v_cndmask_b32_e64 v9, v74, v76, s0
	v_lshrrev_b32_e32 v119, 16, v9
	v_bfe_u32 v9, v75, 8, 8
	s_delay_alu instid0(VALU_DEP_1) | instskip(NEXT) | instid1(VALU_DEP_1)
	v_cvt_f32_fp8_e32 v9, v9
	v_mul_f32_e32 v9, s10, v9
	s_delay_alu instid0(VALU_DEP_1) | instskip(SKIP_2) | instid1(VALU_DEP_3)
	v_bfe_u32 v74, v9, 16, 1
	v_or_b32_e32 v76, 0x400000, v9
	v_cmp_u_f32_e64 s0, v9, v9
	v_add3_u32 v74, v74, v9, 0x7fff
	s_wait_alu 0xf1ff
	s_delay_alu instid0(VALU_DEP_1) | instskip(NEXT) | instid1(VALU_DEP_1)
	v_cndmask_b32_e64 v9, v74, v76, s0
	v_lshrrev_b32_e32 v120, 16, v9
	v_bfe_u32 v9, v75, 16, 8
	s_delay_alu instid0(VALU_DEP_1) | instskip(NEXT) | instid1(VALU_DEP_1)
	v_cvt_f32_fp8_e32 v9, v9
	v_mul_f32_e32 v9, s10, v9
	s_delay_alu instid0(VALU_DEP_1) | instskip(SKIP_2) | instid1(VALU_DEP_3)
	v_bfe_u32 v74, v9, 16, 1
	v_or_b32_e32 v76, 0x400000, v9
	v_cmp_u_f32_e64 s0, v9, v9
	v_add3_u32 v74, v74, v9, 0x7fff
	s_wait_alu 0xf1ff
	s_delay_alu instid0(VALU_DEP_1) | instskip(NEXT) | instid1(VALU_DEP_1)
	v_cndmask_b32_e64 v9, v74, v76, s0
	v_lshrrev_b32_e32 v121, 16, v9
	v_lshrrev_b32_e32 v9, 24, v75
	s_delay_alu instid0(VALU_DEP_1) | instskip(NEXT) | instid1(VALU_DEP_1)
	v_cvt_f32_fp8_e32 v9, v9
	v_mul_f32_e32 v9, s10, v9
	s_delay_alu instid0(VALU_DEP_1) | instskip(SKIP_2) | instid1(VALU_DEP_3)
	v_bfe_u32 v74, v9, 16, 1
	v_or_b32_e32 v75, 0x400000, v9
	v_cmp_u_f32_e64 s0, v9, v9
	v_add3_u32 v74, v74, v9, 0x7fff
	s_wait_alu 0xf1ff
	s_delay_alu instid0(VALU_DEP_1) | instskip(NEXT) | instid1(VALU_DEP_1)
	v_cndmask_b32_e64 v9, v74, v75, s0
	v_lshrrev_b32_e32 v122, 16, v9
	s_and_saveexec_b32 s20, vcc_lo
	s_cbranch_execz .LBB366_81
; %bb.80:                               ;   in Loop: Header=BB366_29 Depth=1
	v_cmp_gt_i32_e64 s0, s17, v170
	s_wait_alu 0xf1ff
	s_delay_alu instid0(VALU_DEP_1) | instskip(SKIP_2) | instid1(VALU_DEP_1)
	v_cndmask_b32_e64 v115, 0, v115, s0
	v_cmp_gt_i32_e64 s0, s17, v176
	s_wait_alu 0xf1ff
	v_cndmask_b32_e64 v116, 0, v116, s0
	v_cmp_gt_i32_e64 s0, s17, v175
	s_wait_alu 0xf1ff
	s_delay_alu instid0(VALU_DEP_1) | instskip(SKIP_2) | instid1(VALU_DEP_1)
	v_cndmask_b32_e64 v117, 0, v117, s0
	v_cmp_gt_i32_e64 s0, s17, v174
	s_wait_alu 0xf1ff
	v_cndmask_b32_e64 v118, 0, v118, s0
	;; [unrolled: 7-line block ×4, first 2 shown]
.LBB366_81:                             ;   in Loop: Header=BB366_29 Depth=1
	s_or_b32 exec_lo, exec_lo, s20
	global_load_b64 v[74:75], v[12:13], off offset:6656
	s_wait_loadcnt 0x0
	v_and_b32_e32 v9, 0xff, v74
	s_delay_alu instid0(VALU_DEP_1) | instskip(NEXT) | instid1(VALU_DEP_1)
	v_cvt_f32_fp8_e32 v9, v9
	v_mul_f32_e32 v9, s10, v9
	s_delay_alu instid0(VALU_DEP_1) | instskip(SKIP_2) | instid1(VALU_DEP_3)
	v_bfe_u32 v76, v9, 16, 1
	v_or_b32_e32 v77, 0x400000, v9
	v_cmp_u_f32_e64 s0, v9, v9
	v_add3_u32 v76, v76, v9, 0x7fff
	s_wait_alu 0xf1ff
	s_delay_alu instid0(VALU_DEP_1) | instskip(NEXT) | instid1(VALU_DEP_1)
	v_cndmask_b32_e64 v9, v76, v77, s0
	v_lshrrev_b32_e32 v123, 16, v9
	v_bfe_u32 v9, v74, 8, 8
	s_delay_alu instid0(VALU_DEP_1) | instskip(NEXT) | instid1(VALU_DEP_1)
	v_cvt_f32_fp8_e32 v9, v9
	v_mul_f32_e32 v9, s10, v9
	s_delay_alu instid0(VALU_DEP_1) | instskip(SKIP_2) | instid1(VALU_DEP_3)
	v_bfe_u32 v76, v9, 16, 1
	v_or_b32_e32 v77, 0x400000, v9
	v_cmp_u_f32_e64 s0, v9, v9
	v_add3_u32 v76, v76, v9, 0x7fff
	s_wait_alu 0xf1ff
	s_delay_alu instid0(VALU_DEP_1) | instskip(NEXT) | instid1(VALU_DEP_1)
	v_cndmask_b32_e64 v9, v76, v77, s0
	v_lshrrev_b32_e32 v124, 16, v9
	v_bfe_u32 v9, v74, 16, 8
	s_delay_alu instid0(VALU_DEP_1) | instskip(NEXT) | instid1(VALU_DEP_1)
	v_cvt_f32_fp8_e32 v9, v9
	v_mul_f32_e32 v9, s10, v9
	s_delay_alu instid0(VALU_DEP_1) | instskip(SKIP_2) | instid1(VALU_DEP_3)
	v_bfe_u32 v76, v9, 16, 1
	v_or_b32_e32 v77, 0x400000, v9
	v_cmp_u_f32_e64 s0, v9, v9
	v_add3_u32 v76, v76, v9, 0x7fff
	s_wait_alu 0xf1ff
	s_delay_alu instid0(VALU_DEP_1) | instskip(NEXT) | instid1(VALU_DEP_1)
	v_cndmask_b32_e64 v9, v76, v77, s0
	v_lshrrev_b32_e32 v125, 16, v9
	v_lshrrev_b32_e32 v9, 24, v74
	s_delay_alu instid0(VALU_DEP_1) | instskip(NEXT) | instid1(VALU_DEP_1)
	v_cvt_f32_fp8_e32 v9, v9
	v_mul_f32_e32 v9, s10, v9
	s_delay_alu instid0(VALU_DEP_1) | instskip(SKIP_2) | instid1(VALU_DEP_3)
	v_bfe_u32 v74, v9, 16, 1
	v_or_b32_e32 v76, 0x400000, v9
	v_cmp_u_f32_e64 s0, v9, v9
	v_add3_u32 v74, v74, v9, 0x7fff
	s_wait_alu 0xf1ff
	s_delay_alu instid0(VALU_DEP_1) | instskip(NEXT) | instid1(VALU_DEP_1)
	v_cndmask_b32_e64 v9, v74, v76, s0
	v_lshrrev_b32_e32 v126, 16, v9
	v_and_b32_e32 v9, 0xff, v75
	s_delay_alu instid0(VALU_DEP_1) | instskip(NEXT) | instid1(VALU_DEP_1)
	v_cvt_f32_fp8_e32 v9, v9
	v_mul_f32_e32 v9, s10, v9
	s_delay_alu instid0(VALU_DEP_1) | instskip(SKIP_2) | instid1(VALU_DEP_3)
	v_bfe_u32 v74, v9, 16, 1
	v_or_b32_e32 v76, 0x400000, v9
	v_cmp_u_f32_e64 s0, v9, v9
	v_add3_u32 v74, v74, v9, 0x7fff
	s_wait_alu 0xf1ff
	s_delay_alu instid0(VALU_DEP_1) | instskip(NEXT) | instid1(VALU_DEP_1)
	v_cndmask_b32_e64 v9, v74, v76, s0
	v_lshrrev_b32_e32 v127, 16, v9
	v_bfe_u32 v9, v75, 8, 8
	s_delay_alu instid0(VALU_DEP_1) | instskip(NEXT) | instid1(VALU_DEP_1)
	v_cvt_f32_fp8_e32 v9, v9
	v_mul_f32_e32 v9, s10, v9
	s_delay_alu instid0(VALU_DEP_1) | instskip(SKIP_2) | instid1(VALU_DEP_3)
	v_bfe_u32 v74, v9, 16, 1
	v_or_b32_e32 v76, 0x400000, v9
	v_cmp_u_f32_e64 s0, v9, v9
	v_add3_u32 v74, v74, v9, 0x7fff
	s_wait_alu 0xf1ff
	s_delay_alu instid0(VALU_DEP_1) | instskip(NEXT) | instid1(VALU_DEP_1)
	v_cndmask_b32_e64 v9, v74, v76, s0
	v_lshrrev_b32_e32 v128, 16, v9
	v_bfe_u32 v9, v75, 16, 8
	s_delay_alu instid0(VALU_DEP_1) | instskip(NEXT) | instid1(VALU_DEP_1)
	v_cvt_f32_fp8_e32 v9, v9
	v_mul_f32_e32 v9, s10, v9
	s_delay_alu instid0(VALU_DEP_1) | instskip(SKIP_2) | instid1(VALU_DEP_3)
	v_bfe_u32 v74, v9, 16, 1
	v_or_b32_e32 v76, 0x400000, v9
	v_cmp_u_f32_e64 s0, v9, v9
	v_add3_u32 v74, v74, v9, 0x7fff
	s_wait_alu 0xf1ff
	s_delay_alu instid0(VALU_DEP_1) | instskip(NEXT) | instid1(VALU_DEP_1)
	v_cndmask_b32_e64 v9, v74, v76, s0
	v_lshrrev_b32_e32 v129, 16, v9
	v_lshrrev_b32_e32 v9, 24, v75
	s_delay_alu instid0(VALU_DEP_1) | instskip(NEXT) | instid1(VALU_DEP_1)
	v_cvt_f32_fp8_e32 v9, v9
	v_mul_f32_e32 v9, s10, v9
	s_delay_alu instid0(VALU_DEP_1) | instskip(SKIP_2) | instid1(VALU_DEP_3)
	v_bfe_u32 v74, v9, 16, 1
	v_or_b32_e32 v75, 0x400000, v9
	v_cmp_u_f32_e64 s0, v9, v9
	v_add3_u32 v74, v74, v9, 0x7fff
	s_wait_alu 0xf1ff
	s_delay_alu instid0(VALU_DEP_1) | instskip(NEXT) | instid1(VALU_DEP_1)
	v_cndmask_b32_e64 v9, v74, v75, s0
	v_lshrrev_b32_e32 v130, 16, v9
	s_and_saveexec_b32 s20, vcc_lo
	s_cbranch_execz .LBB366_83
; %bb.82:                               ;   in Loop: Header=BB366_29 Depth=1
	v_cmp_gt_i32_e64 s0, s17, v170
	s_wait_alu 0xf1ff
	s_delay_alu instid0(VALU_DEP_1) | instskip(SKIP_2) | instid1(VALU_DEP_1)
	v_cndmask_b32_e64 v123, 0, v123, s0
	v_cmp_gt_i32_e64 s0, s17, v176
	s_wait_alu 0xf1ff
	v_cndmask_b32_e64 v124, 0, v124, s0
	v_cmp_gt_i32_e64 s0, s17, v175
	s_wait_alu 0xf1ff
	s_delay_alu instid0(VALU_DEP_1) | instskip(SKIP_2) | instid1(VALU_DEP_1)
	v_cndmask_b32_e64 v125, 0, v125, s0
	v_cmp_gt_i32_e64 s0, s17, v174
	s_wait_alu 0xf1ff
	v_cndmask_b32_e64 v126, 0, v126, s0
	;; [unrolled: 7-line block ×4, first 2 shown]
.LBB366_83:                             ;   in Loop: Header=BB366_29 Depth=1
	s_or_b32 exec_lo, exec_lo, s20
	global_load_b64 v[74:75], v[12:13], off offset:6912
	s_wait_loadcnt 0x0
	v_and_b32_e32 v9, 0xff, v74
	s_delay_alu instid0(VALU_DEP_1) | instskip(NEXT) | instid1(VALU_DEP_1)
	v_cvt_f32_fp8_e32 v9, v9
	v_mul_f32_e32 v9, s10, v9
	s_delay_alu instid0(VALU_DEP_1) | instskip(SKIP_2) | instid1(VALU_DEP_3)
	v_bfe_u32 v76, v9, 16, 1
	v_or_b32_e32 v77, 0x400000, v9
	v_cmp_u_f32_e64 s0, v9, v9
	v_add3_u32 v76, v76, v9, 0x7fff
	s_wait_alu 0xf1ff
	s_delay_alu instid0(VALU_DEP_1) | instskip(NEXT) | instid1(VALU_DEP_1)
	v_cndmask_b32_e64 v9, v76, v77, s0
	v_lshrrev_b32_e32 v131, 16, v9
	v_bfe_u32 v9, v74, 8, 8
	s_delay_alu instid0(VALU_DEP_1) | instskip(NEXT) | instid1(VALU_DEP_1)
	v_cvt_f32_fp8_e32 v9, v9
	v_mul_f32_e32 v9, s10, v9
	s_delay_alu instid0(VALU_DEP_1) | instskip(SKIP_2) | instid1(VALU_DEP_3)
	v_bfe_u32 v76, v9, 16, 1
	v_or_b32_e32 v77, 0x400000, v9
	v_cmp_u_f32_e64 s0, v9, v9
	v_add3_u32 v76, v76, v9, 0x7fff
	s_wait_alu 0xf1ff
	s_delay_alu instid0(VALU_DEP_1) | instskip(NEXT) | instid1(VALU_DEP_1)
	v_cndmask_b32_e64 v9, v76, v77, s0
	v_lshrrev_b32_e32 v132, 16, v9
	v_bfe_u32 v9, v74, 16, 8
	s_delay_alu instid0(VALU_DEP_1) | instskip(NEXT) | instid1(VALU_DEP_1)
	v_cvt_f32_fp8_e32 v9, v9
	v_mul_f32_e32 v9, s10, v9
	s_delay_alu instid0(VALU_DEP_1) | instskip(SKIP_2) | instid1(VALU_DEP_3)
	v_bfe_u32 v76, v9, 16, 1
	v_or_b32_e32 v77, 0x400000, v9
	v_cmp_u_f32_e64 s0, v9, v9
	v_add3_u32 v76, v76, v9, 0x7fff
	s_wait_alu 0xf1ff
	s_delay_alu instid0(VALU_DEP_1) | instskip(NEXT) | instid1(VALU_DEP_1)
	v_cndmask_b32_e64 v9, v76, v77, s0
	v_lshrrev_b32_e32 v133, 16, v9
	v_lshrrev_b32_e32 v9, 24, v74
	s_delay_alu instid0(VALU_DEP_1) | instskip(NEXT) | instid1(VALU_DEP_1)
	v_cvt_f32_fp8_e32 v9, v9
	v_mul_f32_e32 v9, s10, v9
	s_delay_alu instid0(VALU_DEP_1) | instskip(SKIP_2) | instid1(VALU_DEP_3)
	v_bfe_u32 v74, v9, 16, 1
	v_or_b32_e32 v76, 0x400000, v9
	v_cmp_u_f32_e64 s0, v9, v9
	v_add3_u32 v74, v74, v9, 0x7fff
	s_wait_alu 0xf1ff
	s_delay_alu instid0(VALU_DEP_1) | instskip(NEXT) | instid1(VALU_DEP_1)
	v_cndmask_b32_e64 v9, v74, v76, s0
	v_lshrrev_b32_e32 v134, 16, v9
	v_and_b32_e32 v9, 0xff, v75
	s_delay_alu instid0(VALU_DEP_1) | instskip(NEXT) | instid1(VALU_DEP_1)
	v_cvt_f32_fp8_e32 v9, v9
	v_mul_f32_e32 v9, s10, v9
	s_delay_alu instid0(VALU_DEP_1) | instskip(SKIP_2) | instid1(VALU_DEP_3)
	v_bfe_u32 v74, v9, 16, 1
	v_or_b32_e32 v76, 0x400000, v9
	v_cmp_u_f32_e64 s0, v9, v9
	v_add3_u32 v74, v74, v9, 0x7fff
	s_wait_alu 0xf1ff
	s_delay_alu instid0(VALU_DEP_1) | instskip(NEXT) | instid1(VALU_DEP_1)
	v_cndmask_b32_e64 v9, v74, v76, s0
	v_lshrrev_b32_e32 v135, 16, v9
	v_bfe_u32 v9, v75, 8, 8
	s_delay_alu instid0(VALU_DEP_1) | instskip(NEXT) | instid1(VALU_DEP_1)
	v_cvt_f32_fp8_e32 v9, v9
	v_mul_f32_e32 v9, s10, v9
	s_delay_alu instid0(VALU_DEP_1) | instskip(SKIP_2) | instid1(VALU_DEP_3)
	v_bfe_u32 v74, v9, 16, 1
	v_or_b32_e32 v76, 0x400000, v9
	v_cmp_u_f32_e64 s0, v9, v9
	v_add3_u32 v74, v74, v9, 0x7fff
	s_wait_alu 0xf1ff
	s_delay_alu instid0(VALU_DEP_1) | instskip(NEXT) | instid1(VALU_DEP_1)
	v_cndmask_b32_e64 v9, v74, v76, s0
	v_lshrrev_b32_e32 v136, 16, v9
	v_bfe_u32 v9, v75, 16, 8
	s_delay_alu instid0(VALU_DEP_1) | instskip(NEXT) | instid1(VALU_DEP_1)
	v_cvt_f32_fp8_e32 v9, v9
	v_mul_f32_e32 v9, s10, v9
	s_delay_alu instid0(VALU_DEP_1) | instskip(SKIP_2) | instid1(VALU_DEP_3)
	v_bfe_u32 v74, v9, 16, 1
	v_or_b32_e32 v76, 0x400000, v9
	v_cmp_u_f32_e64 s0, v9, v9
	v_add3_u32 v74, v74, v9, 0x7fff
	s_wait_alu 0xf1ff
	s_delay_alu instid0(VALU_DEP_1) | instskip(NEXT) | instid1(VALU_DEP_1)
	v_cndmask_b32_e64 v9, v74, v76, s0
	v_lshrrev_b32_e32 v137, 16, v9
	v_lshrrev_b32_e32 v9, 24, v75
	s_delay_alu instid0(VALU_DEP_1) | instskip(NEXT) | instid1(VALU_DEP_1)
	v_cvt_f32_fp8_e32 v9, v9
	v_mul_f32_e32 v9, s10, v9
	s_delay_alu instid0(VALU_DEP_1) | instskip(SKIP_2) | instid1(VALU_DEP_3)
	v_bfe_u32 v74, v9, 16, 1
	v_or_b32_e32 v75, 0x400000, v9
	v_cmp_u_f32_e64 s0, v9, v9
	v_add3_u32 v74, v74, v9, 0x7fff
	s_wait_alu 0xf1ff
	s_delay_alu instid0(VALU_DEP_1) | instskip(NEXT) | instid1(VALU_DEP_1)
	v_cndmask_b32_e64 v9, v74, v75, s0
	v_lshrrev_b32_e32 v138, 16, v9
	s_and_saveexec_b32 s20, vcc_lo
	s_cbranch_execz .LBB366_85
; %bb.84:                               ;   in Loop: Header=BB366_29 Depth=1
	v_cmp_gt_i32_e64 s0, s17, v170
	s_wait_alu 0xf1ff
	s_delay_alu instid0(VALU_DEP_1) | instskip(SKIP_2) | instid1(VALU_DEP_1)
	v_cndmask_b32_e64 v131, 0, v131, s0
	v_cmp_gt_i32_e64 s0, s17, v176
	s_wait_alu 0xf1ff
	v_cndmask_b32_e64 v132, 0, v132, s0
	v_cmp_gt_i32_e64 s0, s17, v175
	s_wait_alu 0xf1ff
	s_delay_alu instid0(VALU_DEP_1) | instskip(SKIP_2) | instid1(VALU_DEP_1)
	v_cndmask_b32_e64 v133, 0, v133, s0
	v_cmp_gt_i32_e64 s0, s17, v174
	s_wait_alu 0xf1ff
	v_cndmask_b32_e64 v134, 0, v134, s0
	;; [unrolled: 7-line block ×4, first 2 shown]
.LBB366_85:                             ;   in Loop: Header=BB366_29 Depth=1
	s_or_b32 exec_lo, exec_lo, s20
	global_load_b64 v[74:75], v[12:13], off offset:7168
	s_wait_loadcnt 0x0
	v_and_b32_e32 v9, 0xff, v74
	s_delay_alu instid0(VALU_DEP_1) | instskip(NEXT) | instid1(VALU_DEP_1)
	v_cvt_f32_fp8_e32 v9, v9
	v_mul_f32_e32 v9, s10, v9
	s_delay_alu instid0(VALU_DEP_1) | instskip(SKIP_2) | instid1(VALU_DEP_3)
	v_bfe_u32 v76, v9, 16, 1
	v_or_b32_e32 v77, 0x400000, v9
	v_cmp_u_f32_e64 s0, v9, v9
	v_add3_u32 v76, v76, v9, 0x7fff
	s_wait_alu 0xf1ff
	s_delay_alu instid0(VALU_DEP_1) | instskip(NEXT) | instid1(VALU_DEP_1)
	v_cndmask_b32_e64 v9, v76, v77, s0
	v_lshrrev_b32_e32 v139, 16, v9
	v_bfe_u32 v9, v74, 8, 8
	s_delay_alu instid0(VALU_DEP_1) | instskip(NEXT) | instid1(VALU_DEP_1)
	v_cvt_f32_fp8_e32 v9, v9
	v_mul_f32_e32 v9, s10, v9
	s_delay_alu instid0(VALU_DEP_1) | instskip(SKIP_2) | instid1(VALU_DEP_3)
	v_bfe_u32 v76, v9, 16, 1
	v_or_b32_e32 v77, 0x400000, v9
	v_cmp_u_f32_e64 s0, v9, v9
	v_add3_u32 v76, v76, v9, 0x7fff
	s_wait_alu 0xf1ff
	s_delay_alu instid0(VALU_DEP_1) | instskip(NEXT) | instid1(VALU_DEP_1)
	v_cndmask_b32_e64 v9, v76, v77, s0
	v_lshrrev_b32_e32 v140, 16, v9
	v_bfe_u32 v9, v74, 16, 8
	s_delay_alu instid0(VALU_DEP_1) | instskip(NEXT) | instid1(VALU_DEP_1)
	v_cvt_f32_fp8_e32 v9, v9
	v_mul_f32_e32 v9, s10, v9
	s_delay_alu instid0(VALU_DEP_1) | instskip(SKIP_2) | instid1(VALU_DEP_3)
	v_bfe_u32 v76, v9, 16, 1
	v_or_b32_e32 v77, 0x400000, v9
	v_cmp_u_f32_e64 s0, v9, v9
	v_add3_u32 v76, v76, v9, 0x7fff
	s_wait_alu 0xf1ff
	s_delay_alu instid0(VALU_DEP_1) | instskip(NEXT) | instid1(VALU_DEP_1)
	v_cndmask_b32_e64 v9, v76, v77, s0
	v_lshrrev_b32_e32 v141, 16, v9
	v_lshrrev_b32_e32 v9, 24, v74
	s_delay_alu instid0(VALU_DEP_1) | instskip(NEXT) | instid1(VALU_DEP_1)
	v_cvt_f32_fp8_e32 v9, v9
	v_mul_f32_e32 v9, s10, v9
	s_delay_alu instid0(VALU_DEP_1) | instskip(SKIP_2) | instid1(VALU_DEP_3)
	v_bfe_u32 v74, v9, 16, 1
	v_or_b32_e32 v76, 0x400000, v9
	v_cmp_u_f32_e64 s0, v9, v9
	v_add3_u32 v74, v74, v9, 0x7fff
	s_wait_alu 0xf1ff
	s_delay_alu instid0(VALU_DEP_1) | instskip(NEXT) | instid1(VALU_DEP_1)
	v_cndmask_b32_e64 v9, v74, v76, s0
	v_lshrrev_b32_e32 v142, 16, v9
	v_and_b32_e32 v9, 0xff, v75
	s_delay_alu instid0(VALU_DEP_1) | instskip(NEXT) | instid1(VALU_DEP_1)
	v_cvt_f32_fp8_e32 v9, v9
	v_mul_f32_e32 v9, s10, v9
	s_delay_alu instid0(VALU_DEP_1) | instskip(SKIP_2) | instid1(VALU_DEP_3)
	v_bfe_u32 v74, v9, 16, 1
	v_or_b32_e32 v76, 0x400000, v9
	v_cmp_u_f32_e64 s0, v9, v9
	v_add3_u32 v74, v74, v9, 0x7fff
	s_wait_alu 0xf1ff
	s_delay_alu instid0(VALU_DEP_1) | instskip(NEXT) | instid1(VALU_DEP_1)
	v_cndmask_b32_e64 v9, v74, v76, s0
	v_lshrrev_b32_e32 v143, 16, v9
	v_bfe_u32 v9, v75, 8, 8
	s_delay_alu instid0(VALU_DEP_1) | instskip(NEXT) | instid1(VALU_DEP_1)
	v_cvt_f32_fp8_e32 v9, v9
	v_mul_f32_e32 v9, s10, v9
	s_delay_alu instid0(VALU_DEP_1) | instskip(SKIP_2) | instid1(VALU_DEP_3)
	v_bfe_u32 v74, v9, 16, 1
	v_or_b32_e32 v76, 0x400000, v9
	v_cmp_u_f32_e64 s0, v9, v9
	v_add3_u32 v74, v74, v9, 0x7fff
	s_wait_alu 0xf1ff
	s_delay_alu instid0(VALU_DEP_1) | instskip(NEXT) | instid1(VALU_DEP_1)
	v_cndmask_b32_e64 v9, v74, v76, s0
	v_lshrrev_b32_e32 v144, 16, v9
	v_bfe_u32 v9, v75, 16, 8
	s_delay_alu instid0(VALU_DEP_1) | instskip(NEXT) | instid1(VALU_DEP_1)
	v_cvt_f32_fp8_e32 v9, v9
	v_mul_f32_e32 v9, s10, v9
	s_delay_alu instid0(VALU_DEP_1) | instskip(SKIP_2) | instid1(VALU_DEP_3)
	v_bfe_u32 v74, v9, 16, 1
	v_or_b32_e32 v76, 0x400000, v9
	v_cmp_u_f32_e64 s0, v9, v9
	v_add3_u32 v74, v74, v9, 0x7fff
	s_wait_alu 0xf1ff
	s_delay_alu instid0(VALU_DEP_1) | instskip(NEXT) | instid1(VALU_DEP_1)
	v_cndmask_b32_e64 v9, v74, v76, s0
	v_lshrrev_b32_e32 v145, 16, v9
	v_lshrrev_b32_e32 v9, 24, v75
	s_delay_alu instid0(VALU_DEP_1) | instskip(NEXT) | instid1(VALU_DEP_1)
	v_cvt_f32_fp8_e32 v9, v9
	v_mul_f32_e32 v9, s10, v9
	s_delay_alu instid0(VALU_DEP_1) | instskip(SKIP_2) | instid1(VALU_DEP_3)
	v_bfe_u32 v74, v9, 16, 1
	v_or_b32_e32 v75, 0x400000, v9
	v_cmp_u_f32_e64 s0, v9, v9
	v_add3_u32 v74, v74, v9, 0x7fff
	s_wait_alu 0xf1ff
	s_delay_alu instid0(VALU_DEP_1) | instskip(NEXT) | instid1(VALU_DEP_1)
	v_cndmask_b32_e64 v9, v74, v75, s0
	v_lshrrev_b32_e32 v146, 16, v9
	s_and_saveexec_b32 s20, vcc_lo
	s_cbranch_execz .LBB366_87
; %bb.86:                               ;   in Loop: Header=BB366_29 Depth=1
	v_cmp_gt_i32_e64 s0, s17, v170
	s_wait_alu 0xf1ff
	s_delay_alu instid0(VALU_DEP_1) | instskip(SKIP_2) | instid1(VALU_DEP_1)
	v_cndmask_b32_e64 v139, 0, v139, s0
	v_cmp_gt_i32_e64 s0, s17, v176
	s_wait_alu 0xf1ff
	v_cndmask_b32_e64 v140, 0, v140, s0
	v_cmp_gt_i32_e64 s0, s17, v175
	s_wait_alu 0xf1ff
	s_delay_alu instid0(VALU_DEP_1) | instskip(SKIP_2) | instid1(VALU_DEP_1)
	v_cndmask_b32_e64 v141, 0, v141, s0
	v_cmp_gt_i32_e64 s0, s17, v174
	s_wait_alu 0xf1ff
	v_cndmask_b32_e64 v142, 0, v142, s0
	;; [unrolled: 7-line block ×4, first 2 shown]
.LBB366_87:                             ;   in Loop: Header=BB366_29 Depth=1
	s_or_b32 exec_lo, exec_lo, s20
	global_load_b64 v[74:75], v[12:13], off offset:7424
	s_wait_loadcnt 0x0
	v_and_b32_e32 v9, 0xff, v74
	s_delay_alu instid0(VALU_DEP_1) | instskip(NEXT) | instid1(VALU_DEP_1)
	v_cvt_f32_fp8_e32 v9, v9
	v_mul_f32_e32 v9, s10, v9
	s_delay_alu instid0(VALU_DEP_1) | instskip(SKIP_2) | instid1(VALU_DEP_3)
	v_bfe_u32 v76, v9, 16, 1
	v_or_b32_e32 v77, 0x400000, v9
	v_cmp_u_f32_e64 s0, v9, v9
	v_add3_u32 v76, v76, v9, 0x7fff
	s_wait_alu 0xf1ff
	s_delay_alu instid0(VALU_DEP_1) | instskip(NEXT) | instid1(VALU_DEP_1)
	v_cndmask_b32_e64 v9, v76, v77, s0
	v_lshrrev_b32_e32 v147, 16, v9
	v_bfe_u32 v9, v74, 8, 8
	s_delay_alu instid0(VALU_DEP_1) | instskip(NEXT) | instid1(VALU_DEP_1)
	v_cvt_f32_fp8_e32 v9, v9
	v_mul_f32_e32 v9, s10, v9
	s_delay_alu instid0(VALU_DEP_1) | instskip(SKIP_2) | instid1(VALU_DEP_3)
	v_bfe_u32 v76, v9, 16, 1
	v_or_b32_e32 v77, 0x400000, v9
	v_cmp_u_f32_e64 s0, v9, v9
	v_add3_u32 v76, v76, v9, 0x7fff
	s_wait_alu 0xf1ff
	s_delay_alu instid0(VALU_DEP_1) | instskip(NEXT) | instid1(VALU_DEP_1)
	v_cndmask_b32_e64 v9, v76, v77, s0
	v_lshrrev_b32_e32 v148, 16, v9
	v_bfe_u32 v9, v74, 16, 8
	s_delay_alu instid0(VALU_DEP_1) | instskip(NEXT) | instid1(VALU_DEP_1)
	v_cvt_f32_fp8_e32 v9, v9
	v_mul_f32_e32 v9, s10, v9
	s_delay_alu instid0(VALU_DEP_1) | instskip(SKIP_2) | instid1(VALU_DEP_3)
	v_bfe_u32 v76, v9, 16, 1
	v_or_b32_e32 v77, 0x400000, v9
	v_cmp_u_f32_e64 s0, v9, v9
	v_add3_u32 v76, v76, v9, 0x7fff
	s_wait_alu 0xf1ff
	s_delay_alu instid0(VALU_DEP_1) | instskip(NEXT) | instid1(VALU_DEP_1)
	v_cndmask_b32_e64 v9, v76, v77, s0
	v_lshrrev_b32_e32 v149, 16, v9
	v_lshrrev_b32_e32 v9, 24, v74
	s_delay_alu instid0(VALU_DEP_1) | instskip(NEXT) | instid1(VALU_DEP_1)
	v_cvt_f32_fp8_e32 v9, v9
	v_mul_f32_e32 v9, s10, v9
	s_delay_alu instid0(VALU_DEP_1) | instskip(SKIP_2) | instid1(VALU_DEP_3)
	v_bfe_u32 v74, v9, 16, 1
	v_or_b32_e32 v76, 0x400000, v9
	v_cmp_u_f32_e64 s0, v9, v9
	v_add3_u32 v74, v74, v9, 0x7fff
	s_wait_alu 0xf1ff
	s_delay_alu instid0(VALU_DEP_1) | instskip(NEXT) | instid1(VALU_DEP_1)
	v_cndmask_b32_e64 v9, v74, v76, s0
	v_lshrrev_b32_e32 v150, 16, v9
	v_and_b32_e32 v9, 0xff, v75
	s_delay_alu instid0(VALU_DEP_1) | instskip(NEXT) | instid1(VALU_DEP_1)
	v_cvt_f32_fp8_e32 v9, v9
	v_mul_f32_e32 v9, s10, v9
	s_delay_alu instid0(VALU_DEP_1) | instskip(SKIP_2) | instid1(VALU_DEP_3)
	v_bfe_u32 v74, v9, 16, 1
	v_or_b32_e32 v76, 0x400000, v9
	v_cmp_u_f32_e64 s0, v9, v9
	v_add3_u32 v74, v74, v9, 0x7fff
	s_wait_alu 0xf1ff
	s_delay_alu instid0(VALU_DEP_1) | instskip(NEXT) | instid1(VALU_DEP_1)
	v_cndmask_b32_e64 v9, v74, v76, s0
	v_lshrrev_b32_e32 v151, 16, v9
	v_bfe_u32 v9, v75, 8, 8
	s_delay_alu instid0(VALU_DEP_1) | instskip(NEXT) | instid1(VALU_DEP_1)
	v_cvt_f32_fp8_e32 v9, v9
	v_mul_f32_e32 v9, s10, v9
	s_delay_alu instid0(VALU_DEP_1) | instskip(SKIP_2) | instid1(VALU_DEP_3)
	v_bfe_u32 v74, v9, 16, 1
	v_or_b32_e32 v76, 0x400000, v9
	v_cmp_u_f32_e64 s0, v9, v9
	v_add3_u32 v74, v74, v9, 0x7fff
	s_wait_alu 0xf1ff
	s_delay_alu instid0(VALU_DEP_1) | instskip(NEXT) | instid1(VALU_DEP_1)
	v_cndmask_b32_e64 v9, v74, v76, s0
	v_lshrrev_b32_e32 v152, 16, v9
	v_bfe_u32 v9, v75, 16, 8
	s_delay_alu instid0(VALU_DEP_1) | instskip(NEXT) | instid1(VALU_DEP_1)
	v_cvt_f32_fp8_e32 v9, v9
	v_mul_f32_e32 v9, s10, v9
	s_delay_alu instid0(VALU_DEP_1) | instskip(SKIP_2) | instid1(VALU_DEP_3)
	v_bfe_u32 v74, v9, 16, 1
	v_or_b32_e32 v76, 0x400000, v9
	v_cmp_u_f32_e64 s0, v9, v9
	v_add3_u32 v74, v74, v9, 0x7fff
	s_wait_alu 0xf1ff
	s_delay_alu instid0(VALU_DEP_1) | instskip(NEXT) | instid1(VALU_DEP_1)
	v_cndmask_b32_e64 v9, v74, v76, s0
	v_lshrrev_b32_e32 v153, 16, v9
	v_lshrrev_b32_e32 v9, 24, v75
	s_delay_alu instid0(VALU_DEP_1) | instskip(NEXT) | instid1(VALU_DEP_1)
	v_cvt_f32_fp8_e32 v9, v9
	v_mul_f32_e32 v9, s10, v9
	s_delay_alu instid0(VALU_DEP_1) | instskip(SKIP_2) | instid1(VALU_DEP_3)
	v_bfe_u32 v74, v9, 16, 1
	v_or_b32_e32 v75, 0x400000, v9
	v_cmp_u_f32_e64 s0, v9, v9
	v_add3_u32 v74, v74, v9, 0x7fff
	s_wait_alu 0xf1ff
	s_delay_alu instid0(VALU_DEP_1) | instskip(NEXT) | instid1(VALU_DEP_1)
	v_cndmask_b32_e64 v9, v74, v75, s0
	v_lshrrev_b32_e32 v9, 16, v9
	s_and_saveexec_b32 s20, vcc_lo
	s_cbranch_execz .LBB366_89
; %bb.88:                               ;   in Loop: Header=BB366_29 Depth=1
	v_cmp_gt_i32_e64 s0, s17, v170
	s_wait_alu 0xf1ff
	s_delay_alu instid0(VALU_DEP_1) | instskip(SKIP_2) | instid1(VALU_DEP_1)
	v_cndmask_b32_e64 v147, 0, v147, s0
	v_cmp_gt_i32_e64 s0, s17, v176
	s_wait_alu 0xf1ff
	v_cndmask_b32_e64 v148, 0, v148, s0
	v_cmp_gt_i32_e64 s0, s17, v175
	s_wait_alu 0xf1ff
	s_delay_alu instid0(VALU_DEP_1) | instskip(SKIP_2) | instid1(VALU_DEP_1)
	v_cndmask_b32_e64 v149, 0, v149, s0
	v_cmp_gt_i32_e64 s0, s17, v174
	s_wait_alu 0xf1ff
	v_cndmask_b32_e64 v150, 0, v150, s0
	;; [unrolled: 7-line block ×4, first 2 shown]
.LBB366_89:                             ;   in Loop: Header=BB366_29 Depth=1
	s_or_b32 exec_lo, exec_lo, s20
	global_load_b64 v[12:13], v[12:13], off offset:7680
	s_wait_loadcnt 0x0
	v_and_b32_e32 v74, 0xff, v12
	s_delay_alu instid0(VALU_DEP_1) | instskip(NEXT) | instid1(VALU_DEP_1)
	v_cvt_f32_fp8_e32 v74, v74
	v_mul_f32_e32 v74, s10, v74
	s_delay_alu instid0(VALU_DEP_1) | instskip(SKIP_2) | instid1(VALU_DEP_3)
	v_bfe_u32 v75, v74, 16, 1
	v_or_b32_e32 v76, 0x400000, v74
	v_cmp_u_f32_e64 s0, v74, v74
	v_add3_u32 v75, v75, v74, 0x7fff
	s_wait_alu 0xf1ff
	s_delay_alu instid0(VALU_DEP_1) | instskip(NEXT) | instid1(VALU_DEP_1)
	v_cndmask_b32_e64 v74, v75, v76, s0
	v_lshrrev_b32_e32 v154, 16, v74
	v_bfe_u32 v74, v12, 8, 8
	s_delay_alu instid0(VALU_DEP_1) | instskip(NEXT) | instid1(VALU_DEP_1)
	v_cvt_f32_fp8_e32 v74, v74
	v_mul_f32_e32 v74, s10, v74
	s_delay_alu instid0(VALU_DEP_1) | instskip(SKIP_2) | instid1(VALU_DEP_3)
	v_bfe_u32 v75, v74, 16, 1
	v_or_b32_e32 v76, 0x400000, v74
	v_cmp_u_f32_e64 s0, v74, v74
	v_add3_u32 v75, v75, v74, 0x7fff
	s_wait_alu 0xf1ff
	s_delay_alu instid0(VALU_DEP_1) | instskip(NEXT) | instid1(VALU_DEP_1)
	v_cndmask_b32_e64 v74, v75, v76, s0
	v_lshrrev_b32_e32 v155, 16, v74
	v_bfe_u32 v74, v12, 16, 8
	v_lshrrev_b32_e32 v12, 24, v12
	s_delay_alu instid0(VALU_DEP_2) | instskip(NEXT) | instid1(VALU_DEP_2)
	v_cvt_f32_fp8_e32 v74, v74
	v_cvt_f32_fp8_e32 v12, v12
	s_delay_alu instid0(VALU_DEP_2) | instskip(NEXT) | instid1(VALU_DEP_2)
	v_mul_f32_e32 v74, s10, v74
	v_mul_f32_e32 v12, s10, v12
	s_delay_alu instid0(VALU_DEP_2) | instskip(SKIP_2) | instid1(VALU_DEP_3)
	v_bfe_u32 v75, v74, 16, 1
	v_or_b32_e32 v76, 0x400000, v74
	v_cmp_u_f32_e64 s0, v74, v74
	v_add3_u32 v75, v75, v74, 0x7fff
	s_wait_alu 0xf1ff
	s_delay_alu instid0(VALU_DEP_1) | instskip(SKIP_2) | instid1(VALU_DEP_3)
	v_cndmask_b32_e64 v74, v75, v76, s0
	v_or_b32_e32 v75, 0x400000, v12
	v_cmp_u_f32_e64 s0, v12, v12
	v_lshrrev_b32_e32 v156, 16, v74
	v_bfe_u32 v74, v12, 16, 1
	s_delay_alu instid0(VALU_DEP_1) | instskip(SKIP_1) | instid1(VALU_DEP_1)
	v_add3_u32 v74, v74, v12, 0x7fff
	s_wait_alu 0xf1ff
	v_cndmask_b32_e64 v12, v74, v75, s0
	s_delay_alu instid0(VALU_DEP_1) | instskip(SKIP_1) | instid1(VALU_DEP_1)
	v_lshrrev_b32_e32 v157, 16, v12
	v_and_b32_e32 v12, 0xff, v13
	v_cvt_f32_fp8_e32 v12, v12
	s_delay_alu instid0(VALU_DEP_1) | instskip(NEXT) | instid1(VALU_DEP_1)
	v_mul_f32_e32 v12, s10, v12
	v_bfe_u32 v74, v12, 16, 1
	v_or_b32_e32 v75, 0x400000, v12
	v_cmp_u_f32_e64 s0, v12, v12
	s_delay_alu instid0(VALU_DEP_3) | instskip(SKIP_1) | instid1(VALU_DEP_1)
	v_add3_u32 v74, v74, v12, 0x7fff
	s_wait_alu 0xf1ff
	v_cndmask_b32_e64 v12, v74, v75, s0
	s_delay_alu instid0(VALU_DEP_1) | instskip(SKIP_1) | instid1(VALU_DEP_1)
	v_lshrrev_b32_e32 v158, 16, v12
	v_bfe_u32 v12, v13, 8, 8
	v_cvt_f32_fp8_e32 v12, v12
	s_delay_alu instid0(VALU_DEP_1) | instskip(NEXT) | instid1(VALU_DEP_1)
	v_mul_f32_e32 v12, s10, v12
	v_bfe_u32 v74, v12, 16, 1
	v_or_b32_e32 v75, 0x400000, v12
	v_cmp_u_f32_e64 s0, v12, v12
	s_delay_alu instid0(VALU_DEP_3) | instskip(SKIP_1) | instid1(VALU_DEP_1)
	v_add3_u32 v74, v74, v12, 0x7fff
	s_wait_alu 0xf1ff
	v_cndmask_b32_e64 v12, v74, v75, s0
	s_delay_alu instid0(VALU_DEP_1) | instskip(SKIP_1) | instid1(VALU_DEP_1)
	v_lshrrev_b32_e32 v159, 16, v12
	v_bfe_u32 v12, v13, 16, 8
	v_cvt_f32_fp8_e32 v12, v12
	s_delay_alu instid0(VALU_DEP_1) | instskip(NEXT) | instid1(VALU_DEP_1)
	v_mul_f32_e32 v12, s10, v12
	v_bfe_u32 v74, v12, 16, 1
	v_or_b32_e32 v75, 0x400000, v12
	v_cmp_u_f32_e64 s0, v12, v12
	s_delay_alu instid0(VALU_DEP_3) | instskip(SKIP_1) | instid1(VALU_DEP_1)
	v_add3_u32 v74, v74, v12, 0x7fff
	s_wait_alu 0xf1ff
	v_cndmask_b32_e64 v12, v74, v75, s0
	s_delay_alu instid0(VALU_DEP_1) | instskip(SKIP_1) | instid1(VALU_DEP_1)
	v_lshrrev_b32_e32 v161, 16, v12
	v_lshrrev_b32_e32 v12, 24, v13
	v_cvt_f32_fp8_e32 v12, v12
	s_delay_alu instid0(VALU_DEP_1) | instskip(NEXT) | instid1(VALU_DEP_1)
	v_mul_f32_e32 v12, s10, v12
	v_bfe_u32 v13, v12, 16, 1
	v_or_b32_e32 v74, 0x400000, v12
	v_cmp_u_f32_e64 s0, v12, v12
	s_delay_alu instid0(VALU_DEP_3) | instskip(SKIP_1) | instid1(VALU_DEP_1)
	v_add3_u32 v13, v13, v12, 0x7fff
	s_wait_alu 0xf1ff
	v_cndmask_b32_e64 v12, v13, v74, s0
	s_delay_alu instid0(VALU_DEP_1)
	v_lshrrev_b32_e32 v162, 16, v12
	s_and_saveexec_b32 s20, vcc_lo
	s_cbranch_execz .LBB366_91
; %bb.90:                               ;   in Loop: Header=BB366_29 Depth=1
	v_cmp_gt_i32_e64 s0, s17, v170
	s_wait_alu 0xf1ff
	s_delay_alu instid0(VALU_DEP_1) | instskip(SKIP_2) | instid1(VALU_DEP_1)
	v_cndmask_b32_e64 v154, 0, v154, s0
	v_cmp_gt_i32_e64 s0, s17, v176
	s_wait_alu 0xf1ff
	v_cndmask_b32_e64 v155, 0, v155, s0
	v_cmp_gt_i32_e64 s0, s17, v175
	s_wait_alu 0xf1ff
	s_delay_alu instid0(VALU_DEP_1) | instskip(SKIP_2) | instid1(VALU_DEP_1)
	v_cndmask_b32_e64 v156, 0, v156, s0
	v_cmp_gt_i32_e64 s0, s17, v174
	s_wait_alu 0xf1ff
	v_cndmask_b32_e64 v157, 0, v157, s0
	;; [unrolled: 7-line block ×4, first 2 shown]
.LBB366_91:                             ;   in Loop: Header=BB366_29 Depth=1
	s_or_b32 exec_lo, exec_lo, s20
	scratch_load_b32 v12, off, off offset:472 ; 4-byte Folded Reload
	s_wait_loadcnt 0x0
	v_add_co_u32 v10, s0, v10, v12
	s_wait_alu 0xf1ff
	v_add_co_ci_u32_e64 v11, null, 0, v11, s0
	global_load_b64 v[163:164], v[10:11], off
	s_wait_loadcnt 0x0
	v_and_b32_e32 v10, 0xff, v163
	s_delay_alu instid0(VALU_DEP_1) | instskip(NEXT) | instid1(VALU_DEP_1)
	v_cvt_f32_fp8_e32 v10, v10
	v_mul_f32_e32 v10, s10, v10
	s_delay_alu instid0(VALU_DEP_1) | instskip(SKIP_2) | instid1(VALU_DEP_3)
	v_bfe_u32 v11, v10, 16, 1
	v_or_b32_e32 v12, 0x400000, v10
	v_cmp_u_f32_e64 s0, v10, v10
	v_add3_u32 v11, v11, v10, 0x7fff
	s_wait_alu 0xf1ff
	s_delay_alu instid0(VALU_DEP_1) | instskip(NEXT) | instid1(VALU_DEP_1)
	v_cndmask_b32_e64 v10, v11, v12, s0
	v_lshrrev_b32_e32 v76, 16, v10
	v_bfe_u32 v10, v163, 8, 8
	s_delay_alu instid0(VALU_DEP_1) | instskip(NEXT) | instid1(VALU_DEP_1)
	v_cvt_f32_fp8_e32 v10, v10
	v_mul_f32_e32 v10, s10, v10
	s_delay_alu instid0(VALU_DEP_1) | instskip(SKIP_2) | instid1(VALU_DEP_3)
	v_bfe_u32 v11, v10, 16, 1
	v_or_b32_e32 v12, 0x400000, v10
	v_cmp_u_f32_e64 s0, v10, v10
	v_add3_u32 v11, v11, v10, 0x7fff
	s_wait_alu 0xf1ff
	s_delay_alu instid0(VALU_DEP_1) | instskip(NEXT) | instid1(VALU_DEP_1)
	v_cndmask_b32_e64 v10, v11, v12, s0
	v_lshrrev_b32_e32 v75, 16, v10
	v_bfe_u32 v10, v163, 16, 8
	s_delay_alu instid0(VALU_DEP_1) | instskip(NEXT) | instid1(VALU_DEP_1)
	v_cvt_f32_fp8_e32 v10, v10
	v_mul_f32_e32 v10, s10, v10
	s_delay_alu instid0(VALU_DEP_1) | instskip(SKIP_2) | instid1(VALU_DEP_3)
	v_bfe_u32 v11, v10, 16, 1
	v_or_b32_e32 v12, 0x400000, v10
	v_cmp_u_f32_e64 s0, v10, v10
	v_add3_u32 v11, v11, v10, 0x7fff
	s_wait_alu 0xf1ff
	s_delay_alu instid0(VALU_DEP_1) | instskip(NEXT) | instid1(VALU_DEP_1)
	v_cndmask_b32_e64 v10, v11, v12, s0
	v_lshrrev_b32_e32 v74, 16, v10
	v_lshrrev_b32_e32 v10, 24, v163
	s_delay_alu instid0(VALU_DEP_1) | instskip(NEXT) | instid1(VALU_DEP_1)
	v_cvt_f32_fp8_e32 v10, v10
	v_mul_f32_e32 v10, s10, v10
	s_delay_alu instid0(VALU_DEP_1) | instskip(SKIP_2) | instid1(VALU_DEP_3)
	v_bfe_u32 v11, v10, 16, 1
	v_or_b32_e32 v12, 0x400000, v10
	v_cmp_u_f32_e64 s0, v10, v10
	v_add3_u32 v11, v11, v10, 0x7fff
	s_wait_alu 0xf1ff
	s_delay_alu instid0(VALU_DEP_1) | instskip(NEXT) | instid1(VALU_DEP_1)
	v_cndmask_b32_e64 v10, v11, v12, s0
	v_lshrrev_b32_e32 v13, 16, v10
	v_and_b32_e32 v10, 0xff, v164
	s_delay_alu instid0(VALU_DEP_1) | instskip(NEXT) | instid1(VALU_DEP_1)
	v_cvt_f32_fp8_e32 v10, v10
	v_mul_f32_e32 v10, s10, v10
	s_delay_alu instid0(VALU_DEP_1) | instskip(SKIP_2) | instid1(VALU_DEP_3)
	v_bfe_u32 v11, v10, 16, 1
	v_or_b32_e32 v12, 0x400000, v10
	v_cmp_u_f32_e64 s0, v10, v10
	v_add3_u32 v11, v11, v10, 0x7fff
	s_wait_alu 0xf1ff
	s_delay_alu instid0(VALU_DEP_1) | instskip(NEXT) | instid1(VALU_DEP_1)
	v_cndmask_b32_e64 v10, v11, v12, s0
	v_lshrrev_b32_e32 v12, 16, v10
	v_bfe_u32 v10, v164, 8, 8
	s_delay_alu instid0(VALU_DEP_1) | instskip(NEXT) | instid1(VALU_DEP_1)
	v_cvt_f32_fp8_e32 v10, v10
	v_mul_f32_e32 v10, s10, v10
	s_delay_alu instid0(VALU_DEP_1) | instskip(SKIP_2) | instid1(VALU_DEP_3)
	v_bfe_u32 v11, v10, 16, 1
	v_or_b32_e32 v77, 0x400000, v10
	v_cmp_u_f32_e64 s0, v10, v10
	v_add3_u32 v11, v11, v10, 0x7fff
	s_wait_alu 0xf1ff
	s_delay_alu instid0(VALU_DEP_1) | instskip(NEXT) | instid1(VALU_DEP_1)
	v_cndmask_b32_e64 v10, v11, v77, s0
	v_lshrrev_b32_e32 v11, 16, v10
	v_bfe_u32 v10, v164, 16, 8
	s_delay_alu instid0(VALU_DEP_1) | instskip(NEXT) | instid1(VALU_DEP_1)
	v_cvt_f32_fp8_e32 v10, v10
	v_mul_f32_e32 v10, s10, v10
	s_delay_alu instid0(VALU_DEP_1) | instskip(SKIP_2) | instid1(VALU_DEP_3)
	v_bfe_u32 v77, v10, 16, 1
	v_or_b32_e32 v163, 0x400000, v10
	v_cmp_u_f32_e64 s0, v10, v10
	v_add3_u32 v77, v77, v10, 0x7fff
	s_wait_alu 0xf1ff
	s_delay_alu instid0(VALU_DEP_1) | instskip(SKIP_1) | instid1(VALU_DEP_2)
	v_cndmask_b32_e64 v10, v77, v163, s0
	v_lshrrev_b32_e32 v77, 24, v164
	v_lshrrev_b32_e32 v10, 16, v10
	s_delay_alu instid0(VALU_DEP_2) | instskip(NEXT) | instid1(VALU_DEP_1)
	v_cvt_f32_fp8_e32 v77, v77
	v_mul_f32_e32 v77, s10, v77
	s_delay_alu instid0(VALU_DEP_1) | instskip(SKIP_2) | instid1(VALU_DEP_3)
	v_bfe_u32 v163, v77, 16, 1
	v_or_b32_e32 v164, 0x400000, v77
	v_cmp_u_f32_e64 s0, v77, v77
	v_add3_u32 v163, v163, v77, 0x7fff
	s_wait_alu 0xf1ff
	s_delay_alu instid0(VALU_DEP_1) | instskip(NEXT) | instid1(VALU_DEP_1)
	v_cndmask_b32_e64 v77, v163, v164, s0
	v_lshrrev_b32_e32 v77, 16, v77
	s_and_saveexec_b32 s0, vcc_lo
	s_cbranch_execz .LBB366_28
; %bb.92:                               ;   in Loop: Header=BB366_29 Depth=1
	v_cmp_gt_i32_e32 vcc_lo, s17, v170
	s_wait_alu 0xfffd
	v_cndmask_b32_e32 v76, 0, v76, vcc_lo
	v_cmp_gt_i32_e32 vcc_lo, s17, v176
	s_wait_alu 0xfffd
	v_cndmask_b32_e32 v75, 0, v75, vcc_lo
	;; [unrolled: 3-line block ×8, first 2 shown]
	s_branch .LBB366_28
.LBB366_93:
	s_or_b32 exec_lo, exec_lo, s11
.LBB366_94:
	s_wait_alu 0xfffe
	s_or_b32 exec_lo, exec_lo, s1
	s_clause 0x1
	scratch_load_b32 v55, off, off offset:480 th:TH_LOAD_LU
	scratch_load_b32 v57, off, off offset:476 th:TH_LOAD_LU
	s_mov_b32 s0, exec_lo
	s_wait_loadcnt 0x1
	ds_bpermute_b32 v2, v55, v47
	ds_bpermute_b32 v3, v55, v46
	;; [unrolled: 1-line block ×16, first 2 shown]
	s_wait_dscnt 0xe
	v_dual_add_f32 v2, v47, v2 :: v_dual_add_f32 v3, v46, v3
	s_wait_dscnt 0xc
	v_dual_add_f32 v0, v48, v0 :: v_dual_add_f32 v1, v49, v1
	s_wait_dscnt 0xa
	v_dual_add_f32 v8, v41, v8 :: v_dual_add_f32 v9, v40, v9
	s_wait_loadcnt 0x0
	ds_bpermute_b32 v15, v57, v2
	ds_bpermute_b32 v16, v57, v3
	;; [unrolled: 1-line block ×5, first 2 shown]
	s_wait_dscnt 0xd
	v_dual_add_f32 v4, v45, v4 :: v_dual_add_f32 v5, v44, v5
	s_wait_dscnt 0xb
	v_dual_add_f32 v6, v43, v6 :: v_dual_add_f32 v7, v42, v7
	ds_bpermute_b32 v48, v57, v8
	s_wait_dscnt 0xa
	v_dual_add_f32 v10, v39, v10 :: v_dual_add_f32 v11, v38, v11
	ds_bpermute_b32 v46, v57, v5
	ds_bpermute_b32 v40, v57, v7
	;; [unrolled: 1-line block ×6, first 2 shown]
	s_wait_dscnt 0xa
	v_dual_add_f32 v43, v2, v15 :: v_dual_add_f32 v42, v3, v16
	ds_bpermute_b32 v3, v55, v31
	s_wait_dscnt 0x9
	v_dual_add_f32 v45, v0, v13 :: v_dual_add_f32 v44, v1, v14
	ds_bpermute_b32 v0, v55, v33
	s_wait_dscnt 0x9
	v_add_f32_e32 v14, v9, v49
	ds_bpermute_b32 v9, v55, v29
	ds_bpermute_b32 v1, v55, v32
	ds_bpermute_b32 v13, v55, v28
	s_wait_dscnt 0xb
	v_add_f32_e32 v16, v8, v48
	v_add_f32_e32 v8, v34, v54
	s_wait_dscnt 0x9
	v_dual_add_f32 v39, v5, v46 :: v_dual_add_f32 v40, v7, v40
	v_add_f32_e32 v5, v36, v52
	ds_bpermute_b32 v7, v55, v30
	ds_bpermute_b32 v34, v55, v27
	;; [unrolled: 1-line block ×3, first 2 shown]
	s_wait_dscnt 0x8
	v_dual_add_f32 v2, v37, v12 :: v_dual_add_f32 v11, v11, v51
	v_add_f32_e32 v12, v10, v50
	ds_bpermute_b32 v10, v57, v5
	s_wait_dscnt 0x8
	v_add_f32_e32 v3, v31, v3
	ds_bpermute_b32 v31, v55, v24
	ds_bpermute_b32 v48, v55, v21
	s_wait_dscnt 0x9
	v_add_f32_e32 v0, v33, v0
	ds_bpermute_b32 v33, v55, v26
	s_wait_dscnt 0x9
	v_add_f32_e32 v9, v29, v9
	;; [unrolled: 3-line block ×4, first 2 shown]
	ds_bpermute_b32 v13, v55, v18
	v_dual_add_f32 v41, v4, v17 :: v_dual_add_f32 v38, v6, v47
	s_wait_dscnt 0x9
	v_dual_add_f32 v6, v35, v53 :: v_dual_add_f32 v7, v30, v7
	ds_bpermute_b32 v46, v55, v22
	s_wait_dscnt 0x8
	v_add_f32_e32 v36, v23, v36
	ds_bpermute_b32 v17, v57, v8
	ds_bpermute_b32 v15, v57, v6
	;; [unrolled: 1-line block ×4, first 2 shown]
	s_wait_dscnt 0xa
	v_add_f32_e32 v24, v24, v31
	s_wait_dscnt 0x9
	v_add_f32_e32 v48, v21, v48
	s_wait_dscnt 0x8
	v_dual_add_f32 v21, v5, v10 :: v_dual_add_f32 v26, v26, v33
	ds_bpermute_b32 v49, v57, v7
	s_wait_dscnt 0x8
	v_add_f32_e32 v29, v19, v29
	ds_bpermute_b32 v51, v57, v24
	v_add_f32_e32 v27, v27, v34
	ds_bpermute_b32 v31, v57, v26
	s_wait_dscnt 0x8
	v_add_f32_e32 v55, v18, v13
	ds_bpermute_b32 v52, v57, v36
	ds_bpermute_b32 v35, v57, v0
	;; [unrolled: 1-line block ×4, first 2 shown]
	s_wait_dscnt 0xb
	v_dual_add_f32 v46, v22, v46 :: v_dual_add_f32 v25, v25, v32
	ds_bpermute_b32 v33, v57, v28
	s_wait_dscnt 0xa
	v_add_f32_e32 v22, v6, v15
	ds_bpermute_b32 v37, v57, v1
	s_wait_dscnt 0x9
	v_add_f32_e32 v30, v20, v30
	v_add_f32_e32 v20, v8, v17
	ds_bpermute_b32 v50, v57, v25
	ds_bpermute_b32 v32, v57, v27
	v_add_f32_e32 v17, v3, v47
	ds_bpermute_b32 v54, v57, v48
	s_wait_dscnt 0xa
	v_dual_add_f32 v15, v7, v49 :: v_dual_add_f32 v6, v24, v51
	scratch_load_b32 v24, off, off offset:1332 th:TH_LOAD_LU ; 4-byte Folded Reload
	s_wait_dscnt 0x9
	v_add_f32_e32 v8, v26, v31
	scratch_load_b32 v26, off, off offset:1336 th:TH_LOAD_LU ; 4-byte Folded Reload
	s_wait_dscnt 0x8
	v_add_f32_e32 v5, v36, v52
	scratch_load_b32 v36, off, off offset:1328 ; 4-byte Folded Reload
	s_wait_dscnt 0x6
	v_add_f32_e32 v23, v2, v4
	ds_bpermute_b32 v56, v57, v30
	ds_bpermute_b32 v2, v57, v29
	v_add_f32_e32 v19, v0, v35
	ds_bpermute_b32 v53, v57, v46
	ds_bpermute_b32 v57, v57, v55
	s_wait_dscnt 0x8
	v_add_f32_e32 v10, v28, v33
	s_wait_dscnt 0x7
	v_add_f32_e32 v18, v1, v37
	v_add_f32_e32 v13, v9, v34
	s_wait_dscnt 0x6
	v_add_f32_e32 v7, v25, v50
	s_wait_dscnt 0x5
	v_add_f32_e32 v9, v27, v32
	s_wait_storecnt 0x0
	s_wait_loadcnt_dscnt 0x0
	v_add_f32_e32 v3, v48, v54
	s_barrier_signal -1
	s_barrier_wait -1
	global_inv scope:SCOPE_SE
	v_dual_add_f32 v0, v30, v56 :: v_dual_add_f32 v1, v29, v2
	v_add_f32_e32 v4, v46, v53
	v_dual_add_f32 v2, v55, v57 :: v_dual_and_b32 v25, 28, v24
	v_lshrrev_b32_e32 v24, 2, v24
	v_lshlrev_b32_e32 v26, 10, v26
	v_and_b32_e32 v27, 0x3c3, v36
	s_delay_alu instid0(VALU_DEP_4) | instskip(NEXT) | instid1(VALU_DEP_2)
	v_add_nc_u32_e32 v25, 0x220, v25
	v_cmpx_eq_u32_e32 64, v27
	s_cbranch_execz .LBB366_96
; %bb.95:
	s_delay_alu instid0(VALU_DEP_2) | instskip(NEXT) | instid1(VALU_DEP_1)
	v_add_nc_u32_e32 v27, v25, v26
	v_add_nc_u32_e32 v28, 0xfffff800, v27
	;; [unrolled: 1-line block ×9, first 2 shown]
	ds_store_b32 v28, v45
	ds_store_b32 v29, v44
	ds_store_b32 v30, v43
	ds_store_b32 v31, v42
	ds_store_b32 v32, v41
	ds_store_b32 v33, v39
	ds_store_b32 v34, v38
	ds_store_b32 v35, v40
	v_add_nc_u32_e32 v28, 0xfffff900, v27
	v_add_nc_u32_e32 v29, 0xfffff920, v27
	v_add_nc_u32_e32 v30, 0xfffff940, v27
	v_add_nc_u32_e32 v31, 0xfffff960, v27
	v_add_nc_u32_e32 v32, 0xfffff980, v27
	v_add_nc_u32_e32 v33, 0xfffff9a0, v27
	v_add_nc_u32_e32 v34, 0xfffff9c0, v27
	v_add_nc_u32_e32 v35, 0xfffff9e0, v27
	ds_store_b32 v28, v16
	ds_store_b32 v29, v14
	ds_store_b32 v30, v12
	ds_store_b32 v31, v11
	ds_store_b32 v32, v23
	ds_store_b32 v33, v21
	ds_store_b32 v34, v22
	ds_store_b32 v35, v20
	v_add_nc_u32_e32 v28, 0xfffffa00, v27
	v_add_nc_u32_e32 v29, 0xfffffa20, v27
	v_add_nc_u32_e32 v30, 0xfffffa40, v27
	v_add_nc_u32_e32 v31, 0xfffffa60, v27
	v_add_nc_u32_e32 v32, 0xfffffa80, v27
	v_add_nc_u32_e32 v33, 0xfffffaa0, v27
	v_add_nc_u32_e32 v34, 0xfffffac0, v27
	v_add_nc_u32_e32 v35, 0xfffffae0, v27
	ds_store_b32 v28, v19
	ds_store_b32 v29, v18
	ds_store_b32 v30, v17
	ds_store_b32 v31, v15
	ds_store_b32 v32, v13
	ds_store_b32 v33, v10
	ds_store_b32 v34, v9
	ds_store_b32 v35, v8
	v_add_nc_u32_e32 v28, 0xfffffb00, v27
	v_add_nc_u32_e32 v29, 0xfffffb20, v27
	v_add_nc_u32_e32 v30, 0xfffffb40, v27
	v_add_nc_u32_e32 v31, 0xfffffb60, v27
	v_add_nc_u32_e32 v32, 0xfffffb80, v27
	v_add_nc_u32_e32 v33, 0xfffffba0, v27
	v_add_nc_u32_e32 v34, 0xfffffbc0, v27
	v_add_nc_u32_e32 v27, 0xfffffbe0, v27
	ds_store_b32 v28, v7
	ds_store_b32 v29, v6
	;; [unrolled: 1-line block ×8, first 2 shown]
.LBB366_96:
	s_wait_alu 0xfffe
	s_or_b32 exec_lo, exec_lo, s0
	v_lshlrev_b32_e32 v24, 2, v24
	v_and_b32_e32 v27, 3, v36
	s_mov_b32 s1, exec_lo
	s_wait_loadcnt_dscnt 0x0
	s_barrier_signal -1
	v_add3_u32 v24, 0x220, v26, v24
	v_cmp_eq_u32_e32 vcc_lo, 0, v27
	s_barrier_wait -1
	global_inv scope:SCOPE_SE
	v_cmpx_gt_u32_e32 64, v36
	s_cbranch_execz .LBB366_131
; %bb.97:
	s_and_saveexec_b32 s0, vcc_lo
	s_cbranch_execnz .LBB366_171
; %bb.98:
	s_wait_alu 0xfffe
	s_or_b32 exec_lo, exec_lo, s0
	s_and_saveexec_b32 s0, vcc_lo
	s_cbranch_execnz .LBB366_172
.LBB366_99:
	s_wait_alu 0xfffe
	s_or_b32 exec_lo, exec_lo, s0
	s_and_saveexec_b32 s0, vcc_lo
	s_cbranch_execnz .LBB366_173
.LBB366_100:
	s_wait_alu 0xfffe
	s_or_b32 exec_lo, exec_lo, s0
	s_and_saveexec_b32 s0, vcc_lo
	s_cbranch_execnz .LBB366_174
.LBB366_101:
	s_wait_alu 0xfffe
	s_or_b32 exec_lo, exec_lo, s0
	s_and_saveexec_b32 s0, vcc_lo
	s_cbranch_execnz .LBB366_175
.LBB366_102:
	s_wait_alu 0xfffe
	s_or_b32 exec_lo, exec_lo, s0
	s_and_saveexec_b32 s0, vcc_lo
	s_cbranch_execnz .LBB366_176
.LBB366_103:
	s_wait_alu 0xfffe
	s_or_b32 exec_lo, exec_lo, s0
	s_and_saveexec_b32 s0, vcc_lo
	s_cbranch_execnz .LBB366_177
.LBB366_104:
	s_wait_alu 0xfffe
	s_or_b32 exec_lo, exec_lo, s0
	s_and_saveexec_b32 s0, vcc_lo
	s_cbranch_execnz .LBB366_178
.LBB366_105:
	s_wait_alu 0xfffe
	s_or_b32 exec_lo, exec_lo, s0
	s_and_saveexec_b32 s0, vcc_lo
	s_cbranch_execnz .LBB366_179
.LBB366_106:
	s_wait_alu 0xfffe
	s_or_b32 exec_lo, exec_lo, s0
	s_and_saveexec_b32 s0, vcc_lo
	s_cbranch_execnz .LBB366_180
.LBB366_107:
	s_wait_alu 0xfffe
	s_or_b32 exec_lo, exec_lo, s0
	s_and_saveexec_b32 s0, vcc_lo
	s_cbranch_execnz .LBB366_181
.LBB366_108:
	s_wait_alu 0xfffe
	s_or_b32 exec_lo, exec_lo, s0
	s_and_saveexec_b32 s0, vcc_lo
	s_cbranch_execnz .LBB366_182
.LBB366_109:
	s_wait_alu 0xfffe
	s_or_b32 exec_lo, exec_lo, s0
	s_and_saveexec_b32 s0, vcc_lo
	s_cbranch_execnz .LBB366_183
.LBB366_110:
	s_wait_alu 0xfffe
	s_or_b32 exec_lo, exec_lo, s0
	s_and_saveexec_b32 s0, vcc_lo
	s_cbranch_execnz .LBB366_184
.LBB366_111:
	s_wait_alu 0xfffe
	s_or_b32 exec_lo, exec_lo, s0
	s_and_saveexec_b32 s0, vcc_lo
	s_cbranch_execnz .LBB366_185
.LBB366_112:
	s_wait_alu 0xfffe
	s_or_b32 exec_lo, exec_lo, s0
	s_and_saveexec_b32 s0, vcc_lo
	s_cbranch_execnz .LBB366_186
.LBB366_113:
	s_wait_alu 0xfffe
	s_or_b32 exec_lo, exec_lo, s0
	s_and_saveexec_b32 s0, vcc_lo
	s_cbranch_execnz .LBB366_187
.LBB366_114:
	s_wait_alu 0xfffe
	s_or_b32 exec_lo, exec_lo, s0
	s_and_saveexec_b32 s0, vcc_lo
	s_cbranch_execnz .LBB366_188
.LBB366_115:
	s_wait_alu 0xfffe
	s_or_b32 exec_lo, exec_lo, s0
	s_and_saveexec_b32 s0, vcc_lo
	s_cbranch_execnz .LBB366_189
.LBB366_116:
	s_wait_alu 0xfffe
	s_or_b32 exec_lo, exec_lo, s0
	s_and_saveexec_b32 s0, vcc_lo
	s_cbranch_execnz .LBB366_190
.LBB366_117:
	s_wait_alu 0xfffe
	s_or_b32 exec_lo, exec_lo, s0
	s_and_saveexec_b32 s0, vcc_lo
	s_cbranch_execnz .LBB366_191
.LBB366_118:
	s_wait_alu 0xfffe
	s_or_b32 exec_lo, exec_lo, s0
	s_and_saveexec_b32 s0, vcc_lo
	s_cbranch_execnz .LBB366_192
.LBB366_119:
	s_wait_alu 0xfffe
	s_or_b32 exec_lo, exec_lo, s0
	s_and_saveexec_b32 s0, vcc_lo
	s_cbranch_execnz .LBB366_193
.LBB366_120:
	s_wait_alu 0xfffe
	s_or_b32 exec_lo, exec_lo, s0
	s_and_saveexec_b32 s0, vcc_lo
	s_cbranch_execnz .LBB366_194
.LBB366_121:
	s_wait_alu 0xfffe
	s_or_b32 exec_lo, exec_lo, s0
	s_and_saveexec_b32 s0, vcc_lo
	s_cbranch_execnz .LBB366_195
.LBB366_122:
	s_wait_alu 0xfffe
	s_or_b32 exec_lo, exec_lo, s0
	s_and_saveexec_b32 s0, vcc_lo
	s_cbranch_execnz .LBB366_196
.LBB366_123:
	s_wait_alu 0xfffe
	s_or_b32 exec_lo, exec_lo, s0
	s_and_saveexec_b32 s0, vcc_lo
	s_cbranch_execnz .LBB366_197
.LBB366_124:
	s_wait_alu 0xfffe
	s_or_b32 exec_lo, exec_lo, s0
	s_and_saveexec_b32 s0, vcc_lo
	s_cbranch_execnz .LBB366_198
.LBB366_125:
	s_wait_alu 0xfffe
	s_or_b32 exec_lo, exec_lo, s0
	s_and_saveexec_b32 s0, vcc_lo
	s_cbranch_execnz .LBB366_199
.LBB366_126:
	s_wait_alu 0xfffe
	s_or_b32 exec_lo, exec_lo, s0
	s_and_saveexec_b32 s0, vcc_lo
	s_cbranch_execnz .LBB366_200
.LBB366_127:
	s_wait_alu 0xfffe
	s_or_b32 exec_lo, exec_lo, s0
	s_and_saveexec_b32 s0, vcc_lo
	s_cbranch_execnz .LBB366_201
.LBB366_128:
	s_wait_alu 0xfffe
	s_or_b32 exec_lo, exec_lo, s0
	s_and_saveexec_b32 s0, vcc_lo
	s_cbranch_execz .LBB366_130
.LBB366_129:
	ds_load_b32 v26, v24 offset:992
	s_wait_dscnt 0x0
	v_add_f32_e32 v2, v2, v26
.LBB366_130:
	s_wait_alu 0xfffe
	s_or_b32 exec_lo, exec_lo, s0
.LBB366_131:
	s_wait_alu 0xfffe
	s_or_b32 exec_lo, exec_lo, s1
	v_and_b32_e32 v26, 0x3e3, v36
	s_mov_b32 s1, exec_lo
	s_wait_loadcnt 0x0
	s_barrier_signal -1
	s_barrier_wait -1
	global_inv scope:SCOPE_SE
	v_cmpx_eq_u32_e32 32, v26
	s_cbranch_execz .LBB366_133
; %bb.132:
	ds_store_2addr_b32 v25, v45, v44 offset1:8
	ds_store_2addr_b32 v25, v43, v42 offset0:16 offset1:24
	ds_store_2addr_b32 v25, v41, v39 offset0:32 offset1:40
	;; [unrolled: 1-line block ×15, first 2 shown]
.LBB366_133:
	s_wait_alu 0xfffe
	s_or_b32 exec_lo, exec_lo, s1
	s_wait_loadcnt_dscnt 0x0
	s_barrier_signal -1
	s_barrier_wait -1
	global_inv scope:SCOPE_SE
	s_and_saveexec_b32 s0, s2
	s_cbranch_execz .LBB366_168
; %bb.134:
	s_and_saveexec_b32 s1, vcc_lo
	s_cbranch_execnz .LBB366_202
; %bb.135:
	s_wait_alu 0xfffe
	s_or_b32 exec_lo, exec_lo, s1
	s_and_saveexec_b32 s1, vcc_lo
	s_cbranch_execnz .LBB366_203
.LBB366_136:
	s_wait_alu 0xfffe
	s_or_b32 exec_lo, exec_lo, s1
	s_and_saveexec_b32 s1, vcc_lo
	s_cbranch_execnz .LBB366_204
.LBB366_137:
	s_wait_alu 0xfffe
	s_or_b32 exec_lo, exec_lo, s1
	s_and_saveexec_b32 s1, vcc_lo
	s_cbranch_execnz .LBB366_205
.LBB366_138:
	s_wait_alu 0xfffe
	s_or_b32 exec_lo, exec_lo, s1
	s_and_saveexec_b32 s1, vcc_lo
	s_cbranch_execnz .LBB366_206
.LBB366_139:
	s_wait_alu 0xfffe
	s_or_b32 exec_lo, exec_lo, s1
	s_and_saveexec_b32 s1, vcc_lo
	s_cbranch_execnz .LBB366_207
.LBB366_140:
	s_wait_alu 0xfffe
	s_or_b32 exec_lo, exec_lo, s1
	s_and_saveexec_b32 s1, vcc_lo
	s_cbranch_execnz .LBB366_208
.LBB366_141:
	s_wait_alu 0xfffe
	s_or_b32 exec_lo, exec_lo, s1
	s_and_saveexec_b32 s1, vcc_lo
	s_cbranch_execnz .LBB366_209
.LBB366_142:
	s_wait_alu 0xfffe
	s_or_b32 exec_lo, exec_lo, s1
	s_and_saveexec_b32 s1, vcc_lo
	s_cbranch_execnz .LBB366_210
.LBB366_143:
	s_wait_alu 0xfffe
	s_or_b32 exec_lo, exec_lo, s1
	s_and_saveexec_b32 s1, vcc_lo
	s_cbranch_execnz .LBB366_211
.LBB366_144:
	s_wait_alu 0xfffe
	s_or_b32 exec_lo, exec_lo, s1
	s_and_saveexec_b32 s1, vcc_lo
	s_cbranch_execnz .LBB366_212
.LBB366_145:
	s_wait_alu 0xfffe
	s_or_b32 exec_lo, exec_lo, s1
	s_and_saveexec_b32 s1, vcc_lo
	s_cbranch_execnz .LBB366_213
.LBB366_146:
	s_wait_alu 0xfffe
	s_or_b32 exec_lo, exec_lo, s1
	s_and_saveexec_b32 s1, vcc_lo
	s_cbranch_execnz .LBB366_214
.LBB366_147:
	s_wait_alu 0xfffe
	s_or_b32 exec_lo, exec_lo, s1
	s_and_saveexec_b32 s1, vcc_lo
	s_cbranch_execnz .LBB366_215
.LBB366_148:
	s_wait_alu 0xfffe
	s_or_b32 exec_lo, exec_lo, s1
	s_and_saveexec_b32 s1, vcc_lo
	s_cbranch_execnz .LBB366_216
.LBB366_149:
	s_wait_alu 0xfffe
	s_or_b32 exec_lo, exec_lo, s1
	s_and_saveexec_b32 s1, vcc_lo
	s_cbranch_execnz .LBB366_217
.LBB366_150:
	s_wait_alu 0xfffe
	s_or_b32 exec_lo, exec_lo, s1
	s_and_saveexec_b32 s1, vcc_lo
	s_cbranch_execnz .LBB366_218
.LBB366_151:
	s_wait_alu 0xfffe
	s_or_b32 exec_lo, exec_lo, s1
	s_and_saveexec_b32 s1, vcc_lo
	s_cbranch_execnz .LBB366_219
.LBB366_152:
	s_wait_alu 0xfffe
	s_or_b32 exec_lo, exec_lo, s1
	s_and_saveexec_b32 s1, vcc_lo
	s_cbranch_execnz .LBB366_220
.LBB366_153:
	s_wait_alu 0xfffe
	s_or_b32 exec_lo, exec_lo, s1
	s_and_saveexec_b32 s1, vcc_lo
	s_cbranch_execnz .LBB366_221
.LBB366_154:
	s_wait_alu 0xfffe
	s_or_b32 exec_lo, exec_lo, s1
	s_and_saveexec_b32 s1, vcc_lo
	s_cbranch_execnz .LBB366_222
.LBB366_155:
	s_wait_alu 0xfffe
	s_or_b32 exec_lo, exec_lo, s1
	s_and_saveexec_b32 s1, vcc_lo
	s_cbranch_execnz .LBB366_223
.LBB366_156:
	s_wait_alu 0xfffe
	s_or_b32 exec_lo, exec_lo, s1
	s_and_saveexec_b32 s1, vcc_lo
	s_cbranch_execnz .LBB366_224
.LBB366_157:
	s_wait_alu 0xfffe
	s_or_b32 exec_lo, exec_lo, s1
	s_and_saveexec_b32 s1, vcc_lo
	s_cbranch_execnz .LBB366_225
.LBB366_158:
	s_wait_alu 0xfffe
	s_or_b32 exec_lo, exec_lo, s1
	s_and_saveexec_b32 s1, vcc_lo
	s_cbranch_execnz .LBB366_226
.LBB366_159:
	s_wait_alu 0xfffe
	s_or_b32 exec_lo, exec_lo, s1
	s_and_saveexec_b32 s1, vcc_lo
	s_cbranch_execnz .LBB366_227
.LBB366_160:
	s_wait_alu 0xfffe
	s_or_b32 exec_lo, exec_lo, s1
	s_and_saveexec_b32 s1, vcc_lo
	s_cbranch_execnz .LBB366_228
.LBB366_161:
	s_wait_alu 0xfffe
	s_or_b32 exec_lo, exec_lo, s1
	s_and_saveexec_b32 s1, vcc_lo
	s_cbranch_execnz .LBB366_229
.LBB366_162:
	s_wait_alu 0xfffe
	s_or_b32 exec_lo, exec_lo, s1
	s_and_saveexec_b32 s1, vcc_lo
	s_cbranch_execnz .LBB366_230
.LBB366_163:
	s_wait_alu 0xfffe
	s_or_b32 exec_lo, exec_lo, s1
	s_and_saveexec_b32 s1, vcc_lo
	s_cbranch_execnz .LBB366_231
.LBB366_164:
	s_wait_alu 0xfffe
	s_or_b32 exec_lo, exec_lo, s1
	s_and_saveexec_b32 s1, vcc_lo
	s_cbranch_execnz .LBB366_232
.LBB366_165:
	s_wait_alu 0xfffe
	s_or_b32 exec_lo, exec_lo, s1
	s_and_saveexec_b32 s1, vcc_lo
	s_cbranch_execz .LBB366_167
.LBB366_166:
	ds_load_b32 v24, v24 offset:992
	s_wait_dscnt 0x0
	v_add_f32_e32 v2, v2, v24
.LBB366_167:
	s_wait_alu 0xfffe
	s_or_b32 exec_lo, exec_lo, s1
.LBB366_168:
	s_wait_alu 0xfffe
	s_or_b32 exec_lo, exec_lo, s0
	s_mov_b32 s17, 0
	s_wait_loadcnt 0x0
	s_barrier_signal -1
	s_barrier_wait -1
	global_inv scope:SCOPE_SE
	s_mov_b32 s0, exec_lo
	v_cmpx_eq_u32_e32 0, v26
	s_cbranch_execz .LBB366_170
; %bb.169:
	v_bfe_u32 v24, v45, 16, 1
	v_bfe_u32 v25, v44, 16, 1
	v_or_b32_e32 v27, 0x400000, v45
	v_cmp_u_f32_e32 vcc_lo, v45, v45
	v_or_b32_e32 v28, 0x400000, v44
	v_add3_u32 v24, v24, v45, 0x7fff
	v_add3_u32 v25, v25, v44, 0x7fff
	v_bfe_u32 v29, v43, 16, 1
	v_bfe_u32 v30, v41, 16, 1
	v_or_b32_e32 v31, 0x400000, v42
	s_wait_alu 0xfffd
	v_cndmask_b32_e32 v24, v24, v27, vcc_lo
	v_cmp_u_f32_e32 vcc_lo, v44, v44
	v_bfe_u32 v27, v42, 16, 1
	v_bfe_u32 v32, v38, 16, 1
	v_or_b32_e32 v33, 0x400000, v39
	v_or_b32_e32 v35, 0x400000, v40
	s_wait_alu 0xfffd
	v_cndmask_b32_e32 v25, v25, v28, vcc_lo
	v_add3_u32 v28, v29, v43, 0x7fff
	v_or_b32_e32 v29, 0x400000, v43
	v_cmp_u_f32_e32 vcc_lo, v43, v43
	v_add3_u32 v27, v27, v42, 0x7fff
	s_lshl_b32 s0, s4, 8
	s_mul_i32 s2, s12, s18
	s_wait_alu 0xfffe
	s_ashr_i32 s1, s0, 31
	s_wait_alu 0xfffd
	v_cndmask_b32_e32 v28, v28, v29, vcc_lo
	v_cmp_u_f32_e32 vcc_lo, v42, v42
	v_add3_u32 v29, v30, v41, 0x7fff
	v_or_b32_e32 v30, 0x400000, v41
	v_add3_u32 v32, v32, v38, 0x7fff
	v_or_b32_e32 v34, 0x400000, v38
	s_wait_alu 0xfffd
	v_cndmask_b32_e32 v27, v27, v31, vcc_lo
	v_bfe_u32 v31, v39, 16, 1
	v_cmp_u_f32_e32 vcc_lo, v41, v41
	s_ashr_i32 s3, s2, 31
	s_wait_alu 0xfffe
	s_lshl_b64 s[0:1], s[0:1], 1
	s_lshl_b64 s[2:3], s[2:3], 1
	v_add3_u32 v31, v31, v39, 0x7fff
	s_wait_alu 0xfffd
	v_cndmask_b32_e32 v29, v29, v30, vcc_lo
	v_cmp_u_f32_e32 vcc_lo, v39, v39
	v_bfe_u32 v30, v40, 16, 1
	s_wait_alu 0xfffe
	s_add_nc_u64 s[0:1], s[14:15], s[0:1]
	v_lshrrev_b32_e32 v26, 1, v36
	s_wait_alu 0xfffe
	s_add_nc_u64 s[0:1], s[0:1], s[2:3]
	s_wait_alu 0xfffd
	v_cndmask_b32_e32 v31, v31, v33, vcc_lo
	v_cmp_u_f32_e32 vcc_lo, v38, v38
	v_add3_u32 v30, v30, v40, 0x7fff
	v_bfe_u32 v33, v16, 16, 1
	s_wait_alu 0xfffe
	s_add_nc_u64 s[0:1], s[0:1], s[16:17]
	s_wait_alu 0xfffd
	v_cndmask_b32_e32 v32, v32, v34, vcc_lo
	v_cmp_u_f32_e32 vcc_lo, v40, v40
	v_bfe_u32 v34, v14, 16, 1
	s_wait_alu 0xfffd
	v_cndmask_b32_e32 v30, v30, v35, vcc_lo
	s_clause 0x7
	global_store_d16_hi_b16 v26, v24, s[0:1]
	global_store_d16_hi_b16 v26, v25, s[0:1] offset:16
	global_store_d16_hi_b16 v26, v28, s[0:1] offset:32
	;; [unrolled: 1-line block ×7, first 2 shown]
	v_add3_u32 v24, v33, v16, 0x7fff
	v_or_b32_e32 v25, 0x400000, v16
	v_cmp_u_f32_e32 vcc_lo, v16, v16
	v_add3_u32 v27, v34, v14, 0x7fff
	v_or_b32_e32 v28, 0x400000, v14
	v_bfe_u32 v29, v12, 16, 1
	v_or_b32_e32 v30, 0x400000, v20
	s_wait_alu 0xfffd
	v_cndmask_b32_e32 v16, v24, v25, vcc_lo
	v_bfe_u32 v24, v11, 16, 1
	v_cmp_u_f32_e32 vcc_lo, v14, v14
	v_add3_u32 v25, v29, v12, 0x7fff
	v_or_b32_e32 v29, 0x400000, v11
	s_delay_alu instid0(VALU_DEP_4)
	v_add3_u32 v24, v24, v11, 0x7fff
	s_wait_alu 0xfffd
	v_cndmask_b32_e32 v14, v27, v28, vcc_lo
	v_or_b32_e32 v27, 0x400000, v12
	v_cmp_u_f32_e32 vcc_lo, v12, v12
	v_bfe_u32 v28, v23, 16, 1
	s_wait_alu 0xfffd
	s_delay_alu instid0(VALU_DEP_3) | instskip(SKIP_1) | instid1(VALU_DEP_3)
	v_cndmask_b32_e32 v12, v25, v27, vcc_lo
	v_cmp_u_f32_e32 vcc_lo, v11, v11
	v_add3_u32 v25, v28, v23, 0x7fff
	v_or_b32_e32 v27, 0x400000, v23
	v_bfe_u32 v28, v22, 16, 1
	s_wait_alu 0xfffd
	v_cndmask_b32_e32 v11, v24, v29, vcc_lo
	v_bfe_u32 v24, v21, 16, 1
	v_cmp_u_f32_e32 vcc_lo, v23, v23
	v_add3_u32 v28, v28, v22, 0x7fff
	v_or_b32_e32 v29, 0x400000, v22
	s_delay_alu instid0(VALU_DEP_4)
	v_add3_u32 v24, v24, v21, 0x7fff
	s_wait_alu 0xfffd
	v_cndmask_b32_e32 v23, v25, v27, vcc_lo
	v_bfe_u32 v25, v20, 16, 1
	v_or_b32_e32 v27, 0x400000, v21
	v_cmp_u_f32_e32 vcc_lo, v21, v21
	s_delay_alu instid0(VALU_DEP_3) | instskip(SKIP_1) | instid1(VALU_DEP_3)
	v_add3_u32 v25, v25, v20, 0x7fff
	s_wait_alu 0xfffd
	v_cndmask_b32_e32 v21, v24, v27, vcc_lo
	v_cmp_u_f32_e32 vcc_lo, v22, v22
	v_bfe_u32 v24, v19, 16, 1
	s_wait_alu 0xfffd
	v_cndmask_b32_e32 v22, v28, v29, vcc_lo
	v_cmp_u_f32_e32 vcc_lo, v20, v20
	s_wait_alu 0xfffd
	v_cndmask_b32_e32 v20, v25, v30, vcc_lo
	v_bfe_u32 v25, v18, 16, 1
	s_clause 0x7
	global_store_d16_hi_b16 v26, v16, s[0:1] offset:128
	global_store_d16_hi_b16 v26, v14, s[0:1] offset:144
	;; [unrolled: 1-line block ×8, first 2 shown]
	v_add3_u32 v11, v24, v19, 0x7fff
	v_or_b32_e32 v12, 0x400000, v19
	v_cmp_u_f32_e32 vcc_lo, v19, v19
	v_add3_u32 v14, v25, v18, 0x7fff
	v_or_b32_e32 v16, 0x400000, v18
	v_bfe_u32 v20, v17, 16, 1
	v_bfe_u32 v19, v13, 16, 1
	s_wait_alu 0xfffd
	v_cndmask_b32_e32 v11, v11, v12, vcc_lo
	v_cmp_u_f32_e32 vcc_lo, v18, v18
	v_bfe_u32 v12, v15, 16, 1
	v_or_b32_e32 v18, 0x400000, v17
	v_or_b32_e32 v21, 0x400000, v8
	s_wait_alu 0xfffd
	v_cndmask_b32_e32 v14, v14, v16, vcc_lo
	v_add3_u32 v16, v20, v17, 0x7fff
	v_cmp_u_f32_e32 vcc_lo, v17, v17
	v_add3_u32 v12, v12, v15, 0x7fff
	v_or_b32_e32 v20, 0x400000, v15
	v_add3_u32 v17, v19, v13, 0x7fff
	v_bfe_u32 v19, v9, 16, 1
	s_wait_alu 0xfffd
	v_cndmask_b32_e32 v16, v16, v18, vcc_lo
	v_cmp_u_f32_e32 vcc_lo, v15, v15
	v_or_b32_e32 v18, 0x400000, v13
	v_bfe_u32 v15, v10, 16, 1
	v_add3_u32 v19, v19, v9, 0x7fff
	s_wait_alu 0xfffd
	v_cndmask_b32_e32 v12, v12, v20, vcc_lo
	v_cmp_u_f32_e32 vcc_lo, v13, v13
	v_add3_u32 v15, v15, v10, 0x7fff
	v_or_b32_e32 v20, 0x400000, v9
	s_wait_alu 0xfffd
	v_cndmask_b32_e32 v13, v17, v18, vcc_lo
	v_or_b32_e32 v18, 0x400000, v10
	v_cmp_u_f32_e32 vcc_lo, v10, v10
	v_bfe_u32 v17, v8, 16, 1
	s_wait_alu 0xfffd
	s_delay_alu instid0(VALU_DEP_3) | instskip(SKIP_1) | instid1(VALU_DEP_3)
	v_cndmask_b32_e32 v10, v15, v18, vcc_lo
	v_cmp_u_f32_e32 vcc_lo, v9, v9
	v_add3_u32 v17, v17, v8, 0x7fff
	v_bfe_u32 v15, v7, 16, 1
	s_wait_alu 0xfffd
	v_cndmask_b32_e32 v9, v19, v20, vcc_lo
	v_cmp_u_f32_e32 vcc_lo, v8, v8
	s_wait_alu 0xfffd
	v_cndmask_b32_e32 v8, v17, v21, vcc_lo
	v_bfe_u32 v17, v6, 16, 1
	s_clause 0x7
	global_store_d16_hi_b16 v26, v11, s[0:1] offset:256
	global_store_d16_hi_b16 v26, v14, s[0:1] offset:272
	;; [unrolled: 1-line block ×8, first 2 shown]
	v_add3_u32 v8, v15, v7, 0x7fff
	v_or_b32_e32 v9, 0x400000, v7
	v_cmp_u_f32_e32 vcc_lo, v7, v7
	v_add3_u32 v10, v17, v6, 0x7fff
	v_or_b32_e32 v11, 0x400000, v6
	v_bfe_u32 v12, v5, 16, 1
	v_or_b32_e32 v13, 0x400000, v2
	s_wait_alu 0xfffd
	v_cndmask_b32_e32 v7, v8, v9, vcc_lo
	v_cmp_u_f32_e32 vcc_lo, v6, v6
	v_bfe_u32 v8, v4, 16, 1
	v_add3_u32 v9, v12, v5, 0x7fff
	v_or_b32_e32 v12, 0x400000, v4
	s_wait_alu 0xfffd
	v_cndmask_b32_e32 v6, v10, v11, vcc_lo
	v_or_b32_e32 v10, 0x400000, v5
	v_cmp_u_f32_e32 vcc_lo, v5, v5
	v_bfe_u32 v11, v3, 16, 1
	v_add3_u32 v8, v8, v4, 0x7fff
	s_wait_alu 0xfffd
	v_cndmask_b32_e32 v5, v9, v10, vcc_lo
	v_cmp_u_f32_e32 vcc_lo, v4, v4
	v_add3_u32 v9, v11, v3, 0x7fff
	v_or_b32_e32 v10, 0x400000, v3
	v_bfe_u32 v11, v1, 16, 1
	s_wait_alu 0xfffd
	v_cndmask_b32_e32 v4, v8, v12, vcc_lo
	v_bfe_u32 v8, v0, 16, 1
	v_cmp_u_f32_e32 vcc_lo, v3, v3
	v_add3_u32 v11, v11, v1, 0x7fff
	v_or_b32_e32 v12, 0x400000, v1
	s_delay_alu instid0(VALU_DEP_4)
	v_add3_u32 v8, v8, v0, 0x7fff
	s_wait_alu 0xfffd
	v_cndmask_b32_e32 v3, v9, v10, vcc_lo
	v_or_b32_e32 v10, 0x400000, v0
	v_cmp_u_f32_e32 vcc_lo, v0, v0
	v_bfe_u32 v9, v2, 16, 1
	s_wait_alu 0xfffd
	s_delay_alu instid0(VALU_DEP_3) | instskip(SKIP_1) | instid1(VALU_DEP_3)
	v_cndmask_b32_e32 v0, v8, v10, vcc_lo
	v_cmp_u_f32_e32 vcc_lo, v1, v1
	v_add3_u32 v9, v9, v2, 0x7fff
	s_wait_alu 0xfffd
	v_cndmask_b32_e32 v1, v11, v12, vcc_lo
	v_cmp_u_f32_e32 vcc_lo, v2, v2
	s_wait_alu 0xfffd
	v_cndmask_b32_e32 v2, v9, v13, vcc_lo
	s_clause 0x7
	global_store_d16_hi_b16 v26, v7, s[0:1] offset:384
	global_store_d16_hi_b16 v26, v6, s[0:1] offset:400
	;; [unrolled: 1-line block ×8, first 2 shown]
.LBB366_170:
	s_nop 0
	s_sendmsg sendmsg(MSG_DEALLOC_VGPRS)
	s_endpgm
.LBB366_171:
	ds_load_b32 v26, v24
	s_wait_dscnt 0x0
	v_add_f32_e32 v45, v45, v26
	s_wait_alu 0xfffe
	s_or_b32 exec_lo, exec_lo, s0
	s_and_saveexec_b32 s0, vcc_lo
	s_cbranch_execz .LBB366_99
.LBB366_172:
	ds_load_b32 v26, v24 offset:32
	s_wait_dscnt 0x0
	v_add_f32_e32 v44, v44, v26
	s_wait_alu 0xfffe
	s_or_b32 exec_lo, exec_lo, s0
	s_and_saveexec_b32 s0, vcc_lo
	s_cbranch_execz .LBB366_100
.LBB366_173:
	ds_load_b32 v26, v24 offset:64
	s_wait_dscnt 0x0
	v_add_f32_e32 v43, v43, v26
	s_wait_alu 0xfffe
	s_or_b32 exec_lo, exec_lo, s0
	s_and_saveexec_b32 s0, vcc_lo
	s_cbranch_execz .LBB366_101
.LBB366_174:
	ds_load_b32 v26, v24 offset:96
	s_wait_dscnt 0x0
	v_add_f32_e32 v42, v42, v26
	s_wait_alu 0xfffe
	s_or_b32 exec_lo, exec_lo, s0
	s_and_saveexec_b32 s0, vcc_lo
	s_cbranch_execz .LBB366_102
.LBB366_175:
	ds_load_b32 v26, v24 offset:128
	s_wait_dscnt 0x0
	v_add_f32_e32 v41, v41, v26
	s_wait_alu 0xfffe
	s_or_b32 exec_lo, exec_lo, s0
	s_and_saveexec_b32 s0, vcc_lo
	s_cbranch_execz .LBB366_103
.LBB366_176:
	ds_load_b32 v26, v24 offset:160
	s_wait_dscnt 0x0
	v_add_f32_e32 v39, v39, v26
	s_wait_alu 0xfffe
	s_or_b32 exec_lo, exec_lo, s0
	s_and_saveexec_b32 s0, vcc_lo
	s_cbranch_execz .LBB366_104
.LBB366_177:
	ds_load_b32 v26, v24 offset:192
	s_wait_dscnt 0x0
	v_add_f32_e32 v38, v38, v26
	s_wait_alu 0xfffe
	s_or_b32 exec_lo, exec_lo, s0
	s_and_saveexec_b32 s0, vcc_lo
	s_cbranch_execz .LBB366_105
.LBB366_178:
	ds_load_b32 v26, v24 offset:224
	s_wait_dscnt 0x0
	v_add_f32_e32 v40, v40, v26
	s_wait_alu 0xfffe
	s_or_b32 exec_lo, exec_lo, s0
	s_and_saveexec_b32 s0, vcc_lo
	s_cbranch_execz .LBB366_106
.LBB366_179:
	ds_load_b32 v26, v24 offset:256
	s_wait_dscnt 0x0
	v_add_f32_e32 v16, v16, v26
	s_wait_alu 0xfffe
	s_or_b32 exec_lo, exec_lo, s0
	s_and_saveexec_b32 s0, vcc_lo
	s_cbranch_execz .LBB366_107
.LBB366_180:
	ds_load_b32 v26, v24 offset:288
	s_wait_dscnt 0x0
	v_add_f32_e32 v14, v14, v26
	s_wait_alu 0xfffe
	s_or_b32 exec_lo, exec_lo, s0
	s_and_saveexec_b32 s0, vcc_lo
	s_cbranch_execz .LBB366_108
.LBB366_181:
	ds_load_b32 v26, v24 offset:320
	s_wait_dscnt 0x0
	v_add_f32_e32 v12, v12, v26
	s_wait_alu 0xfffe
	s_or_b32 exec_lo, exec_lo, s0
	s_and_saveexec_b32 s0, vcc_lo
	s_cbranch_execz .LBB366_109
.LBB366_182:
	ds_load_b32 v26, v24 offset:352
	s_wait_dscnt 0x0
	v_add_f32_e32 v11, v11, v26
	s_wait_alu 0xfffe
	s_or_b32 exec_lo, exec_lo, s0
	s_and_saveexec_b32 s0, vcc_lo
	s_cbranch_execz .LBB366_110
.LBB366_183:
	ds_load_b32 v26, v24 offset:384
	s_wait_dscnt 0x0
	v_add_f32_e32 v23, v23, v26
	s_wait_alu 0xfffe
	s_or_b32 exec_lo, exec_lo, s0
	s_and_saveexec_b32 s0, vcc_lo
	s_cbranch_execz .LBB366_111
.LBB366_184:
	ds_load_b32 v26, v24 offset:416
	s_wait_dscnt 0x0
	v_add_f32_e32 v21, v21, v26
	s_wait_alu 0xfffe
	s_or_b32 exec_lo, exec_lo, s0
	s_and_saveexec_b32 s0, vcc_lo
	s_cbranch_execz .LBB366_112
.LBB366_185:
	ds_load_b32 v26, v24 offset:448
	s_wait_dscnt 0x0
	v_add_f32_e32 v22, v22, v26
	s_wait_alu 0xfffe
	s_or_b32 exec_lo, exec_lo, s0
	s_and_saveexec_b32 s0, vcc_lo
	s_cbranch_execz .LBB366_113
.LBB366_186:
	ds_load_b32 v26, v24 offset:480
	s_wait_dscnt 0x0
	v_add_f32_e32 v20, v20, v26
	s_wait_alu 0xfffe
	s_or_b32 exec_lo, exec_lo, s0
	s_and_saveexec_b32 s0, vcc_lo
	s_cbranch_execz .LBB366_114
.LBB366_187:
	ds_load_b32 v26, v24 offset:512
	s_wait_dscnt 0x0
	v_add_f32_e32 v19, v19, v26
	s_wait_alu 0xfffe
	s_or_b32 exec_lo, exec_lo, s0
	s_and_saveexec_b32 s0, vcc_lo
	s_cbranch_execz .LBB366_115
.LBB366_188:
	ds_load_b32 v26, v24 offset:544
	s_wait_dscnt 0x0
	v_add_f32_e32 v18, v18, v26
	s_wait_alu 0xfffe
	s_or_b32 exec_lo, exec_lo, s0
	s_and_saveexec_b32 s0, vcc_lo
	s_cbranch_execz .LBB366_116
.LBB366_189:
	ds_load_b32 v26, v24 offset:576
	s_wait_dscnt 0x0
	v_add_f32_e32 v17, v17, v26
	s_wait_alu 0xfffe
	s_or_b32 exec_lo, exec_lo, s0
	s_and_saveexec_b32 s0, vcc_lo
	s_cbranch_execz .LBB366_117
.LBB366_190:
	ds_load_b32 v26, v24 offset:608
	s_wait_dscnt 0x0
	v_add_f32_e32 v15, v15, v26
	s_wait_alu 0xfffe
	s_or_b32 exec_lo, exec_lo, s0
	s_and_saveexec_b32 s0, vcc_lo
	s_cbranch_execz .LBB366_118
.LBB366_191:
	ds_load_b32 v26, v24 offset:640
	s_wait_dscnt 0x0
	v_add_f32_e32 v13, v13, v26
	s_wait_alu 0xfffe
	s_or_b32 exec_lo, exec_lo, s0
	s_and_saveexec_b32 s0, vcc_lo
	s_cbranch_execz .LBB366_119
.LBB366_192:
	ds_load_b32 v26, v24 offset:672
	s_wait_dscnt 0x0
	v_add_f32_e32 v10, v10, v26
	s_wait_alu 0xfffe
	s_or_b32 exec_lo, exec_lo, s0
	s_and_saveexec_b32 s0, vcc_lo
	s_cbranch_execz .LBB366_120
.LBB366_193:
	ds_load_b32 v26, v24 offset:704
	s_wait_dscnt 0x0
	v_add_f32_e32 v9, v9, v26
	s_wait_alu 0xfffe
	s_or_b32 exec_lo, exec_lo, s0
	s_and_saveexec_b32 s0, vcc_lo
	s_cbranch_execz .LBB366_121
.LBB366_194:
	ds_load_b32 v26, v24 offset:736
	s_wait_dscnt 0x0
	v_add_f32_e32 v8, v8, v26
	s_wait_alu 0xfffe
	s_or_b32 exec_lo, exec_lo, s0
	s_and_saveexec_b32 s0, vcc_lo
	s_cbranch_execz .LBB366_122
.LBB366_195:
	ds_load_b32 v26, v24 offset:768
	s_wait_dscnt 0x0
	v_add_f32_e32 v7, v7, v26
	s_wait_alu 0xfffe
	s_or_b32 exec_lo, exec_lo, s0
	s_and_saveexec_b32 s0, vcc_lo
	s_cbranch_execz .LBB366_123
.LBB366_196:
	ds_load_b32 v26, v24 offset:800
	s_wait_dscnt 0x0
	v_add_f32_e32 v6, v6, v26
	s_wait_alu 0xfffe
	s_or_b32 exec_lo, exec_lo, s0
	s_and_saveexec_b32 s0, vcc_lo
	s_cbranch_execz .LBB366_124
.LBB366_197:
	ds_load_b32 v26, v24 offset:832
	s_wait_dscnt 0x0
	v_add_f32_e32 v5, v5, v26
	s_wait_alu 0xfffe
	s_or_b32 exec_lo, exec_lo, s0
	s_and_saveexec_b32 s0, vcc_lo
	s_cbranch_execz .LBB366_125
.LBB366_198:
	ds_load_b32 v26, v24 offset:864
	s_wait_dscnt 0x0
	v_add_f32_e32 v4, v4, v26
	s_wait_alu 0xfffe
	s_or_b32 exec_lo, exec_lo, s0
	s_and_saveexec_b32 s0, vcc_lo
	s_cbranch_execz .LBB366_126
.LBB366_199:
	ds_load_b32 v26, v24 offset:896
	s_wait_dscnt 0x0
	v_add_f32_e32 v3, v3, v26
	s_wait_alu 0xfffe
	s_or_b32 exec_lo, exec_lo, s0
	s_and_saveexec_b32 s0, vcc_lo
	s_cbranch_execz .LBB366_127
.LBB366_200:
	ds_load_b32 v26, v24 offset:928
	s_wait_dscnt 0x0
	v_add_f32_e32 v0, v0, v26
	s_wait_alu 0xfffe
	s_or_b32 exec_lo, exec_lo, s0
	s_and_saveexec_b32 s0, vcc_lo
	s_cbranch_execz .LBB366_128
.LBB366_201:
	ds_load_b32 v26, v24 offset:960
	s_wait_dscnt 0x0
	v_add_f32_e32 v1, v1, v26
	s_wait_alu 0xfffe
	s_or_b32 exec_lo, exec_lo, s0
	s_and_saveexec_b32 s0, vcc_lo
	s_cbranch_execnz .LBB366_129
	s_branch .LBB366_130
.LBB366_202:
	ds_load_b32 v25, v24
	s_wait_dscnt 0x0
	v_add_f32_e32 v45, v45, v25
	s_wait_alu 0xfffe
	s_or_b32 exec_lo, exec_lo, s1
	s_and_saveexec_b32 s1, vcc_lo
	s_cbranch_execz .LBB366_136
.LBB366_203:
	ds_load_b32 v25, v24 offset:32
	s_wait_dscnt 0x0
	v_add_f32_e32 v44, v44, v25
	s_wait_alu 0xfffe
	s_or_b32 exec_lo, exec_lo, s1
	s_and_saveexec_b32 s1, vcc_lo
	s_cbranch_execz .LBB366_137
.LBB366_204:
	ds_load_b32 v25, v24 offset:64
	s_wait_dscnt 0x0
	v_add_f32_e32 v43, v43, v25
	s_wait_alu 0xfffe
	s_or_b32 exec_lo, exec_lo, s1
	s_and_saveexec_b32 s1, vcc_lo
	s_cbranch_execz .LBB366_138
.LBB366_205:
	ds_load_b32 v25, v24 offset:96
	s_wait_dscnt 0x0
	v_add_f32_e32 v42, v42, v25
	s_wait_alu 0xfffe
	s_or_b32 exec_lo, exec_lo, s1
	s_and_saveexec_b32 s1, vcc_lo
	s_cbranch_execz .LBB366_139
.LBB366_206:
	ds_load_b32 v25, v24 offset:128
	s_wait_dscnt 0x0
	v_add_f32_e32 v41, v41, v25
	s_wait_alu 0xfffe
	s_or_b32 exec_lo, exec_lo, s1
	s_and_saveexec_b32 s1, vcc_lo
	s_cbranch_execz .LBB366_140
.LBB366_207:
	ds_load_b32 v25, v24 offset:160
	s_wait_dscnt 0x0
	v_add_f32_e32 v39, v39, v25
	s_wait_alu 0xfffe
	s_or_b32 exec_lo, exec_lo, s1
	s_and_saveexec_b32 s1, vcc_lo
	s_cbranch_execz .LBB366_141
.LBB366_208:
	ds_load_b32 v25, v24 offset:192
	s_wait_dscnt 0x0
	v_add_f32_e32 v38, v38, v25
	s_wait_alu 0xfffe
	s_or_b32 exec_lo, exec_lo, s1
	s_and_saveexec_b32 s1, vcc_lo
	s_cbranch_execz .LBB366_142
.LBB366_209:
	ds_load_b32 v25, v24 offset:224
	s_wait_dscnt 0x0
	v_add_f32_e32 v40, v40, v25
	s_wait_alu 0xfffe
	s_or_b32 exec_lo, exec_lo, s1
	s_and_saveexec_b32 s1, vcc_lo
	s_cbranch_execz .LBB366_143
.LBB366_210:
	ds_load_b32 v25, v24 offset:256
	s_wait_dscnt 0x0
	v_add_f32_e32 v16, v16, v25
	s_wait_alu 0xfffe
	s_or_b32 exec_lo, exec_lo, s1
	s_and_saveexec_b32 s1, vcc_lo
	s_cbranch_execz .LBB366_144
.LBB366_211:
	ds_load_b32 v25, v24 offset:288
	s_wait_dscnt 0x0
	v_add_f32_e32 v14, v14, v25
	s_wait_alu 0xfffe
	s_or_b32 exec_lo, exec_lo, s1
	s_and_saveexec_b32 s1, vcc_lo
	s_cbranch_execz .LBB366_145
.LBB366_212:
	ds_load_b32 v25, v24 offset:320
	s_wait_dscnt 0x0
	v_add_f32_e32 v12, v12, v25
	s_wait_alu 0xfffe
	s_or_b32 exec_lo, exec_lo, s1
	s_and_saveexec_b32 s1, vcc_lo
	s_cbranch_execz .LBB366_146
.LBB366_213:
	ds_load_b32 v25, v24 offset:352
	s_wait_dscnt 0x0
	v_add_f32_e32 v11, v11, v25
	s_wait_alu 0xfffe
	s_or_b32 exec_lo, exec_lo, s1
	s_and_saveexec_b32 s1, vcc_lo
	s_cbranch_execz .LBB366_147
.LBB366_214:
	ds_load_b32 v25, v24 offset:384
	s_wait_dscnt 0x0
	v_add_f32_e32 v23, v23, v25
	s_wait_alu 0xfffe
	s_or_b32 exec_lo, exec_lo, s1
	s_and_saveexec_b32 s1, vcc_lo
	s_cbranch_execz .LBB366_148
.LBB366_215:
	ds_load_b32 v25, v24 offset:416
	s_wait_dscnt 0x0
	v_add_f32_e32 v21, v21, v25
	s_wait_alu 0xfffe
	s_or_b32 exec_lo, exec_lo, s1
	s_and_saveexec_b32 s1, vcc_lo
	s_cbranch_execz .LBB366_149
.LBB366_216:
	ds_load_b32 v25, v24 offset:448
	s_wait_dscnt 0x0
	v_add_f32_e32 v22, v22, v25
	s_wait_alu 0xfffe
	s_or_b32 exec_lo, exec_lo, s1
	s_and_saveexec_b32 s1, vcc_lo
	s_cbranch_execz .LBB366_150
.LBB366_217:
	ds_load_b32 v25, v24 offset:480
	s_wait_dscnt 0x0
	v_add_f32_e32 v20, v20, v25
	s_wait_alu 0xfffe
	s_or_b32 exec_lo, exec_lo, s1
	s_and_saveexec_b32 s1, vcc_lo
	s_cbranch_execz .LBB366_151
.LBB366_218:
	ds_load_b32 v25, v24 offset:512
	s_wait_dscnt 0x0
	v_add_f32_e32 v19, v19, v25
	s_wait_alu 0xfffe
	s_or_b32 exec_lo, exec_lo, s1
	s_and_saveexec_b32 s1, vcc_lo
	s_cbranch_execz .LBB366_152
.LBB366_219:
	ds_load_b32 v25, v24 offset:544
	s_wait_dscnt 0x0
	v_add_f32_e32 v18, v18, v25
	s_wait_alu 0xfffe
	s_or_b32 exec_lo, exec_lo, s1
	s_and_saveexec_b32 s1, vcc_lo
	s_cbranch_execz .LBB366_153
.LBB366_220:
	ds_load_b32 v25, v24 offset:576
	s_wait_dscnt 0x0
	v_add_f32_e32 v17, v17, v25
	s_wait_alu 0xfffe
	s_or_b32 exec_lo, exec_lo, s1
	s_and_saveexec_b32 s1, vcc_lo
	s_cbranch_execz .LBB366_154
.LBB366_221:
	ds_load_b32 v25, v24 offset:608
	s_wait_dscnt 0x0
	v_add_f32_e32 v15, v15, v25
	s_wait_alu 0xfffe
	s_or_b32 exec_lo, exec_lo, s1
	s_and_saveexec_b32 s1, vcc_lo
	s_cbranch_execz .LBB366_155
.LBB366_222:
	ds_load_b32 v25, v24 offset:640
	s_wait_dscnt 0x0
	v_add_f32_e32 v13, v13, v25
	s_wait_alu 0xfffe
	s_or_b32 exec_lo, exec_lo, s1
	s_and_saveexec_b32 s1, vcc_lo
	s_cbranch_execz .LBB366_156
.LBB366_223:
	ds_load_b32 v25, v24 offset:672
	s_wait_dscnt 0x0
	v_add_f32_e32 v10, v10, v25
	s_wait_alu 0xfffe
	s_or_b32 exec_lo, exec_lo, s1
	s_and_saveexec_b32 s1, vcc_lo
	s_cbranch_execz .LBB366_157
.LBB366_224:
	ds_load_b32 v25, v24 offset:704
	s_wait_dscnt 0x0
	v_add_f32_e32 v9, v9, v25
	s_wait_alu 0xfffe
	s_or_b32 exec_lo, exec_lo, s1
	s_and_saveexec_b32 s1, vcc_lo
	s_cbranch_execz .LBB366_158
.LBB366_225:
	ds_load_b32 v25, v24 offset:736
	s_wait_dscnt 0x0
	v_add_f32_e32 v8, v8, v25
	s_wait_alu 0xfffe
	s_or_b32 exec_lo, exec_lo, s1
	s_and_saveexec_b32 s1, vcc_lo
	s_cbranch_execz .LBB366_159
.LBB366_226:
	ds_load_b32 v25, v24 offset:768
	s_wait_dscnt 0x0
	v_add_f32_e32 v7, v7, v25
	s_wait_alu 0xfffe
	s_or_b32 exec_lo, exec_lo, s1
	s_and_saveexec_b32 s1, vcc_lo
	s_cbranch_execz .LBB366_160
.LBB366_227:
	ds_load_b32 v25, v24 offset:800
	s_wait_dscnt 0x0
	v_add_f32_e32 v6, v6, v25
	s_wait_alu 0xfffe
	s_or_b32 exec_lo, exec_lo, s1
	s_and_saveexec_b32 s1, vcc_lo
	s_cbranch_execz .LBB366_161
.LBB366_228:
	ds_load_b32 v25, v24 offset:832
	s_wait_dscnt 0x0
	v_add_f32_e32 v5, v5, v25
	s_wait_alu 0xfffe
	s_or_b32 exec_lo, exec_lo, s1
	s_and_saveexec_b32 s1, vcc_lo
	s_cbranch_execz .LBB366_162
.LBB366_229:
	ds_load_b32 v25, v24 offset:864
	s_wait_dscnt 0x0
	v_add_f32_e32 v4, v4, v25
	s_wait_alu 0xfffe
	s_or_b32 exec_lo, exec_lo, s1
	s_and_saveexec_b32 s1, vcc_lo
	s_cbranch_execz .LBB366_163
.LBB366_230:
	ds_load_b32 v25, v24 offset:896
	s_wait_dscnt 0x0
	v_add_f32_e32 v3, v3, v25
	s_wait_alu 0xfffe
	s_or_b32 exec_lo, exec_lo, s1
	s_and_saveexec_b32 s1, vcc_lo
	s_cbranch_execz .LBB366_164
.LBB366_231:
	ds_load_b32 v25, v24 offset:928
	s_wait_dscnt 0x0
	v_add_f32_e32 v0, v0, v25
	s_wait_alu 0xfffe
	s_or_b32 exec_lo, exec_lo, s1
	s_and_saveexec_b32 s1, vcc_lo
	s_cbranch_execz .LBB366_165
.LBB366_232:
	ds_load_b32 v25, v24 offset:960
	s_wait_dscnt 0x0
	v_add_f32_e32 v1, v1, v25
	s_wait_alu 0xfffe
	s_or_b32 exec_lo, exec_lo, s1
	s_and_saveexec_b32 s1, vcc_lo
	s_cbranch_execnz .LBB366_166
	s_branch .LBB366_167
	.section	.rodata,"a",@progbits
	.p2align	6, 0x0
	.amdhsa_kernel _ZN4vllm25paged_attention_v2_kernelI14__hip_bfloat16hLi256ELi32ELi128ELNS_18Fp8KVCacheDataTypeE1ELb0ELi512EEEvPfS3_PT_PKS4_PKT0_SA_ifPKiSC_iPKfiiiSE_SE_iiiii
		.amdhsa_group_segment_fixed_size 544
		.amdhsa_private_segment_fixed_size 1348
		.amdhsa_kernarg_size 400
		.amdhsa_user_sgpr_count 2
		.amdhsa_user_sgpr_dispatch_ptr 0
		.amdhsa_user_sgpr_queue_ptr 0
		.amdhsa_user_sgpr_kernarg_segment_ptr 1
		.amdhsa_user_sgpr_dispatch_id 0
		.amdhsa_user_sgpr_private_segment_size 0
		.amdhsa_wavefront_size32 1
		.amdhsa_uses_dynamic_stack 0
		.amdhsa_enable_private_segment 1
		.amdhsa_system_sgpr_workgroup_id_x 1
		.amdhsa_system_sgpr_workgroup_id_y 1
		.amdhsa_system_sgpr_workgroup_id_z 1
		.amdhsa_system_sgpr_workgroup_info 0
		.amdhsa_system_vgpr_workitem_id 0
		.amdhsa_next_free_vgpr 192
		.amdhsa_next_free_sgpr 38
		.amdhsa_reserve_vcc 1
		.amdhsa_float_round_mode_32 0
		.amdhsa_float_round_mode_16_64 0
		.amdhsa_float_denorm_mode_32 3
		.amdhsa_float_denorm_mode_16_64 3
		.amdhsa_fp16_overflow 0
		.amdhsa_workgroup_processor_mode 1
		.amdhsa_memory_ordered 1
		.amdhsa_forward_progress 1
		.amdhsa_inst_pref_size 255
		.amdhsa_round_robin_scheduling 0
		.amdhsa_exception_fp_ieee_invalid_op 0
		.amdhsa_exception_fp_denorm_src 0
		.amdhsa_exception_fp_ieee_div_zero 0
		.amdhsa_exception_fp_ieee_overflow 0
		.amdhsa_exception_fp_ieee_underflow 0
		.amdhsa_exception_fp_ieee_inexact 0
		.amdhsa_exception_int_div_zero 0
	.end_amdhsa_kernel
	.section	.text._ZN4vllm25paged_attention_v2_kernelI14__hip_bfloat16hLi256ELi32ELi128ELNS_18Fp8KVCacheDataTypeE1ELb0ELi512EEEvPfS3_PT_PKS4_PKT0_SA_ifPKiSC_iPKfiiiSE_SE_iiiii,"axG",@progbits,_ZN4vllm25paged_attention_v2_kernelI14__hip_bfloat16hLi256ELi32ELi128ELNS_18Fp8KVCacheDataTypeE1ELb0ELi512EEEvPfS3_PT_PKS4_PKT0_SA_ifPKiSC_iPKfiiiSE_SE_iiiii,comdat
.Lfunc_end366:
	.size	_ZN4vllm25paged_attention_v2_kernelI14__hip_bfloat16hLi256ELi32ELi128ELNS_18Fp8KVCacheDataTypeE1ELb0ELi512EEEvPfS3_PT_PKS4_PKT0_SA_ifPKiSC_iPKfiiiSE_SE_iiiii, .Lfunc_end366-_ZN4vllm25paged_attention_v2_kernelI14__hip_bfloat16hLi256ELi32ELi128ELNS_18Fp8KVCacheDataTypeE1ELb0ELi512EEEvPfS3_PT_PKS4_PKT0_SA_ifPKiSC_iPKfiiiSE_SE_iiiii
                                        ; -- End function
	.set _ZN4vllm25paged_attention_v2_kernelI14__hip_bfloat16hLi256ELi32ELi128ELNS_18Fp8KVCacheDataTypeE1ELb0ELi512EEEvPfS3_PT_PKS4_PKT0_SA_ifPKiSC_iPKfiiiSE_SE_iiiii.num_vgpr, 192
	.set _ZN4vllm25paged_attention_v2_kernelI14__hip_bfloat16hLi256ELi32ELi128ELNS_18Fp8KVCacheDataTypeE1ELb0ELi512EEEvPfS3_PT_PKS4_PKT0_SA_ifPKiSC_iPKfiiiSE_SE_iiiii.num_agpr, 0
	.set _ZN4vllm25paged_attention_v2_kernelI14__hip_bfloat16hLi256ELi32ELi128ELNS_18Fp8KVCacheDataTypeE1ELb0ELi512EEEvPfS3_PT_PKS4_PKT0_SA_ifPKiSC_iPKfiiiSE_SE_iiiii.numbered_sgpr, 38
	.set _ZN4vllm25paged_attention_v2_kernelI14__hip_bfloat16hLi256ELi32ELi128ELNS_18Fp8KVCacheDataTypeE1ELb0ELi512EEEvPfS3_PT_PKS4_PKT0_SA_ifPKiSC_iPKfiiiSE_SE_iiiii.num_named_barrier, 0
	.set _ZN4vllm25paged_attention_v2_kernelI14__hip_bfloat16hLi256ELi32ELi128ELNS_18Fp8KVCacheDataTypeE1ELb0ELi512EEEvPfS3_PT_PKS4_PKT0_SA_ifPKiSC_iPKfiiiSE_SE_iiiii.private_seg_size, 1348
	.set _ZN4vllm25paged_attention_v2_kernelI14__hip_bfloat16hLi256ELi32ELi128ELNS_18Fp8KVCacheDataTypeE1ELb0ELi512EEEvPfS3_PT_PKS4_PKT0_SA_ifPKiSC_iPKfiiiSE_SE_iiiii.uses_vcc, 1
	.set _ZN4vllm25paged_attention_v2_kernelI14__hip_bfloat16hLi256ELi32ELi128ELNS_18Fp8KVCacheDataTypeE1ELb0ELi512EEEvPfS3_PT_PKS4_PKT0_SA_ifPKiSC_iPKfiiiSE_SE_iiiii.uses_flat_scratch, 1
	.set _ZN4vllm25paged_attention_v2_kernelI14__hip_bfloat16hLi256ELi32ELi128ELNS_18Fp8KVCacheDataTypeE1ELb0ELi512EEEvPfS3_PT_PKS4_PKT0_SA_ifPKiSC_iPKfiiiSE_SE_iiiii.has_dyn_sized_stack, 0
	.set _ZN4vllm25paged_attention_v2_kernelI14__hip_bfloat16hLi256ELi32ELi128ELNS_18Fp8KVCacheDataTypeE1ELb0ELi512EEEvPfS3_PT_PKS4_PKT0_SA_ifPKiSC_iPKfiiiSE_SE_iiiii.has_recursion, 0
	.set _ZN4vllm25paged_attention_v2_kernelI14__hip_bfloat16hLi256ELi32ELi128ELNS_18Fp8KVCacheDataTypeE1ELb0ELi512EEEvPfS3_PT_PKS4_PKT0_SA_ifPKiSC_iPKfiiiSE_SE_iiiii.has_indirect_call, 0
	.section	.AMDGPU.csdata,"",@progbits
; Kernel info:
; codeLenInByte = 93704
; TotalNumSgprs: 40
; NumVgprs: 192
; ScratchSize: 1348
; MemoryBound: 0
; FloatMode: 240
; IeeeMode: 1
; LDSByteSize: 544 bytes/workgroup (compile time only)
; SGPRBlocks: 0
; VGPRBlocks: 23
; NumSGPRsForWavesPerEU: 40
; NumVGPRsForWavesPerEU: 192
; Occupancy: 8
; WaveLimiterHint : 1
; COMPUTE_PGM_RSRC2:SCRATCH_EN: 1
; COMPUTE_PGM_RSRC2:USER_SGPR: 2
; COMPUTE_PGM_RSRC2:TRAP_HANDLER: 0
; COMPUTE_PGM_RSRC2:TGID_X_EN: 1
; COMPUTE_PGM_RSRC2:TGID_Y_EN: 1
; COMPUTE_PGM_RSRC2:TGID_Z_EN: 1
; COMPUTE_PGM_RSRC2:TIDIG_COMP_CNT: 0
	.text
	.p2alignl 7, 3214868480
	.fill 96, 4, 3214868480
	.section	.AMDGPU.gpr_maximums,"",@progbits
	.set amdgpu.max_num_vgpr, 192
	.set amdgpu.max_num_agpr, 0
	.set amdgpu.max_num_sgpr, 33
	.text
	.type	__hip_cuid_d318f0452acd7917,@object ; @__hip_cuid_d318f0452acd7917
	.section	.bss,"aw",@nobits
	.globl	__hip_cuid_d318f0452acd7917
__hip_cuid_d318f0452acd7917:
	.byte	0                               ; 0x0
	.size	__hip_cuid_d318f0452acd7917, 1

	.type	llvm.amdgcn.dynlds.offset.table,@object ; @llvm.amdgcn.dynlds.offset.table
	.section	.data.rel.ro,"aw",@progbits
	.p2align	4, 0x0
llvm.amdgcn.dynlds.offset.table:
	.long	256
	.long	256
	;; [unrolled: 1-line block ×16, first 2 shown]
	.size	llvm.amdgcn.dynlds.offset.table, 64

	.ident	"AMD clang version 22.0.0git (https://github.com/RadeonOpenCompute/llvm-project roc-7.2.4 26084 f58b06dce1f9c15707c5f808fd002e18c2accf7e)"
	.section	".note.GNU-stack","",@progbits
	.addrsig
	.addrsig_sym __hip_cuid_d318f0452acd7917
	.amdgpu_metadata
---
amdhsa.kernels:
  - .args:
      - .actual_access:  write_only
        .address_space:  global
        .offset:         0
        .size:           8
        .value_kind:     global_buffer
      - .actual_access:  write_only
        .address_space:  global
        .offset:         8
        .size:           8
        .value_kind:     global_buffer
      - .actual_access:  write_only
        .address_space:  global
        .offset:         16
        .size:           8
        .value_kind:     global_buffer
      - .actual_access:  read_only
        .address_space:  global
        .offset:         24
        .size:           8
        .value_kind:     global_buffer
      - .actual_access:  read_only
        .address_space:  global
        .offset:         32
        .size:           8
        .value_kind:     global_buffer
      - .actual_access:  read_only
        .address_space:  global
        .offset:         40
        .size:           8
        .value_kind:     global_buffer
      - .offset:         48
        .size:           4
        .value_kind:     by_value
      - .offset:         52
        .size:           4
        .value_kind:     by_value
      - .actual_access:  read_only
        .address_space:  global
        .offset:         56
        .size:           8
        .value_kind:     global_buffer
      - .actual_access:  read_only
        .address_space:  global
        .offset:         64
        .size:           8
        .value_kind:     global_buffer
      - .offset:         72
        .size:           4
        .value_kind:     by_value
      - .actual_access:  read_only
        .address_space:  global
        .offset:         80
        .size:           8
        .value_kind:     global_buffer
      - .offset:         88
        .size:           4
        .value_kind:     by_value
      - .offset:         92
        .size:           4
        .value_kind:     by_value
      - .offset:         96
        .size:           4
        .value_kind:     by_value
      - .address_space:  global
        .offset:         104
        .size:           8
        .value_kind:     global_buffer
      - .address_space:  global
        .offset:         112
        .size:           8
        .value_kind:     global_buffer
      - .offset:         120
        .size:           4
        .value_kind:     by_value
      - .offset:         124
        .size:           4
        .value_kind:     by_value
      - .offset:         128
        .size:           4
        .value_kind:     by_value
      - .offset:         132
        .size:           4
        .value_kind:     by_value
      - .offset:         136
        .size:           4
        .value_kind:     by_value
      - .offset:         144
        .size:           4
        .value_kind:     hidden_block_count_x
      - .offset:         148
        .size:           4
        .value_kind:     hidden_block_count_y
      - .offset:         152
        .size:           4
        .value_kind:     hidden_block_count_z
      - .offset:         156
        .size:           2
        .value_kind:     hidden_group_size_x
      - .offset:         158
        .size:           2
        .value_kind:     hidden_group_size_y
      - .offset:         160
        .size:           2
        .value_kind:     hidden_group_size_z
      - .offset:         162
        .size:           2
        .value_kind:     hidden_remainder_x
      - .offset:         164
        .size:           2
        .value_kind:     hidden_remainder_y
      - .offset:         166
        .size:           2
        .value_kind:     hidden_remainder_z
      - .offset:         184
        .size:           8
        .value_kind:     hidden_global_offset_x
      - .offset:         192
        .size:           8
        .value_kind:     hidden_global_offset_y
      - .offset:         200
        .size:           8
        .value_kind:     hidden_global_offset_z
      - .offset:         208
        .size:           2
        .value_kind:     hidden_grid_dims
      - .offset:         264
        .size:           4
        .value_kind:     hidden_dynamic_lds_size
    .group_segment_fixed_size: 160
    .kernarg_segment_align: 8
    .kernarg_segment_size: 400
    .language:       OpenCL C
    .language_version:
      - 2
      - 0
    .max_flat_workgroup_size: 1024
    .name:           _ZN4vllm25paged_attention_v2_kernelIffLi32ELi8ELi128ELNS_18Fp8KVCacheDataTypeE0ELb1ELi512EEEvPfS2_PT_PKS3_PKT0_S9_ifPKiSB_iPKfiiiSD_SD_iiiii
    .private_segment_fixed_size: 0
    .sgpr_count:     46
    .sgpr_spill_count: 0
    .symbol:         _ZN4vllm25paged_attention_v2_kernelIffLi32ELi8ELi128ELNS_18Fp8KVCacheDataTypeE0ELb1ELi512EEEvPfS2_PT_PKS3_PKT0_S9_ifPKiSB_iPKfiiiSD_SD_iiiii.kd
    .uniform_work_group_size: 1
    .uses_dynamic_stack: false
    .vgpr_count:     37
    .vgpr_spill_count: 0
    .wavefront_size: 32
    .workgroup_processor_mode: 1
  - .args:
      - .actual_access:  write_only
        .address_space:  global
        .offset:         0
        .size:           8
        .value_kind:     global_buffer
      - .actual_access:  read_only
        .address_space:  global
        .offset:         8
        .size:           8
        .value_kind:     global_buffer
      - .actual_access:  read_only
        .address_space:  global
        .offset:         16
        .size:           8
        .value_kind:     global_buffer
      - .actual_access:  read_only
        .address_space:  global
        .offset:         24
        .size:           8
        .value_kind:     global_buffer
      - .actual_access:  read_only
        .address_space:  global
        .offset:         32
        .size:           8
        .value_kind:     global_buffer
      - .offset:         40
        .size:           4
        .value_kind:     by_value
      - .offset:         48
        .size:           4
        .value_kind:     hidden_block_count_x
      - .offset:         52
        .size:           4
        .value_kind:     hidden_block_count_y
      - .offset:         56
        .size:           4
        .value_kind:     hidden_block_count_z
      - .offset:         60
        .size:           2
        .value_kind:     hidden_group_size_x
      - .offset:         62
        .size:           2
        .value_kind:     hidden_group_size_y
      - .offset:         64
        .size:           2
        .value_kind:     hidden_group_size_z
      - .offset:         66
        .size:           2
        .value_kind:     hidden_remainder_x
      - .offset:         68
        .size:           2
        .value_kind:     hidden_remainder_y
      - .offset:         70
        .size:           2
        .value_kind:     hidden_remainder_z
      - .offset:         88
        .size:           8
        .value_kind:     hidden_global_offset_x
      - .offset:         96
        .size:           8
        .value_kind:     hidden_global_offset_y
      - .offset:         104
        .size:           8
        .value_kind:     hidden_global_offset_z
      - .offset:         112
        .size:           2
        .value_kind:     hidden_grid_dims
      - .offset:         168
        .size:           4
        .value_kind:     hidden_dynamic_lds_size
    .group_segment_fixed_size: 32
    .kernarg_segment_align: 8
    .kernarg_segment_size: 304
    .language:       OpenCL C
    .language_version:
      - 2
      - 0
    .max_flat_workgroup_size: 1024
    .name:           _ZN4vllm32paged_attention_v2_reduce_kernelIfLi32ELi128ELi512EEEvPT_PKfS4_PKS1_PKii
    .private_segment_fixed_size: 0
    .sgpr_count:     28
    .sgpr_spill_count: 0
    .symbol:         _ZN4vllm32paged_attention_v2_reduce_kernelIfLi32ELi128ELi512EEEvPT_PKfS4_PKS1_PKii.kd
    .uniform_work_group_size: 1
    .uses_dynamic_stack: false
    .vgpr_count:     19
    .vgpr_spill_count: 0
    .wavefront_size: 32
    .workgroup_processor_mode: 1
  - .args:
      - .actual_access:  write_only
        .address_space:  global
        .offset:         0
        .size:           8
        .value_kind:     global_buffer
      - .actual_access:  write_only
        .address_space:  global
        .offset:         8
        .size:           8
        .value_kind:     global_buffer
      - .actual_access:  write_only
        .address_space:  global
        .offset:         16
        .size:           8
        .value_kind:     global_buffer
      - .actual_access:  read_only
        .address_space:  global
        .offset:         24
        .size:           8
        .value_kind:     global_buffer
      - .actual_access:  read_only
        .address_space:  global
        .offset:         32
        .size:           8
        .value_kind:     global_buffer
      - .actual_access:  read_only
        .address_space:  global
        .offset:         40
        .size:           8
        .value_kind:     global_buffer
      - .offset:         48
        .size:           4
        .value_kind:     by_value
      - .offset:         52
        .size:           4
        .value_kind:     by_value
      - .actual_access:  read_only
        .address_space:  global
        .offset:         56
        .size:           8
        .value_kind:     global_buffer
      - .actual_access:  read_only
        .address_space:  global
        .offset:         64
        .size:           8
        .value_kind:     global_buffer
      - .offset:         72
        .size:           4
        .value_kind:     by_value
      - .actual_access:  read_only
        .address_space:  global
        .offset:         80
        .size:           8
        .value_kind:     global_buffer
      - .offset:         88
        .size:           4
        .value_kind:     by_value
      - .offset:         92
        .size:           4
        .value_kind:     by_value
      - .offset:         96
        .size:           4
        .value_kind:     by_value
      - .address_space:  global
        .offset:         104
        .size:           8
        .value_kind:     global_buffer
      - .address_space:  global
        .offset:         112
        .size:           8
        .value_kind:     global_buffer
      - .offset:         120
        .size:           4
        .value_kind:     by_value
      - .offset:         124
        .size:           4
        .value_kind:     by_value
      - .offset:         128
        .size:           4
        .value_kind:     by_value
      - .offset:         132
        .size:           4
        .value_kind:     by_value
      - .offset:         136
        .size:           4
        .value_kind:     by_value
      - .offset:         144
        .size:           4
        .value_kind:     hidden_block_count_x
      - .offset:         148
        .size:           4
        .value_kind:     hidden_block_count_y
      - .offset:         152
        .size:           4
        .value_kind:     hidden_block_count_z
      - .offset:         156
        .size:           2
        .value_kind:     hidden_group_size_x
      - .offset:         158
        .size:           2
        .value_kind:     hidden_group_size_y
      - .offset:         160
        .size:           2
        .value_kind:     hidden_group_size_z
      - .offset:         162
        .size:           2
        .value_kind:     hidden_remainder_x
      - .offset:         164
        .size:           2
        .value_kind:     hidden_remainder_y
      - .offset:         166
        .size:           2
        .value_kind:     hidden_remainder_z
      - .offset:         184
        .size:           8
        .value_kind:     hidden_global_offset_x
      - .offset:         192
        .size:           8
        .value_kind:     hidden_global_offset_y
      - .offset:         200
        .size:           8
        .value_kind:     hidden_global_offset_z
      - .offset:         208
        .size:           2
        .value_kind:     hidden_grid_dims
      - .offset:         264
        .size:           4
        .value_kind:     hidden_dynamic_lds_size
    .group_segment_fixed_size: 288
    .kernarg_segment_align: 8
    .kernarg_segment_size: 400
    .language:       OpenCL C
    .language_version:
      - 2
      - 0
    .max_flat_workgroup_size: 1024
    .name:           _ZN4vllm25paged_attention_v2_kernelIffLi64ELi8ELi128ELNS_18Fp8KVCacheDataTypeE0ELb1ELi512EEEvPfS2_PT_PKS3_PKT0_S9_ifPKiSB_iPKfiiiSD_SD_iiiii
    .private_segment_fixed_size: 0
    .sgpr_count:     46
    .sgpr_spill_count: 0
    .symbol:         _ZN4vllm25paged_attention_v2_kernelIffLi64ELi8ELi128ELNS_18Fp8KVCacheDataTypeE0ELb1ELi512EEEvPfS2_PT_PKS3_PKT0_S9_ifPKiSB_iPKfiiiSD_SD_iiiii.kd
    .uniform_work_group_size: 1
    .uses_dynamic_stack: false
    .vgpr_count:     45
    .vgpr_spill_count: 0
    .wavefront_size: 32
    .workgroup_processor_mode: 1
  - .args:
      - .actual_access:  write_only
        .address_space:  global
        .offset:         0
        .size:           8
        .value_kind:     global_buffer
      - .actual_access:  read_only
        .address_space:  global
        .offset:         8
        .size:           8
        .value_kind:     global_buffer
      - .actual_access:  read_only
        .address_space:  global
        .offset:         16
        .size:           8
        .value_kind:     global_buffer
      - .actual_access:  read_only
        .address_space:  global
        .offset:         24
        .size:           8
        .value_kind:     global_buffer
      - .actual_access:  read_only
        .address_space:  global
        .offset:         32
        .size:           8
        .value_kind:     global_buffer
      - .offset:         40
        .size:           4
        .value_kind:     by_value
      - .offset:         48
        .size:           4
        .value_kind:     hidden_block_count_x
      - .offset:         52
        .size:           4
        .value_kind:     hidden_block_count_y
      - .offset:         56
        .size:           4
        .value_kind:     hidden_block_count_z
      - .offset:         60
        .size:           2
        .value_kind:     hidden_group_size_x
      - .offset:         62
        .size:           2
        .value_kind:     hidden_group_size_y
      - .offset:         64
        .size:           2
        .value_kind:     hidden_group_size_z
      - .offset:         66
        .size:           2
        .value_kind:     hidden_remainder_x
      - .offset:         68
        .size:           2
        .value_kind:     hidden_remainder_y
      - .offset:         70
        .size:           2
        .value_kind:     hidden_remainder_z
      - .offset:         88
        .size:           8
        .value_kind:     hidden_global_offset_x
      - .offset:         96
        .size:           8
        .value_kind:     hidden_global_offset_y
      - .offset:         104
        .size:           8
        .value_kind:     hidden_global_offset_z
      - .offset:         112
        .size:           2
        .value_kind:     hidden_grid_dims
      - .offset:         168
        .size:           4
        .value_kind:     hidden_dynamic_lds_size
    .group_segment_fixed_size: 32
    .kernarg_segment_align: 8
    .kernarg_segment_size: 304
    .language:       OpenCL C
    .language_version:
      - 2
      - 0
    .max_flat_workgroup_size: 1024
    .name:           _ZN4vllm32paged_attention_v2_reduce_kernelIfLi64ELi128ELi512EEEvPT_PKfS4_PKS1_PKii
    .private_segment_fixed_size: 0
    .sgpr_count:     28
    .sgpr_spill_count: 0
    .symbol:         _ZN4vllm32paged_attention_v2_reduce_kernelIfLi64ELi128ELi512EEEvPT_PKfS4_PKS1_PKii.kd
    .uniform_work_group_size: 1
    .uses_dynamic_stack: false
    .vgpr_count:     19
    .vgpr_spill_count: 0
    .wavefront_size: 32
    .workgroup_processor_mode: 1
  - .args:
      - .actual_access:  write_only
        .address_space:  global
        .offset:         0
        .size:           8
        .value_kind:     global_buffer
      - .actual_access:  write_only
        .address_space:  global
        .offset:         8
        .size:           8
        .value_kind:     global_buffer
      - .actual_access:  write_only
        .address_space:  global
        .offset:         16
        .size:           8
        .value_kind:     global_buffer
      - .actual_access:  read_only
        .address_space:  global
        .offset:         24
        .size:           8
        .value_kind:     global_buffer
      - .actual_access:  read_only
        .address_space:  global
        .offset:         32
        .size:           8
        .value_kind:     global_buffer
      - .actual_access:  read_only
        .address_space:  global
        .offset:         40
        .size:           8
        .value_kind:     global_buffer
      - .offset:         48
        .size:           4
        .value_kind:     by_value
      - .offset:         52
        .size:           4
        .value_kind:     by_value
      - .actual_access:  read_only
        .address_space:  global
        .offset:         56
        .size:           8
        .value_kind:     global_buffer
      - .actual_access:  read_only
        .address_space:  global
        .offset:         64
        .size:           8
        .value_kind:     global_buffer
      - .offset:         72
        .size:           4
        .value_kind:     by_value
      - .actual_access:  read_only
        .address_space:  global
        .offset:         80
        .size:           8
        .value_kind:     global_buffer
      - .offset:         88
        .size:           4
        .value_kind:     by_value
      - .offset:         92
        .size:           4
        .value_kind:     by_value
      - .offset:         96
        .size:           4
        .value_kind:     by_value
      - .address_space:  global
        .offset:         104
        .size:           8
        .value_kind:     global_buffer
      - .address_space:  global
        .offset:         112
        .size:           8
        .value_kind:     global_buffer
      - .offset:         120
        .size:           4
        .value_kind:     by_value
      - .offset:         124
        .size:           4
        .value_kind:     by_value
      - .offset:         128
        .size:           4
        .value_kind:     by_value
      - .offset:         132
        .size:           4
        .value_kind:     by_value
      - .offset:         136
        .size:           4
        .value_kind:     by_value
      - .offset:         144
        .size:           4
        .value_kind:     hidden_block_count_x
      - .offset:         148
        .size:           4
        .value_kind:     hidden_block_count_y
      - .offset:         152
        .size:           4
        .value_kind:     hidden_block_count_z
      - .offset:         156
        .size:           2
        .value_kind:     hidden_group_size_x
      - .offset:         158
        .size:           2
        .value_kind:     hidden_group_size_y
      - .offset:         160
        .size:           2
        .value_kind:     hidden_group_size_z
      - .offset:         162
        .size:           2
        .value_kind:     hidden_remainder_x
      - .offset:         164
        .size:           2
        .value_kind:     hidden_remainder_y
      - .offset:         166
        .size:           2
        .value_kind:     hidden_remainder_z
      - .offset:         184
        .size:           8
        .value_kind:     hidden_global_offset_x
      - .offset:         192
        .size:           8
        .value_kind:     hidden_global_offset_y
      - .offset:         200
        .size:           8
        .value_kind:     hidden_global_offset_z
      - .offset:         208
        .size:           2
        .value_kind:     hidden_grid_dims
      - .offset:         264
        .size:           4
        .value_kind:     hidden_dynamic_lds_size
    .group_segment_fixed_size: 352
    .kernarg_segment_align: 8
    .kernarg_segment_size: 400
    .language:       OpenCL C
    .language_version:
      - 2
      - 0
    .max_flat_workgroup_size: 1024
    .name:           _ZN4vllm25paged_attention_v2_kernelIffLi80ELi8ELi128ELNS_18Fp8KVCacheDataTypeE0ELb1ELi512EEEvPfS2_PT_PKS3_PKT0_S9_ifPKiSB_iPKfiiiSD_SD_iiiii
    .private_segment_fixed_size: 0
    .sgpr_count:     44
    .sgpr_spill_count: 0
    .symbol:         _ZN4vllm25paged_attention_v2_kernelIffLi80ELi8ELi128ELNS_18Fp8KVCacheDataTypeE0ELb1ELi512EEEvPfS2_PT_PKS3_PKT0_S9_ifPKiSB_iPKfiiiSD_SD_iiiii.kd
    .uniform_work_group_size: 1
    .uses_dynamic_stack: false
    .vgpr_count:     49
    .vgpr_spill_count: 0
    .wavefront_size: 32
    .workgroup_processor_mode: 1
  - .args:
      - .actual_access:  write_only
        .address_space:  global
        .offset:         0
        .size:           8
        .value_kind:     global_buffer
      - .actual_access:  read_only
        .address_space:  global
        .offset:         8
        .size:           8
        .value_kind:     global_buffer
      - .actual_access:  read_only
        .address_space:  global
        .offset:         16
        .size:           8
        .value_kind:     global_buffer
      - .actual_access:  read_only
        .address_space:  global
        .offset:         24
        .size:           8
        .value_kind:     global_buffer
      - .actual_access:  read_only
        .address_space:  global
        .offset:         32
        .size:           8
        .value_kind:     global_buffer
      - .offset:         40
        .size:           4
        .value_kind:     by_value
      - .offset:         48
        .size:           4
        .value_kind:     hidden_block_count_x
      - .offset:         52
        .size:           4
        .value_kind:     hidden_block_count_y
      - .offset:         56
        .size:           4
        .value_kind:     hidden_block_count_z
      - .offset:         60
        .size:           2
        .value_kind:     hidden_group_size_x
      - .offset:         62
        .size:           2
        .value_kind:     hidden_group_size_y
      - .offset:         64
        .size:           2
        .value_kind:     hidden_group_size_z
      - .offset:         66
        .size:           2
        .value_kind:     hidden_remainder_x
      - .offset:         68
        .size:           2
        .value_kind:     hidden_remainder_y
      - .offset:         70
        .size:           2
        .value_kind:     hidden_remainder_z
      - .offset:         88
        .size:           8
        .value_kind:     hidden_global_offset_x
      - .offset:         96
        .size:           8
        .value_kind:     hidden_global_offset_y
      - .offset:         104
        .size:           8
        .value_kind:     hidden_global_offset_z
      - .offset:         112
        .size:           2
        .value_kind:     hidden_grid_dims
      - .offset:         168
        .size:           4
        .value_kind:     hidden_dynamic_lds_size
    .group_segment_fixed_size: 32
    .kernarg_segment_align: 8
    .kernarg_segment_size: 304
    .language:       OpenCL C
    .language_version:
      - 2
      - 0
    .max_flat_workgroup_size: 1024
    .name:           _ZN4vllm32paged_attention_v2_reduce_kernelIfLi80ELi128ELi512EEEvPT_PKfS4_PKS1_PKii
    .private_segment_fixed_size: 0
    .sgpr_count:     28
    .sgpr_spill_count: 0
    .symbol:         _ZN4vllm32paged_attention_v2_reduce_kernelIfLi80ELi128ELi512EEEvPT_PKfS4_PKS1_PKii.kd
    .uniform_work_group_size: 1
    .uses_dynamic_stack: false
    .vgpr_count:     19
    .vgpr_spill_count: 0
    .wavefront_size: 32
    .workgroup_processor_mode: 1
  - .args:
      - .actual_access:  write_only
        .address_space:  global
        .offset:         0
        .size:           8
        .value_kind:     global_buffer
      - .actual_access:  write_only
        .address_space:  global
        .offset:         8
        .size:           8
        .value_kind:     global_buffer
      - .actual_access:  write_only
        .address_space:  global
        .offset:         16
        .size:           8
        .value_kind:     global_buffer
      - .actual_access:  read_only
        .address_space:  global
        .offset:         24
        .size:           8
        .value_kind:     global_buffer
      - .actual_access:  read_only
        .address_space:  global
        .offset:         32
        .size:           8
        .value_kind:     global_buffer
      - .actual_access:  read_only
        .address_space:  global
        .offset:         40
        .size:           8
        .value_kind:     global_buffer
      - .offset:         48
        .size:           4
        .value_kind:     by_value
      - .offset:         52
        .size:           4
        .value_kind:     by_value
      - .actual_access:  read_only
        .address_space:  global
        .offset:         56
        .size:           8
        .value_kind:     global_buffer
      - .actual_access:  read_only
        .address_space:  global
        .offset:         64
        .size:           8
        .value_kind:     global_buffer
      - .offset:         72
        .size:           4
        .value_kind:     by_value
      - .actual_access:  read_only
        .address_space:  global
        .offset:         80
        .size:           8
        .value_kind:     global_buffer
      - .offset:         88
        .size:           4
        .value_kind:     by_value
      - .offset:         92
        .size:           4
        .value_kind:     by_value
      - .offset:         96
        .size:           4
        .value_kind:     by_value
      - .address_space:  global
        .offset:         104
        .size:           8
        .value_kind:     global_buffer
      - .address_space:  global
        .offset:         112
        .size:           8
        .value_kind:     global_buffer
      - .offset:         120
        .size:           4
        .value_kind:     by_value
      - .offset:         124
        .size:           4
        .value_kind:     by_value
      - .offset:         128
        .size:           4
        .value_kind:     by_value
      - .offset:         132
        .size:           4
        .value_kind:     by_value
      - .offset:         136
        .size:           4
        .value_kind:     by_value
      - .offset:         144
        .size:           4
        .value_kind:     hidden_block_count_x
      - .offset:         148
        .size:           4
        .value_kind:     hidden_block_count_y
      - .offset:         152
        .size:           4
        .value_kind:     hidden_block_count_z
      - .offset:         156
        .size:           2
        .value_kind:     hidden_group_size_x
      - .offset:         158
        .size:           2
        .value_kind:     hidden_group_size_y
      - .offset:         160
        .size:           2
        .value_kind:     hidden_group_size_z
      - .offset:         162
        .size:           2
        .value_kind:     hidden_remainder_x
      - .offset:         164
        .size:           2
        .value_kind:     hidden_remainder_y
      - .offset:         166
        .size:           2
        .value_kind:     hidden_remainder_z
      - .offset:         184
        .size:           8
        .value_kind:     hidden_global_offset_x
      - .offset:         192
        .size:           8
        .value_kind:     hidden_global_offset_y
      - .offset:         200
        .size:           8
        .value_kind:     hidden_global_offset_z
      - .offset:         208
        .size:           2
        .value_kind:     hidden_grid_dims
      - .offset:         264
        .size:           4
        .value_kind:     hidden_dynamic_lds_size
    .group_segment_fixed_size: 416
    .kernarg_segment_align: 8
    .kernarg_segment_size: 400
    .language:       OpenCL C
    .language_version:
      - 2
      - 0
    .max_flat_workgroup_size: 1024
    .name:           _ZN4vllm25paged_attention_v2_kernelIffLi96ELi8ELi128ELNS_18Fp8KVCacheDataTypeE0ELb1ELi512EEEvPfS2_PT_PKS3_PKT0_S9_ifPKiSB_iPKfiiiSD_SD_iiiii
    .private_segment_fixed_size: 0
    .sgpr_count:     44
    .sgpr_spill_count: 0
    .symbol:         _ZN4vllm25paged_attention_v2_kernelIffLi96ELi8ELi128ELNS_18Fp8KVCacheDataTypeE0ELb1ELi512EEEvPfS2_PT_PKS3_PKT0_S9_ifPKiSB_iPKfiiiSD_SD_iiiii.kd
    .uniform_work_group_size: 1
    .uses_dynamic_stack: false
    .vgpr_count:     53
    .vgpr_spill_count: 0
    .wavefront_size: 32
    .workgroup_processor_mode: 1
  - .args:
      - .actual_access:  write_only
        .address_space:  global
        .offset:         0
        .size:           8
        .value_kind:     global_buffer
      - .actual_access:  read_only
        .address_space:  global
        .offset:         8
        .size:           8
        .value_kind:     global_buffer
      - .actual_access:  read_only
        .address_space:  global
        .offset:         16
        .size:           8
        .value_kind:     global_buffer
      - .actual_access:  read_only
        .address_space:  global
        .offset:         24
        .size:           8
        .value_kind:     global_buffer
      - .actual_access:  read_only
        .address_space:  global
        .offset:         32
        .size:           8
        .value_kind:     global_buffer
      - .offset:         40
        .size:           4
        .value_kind:     by_value
      - .offset:         48
        .size:           4
        .value_kind:     hidden_block_count_x
      - .offset:         52
        .size:           4
        .value_kind:     hidden_block_count_y
      - .offset:         56
        .size:           4
        .value_kind:     hidden_block_count_z
      - .offset:         60
        .size:           2
        .value_kind:     hidden_group_size_x
      - .offset:         62
        .size:           2
        .value_kind:     hidden_group_size_y
      - .offset:         64
        .size:           2
        .value_kind:     hidden_group_size_z
      - .offset:         66
        .size:           2
        .value_kind:     hidden_remainder_x
      - .offset:         68
        .size:           2
        .value_kind:     hidden_remainder_y
      - .offset:         70
        .size:           2
        .value_kind:     hidden_remainder_z
      - .offset:         88
        .size:           8
        .value_kind:     hidden_global_offset_x
      - .offset:         96
        .size:           8
        .value_kind:     hidden_global_offset_y
      - .offset:         104
        .size:           8
        .value_kind:     hidden_global_offset_z
      - .offset:         112
        .size:           2
        .value_kind:     hidden_grid_dims
      - .offset:         168
        .size:           4
        .value_kind:     hidden_dynamic_lds_size
    .group_segment_fixed_size: 32
    .kernarg_segment_align: 8
    .kernarg_segment_size: 304
    .language:       OpenCL C
    .language_version:
      - 2
      - 0
    .max_flat_workgroup_size: 1024
    .name:           _ZN4vllm32paged_attention_v2_reduce_kernelIfLi96ELi128ELi512EEEvPT_PKfS4_PKS1_PKii
    .private_segment_fixed_size: 0
    .sgpr_count:     28
    .sgpr_spill_count: 0
    .symbol:         _ZN4vllm32paged_attention_v2_reduce_kernelIfLi96ELi128ELi512EEEvPT_PKfS4_PKS1_PKii.kd
    .uniform_work_group_size: 1
    .uses_dynamic_stack: false
    .vgpr_count:     19
    .vgpr_spill_count: 0
    .wavefront_size: 32
    .workgroup_processor_mode: 1
  - .args:
      - .actual_access:  write_only
        .address_space:  global
        .offset:         0
        .size:           8
        .value_kind:     global_buffer
      - .actual_access:  write_only
        .address_space:  global
        .offset:         8
        .size:           8
        .value_kind:     global_buffer
      - .actual_access:  write_only
        .address_space:  global
        .offset:         16
        .size:           8
        .value_kind:     global_buffer
      - .actual_access:  read_only
        .address_space:  global
        .offset:         24
        .size:           8
        .value_kind:     global_buffer
      - .actual_access:  read_only
        .address_space:  global
        .offset:         32
        .size:           8
        .value_kind:     global_buffer
      - .actual_access:  read_only
        .address_space:  global
        .offset:         40
        .size:           8
        .value_kind:     global_buffer
      - .offset:         48
        .size:           4
        .value_kind:     by_value
      - .offset:         52
        .size:           4
        .value_kind:     by_value
      - .actual_access:  read_only
        .address_space:  global
        .offset:         56
        .size:           8
        .value_kind:     global_buffer
      - .actual_access:  read_only
        .address_space:  global
        .offset:         64
        .size:           8
        .value_kind:     global_buffer
      - .offset:         72
        .size:           4
        .value_kind:     by_value
      - .actual_access:  read_only
        .address_space:  global
        .offset:         80
        .size:           8
        .value_kind:     global_buffer
      - .offset:         88
        .size:           4
        .value_kind:     by_value
      - .offset:         92
        .size:           4
        .value_kind:     by_value
      - .offset:         96
        .size:           4
        .value_kind:     by_value
      - .address_space:  global
        .offset:         104
        .size:           8
        .value_kind:     global_buffer
      - .address_space:  global
        .offset:         112
        .size:           8
        .value_kind:     global_buffer
      - .offset:         120
        .size:           4
        .value_kind:     by_value
      - .offset:         124
        .size:           4
        .value_kind:     by_value
      - .offset:         128
        .size:           4
        .value_kind:     by_value
      - .offset:         132
        .size:           4
        .value_kind:     by_value
      - .offset:         136
        .size:           4
        .value_kind:     by_value
      - .offset:         144
        .size:           4
        .value_kind:     hidden_block_count_x
      - .offset:         148
        .size:           4
        .value_kind:     hidden_block_count_y
      - .offset:         152
        .size:           4
        .value_kind:     hidden_block_count_z
      - .offset:         156
        .size:           2
        .value_kind:     hidden_group_size_x
      - .offset:         158
        .size:           2
        .value_kind:     hidden_group_size_y
      - .offset:         160
        .size:           2
        .value_kind:     hidden_group_size_z
      - .offset:         162
        .size:           2
        .value_kind:     hidden_remainder_x
      - .offset:         164
        .size:           2
        .value_kind:     hidden_remainder_y
      - .offset:         166
        .size:           2
        .value_kind:     hidden_remainder_z
      - .offset:         184
        .size:           8
        .value_kind:     hidden_global_offset_x
      - .offset:         192
        .size:           8
        .value_kind:     hidden_global_offset_y
      - .offset:         200
        .size:           8
        .value_kind:     hidden_global_offset_z
      - .offset:         208
        .size:           2
        .value_kind:     hidden_grid_dims
      - .offset:         264
        .size:           4
        .value_kind:     hidden_dynamic_lds_size
    .group_segment_fixed_size: 480
    .kernarg_segment_align: 8
    .kernarg_segment_size: 400
    .language:       OpenCL C
    .language_version:
      - 2
      - 0
    .max_flat_workgroup_size: 1024
    .name:           _ZN4vllm25paged_attention_v2_kernelIffLi112ELi8ELi128ELNS_18Fp8KVCacheDataTypeE0ELb1ELi512EEEvPfS2_PT_PKS3_PKT0_S9_ifPKiSB_iPKfiiiSD_SD_iiiii
    .private_segment_fixed_size: 0
    .sgpr_count:     44
    .sgpr_spill_count: 0
    .symbol:         _ZN4vllm25paged_attention_v2_kernelIffLi112ELi8ELi128ELNS_18Fp8KVCacheDataTypeE0ELb1ELi512EEEvPfS2_PT_PKS3_PKT0_S9_ifPKiSB_iPKfiiiSD_SD_iiiii.kd
    .uniform_work_group_size: 1
    .uses_dynamic_stack: false
    .vgpr_count:     57
    .vgpr_spill_count: 0
    .wavefront_size: 32
    .workgroup_processor_mode: 1
  - .args:
      - .actual_access:  write_only
        .address_space:  global
        .offset:         0
        .size:           8
        .value_kind:     global_buffer
      - .actual_access:  read_only
        .address_space:  global
        .offset:         8
        .size:           8
        .value_kind:     global_buffer
      - .actual_access:  read_only
        .address_space:  global
        .offset:         16
        .size:           8
        .value_kind:     global_buffer
      - .actual_access:  read_only
        .address_space:  global
        .offset:         24
        .size:           8
        .value_kind:     global_buffer
      - .actual_access:  read_only
        .address_space:  global
        .offset:         32
        .size:           8
        .value_kind:     global_buffer
      - .offset:         40
        .size:           4
        .value_kind:     by_value
      - .offset:         48
        .size:           4
        .value_kind:     hidden_block_count_x
      - .offset:         52
        .size:           4
        .value_kind:     hidden_block_count_y
      - .offset:         56
        .size:           4
        .value_kind:     hidden_block_count_z
      - .offset:         60
        .size:           2
        .value_kind:     hidden_group_size_x
      - .offset:         62
        .size:           2
        .value_kind:     hidden_group_size_y
      - .offset:         64
        .size:           2
        .value_kind:     hidden_group_size_z
      - .offset:         66
        .size:           2
        .value_kind:     hidden_remainder_x
      - .offset:         68
        .size:           2
        .value_kind:     hidden_remainder_y
      - .offset:         70
        .size:           2
        .value_kind:     hidden_remainder_z
      - .offset:         88
        .size:           8
        .value_kind:     hidden_global_offset_x
      - .offset:         96
        .size:           8
        .value_kind:     hidden_global_offset_y
      - .offset:         104
        .size:           8
        .value_kind:     hidden_global_offset_z
      - .offset:         112
        .size:           2
        .value_kind:     hidden_grid_dims
      - .offset:         168
        .size:           4
        .value_kind:     hidden_dynamic_lds_size
    .group_segment_fixed_size: 32
    .kernarg_segment_align: 8
    .kernarg_segment_size: 304
    .language:       OpenCL C
    .language_version:
      - 2
      - 0
    .max_flat_workgroup_size: 1024
    .name:           _ZN4vllm32paged_attention_v2_reduce_kernelIfLi112ELi128ELi512EEEvPT_PKfS4_PKS1_PKii
    .private_segment_fixed_size: 0
    .sgpr_count:     28
    .sgpr_spill_count: 0
    .symbol:         _ZN4vllm32paged_attention_v2_reduce_kernelIfLi112ELi128ELi512EEEvPT_PKfS4_PKS1_PKii.kd
    .uniform_work_group_size: 1
    .uses_dynamic_stack: false
    .vgpr_count:     19
    .vgpr_spill_count: 0
    .wavefront_size: 32
    .workgroup_processor_mode: 1
  - .args:
      - .actual_access:  write_only
        .address_space:  global
        .offset:         0
        .size:           8
        .value_kind:     global_buffer
      - .actual_access:  write_only
        .address_space:  global
        .offset:         8
        .size:           8
        .value_kind:     global_buffer
      - .actual_access:  write_only
        .address_space:  global
        .offset:         16
        .size:           8
        .value_kind:     global_buffer
      - .actual_access:  read_only
        .address_space:  global
        .offset:         24
        .size:           8
        .value_kind:     global_buffer
      - .actual_access:  read_only
        .address_space:  global
        .offset:         32
        .size:           8
        .value_kind:     global_buffer
      - .actual_access:  read_only
        .address_space:  global
        .offset:         40
        .size:           8
        .value_kind:     global_buffer
      - .offset:         48
        .size:           4
        .value_kind:     by_value
      - .offset:         52
        .size:           4
        .value_kind:     by_value
      - .actual_access:  read_only
        .address_space:  global
        .offset:         56
        .size:           8
        .value_kind:     global_buffer
      - .actual_access:  read_only
        .address_space:  global
        .offset:         64
        .size:           8
        .value_kind:     global_buffer
      - .offset:         72
        .size:           4
        .value_kind:     by_value
      - .actual_access:  read_only
        .address_space:  global
        .offset:         80
        .size:           8
        .value_kind:     global_buffer
      - .offset:         88
        .size:           4
        .value_kind:     by_value
      - .offset:         92
        .size:           4
        .value_kind:     by_value
      - .offset:         96
        .size:           4
        .value_kind:     by_value
      - .address_space:  global
        .offset:         104
        .size:           8
        .value_kind:     global_buffer
      - .address_space:  global
        .offset:         112
        .size:           8
        .value_kind:     global_buffer
      - .offset:         120
        .size:           4
        .value_kind:     by_value
      - .offset:         124
        .size:           4
        .value_kind:     by_value
      - .offset:         128
        .size:           4
        .value_kind:     by_value
      - .offset:         132
        .size:           4
        .value_kind:     by_value
      - .offset:         136
        .size:           4
        .value_kind:     by_value
      - .offset:         144
        .size:           4
        .value_kind:     hidden_block_count_x
      - .offset:         148
        .size:           4
        .value_kind:     hidden_block_count_y
      - .offset:         152
        .size:           4
        .value_kind:     hidden_block_count_z
      - .offset:         156
        .size:           2
        .value_kind:     hidden_group_size_x
      - .offset:         158
        .size:           2
        .value_kind:     hidden_group_size_y
      - .offset:         160
        .size:           2
        .value_kind:     hidden_group_size_z
      - .offset:         162
        .size:           2
        .value_kind:     hidden_remainder_x
      - .offset:         164
        .size:           2
        .value_kind:     hidden_remainder_y
      - .offset:         166
        .size:           2
        .value_kind:     hidden_remainder_z
      - .offset:         184
        .size:           8
        .value_kind:     hidden_global_offset_x
      - .offset:         192
        .size:           8
        .value_kind:     hidden_global_offset_y
      - .offset:         200
        .size:           8
        .value_kind:     hidden_global_offset_z
      - .offset:         208
        .size:           2
        .value_kind:     hidden_grid_dims
      - .offset:         264
        .size:           4
        .value_kind:     hidden_dynamic_lds_size
    .group_segment_fixed_size: 512
    .kernarg_segment_align: 8
    .kernarg_segment_size: 400
    .language:       OpenCL C
    .language_version:
      - 2
      - 0
    .max_flat_workgroup_size: 1024
    .name:           _ZN4vllm25paged_attention_v2_kernelIffLi120ELi8ELi128ELNS_18Fp8KVCacheDataTypeE0ELb1ELi512EEEvPfS2_PT_PKS3_PKT0_S9_ifPKiSB_iPKfiiiSD_SD_iiiii
    .private_segment_fixed_size: 0
    .sgpr_count:     44
    .sgpr_spill_count: 0
    .symbol:         _ZN4vllm25paged_attention_v2_kernelIffLi120ELi8ELi128ELNS_18Fp8KVCacheDataTypeE0ELb1ELi512EEEvPfS2_PT_PKS3_PKT0_S9_ifPKiSB_iPKfiiiSD_SD_iiiii.kd
    .uniform_work_group_size: 1
    .uses_dynamic_stack: false
    .vgpr_count:     60
    .vgpr_spill_count: 0
    .wavefront_size: 32
    .workgroup_processor_mode: 1
  - .args:
      - .actual_access:  write_only
        .address_space:  global
        .offset:         0
        .size:           8
        .value_kind:     global_buffer
      - .actual_access:  read_only
        .address_space:  global
        .offset:         8
        .size:           8
        .value_kind:     global_buffer
      - .actual_access:  read_only
        .address_space:  global
        .offset:         16
        .size:           8
        .value_kind:     global_buffer
      - .actual_access:  read_only
        .address_space:  global
        .offset:         24
        .size:           8
        .value_kind:     global_buffer
      - .actual_access:  read_only
        .address_space:  global
        .offset:         32
        .size:           8
        .value_kind:     global_buffer
      - .offset:         40
        .size:           4
        .value_kind:     by_value
      - .offset:         48
        .size:           4
        .value_kind:     hidden_block_count_x
      - .offset:         52
        .size:           4
        .value_kind:     hidden_block_count_y
      - .offset:         56
        .size:           4
        .value_kind:     hidden_block_count_z
      - .offset:         60
        .size:           2
        .value_kind:     hidden_group_size_x
      - .offset:         62
        .size:           2
        .value_kind:     hidden_group_size_y
      - .offset:         64
        .size:           2
        .value_kind:     hidden_group_size_z
      - .offset:         66
        .size:           2
        .value_kind:     hidden_remainder_x
      - .offset:         68
        .size:           2
        .value_kind:     hidden_remainder_y
      - .offset:         70
        .size:           2
        .value_kind:     hidden_remainder_z
      - .offset:         88
        .size:           8
        .value_kind:     hidden_global_offset_x
      - .offset:         96
        .size:           8
        .value_kind:     hidden_global_offset_y
      - .offset:         104
        .size:           8
        .value_kind:     hidden_global_offset_z
      - .offset:         112
        .size:           2
        .value_kind:     hidden_grid_dims
      - .offset:         168
        .size:           4
        .value_kind:     hidden_dynamic_lds_size
    .group_segment_fixed_size: 32
    .kernarg_segment_align: 8
    .kernarg_segment_size: 304
    .language:       OpenCL C
    .language_version:
      - 2
      - 0
    .max_flat_workgroup_size: 1024
    .name:           _ZN4vllm32paged_attention_v2_reduce_kernelIfLi120ELi128ELi512EEEvPT_PKfS4_PKS1_PKii
    .private_segment_fixed_size: 0
    .sgpr_count:     28
    .sgpr_spill_count: 0
    .symbol:         _ZN4vllm32paged_attention_v2_reduce_kernelIfLi120ELi128ELi512EEEvPT_PKfS4_PKS1_PKii.kd
    .uniform_work_group_size: 1
    .uses_dynamic_stack: false
    .vgpr_count:     19
    .vgpr_spill_count: 0
    .wavefront_size: 32
    .workgroup_processor_mode: 1
  - .args:
      - .actual_access:  write_only
        .address_space:  global
        .offset:         0
        .size:           8
        .value_kind:     global_buffer
      - .actual_access:  write_only
        .address_space:  global
        .offset:         8
        .size:           8
        .value_kind:     global_buffer
      - .actual_access:  write_only
        .address_space:  global
        .offset:         16
        .size:           8
        .value_kind:     global_buffer
      - .actual_access:  read_only
        .address_space:  global
        .offset:         24
        .size:           8
        .value_kind:     global_buffer
      - .actual_access:  read_only
        .address_space:  global
        .offset:         32
        .size:           8
        .value_kind:     global_buffer
      - .actual_access:  read_only
        .address_space:  global
        .offset:         40
        .size:           8
        .value_kind:     global_buffer
      - .offset:         48
        .size:           4
        .value_kind:     by_value
      - .offset:         52
        .size:           4
        .value_kind:     by_value
      - .actual_access:  read_only
        .address_space:  global
        .offset:         56
        .size:           8
        .value_kind:     global_buffer
      - .actual_access:  read_only
        .address_space:  global
        .offset:         64
        .size:           8
        .value_kind:     global_buffer
      - .offset:         72
        .size:           4
        .value_kind:     by_value
      - .actual_access:  read_only
        .address_space:  global
        .offset:         80
        .size:           8
        .value_kind:     global_buffer
      - .offset:         88
        .size:           4
        .value_kind:     by_value
      - .offset:         92
        .size:           4
        .value_kind:     by_value
      - .offset:         96
        .size:           4
        .value_kind:     by_value
      - .address_space:  global
        .offset:         104
        .size:           8
        .value_kind:     global_buffer
      - .address_space:  global
        .offset:         112
        .size:           8
        .value_kind:     global_buffer
      - .offset:         120
        .size:           4
        .value_kind:     by_value
      - .offset:         124
        .size:           4
        .value_kind:     by_value
      - .offset:         128
        .size:           4
        .value_kind:     by_value
      - .offset:         132
        .size:           4
        .value_kind:     by_value
      - .offset:         136
        .size:           4
        .value_kind:     by_value
      - .offset:         144
        .size:           4
        .value_kind:     hidden_block_count_x
      - .offset:         148
        .size:           4
        .value_kind:     hidden_block_count_y
      - .offset:         152
        .size:           4
        .value_kind:     hidden_block_count_z
      - .offset:         156
        .size:           2
        .value_kind:     hidden_group_size_x
      - .offset:         158
        .size:           2
        .value_kind:     hidden_group_size_y
      - .offset:         160
        .size:           2
        .value_kind:     hidden_group_size_z
      - .offset:         162
        .size:           2
        .value_kind:     hidden_remainder_x
      - .offset:         164
        .size:           2
        .value_kind:     hidden_remainder_y
      - .offset:         166
        .size:           2
        .value_kind:     hidden_remainder_z
      - .offset:         184
        .size:           8
        .value_kind:     hidden_global_offset_x
      - .offset:         192
        .size:           8
        .value_kind:     hidden_global_offset_y
      - .offset:         200
        .size:           8
        .value_kind:     hidden_global_offset_z
      - .offset:         208
        .size:           2
        .value_kind:     hidden_grid_dims
      - .offset:         264
        .size:           4
        .value_kind:     hidden_dynamic_lds_size
    .group_segment_fixed_size: 544
    .kernarg_segment_align: 8
    .kernarg_segment_size: 400
    .language:       OpenCL C
    .language_version:
      - 2
      - 0
    .max_flat_workgroup_size: 1024
    .name:           _ZN4vllm25paged_attention_v2_kernelIffLi128ELi8ELi128ELNS_18Fp8KVCacheDataTypeE0ELb1ELi512EEEvPfS2_PT_PKS3_PKT0_S9_ifPKiSB_iPKfiiiSD_SD_iiiii
    .private_segment_fixed_size: 0
    .sgpr_count:     44
    .sgpr_spill_count: 0
    .symbol:         _ZN4vllm25paged_attention_v2_kernelIffLi128ELi8ELi128ELNS_18Fp8KVCacheDataTypeE0ELb1ELi512EEEvPfS2_PT_PKS3_PKT0_S9_ifPKiSB_iPKfiiiSD_SD_iiiii.kd
    .uniform_work_group_size: 1
    .uses_dynamic_stack: false
    .vgpr_count:     61
    .vgpr_spill_count: 0
    .wavefront_size: 32
    .workgroup_processor_mode: 1
  - .args:
      - .actual_access:  write_only
        .address_space:  global
        .offset:         0
        .size:           8
        .value_kind:     global_buffer
      - .actual_access:  read_only
        .address_space:  global
        .offset:         8
        .size:           8
        .value_kind:     global_buffer
      - .actual_access:  read_only
        .address_space:  global
        .offset:         16
        .size:           8
        .value_kind:     global_buffer
      - .actual_access:  read_only
        .address_space:  global
        .offset:         24
        .size:           8
        .value_kind:     global_buffer
      - .actual_access:  read_only
        .address_space:  global
        .offset:         32
        .size:           8
        .value_kind:     global_buffer
      - .offset:         40
        .size:           4
        .value_kind:     by_value
      - .offset:         48
        .size:           4
        .value_kind:     hidden_block_count_x
      - .offset:         52
        .size:           4
        .value_kind:     hidden_block_count_y
      - .offset:         56
        .size:           4
        .value_kind:     hidden_block_count_z
      - .offset:         60
        .size:           2
        .value_kind:     hidden_group_size_x
      - .offset:         62
        .size:           2
        .value_kind:     hidden_group_size_y
      - .offset:         64
        .size:           2
        .value_kind:     hidden_group_size_z
      - .offset:         66
        .size:           2
        .value_kind:     hidden_remainder_x
      - .offset:         68
        .size:           2
        .value_kind:     hidden_remainder_y
      - .offset:         70
        .size:           2
        .value_kind:     hidden_remainder_z
      - .offset:         88
        .size:           8
        .value_kind:     hidden_global_offset_x
      - .offset:         96
        .size:           8
        .value_kind:     hidden_global_offset_y
      - .offset:         104
        .size:           8
        .value_kind:     hidden_global_offset_z
      - .offset:         112
        .size:           2
        .value_kind:     hidden_grid_dims
      - .offset:         168
        .size:           4
        .value_kind:     hidden_dynamic_lds_size
    .group_segment_fixed_size: 32
    .kernarg_segment_align: 8
    .kernarg_segment_size: 304
    .language:       OpenCL C
    .language_version:
      - 2
      - 0
    .max_flat_workgroup_size: 1024
    .name:           _ZN4vllm32paged_attention_v2_reduce_kernelIfLi128ELi128ELi512EEEvPT_PKfS4_PKS1_PKii
    .private_segment_fixed_size: 0
    .sgpr_count:     28
    .sgpr_spill_count: 0
    .symbol:         _ZN4vllm32paged_attention_v2_reduce_kernelIfLi128ELi128ELi512EEEvPT_PKfS4_PKS1_PKii.kd
    .uniform_work_group_size: 1
    .uses_dynamic_stack: false
    .vgpr_count:     19
    .vgpr_spill_count: 0
    .wavefront_size: 32
    .workgroup_processor_mode: 1
  - .args:
      - .actual_access:  write_only
        .address_space:  global
        .offset:         0
        .size:           8
        .value_kind:     global_buffer
      - .actual_access:  write_only
        .address_space:  global
        .offset:         8
        .size:           8
        .value_kind:     global_buffer
      - .actual_access:  write_only
        .address_space:  global
        .offset:         16
        .size:           8
        .value_kind:     global_buffer
      - .actual_access:  read_only
        .address_space:  global
        .offset:         24
        .size:           8
        .value_kind:     global_buffer
      - .actual_access:  read_only
        .address_space:  global
        .offset:         32
        .size:           8
        .value_kind:     global_buffer
      - .actual_access:  read_only
        .address_space:  global
        .offset:         40
        .size:           8
        .value_kind:     global_buffer
      - .offset:         48
        .size:           4
        .value_kind:     by_value
      - .offset:         52
        .size:           4
        .value_kind:     by_value
      - .actual_access:  read_only
        .address_space:  global
        .offset:         56
        .size:           8
        .value_kind:     global_buffer
      - .actual_access:  read_only
        .address_space:  global
        .offset:         64
        .size:           8
        .value_kind:     global_buffer
      - .offset:         72
        .size:           4
        .value_kind:     by_value
      - .actual_access:  read_only
        .address_space:  global
        .offset:         80
        .size:           8
        .value_kind:     global_buffer
      - .offset:         88
        .size:           4
        .value_kind:     by_value
      - .offset:         92
        .size:           4
        .value_kind:     by_value
      - .offset:         96
        .size:           4
        .value_kind:     by_value
      - .address_space:  global
        .offset:         104
        .size:           8
        .value_kind:     global_buffer
      - .address_space:  global
        .offset:         112
        .size:           8
        .value_kind:     global_buffer
      - .offset:         120
        .size:           4
        .value_kind:     by_value
      - .offset:         124
        .size:           4
        .value_kind:     by_value
      - .offset:         128
        .size:           4
        .value_kind:     by_value
      - .offset:         132
        .size:           4
        .value_kind:     by_value
      - .offset:         136
        .size:           4
        .value_kind:     by_value
      - .offset:         144
        .size:           4
        .value_kind:     hidden_block_count_x
      - .offset:         148
        .size:           4
        .value_kind:     hidden_block_count_y
      - .offset:         152
        .size:           4
        .value_kind:     hidden_block_count_z
      - .offset:         156
        .size:           2
        .value_kind:     hidden_group_size_x
      - .offset:         158
        .size:           2
        .value_kind:     hidden_group_size_y
      - .offset:         160
        .size:           2
        .value_kind:     hidden_group_size_z
      - .offset:         162
        .size:           2
        .value_kind:     hidden_remainder_x
      - .offset:         164
        .size:           2
        .value_kind:     hidden_remainder_y
      - .offset:         166
        .size:           2
        .value_kind:     hidden_remainder_z
      - .offset:         184
        .size:           8
        .value_kind:     hidden_global_offset_x
      - .offset:         192
        .size:           8
        .value_kind:     hidden_global_offset_y
      - .offset:         200
        .size:           8
        .value_kind:     hidden_global_offset_z
      - .offset:         208
        .size:           2
        .value_kind:     hidden_grid_dims
      - .offset:         264
        .size:           4
        .value_kind:     hidden_dynamic_lds_size
    .group_segment_fixed_size: 800
    .kernarg_segment_align: 8
    .kernarg_segment_size: 400
    .language:       OpenCL C
    .language_version:
      - 2
      - 0
    .max_flat_workgroup_size: 1024
    .name:           _ZN4vllm25paged_attention_v2_kernelIffLi192ELi8ELi128ELNS_18Fp8KVCacheDataTypeE0ELb1ELi512EEEvPfS2_PT_PKS3_PKT0_S9_ifPKiSB_iPKfiiiSD_SD_iiiii
    .private_segment_fixed_size: 0
    .sgpr_count:     44
    .sgpr_spill_count: 0
    .symbol:         _ZN4vllm25paged_attention_v2_kernelIffLi192ELi8ELi128ELNS_18Fp8KVCacheDataTypeE0ELb1ELi512EEEvPfS2_PT_PKS3_PKT0_S9_ifPKiSB_iPKfiiiSD_SD_iiiii.kd
    .uniform_work_group_size: 1
    .uses_dynamic_stack: false
    .vgpr_count:     81
    .vgpr_spill_count: 0
    .wavefront_size: 32
    .workgroup_processor_mode: 1
  - .args:
      - .actual_access:  write_only
        .address_space:  global
        .offset:         0
        .size:           8
        .value_kind:     global_buffer
      - .actual_access:  read_only
        .address_space:  global
        .offset:         8
        .size:           8
        .value_kind:     global_buffer
      - .actual_access:  read_only
        .address_space:  global
        .offset:         16
        .size:           8
        .value_kind:     global_buffer
      - .actual_access:  read_only
        .address_space:  global
        .offset:         24
        .size:           8
        .value_kind:     global_buffer
      - .actual_access:  read_only
        .address_space:  global
        .offset:         32
        .size:           8
        .value_kind:     global_buffer
      - .offset:         40
        .size:           4
        .value_kind:     by_value
      - .offset:         48
        .size:           4
        .value_kind:     hidden_block_count_x
      - .offset:         52
        .size:           4
        .value_kind:     hidden_block_count_y
      - .offset:         56
        .size:           4
        .value_kind:     hidden_block_count_z
      - .offset:         60
        .size:           2
        .value_kind:     hidden_group_size_x
      - .offset:         62
        .size:           2
        .value_kind:     hidden_group_size_y
      - .offset:         64
        .size:           2
        .value_kind:     hidden_group_size_z
      - .offset:         66
        .size:           2
        .value_kind:     hidden_remainder_x
      - .offset:         68
        .size:           2
        .value_kind:     hidden_remainder_y
      - .offset:         70
        .size:           2
        .value_kind:     hidden_remainder_z
      - .offset:         88
        .size:           8
        .value_kind:     hidden_global_offset_x
      - .offset:         96
        .size:           8
        .value_kind:     hidden_global_offset_y
      - .offset:         104
        .size:           8
        .value_kind:     hidden_global_offset_z
      - .offset:         112
        .size:           2
        .value_kind:     hidden_grid_dims
      - .offset:         168
        .size:           4
        .value_kind:     hidden_dynamic_lds_size
    .group_segment_fixed_size: 32
    .kernarg_segment_align: 8
    .kernarg_segment_size: 304
    .language:       OpenCL C
    .language_version:
      - 2
      - 0
    .max_flat_workgroup_size: 1024
    .name:           _ZN4vllm32paged_attention_v2_reduce_kernelIfLi192ELi128ELi512EEEvPT_PKfS4_PKS1_PKii
    .private_segment_fixed_size: 0
    .sgpr_count:     28
    .sgpr_spill_count: 0
    .symbol:         _ZN4vllm32paged_attention_v2_reduce_kernelIfLi192ELi128ELi512EEEvPT_PKfS4_PKS1_PKii.kd
    .uniform_work_group_size: 1
    .uses_dynamic_stack: false
    .vgpr_count:     19
    .vgpr_spill_count: 0
    .wavefront_size: 32
    .workgroup_processor_mode: 1
  - .args:
      - .actual_access:  write_only
        .address_space:  global
        .offset:         0
        .size:           8
        .value_kind:     global_buffer
      - .actual_access:  write_only
        .address_space:  global
        .offset:         8
        .size:           8
        .value_kind:     global_buffer
      - .actual_access:  write_only
        .address_space:  global
        .offset:         16
        .size:           8
        .value_kind:     global_buffer
      - .actual_access:  read_only
        .address_space:  global
        .offset:         24
        .size:           8
        .value_kind:     global_buffer
      - .actual_access:  read_only
        .address_space:  global
        .offset:         32
        .size:           8
        .value_kind:     global_buffer
      - .actual_access:  read_only
        .address_space:  global
        .offset:         40
        .size:           8
        .value_kind:     global_buffer
      - .offset:         48
        .size:           4
        .value_kind:     by_value
      - .offset:         52
        .size:           4
        .value_kind:     by_value
      - .actual_access:  read_only
        .address_space:  global
        .offset:         56
        .size:           8
        .value_kind:     global_buffer
      - .actual_access:  read_only
        .address_space:  global
        .offset:         64
        .size:           8
        .value_kind:     global_buffer
      - .offset:         72
        .size:           4
        .value_kind:     by_value
      - .actual_access:  read_only
        .address_space:  global
        .offset:         80
        .size:           8
        .value_kind:     global_buffer
      - .offset:         88
        .size:           4
        .value_kind:     by_value
      - .offset:         92
        .size:           4
        .value_kind:     by_value
      - .offset:         96
        .size:           4
        .value_kind:     by_value
      - .address_space:  global
        .offset:         104
        .size:           8
        .value_kind:     global_buffer
      - .address_space:  global
        .offset:         112
        .size:           8
        .value_kind:     global_buffer
      - .offset:         120
        .size:           4
        .value_kind:     by_value
      - .offset:         124
        .size:           4
        .value_kind:     by_value
      - .offset:         128
        .size:           4
        .value_kind:     by_value
      - .offset:         132
        .size:           4
        .value_kind:     by_value
      - .offset:         136
        .size:           4
        .value_kind:     by_value
      - .offset:         144
        .size:           4
        .value_kind:     hidden_block_count_x
      - .offset:         148
        .size:           4
        .value_kind:     hidden_block_count_y
      - .offset:         152
        .size:           4
        .value_kind:     hidden_block_count_z
      - .offset:         156
        .size:           2
        .value_kind:     hidden_group_size_x
      - .offset:         158
        .size:           2
        .value_kind:     hidden_group_size_y
      - .offset:         160
        .size:           2
        .value_kind:     hidden_group_size_z
      - .offset:         162
        .size:           2
        .value_kind:     hidden_remainder_x
      - .offset:         164
        .size:           2
        .value_kind:     hidden_remainder_y
      - .offset:         166
        .size:           2
        .value_kind:     hidden_remainder_z
      - .offset:         184
        .size:           8
        .value_kind:     hidden_global_offset_x
      - .offset:         192
        .size:           8
        .value_kind:     hidden_global_offset_y
      - .offset:         200
        .size:           8
        .value_kind:     hidden_global_offset_z
      - .offset:         208
        .size:           2
        .value_kind:     hidden_grid_dims
      - .offset:         264
        .size:           4
        .value_kind:     hidden_dynamic_lds_size
    .group_segment_fixed_size: 1056
    .kernarg_segment_align: 8
    .kernarg_segment_size: 400
    .language:       OpenCL C
    .language_version:
      - 2
      - 0
    .max_flat_workgroup_size: 1024
    .name:           _ZN4vllm25paged_attention_v2_kernelIffLi256ELi8ELi128ELNS_18Fp8KVCacheDataTypeE0ELb1ELi512EEEvPfS2_PT_PKS3_PKT0_S9_ifPKiSB_iPKfiiiSD_SD_iiiii
    .private_segment_fixed_size: 0
    .sgpr_count:     44
    .sgpr_spill_count: 0
    .symbol:         _ZN4vllm25paged_attention_v2_kernelIffLi256ELi8ELi128ELNS_18Fp8KVCacheDataTypeE0ELb1ELi512EEEvPfS2_PT_PKS3_PKT0_S9_ifPKiSB_iPKfiiiSD_SD_iiiii.kd
    .uniform_work_group_size: 1
    .uses_dynamic_stack: false
    .vgpr_count:     101
    .vgpr_spill_count: 0
    .wavefront_size: 32
    .workgroup_processor_mode: 1
  - .args:
      - .actual_access:  write_only
        .address_space:  global
        .offset:         0
        .size:           8
        .value_kind:     global_buffer
      - .actual_access:  read_only
        .address_space:  global
        .offset:         8
        .size:           8
        .value_kind:     global_buffer
      - .actual_access:  read_only
        .address_space:  global
        .offset:         16
        .size:           8
        .value_kind:     global_buffer
      - .actual_access:  read_only
        .address_space:  global
        .offset:         24
        .size:           8
        .value_kind:     global_buffer
      - .actual_access:  read_only
        .address_space:  global
        .offset:         32
        .size:           8
        .value_kind:     global_buffer
      - .offset:         40
        .size:           4
        .value_kind:     by_value
      - .offset:         48
        .size:           4
        .value_kind:     hidden_block_count_x
      - .offset:         52
        .size:           4
        .value_kind:     hidden_block_count_y
      - .offset:         56
        .size:           4
        .value_kind:     hidden_block_count_z
      - .offset:         60
        .size:           2
        .value_kind:     hidden_group_size_x
      - .offset:         62
        .size:           2
        .value_kind:     hidden_group_size_y
      - .offset:         64
        .size:           2
        .value_kind:     hidden_group_size_z
      - .offset:         66
        .size:           2
        .value_kind:     hidden_remainder_x
      - .offset:         68
        .size:           2
        .value_kind:     hidden_remainder_y
      - .offset:         70
        .size:           2
        .value_kind:     hidden_remainder_z
      - .offset:         88
        .size:           8
        .value_kind:     hidden_global_offset_x
      - .offset:         96
        .size:           8
        .value_kind:     hidden_global_offset_y
      - .offset:         104
        .size:           8
        .value_kind:     hidden_global_offset_z
      - .offset:         112
        .size:           2
        .value_kind:     hidden_grid_dims
      - .offset:         168
        .size:           4
        .value_kind:     hidden_dynamic_lds_size
    .group_segment_fixed_size: 32
    .kernarg_segment_align: 8
    .kernarg_segment_size: 304
    .language:       OpenCL C
    .language_version:
      - 2
      - 0
    .max_flat_workgroup_size: 1024
    .name:           _ZN4vllm32paged_attention_v2_reduce_kernelIfLi256ELi128ELi512EEEvPT_PKfS4_PKS1_PKii
    .private_segment_fixed_size: 0
    .sgpr_count:     28
    .sgpr_spill_count: 0
    .symbol:         _ZN4vllm32paged_attention_v2_reduce_kernelIfLi256ELi128ELi512EEEvPT_PKfS4_PKS1_PKii.kd
    .uniform_work_group_size: 1
    .uses_dynamic_stack: false
    .vgpr_count:     19
    .vgpr_spill_count: 0
    .wavefront_size: 32
    .workgroup_processor_mode: 1
  - .args:
      - .actual_access:  write_only
        .address_space:  global
        .offset:         0
        .size:           8
        .value_kind:     global_buffer
      - .actual_access:  write_only
        .address_space:  global
        .offset:         8
        .size:           8
        .value_kind:     global_buffer
      - .actual_access:  write_only
        .address_space:  global
        .offset:         16
        .size:           8
        .value_kind:     global_buffer
      - .actual_access:  read_only
        .address_space:  global
        .offset:         24
        .size:           8
        .value_kind:     global_buffer
      - .actual_access:  read_only
        .address_space:  global
        .offset:         32
        .size:           8
        .value_kind:     global_buffer
      - .actual_access:  read_only
        .address_space:  global
        .offset:         40
        .size:           8
        .value_kind:     global_buffer
      - .offset:         48
        .size:           4
        .value_kind:     by_value
      - .offset:         52
        .size:           4
        .value_kind:     by_value
      - .actual_access:  read_only
        .address_space:  global
        .offset:         56
        .size:           8
        .value_kind:     global_buffer
      - .actual_access:  read_only
        .address_space:  global
        .offset:         64
        .size:           8
        .value_kind:     global_buffer
      - .offset:         72
        .size:           4
        .value_kind:     by_value
      - .actual_access:  read_only
        .address_space:  global
        .offset:         80
        .size:           8
        .value_kind:     global_buffer
      - .offset:         88
        .size:           4
        .value_kind:     by_value
      - .offset:         92
        .size:           4
        .value_kind:     by_value
      - .offset:         96
        .size:           4
        .value_kind:     by_value
      - .address_space:  global
        .offset:         104
        .size:           8
        .value_kind:     global_buffer
      - .address_space:  global
        .offset:         112
        .size:           8
        .value_kind:     global_buffer
      - .offset:         120
        .size:           4
        .value_kind:     by_value
      - .offset:         124
        .size:           4
        .value_kind:     by_value
      - .offset:         128
        .size:           4
        .value_kind:     by_value
      - .offset:         132
        .size:           4
        .value_kind:     by_value
      - .offset:         136
        .size:           4
        .value_kind:     by_value
      - .offset:         144
        .size:           4
        .value_kind:     hidden_block_count_x
      - .offset:         148
        .size:           4
        .value_kind:     hidden_block_count_y
      - .offset:         152
        .size:           4
        .value_kind:     hidden_block_count_z
      - .offset:         156
        .size:           2
        .value_kind:     hidden_group_size_x
      - .offset:         158
        .size:           2
        .value_kind:     hidden_group_size_y
      - .offset:         160
        .size:           2
        .value_kind:     hidden_group_size_z
      - .offset:         162
        .size:           2
        .value_kind:     hidden_remainder_x
      - .offset:         164
        .size:           2
        .value_kind:     hidden_remainder_y
      - .offset:         166
        .size:           2
        .value_kind:     hidden_remainder_z
      - .offset:         184
        .size:           8
        .value_kind:     hidden_global_offset_x
      - .offset:         192
        .size:           8
        .value_kind:     hidden_global_offset_y
      - .offset:         200
        .size:           8
        .value_kind:     hidden_global_offset_z
      - .offset:         208
        .size:           2
        .value_kind:     hidden_grid_dims
      - .offset:         264
        .size:           4
        .value_kind:     hidden_dynamic_lds_size
    .group_segment_fixed_size: 160
    .kernarg_segment_align: 8
    .kernarg_segment_size: 400
    .language:       OpenCL C
    .language_version:
      - 2
      - 0
    .max_flat_workgroup_size: 1024
    .name:           _ZN4vllm25paged_attention_v2_kernelIffLi32ELi8ELi128ELNS_18Fp8KVCacheDataTypeE0ELb0ELi512EEEvPfS2_PT_PKS3_PKT0_S9_ifPKiSB_iPKfiiiSD_SD_iiiii
    .private_segment_fixed_size: 0
    .sgpr_count:     38
    .sgpr_spill_count: 0
    .symbol:         _ZN4vllm25paged_attention_v2_kernelIffLi32ELi8ELi128ELNS_18Fp8KVCacheDataTypeE0ELb0ELi512EEEvPfS2_PT_PKS3_PKT0_S9_ifPKiSB_iPKfiiiSD_SD_iiiii.kd
    .uniform_work_group_size: 1
    .uses_dynamic_stack: false
    .vgpr_count:     35
    .vgpr_spill_count: 0
    .wavefront_size: 32
    .workgroup_processor_mode: 1
  - .args:
      - .actual_access:  write_only
        .address_space:  global
        .offset:         0
        .size:           8
        .value_kind:     global_buffer
      - .actual_access:  write_only
        .address_space:  global
        .offset:         8
        .size:           8
        .value_kind:     global_buffer
      - .actual_access:  write_only
        .address_space:  global
        .offset:         16
        .size:           8
        .value_kind:     global_buffer
      - .actual_access:  read_only
        .address_space:  global
        .offset:         24
        .size:           8
        .value_kind:     global_buffer
      - .actual_access:  read_only
        .address_space:  global
        .offset:         32
        .size:           8
        .value_kind:     global_buffer
      - .actual_access:  read_only
        .address_space:  global
        .offset:         40
        .size:           8
        .value_kind:     global_buffer
      - .offset:         48
        .size:           4
        .value_kind:     by_value
      - .offset:         52
        .size:           4
        .value_kind:     by_value
      - .actual_access:  read_only
        .address_space:  global
        .offset:         56
        .size:           8
        .value_kind:     global_buffer
      - .actual_access:  read_only
        .address_space:  global
        .offset:         64
        .size:           8
        .value_kind:     global_buffer
      - .offset:         72
        .size:           4
        .value_kind:     by_value
      - .actual_access:  read_only
        .address_space:  global
        .offset:         80
        .size:           8
        .value_kind:     global_buffer
      - .offset:         88
        .size:           4
        .value_kind:     by_value
      - .offset:         92
        .size:           4
        .value_kind:     by_value
      - .offset:         96
        .size:           4
        .value_kind:     by_value
      - .address_space:  global
        .offset:         104
        .size:           8
        .value_kind:     global_buffer
      - .address_space:  global
        .offset:         112
        .size:           8
        .value_kind:     global_buffer
      - .offset:         120
        .size:           4
        .value_kind:     by_value
      - .offset:         124
        .size:           4
        .value_kind:     by_value
      - .offset:         128
        .size:           4
        .value_kind:     by_value
      - .offset:         132
        .size:           4
        .value_kind:     by_value
      - .offset:         136
        .size:           4
        .value_kind:     by_value
      - .offset:         144
        .size:           4
        .value_kind:     hidden_block_count_x
      - .offset:         148
        .size:           4
        .value_kind:     hidden_block_count_y
      - .offset:         152
        .size:           4
        .value_kind:     hidden_block_count_z
      - .offset:         156
        .size:           2
        .value_kind:     hidden_group_size_x
      - .offset:         158
        .size:           2
        .value_kind:     hidden_group_size_y
      - .offset:         160
        .size:           2
        .value_kind:     hidden_group_size_z
      - .offset:         162
        .size:           2
        .value_kind:     hidden_remainder_x
      - .offset:         164
        .size:           2
        .value_kind:     hidden_remainder_y
      - .offset:         166
        .size:           2
        .value_kind:     hidden_remainder_z
      - .offset:         184
        .size:           8
        .value_kind:     hidden_global_offset_x
      - .offset:         192
        .size:           8
        .value_kind:     hidden_global_offset_y
      - .offset:         200
        .size:           8
        .value_kind:     hidden_global_offset_z
      - .offset:         208
        .size:           2
        .value_kind:     hidden_grid_dims
      - .offset:         264
        .size:           4
        .value_kind:     hidden_dynamic_lds_size
    .group_segment_fixed_size: 288
    .kernarg_segment_align: 8
    .kernarg_segment_size: 400
    .language:       OpenCL C
    .language_version:
      - 2
      - 0
    .max_flat_workgroup_size: 1024
    .name:           _ZN4vllm25paged_attention_v2_kernelIffLi64ELi8ELi128ELNS_18Fp8KVCacheDataTypeE0ELb0ELi512EEEvPfS2_PT_PKS3_PKT0_S9_ifPKiSB_iPKfiiiSD_SD_iiiii
    .private_segment_fixed_size: 0
    .sgpr_count:     38
    .sgpr_spill_count: 0
    .symbol:         _ZN4vllm25paged_attention_v2_kernelIffLi64ELi8ELi128ELNS_18Fp8KVCacheDataTypeE0ELb0ELi512EEEvPfS2_PT_PKS3_PKT0_S9_ifPKiSB_iPKfiiiSD_SD_iiiii.kd
    .uniform_work_group_size: 1
    .uses_dynamic_stack: false
    .vgpr_count:     51
    .vgpr_spill_count: 0
    .wavefront_size: 32
    .workgroup_processor_mode: 1
  - .args:
      - .actual_access:  write_only
        .address_space:  global
        .offset:         0
        .size:           8
        .value_kind:     global_buffer
      - .actual_access:  write_only
        .address_space:  global
        .offset:         8
        .size:           8
        .value_kind:     global_buffer
      - .actual_access:  write_only
        .address_space:  global
        .offset:         16
        .size:           8
        .value_kind:     global_buffer
      - .actual_access:  read_only
        .address_space:  global
        .offset:         24
        .size:           8
        .value_kind:     global_buffer
      - .actual_access:  read_only
        .address_space:  global
        .offset:         32
        .size:           8
        .value_kind:     global_buffer
      - .actual_access:  read_only
        .address_space:  global
        .offset:         40
        .size:           8
        .value_kind:     global_buffer
      - .offset:         48
        .size:           4
        .value_kind:     by_value
      - .offset:         52
        .size:           4
        .value_kind:     by_value
      - .actual_access:  read_only
        .address_space:  global
        .offset:         56
        .size:           8
        .value_kind:     global_buffer
      - .actual_access:  read_only
        .address_space:  global
        .offset:         64
        .size:           8
        .value_kind:     global_buffer
      - .offset:         72
        .size:           4
        .value_kind:     by_value
      - .actual_access:  read_only
        .address_space:  global
        .offset:         80
        .size:           8
        .value_kind:     global_buffer
      - .offset:         88
        .size:           4
        .value_kind:     by_value
      - .offset:         92
        .size:           4
        .value_kind:     by_value
      - .offset:         96
        .size:           4
        .value_kind:     by_value
      - .address_space:  global
        .offset:         104
        .size:           8
        .value_kind:     global_buffer
      - .address_space:  global
        .offset:         112
        .size:           8
        .value_kind:     global_buffer
      - .offset:         120
        .size:           4
        .value_kind:     by_value
      - .offset:         124
        .size:           4
        .value_kind:     by_value
      - .offset:         128
        .size:           4
        .value_kind:     by_value
      - .offset:         132
        .size:           4
        .value_kind:     by_value
      - .offset:         136
        .size:           4
        .value_kind:     by_value
      - .offset:         144
        .size:           4
        .value_kind:     hidden_block_count_x
      - .offset:         148
        .size:           4
        .value_kind:     hidden_block_count_y
      - .offset:         152
        .size:           4
        .value_kind:     hidden_block_count_z
      - .offset:         156
        .size:           2
        .value_kind:     hidden_group_size_x
      - .offset:         158
        .size:           2
        .value_kind:     hidden_group_size_y
      - .offset:         160
        .size:           2
        .value_kind:     hidden_group_size_z
      - .offset:         162
        .size:           2
        .value_kind:     hidden_remainder_x
      - .offset:         164
        .size:           2
        .value_kind:     hidden_remainder_y
      - .offset:         166
        .size:           2
        .value_kind:     hidden_remainder_z
      - .offset:         184
        .size:           8
        .value_kind:     hidden_global_offset_x
      - .offset:         192
        .size:           8
        .value_kind:     hidden_global_offset_y
      - .offset:         200
        .size:           8
        .value_kind:     hidden_global_offset_z
      - .offset:         208
        .size:           2
        .value_kind:     hidden_grid_dims
      - .offset:         264
        .size:           4
        .value_kind:     hidden_dynamic_lds_size
    .group_segment_fixed_size: 352
    .kernarg_segment_align: 8
    .kernarg_segment_size: 400
    .language:       OpenCL C
    .language_version:
      - 2
      - 0
    .max_flat_workgroup_size: 1024
    .name:           _ZN4vllm25paged_attention_v2_kernelIffLi80ELi8ELi128ELNS_18Fp8KVCacheDataTypeE0ELb0ELi512EEEvPfS2_PT_PKS3_PKT0_S9_ifPKiSB_iPKfiiiSD_SD_iiiii
    .private_segment_fixed_size: 0
    .sgpr_count:     34
    .sgpr_spill_count: 0
    .symbol:         _ZN4vllm25paged_attention_v2_kernelIffLi80ELi8ELi128ELNS_18Fp8KVCacheDataTypeE0ELb0ELi512EEEvPfS2_PT_PKS3_PKT0_S9_ifPKiSB_iPKfiiiSD_SD_iiiii.kd
    .uniform_work_group_size: 1
    .uses_dynamic_stack: false
    .vgpr_count:     59
    .vgpr_spill_count: 0
    .wavefront_size: 32
    .workgroup_processor_mode: 1
  - .args:
      - .actual_access:  write_only
        .address_space:  global
        .offset:         0
        .size:           8
        .value_kind:     global_buffer
      - .actual_access:  write_only
        .address_space:  global
        .offset:         8
        .size:           8
        .value_kind:     global_buffer
      - .actual_access:  write_only
        .address_space:  global
        .offset:         16
        .size:           8
        .value_kind:     global_buffer
      - .actual_access:  read_only
        .address_space:  global
        .offset:         24
        .size:           8
        .value_kind:     global_buffer
      - .actual_access:  read_only
        .address_space:  global
        .offset:         32
        .size:           8
        .value_kind:     global_buffer
      - .actual_access:  read_only
        .address_space:  global
        .offset:         40
        .size:           8
        .value_kind:     global_buffer
      - .offset:         48
        .size:           4
        .value_kind:     by_value
      - .offset:         52
        .size:           4
        .value_kind:     by_value
      - .actual_access:  read_only
        .address_space:  global
        .offset:         56
        .size:           8
        .value_kind:     global_buffer
      - .actual_access:  read_only
        .address_space:  global
        .offset:         64
        .size:           8
        .value_kind:     global_buffer
      - .offset:         72
        .size:           4
        .value_kind:     by_value
      - .actual_access:  read_only
        .address_space:  global
        .offset:         80
        .size:           8
        .value_kind:     global_buffer
      - .offset:         88
        .size:           4
        .value_kind:     by_value
      - .offset:         92
        .size:           4
        .value_kind:     by_value
      - .offset:         96
        .size:           4
        .value_kind:     by_value
      - .address_space:  global
        .offset:         104
        .size:           8
        .value_kind:     global_buffer
      - .address_space:  global
        .offset:         112
        .size:           8
        .value_kind:     global_buffer
      - .offset:         120
        .size:           4
        .value_kind:     by_value
      - .offset:         124
        .size:           4
        .value_kind:     by_value
      - .offset:         128
        .size:           4
        .value_kind:     by_value
      - .offset:         132
        .size:           4
        .value_kind:     by_value
      - .offset:         136
        .size:           4
        .value_kind:     by_value
      - .offset:         144
        .size:           4
        .value_kind:     hidden_block_count_x
      - .offset:         148
        .size:           4
        .value_kind:     hidden_block_count_y
      - .offset:         152
        .size:           4
        .value_kind:     hidden_block_count_z
      - .offset:         156
        .size:           2
        .value_kind:     hidden_group_size_x
      - .offset:         158
        .size:           2
        .value_kind:     hidden_group_size_y
      - .offset:         160
        .size:           2
        .value_kind:     hidden_group_size_z
      - .offset:         162
        .size:           2
        .value_kind:     hidden_remainder_x
      - .offset:         164
        .size:           2
        .value_kind:     hidden_remainder_y
      - .offset:         166
        .size:           2
        .value_kind:     hidden_remainder_z
      - .offset:         184
        .size:           8
        .value_kind:     hidden_global_offset_x
      - .offset:         192
        .size:           8
        .value_kind:     hidden_global_offset_y
      - .offset:         200
        .size:           8
        .value_kind:     hidden_global_offset_z
      - .offset:         208
        .size:           2
        .value_kind:     hidden_grid_dims
      - .offset:         264
        .size:           4
        .value_kind:     hidden_dynamic_lds_size
    .group_segment_fixed_size: 416
    .kernarg_segment_align: 8
    .kernarg_segment_size: 400
    .language:       OpenCL C
    .language_version:
      - 2
      - 0
    .max_flat_workgroup_size: 1024
    .name:           _ZN4vllm25paged_attention_v2_kernelIffLi96ELi8ELi128ELNS_18Fp8KVCacheDataTypeE0ELb0ELi512EEEvPfS2_PT_PKS3_PKT0_S9_ifPKiSB_iPKfiiiSD_SD_iiiii
    .private_segment_fixed_size: 0
    .sgpr_count:     34
    .sgpr_spill_count: 0
    .symbol:         _ZN4vllm25paged_attention_v2_kernelIffLi96ELi8ELi128ELNS_18Fp8KVCacheDataTypeE0ELb0ELi512EEEvPfS2_PT_PKS3_PKT0_S9_ifPKiSB_iPKfiiiSD_SD_iiiii.kd
    .uniform_work_group_size: 1
    .uses_dynamic_stack: false
    .vgpr_count:     67
    .vgpr_spill_count: 0
    .wavefront_size: 32
    .workgroup_processor_mode: 1
  - .args:
      - .actual_access:  write_only
        .address_space:  global
        .offset:         0
        .size:           8
        .value_kind:     global_buffer
      - .actual_access:  write_only
        .address_space:  global
        .offset:         8
        .size:           8
        .value_kind:     global_buffer
      - .actual_access:  write_only
        .address_space:  global
        .offset:         16
        .size:           8
        .value_kind:     global_buffer
      - .actual_access:  read_only
        .address_space:  global
        .offset:         24
        .size:           8
        .value_kind:     global_buffer
      - .actual_access:  read_only
        .address_space:  global
        .offset:         32
        .size:           8
        .value_kind:     global_buffer
      - .actual_access:  read_only
        .address_space:  global
        .offset:         40
        .size:           8
        .value_kind:     global_buffer
      - .offset:         48
        .size:           4
        .value_kind:     by_value
      - .offset:         52
        .size:           4
        .value_kind:     by_value
      - .actual_access:  read_only
        .address_space:  global
        .offset:         56
        .size:           8
        .value_kind:     global_buffer
      - .actual_access:  read_only
        .address_space:  global
        .offset:         64
        .size:           8
        .value_kind:     global_buffer
      - .offset:         72
        .size:           4
        .value_kind:     by_value
      - .actual_access:  read_only
        .address_space:  global
        .offset:         80
        .size:           8
        .value_kind:     global_buffer
      - .offset:         88
        .size:           4
        .value_kind:     by_value
      - .offset:         92
        .size:           4
        .value_kind:     by_value
      - .offset:         96
        .size:           4
        .value_kind:     by_value
      - .address_space:  global
        .offset:         104
        .size:           8
        .value_kind:     global_buffer
      - .address_space:  global
        .offset:         112
        .size:           8
        .value_kind:     global_buffer
      - .offset:         120
        .size:           4
        .value_kind:     by_value
      - .offset:         124
        .size:           4
        .value_kind:     by_value
      - .offset:         128
        .size:           4
        .value_kind:     by_value
      - .offset:         132
        .size:           4
        .value_kind:     by_value
      - .offset:         136
        .size:           4
        .value_kind:     by_value
      - .offset:         144
        .size:           4
        .value_kind:     hidden_block_count_x
      - .offset:         148
        .size:           4
        .value_kind:     hidden_block_count_y
      - .offset:         152
        .size:           4
        .value_kind:     hidden_block_count_z
      - .offset:         156
        .size:           2
        .value_kind:     hidden_group_size_x
      - .offset:         158
        .size:           2
        .value_kind:     hidden_group_size_y
      - .offset:         160
        .size:           2
        .value_kind:     hidden_group_size_z
      - .offset:         162
        .size:           2
        .value_kind:     hidden_remainder_x
      - .offset:         164
        .size:           2
        .value_kind:     hidden_remainder_y
      - .offset:         166
        .size:           2
        .value_kind:     hidden_remainder_z
      - .offset:         184
        .size:           8
        .value_kind:     hidden_global_offset_x
      - .offset:         192
        .size:           8
        .value_kind:     hidden_global_offset_y
      - .offset:         200
        .size:           8
        .value_kind:     hidden_global_offset_z
      - .offset:         208
        .size:           2
        .value_kind:     hidden_grid_dims
      - .offset:         264
        .size:           4
        .value_kind:     hidden_dynamic_lds_size
    .group_segment_fixed_size: 480
    .kernarg_segment_align: 8
    .kernarg_segment_size: 400
    .language:       OpenCL C
    .language_version:
      - 2
      - 0
    .max_flat_workgroup_size: 1024
    .name:           _ZN4vllm25paged_attention_v2_kernelIffLi112ELi8ELi128ELNS_18Fp8KVCacheDataTypeE0ELb0ELi512EEEvPfS2_PT_PKS3_PKT0_S9_ifPKiSB_iPKfiiiSD_SD_iiiii
    .private_segment_fixed_size: 0
    .sgpr_count:     34
    .sgpr_spill_count: 0
    .symbol:         _ZN4vllm25paged_attention_v2_kernelIffLi112ELi8ELi128ELNS_18Fp8KVCacheDataTypeE0ELb0ELi512EEEvPfS2_PT_PKS3_PKT0_S9_ifPKiSB_iPKfiiiSD_SD_iiiii.kd
    .uniform_work_group_size: 1
    .uses_dynamic_stack: false
    .vgpr_count:     75
    .vgpr_spill_count: 0
    .wavefront_size: 32
    .workgroup_processor_mode: 1
  - .args:
      - .actual_access:  write_only
        .address_space:  global
        .offset:         0
        .size:           8
        .value_kind:     global_buffer
      - .actual_access:  write_only
        .address_space:  global
        .offset:         8
        .size:           8
        .value_kind:     global_buffer
      - .actual_access:  write_only
        .address_space:  global
        .offset:         16
        .size:           8
        .value_kind:     global_buffer
      - .actual_access:  read_only
        .address_space:  global
        .offset:         24
        .size:           8
        .value_kind:     global_buffer
      - .actual_access:  read_only
        .address_space:  global
        .offset:         32
        .size:           8
        .value_kind:     global_buffer
      - .actual_access:  read_only
        .address_space:  global
        .offset:         40
        .size:           8
        .value_kind:     global_buffer
      - .offset:         48
        .size:           4
        .value_kind:     by_value
      - .offset:         52
        .size:           4
        .value_kind:     by_value
      - .actual_access:  read_only
        .address_space:  global
        .offset:         56
        .size:           8
        .value_kind:     global_buffer
      - .actual_access:  read_only
        .address_space:  global
        .offset:         64
        .size:           8
        .value_kind:     global_buffer
      - .offset:         72
        .size:           4
        .value_kind:     by_value
      - .actual_access:  read_only
        .address_space:  global
        .offset:         80
        .size:           8
        .value_kind:     global_buffer
      - .offset:         88
        .size:           4
        .value_kind:     by_value
      - .offset:         92
        .size:           4
        .value_kind:     by_value
      - .offset:         96
        .size:           4
        .value_kind:     by_value
      - .address_space:  global
        .offset:         104
        .size:           8
        .value_kind:     global_buffer
      - .address_space:  global
        .offset:         112
        .size:           8
        .value_kind:     global_buffer
      - .offset:         120
        .size:           4
        .value_kind:     by_value
      - .offset:         124
        .size:           4
        .value_kind:     by_value
      - .offset:         128
        .size:           4
        .value_kind:     by_value
      - .offset:         132
        .size:           4
        .value_kind:     by_value
      - .offset:         136
        .size:           4
        .value_kind:     by_value
      - .offset:         144
        .size:           4
        .value_kind:     hidden_block_count_x
      - .offset:         148
        .size:           4
        .value_kind:     hidden_block_count_y
      - .offset:         152
        .size:           4
        .value_kind:     hidden_block_count_z
      - .offset:         156
        .size:           2
        .value_kind:     hidden_group_size_x
      - .offset:         158
        .size:           2
        .value_kind:     hidden_group_size_y
      - .offset:         160
        .size:           2
        .value_kind:     hidden_group_size_z
      - .offset:         162
        .size:           2
        .value_kind:     hidden_remainder_x
      - .offset:         164
        .size:           2
        .value_kind:     hidden_remainder_y
      - .offset:         166
        .size:           2
        .value_kind:     hidden_remainder_z
      - .offset:         184
        .size:           8
        .value_kind:     hidden_global_offset_x
      - .offset:         192
        .size:           8
        .value_kind:     hidden_global_offset_y
      - .offset:         200
        .size:           8
        .value_kind:     hidden_global_offset_z
      - .offset:         208
        .size:           2
        .value_kind:     hidden_grid_dims
      - .offset:         264
        .size:           4
        .value_kind:     hidden_dynamic_lds_size
    .group_segment_fixed_size: 512
    .kernarg_segment_align: 8
    .kernarg_segment_size: 400
    .language:       OpenCL C
    .language_version:
      - 2
      - 0
    .max_flat_workgroup_size: 1024
    .name:           _ZN4vllm25paged_attention_v2_kernelIffLi120ELi8ELi128ELNS_18Fp8KVCacheDataTypeE0ELb0ELi512EEEvPfS2_PT_PKS3_PKT0_S9_ifPKiSB_iPKfiiiSD_SD_iiiii
    .private_segment_fixed_size: 0
    .sgpr_count:     34
    .sgpr_spill_count: 0
    .symbol:         _ZN4vllm25paged_attention_v2_kernelIffLi120ELi8ELi128ELNS_18Fp8KVCacheDataTypeE0ELb0ELi512EEEvPfS2_PT_PKS3_PKT0_S9_ifPKiSB_iPKfiiiSD_SD_iiiii.kd
    .uniform_work_group_size: 1
    .uses_dynamic_stack: false
    .vgpr_count:     79
    .vgpr_spill_count: 0
    .wavefront_size: 32
    .workgroup_processor_mode: 1
  - .args:
      - .actual_access:  write_only
        .address_space:  global
        .offset:         0
        .size:           8
        .value_kind:     global_buffer
      - .actual_access:  write_only
        .address_space:  global
        .offset:         8
        .size:           8
        .value_kind:     global_buffer
      - .actual_access:  write_only
        .address_space:  global
        .offset:         16
        .size:           8
        .value_kind:     global_buffer
      - .actual_access:  read_only
        .address_space:  global
        .offset:         24
        .size:           8
        .value_kind:     global_buffer
      - .actual_access:  read_only
        .address_space:  global
        .offset:         32
        .size:           8
        .value_kind:     global_buffer
      - .actual_access:  read_only
        .address_space:  global
        .offset:         40
        .size:           8
        .value_kind:     global_buffer
      - .offset:         48
        .size:           4
        .value_kind:     by_value
      - .offset:         52
        .size:           4
        .value_kind:     by_value
      - .actual_access:  read_only
        .address_space:  global
        .offset:         56
        .size:           8
        .value_kind:     global_buffer
      - .actual_access:  read_only
        .address_space:  global
        .offset:         64
        .size:           8
        .value_kind:     global_buffer
      - .offset:         72
        .size:           4
        .value_kind:     by_value
      - .actual_access:  read_only
        .address_space:  global
        .offset:         80
        .size:           8
        .value_kind:     global_buffer
      - .offset:         88
        .size:           4
        .value_kind:     by_value
      - .offset:         92
        .size:           4
        .value_kind:     by_value
      - .offset:         96
        .size:           4
        .value_kind:     by_value
      - .address_space:  global
        .offset:         104
        .size:           8
        .value_kind:     global_buffer
      - .address_space:  global
        .offset:         112
        .size:           8
        .value_kind:     global_buffer
      - .offset:         120
        .size:           4
        .value_kind:     by_value
      - .offset:         124
        .size:           4
        .value_kind:     by_value
      - .offset:         128
        .size:           4
        .value_kind:     by_value
      - .offset:         132
        .size:           4
        .value_kind:     by_value
      - .offset:         136
        .size:           4
        .value_kind:     by_value
      - .offset:         144
        .size:           4
        .value_kind:     hidden_block_count_x
      - .offset:         148
        .size:           4
        .value_kind:     hidden_block_count_y
      - .offset:         152
        .size:           4
        .value_kind:     hidden_block_count_z
      - .offset:         156
        .size:           2
        .value_kind:     hidden_group_size_x
      - .offset:         158
        .size:           2
        .value_kind:     hidden_group_size_y
      - .offset:         160
        .size:           2
        .value_kind:     hidden_group_size_z
      - .offset:         162
        .size:           2
        .value_kind:     hidden_remainder_x
      - .offset:         164
        .size:           2
        .value_kind:     hidden_remainder_y
      - .offset:         166
        .size:           2
        .value_kind:     hidden_remainder_z
      - .offset:         184
        .size:           8
        .value_kind:     hidden_global_offset_x
      - .offset:         192
        .size:           8
        .value_kind:     hidden_global_offset_y
      - .offset:         200
        .size:           8
        .value_kind:     hidden_global_offset_z
      - .offset:         208
        .size:           2
        .value_kind:     hidden_grid_dims
      - .offset:         264
        .size:           4
        .value_kind:     hidden_dynamic_lds_size
    .group_segment_fixed_size: 544
    .kernarg_segment_align: 8
    .kernarg_segment_size: 400
    .language:       OpenCL C
    .language_version:
      - 2
      - 0
    .max_flat_workgroup_size: 1024
    .name:           _ZN4vllm25paged_attention_v2_kernelIffLi128ELi8ELi128ELNS_18Fp8KVCacheDataTypeE0ELb0ELi512EEEvPfS2_PT_PKS3_PKT0_S9_ifPKiSB_iPKfiiiSD_SD_iiiii
    .private_segment_fixed_size: 0
    .sgpr_count:     34
    .sgpr_spill_count: 0
    .symbol:         _ZN4vllm25paged_attention_v2_kernelIffLi128ELi8ELi128ELNS_18Fp8KVCacheDataTypeE0ELb0ELi512EEEvPfS2_PT_PKS3_PKT0_S9_ifPKiSB_iPKfiiiSD_SD_iiiii.kd
    .uniform_work_group_size: 1
    .uses_dynamic_stack: false
    .vgpr_count:     83
    .vgpr_spill_count: 0
    .wavefront_size: 32
    .workgroup_processor_mode: 1
  - .args:
      - .actual_access:  write_only
        .address_space:  global
        .offset:         0
        .size:           8
        .value_kind:     global_buffer
      - .actual_access:  write_only
        .address_space:  global
        .offset:         8
        .size:           8
        .value_kind:     global_buffer
      - .actual_access:  write_only
        .address_space:  global
        .offset:         16
        .size:           8
        .value_kind:     global_buffer
      - .actual_access:  read_only
        .address_space:  global
        .offset:         24
        .size:           8
        .value_kind:     global_buffer
      - .actual_access:  read_only
        .address_space:  global
        .offset:         32
        .size:           8
        .value_kind:     global_buffer
      - .actual_access:  read_only
        .address_space:  global
        .offset:         40
        .size:           8
        .value_kind:     global_buffer
      - .offset:         48
        .size:           4
        .value_kind:     by_value
      - .offset:         52
        .size:           4
        .value_kind:     by_value
      - .actual_access:  read_only
        .address_space:  global
        .offset:         56
        .size:           8
        .value_kind:     global_buffer
      - .actual_access:  read_only
        .address_space:  global
        .offset:         64
        .size:           8
        .value_kind:     global_buffer
      - .offset:         72
        .size:           4
        .value_kind:     by_value
      - .actual_access:  read_only
        .address_space:  global
        .offset:         80
        .size:           8
        .value_kind:     global_buffer
      - .offset:         88
        .size:           4
        .value_kind:     by_value
      - .offset:         92
        .size:           4
        .value_kind:     by_value
      - .offset:         96
        .size:           4
        .value_kind:     by_value
      - .address_space:  global
        .offset:         104
        .size:           8
        .value_kind:     global_buffer
      - .address_space:  global
        .offset:         112
        .size:           8
        .value_kind:     global_buffer
      - .offset:         120
        .size:           4
        .value_kind:     by_value
      - .offset:         124
        .size:           4
        .value_kind:     by_value
      - .offset:         128
        .size:           4
        .value_kind:     by_value
      - .offset:         132
        .size:           4
        .value_kind:     by_value
      - .offset:         136
        .size:           4
        .value_kind:     by_value
      - .offset:         144
        .size:           4
        .value_kind:     hidden_block_count_x
      - .offset:         148
        .size:           4
        .value_kind:     hidden_block_count_y
      - .offset:         152
        .size:           4
        .value_kind:     hidden_block_count_z
      - .offset:         156
        .size:           2
        .value_kind:     hidden_group_size_x
      - .offset:         158
        .size:           2
        .value_kind:     hidden_group_size_y
      - .offset:         160
        .size:           2
        .value_kind:     hidden_group_size_z
      - .offset:         162
        .size:           2
        .value_kind:     hidden_remainder_x
      - .offset:         164
        .size:           2
        .value_kind:     hidden_remainder_y
      - .offset:         166
        .size:           2
        .value_kind:     hidden_remainder_z
      - .offset:         184
        .size:           8
        .value_kind:     hidden_global_offset_x
      - .offset:         192
        .size:           8
        .value_kind:     hidden_global_offset_y
      - .offset:         200
        .size:           8
        .value_kind:     hidden_global_offset_z
      - .offset:         208
        .size:           2
        .value_kind:     hidden_grid_dims
      - .offset:         264
        .size:           4
        .value_kind:     hidden_dynamic_lds_size
    .group_segment_fixed_size: 800
    .kernarg_segment_align: 8
    .kernarg_segment_size: 400
    .language:       OpenCL C
    .language_version:
      - 2
      - 0
    .max_flat_workgroup_size: 1024
    .name:           _ZN4vllm25paged_attention_v2_kernelIffLi192ELi8ELi128ELNS_18Fp8KVCacheDataTypeE0ELb0ELi512EEEvPfS2_PT_PKS3_PKT0_S9_ifPKiSB_iPKfiiiSD_SD_iiiii
    .private_segment_fixed_size: 0
    .sgpr_count:     34
    .sgpr_spill_count: 0
    .symbol:         _ZN4vllm25paged_attention_v2_kernelIffLi192ELi8ELi128ELNS_18Fp8KVCacheDataTypeE0ELb0ELi512EEEvPfS2_PT_PKS3_PKT0_S9_ifPKiSB_iPKfiiiSD_SD_iiiii.kd
    .uniform_work_group_size: 1
    .uses_dynamic_stack: false
    .vgpr_count:     115
    .vgpr_spill_count: 0
    .wavefront_size: 32
    .workgroup_processor_mode: 1
  - .args:
      - .actual_access:  write_only
        .address_space:  global
        .offset:         0
        .size:           8
        .value_kind:     global_buffer
      - .actual_access:  write_only
        .address_space:  global
        .offset:         8
        .size:           8
        .value_kind:     global_buffer
      - .actual_access:  write_only
        .address_space:  global
        .offset:         16
        .size:           8
        .value_kind:     global_buffer
      - .actual_access:  read_only
        .address_space:  global
        .offset:         24
        .size:           8
        .value_kind:     global_buffer
      - .actual_access:  read_only
        .address_space:  global
        .offset:         32
        .size:           8
        .value_kind:     global_buffer
      - .actual_access:  read_only
        .address_space:  global
        .offset:         40
        .size:           8
        .value_kind:     global_buffer
      - .offset:         48
        .size:           4
        .value_kind:     by_value
      - .offset:         52
        .size:           4
        .value_kind:     by_value
      - .actual_access:  read_only
        .address_space:  global
        .offset:         56
        .size:           8
        .value_kind:     global_buffer
      - .actual_access:  read_only
        .address_space:  global
        .offset:         64
        .size:           8
        .value_kind:     global_buffer
      - .offset:         72
        .size:           4
        .value_kind:     by_value
      - .actual_access:  read_only
        .address_space:  global
        .offset:         80
        .size:           8
        .value_kind:     global_buffer
      - .offset:         88
        .size:           4
        .value_kind:     by_value
      - .offset:         92
        .size:           4
        .value_kind:     by_value
      - .offset:         96
        .size:           4
        .value_kind:     by_value
      - .address_space:  global
        .offset:         104
        .size:           8
        .value_kind:     global_buffer
      - .address_space:  global
        .offset:         112
        .size:           8
        .value_kind:     global_buffer
      - .offset:         120
        .size:           4
        .value_kind:     by_value
      - .offset:         124
        .size:           4
        .value_kind:     by_value
      - .offset:         128
        .size:           4
        .value_kind:     by_value
      - .offset:         132
        .size:           4
        .value_kind:     by_value
      - .offset:         136
        .size:           4
        .value_kind:     by_value
      - .offset:         144
        .size:           4
        .value_kind:     hidden_block_count_x
      - .offset:         148
        .size:           4
        .value_kind:     hidden_block_count_y
      - .offset:         152
        .size:           4
        .value_kind:     hidden_block_count_z
      - .offset:         156
        .size:           2
        .value_kind:     hidden_group_size_x
      - .offset:         158
        .size:           2
        .value_kind:     hidden_group_size_y
      - .offset:         160
        .size:           2
        .value_kind:     hidden_group_size_z
      - .offset:         162
        .size:           2
        .value_kind:     hidden_remainder_x
      - .offset:         164
        .size:           2
        .value_kind:     hidden_remainder_y
      - .offset:         166
        .size:           2
        .value_kind:     hidden_remainder_z
      - .offset:         184
        .size:           8
        .value_kind:     hidden_global_offset_x
      - .offset:         192
        .size:           8
        .value_kind:     hidden_global_offset_y
      - .offset:         200
        .size:           8
        .value_kind:     hidden_global_offset_z
      - .offset:         208
        .size:           2
        .value_kind:     hidden_grid_dims
      - .offset:         264
        .size:           4
        .value_kind:     hidden_dynamic_lds_size
    .group_segment_fixed_size: 1056
    .kernarg_segment_align: 8
    .kernarg_segment_size: 400
    .language:       OpenCL C
    .language_version:
      - 2
      - 0
    .max_flat_workgroup_size: 1024
    .name:           _ZN4vllm25paged_attention_v2_kernelIffLi256ELi8ELi128ELNS_18Fp8KVCacheDataTypeE0ELb0ELi512EEEvPfS2_PT_PKS3_PKT0_S9_ifPKiSB_iPKfiiiSD_SD_iiiii
    .private_segment_fixed_size: 0
    .sgpr_count:     34
    .sgpr_spill_count: 0
    .symbol:         _ZN4vllm25paged_attention_v2_kernelIffLi256ELi8ELi128ELNS_18Fp8KVCacheDataTypeE0ELb0ELi512EEEvPfS2_PT_PKS3_PKT0_S9_ifPKiSB_iPKfiiiSD_SD_iiiii.kd
    .uniform_work_group_size: 1
    .uses_dynamic_stack: false
    .vgpr_count:     147
    .vgpr_spill_count: 0
    .wavefront_size: 32
    .workgroup_processor_mode: 1
  - .args:
      - .actual_access:  write_only
        .address_space:  global
        .offset:         0
        .size:           8
        .value_kind:     global_buffer
      - .actual_access:  write_only
        .address_space:  global
        .offset:         8
        .size:           8
        .value_kind:     global_buffer
      - .actual_access:  write_only
        .address_space:  global
        .offset:         16
        .size:           8
        .value_kind:     global_buffer
      - .actual_access:  read_only
        .address_space:  global
        .offset:         24
        .size:           8
        .value_kind:     global_buffer
      - .actual_access:  read_only
        .address_space:  global
        .offset:         32
        .size:           8
        .value_kind:     global_buffer
      - .actual_access:  read_only
        .address_space:  global
        .offset:         40
        .size:           8
        .value_kind:     global_buffer
      - .offset:         48
        .size:           4
        .value_kind:     by_value
      - .offset:         52
        .size:           4
        .value_kind:     by_value
      - .actual_access:  read_only
        .address_space:  global
        .offset:         56
        .size:           8
        .value_kind:     global_buffer
      - .actual_access:  read_only
        .address_space:  global
        .offset:         64
        .size:           8
        .value_kind:     global_buffer
      - .offset:         72
        .size:           4
        .value_kind:     by_value
      - .actual_access:  read_only
        .address_space:  global
        .offset:         80
        .size:           8
        .value_kind:     global_buffer
      - .offset:         88
        .size:           4
        .value_kind:     by_value
      - .offset:         92
        .size:           4
        .value_kind:     by_value
      - .offset:         96
        .size:           4
        .value_kind:     by_value
      - .address_space:  global
        .offset:         104
        .size:           8
        .value_kind:     global_buffer
      - .address_space:  global
        .offset:         112
        .size:           8
        .value_kind:     global_buffer
      - .offset:         120
        .size:           4
        .value_kind:     by_value
      - .offset:         124
        .size:           4
        .value_kind:     by_value
      - .offset:         128
        .size:           4
        .value_kind:     by_value
      - .offset:         132
        .size:           4
        .value_kind:     by_value
      - .offset:         136
        .size:           4
        .value_kind:     by_value
      - .offset:         144
        .size:           4
        .value_kind:     hidden_block_count_x
      - .offset:         148
        .size:           4
        .value_kind:     hidden_block_count_y
      - .offset:         152
        .size:           4
        .value_kind:     hidden_block_count_z
      - .offset:         156
        .size:           2
        .value_kind:     hidden_group_size_x
      - .offset:         158
        .size:           2
        .value_kind:     hidden_group_size_y
      - .offset:         160
        .size:           2
        .value_kind:     hidden_group_size_z
      - .offset:         162
        .size:           2
        .value_kind:     hidden_remainder_x
      - .offset:         164
        .size:           2
        .value_kind:     hidden_remainder_y
      - .offset:         166
        .size:           2
        .value_kind:     hidden_remainder_z
      - .offset:         184
        .size:           8
        .value_kind:     hidden_global_offset_x
      - .offset:         192
        .size:           8
        .value_kind:     hidden_global_offset_y
      - .offset:         200
        .size:           8
        .value_kind:     hidden_global_offset_z
      - .offset:         208
        .size:           2
        .value_kind:     hidden_grid_dims
      - .offset:         264
        .size:           4
        .value_kind:     hidden_dynamic_lds_size
    .group_segment_fixed_size: 160
    .kernarg_segment_align: 8
    .kernarg_segment_size: 400
    .language:       OpenCL C
    .language_version:
      - 2
      - 0
    .max_flat_workgroup_size: 1024
    .name:           _ZN4vllm25paged_attention_v2_kernelIffLi32ELi16ELi128ELNS_18Fp8KVCacheDataTypeE0ELb1ELi512EEEvPfS2_PT_PKS3_PKT0_S9_ifPKiSB_iPKfiiiSD_SD_iiiii
    .private_segment_fixed_size: 0
    .sgpr_count:     44
    .sgpr_spill_count: 0
    .symbol:         _ZN4vllm25paged_attention_v2_kernelIffLi32ELi16ELi128ELNS_18Fp8KVCacheDataTypeE0ELb1ELi512EEEvPfS2_PT_PKS3_PKT0_S9_ifPKiSB_iPKfiiiSD_SD_iiiii.kd
    .uniform_work_group_size: 1
    .uses_dynamic_stack: false
    .vgpr_count:     48
    .vgpr_spill_count: 0
    .wavefront_size: 32
    .workgroup_processor_mode: 1
  - .args:
      - .actual_access:  write_only
        .address_space:  global
        .offset:         0
        .size:           8
        .value_kind:     global_buffer
      - .actual_access:  write_only
        .address_space:  global
        .offset:         8
        .size:           8
        .value_kind:     global_buffer
      - .actual_access:  write_only
        .address_space:  global
        .offset:         16
        .size:           8
        .value_kind:     global_buffer
      - .actual_access:  read_only
        .address_space:  global
        .offset:         24
        .size:           8
        .value_kind:     global_buffer
      - .actual_access:  read_only
        .address_space:  global
        .offset:         32
        .size:           8
        .value_kind:     global_buffer
      - .actual_access:  read_only
        .address_space:  global
        .offset:         40
        .size:           8
        .value_kind:     global_buffer
      - .offset:         48
        .size:           4
        .value_kind:     by_value
      - .offset:         52
        .size:           4
        .value_kind:     by_value
      - .actual_access:  read_only
        .address_space:  global
        .offset:         56
        .size:           8
        .value_kind:     global_buffer
      - .actual_access:  read_only
        .address_space:  global
        .offset:         64
        .size:           8
        .value_kind:     global_buffer
      - .offset:         72
        .size:           4
        .value_kind:     by_value
      - .actual_access:  read_only
        .address_space:  global
        .offset:         80
        .size:           8
        .value_kind:     global_buffer
      - .offset:         88
        .size:           4
        .value_kind:     by_value
      - .offset:         92
        .size:           4
        .value_kind:     by_value
      - .offset:         96
        .size:           4
        .value_kind:     by_value
      - .address_space:  global
        .offset:         104
        .size:           8
        .value_kind:     global_buffer
      - .address_space:  global
        .offset:         112
        .size:           8
        .value_kind:     global_buffer
      - .offset:         120
        .size:           4
        .value_kind:     by_value
      - .offset:         124
        .size:           4
        .value_kind:     by_value
      - .offset:         128
        .size:           4
        .value_kind:     by_value
      - .offset:         132
        .size:           4
        .value_kind:     by_value
      - .offset:         136
        .size:           4
        .value_kind:     by_value
      - .offset:         144
        .size:           4
        .value_kind:     hidden_block_count_x
      - .offset:         148
        .size:           4
        .value_kind:     hidden_block_count_y
      - .offset:         152
        .size:           4
        .value_kind:     hidden_block_count_z
      - .offset:         156
        .size:           2
        .value_kind:     hidden_group_size_x
      - .offset:         158
        .size:           2
        .value_kind:     hidden_group_size_y
      - .offset:         160
        .size:           2
        .value_kind:     hidden_group_size_z
      - .offset:         162
        .size:           2
        .value_kind:     hidden_remainder_x
      - .offset:         164
        .size:           2
        .value_kind:     hidden_remainder_y
      - .offset:         166
        .size:           2
        .value_kind:     hidden_remainder_z
      - .offset:         184
        .size:           8
        .value_kind:     hidden_global_offset_x
      - .offset:         192
        .size:           8
        .value_kind:     hidden_global_offset_y
      - .offset:         200
        .size:           8
        .value_kind:     hidden_global_offset_z
      - .offset:         208
        .size:           2
        .value_kind:     hidden_grid_dims
      - .offset:         264
        .size:           4
        .value_kind:     hidden_dynamic_lds_size
    .group_segment_fixed_size: 288
    .kernarg_segment_align: 8
    .kernarg_segment_size: 400
    .language:       OpenCL C
    .language_version:
      - 2
      - 0
    .max_flat_workgroup_size: 1024
    .name:           _ZN4vllm25paged_attention_v2_kernelIffLi64ELi16ELi128ELNS_18Fp8KVCacheDataTypeE0ELb1ELi512EEEvPfS2_PT_PKS3_PKT0_S9_ifPKiSB_iPKfiiiSD_SD_iiiii
    .private_segment_fixed_size: 0
    .sgpr_count:     46
    .sgpr_spill_count: 0
    .symbol:         _ZN4vllm25paged_attention_v2_kernelIffLi64ELi16ELi128ELNS_18Fp8KVCacheDataTypeE0ELb1ELi512EEEvPfS2_PT_PKS3_PKT0_S9_ifPKiSB_iPKfiiiSD_SD_iiiii.kd
    .uniform_work_group_size: 1
    .uses_dynamic_stack: false
    .vgpr_count:     64
    .vgpr_spill_count: 0
    .wavefront_size: 32
    .workgroup_processor_mode: 1
  - .args:
      - .actual_access:  write_only
        .address_space:  global
        .offset:         0
        .size:           8
        .value_kind:     global_buffer
      - .actual_access:  write_only
        .address_space:  global
        .offset:         8
        .size:           8
        .value_kind:     global_buffer
      - .actual_access:  write_only
        .address_space:  global
        .offset:         16
        .size:           8
        .value_kind:     global_buffer
      - .actual_access:  read_only
        .address_space:  global
        .offset:         24
        .size:           8
        .value_kind:     global_buffer
      - .actual_access:  read_only
        .address_space:  global
        .offset:         32
        .size:           8
        .value_kind:     global_buffer
      - .actual_access:  read_only
        .address_space:  global
        .offset:         40
        .size:           8
        .value_kind:     global_buffer
      - .offset:         48
        .size:           4
        .value_kind:     by_value
      - .offset:         52
        .size:           4
        .value_kind:     by_value
      - .actual_access:  read_only
        .address_space:  global
        .offset:         56
        .size:           8
        .value_kind:     global_buffer
      - .actual_access:  read_only
        .address_space:  global
        .offset:         64
        .size:           8
        .value_kind:     global_buffer
      - .offset:         72
        .size:           4
        .value_kind:     by_value
      - .actual_access:  read_only
        .address_space:  global
        .offset:         80
        .size:           8
        .value_kind:     global_buffer
      - .offset:         88
        .size:           4
        .value_kind:     by_value
      - .offset:         92
        .size:           4
        .value_kind:     by_value
      - .offset:         96
        .size:           4
        .value_kind:     by_value
      - .address_space:  global
        .offset:         104
        .size:           8
        .value_kind:     global_buffer
      - .address_space:  global
        .offset:         112
        .size:           8
        .value_kind:     global_buffer
      - .offset:         120
        .size:           4
        .value_kind:     by_value
      - .offset:         124
        .size:           4
        .value_kind:     by_value
      - .offset:         128
        .size:           4
        .value_kind:     by_value
      - .offset:         132
        .size:           4
        .value_kind:     by_value
      - .offset:         136
        .size:           4
        .value_kind:     by_value
      - .offset:         144
        .size:           4
        .value_kind:     hidden_block_count_x
      - .offset:         148
        .size:           4
        .value_kind:     hidden_block_count_y
      - .offset:         152
        .size:           4
        .value_kind:     hidden_block_count_z
      - .offset:         156
        .size:           2
        .value_kind:     hidden_group_size_x
      - .offset:         158
        .size:           2
        .value_kind:     hidden_group_size_y
      - .offset:         160
        .size:           2
        .value_kind:     hidden_group_size_z
      - .offset:         162
        .size:           2
        .value_kind:     hidden_remainder_x
      - .offset:         164
        .size:           2
        .value_kind:     hidden_remainder_y
      - .offset:         166
        .size:           2
        .value_kind:     hidden_remainder_z
      - .offset:         184
        .size:           8
        .value_kind:     hidden_global_offset_x
      - .offset:         192
        .size:           8
        .value_kind:     hidden_global_offset_y
      - .offset:         200
        .size:           8
        .value_kind:     hidden_global_offset_z
      - .offset:         208
        .size:           2
        .value_kind:     hidden_grid_dims
      - .offset:         264
        .size:           4
        .value_kind:     hidden_dynamic_lds_size
    .group_segment_fixed_size: 352
    .kernarg_segment_align: 8
    .kernarg_segment_size: 400
    .language:       OpenCL C
    .language_version:
      - 2
      - 0
    .max_flat_workgroup_size: 1024
    .name:           _ZN4vllm25paged_attention_v2_kernelIffLi80ELi16ELi128ELNS_18Fp8KVCacheDataTypeE0ELb1ELi512EEEvPfS2_PT_PKS3_PKT0_S9_ifPKiSB_iPKfiiiSD_SD_iiiii
    .private_segment_fixed_size: 0
    .sgpr_count:     44
    .sgpr_spill_count: 0
    .symbol:         _ZN4vllm25paged_attention_v2_kernelIffLi80ELi16ELi128ELNS_18Fp8KVCacheDataTypeE0ELb1ELi512EEEvPfS2_PT_PKS3_PKT0_S9_ifPKiSB_iPKfiiiSD_SD_iiiii.kd
    .uniform_work_group_size: 1
    .uses_dynamic_stack: false
    .vgpr_count:     72
    .vgpr_spill_count: 0
    .wavefront_size: 32
    .workgroup_processor_mode: 1
  - .args:
      - .actual_access:  write_only
        .address_space:  global
        .offset:         0
        .size:           8
        .value_kind:     global_buffer
      - .actual_access:  write_only
        .address_space:  global
        .offset:         8
        .size:           8
        .value_kind:     global_buffer
      - .actual_access:  write_only
        .address_space:  global
        .offset:         16
        .size:           8
        .value_kind:     global_buffer
      - .actual_access:  read_only
        .address_space:  global
        .offset:         24
        .size:           8
        .value_kind:     global_buffer
      - .actual_access:  read_only
        .address_space:  global
        .offset:         32
        .size:           8
        .value_kind:     global_buffer
      - .actual_access:  read_only
        .address_space:  global
        .offset:         40
        .size:           8
        .value_kind:     global_buffer
      - .offset:         48
        .size:           4
        .value_kind:     by_value
      - .offset:         52
        .size:           4
        .value_kind:     by_value
      - .actual_access:  read_only
        .address_space:  global
        .offset:         56
        .size:           8
        .value_kind:     global_buffer
      - .actual_access:  read_only
        .address_space:  global
        .offset:         64
        .size:           8
        .value_kind:     global_buffer
      - .offset:         72
        .size:           4
        .value_kind:     by_value
      - .actual_access:  read_only
        .address_space:  global
        .offset:         80
        .size:           8
        .value_kind:     global_buffer
      - .offset:         88
        .size:           4
        .value_kind:     by_value
      - .offset:         92
        .size:           4
        .value_kind:     by_value
      - .offset:         96
        .size:           4
        .value_kind:     by_value
      - .address_space:  global
        .offset:         104
        .size:           8
        .value_kind:     global_buffer
      - .address_space:  global
        .offset:         112
        .size:           8
        .value_kind:     global_buffer
      - .offset:         120
        .size:           4
        .value_kind:     by_value
      - .offset:         124
        .size:           4
        .value_kind:     by_value
      - .offset:         128
        .size:           4
        .value_kind:     by_value
      - .offset:         132
        .size:           4
        .value_kind:     by_value
      - .offset:         136
        .size:           4
        .value_kind:     by_value
      - .offset:         144
        .size:           4
        .value_kind:     hidden_block_count_x
      - .offset:         148
        .size:           4
        .value_kind:     hidden_block_count_y
      - .offset:         152
        .size:           4
        .value_kind:     hidden_block_count_z
      - .offset:         156
        .size:           2
        .value_kind:     hidden_group_size_x
      - .offset:         158
        .size:           2
        .value_kind:     hidden_group_size_y
      - .offset:         160
        .size:           2
        .value_kind:     hidden_group_size_z
      - .offset:         162
        .size:           2
        .value_kind:     hidden_remainder_x
      - .offset:         164
        .size:           2
        .value_kind:     hidden_remainder_y
      - .offset:         166
        .size:           2
        .value_kind:     hidden_remainder_z
      - .offset:         184
        .size:           8
        .value_kind:     hidden_global_offset_x
      - .offset:         192
        .size:           8
        .value_kind:     hidden_global_offset_y
      - .offset:         200
        .size:           8
        .value_kind:     hidden_global_offset_z
      - .offset:         208
        .size:           2
        .value_kind:     hidden_grid_dims
      - .offset:         264
        .size:           4
        .value_kind:     hidden_dynamic_lds_size
    .group_segment_fixed_size: 416
    .kernarg_segment_align: 8
    .kernarg_segment_size: 400
    .language:       OpenCL C
    .language_version:
      - 2
      - 0
    .max_flat_workgroup_size: 1024
    .name:           _ZN4vllm25paged_attention_v2_kernelIffLi96ELi16ELi128ELNS_18Fp8KVCacheDataTypeE0ELb1ELi512EEEvPfS2_PT_PKS3_PKT0_S9_ifPKiSB_iPKfiiiSD_SD_iiiii
    .private_segment_fixed_size: 0
    .sgpr_count:     44
    .sgpr_spill_count: 0
    .symbol:         _ZN4vllm25paged_attention_v2_kernelIffLi96ELi16ELi128ELNS_18Fp8KVCacheDataTypeE0ELb1ELi512EEEvPfS2_PT_PKS3_PKT0_S9_ifPKiSB_iPKfiiiSD_SD_iiiii.kd
    .uniform_work_group_size: 1
    .uses_dynamic_stack: false
    .vgpr_count:     82
    .vgpr_spill_count: 0
    .wavefront_size: 32
    .workgroup_processor_mode: 1
  - .args:
      - .actual_access:  write_only
        .address_space:  global
        .offset:         0
        .size:           8
        .value_kind:     global_buffer
      - .actual_access:  write_only
        .address_space:  global
        .offset:         8
        .size:           8
        .value_kind:     global_buffer
      - .actual_access:  write_only
        .address_space:  global
        .offset:         16
        .size:           8
        .value_kind:     global_buffer
      - .actual_access:  read_only
        .address_space:  global
        .offset:         24
        .size:           8
        .value_kind:     global_buffer
      - .actual_access:  read_only
        .address_space:  global
        .offset:         32
        .size:           8
        .value_kind:     global_buffer
      - .actual_access:  read_only
        .address_space:  global
        .offset:         40
        .size:           8
        .value_kind:     global_buffer
      - .offset:         48
        .size:           4
        .value_kind:     by_value
      - .offset:         52
        .size:           4
        .value_kind:     by_value
      - .actual_access:  read_only
        .address_space:  global
        .offset:         56
        .size:           8
        .value_kind:     global_buffer
      - .actual_access:  read_only
        .address_space:  global
        .offset:         64
        .size:           8
        .value_kind:     global_buffer
      - .offset:         72
        .size:           4
        .value_kind:     by_value
      - .actual_access:  read_only
        .address_space:  global
        .offset:         80
        .size:           8
        .value_kind:     global_buffer
      - .offset:         88
        .size:           4
        .value_kind:     by_value
      - .offset:         92
        .size:           4
        .value_kind:     by_value
      - .offset:         96
        .size:           4
        .value_kind:     by_value
      - .address_space:  global
        .offset:         104
        .size:           8
        .value_kind:     global_buffer
      - .address_space:  global
        .offset:         112
        .size:           8
        .value_kind:     global_buffer
      - .offset:         120
        .size:           4
        .value_kind:     by_value
      - .offset:         124
        .size:           4
        .value_kind:     by_value
      - .offset:         128
        .size:           4
        .value_kind:     by_value
      - .offset:         132
        .size:           4
        .value_kind:     by_value
      - .offset:         136
        .size:           4
        .value_kind:     by_value
      - .offset:         144
        .size:           4
        .value_kind:     hidden_block_count_x
      - .offset:         148
        .size:           4
        .value_kind:     hidden_block_count_y
      - .offset:         152
        .size:           4
        .value_kind:     hidden_block_count_z
      - .offset:         156
        .size:           2
        .value_kind:     hidden_group_size_x
      - .offset:         158
        .size:           2
        .value_kind:     hidden_group_size_y
      - .offset:         160
        .size:           2
        .value_kind:     hidden_group_size_z
      - .offset:         162
        .size:           2
        .value_kind:     hidden_remainder_x
      - .offset:         164
        .size:           2
        .value_kind:     hidden_remainder_y
      - .offset:         166
        .size:           2
        .value_kind:     hidden_remainder_z
      - .offset:         184
        .size:           8
        .value_kind:     hidden_global_offset_x
      - .offset:         192
        .size:           8
        .value_kind:     hidden_global_offset_y
      - .offset:         200
        .size:           8
        .value_kind:     hidden_global_offset_z
      - .offset:         208
        .size:           2
        .value_kind:     hidden_grid_dims
      - .offset:         264
        .size:           4
        .value_kind:     hidden_dynamic_lds_size
    .group_segment_fixed_size: 480
    .kernarg_segment_align: 8
    .kernarg_segment_size: 400
    .language:       OpenCL C
    .language_version:
      - 2
      - 0
    .max_flat_workgroup_size: 1024
    .name:           _ZN4vllm25paged_attention_v2_kernelIffLi112ELi16ELi128ELNS_18Fp8KVCacheDataTypeE0ELb1ELi512EEEvPfS2_PT_PKS3_PKT0_S9_ifPKiSB_iPKfiiiSD_SD_iiiii
    .private_segment_fixed_size: 0
    .sgpr_count:     44
    .sgpr_spill_count: 0
    .symbol:         _ZN4vllm25paged_attention_v2_kernelIffLi112ELi16ELi128ELNS_18Fp8KVCacheDataTypeE0ELb1ELi512EEEvPfS2_PT_PKS3_PKT0_S9_ifPKiSB_iPKfiiiSD_SD_iiiii.kd
    .uniform_work_group_size: 1
    .uses_dynamic_stack: false
    .vgpr_count:     92
    .vgpr_spill_count: 0
    .wavefront_size: 32
    .workgroup_processor_mode: 1
  - .args:
      - .actual_access:  write_only
        .address_space:  global
        .offset:         0
        .size:           8
        .value_kind:     global_buffer
      - .actual_access:  write_only
        .address_space:  global
        .offset:         8
        .size:           8
        .value_kind:     global_buffer
      - .actual_access:  write_only
        .address_space:  global
        .offset:         16
        .size:           8
        .value_kind:     global_buffer
      - .actual_access:  read_only
        .address_space:  global
        .offset:         24
        .size:           8
        .value_kind:     global_buffer
      - .actual_access:  read_only
        .address_space:  global
        .offset:         32
        .size:           8
        .value_kind:     global_buffer
      - .actual_access:  read_only
        .address_space:  global
        .offset:         40
        .size:           8
        .value_kind:     global_buffer
      - .offset:         48
        .size:           4
        .value_kind:     by_value
      - .offset:         52
        .size:           4
        .value_kind:     by_value
      - .actual_access:  read_only
        .address_space:  global
        .offset:         56
        .size:           8
        .value_kind:     global_buffer
      - .actual_access:  read_only
        .address_space:  global
        .offset:         64
        .size:           8
        .value_kind:     global_buffer
      - .offset:         72
        .size:           4
        .value_kind:     by_value
      - .actual_access:  read_only
        .address_space:  global
        .offset:         80
        .size:           8
        .value_kind:     global_buffer
      - .offset:         88
        .size:           4
        .value_kind:     by_value
      - .offset:         92
        .size:           4
        .value_kind:     by_value
      - .offset:         96
        .size:           4
        .value_kind:     by_value
      - .address_space:  global
        .offset:         104
        .size:           8
        .value_kind:     global_buffer
      - .address_space:  global
        .offset:         112
        .size:           8
        .value_kind:     global_buffer
      - .offset:         120
        .size:           4
        .value_kind:     by_value
      - .offset:         124
        .size:           4
        .value_kind:     by_value
      - .offset:         128
        .size:           4
        .value_kind:     by_value
      - .offset:         132
        .size:           4
        .value_kind:     by_value
      - .offset:         136
        .size:           4
        .value_kind:     by_value
      - .offset:         144
        .size:           4
        .value_kind:     hidden_block_count_x
      - .offset:         148
        .size:           4
        .value_kind:     hidden_block_count_y
      - .offset:         152
        .size:           4
        .value_kind:     hidden_block_count_z
      - .offset:         156
        .size:           2
        .value_kind:     hidden_group_size_x
      - .offset:         158
        .size:           2
        .value_kind:     hidden_group_size_y
      - .offset:         160
        .size:           2
        .value_kind:     hidden_group_size_z
      - .offset:         162
        .size:           2
        .value_kind:     hidden_remainder_x
      - .offset:         164
        .size:           2
        .value_kind:     hidden_remainder_y
      - .offset:         166
        .size:           2
        .value_kind:     hidden_remainder_z
      - .offset:         184
        .size:           8
        .value_kind:     hidden_global_offset_x
      - .offset:         192
        .size:           8
        .value_kind:     hidden_global_offset_y
      - .offset:         200
        .size:           8
        .value_kind:     hidden_global_offset_z
      - .offset:         208
        .size:           2
        .value_kind:     hidden_grid_dims
      - .offset:         264
        .size:           4
        .value_kind:     hidden_dynamic_lds_size
    .group_segment_fixed_size: 512
    .kernarg_segment_align: 8
    .kernarg_segment_size: 400
    .language:       OpenCL C
    .language_version:
      - 2
      - 0
    .max_flat_workgroup_size: 1024
    .name:           _ZN4vllm25paged_attention_v2_kernelIffLi120ELi16ELi128ELNS_18Fp8KVCacheDataTypeE0ELb1ELi512EEEvPfS2_PT_PKS3_PKT0_S9_ifPKiSB_iPKfiiiSD_SD_iiiii
    .private_segment_fixed_size: 0
    .sgpr_count:     44
    .sgpr_spill_count: 0
    .symbol:         _ZN4vllm25paged_attention_v2_kernelIffLi120ELi16ELi128ELNS_18Fp8KVCacheDataTypeE0ELb1ELi512EEEvPfS2_PT_PKS3_PKT0_S9_ifPKiSB_iPKfiiiSD_SD_iiiii.kd
    .uniform_work_group_size: 1
    .uses_dynamic_stack: false
    .vgpr_count:     97
    .vgpr_spill_count: 0
    .wavefront_size: 32
    .workgroup_processor_mode: 1
  - .args:
      - .actual_access:  write_only
        .address_space:  global
        .offset:         0
        .size:           8
        .value_kind:     global_buffer
      - .actual_access:  write_only
        .address_space:  global
        .offset:         8
        .size:           8
        .value_kind:     global_buffer
      - .actual_access:  write_only
        .address_space:  global
        .offset:         16
        .size:           8
        .value_kind:     global_buffer
      - .actual_access:  read_only
        .address_space:  global
        .offset:         24
        .size:           8
        .value_kind:     global_buffer
      - .actual_access:  read_only
        .address_space:  global
        .offset:         32
        .size:           8
        .value_kind:     global_buffer
      - .actual_access:  read_only
        .address_space:  global
        .offset:         40
        .size:           8
        .value_kind:     global_buffer
      - .offset:         48
        .size:           4
        .value_kind:     by_value
      - .offset:         52
        .size:           4
        .value_kind:     by_value
      - .actual_access:  read_only
        .address_space:  global
        .offset:         56
        .size:           8
        .value_kind:     global_buffer
      - .actual_access:  read_only
        .address_space:  global
        .offset:         64
        .size:           8
        .value_kind:     global_buffer
      - .offset:         72
        .size:           4
        .value_kind:     by_value
      - .actual_access:  read_only
        .address_space:  global
        .offset:         80
        .size:           8
        .value_kind:     global_buffer
      - .offset:         88
        .size:           4
        .value_kind:     by_value
      - .offset:         92
        .size:           4
        .value_kind:     by_value
      - .offset:         96
        .size:           4
        .value_kind:     by_value
      - .address_space:  global
        .offset:         104
        .size:           8
        .value_kind:     global_buffer
      - .address_space:  global
        .offset:         112
        .size:           8
        .value_kind:     global_buffer
      - .offset:         120
        .size:           4
        .value_kind:     by_value
      - .offset:         124
        .size:           4
        .value_kind:     by_value
      - .offset:         128
        .size:           4
        .value_kind:     by_value
      - .offset:         132
        .size:           4
        .value_kind:     by_value
      - .offset:         136
        .size:           4
        .value_kind:     by_value
      - .offset:         144
        .size:           4
        .value_kind:     hidden_block_count_x
      - .offset:         148
        .size:           4
        .value_kind:     hidden_block_count_y
      - .offset:         152
        .size:           4
        .value_kind:     hidden_block_count_z
      - .offset:         156
        .size:           2
        .value_kind:     hidden_group_size_x
      - .offset:         158
        .size:           2
        .value_kind:     hidden_group_size_y
      - .offset:         160
        .size:           2
        .value_kind:     hidden_group_size_z
      - .offset:         162
        .size:           2
        .value_kind:     hidden_remainder_x
      - .offset:         164
        .size:           2
        .value_kind:     hidden_remainder_y
      - .offset:         166
        .size:           2
        .value_kind:     hidden_remainder_z
      - .offset:         184
        .size:           8
        .value_kind:     hidden_global_offset_x
      - .offset:         192
        .size:           8
        .value_kind:     hidden_global_offset_y
      - .offset:         200
        .size:           8
        .value_kind:     hidden_global_offset_z
      - .offset:         208
        .size:           2
        .value_kind:     hidden_grid_dims
      - .offset:         264
        .size:           4
        .value_kind:     hidden_dynamic_lds_size
    .group_segment_fixed_size: 544
    .kernarg_segment_align: 8
    .kernarg_segment_size: 400
    .language:       OpenCL C
    .language_version:
      - 2
      - 0
    .max_flat_workgroup_size: 1024
    .name:           _ZN4vllm25paged_attention_v2_kernelIffLi128ELi16ELi128ELNS_18Fp8KVCacheDataTypeE0ELb1ELi512EEEvPfS2_PT_PKS3_PKT0_S9_ifPKiSB_iPKfiiiSD_SD_iiiii
    .private_segment_fixed_size: 0
    .sgpr_count:     46
    .sgpr_spill_count: 0
    .symbol:         _ZN4vllm25paged_attention_v2_kernelIffLi128ELi16ELi128ELNS_18Fp8KVCacheDataTypeE0ELb1ELi512EEEvPfS2_PT_PKS3_PKT0_S9_ifPKiSB_iPKfiiiSD_SD_iiiii.kd
    .uniform_work_group_size: 1
    .uses_dynamic_stack: false
    .vgpr_count:     102
    .vgpr_spill_count: 0
    .wavefront_size: 32
    .workgroup_processor_mode: 1
  - .args:
      - .actual_access:  write_only
        .address_space:  global
        .offset:         0
        .size:           8
        .value_kind:     global_buffer
      - .actual_access:  write_only
        .address_space:  global
        .offset:         8
        .size:           8
        .value_kind:     global_buffer
      - .actual_access:  write_only
        .address_space:  global
        .offset:         16
        .size:           8
        .value_kind:     global_buffer
      - .actual_access:  read_only
        .address_space:  global
        .offset:         24
        .size:           8
        .value_kind:     global_buffer
      - .actual_access:  read_only
        .address_space:  global
        .offset:         32
        .size:           8
        .value_kind:     global_buffer
      - .actual_access:  read_only
        .address_space:  global
        .offset:         40
        .size:           8
        .value_kind:     global_buffer
      - .offset:         48
        .size:           4
        .value_kind:     by_value
      - .offset:         52
        .size:           4
        .value_kind:     by_value
      - .actual_access:  read_only
        .address_space:  global
        .offset:         56
        .size:           8
        .value_kind:     global_buffer
      - .actual_access:  read_only
        .address_space:  global
        .offset:         64
        .size:           8
        .value_kind:     global_buffer
      - .offset:         72
        .size:           4
        .value_kind:     by_value
      - .actual_access:  read_only
        .address_space:  global
        .offset:         80
        .size:           8
        .value_kind:     global_buffer
      - .offset:         88
        .size:           4
        .value_kind:     by_value
      - .offset:         92
        .size:           4
        .value_kind:     by_value
      - .offset:         96
        .size:           4
        .value_kind:     by_value
      - .address_space:  global
        .offset:         104
        .size:           8
        .value_kind:     global_buffer
      - .address_space:  global
        .offset:         112
        .size:           8
        .value_kind:     global_buffer
      - .offset:         120
        .size:           4
        .value_kind:     by_value
      - .offset:         124
        .size:           4
        .value_kind:     by_value
      - .offset:         128
        .size:           4
        .value_kind:     by_value
      - .offset:         132
        .size:           4
        .value_kind:     by_value
      - .offset:         136
        .size:           4
        .value_kind:     by_value
      - .offset:         144
        .size:           4
        .value_kind:     hidden_block_count_x
      - .offset:         148
        .size:           4
        .value_kind:     hidden_block_count_y
      - .offset:         152
        .size:           4
        .value_kind:     hidden_block_count_z
      - .offset:         156
        .size:           2
        .value_kind:     hidden_group_size_x
      - .offset:         158
        .size:           2
        .value_kind:     hidden_group_size_y
      - .offset:         160
        .size:           2
        .value_kind:     hidden_group_size_z
      - .offset:         162
        .size:           2
        .value_kind:     hidden_remainder_x
      - .offset:         164
        .size:           2
        .value_kind:     hidden_remainder_y
      - .offset:         166
        .size:           2
        .value_kind:     hidden_remainder_z
      - .offset:         184
        .size:           8
        .value_kind:     hidden_global_offset_x
      - .offset:         192
        .size:           8
        .value_kind:     hidden_global_offset_y
      - .offset:         200
        .size:           8
        .value_kind:     hidden_global_offset_z
      - .offset:         208
        .size:           2
        .value_kind:     hidden_grid_dims
      - .offset:         264
        .size:           4
        .value_kind:     hidden_dynamic_lds_size
    .group_segment_fixed_size: 800
    .kernarg_segment_align: 8
    .kernarg_segment_size: 400
    .language:       OpenCL C
    .language_version:
      - 2
      - 0
    .max_flat_workgroup_size: 1024
    .name:           _ZN4vllm25paged_attention_v2_kernelIffLi192ELi16ELi128ELNS_18Fp8KVCacheDataTypeE0ELb1ELi512EEEvPfS2_PT_PKS3_PKT0_S9_ifPKiSB_iPKfiiiSD_SD_iiiii
    .private_segment_fixed_size: 0
    .sgpr_count:     44
    .sgpr_spill_count: 0
    .symbol:         _ZN4vllm25paged_attention_v2_kernelIffLi192ELi16ELi128ELNS_18Fp8KVCacheDataTypeE0ELb1ELi512EEEvPfS2_PT_PKS3_PKT0_S9_ifPKiSB_iPKfiiiSD_SD_iiiii.kd
    .uniform_work_group_size: 1
    .uses_dynamic_stack: false
    .vgpr_count:     142
    .vgpr_spill_count: 0
    .wavefront_size: 32
    .workgroup_processor_mode: 1
  - .args:
      - .actual_access:  write_only
        .address_space:  global
        .offset:         0
        .size:           8
        .value_kind:     global_buffer
      - .actual_access:  write_only
        .address_space:  global
        .offset:         8
        .size:           8
        .value_kind:     global_buffer
      - .actual_access:  write_only
        .address_space:  global
        .offset:         16
        .size:           8
        .value_kind:     global_buffer
      - .actual_access:  read_only
        .address_space:  global
        .offset:         24
        .size:           8
        .value_kind:     global_buffer
      - .actual_access:  read_only
        .address_space:  global
        .offset:         32
        .size:           8
        .value_kind:     global_buffer
      - .actual_access:  read_only
        .address_space:  global
        .offset:         40
        .size:           8
        .value_kind:     global_buffer
      - .offset:         48
        .size:           4
        .value_kind:     by_value
      - .offset:         52
        .size:           4
        .value_kind:     by_value
      - .actual_access:  read_only
        .address_space:  global
        .offset:         56
        .size:           8
        .value_kind:     global_buffer
      - .actual_access:  read_only
        .address_space:  global
        .offset:         64
        .size:           8
        .value_kind:     global_buffer
      - .offset:         72
        .size:           4
        .value_kind:     by_value
      - .actual_access:  read_only
        .address_space:  global
        .offset:         80
        .size:           8
        .value_kind:     global_buffer
      - .offset:         88
        .size:           4
        .value_kind:     by_value
      - .offset:         92
        .size:           4
        .value_kind:     by_value
      - .offset:         96
        .size:           4
        .value_kind:     by_value
      - .address_space:  global
        .offset:         104
        .size:           8
        .value_kind:     global_buffer
      - .address_space:  global
        .offset:         112
        .size:           8
        .value_kind:     global_buffer
      - .offset:         120
        .size:           4
        .value_kind:     by_value
      - .offset:         124
        .size:           4
        .value_kind:     by_value
      - .offset:         128
        .size:           4
        .value_kind:     by_value
      - .offset:         132
        .size:           4
        .value_kind:     by_value
      - .offset:         136
        .size:           4
        .value_kind:     by_value
      - .offset:         144
        .size:           4
        .value_kind:     hidden_block_count_x
      - .offset:         148
        .size:           4
        .value_kind:     hidden_block_count_y
      - .offset:         152
        .size:           4
        .value_kind:     hidden_block_count_z
      - .offset:         156
        .size:           2
        .value_kind:     hidden_group_size_x
      - .offset:         158
        .size:           2
        .value_kind:     hidden_group_size_y
      - .offset:         160
        .size:           2
        .value_kind:     hidden_group_size_z
      - .offset:         162
        .size:           2
        .value_kind:     hidden_remainder_x
      - .offset:         164
        .size:           2
        .value_kind:     hidden_remainder_y
      - .offset:         166
        .size:           2
        .value_kind:     hidden_remainder_z
      - .offset:         184
        .size:           8
        .value_kind:     hidden_global_offset_x
      - .offset:         192
        .size:           8
        .value_kind:     hidden_global_offset_y
      - .offset:         200
        .size:           8
        .value_kind:     hidden_global_offset_z
      - .offset:         208
        .size:           2
        .value_kind:     hidden_grid_dims
      - .offset:         264
        .size:           4
        .value_kind:     hidden_dynamic_lds_size
    .group_segment_fixed_size: 1056
    .kernarg_segment_align: 8
    .kernarg_segment_size: 400
    .language:       OpenCL C
    .language_version:
      - 2
      - 0
    .max_flat_workgroup_size: 1024
    .name:           _ZN4vllm25paged_attention_v2_kernelIffLi256ELi16ELi128ELNS_18Fp8KVCacheDataTypeE0ELb1ELi512EEEvPfS2_PT_PKS3_PKT0_S9_ifPKiSB_iPKfiiiSD_SD_iiiii
    .private_segment_fixed_size: 0
    .sgpr_count:     44
    .sgpr_spill_count: 0
    .symbol:         _ZN4vllm25paged_attention_v2_kernelIffLi256ELi16ELi128ELNS_18Fp8KVCacheDataTypeE0ELb1ELi512EEEvPfS2_PT_PKS3_PKT0_S9_ifPKiSB_iPKfiiiSD_SD_iiiii.kd
    .uniform_work_group_size: 1
    .uses_dynamic_stack: false
    .vgpr_count:     182
    .vgpr_spill_count: 0
    .wavefront_size: 32
    .workgroup_processor_mode: 1
  - .args:
      - .actual_access:  write_only
        .address_space:  global
        .offset:         0
        .size:           8
        .value_kind:     global_buffer
      - .actual_access:  write_only
        .address_space:  global
        .offset:         8
        .size:           8
        .value_kind:     global_buffer
      - .actual_access:  write_only
        .address_space:  global
        .offset:         16
        .size:           8
        .value_kind:     global_buffer
      - .actual_access:  read_only
        .address_space:  global
        .offset:         24
        .size:           8
        .value_kind:     global_buffer
      - .actual_access:  read_only
        .address_space:  global
        .offset:         32
        .size:           8
        .value_kind:     global_buffer
      - .actual_access:  read_only
        .address_space:  global
        .offset:         40
        .size:           8
        .value_kind:     global_buffer
      - .offset:         48
        .size:           4
        .value_kind:     by_value
      - .offset:         52
        .size:           4
        .value_kind:     by_value
      - .actual_access:  read_only
        .address_space:  global
        .offset:         56
        .size:           8
        .value_kind:     global_buffer
      - .actual_access:  read_only
        .address_space:  global
        .offset:         64
        .size:           8
        .value_kind:     global_buffer
      - .offset:         72
        .size:           4
        .value_kind:     by_value
      - .actual_access:  read_only
        .address_space:  global
        .offset:         80
        .size:           8
        .value_kind:     global_buffer
      - .offset:         88
        .size:           4
        .value_kind:     by_value
      - .offset:         92
        .size:           4
        .value_kind:     by_value
      - .offset:         96
        .size:           4
        .value_kind:     by_value
      - .address_space:  global
        .offset:         104
        .size:           8
        .value_kind:     global_buffer
      - .address_space:  global
        .offset:         112
        .size:           8
        .value_kind:     global_buffer
      - .offset:         120
        .size:           4
        .value_kind:     by_value
      - .offset:         124
        .size:           4
        .value_kind:     by_value
      - .offset:         128
        .size:           4
        .value_kind:     by_value
      - .offset:         132
        .size:           4
        .value_kind:     by_value
      - .offset:         136
        .size:           4
        .value_kind:     by_value
      - .offset:         144
        .size:           4
        .value_kind:     hidden_block_count_x
      - .offset:         148
        .size:           4
        .value_kind:     hidden_block_count_y
      - .offset:         152
        .size:           4
        .value_kind:     hidden_block_count_z
      - .offset:         156
        .size:           2
        .value_kind:     hidden_group_size_x
      - .offset:         158
        .size:           2
        .value_kind:     hidden_group_size_y
      - .offset:         160
        .size:           2
        .value_kind:     hidden_group_size_z
      - .offset:         162
        .size:           2
        .value_kind:     hidden_remainder_x
      - .offset:         164
        .size:           2
        .value_kind:     hidden_remainder_y
      - .offset:         166
        .size:           2
        .value_kind:     hidden_remainder_z
      - .offset:         184
        .size:           8
        .value_kind:     hidden_global_offset_x
      - .offset:         192
        .size:           8
        .value_kind:     hidden_global_offset_y
      - .offset:         200
        .size:           8
        .value_kind:     hidden_global_offset_z
      - .offset:         208
        .size:           2
        .value_kind:     hidden_grid_dims
      - .offset:         264
        .size:           4
        .value_kind:     hidden_dynamic_lds_size
    .group_segment_fixed_size: 160
    .kernarg_segment_align: 8
    .kernarg_segment_size: 400
    .language:       OpenCL C
    .language_version:
      - 2
      - 0
    .max_flat_workgroup_size: 1024
    .name:           _ZN4vllm25paged_attention_v2_kernelIffLi32ELi16ELi128ELNS_18Fp8KVCacheDataTypeE0ELb0ELi512EEEvPfS2_PT_PKS3_PKT0_S9_ifPKiSB_iPKfiiiSD_SD_iiiii
    .private_segment_fixed_size: 0
    .sgpr_count:     38
    .sgpr_spill_count: 0
    .symbol:         _ZN4vllm25paged_attention_v2_kernelIffLi32ELi16ELi128ELNS_18Fp8KVCacheDataTypeE0ELb0ELi512EEEvPfS2_PT_PKS3_PKT0_S9_ifPKiSB_iPKfiiiSD_SD_iiiii.kd
    .uniform_work_group_size: 1
    .uses_dynamic_stack: false
    .vgpr_count:     49
    .vgpr_spill_count: 0
    .wavefront_size: 32
    .workgroup_processor_mode: 1
  - .args:
      - .actual_access:  write_only
        .address_space:  global
        .offset:         0
        .size:           8
        .value_kind:     global_buffer
      - .actual_access:  write_only
        .address_space:  global
        .offset:         8
        .size:           8
        .value_kind:     global_buffer
      - .actual_access:  write_only
        .address_space:  global
        .offset:         16
        .size:           8
        .value_kind:     global_buffer
      - .actual_access:  read_only
        .address_space:  global
        .offset:         24
        .size:           8
        .value_kind:     global_buffer
      - .actual_access:  read_only
        .address_space:  global
        .offset:         32
        .size:           8
        .value_kind:     global_buffer
      - .actual_access:  read_only
        .address_space:  global
        .offset:         40
        .size:           8
        .value_kind:     global_buffer
      - .offset:         48
        .size:           4
        .value_kind:     by_value
      - .offset:         52
        .size:           4
        .value_kind:     by_value
      - .actual_access:  read_only
        .address_space:  global
        .offset:         56
        .size:           8
        .value_kind:     global_buffer
      - .actual_access:  read_only
        .address_space:  global
        .offset:         64
        .size:           8
        .value_kind:     global_buffer
      - .offset:         72
        .size:           4
        .value_kind:     by_value
      - .actual_access:  read_only
        .address_space:  global
        .offset:         80
        .size:           8
        .value_kind:     global_buffer
      - .offset:         88
        .size:           4
        .value_kind:     by_value
      - .offset:         92
        .size:           4
        .value_kind:     by_value
      - .offset:         96
        .size:           4
        .value_kind:     by_value
      - .address_space:  global
        .offset:         104
        .size:           8
        .value_kind:     global_buffer
      - .address_space:  global
        .offset:         112
        .size:           8
        .value_kind:     global_buffer
      - .offset:         120
        .size:           4
        .value_kind:     by_value
      - .offset:         124
        .size:           4
        .value_kind:     by_value
      - .offset:         128
        .size:           4
        .value_kind:     by_value
      - .offset:         132
        .size:           4
        .value_kind:     by_value
      - .offset:         136
        .size:           4
        .value_kind:     by_value
      - .offset:         144
        .size:           4
        .value_kind:     hidden_block_count_x
      - .offset:         148
        .size:           4
        .value_kind:     hidden_block_count_y
      - .offset:         152
        .size:           4
        .value_kind:     hidden_block_count_z
      - .offset:         156
        .size:           2
        .value_kind:     hidden_group_size_x
      - .offset:         158
        .size:           2
        .value_kind:     hidden_group_size_y
      - .offset:         160
        .size:           2
        .value_kind:     hidden_group_size_z
      - .offset:         162
        .size:           2
        .value_kind:     hidden_remainder_x
      - .offset:         164
        .size:           2
        .value_kind:     hidden_remainder_y
      - .offset:         166
        .size:           2
        .value_kind:     hidden_remainder_z
      - .offset:         184
        .size:           8
        .value_kind:     hidden_global_offset_x
      - .offset:         192
        .size:           8
        .value_kind:     hidden_global_offset_y
      - .offset:         200
        .size:           8
        .value_kind:     hidden_global_offset_z
      - .offset:         208
        .size:           2
        .value_kind:     hidden_grid_dims
      - .offset:         264
        .size:           4
        .value_kind:     hidden_dynamic_lds_size
    .group_segment_fixed_size: 288
    .kernarg_segment_align: 8
    .kernarg_segment_size: 400
    .language:       OpenCL C
    .language_version:
      - 2
      - 0
    .max_flat_workgroup_size: 1024
    .name:           _ZN4vllm25paged_attention_v2_kernelIffLi64ELi16ELi128ELNS_18Fp8KVCacheDataTypeE0ELb0ELi512EEEvPfS2_PT_PKS3_PKT0_S9_ifPKiSB_iPKfiiiSD_SD_iiiii
    .private_segment_fixed_size: 0
    .sgpr_count:     38
    .sgpr_spill_count: 0
    .symbol:         _ZN4vllm25paged_attention_v2_kernelIffLi64ELi16ELi128ELNS_18Fp8KVCacheDataTypeE0ELb0ELi512EEEvPfS2_PT_PKS3_PKT0_S9_ifPKiSB_iPKfiiiSD_SD_iiiii.kd
    .uniform_work_group_size: 1
    .uses_dynamic_stack: false
    .vgpr_count:     81
    .vgpr_spill_count: 0
    .wavefront_size: 32
    .workgroup_processor_mode: 1
  - .args:
      - .actual_access:  write_only
        .address_space:  global
        .offset:         0
        .size:           8
        .value_kind:     global_buffer
      - .actual_access:  write_only
        .address_space:  global
        .offset:         8
        .size:           8
        .value_kind:     global_buffer
      - .actual_access:  write_only
        .address_space:  global
        .offset:         16
        .size:           8
        .value_kind:     global_buffer
      - .actual_access:  read_only
        .address_space:  global
        .offset:         24
        .size:           8
        .value_kind:     global_buffer
      - .actual_access:  read_only
        .address_space:  global
        .offset:         32
        .size:           8
        .value_kind:     global_buffer
      - .actual_access:  read_only
        .address_space:  global
        .offset:         40
        .size:           8
        .value_kind:     global_buffer
      - .offset:         48
        .size:           4
        .value_kind:     by_value
      - .offset:         52
        .size:           4
        .value_kind:     by_value
      - .actual_access:  read_only
        .address_space:  global
        .offset:         56
        .size:           8
        .value_kind:     global_buffer
      - .actual_access:  read_only
        .address_space:  global
        .offset:         64
        .size:           8
        .value_kind:     global_buffer
      - .offset:         72
        .size:           4
        .value_kind:     by_value
      - .actual_access:  read_only
        .address_space:  global
        .offset:         80
        .size:           8
        .value_kind:     global_buffer
      - .offset:         88
        .size:           4
        .value_kind:     by_value
      - .offset:         92
        .size:           4
        .value_kind:     by_value
      - .offset:         96
        .size:           4
        .value_kind:     by_value
      - .address_space:  global
        .offset:         104
        .size:           8
        .value_kind:     global_buffer
      - .address_space:  global
        .offset:         112
        .size:           8
        .value_kind:     global_buffer
      - .offset:         120
        .size:           4
        .value_kind:     by_value
      - .offset:         124
        .size:           4
        .value_kind:     by_value
      - .offset:         128
        .size:           4
        .value_kind:     by_value
      - .offset:         132
        .size:           4
        .value_kind:     by_value
      - .offset:         136
        .size:           4
        .value_kind:     by_value
      - .offset:         144
        .size:           4
        .value_kind:     hidden_block_count_x
      - .offset:         148
        .size:           4
        .value_kind:     hidden_block_count_y
      - .offset:         152
        .size:           4
        .value_kind:     hidden_block_count_z
      - .offset:         156
        .size:           2
        .value_kind:     hidden_group_size_x
      - .offset:         158
        .size:           2
        .value_kind:     hidden_group_size_y
      - .offset:         160
        .size:           2
        .value_kind:     hidden_group_size_z
      - .offset:         162
        .size:           2
        .value_kind:     hidden_remainder_x
      - .offset:         164
        .size:           2
        .value_kind:     hidden_remainder_y
      - .offset:         166
        .size:           2
        .value_kind:     hidden_remainder_z
      - .offset:         184
        .size:           8
        .value_kind:     hidden_global_offset_x
      - .offset:         192
        .size:           8
        .value_kind:     hidden_global_offset_y
      - .offset:         200
        .size:           8
        .value_kind:     hidden_global_offset_z
      - .offset:         208
        .size:           2
        .value_kind:     hidden_grid_dims
      - .offset:         264
        .size:           4
        .value_kind:     hidden_dynamic_lds_size
    .group_segment_fixed_size: 352
    .kernarg_segment_align: 8
    .kernarg_segment_size: 400
    .language:       OpenCL C
    .language_version:
      - 2
      - 0
    .max_flat_workgroup_size: 1024
    .name:           _ZN4vllm25paged_attention_v2_kernelIffLi80ELi16ELi128ELNS_18Fp8KVCacheDataTypeE0ELb0ELi512EEEvPfS2_PT_PKS3_PKT0_S9_ifPKiSB_iPKfiiiSD_SD_iiiii
    .private_segment_fixed_size: 0
    .sgpr_count:     34
    .sgpr_spill_count: 0
    .symbol:         _ZN4vllm25paged_attention_v2_kernelIffLi80ELi16ELi128ELNS_18Fp8KVCacheDataTypeE0ELb0ELi512EEEvPfS2_PT_PKS3_PKT0_S9_ifPKiSB_iPKfiiiSD_SD_iiiii.kd
    .uniform_work_group_size: 1
    .uses_dynamic_stack: false
    .vgpr_count:     97
    .vgpr_spill_count: 0
    .wavefront_size: 32
    .workgroup_processor_mode: 1
  - .args:
      - .actual_access:  write_only
        .address_space:  global
        .offset:         0
        .size:           8
        .value_kind:     global_buffer
      - .actual_access:  write_only
        .address_space:  global
        .offset:         8
        .size:           8
        .value_kind:     global_buffer
      - .actual_access:  write_only
        .address_space:  global
        .offset:         16
        .size:           8
        .value_kind:     global_buffer
      - .actual_access:  read_only
        .address_space:  global
        .offset:         24
        .size:           8
        .value_kind:     global_buffer
      - .actual_access:  read_only
        .address_space:  global
        .offset:         32
        .size:           8
        .value_kind:     global_buffer
      - .actual_access:  read_only
        .address_space:  global
        .offset:         40
        .size:           8
        .value_kind:     global_buffer
      - .offset:         48
        .size:           4
        .value_kind:     by_value
      - .offset:         52
        .size:           4
        .value_kind:     by_value
      - .actual_access:  read_only
        .address_space:  global
        .offset:         56
        .size:           8
        .value_kind:     global_buffer
      - .actual_access:  read_only
        .address_space:  global
        .offset:         64
        .size:           8
        .value_kind:     global_buffer
      - .offset:         72
        .size:           4
        .value_kind:     by_value
      - .actual_access:  read_only
        .address_space:  global
        .offset:         80
        .size:           8
        .value_kind:     global_buffer
      - .offset:         88
        .size:           4
        .value_kind:     by_value
      - .offset:         92
        .size:           4
        .value_kind:     by_value
      - .offset:         96
        .size:           4
        .value_kind:     by_value
      - .address_space:  global
        .offset:         104
        .size:           8
        .value_kind:     global_buffer
      - .address_space:  global
        .offset:         112
        .size:           8
        .value_kind:     global_buffer
      - .offset:         120
        .size:           4
        .value_kind:     by_value
      - .offset:         124
        .size:           4
        .value_kind:     by_value
      - .offset:         128
        .size:           4
        .value_kind:     by_value
      - .offset:         132
        .size:           4
        .value_kind:     by_value
      - .offset:         136
        .size:           4
        .value_kind:     by_value
      - .offset:         144
        .size:           4
        .value_kind:     hidden_block_count_x
      - .offset:         148
        .size:           4
        .value_kind:     hidden_block_count_y
      - .offset:         152
        .size:           4
        .value_kind:     hidden_block_count_z
      - .offset:         156
        .size:           2
        .value_kind:     hidden_group_size_x
      - .offset:         158
        .size:           2
        .value_kind:     hidden_group_size_y
      - .offset:         160
        .size:           2
        .value_kind:     hidden_group_size_z
      - .offset:         162
        .size:           2
        .value_kind:     hidden_remainder_x
      - .offset:         164
        .size:           2
        .value_kind:     hidden_remainder_y
      - .offset:         166
        .size:           2
        .value_kind:     hidden_remainder_z
      - .offset:         184
        .size:           8
        .value_kind:     hidden_global_offset_x
      - .offset:         192
        .size:           8
        .value_kind:     hidden_global_offset_y
      - .offset:         200
        .size:           8
        .value_kind:     hidden_global_offset_z
      - .offset:         208
        .size:           2
        .value_kind:     hidden_grid_dims
      - .offset:         264
        .size:           4
        .value_kind:     hidden_dynamic_lds_size
    .group_segment_fixed_size: 416
    .kernarg_segment_align: 8
    .kernarg_segment_size: 400
    .language:       OpenCL C
    .language_version:
      - 2
      - 0
    .max_flat_workgroup_size: 1024
    .name:           _ZN4vllm25paged_attention_v2_kernelIffLi96ELi16ELi128ELNS_18Fp8KVCacheDataTypeE0ELb0ELi512EEEvPfS2_PT_PKS3_PKT0_S9_ifPKiSB_iPKfiiiSD_SD_iiiii
    .private_segment_fixed_size: 0
    .sgpr_count:     34
    .sgpr_spill_count: 0
    .symbol:         _ZN4vllm25paged_attention_v2_kernelIffLi96ELi16ELi128ELNS_18Fp8KVCacheDataTypeE0ELb0ELi512EEEvPfS2_PT_PKS3_PKT0_S9_ifPKiSB_iPKfiiiSD_SD_iiiii.kd
    .uniform_work_group_size: 1
    .uses_dynamic_stack: false
    .vgpr_count:     113
    .vgpr_spill_count: 0
    .wavefront_size: 32
    .workgroup_processor_mode: 1
  - .args:
      - .actual_access:  write_only
        .address_space:  global
        .offset:         0
        .size:           8
        .value_kind:     global_buffer
      - .actual_access:  write_only
        .address_space:  global
        .offset:         8
        .size:           8
        .value_kind:     global_buffer
      - .actual_access:  write_only
        .address_space:  global
        .offset:         16
        .size:           8
        .value_kind:     global_buffer
      - .actual_access:  read_only
        .address_space:  global
        .offset:         24
        .size:           8
        .value_kind:     global_buffer
      - .actual_access:  read_only
        .address_space:  global
        .offset:         32
        .size:           8
        .value_kind:     global_buffer
      - .actual_access:  read_only
        .address_space:  global
        .offset:         40
        .size:           8
        .value_kind:     global_buffer
      - .offset:         48
        .size:           4
        .value_kind:     by_value
      - .offset:         52
        .size:           4
        .value_kind:     by_value
      - .actual_access:  read_only
        .address_space:  global
        .offset:         56
        .size:           8
        .value_kind:     global_buffer
      - .actual_access:  read_only
        .address_space:  global
        .offset:         64
        .size:           8
        .value_kind:     global_buffer
      - .offset:         72
        .size:           4
        .value_kind:     by_value
      - .actual_access:  read_only
        .address_space:  global
        .offset:         80
        .size:           8
        .value_kind:     global_buffer
      - .offset:         88
        .size:           4
        .value_kind:     by_value
      - .offset:         92
        .size:           4
        .value_kind:     by_value
      - .offset:         96
        .size:           4
        .value_kind:     by_value
      - .address_space:  global
        .offset:         104
        .size:           8
        .value_kind:     global_buffer
      - .address_space:  global
        .offset:         112
        .size:           8
        .value_kind:     global_buffer
      - .offset:         120
        .size:           4
        .value_kind:     by_value
      - .offset:         124
        .size:           4
        .value_kind:     by_value
      - .offset:         128
        .size:           4
        .value_kind:     by_value
      - .offset:         132
        .size:           4
        .value_kind:     by_value
      - .offset:         136
        .size:           4
        .value_kind:     by_value
      - .offset:         144
        .size:           4
        .value_kind:     hidden_block_count_x
      - .offset:         148
        .size:           4
        .value_kind:     hidden_block_count_y
      - .offset:         152
        .size:           4
        .value_kind:     hidden_block_count_z
      - .offset:         156
        .size:           2
        .value_kind:     hidden_group_size_x
      - .offset:         158
        .size:           2
        .value_kind:     hidden_group_size_y
      - .offset:         160
        .size:           2
        .value_kind:     hidden_group_size_z
      - .offset:         162
        .size:           2
        .value_kind:     hidden_remainder_x
      - .offset:         164
        .size:           2
        .value_kind:     hidden_remainder_y
      - .offset:         166
        .size:           2
        .value_kind:     hidden_remainder_z
      - .offset:         184
        .size:           8
        .value_kind:     hidden_global_offset_x
      - .offset:         192
        .size:           8
        .value_kind:     hidden_global_offset_y
      - .offset:         200
        .size:           8
        .value_kind:     hidden_global_offset_z
      - .offset:         208
        .size:           2
        .value_kind:     hidden_grid_dims
      - .offset:         264
        .size:           4
        .value_kind:     hidden_dynamic_lds_size
    .group_segment_fixed_size: 480
    .kernarg_segment_align: 8
    .kernarg_segment_size: 400
    .language:       OpenCL C
    .language_version:
      - 2
      - 0
    .max_flat_workgroup_size: 1024
    .name:           _ZN4vllm25paged_attention_v2_kernelIffLi112ELi16ELi128ELNS_18Fp8KVCacheDataTypeE0ELb0ELi512EEEvPfS2_PT_PKS3_PKT0_S9_ifPKiSB_iPKfiiiSD_SD_iiiii
    .private_segment_fixed_size: 0
    .sgpr_count:     34
    .sgpr_spill_count: 0
    .symbol:         _ZN4vllm25paged_attention_v2_kernelIffLi112ELi16ELi128ELNS_18Fp8KVCacheDataTypeE0ELb0ELi512EEEvPfS2_PT_PKS3_PKT0_S9_ifPKiSB_iPKfiiiSD_SD_iiiii.kd
    .uniform_work_group_size: 1
    .uses_dynamic_stack: false
    .vgpr_count:     127
    .vgpr_spill_count: 0
    .wavefront_size: 32
    .workgroup_processor_mode: 1
  - .args:
      - .actual_access:  write_only
        .address_space:  global
        .offset:         0
        .size:           8
        .value_kind:     global_buffer
      - .actual_access:  write_only
        .address_space:  global
        .offset:         8
        .size:           8
        .value_kind:     global_buffer
      - .actual_access:  write_only
        .address_space:  global
        .offset:         16
        .size:           8
        .value_kind:     global_buffer
      - .actual_access:  read_only
        .address_space:  global
        .offset:         24
        .size:           8
        .value_kind:     global_buffer
      - .actual_access:  read_only
        .address_space:  global
        .offset:         32
        .size:           8
        .value_kind:     global_buffer
      - .actual_access:  read_only
        .address_space:  global
        .offset:         40
        .size:           8
        .value_kind:     global_buffer
      - .offset:         48
        .size:           4
        .value_kind:     by_value
      - .offset:         52
        .size:           4
        .value_kind:     by_value
      - .actual_access:  read_only
        .address_space:  global
        .offset:         56
        .size:           8
        .value_kind:     global_buffer
      - .actual_access:  read_only
        .address_space:  global
        .offset:         64
        .size:           8
        .value_kind:     global_buffer
      - .offset:         72
        .size:           4
        .value_kind:     by_value
      - .actual_access:  read_only
        .address_space:  global
        .offset:         80
        .size:           8
        .value_kind:     global_buffer
      - .offset:         88
        .size:           4
        .value_kind:     by_value
      - .offset:         92
        .size:           4
        .value_kind:     by_value
      - .offset:         96
        .size:           4
        .value_kind:     by_value
      - .address_space:  global
        .offset:         104
        .size:           8
        .value_kind:     global_buffer
      - .address_space:  global
        .offset:         112
        .size:           8
        .value_kind:     global_buffer
      - .offset:         120
        .size:           4
        .value_kind:     by_value
      - .offset:         124
        .size:           4
        .value_kind:     by_value
      - .offset:         128
        .size:           4
        .value_kind:     by_value
      - .offset:         132
        .size:           4
        .value_kind:     by_value
      - .offset:         136
        .size:           4
        .value_kind:     by_value
      - .offset:         144
        .size:           4
        .value_kind:     hidden_block_count_x
      - .offset:         148
        .size:           4
        .value_kind:     hidden_block_count_y
      - .offset:         152
        .size:           4
        .value_kind:     hidden_block_count_z
      - .offset:         156
        .size:           2
        .value_kind:     hidden_group_size_x
      - .offset:         158
        .size:           2
        .value_kind:     hidden_group_size_y
      - .offset:         160
        .size:           2
        .value_kind:     hidden_group_size_z
      - .offset:         162
        .size:           2
        .value_kind:     hidden_remainder_x
      - .offset:         164
        .size:           2
        .value_kind:     hidden_remainder_y
      - .offset:         166
        .size:           2
        .value_kind:     hidden_remainder_z
      - .offset:         184
        .size:           8
        .value_kind:     hidden_global_offset_x
      - .offset:         192
        .size:           8
        .value_kind:     hidden_global_offset_y
      - .offset:         200
        .size:           8
        .value_kind:     hidden_global_offset_z
      - .offset:         208
        .size:           2
        .value_kind:     hidden_grid_dims
      - .offset:         264
        .size:           4
        .value_kind:     hidden_dynamic_lds_size
    .group_segment_fixed_size: 512
    .kernarg_segment_align: 8
    .kernarg_segment_size: 400
    .language:       OpenCL C
    .language_version:
      - 2
      - 0
    .max_flat_workgroup_size: 1024
    .name:           _ZN4vllm25paged_attention_v2_kernelIffLi120ELi16ELi128ELNS_18Fp8KVCacheDataTypeE0ELb0ELi512EEEvPfS2_PT_PKS3_PKT0_S9_ifPKiSB_iPKfiiiSD_SD_iiiii
    .private_segment_fixed_size: 0
    .sgpr_count:     34
    .sgpr_spill_count: 0
    .symbol:         _ZN4vllm25paged_attention_v2_kernelIffLi120ELi16ELi128ELNS_18Fp8KVCacheDataTypeE0ELb0ELi512EEEvPfS2_PT_PKS3_PKT0_S9_ifPKiSB_iPKfiiiSD_SD_iiiii.kd
    .uniform_work_group_size: 1
    .uses_dynamic_stack: false
    .vgpr_count:     127
    .vgpr_spill_count: 0
    .wavefront_size: 32
    .workgroup_processor_mode: 1
  - .args:
      - .actual_access:  write_only
        .address_space:  global
        .offset:         0
        .size:           8
        .value_kind:     global_buffer
      - .actual_access:  write_only
        .address_space:  global
        .offset:         8
        .size:           8
        .value_kind:     global_buffer
      - .actual_access:  write_only
        .address_space:  global
        .offset:         16
        .size:           8
        .value_kind:     global_buffer
      - .actual_access:  read_only
        .address_space:  global
        .offset:         24
        .size:           8
        .value_kind:     global_buffer
      - .actual_access:  read_only
        .address_space:  global
        .offset:         32
        .size:           8
        .value_kind:     global_buffer
      - .actual_access:  read_only
        .address_space:  global
        .offset:         40
        .size:           8
        .value_kind:     global_buffer
      - .offset:         48
        .size:           4
        .value_kind:     by_value
      - .offset:         52
        .size:           4
        .value_kind:     by_value
      - .actual_access:  read_only
        .address_space:  global
        .offset:         56
        .size:           8
        .value_kind:     global_buffer
      - .actual_access:  read_only
        .address_space:  global
        .offset:         64
        .size:           8
        .value_kind:     global_buffer
      - .offset:         72
        .size:           4
        .value_kind:     by_value
      - .actual_access:  read_only
        .address_space:  global
        .offset:         80
        .size:           8
        .value_kind:     global_buffer
      - .offset:         88
        .size:           4
        .value_kind:     by_value
      - .offset:         92
        .size:           4
        .value_kind:     by_value
      - .offset:         96
        .size:           4
        .value_kind:     by_value
      - .address_space:  global
        .offset:         104
        .size:           8
        .value_kind:     global_buffer
      - .address_space:  global
        .offset:         112
        .size:           8
        .value_kind:     global_buffer
      - .offset:         120
        .size:           4
        .value_kind:     by_value
      - .offset:         124
        .size:           4
        .value_kind:     by_value
      - .offset:         128
        .size:           4
        .value_kind:     by_value
      - .offset:         132
        .size:           4
        .value_kind:     by_value
      - .offset:         136
        .size:           4
        .value_kind:     by_value
      - .offset:         144
        .size:           4
        .value_kind:     hidden_block_count_x
      - .offset:         148
        .size:           4
        .value_kind:     hidden_block_count_y
      - .offset:         152
        .size:           4
        .value_kind:     hidden_block_count_z
      - .offset:         156
        .size:           2
        .value_kind:     hidden_group_size_x
      - .offset:         158
        .size:           2
        .value_kind:     hidden_group_size_y
      - .offset:         160
        .size:           2
        .value_kind:     hidden_group_size_z
      - .offset:         162
        .size:           2
        .value_kind:     hidden_remainder_x
      - .offset:         164
        .size:           2
        .value_kind:     hidden_remainder_y
      - .offset:         166
        .size:           2
        .value_kind:     hidden_remainder_z
      - .offset:         184
        .size:           8
        .value_kind:     hidden_global_offset_x
      - .offset:         192
        .size:           8
        .value_kind:     hidden_global_offset_y
      - .offset:         200
        .size:           8
        .value_kind:     hidden_global_offset_z
      - .offset:         208
        .size:           2
        .value_kind:     hidden_grid_dims
      - .offset:         264
        .size:           4
        .value_kind:     hidden_dynamic_lds_size
    .group_segment_fixed_size: 544
    .kernarg_segment_align: 8
    .kernarg_segment_size: 400
    .language:       OpenCL C
    .language_version:
      - 2
      - 0
    .max_flat_workgroup_size: 1024
    .name:           _ZN4vllm25paged_attention_v2_kernelIffLi128ELi16ELi128ELNS_18Fp8KVCacheDataTypeE0ELb0ELi512EEEvPfS2_PT_PKS3_PKT0_S9_ifPKiSB_iPKfiiiSD_SD_iiiii
    .private_segment_fixed_size: 0
    .sgpr_count:     38
    .sgpr_spill_count: 0
    .symbol:         _ZN4vllm25paged_attention_v2_kernelIffLi128ELi16ELi128ELNS_18Fp8KVCacheDataTypeE0ELb0ELi512EEEvPfS2_PT_PKS3_PKT0_S9_ifPKiSB_iPKfiiiSD_SD_iiiii.kd
    .uniform_work_group_size: 1
    .uses_dynamic_stack: false
    .vgpr_count:     127
    .vgpr_spill_count: 0
    .wavefront_size: 32
    .workgroup_processor_mode: 1
  - .args:
      - .actual_access:  write_only
        .address_space:  global
        .offset:         0
        .size:           8
        .value_kind:     global_buffer
      - .actual_access:  write_only
        .address_space:  global
        .offset:         8
        .size:           8
        .value_kind:     global_buffer
      - .actual_access:  write_only
        .address_space:  global
        .offset:         16
        .size:           8
        .value_kind:     global_buffer
      - .actual_access:  read_only
        .address_space:  global
        .offset:         24
        .size:           8
        .value_kind:     global_buffer
      - .actual_access:  read_only
        .address_space:  global
        .offset:         32
        .size:           8
        .value_kind:     global_buffer
      - .actual_access:  read_only
        .address_space:  global
        .offset:         40
        .size:           8
        .value_kind:     global_buffer
      - .offset:         48
        .size:           4
        .value_kind:     by_value
      - .offset:         52
        .size:           4
        .value_kind:     by_value
      - .actual_access:  read_only
        .address_space:  global
        .offset:         56
        .size:           8
        .value_kind:     global_buffer
      - .actual_access:  read_only
        .address_space:  global
        .offset:         64
        .size:           8
        .value_kind:     global_buffer
      - .offset:         72
        .size:           4
        .value_kind:     by_value
      - .actual_access:  read_only
        .address_space:  global
        .offset:         80
        .size:           8
        .value_kind:     global_buffer
      - .offset:         88
        .size:           4
        .value_kind:     by_value
      - .offset:         92
        .size:           4
        .value_kind:     by_value
      - .offset:         96
        .size:           4
        .value_kind:     by_value
      - .address_space:  global
        .offset:         104
        .size:           8
        .value_kind:     global_buffer
      - .address_space:  global
        .offset:         112
        .size:           8
        .value_kind:     global_buffer
      - .offset:         120
        .size:           4
        .value_kind:     by_value
      - .offset:         124
        .size:           4
        .value_kind:     by_value
      - .offset:         128
        .size:           4
        .value_kind:     by_value
      - .offset:         132
        .size:           4
        .value_kind:     by_value
      - .offset:         136
        .size:           4
        .value_kind:     by_value
      - .offset:         144
        .size:           4
        .value_kind:     hidden_block_count_x
      - .offset:         148
        .size:           4
        .value_kind:     hidden_block_count_y
      - .offset:         152
        .size:           4
        .value_kind:     hidden_block_count_z
      - .offset:         156
        .size:           2
        .value_kind:     hidden_group_size_x
      - .offset:         158
        .size:           2
        .value_kind:     hidden_group_size_y
      - .offset:         160
        .size:           2
        .value_kind:     hidden_group_size_z
      - .offset:         162
        .size:           2
        .value_kind:     hidden_remainder_x
      - .offset:         164
        .size:           2
        .value_kind:     hidden_remainder_y
      - .offset:         166
        .size:           2
        .value_kind:     hidden_remainder_z
      - .offset:         184
        .size:           8
        .value_kind:     hidden_global_offset_x
      - .offset:         192
        .size:           8
        .value_kind:     hidden_global_offset_y
      - .offset:         200
        .size:           8
        .value_kind:     hidden_global_offset_z
      - .offset:         208
        .size:           2
        .value_kind:     hidden_grid_dims
      - .offset:         264
        .size:           4
        .value_kind:     hidden_dynamic_lds_size
    .group_segment_fixed_size: 800
    .kernarg_segment_align: 8
    .kernarg_segment_size: 400
    .language:       OpenCL C
    .language_version:
      - 2
      - 0
    .max_flat_workgroup_size: 1024
    .name:           _ZN4vllm25paged_attention_v2_kernelIffLi192ELi16ELi128ELNS_18Fp8KVCacheDataTypeE0ELb0ELi512EEEvPfS2_PT_PKS3_PKT0_S9_ifPKiSB_iPKfiiiSD_SD_iiiii
    .private_segment_fixed_size: 0
    .sgpr_count:     34
    .sgpr_spill_count: 0
    .symbol:         _ZN4vllm25paged_attention_v2_kernelIffLi192ELi16ELi128ELNS_18Fp8KVCacheDataTypeE0ELb0ELi512EEEvPfS2_PT_PKS3_PKT0_S9_ifPKiSB_iPKfiiiSD_SD_iiiii.kd
    .uniform_work_group_size: 1
    .uses_dynamic_stack: false
    .vgpr_count:     151
    .vgpr_spill_count: 0
    .wavefront_size: 32
    .workgroup_processor_mode: 1
  - .args:
      - .actual_access:  write_only
        .address_space:  global
        .offset:         0
        .size:           8
        .value_kind:     global_buffer
      - .actual_access:  write_only
        .address_space:  global
        .offset:         8
        .size:           8
        .value_kind:     global_buffer
      - .actual_access:  write_only
        .address_space:  global
        .offset:         16
        .size:           8
        .value_kind:     global_buffer
      - .actual_access:  read_only
        .address_space:  global
        .offset:         24
        .size:           8
        .value_kind:     global_buffer
      - .actual_access:  read_only
        .address_space:  global
        .offset:         32
        .size:           8
        .value_kind:     global_buffer
      - .actual_access:  read_only
        .address_space:  global
        .offset:         40
        .size:           8
        .value_kind:     global_buffer
      - .offset:         48
        .size:           4
        .value_kind:     by_value
      - .offset:         52
        .size:           4
        .value_kind:     by_value
      - .actual_access:  read_only
        .address_space:  global
        .offset:         56
        .size:           8
        .value_kind:     global_buffer
      - .actual_access:  read_only
        .address_space:  global
        .offset:         64
        .size:           8
        .value_kind:     global_buffer
      - .offset:         72
        .size:           4
        .value_kind:     by_value
      - .actual_access:  read_only
        .address_space:  global
        .offset:         80
        .size:           8
        .value_kind:     global_buffer
      - .offset:         88
        .size:           4
        .value_kind:     by_value
      - .offset:         92
        .size:           4
        .value_kind:     by_value
      - .offset:         96
        .size:           4
        .value_kind:     by_value
      - .address_space:  global
        .offset:         104
        .size:           8
        .value_kind:     global_buffer
      - .address_space:  global
        .offset:         112
        .size:           8
        .value_kind:     global_buffer
      - .offset:         120
        .size:           4
        .value_kind:     by_value
      - .offset:         124
        .size:           4
        .value_kind:     by_value
      - .offset:         128
        .size:           4
        .value_kind:     by_value
      - .offset:         132
        .size:           4
        .value_kind:     by_value
      - .offset:         136
        .size:           4
        .value_kind:     by_value
      - .offset:         144
        .size:           4
        .value_kind:     hidden_block_count_x
      - .offset:         148
        .size:           4
        .value_kind:     hidden_block_count_y
      - .offset:         152
        .size:           4
        .value_kind:     hidden_block_count_z
      - .offset:         156
        .size:           2
        .value_kind:     hidden_group_size_x
      - .offset:         158
        .size:           2
        .value_kind:     hidden_group_size_y
      - .offset:         160
        .size:           2
        .value_kind:     hidden_group_size_z
      - .offset:         162
        .size:           2
        .value_kind:     hidden_remainder_x
      - .offset:         164
        .size:           2
        .value_kind:     hidden_remainder_y
      - .offset:         166
        .size:           2
        .value_kind:     hidden_remainder_z
      - .offset:         184
        .size:           8
        .value_kind:     hidden_global_offset_x
      - .offset:         192
        .size:           8
        .value_kind:     hidden_global_offset_y
      - .offset:         200
        .size:           8
        .value_kind:     hidden_global_offset_z
      - .offset:         208
        .size:           2
        .value_kind:     hidden_grid_dims
      - .offset:         264
        .size:           4
        .value_kind:     hidden_dynamic_lds_size
    .group_segment_fixed_size: 1056
    .kernarg_segment_align: 8
    .kernarg_segment_size: 400
    .language:       OpenCL C
    .language_version:
      - 2
      - 0
    .max_flat_workgroup_size: 1024
    .name:           _ZN4vllm25paged_attention_v2_kernelIffLi256ELi16ELi128ELNS_18Fp8KVCacheDataTypeE0ELb0ELi512EEEvPfS2_PT_PKS3_PKT0_S9_ifPKiSB_iPKfiiiSD_SD_iiiii
    .private_segment_fixed_size: 0
    .sgpr_count:     34
    .sgpr_spill_count: 0
    .symbol:         _ZN4vllm25paged_attention_v2_kernelIffLi256ELi16ELi128ELNS_18Fp8KVCacheDataTypeE0ELb0ELi512EEEvPfS2_PT_PKS3_PKT0_S9_ifPKiSB_iPKfiiiSD_SD_iiiii.kd
    .uniform_work_group_size: 1
    .uses_dynamic_stack: false
    .vgpr_count:     180
    .vgpr_spill_count: 0
    .wavefront_size: 32
    .workgroup_processor_mode: 1
  - .args:
      - .actual_access:  write_only
        .address_space:  global
        .offset:         0
        .size:           8
        .value_kind:     global_buffer
      - .actual_access:  write_only
        .address_space:  global
        .offset:         8
        .size:           8
        .value_kind:     global_buffer
      - .actual_access:  write_only
        .address_space:  global
        .offset:         16
        .size:           8
        .value_kind:     global_buffer
      - .actual_access:  read_only
        .address_space:  global
        .offset:         24
        .size:           8
        .value_kind:     global_buffer
      - .actual_access:  read_only
        .address_space:  global
        .offset:         32
        .size:           8
        .value_kind:     global_buffer
      - .actual_access:  read_only
        .address_space:  global
        .offset:         40
        .size:           8
        .value_kind:     global_buffer
      - .offset:         48
        .size:           4
        .value_kind:     by_value
      - .offset:         52
        .size:           4
        .value_kind:     by_value
      - .actual_access:  read_only
        .address_space:  global
        .offset:         56
        .size:           8
        .value_kind:     global_buffer
      - .actual_access:  read_only
        .address_space:  global
        .offset:         64
        .size:           8
        .value_kind:     global_buffer
      - .offset:         72
        .size:           4
        .value_kind:     by_value
      - .actual_access:  read_only
        .address_space:  global
        .offset:         80
        .size:           8
        .value_kind:     global_buffer
      - .offset:         88
        .size:           4
        .value_kind:     by_value
      - .offset:         92
        .size:           4
        .value_kind:     by_value
      - .offset:         96
        .size:           4
        .value_kind:     by_value
      - .address_space:  global
        .offset:         104
        .size:           8
        .value_kind:     global_buffer
      - .address_space:  global
        .offset:         112
        .size:           8
        .value_kind:     global_buffer
      - .offset:         120
        .size:           4
        .value_kind:     by_value
      - .offset:         124
        .size:           4
        .value_kind:     by_value
      - .offset:         128
        .size:           4
        .value_kind:     by_value
      - .offset:         132
        .size:           4
        .value_kind:     by_value
      - .offset:         136
        .size:           4
        .value_kind:     by_value
      - .offset:         144
        .size:           4
        .value_kind:     hidden_block_count_x
      - .offset:         148
        .size:           4
        .value_kind:     hidden_block_count_y
      - .offset:         152
        .size:           4
        .value_kind:     hidden_block_count_z
      - .offset:         156
        .size:           2
        .value_kind:     hidden_group_size_x
      - .offset:         158
        .size:           2
        .value_kind:     hidden_group_size_y
      - .offset:         160
        .size:           2
        .value_kind:     hidden_group_size_z
      - .offset:         162
        .size:           2
        .value_kind:     hidden_remainder_x
      - .offset:         164
        .size:           2
        .value_kind:     hidden_remainder_y
      - .offset:         166
        .size:           2
        .value_kind:     hidden_remainder_z
      - .offset:         184
        .size:           8
        .value_kind:     hidden_global_offset_x
      - .offset:         192
        .size:           8
        .value_kind:     hidden_global_offset_y
      - .offset:         200
        .size:           8
        .value_kind:     hidden_global_offset_z
      - .offset:         208
        .size:           2
        .value_kind:     hidden_grid_dims
      - .offset:         264
        .size:           4
        .value_kind:     hidden_dynamic_lds_size
    .group_segment_fixed_size: 160
    .kernarg_segment_align: 8
    .kernarg_segment_size: 400
    .language:       OpenCL C
    .language_version:
      - 2
      - 0
    .max_flat_workgroup_size: 1024
    .name:           _ZN4vllm25paged_attention_v2_kernelIffLi32ELi32ELi128ELNS_18Fp8KVCacheDataTypeE0ELb1ELi512EEEvPfS2_PT_PKS3_PKT0_S9_ifPKiSB_iPKfiiiSD_SD_iiiii
    .private_segment_fixed_size: 0
    .sgpr_count:     44
    .sgpr_spill_count: 0
    .symbol:         _ZN4vllm25paged_attention_v2_kernelIffLi32ELi32ELi128ELNS_18Fp8KVCacheDataTypeE0ELb1ELi512EEEvPfS2_PT_PKS3_PKT0_S9_ifPKiSB_iPKfiiiSD_SD_iiiii.kd
    .uniform_work_group_size: 1
    .uses_dynamic_stack: false
    .vgpr_count:     82
    .vgpr_spill_count: 0
    .wavefront_size: 32
    .workgroup_processor_mode: 1
  - .args:
      - .actual_access:  write_only
        .address_space:  global
        .offset:         0
        .size:           8
        .value_kind:     global_buffer
      - .actual_access:  write_only
        .address_space:  global
        .offset:         8
        .size:           8
        .value_kind:     global_buffer
      - .actual_access:  write_only
        .address_space:  global
        .offset:         16
        .size:           8
        .value_kind:     global_buffer
      - .actual_access:  read_only
        .address_space:  global
        .offset:         24
        .size:           8
        .value_kind:     global_buffer
      - .actual_access:  read_only
        .address_space:  global
        .offset:         32
        .size:           8
        .value_kind:     global_buffer
      - .actual_access:  read_only
        .address_space:  global
        .offset:         40
        .size:           8
        .value_kind:     global_buffer
      - .offset:         48
        .size:           4
        .value_kind:     by_value
      - .offset:         52
        .size:           4
        .value_kind:     by_value
      - .actual_access:  read_only
        .address_space:  global
        .offset:         56
        .size:           8
        .value_kind:     global_buffer
      - .actual_access:  read_only
        .address_space:  global
        .offset:         64
        .size:           8
        .value_kind:     global_buffer
      - .offset:         72
        .size:           4
        .value_kind:     by_value
      - .actual_access:  read_only
        .address_space:  global
        .offset:         80
        .size:           8
        .value_kind:     global_buffer
      - .offset:         88
        .size:           4
        .value_kind:     by_value
      - .offset:         92
        .size:           4
        .value_kind:     by_value
      - .offset:         96
        .size:           4
        .value_kind:     by_value
      - .address_space:  global
        .offset:         104
        .size:           8
        .value_kind:     global_buffer
      - .address_space:  global
        .offset:         112
        .size:           8
        .value_kind:     global_buffer
      - .offset:         120
        .size:           4
        .value_kind:     by_value
      - .offset:         124
        .size:           4
        .value_kind:     by_value
      - .offset:         128
        .size:           4
        .value_kind:     by_value
      - .offset:         132
        .size:           4
        .value_kind:     by_value
      - .offset:         136
        .size:           4
        .value_kind:     by_value
      - .offset:         144
        .size:           4
        .value_kind:     hidden_block_count_x
      - .offset:         148
        .size:           4
        .value_kind:     hidden_block_count_y
      - .offset:         152
        .size:           4
        .value_kind:     hidden_block_count_z
      - .offset:         156
        .size:           2
        .value_kind:     hidden_group_size_x
      - .offset:         158
        .size:           2
        .value_kind:     hidden_group_size_y
      - .offset:         160
        .size:           2
        .value_kind:     hidden_group_size_z
      - .offset:         162
        .size:           2
        .value_kind:     hidden_remainder_x
      - .offset:         164
        .size:           2
        .value_kind:     hidden_remainder_y
      - .offset:         166
        .size:           2
        .value_kind:     hidden_remainder_z
      - .offset:         184
        .size:           8
        .value_kind:     hidden_global_offset_x
      - .offset:         192
        .size:           8
        .value_kind:     hidden_global_offset_y
      - .offset:         200
        .size:           8
        .value_kind:     hidden_global_offset_z
      - .offset:         208
        .size:           2
        .value_kind:     hidden_grid_dims
      - .offset:         264
        .size:           4
        .value_kind:     hidden_dynamic_lds_size
    .group_segment_fixed_size: 288
    .kernarg_segment_align: 8
    .kernarg_segment_size: 400
    .language:       OpenCL C
    .language_version:
      - 2
      - 0
    .max_flat_workgroup_size: 1024
    .name:           _ZN4vllm25paged_attention_v2_kernelIffLi64ELi32ELi128ELNS_18Fp8KVCacheDataTypeE0ELb1ELi512EEEvPfS2_PT_PKS3_PKT0_S9_ifPKiSB_iPKfiiiSD_SD_iiiii
    .private_segment_fixed_size: 0
    .sgpr_count:     44
    .sgpr_spill_count: 0
    .symbol:         _ZN4vllm25paged_attention_v2_kernelIffLi64ELi32ELi128ELNS_18Fp8KVCacheDataTypeE0ELb1ELi512EEEvPfS2_PT_PKS3_PKT0_S9_ifPKiSB_iPKfiiiSD_SD_iiiii.kd
    .uniform_work_group_size: 1
    .uses_dynamic_stack: false
    .vgpr_count:     124
    .vgpr_spill_count: 0
    .wavefront_size: 32
    .workgroup_processor_mode: 1
  - .args:
      - .actual_access:  write_only
        .address_space:  global
        .offset:         0
        .size:           8
        .value_kind:     global_buffer
      - .actual_access:  write_only
        .address_space:  global
        .offset:         8
        .size:           8
        .value_kind:     global_buffer
      - .actual_access:  write_only
        .address_space:  global
        .offset:         16
        .size:           8
        .value_kind:     global_buffer
      - .actual_access:  read_only
        .address_space:  global
        .offset:         24
        .size:           8
        .value_kind:     global_buffer
      - .actual_access:  read_only
        .address_space:  global
        .offset:         32
        .size:           8
        .value_kind:     global_buffer
      - .actual_access:  read_only
        .address_space:  global
        .offset:         40
        .size:           8
        .value_kind:     global_buffer
      - .offset:         48
        .size:           4
        .value_kind:     by_value
      - .offset:         52
        .size:           4
        .value_kind:     by_value
      - .actual_access:  read_only
        .address_space:  global
        .offset:         56
        .size:           8
        .value_kind:     global_buffer
      - .actual_access:  read_only
        .address_space:  global
        .offset:         64
        .size:           8
        .value_kind:     global_buffer
      - .offset:         72
        .size:           4
        .value_kind:     by_value
      - .actual_access:  read_only
        .address_space:  global
        .offset:         80
        .size:           8
        .value_kind:     global_buffer
      - .offset:         88
        .size:           4
        .value_kind:     by_value
      - .offset:         92
        .size:           4
        .value_kind:     by_value
      - .offset:         96
        .size:           4
        .value_kind:     by_value
      - .address_space:  global
        .offset:         104
        .size:           8
        .value_kind:     global_buffer
      - .address_space:  global
        .offset:         112
        .size:           8
        .value_kind:     global_buffer
      - .offset:         120
        .size:           4
        .value_kind:     by_value
      - .offset:         124
        .size:           4
        .value_kind:     by_value
      - .offset:         128
        .size:           4
        .value_kind:     by_value
      - .offset:         132
        .size:           4
        .value_kind:     by_value
      - .offset:         136
        .size:           4
        .value_kind:     by_value
      - .offset:         144
        .size:           4
        .value_kind:     hidden_block_count_x
      - .offset:         148
        .size:           4
        .value_kind:     hidden_block_count_y
      - .offset:         152
        .size:           4
        .value_kind:     hidden_block_count_z
      - .offset:         156
        .size:           2
        .value_kind:     hidden_group_size_x
      - .offset:         158
        .size:           2
        .value_kind:     hidden_group_size_y
      - .offset:         160
        .size:           2
        .value_kind:     hidden_group_size_z
      - .offset:         162
        .size:           2
        .value_kind:     hidden_remainder_x
      - .offset:         164
        .size:           2
        .value_kind:     hidden_remainder_y
      - .offset:         166
        .size:           2
        .value_kind:     hidden_remainder_z
      - .offset:         184
        .size:           8
        .value_kind:     hidden_global_offset_x
      - .offset:         192
        .size:           8
        .value_kind:     hidden_global_offset_y
      - .offset:         200
        .size:           8
        .value_kind:     hidden_global_offset_z
      - .offset:         208
        .size:           2
        .value_kind:     hidden_grid_dims
      - .offset:         264
        .size:           4
        .value_kind:     hidden_dynamic_lds_size
    .group_segment_fixed_size: 352
    .kernarg_segment_align: 8
    .kernarg_segment_size: 400
    .language:       OpenCL C
    .language_version:
      - 2
      - 0
    .max_flat_workgroup_size: 1024
    .name:           _ZN4vllm25paged_attention_v2_kernelIffLi80ELi32ELi128ELNS_18Fp8KVCacheDataTypeE0ELb1ELi512EEEvPfS2_PT_PKS3_PKT0_S9_ifPKiSB_iPKfiiiSD_SD_iiiii
    .private_segment_fixed_size: 0
    .sgpr_count:     44
    .sgpr_spill_count: 0
    .symbol:         _ZN4vllm25paged_attention_v2_kernelIffLi80ELi32ELi128ELNS_18Fp8KVCacheDataTypeE0ELb1ELi512EEEvPfS2_PT_PKS3_PKT0_S9_ifPKiSB_iPKfiiiSD_SD_iiiii.kd
    .uniform_work_group_size: 1
    .uses_dynamic_stack: false
    .vgpr_count:     148
    .vgpr_spill_count: 0
    .wavefront_size: 32
    .workgroup_processor_mode: 1
  - .args:
      - .actual_access:  write_only
        .address_space:  global
        .offset:         0
        .size:           8
        .value_kind:     global_buffer
      - .actual_access:  write_only
        .address_space:  global
        .offset:         8
        .size:           8
        .value_kind:     global_buffer
      - .actual_access:  write_only
        .address_space:  global
        .offset:         16
        .size:           8
        .value_kind:     global_buffer
      - .actual_access:  read_only
        .address_space:  global
        .offset:         24
        .size:           8
        .value_kind:     global_buffer
      - .actual_access:  read_only
        .address_space:  global
        .offset:         32
        .size:           8
        .value_kind:     global_buffer
      - .actual_access:  read_only
        .address_space:  global
        .offset:         40
        .size:           8
        .value_kind:     global_buffer
      - .offset:         48
        .size:           4
        .value_kind:     by_value
      - .offset:         52
        .size:           4
        .value_kind:     by_value
      - .actual_access:  read_only
        .address_space:  global
        .offset:         56
        .size:           8
        .value_kind:     global_buffer
      - .actual_access:  read_only
        .address_space:  global
        .offset:         64
        .size:           8
        .value_kind:     global_buffer
      - .offset:         72
        .size:           4
        .value_kind:     by_value
      - .actual_access:  read_only
        .address_space:  global
        .offset:         80
        .size:           8
        .value_kind:     global_buffer
      - .offset:         88
        .size:           4
        .value_kind:     by_value
      - .offset:         92
        .size:           4
        .value_kind:     by_value
      - .offset:         96
        .size:           4
        .value_kind:     by_value
      - .address_space:  global
        .offset:         104
        .size:           8
        .value_kind:     global_buffer
      - .address_space:  global
        .offset:         112
        .size:           8
        .value_kind:     global_buffer
      - .offset:         120
        .size:           4
        .value_kind:     by_value
      - .offset:         124
        .size:           4
        .value_kind:     by_value
      - .offset:         128
        .size:           4
        .value_kind:     by_value
      - .offset:         132
        .size:           4
        .value_kind:     by_value
      - .offset:         136
        .size:           4
        .value_kind:     by_value
      - .offset:         144
        .size:           4
        .value_kind:     hidden_block_count_x
      - .offset:         148
        .size:           4
        .value_kind:     hidden_block_count_y
      - .offset:         152
        .size:           4
        .value_kind:     hidden_block_count_z
      - .offset:         156
        .size:           2
        .value_kind:     hidden_group_size_x
      - .offset:         158
        .size:           2
        .value_kind:     hidden_group_size_y
      - .offset:         160
        .size:           2
        .value_kind:     hidden_group_size_z
      - .offset:         162
        .size:           2
        .value_kind:     hidden_remainder_x
      - .offset:         164
        .size:           2
        .value_kind:     hidden_remainder_y
      - .offset:         166
        .size:           2
        .value_kind:     hidden_remainder_z
      - .offset:         184
        .size:           8
        .value_kind:     hidden_global_offset_x
      - .offset:         192
        .size:           8
        .value_kind:     hidden_global_offset_y
      - .offset:         200
        .size:           8
        .value_kind:     hidden_global_offset_z
      - .offset:         208
        .size:           2
        .value_kind:     hidden_grid_dims
      - .offset:         264
        .size:           4
        .value_kind:     hidden_dynamic_lds_size
    .group_segment_fixed_size: 416
    .kernarg_segment_align: 8
    .kernarg_segment_size: 400
    .language:       OpenCL C
    .language_version:
      - 2
      - 0
    .max_flat_workgroup_size: 1024
    .name:           _ZN4vllm25paged_attention_v2_kernelIffLi96ELi32ELi128ELNS_18Fp8KVCacheDataTypeE0ELb1ELi512EEEvPfS2_PT_PKS3_PKT0_S9_ifPKiSB_iPKfiiiSD_SD_iiiii
    .private_segment_fixed_size: 0
    .sgpr_count:     44
    .sgpr_spill_count: 0
    .symbol:         _ZN4vllm25paged_attention_v2_kernelIffLi96ELi32ELi128ELNS_18Fp8KVCacheDataTypeE0ELb1ELi512EEEvPfS2_PT_PKS3_PKT0_S9_ifPKiSB_iPKfiiiSD_SD_iiiii.kd
    .uniform_work_group_size: 1
    .uses_dynamic_stack: false
    .vgpr_count:     148
    .vgpr_spill_count: 0
    .wavefront_size: 32
    .workgroup_processor_mode: 1
  - .args:
      - .actual_access:  write_only
        .address_space:  global
        .offset:         0
        .size:           8
        .value_kind:     global_buffer
      - .actual_access:  write_only
        .address_space:  global
        .offset:         8
        .size:           8
        .value_kind:     global_buffer
      - .actual_access:  write_only
        .address_space:  global
        .offset:         16
        .size:           8
        .value_kind:     global_buffer
      - .actual_access:  read_only
        .address_space:  global
        .offset:         24
        .size:           8
        .value_kind:     global_buffer
      - .actual_access:  read_only
        .address_space:  global
        .offset:         32
        .size:           8
        .value_kind:     global_buffer
      - .actual_access:  read_only
        .address_space:  global
        .offset:         40
        .size:           8
        .value_kind:     global_buffer
      - .offset:         48
        .size:           4
        .value_kind:     by_value
      - .offset:         52
        .size:           4
        .value_kind:     by_value
      - .actual_access:  read_only
        .address_space:  global
        .offset:         56
        .size:           8
        .value_kind:     global_buffer
      - .actual_access:  read_only
        .address_space:  global
        .offset:         64
        .size:           8
        .value_kind:     global_buffer
      - .offset:         72
        .size:           4
        .value_kind:     by_value
      - .actual_access:  read_only
        .address_space:  global
        .offset:         80
        .size:           8
        .value_kind:     global_buffer
      - .offset:         88
        .size:           4
        .value_kind:     by_value
      - .offset:         92
        .size:           4
        .value_kind:     by_value
      - .offset:         96
        .size:           4
        .value_kind:     by_value
      - .address_space:  global
        .offset:         104
        .size:           8
        .value_kind:     global_buffer
      - .address_space:  global
        .offset:         112
        .size:           8
        .value_kind:     global_buffer
      - .offset:         120
        .size:           4
        .value_kind:     by_value
      - .offset:         124
        .size:           4
        .value_kind:     by_value
      - .offset:         128
        .size:           4
        .value_kind:     by_value
      - .offset:         132
        .size:           4
        .value_kind:     by_value
      - .offset:         136
        .size:           4
        .value_kind:     by_value
      - .offset:         144
        .size:           4
        .value_kind:     hidden_block_count_x
      - .offset:         148
        .size:           4
        .value_kind:     hidden_block_count_y
      - .offset:         152
        .size:           4
        .value_kind:     hidden_block_count_z
      - .offset:         156
        .size:           2
        .value_kind:     hidden_group_size_x
      - .offset:         158
        .size:           2
        .value_kind:     hidden_group_size_y
      - .offset:         160
        .size:           2
        .value_kind:     hidden_group_size_z
      - .offset:         162
        .size:           2
        .value_kind:     hidden_remainder_x
      - .offset:         164
        .size:           2
        .value_kind:     hidden_remainder_y
      - .offset:         166
        .size:           2
        .value_kind:     hidden_remainder_z
      - .offset:         184
        .size:           8
        .value_kind:     hidden_global_offset_x
      - .offset:         192
        .size:           8
        .value_kind:     hidden_global_offset_y
      - .offset:         200
        .size:           8
        .value_kind:     hidden_global_offset_z
      - .offset:         208
        .size:           2
        .value_kind:     hidden_grid_dims
      - .offset:         264
        .size:           4
        .value_kind:     hidden_dynamic_lds_size
    .group_segment_fixed_size: 480
    .kernarg_segment_align: 8
    .kernarg_segment_size: 400
    .language:       OpenCL C
    .language_version:
      - 2
      - 0
    .max_flat_workgroup_size: 1024
    .name:           _ZN4vllm25paged_attention_v2_kernelIffLi112ELi32ELi128ELNS_18Fp8KVCacheDataTypeE0ELb1ELi512EEEvPfS2_PT_PKS3_PKT0_S9_ifPKiSB_iPKfiiiSD_SD_iiiii
    .private_segment_fixed_size: 0
    .sgpr_count:     44
    .sgpr_spill_count: 0
    .symbol:         _ZN4vllm25paged_attention_v2_kernelIffLi112ELi32ELi128ELNS_18Fp8KVCacheDataTypeE0ELb1ELi512EEEvPfS2_PT_PKS3_PKT0_S9_ifPKiSB_iPKfiiiSD_SD_iiiii.kd
    .uniform_work_group_size: 1
    .uses_dynamic_stack: false
    .vgpr_count:     172
    .vgpr_spill_count: 0
    .wavefront_size: 32
    .workgroup_processor_mode: 1
  - .args:
      - .actual_access:  write_only
        .address_space:  global
        .offset:         0
        .size:           8
        .value_kind:     global_buffer
      - .actual_access:  write_only
        .address_space:  global
        .offset:         8
        .size:           8
        .value_kind:     global_buffer
      - .actual_access:  write_only
        .address_space:  global
        .offset:         16
        .size:           8
        .value_kind:     global_buffer
      - .actual_access:  read_only
        .address_space:  global
        .offset:         24
        .size:           8
        .value_kind:     global_buffer
      - .actual_access:  read_only
        .address_space:  global
        .offset:         32
        .size:           8
        .value_kind:     global_buffer
      - .actual_access:  read_only
        .address_space:  global
        .offset:         40
        .size:           8
        .value_kind:     global_buffer
      - .offset:         48
        .size:           4
        .value_kind:     by_value
      - .offset:         52
        .size:           4
        .value_kind:     by_value
      - .actual_access:  read_only
        .address_space:  global
        .offset:         56
        .size:           8
        .value_kind:     global_buffer
      - .actual_access:  read_only
        .address_space:  global
        .offset:         64
        .size:           8
        .value_kind:     global_buffer
      - .offset:         72
        .size:           4
        .value_kind:     by_value
      - .actual_access:  read_only
        .address_space:  global
        .offset:         80
        .size:           8
        .value_kind:     global_buffer
      - .offset:         88
        .size:           4
        .value_kind:     by_value
      - .offset:         92
        .size:           4
        .value_kind:     by_value
      - .offset:         96
        .size:           4
        .value_kind:     by_value
      - .address_space:  global
        .offset:         104
        .size:           8
        .value_kind:     global_buffer
      - .address_space:  global
        .offset:         112
        .size:           8
        .value_kind:     global_buffer
      - .offset:         120
        .size:           4
        .value_kind:     by_value
      - .offset:         124
        .size:           4
        .value_kind:     by_value
      - .offset:         128
        .size:           4
        .value_kind:     by_value
      - .offset:         132
        .size:           4
        .value_kind:     by_value
      - .offset:         136
        .size:           4
        .value_kind:     by_value
      - .offset:         144
        .size:           4
        .value_kind:     hidden_block_count_x
      - .offset:         148
        .size:           4
        .value_kind:     hidden_block_count_y
      - .offset:         152
        .size:           4
        .value_kind:     hidden_block_count_z
      - .offset:         156
        .size:           2
        .value_kind:     hidden_group_size_x
      - .offset:         158
        .size:           2
        .value_kind:     hidden_group_size_y
      - .offset:         160
        .size:           2
        .value_kind:     hidden_group_size_z
      - .offset:         162
        .size:           2
        .value_kind:     hidden_remainder_x
      - .offset:         164
        .size:           2
        .value_kind:     hidden_remainder_y
      - .offset:         166
        .size:           2
        .value_kind:     hidden_remainder_z
      - .offset:         184
        .size:           8
        .value_kind:     hidden_global_offset_x
      - .offset:         192
        .size:           8
        .value_kind:     hidden_global_offset_y
      - .offset:         200
        .size:           8
        .value_kind:     hidden_global_offset_z
      - .offset:         208
        .size:           2
        .value_kind:     hidden_grid_dims
      - .offset:         264
        .size:           4
        .value_kind:     hidden_dynamic_lds_size
    .group_segment_fixed_size: 512
    .kernarg_segment_align: 8
    .kernarg_segment_size: 400
    .language:       OpenCL C
    .language_version:
      - 2
      - 0
    .max_flat_workgroup_size: 1024
    .name:           _ZN4vllm25paged_attention_v2_kernelIffLi120ELi32ELi128ELNS_18Fp8KVCacheDataTypeE0ELb1ELi512EEEvPfS2_PT_PKS3_PKT0_S9_ifPKiSB_iPKfiiiSD_SD_iiiii
    .private_segment_fixed_size: 0
    .sgpr_count:     44
    .sgpr_spill_count: 0
    .symbol:         _ZN4vllm25paged_attention_v2_kernelIffLi120ELi32ELi128ELNS_18Fp8KVCacheDataTypeE0ELb1ELi512EEEvPfS2_PT_PKS3_PKT0_S9_ifPKiSB_iPKfiiiSD_SD_iiiii.kd
    .uniform_work_group_size: 1
    .uses_dynamic_stack: false
    .vgpr_count:     173
    .vgpr_spill_count: 0
    .wavefront_size: 32
    .workgroup_processor_mode: 1
  - .args:
      - .actual_access:  write_only
        .address_space:  global
        .offset:         0
        .size:           8
        .value_kind:     global_buffer
      - .actual_access:  write_only
        .address_space:  global
        .offset:         8
        .size:           8
        .value_kind:     global_buffer
      - .actual_access:  write_only
        .address_space:  global
        .offset:         16
        .size:           8
        .value_kind:     global_buffer
      - .actual_access:  read_only
        .address_space:  global
        .offset:         24
        .size:           8
        .value_kind:     global_buffer
      - .actual_access:  read_only
        .address_space:  global
        .offset:         32
        .size:           8
        .value_kind:     global_buffer
      - .actual_access:  read_only
        .address_space:  global
        .offset:         40
        .size:           8
        .value_kind:     global_buffer
      - .offset:         48
        .size:           4
        .value_kind:     by_value
      - .offset:         52
        .size:           4
        .value_kind:     by_value
      - .actual_access:  read_only
        .address_space:  global
        .offset:         56
        .size:           8
        .value_kind:     global_buffer
      - .actual_access:  read_only
        .address_space:  global
        .offset:         64
        .size:           8
        .value_kind:     global_buffer
      - .offset:         72
        .size:           4
        .value_kind:     by_value
      - .actual_access:  read_only
        .address_space:  global
        .offset:         80
        .size:           8
        .value_kind:     global_buffer
      - .offset:         88
        .size:           4
        .value_kind:     by_value
      - .offset:         92
        .size:           4
        .value_kind:     by_value
      - .offset:         96
        .size:           4
        .value_kind:     by_value
      - .address_space:  global
        .offset:         104
        .size:           8
        .value_kind:     global_buffer
      - .address_space:  global
        .offset:         112
        .size:           8
        .value_kind:     global_buffer
      - .offset:         120
        .size:           4
        .value_kind:     by_value
      - .offset:         124
        .size:           4
        .value_kind:     by_value
      - .offset:         128
        .size:           4
        .value_kind:     by_value
      - .offset:         132
        .size:           4
        .value_kind:     by_value
      - .offset:         136
        .size:           4
        .value_kind:     by_value
      - .offset:         144
        .size:           4
        .value_kind:     hidden_block_count_x
      - .offset:         148
        .size:           4
        .value_kind:     hidden_block_count_y
      - .offset:         152
        .size:           4
        .value_kind:     hidden_block_count_z
      - .offset:         156
        .size:           2
        .value_kind:     hidden_group_size_x
      - .offset:         158
        .size:           2
        .value_kind:     hidden_group_size_y
      - .offset:         160
        .size:           2
        .value_kind:     hidden_group_size_z
      - .offset:         162
        .size:           2
        .value_kind:     hidden_remainder_x
      - .offset:         164
        .size:           2
        .value_kind:     hidden_remainder_y
      - .offset:         166
        .size:           2
        .value_kind:     hidden_remainder_z
      - .offset:         184
        .size:           8
        .value_kind:     hidden_global_offset_x
      - .offset:         192
        .size:           8
        .value_kind:     hidden_global_offset_y
      - .offset:         200
        .size:           8
        .value_kind:     hidden_global_offset_z
      - .offset:         208
        .size:           2
        .value_kind:     hidden_grid_dims
      - .offset:         264
        .size:           4
        .value_kind:     hidden_dynamic_lds_size
    .group_segment_fixed_size: 544
    .kernarg_segment_align: 8
    .kernarg_segment_size: 400
    .language:       OpenCL C
    .language_version:
      - 2
      - 0
    .max_flat_workgroup_size: 1024
    .name:           _ZN4vllm25paged_attention_v2_kernelIffLi128ELi32ELi128ELNS_18Fp8KVCacheDataTypeE0ELb1ELi512EEEvPfS2_PT_PKS3_PKT0_S9_ifPKiSB_iPKfiiiSD_SD_iiiii
    .private_segment_fixed_size: 0
    .sgpr_count:     42
    .sgpr_spill_count: 0
    .symbol:         _ZN4vllm25paged_attention_v2_kernelIffLi128ELi32ELi128ELNS_18Fp8KVCacheDataTypeE0ELb1ELi512EEEvPfS2_PT_PKS3_PKT0_S9_ifPKiSB_iPKfiiiSD_SD_iiiii.kd
    .uniform_work_group_size: 1
    .uses_dynamic_stack: false
    .vgpr_count:     183
    .vgpr_spill_count: 0
    .wavefront_size: 32
    .workgroup_processor_mode: 1
  - .args:
      - .actual_access:  write_only
        .address_space:  global
        .offset:         0
        .size:           8
        .value_kind:     global_buffer
      - .actual_access:  write_only
        .address_space:  global
        .offset:         8
        .size:           8
        .value_kind:     global_buffer
      - .actual_access:  write_only
        .address_space:  global
        .offset:         16
        .size:           8
        .value_kind:     global_buffer
      - .actual_access:  read_only
        .address_space:  global
        .offset:         24
        .size:           8
        .value_kind:     global_buffer
      - .actual_access:  read_only
        .address_space:  global
        .offset:         32
        .size:           8
        .value_kind:     global_buffer
      - .actual_access:  read_only
        .address_space:  global
        .offset:         40
        .size:           8
        .value_kind:     global_buffer
      - .offset:         48
        .size:           4
        .value_kind:     by_value
      - .offset:         52
        .size:           4
        .value_kind:     by_value
      - .actual_access:  read_only
        .address_space:  global
        .offset:         56
        .size:           8
        .value_kind:     global_buffer
      - .actual_access:  read_only
        .address_space:  global
        .offset:         64
        .size:           8
        .value_kind:     global_buffer
      - .offset:         72
        .size:           4
        .value_kind:     by_value
      - .actual_access:  read_only
        .address_space:  global
        .offset:         80
        .size:           8
        .value_kind:     global_buffer
      - .offset:         88
        .size:           4
        .value_kind:     by_value
      - .offset:         92
        .size:           4
        .value_kind:     by_value
      - .offset:         96
        .size:           4
        .value_kind:     by_value
      - .address_space:  global
        .offset:         104
        .size:           8
        .value_kind:     global_buffer
      - .address_space:  global
        .offset:         112
        .size:           8
        .value_kind:     global_buffer
      - .offset:         120
        .size:           4
        .value_kind:     by_value
      - .offset:         124
        .size:           4
        .value_kind:     by_value
      - .offset:         128
        .size:           4
        .value_kind:     by_value
      - .offset:         132
        .size:           4
        .value_kind:     by_value
      - .offset:         136
        .size:           4
        .value_kind:     by_value
      - .offset:         144
        .size:           4
        .value_kind:     hidden_block_count_x
      - .offset:         148
        .size:           4
        .value_kind:     hidden_block_count_y
      - .offset:         152
        .size:           4
        .value_kind:     hidden_block_count_z
      - .offset:         156
        .size:           2
        .value_kind:     hidden_group_size_x
      - .offset:         158
        .size:           2
        .value_kind:     hidden_group_size_y
      - .offset:         160
        .size:           2
        .value_kind:     hidden_group_size_z
      - .offset:         162
        .size:           2
        .value_kind:     hidden_remainder_x
      - .offset:         164
        .size:           2
        .value_kind:     hidden_remainder_y
      - .offset:         166
        .size:           2
        .value_kind:     hidden_remainder_z
      - .offset:         184
        .size:           8
        .value_kind:     hidden_global_offset_x
      - .offset:         192
        .size:           8
        .value_kind:     hidden_global_offset_y
      - .offset:         200
        .size:           8
        .value_kind:     hidden_global_offset_z
      - .offset:         208
        .size:           2
        .value_kind:     hidden_grid_dims
      - .offset:         264
        .size:           4
        .value_kind:     hidden_dynamic_lds_size
    .group_segment_fixed_size: 800
    .kernarg_segment_align: 8
    .kernarg_segment_size: 400
    .language:       OpenCL C
    .language_version:
      - 2
      - 0
    .max_flat_workgroup_size: 1024
    .name:           _ZN4vllm25paged_attention_v2_kernelIffLi192ELi32ELi128ELNS_18Fp8KVCacheDataTypeE0ELb1ELi512EEEvPfS2_PT_PKS3_PKT0_S9_ifPKiSB_iPKfiiiSD_SD_iiiii
    .private_segment_fixed_size: 316
    .sgpr_count:     44
    .sgpr_spill_count: 0
    .symbol:         _ZN4vllm25paged_attention_v2_kernelIffLi192ELi32ELi128ELNS_18Fp8KVCacheDataTypeE0ELb1ELi512EEEvPfS2_PT_PKS3_PKT0_S9_ifPKiSB_iPKfiiiSD_SD_iiiii.kd
    .uniform_work_group_size: 1
    .uses_dynamic_stack: false
    .vgpr_count:     192
    .vgpr_spill_count: 106
    .wavefront_size: 32
    .workgroup_processor_mode: 1
  - .args:
      - .actual_access:  write_only
        .address_space:  global
        .offset:         0
        .size:           8
        .value_kind:     global_buffer
      - .actual_access:  write_only
        .address_space:  global
        .offset:         8
        .size:           8
        .value_kind:     global_buffer
      - .actual_access:  write_only
        .address_space:  global
        .offset:         16
        .size:           8
        .value_kind:     global_buffer
      - .actual_access:  read_only
        .address_space:  global
        .offset:         24
        .size:           8
        .value_kind:     global_buffer
      - .actual_access:  read_only
        .address_space:  global
        .offset:         32
        .size:           8
        .value_kind:     global_buffer
      - .actual_access:  read_only
        .address_space:  global
        .offset:         40
        .size:           8
        .value_kind:     global_buffer
      - .offset:         48
        .size:           4
        .value_kind:     by_value
      - .offset:         52
        .size:           4
        .value_kind:     by_value
      - .actual_access:  read_only
        .address_space:  global
        .offset:         56
        .size:           8
        .value_kind:     global_buffer
      - .actual_access:  read_only
        .address_space:  global
        .offset:         64
        .size:           8
        .value_kind:     global_buffer
      - .offset:         72
        .size:           4
        .value_kind:     by_value
      - .actual_access:  read_only
        .address_space:  global
        .offset:         80
        .size:           8
        .value_kind:     global_buffer
      - .offset:         88
        .size:           4
        .value_kind:     by_value
      - .offset:         92
        .size:           4
        .value_kind:     by_value
      - .offset:         96
        .size:           4
        .value_kind:     by_value
      - .address_space:  global
        .offset:         104
        .size:           8
        .value_kind:     global_buffer
      - .address_space:  global
        .offset:         112
        .size:           8
        .value_kind:     global_buffer
      - .offset:         120
        .size:           4
        .value_kind:     by_value
      - .offset:         124
        .size:           4
        .value_kind:     by_value
      - .offset:         128
        .size:           4
        .value_kind:     by_value
      - .offset:         132
        .size:           4
        .value_kind:     by_value
      - .offset:         136
        .size:           4
        .value_kind:     by_value
      - .offset:         144
        .size:           4
        .value_kind:     hidden_block_count_x
      - .offset:         148
        .size:           4
        .value_kind:     hidden_block_count_y
      - .offset:         152
        .size:           4
        .value_kind:     hidden_block_count_z
      - .offset:         156
        .size:           2
        .value_kind:     hidden_group_size_x
      - .offset:         158
        .size:           2
        .value_kind:     hidden_group_size_y
      - .offset:         160
        .size:           2
        .value_kind:     hidden_group_size_z
      - .offset:         162
        .size:           2
        .value_kind:     hidden_remainder_x
      - .offset:         164
        .size:           2
        .value_kind:     hidden_remainder_y
      - .offset:         166
        .size:           2
        .value_kind:     hidden_remainder_z
      - .offset:         184
        .size:           8
        .value_kind:     hidden_global_offset_x
      - .offset:         192
        .size:           8
        .value_kind:     hidden_global_offset_y
      - .offset:         200
        .size:           8
        .value_kind:     hidden_global_offset_z
      - .offset:         208
        .size:           2
        .value_kind:     hidden_grid_dims
      - .offset:         264
        .size:           4
        .value_kind:     hidden_dynamic_lds_size
    .group_segment_fixed_size: 1056
    .kernarg_segment_align: 8
    .kernarg_segment_size: 400
    .language:       OpenCL C
    .language_version:
      - 2
      - 0
    .max_flat_workgroup_size: 1024
    .name:           _ZN4vllm25paged_attention_v2_kernelIffLi256ELi32ELi128ELNS_18Fp8KVCacheDataTypeE0ELb1ELi512EEEvPfS2_PT_PKS3_PKT0_S9_ifPKiSB_iPKfiiiSD_SD_iiiii
    .private_segment_fixed_size: 656
    .sgpr_count:     42
    .sgpr_spill_count: 0
    .symbol:         _ZN4vllm25paged_attention_v2_kernelIffLi256ELi32ELi128ELNS_18Fp8KVCacheDataTypeE0ELb1ELi512EEEvPfS2_PT_PKS3_PKT0_S9_ifPKiSB_iPKfiiiSD_SD_iiiii.kd
    .uniform_work_group_size: 1
    .uses_dynamic_stack: false
    .vgpr_count:     192
    .vgpr_spill_count: 312
    .wavefront_size: 32
    .workgroup_processor_mode: 1
  - .args:
      - .actual_access:  write_only
        .address_space:  global
        .offset:         0
        .size:           8
        .value_kind:     global_buffer
      - .actual_access:  write_only
        .address_space:  global
        .offset:         8
        .size:           8
        .value_kind:     global_buffer
      - .actual_access:  write_only
        .address_space:  global
        .offset:         16
        .size:           8
        .value_kind:     global_buffer
      - .actual_access:  read_only
        .address_space:  global
        .offset:         24
        .size:           8
        .value_kind:     global_buffer
      - .actual_access:  read_only
        .address_space:  global
        .offset:         32
        .size:           8
        .value_kind:     global_buffer
      - .actual_access:  read_only
        .address_space:  global
        .offset:         40
        .size:           8
        .value_kind:     global_buffer
      - .offset:         48
        .size:           4
        .value_kind:     by_value
      - .offset:         52
        .size:           4
        .value_kind:     by_value
      - .actual_access:  read_only
        .address_space:  global
        .offset:         56
        .size:           8
        .value_kind:     global_buffer
      - .actual_access:  read_only
        .address_space:  global
        .offset:         64
        .size:           8
        .value_kind:     global_buffer
      - .offset:         72
        .size:           4
        .value_kind:     by_value
      - .actual_access:  read_only
        .address_space:  global
        .offset:         80
        .size:           8
        .value_kind:     global_buffer
      - .offset:         88
        .size:           4
        .value_kind:     by_value
      - .offset:         92
        .size:           4
        .value_kind:     by_value
      - .offset:         96
        .size:           4
        .value_kind:     by_value
      - .address_space:  global
        .offset:         104
        .size:           8
        .value_kind:     global_buffer
      - .address_space:  global
        .offset:         112
        .size:           8
        .value_kind:     global_buffer
      - .offset:         120
        .size:           4
        .value_kind:     by_value
      - .offset:         124
        .size:           4
        .value_kind:     by_value
      - .offset:         128
        .size:           4
        .value_kind:     by_value
      - .offset:         132
        .size:           4
        .value_kind:     by_value
      - .offset:         136
        .size:           4
        .value_kind:     by_value
      - .offset:         144
        .size:           4
        .value_kind:     hidden_block_count_x
      - .offset:         148
        .size:           4
        .value_kind:     hidden_block_count_y
      - .offset:         152
        .size:           4
        .value_kind:     hidden_block_count_z
      - .offset:         156
        .size:           2
        .value_kind:     hidden_group_size_x
      - .offset:         158
        .size:           2
        .value_kind:     hidden_group_size_y
      - .offset:         160
        .size:           2
        .value_kind:     hidden_group_size_z
      - .offset:         162
        .size:           2
        .value_kind:     hidden_remainder_x
      - .offset:         164
        .size:           2
        .value_kind:     hidden_remainder_y
      - .offset:         166
        .size:           2
        .value_kind:     hidden_remainder_z
      - .offset:         184
        .size:           8
        .value_kind:     hidden_global_offset_x
      - .offset:         192
        .size:           8
        .value_kind:     hidden_global_offset_y
      - .offset:         200
        .size:           8
        .value_kind:     hidden_global_offset_z
      - .offset:         208
        .size:           2
        .value_kind:     hidden_grid_dims
      - .offset:         264
        .size:           4
        .value_kind:     hidden_dynamic_lds_size
    .group_segment_fixed_size: 160
    .kernarg_segment_align: 8
    .kernarg_segment_size: 400
    .language:       OpenCL C
    .language_version:
      - 2
      - 0
    .max_flat_workgroup_size: 1024
    .name:           _ZN4vllm25paged_attention_v2_kernelIffLi32ELi32ELi128ELNS_18Fp8KVCacheDataTypeE0ELb0ELi512EEEvPfS2_PT_PKS3_PKT0_S9_ifPKiSB_iPKfiiiSD_SD_iiiii
    .private_segment_fixed_size: 0
    .sgpr_count:     34
    .sgpr_spill_count: 0
    .symbol:         _ZN4vllm25paged_attention_v2_kernelIffLi32ELi32ELi128ELNS_18Fp8KVCacheDataTypeE0ELb0ELi512EEEvPfS2_PT_PKS3_PKT0_S9_ifPKiSB_iPKfiiiSD_SD_iiiii.kd
    .uniform_work_group_size: 1
    .uses_dynamic_stack: false
    .vgpr_count:     81
    .vgpr_spill_count: 0
    .wavefront_size: 32
    .workgroup_processor_mode: 1
  - .args:
      - .actual_access:  write_only
        .address_space:  global
        .offset:         0
        .size:           8
        .value_kind:     global_buffer
      - .actual_access:  write_only
        .address_space:  global
        .offset:         8
        .size:           8
        .value_kind:     global_buffer
      - .actual_access:  write_only
        .address_space:  global
        .offset:         16
        .size:           8
        .value_kind:     global_buffer
      - .actual_access:  read_only
        .address_space:  global
        .offset:         24
        .size:           8
        .value_kind:     global_buffer
      - .actual_access:  read_only
        .address_space:  global
        .offset:         32
        .size:           8
        .value_kind:     global_buffer
      - .actual_access:  read_only
        .address_space:  global
        .offset:         40
        .size:           8
        .value_kind:     global_buffer
      - .offset:         48
        .size:           4
        .value_kind:     by_value
      - .offset:         52
        .size:           4
        .value_kind:     by_value
      - .actual_access:  read_only
        .address_space:  global
        .offset:         56
        .size:           8
        .value_kind:     global_buffer
      - .actual_access:  read_only
        .address_space:  global
        .offset:         64
        .size:           8
        .value_kind:     global_buffer
      - .offset:         72
        .size:           4
        .value_kind:     by_value
      - .actual_access:  read_only
        .address_space:  global
        .offset:         80
        .size:           8
        .value_kind:     global_buffer
      - .offset:         88
        .size:           4
        .value_kind:     by_value
      - .offset:         92
        .size:           4
        .value_kind:     by_value
      - .offset:         96
        .size:           4
        .value_kind:     by_value
      - .address_space:  global
        .offset:         104
        .size:           8
        .value_kind:     global_buffer
      - .address_space:  global
        .offset:         112
        .size:           8
        .value_kind:     global_buffer
      - .offset:         120
        .size:           4
        .value_kind:     by_value
      - .offset:         124
        .size:           4
        .value_kind:     by_value
      - .offset:         128
        .size:           4
        .value_kind:     by_value
      - .offset:         132
        .size:           4
        .value_kind:     by_value
      - .offset:         136
        .size:           4
        .value_kind:     by_value
      - .offset:         144
        .size:           4
        .value_kind:     hidden_block_count_x
      - .offset:         148
        .size:           4
        .value_kind:     hidden_block_count_y
      - .offset:         152
        .size:           4
        .value_kind:     hidden_block_count_z
      - .offset:         156
        .size:           2
        .value_kind:     hidden_group_size_x
      - .offset:         158
        .size:           2
        .value_kind:     hidden_group_size_y
      - .offset:         160
        .size:           2
        .value_kind:     hidden_group_size_z
      - .offset:         162
        .size:           2
        .value_kind:     hidden_remainder_x
      - .offset:         164
        .size:           2
        .value_kind:     hidden_remainder_y
      - .offset:         166
        .size:           2
        .value_kind:     hidden_remainder_z
      - .offset:         184
        .size:           8
        .value_kind:     hidden_global_offset_x
      - .offset:         192
        .size:           8
        .value_kind:     hidden_global_offset_y
      - .offset:         200
        .size:           8
        .value_kind:     hidden_global_offset_z
      - .offset:         208
        .size:           2
        .value_kind:     hidden_grid_dims
      - .offset:         264
        .size:           4
        .value_kind:     hidden_dynamic_lds_size
    .group_segment_fixed_size: 288
    .kernarg_segment_align: 8
    .kernarg_segment_size: 400
    .language:       OpenCL C
    .language_version:
      - 2
      - 0
    .max_flat_workgroup_size: 1024
    .name:           _ZN4vllm25paged_attention_v2_kernelIffLi64ELi32ELi128ELNS_18Fp8KVCacheDataTypeE0ELb0ELi512EEEvPfS2_PT_PKS3_PKT0_S9_ifPKiSB_iPKfiiiSD_SD_iiiii
    .private_segment_fixed_size: 0
    .sgpr_count:     34
    .sgpr_spill_count: 0
    .symbol:         _ZN4vllm25paged_attention_v2_kernelIffLi64ELi32ELi128ELNS_18Fp8KVCacheDataTypeE0ELb0ELi512EEEvPfS2_PT_PKS3_PKT0_S9_ifPKiSB_iPKfiiiSD_SD_iiiii.kd
    .uniform_work_group_size: 1
    .uses_dynamic_stack: false
    .vgpr_count:     123
    .vgpr_spill_count: 0
    .wavefront_size: 32
    .workgroup_processor_mode: 1
  - .args:
      - .actual_access:  write_only
        .address_space:  global
        .offset:         0
        .size:           8
        .value_kind:     global_buffer
      - .actual_access:  write_only
        .address_space:  global
        .offset:         8
        .size:           8
        .value_kind:     global_buffer
      - .actual_access:  write_only
        .address_space:  global
        .offset:         16
        .size:           8
        .value_kind:     global_buffer
      - .actual_access:  read_only
        .address_space:  global
        .offset:         24
        .size:           8
        .value_kind:     global_buffer
      - .actual_access:  read_only
        .address_space:  global
        .offset:         32
        .size:           8
        .value_kind:     global_buffer
      - .actual_access:  read_only
        .address_space:  global
        .offset:         40
        .size:           8
        .value_kind:     global_buffer
      - .offset:         48
        .size:           4
        .value_kind:     by_value
      - .offset:         52
        .size:           4
        .value_kind:     by_value
      - .actual_access:  read_only
        .address_space:  global
        .offset:         56
        .size:           8
        .value_kind:     global_buffer
      - .actual_access:  read_only
        .address_space:  global
        .offset:         64
        .size:           8
        .value_kind:     global_buffer
      - .offset:         72
        .size:           4
        .value_kind:     by_value
      - .actual_access:  read_only
        .address_space:  global
        .offset:         80
        .size:           8
        .value_kind:     global_buffer
      - .offset:         88
        .size:           4
        .value_kind:     by_value
      - .offset:         92
        .size:           4
        .value_kind:     by_value
      - .offset:         96
        .size:           4
        .value_kind:     by_value
      - .address_space:  global
        .offset:         104
        .size:           8
        .value_kind:     global_buffer
      - .address_space:  global
        .offset:         112
        .size:           8
        .value_kind:     global_buffer
      - .offset:         120
        .size:           4
        .value_kind:     by_value
      - .offset:         124
        .size:           4
        .value_kind:     by_value
      - .offset:         128
        .size:           4
        .value_kind:     by_value
      - .offset:         132
        .size:           4
        .value_kind:     by_value
      - .offset:         136
        .size:           4
        .value_kind:     by_value
      - .offset:         144
        .size:           4
        .value_kind:     hidden_block_count_x
      - .offset:         148
        .size:           4
        .value_kind:     hidden_block_count_y
      - .offset:         152
        .size:           4
        .value_kind:     hidden_block_count_z
      - .offset:         156
        .size:           2
        .value_kind:     hidden_group_size_x
      - .offset:         158
        .size:           2
        .value_kind:     hidden_group_size_y
      - .offset:         160
        .size:           2
        .value_kind:     hidden_group_size_z
      - .offset:         162
        .size:           2
        .value_kind:     hidden_remainder_x
      - .offset:         164
        .size:           2
        .value_kind:     hidden_remainder_y
      - .offset:         166
        .size:           2
        .value_kind:     hidden_remainder_z
      - .offset:         184
        .size:           8
        .value_kind:     hidden_global_offset_x
      - .offset:         192
        .size:           8
        .value_kind:     hidden_global_offset_y
      - .offset:         200
        .size:           8
        .value_kind:     hidden_global_offset_z
      - .offset:         208
        .size:           2
        .value_kind:     hidden_grid_dims
      - .offset:         264
        .size:           4
        .value_kind:     hidden_dynamic_lds_size
    .group_segment_fixed_size: 352
    .kernarg_segment_align: 8
    .kernarg_segment_size: 400
    .language:       OpenCL C
    .language_version:
      - 2
      - 0
    .max_flat_workgroup_size: 1024
    .name:           _ZN4vllm25paged_attention_v2_kernelIffLi80ELi32ELi128ELNS_18Fp8KVCacheDataTypeE0ELb0ELi512EEEvPfS2_PT_PKS3_PKT0_S9_ifPKiSB_iPKfiiiSD_SD_iiiii
    .private_segment_fixed_size: 0
    .sgpr_count:     34
    .sgpr_spill_count: 0
    .symbol:         _ZN4vllm25paged_attention_v2_kernelIffLi80ELi32ELi128ELNS_18Fp8KVCacheDataTypeE0ELb0ELi512EEEvPfS2_PT_PKS3_PKT0_S9_ifPKiSB_iPKfiiiSD_SD_iiiii.kd
    .uniform_work_group_size: 1
    .uses_dynamic_stack: false
    .vgpr_count:     147
    .vgpr_spill_count: 0
    .wavefront_size: 32
    .workgroup_processor_mode: 1
  - .args:
      - .actual_access:  write_only
        .address_space:  global
        .offset:         0
        .size:           8
        .value_kind:     global_buffer
      - .actual_access:  write_only
        .address_space:  global
        .offset:         8
        .size:           8
        .value_kind:     global_buffer
      - .actual_access:  write_only
        .address_space:  global
        .offset:         16
        .size:           8
        .value_kind:     global_buffer
      - .actual_access:  read_only
        .address_space:  global
        .offset:         24
        .size:           8
        .value_kind:     global_buffer
      - .actual_access:  read_only
        .address_space:  global
        .offset:         32
        .size:           8
        .value_kind:     global_buffer
      - .actual_access:  read_only
        .address_space:  global
        .offset:         40
        .size:           8
        .value_kind:     global_buffer
      - .offset:         48
        .size:           4
        .value_kind:     by_value
      - .offset:         52
        .size:           4
        .value_kind:     by_value
      - .actual_access:  read_only
        .address_space:  global
        .offset:         56
        .size:           8
        .value_kind:     global_buffer
      - .actual_access:  read_only
        .address_space:  global
        .offset:         64
        .size:           8
        .value_kind:     global_buffer
      - .offset:         72
        .size:           4
        .value_kind:     by_value
      - .actual_access:  read_only
        .address_space:  global
        .offset:         80
        .size:           8
        .value_kind:     global_buffer
      - .offset:         88
        .size:           4
        .value_kind:     by_value
      - .offset:         92
        .size:           4
        .value_kind:     by_value
      - .offset:         96
        .size:           4
        .value_kind:     by_value
      - .address_space:  global
        .offset:         104
        .size:           8
        .value_kind:     global_buffer
      - .address_space:  global
        .offset:         112
        .size:           8
        .value_kind:     global_buffer
      - .offset:         120
        .size:           4
        .value_kind:     by_value
      - .offset:         124
        .size:           4
        .value_kind:     by_value
      - .offset:         128
        .size:           4
        .value_kind:     by_value
      - .offset:         132
        .size:           4
        .value_kind:     by_value
      - .offset:         136
        .size:           4
        .value_kind:     by_value
      - .offset:         144
        .size:           4
        .value_kind:     hidden_block_count_x
      - .offset:         148
        .size:           4
        .value_kind:     hidden_block_count_y
      - .offset:         152
        .size:           4
        .value_kind:     hidden_block_count_z
      - .offset:         156
        .size:           2
        .value_kind:     hidden_group_size_x
      - .offset:         158
        .size:           2
        .value_kind:     hidden_group_size_y
      - .offset:         160
        .size:           2
        .value_kind:     hidden_group_size_z
      - .offset:         162
        .size:           2
        .value_kind:     hidden_remainder_x
      - .offset:         164
        .size:           2
        .value_kind:     hidden_remainder_y
      - .offset:         166
        .size:           2
        .value_kind:     hidden_remainder_z
      - .offset:         184
        .size:           8
        .value_kind:     hidden_global_offset_x
      - .offset:         192
        .size:           8
        .value_kind:     hidden_global_offset_y
      - .offset:         200
        .size:           8
        .value_kind:     hidden_global_offset_z
      - .offset:         208
        .size:           2
        .value_kind:     hidden_grid_dims
      - .offset:         264
        .size:           4
        .value_kind:     hidden_dynamic_lds_size
    .group_segment_fixed_size: 416
    .kernarg_segment_align: 8
    .kernarg_segment_size: 400
    .language:       OpenCL C
    .language_version:
      - 2
      - 0
    .max_flat_workgroup_size: 1024
    .name:           _ZN4vllm25paged_attention_v2_kernelIffLi96ELi32ELi128ELNS_18Fp8KVCacheDataTypeE0ELb0ELi512EEEvPfS2_PT_PKS3_PKT0_S9_ifPKiSB_iPKfiiiSD_SD_iiiii
    .private_segment_fixed_size: 0
    .sgpr_count:     34
    .sgpr_spill_count: 0
    .symbol:         _ZN4vllm25paged_attention_v2_kernelIffLi96ELi32ELi128ELNS_18Fp8KVCacheDataTypeE0ELb0ELi512EEEvPfS2_PT_PKS3_PKT0_S9_ifPKiSB_iPKfiiiSD_SD_iiiii.kd
    .uniform_work_group_size: 1
    .uses_dynamic_stack: false
    .vgpr_count:     147
    .vgpr_spill_count: 0
    .wavefront_size: 32
    .workgroup_processor_mode: 1
  - .args:
      - .actual_access:  write_only
        .address_space:  global
        .offset:         0
        .size:           8
        .value_kind:     global_buffer
      - .actual_access:  write_only
        .address_space:  global
        .offset:         8
        .size:           8
        .value_kind:     global_buffer
      - .actual_access:  write_only
        .address_space:  global
        .offset:         16
        .size:           8
        .value_kind:     global_buffer
      - .actual_access:  read_only
        .address_space:  global
        .offset:         24
        .size:           8
        .value_kind:     global_buffer
      - .actual_access:  read_only
        .address_space:  global
        .offset:         32
        .size:           8
        .value_kind:     global_buffer
      - .actual_access:  read_only
        .address_space:  global
        .offset:         40
        .size:           8
        .value_kind:     global_buffer
      - .offset:         48
        .size:           4
        .value_kind:     by_value
      - .offset:         52
        .size:           4
        .value_kind:     by_value
      - .actual_access:  read_only
        .address_space:  global
        .offset:         56
        .size:           8
        .value_kind:     global_buffer
      - .actual_access:  read_only
        .address_space:  global
        .offset:         64
        .size:           8
        .value_kind:     global_buffer
      - .offset:         72
        .size:           4
        .value_kind:     by_value
      - .actual_access:  read_only
        .address_space:  global
        .offset:         80
        .size:           8
        .value_kind:     global_buffer
      - .offset:         88
        .size:           4
        .value_kind:     by_value
      - .offset:         92
        .size:           4
        .value_kind:     by_value
      - .offset:         96
        .size:           4
        .value_kind:     by_value
      - .address_space:  global
        .offset:         104
        .size:           8
        .value_kind:     global_buffer
      - .address_space:  global
        .offset:         112
        .size:           8
        .value_kind:     global_buffer
      - .offset:         120
        .size:           4
        .value_kind:     by_value
      - .offset:         124
        .size:           4
        .value_kind:     by_value
      - .offset:         128
        .size:           4
        .value_kind:     by_value
      - .offset:         132
        .size:           4
        .value_kind:     by_value
      - .offset:         136
        .size:           4
        .value_kind:     by_value
      - .offset:         144
        .size:           4
        .value_kind:     hidden_block_count_x
      - .offset:         148
        .size:           4
        .value_kind:     hidden_block_count_y
      - .offset:         152
        .size:           4
        .value_kind:     hidden_block_count_z
      - .offset:         156
        .size:           2
        .value_kind:     hidden_group_size_x
      - .offset:         158
        .size:           2
        .value_kind:     hidden_group_size_y
      - .offset:         160
        .size:           2
        .value_kind:     hidden_group_size_z
      - .offset:         162
        .size:           2
        .value_kind:     hidden_remainder_x
      - .offset:         164
        .size:           2
        .value_kind:     hidden_remainder_y
      - .offset:         166
        .size:           2
        .value_kind:     hidden_remainder_z
      - .offset:         184
        .size:           8
        .value_kind:     hidden_global_offset_x
      - .offset:         192
        .size:           8
        .value_kind:     hidden_global_offset_y
      - .offset:         200
        .size:           8
        .value_kind:     hidden_global_offset_z
      - .offset:         208
        .size:           2
        .value_kind:     hidden_grid_dims
      - .offset:         264
        .size:           4
        .value_kind:     hidden_dynamic_lds_size
    .group_segment_fixed_size: 480
    .kernarg_segment_align: 8
    .kernarg_segment_size: 400
    .language:       OpenCL C
    .language_version:
      - 2
      - 0
    .max_flat_workgroup_size: 1024
    .name:           _ZN4vllm25paged_attention_v2_kernelIffLi112ELi32ELi128ELNS_18Fp8KVCacheDataTypeE0ELb0ELi512EEEvPfS2_PT_PKS3_PKT0_S9_ifPKiSB_iPKfiiiSD_SD_iiiii
    .private_segment_fixed_size: 0
    .sgpr_count:     34
    .sgpr_spill_count: 0
    .symbol:         _ZN4vllm25paged_attention_v2_kernelIffLi112ELi32ELi128ELNS_18Fp8KVCacheDataTypeE0ELb0ELi512EEEvPfS2_PT_PKS3_PKT0_S9_ifPKiSB_iPKfiiiSD_SD_iiiii.kd
    .uniform_work_group_size: 1
    .uses_dynamic_stack: false
    .vgpr_count:     173
    .vgpr_spill_count: 0
    .wavefront_size: 32
    .workgroup_processor_mode: 1
  - .args:
      - .actual_access:  write_only
        .address_space:  global
        .offset:         0
        .size:           8
        .value_kind:     global_buffer
      - .actual_access:  write_only
        .address_space:  global
        .offset:         8
        .size:           8
        .value_kind:     global_buffer
      - .actual_access:  write_only
        .address_space:  global
        .offset:         16
        .size:           8
        .value_kind:     global_buffer
      - .actual_access:  read_only
        .address_space:  global
        .offset:         24
        .size:           8
        .value_kind:     global_buffer
      - .actual_access:  read_only
        .address_space:  global
        .offset:         32
        .size:           8
        .value_kind:     global_buffer
      - .actual_access:  read_only
        .address_space:  global
        .offset:         40
        .size:           8
        .value_kind:     global_buffer
      - .offset:         48
        .size:           4
        .value_kind:     by_value
      - .offset:         52
        .size:           4
        .value_kind:     by_value
      - .actual_access:  read_only
        .address_space:  global
        .offset:         56
        .size:           8
        .value_kind:     global_buffer
      - .actual_access:  read_only
        .address_space:  global
        .offset:         64
        .size:           8
        .value_kind:     global_buffer
      - .offset:         72
        .size:           4
        .value_kind:     by_value
      - .actual_access:  read_only
        .address_space:  global
        .offset:         80
        .size:           8
        .value_kind:     global_buffer
      - .offset:         88
        .size:           4
        .value_kind:     by_value
      - .offset:         92
        .size:           4
        .value_kind:     by_value
      - .offset:         96
        .size:           4
        .value_kind:     by_value
      - .address_space:  global
        .offset:         104
        .size:           8
        .value_kind:     global_buffer
      - .address_space:  global
        .offset:         112
        .size:           8
        .value_kind:     global_buffer
      - .offset:         120
        .size:           4
        .value_kind:     by_value
      - .offset:         124
        .size:           4
        .value_kind:     by_value
      - .offset:         128
        .size:           4
        .value_kind:     by_value
      - .offset:         132
        .size:           4
        .value_kind:     by_value
      - .offset:         136
        .size:           4
        .value_kind:     by_value
      - .offset:         144
        .size:           4
        .value_kind:     hidden_block_count_x
      - .offset:         148
        .size:           4
        .value_kind:     hidden_block_count_y
      - .offset:         152
        .size:           4
        .value_kind:     hidden_block_count_z
      - .offset:         156
        .size:           2
        .value_kind:     hidden_group_size_x
      - .offset:         158
        .size:           2
        .value_kind:     hidden_group_size_y
      - .offset:         160
        .size:           2
        .value_kind:     hidden_group_size_z
      - .offset:         162
        .size:           2
        .value_kind:     hidden_remainder_x
      - .offset:         164
        .size:           2
        .value_kind:     hidden_remainder_y
      - .offset:         166
        .size:           2
        .value_kind:     hidden_remainder_z
      - .offset:         184
        .size:           8
        .value_kind:     hidden_global_offset_x
      - .offset:         192
        .size:           8
        .value_kind:     hidden_global_offset_y
      - .offset:         200
        .size:           8
        .value_kind:     hidden_global_offset_z
      - .offset:         208
        .size:           2
        .value_kind:     hidden_grid_dims
      - .offset:         264
        .size:           4
        .value_kind:     hidden_dynamic_lds_size
    .group_segment_fixed_size: 512
    .kernarg_segment_align: 8
    .kernarg_segment_size: 400
    .language:       OpenCL C
    .language_version:
      - 2
      - 0
    .max_flat_workgroup_size: 1024
    .name:           _ZN4vllm25paged_attention_v2_kernelIffLi120ELi32ELi128ELNS_18Fp8KVCacheDataTypeE0ELb0ELi512EEEvPfS2_PT_PKS3_PKT0_S9_ifPKiSB_iPKfiiiSD_SD_iiiii
    .private_segment_fixed_size: 0
    .sgpr_count:     34
    .sgpr_spill_count: 0
    .symbol:         _ZN4vllm25paged_attention_v2_kernelIffLi120ELi32ELi128ELNS_18Fp8KVCacheDataTypeE0ELb0ELi512EEEvPfS2_PT_PKS3_PKT0_S9_ifPKiSB_iPKfiiiSD_SD_iiiii.kd
    .uniform_work_group_size: 1
    .uses_dynamic_stack: false
    .vgpr_count:     171
    .vgpr_spill_count: 0
    .wavefront_size: 32
    .workgroup_processor_mode: 1
  - .args:
      - .actual_access:  write_only
        .address_space:  global
        .offset:         0
        .size:           8
        .value_kind:     global_buffer
      - .actual_access:  write_only
        .address_space:  global
        .offset:         8
        .size:           8
        .value_kind:     global_buffer
      - .actual_access:  write_only
        .address_space:  global
        .offset:         16
        .size:           8
        .value_kind:     global_buffer
      - .actual_access:  read_only
        .address_space:  global
        .offset:         24
        .size:           8
        .value_kind:     global_buffer
      - .actual_access:  read_only
        .address_space:  global
        .offset:         32
        .size:           8
        .value_kind:     global_buffer
      - .actual_access:  read_only
        .address_space:  global
        .offset:         40
        .size:           8
        .value_kind:     global_buffer
      - .offset:         48
        .size:           4
        .value_kind:     by_value
      - .offset:         52
        .size:           4
        .value_kind:     by_value
      - .actual_access:  read_only
        .address_space:  global
        .offset:         56
        .size:           8
        .value_kind:     global_buffer
      - .actual_access:  read_only
        .address_space:  global
        .offset:         64
        .size:           8
        .value_kind:     global_buffer
      - .offset:         72
        .size:           4
        .value_kind:     by_value
      - .actual_access:  read_only
        .address_space:  global
        .offset:         80
        .size:           8
        .value_kind:     global_buffer
      - .offset:         88
        .size:           4
        .value_kind:     by_value
      - .offset:         92
        .size:           4
        .value_kind:     by_value
      - .offset:         96
        .size:           4
        .value_kind:     by_value
      - .address_space:  global
        .offset:         104
        .size:           8
        .value_kind:     global_buffer
      - .address_space:  global
        .offset:         112
        .size:           8
        .value_kind:     global_buffer
      - .offset:         120
        .size:           4
        .value_kind:     by_value
      - .offset:         124
        .size:           4
        .value_kind:     by_value
      - .offset:         128
        .size:           4
        .value_kind:     by_value
      - .offset:         132
        .size:           4
        .value_kind:     by_value
      - .offset:         136
        .size:           4
        .value_kind:     by_value
      - .offset:         144
        .size:           4
        .value_kind:     hidden_block_count_x
      - .offset:         148
        .size:           4
        .value_kind:     hidden_block_count_y
      - .offset:         152
        .size:           4
        .value_kind:     hidden_block_count_z
      - .offset:         156
        .size:           2
        .value_kind:     hidden_group_size_x
      - .offset:         158
        .size:           2
        .value_kind:     hidden_group_size_y
      - .offset:         160
        .size:           2
        .value_kind:     hidden_group_size_z
      - .offset:         162
        .size:           2
        .value_kind:     hidden_remainder_x
      - .offset:         164
        .size:           2
        .value_kind:     hidden_remainder_y
      - .offset:         166
        .size:           2
        .value_kind:     hidden_remainder_z
      - .offset:         184
        .size:           8
        .value_kind:     hidden_global_offset_x
      - .offset:         192
        .size:           8
        .value_kind:     hidden_global_offset_y
      - .offset:         200
        .size:           8
        .value_kind:     hidden_global_offset_z
      - .offset:         208
        .size:           2
        .value_kind:     hidden_grid_dims
      - .offset:         264
        .size:           4
        .value_kind:     hidden_dynamic_lds_size
    .group_segment_fixed_size: 544
    .kernarg_segment_align: 8
    .kernarg_segment_size: 400
    .language:       OpenCL C
    .language_version:
      - 2
      - 0
    .max_flat_workgroup_size: 1024
    .name:           _ZN4vllm25paged_attention_v2_kernelIffLi128ELi32ELi128ELNS_18Fp8KVCacheDataTypeE0ELb0ELi512EEEvPfS2_PT_PKS3_PKT0_S9_ifPKiSB_iPKfiiiSD_SD_iiiii
    .private_segment_fixed_size: 0
    .sgpr_count:     34
    .sgpr_spill_count: 0
    .symbol:         _ZN4vllm25paged_attention_v2_kernelIffLi128ELi32ELi128ELNS_18Fp8KVCacheDataTypeE0ELb0ELi512EEEvPfS2_PT_PKS3_PKT0_S9_ifPKiSB_iPKfiiiSD_SD_iiiii.kd
    .uniform_work_group_size: 1
    .uses_dynamic_stack: false
    .vgpr_count:     181
    .vgpr_spill_count: 0
    .wavefront_size: 32
    .workgroup_processor_mode: 1
  - .args:
      - .actual_access:  write_only
        .address_space:  global
        .offset:         0
        .size:           8
        .value_kind:     global_buffer
      - .actual_access:  write_only
        .address_space:  global
        .offset:         8
        .size:           8
        .value_kind:     global_buffer
      - .actual_access:  write_only
        .address_space:  global
        .offset:         16
        .size:           8
        .value_kind:     global_buffer
      - .actual_access:  read_only
        .address_space:  global
        .offset:         24
        .size:           8
        .value_kind:     global_buffer
      - .actual_access:  read_only
        .address_space:  global
        .offset:         32
        .size:           8
        .value_kind:     global_buffer
      - .actual_access:  read_only
        .address_space:  global
        .offset:         40
        .size:           8
        .value_kind:     global_buffer
      - .offset:         48
        .size:           4
        .value_kind:     by_value
      - .offset:         52
        .size:           4
        .value_kind:     by_value
      - .actual_access:  read_only
        .address_space:  global
        .offset:         56
        .size:           8
        .value_kind:     global_buffer
      - .actual_access:  read_only
        .address_space:  global
        .offset:         64
        .size:           8
        .value_kind:     global_buffer
      - .offset:         72
        .size:           4
        .value_kind:     by_value
      - .actual_access:  read_only
        .address_space:  global
        .offset:         80
        .size:           8
        .value_kind:     global_buffer
      - .offset:         88
        .size:           4
        .value_kind:     by_value
      - .offset:         92
        .size:           4
        .value_kind:     by_value
      - .offset:         96
        .size:           4
        .value_kind:     by_value
      - .address_space:  global
        .offset:         104
        .size:           8
        .value_kind:     global_buffer
      - .address_space:  global
        .offset:         112
        .size:           8
        .value_kind:     global_buffer
      - .offset:         120
        .size:           4
        .value_kind:     by_value
      - .offset:         124
        .size:           4
        .value_kind:     by_value
      - .offset:         128
        .size:           4
        .value_kind:     by_value
      - .offset:         132
        .size:           4
        .value_kind:     by_value
      - .offset:         136
        .size:           4
        .value_kind:     by_value
      - .offset:         144
        .size:           4
        .value_kind:     hidden_block_count_x
      - .offset:         148
        .size:           4
        .value_kind:     hidden_block_count_y
      - .offset:         152
        .size:           4
        .value_kind:     hidden_block_count_z
      - .offset:         156
        .size:           2
        .value_kind:     hidden_group_size_x
      - .offset:         158
        .size:           2
        .value_kind:     hidden_group_size_y
      - .offset:         160
        .size:           2
        .value_kind:     hidden_group_size_z
      - .offset:         162
        .size:           2
        .value_kind:     hidden_remainder_x
      - .offset:         164
        .size:           2
        .value_kind:     hidden_remainder_y
      - .offset:         166
        .size:           2
        .value_kind:     hidden_remainder_z
      - .offset:         184
        .size:           8
        .value_kind:     hidden_global_offset_x
      - .offset:         192
        .size:           8
        .value_kind:     hidden_global_offset_y
      - .offset:         200
        .size:           8
        .value_kind:     hidden_global_offset_z
      - .offset:         208
        .size:           2
        .value_kind:     hidden_grid_dims
      - .offset:         264
        .size:           4
        .value_kind:     hidden_dynamic_lds_size
    .group_segment_fixed_size: 800
    .kernarg_segment_align: 8
    .kernarg_segment_size: 400
    .language:       OpenCL C
    .language_version:
      - 2
      - 0
    .max_flat_workgroup_size: 1024
    .name:           _ZN4vllm25paged_attention_v2_kernelIffLi192ELi32ELi128ELNS_18Fp8KVCacheDataTypeE0ELb0ELi512EEEvPfS2_PT_PKS3_PKT0_S9_ifPKiSB_iPKfiiiSD_SD_iiiii
    .private_segment_fixed_size: 328
    .sgpr_count:     34
    .sgpr_spill_count: 0
    .symbol:         _ZN4vllm25paged_attention_v2_kernelIffLi192ELi32ELi128ELNS_18Fp8KVCacheDataTypeE0ELb0ELi512EEEvPfS2_PT_PKS3_PKT0_S9_ifPKiSB_iPKfiiiSD_SD_iiiii.kd
    .uniform_work_group_size: 1
    .uses_dynamic_stack: false
    .vgpr_count:     192
    .vgpr_spill_count: 149
    .wavefront_size: 32
    .workgroup_processor_mode: 1
  - .args:
      - .actual_access:  write_only
        .address_space:  global
        .offset:         0
        .size:           8
        .value_kind:     global_buffer
      - .actual_access:  write_only
        .address_space:  global
        .offset:         8
        .size:           8
        .value_kind:     global_buffer
      - .actual_access:  write_only
        .address_space:  global
        .offset:         16
        .size:           8
        .value_kind:     global_buffer
      - .actual_access:  read_only
        .address_space:  global
        .offset:         24
        .size:           8
        .value_kind:     global_buffer
      - .actual_access:  read_only
        .address_space:  global
        .offset:         32
        .size:           8
        .value_kind:     global_buffer
      - .actual_access:  read_only
        .address_space:  global
        .offset:         40
        .size:           8
        .value_kind:     global_buffer
      - .offset:         48
        .size:           4
        .value_kind:     by_value
      - .offset:         52
        .size:           4
        .value_kind:     by_value
      - .actual_access:  read_only
        .address_space:  global
        .offset:         56
        .size:           8
        .value_kind:     global_buffer
      - .actual_access:  read_only
        .address_space:  global
        .offset:         64
        .size:           8
        .value_kind:     global_buffer
      - .offset:         72
        .size:           4
        .value_kind:     by_value
      - .actual_access:  read_only
        .address_space:  global
        .offset:         80
        .size:           8
        .value_kind:     global_buffer
      - .offset:         88
        .size:           4
        .value_kind:     by_value
      - .offset:         92
        .size:           4
        .value_kind:     by_value
      - .offset:         96
        .size:           4
        .value_kind:     by_value
      - .address_space:  global
        .offset:         104
        .size:           8
        .value_kind:     global_buffer
      - .address_space:  global
        .offset:         112
        .size:           8
        .value_kind:     global_buffer
      - .offset:         120
        .size:           4
        .value_kind:     by_value
      - .offset:         124
        .size:           4
        .value_kind:     by_value
      - .offset:         128
        .size:           4
        .value_kind:     by_value
      - .offset:         132
        .size:           4
        .value_kind:     by_value
      - .offset:         136
        .size:           4
        .value_kind:     by_value
      - .offset:         144
        .size:           4
        .value_kind:     hidden_block_count_x
      - .offset:         148
        .size:           4
        .value_kind:     hidden_block_count_y
      - .offset:         152
        .size:           4
        .value_kind:     hidden_block_count_z
      - .offset:         156
        .size:           2
        .value_kind:     hidden_group_size_x
      - .offset:         158
        .size:           2
        .value_kind:     hidden_group_size_y
      - .offset:         160
        .size:           2
        .value_kind:     hidden_group_size_z
      - .offset:         162
        .size:           2
        .value_kind:     hidden_remainder_x
      - .offset:         164
        .size:           2
        .value_kind:     hidden_remainder_y
      - .offset:         166
        .size:           2
        .value_kind:     hidden_remainder_z
      - .offset:         184
        .size:           8
        .value_kind:     hidden_global_offset_x
      - .offset:         192
        .size:           8
        .value_kind:     hidden_global_offset_y
      - .offset:         200
        .size:           8
        .value_kind:     hidden_global_offset_z
      - .offset:         208
        .size:           2
        .value_kind:     hidden_grid_dims
      - .offset:         264
        .size:           4
        .value_kind:     hidden_dynamic_lds_size
    .group_segment_fixed_size: 1056
    .kernarg_segment_align: 8
    .kernarg_segment_size: 400
    .language:       OpenCL C
    .language_version:
      - 2
      - 0
    .max_flat_workgroup_size: 1024
    .name:           _ZN4vllm25paged_attention_v2_kernelIffLi256ELi32ELi128ELNS_18Fp8KVCacheDataTypeE0ELb0ELi512EEEvPfS2_PT_PKS3_PKT0_S9_ifPKiSB_iPKfiiiSD_SD_iiiii
    .private_segment_fixed_size: 656
    .sgpr_count:     34
    .sgpr_spill_count: 0
    .symbol:         _ZN4vllm25paged_attention_v2_kernelIffLi256ELi32ELi128ELNS_18Fp8KVCacheDataTypeE0ELb0ELi512EEEvPfS2_PT_PKS3_PKT0_S9_ifPKiSB_iPKfiiiSD_SD_iiiii.kd
    .uniform_work_group_size: 1
    .uses_dynamic_stack: false
    .vgpr_count:     192
    .vgpr_spill_count: 309
    .wavefront_size: 32
    .workgroup_processor_mode: 1
  - .args:
      - .actual_access:  write_only
        .address_space:  global
        .offset:         0
        .size:           8
        .value_kind:     global_buffer
      - .actual_access:  write_only
        .address_space:  global
        .offset:         8
        .size:           8
        .value_kind:     global_buffer
      - .actual_access:  write_only
        .address_space:  global
        .offset:         16
        .size:           8
        .value_kind:     global_buffer
      - .actual_access:  read_only
        .address_space:  global
        .offset:         24
        .size:           8
        .value_kind:     global_buffer
      - .actual_access:  read_only
        .address_space:  global
        .offset:         32
        .size:           8
        .value_kind:     global_buffer
      - .actual_access:  read_only
        .address_space:  global
        .offset:         40
        .size:           8
        .value_kind:     global_buffer
      - .offset:         48
        .size:           4
        .value_kind:     by_value
      - .offset:         52
        .size:           4
        .value_kind:     by_value
      - .actual_access:  read_only
        .address_space:  global
        .offset:         56
        .size:           8
        .value_kind:     global_buffer
      - .actual_access:  read_only
        .address_space:  global
        .offset:         64
        .size:           8
        .value_kind:     global_buffer
      - .offset:         72
        .size:           4
        .value_kind:     by_value
      - .actual_access:  read_only
        .address_space:  global
        .offset:         80
        .size:           8
        .value_kind:     global_buffer
      - .offset:         88
        .size:           4
        .value_kind:     by_value
      - .offset:         92
        .size:           4
        .value_kind:     by_value
      - .offset:         96
        .size:           4
        .value_kind:     by_value
      - .address_space:  global
        .offset:         104
        .size:           8
        .value_kind:     global_buffer
      - .address_space:  global
        .offset:         112
        .size:           8
        .value_kind:     global_buffer
      - .offset:         120
        .size:           4
        .value_kind:     by_value
      - .offset:         124
        .size:           4
        .value_kind:     by_value
      - .offset:         128
        .size:           4
        .value_kind:     by_value
      - .offset:         132
        .size:           4
        .value_kind:     by_value
      - .offset:         136
        .size:           4
        .value_kind:     by_value
      - .offset:         144
        .size:           4
        .value_kind:     hidden_block_count_x
      - .offset:         148
        .size:           4
        .value_kind:     hidden_block_count_y
      - .offset:         152
        .size:           4
        .value_kind:     hidden_block_count_z
      - .offset:         156
        .size:           2
        .value_kind:     hidden_group_size_x
      - .offset:         158
        .size:           2
        .value_kind:     hidden_group_size_y
      - .offset:         160
        .size:           2
        .value_kind:     hidden_group_size_z
      - .offset:         162
        .size:           2
        .value_kind:     hidden_remainder_x
      - .offset:         164
        .size:           2
        .value_kind:     hidden_remainder_y
      - .offset:         166
        .size:           2
        .value_kind:     hidden_remainder_z
      - .offset:         184
        .size:           8
        .value_kind:     hidden_global_offset_x
      - .offset:         192
        .size:           8
        .value_kind:     hidden_global_offset_y
      - .offset:         200
        .size:           8
        .value_kind:     hidden_global_offset_z
      - .offset:         208
        .size:           2
        .value_kind:     hidden_grid_dims
      - .offset:         264
        .size:           4
        .value_kind:     hidden_dynamic_lds_size
    .group_segment_fixed_size: 96
    .kernarg_segment_align: 8
    .kernarg_segment_size: 400
    .language:       OpenCL C
    .language_version:
      - 2
      - 0
    .max_flat_workgroup_size: 1024
    .name:           _ZN4vllm25paged_attention_v2_kernelIttLi32ELi8ELi128ELNS_18Fp8KVCacheDataTypeE0ELb1ELi512EEEvPfS2_PT_PKS3_PKT0_S9_ifPKiSB_iPKfiiiSD_SD_iiiii
    .private_segment_fixed_size: 0
    .sgpr_count:     44
    .sgpr_spill_count: 0
    .symbol:         _ZN4vllm25paged_attention_v2_kernelIttLi32ELi8ELi128ELNS_18Fp8KVCacheDataTypeE0ELb1ELi512EEEvPfS2_PT_PKS3_PKT0_S9_ifPKiSB_iPKfiiiSD_SD_iiiii.kd
    .uniform_work_group_size: 1
    .uses_dynamic_stack: false
    .vgpr_count:     34
    .vgpr_spill_count: 0
    .wavefront_size: 32
    .workgroup_processor_mode: 1
  - .args:
      - .actual_access:  write_only
        .address_space:  global
        .offset:         0
        .size:           8
        .value_kind:     global_buffer
      - .actual_access:  read_only
        .address_space:  global
        .offset:         8
        .size:           8
        .value_kind:     global_buffer
      - .actual_access:  read_only
        .address_space:  global
        .offset:         16
        .size:           8
        .value_kind:     global_buffer
      - .actual_access:  read_only
        .address_space:  global
        .offset:         24
        .size:           8
        .value_kind:     global_buffer
      - .actual_access:  read_only
        .address_space:  global
        .offset:         32
        .size:           8
        .value_kind:     global_buffer
      - .offset:         40
        .size:           4
        .value_kind:     by_value
      - .offset:         48
        .size:           4
        .value_kind:     hidden_block_count_x
      - .offset:         52
        .size:           4
        .value_kind:     hidden_block_count_y
      - .offset:         56
        .size:           4
        .value_kind:     hidden_block_count_z
      - .offset:         60
        .size:           2
        .value_kind:     hidden_group_size_x
      - .offset:         62
        .size:           2
        .value_kind:     hidden_group_size_y
      - .offset:         64
        .size:           2
        .value_kind:     hidden_group_size_z
      - .offset:         66
        .size:           2
        .value_kind:     hidden_remainder_x
      - .offset:         68
        .size:           2
        .value_kind:     hidden_remainder_y
      - .offset:         70
        .size:           2
        .value_kind:     hidden_remainder_z
      - .offset:         88
        .size:           8
        .value_kind:     hidden_global_offset_x
      - .offset:         96
        .size:           8
        .value_kind:     hidden_global_offset_y
      - .offset:         104
        .size:           8
        .value_kind:     hidden_global_offset_z
      - .offset:         112
        .size:           2
        .value_kind:     hidden_grid_dims
      - .offset:         168
        .size:           4
        .value_kind:     hidden_dynamic_lds_size
    .group_segment_fixed_size: 32
    .kernarg_segment_align: 8
    .kernarg_segment_size: 304
    .language:       OpenCL C
    .language_version:
      - 2
      - 0
    .max_flat_workgroup_size: 1024
    .name:           _ZN4vllm32paged_attention_v2_reduce_kernelItLi32ELi128ELi512EEEvPT_PKfS4_PKS1_PKii
    .private_segment_fixed_size: 0
    .sgpr_count:     28
    .sgpr_spill_count: 0
    .symbol:         _ZN4vllm32paged_attention_v2_reduce_kernelItLi32ELi128ELi512EEEvPT_PKfS4_PKS1_PKii.kd
    .uniform_work_group_size: 1
    .uses_dynamic_stack: false
    .vgpr_count:     19
    .vgpr_spill_count: 0
    .wavefront_size: 32
    .workgroup_processor_mode: 1
  - .args:
      - .actual_access:  write_only
        .address_space:  global
        .offset:         0
        .size:           8
        .value_kind:     global_buffer
      - .actual_access:  write_only
        .address_space:  global
        .offset:         8
        .size:           8
        .value_kind:     global_buffer
      - .actual_access:  write_only
        .address_space:  global
        .offset:         16
        .size:           8
        .value_kind:     global_buffer
      - .actual_access:  read_only
        .address_space:  global
        .offset:         24
        .size:           8
        .value_kind:     global_buffer
      - .actual_access:  read_only
        .address_space:  global
        .offset:         32
        .size:           8
        .value_kind:     global_buffer
      - .actual_access:  read_only
        .address_space:  global
        .offset:         40
        .size:           8
        .value_kind:     global_buffer
      - .offset:         48
        .size:           4
        .value_kind:     by_value
      - .offset:         52
        .size:           4
        .value_kind:     by_value
      - .actual_access:  read_only
        .address_space:  global
        .offset:         56
        .size:           8
        .value_kind:     global_buffer
      - .actual_access:  read_only
        .address_space:  global
        .offset:         64
        .size:           8
        .value_kind:     global_buffer
      - .offset:         72
        .size:           4
        .value_kind:     by_value
      - .actual_access:  read_only
        .address_space:  global
        .offset:         80
        .size:           8
        .value_kind:     global_buffer
      - .offset:         88
        .size:           4
        .value_kind:     by_value
      - .offset:         92
        .size:           4
        .value_kind:     by_value
      - .offset:         96
        .size:           4
        .value_kind:     by_value
      - .address_space:  global
        .offset:         104
        .size:           8
        .value_kind:     global_buffer
      - .address_space:  global
        .offset:         112
        .size:           8
        .value_kind:     global_buffer
      - .offset:         120
        .size:           4
        .value_kind:     by_value
      - .offset:         124
        .size:           4
        .value_kind:     by_value
      - .offset:         128
        .size:           4
        .value_kind:     by_value
      - .offset:         132
        .size:           4
        .value_kind:     by_value
      - .offset:         136
        .size:           4
        .value_kind:     by_value
      - .offset:         144
        .size:           4
        .value_kind:     hidden_block_count_x
      - .offset:         148
        .size:           4
        .value_kind:     hidden_block_count_y
      - .offset:         152
        .size:           4
        .value_kind:     hidden_block_count_z
      - .offset:         156
        .size:           2
        .value_kind:     hidden_group_size_x
      - .offset:         158
        .size:           2
        .value_kind:     hidden_group_size_y
      - .offset:         160
        .size:           2
        .value_kind:     hidden_group_size_z
      - .offset:         162
        .size:           2
        .value_kind:     hidden_remainder_x
      - .offset:         164
        .size:           2
        .value_kind:     hidden_remainder_y
      - .offset:         166
        .size:           2
        .value_kind:     hidden_remainder_z
      - .offset:         184
        .size:           8
        .value_kind:     hidden_global_offset_x
      - .offset:         192
        .size:           8
        .value_kind:     hidden_global_offset_y
      - .offset:         200
        .size:           8
        .value_kind:     hidden_global_offset_z
      - .offset:         208
        .size:           2
        .value_kind:     hidden_grid_dims
      - .offset:         264
        .size:           4
        .value_kind:     hidden_dynamic_lds_size
    .group_segment_fixed_size: 160
    .kernarg_segment_align: 8
    .kernarg_segment_size: 400
    .language:       OpenCL C
    .language_version:
      - 2
      - 0
    .max_flat_workgroup_size: 1024
    .name:           _ZN4vllm25paged_attention_v2_kernelIttLi64ELi8ELi128ELNS_18Fp8KVCacheDataTypeE0ELb1ELi512EEEvPfS2_PT_PKS3_PKT0_S9_ifPKiSB_iPKfiiiSD_SD_iiiii
    .private_segment_fixed_size: 0
    .sgpr_count:     46
    .sgpr_spill_count: 0
    .symbol:         _ZN4vllm25paged_attention_v2_kernelIttLi64ELi8ELi128ELNS_18Fp8KVCacheDataTypeE0ELb1ELi512EEEvPfS2_PT_PKS3_PKT0_S9_ifPKiSB_iPKfiiiSD_SD_iiiii.kd
    .uniform_work_group_size: 1
    .uses_dynamic_stack: false
    .vgpr_count:     48
    .vgpr_spill_count: 0
    .wavefront_size: 32
    .workgroup_processor_mode: 1
  - .args:
      - .actual_access:  write_only
        .address_space:  global
        .offset:         0
        .size:           8
        .value_kind:     global_buffer
      - .actual_access:  read_only
        .address_space:  global
        .offset:         8
        .size:           8
        .value_kind:     global_buffer
      - .actual_access:  read_only
        .address_space:  global
        .offset:         16
        .size:           8
        .value_kind:     global_buffer
      - .actual_access:  read_only
        .address_space:  global
        .offset:         24
        .size:           8
        .value_kind:     global_buffer
      - .actual_access:  read_only
        .address_space:  global
        .offset:         32
        .size:           8
        .value_kind:     global_buffer
      - .offset:         40
        .size:           4
        .value_kind:     by_value
      - .offset:         48
        .size:           4
        .value_kind:     hidden_block_count_x
      - .offset:         52
        .size:           4
        .value_kind:     hidden_block_count_y
      - .offset:         56
        .size:           4
        .value_kind:     hidden_block_count_z
      - .offset:         60
        .size:           2
        .value_kind:     hidden_group_size_x
      - .offset:         62
        .size:           2
        .value_kind:     hidden_group_size_y
      - .offset:         64
        .size:           2
        .value_kind:     hidden_group_size_z
      - .offset:         66
        .size:           2
        .value_kind:     hidden_remainder_x
      - .offset:         68
        .size:           2
        .value_kind:     hidden_remainder_y
      - .offset:         70
        .size:           2
        .value_kind:     hidden_remainder_z
      - .offset:         88
        .size:           8
        .value_kind:     hidden_global_offset_x
      - .offset:         96
        .size:           8
        .value_kind:     hidden_global_offset_y
      - .offset:         104
        .size:           8
        .value_kind:     hidden_global_offset_z
      - .offset:         112
        .size:           2
        .value_kind:     hidden_grid_dims
      - .offset:         168
        .size:           4
        .value_kind:     hidden_dynamic_lds_size
    .group_segment_fixed_size: 32
    .kernarg_segment_align: 8
    .kernarg_segment_size: 304
    .language:       OpenCL C
    .language_version:
      - 2
      - 0
    .max_flat_workgroup_size: 1024
    .name:           _ZN4vllm32paged_attention_v2_reduce_kernelItLi64ELi128ELi512EEEvPT_PKfS4_PKS1_PKii
    .private_segment_fixed_size: 0
    .sgpr_count:     28
    .sgpr_spill_count: 0
    .symbol:         _ZN4vllm32paged_attention_v2_reduce_kernelItLi64ELi128ELi512EEEvPT_PKfS4_PKS1_PKii.kd
    .uniform_work_group_size: 1
    .uses_dynamic_stack: false
    .vgpr_count:     19
    .vgpr_spill_count: 0
    .wavefront_size: 32
    .workgroup_processor_mode: 1
  - .args:
      - .actual_access:  write_only
        .address_space:  global
        .offset:         0
        .size:           8
        .value_kind:     global_buffer
      - .actual_access:  write_only
        .address_space:  global
        .offset:         8
        .size:           8
        .value_kind:     global_buffer
      - .actual_access:  write_only
        .address_space:  global
        .offset:         16
        .size:           8
        .value_kind:     global_buffer
      - .actual_access:  read_only
        .address_space:  global
        .offset:         24
        .size:           8
        .value_kind:     global_buffer
      - .actual_access:  read_only
        .address_space:  global
        .offset:         32
        .size:           8
        .value_kind:     global_buffer
      - .actual_access:  read_only
        .address_space:  global
        .offset:         40
        .size:           8
        .value_kind:     global_buffer
      - .offset:         48
        .size:           4
        .value_kind:     by_value
      - .offset:         52
        .size:           4
        .value_kind:     by_value
      - .actual_access:  read_only
        .address_space:  global
        .offset:         56
        .size:           8
        .value_kind:     global_buffer
      - .actual_access:  read_only
        .address_space:  global
        .offset:         64
        .size:           8
        .value_kind:     global_buffer
      - .offset:         72
        .size:           4
        .value_kind:     by_value
      - .actual_access:  read_only
        .address_space:  global
        .offset:         80
        .size:           8
        .value_kind:     global_buffer
      - .offset:         88
        .size:           4
        .value_kind:     by_value
      - .offset:         92
        .size:           4
        .value_kind:     by_value
      - .offset:         96
        .size:           4
        .value_kind:     by_value
      - .address_space:  global
        .offset:         104
        .size:           8
        .value_kind:     global_buffer
      - .address_space:  global
        .offset:         112
        .size:           8
        .value_kind:     global_buffer
      - .offset:         120
        .size:           4
        .value_kind:     by_value
      - .offset:         124
        .size:           4
        .value_kind:     by_value
      - .offset:         128
        .size:           4
        .value_kind:     by_value
      - .offset:         132
        .size:           4
        .value_kind:     by_value
      - .offset:         136
        .size:           4
        .value_kind:     by_value
      - .offset:         144
        .size:           4
        .value_kind:     hidden_block_count_x
      - .offset:         148
        .size:           4
        .value_kind:     hidden_block_count_y
      - .offset:         152
        .size:           4
        .value_kind:     hidden_block_count_z
      - .offset:         156
        .size:           2
        .value_kind:     hidden_group_size_x
      - .offset:         158
        .size:           2
        .value_kind:     hidden_group_size_y
      - .offset:         160
        .size:           2
        .value_kind:     hidden_group_size_z
      - .offset:         162
        .size:           2
        .value_kind:     hidden_remainder_x
      - .offset:         164
        .size:           2
        .value_kind:     hidden_remainder_y
      - .offset:         166
        .size:           2
        .value_kind:     hidden_remainder_z
      - .offset:         184
        .size:           8
        .value_kind:     hidden_global_offset_x
      - .offset:         192
        .size:           8
        .value_kind:     hidden_global_offset_y
      - .offset:         200
        .size:           8
        .value_kind:     hidden_global_offset_z
      - .offset:         208
        .size:           2
        .value_kind:     hidden_grid_dims
      - .offset:         264
        .size:           4
        .value_kind:     hidden_dynamic_lds_size
    .group_segment_fixed_size: 192
    .kernarg_segment_align: 8
    .kernarg_segment_size: 400
    .language:       OpenCL C
    .language_version:
      - 2
      - 0
    .max_flat_workgroup_size: 1024
    .name:           _ZN4vllm25paged_attention_v2_kernelIttLi80ELi8ELi128ELNS_18Fp8KVCacheDataTypeE0ELb1ELi512EEEvPfS2_PT_PKS3_PKT0_S9_ifPKiSB_iPKfiiiSD_SD_iiiii
    .private_segment_fixed_size: 0
    .sgpr_count:     44
    .sgpr_spill_count: 0
    .symbol:         _ZN4vllm25paged_attention_v2_kernelIttLi80ELi8ELi128ELNS_18Fp8KVCacheDataTypeE0ELb1ELi512EEEvPfS2_PT_PKS3_PKT0_S9_ifPKiSB_iPKfiiiSD_SD_iiiii.kd
    .uniform_work_group_size: 1
    .uses_dynamic_stack: false
    .vgpr_count:     55
    .vgpr_spill_count: 0
    .wavefront_size: 32
    .workgroup_processor_mode: 1
  - .args:
      - .actual_access:  write_only
        .address_space:  global
        .offset:         0
        .size:           8
        .value_kind:     global_buffer
      - .actual_access:  read_only
        .address_space:  global
        .offset:         8
        .size:           8
        .value_kind:     global_buffer
      - .actual_access:  read_only
        .address_space:  global
        .offset:         16
        .size:           8
        .value_kind:     global_buffer
      - .actual_access:  read_only
        .address_space:  global
        .offset:         24
        .size:           8
        .value_kind:     global_buffer
      - .actual_access:  read_only
        .address_space:  global
        .offset:         32
        .size:           8
        .value_kind:     global_buffer
      - .offset:         40
        .size:           4
        .value_kind:     by_value
      - .offset:         48
        .size:           4
        .value_kind:     hidden_block_count_x
      - .offset:         52
        .size:           4
        .value_kind:     hidden_block_count_y
      - .offset:         56
        .size:           4
        .value_kind:     hidden_block_count_z
      - .offset:         60
        .size:           2
        .value_kind:     hidden_group_size_x
      - .offset:         62
        .size:           2
        .value_kind:     hidden_group_size_y
      - .offset:         64
        .size:           2
        .value_kind:     hidden_group_size_z
      - .offset:         66
        .size:           2
        .value_kind:     hidden_remainder_x
      - .offset:         68
        .size:           2
        .value_kind:     hidden_remainder_y
      - .offset:         70
        .size:           2
        .value_kind:     hidden_remainder_z
      - .offset:         88
        .size:           8
        .value_kind:     hidden_global_offset_x
      - .offset:         96
        .size:           8
        .value_kind:     hidden_global_offset_y
      - .offset:         104
        .size:           8
        .value_kind:     hidden_global_offset_z
      - .offset:         112
        .size:           2
        .value_kind:     hidden_grid_dims
      - .offset:         168
        .size:           4
        .value_kind:     hidden_dynamic_lds_size
    .group_segment_fixed_size: 32
    .kernarg_segment_align: 8
    .kernarg_segment_size: 304
    .language:       OpenCL C
    .language_version:
      - 2
      - 0
    .max_flat_workgroup_size: 1024
    .name:           _ZN4vllm32paged_attention_v2_reduce_kernelItLi80ELi128ELi512EEEvPT_PKfS4_PKS1_PKii
    .private_segment_fixed_size: 0
    .sgpr_count:     28
    .sgpr_spill_count: 0
    .symbol:         _ZN4vllm32paged_attention_v2_reduce_kernelItLi80ELi128ELi512EEEvPT_PKfS4_PKS1_PKii.kd
    .uniform_work_group_size: 1
    .uses_dynamic_stack: false
    .vgpr_count:     19
    .vgpr_spill_count: 0
    .wavefront_size: 32
    .workgroup_processor_mode: 1
  - .args:
      - .actual_access:  write_only
        .address_space:  global
        .offset:         0
        .size:           8
        .value_kind:     global_buffer
      - .actual_access:  write_only
        .address_space:  global
        .offset:         8
        .size:           8
        .value_kind:     global_buffer
      - .actual_access:  write_only
        .address_space:  global
        .offset:         16
        .size:           8
        .value_kind:     global_buffer
      - .actual_access:  read_only
        .address_space:  global
        .offset:         24
        .size:           8
        .value_kind:     global_buffer
      - .actual_access:  read_only
        .address_space:  global
        .offset:         32
        .size:           8
        .value_kind:     global_buffer
      - .actual_access:  read_only
        .address_space:  global
        .offset:         40
        .size:           8
        .value_kind:     global_buffer
      - .offset:         48
        .size:           4
        .value_kind:     by_value
      - .offset:         52
        .size:           4
        .value_kind:     by_value
      - .actual_access:  read_only
        .address_space:  global
        .offset:         56
        .size:           8
        .value_kind:     global_buffer
      - .actual_access:  read_only
        .address_space:  global
        .offset:         64
        .size:           8
        .value_kind:     global_buffer
      - .offset:         72
        .size:           4
        .value_kind:     by_value
      - .actual_access:  read_only
        .address_space:  global
        .offset:         80
        .size:           8
        .value_kind:     global_buffer
      - .offset:         88
        .size:           4
        .value_kind:     by_value
      - .offset:         92
        .size:           4
        .value_kind:     by_value
      - .offset:         96
        .size:           4
        .value_kind:     by_value
      - .address_space:  global
        .offset:         104
        .size:           8
        .value_kind:     global_buffer
      - .address_space:  global
        .offset:         112
        .size:           8
        .value_kind:     global_buffer
      - .offset:         120
        .size:           4
        .value_kind:     by_value
      - .offset:         124
        .size:           4
        .value_kind:     by_value
      - .offset:         128
        .size:           4
        .value_kind:     by_value
      - .offset:         132
        .size:           4
        .value_kind:     by_value
      - .offset:         136
        .size:           4
        .value_kind:     by_value
      - .offset:         144
        .size:           4
        .value_kind:     hidden_block_count_x
      - .offset:         148
        .size:           4
        .value_kind:     hidden_block_count_y
      - .offset:         152
        .size:           4
        .value_kind:     hidden_block_count_z
      - .offset:         156
        .size:           2
        .value_kind:     hidden_group_size_x
      - .offset:         158
        .size:           2
        .value_kind:     hidden_group_size_y
      - .offset:         160
        .size:           2
        .value_kind:     hidden_group_size_z
      - .offset:         162
        .size:           2
        .value_kind:     hidden_remainder_x
      - .offset:         164
        .size:           2
        .value_kind:     hidden_remainder_y
      - .offset:         166
        .size:           2
        .value_kind:     hidden_remainder_z
      - .offset:         184
        .size:           8
        .value_kind:     hidden_global_offset_x
      - .offset:         192
        .size:           8
        .value_kind:     hidden_global_offset_y
      - .offset:         200
        .size:           8
        .value_kind:     hidden_global_offset_z
      - .offset:         208
        .size:           2
        .value_kind:     hidden_grid_dims
      - .offset:         264
        .size:           4
        .value_kind:     hidden_dynamic_lds_size
    .group_segment_fixed_size: 224
    .kernarg_segment_align: 8
    .kernarg_segment_size: 400
    .language:       OpenCL C
    .language_version:
      - 2
      - 0
    .max_flat_workgroup_size: 1024
    .name:           _ZN4vllm25paged_attention_v2_kernelIttLi96ELi8ELi128ELNS_18Fp8KVCacheDataTypeE0ELb1ELi512EEEvPfS2_PT_PKS3_PKT0_S9_ifPKiSB_iPKfiiiSD_SD_iiiii
    .private_segment_fixed_size: 0
    .sgpr_count:     44
    .sgpr_spill_count: 0
    .symbol:         _ZN4vllm25paged_attention_v2_kernelIttLi96ELi8ELi128ELNS_18Fp8KVCacheDataTypeE0ELb1ELi512EEEvPfS2_PT_PKS3_PKT0_S9_ifPKiSB_iPKfiiiSD_SD_iiiii.kd
    .uniform_work_group_size: 1
    .uses_dynamic_stack: false
    .vgpr_count:     63
    .vgpr_spill_count: 0
    .wavefront_size: 32
    .workgroup_processor_mode: 1
  - .args:
      - .actual_access:  write_only
        .address_space:  global
        .offset:         0
        .size:           8
        .value_kind:     global_buffer
      - .actual_access:  read_only
        .address_space:  global
        .offset:         8
        .size:           8
        .value_kind:     global_buffer
      - .actual_access:  read_only
        .address_space:  global
        .offset:         16
        .size:           8
        .value_kind:     global_buffer
      - .actual_access:  read_only
        .address_space:  global
        .offset:         24
        .size:           8
        .value_kind:     global_buffer
      - .actual_access:  read_only
        .address_space:  global
        .offset:         32
        .size:           8
        .value_kind:     global_buffer
      - .offset:         40
        .size:           4
        .value_kind:     by_value
      - .offset:         48
        .size:           4
        .value_kind:     hidden_block_count_x
      - .offset:         52
        .size:           4
        .value_kind:     hidden_block_count_y
      - .offset:         56
        .size:           4
        .value_kind:     hidden_block_count_z
      - .offset:         60
        .size:           2
        .value_kind:     hidden_group_size_x
      - .offset:         62
        .size:           2
        .value_kind:     hidden_group_size_y
      - .offset:         64
        .size:           2
        .value_kind:     hidden_group_size_z
      - .offset:         66
        .size:           2
        .value_kind:     hidden_remainder_x
      - .offset:         68
        .size:           2
        .value_kind:     hidden_remainder_y
      - .offset:         70
        .size:           2
        .value_kind:     hidden_remainder_z
      - .offset:         88
        .size:           8
        .value_kind:     hidden_global_offset_x
      - .offset:         96
        .size:           8
        .value_kind:     hidden_global_offset_y
      - .offset:         104
        .size:           8
        .value_kind:     hidden_global_offset_z
      - .offset:         112
        .size:           2
        .value_kind:     hidden_grid_dims
      - .offset:         168
        .size:           4
        .value_kind:     hidden_dynamic_lds_size
    .group_segment_fixed_size: 32
    .kernarg_segment_align: 8
    .kernarg_segment_size: 304
    .language:       OpenCL C
    .language_version:
      - 2
      - 0
    .max_flat_workgroup_size: 1024
    .name:           _ZN4vllm32paged_attention_v2_reduce_kernelItLi96ELi128ELi512EEEvPT_PKfS4_PKS1_PKii
    .private_segment_fixed_size: 0
    .sgpr_count:     28
    .sgpr_spill_count: 0
    .symbol:         _ZN4vllm32paged_attention_v2_reduce_kernelItLi96ELi128ELi512EEEvPT_PKfS4_PKS1_PKii.kd
    .uniform_work_group_size: 1
    .uses_dynamic_stack: false
    .vgpr_count:     19
    .vgpr_spill_count: 0
    .wavefront_size: 32
    .workgroup_processor_mode: 1
  - .args:
      - .actual_access:  write_only
        .address_space:  global
        .offset:         0
        .size:           8
        .value_kind:     global_buffer
      - .actual_access:  write_only
        .address_space:  global
        .offset:         8
        .size:           8
        .value_kind:     global_buffer
      - .actual_access:  write_only
        .address_space:  global
        .offset:         16
        .size:           8
        .value_kind:     global_buffer
      - .actual_access:  read_only
        .address_space:  global
        .offset:         24
        .size:           8
        .value_kind:     global_buffer
      - .actual_access:  read_only
        .address_space:  global
        .offset:         32
        .size:           8
        .value_kind:     global_buffer
      - .actual_access:  read_only
        .address_space:  global
        .offset:         40
        .size:           8
        .value_kind:     global_buffer
      - .offset:         48
        .size:           4
        .value_kind:     by_value
      - .offset:         52
        .size:           4
        .value_kind:     by_value
      - .actual_access:  read_only
        .address_space:  global
        .offset:         56
        .size:           8
        .value_kind:     global_buffer
      - .actual_access:  read_only
        .address_space:  global
        .offset:         64
        .size:           8
        .value_kind:     global_buffer
      - .offset:         72
        .size:           4
        .value_kind:     by_value
      - .actual_access:  read_only
        .address_space:  global
        .offset:         80
        .size:           8
        .value_kind:     global_buffer
      - .offset:         88
        .size:           4
        .value_kind:     by_value
      - .offset:         92
        .size:           4
        .value_kind:     by_value
      - .offset:         96
        .size:           4
        .value_kind:     by_value
      - .address_space:  global
        .offset:         104
        .size:           8
        .value_kind:     global_buffer
      - .address_space:  global
        .offset:         112
        .size:           8
        .value_kind:     global_buffer
      - .offset:         120
        .size:           4
        .value_kind:     by_value
      - .offset:         124
        .size:           4
        .value_kind:     by_value
      - .offset:         128
        .size:           4
        .value_kind:     by_value
      - .offset:         132
        .size:           4
        .value_kind:     by_value
      - .offset:         136
        .size:           4
        .value_kind:     by_value
      - .offset:         144
        .size:           4
        .value_kind:     hidden_block_count_x
      - .offset:         148
        .size:           4
        .value_kind:     hidden_block_count_y
      - .offset:         152
        .size:           4
        .value_kind:     hidden_block_count_z
      - .offset:         156
        .size:           2
        .value_kind:     hidden_group_size_x
      - .offset:         158
        .size:           2
        .value_kind:     hidden_group_size_y
      - .offset:         160
        .size:           2
        .value_kind:     hidden_group_size_z
      - .offset:         162
        .size:           2
        .value_kind:     hidden_remainder_x
      - .offset:         164
        .size:           2
        .value_kind:     hidden_remainder_y
      - .offset:         166
        .size:           2
        .value_kind:     hidden_remainder_z
      - .offset:         184
        .size:           8
        .value_kind:     hidden_global_offset_x
      - .offset:         192
        .size:           8
        .value_kind:     hidden_global_offset_y
      - .offset:         200
        .size:           8
        .value_kind:     hidden_global_offset_z
      - .offset:         208
        .size:           2
        .value_kind:     hidden_grid_dims
      - .offset:         264
        .size:           4
        .value_kind:     hidden_dynamic_lds_size
    .group_segment_fixed_size: 256
    .kernarg_segment_align: 8
    .kernarg_segment_size: 400
    .language:       OpenCL C
    .language_version:
      - 2
      - 0
    .max_flat_workgroup_size: 1024
    .name:           _ZN4vllm25paged_attention_v2_kernelIttLi112ELi8ELi128ELNS_18Fp8KVCacheDataTypeE0ELb1ELi512EEEvPfS2_PT_PKS3_PKT0_S9_ifPKiSB_iPKfiiiSD_SD_iiiii
    .private_segment_fixed_size: 0
    .sgpr_count:     44
    .sgpr_spill_count: 0
    .symbol:         _ZN4vllm25paged_attention_v2_kernelIttLi112ELi8ELi128ELNS_18Fp8KVCacheDataTypeE0ELb1ELi512EEEvPfS2_PT_PKS3_PKT0_S9_ifPKiSB_iPKfiiiSD_SD_iiiii.kd
    .uniform_work_group_size: 1
    .uses_dynamic_stack: false
    .vgpr_count:     68
    .vgpr_spill_count: 0
    .wavefront_size: 32
    .workgroup_processor_mode: 1
  - .args:
      - .actual_access:  write_only
        .address_space:  global
        .offset:         0
        .size:           8
        .value_kind:     global_buffer
      - .actual_access:  read_only
        .address_space:  global
        .offset:         8
        .size:           8
        .value_kind:     global_buffer
      - .actual_access:  read_only
        .address_space:  global
        .offset:         16
        .size:           8
        .value_kind:     global_buffer
      - .actual_access:  read_only
        .address_space:  global
        .offset:         24
        .size:           8
        .value_kind:     global_buffer
      - .actual_access:  read_only
        .address_space:  global
        .offset:         32
        .size:           8
        .value_kind:     global_buffer
      - .offset:         40
        .size:           4
        .value_kind:     by_value
      - .offset:         48
        .size:           4
        .value_kind:     hidden_block_count_x
      - .offset:         52
        .size:           4
        .value_kind:     hidden_block_count_y
      - .offset:         56
        .size:           4
        .value_kind:     hidden_block_count_z
      - .offset:         60
        .size:           2
        .value_kind:     hidden_group_size_x
      - .offset:         62
        .size:           2
        .value_kind:     hidden_group_size_y
      - .offset:         64
        .size:           2
        .value_kind:     hidden_group_size_z
      - .offset:         66
        .size:           2
        .value_kind:     hidden_remainder_x
      - .offset:         68
        .size:           2
        .value_kind:     hidden_remainder_y
      - .offset:         70
        .size:           2
        .value_kind:     hidden_remainder_z
      - .offset:         88
        .size:           8
        .value_kind:     hidden_global_offset_x
      - .offset:         96
        .size:           8
        .value_kind:     hidden_global_offset_y
      - .offset:         104
        .size:           8
        .value_kind:     hidden_global_offset_z
      - .offset:         112
        .size:           2
        .value_kind:     hidden_grid_dims
      - .offset:         168
        .size:           4
        .value_kind:     hidden_dynamic_lds_size
    .group_segment_fixed_size: 32
    .kernarg_segment_align: 8
    .kernarg_segment_size: 304
    .language:       OpenCL C
    .language_version:
      - 2
      - 0
    .max_flat_workgroup_size: 1024
    .name:           _ZN4vllm32paged_attention_v2_reduce_kernelItLi112ELi128ELi512EEEvPT_PKfS4_PKS1_PKii
    .private_segment_fixed_size: 0
    .sgpr_count:     28
    .sgpr_spill_count: 0
    .symbol:         _ZN4vllm32paged_attention_v2_reduce_kernelItLi112ELi128ELi512EEEvPT_PKfS4_PKS1_PKii.kd
    .uniform_work_group_size: 1
    .uses_dynamic_stack: false
    .vgpr_count:     19
    .vgpr_spill_count: 0
    .wavefront_size: 32
    .workgroup_processor_mode: 1
  - .args:
      - .actual_access:  write_only
        .address_space:  global
        .offset:         0
        .size:           8
        .value_kind:     global_buffer
      - .actual_access:  write_only
        .address_space:  global
        .offset:         8
        .size:           8
        .value_kind:     global_buffer
      - .actual_access:  write_only
        .address_space:  global
        .offset:         16
        .size:           8
        .value_kind:     global_buffer
      - .actual_access:  read_only
        .address_space:  global
        .offset:         24
        .size:           8
        .value_kind:     global_buffer
      - .actual_access:  read_only
        .address_space:  global
        .offset:         32
        .size:           8
        .value_kind:     global_buffer
      - .actual_access:  read_only
        .address_space:  global
        .offset:         40
        .size:           8
        .value_kind:     global_buffer
      - .offset:         48
        .size:           4
        .value_kind:     by_value
      - .offset:         52
        .size:           4
        .value_kind:     by_value
      - .actual_access:  read_only
        .address_space:  global
        .offset:         56
        .size:           8
        .value_kind:     global_buffer
      - .actual_access:  read_only
        .address_space:  global
        .offset:         64
        .size:           8
        .value_kind:     global_buffer
      - .offset:         72
        .size:           4
        .value_kind:     by_value
      - .actual_access:  read_only
        .address_space:  global
        .offset:         80
        .size:           8
        .value_kind:     global_buffer
      - .offset:         88
        .size:           4
        .value_kind:     by_value
      - .offset:         92
        .size:           4
        .value_kind:     by_value
      - .offset:         96
        .size:           4
        .value_kind:     by_value
      - .address_space:  global
        .offset:         104
        .size:           8
        .value_kind:     global_buffer
      - .address_space:  global
        .offset:         112
        .size:           8
        .value_kind:     global_buffer
      - .offset:         120
        .size:           4
        .value_kind:     by_value
      - .offset:         124
        .size:           4
        .value_kind:     by_value
      - .offset:         128
        .size:           4
        .value_kind:     by_value
      - .offset:         132
        .size:           4
        .value_kind:     by_value
      - .offset:         136
        .size:           4
        .value_kind:     by_value
      - .offset:         144
        .size:           4
        .value_kind:     hidden_block_count_x
      - .offset:         148
        .size:           4
        .value_kind:     hidden_block_count_y
      - .offset:         152
        .size:           4
        .value_kind:     hidden_block_count_z
      - .offset:         156
        .size:           2
        .value_kind:     hidden_group_size_x
      - .offset:         158
        .size:           2
        .value_kind:     hidden_group_size_y
      - .offset:         160
        .size:           2
        .value_kind:     hidden_group_size_z
      - .offset:         162
        .size:           2
        .value_kind:     hidden_remainder_x
      - .offset:         164
        .size:           2
        .value_kind:     hidden_remainder_y
      - .offset:         166
        .size:           2
        .value_kind:     hidden_remainder_z
      - .offset:         184
        .size:           8
        .value_kind:     hidden_global_offset_x
      - .offset:         192
        .size:           8
        .value_kind:     hidden_global_offset_y
      - .offset:         200
        .size:           8
        .value_kind:     hidden_global_offset_z
      - .offset:         208
        .size:           2
        .value_kind:     hidden_grid_dims
      - .offset:         264
        .size:           4
        .value_kind:     hidden_dynamic_lds_size
    .group_segment_fixed_size: 272
    .kernarg_segment_align: 8
    .kernarg_segment_size: 400
    .language:       OpenCL C
    .language_version:
      - 2
      - 0
    .max_flat_workgroup_size: 1024
    .name:           _ZN4vllm25paged_attention_v2_kernelIttLi120ELi8ELi128ELNS_18Fp8KVCacheDataTypeE0ELb1ELi512EEEvPfS2_PT_PKS3_PKT0_S9_ifPKiSB_iPKfiiiSD_SD_iiiii
    .private_segment_fixed_size: 0
    .sgpr_count:     44
    .sgpr_spill_count: 0
    .symbol:         _ZN4vllm25paged_attention_v2_kernelIttLi120ELi8ELi128ELNS_18Fp8KVCacheDataTypeE0ELb1ELi512EEEvPfS2_PT_PKS3_PKT0_S9_ifPKiSB_iPKfiiiSD_SD_iiiii.kd
    .uniform_work_group_size: 1
    .uses_dynamic_stack: false
    .vgpr_count:     72
    .vgpr_spill_count: 0
    .wavefront_size: 32
    .workgroup_processor_mode: 1
  - .args:
      - .actual_access:  write_only
        .address_space:  global
        .offset:         0
        .size:           8
        .value_kind:     global_buffer
      - .actual_access:  read_only
        .address_space:  global
        .offset:         8
        .size:           8
        .value_kind:     global_buffer
      - .actual_access:  read_only
        .address_space:  global
        .offset:         16
        .size:           8
        .value_kind:     global_buffer
      - .actual_access:  read_only
        .address_space:  global
        .offset:         24
        .size:           8
        .value_kind:     global_buffer
      - .actual_access:  read_only
        .address_space:  global
        .offset:         32
        .size:           8
        .value_kind:     global_buffer
      - .offset:         40
        .size:           4
        .value_kind:     by_value
      - .offset:         48
        .size:           4
        .value_kind:     hidden_block_count_x
      - .offset:         52
        .size:           4
        .value_kind:     hidden_block_count_y
      - .offset:         56
        .size:           4
        .value_kind:     hidden_block_count_z
      - .offset:         60
        .size:           2
        .value_kind:     hidden_group_size_x
      - .offset:         62
        .size:           2
        .value_kind:     hidden_group_size_y
      - .offset:         64
        .size:           2
        .value_kind:     hidden_group_size_z
      - .offset:         66
        .size:           2
        .value_kind:     hidden_remainder_x
      - .offset:         68
        .size:           2
        .value_kind:     hidden_remainder_y
      - .offset:         70
        .size:           2
        .value_kind:     hidden_remainder_z
      - .offset:         88
        .size:           8
        .value_kind:     hidden_global_offset_x
      - .offset:         96
        .size:           8
        .value_kind:     hidden_global_offset_y
      - .offset:         104
        .size:           8
        .value_kind:     hidden_global_offset_z
      - .offset:         112
        .size:           2
        .value_kind:     hidden_grid_dims
      - .offset:         168
        .size:           4
        .value_kind:     hidden_dynamic_lds_size
    .group_segment_fixed_size: 32
    .kernarg_segment_align: 8
    .kernarg_segment_size: 304
    .language:       OpenCL C
    .language_version:
      - 2
      - 0
    .max_flat_workgroup_size: 1024
    .name:           _ZN4vllm32paged_attention_v2_reduce_kernelItLi120ELi128ELi512EEEvPT_PKfS4_PKS1_PKii
    .private_segment_fixed_size: 0
    .sgpr_count:     28
    .sgpr_spill_count: 0
    .symbol:         _ZN4vllm32paged_attention_v2_reduce_kernelItLi120ELi128ELi512EEEvPT_PKfS4_PKS1_PKii.kd
    .uniform_work_group_size: 1
    .uses_dynamic_stack: false
    .vgpr_count:     19
    .vgpr_spill_count: 0
    .wavefront_size: 32
    .workgroup_processor_mode: 1
  - .args:
      - .actual_access:  write_only
        .address_space:  global
        .offset:         0
        .size:           8
        .value_kind:     global_buffer
      - .actual_access:  write_only
        .address_space:  global
        .offset:         8
        .size:           8
        .value_kind:     global_buffer
      - .actual_access:  write_only
        .address_space:  global
        .offset:         16
        .size:           8
        .value_kind:     global_buffer
      - .actual_access:  read_only
        .address_space:  global
        .offset:         24
        .size:           8
        .value_kind:     global_buffer
      - .actual_access:  read_only
        .address_space:  global
        .offset:         32
        .size:           8
        .value_kind:     global_buffer
      - .actual_access:  read_only
        .address_space:  global
        .offset:         40
        .size:           8
        .value_kind:     global_buffer
      - .offset:         48
        .size:           4
        .value_kind:     by_value
      - .offset:         52
        .size:           4
        .value_kind:     by_value
      - .actual_access:  read_only
        .address_space:  global
        .offset:         56
        .size:           8
        .value_kind:     global_buffer
      - .actual_access:  read_only
        .address_space:  global
        .offset:         64
        .size:           8
        .value_kind:     global_buffer
      - .offset:         72
        .size:           4
        .value_kind:     by_value
      - .actual_access:  read_only
        .address_space:  global
        .offset:         80
        .size:           8
        .value_kind:     global_buffer
      - .offset:         88
        .size:           4
        .value_kind:     by_value
      - .offset:         92
        .size:           4
        .value_kind:     by_value
      - .offset:         96
        .size:           4
        .value_kind:     by_value
      - .address_space:  global
        .offset:         104
        .size:           8
        .value_kind:     global_buffer
      - .address_space:  global
        .offset:         112
        .size:           8
        .value_kind:     global_buffer
      - .offset:         120
        .size:           4
        .value_kind:     by_value
      - .offset:         124
        .size:           4
        .value_kind:     by_value
      - .offset:         128
        .size:           4
        .value_kind:     by_value
      - .offset:         132
        .size:           4
        .value_kind:     by_value
      - .offset:         136
        .size:           4
        .value_kind:     by_value
      - .offset:         144
        .size:           4
        .value_kind:     hidden_block_count_x
      - .offset:         148
        .size:           4
        .value_kind:     hidden_block_count_y
      - .offset:         152
        .size:           4
        .value_kind:     hidden_block_count_z
      - .offset:         156
        .size:           2
        .value_kind:     hidden_group_size_x
      - .offset:         158
        .size:           2
        .value_kind:     hidden_group_size_y
      - .offset:         160
        .size:           2
        .value_kind:     hidden_group_size_z
      - .offset:         162
        .size:           2
        .value_kind:     hidden_remainder_x
      - .offset:         164
        .size:           2
        .value_kind:     hidden_remainder_y
      - .offset:         166
        .size:           2
        .value_kind:     hidden_remainder_z
      - .offset:         184
        .size:           8
        .value_kind:     hidden_global_offset_x
      - .offset:         192
        .size:           8
        .value_kind:     hidden_global_offset_y
      - .offset:         200
        .size:           8
        .value_kind:     hidden_global_offset_z
      - .offset:         208
        .size:           2
        .value_kind:     hidden_grid_dims
      - .offset:         264
        .size:           4
        .value_kind:     hidden_dynamic_lds_size
    .group_segment_fixed_size: 288
    .kernarg_segment_align: 8
    .kernarg_segment_size: 400
    .language:       OpenCL C
    .language_version:
      - 2
      - 0
    .max_flat_workgroup_size: 1024
    .name:           _ZN4vllm25paged_attention_v2_kernelIttLi128ELi8ELi128ELNS_18Fp8KVCacheDataTypeE0ELb1ELi512EEEvPfS2_PT_PKS3_PKT0_S9_ifPKiSB_iPKfiiiSD_SD_iiiii
    .private_segment_fixed_size: 0
    .sgpr_count:     46
    .sgpr_spill_count: 0
    .symbol:         _ZN4vllm25paged_attention_v2_kernelIttLi128ELi8ELi128ELNS_18Fp8KVCacheDataTypeE0ELb1ELi512EEEvPfS2_PT_PKS3_PKT0_S9_ifPKiSB_iPKfiiiSD_SD_iiiii.kd
    .uniform_work_group_size: 1
    .uses_dynamic_stack: false
    .vgpr_count:     76
    .vgpr_spill_count: 0
    .wavefront_size: 32
    .workgroup_processor_mode: 1
  - .args:
      - .actual_access:  write_only
        .address_space:  global
        .offset:         0
        .size:           8
        .value_kind:     global_buffer
      - .actual_access:  read_only
        .address_space:  global
        .offset:         8
        .size:           8
        .value_kind:     global_buffer
      - .actual_access:  read_only
        .address_space:  global
        .offset:         16
        .size:           8
        .value_kind:     global_buffer
      - .actual_access:  read_only
        .address_space:  global
        .offset:         24
        .size:           8
        .value_kind:     global_buffer
      - .actual_access:  read_only
        .address_space:  global
        .offset:         32
        .size:           8
        .value_kind:     global_buffer
      - .offset:         40
        .size:           4
        .value_kind:     by_value
      - .offset:         48
        .size:           4
        .value_kind:     hidden_block_count_x
      - .offset:         52
        .size:           4
        .value_kind:     hidden_block_count_y
      - .offset:         56
        .size:           4
        .value_kind:     hidden_block_count_z
      - .offset:         60
        .size:           2
        .value_kind:     hidden_group_size_x
      - .offset:         62
        .size:           2
        .value_kind:     hidden_group_size_y
      - .offset:         64
        .size:           2
        .value_kind:     hidden_group_size_z
      - .offset:         66
        .size:           2
        .value_kind:     hidden_remainder_x
      - .offset:         68
        .size:           2
        .value_kind:     hidden_remainder_y
      - .offset:         70
        .size:           2
        .value_kind:     hidden_remainder_z
      - .offset:         88
        .size:           8
        .value_kind:     hidden_global_offset_x
      - .offset:         96
        .size:           8
        .value_kind:     hidden_global_offset_y
      - .offset:         104
        .size:           8
        .value_kind:     hidden_global_offset_z
      - .offset:         112
        .size:           2
        .value_kind:     hidden_grid_dims
      - .offset:         168
        .size:           4
        .value_kind:     hidden_dynamic_lds_size
    .group_segment_fixed_size: 32
    .kernarg_segment_align: 8
    .kernarg_segment_size: 304
    .language:       OpenCL C
    .language_version:
      - 2
      - 0
    .max_flat_workgroup_size: 1024
    .name:           _ZN4vllm32paged_attention_v2_reduce_kernelItLi128ELi128ELi512EEEvPT_PKfS4_PKS1_PKii
    .private_segment_fixed_size: 0
    .sgpr_count:     28
    .sgpr_spill_count: 0
    .symbol:         _ZN4vllm32paged_attention_v2_reduce_kernelItLi128ELi128ELi512EEEvPT_PKfS4_PKS1_PKii.kd
    .uniform_work_group_size: 1
    .uses_dynamic_stack: false
    .vgpr_count:     19
    .vgpr_spill_count: 0
    .wavefront_size: 32
    .workgroup_processor_mode: 1
  - .args:
      - .actual_access:  write_only
        .address_space:  global
        .offset:         0
        .size:           8
        .value_kind:     global_buffer
      - .actual_access:  write_only
        .address_space:  global
        .offset:         8
        .size:           8
        .value_kind:     global_buffer
      - .actual_access:  write_only
        .address_space:  global
        .offset:         16
        .size:           8
        .value_kind:     global_buffer
      - .actual_access:  read_only
        .address_space:  global
        .offset:         24
        .size:           8
        .value_kind:     global_buffer
      - .actual_access:  read_only
        .address_space:  global
        .offset:         32
        .size:           8
        .value_kind:     global_buffer
      - .actual_access:  read_only
        .address_space:  global
        .offset:         40
        .size:           8
        .value_kind:     global_buffer
      - .offset:         48
        .size:           4
        .value_kind:     by_value
      - .offset:         52
        .size:           4
        .value_kind:     by_value
      - .actual_access:  read_only
        .address_space:  global
        .offset:         56
        .size:           8
        .value_kind:     global_buffer
      - .actual_access:  read_only
        .address_space:  global
        .offset:         64
        .size:           8
        .value_kind:     global_buffer
      - .offset:         72
        .size:           4
        .value_kind:     by_value
      - .actual_access:  read_only
        .address_space:  global
        .offset:         80
        .size:           8
        .value_kind:     global_buffer
      - .offset:         88
        .size:           4
        .value_kind:     by_value
      - .offset:         92
        .size:           4
        .value_kind:     by_value
      - .offset:         96
        .size:           4
        .value_kind:     by_value
      - .address_space:  global
        .offset:         104
        .size:           8
        .value_kind:     global_buffer
      - .address_space:  global
        .offset:         112
        .size:           8
        .value_kind:     global_buffer
      - .offset:         120
        .size:           4
        .value_kind:     by_value
      - .offset:         124
        .size:           4
        .value_kind:     by_value
      - .offset:         128
        .size:           4
        .value_kind:     by_value
      - .offset:         132
        .size:           4
        .value_kind:     by_value
      - .offset:         136
        .size:           4
        .value_kind:     by_value
      - .offset:         144
        .size:           4
        .value_kind:     hidden_block_count_x
      - .offset:         148
        .size:           4
        .value_kind:     hidden_block_count_y
      - .offset:         152
        .size:           4
        .value_kind:     hidden_block_count_z
      - .offset:         156
        .size:           2
        .value_kind:     hidden_group_size_x
      - .offset:         158
        .size:           2
        .value_kind:     hidden_group_size_y
      - .offset:         160
        .size:           2
        .value_kind:     hidden_group_size_z
      - .offset:         162
        .size:           2
        .value_kind:     hidden_remainder_x
      - .offset:         164
        .size:           2
        .value_kind:     hidden_remainder_y
      - .offset:         166
        .size:           2
        .value_kind:     hidden_remainder_z
      - .offset:         184
        .size:           8
        .value_kind:     hidden_global_offset_x
      - .offset:         192
        .size:           8
        .value_kind:     hidden_global_offset_y
      - .offset:         200
        .size:           8
        .value_kind:     hidden_global_offset_z
      - .offset:         208
        .size:           2
        .value_kind:     hidden_grid_dims
      - .offset:         264
        .size:           4
        .value_kind:     hidden_dynamic_lds_size
    .group_segment_fixed_size: 416
    .kernarg_segment_align: 8
    .kernarg_segment_size: 400
    .language:       OpenCL C
    .language_version:
      - 2
      - 0
    .max_flat_workgroup_size: 1024
    .name:           _ZN4vllm25paged_attention_v2_kernelIttLi192ELi8ELi128ELNS_18Fp8KVCacheDataTypeE0ELb1ELi512EEEvPfS2_PT_PKS3_PKT0_S9_ifPKiSB_iPKfiiiSD_SD_iiiii
    .private_segment_fixed_size: 0
    .sgpr_count:     44
    .sgpr_spill_count: 0
    .symbol:         _ZN4vllm25paged_attention_v2_kernelIttLi192ELi8ELi128ELNS_18Fp8KVCacheDataTypeE0ELb1ELi512EEEvPfS2_PT_PKS3_PKT0_S9_ifPKiSB_iPKfiiiSD_SD_iiiii.kd
    .uniform_work_group_size: 1
    .uses_dynamic_stack: false
    .vgpr_count:     102
    .vgpr_spill_count: 0
    .wavefront_size: 32
    .workgroup_processor_mode: 1
  - .args:
      - .actual_access:  write_only
        .address_space:  global
        .offset:         0
        .size:           8
        .value_kind:     global_buffer
      - .actual_access:  read_only
        .address_space:  global
        .offset:         8
        .size:           8
        .value_kind:     global_buffer
      - .actual_access:  read_only
        .address_space:  global
        .offset:         16
        .size:           8
        .value_kind:     global_buffer
      - .actual_access:  read_only
        .address_space:  global
        .offset:         24
        .size:           8
        .value_kind:     global_buffer
      - .actual_access:  read_only
        .address_space:  global
        .offset:         32
        .size:           8
        .value_kind:     global_buffer
      - .offset:         40
        .size:           4
        .value_kind:     by_value
      - .offset:         48
        .size:           4
        .value_kind:     hidden_block_count_x
      - .offset:         52
        .size:           4
        .value_kind:     hidden_block_count_y
      - .offset:         56
        .size:           4
        .value_kind:     hidden_block_count_z
      - .offset:         60
        .size:           2
        .value_kind:     hidden_group_size_x
      - .offset:         62
        .size:           2
        .value_kind:     hidden_group_size_y
      - .offset:         64
        .size:           2
        .value_kind:     hidden_group_size_z
      - .offset:         66
        .size:           2
        .value_kind:     hidden_remainder_x
      - .offset:         68
        .size:           2
        .value_kind:     hidden_remainder_y
      - .offset:         70
        .size:           2
        .value_kind:     hidden_remainder_z
      - .offset:         88
        .size:           8
        .value_kind:     hidden_global_offset_x
      - .offset:         96
        .size:           8
        .value_kind:     hidden_global_offset_y
      - .offset:         104
        .size:           8
        .value_kind:     hidden_global_offset_z
      - .offset:         112
        .size:           2
        .value_kind:     hidden_grid_dims
      - .offset:         168
        .size:           4
        .value_kind:     hidden_dynamic_lds_size
    .group_segment_fixed_size: 32
    .kernarg_segment_align: 8
    .kernarg_segment_size: 304
    .language:       OpenCL C
    .language_version:
      - 2
      - 0
    .max_flat_workgroup_size: 1024
    .name:           _ZN4vllm32paged_attention_v2_reduce_kernelItLi192ELi128ELi512EEEvPT_PKfS4_PKS1_PKii
    .private_segment_fixed_size: 0
    .sgpr_count:     28
    .sgpr_spill_count: 0
    .symbol:         _ZN4vllm32paged_attention_v2_reduce_kernelItLi192ELi128ELi512EEEvPT_PKfS4_PKS1_PKii.kd
    .uniform_work_group_size: 1
    .uses_dynamic_stack: false
    .vgpr_count:     19
    .vgpr_spill_count: 0
    .wavefront_size: 32
    .workgroup_processor_mode: 1
  - .args:
      - .actual_access:  write_only
        .address_space:  global
        .offset:         0
        .size:           8
        .value_kind:     global_buffer
      - .actual_access:  write_only
        .address_space:  global
        .offset:         8
        .size:           8
        .value_kind:     global_buffer
      - .actual_access:  write_only
        .address_space:  global
        .offset:         16
        .size:           8
        .value_kind:     global_buffer
      - .actual_access:  read_only
        .address_space:  global
        .offset:         24
        .size:           8
        .value_kind:     global_buffer
      - .actual_access:  read_only
        .address_space:  global
        .offset:         32
        .size:           8
        .value_kind:     global_buffer
      - .actual_access:  read_only
        .address_space:  global
        .offset:         40
        .size:           8
        .value_kind:     global_buffer
      - .offset:         48
        .size:           4
        .value_kind:     by_value
      - .offset:         52
        .size:           4
        .value_kind:     by_value
      - .actual_access:  read_only
        .address_space:  global
        .offset:         56
        .size:           8
        .value_kind:     global_buffer
      - .actual_access:  read_only
        .address_space:  global
        .offset:         64
        .size:           8
        .value_kind:     global_buffer
      - .offset:         72
        .size:           4
        .value_kind:     by_value
      - .actual_access:  read_only
        .address_space:  global
        .offset:         80
        .size:           8
        .value_kind:     global_buffer
      - .offset:         88
        .size:           4
        .value_kind:     by_value
      - .offset:         92
        .size:           4
        .value_kind:     by_value
      - .offset:         96
        .size:           4
        .value_kind:     by_value
      - .address_space:  global
        .offset:         104
        .size:           8
        .value_kind:     global_buffer
      - .address_space:  global
        .offset:         112
        .size:           8
        .value_kind:     global_buffer
      - .offset:         120
        .size:           4
        .value_kind:     by_value
      - .offset:         124
        .size:           4
        .value_kind:     by_value
      - .offset:         128
        .size:           4
        .value_kind:     by_value
      - .offset:         132
        .size:           4
        .value_kind:     by_value
      - .offset:         136
        .size:           4
        .value_kind:     by_value
      - .offset:         144
        .size:           4
        .value_kind:     hidden_block_count_x
      - .offset:         148
        .size:           4
        .value_kind:     hidden_block_count_y
      - .offset:         152
        .size:           4
        .value_kind:     hidden_block_count_z
      - .offset:         156
        .size:           2
        .value_kind:     hidden_group_size_x
      - .offset:         158
        .size:           2
        .value_kind:     hidden_group_size_y
      - .offset:         160
        .size:           2
        .value_kind:     hidden_group_size_z
      - .offset:         162
        .size:           2
        .value_kind:     hidden_remainder_x
      - .offset:         164
        .size:           2
        .value_kind:     hidden_remainder_y
      - .offset:         166
        .size:           2
        .value_kind:     hidden_remainder_z
      - .offset:         184
        .size:           8
        .value_kind:     hidden_global_offset_x
      - .offset:         192
        .size:           8
        .value_kind:     hidden_global_offset_y
      - .offset:         200
        .size:           8
        .value_kind:     hidden_global_offset_z
      - .offset:         208
        .size:           2
        .value_kind:     hidden_grid_dims
      - .offset:         264
        .size:           4
        .value_kind:     hidden_dynamic_lds_size
    .group_segment_fixed_size: 544
    .kernarg_segment_align: 8
    .kernarg_segment_size: 400
    .language:       OpenCL C
    .language_version:
      - 2
      - 0
    .max_flat_workgroup_size: 1024
    .name:           _ZN4vllm25paged_attention_v2_kernelIttLi256ELi8ELi128ELNS_18Fp8KVCacheDataTypeE0ELb1ELi512EEEvPfS2_PT_PKS3_PKT0_S9_ifPKiSB_iPKfiiiSD_SD_iiiii
    .private_segment_fixed_size: 0
    .sgpr_count:     44
    .sgpr_spill_count: 0
    .symbol:         _ZN4vllm25paged_attention_v2_kernelIttLi256ELi8ELi128ELNS_18Fp8KVCacheDataTypeE0ELb1ELi512EEEvPfS2_PT_PKS3_PKT0_S9_ifPKiSB_iPKfiiiSD_SD_iiiii.kd
    .uniform_work_group_size: 1
    .uses_dynamic_stack: false
    .vgpr_count:     129
    .vgpr_spill_count: 0
    .wavefront_size: 32
    .workgroup_processor_mode: 1
  - .args:
      - .actual_access:  write_only
        .address_space:  global
        .offset:         0
        .size:           8
        .value_kind:     global_buffer
      - .actual_access:  read_only
        .address_space:  global
        .offset:         8
        .size:           8
        .value_kind:     global_buffer
      - .actual_access:  read_only
        .address_space:  global
        .offset:         16
        .size:           8
        .value_kind:     global_buffer
      - .actual_access:  read_only
        .address_space:  global
        .offset:         24
        .size:           8
        .value_kind:     global_buffer
      - .actual_access:  read_only
        .address_space:  global
        .offset:         32
        .size:           8
        .value_kind:     global_buffer
      - .offset:         40
        .size:           4
        .value_kind:     by_value
      - .offset:         48
        .size:           4
        .value_kind:     hidden_block_count_x
      - .offset:         52
        .size:           4
        .value_kind:     hidden_block_count_y
      - .offset:         56
        .size:           4
        .value_kind:     hidden_block_count_z
      - .offset:         60
        .size:           2
        .value_kind:     hidden_group_size_x
      - .offset:         62
        .size:           2
        .value_kind:     hidden_group_size_y
      - .offset:         64
        .size:           2
        .value_kind:     hidden_group_size_z
      - .offset:         66
        .size:           2
        .value_kind:     hidden_remainder_x
      - .offset:         68
        .size:           2
        .value_kind:     hidden_remainder_y
      - .offset:         70
        .size:           2
        .value_kind:     hidden_remainder_z
      - .offset:         88
        .size:           8
        .value_kind:     hidden_global_offset_x
      - .offset:         96
        .size:           8
        .value_kind:     hidden_global_offset_y
      - .offset:         104
        .size:           8
        .value_kind:     hidden_global_offset_z
      - .offset:         112
        .size:           2
        .value_kind:     hidden_grid_dims
      - .offset:         168
        .size:           4
        .value_kind:     hidden_dynamic_lds_size
    .group_segment_fixed_size: 32
    .kernarg_segment_align: 8
    .kernarg_segment_size: 304
    .language:       OpenCL C
    .language_version:
      - 2
      - 0
    .max_flat_workgroup_size: 1024
    .name:           _ZN4vllm32paged_attention_v2_reduce_kernelItLi256ELi128ELi512EEEvPT_PKfS4_PKS1_PKii
    .private_segment_fixed_size: 0
    .sgpr_count:     28
    .sgpr_spill_count: 0
    .symbol:         _ZN4vllm32paged_attention_v2_reduce_kernelItLi256ELi128ELi512EEEvPT_PKfS4_PKS1_PKii.kd
    .uniform_work_group_size: 1
    .uses_dynamic_stack: false
    .vgpr_count:     19
    .vgpr_spill_count: 0
    .wavefront_size: 32
    .workgroup_processor_mode: 1
  - .args:
      - .actual_access:  write_only
        .address_space:  global
        .offset:         0
        .size:           8
        .value_kind:     global_buffer
      - .actual_access:  write_only
        .address_space:  global
        .offset:         8
        .size:           8
        .value_kind:     global_buffer
      - .actual_access:  write_only
        .address_space:  global
        .offset:         16
        .size:           8
        .value_kind:     global_buffer
      - .actual_access:  read_only
        .address_space:  global
        .offset:         24
        .size:           8
        .value_kind:     global_buffer
      - .actual_access:  read_only
        .address_space:  global
        .offset:         32
        .size:           8
        .value_kind:     global_buffer
      - .actual_access:  read_only
        .address_space:  global
        .offset:         40
        .size:           8
        .value_kind:     global_buffer
      - .offset:         48
        .size:           4
        .value_kind:     by_value
      - .offset:         52
        .size:           4
        .value_kind:     by_value
      - .actual_access:  read_only
        .address_space:  global
        .offset:         56
        .size:           8
        .value_kind:     global_buffer
      - .actual_access:  read_only
        .address_space:  global
        .offset:         64
        .size:           8
        .value_kind:     global_buffer
      - .offset:         72
        .size:           4
        .value_kind:     by_value
      - .actual_access:  read_only
        .address_space:  global
        .offset:         80
        .size:           8
        .value_kind:     global_buffer
      - .offset:         88
        .size:           4
        .value_kind:     by_value
      - .offset:         92
        .size:           4
        .value_kind:     by_value
      - .offset:         96
        .size:           4
        .value_kind:     by_value
      - .address_space:  global
        .offset:         104
        .size:           8
        .value_kind:     global_buffer
      - .address_space:  global
        .offset:         112
        .size:           8
        .value_kind:     global_buffer
      - .offset:         120
        .size:           4
        .value_kind:     by_value
      - .offset:         124
        .size:           4
        .value_kind:     by_value
      - .offset:         128
        .size:           4
        .value_kind:     by_value
      - .offset:         132
        .size:           4
        .value_kind:     by_value
      - .offset:         136
        .size:           4
        .value_kind:     by_value
      - .offset:         144
        .size:           4
        .value_kind:     hidden_block_count_x
      - .offset:         148
        .size:           4
        .value_kind:     hidden_block_count_y
      - .offset:         152
        .size:           4
        .value_kind:     hidden_block_count_z
      - .offset:         156
        .size:           2
        .value_kind:     hidden_group_size_x
      - .offset:         158
        .size:           2
        .value_kind:     hidden_group_size_y
      - .offset:         160
        .size:           2
        .value_kind:     hidden_group_size_z
      - .offset:         162
        .size:           2
        .value_kind:     hidden_remainder_x
      - .offset:         164
        .size:           2
        .value_kind:     hidden_remainder_y
      - .offset:         166
        .size:           2
        .value_kind:     hidden_remainder_z
      - .offset:         184
        .size:           8
        .value_kind:     hidden_global_offset_x
      - .offset:         192
        .size:           8
        .value_kind:     hidden_global_offset_y
      - .offset:         200
        .size:           8
        .value_kind:     hidden_global_offset_z
      - .offset:         208
        .size:           2
        .value_kind:     hidden_grid_dims
      - .offset:         264
        .size:           4
        .value_kind:     hidden_dynamic_lds_size
    .group_segment_fixed_size: 96
    .kernarg_segment_align: 8
    .kernarg_segment_size: 400
    .language:       OpenCL C
    .language_version:
      - 2
      - 0
    .max_flat_workgroup_size: 1024
    .name:           _ZN4vllm25paged_attention_v2_kernelIttLi32ELi8ELi128ELNS_18Fp8KVCacheDataTypeE0ELb0ELi512EEEvPfS2_PT_PKS3_PKT0_S9_ifPKiSB_iPKfiiiSD_SD_iiiii
    .private_segment_fixed_size: 0
    .sgpr_count:     38
    .sgpr_spill_count: 0
    .symbol:         _ZN4vllm25paged_attention_v2_kernelIttLi32ELi8ELi128ELNS_18Fp8KVCacheDataTypeE0ELb0ELi512EEEvPfS2_PT_PKS3_PKT0_S9_ifPKiSB_iPKfiiiSD_SD_iiiii.kd
    .uniform_work_group_size: 1
    .uses_dynamic_stack: false
    .vgpr_count:     33
    .vgpr_spill_count: 0
    .wavefront_size: 32
    .workgroup_processor_mode: 1
  - .args:
      - .actual_access:  write_only
        .address_space:  global
        .offset:         0
        .size:           8
        .value_kind:     global_buffer
      - .actual_access:  write_only
        .address_space:  global
        .offset:         8
        .size:           8
        .value_kind:     global_buffer
      - .actual_access:  write_only
        .address_space:  global
        .offset:         16
        .size:           8
        .value_kind:     global_buffer
      - .actual_access:  read_only
        .address_space:  global
        .offset:         24
        .size:           8
        .value_kind:     global_buffer
      - .actual_access:  read_only
        .address_space:  global
        .offset:         32
        .size:           8
        .value_kind:     global_buffer
      - .actual_access:  read_only
        .address_space:  global
        .offset:         40
        .size:           8
        .value_kind:     global_buffer
      - .offset:         48
        .size:           4
        .value_kind:     by_value
      - .offset:         52
        .size:           4
        .value_kind:     by_value
      - .actual_access:  read_only
        .address_space:  global
        .offset:         56
        .size:           8
        .value_kind:     global_buffer
      - .actual_access:  read_only
        .address_space:  global
        .offset:         64
        .size:           8
        .value_kind:     global_buffer
      - .offset:         72
        .size:           4
        .value_kind:     by_value
      - .actual_access:  read_only
        .address_space:  global
        .offset:         80
        .size:           8
        .value_kind:     global_buffer
      - .offset:         88
        .size:           4
        .value_kind:     by_value
      - .offset:         92
        .size:           4
        .value_kind:     by_value
      - .offset:         96
        .size:           4
        .value_kind:     by_value
      - .address_space:  global
        .offset:         104
        .size:           8
        .value_kind:     global_buffer
      - .address_space:  global
        .offset:         112
        .size:           8
        .value_kind:     global_buffer
      - .offset:         120
        .size:           4
        .value_kind:     by_value
      - .offset:         124
        .size:           4
        .value_kind:     by_value
      - .offset:         128
        .size:           4
        .value_kind:     by_value
      - .offset:         132
        .size:           4
        .value_kind:     by_value
      - .offset:         136
        .size:           4
        .value_kind:     by_value
      - .offset:         144
        .size:           4
        .value_kind:     hidden_block_count_x
      - .offset:         148
        .size:           4
        .value_kind:     hidden_block_count_y
      - .offset:         152
        .size:           4
        .value_kind:     hidden_block_count_z
      - .offset:         156
        .size:           2
        .value_kind:     hidden_group_size_x
      - .offset:         158
        .size:           2
        .value_kind:     hidden_group_size_y
      - .offset:         160
        .size:           2
        .value_kind:     hidden_group_size_z
      - .offset:         162
        .size:           2
        .value_kind:     hidden_remainder_x
      - .offset:         164
        .size:           2
        .value_kind:     hidden_remainder_y
      - .offset:         166
        .size:           2
        .value_kind:     hidden_remainder_z
      - .offset:         184
        .size:           8
        .value_kind:     hidden_global_offset_x
      - .offset:         192
        .size:           8
        .value_kind:     hidden_global_offset_y
      - .offset:         200
        .size:           8
        .value_kind:     hidden_global_offset_z
      - .offset:         208
        .size:           2
        .value_kind:     hidden_grid_dims
      - .offset:         264
        .size:           4
        .value_kind:     hidden_dynamic_lds_size
    .group_segment_fixed_size: 160
    .kernarg_segment_align: 8
    .kernarg_segment_size: 400
    .language:       OpenCL C
    .language_version:
      - 2
      - 0
    .max_flat_workgroup_size: 1024
    .name:           _ZN4vllm25paged_attention_v2_kernelIttLi64ELi8ELi128ELNS_18Fp8KVCacheDataTypeE0ELb0ELi512EEEvPfS2_PT_PKS3_PKT0_S9_ifPKiSB_iPKfiiiSD_SD_iiiii
    .private_segment_fixed_size: 0
    .sgpr_count:     40
    .sgpr_spill_count: 0
    .symbol:         _ZN4vllm25paged_attention_v2_kernelIttLi64ELi8ELi128ELNS_18Fp8KVCacheDataTypeE0ELb0ELi512EEEvPfS2_PT_PKS3_PKT0_S9_ifPKiSB_iPKfiiiSD_SD_iiiii.kd
    .uniform_work_group_size: 1
    .uses_dynamic_stack: false
    .vgpr_count:     47
    .vgpr_spill_count: 0
    .wavefront_size: 32
    .workgroup_processor_mode: 1
  - .args:
      - .actual_access:  write_only
        .address_space:  global
        .offset:         0
        .size:           8
        .value_kind:     global_buffer
      - .actual_access:  write_only
        .address_space:  global
        .offset:         8
        .size:           8
        .value_kind:     global_buffer
      - .actual_access:  write_only
        .address_space:  global
        .offset:         16
        .size:           8
        .value_kind:     global_buffer
      - .actual_access:  read_only
        .address_space:  global
        .offset:         24
        .size:           8
        .value_kind:     global_buffer
      - .actual_access:  read_only
        .address_space:  global
        .offset:         32
        .size:           8
        .value_kind:     global_buffer
      - .actual_access:  read_only
        .address_space:  global
        .offset:         40
        .size:           8
        .value_kind:     global_buffer
      - .offset:         48
        .size:           4
        .value_kind:     by_value
      - .offset:         52
        .size:           4
        .value_kind:     by_value
      - .actual_access:  read_only
        .address_space:  global
        .offset:         56
        .size:           8
        .value_kind:     global_buffer
      - .actual_access:  read_only
        .address_space:  global
        .offset:         64
        .size:           8
        .value_kind:     global_buffer
      - .offset:         72
        .size:           4
        .value_kind:     by_value
      - .actual_access:  read_only
        .address_space:  global
        .offset:         80
        .size:           8
        .value_kind:     global_buffer
      - .offset:         88
        .size:           4
        .value_kind:     by_value
      - .offset:         92
        .size:           4
        .value_kind:     by_value
      - .offset:         96
        .size:           4
        .value_kind:     by_value
      - .address_space:  global
        .offset:         104
        .size:           8
        .value_kind:     global_buffer
      - .address_space:  global
        .offset:         112
        .size:           8
        .value_kind:     global_buffer
      - .offset:         120
        .size:           4
        .value_kind:     by_value
      - .offset:         124
        .size:           4
        .value_kind:     by_value
      - .offset:         128
        .size:           4
        .value_kind:     by_value
      - .offset:         132
        .size:           4
        .value_kind:     by_value
      - .offset:         136
        .size:           4
        .value_kind:     by_value
      - .offset:         144
        .size:           4
        .value_kind:     hidden_block_count_x
      - .offset:         148
        .size:           4
        .value_kind:     hidden_block_count_y
      - .offset:         152
        .size:           4
        .value_kind:     hidden_block_count_z
      - .offset:         156
        .size:           2
        .value_kind:     hidden_group_size_x
      - .offset:         158
        .size:           2
        .value_kind:     hidden_group_size_y
      - .offset:         160
        .size:           2
        .value_kind:     hidden_group_size_z
      - .offset:         162
        .size:           2
        .value_kind:     hidden_remainder_x
      - .offset:         164
        .size:           2
        .value_kind:     hidden_remainder_y
      - .offset:         166
        .size:           2
        .value_kind:     hidden_remainder_z
      - .offset:         184
        .size:           8
        .value_kind:     hidden_global_offset_x
      - .offset:         192
        .size:           8
        .value_kind:     hidden_global_offset_y
      - .offset:         200
        .size:           8
        .value_kind:     hidden_global_offset_z
      - .offset:         208
        .size:           2
        .value_kind:     hidden_grid_dims
      - .offset:         264
        .size:           4
        .value_kind:     hidden_dynamic_lds_size
    .group_segment_fixed_size: 192
    .kernarg_segment_align: 8
    .kernarg_segment_size: 400
    .language:       OpenCL C
    .language_version:
      - 2
      - 0
    .max_flat_workgroup_size: 1024
    .name:           _ZN4vllm25paged_attention_v2_kernelIttLi80ELi8ELi128ELNS_18Fp8KVCacheDataTypeE0ELb0ELi512EEEvPfS2_PT_PKS3_PKT0_S9_ifPKiSB_iPKfiiiSD_SD_iiiii
    .private_segment_fixed_size: 0
    .sgpr_count:     34
    .sgpr_spill_count: 0
    .symbol:         _ZN4vllm25paged_attention_v2_kernelIttLi80ELi8ELi128ELNS_18Fp8KVCacheDataTypeE0ELb0ELi512EEEvPfS2_PT_PKS3_PKT0_S9_ifPKiSB_iPKfiiiSD_SD_iiiii.kd
    .uniform_work_group_size: 1
    .uses_dynamic_stack: false
    .vgpr_count:     54
    .vgpr_spill_count: 0
    .wavefront_size: 32
    .workgroup_processor_mode: 1
  - .args:
      - .actual_access:  write_only
        .address_space:  global
        .offset:         0
        .size:           8
        .value_kind:     global_buffer
      - .actual_access:  write_only
        .address_space:  global
        .offset:         8
        .size:           8
        .value_kind:     global_buffer
      - .actual_access:  write_only
        .address_space:  global
        .offset:         16
        .size:           8
        .value_kind:     global_buffer
      - .actual_access:  read_only
        .address_space:  global
        .offset:         24
        .size:           8
        .value_kind:     global_buffer
      - .actual_access:  read_only
        .address_space:  global
        .offset:         32
        .size:           8
        .value_kind:     global_buffer
      - .actual_access:  read_only
        .address_space:  global
        .offset:         40
        .size:           8
        .value_kind:     global_buffer
      - .offset:         48
        .size:           4
        .value_kind:     by_value
      - .offset:         52
        .size:           4
        .value_kind:     by_value
      - .actual_access:  read_only
        .address_space:  global
        .offset:         56
        .size:           8
        .value_kind:     global_buffer
      - .actual_access:  read_only
        .address_space:  global
        .offset:         64
        .size:           8
        .value_kind:     global_buffer
      - .offset:         72
        .size:           4
        .value_kind:     by_value
      - .actual_access:  read_only
        .address_space:  global
        .offset:         80
        .size:           8
        .value_kind:     global_buffer
      - .offset:         88
        .size:           4
        .value_kind:     by_value
      - .offset:         92
        .size:           4
        .value_kind:     by_value
      - .offset:         96
        .size:           4
        .value_kind:     by_value
      - .address_space:  global
        .offset:         104
        .size:           8
        .value_kind:     global_buffer
      - .address_space:  global
        .offset:         112
        .size:           8
        .value_kind:     global_buffer
      - .offset:         120
        .size:           4
        .value_kind:     by_value
      - .offset:         124
        .size:           4
        .value_kind:     by_value
      - .offset:         128
        .size:           4
        .value_kind:     by_value
      - .offset:         132
        .size:           4
        .value_kind:     by_value
      - .offset:         136
        .size:           4
        .value_kind:     by_value
      - .offset:         144
        .size:           4
        .value_kind:     hidden_block_count_x
      - .offset:         148
        .size:           4
        .value_kind:     hidden_block_count_y
      - .offset:         152
        .size:           4
        .value_kind:     hidden_block_count_z
      - .offset:         156
        .size:           2
        .value_kind:     hidden_group_size_x
      - .offset:         158
        .size:           2
        .value_kind:     hidden_group_size_y
      - .offset:         160
        .size:           2
        .value_kind:     hidden_group_size_z
      - .offset:         162
        .size:           2
        .value_kind:     hidden_remainder_x
      - .offset:         164
        .size:           2
        .value_kind:     hidden_remainder_y
      - .offset:         166
        .size:           2
        .value_kind:     hidden_remainder_z
      - .offset:         184
        .size:           8
        .value_kind:     hidden_global_offset_x
      - .offset:         192
        .size:           8
        .value_kind:     hidden_global_offset_y
      - .offset:         200
        .size:           8
        .value_kind:     hidden_global_offset_z
      - .offset:         208
        .size:           2
        .value_kind:     hidden_grid_dims
      - .offset:         264
        .size:           4
        .value_kind:     hidden_dynamic_lds_size
    .group_segment_fixed_size: 224
    .kernarg_segment_align: 8
    .kernarg_segment_size: 400
    .language:       OpenCL C
    .language_version:
      - 2
      - 0
    .max_flat_workgroup_size: 1024
    .name:           _ZN4vllm25paged_attention_v2_kernelIttLi96ELi8ELi128ELNS_18Fp8KVCacheDataTypeE0ELb0ELi512EEEvPfS2_PT_PKS3_PKT0_S9_ifPKiSB_iPKfiiiSD_SD_iiiii
    .private_segment_fixed_size: 0
    .sgpr_count:     34
    .sgpr_spill_count: 0
    .symbol:         _ZN4vllm25paged_attention_v2_kernelIttLi96ELi8ELi128ELNS_18Fp8KVCacheDataTypeE0ELb0ELi512EEEvPfS2_PT_PKS3_PKT0_S9_ifPKiSB_iPKfiiiSD_SD_iiiii.kd
    .uniform_work_group_size: 1
    .uses_dynamic_stack: false
    .vgpr_count:     62
    .vgpr_spill_count: 0
    .wavefront_size: 32
    .workgroup_processor_mode: 1
  - .args:
      - .actual_access:  write_only
        .address_space:  global
        .offset:         0
        .size:           8
        .value_kind:     global_buffer
      - .actual_access:  write_only
        .address_space:  global
        .offset:         8
        .size:           8
        .value_kind:     global_buffer
      - .actual_access:  write_only
        .address_space:  global
        .offset:         16
        .size:           8
        .value_kind:     global_buffer
      - .actual_access:  read_only
        .address_space:  global
        .offset:         24
        .size:           8
        .value_kind:     global_buffer
      - .actual_access:  read_only
        .address_space:  global
        .offset:         32
        .size:           8
        .value_kind:     global_buffer
      - .actual_access:  read_only
        .address_space:  global
        .offset:         40
        .size:           8
        .value_kind:     global_buffer
      - .offset:         48
        .size:           4
        .value_kind:     by_value
      - .offset:         52
        .size:           4
        .value_kind:     by_value
      - .actual_access:  read_only
        .address_space:  global
        .offset:         56
        .size:           8
        .value_kind:     global_buffer
      - .actual_access:  read_only
        .address_space:  global
        .offset:         64
        .size:           8
        .value_kind:     global_buffer
      - .offset:         72
        .size:           4
        .value_kind:     by_value
      - .actual_access:  read_only
        .address_space:  global
        .offset:         80
        .size:           8
        .value_kind:     global_buffer
      - .offset:         88
        .size:           4
        .value_kind:     by_value
      - .offset:         92
        .size:           4
        .value_kind:     by_value
      - .offset:         96
        .size:           4
        .value_kind:     by_value
      - .address_space:  global
        .offset:         104
        .size:           8
        .value_kind:     global_buffer
      - .address_space:  global
        .offset:         112
        .size:           8
        .value_kind:     global_buffer
      - .offset:         120
        .size:           4
        .value_kind:     by_value
      - .offset:         124
        .size:           4
        .value_kind:     by_value
      - .offset:         128
        .size:           4
        .value_kind:     by_value
      - .offset:         132
        .size:           4
        .value_kind:     by_value
      - .offset:         136
        .size:           4
        .value_kind:     by_value
      - .offset:         144
        .size:           4
        .value_kind:     hidden_block_count_x
      - .offset:         148
        .size:           4
        .value_kind:     hidden_block_count_y
      - .offset:         152
        .size:           4
        .value_kind:     hidden_block_count_z
      - .offset:         156
        .size:           2
        .value_kind:     hidden_group_size_x
      - .offset:         158
        .size:           2
        .value_kind:     hidden_group_size_y
      - .offset:         160
        .size:           2
        .value_kind:     hidden_group_size_z
      - .offset:         162
        .size:           2
        .value_kind:     hidden_remainder_x
      - .offset:         164
        .size:           2
        .value_kind:     hidden_remainder_y
      - .offset:         166
        .size:           2
        .value_kind:     hidden_remainder_z
      - .offset:         184
        .size:           8
        .value_kind:     hidden_global_offset_x
      - .offset:         192
        .size:           8
        .value_kind:     hidden_global_offset_y
      - .offset:         200
        .size:           8
        .value_kind:     hidden_global_offset_z
      - .offset:         208
        .size:           2
        .value_kind:     hidden_grid_dims
      - .offset:         264
        .size:           4
        .value_kind:     hidden_dynamic_lds_size
    .group_segment_fixed_size: 256
    .kernarg_segment_align: 8
    .kernarg_segment_size: 400
    .language:       OpenCL C
    .language_version:
      - 2
      - 0
    .max_flat_workgroup_size: 1024
    .name:           _ZN4vllm25paged_attention_v2_kernelIttLi112ELi8ELi128ELNS_18Fp8KVCacheDataTypeE0ELb0ELi512EEEvPfS2_PT_PKS3_PKT0_S9_ifPKiSB_iPKfiiiSD_SD_iiiii
    .private_segment_fixed_size: 0
    .sgpr_count:     34
    .sgpr_spill_count: 0
    .symbol:         _ZN4vllm25paged_attention_v2_kernelIttLi112ELi8ELi128ELNS_18Fp8KVCacheDataTypeE0ELb0ELi512EEEvPfS2_PT_PKS3_PKT0_S9_ifPKiSB_iPKfiiiSD_SD_iiiii.kd
    .uniform_work_group_size: 1
    .uses_dynamic_stack: false
    .vgpr_count:     67
    .vgpr_spill_count: 0
    .wavefront_size: 32
    .workgroup_processor_mode: 1
  - .args:
      - .actual_access:  write_only
        .address_space:  global
        .offset:         0
        .size:           8
        .value_kind:     global_buffer
      - .actual_access:  write_only
        .address_space:  global
        .offset:         8
        .size:           8
        .value_kind:     global_buffer
      - .actual_access:  write_only
        .address_space:  global
        .offset:         16
        .size:           8
        .value_kind:     global_buffer
      - .actual_access:  read_only
        .address_space:  global
        .offset:         24
        .size:           8
        .value_kind:     global_buffer
      - .actual_access:  read_only
        .address_space:  global
        .offset:         32
        .size:           8
        .value_kind:     global_buffer
      - .actual_access:  read_only
        .address_space:  global
        .offset:         40
        .size:           8
        .value_kind:     global_buffer
      - .offset:         48
        .size:           4
        .value_kind:     by_value
      - .offset:         52
        .size:           4
        .value_kind:     by_value
      - .actual_access:  read_only
        .address_space:  global
        .offset:         56
        .size:           8
        .value_kind:     global_buffer
      - .actual_access:  read_only
        .address_space:  global
        .offset:         64
        .size:           8
        .value_kind:     global_buffer
      - .offset:         72
        .size:           4
        .value_kind:     by_value
      - .actual_access:  read_only
        .address_space:  global
        .offset:         80
        .size:           8
        .value_kind:     global_buffer
      - .offset:         88
        .size:           4
        .value_kind:     by_value
      - .offset:         92
        .size:           4
        .value_kind:     by_value
      - .offset:         96
        .size:           4
        .value_kind:     by_value
      - .address_space:  global
        .offset:         104
        .size:           8
        .value_kind:     global_buffer
      - .address_space:  global
        .offset:         112
        .size:           8
        .value_kind:     global_buffer
      - .offset:         120
        .size:           4
        .value_kind:     by_value
      - .offset:         124
        .size:           4
        .value_kind:     by_value
      - .offset:         128
        .size:           4
        .value_kind:     by_value
      - .offset:         132
        .size:           4
        .value_kind:     by_value
      - .offset:         136
        .size:           4
        .value_kind:     by_value
      - .offset:         144
        .size:           4
        .value_kind:     hidden_block_count_x
      - .offset:         148
        .size:           4
        .value_kind:     hidden_block_count_y
      - .offset:         152
        .size:           4
        .value_kind:     hidden_block_count_z
      - .offset:         156
        .size:           2
        .value_kind:     hidden_group_size_x
      - .offset:         158
        .size:           2
        .value_kind:     hidden_group_size_y
      - .offset:         160
        .size:           2
        .value_kind:     hidden_group_size_z
      - .offset:         162
        .size:           2
        .value_kind:     hidden_remainder_x
      - .offset:         164
        .size:           2
        .value_kind:     hidden_remainder_y
      - .offset:         166
        .size:           2
        .value_kind:     hidden_remainder_z
      - .offset:         184
        .size:           8
        .value_kind:     hidden_global_offset_x
      - .offset:         192
        .size:           8
        .value_kind:     hidden_global_offset_y
      - .offset:         200
        .size:           8
        .value_kind:     hidden_global_offset_z
      - .offset:         208
        .size:           2
        .value_kind:     hidden_grid_dims
      - .offset:         264
        .size:           4
        .value_kind:     hidden_dynamic_lds_size
    .group_segment_fixed_size: 272
    .kernarg_segment_align: 8
    .kernarg_segment_size: 400
    .language:       OpenCL C
    .language_version:
      - 2
      - 0
    .max_flat_workgroup_size: 1024
    .name:           _ZN4vllm25paged_attention_v2_kernelIttLi120ELi8ELi128ELNS_18Fp8KVCacheDataTypeE0ELb0ELi512EEEvPfS2_PT_PKS3_PKT0_S9_ifPKiSB_iPKfiiiSD_SD_iiiii
    .private_segment_fixed_size: 0
    .sgpr_count:     34
    .sgpr_spill_count: 0
    .symbol:         _ZN4vllm25paged_attention_v2_kernelIttLi120ELi8ELi128ELNS_18Fp8KVCacheDataTypeE0ELb0ELi512EEEvPfS2_PT_PKS3_PKT0_S9_ifPKiSB_iPKfiiiSD_SD_iiiii.kd
    .uniform_work_group_size: 1
    .uses_dynamic_stack: false
    .vgpr_count:     71
    .vgpr_spill_count: 0
    .wavefront_size: 32
    .workgroup_processor_mode: 1
  - .args:
      - .actual_access:  write_only
        .address_space:  global
        .offset:         0
        .size:           8
        .value_kind:     global_buffer
      - .actual_access:  write_only
        .address_space:  global
        .offset:         8
        .size:           8
        .value_kind:     global_buffer
      - .actual_access:  write_only
        .address_space:  global
        .offset:         16
        .size:           8
        .value_kind:     global_buffer
      - .actual_access:  read_only
        .address_space:  global
        .offset:         24
        .size:           8
        .value_kind:     global_buffer
      - .actual_access:  read_only
        .address_space:  global
        .offset:         32
        .size:           8
        .value_kind:     global_buffer
      - .actual_access:  read_only
        .address_space:  global
        .offset:         40
        .size:           8
        .value_kind:     global_buffer
      - .offset:         48
        .size:           4
        .value_kind:     by_value
      - .offset:         52
        .size:           4
        .value_kind:     by_value
      - .actual_access:  read_only
        .address_space:  global
        .offset:         56
        .size:           8
        .value_kind:     global_buffer
      - .actual_access:  read_only
        .address_space:  global
        .offset:         64
        .size:           8
        .value_kind:     global_buffer
      - .offset:         72
        .size:           4
        .value_kind:     by_value
      - .actual_access:  read_only
        .address_space:  global
        .offset:         80
        .size:           8
        .value_kind:     global_buffer
      - .offset:         88
        .size:           4
        .value_kind:     by_value
      - .offset:         92
        .size:           4
        .value_kind:     by_value
      - .offset:         96
        .size:           4
        .value_kind:     by_value
      - .address_space:  global
        .offset:         104
        .size:           8
        .value_kind:     global_buffer
      - .address_space:  global
        .offset:         112
        .size:           8
        .value_kind:     global_buffer
      - .offset:         120
        .size:           4
        .value_kind:     by_value
      - .offset:         124
        .size:           4
        .value_kind:     by_value
      - .offset:         128
        .size:           4
        .value_kind:     by_value
      - .offset:         132
        .size:           4
        .value_kind:     by_value
      - .offset:         136
        .size:           4
        .value_kind:     by_value
      - .offset:         144
        .size:           4
        .value_kind:     hidden_block_count_x
      - .offset:         148
        .size:           4
        .value_kind:     hidden_block_count_y
      - .offset:         152
        .size:           4
        .value_kind:     hidden_block_count_z
      - .offset:         156
        .size:           2
        .value_kind:     hidden_group_size_x
      - .offset:         158
        .size:           2
        .value_kind:     hidden_group_size_y
      - .offset:         160
        .size:           2
        .value_kind:     hidden_group_size_z
      - .offset:         162
        .size:           2
        .value_kind:     hidden_remainder_x
      - .offset:         164
        .size:           2
        .value_kind:     hidden_remainder_y
      - .offset:         166
        .size:           2
        .value_kind:     hidden_remainder_z
      - .offset:         184
        .size:           8
        .value_kind:     hidden_global_offset_x
      - .offset:         192
        .size:           8
        .value_kind:     hidden_global_offset_y
      - .offset:         200
        .size:           8
        .value_kind:     hidden_global_offset_z
      - .offset:         208
        .size:           2
        .value_kind:     hidden_grid_dims
      - .offset:         264
        .size:           4
        .value_kind:     hidden_dynamic_lds_size
    .group_segment_fixed_size: 288
    .kernarg_segment_align: 8
    .kernarg_segment_size: 400
    .language:       OpenCL C
    .language_version:
      - 2
      - 0
    .max_flat_workgroup_size: 1024
    .name:           _ZN4vllm25paged_attention_v2_kernelIttLi128ELi8ELi128ELNS_18Fp8KVCacheDataTypeE0ELb0ELi512EEEvPfS2_PT_PKS3_PKT0_S9_ifPKiSB_iPKfiiiSD_SD_iiiii
    .private_segment_fixed_size: 0
    .sgpr_count:     40
    .sgpr_spill_count: 0
    .symbol:         _ZN4vllm25paged_attention_v2_kernelIttLi128ELi8ELi128ELNS_18Fp8KVCacheDataTypeE0ELb0ELi512EEEvPfS2_PT_PKS3_PKT0_S9_ifPKiSB_iPKfiiiSD_SD_iiiii.kd
    .uniform_work_group_size: 1
    .uses_dynamic_stack: false
    .vgpr_count:     75
    .vgpr_spill_count: 0
    .wavefront_size: 32
    .workgroup_processor_mode: 1
  - .args:
      - .actual_access:  write_only
        .address_space:  global
        .offset:         0
        .size:           8
        .value_kind:     global_buffer
      - .actual_access:  write_only
        .address_space:  global
        .offset:         8
        .size:           8
        .value_kind:     global_buffer
      - .actual_access:  write_only
        .address_space:  global
        .offset:         16
        .size:           8
        .value_kind:     global_buffer
      - .actual_access:  read_only
        .address_space:  global
        .offset:         24
        .size:           8
        .value_kind:     global_buffer
      - .actual_access:  read_only
        .address_space:  global
        .offset:         32
        .size:           8
        .value_kind:     global_buffer
      - .actual_access:  read_only
        .address_space:  global
        .offset:         40
        .size:           8
        .value_kind:     global_buffer
      - .offset:         48
        .size:           4
        .value_kind:     by_value
      - .offset:         52
        .size:           4
        .value_kind:     by_value
      - .actual_access:  read_only
        .address_space:  global
        .offset:         56
        .size:           8
        .value_kind:     global_buffer
      - .actual_access:  read_only
        .address_space:  global
        .offset:         64
        .size:           8
        .value_kind:     global_buffer
      - .offset:         72
        .size:           4
        .value_kind:     by_value
      - .actual_access:  read_only
        .address_space:  global
        .offset:         80
        .size:           8
        .value_kind:     global_buffer
      - .offset:         88
        .size:           4
        .value_kind:     by_value
      - .offset:         92
        .size:           4
        .value_kind:     by_value
      - .offset:         96
        .size:           4
        .value_kind:     by_value
      - .address_space:  global
        .offset:         104
        .size:           8
        .value_kind:     global_buffer
      - .address_space:  global
        .offset:         112
        .size:           8
        .value_kind:     global_buffer
      - .offset:         120
        .size:           4
        .value_kind:     by_value
      - .offset:         124
        .size:           4
        .value_kind:     by_value
      - .offset:         128
        .size:           4
        .value_kind:     by_value
      - .offset:         132
        .size:           4
        .value_kind:     by_value
      - .offset:         136
        .size:           4
        .value_kind:     by_value
      - .offset:         144
        .size:           4
        .value_kind:     hidden_block_count_x
      - .offset:         148
        .size:           4
        .value_kind:     hidden_block_count_y
      - .offset:         152
        .size:           4
        .value_kind:     hidden_block_count_z
      - .offset:         156
        .size:           2
        .value_kind:     hidden_group_size_x
      - .offset:         158
        .size:           2
        .value_kind:     hidden_group_size_y
      - .offset:         160
        .size:           2
        .value_kind:     hidden_group_size_z
      - .offset:         162
        .size:           2
        .value_kind:     hidden_remainder_x
      - .offset:         164
        .size:           2
        .value_kind:     hidden_remainder_y
      - .offset:         166
        .size:           2
        .value_kind:     hidden_remainder_z
      - .offset:         184
        .size:           8
        .value_kind:     hidden_global_offset_x
      - .offset:         192
        .size:           8
        .value_kind:     hidden_global_offset_y
      - .offset:         200
        .size:           8
        .value_kind:     hidden_global_offset_z
      - .offset:         208
        .size:           2
        .value_kind:     hidden_grid_dims
      - .offset:         264
        .size:           4
        .value_kind:     hidden_dynamic_lds_size
    .group_segment_fixed_size: 416
    .kernarg_segment_align: 8
    .kernarg_segment_size: 400
    .language:       OpenCL C
    .language_version:
      - 2
      - 0
    .max_flat_workgroup_size: 1024
    .name:           _ZN4vllm25paged_attention_v2_kernelIttLi192ELi8ELi128ELNS_18Fp8KVCacheDataTypeE0ELb0ELi512EEEvPfS2_PT_PKS3_PKT0_S9_ifPKiSB_iPKfiiiSD_SD_iiiii
    .private_segment_fixed_size: 0
    .sgpr_count:     34
    .sgpr_spill_count: 0
    .symbol:         _ZN4vllm25paged_attention_v2_kernelIttLi192ELi8ELi128ELNS_18Fp8KVCacheDataTypeE0ELb0ELi512EEEvPfS2_PT_PKS3_PKT0_S9_ifPKiSB_iPKfiiiSD_SD_iiiii.kd
    .uniform_work_group_size: 1
    .uses_dynamic_stack: false
    .vgpr_count:     101
    .vgpr_spill_count: 0
    .wavefront_size: 32
    .workgroup_processor_mode: 1
  - .args:
      - .actual_access:  write_only
        .address_space:  global
        .offset:         0
        .size:           8
        .value_kind:     global_buffer
      - .actual_access:  write_only
        .address_space:  global
        .offset:         8
        .size:           8
        .value_kind:     global_buffer
      - .actual_access:  write_only
        .address_space:  global
        .offset:         16
        .size:           8
        .value_kind:     global_buffer
      - .actual_access:  read_only
        .address_space:  global
        .offset:         24
        .size:           8
        .value_kind:     global_buffer
      - .actual_access:  read_only
        .address_space:  global
        .offset:         32
        .size:           8
        .value_kind:     global_buffer
      - .actual_access:  read_only
        .address_space:  global
        .offset:         40
        .size:           8
        .value_kind:     global_buffer
      - .offset:         48
        .size:           4
        .value_kind:     by_value
      - .offset:         52
        .size:           4
        .value_kind:     by_value
      - .actual_access:  read_only
        .address_space:  global
        .offset:         56
        .size:           8
        .value_kind:     global_buffer
      - .actual_access:  read_only
        .address_space:  global
        .offset:         64
        .size:           8
        .value_kind:     global_buffer
      - .offset:         72
        .size:           4
        .value_kind:     by_value
      - .actual_access:  read_only
        .address_space:  global
        .offset:         80
        .size:           8
        .value_kind:     global_buffer
      - .offset:         88
        .size:           4
        .value_kind:     by_value
      - .offset:         92
        .size:           4
        .value_kind:     by_value
      - .offset:         96
        .size:           4
        .value_kind:     by_value
      - .address_space:  global
        .offset:         104
        .size:           8
        .value_kind:     global_buffer
      - .address_space:  global
        .offset:         112
        .size:           8
        .value_kind:     global_buffer
      - .offset:         120
        .size:           4
        .value_kind:     by_value
      - .offset:         124
        .size:           4
        .value_kind:     by_value
      - .offset:         128
        .size:           4
        .value_kind:     by_value
      - .offset:         132
        .size:           4
        .value_kind:     by_value
      - .offset:         136
        .size:           4
        .value_kind:     by_value
      - .offset:         144
        .size:           4
        .value_kind:     hidden_block_count_x
      - .offset:         148
        .size:           4
        .value_kind:     hidden_block_count_y
      - .offset:         152
        .size:           4
        .value_kind:     hidden_block_count_z
      - .offset:         156
        .size:           2
        .value_kind:     hidden_group_size_x
      - .offset:         158
        .size:           2
        .value_kind:     hidden_group_size_y
      - .offset:         160
        .size:           2
        .value_kind:     hidden_group_size_z
      - .offset:         162
        .size:           2
        .value_kind:     hidden_remainder_x
      - .offset:         164
        .size:           2
        .value_kind:     hidden_remainder_y
      - .offset:         166
        .size:           2
        .value_kind:     hidden_remainder_z
      - .offset:         184
        .size:           8
        .value_kind:     hidden_global_offset_x
      - .offset:         192
        .size:           8
        .value_kind:     hidden_global_offset_y
      - .offset:         200
        .size:           8
        .value_kind:     hidden_global_offset_z
      - .offset:         208
        .size:           2
        .value_kind:     hidden_grid_dims
      - .offset:         264
        .size:           4
        .value_kind:     hidden_dynamic_lds_size
    .group_segment_fixed_size: 544
    .kernarg_segment_align: 8
    .kernarg_segment_size: 400
    .language:       OpenCL C
    .language_version:
      - 2
      - 0
    .max_flat_workgroup_size: 1024
    .name:           _ZN4vllm25paged_attention_v2_kernelIttLi256ELi8ELi128ELNS_18Fp8KVCacheDataTypeE0ELb0ELi512EEEvPfS2_PT_PKS3_PKT0_S9_ifPKiSB_iPKfiiiSD_SD_iiiii
    .private_segment_fixed_size: 0
    .sgpr_count:     34
    .sgpr_spill_count: 0
    .symbol:         _ZN4vllm25paged_attention_v2_kernelIttLi256ELi8ELi128ELNS_18Fp8KVCacheDataTypeE0ELb0ELi512EEEvPfS2_PT_PKS3_PKT0_S9_ifPKiSB_iPKfiiiSD_SD_iiiii.kd
    .uniform_work_group_size: 1
    .uses_dynamic_stack: false
    .vgpr_count:     128
    .vgpr_spill_count: 0
    .wavefront_size: 32
    .workgroup_processor_mode: 1
  - .args:
      - .actual_access:  write_only
        .address_space:  global
        .offset:         0
        .size:           8
        .value_kind:     global_buffer
      - .actual_access:  write_only
        .address_space:  global
        .offset:         8
        .size:           8
        .value_kind:     global_buffer
      - .actual_access:  write_only
        .address_space:  global
        .offset:         16
        .size:           8
        .value_kind:     global_buffer
      - .actual_access:  read_only
        .address_space:  global
        .offset:         24
        .size:           8
        .value_kind:     global_buffer
      - .actual_access:  read_only
        .address_space:  global
        .offset:         32
        .size:           8
        .value_kind:     global_buffer
      - .actual_access:  read_only
        .address_space:  global
        .offset:         40
        .size:           8
        .value_kind:     global_buffer
      - .offset:         48
        .size:           4
        .value_kind:     by_value
      - .offset:         52
        .size:           4
        .value_kind:     by_value
      - .actual_access:  read_only
        .address_space:  global
        .offset:         56
        .size:           8
        .value_kind:     global_buffer
      - .actual_access:  read_only
        .address_space:  global
        .offset:         64
        .size:           8
        .value_kind:     global_buffer
      - .offset:         72
        .size:           4
        .value_kind:     by_value
      - .actual_access:  read_only
        .address_space:  global
        .offset:         80
        .size:           8
        .value_kind:     global_buffer
      - .offset:         88
        .size:           4
        .value_kind:     by_value
      - .offset:         92
        .size:           4
        .value_kind:     by_value
      - .offset:         96
        .size:           4
        .value_kind:     by_value
      - .address_space:  global
        .offset:         104
        .size:           8
        .value_kind:     global_buffer
      - .address_space:  global
        .offset:         112
        .size:           8
        .value_kind:     global_buffer
      - .offset:         120
        .size:           4
        .value_kind:     by_value
      - .offset:         124
        .size:           4
        .value_kind:     by_value
      - .offset:         128
        .size:           4
        .value_kind:     by_value
      - .offset:         132
        .size:           4
        .value_kind:     by_value
      - .offset:         136
        .size:           4
        .value_kind:     by_value
      - .offset:         144
        .size:           4
        .value_kind:     hidden_block_count_x
      - .offset:         148
        .size:           4
        .value_kind:     hidden_block_count_y
      - .offset:         152
        .size:           4
        .value_kind:     hidden_block_count_z
      - .offset:         156
        .size:           2
        .value_kind:     hidden_group_size_x
      - .offset:         158
        .size:           2
        .value_kind:     hidden_group_size_y
      - .offset:         160
        .size:           2
        .value_kind:     hidden_group_size_z
      - .offset:         162
        .size:           2
        .value_kind:     hidden_remainder_x
      - .offset:         164
        .size:           2
        .value_kind:     hidden_remainder_y
      - .offset:         166
        .size:           2
        .value_kind:     hidden_remainder_z
      - .offset:         184
        .size:           8
        .value_kind:     hidden_global_offset_x
      - .offset:         192
        .size:           8
        .value_kind:     hidden_global_offset_y
      - .offset:         200
        .size:           8
        .value_kind:     hidden_global_offset_z
      - .offset:         208
        .size:           2
        .value_kind:     hidden_grid_dims
      - .offset:         264
        .size:           4
        .value_kind:     hidden_dynamic_lds_size
    .group_segment_fixed_size: 96
    .kernarg_segment_align: 8
    .kernarg_segment_size: 400
    .language:       OpenCL C
    .language_version:
      - 2
      - 0
    .max_flat_workgroup_size: 1024
    .name:           _ZN4vllm25paged_attention_v2_kernelIttLi32ELi16ELi128ELNS_18Fp8KVCacheDataTypeE0ELb1ELi512EEEvPfS2_PT_PKS3_PKT0_S9_ifPKiSB_iPKfiiiSD_SD_iiiii
    .private_segment_fixed_size: 0
    .sgpr_count:     44
    .sgpr_spill_count: 0
    .symbol:         _ZN4vllm25paged_attention_v2_kernelIttLi32ELi16ELi128ELNS_18Fp8KVCacheDataTypeE0ELb1ELi512EEEvPfS2_PT_PKS3_PKT0_S9_ifPKiSB_iPKfiiiSD_SD_iiiii.kd
    .uniform_work_group_size: 1
    .uses_dynamic_stack: false
    .vgpr_count:     52
    .vgpr_spill_count: 0
    .wavefront_size: 32
    .workgroup_processor_mode: 1
  - .args:
      - .actual_access:  write_only
        .address_space:  global
        .offset:         0
        .size:           8
        .value_kind:     global_buffer
      - .actual_access:  write_only
        .address_space:  global
        .offset:         8
        .size:           8
        .value_kind:     global_buffer
      - .actual_access:  write_only
        .address_space:  global
        .offset:         16
        .size:           8
        .value_kind:     global_buffer
      - .actual_access:  read_only
        .address_space:  global
        .offset:         24
        .size:           8
        .value_kind:     global_buffer
      - .actual_access:  read_only
        .address_space:  global
        .offset:         32
        .size:           8
        .value_kind:     global_buffer
      - .actual_access:  read_only
        .address_space:  global
        .offset:         40
        .size:           8
        .value_kind:     global_buffer
      - .offset:         48
        .size:           4
        .value_kind:     by_value
      - .offset:         52
        .size:           4
        .value_kind:     by_value
      - .actual_access:  read_only
        .address_space:  global
        .offset:         56
        .size:           8
        .value_kind:     global_buffer
      - .actual_access:  read_only
        .address_space:  global
        .offset:         64
        .size:           8
        .value_kind:     global_buffer
      - .offset:         72
        .size:           4
        .value_kind:     by_value
      - .actual_access:  read_only
        .address_space:  global
        .offset:         80
        .size:           8
        .value_kind:     global_buffer
      - .offset:         88
        .size:           4
        .value_kind:     by_value
      - .offset:         92
        .size:           4
        .value_kind:     by_value
      - .offset:         96
        .size:           4
        .value_kind:     by_value
      - .address_space:  global
        .offset:         104
        .size:           8
        .value_kind:     global_buffer
      - .address_space:  global
        .offset:         112
        .size:           8
        .value_kind:     global_buffer
      - .offset:         120
        .size:           4
        .value_kind:     by_value
      - .offset:         124
        .size:           4
        .value_kind:     by_value
      - .offset:         128
        .size:           4
        .value_kind:     by_value
      - .offset:         132
        .size:           4
        .value_kind:     by_value
      - .offset:         136
        .size:           4
        .value_kind:     by_value
      - .offset:         144
        .size:           4
        .value_kind:     hidden_block_count_x
      - .offset:         148
        .size:           4
        .value_kind:     hidden_block_count_y
      - .offset:         152
        .size:           4
        .value_kind:     hidden_block_count_z
      - .offset:         156
        .size:           2
        .value_kind:     hidden_group_size_x
      - .offset:         158
        .size:           2
        .value_kind:     hidden_group_size_y
      - .offset:         160
        .size:           2
        .value_kind:     hidden_group_size_z
      - .offset:         162
        .size:           2
        .value_kind:     hidden_remainder_x
      - .offset:         164
        .size:           2
        .value_kind:     hidden_remainder_y
      - .offset:         166
        .size:           2
        .value_kind:     hidden_remainder_z
      - .offset:         184
        .size:           8
        .value_kind:     hidden_global_offset_x
      - .offset:         192
        .size:           8
        .value_kind:     hidden_global_offset_y
      - .offset:         200
        .size:           8
        .value_kind:     hidden_global_offset_z
      - .offset:         208
        .size:           2
        .value_kind:     hidden_grid_dims
      - .offset:         264
        .size:           4
        .value_kind:     hidden_dynamic_lds_size
    .group_segment_fixed_size: 160
    .kernarg_segment_align: 8
    .kernarg_segment_size: 400
    .language:       OpenCL C
    .language_version:
      - 2
      - 0
    .max_flat_workgroup_size: 1024
    .name:           _ZN4vllm25paged_attention_v2_kernelIttLi64ELi16ELi128ELNS_18Fp8KVCacheDataTypeE0ELb1ELi512EEEvPfS2_PT_PKS3_PKT0_S9_ifPKiSB_iPKfiiiSD_SD_iiiii
    .private_segment_fixed_size: 0
    .sgpr_count:     44
    .sgpr_spill_count: 0
    .symbol:         _ZN4vllm25paged_attention_v2_kernelIttLi64ELi16ELi128ELNS_18Fp8KVCacheDataTypeE0ELb1ELi512EEEvPfS2_PT_PKS3_PKT0_S9_ifPKiSB_iPKfiiiSD_SD_iiiii.kd
    .uniform_work_group_size: 1
    .uses_dynamic_stack: false
    .vgpr_count:     79
    .vgpr_spill_count: 0
    .wavefront_size: 32
    .workgroup_processor_mode: 1
  - .args:
      - .actual_access:  write_only
        .address_space:  global
        .offset:         0
        .size:           8
        .value_kind:     global_buffer
      - .actual_access:  write_only
        .address_space:  global
        .offset:         8
        .size:           8
        .value_kind:     global_buffer
      - .actual_access:  write_only
        .address_space:  global
        .offset:         16
        .size:           8
        .value_kind:     global_buffer
      - .actual_access:  read_only
        .address_space:  global
        .offset:         24
        .size:           8
        .value_kind:     global_buffer
      - .actual_access:  read_only
        .address_space:  global
        .offset:         32
        .size:           8
        .value_kind:     global_buffer
      - .actual_access:  read_only
        .address_space:  global
        .offset:         40
        .size:           8
        .value_kind:     global_buffer
      - .offset:         48
        .size:           4
        .value_kind:     by_value
      - .offset:         52
        .size:           4
        .value_kind:     by_value
      - .actual_access:  read_only
        .address_space:  global
        .offset:         56
        .size:           8
        .value_kind:     global_buffer
      - .actual_access:  read_only
        .address_space:  global
        .offset:         64
        .size:           8
        .value_kind:     global_buffer
      - .offset:         72
        .size:           4
        .value_kind:     by_value
      - .actual_access:  read_only
        .address_space:  global
        .offset:         80
        .size:           8
        .value_kind:     global_buffer
      - .offset:         88
        .size:           4
        .value_kind:     by_value
      - .offset:         92
        .size:           4
        .value_kind:     by_value
      - .offset:         96
        .size:           4
        .value_kind:     by_value
      - .address_space:  global
        .offset:         104
        .size:           8
        .value_kind:     global_buffer
      - .address_space:  global
        .offset:         112
        .size:           8
        .value_kind:     global_buffer
      - .offset:         120
        .size:           4
        .value_kind:     by_value
      - .offset:         124
        .size:           4
        .value_kind:     by_value
      - .offset:         128
        .size:           4
        .value_kind:     by_value
      - .offset:         132
        .size:           4
        .value_kind:     by_value
      - .offset:         136
        .size:           4
        .value_kind:     by_value
      - .offset:         144
        .size:           4
        .value_kind:     hidden_block_count_x
      - .offset:         148
        .size:           4
        .value_kind:     hidden_block_count_y
      - .offset:         152
        .size:           4
        .value_kind:     hidden_block_count_z
      - .offset:         156
        .size:           2
        .value_kind:     hidden_group_size_x
      - .offset:         158
        .size:           2
        .value_kind:     hidden_group_size_y
      - .offset:         160
        .size:           2
        .value_kind:     hidden_group_size_z
      - .offset:         162
        .size:           2
        .value_kind:     hidden_remainder_x
      - .offset:         164
        .size:           2
        .value_kind:     hidden_remainder_y
      - .offset:         166
        .size:           2
        .value_kind:     hidden_remainder_z
      - .offset:         184
        .size:           8
        .value_kind:     hidden_global_offset_x
      - .offset:         192
        .size:           8
        .value_kind:     hidden_global_offset_y
      - .offset:         200
        .size:           8
        .value_kind:     hidden_global_offset_z
      - .offset:         208
        .size:           2
        .value_kind:     hidden_grid_dims
      - .offset:         264
        .size:           4
        .value_kind:     hidden_dynamic_lds_size
    .group_segment_fixed_size: 192
    .kernarg_segment_align: 8
    .kernarg_segment_size: 400
    .language:       OpenCL C
    .language_version:
      - 2
      - 0
    .max_flat_workgroup_size: 1024
    .name:           _ZN4vllm25paged_attention_v2_kernelIttLi80ELi16ELi128ELNS_18Fp8KVCacheDataTypeE0ELb1ELi512EEEvPfS2_PT_PKS3_PKT0_S9_ifPKiSB_iPKfiiiSD_SD_iiiii
    .private_segment_fixed_size: 0
    .sgpr_count:     44
    .sgpr_spill_count: 0
    .symbol:         _ZN4vllm25paged_attention_v2_kernelIttLi80ELi16ELi128ELNS_18Fp8KVCacheDataTypeE0ELb1ELi512EEEvPfS2_PT_PKS3_PKT0_S9_ifPKiSB_iPKfiiiSD_SD_iiiii.kd
    .uniform_work_group_size: 1
    .uses_dynamic_stack: false
    .vgpr_count:     93
    .vgpr_spill_count: 0
    .wavefront_size: 32
    .workgroup_processor_mode: 1
  - .args:
      - .actual_access:  write_only
        .address_space:  global
        .offset:         0
        .size:           8
        .value_kind:     global_buffer
      - .actual_access:  write_only
        .address_space:  global
        .offset:         8
        .size:           8
        .value_kind:     global_buffer
      - .actual_access:  write_only
        .address_space:  global
        .offset:         16
        .size:           8
        .value_kind:     global_buffer
      - .actual_access:  read_only
        .address_space:  global
        .offset:         24
        .size:           8
        .value_kind:     global_buffer
      - .actual_access:  read_only
        .address_space:  global
        .offset:         32
        .size:           8
        .value_kind:     global_buffer
      - .actual_access:  read_only
        .address_space:  global
        .offset:         40
        .size:           8
        .value_kind:     global_buffer
      - .offset:         48
        .size:           4
        .value_kind:     by_value
      - .offset:         52
        .size:           4
        .value_kind:     by_value
      - .actual_access:  read_only
        .address_space:  global
        .offset:         56
        .size:           8
        .value_kind:     global_buffer
      - .actual_access:  read_only
        .address_space:  global
        .offset:         64
        .size:           8
        .value_kind:     global_buffer
      - .offset:         72
        .size:           4
        .value_kind:     by_value
      - .actual_access:  read_only
        .address_space:  global
        .offset:         80
        .size:           8
        .value_kind:     global_buffer
      - .offset:         88
        .size:           4
        .value_kind:     by_value
      - .offset:         92
        .size:           4
        .value_kind:     by_value
      - .offset:         96
        .size:           4
        .value_kind:     by_value
      - .address_space:  global
        .offset:         104
        .size:           8
        .value_kind:     global_buffer
      - .address_space:  global
        .offset:         112
        .size:           8
        .value_kind:     global_buffer
      - .offset:         120
        .size:           4
        .value_kind:     by_value
      - .offset:         124
        .size:           4
        .value_kind:     by_value
      - .offset:         128
        .size:           4
        .value_kind:     by_value
      - .offset:         132
        .size:           4
        .value_kind:     by_value
      - .offset:         136
        .size:           4
        .value_kind:     by_value
      - .offset:         144
        .size:           4
        .value_kind:     hidden_block_count_x
      - .offset:         148
        .size:           4
        .value_kind:     hidden_block_count_y
      - .offset:         152
        .size:           4
        .value_kind:     hidden_block_count_z
      - .offset:         156
        .size:           2
        .value_kind:     hidden_group_size_x
      - .offset:         158
        .size:           2
        .value_kind:     hidden_group_size_y
      - .offset:         160
        .size:           2
        .value_kind:     hidden_group_size_z
      - .offset:         162
        .size:           2
        .value_kind:     hidden_remainder_x
      - .offset:         164
        .size:           2
        .value_kind:     hidden_remainder_y
      - .offset:         166
        .size:           2
        .value_kind:     hidden_remainder_z
      - .offset:         184
        .size:           8
        .value_kind:     hidden_global_offset_x
      - .offset:         192
        .size:           8
        .value_kind:     hidden_global_offset_y
      - .offset:         200
        .size:           8
        .value_kind:     hidden_global_offset_z
      - .offset:         208
        .size:           2
        .value_kind:     hidden_grid_dims
      - .offset:         264
        .size:           4
        .value_kind:     hidden_dynamic_lds_size
    .group_segment_fixed_size: 224
    .kernarg_segment_align: 8
    .kernarg_segment_size: 400
    .language:       OpenCL C
    .language_version:
      - 2
      - 0
    .max_flat_workgroup_size: 1024
    .name:           _ZN4vllm25paged_attention_v2_kernelIttLi96ELi16ELi128ELNS_18Fp8KVCacheDataTypeE0ELb1ELi512EEEvPfS2_PT_PKS3_PKT0_S9_ifPKiSB_iPKfiiiSD_SD_iiiii
    .private_segment_fixed_size: 0
    .sgpr_count:     44
    .sgpr_spill_count: 0
    .symbol:         _ZN4vllm25paged_attention_v2_kernelIttLi96ELi16ELi128ELNS_18Fp8KVCacheDataTypeE0ELb1ELi512EEEvPfS2_PT_PKS3_PKT0_S9_ifPKiSB_iPKfiiiSD_SD_iiiii.kd
    .uniform_work_group_size: 1
    .uses_dynamic_stack: false
    .vgpr_count:     105
    .vgpr_spill_count: 0
    .wavefront_size: 32
    .workgroup_processor_mode: 1
  - .args:
      - .actual_access:  write_only
        .address_space:  global
        .offset:         0
        .size:           8
        .value_kind:     global_buffer
      - .actual_access:  write_only
        .address_space:  global
        .offset:         8
        .size:           8
        .value_kind:     global_buffer
      - .actual_access:  write_only
        .address_space:  global
        .offset:         16
        .size:           8
        .value_kind:     global_buffer
      - .actual_access:  read_only
        .address_space:  global
        .offset:         24
        .size:           8
        .value_kind:     global_buffer
      - .actual_access:  read_only
        .address_space:  global
        .offset:         32
        .size:           8
        .value_kind:     global_buffer
      - .actual_access:  read_only
        .address_space:  global
        .offset:         40
        .size:           8
        .value_kind:     global_buffer
      - .offset:         48
        .size:           4
        .value_kind:     by_value
      - .offset:         52
        .size:           4
        .value_kind:     by_value
      - .actual_access:  read_only
        .address_space:  global
        .offset:         56
        .size:           8
        .value_kind:     global_buffer
      - .actual_access:  read_only
        .address_space:  global
        .offset:         64
        .size:           8
        .value_kind:     global_buffer
      - .offset:         72
        .size:           4
        .value_kind:     by_value
      - .actual_access:  read_only
        .address_space:  global
        .offset:         80
        .size:           8
        .value_kind:     global_buffer
      - .offset:         88
        .size:           4
        .value_kind:     by_value
      - .offset:         92
        .size:           4
        .value_kind:     by_value
      - .offset:         96
        .size:           4
        .value_kind:     by_value
      - .address_space:  global
        .offset:         104
        .size:           8
        .value_kind:     global_buffer
      - .address_space:  global
        .offset:         112
        .size:           8
        .value_kind:     global_buffer
      - .offset:         120
        .size:           4
        .value_kind:     by_value
      - .offset:         124
        .size:           4
        .value_kind:     by_value
      - .offset:         128
        .size:           4
        .value_kind:     by_value
      - .offset:         132
        .size:           4
        .value_kind:     by_value
      - .offset:         136
        .size:           4
        .value_kind:     by_value
      - .offset:         144
        .size:           4
        .value_kind:     hidden_block_count_x
      - .offset:         148
        .size:           4
        .value_kind:     hidden_block_count_y
      - .offset:         152
        .size:           4
        .value_kind:     hidden_block_count_z
      - .offset:         156
        .size:           2
        .value_kind:     hidden_group_size_x
      - .offset:         158
        .size:           2
        .value_kind:     hidden_group_size_y
      - .offset:         160
        .size:           2
        .value_kind:     hidden_group_size_z
      - .offset:         162
        .size:           2
        .value_kind:     hidden_remainder_x
      - .offset:         164
        .size:           2
        .value_kind:     hidden_remainder_y
      - .offset:         166
        .size:           2
        .value_kind:     hidden_remainder_z
      - .offset:         184
        .size:           8
        .value_kind:     hidden_global_offset_x
      - .offset:         192
        .size:           8
        .value_kind:     hidden_global_offset_y
      - .offset:         200
        .size:           8
        .value_kind:     hidden_global_offset_z
      - .offset:         208
        .size:           2
        .value_kind:     hidden_grid_dims
      - .offset:         264
        .size:           4
        .value_kind:     hidden_dynamic_lds_size
    .group_segment_fixed_size: 256
    .kernarg_segment_align: 8
    .kernarg_segment_size: 400
    .language:       OpenCL C
    .language_version:
      - 2
      - 0
    .max_flat_workgroup_size: 1024
    .name:           _ZN4vllm25paged_attention_v2_kernelIttLi112ELi16ELi128ELNS_18Fp8KVCacheDataTypeE0ELb1ELi512EEEvPfS2_PT_PKS3_PKT0_S9_ifPKiSB_iPKfiiiSD_SD_iiiii
    .private_segment_fixed_size: 0
    .sgpr_count:     44
    .sgpr_spill_count: 0
    .symbol:         _ZN4vllm25paged_attention_v2_kernelIttLi112ELi16ELi128ELNS_18Fp8KVCacheDataTypeE0ELb1ELi512EEEvPfS2_PT_PKS3_PKT0_S9_ifPKiSB_iPKfiiiSD_SD_iiiii.kd
    .uniform_work_group_size: 1
    .uses_dynamic_stack: false
    .vgpr_count:     120
    .vgpr_spill_count: 0
    .wavefront_size: 32
    .workgroup_processor_mode: 1
  - .args:
      - .actual_access:  write_only
        .address_space:  global
        .offset:         0
        .size:           8
        .value_kind:     global_buffer
      - .actual_access:  write_only
        .address_space:  global
        .offset:         8
        .size:           8
        .value_kind:     global_buffer
      - .actual_access:  write_only
        .address_space:  global
        .offset:         16
        .size:           8
        .value_kind:     global_buffer
      - .actual_access:  read_only
        .address_space:  global
        .offset:         24
        .size:           8
        .value_kind:     global_buffer
      - .actual_access:  read_only
        .address_space:  global
        .offset:         32
        .size:           8
        .value_kind:     global_buffer
      - .actual_access:  read_only
        .address_space:  global
        .offset:         40
        .size:           8
        .value_kind:     global_buffer
      - .offset:         48
        .size:           4
        .value_kind:     by_value
      - .offset:         52
        .size:           4
        .value_kind:     by_value
      - .actual_access:  read_only
        .address_space:  global
        .offset:         56
        .size:           8
        .value_kind:     global_buffer
      - .actual_access:  read_only
        .address_space:  global
        .offset:         64
        .size:           8
        .value_kind:     global_buffer
      - .offset:         72
        .size:           4
        .value_kind:     by_value
      - .actual_access:  read_only
        .address_space:  global
        .offset:         80
        .size:           8
        .value_kind:     global_buffer
      - .offset:         88
        .size:           4
        .value_kind:     by_value
      - .offset:         92
        .size:           4
        .value_kind:     by_value
      - .offset:         96
        .size:           4
        .value_kind:     by_value
      - .address_space:  global
        .offset:         104
        .size:           8
        .value_kind:     global_buffer
      - .address_space:  global
        .offset:         112
        .size:           8
        .value_kind:     global_buffer
      - .offset:         120
        .size:           4
        .value_kind:     by_value
      - .offset:         124
        .size:           4
        .value_kind:     by_value
      - .offset:         128
        .size:           4
        .value_kind:     by_value
      - .offset:         132
        .size:           4
        .value_kind:     by_value
      - .offset:         136
        .size:           4
        .value_kind:     by_value
      - .offset:         144
        .size:           4
        .value_kind:     hidden_block_count_x
      - .offset:         148
        .size:           4
        .value_kind:     hidden_block_count_y
      - .offset:         152
        .size:           4
        .value_kind:     hidden_block_count_z
      - .offset:         156
        .size:           2
        .value_kind:     hidden_group_size_x
      - .offset:         158
        .size:           2
        .value_kind:     hidden_group_size_y
      - .offset:         160
        .size:           2
        .value_kind:     hidden_group_size_z
      - .offset:         162
        .size:           2
        .value_kind:     hidden_remainder_x
      - .offset:         164
        .size:           2
        .value_kind:     hidden_remainder_y
      - .offset:         166
        .size:           2
        .value_kind:     hidden_remainder_z
      - .offset:         184
        .size:           8
        .value_kind:     hidden_global_offset_x
      - .offset:         192
        .size:           8
        .value_kind:     hidden_global_offset_y
      - .offset:         200
        .size:           8
        .value_kind:     hidden_global_offset_z
      - .offset:         208
        .size:           2
        .value_kind:     hidden_grid_dims
      - .offset:         264
        .size:           4
        .value_kind:     hidden_dynamic_lds_size
    .group_segment_fixed_size: 272
    .kernarg_segment_align: 8
    .kernarg_segment_size: 400
    .language:       OpenCL C
    .language_version:
      - 2
      - 0
    .max_flat_workgroup_size: 1024
    .name:           _ZN4vllm25paged_attention_v2_kernelIttLi120ELi16ELi128ELNS_18Fp8KVCacheDataTypeE0ELb1ELi512EEEvPfS2_PT_PKS3_PKT0_S9_ifPKiSB_iPKfiiiSD_SD_iiiii
    .private_segment_fixed_size: 0
    .sgpr_count:     44
    .sgpr_spill_count: 0
    .symbol:         _ZN4vllm25paged_attention_v2_kernelIttLi120ELi16ELi128ELNS_18Fp8KVCacheDataTypeE0ELb1ELi512EEEvPfS2_PT_PKS3_PKT0_S9_ifPKiSB_iPKfiiiSD_SD_iiiii.kd
    .uniform_work_group_size: 1
    .uses_dynamic_stack: false
    .vgpr_count:     124
    .vgpr_spill_count: 0
    .wavefront_size: 32
    .workgroup_processor_mode: 1
  - .args:
      - .actual_access:  write_only
        .address_space:  global
        .offset:         0
        .size:           8
        .value_kind:     global_buffer
      - .actual_access:  write_only
        .address_space:  global
        .offset:         8
        .size:           8
        .value_kind:     global_buffer
      - .actual_access:  write_only
        .address_space:  global
        .offset:         16
        .size:           8
        .value_kind:     global_buffer
      - .actual_access:  read_only
        .address_space:  global
        .offset:         24
        .size:           8
        .value_kind:     global_buffer
      - .actual_access:  read_only
        .address_space:  global
        .offset:         32
        .size:           8
        .value_kind:     global_buffer
      - .actual_access:  read_only
        .address_space:  global
        .offset:         40
        .size:           8
        .value_kind:     global_buffer
      - .offset:         48
        .size:           4
        .value_kind:     by_value
      - .offset:         52
        .size:           4
        .value_kind:     by_value
      - .actual_access:  read_only
        .address_space:  global
        .offset:         56
        .size:           8
        .value_kind:     global_buffer
      - .actual_access:  read_only
        .address_space:  global
        .offset:         64
        .size:           8
        .value_kind:     global_buffer
      - .offset:         72
        .size:           4
        .value_kind:     by_value
      - .actual_access:  read_only
        .address_space:  global
        .offset:         80
        .size:           8
        .value_kind:     global_buffer
      - .offset:         88
        .size:           4
        .value_kind:     by_value
      - .offset:         92
        .size:           4
        .value_kind:     by_value
      - .offset:         96
        .size:           4
        .value_kind:     by_value
      - .address_space:  global
        .offset:         104
        .size:           8
        .value_kind:     global_buffer
      - .address_space:  global
        .offset:         112
        .size:           8
        .value_kind:     global_buffer
      - .offset:         120
        .size:           4
        .value_kind:     by_value
      - .offset:         124
        .size:           4
        .value_kind:     by_value
      - .offset:         128
        .size:           4
        .value_kind:     by_value
      - .offset:         132
        .size:           4
        .value_kind:     by_value
      - .offset:         136
        .size:           4
        .value_kind:     by_value
      - .offset:         144
        .size:           4
        .value_kind:     hidden_block_count_x
      - .offset:         148
        .size:           4
        .value_kind:     hidden_block_count_y
      - .offset:         152
        .size:           4
        .value_kind:     hidden_block_count_z
      - .offset:         156
        .size:           2
        .value_kind:     hidden_group_size_x
      - .offset:         158
        .size:           2
        .value_kind:     hidden_group_size_y
      - .offset:         160
        .size:           2
        .value_kind:     hidden_group_size_z
      - .offset:         162
        .size:           2
        .value_kind:     hidden_remainder_x
      - .offset:         164
        .size:           2
        .value_kind:     hidden_remainder_y
      - .offset:         166
        .size:           2
        .value_kind:     hidden_remainder_z
      - .offset:         184
        .size:           8
        .value_kind:     hidden_global_offset_x
      - .offset:         192
        .size:           8
        .value_kind:     hidden_global_offset_y
      - .offset:         200
        .size:           8
        .value_kind:     hidden_global_offset_z
      - .offset:         208
        .size:           2
        .value_kind:     hidden_grid_dims
      - .offset:         264
        .size:           4
        .value_kind:     hidden_dynamic_lds_size
    .group_segment_fixed_size: 288
    .kernarg_segment_align: 8
    .kernarg_segment_size: 400
    .language:       OpenCL C
    .language_version:
      - 2
      - 0
    .max_flat_workgroup_size: 1024
    .name:           _ZN4vllm25paged_attention_v2_kernelIttLi128ELi16ELi128ELNS_18Fp8KVCacheDataTypeE0ELb1ELi512EEEvPfS2_PT_PKS3_PKT0_S9_ifPKiSB_iPKfiiiSD_SD_iiiii
    .private_segment_fixed_size: 0
    .sgpr_count:     46
    .sgpr_spill_count: 0
    .symbol:         _ZN4vllm25paged_attention_v2_kernelIttLi128ELi16ELi128ELNS_18Fp8KVCacheDataTypeE0ELb1ELi512EEEvPfS2_PT_PKS3_PKT0_S9_ifPKiSB_iPKfiiiSD_SD_iiiii.kd
    .uniform_work_group_size: 1
    .uses_dynamic_stack: false
    .vgpr_count:     131
    .vgpr_spill_count: 0
    .wavefront_size: 32
    .workgroup_processor_mode: 1
  - .args:
      - .actual_access:  write_only
        .address_space:  global
        .offset:         0
        .size:           8
        .value_kind:     global_buffer
      - .actual_access:  write_only
        .address_space:  global
        .offset:         8
        .size:           8
        .value_kind:     global_buffer
      - .actual_access:  write_only
        .address_space:  global
        .offset:         16
        .size:           8
        .value_kind:     global_buffer
      - .actual_access:  read_only
        .address_space:  global
        .offset:         24
        .size:           8
        .value_kind:     global_buffer
      - .actual_access:  read_only
        .address_space:  global
        .offset:         32
        .size:           8
        .value_kind:     global_buffer
      - .actual_access:  read_only
        .address_space:  global
        .offset:         40
        .size:           8
        .value_kind:     global_buffer
      - .offset:         48
        .size:           4
        .value_kind:     by_value
      - .offset:         52
        .size:           4
        .value_kind:     by_value
      - .actual_access:  read_only
        .address_space:  global
        .offset:         56
        .size:           8
        .value_kind:     global_buffer
      - .actual_access:  read_only
        .address_space:  global
        .offset:         64
        .size:           8
        .value_kind:     global_buffer
      - .offset:         72
        .size:           4
        .value_kind:     by_value
      - .actual_access:  read_only
        .address_space:  global
        .offset:         80
        .size:           8
        .value_kind:     global_buffer
      - .offset:         88
        .size:           4
        .value_kind:     by_value
      - .offset:         92
        .size:           4
        .value_kind:     by_value
      - .offset:         96
        .size:           4
        .value_kind:     by_value
      - .address_space:  global
        .offset:         104
        .size:           8
        .value_kind:     global_buffer
      - .address_space:  global
        .offset:         112
        .size:           8
        .value_kind:     global_buffer
      - .offset:         120
        .size:           4
        .value_kind:     by_value
      - .offset:         124
        .size:           4
        .value_kind:     by_value
      - .offset:         128
        .size:           4
        .value_kind:     by_value
      - .offset:         132
        .size:           4
        .value_kind:     by_value
      - .offset:         136
        .size:           4
        .value_kind:     by_value
      - .offset:         144
        .size:           4
        .value_kind:     hidden_block_count_x
      - .offset:         148
        .size:           4
        .value_kind:     hidden_block_count_y
      - .offset:         152
        .size:           4
        .value_kind:     hidden_block_count_z
      - .offset:         156
        .size:           2
        .value_kind:     hidden_group_size_x
      - .offset:         158
        .size:           2
        .value_kind:     hidden_group_size_y
      - .offset:         160
        .size:           2
        .value_kind:     hidden_group_size_z
      - .offset:         162
        .size:           2
        .value_kind:     hidden_remainder_x
      - .offset:         164
        .size:           2
        .value_kind:     hidden_remainder_y
      - .offset:         166
        .size:           2
        .value_kind:     hidden_remainder_z
      - .offset:         184
        .size:           8
        .value_kind:     hidden_global_offset_x
      - .offset:         192
        .size:           8
        .value_kind:     hidden_global_offset_y
      - .offset:         200
        .size:           8
        .value_kind:     hidden_global_offset_z
      - .offset:         208
        .size:           2
        .value_kind:     hidden_grid_dims
      - .offset:         264
        .size:           4
        .value_kind:     hidden_dynamic_lds_size
    .group_segment_fixed_size: 416
    .kernarg_segment_align: 8
    .kernarg_segment_size: 400
    .language:       OpenCL C
    .language_version:
      - 2
      - 0
    .max_flat_workgroup_size: 1024
    .name:           _ZN4vllm25paged_attention_v2_kernelIttLi192ELi16ELi128ELNS_18Fp8KVCacheDataTypeE0ELb1ELi512EEEvPfS2_PT_PKS3_PKT0_S9_ifPKiSB_iPKfiiiSD_SD_iiiii
    .private_segment_fixed_size: 0
    .sgpr_count:     44
    .sgpr_spill_count: 0
    .symbol:         _ZN4vllm25paged_attention_v2_kernelIttLi192ELi16ELi128ELNS_18Fp8KVCacheDataTypeE0ELb1ELi512EEEvPfS2_PT_PKS3_PKT0_S9_ifPKiSB_iPKfiiiSD_SD_iiiii.kd
    .uniform_work_group_size: 1
    .uses_dynamic_stack: false
    .vgpr_count:     136
    .vgpr_spill_count: 0
    .wavefront_size: 32
    .workgroup_processor_mode: 1
  - .args:
      - .actual_access:  write_only
        .address_space:  global
        .offset:         0
        .size:           8
        .value_kind:     global_buffer
      - .actual_access:  write_only
        .address_space:  global
        .offset:         8
        .size:           8
        .value_kind:     global_buffer
      - .actual_access:  write_only
        .address_space:  global
        .offset:         16
        .size:           8
        .value_kind:     global_buffer
      - .actual_access:  read_only
        .address_space:  global
        .offset:         24
        .size:           8
        .value_kind:     global_buffer
      - .actual_access:  read_only
        .address_space:  global
        .offset:         32
        .size:           8
        .value_kind:     global_buffer
      - .actual_access:  read_only
        .address_space:  global
        .offset:         40
        .size:           8
        .value_kind:     global_buffer
      - .offset:         48
        .size:           4
        .value_kind:     by_value
      - .offset:         52
        .size:           4
        .value_kind:     by_value
      - .actual_access:  read_only
        .address_space:  global
        .offset:         56
        .size:           8
        .value_kind:     global_buffer
      - .actual_access:  read_only
        .address_space:  global
        .offset:         64
        .size:           8
        .value_kind:     global_buffer
      - .offset:         72
        .size:           4
        .value_kind:     by_value
      - .actual_access:  read_only
        .address_space:  global
        .offset:         80
        .size:           8
        .value_kind:     global_buffer
      - .offset:         88
        .size:           4
        .value_kind:     by_value
      - .offset:         92
        .size:           4
        .value_kind:     by_value
      - .offset:         96
        .size:           4
        .value_kind:     by_value
      - .address_space:  global
        .offset:         104
        .size:           8
        .value_kind:     global_buffer
      - .address_space:  global
        .offset:         112
        .size:           8
        .value_kind:     global_buffer
      - .offset:         120
        .size:           4
        .value_kind:     by_value
      - .offset:         124
        .size:           4
        .value_kind:     by_value
      - .offset:         128
        .size:           4
        .value_kind:     by_value
      - .offset:         132
        .size:           4
        .value_kind:     by_value
      - .offset:         136
        .size:           4
        .value_kind:     by_value
      - .offset:         144
        .size:           4
        .value_kind:     hidden_block_count_x
      - .offset:         148
        .size:           4
        .value_kind:     hidden_block_count_y
      - .offset:         152
        .size:           4
        .value_kind:     hidden_block_count_z
      - .offset:         156
        .size:           2
        .value_kind:     hidden_group_size_x
      - .offset:         158
        .size:           2
        .value_kind:     hidden_group_size_y
      - .offset:         160
        .size:           2
        .value_kind:     hidden_group_size_z
      - .offset:         162
        .size:           2
        .value_kind:     hidden_remainder_x
      - .offset:         164
        .size:           2
        .value_kind:     hidden_remainder_y
      - .offset:         166
        .size:           2
        .value_kind:     hidden_remainder_z
      - .offset:         184
        .size:           8
        .value_kind:     hidden_global_offset_x
      - .offset:         192
        .size:           8
        .value_kind:     hidden_global_offset_y
      - .offset:         200
        .size:           8
        .value_kind:     hidden_global_offset_z
      - .offset:         208
        .size:           2
        .value_kind:     hidden_grid_dims
      - .offset:         264
        .size:           4
        .value_kind:     hidden_dynamic_lds_size
    .group_segment_fixed_size: 544
    .kernarg_segment_align: 8
    .kernarg_segment_size: 400
    .language:       OpenCL C
    .language_version:
      - 2
      - 0
    .max_flat_workgroup_size: 1024
    .name:           _ZN4vllm25paged_attention_v2_kernelIttLi256ELi16ELi128ELNS_18Fp8KVCacheDataTypeE0ELb1ELi512EEEvPfS2_PT_PKS3_PKT0_S9_ifPKiSB_iPKfiiiSD_SD_iiiii
    .private_segment_fixed_size: 0
    .sgpr_count:     46
    .sgpr_spill_count: 0
    .symbol:         _ZN4vllm25paged_attention_v2_kernelIttLi256ELi16ELi128ELNS_18Fp8KVCacheDataTypeE0ELb1ELi512EEEvPfS2_PT_PKS3_PKT0_S9_ifPKiSB_iPKfiiiSD_SD_iiiii.kd
    .uniform_work_group_size: 1
    .uses_dynamic_stack: false
    .vgpr_count:     133
    .vgpr_spill_count: 0
    .wavefront_size: 32
    .workgroup_processor_mode: 1
  - .args:
      - .actual_access:  write_only
        .address_space:  global
        .offset:         0
        .size:           8
        .value_kind:     global_buffer
      - .actual_access:  write_only
        .address_space:  global
        .offset:         8
        .size:           8
        .value_kind:     global_buffer
      - .actual_access:  write_only
        .address_space:  global
        .offset:         16
        .size:           8
        .value_kind:     global_buffer
      - .actual_access:  read_only
        .address_space:  global
        .offset:         24
        .size:           8
        .value_kind:     global_buffer
      - .actual_access:  read_only
        .address_space:  global
        .offset:         32
        .size:           8
        .value_kind:     global_buffer
      - .actual_access:  read_only
        .address_space:  global
        .offset:         40
        .size:           8
        .value_kind:     global_buffer
      - .offset:         48
        .size:           4
        .value_kind:     by_value
      - .offset:         52
        .size:           4
        .value_kind:     by_value
      - .actual_access:  read_only
        .address_space:  global
        .offset:         56
        .size:           8
        .value_kind:     global_buffer
      - .actual_access:  read_only
        .address_space:  global
        .offset:         64
        .size:           8
        .value_kind:     global_buffer
      - .offset:         72
        .size:           4
        .value_kind:     by_value
      - .actual_access:  read_only
        .address_space:  global
        .offset:         80
        .size:           8
        .value_kind:     global_buffer
      - .offset:         88
        .size:           4
        .value_kind:     by_value
      - .offset:         92
        .size:           4
        .value_kind:     by_value
      - .offset:         96
        .size:           4
        .value_kind:     by_value
      - .address_space:  global
        .offset:         104
        .size:           8
        .value_kind:     global_buffer
      - .address_space:  global
        .offset:         112
        .size:           8
        .value_kind:     global_buffer
      - .offset:         120
        .size:           4
        .value_kind:     by_value
      - .offset:         124
        .size:           4
        .value_kind:     by_value
      - .offset:         128
        .size:           4
        .value_kind:     by_value
      - .offset:         132
        .size:           4
        .value_kind:     by_value
      - .offset:         136
        .size:           4
        .value_kind:     by_value
      - .offset:         144
        .size:           4
        .value_kind:     hidden_block_count_x
      - .offset:         148
        .size:           4
        .value_kind:     hidden_block_count_y
      - .offset:         152
        .size:           4
        .value_kind:     hidden_block_count_z
      - .offset:         156
        .size:           2
        .value_kind:     hidden_group_size_x
      - .offset:         158
        .size:           2
        .value_kind:     hidden_group_size_y
      - .offset:         160
        .size:           2
        .value_kind:     hidden_group_size_z
      - .offset:         162
        .size:           2
        .value_kind:     hidden_remainder_x
      - .offset:         164
        .size:           2
        .value_kind:     hidden_remainder_y
      - .offset:         166
        .size:           2
        .value_kind:     hidden_remainder_z
      - .offset:         184
        .size:           8
        .value_kind:     hidden_global_offset_x
      - .offset:         192
        .size:           8
        .value_kind:     hidden_global_offset_y
      - .offset:         200
        .size:           8
        .value_kind:     hidden_global_offset_z
      - .offset:         208
        .size:           2
        .value_kind:     hidden_grid_dims
      - .offset:         264
        .size:           4
        .value_kind:     hidden_dynamic_lds_size
    .group_segment_fixed_size: 96
    .kernarg_segment_align: 8
    .kernarg_segment_size: 400
    .language:       OpenCL C
    .language_version:
      - 2
      - 0
    .max_flat_workgroup_size: 1024
    .name:           _ZN4vllm25paged_attention_v2_kernelIttLi32ELi16ELi128ELNS_18Fp8KVCacheDataTypeE0ELb0ELi512EEEvPfS2_PT_PKS3_PKT0_S9_ifPKiSB_iPKfiiiSD_SD_iiiii
    .private_segment_fixed_size: 0
    .sgpr_count:     38
    .sgpr_spill_count: 0
    .symbol:         _ZN4vllm25paged_attention_v2_kernelIttLi32ELi16ELi128ELNS_18Fp8KVCacheDataTypeE0ELb0ELi512EEEvPfS2_PT_PKS3_PKT0_S9_ifPKiSB_iPKfiiiSD_SD_iiiii.kd
    .uniform_work_group_size: 1
    .uses_dynamic_stack: false
    .vgpr_count:     50
    .vgpr_spill_count: 0
    .wavefront_size: 32
    .workgroup_processor_mode: 1
  - .args:
      - .actual_access:  write_only
        .address_space:  global
        .offset:         0
        .size:           8
        .value_kind:     global_buffer
      - .actual_access:  write_only
        .address_space:  global
        .offset:         8
        .size:           8
        .value_kind:     global_buffer
      - .actual_access:  write_only
        .address_space:  global
        .offset:         16
        .size:           8
        .value_kind:     global_buffer
      - .actual_access:  read_only
        .address_space:  global
        .offset:         24
        .size:           8
        .value_kind:     global_buffer
      - .actual_access:  read_only
        .address_space:  global
        .offset:         32
        .size:           8
        .value_kind:     global_buffer
      - .actual_access:  read_only
        .address_space:  global
        .offset:         40
        .size:           8
        .value_kind:     global_buffer
      - .offset:         48
        .size:           4
        .value_kind:     by_value
      - .offset:         52
        .size:           4
        .value_kind:     by_value
      - .actual_access:  read_only
        .address_space:  global
        .offset:         56
        .size:           8
        .value_kind:     global_buffer
      - .actual_access:  read_only
        .address_space:  global
        .offset:         64
        .size:           8
        .value_kind:     global_buffer
      - .offset:         72
        .size:           4
        .value_kind:     by_value
      - .actual_access:  read_only
        .address_space:  global
        .offset:         80
        .size:           8
        .value_kind:     global_buffer
      - .offset:         88
        .size:           4
        .value_kind:     by_value
      - .offset:         92
        .size:           4
        .value_kind:     by_value
      - .offset:         96
        .size:           4
        .value_kind:     by_value
      - .address_space:  global
        .offset:         104
        .size:           8
        .value_kind:     global_buffer
      - .address_space:  global
        .offset:         112
        .size:           8
        .value_kind:     global_buffer
      - .offset:         120
        .size:           4
        .value_kind:     by_value
      - .offset:         124
        .size:           4
        .value_kind:     by_value
      - .offset:         128
        .size:           4
        .value_kind:     by_value
      - .offset:         132
        .size:           4
        .value_kind:     by_value
      - .offset:         136
        .size:           4
        .value_kind:     by_value
      - .offset:         144
        .size:           4
        .value_kind:     hidden_block_count_x
      - .offset:         148
        .size:           4
        .value_kind:     hidden_block_count_y
      - .offset:         152
        .size:           4
        .value_kind:     hidden_block_count_z
      - .offset:         156
        .size:           2
        .value_kind:     hidden_group_size_x
      - .offset:         158
        .size:           2
        .value_kind:     hidden_group_size_y
      - .offset:         160
        .size:           2
        .value_kind:     hidden_group_size_z
      - .offset:         162
        .size:           2
        .value_kind:     hidden_remainder_x
      - .offset:         164
        .size:           2
        .value_kind:     hidden_remainder_y
      - .offset:         166
        .size:           2
        .value_kind:     hidden_remainder_z
      - .offset:         184
        .size:           8
        .value_kind:     hidden_global_offset_x
      - .offset:         192
        .size:           8
        .value_kind:     hidden_global_offset_y
      - .offset:         200
        .size:           8
        .value_kind:     hidden_global_offset_z
      - .offset:         208
        .size:           2
        .value_kind:     hidden_grid_dims
      - .offset:         264
        .size:           4
        .value_kind:     hidden_dynamic_lds_size
    .group_segment_fixed_size: 160
    .kernarg_segment_align: 8
    .kernarg_segment_size: 400
    .language:       OpenCL C
    .language_version:
      - 2
      - 0
    .max_flat_workgroup_size: 1024
    .name:           _ZN4vllm25paged_attention_v2_kernelIttLi64ELi16ELi128ELNS_18Fp8KVCacheDataTypeE0ELb0ELi512EEEvPfS2_PT_PKS3_PKT0_S9_ifPKiSB_iPKfiiiSD_SD_iiiii
    .private_segment_fixed_size: 0
    .sgpr_count:     34
    .sgpr_spill_count: 0
    .symbol:         _ZN4vllm25paged_attention_v2_kernelIttLi64ELi16ELi128ELNS_18Fp8KVCacheDataTypeE0ELb0ELi512EEEvPfS2_PT_PKS3_PKT0_S9_ifPKiSB_iPKfiiiSD_SD_iiiii.kd
    .uniform_work_group_size: 1
    .uses_dynamic_stack: false
    .vgpr_count:     77
    .vgpr_spill_count: 0
    .wavefront_size: 32
    .workgroup_processor_mode: 1
  - .args:
      - .actual_access:  write_only
        .address_space:  global
        .offset:         0
        .size:           8
        .value_kind:     global_buffer
      - .actual_access:  write_only
        .address_space:  global
        .offset:         8
        .size:           8
        .value_kind:     global_buffer
      - .actual_access:  write_only
        .address_space:  global
        .offset:         16
        .size:           8
        .value_kind:     global_buffer
      - .actual_access:  read_only
        .address_space:  global
        .offset:         24
        .size:           8
        .value_kind:     global_buffer
      - .actual_access:  read_only
        .address_space:  global
        .offset:         32
        .size:           8
        .value_kind:     global_buffer
      - .actual_access:  read_only
        .address_space:  global
        .offset:         40
        .size:           8
        .value_kind:     global_buffer
      - .offset:         48
        .size:           4
        .value_kind:     by_value
      - .offset:         52
        .size:           4
        .value_kind:     by_value
      - .actual_access:  read_only
        .address_space:  global
        .offset:         56
        .size:           8
        .value_kind:     global_buffer
      - .actual_access:  read_only
        .address_space:  global
        .offset:         64
        .size:           8
        .value_kind:     global_buffer
      - .offset:         72
        .size:           4
        .value_kind:     by_value
      - .actual_access:  read_only
        .address_space:  global
        .offset:         80
        .size:           8
        .value_kind:     global_buffer
      - .offset:         88
        .size:           4
        .value_kind:     by_value
      - .offset:         92
        .size:           4
        .value_kind:     by_value
      - .offset:         96
        .size:           4
        .value_kind:     by_value
      - .address_space:  global
        .offset:         104
        .size:           8
        .value_kind:     global_buffer
      - .address_space:  global
        .offset:         112
        .size:           8
        .value_kind:     global_buffer
      - .offset:         120
        .size:           4
        .value_kind:     by_value
      - .offset:         124
        .size:           4
        .value_kind:     by_value
      - .offset:         128
        .size:           4
        .value_kind:     by_value
      - .offset:         132
        .size:           4
        .value_kind:     by_value
      - .offset:         136
        .size:           4
        .value_kind:     by_value
      - .offset:         144
        .size:           4
        .value_kind:     hidden_block_count_x
      - .offset:         148
        .size:           4
        .value_kind:     hidden_block_count_y
      - .offset:         152
        .size:           4
        .value_kind:     hidden_block_count_z
      - .offset:         156
        .size:           2
        .value_kind:     hidden_group_size_x
      - .offset:         158
        .size:           2
        .value_kind:     hidden_group_size_y
      - .offset:         160
        .size:           2
        .value_kind:     hidden_group_size_z
      - .offset:         162
        .size:           2
        .value_kind:     hidden_remainder_x
      - .offset:         164
        .size:           2
        .value_kind:     hidden_remainder_y
      - .offset:         166
        .size:           2
        .value_kind:     hidden_remainder_z
      - .offset:         184
        .size:           8
        .value_kind:     hidden_global_offset_x
      - .offset:         192
        .size:           8
        .value_kind:     hidden_global_offset_y
      - .offset:         200
        .size:           8
        .value_kind:     hidden_global_offset_z
      - .offset:         208
        .size:           2
        .value_kind:     hidden_grid_dims
      - .offset:         264
        .size:           4
        .value_kind:     hidden_dynamic_lds_size
    .group_segment_fixed_size: 192
    .kernarg_segment_align: 8
    .kernarg_segment_size: 400
    .language:       OpenCL C
    .language_version:
      - 2
      - 0
    .max_flat_workgroup_size: 1024
    .name:           _ZN4vllm25paged_attention_v2_kernelIttLi80ELi16ELi128ELNS_18Fp8KVCacheDataTypeE0ELb0ELi512EEEvPfS2_PT_PKS3_PKT0_S9_ifPKiSB_iPKfiiiSD_SD_iiiii
    .private_segment_fixed_size: 0
    .sgpr_count:     34
    .sgpr_spill_count: 0
    .symbol:         _ZN4vllm25paged_attention_v2_kernelIttLi80ELi16ELi128ELNS_18Fp8KVCacheDataTypeE0ELb0ELi512EEEvPfS2_PT_PKS3_PKT0_S9_ifPKiSB_iPKfiiiSD_SD_iiiii.kd
    .uniform_work_group_size: 1
    .uses_dynamic_stack: false
    .vgpr_count:     91
    .vgpr_spill_count: 0
    .wavefront_size: 32
    .workgroup_processor_mode: 1
  - .args:
      - .actual_access:  write_only
        .address_space:  global
        .offset:         0
        .size:           8
        .value_kind:     global_buffer
      - .actual_access:  write_only
        .address_space:  global
        .offset:         8
        .size:           8
        .value_kind:     global_buffer
      - .actual_access:  write_only
        .address_space:  global
        .offset:         16
        .size:           8
        .value_kind:     global_buffer
      - .actual_access:  read_only
        .address_space:  global
        .offset:         24
        .size:           8
        .value_kind:     global_buffer
      - .actual_access:  read_only
        .address_space:  global
        .offset:         32
        .size:           8
        .value_kind:     global_buffer
      - .actual_access:  read_only
        .address_space:  global
        .offset:         40
        .size:           8
        .value_kind:     global_buffer
      - .offset:         48
        .size:           4
        .value_kind:     by_value
      - .offset:         52
        .size:           4
        .value_kind:     by_value
      - .actual_access:  read_only
        .address_space:  global
        .offset:         56
        .size:           8
        .value_kind:     global_buffer
      - .actual_access:  read_only
        .address_space:  global
        .offset:         64
        .size:           8
        .value_kind:     global_buffer
      - .offset:         72
        .size:           4
        .value_kind:     by_value
      - .actual_access:  read_only
        .address_space:  global
        .offset:         80
        .size:           8
        .value_kind:     global_buffer
      - .offset:         88
        .size:           4
        .value_kind:     by_value
      - .offset:         92
        .size:           4
        .value_kind:     by_value
      - .offset:         96
        .size:           4
        .value_kind:     by_value
      - .address_space:  global
        .offset:         104
        .size:           8
        .value_kind:     global_buffer
      - .address_space:  global
        .offset:         112
        .size:           8
        .value_kind:     global_buffer
      - .offset:         120
        .size:           4
        .value_kind:     by_value
      - .offset:         124
        .size:           4
        .value_kind:     by_value
      - .offset:         128
        .size:           4
        .value_kind:     by_value
      - .offset:         132
        .size:           4
        .value_kind:     by_value
      - .offset:         136
        .size:           4
        .value_kind:     by_value
      - .offset:         144
        .size:           4
        .value_kind:     hidden_block_count_x
      - .offset:         148
        .size:           4
        .value_kind:     hidden_block_count_y
      - .offset:         152
        .size:           4
        .value_kind:     hidden_block_count_z
      - .offset:         156
        .size:           2
        .value_kind:     hidden_group_size_x
      - .offset:         158
        .size:           2
        .value_kind:     hidden_group_size_y
      - .offset:         160
        .size:           2
        .value_kind:     hidden_group_size_z
      - .offset:         162
        .size:           2
        .value_kind:     hidden_remainder_x
      - .offset:         164
        .size:           2
        .value_kind:     hidden_remainder_y
      - .offset:         166
        .size:           2
        .value_kind:     hidden_remainder_z
      - .offset:         184
        .size:           8
        .value_kind:     hidden_global_offset_x
      - .offset:         192
        .size:           8
        .value_kind:     hidden_global_offset_y
      - .offset:         200
        .size:           8
        .value_kind:     hidden_global_offset_z
      - .offset:         208
        .size:           2
        .value_kind:     hidden_grid_dims
      - .offset:         264
        .size:           4
        .value_kind:     hidden_dynamic_lds_size
    .group_segment_fixed_size: 224
    .kernarg_segment_align: 8
    .kernarg_segment_size: 400
    .language:       OpenCL C
    .language_version:
      - 2
      - 0
    .max_flat_workgroup_size: 1024
    .name:           _ZN4vllm25paged_attention_v2_kernelIttLi96ELi16ELi128ELNS_18Fp8KVCacheDataTypeE0ELb0ELi512EEEvPfS2_PT_PKS3_PKT0_S9_ifPKiSB_iPKfiiiSD_SD_iiiii
    .private_segment_fixed_size: 0
    .sgpr_count:     34
    .sgpr_spill_count: 0
    .symbol:         _ZN4vllm25paged_attention_v2_kernelIttLi96ELi16ELi128ELNS_18Fp8KVCacheDataTypeE0ELb0ELi512EEEvPfS2_PT_PKS3_PKT0_S9_ifPKiSB_iPKfiiiSD_SD_iiiii.kd
    .uniform_work_group_size: 1
    .uses_dynamic_stack: false
    .vgpr_count:     103
    .vgpr_spill_count: 0
    .wavefront_size: 32
    .workgroup_processor_mode: 1
  - .args:
      - .actual_access:  write_only
        .address_space:  global
        .offset:         0
        .size:           8
        .value_kind:     global_buffer
      - .actual_access:  write_only
        .address_space:  global
        .offset:         8
        .size:           8
        .value_kind:     global_buffer
      - .actual_access:  write_only
        .address_space:  global
        .offset:         16
        .size:           8
        .value_kind:     global_buffer
      - .actual_access:  read_only
        .address_space:  global
        .offset:         24
        .size:           8
        .value_kind:     global_buffer
      - .actual_access:  read_only
        .address_space:  global
        .offset:         32
        .size:           8
        .value_kind:     global_buffer
      - .actual_access:  read_only
        .address_space:  global
        .offset:         40
        .size:           8
        .value_kind:     global_buffer
      - .offset:         48
        .size:           4
        .value_kind:     by_value
      - .offset:         52
        .size:           4
        .value_kind:     by_value
      - .actual_access:  read_only
        .address_space:  global
        .offset:         56
        .size:           8
        .value_kind:     global_buffer
      - .actual_access:  read_only
        .address_space:  global
        .offset:         64
        .size:           8
        .value_kind:     global_buffer
      - .offset:         72
        .size:           4
        .value_kind:     by_value
      - .actual_access:  read_only
        .address_space:  global
        .offset:         80
        .size:           8
        .value_kind:     global_buffer
      - .offset:         88
        .size:           4
        .value_kind:     by_value
      - .offset:         92
        .size:           4
        .value_kind:     by_value
      - .offset:         96
        .size:           4
        .value_kind:     by_value
      - .address_space:  global
        .offset:         104
        .size:           8
        .value_kind:     global_buffer
      - .address_space:  global
        .offset:         112
        .size:           8
        .value_kind:     global_buffer
      - .offset:         120
        .size:           4
        .value_kind:     by_value
      - .offset:         124
        .size:           4
        .value_kind:     by_value
      - .offset:         128
        .size:           4
        .value_kind:     by_value
      - .offset:         132
        .size:           4
        .value_kind:     by_value
      - .offset:         136
        .size:           4
        .value_kind:     by_value
      - .offset:         144
        .size:           4
        .value_kind:     hidden_block_count_x
      - .offset:         148
        .size:           4
        .value_kind:     hidden_block_count_y
      - .offset:         152
        .size:           4
        .value_kind:     hidden_block_count_z
      - .offset:         156
        .size:           2
        .value_kind:     hidden_group_size_x
      - .offset:         158
        .size:           2
        .value_kind:     hidden_group_size_y
      - .offset:         160
        .size:           2
        .value_kind:     hidden_group_size_z
      - .offset:         162
        .size:           2
        .value_kind:     hidden_remainder_x
      - .offset:         164
        .size:           2
        .value_kind:     hidden_remainder_y
      - .offset:         166
        .size:           2
        .value_kind:     hidden_remainder_z
      - .offset:         184
        .size:           8
        .value_kind:     hidden_global_offset_x
      - .offset:         192
        .size:           8
        .value_kind:     hidden_global_offset_y
      - .offset:         200
        .size:           8
        .value_kind:     hidden_global_offset_z
      - .offset:         208
        .size:           2
        .value_kind:     hidden_grid_dims
      - .offset:         264
        .size:           4
        .value_kind:     hidden_dynamic_lds_size
    .group_segment_fixed_size: 256
    .kernarg_segment_align: 8
    .kernarg_segment_size: 400
    .language:       OpenCL C
    .language_version:
      - 2
      - 0
    .max_flat_workgroup_size: 1024
    .name:           _ZN4vllm25paged_attention_v2_kernelIttLi112ELi16ELi128ELNS_18Fp8KVCacheDataTypeE0ELb0ELi512EEEvPfS2_PT_PKS3_PKT0_S9_ifPKiSB_iPKfiiiSD_SD_iiiii
    .private_segment_fixed_size: 0
    .sgpr_count:     34
    .sgpr_spill_count: 0
    .symbol:         _ZN4vllm25paged_attention_v2_kernelIttLi112ELi16ELi128ELNS_18Fp8KVCacheDataTypeE0ELb0ELi512EEEvPfS2_PT_PKS3_PKT0_S9_ifPKiSB_iPKfiiiSD_SD_iiiii.kd
    .uniform_work_group_size: 1
    .uses_dynamic_stack: false
    .vgpr_count:     118
    .vgpr_spill_count: 0
    .wavefront_size: 32
    .workgroup_processor_mode: 1
  - .args:
      - .actual_access:  write_only
        .address_space:  global
        .offset:         0
        .size:           8
        .value_kind:     global_buffer
      - .actual_access:  write_only
        .address_space:  global
        .offset:         8
        .size:           8
        .value_kind:     global_buffer
      - .actual_access:  write_only
        .address_space:  global
        .offset:         16
        .size:           8
        .value_kind:     global_buffer
      - .actual_access:  read_only
        .address_space:  global
        .offset:         24
        .size:           8
        .value_kind:     global_buffer
      - .actual_access:  read_only
        .address_space:  global
        .offset:         32
        .size:           8
        .value_kind:     global_buffer
      - .actual_access:  read_only
        .address_space:  global
        .offset:         40
        .size:           8
        .value_kind:     global_buffer
      - .offset:         48
        .size:           4
        .value_kind:     by_value
      - .offset:         52
        .size:           4
        .value_kind:     by_value
      - .actual_access:  read_only
        .address_space:  global
        .offset:         56
        .size:           8
        .value_kind:     global_buffer
      - .actual_access:  read_only
        .address_space:  global
        .offset:         64
        .size:           8
        .value_kind:     global_buffer
      - .offset:         72
        .size:           4
        .value_kind:     by_value
      - .actual_access:  read_only
        .address_space:  global
        .offset:         80
        .size:           8
        .value_kind:     global_buffer
      - .offset:         88
        .size:           4
        .value_kind:     by_value
      - .offset:         92
        .size:           4
        .value_kind:     by_value
      - .offset:         96
        .size:           4
        .value_kind:     by_value
      - .address_space:  global
        .offset:         104
        .size:           8
        .value_kind:     global_buffer
      - .address_space:  global
        .offset:         112
        .size:           8
        .value_kind:     global_buffer
      - .offset:         120
        .size:           4
        .value_kind:     by_value
      - .offset:         124
        .size:           4
        .value_kind:     by_value
      - .offset:         128
        .size:           4
        .value_kind:     by_value
      - .offset:         132
        .size:           4
        .value_kind:     by_value
      - .offset:         136
        .size:           4
        .value_kind:     by_value
      - .offset:         144
        .size:           4
        .value_kind:     hidden_block_count_x
      - .offset:         148
        .size:           4
        .value_kind:     hidden_block_count_y
      - .offset:         152
        .size:           4
        .value_kind:     hidden_block_count_z
      - .offset:         156
        .size:           2
        .value_kind:     hidden_group_size_x
      - .offset:         158
        .size:           2
        .value_kind:     hidden_group_size_y
      - .offset:         160
        .size:           2
        .value_kind:     hidden_group_size_z
      - .offset:         162
        .size:           2
        .value_kind:     hidden_remainder_x
      - .offset:         164
        .size:           2
        .value_kind:     hidden_remainder_y
      - .offset:         166
        .size:           2
        .value_kind:     hidden_remainder_z
      - .offset:         184
        .size:           8
        .value_kind:     hidden_global_offset_x
      - .offset:         192
        .size:           8
        .value_kind:     hidden_global_offset_y
      - .offset:         200
        .size:           8
        .value_kind:     hidden_global_offset_z
      - .offset:         208
        .size:           2
        .value_kind:     hidden_grid_dims
      - .offset:         264
        .size:           4
        .value_kind:     hidden_dynamic_lds_size
    .group_segment_fixed_size: 272
    .kernarg_segment_align: 8
    .kernarg_segment_size: 400
    .language:       OpenCL C
    .language_version:
      - 2
      - 0
    .max_flat_workgroup_size: 1024
    .name:           _ZN4vllm25paged_attention_v2_kernelIttLi120ELi16ELi128ELNS_18Fp8KVCacheDataTypeE0ELb0ELi512EEEvPfS2_PT_PKS3_PKT0_S9_ifPKiSB_iPKfiiiSD_SD_iiiii
    .private_segment_fixed_size: 0
    .sgpr_count:     34
    .sgpr_spill_count: 0
    .symbol:         _ZN4vllm25paged_attention_v2_kernelIttLi120ELi16ELi128ELNS_18Fp8KVCacheDataTypeE0ELb0ELi512EEEvPfS2_PT_PKS3_PKT0_S9_ifPKiSB_iPKfiiiSD_SD_iiiii.kd
    .uniform_work_group_size: 1
    .uses_dynamic_stack: false
    .vgpr_count:     122
    .vgpr_spill_count: 0
    .wavefront_size: 32
    .workgroup_processor_mode: 1
  - .args:
      - .actual_access:  write_only
        .address_space:  global
        .offset:         0
        .size:           8
        .value_kind:     global_buffer
      - .actual_access:  write_only
        .address_space:  global
        .offset:         8
        .size:           8
        .value_kind:     global_buffer
      - .actual_access:  write_only
        .address_space:  global
        .offset:         16
        .size:           8
        .value_kind:     global_buffer
      - .actual_access:  read_only
        .address_space:  global
        .offset:         24
        .size:           8
        .value_kind:     global_buffer
      - .actual_access:  read_only
        .address_space:  global
        .offset:         32
        .size:           8
        .value_kind:     global_buffer
      - .actual_access:  read_only
        .address_space:  global
        .offset:         40
        .size:           8
        .value_kind:     global_buffer
      - .offset:         48
        .size:           4
        .value_kind:     by_value
      - .offset:         52
        .size:           4
        .value_kind:     by_value
      - .actual_access:  read_only
        .address_space:  global
        .offset:         56
        .size:           8
        .value_kind:     global_buffer
      - .actual_access:  read_only
        .address_space:  global
        .offset:         64
        .size:           8
        .value_kind:     global_buffer
      - .offset:         72
        .size:           4
        .value_kind:     by_value
      - .actual_access:  read_only
        .address_space:  global
        .offset:         80
        .size:           8
        .value_kind:     global_buffer
      - .offset:         88
        .size:           4
        .value_kind:     by_value
      - .offset:         92
        .size:           4
        .value_kind:     by_value
      - .offset:         96
        .size:           4
        .value_kind:     by_value
      - .address_space:  global
        .offset:         104
        .size:           8
        .value_kind:     global_buffer
      - .address_space:  global
        .offset:         112
        .size:           8
        .value_kind:     global_buffer
      - .offset:         120
        .size:           4
        .value_kind:     by_value
      - .offset:         124
        .size:           4
        .value_kind:     by_value
      - .offset:         128
        .size:           4
        .value_kind:     by_value
      - .offset:         132
        .size:           4
        .value_kind:     by_value
      - .offset:         136
        .size:           4
        .value_kind:     by_value
      - .offset:         144
        .size:           4
        .value_kind:     hidden_block_count_x
      - .offset:         148
        .size:           4
        .value_kind:     hidden_block_count_y
      - .offset:         152
        .size:           4
        .value_kind:     hidden_block_count_z
      - .offset:         156
        .size:           2
        .value_kind:     hidden_group_size_x
      - .offset:         158
        .size:           2
        .value_kind:     hidden_group_size_y
      - .offset:         160
        .size:           2
        .value_kind:     hidden_group_size_z
      - .offset:         162
        .size:           2
        .value_kind:     hidden_remainder_x
      - .offset:         164
        .size:           2
        .value_kind:     hidden_remainder_y
      - .offset:         166
        .size:           2
        .value_kind:     hidden_remainder_z
      - .offset:         184
        .size:           8
        .value_kind:     hidden_global_offset_x
      - .offset:         192
        .size:           8
        .value_kind:     hidden_global_offset_y
      - .offset:         200
        .size:           8
        .value_kind:     hidden_global_offset_z
      - .offset:         208
        .size:           2
        .value_kind:     hidden_grid_dims
      - .offset:         264
        .size:           4
        .value_kind:     hidden_dynamic_lds_size
    .group_segment_fixed_size: 288
    .kernarg_segment_align: 8
    .kernarg_segment_size: 400
    .language:       OpenCL C
    .language_version:
      - 2
      - 0
    .max_flat_workgroup_size: 1024
    .name:           _ZN4vllm25paged_attention_v2_kernelIttLi128ELi16ELi128ELNS_18Fp8KVCacheDataTypeE0ELb0ELi512EEEvPfS2_PT_PKS3_PKT0_S9_ifPKiSB_iPKfiiiSD_SD_iiiii
    .private_segment_fixed_size: 0
    .sgpr_count:     40
    .sgpr_spill_count: 0
    .symbol:         _ZN4vllm25paged_attention_v2_kernelIttLi128ELi16ELi128ELNS_18Fp8KVCacheDataTypeE0ELb0ELi512EEEvPfS2_PT_PKS3_PKT0_S9_ifPKiSB_iPKfiiiSD_SD_iiiii.kd
    .uniform_work_group_size: 1
    .uses_dynamic_stack: false
    .vgpr_count:     129
    .vgpr_spill_count: 0
    .wavefront_size: 32
    .workgroup_processor_mode: 1
  - .args:
      - .actual_access:  write_only
        .address_space:  global
        .offset:         0
        .size:           8
        .value_kind:     global_buffer
      - .actual_access:  write_only
        .address_space:  global
        .offset:         8
        .size:           8
        .value_kind:     global_buffer
      - .actual_access:  write_only
        .address_space:  global
        .offset:         16
        .size:           8
        .value_kind:     global_buffer
      - .actual_access:  read_only
        .address_space:  global
        .offset:         24
        .size:           8
        .value_kind:     global_buffer
      - .actual_access:  read_only
        .address_space:  global
        .offset:         32
        .size:           8
        .value_kind:     global_buffer
      - .actual_access:  read_only
        .address_space:  global
        .offset:         40
        .size:           8
        .value_kind:     global_buffer
      - .offset:         48
        .size:           4
        .value_kind:     by_value
      - .offset:         52
        .size:           4
        .value_kind:     by_value
      - .actual_access:  read_only
        .address_space:  global
        .offset:         56
        .size:           8
        .value_kind:     global_buffer
      - .actual_access:  read_only
        .address_space:  global
        .offset:         64
        .size:           8
        .value_kind:     global_buffer
      - .offset:         72
        .size:           4
        .value_kind:     by_value
      - .actual_access:  read_only
        .address_space:  global
        .offset:         80
        .size:           8
        .value_kind:     global_buffer
      - .offset:         88
        .size:           4
        .value_kind:     by_value
      - .offset:         92
        .size:           4
        .value_kind:     by_value
      - .offset:         96
        .size:           4
        .value_kind:     by_value
      - .address_space:  global
        .offset:         104
        .size:           8
        .value_kind:     global_buffer
      - .address_space:  global
        .offset:         112
        .size:           8
        .value_kind:     global_buffer
      - .offset:         120
        .size:           4
        .value_kind:     by_value
      - .offset:         124
        .size:           4
        .value_kind:     by_value
      - .offset:         128
        .size:           4
        .value_kind:     by_value
      - .offset:         132
        .size:           4
        .value_kind:     by_value
      - .offset:         136
        .size:           4
        .value_kind:     by_value
      - .offset:         144
        .size:           4
        .value_kind:     hidden_block_count_x
      - .offset:         148
        .size:           4
        .value_kind:     hidden_block_count_y
      - .offset:         152
        .size:           4
        .value_kind:     hidden_block_count_z
      - .offset:         156
        .size:           2
        .value_kind:     hidden_group_size_x
      - .offset:         158
        .size:           2
        .value_kind:     hidden_group_size_y
      - .offset:         160
        .size:           2
        .value_kind:     hidden_group_size_z
      - .offset:         162
        .size:           2
        .value_kind:     hidden_remainder_x
      - .offset:         164
        .size:           2
        .value_kind:     hidden_remainder_y
      - .offset:         166
        .size:           2
        .value_kind:     hidden_remainder_z
      - .offset:         184
        .size:           8
        .value_kind:     hidden_global_offset_x
      - .offset:         192
        .size:           8
        .value_kind:     hidden_global_offset_y
      - .offset:         200
        .size:           8
        .value_kind:     hidden_global_offset_z
      - .offset:         208
        .size:           2
        .value_kind:     hidden_grid_dims
      - .offset:         264
        .size:           4
        .value_kind:     hidden_dynamic_lds_size
    .group_segment_fixed_size: 416
    .kernarg_segment_align: 8
    .kernarg_segment_size: 400
    .language:       OpenCL C
    .language_version:
      - 2
      - 0
    .max_flat_workgroup_size: 1024
    .name:           _ZN4vllm25paged_attention_v2_kernelIttLi192ELi16ELi128ELNS_18Fp8KVCacheDataTypeE0ELb0ELi512EEEvPfS2_PT_PKS3_PKT0_S9_ifPKiSB_iPKfiiiSD_SD_iiiii
    .private_segment_fixed_size: 0
    .sgpr_count:     34
    .sgpr_spill_count: 0
    .symbol:         _ZN4vllm25paged_attention_v2_kernelIttLi192ELi16ELi128ELNS_18Fp8KVCacheDataTypeE0ELb0ELi512EEEvPfS2_PT_PKS3_PKT0_S9_ifPKiSB_iPKfiiiSD_SD_iiiii.kd
    .uniform_work_group_size: 1
    .uses_dynamic_stack: false
    .vgpr_count:     134
    .vgpr_spill_count: 0
    .wavefront_size: 32
    .workgroup_processor_mode: 1
  - .args:
      - .actual_access:  write_only
        .address_space:  global
        .offset:         0
        .size:           8
        .value_kind:     global_buffer
      - .actual_access:  write_only
        .address_space:  global
        .offset:         8
        .size:           8
        .value_kind:     global_buffer
      - .actual_access:  write_only
        .address_space:  global
        .offset:         16
        .size:           8
        .value_kind:     global_buffer
      - .actual_access:  read_only
        .address_space:  global
        .offset:         24
        .size:           8
        .value_kind:     global_buffer
      - .actual_access:  read_only
        .address_space:  global
        .offset:         32
        .size:           8
        .value_kind:     global_buffer
      - .actual_access:  read_only
        .address_space:  global
        .offset:         40
        .size:           8
        .value_kind:     global_buffer
      - .offset:         48
        .size:           4
        .value_kind:     by_value
      - .offset:         52
        .size:           4
        .value_kind:     by_value
      - .actual_access:  read_only
        .address_space:  global
        .offset:         56
        .size:           8
        .value_kind:     global_buffer
      - .actual_access:  read_only
        .address_space:  global
        .offset:         64
        .size:           8
        .value_kind:     global_buffer
      - .offset:         72
        .size:           4
        .value_kind:     by_value
      - .actual_access:  read_only
        .address_space:  global
        .offset:         80
        .size:           8
        .value_kind:     global_buffer
      - .offset:         88
        .size:           4
        .value_kind:     by_value
      - .offset:         92
        .size:           4
        .value_kind:     by_value
      - .offset:         96
        .size:           4
        .value_kind:     by_value
      - .address_space:  global
        .offset:         104
        .size:           8
        .value_kind:     global_buffer
      - .address_space:  global
        .offset:         112
        .size:           8
        .value_kind:     global_buffer
      - .offset:         120
        .size:           4
        .value_kind:     by_value
      - .offset:         124
        .size:           4
        .value_kind:     by_value
      - .offset:         128
        .size:           4
        .value_kind:     by_value
      - .offset:         132
        .size:           4
        .value_kind:     by_value
      - .offset:         136
        .size:           4
        .value_kind:     by_value
      - .offset:         144
        .size:           4
        .value_kind:     hidden_block_count_x
      - .offset:         148
        .size:           4
        .value_kind:     hidden_block_count_y
      - .offset:         152
        .size:           4
        .value_kind:     hidden_block_count_z
      - .offset:         156
        .size:           2
        .value_kind:     hidden_group_size_x
      - .offset:         158
        .size:           2
        .value_kind:     hidden_group_size_y
      - .offset:         160
        .size:           2
        .value_kind:     hidden_group_size_z
      - .offset:         162
        .size:           2
        .value_kind:     hidden_remainder_x
      - .offset:         164
        .size:           2
        .value_kind:     hidden_remainder_y
      - .offset:         166
        .size:           2
        .value_kind:     hidden_remainder_z
      - .offset:         184
        .size:           8
        .value_kind:     hidden_global_offset_x
      - .offset:         192
        .size:           8
        .value_kind:     hidden_global_offset_y
      - .offset:         200
        .size:           8
        .value_kind:     hidden_global_offset_z
      - .offset:         208
        .size:           2
        .value_kind:     hidden_grid_dims
      - .offset:         264
        .size:           4
        .value_kind:     hidden_dynamic_lds_size
    .group_segment_fixed_size: 544
    .kernarg_segment_align: 8
    .kernarg_segment_size: 400
    .language:       OpenCL C
    .language_version:
      - 2
      - 0
    .max_flat_workgroup_size: 1024
    .name:           _ZN4vllm25paged_attention_v2_kernelIttLi256ELi16ELi128ELNS_18Fp8KVCacheDataTypeE0ELb0ELi512EEEvPfS2_PT_PKS3_PKT0_S9_ifPKiSB_iPKfiiiSD_SD_iiiii
    .private_segment_fixed_size: 0
    .sgpr_count:     40
    .sgpr_spill_count: 0
    .symbol:         _ZN4vllm25paged_attention_v2_kernelIttLi256ELi16ELi128ELNS_18Fp8KVCacheDataTypeE0ELb0ELi512EEEvPfS2_PT_PKS3_PKT0_S9_ifPKiSB_iPKfiiiSD_SD_iiiii.kd
    .uniform_work_group_size: 1
    .uses_dynamic_stack: false
    .vgpr_count:     131
    .vgpr_spill_count: 0
    .wavefront_size: 32
    .workgroup_processor_mode: 1
  - .args:
      - .actual_access:  write_only
        .address_space:  global
        .offset:         0
        .size:           8
        .value_kind:     global_buffer
      - .actual_access:  write_only
        .address_space:  global
        .offset:         8
        .size:           8
        .value_kind:     global_buffer
      - .actual_access:  write_only
        .address_space:  global
        .offset:         16
        .size:           8
        .value_kind:     global_buffer
      - .actual_access:  read_only
        .address_space:  global
        .offset:         24
        .size:           8
        .value_kind:     global_buffer
      - .actual_access:  read_only
        .address_space:  global
        .offset:         32
        .size:           8
        .value_kind:     global_buffer
      - .actual_access:  read_only
        .address_space:  global
        .offset:         40
        .size:           8
        .value_kind:     global_buffer
      - .offset:         48
        .size:           4
        .value_kind:     by_value
      - .offset:         52
        .size:           4
        .value_kind:     by_value
      - .actual_access:  read_only
        .address_space:  global
        .offset:         56
        .size:           8
        .value_kind:     global_buffer
      - .actual_access:  read_only
        .address_space:  global
        .offset:         64
        .size:           8
        .value_kind:     global_buffer
      - .offset:         72
        .size:           4
        .value_kind:     by_value
      - .actual_access:  read_only
        .address_space:  global
        .offset:         80
        .size:           8
        .value_kind:     global_buffer
      - .offset:         88
        .size:           4
        .value_kind:     by_value
      - .offset:         92
        .size:           4
        .value_kind:     by_value
      - .offset:         96
        .size:           4
        .value_kind:     by_value
      - .address_space:  global
        .offset:         104
        .size:           8
        .value_kind:     global_buffer
      - .address_space:  global
        .offset:         112
        .size:           8
        .value_kind:     global_buffer
      - .offset:         120
        .size:           4
        .value_kind:     by_value
      - .offset:         124
        .size:           4
        .value_kind:     by_value
      - .offset:         128
        .size:           4
        .value_kind:     by_value
      - .offset:         132
        .size:           4
        .value_kind:     by_value
      - .offset:         136
        .size:           4
        .value_kind:     by_value
      - .offset:         144
        .size:           4
        .value_kind:     hidden_block_count_x
      - .offset:         148
        .size:           4
        .value_kind:     hidden_block_count_y
      - .offset:         152
        .size:           4
        .value_kind:     hidden_block_count_z
      - .offset:         156
        .size:           2
        .value_kind:     hidden_group_size_x
      - .offset:         158
        .size:           2
        .value_kind:     hidden_group_size_y
      - .offset:         160
        .size:           2
        .value_kind:     hidden_group_size_z
      - .offset:         162
        .size:           2
        .value_kind:     hidden_remainder_x
      - .offset:         164
        .size:           2
        .value_kind:     hidden_remainder_y
      - .offset:         166
        .size:           2
        .value_kind:     hidden_remainder_z
      - .offset:         184
        .size:           8
        .value_kind:     hidden_global_offset_x
      - .offset:         192
        .size:           8
        .value_kind:     hidden_global_offset_y
      - .offset:         200
        .size:           8
        .value_kind:     hidden_global_offset_z
      - .offset:         208
        .size:           2
        .value_kind:     hidden_grid_dims
      - .offset:         264
        .size:           4
        .value_kind:     hidden_dynamic_lds_size
    .group_segment_fixed_size: 96
    .kernarg_segment_align: 8
    .kernarg_segment_size: 400
    .language:       OpenCL C
    .language_version:
      - 2
      - 0
    .max_flat_workgroup_size: 1024
    .name:           _ZN4vllm25paged_attention_v2_kernelIttLi32ELi32ELi128ELNS_18Fp8KVCacheDataTypeE0ELb1ELi512EEEvPfS2_PT_PKS3_PKT0_S9_ifPKiSB_iPKfiiiSD_SD_iiiii
    .private_segment_fixed_size: 0
    .sgpr_count:     44
    .sgpr_spill_count: 0
    .symbol:         _ZN4vllm25paged_attention_v2_kernelIttLi32ELi32ELi128ELNS_18Fp8KVCacheDataTypeE0ELb1ELi512EEEvPfS2_PT_PKS3_PKT0_S9_ifPKiSB_iPKfiiiSD_SD_iiiii.kd
    .uniform_work_group_size: 1
    .uses_dynamic_stack: false
    .vgpr_count:     81
    .vgpr_spill_count: 0
    .wavefront_size: 32
    .workgroup_processor_mode: 1
  - .args:
      - .actual_access:  write_only
        .address_space:  global
        .offset:         0
        .size:           8
        .value_kind:     global_buffer
      - .actual_access:  write_only
        .address_space:  global
        .offset:         8
        .size:           8
        .value_kind:     global_buffer
      - .actual_access:  write_only
        .address_space:  global
        .offset:         16
        .size:           8
        .value_kind:     global_buffer
      - .actual_access:  read_only
        .address_space:  global
        .offset:         24
        .size:           8
        .value_kind:     global_buffer
      - .actual_access:  read_only
        .address_space:  global
        .offset:         32
        .size:           8
        .value_kind:     global_buffer
      - .actual_access:  read_only
        .address_space:  global
        .offset:         40
        .size:           8
        .value_kind:     global_buffer
      - .offset:         48
        .size:           4
        .value_kind:     by_value
      - .offset:         52
        .size:           4
        .value_kind:     by_value
      - .actual_access:  read_only
        .address_space:  global
        .offset:         56
        .size:           8
        .value_kind:     global_buffer
      - .actual_access:  read_only
        .address_space:  global
        .offset:         64
        .size:           8
        .value_kind:     global_buffer
      - .offset:         72
        .size:           4
        .value_kind:     by_value
      - .actual_access:  read_only
        .address_space:  global
        .offset:         80
        .size:           8
        .value_kind:     global_buffer
      - .offset:         88
        .size:           4
        .value_kind:     by_value
      - .offset:         92
        .size:           4
        .value_kind:     by_value
      - .offset:         96
        .size:           4
        .value_kind:     by_value
      - .address_space:  global
        .offset:         104
        .size:           8
        .value_kind:     global_buffer
      - .address_space:  global
        .offset:         112
        .size:           8
        .value_kind:     global_buffer
      - .offset:         120
        .size:           4
        .value_kind:     by_value
      - .offset:         124
        .size:           4
        .value_kind:     by_value
      - .offset:         128
        .size:           4
        .value_kind:     by_value
      - .offset:         132
        .size:           4
        .value_kind:     by_value
      - .offset:         136
        .size:           4
        .value_kind:     by_value
      - .offset:         144
        .size:           4
        .value_kind:     hidden_block_count_x
      - .offset:         148
        .size:           4
        .value_kind:     hidden_block_count_y
      - .offset:         152
        .size:           4
        .value_kind:     hidden_block_count_z
      - .offset:         156
        .size:           2
        .value_kind:     hidden_group_size_x
      - .offset:         158
        .size:           2
        .value_kind:     hidden_group_size_y
      - .offset:         160
        .size:           2
        .value_kind:     hidden_group_size_z
      - .offset:         162
        .size:           2
        .value_kind:     hidden_remainder_x
      - .offset:         164
        .size:           2
        .value_kind:     hidden_remainder_y
      - .offset:         166
        .size:           2
        .value_kind:     hidden_remainder_z
      - .offset:         184
        .size:           8
        .value_kind:     hidden_global_offset_x
      - .offset:         192
        .size:           8
        .value_kind:     hidden_global_offset_y
      - .offset:         200
        .size:           8
        .value_kind:     hidden_global_offset_z
      - .offset:         208
        .size:           2
        .value_kind:     hidden_grid_dims
      - .offset:         264
        .size:           4
        .value_kind:     hidden_dynamic_lds_size
    .group_segment_fixed_size: 160
    .kernarg_segment_align: 8
    .kernarg_segment_size: 400
    .language:       OpenCL C
    .language_version:
      - 2
      - 0
    .max_flat_workgroup_size: 1024
    .name:           _ZN4vllm25paged_attention_v2_kernelIttLi64ELi32ELi128ELNS_18Fp8KVCacheDataTypeE0ELb1ELi512EEEvPfS2_PT_PKS3_PKT0_S9_ifPKiSB_iPKfiiiSD_SD_iiiii
    .private_segment_fixed_size: 0
    .sgpr_count:     44
    .sgpr_spill_count: 0
    .symbol:         _ZN4vllm25paged_attention_v2_kernelIttLi64ELi32ELi128ELNS_18Fp8KVCacheDataTypeE0ELb1ELi512EEEvPfS2_PT_PKS3_PKT0_S9_ifPKiSB_iPKfiiiSD_SD_iiiii.kd
    .uniform_work_group_size: 1
    .uses_dynamic_stack: false
    .vgpr_count:     131
    .vgpr_spill_count: 0
    .wavefront_size: 32
    .workgroup_processor_mode: 1
  - .args:
      - .actual_access:  write_only
        .address_space:  global
        .offset:         0
        .size:           8
        .value_kind:     global_buffer
      - .actual_access:  write_only
        .address_space:  global
        .offset:         8
        .size:           8
        .value_kind:     global_buffer
      - .actual_access:  write_only
        .address_space:  global
        .offset:         16
        .size:           8
        .value_kind:     global_buffer
      - .actual_access:  read_only
        .address_space:  global
        .offset:         24
        .size:           8
        .value_kind:     global_buffer
      - .actual_access:  read_only
        .address_space:  global
        .offset:         32
        .size:           8
        .value_kind:     global_buffer
      - .actual_access:  read_only
        .address_space:  global
        .offset:         40
        .size:           8
        .value_kind:     global_buffer
      - .offset:         48
        .size:           4
        .value_kind:     by_value
      - .offset:         52
        .size:           4
        .value_kind:     by_value
      - .actual_access:  read_only
        .address_space:  global
        .offset:         56
        .size:           8
        .value_kind:     global_buffer
      - .actual_access:  read_only
        .address_space:  global
        .offset:         64
        .size:           8
        .value_kind:     global_buffer
      - .offset:         72
        .size:           4
        .value_kind:     by_value
      - .actual_access:  read_only
        .address_space:  global
        .offset:         80
        .size:           8
        .value_kind:     global_buffer
      - .offset:         88
        .size:           4
        .value_kind:     by_value
      - .offset:         92
        .size:           4
        .value_kind:     by_value
      - .offset:         96
        .size:           4
        .value_kind:     by_value
      - .address_space:  global
        .offset:         104
        .size:           8
        .value_kind:     global_buffer
      - .address_space:  global
        .offset:         112
        .size:           8
        .value_kind:     global_buffer
      - .offset:         120
        .size:           4
        .value_kind:     by_value
      - .offset:         124
        .size:           4
        .value_kind:     by_value
      - .offset:         128
        .size:           4
        .value_kind:     by_value
      - .offset:         132
        .size:           4
        .value_kind:     by_value
      - .offset:         136
        .size:           4
        .value_kind:     by_value
      - .offset:         144
        .size:           4
        .value_kind:     hidden_block_count_x
      - .offset:         148
        .size:           4
        .value_kind:     hidden_block_count_y
      - .offset:         152
        .size:           4
        .value_kind:     hidden_block_count_z
      - .offset:         156
        .size:           2
        .value_kind:     hidden_group_size_x
      - .offset:         158
        .size:           2
        .value_kind:     hidden_group_size_y
      - .offset:         160
        .size:           2
        .value_kind:     hidden_group_size_z
      - .offset:         162
        .size:           2
        .value_kind:     hidden_remainder_x
      - .offset:         164
        .size:           2
        .value_kind:     hidden_remainder_y
      - .offset:         166
        .size:           2
        .value_kind:     hidden_remainder_z
      - .offset:         184
        .size:           8
        .value_kind:     hidden_global_offset_x
      - .offset:         192
        .size:           8
        .value_kind:     hidden_global_offset_y
      - .offset:         200
        .size:           8
        .value_kind:     hidden_global_offset_z
      - .offset:         208
        .size:           2
        .value_kind:     hidden_grid_dims
      - .offset:         264
        .size:           4
        .value_kind:     hidden_dynamic_lds_size
    .group_segment_fixed_size: 192
    .kernarg_segment_align: 8
    .kernarg_segment_size: 400
    .language:       OpenCL C
    .language_version:
      - 2
      - 0
    .max_flat_workgroup_size: 1024
    .name:           _ZN4vllm25paged_attention_v2_kernelIttLi80ELi32ELi128ELNS_18Fp8KVCacheDataTypeE0ELb1ELi512EEEvPfS2_PT_PKS3_PKT0_S9_ifPKiSB_iPKfiiiSD_SD_iiiii
    .private_segment_fixed_size: 0
    .sgpr_count:     44
    .sgpr_spill_count: 0
    .symbol:         _ZN4vllm25paged_attention_v2_kernelIttLi80ELi32ELi128ELNS_18Fp8KVCacheDataTypeE0ELb1ELi512EEEvPfS2_PT_PKS3_PKT0_S9_ifPKiSB_iPKfiiiSD_SD_iiiii.kd
    .uniform_work_group_size: 1
    .uses_dynamic_stack: false
    .vgpr_count:     139
    .vgpr_spill_count: 0
    .wavefront_size: 32
    .workgroup_processor_mode: 1
  - .args:
      - .actual_access:  write_only
        .address_space:  global
        .offset:         0
        .size:           8
        .value_kind:     global_buffer
      - .actual_access:  write_only
        .address_space:  global
        .offset:         8
        .size:           8
        .value_kind:     global_buffer
      - .actual_access:  write_only
        .address_space:  global
        .offset:         16
        .size:           8
        .value_kind:     global_buffer
      - .actual_access:  read_only
        .address_space:  global
        .offset:         24
        .size:           8
        .value_kind:     global_buffer
      - .actual_access:  read_only
        .address_space:  global
        .offset:         32
        .size:           8
        .value_kind:     global_buffer
      - .actual_access:  read_only
        .address_space:  global
        .offset:         40
        .size:           8
        .value_kind:     global_buffer
      - .offset:         48
        .size:           4
        .value_kind:     by_value
      - .offset:         52
        .size:           4
        .value_kind:     by_value
      - .actual_access:  read_only
        .address_space:  global
        .offset:         56
        .size:           8
        .value_kind:     global_buffer
      - .actual_access:  read_only
        .address_space:  global
        .offset:         64
        .size:           8
        .value_kind:     global_buffer
      - .offset:         72
        .size:           4
        .value_kind:     by_value
      - .actual_access:  read_only
        .address_space:  global
        .offset:         80
        .size:           8
        .value_kind:     global_buffer
      - .offset:         88
        .size:           4
        .value_kind:     by_value
      - .offset:         92
        .size:           4
        .value_kind:     by_value
      - .offset:         96
        .size:           4
        .value_kind:     by_value
      - .address_space:  global
        .offset:         104
        .size:           8
        .value_kind:     global_buffer
      - .address_space:  global
        .offset:         112
        .size:           8
        .value_kind:     global_buffer
      - .offset:         120
        .size:           4
        .value_kind:     by_value
      - .offset:         124
        .size:           4
        .value_kind:     by_value
      - .offset:         128
        .size:           4
        .value_kind:     by_value
      - .offset:         132
        .size:           4
        .value_kind:     by_value
      - .offset:         136
        .size:           4
        .value_kind:     by_value
      - .offset:         144
        .size:           4
        .value_kind:     hidden_block_count_x
      - .offset:         148
        .size:           4
        .value_kind:     hidden_block_count_y
      - .offset:         152
        .size:           4
        .value_kind:     hidden_block_count_z
      - .offset:         156
        .size:           2
        .value_kind:     hidden_group_size_x
      - .offset:         158
        .size:           2
        .value_kind:     hidden_group_size_y
      - .offset:         160
        .size:           2
        .value_kind:     hidden_group_size_z
      - .offset:         162
        .size:           2
        .value_kind:     hidden_remainder_x
      - .offset:         164
        .size:           2
        .value_kind:     hidden_remainder_y
      - .offset:         166
        .size:           2
        .value_kind:     hidden_remainder_z
      - .offset:         184
        .size:           8
        .value_kind:     hidden_global_offset_x
      - .offset:         192
        .size:           8
        .value_kind:     hidden_global_offset_y
      - .offset:         200
        .size:           8
        .value_kind:     hidden_global_offset_z
      - .offset:         208
        .size:           2
        .value_kind:     hidden_grid_dims
      - .offset:         264
        .size:           4
        .value_kind:     hidden_dynamic_lds_size
    .group_segment_fixed_size: 224
    .kernarg_segment_align: 8
    .kernarg_segment_size: 400
    .language:       OpenCL C
    .language_version:
      - 2
      - 0
    .max_flat_workgroup_size: 1024
    .name:           _ZN4vllm25paged_attention_v2_kernelIttLi96ELi32ELi128ELNS_18Fp8KVCacheDataTypeE0ELb1ELi512EEEvPfS2_PT_PKS3_PKT0_S9_ifPKiSB_iPKfiiiSD_SD_iiiii
    .private_segment_fixed_size: 0
    .sgpr_count:     44
    .sgpr_spill_count: 0
    .symbol:         _ZN4vllm25paged_attention_v2_kernelIttLi96ELi32ELi128ELNS_18Fp8KVCacheDataTypeE0ELb1ELi512EEEvPfS2_PT_PKS3_PKT0_S9_ifPKiSB_iPKfiiiSD_SD_iiiii.kd
    .uniform_work_group_size: 1
    .uses_dynamic_stack: false
    .vgpr_count:     155
    .vgpr_spill_count: 0
    .wavefront_size: 32
    .workgroup_processor_mode: 1
  - .args:
      - .actual_access:  write_only
        .address_space:  global
        .offset:         0
        .size:           8
        .value_kind:     global_buffer
      - .actual_access:  write_only
        .address_space:  global
        .offset:         8
        .size:           8
        .value_kind:     global_buffer
      - .actual_access:  write_only
        .address_space:  global
        .offset:         16
        .size:           8
        .value_kind:     global_buffer
      - .actual_access:  read_only
        .address_space:  global
        .offset:         24
        .size:           8
        .value_kind:     global_buffer
      - .actual_access:  read_only
        .address_space:  global
        .offset:         32
        .size:           8
        .value_kind:     global_buffer
      - .actual_access:  read_only
        .address_space:  global
        .offset:         40
        .size:           8
        .value_kind:     global_buffer
      - .offset:         48
        .size:           4
        .value_kind:     by_value
      - .offset:         52
        .size:           4
        .value_kind:     by_value
      - .actual_access:  read_only
        .address_space:  global
        .offset:         56
        .size:           8
        .value_kind:     global_buffer
      - .actual_access:  read_only
        .address_space:  global
        .offset:         64
        .size:           8
        .value_kind:     global_buffer
      - .offset:         72
        .size:           4
        .value_kind:     by_value
      - .actual_access:  read_only
        .address_space:  global
        .offset:         80
        .size:           8
        .value_kind:     global_buffer
      - .offset:         88
        .size:           4
        .value_kind:     by_value
      - .offset:         92
        .size:           4
        .value_kind:     by_value
      - .offset:         96
        .size:           4
        .value_kind:     by_value
      - .address_space:  global
        .offset:         104
        .size:           8
        .value_kind:     global_buffer
      - .address_space:  global
        .offset:         112
        .size:           8
        .value_kind:     global_buffer
      - .offset:         120
        .size:           4
        .value_kind:     by_value
      - .offset:         124
        .size:           4
        .value_kind:     by_value
      - .offset:         128
        .size:           4
        .value_kind:     by_value
      - .offset:         132
        .size:           4
        .value_kind:     by_value
      - .offset:         136
        .size:           4
        .value_kind:     by_value
      - .offset:         144
        .size:           4
        .value_kind:     hidden_block_count_x
      - .offset:         148
        .size:           4
        .value_kind:     hidden_block_count_y
      - .offset:         152
        .size:           4
        .value_kind:     hidden_block_count_z
      - .offset:         156
        .size:           2
        .value_kind:     hidden_group_size_x
      - .offset:         158
        .size:           2
        .value_kind:     hidden_group_size_y
      - .offset:         160
        .size:           2
        .value_kind:     hidden_group_size_z
      - .offset:         162
        .size:           2
        .value_kind:     hidden_remainder_x
      - .offset:         164
        .size:           2
        .value_kind:     hidden_remainder_y
      - .offset:         166
        .size:           2
        .value_kind:     hidden_remainder_z
      - .offset:         184
        .size:           8
        .value_kind:     hidden_global_offset_x
      - .offset:         192
        .size:           8
        .value_kind:     hidden_global_offset_y
      - .offset:         200
        .size:           8
        .value_kind:     hidden_global_offset_z
      - .offset:         208
        .size:           2
        .value_kind:     hidden_grid_dims
      - .offset:         264
        .size:           4
        .value_kind:     hidden_dynamic_lds_size
    .group_segment_fixed_size: 256
    .kernarg_segment_align: 8
    .kernarg_segment_size: 400
    .language:       OpenCL C
    .language_version:
      - 2
      - 0
    .max_flat_workgroup_size: 1024
    .name:           _ZN4vllm25paged_attention_v2_kernelIttLi112ELi32ELi128ELNS_18Fp8KVCacheDataTypeE0ELb1ELi512EEEvPfS2_PT_PKS3_PKT0_S9_ifPKiSB_iPKfiiiSD_SD_iiiii
    .private_segment_fixed_size: 0
    .sgpr_count:     44
    .sgpr_spill_count: 0
    .symbol:         _ZN4vllm25paged_attention_v2_kernelIttLi112ELi32ELi128ELNS_18Fp8KVCacheDataTypeE0ELb1ELi512EEEvPfS2_PT_PKS3_PKT0_S9_ifPKiSB_iPKfiiiSD_SD_iiiii.kd
    .uniform_work_group_size: 1
    .uses_dynamic_stack: false
    .vgpr_count:     179
    .vgpr_spill_count: 0
    .wavefront_size: 32
    .workgroup_processor_mode: 1
  - .args:
      - .actual_access:  write_only
        .address_space:  global
        .offset:         0
        .size:           8
        .value_kind:     global_buffer
      - .actual_access:  write_only
        .address_space:  global
        .offset:         8
        .size:           8
        .value_kind:     global_buffer
      - .actual_access:  write_only
        .address_space:  global
        .offset:         16
        .size:           8
        .value_kind:     global_buffer
      - .actual_access:  read_only
        .address_space:  global
        .offset:         24
        .size:           8
        .value_kind:     global_buffer
      - .actual_access:  read_only
        .address_space:  global
        .offset:         32
        .size:           8
        .value_kind:     global_buffer
      - .actual_access:  read_only
        .address_space:  global
        .offset:         40
        .size:           8
        .value_kind:     global_buffer
      - .offset:         48
        .size:           4
        .value_kind:     by_value
      - .offset:         52
        .size:           4
        .value_kind:     by_value
      - .actual_access:  read_only
        .address_space:  global
        .offset:         56
        .size:           8
        .value_kind:     global_buffer
      - .actual_access:  read_only
        .address_space:  global
        .offset:         64
        .size:           8
        .value_kind:     global_buffer
      - .offset:         72
        .size:           4
        .value_kind:     by_value
      - .actual_access:  read_only
        .address_space:  global
        .offset:         80
        .size:           8
        .value_kind:     global_buffer
      - .offset:         88
        .size:           4
        .value_kind:     by_value
      - .offset:         92
        .size:           4
        .value_kind:     by_value
      - .offset:         96
        .size:           4
        .value_kind:     by_value
      - .address_space:  global
        .offset:         104
        .size:           8
        .value_kind:     global_buffer
      - .address_space:  global
        .offset:         112
        .size:           8
        .value_kind:     global_buffer
      - .offset:         120
        .size:           4
        .value_kind:     by_value
      - .offset:         124
        .size:           4
        .value_kind:     by_value
      - .offset:         128
        .size:           4
        .value_kind:     by_value
      - .offset:         132
        .size:           4
        .value_kind:     by_value
      - .offset:         136
        .size:           4
        .value_kind:     by_value
      - .offset:         144
        .size:           4
        .value_kind:     hidden_block_count_x
      - .offset:         148
        .size:           4
        .value_kind:     hidden_block_count_y
      - .offset:         152
        .size:           4
        .value_kind:     hidden_block_count_z
      - .offset:         156
        .size:           2
        .value_kind:     hidden_group_size_x
      - .offset:         158
        .size:           2
        .value_kind:     hidden_group_size_y
      - .offset:         160
        .size:           2
        .value_kind:     hidden_group_size_z
      - .offset:         162
        .size:           2
        .value_kind:     hidden_remainder_x
      - .offset:         164
        .size:           2
        .value_kind:     hidden_remainder_y
      - .offset:         166
        .size:           2
        .value_kind:     hidden_remainder_z
      - .offset:         184
        .size:           8
        .value_kind:     hidden_global_offset_x
      - .offset:         192
        .size:           8
        .value_kind:     hidden_global_offset_y
      - .offset:         200
        .size:           8
        .value_kind:     hidden_global_offset_z
      - .offset:         208
        .size:           2
        .value_kind:     hidden_grid_dims
      - .offset:         264
        .size:           4
        .value_kind:     hidden_dynamic_lds_size
    .group_segment_fixed_size: 272
    .kernarg_segment_align: 8
    .kernarg_segment_size: 400
    .language:       OpenCL C
    .language_version:
      - 2
      - 0
    .max_flat_workgroup_size: 1024
    .name:           _ZN4vllm25paged_attention_v2_kernelIttLi120ELi32ELi128ELNS_18Fp8KVCacheDataTypeE0ELb1ELi512EEEvPfS2_PT_PKS3_PKT0_S9_ifPKiSB_iPKfiiiSD_SD_iiiii
    .private_segment_fixed_size: 0
    .sgpr_count:     44
    .sgpr_spill_count: 0
    .symbol:         _ZN4vllm25paged_attention_v2_kernelIttLi120ELi32ELi128ELNS_18Fp8KVCacheDataTypeE0ELb1ELi512EEEvPfS2_PT_PKS3_PKT0_S9_ifPKiSB_iPKfiiiSD_SD_iiiii.kd
    .uniform_work_group_size: 1
    .uses_dynamic_stack: false
    .vgpr_count:     98
    .vgpr_spill_count: 0
    .wavefront_size: 32
    .workgroup_processor_mode: 1
  - .args:
      - .actual_access:  write_only
        .address_space:  global
        .offset:         0
        .size:           8
        .value_kind:     global_buffer
      - .actual_access:  write_only
        .address_space:  global
        .offset:         8
        .size:           8
        .value_kind:     global_buffer
      - .actual_access:  write_only
        .address_space:  global
        .offset:         16
        .size:           8
        .value_kind:     global_buffer
      - .actual_access:  read_only
        .address_space:  global
        .offset:         24
        .size:           8
        .value_kind:     global_buffer
      - .actual_access:  read_only
        .address_space:  global
        .offset:         32
        .size:           8
        .value_kind:     global_buffer
      - .actual_access:  read_only
        .address_space:  global
        .offset:         40
        .size:           8
        .value_kind:     global_buffer
      - .offset:         48
        .size:           4
        .value_kind:     by_value
      - .offset:         52
        .size:           4
        .value_kind:     by_value
      - .actual_access:  read_only
        .address_space:  global
        .offset:         56
        .size:           8
        .value_kind:     global_buffer
      - .actual_access:  read_only
        .address_space:  global
        .offset:         64
        .size:           8
        .value_kind:     global_buffer
      - .offset:         72
        .size:           4
        .value_kind:     by_value
      - .actual_access:  read_only
        .address_space:  global
        .offset:         80
        .size:           8
        .value_kind:     global_buffer
      - .offset:         88
        .size:           4
        .value_kind:     by_value
      - .offset:         92
        .size:           4
        .value_kind:     by_value
      - .offset:         96
        .size:           4
        .value_kind:     by_value
      - .address_space:  global
        .offset:         104
        .size:           8
        .value_kind:     global_buffer
      - .address_space:  global
        .offset:         112
        .size:           8
        .value_kind:     global_buffer
      - .offset:         120
        .size:           4
        .value_kind:     by_value
      - .offset:         124
        .size:           4
        .value_kind:     by_value
      - .offset:         128
        .size:           4
        .value_kind:     by_value
      - .offset:         132
        .size:           4
        .value_kind:     by_value
      - .offset:         136
        .size:           4
        .value_kind:     by_value
      - .offset:         144
        .size:           4
        .value_kind:     hidden_block_count_x
      - .offset:         148
        .size:           4
        .value_kind:     hidden_block_count_y
      - .offset:         152
        .size:           4
        .value_kind:     hidden_block_count_z
      - .offset:         156
        .size:           2
        .value_kind:     hidden_group_size_x
      - .offset:         158
        .size:           2
        .value_kind:     hidden_group_size_y
      - .offset:         160
        .size:           2
        .value_kind:     hidden_group_size_z
      - .offset:         162
        .size:           2
        .value_kind:     hidden_remainder_x
      - .offset:         164
        .size:           2
        .value_kind:     hidden_remainder_y
      - .offset:         166
        .size:           2
        .value_kind:     hidden_remainder_z
      - .offset:         184
        .size:           8
        .value_kind:     hidden_global_offset_x
      - .offset:         192
        .size:           8
        .value_kind:     hidden_global_offset_y
      - .offset:         200
        .size:           8
        .value_kind:     hidden_global_offset_z
      - .offset:         208
        .size:           2
        .value_kind:     hidden_grid_dims
      - .offset:         264
        .size:           4
        .value_kind:     hidden_dynamic_lds_size
    .group_segment_fixed_size: 288
    .kernarg_segment_align: 8
    .kernarg_segment_size: 400
    .language:       OpenCL C
    .language_version:
      - 2
      - 0
    .max_flat_workgroup_size: 1024
    .name:           _ZN4vllm25paged_attention_v2_kernelIttLi128ELi32ELi128ELNS_18Fp8KVCacheDataTypeE0ELb1ELi512EEEvPfS2_PT_PKS3_PKT0_S9_ifPKiSB_iPKfiiiSD_SD_iiiii
    .private_segment_fixed_size: 0
    .sgpr_count:     44
    .sgpr_spill_count: 0
    .symbol:         _ZN4vllm25paged_attention_v2_kernelIttLi128ELi32ELi128ELNS_18Fp8KVCacheDataTypeE0ELb1ELi512EEEvPfS2_PT_PKS3_PKT0_S9_ifPKiSB_iPKfiiiSD_SD_iiiii.kd
    .uniform_work_group_size: 1
    .uses_dynamic_stack: false
    .vgpr_count:     102
    .vgpr_spill_count: 0
    .wavefront_size: 32
    .workgroup_processor_mode: 1
  - .args:
      - .actual_access:  write_only
        .address_space:  global
        .offset:         0
        .size:           8
        .value_kind:     global_buffer
      - .actual_access:  write_only
        .address_space:  global
        .offset:         8
        .size:           8
        .value_kind:     global_buffer
      - .actual_access:  write_only
        .address_space:  global
        .offset:         16
        .size:           8
        .value_kind:     global_buffer
      - .actual_access:  read_only
        .address_space:  global
        .offset:         24
        .size:           8
        .value_kind:     global_buffer
      - .actual_access:  read_only
        .address_space:  global
        .offset:         32
        .size:           8
        .value_kind:     global_buffer
      - .actual_access:  read_only
        .address_space:  global
        .offset:         40
        .size:           8
        .value_kind:     global_buffer
      - .offset:         48
        .size:           4
        .value_kind:     by_value
      - .offset:         52
        .size:           4
        .value_kind:     by_value
      - .actual_access:  read_only
        .address_space:  global
        .offset:         56
        .size:           8
        .value_kind:     global_buffer
      - .actual_access:  read_only
        .address_space:  global
        .offset:         64
        .size:           8
        .value_kind:     global_buffer
      - .offset:         72
        .size:           4
        .value_kind:     by_value
      - .actual_access:  read_only
        .address_space:  global
        .offset:         80
        .size:           8
        .value_kind:     global_buffer
      - .offset:         88
        .size:           4
        .value_kind:     by_value
      - .offset:         92
        .size:           4
        .value_kind:     by_value
      - .offset:         96
        .size:           4
        .value_kind:     by_value
      - .address_space:  global
        .offset:         104
        .size:           8
        .value_kind:     global_buffer
      - .address_space:  global
        .offset:         112
        .size:           8
        .value_kind:     global_buffer
      - .offset:         120
        .size:           4
        .value_kind:     by_value
      - .offset:         124
        .size:           4
        .value_kind:     by_value
      - .offset:         128
        .size:           4
        .value_kind:     by_value
      - .offset:         132
        .size:           4
        .value_kind:     by_value
      - .offset:         136
        .size:           4
        .value_kind:     by_value
      - .offset:         144
        .size:           4
        .value_kind:     hidden_block_count_x
      - .offset:         148
        .size:           4
        .value_kind:     hidden_block_count_y
      - .offset:         152
        .size:           4
        .value_kind:     hidden_block_count_z
      - .offset:         156
        .size:           2
        .value_kind:     hidden_group_size_x
      - .offset:         158
        .size:           2
        .value_kind:     hidden_group_size_y
      - .offset:         160
        .size:           2
        .value_kind:     hidden_group_size_z
      - .offset:         162
        .size:           2
        .value_kind:     hidden_remainder_x
      - .offset:         164
        .size:           2
        .value_kind:     hidden_remainder_y
      - .offset:         166
        .size:           2
        .value_kind:     hidden_remainder_z
      - .offset:         184
        .size:           8
        .value_kind:     hidden_global_offset_x
      - .offset:         192
        .size:           8
        .value_kind:     hidden_global_offset_y
      - .offset:         200
        .size:           8
        .value_kind:     hidden_global_offset_z
      - .offset:         208
        .size:           2
        .value_kind:     hidden_grid_dims
      - .offset:         264
        .size:           4
        .value_kind:     hidden_dynamic_lds_size
    .group_segment_fixed_size: 416
    .kernarg_segment_align: 8
    .kernarg_segment_size: 400
    .language:       OpenCL C
    .language_version:
      - 2
      - 0
    .max_flat_workgroup_size: 1024
    .name:           _ZN4vllm25paged_attention_v2_kernelIttLi192ELi32ELi128ELNS_18Fp8KVCacheDataTypeE0ELb1ELi512EEEvPfS2_PT_PKS3_PKT0_S9_ifPKiSB_iPKfiiiSD_SD_iiiii
    .private_segment_fixed_size: 0
    .sgpr_count:     44
    .sgpr_spill_count: 0
    .symbol:         _ZN4vllm25paged_attention_v2_kernelIttLi192ELi32ELi128ELNS_18Fp8KVCacheDataTypeE0ELb1ELi512EEEvPfS2_PT_PKS3_PKT0_S9_ifPKiSB_iPKfiiiSD_SD_iiiii.kd
    .uniform_work_group_size: 1
    .uses_dynamic_stack: false
    .vgpr_count:     132
    .vgpr_spill_count: 0
    .wavefront_size: 32
    .workgroup_processor_mode: 1
  - .args:
      - .actual_access:  write_only
        .address_space:  global
        .offset:         0
        .size:           8
        .value_kind:     global_buffer
      - .actual_access:  write_only
        .address_space:  global
        .offset:         8
        .size:           8
        .value_kind:     global_buffer
      - .actual_access:  write_only
        .address_space:  global
        .offset:         16
        .size:           8
        .value_kind:     global_buffer
      - .actual_access:  read_only
        .address_space:  global
        .offset:         24
        .size:           8
        .value_kind:     global_buffer
      - .actual_access:  read_only
        .address_space:  global
        .offset:         32
        .size:           8
        .value_kind:     global_buffer
      - .actual_access:  read_only
        .address_space:  global
        .offset:         40
        .size:           8
        .value_kind:     global_buffer
      - .offset:         48
        .size:           4
        .value_kind:     by_value
      - .offset:         52
        .size:           4
        .value_kind:     by_value
      - .actual_access:  read_only
        .address_space:  global
        .offset:         56
        .size:           8
        .value_kind:     global_buffer
      - .actual_access:  read_only
        .address_space:  global
        .offset:         64
        .size:           8
        .value_kind:     global_buffer
      - .offset:         72
        .size:           4
        .value_kind:     by_value
      - .actual_access:  read_only
        .address_space:  global
        .offset:         80
        .size:           8
        .value_kind:     global_buffer
      - .offset:         88
        .size:           4
        .value_kind:     by_value
      - .offset:         92
        .size:           4
        .value_kind:     by_value
      - .offset:         96
        .size:           4
        .value_kind:     by_value
      - .address_space:  global
        .offset:         104
        .size:           8
        .value_kind:     global_buffer
      - .address_space:  global
        .offset:         112
        .size:           8
        .value_kind:     global_buffer
      - .offset:         120
        .size:           4
        .value_kind:     by_value
      - .offset:         124
        .size:           4
        .value_kind:     by_value
      - .offset:         128
        .size:           4
        .value_kind:     by_value
      - .offset:         132
        .size:           4
        .value_kind:     by_value
      - .offset:         136
        .size:           4
        .value_kind:     by_value
      - .offset:         144
        .size:           4
        .value_kind:     hidden_block_count_x
      - .offset:         148
        .size:           4
        .value_kind:     hidden_block_count_y
      - .offset:         152
        .size:           4
        .value_kind:     hidden_block_count_z
      - .offset:         156
        .size:           2
        .value_kind:     hidden_group_size_x
      - .offset:         158
        .size:           2
        .value_kind:     hidden_group_size_y
      - .offset:         160
        .size:           2
        .value_kind:     hidden_group_size_z
      - .offset:         162
        .size:           2
        .value_kind:     hidden_remainder_x
      - .offset:         164
        .size:           2
        .value_kind:     hidden_remainder_y
      - .offset:         166
        .size:           2
        .value_kind:     hidden_remainder_z
      - .offset:         184
        .size:           8
        .value_kind:     hidden_global_offset_x
      - .offset:         192
        .size:           8
        .value_kind:     hidden_global_offset_y
      - .offset:         200
        .size:           8
        .value_kind:     hidden_global_offset_z
      - .offset:         208
        .size:           2
        .value_kind:     hidden_grid_dims
      - .offset:         264
        .size:           4
        .value_kind:     hidden_dynamic_lds_size
    .group_segment_fixed_size: 544
    .kernarg_segment_align: 8
    .kernarg_segment_size: 400
    .language:       OpenCL C
    .language_version:
      - 2
      - 0
    .max_flat_workgroup_size: 1024
    .name:           _ZN4vllm25paged_attention_v2_kernelIttLi256ELi32ELi128ELNS_18Fp8KVCacheDataTypeE0ELb1ELi512EEEvPfS2_PT_PKS3_PKT0_S9_ifPKiSB_iPKfiiiSD_SD_iiiii
    .private_segment_fixed_size: 0
    .sgpr_count:     44
    .sgpr_spill_count: 0
    .symbol:         _ZN4vllm25paged_attention_v2_kernelIttLi256ELi32ELi128ELNS_18Fp8KVCacheDataTypeE0ELb1ELi512EEEvPfS2_PT_PKS3_PKT0_S9_ifPKiSB_iPKfiiiSD_SD_iiiii.kd
    .uniform_work_group_size: 1
    .uses_dynamic_stack: false
    .vgpr_count:     163
    .vgpr_spill_count: 0
    .wavefront_size: 32
    .workgroup_processor_mode: 1
  - .args:
      - .actual_access:  write_only
        .address_space:  global
        .offset:         0
        .size:           8
        .value_kind:     global_buffer
      - .actual_access:  write_only
        .address_space:  global
        .offset:         8
        .size:           8
        .value_kind:     global_buffer
      - .actual_access:  write_only
        .address_space:  global
        .offset:         16
        .size:           8
        .value_kind:     global_buffer
      - .actual_access:  read_only
        .address_space:  global
        .offset:         24
        .size:           8
        .value_kind:     global_buffer
      - .actual_access:  read_only
        .address_space:  global
        .offset:         32
        .size:           8
        .value_kind:     global_buffer
      - .actual_access:  read_only
        .address_space:  global
        .offset:         40
        .size:           8
        .value_kind:     global_buffer
      - .offset:         48
        .size:           4
        .value_kind:     by_value
      - .offset:         52
        .size:           4
        .value_kind:     by_value
      - .actual_access:  read_only
        .address_space:  global
        .offset:         56
        .size:           8
        .value_kind:     global_buffer
      - .actual_access:  read_only
        .address_space:  global
        .offset:         64
        .size:           8
        .value_kind:     global_buffer
      - .offset:         72
        .size:           4
        .value_kind:     by_value
      - .actual_access:  read_only
        .address_space:  global
        .offset:         80
        .size:           8
        .value_kind:     global_buffer
      - .offset:         88
        .size:           4
        .value_kind:     by_value
      - .offset:         92
        .size:           4
        .value_kind:     by_value
      - .offset:         96
        .size:           4
        .value_kind:     by_value
      - .address_space:  global
        .offset:         104
        .size:           8
        .value_kind:     global_buffer
      - .address_space:  global
        .offset:         112
        .size:           8
        .value_kind:     global_buffer
      - .offset:         120
        .size:           4
        .value_kind:     by_value
      - .offset:         124
        .size:           4
        .value_kind:     by_value
      - .offset:         128
        .size:           4
        .value_kind:     by_value
      - .offset:         132
        .size:           4
        .value_kind:     by_value
      - .offset:         136
        .size:           4
        .value_kind:     by_value
      - .offset:         144
        .size:           4
        .value_kind:     hidden_block_count_x
      - .offset:         148
        .size:           4
        .value_kind:     hidden_block_count_y
      - .offset:         152
        .size:           4
        .value_kind:     hidden_block_count_z
      - .offset:         156
        .size:           2
        .value_kind:     hidden_group_size_x
      - .offset:         158
        .size:           2
        .value_kind:     hidden_group_size_y
      - .offset:         160
        .size:           2
        .value_kind:     hidden_group_size_z
      - .offset:         162
        .size:           2
        .value_kind:     hidden_remainder_x
      - .offset:         164
        .size:           2
        .value_kind:     hidden_remainder_y
      - .offset:         166
        .size:           2
        .value_kind:     hidden_remainder_z
      - .offset:         184
        .size:           8
        .value_kind:     hidden_global_offset_x
      - .offset:         192
        .size:           8
        .value_kind:     hidden_global_offset_y
      - .offset:         200
        .size:           8
        .value_kind:     hidden_global_offset_z
      - .offset:         208
        .size:           2
        .value_kind:     hidden_grid_dims
      - .offset:         264
        .size:           4
        .value_kind:     hidden_dynamic_lds_size
    .group_segment_fixed_size: 96
    .kernarg_segment_align: 8
    .kernarg_segment_size: 400
    .language:       OpenCL C
    .language_version:
      - 2
      - 0
    .max_flat_workgroup_size: 1024
    .name:           _ZN4vllm25paged_attention_v2_kernelIttLi32ELi32ELi128ELNS_18Fp8KVCacheDataTypeE0ELb0ELi512EEEvPfS2_PT_PKS3_PKT0_S9_ifPKiSB_iPKfiiiSD_SD_iiiii
    .private_segment_fixed_size: 0
    .sgpr_count:     38
    .sgpr_spill_count: 0
    .symbol:         _ZN4vllm25paged_attention_v2_kernelIttLi32ELi32ELi128ELNS_18Fp8KVCacheDataTypeE0ELb0ELi512EEEvPfS2_PT_PKS3_PKT0_S9_ifPKiSB_iPKfiiiSD_SD_iiiii.kd
    .uniform_work_group_size: 1
    .uses_dynamic_stack: false
    .vgpr_count:     72
    .vgpr_spill_count: 0
    .wavefront_size: 32
    .workgroup_processor_mode: 1
  - .args:
      - .actual_access:  write_only
        .address_space:  global
        .offset:         0
        .size:           8
        .value_kind:     global_buffer
      - .actual_access:  write_only
        .address_space:  global
        .offset:         8
        .size:           8
        .value_kind:     global_buffer
      - .actual_access:  write_only
        .address_space:  global
        .offset:         16
        .size:           8
        .value_kind:     global_buffer
      - .actual_access:  read_only
        .address_space:  global
        .offset:         24
        .size:           8
        .value_kind:     global_buffer
      - .actual_access:  read_only
        .address_space:  global
        .offset:         32
        .size:           8
        .value_kind:     global_buffer
      - .actual_access:  read_only
        .address_space:  global
        .offset:         40
        .size:           8
        .value_kind:     global_buffer
      - .offset:         48
        .size:           4
        .value_kind:     by_value
      - .offset:         52
        .size:           4
        .value_kind:     by_value
      - .actual_access:  read_only
        .address_space:  global
        .offset:         56
        .size:           8
        .value_kind:     global_buffer
      - .actual_access:  read_only
        .address_space:  global
        .offset:         64
        .size:           8
        .value_kind:     global_buffer
      - .offset:         72
        .size:           4
        .value_kind:     by_value
      - .actual_access:  read_only
        .address_space:  global
        .offset:         80
        .size:           8
        .value_kind:     global_buffer
      - .offset:         88
        .size:           4
        .value_kind:     by_value
      - .offset:         92
        .size:           4
        .value_kind:     by_value
      - .offset:         96
        .size:           4
        .value_kind:     by_value
      - .address_space:  global
        .offset:         104
        .size:           8
        .value_kind:     global_buffer
      - .address_space:  global
        .offset:         112
        .size:           8
        .value_kind:     global_buffer
      - .offset:         120
        .size:           4
        .value_kind:     by_value
      - .offset:         124
        .size:           4
        .value_kind:     by_value
      - .offset:         128
        .size:           4
        .value_kind:     by_value
      - .offset:         132
        .size:           4
        .value_kind:     by_value
      - .offset:         136
        .size:           4
        .value_kind:     by_value
      - .offset:         144
        .size:           4
        .value_kind:     hidden_block_count_x
      - .offset:         148
        .size:           4
        .value_kind:     hidden_block_count_y
      - .offset:         152
        .size:           4
        .value_kind:     hidden_block_count_z
      - .offset:         156
        .size:           2
        .value_kind:     hidden_group_size_x
      - .offset:         158
        .size:           2
        .value_kind:     hidden_group_size_y
      - .offset:         160
        .size:           2
        .value_kind:     hidden_group_size_z
      - .offset:         162
        .size:           2
        .value_kind:     hidden_remainder_x
      - .offset:         164
        .size:           2
        .value_kind:     hidden_remainder_y
      - .offset:         166
        .size:           2
        .value_kind:     hidden_remainder_z
      - .offset:         184
        .size:           8
        .value_kind:     hidden_global_offset_x
      - .offset:         192
        .size:           8
        .value_kind:     hidden_global_offset_y
      - .offset:         200
        .size:           8
        .value_kind:     hidden_global_offset_z
      - .offset:         208
        .size:           2
        .value_kind:     hidden_grid_dims
      - .offset:         264
        .size:           4
        .value_kind:     hidden_dynamic_lds_size
    .group_segment_fixed_size: 160
    .kernarg_segment_align: 8
    .kernarg_segment_size: 400
    .language:       OpenCL C
    .language_version:
      - 2
      - 0
    .max_flat_workgroup_size: 1024
    .name:           _ZN4vllm25paged_attention_v2_kernelIttLi64ELi32ELi128ELNS_18Fp8KVCacheDataTypeE0ELb0ELi512EEEvPfS2_PT_PKS3_PKT0_S9_ifPKiSB_iPKfiiiSD_SD_iiiii
    .private_segment_fixed_size: 0
    .sgpr_count:     38
    .sgpr_spill_count: 0
    .symbol:         _ZN4vllm25paged_attention_v2_kernelIttLi64ELi32ELi128ELNS_18Fp8KVCacheDataTypeE0ELb0ELi512EEEvPfS2_PT_PKS3_PKT0_S9_ifPKiSB_iPKfiiiSD_SD_iiiii.kd
    .uniform_work_group_size: 1
    .uses_dynamic_stack: false
    .vgpr_count:     118
    .vgpr_spill_count: 0
    .wavefront_size: 32
    .workgroup_processor_mode: 1
  - .args:
      - .actual_access:  write_only
        .address_space:  global
        .offset:         0
        .size:           8
        .value_kind:     global_buffer
      - .actual_access:  write_only
        .address_space:  global
        .offset:         8
        .size:           8
        .value_kind:     global_buffer
      - .actual_access:  write_only
        .address_space:  global
        .offset:         16
        .size:           8
        .value_kind:     global_buffer
      - .actual_access:  read_only
        .address_space:  global
        .offset:         24
        .size:           8
        .value_kind:     global_buffer
      - .actual_access:  read_only
        .address_space:  global
        .offset:         32
        .size:           8
        .value_kind:     global_buffer
      - .actual_access:  read_only
        .address_space:  global
        .offset:         40
        .size:           8
        .value_kind:     global_buffer
      - .offset:         48
        .size:           4
        .value_kind:     by_value
      - .offset:         52
        .size:           4
        .value_kind:     by_value
      - .actual_access:  read_only
        .address_space:  global
        .offset:         56
        .size:           8
        .value_kind:     global_buffer
      - .actual_access:  read_only
        .address_space:  global
        .offset:         64
        .size:           8
        .value_kind:     global_buffer
      - .offset:         72
        .size:           4
        .value_kind:     by_value
      - .actual_access:  read_only
        .address_space:  global
        .offset:         80
        .size:           8
        .value_kind:     global_buffer
      - .offset:         88
        .size:           4
        .value_kind:     by_value
      - .offset:         92
        .size:           4
        .value_kind:     by_value
      - .offset:         96
        .size:           4
        .value_kind:     by_value
      - .address_space:  global
        .offset:         104
        .size:           8
        .value_kind:     global_buffer
      - .address_space:  global
        .offset:         112
        .size:           8
        .value_kind:     global_buffer
      - .offset:         120
        .size:           4
        .value_kind:     by_value
      - .offset:         124
        .size:           4
        .value_kind:     by_value
      - .offset:         128
        .size:           4
        .value_kind:     by_value
      - .offset:         132
        .size:           4
        .value_kind:     by_value
      - .offset:         136
        .size:           4
        .value_kind:     by_value
      - .offset:         144
        .size:           4
        .value_kind:     hidden_block_count_x
      - .offset:         148
        .size:           4
        .value_kind:     hidden_block_count_y
      - .offset:         152
        .size:           4
        .value_kind:     hidden_block_count_z
      - .offset:         156
        .size:           2
        .value_kind:     hidden_group_size_x
      - .offset:         158
        .size:           2
        .value_kind:     hidden_group_size_y
      - .offset:         160
        .size:           2
        .value_kind:     hidden_group_size_z
      - .offset:         162
        .size:           2
        .value_kind:     hidden_remainder_x
      - .offset:         164
        .size:           2
        .value_kind:     hidden_remainder_y
      - .offset:         166
        .size:           2
        .value_kind:     hidden_remainder_z
      - .offset:         184
        .size:           8
        .value_kind:     hidden_global_offset_x
      - .offset:         192
        .size:           8
        .value_kind:     hidden_global_offset_y
      - .offset:         200
        .size:           8
        .value_kind:     hidden_global_offset_z
      - .offset:         208
        .size:           2
        .value_kind:     hidden_grid_dims
      - .offset:         264
        .size:           4
        .value_kind:     hidden_dynamic_lds_size
    .group_segment_fixed_size: 192
    .kernarg_segment_align: 8
    .kernarg_segment_size: 400
    .language:       OpenCL C
    .language_version:
      - 2
      - 0
    .max_flat_workgroup_size: 1024
    .name:           _ZN4vllm25paged_attention_v2_kernelIttLi80ELi32ELi128ELNS_18Fp8KVCacheDataTypeE0ELb0ELi512EEEvPfS2_PT_PKS3_PKT0_S9_ifPKiSB_iPKfiiiSD_SD_iiiii
    .private_segment_fixed_size: 0
    .sgpr_count:     38
    .sgpr_spill_count: 0
    .symbol:         _ZN4vllm25paged_attention_v2_kernelIttLi80ELi32ELi128ELNS_18Fp8KVCacheDataTypeE0ELb0ELi512EEEvPfS2_PT_PKS3_PKT0_S9_ifPKiSB_iPKfiiiSD_SD_iiiii.kd
    .uniform_work_group_size: 1
    .uses_dynamic_stack: false
    .vgpr_count:     136
    .vgpr_spill_count: 0
    .wavefront_size: 32
    .workgroup_processor_mode: 1
  - .args:
      - .actual_access:  write_only
        .address_space:  global
        .offset:         0
        .size:           8
        .value_kind:     global_buffer
      - .actual_access:  write_only
        .address_space:  global
        .offset:         8
        .size:           8
        .value_kind:     global_buffer
      - .actual_access:  write_only
        .address_space:  global
        .offset:         16
        .size:           8
        .value_kind:     global_buffer
      - .actual_access:  read_only
        .address_space:  global
        .offset:         24
        .size:           8
        .value_kind:     global_buffer
      - .actual_access:  read_only
        .address_space:  global
        .offset:         32
        .size:           8
        .value_kind:     global_buffer
      - .actual_access:  read_only
        .address_space:  global
        .offset:         40
        .size:           8
        .value_kind:     global_buffer
      - .offset:         48
        .size:           4
        .value_kind:     by_value
      - .offset:         52
        .size:           4
        .value_kind:     by_value
      - .actual_access:  read_only
        .address_space:  global
        .offset:         56
        .size:           8
        .value_kind:     global_buffer
      - .actual_access:  read_only
        .address_space:  global
        .offset:         64
        .size:           8
        .value_kind:     global_buffer
      - .offset:         72
        .size:           4
        .value_kind:     by_value
      - .actual_access:  read_only
        .address_space:  global
        .offset:         80
        .size:           8
        .value_kind:     global_buffer
      - .offset:         88
        .size:           4
        .value_kind:     by_value
      - .offset:         92
        .size:           4
        .value_kind:     by_value
      - .offset:         96
        .size:           4
        .value_kind:     by_value
      - .address_space:  global
        .offset:         104
        .size:           8
        .value_kind:     global_buffer
      - .address_space:  global
        .offset:         112
        .size:           8
        .value_kind:     global_buffer
      - .offset:         120
        .size:           4
        .value_kind:     by_value
      - .offset:         124
        .size:           4
        .value_kind:     by_value
      - .offset:         128
        .size:           4
        .value_kind:     by_value
      - .offset:         132
        .size:           4
        .value_kind:     by_value
      - .offset:         136
        .size:           4
        .value_kind:     by_value
      - .offset:         144
        .size:           4
        .value_kind:     hidden_block_count_x
      - .offset:         148
        .size:           4
        .value_kind:     hidden_block_count_y
      - .offset:         152
        .size:           4
        .value_kind:     hidden_block_count_z
      - .offset:         156
        .size:           2
        .value_kind:     hidden_group_size_x
      - .offset:         158
        .size:           2
        .value_kind:     hidden_group_size_y
      - .offset:         160
        .size:           2
        .value_kind:     hidden_group_size_z
      - .offset:         162
        .size:           2
        .value_kind:     hidden_remainder_x
      - .offset:         164
        .size:           2
        .value_kind:     hidden_remainder_y
      - .offset:         166
        .size:           2
        .value_kind:     hidden_remainder_z
      - .offset:         184
        .size:           8
        .value_kind:     hidden_global_offset_x
      - .offset:         192
        .size:           8
        .value_kind:     hidden_global_offset_y
      - .offset:         200
        .size:           8
        .value_kind:     hidden_global_offset_z
      - .offset:         208
        .size:           2
        .value_kind:     hidden_grid_dims
      - .offset:         264
        .size:           4
        .value_kind:     hidden_dynamic_lds_size
    .group_segment_fixed_size: 224
    .kernarg_segment_align: 8
    .kernarg_segment_size: 400
    .language:       OpenCL C
    .language_version:
      - 2
      - 0
    .max_flat_workgroup_size: 1024
    .name:           _ZN4vllm25paged_attention_v2_kernelIttLi96ELi32ELi128ELNS_18Fp8KVCacheDataTypeE0ELb0ELi512EEEvPfS2_PT_PKS3_PKT0_S9_ifPKiSB_iPKfiiiSD_SD_iiiii
    .private_segment_fixed_size: 0
    .sgpr_count:     38
    .sgpr_spill_count: 0
    .symbol:         _ZN4vllm25paged_attention_v2_kernelIttLi96ELi32ELi128ELNS_18Fp8KVCacheDataTypeE0ELb0ELi512EEEvPfS2_PT_PKS3_PKT0_S9_ifPKiSB_iPKfiiiSD_SD_iiiii.kd
    .uniform_work_group_size: 1
    .uses_dynamic_stack: false
    .vgpr_count:     157
    .vgpr_spill_count: 0
    .wavefront_size: 32
    .workgroup_processor_mode: 1
  - .args:
      - .actual_access:  write_only
        .address_space:  global
        .offset:         0
        .size:           8
        .value_kind:     global_buffer
      - .actual_access:  write_only
        .address_space:  global
        .offset:         8
        .size:           8
        .value_kind:     global_buffer
      - .actual_access:  write_only
        .address_space:  global
        .offset:         16
        .size:           8
        .value_kind:     global_buffer
      - .actual_access:  read_only
        .address_space:  global
        .offset:         24
        .size:           8
        .value_kind:     global_buffer
      - .actual_access:  read_only
        .address_space:  global
        .offset:         32
        .size:           8
        .value_kind:     global_buffer
      - .actual_access:  read_only
        .address_space:  global
        .offset:         40
        .size:           8
        .value_kind:     global_buffer
      - .offset:         48
        .size:           4
        .value_kind:     by_value
      - .offset:         52
        .size:           4
        .value_kind:     by_value
      - .actual_access:  read_only
        .address_space:  global
        .offset:         56
        .size:           8
        .value_kind:     global_buffer
      - .actual_access:  read_only
        .address_space:  global
        .offset:         64
        .size:           8
        .value_kind:     global_buffer
      - .offset:         72
        .size:           4
        .value_kind:     by_value
      - .actual_access:  read_only
        .address_space:  global
        .offset:         80
        .size:           8
        .value_kind:     global_buffer
      - .offset:         88
        .size:           4
        .value_kind:     by_value
      - .offset:         92
        .size:           4
        .value_kind:     by_value
      - .offset:         96
        .size:           4
        .value_kind:     by_value
      - .address_space:  global
        .offset:         104
        .size:           8
        .value_kind:     global_buffer
      - .address_space:  global
        .offset:         112
        .size:           8
        .value_kind:     global_buffer
      - .offset:         120
        .size:           4
        .value_kind:     by_value
      - .offset:         124
        .size:           4
        .value_kind:     by_value
      - .offset:         128
        .size:           4
        .value_kind:     by_value
      - .offset:         132
        .size:           4
        .value_kind:     by_value
      - .offset:         136
        .size:           4
        .value_kind:     by_value
      - .offset:         144
        .size:           4
        .value_kind:     hidden_block_count_x
      - .offset:         148
        .size:           4
        .value_kind:     hidden_block_count_y
      - .offset:         152
        .size:           4
        .value_kind:     hidden_block_count_z
      - .offset:         156
        .size:           2
        .value_kind:     hidden_group_size_x
      - .offset:         158
        .size:           2
        .value_kind:     hidden_group_size_y
      - .offset:         160
        .size:           2
        .value_kind:     hidden_group_size_z
      - .offset:         162
        .size:           2
        .value_kind:     hidden_remainder_x
      - .offset:         164
        .size:           2
        .value_kind:     hidden_remainder_y
      - .offset:         166
        .size:           2
        .value_kind:     hidden_remainder_z
      - .offset:         184
        .size:           8
        .value_kind:     hidden_global_offset_x
      - .offset:         192
        .size:           8
        .value_kind:     hidden_global_offset_y
      - .offset:         200
        .size:           8
        .value_kind:     hidden_global_offset_z
      - .offset:         208
        .size:           2
        .value_kind:     hidden_grid_dims
      - .offset:         264
        .size:           4
        .value_kind:     hidden_dynamic_lds_size
    .group_segment_fixed_size: 256
    .kernarg_segment_align: 8
    .kernarg_segment_size: 400
    .language:       OpenCL C
    .language_version:
      - 2
      - 0
    .max_flat_workgroup_size: 1024
    .name:           _ZN4vllm25paged_attention_v2_kernelIttLi112ELi32ELi128ELNS_18Fp8KVCacheDataTypeE0ELb0ELi512EEEvPfS2_PT_PKS3_PKT0_S9_ifPKiSB_iPKfiiiSD_SD_iiiii
    .private_segment_fixed_size: 0
    .sgpr_count:     38
    .sgpr_spill_count: 0
    .symbol:         _ZN4vllm25paged_attention_v2_kernelIttLi112ELi32ELi128ELNS_18Fp8KVCacheDataTypeE0ELb0ELi512EEEvPfS2_PT_PKS3_PKT0_S9_ifPKiSB_iPKfiiiSD_SD_iiiii.kd
    .uniform_work_group_size: 1
    .uses_dynamic_stack: false
    .vgpr_count:     163
    .vgpr_spill_count: 0
    .wavefront_size: 32
    .workgroup_processor_mode: 1
  - .args:
      - .actual_access:  write_only
        .address_space:  global
        .offset:         0
        .size:           8
        .value_kind:     global_buffer
      - .actual_access:  write_only
        .address_space:  global
        .offset:         8
        .size:           8
        .value_kind:     global_buffer
      - .actual_access:  write_only
        .address_space:  global
        .offset:         16
        .size:           8
        .value_kind:     global_buffer
      - .actual_access:  read_only
        .address_space:  global
        .offset:         24
        .size:           8
        .value_kind:     global_buffer
      - .actual_access:  read_only
        .address_space:  global
        .offset:         32
        .size:           8
        .value_kind:     global_buffer
      - .actual_access:  read_only
        .address_space:  global
        .offset:         40
        .size:           8
        .value_kind:     global_buffer
      - .offset:         48
        .size:           4
        .value_kind:     by_value
      - .offset:         52
        .size:           4
        .value_kind:     by_value
      - .actual_access:  read_only
        .address_space:  global
        .offset:         56
        .size:           8
        .value_kind:     global_buffer
      - .actual_access:  read_only
        .address_space:  global
        .offset:         64
        .size:           8
        .value_kind:     global_buffer
      - .offset:         72
        .size:           4
        .value_kind:     by_value
      - .actual_access:  read_only
        .address_space:  global
        .offset:         80
        .size:           8
        .value_kind:     global_buffer
      - .offset:         88
        .size:           4
        .value_kind:     by_value
      - .offset:         92
        .size:           4
        .value_kind:     by_value
      - .offset:         96
        .size:           4
        .value_kind:     by_value
      - .address_space:  global
        .offset:         104
        .size:           8
        .value_kind:     global_buffer
      - .address_space:  global
        .offset:         112
        .size:           8
        .value_kind:     global_buffer
      - .offset:         120
        .size:           4
        .value_kind:     by_value
      - .offset:         124
        .size:           4
        .value_kind:     by_value
      - .offset:         128
        .size:           4
        .value_kind:     by_value
      - .offset:         132
        .size:           4
        .value_kind:     by_value
      - .offset:         136
        .size:           4
        .value_kind:     by_value
      - .offset:         144
        .size:           4
        .value_kind:     hidden_block_count_x
      - .offset:         148
        .size:           4
        .value_kind:     hidden_block_count_y
      - .offset:         152
        .size:           4
        .value_kind:     hidden_block_count_z
      - .offset:         156
        .size:           2
        .value_kind:     hidden_group_size_x
      - .offset:         158
        .size:           2
        .value_kind:     hidden_group_size_y
      - .offset:         160
        .size:           2
        .value_kind:     hidden_group_size_z
      - .offset:         162
        .size:           2
        .value_kind:     hidden_remainder_x
      - .offset:         164
        .size:           2
        .value_kind:     hidden_remainder_y
      - .offset:         166
        .size:           2
        .value_kind:     hidden_remainder_z
      - .offset:         184
        .size:           8
        .value_kind:     hidden_global_offset_x
      - .offset:         192
        .size:           8
        .value_kind:     hidden_global_offset_y
      - .offset:         200
        .size:           8
        .value_kind:     hidden_global_offset_z
      - .offset:         208
        .size:           2
        .value_kind:     hidden_grid_dims
      - .offset:         264
        .size:           4
        .value_kind:     hidden_dynamic_lds_size
    .group_segment_fixed_size: 272
    .kernarg_segment_align: 8
    .kernarg_segment_size: 400
    .language:       OpenCL C
    .language_version:
      - 2
      - 0
    .max_flat_workgroup_size: 1024
    .name:           _ZN4vllm25paged_attention_v2_kernelIttLi120ELi32ELi128ELNS_18Fp8KVCacheDataTypeE0ELb0ELi512EEEvPfS2_PT_PKS3_PKT0_S9_ifPKiSB_iPKfiiiSD_SD_iiiii
    .private_segment_fixed_size: 0
    .sgpr_count:     34
    .sgpr_spill_count: 0
    .symbol:         _ZN4vllm25paged_attention_v2_kernelIttLi120ELi32ELi128ELNS_18Fp8KVCacheDataTypeE0ELb0ELi512EEEvPfS2_PT_PKS3_PKT0_S9_ifPKiSB_iPKfiiiSD_SD_iiiii.kd
    .uniform_work_group_size: 1
    .uses_dynamic_stack: false
    .vgpr_count:     95
    .vgpr_spill_count: 0
    .wavefront_size: 32
    .workgroup_processor_mode: 1
  - .args:
      - .actual_access:  write_only
        .address_space:  global
        .offset:         0
        .size:           8
        .value_kind:     global_buffer
      - .actual_access:  write_only
        .address_space:  global
        .offset:         8
        .size:           8
        .value_kind:     global_buffer
      - .actual_access:  write_only
        .address_space:  global
        .offset:         16
        .size:           8
        .value_kind:     global_buffer
      - .actual_access:  read_only
        .address_space:  global
        .offset:         24
        .size:           8
        .value_kind:     global_buffer
      - .actual_access:  read_only
        .address_space:  global
        .offset:         32
        .size:           8
        .value_kind:     global_buffer
      - .actual_access:  read_only
        .address_space:  global
        .offset:         40
        .size:           8
        .value_kind:     global_buffer
      - .offset:         48
        .size:           4
        .value_kind:     by_value
      - .offset:         52
        .size:           4
        .value_kind:     by_value
      - .actual_access:  read_only
        .address_space:  global
        .offset:         56
        .size:           8
        .value_kind:     global_buffer
      - .actual_access:  read_only
        .address_space:  global
        .offset:         64
        .size:           8
        .value_kind:     global_buffer
      - .offset:         72
        .size:           4
        .value_kind:     by_value
      - .actual_access:  read_only
        .address_space:  global
        .offset:         80
        .size:           8
        .value_kind:     global_buffer
      - .offset:         88
        .size:           4
        .value_kind:     by_value
      - .offset:         92
        .size:           4
        .value_kind:     by_value
      - .offset:         96
        .size:           4
        .value_kind:     by_value
      - .address_space:  global
        .offset:         104
        .size:           8
        .value_kind:     global_buffer
      - .address_space:  global
        .offset:         112
        .size:           8
        .value_kind:     global_buffer
      - .offset:         120
        .size:           4
        .value_kind:     by_value
      - .offset:         124
        .size:           4
        .value_kind:     by_value
      - .offset:         128
        .size:           4
        .value_kind:     by_value
      - .offset:         132
        .size:           4
        .value_kind:     by_value
      - .offset:         136
        .size:           4
        .value_kind:     by_value
      - .offset:         144
        .size:           4
        .value_kind:     hidden_block_count_x
      - .offset:         148
        .size:           4
        .value_kind:     hidden_block_count_y
      - .offset:         152
        .size:           4
        .value_kind:     hidden_block_count_z
      - .offset:         156
        .size:           2
        .value_kind:     hidden_group_size_x
      - .offset:         158
        .size:           2
        .value_kind:     hidden_group_size_y
      - .offset:         160
        .size:           2
        .value_kind:     hidden_group_size_z
      - .offset:         162
        .size:           2
        .value_kind:     hidden_remainder_x
      - .offset:         164
        .size:           2
        .value_kind:     hidden_remainder_y
      - .offset:         166
        .size:           2
        .value_kind:     hidden_remainder_z
      - .offset:         184
        .size:           8
        .value_kind:     hidden_global_offset_x
      - .offset:         192
        .size:           8
        .value_kind:     hidden_global_offset_y
      - .offset:         200
        .size:           8
        .value_kind:     hidden_global_offset_z
      - .offset:         208
        .size:           2
        .value_kind:     hidden_grid_dims
      - .offset:         264
        .size:           4
        .value_kind:     hidden_dynamic_lds_size
    .group_segment_fixed_size: 288
    .kernarg_segment_align: 8
    .kernarg_segment_size: 400
    .language:       OpenCL C
    .language_version:
      - 2
      - 0
    .max_flat_workgroup_size: 1024
    .name:           _ZN4vllm25paged_attention_v2_kernelIttLi128ELi32ELi128ELNS_18Fp8KVCacheDataTypeE0ELb0ELi512EEEvPfS2_PT_PKS3_PKT0_S9_ifPKiSB_iPKfiiiSD_SD_iiiii
    .private_segment_fixed_size: 0
    .sgpr_count:     34
    .sgpr_spill_count: 0
    .symbol:         _ZN4vllm25paged_attention_v2_kernelIttLi128ELi32ELi128ELNS_18Fp8KVCacheDataTypeE0ELb0ELi512EEEvPfS2_PT_PKS3_PKT0_S9_ifPKiSB_iPKfiiiSD_SD_iiiii.kd
    .uniform_work_group_size: 1
    .uses_dynamic_stack: false
    .vgpr_count:     99
    .vgpr_spill_count: 0
    .wavefront_size: 32
    .workgroup_processor_mode: 1
  - .args:
      - .actual_access:  write_only
        .address_space:  global
        .offset:         0
        .size:           8
        .value_kind:     global_buffer
      - .actual_access:  write_only
        .address_space:  global
        .offset:         8
        .size:           8
        .value_kind:     global_buffer
      - .actual_access:  write_only
        .address_space:  global
        .offset:         16
        .size:           8
        .value_kind:     global_buffer
      - .actual_access:  read_only
        .address_space:  global
        .offset:         24
        .size:           8
        .value_kind:     global_buffer
      - .actual_access:  read_only
        .address_space:  global
        .offset:         32
        .size:           8
        .value_kind:     global_buffer
      - .actual_access:  read_only
        .address_space:  global
        .offset:         40
        .size:           8
        .value_kind:     global_buffer
      - .offset:         48
        .size:           4
        .value_kind:     by_value
      - .offset:         52
        .size:           4
        .value_kind:     by_value
      - .actual_access:  read_only
        .address_space:  global
        .offset:         56
        .size:           8
        .value_kind:     global_buffer
      - .actual_access:  read_only
        .address_space:  global
        .offset:         64
        .size:           8
        .value_kind:     global_buffer
      - .offset:         72
        .size:           4
        .value_kind:     by_value
      - .actual_access:  read_only
        .address_space:  global
        .offset:         80
        .size:           8
        .value_kind:     global_buffer
      - .offset:         88
        .size:           4
        .value_kind:     by_value
      - .offset:         92
        .size:           4
        .value_kind:     by_value
      - .offset:         96
        .size:           4
        .value_kind:     by_value
      - .address_space:  global
        .offset:         104
        .size:           8
        .value_kind:     global_buffer
      - .address_space:  global
        .offset:         112
        .size:           8
        .value_kind:     global_buffer
      - .offset:         120
        .size:           4
        .value_kind:     by_value
      - .offset:         124
        .size:           4
        .value_kind:     by_value
      - .offset:         128
        .size:           4
        .value_kind:     by_value
      - .offset:         132
        .size:           4
        .value_kind:     by_value
      - .offset:         136
        .size:           4
        .value_kind:     by_value
      - .offset:         144
        .size:           4
        .value_kind:     hidden_block_count_x
      - .offset:         148
        .size:           4
        .value_kind:     hidden_block_count_y
      - .offset:         152
        .size:           4
        .value_kind:     hidden_block_count_z
      - .offset:         156
        .size:           2
        .value_kind:     hidden_group_size_x
      - .offset:         158
        .size:           2
        .value_kind:     hidden_group_size_y
      - .offset:         160
        .size:           2
        .value_kind:     hidden_group_size_z
      - .offset:         162
        .size:           2
        .value_kind:     hidden_remainder_x
      - .offset:         164
        .size:           2
        .value_kind:     hidden_remainder_y
      - .offset:         166
        .size:           2
        .value_kind:     hidden_remainder_z
      - .offset:         184
        .size:           8
        .value_kind:     hidden_global_offset_x
      - .offset:         192
        .size:           8
        .value_kind:     hidden_global_offset_y
      - .offset:         200
        .size:           8
        .value_kind:     hidden_global_offset_z
      - .offset:         208
        .size:           2
        .value_kind:     hidden_grid_dims
      - .offset:         264
        .size:           4
        .value_kind:     hidden_dynamic_lds_size
    .group_segment_fixed_size: 416
    .kernarg_segment_align: 8
    .kernarg_segment_size: 400
    .language:       OpenCL C
    .language_version:
      - 2
      - 0
    .max_flat_workgroup_size: 1024
    .name:           _ZN4vllm25paged_attention_v2_kernelIttLi192ELi32ELi128ELNS_18Fp8KVCacheDataTypeE0ELb0ELi512EEEvPfS2_PT_PKS3_PKT0_S9_ifPKiSB_iPKfiiiSD_SD_iiiii
    .private_segment_fixed_size: 0
    .sgpr_count:     34
    .sgpr_spill_count: 0
    .symbol:         _ZN4vllm25paged_attention_v2_kernelIttLi192ELi32ELi128ELNS_18Fp8KVCacheDataTypeE0ELb0ELi512EEEvPfS2_PT_PKS3_PKT0_S9_ifPKiSB_iPKfiiiSD_SD_iiiii.kd
    .uniform_work_group_size: 1
    .uses_dynamic_stack: false
    .vgpr_count:     130
    .vgpr_spill_count: 0
    .wavefront_size: 32
    .workgroup_processor_mode: 1
  - .args:
      - .actual_access:  write_only
        .address_space:  global
        .offset:         0
        .size:           8
        .value_kind:     global_buffer
      - .actual_access:  write_only
        .address_space:  global
        .offset:         8
        .size:           8
        .value_kind:     global_buffer
      - .actual_access:  write_only
        .address_space:  global
        .offset:         16
        .size:           8
        .value_kind:     global_buffer
      - .actual_access:  read_only
        .address_space:  global
        .offset:         24
        .size:           8
        .value_kind:     global_buffer
      - .actual_access:  read_only
        .address_space:  global
        .offset:         32
        .size:           8
        .value_kind:     global_buffer
      - .actual_access:  read_only
        .address_space:  global
        .offset:         40
        .size:           8
        .value_kind:     global_buffer
      - .offset:         48
        .size:           4
        .value_kind:     by_value
      - .offset:         52
        .size:           4
        .value_kind:     by_value
      - .actual_access:  read_only
        .address_space:  global
        .offset:         56
        .size:           8
        .value_kind:     global_buffer
      - .actual_access:  read_only
        .address_space:  global
        .offset:         64
        .size:           8
        .value_kind:     global_buffer
      - .offset:         72
        .size:           4
        .value_kind:     by_value
      - .actual_access:  read_only
        .address_space:  global
        .offset:         80
        .size:           8
        .value_kind:     global_buffer
      - .offset:         88
        .size:           4
        .value_kind:     by_value
      - .offset:         92
        .size:           4
        .value_kind:     by_value
      - .offset:         96
        .size:           4
        .value_kind:     by_value
      - .address_space:  global
        .offset:         104
        .size:           8
        .value_kind:     global_buffer
      - .address_space:  global
        .offset:         112
        .size:           8
        .value_kind:     global_buffer
      - .offset:         120
        .size:           4
        .value_kind:     by_value
      - .offset:         124
        .size:           4
        .value_kind:     by_value
      - .offset:         128
        .size:           4
        .value_kind:     by_value
      - .offset:         132
        .size:           4
        .value_kind:     by_value
      - .offset:         136
        .size:           4
        .value_kind:     by_value
      - .offset:         144
        .size:           4
        .value_kind:     hidden_block_count_x
      - .offset:         148
        .size:           4
        .value_kind:     hidden_block_count_y
      - .offset:         152
        .size:           4
        .value_kind:     hidden_block_count_z
      - .offset:         156
        .size:           2
        .value_kind:     hidden_group_size_x
      - .offset:         158
        .size:           2
        .value_kind:     hidden_group_size_y
      - .offset:         160
        .size:           2
        .value_kind:     hidden_group_size_z
      - .offset:         162
        .size:           2
        .value_kind:     hidden_remainder_x
      - .offset:         164
        .size:           2
        .value_kind:     hidden_remainder_y
      - .offset:         166
        .size:           2
        .value_kind:     hidden_remainder_z
      - .offset:         184
        .size:           8
        .value_kind:     hidden_global_offset_x
      - .offset:         192
        .size:           8
        .value_kind:     hidden_global_offset_y
      - .offset:         200
        .size:           8
        .value_kind:     hidden_global_offset_z
      - .offset:         208
        .size:           2
        .value_kind:     hidden_grid_dims
      - .offset:         264
        .size:           4
        .value_kind:     hidden_dynamic_lds_size
    .group_segment_fixed_size: 544
    .kernarg_segment_align: 8
    .kernarg_segment_size: 400
    .language:       OpenCL C
    .language_version:
      - 2
      - 0
    .max_flat_workgroup_size: 1024
    .name:           _ZN4vllm25paged_attention_v2_kernelIttLi256ELi32ELi128ELNS_18Fp8KVCacheDataTypeE0ELb0ELi512EEEvPfS2_PT_PKS3_PKT0_S9_ifPKiSB_iPKfiiiSD_SD_iiiii
    .private_segment_fixed_size: 0
    .sgpr_count:     38
    .sgpr_spill_count: 0
    .symbol:         _ZN4vllm25paged_attention_v2_kernelIttLi256ELi32ELi128ELNS_18Fp8KVCacheDataTypeE0ELb0ELi512EEEvPfS2_PT_PKS3_PKT0_S9_ifPKiSB_iPKfiiiSD_SD_iiiii.kd
    .uniform_work_group_size: 1
    .uses_dynamic_stack: false
    .vgpr_count:     161
    .vgpr_spill_count: 0
    .wavefront_size: 32
    .workgroup_processor_mode: 1
  - .args:
      - .actual_access:  write_only
        .address_space:  global
        .offset:         0
        .size:           8
        .value_kind:     global_buffer
      - .actual_access:  write_only
        .address_space:  global
        .offset:         8
        .size:           8
        .value_kind:     global_buffer
      - .actual_access:  write_only
        .address_space:  global
        .offset:         16
        .size:           8
        .value_kind:     global_buffer
      - .actual_access:  read_only
        .address_space:  global
        .offset:         24
        .size:           8
        .value_kind:     global_buffer
      - .actual_access:  read_only
        .address_space:  global
        .offset:         32
        .size:           8
        .value_kind:     global_buffer
      - .actual_access:  read_only
        .address_space:  global
        .offset:         40
        .size:           8
        .value_kind:     global_buffer
      - .offset:         48
        .size:           4
        .value_kind:     by_value
      - .offset:         52
        .size:           4
        .value_kind:     by_value
      - .actual_access:  read_only
        .address_space:  global
        .offset:         56
        .size:           8
        .value_kind:     global_buffer
      - .actual_access:  read_only
        .address_space:  global
        .offset:         64
        .size:           8
        .value_kind:     global_buffer
      - .offset:         72
        .size:           4
        .value_kind:     by_value
      - .actual_access:  read_only
        .address_space:  global
        .offset:         80
        .size:           8
        .value_kind:     global_buffer
      - .offset:         88
        .size:           4
        .value_kind:     by_value
      - .offset:         92
        .size:           4
        .value_kind:     by_value
      - .offset:         96
        .size:           4
        .value_kind:     by_value
      - .address_space:  global
        .offset:         104
        .size:           8
        .value_kind:     global_buffer
      - .address_space:  global
        .offset:         112
        .size:           8
        .value_kind:     global_buffer
      - .offset:         120
        .size:           4
        .value_kind:     by_value
      - .offset:         124
        .size:           4
        .value_kind:     by_value
      - .offset:         128
        .size:           4
        .value_kind:     by_value
      - .offset:         132
        .size:           4
        .value_kind:     by_value
      - .offset:         136
        .size:           4
        .value_kind:     by_value
      - .offset:         144
        .size:           4
        .value_kind:     hidden_block_count_x
      - .offset:         148
        .size:           4
        .value_kind:     hidden_block_count_y
      - .offset:         152
        .size:           4
        .value_kind:     hidden_block_count_z
      - .offset:         156
        .size:           2
        .value_kind:     hidden_group_size_x
      - .offset:         158
        .size:           2
        .value_kind:     hidden_group_size_y
      - .offset:         160
        .size:           2
        .value_kind:     hidden_group_size_z
      - .offset:         162
        .size:           2
        .value_kind:     hidden_remainder_x
      - .offset:         164
        .size:           2
        .value_kind:     hidden_remainder_y
      - .offset:         166
        .size:           2
        .value_kind:     hidden_remainder_z
      - .offset:         184
        .size:           8
        .value_kind:     hidden_global_offset_x
      - .offset:         192
        .size:           8
        .value_kind:     hidden_global_offset_y
      - .offset:         200
        .size:           8
        .value_kind:     hidden_global_offset_z
      - .offset:         208
        .size:           2
        .value_kind:     hidden_grid_dims
      - .offset:         264
        .size:           4
        .value_kind:     hidden_dynamic_lds_size
    .group_segment_fixed_size: 96
    .kernarg_segment_align: 8
    .kernarg_segment_size: 400
    .language:       OpenCL C
    .language_version:
      - 2
      - 0
    .max_flat_workgroup_size: 1024
    .name:           _ZN4vllm25paged_attention_v2_kernelI14__hip_bfloat16S1_Li32ELi8ELi128ELNS_18Fp8KVCacheDataTypeE0ELb1ELi512EEEvPfS3_PT_PKS4_PKT0_SA_ifPKiSC_iPKfiiiSE_SE_iiiii
    .private_segment_fixed_size: 0
    .sgpr_count:     44
    .sgpr_spill_count: 0
    .symbol:         _ZN4vllm25paged_attention_v2_kernelI14__hip_bfloat16S1_Li32ELi8ELi128ELNS_18Fp8KVCacheDataTypeE0ELb1ELi512EEEvPfS3_PT_PKS4_PKT0_SA_ifPKiSC_iPKfiiiSE_SE_iiiii.kd
    .uniform_work_group_size: 1
    .uses_dynamic_stack: false
    .vgpr_count:     34
    .vgpr_spill_count: 0
    .wavefront_size: 32
    .workgroup_processor_mode: 1
  - .args:
      - .actual_access:  write_only
        .address_space:  global
        .offset:         0
        .size:           8
        .value_kind:     global_buffer
      - .actual_access:  read_only
        .address_space:  global
        .offset:         8
        .size:           8
        .value_kind:     global_buffer
      - .actual_access:  read_only
        .address_space:  global
        .offset:         16
        .size:           8
        .value_kind:     global_buffer
      - .actual_access:  read_only
        .address_space:  global
        .offset:         24
        .size:           8
        .value_kind:     global_buffer
      - .actual_access:  read_only
        .address_space:  global
        .offset:         32
        .size:           8
        .value_kind:     global_buffer
      - .offset:         40
        .size:           4
        .value_kind:     by_value
      - .offset:         48
        .size:           4
        .value_kind:     hidden_block_count_x
      - .offset:         52
        .size:           4
        .value_kind:     hidden_block_count_y
      - .offset:         56
        .size:           4
        .value_kind:     hidden_block_count_z
      - .offset:         60
        .size:           2
        .value_kind:     hidden_group_size_x
      - .offset:         62
        .size:           2
        .value_kind:     hidden_group_size_y
      - .offset:         64
        .size:           2
        .value_kind:     hidden_group_size_z
      - .offset:         66
        .size:           2
        .value_kind:     hidden_remainder_x
      - .offset:         68
        .size:           2
        .value_kind:     hidden_remainder_y
      - .offset:         70
        .size:           2
        .value_kind:     hidden_remainder_z
      - .offset:         88
        .size:           8
        .value_kind:     hidden_global_offset_x
      - .offset:         96
        .size:           8
        .value_kind:     hidden_global_offset_y
      - .offset:         104
        .size:           8
        .value_kind:     hidden_global_offset_z
      - .offset:         112
        .size:           2
        .value_kind:     hidden_grid_dims
      - .offset:         168
        .size:           4
        .value_kind:     hidden_dynamic_lds_size
    .group_segment_fixed_size: 32
    .kernarg_segment_align: 8
    .kernarg_segment_size: 304
    .language:       OpenCL C
    .language_version:
      - 2
      - 0
    .max_flat_workgroup_size: 1024
    .name:           _ZN4vllm32paged_attention_v2_reduce_kernelI14__hip_bfloat16Li32ELi128ELi512EEEvPT_PKfS5_PKS2_PKii
    .private_segment_fixed_size: 0
    .sgpr_count:     28
    .sgpr_spill_count: 0
    .symbol:         _ZN4vllm32paged_attention_v2_reduce_kernelI14__hip_bfloat16Li32ELi128ELi512EEEvPT_PKfS5_PKS2_PKii.kd
    .uniform_work_group_size: 1
    .uses_dynamic_stack: false
    .vgpr_count:     19
    .vgpr_spill_count: 0
    .wavefront_size: 32
    .workgroup_processor_mode: 1
  - .args:
      - .actual_access:  write_only
        .address_space:  global
        .offset:         0
        .size:           8
        .value_kind:     global_buffer
      - .actual_access:  write_only
        .address_space:  global
        .offset:         8
        .size:           8
        .value_kind:     global_buffer
      - .actual_access:  write_only
        .address_space:  global
        .offset:         16
        .size:           8
        .value_kind:     global_buffer
      - .actual_access:  read_only
        .address_space:  global
        .offset:         24
        .size:           8
        .value_kind:     global_buffer
      - .actual_access:  read_only
        .address_space:  global
        .offset:         32
        .size:           8
        .value_kind:     global_buffer
      - .actual_access:  read_only
        .address_space:  global
        .offset:         40
        .size:           8
        .value_kind:     global_buffer
      - .offset:         48
        .size:           4
        .value_kind:     by_value
      - .offset:         52
        .size:           4
        .value_kind:     by_value
      - .actual_access:  read_only
        .address_space:  global
        .offset:         56
        .size:           8
        .value_kind:     global_buffer
      - .actual_access:  read_only
        .address_space:  global
        .offset:         64
        .size:           8
        .value_kind:     global_buffer
      - .offset:         72
        .size:           4
        .value_kind:     by_value
      - .actual_access:  read_only
        .address_space:  global
        .offset:         80
        .size:           8
        .value_kind:     global_buffer
      - .offset:         88
        .size:           4
        .value_kind:     by_value
      - .offset:         92
        .size:           4
        .value_kind:     by_value
      - .offset:         96
        .size:           4
        .value_kind:     by_value
      - .address_space:  global
        .offset:         104
        .size:           8
        .value_kind:     global_buffer
      - .address_space:  global
        .offset:         112
        .size:           8
        .value_kind:     global_buffer
      - .offset:         120
        .size:           4
        .value_kind:     by_value
      - .offset:         124
        .size:           4
        .value_kind:     by_value
      - .offset:         128
        .size:           4
        .value_kind:     by_value
      - .offset:         132
        .size:           4
        .value_kind:     by_value
      - .offset:         136
        .size:           4
        .value_kind:     by_value
      - .offset:         144
        .size:           4
        .value_kind:     hidden_block_count_x
      - .offset:         148
        .size:           4
        .value_kind:     hidden_block_count_y
      - .offset:         152
        .size:           4
        .value_kind:     hidden_block_count_z
      - .offset:         156
        .size:           2
        .value_kind:     hidden_group_size_x
      - .offset:         158
        .size:           2
        .value_kind:     hidden_group_size_y
      - .offset:         160
        .size:           2
        .value_kind:     hidden_group_size_z
      - .offset:         162
        .size:           2
        .value_kind:     hidden_remainder_x
      - .offset:         164
        .size:           2
        .value_kind:     hidden_remainder_y
      - .offset:         166
        .size:           2
        .value_kind:     hidden_remainder_z
      - .offset:         184
        .size:           8
        .value_kind:     hidden_global_offset_x
      - .offset:         192
        .size:           8
        .value_kind:     hidden_global_offset_y
      - .offset:         200
        .size:           8
        .value_kind:     hidden_global_offset_z
      - .offset:         208
        .size:           2
        .value_kind:     hidden_grid_dims
      - .offset:         264
        .size:           4
        .value_kind:     hidden_dynamic_lds_size
    .group_segment_fixed_size: 160
    .kernarg_segment_align: 8
    .kernarg_segment_size: 400
    .language:       OpenCL C
    .language_version:
      - 2
      - 0
    .max_flat_workgroup_size: 1024
    .name:           _ZN4vllm25paged_attention_v2_kernelI14__hip_bfloat16S1_Li64ELi8ELi128ELNS_18Fp8KVCacheDataTypeE0ELb1ELi512EEEvPfS3_PT_PKS4_PKT0_SA_ifPKiSC_iPKfiiiSE_SE_iiiii
    .private_segment_fixed_size: 0
    .sgpr_count:     46
    .sgpr_spill_count: 0
    .symbol:         _ZN4vllm25paged_attention_v2_kernelI14__hip_bfloat16S1_Li64ELi8ELi128ELNS_18Fp8KVCacheDataTypeE0ELb1ELi512EEEvPfS3_PT_PKS4_PKT0_SA_ifPKiSC_iPKfiiiSE_SE_iiiii.kd
    .uniform_work_group_size: 1
    .uses_dynamic_stack: false
    .vgpr_count:     46
    .vgpr_spill_count: 0
    .wavefront_size: 32
    .workgroup_processor_mode: 1
  - .args:
      - .actual_access:  write_only
        .address_space:  global
        .offset:         0
        .size:           8
        .value_kind:     global_buffer
      - .actual_access:  read_only
        .address_space:  global
        .offset:         8
        .size:           8
        .value_kind:     global_buffer
      - .actual_access:  read_only
        .address_space:  global
        .offset:         16
        .size:           8
        .value_kind:     global_buffer
      - .actual_access:  read_only
        .address_space:  global
        .offset:         24
        .size:           8
        .value_kind:     global_buffer
      - .actual_access:  read_only
        .address_space:  global
        .offset:         32
        .size:           8
        .value_kind:     global_buffer
      - .offset:         40
        .size:           4
        .value_kind:     by_value
      - .offset:         48
        .size:           4
        .value_kind:     hidden_block_count_x
      - .offset:         52
        .size:           4
        .value_kind:     hidden_block_count_y
      - .offset:         56
        .size:           4
        .value_kind:     hidden_block_count_z
      - .offset:         60
        .size:           2
        .value_kind:     hidden_group_size_x
      - .offset:         62
        .size:           2
        .value_kind:     hidden_group_size_y
      - .offset:         64
        .size:           2
        .value_kind:     hidden_group_size_z
      - .offset:         66
        .size:           2
        .value_kind:     hidden_remainder_x
      - .offset:         68
        .size:           2
        .value_kind:     hidden_remainder_y
      - .offset:         70
        .size:           2
        .value_kind:     hidden_remainder_z
      - .offset:         88
        .size:           8
        .value_kind:     hidden_global_offset_x
      - .offset:         96
        .size:           8
        .value_kind:     hidden_global_offset_y
      - .offset:         104
        .size:           8
        .value_kind:     hidden_global_offset_z
      - .offset:         112
        .size:           2
        .value_kind:     hidden_grid_dims
      - .offset:         168
        .size:           4
        .value_kind:     hidden_dynamic_lds_size
    .group_segment_fixed_size: 32
    .kernarg_segment_align: 8
    .kernarg_segment_size: 304
    .language:       OpenCL C
    .language_version:
      - 2
      - 0
    .max_flat_workgroup_size: 1024
    .name:           _ZN4vllm32paged_attention_v2_reduce_kernelI14__hip_bfloat16Li64ELi128ELi512EEEvPT_PKfS5_PKS2_PKii
    .private_segment_fixed_size: 0
    .sgpr_count:     28
    .sgpr_spill_count: 0
    .symbol:         _ZN4vllm32paged_attention_v2_reduce_kernelI14__hip_bfloat16Li64ELi128ELi512EEEvPT_PKfS5_PKS2_PKii.kd
    .uniform_work_group_size: 1
    .uses_dynamic_stack: false
    .vgpr_count:     19
    .vgpr_spill_count: 0
    .wavefront_size: 32
    .workgroup_processor_mode: 1
  - .args:
      - .actual_access:  write_only
        .address_space:  global
        .offset:         0
        .size:           8
        .value_kind:     global_buffer
      - .actual_access:  write_only
        .address_space:  global
        .offset:         8
        .size:           8
        .value_kind:     global_buffer
      - .actual_access:  write_only
        .address_space:  global
        .offset:         16
        .size:           8
        .value_kind:     global_buffer
      - .actual_access:  read_only
        .address_space:  global
        .offset:         24
        .size:           8
        .value_kind:     global_buffer
      - .actual_access:  read_only
        .address_space:  global
        .offset:         32
        .size:           8
        .value_kind:     global_buffer
      - .actual_access:  read_only
        .address_space:  global
        .offset:         40
        .size:           8
        .value_kind:     global_buffer
      - .offset:         48
        .size:           4
        .value_kind:     by_value
      - .offset:         52
        .size:           4
        .value_kind:     by_value
      - .actual_access:  read_only
        .address_space:  global
        .offset:         56
        .size:           8
        .value_kind:     global_buffer
      - .actual_access:  read_only
        .address_space:  global
        .offset:         64
        .size:           8
        .value_kind:     global_buffer
      - .offset:         72
        .size:           4
        .value_kind:     by_value
      - .actual_access:  read_only
        .address_space:  global
        .offset:         80
        .size:           8
        .value_kind:     global_buffer
      - .offset:         88
        .size:           4
        .value_kind:     by_value
      - .offset:         92
        .size:           4
        .value_kind:     by_value
      - .offset:         96
        .size:           4
        .value_kind:     by_value
      - .address_space:  global
        .offset:         104
        .size:           8
        .value_kind:     global_buffer
      - .address_space:  global
        .offset:         112
        .size:           8
        .value_kind:     global_buffer
      - .offset:         120
        .size:           4
        .value_kind:     by_value
      - .offset:         124
        .size:           4
        .value_kind:     by_value
      - .offset:         128
        .size:           4
        .value_kind:     by_value
      - .offset:         132
        .size:           4
        .value_kind:     by_value
      - .offset:         136
        .size:           4
        .value_kind:     by_value
      - .offset:         144
        .size:           4
        .value_kind:     hidden_block_count_x
      - .offset:         148
        .size:           4
        .value_kind:     hidden_block_count_y
      - .offset:         152
        .size:           4
        .value_kind:     hidden_block_count_z
      - .offset:         156
        .size:           2
        .value_kind:     hidden_group_size_x
      - .offset:         158
        .size:           2
        .value_kind:     hidden_group_size_y
      - .offset:         160
        .size:           2
        .value_kind:     hidden_group_size_z
      - .offset:         162
        .size:           2
        .value_kind:     hidden_remainder_x
      - .offset:         164
        .size:           2
        .value_kind:     hidden_remainder_y
      - .offset:         166
        .size:           2
        .value_kind:     hidden_remainder_z
      - .offset:         184
        .size:           8
        .value_kind:     hidden_global_offset_x
      - .offset:         192
        .size:           8
        .value_kind:     hidden_global_offset_y
      - .offset:         200
        .size:           8
        .value_kind:     hidden_global_offset_z
      - .offset:         208
        .size:           2
        .value_kind:     hidden_grid_dims
      - .offset:         264
        .size:           4
        .value_kind:     hidden_dynamic_lds_size
    .group_segment_fixed_size: 192
    .kernarg_segment_align: 8
    .kernarg_segment_size: 400
    .language:       OpenCL C
    .language_version:
      - 2
      - 0
    .max_flat_workgroup_size: 1024
    .name:           _ZN4vllm25paged_attention_v2_kernelI14__hip_bfloat16S1_Li80ELi8ELi128ELNS_18Fp8KVCacheDataTypeE0ELb1ELi512EEEvPfS3_PT_PKS4_PKT0_SA_ifPKiSC_iPKfiiiSE_SE_iiiii
    .private_segment_fixed_size: 0
    .sgpr_count:     45
    .sgpr_spill_count: 0
    .symbol:         _ZN4vllm25paged_attention_v2_kernelI14__hip_bfloat16S1_Li80ELi8ELi128ELNS_18Fp8KVCacheDataTypeE0ELb1ELi512EEEvPfS3_PT_PKS4_PKT0_SA_ifPKiSC_iPKfiiiSE_SE_iiiii.kd
    .uniform_work_group_size: 1
    .uses_dynamic_stack: false
    .vgpr_count:     52
    .vgpr_spill_count: 0
    .wavefront_size: 32
    .workgroup_processor_mode: 1
  - .args:
      - .actual_access:  write_only
        .address_space:  global
        .offset:         0
        .size:           8
        .value_kind:     global_buffer
      - .actual_access:  read_only
        .address_space:  global
        .offset:         8
        .size:           8
        .value_kind:     global_buffer
      - .actual_access:  read_only
        .address_space:  global
        .offset:         16
        .size:           8
        .value_kind:     global_buffer
      - .actual_access:  read_only
        .address_space:  global
        .offset:         24
        .size:           8
        .value_kind:     global_buffer
      - .actual_access:  read_only
        .address_space:  global
        .offset:         32
        .size:           8
        .value_kind:     global_buffer
      - .offset:         40
        .size:           4
        .value_kind:     by_value
      - .offset:         48
        .size:           4
        .value_kind:     hidden_block_count_x
      - .offset:         52
        .size:           4
        .value_kind:     hidden_block_count_y
      - .offset:         56
        .size:           4
        .value_kind:     hidden_block_count_z
      - .offset:         60
        .size:           2
        .value_kind:     hidden_group_size_x
      - .offset:         62
        .size:           2
        .value_kind:     hidden_group_size_y
      - .offset:         64
        .size:           2
        .value_kind:     hidden_group_size_z
      - .offset:         66
        .size:           2
        .value_kind:     hidden_remainder_x
      - .offset:         68
        .size:           2
        .value_kind:     hidden_remainder_y
      - .offset:         70
        .size:           2
        .value_kind:     hidden_remainder_z
      - .offset:         88
        .size:           8
        .value_kind:     hidden_global_offset_x
      - .offset:         96
        .size:           8
        .value_kind:     hidden_global_offset_y
      - .offset:         104
        .size:           8
        .value_kind:     hidden_global_offset_z
      - .offset:         112
        .size:           2
        .value_kind:     hidden_grid_dims
      - .offset:         168
        .size:           4
        .value_kind:     hidden_dynamic_lds_size
    .group_segment_fixed_size: 32
    .kernarg_segment_align: 8
    .kernarg_segment_size: 304
    .language:       OpenCL C
    .language_version:
      - 2
      - 0
    .max_flat_workgroup_size: 1024
    .name:           _ZN4vllm32paged_attention_v2_reduce_kernelI14__hip_bfloat16Li80ELi128ELi512EEEvPT_PKfS5_PKS2_PKii
    .private_segment_fixed_size: 0
    .sgpr_count:     28
    .sgpr_spill_count: 0
    .symbol:         _ZN4vllm32paged_attention_v2_reduce_kernelI14__hip_bfloat16Li80ELi128ELi512EEEvPT_PKfS5_PKS2_PKii.kd
    .uniform_work_group_size: 1
    .uses_dynamic_stack: false
    .vgpr_count:     19
    .vgpr_spill_count: 0
    .wavefront_size: 32
    .workgroup_processor_mode: 1
  - .args:
      - .actual_access:  write_only
        .address_space:  global
        .offset:         0
        .size:           8
        .value_kind:     global_buffer
      - .actual_access:  write_only
        .address_space:  global
        .offset:         8
        .size:           8
        .value_kind:     global_buffer
      - .actual_access:  write_only
        .address_space:  global
        .offset:         16
        .size:           8
        .value_kind:     global_buffer
      - .actual_access:  read_only
        .address_space:  global
        .offset:         24
        .size:           8
        .value_kind:     global_buffer
      - .actual_access:  read_only
        .address_space:  global
        .offset:         32
        .size:           8
        .value_kind:     global_buffer
      - .actual_access:  read_only
        .address_space:  global
        .offset:         40
        .size:           8
        .value_kind:     global_buffer
      - .offset:         48
        .size:           4
        .value_kind:     by_value
      - .offset:         52
        .size:           4
        .value_kind:     by_value
      - .actual_access:  read_only
        .address_space:  global
        .offset:         56
        .size:           8
        .value_kind:     global_buffer
      - .actual_access:  read_only
        .address_space:  global
        .offset:         64
        .size:           8
        .value_kind:     global_buffer
      - .offset:         72
        .size:           4
        .value_kind:     by_value
      - .actual_access:  read_only
        .address_space:  global
        .offset:         80
        .size:           8
        .value_kind:     global_buffer
      - .offset:         88
        .size:           4
        .value_kind:     by_value
      - .offset:         92
        .size:           4
        .value_kind:     by_value
      - .offset:         96
        .size:           4
        .value_kind:     by_value
      - .address_space:  global
        .offset:         104
        .size:           8
        .value_kind:     global_buffer
      - .address_space:  global
        .offset:         112
        .size:           8
        .value_kind:     global_buffer
      - .offset:         120
        .size:           4
        .value_kind:     by_value
      - .offset:         124
        .size:           4
        .value_kind:     by_value
      - .offset:         128
        .size:           4
        .value_kind:     by_value
      - .offset:         132
        .size:           4
        .value_kind:     by_value
      - .offset:         136
        .size:           4
        .value_kind:     by_value
      - .offset:         144
        .size:           4
        .value_kind:     hidden_block_count_x
      - .offset:         148
        .size:           4
        .value_kind:     hidden_block_count_y
      - .offset:         152
        .size:           4
        .value_kind:     hidden_block_count_z
      - .offset:         156
        .size:           2
        .value_kind:     hidden_group_size_x
      - .offset:         158
        .size:           2
        .value_kind:     hidden_group_size_y
      - .offset:         160
        .size:           2
        .value_kind:     hidden_group_size_z
      - .offset:         162
        .size:           2
        .value_kind:     hidden_remainder_x
      - .offset:         164
        .size:           2
        .value_kind:     hidden_remainder_y
      - .offset:         166
        .size:           2
        .value_kind:     hidden_remainder_z
      - .offset:         184
        .size:           8
        .value_kind:     hidden_global_offset_x
      - .offset:         192
        .size:           8
        .value_kind:     hidden_global_offset_y
      - .offset:         200
        .size:           8
        .value_kind:     hidden_global_offset_z
      - .offset:         208
        .size:           2
        .value_kind:     hidden_grid_dims
      - .offset:         264
        .size:           4
        .value_kind:     hidden_dynamic_lds_size
    .group_segment_fixed_size: 224
    .kernarg_segment_align: 8
    .kernarg_segment_size: 400
    .language:       OpenCL C
    .language_version:
      - 2
      - 0
    .max_flat_workgroup_size: 1024
    .name:           _ZN4vllm25paged_attention_v2_kernelI14__hip_bfloat16S1_Li96ELi8ELi128ELNS_18Fp8KVCacheDataTypeE0ELb1ELi512EEEvPfS3_PT_PKS4_PKT0_SA_ifPKiSC_iPKfiiiSE_SE_iiiii
    .private_segment_fixed_size: 0
    .sgpr_count:     44
    .sgpr_spill_count: 0
    .symbol:         _ZN4vllm25paged_attention_v2_kernelI14__hip_bfloat16S1_Li96ELi8ELi128ELNS_18Fp8KVCacheDataTypeE0ELb1ELi512EEEvPfS3_PT_PKS4_PKT0_SA_ifPKiSC_iPKfiiiSE_SE_iiiii.kd
    .uniform_work_group_size: 1
    .uses_dynamic_stack: false
    .vgpr_count:     58
    .vgpr_spill_count: 0
    .wavefront_size: 32
    .workgroup_processor_mode: 1
  - .args:
      - .actual_access:  write_only
        .address_space:  global
        .offset:         0
        .size:           8
        .value_kind:     global_buffer
      - .actual_access:  read_only
        .address_space:  global
        .offset:         8
        .size:           8
        .value_kind:     global_buffer
      - .actual_access:  read_only
        .address_space:  global
        .offset:         16
        .size:           8
        .value_kind:     global_buffer
      - .actual_access:  read_only
        .address_space:  global
        .offset:         24
        .size:           8
        .value_kind:     global_buffer
      - .actual_access:  read_only
        .address_space:  global
        .offset:         32
        .size:           8
        .value_kind:     global_buffer
      - .offset:         40
        .size:           4
        .value_kind:     by_value
      - .offset:         48
        .size:           4
        .value_kind:     hidden_block_count_x
      - .offset:         52
        .size:           4
        .value_kind:     hidden_block_count_y
      - .offset:         56
        .size:           4
        .value_kind:     hidden_block_count_z
      - .offset:         60
        .size:           2
        .value_kind:     hidden_group_size_x
      - .offset:         62
        .size:           2
        .value_kind:     hidden_group_size_y
      - .offset:         64
        .size:           2
        .value_kind:     hidden_group_size_z
      - .offset:         66
        .size:           2
        .value_kind:     hidden_remainder_x
      - .offset:         68
        .size:           2
        .value_kind:     hidden_remainder_y
      - .offset:         70
        .size:           2
        .value_kind:     hidden_remainder_z
      - .offset:         88
        .size:           8
        .value_kind:     hidden_global_offset_x
      - .offset:         96
        .size:           8
        .value_kind:     hidden_global_offset_y
      - .offset:         104
        .size:           8
        .value_kind:     hidden_global_offset_z
      - .offset:         112
        .size:           2
        .value_kind:     hidden_grid_dims
      - .offset:         168
        .size:           4
        .value_kind:     hidden_dynamic_lds_size
    .group_segment_fixed_size: 32
    .kernarg_segment_align: 8
    .kernarg_segment_size: 304
    .language:       OpenCL C
    .language_version:
      - 2
      - 0
    .max_flat_workgroup_size: 1024
    .name:           _ZN4vllm32paged_attention_v2_reduce_kernelI14__hip_bfloat16Li96ELi128ELi512EEEvPT_PKfS5_PKS2_PKii
    .private_segment_fixed_size: 0
    .sgpr_count:     28
    .sgpr_spill_count: 0
    .symbol:         _ZN4vllm32paged_attention_v2_reduce_kernelI14__hip_bfloat16Li96ELi128ELi512EEEvPT_PKfS5_PKS2_PKii.kd
    .uniform_work_group_size: 1
    .uses_dynamic_stack: false
    .vgpr_count:     19
    .vgpr_spill_count: 0
    .wavefront_size: 32
    .workgroup_processor_mode: 1
  - .args:
      - .actual_access:  write_only
        .address_space:  global
        .offset:         0
        .size:           8
        .value_kind:     global_buffer
      - .actual_access:  write_only
        .address_space:  global
        .offset:         8
        .size:           8
        .value_kind:     global_buffer
      - .actual_access:  write_only
        .address_space:  global
        .offset:         16
        .size:           8
        .value_kind:     global_buffer
      - .actual_access:  read_only
        .address_space:  global
        .offset:         24
        .size:           8
        .value_kind:     global_buffer
      - .actual_access:  read_only
        .address_space:  global
        .offset:         32
        .size:           8
        .value_kind:     global_buffer
      - .actual_access:  read_only
        .address_space:  global
        .offset:         40
        .size:           8
        .value_kind:     global_buffer
      - .offset:         48
        .size:           4
        .value_kind:     by_value
      - .offset:         52
        .size:           4
        .value_kind:     by_value
      - .actual_access:  read_only
        .address_space:  global
        .offset:         56
        .size:           8
        .value_kind:     global_buffer
      - .actual_access:  read_only
        .address_space:  global
        .offset:         64
        .size:           8
        .value_kind:     global_buffer
      - .offset:         72
        .size:           4
        .value_kind:     by_value
      - .actual_access:  read_only
        .address_space:  global
        .offset:         80
        .size:           8
        .value_kind:     global_buffer
      - .offset:         88
        .size:           4
        .value_kind:     by_value
      - .offset:         92
        .size:           4
        .value_kind:     by_value
      - .offset:         96
        .size:           4
        .value_kind:     by_value
      - .address_space:  global
        .offset:         104
        .size:           8
        .value_kind:     global_buffer
      - .address_space:  global
        .offset:         112
        .size:           8
        .value_kind:     global_buffer
      - .offset:         120
        .size:           4
        .value_kind:     by_value
      - .offset:         124
        .size:           4
        .value_kind:     by_value
      - .offset:         128
        .size:           4
        .value_kind:     by_value
      - .offset:         132
        .size:           4
        .value_kind:     by_value
      - .offset:         136
        .size:           4
        .value_kind:     by_value
      - .offset:         144
        .size:           4
        .value_kind:     hidden_block_count_x
      - .offset:         148
        .size:           4
        .value_kind:     hidden_block_count_y
      - .offset:         152
        .size:           4
        .value_kind:     hidden_block_count_z
      - .offset:         156
        .size:           2
        .value_kind:     hidden_group_size_x
      - .offset:         158
        .size:           2
        .value_kind:     hidden_group_size_y
      - .offset:         160
        .size:           2
        .value_kind:     hidden_group_size_z
      - .offset:         162
        .size:           2
        .value_kind:     hidden_remainder_x
      - .offset:         164
        .size:           2
        .value_kind:     hidden_remainder_y
      - .offset:         166
        .size:           2
        .value_kind:     hidden_remainder_z
      - .offset:         184
        .size:           8
        .value_kind:     hidden_global_offset_x
      - .offset:         192
        .size:           8
        .value_kind:     hidden_global_offset_y
      - .offset:         200
        .size:           8
        .value_kind:     hidden_global_offset_z
      - .offset:         208
        .size:           2
        .value_kind:     hidden_grid_dims
      - .offset:         264
        .size:           4
        .value_kind:     hidden_dynamic_lds_size
    .group_segment_fixed_size: 256
    .kernarg_segment_align: 8
    .kernarg_segment_size: 400
    .language:       OpenCL C
    .language_version:
      - 2
      - 0
    .max_flat_workgroup_size: 1024
    .name:           _ZN4vllm25paged_attention_v2_kernelI14__hip_bfloat16S1_Li112ELi8ELi128ELNS_18Fp8KVCacheDataTypeE0ELb1ELi512EEEvPfS3_PT_PKS4_PKT0_SA_ifPKiSC_iPKfiiiSE_SE_iiiii
    .private_segment_fixed_size: 0
    .sgpr_count:     53
    .sgpr_spill_count: 0
    .symbol:         _ZN4vllm25paged_attention_v2_kernelI14__hip_bfloat16S1_Li112ELi8ELi128ELNS_18Fp8KVCacheDataTypeE0ELb1ELi512EEEvPfS3_PT_PKS4_PKT0_SA_ifPKiSC_iPKfiiiSE_SE_iiiii.kd
    .uniform_work_group_size: 1
    .uses_dynamic_stack: false
    .vgpr_count:     64
    .vgpr_spill_count: 0
    .wavefront_size: 32
    .workgroup_processor_mode: 1
  - .args:
      - .actual_access:  write_only
        .address_space:  global
        .offset:         0
        .size:           8
        .value_kind:     global_buffer
      - .actual_access:  read_only
        .address_space:  global
        .offset:         8
        .size:           8
        .value_kind:     global_buffer
      - .actual_access:  read_only
        .address_space:  global
        .offset:         16
        .size:           8
        .value_kind:     global_buffer
      - .actual_access:  read_only
        .address_space:  global
        .offset:         24
        .size:           8
        .value_kind:     global_buffer
      - .actual_access:  read_only
        .address_space:  global
        .offset:         32
        .size:           8
        .value_kind:     global_buffer
      - .offset:         40
        .size:           4
        .value_kind:     by_value
      - .offset:         48
        .size:           4
        .value_kind:     hidden_block_count_x
      - .offset:         52
        .size:           4
        .value_kind:     hidden_block_count_y
      - .offset:         56
        .size:           4
        .value_kind:     hidden_block_count_z
      - .offset:         60
        .size:           2
        .value_kind:     hidden_group_size_x
      - .offset:         62
        .size:           2
        .value_kind:     hidden_group_size_y
      - .offset:         64
        .size:           2
        .value_kind:     hidden_group_size_z
      - .offset:         66
        .size:           2
        .value_kind:     hidden_remainder_x
      - .offset:         68
        .size:           2
        .value_kind:     hidden_remainder_y
      - .offset:         70
        .size:           2
        .value_kind:     hidden_remainder_z
      - .offset:         88
        .size:           8
        .value_kind:     hidden_global_offset_x
      - .offset:         96
        .size:           8
        .value_kind:     hidden_global_offset_y
      - .offset:         104
        .size:           8
        .value_kind:     hidden_global_offset_z
      - .offset:         112
        .size:           2
        .value_kind:     hidden_grid_dims
      - .offset:         168
        .size:           4
        .value_kind:     hidden_dynamic_lds_size
    .group_segment_fixed_size: 32
    .kernarg_segment_align: 8
    .kernarg_segment_size: 304
    .language:       OpenCL C
    .language_version:
      - 2
      - 0
    .max_flat_workgroup_size: 1024
    .name:           _ZN4vllm32paged_attention_v2_reduce_kernelI14__hip_bfloat16Li112ELi128ELi512EEEvPT_PKfS5_PKS2_PKii
    .private_segment_fixed_size: 0
    .sgpr_count:     28
    .sgpr_spill_count: 0
    .symbol:         _ZN4vllm32paged_attention_v2_reduce_kernelI14__hip_bfloat16Li112ELi128ELi512EEEvPT_PKfS5_PKS2_PKii.kd
    .uniform_work_group_size: 1
    .uses_dynamic_stack: false
    .vgpr_count:     19
    .vgpr_spill_count: 0
    .wavefront_size: 32
    .workgroup_processor_mode: 1
  - .args:
      - .actual_access:  write_only
        .address_space:  global
        .offset:         0
        .size:           8
        .value_kind:     global_buffer
      - .actual_access:  write_only
        .address_space:  global
        .offset:         8
        .size:           8
        .value_kind:     global_buffer
      - .actual_access:  write_only
        .address_space:  global
        .offset:         16
        .size:           8
        .value_kind:     global_buffer
      - .actual_access:  read_only
        .address_space:  global
        .offset:         24
        .size:           8
        .value_kind:     global_buffer
      - .actual_access:  read_only
        .address_space:  global
        .offset:         32
        .size:           8
        .value_kind:     global_buffer
      - .actual_access:  read_only
        .address_space:  global
        .offset:         40
        .size:           8
        .value_kind:     global_buffer
      - .offset:         48
        .size:           4
        .value_kind:     by_value
      - .offset:         52
        .size:           4
        .value_kind:     by_value
      - .actual_access:  read_only
        .address_space:  global
        .offset:         56
        .size:           8
        .value_kind:     global_buffer
      - .actual_access:  read_only
        .address_space:  global
        .offset:         64
        .size:           8
        .value_kind:     global_buffer
      - .offset:         72
        .size:           4
        .value_kind:     by_value
      - .actual_access:  read_only
        .address_space:  global
        .offset:         80
        .size:           8
        .value_kind:     global_buffer
      - .offset:         88
        .size:           4
        .value_kind:     by_value
      - .offset:         92
        .size:           4
        .value_kind:     by_value
      - .offset:         96
        .size:           4
        .value_kind:     by_value
      - .address_space:  global
        .offset:         104
        .size:           8
        .value_kind:     global_buffer
      - .address_space:  global
        .offset:         112
        .size:           8
        .value_kind:     global_buffer
      - .offset:         120
        .size:           4
        .value_kind:     by_value
      - .offset:         124
        .size:           4
        .value_kind:     by_value
      - .offset:         128
        .size:           4
        .value_kind:     by_value
      - .offset:         132
        .size:           4
        .value_kind:     by_value
      - .offset:         136
        .size:           4
        .value_kind:     by_value
      - .offset:         144
        .size:           4
        .value_kind:     hidden_block_count_x
      - .offset:         148
        .size:           4
        .value_kind:     hidden_block_count_y
      - .offset:         152
        .size:           4
        .value_kind:     hidden_block_count_z
      - .offset:         156
        .size:           2
        .value_kind:     hidden_group_size_x
      - .offset:         158
        .size:           2
        .value_kind:     hidden_group_size_y
      - .offset:         160
        .size:           2
        .value_kind:     hidden_group_size_z
      - .offset:         162
        .size:           2
        .value_kind:     hidden_remainder_x
      - .offset:         164
        .size:           2
        .value_kind:     hidden_remainder_y
      - .offset:         166
        .size:           2
        .value_kind:     hidden_remainder_z
      - .offset:         184
        .size:           8
        .value_kind:     hidden_global_offset_x
      - .offset:         192
        .size:           8
        .value_kind:     hidden_global_offset_y
      - .offset:         200
        .size:           8
        .value_kind:     hidden_global_offset_z
      - .offset:         208
        .size:           2
        .value_kind:     hidden_grid_dims
      - .offset:         264
        .size:           4
        .value_kind:     hidden_dynamic_lds_size
    .group_segment_fixed_size: 272
    .kernarg_segment_align: 8
    .kernarg_segment_size: 400
    .language:       OpenCL C
    .language_version:
      - 2
      - 0
    .max_flat_workgroup_size: 1024
    .name:           _ZN4vllm25paged_attention_v2_kernelI14__hip_bfloat16S1_Li120ELi8ELi128ELNS_18Fp8KVCacheDataTypeE0ELb1ELi512EEEvPfS3_PT_PKS4_PKT0_SA_ifPKiSC_iPKfiiiSE_SE_iiiii
    .private_segment_fixed_size: 0
    .sgpr_count:     53
    .sgpr_spill_count: 0
    .symbol:         _ZN4vllm25paged_attention_v2_kernelI14__hip_bfloat16S1_Li120ELi8ELi128ELNS_18Fp8KVCacheDataTypeE0ELb1ELi512EEEvPfS3_PT_PKS4_PKT0_SA_ifPKiSC_iPKfiiiSE_SE_iiiii.kd
    .uniform_work_group_size: 1
    .uses_dynamic_stack: false
    .vgpr_count:     67
    .vgpr_spill_count: 0
    .wavefront_size: 32
    .workgroup_processor_mode: 1
  - .args:
      - .actual_access:  write_only
        .address_space:  global
        .offset:         0
        .size:           8
        .value_kind:     global_buffer
      - .actual_access:  read_only
        .address_space:  global
        .offset:         8
        .size:           8
        .value_kind:     global_buffer
      - .actual_access:  read_only
        .address_space:  global
        .offset:         16
        .size:           8
        .value_kind:     global_buffer
      - .actual_access:  read_only
        .address_space:  global
        .offset:         24
        .size:           8
        .value_kind:     global_buffer
      - .actual_access:  read_only
        .address_space:  global
        .offset:         32
        .size:           8
        .value_kind:     global_buffer
      - .offset:         40
        .size:           4
        .value_kind:     by_value
      - .offset:         48
        .size:           4
        .value_kind:     hidden_block_count_x
      - .offset:         52
        .size:           4
        .value_kind:     hidden_block_count_y
      - .offset:         56
        .size:           4
        .value_kind:     hidden_block_count_z
      - .offset:         60
        .size:           2
        .value_kind:     hidden_group_size_x
      - .offset:         62
        .size:           2
        .value_kind:     hidden_group_size_y
      - .offset:         64
        .size:           2
        .value_kind:     hidden_group_size_z
      - .offset:         66
        .size:           2
        .value_kind:     hidden_remainder_x
      - .offset:         68
        .size:           2
        .value_kind:     hidden_remainder_y
      - .offset:         70
        .size:           2
        .value_kind:     hidden_remainder_z
      - .offset:         88
        .size:           8
        .value_kind:     hidden_global_offset_x
      - .offset:         96
        .size:           8
        .value_kind:     hidden_global_offset_y
      - .offset:         104
        .size:           8
        .value_kind:     hidden_global_offset_z
      - .offset:         112
        .size:           2
        .value_kind:     hidden_grid_dims
      - .offset:         168
        .size:           4
        .value_kind:     hidden_dynamic_lds_size
    .group_segment_fixed_size: 32
    .kernarg_segment_align: 8
    .kernarg_segment_size: 304
    .language:       OpenCL C
    .language_version:
      - 2
      - 0
    .max_flat_workgroup_size: 1024
    .name:           _ZN4vllm32paged_attention_v2_reduce_kernelI14__hip_bfloat16Li120ELi128ELi512EEEvPT_PKfS5_PKS2_PKii
    .private_segment_fixed_size: 0
    .sgpr_count:     28
    .sgpr_spill_count: 0
    .symbol:         _ZN4vllm32paged_attention_v2_reduce_kernelI14__hip_bfloat16Li120ELi128ELi512EEEvPT_PKfS5_PKS2_PKii.kd
    .uniform_work_group_size: 1
    .uses_dynamic_stack: false
    .vgpr_count:     19
    .vgpr_spill_count: 0
    .wavefront_size: 32
    .workgroup_processor_mode: 1
  - .args:
      - .actual_access:  write_only
        .address_space:  global
        .offset:         0
        .size:           8
        .value_kind:     global_buffer
      - .actual_access:  write_only
        .address_space:  global
        .offset:         8
        .size:           8
        .value_kind:     global_buffer
      - .actual_access:  write_only
        .address_space:  global
        .offset:         16
        .size:           8
        .value_kind:     global_buffer
      - .actual_access:  read_only
        .address_space:  global
        .offset:         24
        .size:           8
        .value_kind:     global_buffer
      - .actual_access:  read_only
        .address_space:  global
        .offset:         32
        .size:           8
        .value_kind:     global_buffer
      - .actual_access:  read_only
        .address_space:  global
        .offset:         40
        .size:           8
        .value_kind:     global_buffer
      - .offset:         48
        .size:           4
        .value_kind:     by_value
      - .offset:         52
        .size:           4
        .value_kind:     by_value
      - .actual_access:  read_only
        .address_space:  global
        .offset:         56
        .size:           8
        .value_kind:     global_buffer
      - .actual_access:  read_only
        .address_space:  global
        .offset:         64
        .size:           8
        .value_kind:     global_buffer
      - .offset:         72
        .size:           4
        .value_kind:     by_value
      - .actual_access:  read_only
        .address_space:  global
        .offset:         80
        .size:           8
        .value_kind:     global_buffer
      - .offset:         88
        .size:           4
        .value_kind:     by_value
      - .offset:         92
        .size:           4
        .value_kind:     by_value
      - .offset:         96
        .size:           4
        .value_kind:     by_value
      - .address_space:  global
        .offset:         104
        .size:           8
        .value_kind:     global_buffer
      - .address_space:  global
        .offset:         112
        .size:           8
        .value_kind:     global_buffer
      - .offset:         120
        .size:           4
        .value_kind:     by_value
      - .offset:         124
        .size:           4
        .value_kind:     by_value
      - .offset:         128
        .size:           4
        .value_kind:     by_value
      - .offset:         132
        .size:           4
        .value_kind:     by_value
      - .offset:         136
        .size:           4
        .value_kind:     by_value
      - .offset:         144
        .size:           4
        .value_kind:     hidden_block_count_x
      - .offset:         148
        .size:           4
        .value_kind:     hidden_block_count_y
      - .offset:         152
        .size:           4
        .value_kind:     hidden_block_count_z
      - .offset:         156
        .size:           2
        .value_kind:     hidden_group_size_x
      - .offset:         158
        .size:           2
        .value_kind:     hidden_group_size_y
      - .offset:         160
        .size:           2
        .value_kind:     hidden_group_size_z
      - .offset:         162
        .size:           2
        .value_kind:     hidden_remainder_x
      - .offset:         164
        .size:           2
        .value_kind:     hidden_remainder_y
      - .offset:         166
        .size:           2
        .value_kind:     hidden_remainder_z
      - .offset:         184
        .size:           8
        .value_kind:     hidden_global_offset_x
      - .offset:         192
        .size:           8
        .value_kind:     hidden_global_offset_y
      - .offset:         200
        .size:           8
        .value_kind:     hidden_global_offset_z
      - .offset:         208
        .size:           2
        .value_kind:     hidden_grid_dims
      - .offset:         264
        .size:           4
        .value_kind:     hidden_dynamic_lds_size
    .group_segment_fixed_size: 288
    .kernarg_segment_align: 8
    .kernarg_segment_size: 400
    .language:       OpenCL C
    .language_version:
      - 2
      - 0
    .max_flat_workgroup_size: 1024
    .name:           _ZN4vllm25paged_attention_v2_kernelI14__hip_bfloat16S1_Li128ELi8ELi128ELNS_18Fp8KVCacheDataTypeE0ELb1ELi512EEEvPfS3_PT_PKS4_PKT0_SA_ifPKiSC_iPKfiiiSE_SE_iiiii
    .private_segment_fixed_size: 0
    .sgpr_count:     46
    .sgpr_spill_count: 0
    .symbol:         _ZN4vllm25paged_attention_v2_kernelI14__hip_bfloat16S1_Li128ELi8ELi128ELNS_18Fp8KVCacheDataTypeE0ELb1ELi512EEEvPfS3_PT_PKS4_PKT0_SA_ifPKiSC_iPKfiiiSE_SE_iiiii.kd
    .uniform_work_group_size: 1
    .uses_dynamic_stack: false
    .vgpr_count:     70
    .vgpr_spill_count: 0
    .wavefront_size: 32
    .workgroup_processor_mode: 1
  - .args:
      - .actual_access:  write_only
        .address_space:  global
        .offset:         0
        .size:           8
        .value_kind:     global_buffer
      - .actual_access:  read_only
        .address_space:  global
        .offset:         8
        .size:           8
        .value_kind:     global_buffer
      - .actual_access:  read_only
        .address_space:  global
        .offset:         16
        .size:           8
        .value_kind:     global_buffer
      - .actual_access:  read_only
        .address_space:  global
        .offset:         24
        .size:           8
        .value_kind:     global_buffer
      - .actual_access:  read_only
        .address_space:  global
        .offset:         32
        .size:           8
        .value_kind:     global_buffer
      - .offset:         40
        .size:           4
        .value_kind:     by_value
      - .offset:         48
        .size:           4
        .value_kind:     hidden_block_count_x
      - .offset:         52
        .size:           4
        .value_kind:     hidden_block_count_y
      - .offset:         56
        .size:           4
        .value_kind:     hidden_block_count_z
      - .offset:         60
        .size:           2
        .value_kind:     hidden_group_size_x
      - .offset:         62
        .size:           2
        .value_kind:     hidden_group_size_y
      - .offset:         64
        .size:           2
        .value_kind:     hidden_group_size_z
      - .offset:         66
        .size:           2
        .value_kind:     hidden_remainder_x
      - .offset:         68
        .size:           2
        .value_kind:     hidden_remainder_y
      - .offset:         70
        .size:           2
        .value_kind:     hidden_remainder_z
      - .offset:         88
        .size:           8
        .value_kind:     hidden_global_offset_x
      - .offset:         96
        .size:           8
        .value_kind:     hidden_global_offset_y
      - .offset:         104
        .size:           8
        .value_kind:     hidden_global_offset_z
      - .offset:         112
        .size:           2
        .value_kind:     hidden_grid_dims
      - .offset:         168
        .size:           4
        .value_kind:     hidden_dynamic_lds_size
    .group_segment_fixed_size: 32
    .kernarg_segment_align: 8
    .kernarg_segment_size: 304
    .language:       OpenCL C
    .language_version:
      - 2
      - 0
    .max_flat_workgroup_size: 1024
    .name:           _ZN4vllm32paged_attention_v2_reduce_kernelI14__hip_bfloat16Li128ELi128ELi512EEEvPT_PKfS5_PKS2_PKii
    .private_segment_fixed_size: 0
    .sgpr_count:     28
    .sgpr_spill_count: 0
    .symbol:         _ZN4vllm32paged_attention_v2_reduce_kernelI14__hip_bfloat16Li128ELi128ELi512EEEvPT_PKfS5_PKS2_PKii.kd
    .uniform_work_group_size: 1
    .uses_dynamic_stack: false
    .vgpr_count:     19
    .vgpr_spill_count: 0
    .wavefront_size: 32
    .workgroup_processor_mode: 1
  - .args:
      - .actual_access:  write_only
        .address_space:  global
        .offset:         0
        .size:           8
        .value_kind:     global_buffer
      - .actual_access:  write_only
        .address_space:  global
        .offset:         8
        .size:           8
        .value_kind:     global_buffer
      - .actual_access:  write_only
        .address_space:  global
        .offset:         16
        .size:           8
        .value_kind:     global_buffer
      - .actual_access:  read_only
        .address_space:  global
        .offset:         24
        .size:           8
        .value_kind:     global_buffer
      - .actual_access:  read_only
        .address_space:  global
        .offset:         32
        .size:           8
        .value_kind:     global_buffer
      - .actual_access:  read_only
        .address_space:  global
        .offset:         40
        .size:           8
        .value_kind:     global_buffer
      - .offset:         48
        .size:           4
        .value_kind:     by_value
      - .offset:         52
        .size:           4
        .value_kind:     by_value
      - .actual_access:  read_only
        .address_space:  global
        .offset:         56
        .size:           8
        .value_kind:     global_buffer
      - .actual_access:  read_only
        .address_space:  global
        .offset:         64
        .size:           8
        .value_kind:     global_buffer
      - .offset:         72
        .size:           4
        .value_kind:     by_value
      - .actual_access:  read_only
        .address_space:  global
        .offset:         80
        .size:           8
        .value_kind:     global_buffer
      - .offset:         88
        .size:           4
        .value_kind:     by_value
      - .offset:         92
        .size:           4
        .value_kind:     by_value
      - .offset:         96
        .size:           4
        .value_kind:     by_value
      - .address_space:  global
        .offset:         104
        .size:           8
        .value_kind:     global_buffer
      - .address_space:  global
        .offset:         112
        .size:           8
        .value_kind:     global_buffer
      - .offset:         120
        .size:           4
        .value_kind:     by_value
      - .offset:         124
        .size:           4
        .value_kind:     by_value
      - .offset:         128
        .size:           4
        .value_kind:     by_value
      - .offset:         132
        .size:           4
        .value_kind:     by_value
      - .offset:         136
        .size:           4
        .value_kind:     by_value
      - .offset:         144
        .size:           4
        .value_kind:     hidden_block_count_x
      - .offset:         148
        .size:           4
        .value_kind:     hidden_block_count_y
      - .offset:         152
        .size:           4
        .value_kind:     hidden_block_count_z
      - .offset:         156
        .size:           2
        .value_kind:     hidden_group_size_x
      - .offset:         158
        .size:           2
        .value_kind:     hidden_group_size_y
      - .offset:         160
        .size:           2
        .value_kind:     hidden_group_size_z
      - .offset:         162
        .size:           2
        .value_kind:     hidden_remainder_x
      - .offset:         164
        .size:           2
        .value_kind:     hidden_remainder_y
      - .offset:         166
        .size:           2
        .value_kind:     hidden_remainder_z
      - .offset:         184
        .size:           8
        .value_kind:     hidden_global_offset_x
      - .offset:         192
        .size:           8
        .value_kind:     hidden_global_offset_y
      - .offset:         200
        .size:           8
        .value_kind:     hidden_global_offset_z
      - .offset:         208
        .size:           2
        .value_kind:     hidden_grid_dims
      - .offset:         264
        .size:           4
        .value_kind:     hidden_dynamic_lds_size
    .group_segment_fixed_size: 416
    .kernarg_segment_align: 8
    .kernarg_segment_size: 400
    .language:       OpenCL C
    .language_version:
      - 2
      - 0
    .max_flat_workgroup_size: 1024
    .name:           _ZN4vllm25paged_attention_v2_kernelI14__hip_bfloat16S1_Li192ELi8ELi128ELNS_18Fp8KVCacheDataTypeE0ELb1ELi512EEEvPfS3_PT_PKS4_PKT0_SA_ifPKiSC_iPKfiiiSE_SE_iiiii
    .private_segment_fixed_size: 0
    .sgpr_count:     44
    .sgpr_spill_count: 0
    .symbol:         _ZN4vllm25paged_attention_v2_kernelI14__hip_bfloat16S1_Li192ELi8ELi128ELNS_18Fp8KVCacheDataTypeE0ELb1ELi512EEEvPfS3_PT_PKS4_PKT0_SA_ifPKiSC_iPKfiiiSE_SE_iiiii.kd
    .uniform_work_group_size: 1
    .uses_dynamic_stack: false
    .vgpr_count:     94
    .vgpr_spill_count: 0
    .wavefront_size: 32
    .workgroup_processor_mode: 1
  - .args:
      - .actual_access:  write_only
        .address_space:  global
        .offset:         0
        .size:           8
        .value_kind:     global_buffer
      - .actual_access:  read_only
        .address_space:  global
        .offset:         8
        .size:           8
        .value_kind:     global_buffer
      - .actual_access:  read_only
        .address_space:  global
        .offset:         16
        .size:           8
        .value_kind:     global_buffer
      - .actual_access:  read_only
        .address_space:  global
        .offset:         24
        .size:           8
        .value_kind:     global_buffer
      - .actual_access:  read_only
        .address_space:  global
        .offset:         32
        .size:           8
        .value_kind:     global_buffer
      - .offset:         40
        .size:           4
        .value_kind:     by_value
      - .offset:         48
        .size:           4
        .value_kind:     hidden_block_count_x
      - .offset:         52
        .size:           4
        .value_kind:     hidden_block_count_y
      - .offset:         56
        .size:           4
        .value_kind:     hidden_block_count_z
      - .offset:         60
        .size:           2
        .value_kind:     hidden_group_size_x
      - .offset:         62
        .size:           2
        .value_kind:     hidden_group_size_y
      - .offset:         64
        .size:           2
        .value_kind:     hidden_group_size_z
      - .offset:         66
        .size:           2
        .value_kind:     hidden_remainder_x
      - .offset:         68
        .size:           2
        .value_kind:     hidden_remainder_y
      - .offset:         70
        .size:           2
        .value_kind:     hidden_remainder_z
      - .offset:         88
        .size:           8
        .value_kind:     hidden_global_offset_x
      - .offset:         96
        .size:           8
        .value_kind:     hidden_global_offset_y
      - .offset:         104
        .size:           8
        .value_kind:     hidden_global_offset_z
      - .offset:         112
        .size:           2
        .value_kind:     hidden_grid_dims
      - .offset:         168
        .size:           4
        .value_kind:     hidden_dynamic_lds_size
    .group_segment_fixed_size: 32
    .kernarg_segment_align: 8
    .kernarg_segment_size: 304
    .language:       OpenCL C
    .language_version:
      - 2
      - 0
    .max_flat_workgroup_size: 1024
    .name:           _ZN4vllm32paged_attention_v2_reduce_kernelI14__hip_bfloat16Li192ELi128ELi512EEEvPT_PKfS5_PKS2_PKii
    .private_segment_fixed_size: 0
    .sgpr_count:     28
    .sgpr_spill_count: 0
    .symbol:         _ZN4vllm32paged_attention_v2_reduce_kernelI14__hip_bfloat16Li192ELi128ELi512EEEvPT_PKfS5_PKS2_PKii.kd
    .uniform_work_group_size: 1
    .uses_dynamic_stack: false
    .vgpr_count:     19
    .vgpr_spill_count: 0
    .wavefront_size: 32
    .workgroup_processor_mode: 1
  - .args:
      - .actual_access:  write_only
        .address_space:  global
        .offset:         0
        .size:           8
        .value_kind:     global_buffer
      - .actual_access:  write_only
        .address_space:  global
        .offset:         8
        .size:           8
        .value_kind:     global_buffer
      - .actual_access:  write_only
        .address_space:  global
        .offset:         16
        .size:           8
        .value_kind:     global_buffer
      - .actual_access:  read_only
        .address_space:  global
        .offset:         24
        .size:           8
        .value_kind:     global_buffer
      - .actual_access:  read_only
        .address_space:  global
        .offset:         32
        .size:           8
        .value_kind:     global_buffer
      - .actual_access:  read_only
        .address_space:  global
        .offset:         40
        .size:           8
        .value_kind:     global_buffer
      - .offset:         48
        .size:           4
        .value_kind:     by_value
      - .offset:         52
        .size:           4
        .value_kind:     by_value
      - .actual_access:  read_only
        .address_space:  global
        .offset:         56
        .size:           8
        .value_kind:     global_buffer
      - .actual_access:  read_only
        .address_space:  global
        .offset:         64
        .size:           8
        .value_kind:     global_buffer
      - .offset:         72
        .size:           4
        .value_kind:     by_value
      - .actual_access:  read_only
        .address_space:  global
        .offset:         80
        .size:           8
        .value_kind:     global_buffer
      - .offset:         88
        .size:           4
        .value_kind:     by_value
      - .offset:         92
        .size:           4
        .value_kind:     by_value
      - .offset:         96
        .size:           4
        .value_kind:     by_value
      - .address_space:  global
        .offset:         104
        .size:           8
        .value_kind:     global_buffer
      - .address_space:  global
        .offset:         112
        .size:           8
        .value_kind:     global_buffer
      - .offset:         120
        .size:           4
        .value_kind:     by_value
      - .offset:         124
        .size:           4
        .value_kind:     by_value
      - .offset:         128
        .size:           4
        .value_kind:     by_value
      - .offset:         132
        .size:           4
        .value_kind:     by_value
      - .offset:         136
        .size:           4
        .value_kind:     by_value
      - .offset:         144
        .size:           4
        .value_kind:     hidden_block_count_x
      - .offset:         148
        .size:           4
        .value_kind:     hidden_block_count_y
      - .offset:         152
        .size:           4
        .value_kind:     hidden_block_count_z
      - .offset:         156
        .size:           2
        .value_kind:     hidden_group_size_x
      - .offset:         158
        .size:           2
        .value_kind:     hidden_group_size_y
      - .offset:         160
        .size:           2
        .value_kind:     hidden_group_size_z
      - .offset:         162
        .size:           2
        .value_kind:     hidden_remainder_x
      - .offset:         164
        .size:           2
        .value_kind:     hidden_remainder_y
      - .offset:         166
        .size:           2
        .value_kind:     hidden_remainder_z
      - .offset:         184
        .size:           8
        .value_kind:     hidden_global_offset_x
      - .offset:         192
        .size:           8
        .value_kind:     hidden_global_offset_y
      - .offset:         200
        .size:           8
        .value_kind:     hidden_global_offset_z
      - .offset:         208
        .size:           2
        .value_kind:     hidden_grid_dims
      - .offset:         264
        .size:           4
        .value_kind:     hidden_dynamic_lds_size
    .group_segment_fixed_size: 544
    .kernarg_segment_align: 8
    .kernarg_segment_size: 400
    .language:       OpenCL C
    .language_version:
      - 2
      - 0
    .max_flat_workgroup_size: 1024
    .name:           _ZN4vllm25paged_attention_v2_kernelI14__hip_bfloat16S1_Li256ELi8ELi128ELNS_18Fp8KVCacheDataTypeE0ELb1ELi512EEEvPfS3_PT_PKS4_PKT0_SA_ifPKiSC_iPKfiiiSE_SE_iiiii
    .private_segment_fixed_size: 0
    .sgpr_count:     44
    .sgpr_spill_count: 0
    .symbol:         _ZN4vllm25paged_attention_v2_kernelI14__hip_bfloat16S1_Li256ELi8ELi128ELNS_18Fp8KVCacheDataTypeE0ELb1ELi512EEEvPfS3_PT_PKS4_PKT0_SA_ifPKiSC_iPKfiiiSE_SE_iiiii.kd
    .uniform_work_group_size: 1
    .uses_dynamic_stack: false
    .vgpr_count:     108
    .vgpr_spill_count: 0
    .wavefront_size: 32
    .workgroup_processor_mode: 1
  - .args:
      - .actual_access:  write_only
        .address_space:  global
        .offset:         0
        .size:           8
        .value_kind:     global_buffer
      - .actual_access:  read_only
        .address_space:  global
        .offset:         8
        .size:           8
        .value_kind:     global_buffer
      - .actual_access:  read_only
        .address_space:  global
        .offset:         16
        .size:           8
        .value_kind:     global_buffer
      - .actual_access:  read_only
        .address_space:  global
        .offset:         24
        .size:           8
        .value_kind:     global_buffer
      - .actual_access:  read_only
        .address_space:  global
        .offset:         32
        .size:           8
        .value_kind:     global_buffer
      - .offset:         40
        .size:           4
        .value_kind:     by_value
      - .offset:         48
        .size:           4
        .value_kind:     hidden_block_count_x
      - .offset:         52
        .size:           4
        .value_kind:     hidden_block_count_y
      - .offset:         56
        .size:           4
        .value_kind:     hidden_block_count_z
      - .offset:         60
        .size:           2
        .value_kind:     hidden_group_size_x
      - .offset:         62
        .size:           2
        .value_kind:     hidden_group_size_y
      - .offset:         64
        .size:           2
        .value_kind:     hidden_group_size_z
      - .offset:         66
        .size:           2
        .value_kind:     hidden_remainder_x
      - .offset:         68
        .size:           2
        .value_kind:     hidden_remainder_y
      - .offset:         70
        .size:           2
        .value_kind:     hidden_remainder_z
      - .offset:         88
        .size:           8
        .value_kind:     hidden_global_offset_x
      - .offset:         96
        .size:           8
        .value_kind:     hidden_global_offset_y
      - .offset:         104
        .size:           8
        .value_kind:     hidden_global_offset_z
      - .offset:         112
        .size:           2
        .value_kind:     hidden_grid_dims
      - .offset:         168
        .size:           4
        .value_kind:     hidden_dynamic_lds_size
    .group_segment_fixed_size: 32
    .kernarg_segment_align: 8
    .kernarg_segment_size: 304
    .language:       OpenCL C
    .language_version:
      - 2
      - 0
    .max_flat_workgroup_size: 1024
    .name:           _ZN4vllm32paged_attention_v2_reduce_kernelI14__hip_bfloat16Li256ELi128ELi512EEEvPT_PKfS5_PKS2_PKii
    .private_segment_fixed_size: 0
    .sgpr_count:     28
    .sgpr_spill_count: 0
    .symbol:         _ZN4vllm32paged_attention_v2_reduce_kernelI14__hip_bfloat16Li256ELi128ELi512EEEvPT_PKfS5_PKS2_PKii.kd
    .uniform_work_group_size: 1
    .uses_dynamic_stack: false
    .vgpr_count:     19
    .vgpr_spill_count: 0
    .wavefront_size: 32
    .workgroup_processor_mode: 1
  - .args:
      - .actual_access:  write_only
        .address_space:  global
        .offset:         0
        .size:           8
        .value_kind:     global_buffer
      - .actual_access:  write_only
        .address_space:  global
        .offset:         8
        .size:           8
        .value_kind:     global_buffer
      - .actual_access:  write_only
        .address_space:  global
        .offset:         16
        .size:           8
        .value_kind:     global_buffer
      - .actual_access:  read_only
        .address_space:  global
        .offset:         24
        .size:           8
        .value_kind:     global_buffer
      - .actual_access:  read_only
        .address_space:  global
        .offset:         32
        .size:           8
        .value_kind:     global_buffer
      - .actual_access:  read_only
        .address_space:  global
        .offset:         40
        .size:           8
        .value_kind:     global_buffer
      - .offset:         48
        .size:           4
        .value_kind:     by_value
      - .offset:         52
        .size:           4
        .value_kind:     by_value
      - .actual_access:  read_only
        .address_space:  global
        .offset:         56
        .size:           8
        .value_kind:     global_buffer
      - .actual_access:  read_only
        .address_space:  global
        .offset:         64
        .size:           8
        .value_kind:     global_buffer
      - .offset:         72
        .size:           4
        .value_kind:     by_value
      - .actual_access:  read_only
        .address_space:  global
        .offset:         80
        .size:           8
        .value_kind:     global_buffer
      - .offset:         88
        .size:           4
        .value_kind:     by_value
      - .offset:         92
        .size:           4
        .value_kind:     by_value
      - .offset:         96
        .size:           4
        .value_kind:     by_value
      - .address_space:  global
        .offset:         104
        .size:           8
        .value_kind:     global_buffer
      - .address_space:  global
        .offset:         112
        .size:           8
        .value_kind:     global_buffer
      - .offset:         120
        .size:           4
        .value_kind:     by_value
      - .offset:         124
        .size:           4
        .value_kind:     by_value
      - .offset:         128
        .size:           4
        .value_kind:     by_value
      - .offset:         132
        .size:           4
        .value_kind:     by_value
      - .offset:         136
        .size:           4
        .value_kind:     by_value
      - .offset:         144
        .size:           4
        .value_kind:     hidden_block_count_x
      - .offset:         148
        .size:           4
        .value_kind:     hidden_block_count_y
      - .offset:         152
        .size:           4
        .value_kind:     hidden_block_count_z
      - .offset:         156
        .size:           2
        .value_kind:     hidden_group_size_x
      - .offset:         158
        .size:           2
        .value_kind:     hidden_group_size_y
      - .offset:         160
        .size:           2
        .value_kind:     hidden_group_size_z
      - .offset:         162
        .size:           2
        .value_kind:     hidden_remainder_x
      - .offset:         164
        .size:           2
        .value_kind:     hidden_remainder_y
      - .offset:         166
        .size:           2
        .value_kind:     hidden_remainder_z
      - .offset:         184
        .size:           8
        .value_kind:     hidden_global_offset_x
      - .offset:         192
        .size:           8
        .value_kind:     hidden_global_offset_y
      - .offset:         200
        .size:           8
        .value_kind:     hidden_global_offset_z
      - .offset:         208
        .size:           2
        .value_kind:     hidden_grid_dims
      - .offset:         264
        .size:           4
        .value_kind:     hidden_dynamic_lds_size
    .group_segment_fixed_size: 96
    .kernarg_segment_align: 8
    .kernarg_segment_size: 400
    .language:       OpenCL C
    .language_version:
      - 2
      - 0
    .max_flat_workgroup_size: 1024
    .name:           _ZN4vllm25paged_attention_v2_kernelI14__hip_bfloat16S1_Li32ELi8ELi128ELNS_18Fp8KVCacheDataTypeE0ELb0ELi512EEEvPfS3_PT_PKS4_PKT0_SA_ifPKiSC_iPKfiiiSE_SE_iiiii
    .private_segment_fixed_size: 0
    .sgpr_count:     38
    .sgpr_spill_count: 0
    .symbol:         _ZN4vllm25paged_attention_v2_kernelI14__hip_bfloat16S1_Li32ELi8ELi128ELNS_18Fp8KVCacheDataTypeE0ELb0ELi512EEEvPfS3_PT_PKS4_PKT0_SA_ifPKiSC_iPKfiiiSE_SE_iiiii.kd
    .uniform_work_group_size: 1
    .uses_dynamic_stack: false
    .vgpr_count:     32
    .vgpr_spill_count: 0
    .wavefront_size: 32
    .workgroup_processor_mode: 1
  - .args:
      - .actual_access:  write_only
        .address_space:  global
        .offset:         0
        .size:           8
        .value_kind:     global_buffer
      - .actual_access:  write_only
        .address_space:  global
        .offset:         8
        .size:           8
        .value_kind:     global_buffer
      - .actual_access:  write_only
        .address_space:  global
        .offset:         16
        .size:           8
        .value_kind:     global_buffer
      - .actual_access:  read_only
        .address_space:  global
        .offset:         24
        .size:           8
        .value_kind:     global_buffer
      - .actual_access:  read_only
        .address_space:  global
        .offset:         32
        .size:           8
        .value_kind:     global_buffer
      - .actual_access:  read_only
        .address_space:  global
        .offset:         40
        .size:           8
        .value_kind:     global_buffer
      - .offset:         48
        .size:           4
        .value_kind:     by_value
      - .offset:         52
        .size:           4
        .value_kind:     by_value
      - .actual_access:  read_only
        .address_space:  global
        .offset:         56
        .size:           8
        .value_kind:     global_buffer
      - .actual_access:  read_only
        .address_space:  global
        .offset:         64
        .size:           8
        .value_kind:     global_buffer
      - .offset:         72
        .size:           4
        .value_kind:     by_value
      - .actual_access:  read_only
        .address_space:  global
        .offset:         80
        .size:           8
        .value_kind:     global_buffer
      - .offset:         88
        .size:           4
        .value_kind:     by_value
      - .offset:         92
        .size:           4
        .value_kind:     by_value
      - .offset:         96
        .size:           4
        .value_kind:     by_value
      - .address_space:  global
        .offset:         104
        .size:           8
        .value_kind:     global_buffer
      - .address_space:  global
        .offset:         112
        .size:           8
        .value_kind:     global_buffer
      - .offset:         120
        .size:           4
        .value_kind:     by_value
      - .offset:         124
        .size:           4
        .value_kind:     by_value
      - .offset:         128
        .size:           4
        .value_kind:     by_value
      - .offset:         132
        .size:           4
        .value_kind:     by_value
      - .offset:         136
        .size:           4
        .value_kind:     by_value
      - .offset:         144
        .size:           4
        .value_kind:     hidden_block_count_x
      - .offset:         148
        .size:           4
        .value_kind:     hidden_block_count_y
      - .offset:         152
        .size:           4
        .value_kind:     hidden_block_count_z
      - .offset:         156
        .size:           2
        .value_kind:     hidden_group_size_x
      - .offset:         158
        .size:           2
        .value_kind:     hidden_group_size_y
      - .offset:         160
        .size:           2
        .value_kind:     hidden_group_size_z
      - .offset:         162
        .size:           2
        .value_kind:     hidden_remainder_x
      - .offset:         164
        .size:           2
        .value_kind:     hidden_remainder_y
      - .offset:         166
        .size:           2
        .value_kind:     hidden_remainder_z
      - .offset:         184
        .size:           8
        .value_kind:     hidden_global_offset_x
      - .offset:         192
        .size:           8
        .value_kind:     hidden_global_offset_y
      - .offset:         200
        .size:           8
        .value_kind:     hidden_global_offset_z
      - .offset:         208
        .size:           2
        .value_kind:     hidden_grid_dims
      - .offset:         264
        .size:           4
        .value_kind:     hidden_dynamic_lds_size
    .group_segment_fixed_size: 160
    .kernarg_segment_align: 8
    .kernarg_segment_size: 400
    .language:       OpenCL C
    .language_version:
      - 2
      - 0
    .max_flat_workgroup_size: 1024
    .name:           _ZN4vllm25paged_attention_v2_kernelI14__hip_bfloat16S1_Li64ELi8ELi128ELNS_18Fp8KVCacheDataTypeE0ELb0ELi512EEEvPfS3_PT_PKS4_PKT0_SA_ifPKiSC_iPKfiiiSE_SE_iiiii
    .private_segment_fixed_size: 0
    .sgpr_count:     38
    .sgpr_spill_count: 0
    .symbol:         _ZN4vllm25paged_attention_v2_kernelI14__hip_bfloat16S1_Li64ELi8ELi128ELNS_18Fp8KVCacheDataTypeE0ELb0ELi512EEEvPfS3_PT_PKS4_PKT0_SA_ifPKiSC_iPKfiiiSE_SE_iiiii.kd
    .uniform_work_group_size: 1
    .uses_dynamic_stack: false
    .vgpr_count:     44
    .vgpr_spill_count: 0
    .wavefront_size: 32
    .workgroup_processor_mode: 1
  - .args:
      - .actual_access:  write_only
        .address_space:  global
        .offset:         0
        .size:           8
        .value_kind:     global_buffer
      - .actual_access:  write_only
        .address_space:  global
        .offset:         8
        .size:           8
        .value_kind:     global_buffer
      - .actual_access:  write_only
        .address_space:  global
        .offset:         16
        .size:           8
        .value_kind:     global_buffer
      - .actual_access:  read_only
        .address_space:  global
        .offset:         24
        .size:           8
        .value_kind:     global_buffer
      - .actual_access:  read_only
        .address_space:  global
        .offset:         32
        .size:           8
        .value_kind:     global_buffer
      - .actual_access:  read_only
        .address_space:  global
        .offset:         40
        .size:           8
        .value_kind:     global_buffer
      - .offset:         48
        .size:           4
        .value_kind:     by_value
      - .offset:         52
        .size:           4
        .value_kind:     by_value
      - .actual_access:  read_only
        .address_space:  global
        .offset:         56
        .size:           8
        .value_kind:     global_buffer
      - .actual_access:  read_only
        .address_space:  global
        .offset:         64
        .size:           8
        .value_kind:     global_buffer
      - .offset:         72
        .size:           4
        .value_kind:     by_value
      - .actual_access:  read_only
        .address_space:  global
        .offset:         80
        .size:           8
        .value_kind:     global_buffer
      - .offset:         88
        .size:           4
        .value_kind:     by_value
      - .offset:         92
        .size:           4
        .value_kind:     by_value
      - .offset:         96
        .size:           4
        .value_kind:     by_value
      - .address_space:  global
        .offset:         104
        .size:           8
        .value_kind:     global_buffer
      - .address_space:  global
        .offset:         112
        .size:           8
        .value_kind:     global_buffer
      - .offset:         120
        .size:           4
        .value_kind:     by_value
      - .offset:         124
        .size:           4
        .value_kind:     by_value
      - .offset:         128
        .size:           4
        .value_kind:     by_value
      - .offset:         132
        .size:           4
        .value_kind:     by_value
      - .offset:         136
        .size:           4
        .value_kind:     by_value
      - .offset:         144
        .size:           4
        .value_kind:     hidden_block_count_x
      - .offset:         148
        .size:           4
        .value_kind:     hidden_block_count_y
      - .offset:         152
        .size:           4
        .value_kind:     hidden_block_count_z
      - .offset:         156
        .size:           2
        .value_kind:     hidden_group_size_x
      - .offset:         158
        .size:           2
        .value_kind:     hidden_group_size_y
      - .offset:         160
        .size:           2
        .value_kind:     hidden_group_size_z
      - .offset:         162
        .size:           2
        .value_kind:     hidden_remainder_x
      - .offset:         164
        .size:           2
        .value_kind:     hidden_remainder_y
      - .offset:         166
        .size:           2
        .value_kind:     hidden_remainder_z
      - .offset:         184
        .size:           8
        .value_kind:     hidden_global_offset_x
      - .offset:         192
        .size:           8
        .value_kind:     hidden_global_offset_y
      - .offset:         200
        .size:           8
        .value_kind:     hidden_global_offset_z
      - .offset:         208
        .size:           2
        .value_kind:     hidden_grid_dims
      - .offset:         264
        .size:           4
        .value_kind:     hidden_dynamic_lds_size
    .group_segment_fixed_size: 192
    .kernarg_segment_align: 8
    .kernarg_segment_size: 400
    .language:       OpenCL C
    .language_version:
      - 2
      - 0
    .max_flat_workgroup_size: 1024
    .name:           _ZN4vllm25paged_attention_v2_kernelI14__hip_bfloat16S1_Li80ELi8ELi128ELNS_18Fp8KVCacheDataTypeE0ELb0ELi512EEEvPfS3_PT_PKS4_PKT0_SA_ifPKiSC_iPKfiiiSE_SE_iiiii
    .private_segment_fixed_size: 0
    .sgpr_count:     34
    .sgpr_spill_count: 0
    .symbol:         _ZN4vllm25paged_attention_v2_kernelI14__hip_bfloat16S1_Li80ELi8ELi128ELNS_18Fp8KVCacheDataTypeE0ELb0ELi512EEEvPfS3_PT_PKS4_PKT0_SA_ifPKiSC_iPKfiiiSE_SE_iiiii.kd
    .uniform_work_group_size: 1
    .uses_dynamic_stack: false
    .vgpr_count:     50
    .vgpr_spill_count: 0
    .wavefront_size: 32
    .workgroup_processor_mode: 1
  - .args:
      - .actual_access:  write_only
        .address_space:  global
        .offset:         0
        .size:           8
        .value_kind:     global_buffer
      - .actual_access:  write_only
        .address_space:  global
        .offset:         8
        .size:           8
        .value_kind:     global_buffer
      - .actual_access:  write_only
        .address_space:  global
        .offset:         16
        .size:           8
        .value_kind:     global_buffer
      - .actual_access:  read_only
        .address_space:  global
        .offset:         24
        .size:           8
        .value_kind:     global_buffer
      - .actual_access:  read_only
        .address_space:  global
        .offset:         32
        .size:           8
        .value_kind:     global_buffer
      - .actual_access:  read_only
        .address_space:  global
        .offset:         40
        .size:           8
        .value_kind:     global_buffer
      - .offset:         48
        .size:           4
        .value_kind:     by_value
      - .offset:         52
        .size:           4
        .value_kind:     by_value
      - .actual_access:  read_only
        .address_space:  global
        .offset:         56
        .size:           8
        .value_kind:     global_buffer
      - .actual_access:  read_only
        .address_space:  global
        .offset:         64
        .size:           8
        .value_kind:     global_buffer
      - .offset:         72
        .size:           4
        .value_kind:     by_value
      - .actual_access:  read_only
        .address_space:  global
        .offset:         80
        .size:           8
        .value_kind:     global_buffer
      - .offset:         88
        .size:           4
        .value_kind:     by_value
      - .offset:         92
        .size:           4
        .value_kind:     by_value
      - .offset:         96
        .size:           4
        .value_kind:     by_value
      - .address_space:  global
        .offset:         104
        .size:           8
        .value_kind:     global_buffer
      - .address_space:  global
        .offset:         112
        .size:           8
        .value_kind:     global_buffer
      - .offset:         120
        .size:           4
        .value_kind:     by_value
      - .offset:         124
        .size:           4
        .value_kind:     by_value
      - .offset:         128
        .size:           4
        .value_kind:     by_value
      - .offset:         132
        .size:           4
        .value_kind:     by_value
      - .offset:         136
        .size:           4
        .value_kind:     by_value
      - .offset:         144
        .size:           4
        .value_kind:     hidden_block_count_x
      - .offset:         148
        .size:           4
        .value_kind:     hidden_block_count_y
      - .offset:         152
        .size:           4
        .value_kind:     hidden_block_count_z
      - .offset:         156
        .size:           2
        .value_kind:     hidden_group_size_x
      - .offset:         158
        .size:           2
        .value_kind:     hidden_group_size_y
      - .offset:         160
        .size:           2
        .value_kind:     hidden_group_size_z
      - .offset:         162
        .size:           2
        .value_kind:     hidden_remainder_x
      - .offset:         164
        .size:           2
        .value_kind:     hidden_remainder_y
      - .offset:         166
        .size:           2
        .value_kind:     hidden_remainder_z
      - .offset:         184
        .size:           8
        .value_kind:     hidden_global_offset_x
      - .offset:         192
        .size:           8
        .value_kind:     hidden_global_offset_y
      - .offset:         200
        .size:           8
        .value_kind:     hidden_global_offset_z
      - .offset:         208
        .size:           2
        .value_kind:     hidden_grid_dims
      - .offset:         264
        .size:           4
        .value_kind:     hidden_dynamic_lds_size
    .group_segment_fixed_size: 224
    .kernarg_segment_align: 8
    .kernarg_segment_size: 400
    .language:       OpenCL C
    .language_version:
      - 2
      - 0
    .max_flat_workgroup_size: 1024
    .name:           _ZN4vllm25paged_attention_v2_kernelI14__hip_bfloat16S1_Li96ELi8ELi128ELNS_18Fp8KVCacheDataTypeE0ELb0ELi512EEEvPfS3_PT_PKS4_PKT0_SA_ifPKiSC_iPKfiiiSE_SE_iiiii
    .private_segment_fixed_size: 0
    .sgpr_count:     34
    .sgpr_spill_count: 0
    .symbol:         _ZN4vllm25paged_attention_v2_kernelI14__hip_bfloat16S1_Li96ELi8ELi128ELNS_18Fp8KVCacheDataTypeE0ELb0ELi512EEEvPfS3_PT_PKS4_PKT0_SA_ifPKiSC_iPKfiiiSE_SE_iiiii.kd
    .uniform_work_group_size: 1
    .uses_dynamic_stack: false
    .vgpr_count:     56
    .vgpr_spill_count: 0
    .wavefront_size: 32
    .workgroup_processor_mode: 1
  - .args:
      - .actual_access:  write_only
        .address_space:  global
        .offset:         0
        .size:           8
        .value_kind:     global_buffer
      - .actual_access:  write_only
        .address_space:  global
        .offset:         8
        .size:           8
        .value_kind:     global_buffer
      - .actual_access:  write_only
        .address_space:  global
        .offset:         16
        .size:           8
        .value_kind:     global_buffer
      - .actual_access:  read_only
        .address_space:  global
        .offset:         24
        .size:           8
        .value_kind:     global_buffer
      - .actual_access:  read_only
        .address_space:  global
        .offset:         32
        .size:           8
        .value_kind:     global_buffer
      - .actual_access:  read_only
        .address_space:  global
        .offset:         40
        .size:           8
        .value_kind:     global_buffer
      - .offset:         48
        .size:           4
        .value_kind:     by_value
      - .offset:         52
        .size:           4
        .value_kind:     by_value
      - .actual_access:  read_only
        .address_space:  global
        .offset:         56
        .size:           8
        .value_kind:     global_buffer
      - .actual_access:  read_only
        .address_space:  global
        .offset:         64
        .size:           8
        .value_kind:     global_buffer
      - .offset:         72
        .size:           4
        .value_kind:     by_value
      - .actual_access:  read_only
        .address_space:  global
        .offset:         80
        .size:           8
        .value_kind:     global_buffer
      - .offset:         88
        .size:           4
        .value_kind:     by_value
      - .offset:         92
        .size:           4
        .value_kind:     by_value
      - .offset:         96
        .size:           4
        .value_kind:     by_value
      - .address_space:  global
        .offset:         104
        .size:           8
        .value_kind:     global_buffer
      - .address_space:  global
        .offset:         112
        .size:           8
        .value_kind:     global_buffer
      - .offset:         120
        .size:           4
        .value_kind:     by_value
      - .offset:         124
        .size:           4
        .value_kind:     by_value
      - .offset:         128
        .size:           4
        .value_kind:     by_value
      - .offset:         132
        .size:           4
        .value_kind:     by_value
      - .offset:         136
        .size:           4
        .value_kind:     by_value
      - .offset:         144
        .size:           4
        .value_kind:     hidden_block_count_x
      - .offset:         148
        .size:           4
        .value_kind:     hidden_block_count_y
      - .offset:         152
        .size:           4
        .value_kind:     hidden_block_count_z
      - .offset:         156
        .size:           2
        .value_kind:     hidden_group_size_x
      - .offset:         158
        .size:           2
        .value_kind:     hidden_group_size_y
      - .offset:         160
        .size:           2
        .value_kind:     hidden_group_size_z
      - .offset:         162
        .size:           2
        .value_kind:     hidden_remainder_x
      - .offset:         164
        .size:           2
        .value_kind:     hidden_remainder_y
      - .offset:         166
        .size:           2
        .value_kind:     hidden_remainder_z
      - .offset:         184
        .size:           8
        .value_kind:     hidden_global_offset_x
      - .offset:         192
        .size:           8
        .value_kind:     hidden_global_offset_y
      - .offset:         200
        .size:           8
        .value_kind:     hidden_global_offset_z
      - .offset:         208
        .size:           2
        .value_kind:     hidden_grid_dims
      - .offset:         264
        .size:           4
        .value_kind:     hidden_dynamic_lds_size
    .group_segment_fixed_size: 256
    .kernarg_segment_align: 8
    .kernarg_segment_size: 400
    .language:       OpenCL C
    .language_version:
      - 2
      - 0
    .max_flat_workgroup_size: 1024
    .name:           _ZN4vllm25paged_attention_v2_kernelI14__hip_bfloat16S1_Li112ELi8ELi128ELNS_18Fp8KVCacheDataTypeE0ELb0ELi512EEEvPfS3_PT_PKS4_PKT0_SA_ifPKiSC_iPKfiiiSE_SE_iiiii
    .private_segment_fixed_size: 0
    .sgpr_count:     34
    .sgpr_spill_count: 0
    .symbol:         _ZN4vllm25paged_attention_v2_kernelI14__hip_bfloat16S1_Li112ELi8ELi128ELNS_18Fp8KVCacheDataTypeE0ELb0ELi512EEEvPfS3_PT_PKS4_PKT0_SA_ifPKiSC_iPKfiiiSE_SE_iiiii.kd
    .uniform_work_group_size: 1
    .uses_dynamic_stack: false
    .vgpr_count:     62
    .vgpr_spill_count: 0
    .wavefront_size: 32
    .workgroup_processor_mode: 1
  - .args:
      - .actual_access:  write_only
        .address_space:  global
        .offset:         0
        .size:           8
        .value_kind:     global_buffer
      - .actual_access:  write_only
        .address_space:  global
        .offset:         8
        .size:           8
        .value_kind:     global_buffer
      - .actual_access:  write_only
        .address_space:  global
        .offset:         16
        .size:           8
        .value_kind:     global_buffer
      - .actual_access:  read_only
        .address_space:  global
        .offset:         24
        .size:           8
        .value_kind:     global_buffer
      - .actual_access:  read_only
        .address_space:  global
        .offset:         32
        .size:           8
        .value_kind:     global_buffer
      - .actual_access:  read_only
        .address_space:  global
        .offset:         40
        .size:           8
        .value_kind:     global_buffer
      - .offset:         48
        .size:           4
        .value_kind:     by_value
      - .offset:         52
        .size:           4
        .value_kind:     by_value
      - .actual_access:  read_only
        .address_space:  global
        .offset:         56
        .size:           8
        .value_kind:     global_buffer
      - .actual_access:  read_only
        .address_space:  global
        .offset:         64
        .size:           8
        .value_kind:     global_buffer
      - .offset:         72
        .size:           4
        .value_kind:     by_value
      - .actual_access:  read_only
        .address_space:  global
        .offset:         80
        .size:           8
        .value_kind:     global_buffer
      - .offset:         88
        .size:           4
        .value_kind:     by_value
      - .offset:         92
        .size:           4
        .value_kind:     by_value
      - .offset:         96
        .size:           4
        .value_kind:     by_value
      - .address_space:  global
        .offset:         104
        .size:           8
        .value_kind:     global_buffer
      - .address_space:  global
        .offset:         112
        .size:           8
        .value_kind:     global_buffer
      - .offset:         120
        .size:           4
        .value_kind:     by_value
      - .offset:         124
        .size:           4
        .value_kind:     by_value
      - .offset:         128
        .size:           4
        .value_kind:     by_value
      - .offset:         132
        .size:           4
        .value_kind:     by_value
      - .offset:         136
        .size:           4
        .value_kind:     by_value
      - .offset:         144
        .size:           4
        .value_kind:     hidden_block_count_x
      - .offset:         148
        .size:           4
        .value_kind:     hidden_block_count_y
      - .offset:         152
        .size:           4
        .value_kind:     hidden_block_count_z
      - .offset:         156
        .size:           2
        .value_kind:     hidden_group_size_x
      - .offset:         158
        .size:           2
        .value_kind:     hidden_group_size_y
      - .offset:         160
        .size:           2
        .value_kind:     hidden_group_size_z
      - .offset:         162
        .size:           2
        .value_kind:     hidden_remainder_x
      - .offset:         164
        .size:           2
        .value_kind:     hidden_remainder_y
      - .offset:         166
        .size:           2
        .value_kind:     hidden_remainder_z
      - .offset:         184
        .size:           8
        .value_kind:     hidden_global_offset_x
      - .offset:         192
        .size:           8
        .value_kind:     hidden_global_offset_y
      - .offset:         200
        .size:           8
        .value_kind:     hidden_global_offset_z
      - .offset:         208
        .size:           2
        .value_kind:     hidden_grid_dims
      - .offset:         264
        .size:           4
        .value_kind:     hidden_dynamic_lds_size
    .group_segment_fixed_size: 272
    .kernarg_segment_align: 8
    .kernarg_segment_size: 400
    .language:       OpenCL C
    .language_version:
      - 2
      - 0
    .max_flat_workgroup_size: 1024
    .name:           _ZN4vllm25paged_attention_v2_kernelI14__hip_bfloat16S1_Li120ELi8ELi128ELNS_18Fp8KVCacheDataTypeE0ELb0ELi512EEEvPfS3_PT_PKS4_PKT0_SA_ifPKiSC_iPKfiiiSE_SE_iiiii
    .private_segment_fixed_size: 0
    .sgpr_count:     34
    .sgpr_spill_count: 0
    .symbol:         _ZN4vllm25paged_attention_v2_kernelI14__hip_bfloat16S1_Li120ELi8ELi128ELNS_18Fp8KVCacheDataTypeE0ELb0ELi512EEEvPfS3_PT_PKS4_PKT0_SA_ifPKiSC_iPKfiiiSE_SE_iiiii.kd
    .uniform_work_group_size: 1
    .uses_dynamic_stack: false
    .vgpr_count:     65
    .vgpr_spill_count: 0
    .wavefront_size: 32
    .workgroup_processor_mode: 1
  - .args:
      - .actual_access:  write_only
        .address_space:  global
        .offset:         0
        .size:           8
        .value_kind:     global_buffer
      - .actual_access:  write_only
        .address_space:  global
        .offset:         8
        .size:           8
        .value_kind:     global_buffer
      - .actual_access:  write_only
        .address_space:  global
        .offset:         16
        .size:           8
        .value_kind:     global_buffer
      - .actual_access:  read_only
        .address_space:  global
        .offset:         24
        .size:           8
        .value_kind:     global_buffer
      - .actual_access:  read_only
        .address_space:  global
        .offset:         32
        .size:           8
        .value_kind:     global_buffer
      - .actual_access:  read_only
        .address_space:  global
        .offset:         40
        .size:           8
        .value_kind:     global_buffer
      - .offset:         48
        .size:           4
        .value_kind:     by_value
      - .offset:         52
        .size:           4
        .value_kind:     by_value
      - .actual_access:  read_only
        .address_space:  global
        .offset:         56
        .size:           8
        .value_kind:     global_buffer
      - .actual_access:  read_only
        .address_space:  global
        .offset:         64
        .size:           8
        .value_kind:     global_buffer
      - .offset:         72
        .size:           4
        .value_kind:     by_value
      - .actual_access:  read_only
        .address_space:  global
        .offset:         80
        .size:           8
        .value_kind:     global_buffer
      - .offset:         88
        .size:           4
        .value_kind:     by_value
      - .offset:         92
        .size:           4
        .value_kind:     by_value
      - .offset:         96
        .size:           4
        .value_kind:     by_value
      - .address_space:  global
        .offset:         104
        .size:           8
        .value_kind:     global_buffer
      - .address_space:  global
        .offset:         112
        .size:           8
        .value_kind:     global_buffer
      - .offset:         120
        .size:           4
        .value_kind:     by_value
      - .offset:         124
        .size:           4
        .value_kind:     by_value
      - .offset:         128
        .size:           4
        .value_kind:     by_value
      - .offset:         132
        .size:           4
        .value_kind:     by_value
      - .offset:         136
        .size:           4
        .value_kind:     by_value
      - .offset:         144
        .size:           4
        .value_kind:     hidden_block_count_x
      - .offset:         148
        .size:           4
        .value_kind:     hidden_block_count_y
      - .offset:         152
        .size:           4
        .value_kind:     hidden_block_count_z
      - .offset:         156
        .size:           2
        .value_kind:     hidden_group_size_x
      - .offset:         158
        .size:           2
        .value_kind:     hidden_group_size_y
      - .offset:         160
        .size:           2
        .value_kind:     hidden_group_size_z
      - .offset:         162
        .size:           2
        .value_kind:     hidden_remainder_x
      - .offset:         164
        .size:           2
        .value_kind:     hidden_remainder_y
      - .offset:         166
        .size:           2
        .value_kind:     hidden_remainder_z
      - .offset:         184
        .size:           8
        .value_kind:     hidden_global_offset_x
      - .offset:         192
        .size:           8
        .value_kind:     hidden_global_offset_y
      - .offset:         200
        .size:           8
        .value_kind:     hidden_global_offset_z
      - .offset:         208
        .size:           2
        .value_kind:     hidden_grid_dims
      - .offset:         264
        .size:           4
        .value_kind:     hidden_dynamic_lds_size
    .group_segment_fixed_size: 288
    .kernarg_segment_align: 8
    .kernarg_segment_size: 400
    .language:       OpenCL C
    .language_version:
      - 2
      - 0
    .max_flat_workgroup_size: 1024
    .name:           _ZN4vllm25paged_attention_v2_kernelI14__hip_bfloat16S1_Li128ELi8ELi128ELNS_18Fp8KVCacheDataTypeE0ELb0ELi512EEEvPfS3_PT_PKS4_PKT0_SA_ifPKiSC_iPKfiiiSE_SE_iiiii
    .private_segment_fixed_size: 0
    .sgpr_count:     38
    .sgpr_spill_count: 0
    .symbol:         _ZN4vllm25paged_attention_v2_kernelI14__hip_bfloat16S1_Li128ELi8ELi128ELNS_18Fp8KVCacheDataTypeE0ELb0ELi512EEEvPfS3_PT_PKS4_PKT0_SA_ifPKiSC_iPKfiiiSE_SE_iiiii.kd
    .uniform_work_group_size: 1
    .uses_dynamic_stack: false
    .vgpr_count:     68
    .vgpr_spill_count: 0
    .wavefront_size: 32
    .workgroup_processor_mode: 1
  - .args:
      - .actual_access:  write_only
        .address_space:  global
        .offset:         0
        .size:           8
        .value_kind:     global_buffer
      - .actual_access:  write_only
        .address_space:  global
        .offset:         8
        .size:           8
        .value_kind:     global_buffer
      - .actual_access:  write_only
        .address_space:  global
        .offset:         16
        .size:           8
        .value_kind:     global_buffer
      - .actual_access:  read_only
        .address_space:  global
        .offset:         24
        .size:           8
        .value_kind:     global_buffer
      - .actual_access:  read_only
        .address_space:  global
        .offset:         32
        .size:           8
        .value_kind:     global_buffer
      - .actual_access:  read_only
        .address_space:  global
        .offset:         40
        .size:           8
        .value_kind:     global_buffer
      - .offset:         48
        .size:           4
        .value_kind:     by_value
      - .offset:         52
        .size:           4
        .value_kind:     by_value
      - .actual_access:  read_only
        .address_space:  global
        .offset:         56
        .size:           8
        .value_kind:     global_buffer
      - .actual_access:  read_only
        .address_space:  global
        .offset:         64
        .size:           8
        .value_kind:     global_buffer
      - .offset:         72
        .size:           4
        .value_kind:     by_value
      - .actual_access:  read_only
        .address_space:  global
        .offset:         80
        .size:           8
        .value_kind:     global_buffer
      - .offset:         88
        .size:           4
        .value_kind:     by_value
      - .offset:         92
        .size:           4
        .value_kind:     by_value
      - .offset:         96
        .size:           4
        .value_kind:     by_value
      - .address_space:  global
        .offset:         104
        .size:           8
        .value_kind:     global_buffer
      - .address_space:  global
        .offset:         112
        .size:           8
        .value_kind:     global_buffer
      - .offset:         120
        .size:           4
        .value_kind:     by_value
      - .offset:         124
        .size:           4
        .value_kind:     by_value
      - .offset:         128
        .size:           4
        .value_kind:     by_value
      - .offset:         132
        .size:           4
        .value_kind:     by_value
      - .offset:         136
        .size:           4
        .value_kind:     by_value
      - .offset:         144
        .size:           4
        .value_kind:     hidden_block_count_x
      - .offset:         148
        .size:           4
        .value_kind:     hidden_block_count_y
      - .offset:         152
        .size:           4
        .value_kind:     hidden_block_count_z
      - .offset:         156
        .size:           2
        .value_kind:     hidden_group_size_x
      - .offset:         158
        .size:           2
        .value_kind:     hidden_group_size_y
      - .offset:         160
        .size:           2
        .value_kind:     hidden_group_size_z
      - .offset:         162
        .size:           2
        .value_kind:     hidden_remainder_x
      - .offset:         164
        .size:           2
        .value_kind:     hidden_remainder_y
      - .offset:         166
        .size:           2
        .value_kind:     hidden_remainder_z
      - .offset:         184
        .size:           8
        .value_kind:     hidden_global_offset_x
      - .offset:         192
        .size:           8
        .value_kind:     hidden_global_offset_y
      - .offset:         200
        .size:           8
        .value_kind:     hidden_global_offset_z
      - .offset:         208
        .size:           2
        .value_kind:     hidden_grid_dims
      - .offset:         264
        .size:           4
        .value_kind:     hidden_dynamic_lds_size
    .group_segment_fixed_size: 416
    .kernarg_segment_align: 8
    .kernarg_segment_size: 400
    .language:       OpenCL C
    .language_version:
      - 2
      - 0
    .max_flat_workgroup_size: 1024
    .name:           _ZN4vllm25paged_attention_v2_kernelI14__hip_bfloat16S1_Li192ELi8ELi128ELNS_18Fp8KVCacheDataTypeE0ELb0ELi512EEEvPfS3_PT_PKS4_PKT0_SA_ifPKiSC_iPKfiiiSE_SE_iiiii
    .private_segment_fixed_size: 0
    .sgpr_count:     34
    .sgpr_spill_count: 0
    .symbol:         _ZN4vllm25paged_attention_v2_kernelI14__hip_bfloat16S1_Li192ELi8ELi128ELNS_18Fp8KVCacheDataTypeE0ELb0ELi512EEEvPfS3_PT_PKS4_PKT0_SA_ifPKiSC_iPKfiiiSE_SE_iiiii.kd
    .uniform_work_group_size: 1
    .uses_dynamic_stack: false
    .vgpr_count:     92
    .vgpr_spill_count: 0
    .wavefront_size: 32
    .workgroup_processor_mode: 1
  - .args:
      - .actual_access:  write_only
        .address_space:  global
        .offset:         0
        .size:           8
        .value_kind:     global_buffer
      - .actual_access:  write_only
        .address_space:  global
        .offset:         8
        .size:           8
        .value_kind:     global_buffer
      - .actual_access:  write_only
        .address_space:  global
        .offset:         16
        .size:           8
        .value_kind:     global_buffer
      - .actual_access:  read_only
        .address_space:  global
        .offset:         24
        .size:           8
        .value_kind:     global_buffer
      - .actual_access:  read_only
        .address_space:  global
        .offset:         32
        .size:           8
        .value_kind:     global_buffer
      - .actual_access:  read_only
        .address_space:  global
        .offset:         40
        .size:           8
        .value_kind:     global_buffer
      - .offset:         48
        .size:           4
        .value_kind:     by_value
      - .offset:         52
        .size:           4
        .value_kind:     by_value
      - .actual_access:  read_only
        .address_space:  global
        .offset:         56
        .size:           8
        .value_kind:     global_buffer
      - .actual_access:  read_only
        .address_space:  global
        .offset:         64
        .size:           8
        .value_kind:     global_buffer
      - .offset:         72
        .size:           4
        .value_kind:     by_value
      - .actual_access:  read_only
        .address_space:  global
        .offset:         80
        .size:           8
        .value_kind:     global_buffer
      - .offset:         88
        .size:           4
        .value_kind:     by_value
      - .offset:         92
        .size:           4
        .value_kind:     by_value
      - .offset:         96
        .size:           4
        .value_kind:     by_value
      - .address_space:  global
        .offset:         104
        .size:           8
        .value_kind:     global_buffer
      - .address_space:  global
        .offset:         112
        .size:           8
        .value_kind:     global_buffer
      - .offset:         120
        .size:           4
        .value_kind:     by_value
      - .offset:         124
        .size:           4
        .value_kind:     by_value
      - .offset:         128
        .size:           4
        .value_kind:     by_value
      - .offset:         132
        .size:           4
        .value_kind:     by_value
      - .offset:         136
        .size:           4
        .value_kind:     by_value
      - .offset:         144
        .size:           4
        .value_kind:     hidden_block_count_x
      - .offset:         148
        .size:           4
        .value_kind:     hidden_block_count_y
      - .offset:         152
        .size:           4
        .value_kind:     hidden_block_count_z
      - .offset:         156
        .size:           2
        .value_kind:     hidden_group_size_x
      - .offset:         158
        .size:           2
        .value_kind:     hidden_group_size_y
      - .offset:         160
        .size:           2
        .value_kind:     hidden_group_size_z
      - .offset:         162
        .size:           2
        .value_kind:     hidden_remainder_x
      - .offset:         164
        .size:           2
        .value_kind:     hidden_remainder_y
      - .offset:         166
        .size:           2
        .value_kind:     hidden_remainder_z
      - .offset:         184
        .size:           8
        .value_kind:     hidden_global_offset_x
      - .offset:         192
        .size:           8
        .value_kind:     hidden_global_offset_y
      - .offset:         200
        .size:           8
        .value_kind:     hidden_global_offset_z
      - .offset:         208
        .size:           2
        .value_kind:     hidden_grid_dims
      - .offset:         264
        .size:           4
        .value_kind:     hidden_dynamic_lds_size
    .group_segment_fixed_size: 544
    .kernarg_segment_align: 8
    .kernarg_segment_size: 400
    .language:       OpenCL C
    .language_version:
      - 2
      - 0
    .max_flat_workgroup_size: 1024
    .name:           _ZN4vllm25paged_attention_v2_kernelI14__hip_bfloat16S1_Li256ELi8ELi128ELNS_18Fp8KVCacheDataTypeE0ELb0ELi512EEEvPfS3_PT_PKS4_PKT0_SA_ifPKiSC_iPKfiiiSE_SE_iiiii
    .private_segment_fixed_size: 0
    .sgpr_count:     34
    .sgpr_spill_count: 0
    .symbol:         _ZN4vllm25paged_attention_v2_kernelI14__hip_bfloat16S1_Li256ELi8ELi128ELNS_18Fp8KVCacheDataTypeE0ELb0ELi512EEEvPfS3_PT_PKS4_PKT0_SA_ifPKiSC_iPKfiiiSE_SE_iiiii.kd
    .uniform_work_group_size: 1
    .uses_dynamic_stack: false
    .vgpr_count:     116
    .vgpr_spill_count: 0
    .wavefront_size: 32
    .workgroup_processor_mode: 1
  - .args:
      - .actual_access:  write_only
        .address_space:  global
        .offset:         0
        .size:           8
        .value_kind:     global_buffer
      - .actual_access:  write_only
        .address_space:  global
        .offset:         8
        .size:           8
        .value_kind:     global_buffer
      - .actual_access:  write_only
        .address_space:  global
        .offset:         16
        .size:           8
        .value_kind:     global_buffer
      - .actual_access:  read_only
        .address_space:  global
        .offset:         24
        .size:           8
        .value_kind:     global_buffer
      - .actual_access:  read_only
        .address_space:  global
        .offset:         32
        .size:           8
        .value_kind:     global_buffer
      - .actual_access:  read_only
        .address_space:  global
        .offset:         40
        .size:           8
        .value_kind:     global_buffer
      - .offset:         48
        .size:           4
        .value_kind:     by_value
      - .offset:         52
        .size:           4
        .value_kind:     by_value
      - .actual_access:  read_only
        .address_space:  global
        .offset:         56
        .size:           8
        .value_kind:     global_buffer
      - .actual_access:  read_only
        .address_space:  global
        .offset:         64
        .size:           8
        .value_kind:     global_buffer
      - .offset:         72
        .size:           4
        .value_kind:     by_value
      - .actual_access:  read_only
        .address_space:  global
        .offset:         80
        .size:           8
        .value_kind:     global_buffer
      - .offset:         88
        .size:           4
        .value_kind:     by_value
      - .offset:         92
        .size:           4
        .value_kind:     by_value
      - .offset:         96
        .size:           4
        .value_kind:     by_value
      - .address_space:  global
        .offset:         104
        .size:           8
        .value_kind:     global_buffer
      - .address_space:  global
        .offset:         112
        .size:           8
        .value_kind:     global_buffer
      - .offset:         120
        .size:           4
        .value_kind:     by_value
      - .offset:         124
        .size:           4
        .value_kind:     by_value
      - .offset:         128
        .size:           4
        .value_kind:     by_value
      - .offset:         132
        .size:           4
        .value_kind:     by_value
      - .offset:         136
        .size:           4
        .value_kind:     by_value
      - .offset:         144
        .size:           4
        .value_kind:     hidden_block_count_x
      - .offset:         148
        .size:           4
        .value_kind:     hidden_block_count_y
      - .offset:         152
        .size:           4
        .value_kind:     hidden_block_count_z
      - .offset:         156
        .size:           2
        .value_kind:     hidden_group_size_x
      - .offset:         158
        .size:           2
        .value_kind:     hidden_group_size_y
      - .offset:         160
        .size:           2
        .value_kind:     hidden_group_size_z
      - .offset:         162
        .size:           2
        .value_kind:     hidden_remainder_x
      - .offset:         164
        .size:           2
        .value_kind:     hidden_remainder_y
      - .offset:         166
        .size:           2
        .value_kind:     hidden_remainder_z
      - .offset:         184
        .size:           8
        .value_kind:     hidden_global_offset_x
      - .offset:         192
        .size:           8
        .value_kind:     hidden_global_offset_y
      - .offset:         200
        .size:           8
        .value_kind:     hidden_global_offset_z
      - .offset:         208
        .size:           2
        .value_kind:     hidden_grid_dims
      - .offset:         264
        .size:           4
        .value_kind:     hidden_dynamic_lds_size
    .group_segment_fixed_size: 96
    .kernarg_segment_align: 8
    .kernarg_segment_size: 400
    .language:       OpenCL C
    .language_version:
      - 2
      - 0
    .max_flat_workgroup_size: 1024
    .name:           _ZN4vllm25paged_attention_v2_kernelI14__hip_bfloat16S1_Li32ELi16ELi128ELNS_18Fp8KVCacheDataTypeE0ELb1ELi512EEEvPfS3_PT_PKS4_PKT0_SA_ifPKiSC_iPKfiiiSE_SE_iiiii
    .private_segment_fixed_size: 0
    .sgpr_count:     44
    .sgpr_spill_count: 0
    .symbol:         _ZN4vllm25paged_attention_v2_kernelI14__hip_bfloat16S1_Li32ELi16ELi128ELNS_18Fp8KVCacheDataTypeE0ELb1ELi512EEEvPfS3_PT_PKS4_PKT0_SA_ifPKiSC_iPKfiiiSE_SE_iiiii.kd
    .uniform_work_group_size: 1
    .uses_dynamic_stack: false
    .vgpr_count:     52
    .vgpr_spill_count: 0
    .wavefront_size: 32
    .workgroup_processor_mode: 1
  - .args:
      - .actual_access:  write_only
        .address_space:  global
        .offset:         0
        .size:           8
        .value_kind:     global_buffer
      - .actual_access:  write_only
        .address_space:  global
        .offset:         8
        .size:           8
        .value_kind:     global_buffer
      - .actual_access:  write_only
        .address_space:  global
        .offset:         16
        .size:           8
        .value_kind:     global_buffer
      - .actual_access:  read_only
        .address_space:  global
        .offset:         24
        .size:           8
        .value_kind:     global_buffer
      - .actual_access:  read_only
        .address_space:  global
        .offset:         32
        .size:           8
        .value_kind:     global_buffer
      - .actual_access:  read_only
        .address_space:  global
        .offset:         40
        .size:           8
        .value_kind:     global_buffer
      - .offset:         48
        .size:           4
        .value_kind:     by_value
      - .offset:         52
        .size:           4
        .value_kind:     by_value
      - .actual_access:  read_only
        .address_space:  global
        .offset:         56
        .size:           8
        .value_kind:     global_buffer
      - .actual_access:  read_only
        .address_space:  global
        .offset:         64
        .size:           8
        .value_kind:     global_buffer
      - .offset:         72
        .size:           4
        .value_kind:     by_value
      - .actual_access:  read_only
        .address_space:  global
        .offset:         80
        .size:           8
        .value_kind:     global_buffer
      - .offset:         88
        .size:           4
        .value_kind:     by_value
      - .offset:         92
        .size:           4
        .value_kind:     by_value
      - .offset:         96
        .size:           4
        .value_kind:     by_value
      - .address_space:  global
        .offset:         104
        .size:           8
        .value_kind:     global_buffer
      - .address_space:  global
        .offset:         112
        .size:           8
        .value_kind:     global_buffer
      - .offset:         120
        .size:           4
        .value_kind:     by_value
      - .offset:         124
        .size:           4
        .value_kind:     by_value
      - .offset:         128
        .size:           4
        .value_kind:     by_value
      - .offset:         132
        .size:           4
        .value_kind:     by_value
      - .offset:         136
        .size:           4
        .value_kind:     by_value
      - .offset:         144
        .size:           4
        .value_kind:     hidden_block_count_x
      - .offset:         148
        .size:           4
        .value_kind:     hidden_block_count_y
      - .offset:         152
        .size:           4
        .value_kind:     hidden_block_count_z
      - .offset:         156
        .size:           2
        .value_kind:     hidden_group_size_x
      - .offset:         158
        .size:           2
        .value_kind:     hidden_group_size_y
      - .offset:         160
        .size:           2
        .value_kind:     hidden_group_size_z
      - .offset:         162
        .size:           2
        .value_kind:     hidden_remainder_x
      - .offset:         164
        .size:           2
        .value_kind:     hidden_remainder_y
      - .offset:         166
        .size:           2
        .value_kind:     hidden_remainder_z
      - .offset:         184
        .size:           8
        .value_kind:     hidden_global_offset_x
      - .offset:         192
        .size:           8
        .value_kind:     hidden_global_offset_y
      - .offset:         200
        .size:           8
        .value_kind:     hidden_global_offset_z
      - .offset:         208
        .size:           2
        .value_kind:     hidden_grid_dims
      - .offset:         264
        .size:           4
        .value_kind:     hidden_dynamic_lds_size
    .group_segment_fixed_size: 160
    .kernarg_segment_align: 8
    .kernarg_segment_size: 400
    .language:       OpenCL C
    .language_version:
      - 2
      - 0
    .max_flat_workgroup_size: 1024
    .name:           _ZN4vllm25paged_attention_v2_kernelI14__hip_bfloat16S1_Li64ELi16ELi128ELNS_18Fp8KVCacheDataTypeE0ELb1ELi512EEEvPfS3_PT_PKS4_PKT0_SA_ifPKiSC_iPKfiiiSE_SE_iiiii
    .private_segment_fixed_size: 0
    .sgpr_count:     44
    .sgpr_spill_count: 0
    .symbol:         _ZN4vllm25paged_attention_v2_kernelI14__hip_bfloat16S1_Li64ELi16ELi128ELNS_18Fp8KVCacheDataTypeE0ELb1ELi512EEEvPfS3_PT_PKS4_PKT0_SA_ifPKiSC_iPKfiiiSE_SE_iiiii.kd
    .uniform_work_group_size: 1
    .uses_dynamic_stack: false
    .vgpr_count:     82
    .vgpr_spill_count: 0
    .wavefront_size: 32
    .workgroup_processor_mode: 1
  - .args:
      - .actual_access:  write_only
        .address_space:  global
        .offset:         0
        .size:           8
        .value_kind:     global_buffer
      - .actual_access:  write_only
        .address_space:  global
        .offset:         8
        .size:           8
        .value_kind:     global_buffer
      - .actual_access:  write_only
        .address_space:  global
        .offset:         16
        .size:           8
        .value_kind:     global_buffer
      - .actual_access:  read_only
        .address_space:  global
        .offset:         24
        .size:           8
        .value_kind:     global_buffer
      - .actual_access:  read_only
        .address_space:  global
        .offset:         32
        .size:           8
        .value_kind:     global_buffer
      - .actual_access:  read_only
        .address_space:  global
        .offset:         40
        .size:           8
        .value_kind:     global_buffer
      - .offset:         48
        .size:           4
        .value_kind:     by_value
      - .offset:         52
        .size:           4
        .value_kind:     by_value
      - .actual_access:  read_only
        .address_space:  global
        .offset:         56
        .size:           8
        .value_kind:     global_buffer
      - .actual_access:  read_only
        .address_space:  global
        .offset:         64
        .size:           8
        .value_kind:     global_buffer
      - .offset:         72
        .size:           4
        .value_kind:     by_value
      - .actual_access:  read_only
        .address_space:  global
        .offset:         80
        .size:           8
        .value_kind:     global_buffer
      - .offset:         88
        .size:           4
        .value_kind:     by_value
      - .offset:         92
        .size:           4
        .value_kind:     by_value
      - .offset:         96
        .size:           4
        .value_kind:     by_value
      - .address_space:  global
        .offset:         104
        .size:           8
        .value_kind:     global_buffer
      - .address_space:  global
        .offset:         112
        .size:           8
        .value_kind:     global_buffer
      - .offset:         120
        .size:           4
        .value_kind:     by_value
      - .offset:         124
        .size:           4
        .value_kind:     by_value
      - .offset:         128
        .size:           4
        .value_kind:     by_value
      - .offset:         132
        .size:           4
        .value_kind:     by_value
      - .offset:         136
        .size:           4
        .value_kind:     by_value
      - .offset:         144
        .size:           4
        .value_kind:     hidden_block_count_x
      - .offset:         148
        .size:           4
        .value_kind:     hidden_block_count_y
      - .offset:         152
        .size:           4
        .value_kind:     hidden_block_count_z
      - .offset:         156
        .size:           2
        .value_kind:     hidden_group_size_x
      - .offset:         158
        .size:           2
        .value_kind:     hidden_group_size_y
      - .offset:         160
        .size:           2
        .value_kind:     hidden_group_size_z
      - .offset:         162
        .size:           2
        .value_kind:     hidden_remainder_x
      - .offset:         164
        .size:           2
        .value_kind:     hidden_remainder_y
      - .offset:         166
        .size:           2
        .value_kind:     hidden_remainder_z
      - .offset:         184
        .size:           8
        .value_kind:     hidden_global_offset_x
      - .offset:         192
        .size:           8
        .value_kind:     hidden_global_offset_y
      - .offset:         200
        .size:           8
        .value_kind:     hidden_global_offset_z
      - .offset:         208
        .size:           2
        .value_kind:     hidden_grid_dims
      - .offset:         264
        .size:           4
        .value_kind:     hidden_dynamic_lds_size
    .group_segment_fixed_size: 192
    .kernarg_segment_align: 8
    .kernarg_segment_size: 400
    .language:       OpenCL C
    .language_version:
      - 2
      - 0
    .max_flat_workgroup_size: 1024
    .name:           _ZN4vllm25paged_attention_v2_kernelI14__hip_bfloat16S1_Li80ELi16ELi128ELNS_18Fp8KVCacheDataTypeE0ELb1ELi512EEEvPfS3_PT_PKS4_PKT0_SA_ifPKiSC_iPKfiiiSE_SE_iiiii
    .private_segment_fixed_size: 0
    .sgpr_count:     44
    .sgpr_spill_count: 0
    .symbol:         _ZN4vllm25paged_attention_v2_kernelI14__hip_bfloat16S1_Li80ELi16ELi128ELNS_18Fp8KVCacheDataTypeE0ELb1ELi512EEEvPfS3_PT_PKS4_PKT0_SA_ifPKiSC_iPKfiiiSE_SE_iiiii.kd
    .uniform_work_group_size: 1
    .uses_dynamic_stack: false
    .vgpr_count:     97
    .vgpr_spill_count: 0
    .wavefront_size: 32
    .workgroup_processor_mode: 1
  - .args:
      - .actual_access:  write_only
        .address_space:  global
        .offset:         0
        .size:           8
        .value_kind:     global_buffer
      - .actual_access:  write_only
        .address_space:  global
        .offset:         8
        .size:           8
        .value_kind:     global_buffer
      - .actual_access:  write_only
        .address_space:  global
        .offset:         16
        .size:           8
        .value_kind:     global_buffer
      - .actual_access:  read_only
        .address_space:  global
        .offset:         24
        .size:           8
        .value_kind:     global_buffer
      - .actual_access:  read_only
        .address_space:  global
        .offset:         32
        .size:           8
        .value_kind:     global_buffer
      - .actual_access:  read_only
        .address_space:  global
        .offset:         40
        .size:           8
        .value_kind:     global_buffer
      - .offset:         48
        .size:           4
        .value_kind:     by_value
      - .offset:         52
        .size:           4
        .value_kind:     by_value
      - .actual_access:  read_only
        .address_space:  global
        .offset:         56
        .size:           8
        .value_kind:     global_buffer
      - .actual_access:  read_only
        .address_space:  global
        .offset:         64
        .size:           8
        .value_kind:     global_buffer
      - .offset:         72
        .size:           4
        .value_kind:     by_value
      - .actual_access:  read_only
        .address_space:  global
        .offset:         80
        .size:           8
        .value_kind:     global_buffer
      - .offset:         88
        .size:           4
        .value_kind:     by_value
      - .offset:         92
        .size:           4
        .value_kind:     by_value
      - .offset:         96
        .size:           4
        .value_kind:     by_value
      - .address_space:  global
        .offset:         104
        .size:           8
        .value_kind:     global_buffer
      - .address_space:  global
        .offset:         112
        .size:           8
        .value_kind:     global_buffer
      - .offset:         120
        .size:           4
        .value_kind:     by_value
      - .offset:         124
        .size:           4
        .value_kind:     by_value
      - .offset:         128
        .size:           4
        .value_kind:     by_value
      - .offset:         132
        .size:           4
        .value_kind:     by_value
      - .offset:         136
        .size:           4
        .value_kind:     by_value
      - .offset:         144
        .size:           4
        .value_kind:     hidden_block_count_x
      - .offset:         148
        .size:           4
        .value_kind:     hidden_block_count_y
      - .offset:         152
        .size:           4
        .value_kind:     hidden_block_count_z
      - .offset:         156
        .size:           2
        .value_kind:     hidden_group_size_x
      - .offset:         158
        .size:           2
        .value_kind:     hidden_group_size_y
      - .offset:         160
        .size:           2
        .value_kind:     hidden_group_size_z
      - .offset:         162
        .size:           2
        .value_kind:     hidden_remainder_x
      - .offset:         164
        .size:           2
        .value_kind:     hidden_remainder_y
      - .offset:         166
        .size:           2
        .value_kind:     hidden_remainder_z
      - .offset:         184
        .size:           8
        .value_kind:     hidden_global_offset_x
      - .offset:         192
        .size:           8
        .value_kind:     hidden_global_offset_y
      - .offset:         200
        .size:           8
        .value_kind:     hidden_global_offset_z
      - .offset:         208
        .size:           2
        .value_kind:     hidden_grid_dims
      - .offset:         264
        .size:           4
        .value_kind:     hidden_dynamic_lds_size
    .group_segment_fixed_size: 224
    .kernarg_segment_align: 8
    .kernarg_segment_size: 400
    .language:       OpenCL C
    .language_version:
      - 2
      - 0
    .max_flat_workgroup_size: 1024
    .name:           _ZN4vllm25paged_attention_v2_kernelI14__hip_bfloat16S1_Li96ELi16ELi128ELNS_18Fp8KVCacheDataTypeE0ELb1ELi512EEEvPfS3_PT_PKS4_PKT0_SA_ifPKiSC_iPKfiiiSE_SE_iiiii
    .private_segment_fixed_size: 0
    .sgpr_count:     44
    .sgpr_spill_count: 0
    .symbol:         _ZN4vllm25paged_attention_v2_kernelI14__hip_bfloat16S1_Li96ELi16ELi128ELNS_18Fp8KVCacheDataTypeE0ELb1ELi512EEEvPfS3_PT_PKS4_PKT0_SA_ifPKiSC_iPKfiiiSE_SE_iiiii.kd
    .uniform_work_group_size: 1
    .uses_dynamic_stack: false
    .vgpr_count:     112
    .vgpr_spill_count: 0
    .wavefront_size: 32
    .workgroup_processor_mode: 1
  - .args:
      - .actual_access:  write_only
        .address_space:  global
        .offset:         0
        .size:           8
        .value_kind:     global_buffer
      - .actual_access:  write_only
        .address_space:  global
        .offset:         8
        .size:           8
        .value_kind:     global_buffer
      - .actual_access:  write_only
        .address_space:  global
        .offset:         16
        .size:           8
        .value_kind:     global_buffer
      - .actual_access:  read_only
        .address_space:  global
        .offset:         24
        .size:           8
        .value_kind:     global_buffer
      - .actual_access:  read_only
        .address_space:  global
        .offset:         32
        .size:           8
        .value_kind:     global_buffer
      - .actual_access:  read_only
        .address_space:  global
        .offset:         40
        .size:           8
        .value_kind:     global_buffer
      - .offset:         48
        .size:           4
        .value_kind:     by_value
      - .offset:         52
        .size:           4
        .value_kind:     by_value
      - .actual_access:  read_only
        .address_space:  global
        .offset:         56
        .size:           8
        .value_kind:     global_buffer
      - .actual_access:  read_only
        .address_space:  global
        .offset:         64
        .size:           8
        .value_kind:     global_buffer
      - .offset:         72
        .size:           4
        .value_kind:     by_value
      - .actual_access:  read_only
        .address_space:  global
        .offset:         80
        .size:           8
        .value_kind:     global_buffer
      - .offset:         88
        .size:           4
        .value_kind:     by_value
      - .offset:         92
        .size:           4
        .value_kind:     by_value
      - .offset:         96
        .size:           4
        .value_kind:     by_value
      - .address_space:  global
        .offset:         104
        .size:           8
        .value_kind:     global_buffer
      - .address_space:  global
        .offset:         112
        .size:           8
        .value_kind:     global_buffer
      - .offset:         120
        .size:           4
        .value_kind:     by_value
      - .offset:         124
        .size:           4
        .value_kind:     by_value
      - .offset:         128
        .size:           4
        .value_kind:     by_value
      - .offset:         132
        .size:           4
        .value_kind:     by_value
      - .offset:         136
        .size:           4
        .value_kind:     by_value
      - .offset:         144
        .size:           4
        .value_kind:     hidden_block_count_x
      - .offset:         148
        .size:           4
        .value_kind:     hidden_block_count_y
      - .offset:         152
        .size:           4
        .value_kind:     hidden_block_count_z
      - .offset:         156
        .size:           2
        .value_kind:     hidden_group_size_x
      - .offset:         158
        .size:           2
        .value_kind:     hidden_group_size_y
      - .offset:         160
        .size:           2
        .value_kind:     hidden_group_size_z
      - .offset:         162
        .size:           2
        .value_kind:     hidden_remainder_x
      - .offset:         164
        .size:           2
        .value_kind:     hidden_remainder_y
      - .offset:         166
        .size:           2
        .value_kind:     hidden_remainder_z
      - .offset:         184
        .size:           8
        .value_kind:     hidden_global_offset_x
      - .offset:         192
        .size:           8
        .value_kind:     hidden_global_offset_y
      - .offset:         200
        .size:           8
        .value_kind:     hidden_global_offset_z
      - .offset:         208
        .size:           2
        .value_kind:     hidden_grid_dims
      - .offset:         264
        .size:           4
        .value_kind:     hidden_dynamic_lds_size
    .group_segment_fixed_size: 256
    .kernarg_segment_align: 8
    .kernarg_segment_size: 400
    .language:       OpenCL C
    .language_version:
      - 2
      - 0
    .max_flat_workgroup_size: 1024
    .name:           _ZN4vllm25paged_attention_v2_kernelI14__hip_bfloat16S1_Li112ELi16ELi128ELNS_18Fp8KVCacheDataTypeE0ELb1ELi512EEEvPfS3_PT_PKS4_PKT0_SA_ifPKiSC_iPKfiiiSE_SE_iiiii
    .private_segment_fixed_size: 0
    .sgpr_count:     44
    .sgpr_spill_count: 0
    .symbol:         _ZN4vllm25paged_attention_v2_kernelI14__hip_bfloat16S1_Li112ELi16ELi128ELNS_18Fp8KVCacheDataTypeE0ELb1ELi512EEEvPfS3_PT_PKS4_PKT0_SA_ifPKiSC_iPKfiiiSE_SE_iiiii.kd
    .uniform_work_group_size: 1
    .uses_dynamic_stack: false
    .vgpr_count:     127
    .vgpr_spill_count: 0
    .wavefront_size: 32
    .workgroup_processor_mode: 1
  - .args:
      - .actual_access:  write_only
        .address_space:  global
        .offset:         0
        .size:           8
        .value_kind:     global_buffer
      - .actual_access:  write_only
        .address_space:  global
        .offset:         8
        .size:           8
        .value_kind:     global_buffer
      - .actual_access:  write_only
        .address_space:  global
        .offset:         16
        .size:           8
        .value_kind:     global_buffer
      - .actual_access:  read_only
        .address_space:  global
        .offset:         24
        .size:           8
        .value_kind:     global_buffer
      - .actual_access:  read_only
        .address_space:  global
        .offset:         32
        .size:           8
        .value_kind:     global_buffer
      - .actual_access:  read_only
        .address_space:  global
        .offset:         40
        .size:           8
        .value_kind:     global_buffer
      - .offset:         48
        .size:           4
        .value_kind:     by_value
      - .offset:         52
        .size:           4
        .value_kind:     by_value
      - .actual_access:  read_only
        .address_space:  global
        .offset:         56
        .size:           8
        .value_kind:     global_buffer
      - .actual_access:  read_only
        .address_space:  global
        .offset:         64
        .size:           8
        .value_kind:     global_buffer
      - .offset:         72
        .size:           4
        .value_kind:     by_value
      - .actual_access:  read_only
        .address_space:  global
        .offset:         80
        .size:           8
        .value_kind:     global_buffer
      - .offset:         88
        .size:           4
        .value_kind:     by_value
      - .offset:         92
        .size:           4
        .value_kind:     by_value
      - .offset:         96
        .size:           4
        .value_kind:     by_value
      - .address_space:  global
        .offset:         104
        .size:           8
        .value_kind:     global_buffer
      - .address_space:  global
        .offset:         112
        .size:           8
        .value_kind:     global_buffer
      - .offset:         120
        .size:           4
        .value_kind:     by_value
      - .offset:         124
        .size:           4
        .value_kind:     by_value
      - .offset:         128
        .size:           4
        .value_kind:     by_value
      - .offset:         132
        .size:           4
        .value_kind:     by_value
      - .offset:         136
        .size:           4
        .value_kind:     by_value
      - .offset:         144
        .size:           4
        .value_kind:     hidden_block_count_x
      - .offset:         148
        .size:           4
        .value_kind:     hidden_block_count_y
      - .offset:         152
        .size:           4
        .value_kind:     hidden_block_count_z
      - .offset:         156
        .size:           2
        .value_kind:     hidden_group_size_x
      - .offset:         158
        .size:           2
        .value_kind:     hidden_group_size_y
      - .offset:         160
        .size:           2
        .value_kind:     hidden_group_size_z
      - .offset:         162
        .size:           2
        .value_kind:     hidden_remainder_x
      - .offset:         164
        .size:           2
        .value_kind:     hidden_remainder_y
      - .offset:         166
        .size:           2
        .value_kind:     hidden_remainder_z
      - .offset:         184
        .size:           8
        .value_kind:     hidden_global_offset_x
      - .offset:         192
        .size:           8
        .value_kind:     hidden_global_offset_y
      - .offset:         200
        .size:           8
        .value_kind:     hidden_global_offset_z
      - .offset:         208
        .size:           2
        .value_kind:     hidden_grid_dims
      - .offset:         264
        .size:           4
        .value_kind:     hidden_dynamic_lds_size
    .group_segment_fixed_size: 272
    .kernarg_segment_align: 8
    .kernarg_segment_size: 400
    .language:       OpenCL C
    .language_version:
      - 2
      - 0
    .max_flat_workgroup_size: 1024
    .name:           _ZN4vllm25paged_attention_v2_kernelI14__hip_bfloat16S1_Li120ELi16ELi128ELNS_18Fp8KVCacheDataTypeE0ELb1ELi512EEEvPfS3_PT_PKS4_PKT0_SA_ifPKiSC_iPKfiiiSE_SE_iiiii
    .private_segment_fixed_size: 0
    .sgpr_count:     44
    .sgpr_spill_count: 0
    .symbol:         _ZN4vllm25paged_attention_v2_kernelI14__hip_bfloat16S1_Li120ELi16ELi128ELNS_18Fp8KVCacheDataTypeE0ELb1ELi512EEEvPfS3_PT_PKS4_PKT0_SA_ifPKiSC_iPKfiiiSE_SE_iiiii.kd
    .uniform_work_group_size: 1
    .uses_dynamic_stack: false
    .vgpr_count:     130
    .vgpr_spill_count: 0
    .wavefront_size: 32
    .workgroup_processor_mode: 1
  - .args:
      - .actual_access:  write_only
        .address_space:  global
        .offset:         0
        .size:           8
        .value_kind:     global_buffer
      - .actual_access:  write_only
        .address_space:  global
        .offset:         8
        .size:           8
        .value_kind:     global_buffer
      - .actual_access:  write_only
        .address_space:  global
        .offset:         16
        .size:           8
        .value_kind:     global_buffer
      - .actual_access:  read_only
        .address_space:  global
        .offset:         24
        .size:           8
        .value_kind:     global_buffer
      - .actual_access:  read_only
        .address_space:  global
        .offset:         32
        .size:           8
        .value_kind:     global_buffer
      - .actual_access:  read_only
        .address_space:  global
        .offset:         40
        .size:           8
        .value_kind:     global_buffer
      - .offset:         48
        .size:           4
        .value_kind:     by_value
      - .offset:         52
        .size:           4
        .value_kind:     by_value
      - .actual_access:  read_only
        .address_space:  global
        .offset:         56
        .size:           8
        .value_kind:     global_buffer
      - .actual_access:  read_only
        .address_space:  global
        .offset:         64
        .size:           8
        .value_kind:     global_buffer
      - .offset:         72
        .size:           4
        .value_kind:     by_value
      - .actual_access:  read_only
        .address_space:  global
        .offset:         80
        .size:           8
        .value_kind:     global_buffer
      - .offset:         88
        .size:           4
        .value_kind:     by_value
      - .offset:         92
        .size:           4
        .value_kind:     by_value
      - .offset:         96
        .size:           4
        .value_kind:     by_value
      - .address_space:  global
        .offset:         104
        .size:           8
        .value_kind:     global_buffer
      - .address_space:  global
        .offset:         112
        .size:           8
        .value_kind:     global_buffer
      - .offset:         120
        .size:           4
        .value_kind:     by_value
      - .offset:         124
        .size:           4
        .value_kind:     by_value
      - .offset:         128
        .size:           4
        .value_kind:     by_value
      - .offset:         132
        .size:           4
        .value_kind:     by_value
      - .offset:         136
        .size:           4
        .value_kind:     by_value
      - .offset:         144
        .size:           4
        .value_kind:     hidden_block_count_x
      - .offset:         148
        .size:           4
        .value_kind:     hidden_block_count_y
      - .offset:         152
        .size:           4
        .value_kind:     hidden_block_count_z
      - .offset:         156
        .size:           2
        .value_kind:     hidden_group_size_x
      - .offset:         158
        .size:           2
        .value_kind:     hidden_group_size_y
      - .offset:         160
        .size:           2
        .value_kind:     hidden_group_size_z
      - .offset:         162
        .size:           2
        .value_kind:     hidden_remainder_x
      - .offset:         164
        .size:           2
        .value_kind:     hidden_remainder_y
      - .offset:         166
        .size:           2
        .value_kind:     hidden_remainder_z
      - .offset:         184
        .size:           8
        .value_kind:     hidden_global_offset_x
      - .offset:         192
        .size:           8
        .value_kind:     hidden_global_offset_y
      - .offset:         200
        .size:           8
        .value_kind:     hidden_global_offset_z
      - .offset:         208
        .size:           2
        .value_kind:     hidden_grid_dims
      - .offset:         264
        .size:           4
        .value_kind:     hidden_dynamic_lds_size
    .group_segment_fixed_size: 288
    .kernarg_segment_align: 8
    .kernarg_segment_size: 400
    .language:       OpenCL C
    .language_version:
      - 2
      - 0
    .max_flat_workgroup_size: 1024
    .name:           _ZN4vllm25paged_attention_v2_kernelI14__hip_bfloat16S1_Li128ELi16ELi128ELNS_18Fp8KVCacheDataTypeE0ELb1ELi512EEEvPfS3_PT_PKS4_PKT0_SA_ifPKiSC_iPKfiiiSE_SE_iiiii
    .private_segment_fixed_size: 0
    .sgpr_count:     46
    .sgpr_spill_count: 0
    .symbol:         _ZN4vllm25paged_attention_v2_kernelI14__hip_bfloat16S1_Li128ELi16ELi128ELNS_18Fp8KVCacheDataTypeE0ELb1ELi512EEEvPfS3_PT_PKS4_PKT0_SA_ifPKiSC_iPKfiiiSE_SE_iiiii.kd
    .uniform_work_group_size: 1
    .uses_dynamic_stack: false
    .vgpr_count:     129
    .vgpr_spill_count: 0
    .wavefront_size: 32
    .workgroup_processor_mode: 1
  - .args:
      - .actual_access:  write_only
        .address_space:  global
        .offset:         0
        .size:           8
        .value_kind:     global_buffer
      - .actual_access:  write_only
        .address_space:  global
        .offset:         8
        .size:           8
        .value_kind:     global_buffer
      - .actual_access:  write_only
        .address_space:  global
        .offset:         16
        .size:           8
        .value_kind:     global_buffer
      - .actual_access:  read_only
        .address_space:  global
        .offset:         24
        .size:           8
        .value_kind:     global_buffer
      - .actual_access:  read_only
        .address_space:  global
        .offset:         32
        .size:           8
        .value_kind:     global_buffer
      - .actual_access:  read_only
        .address_space:  global
        .offset:         40
        .size:           8
        .value_kind:     global_buffer
      - .offset:         48
        .size:           4
        .value_kind:     by_value
      - .offset:         52
        .size:           4
        .value_kind:     by_value
      - .actual_access:  read_only
        .address_space:  global
        .offset:         56
        .size:           8
        .value_kind:     global_buffer
      - .actual_access:  read_only
        .address_space:  global
        .offset:         64
        .size:           8
        .value_kind:     global_buffer
      - .offset:         72
        .size:           4
        .value_kind:     by_value
      - .actual_access:  read_only
        .address_space:  global
        .offset:         80
        .size:           8
        .value_kind:     global_buffer
      - .offset:         88
        .size:           4
        .value_kind:     by_value
      - .offset:         92
        .size:           4
        .value_kind:     by_value
      - .offset:         96
        .size:           4
        .value_kind:     by_value
      - .address_space:  global
        .offset:         104
        .size:           8
        .value_kind:     global_buffer
      - .address_space:  global
        .offset:         112
        .size:           8
        .value_kind:     global_buffer
      - .offset:         120
        .size:           4
        .value_kind:     by_value
      - .offset:         124
        .size:           4
        .value_kind:     by_value
      - .offset:         128
        .size:           4
        .value_kind:     by_value
      - .offset:         132
        .size:           4
        .value_kind:     by_value
      - .offset:         136
        .size:           4
        .value_kind:     by_value
      - .offset:         144
        .size:           4
        .value_kind:     hidden_block_count_x
      - .offset:         148
        .size:           4
        .value_kind:     hidden_block_count_y
      - .offset:         152
        .size:           4
        .value_kind:     hidden_block_count_z
      - .offset:         156
        .size:           2
        .value_kind:     hidden_group_size_x
      - .offset:         158
        .size:           2
        .value_kind:     hidden_group_size_y
      - .offset:         160
        .size:           2
        .value_kind:     hidden_group_size_z
      - .offset:         162
        .size:           2
        .value_kind:     hidden_remainder_x
      - .offset:         164
        .size:           2
        .value_kind:     hidden_remainder_y
      - .offset:         166
        .size:           2
        .value_kind:     hidden_remainder_z
      - .offset:         184
        .size:           8
        .value_kind:     hidden_global_offset_x
      - .offset:         192
        .size:           8
        .value_kind:     hidden_global_offset_y
      - .offset:         200
        .size:           8
        .value_kind:     hidden_global_offset_z
      - .offset:         208
        .size:           2
        .value_kind:     hidden_grid_dims
      - .offset:         264
        .size:           4
        .value_kind:     hidden_dynamic_lds_size
    .group_segment_fixed_size: 416
    .kernarg_segment_align: 8
    .kernarg_segment_size: 400
    .language:       OpenCL C
    .language_version:
      - 2
      - 0
    .max_flat_workgroup_size: 1024
    .name:           _ZN4vllm25paged_attention_v2_kernelI14__hip_bfloat16S1_Li192ELi16ELi128ELNS_18Fp8KVCacheDataTypeE0ELb1ELi512EEEvPfS3_PT_PKS4_PKT0_SA_ifPKiSC_iPKfiiiSE_SE_iiiii
    .private_segment_fixed_size: 0
    .sgpr_count:     44
    .sgpr_spill_count: 0
    .symbol:         _ZN4vllm25paged_attention_v2_kernelI14__hip_bfloat16S1_Li192ELi16ELi128ELNS_18Fp8KVCacheDataTypeE0ELb1ELi512EEEvPfS3_PT_PKS4_PKT0_SA_ifPKiSC_iPKfiiiSE_SE_iiiii.kd
    .uniform_work_group_size: 1
    .uses_dynamic_stack: false
    .vgpr_count:     164
    .vgpr_spill_count: 0
    .wavefront_size: 32
    .workgroup_processor_mode: 1
  - .args:
      - .actual_access:  write_only
        .address_space:  global
        .offset:         0
        .size:           8
        .value_kind:     global_buffer
      - .actual_access:  write_only
        .address_space:  global
        .offset:         8
        .size:           8
        .value_kind:     global_buffer
      - .actual_access:  write_only
        .address_space:  global
        .offset:         16
        .size:           8
        .value_kind:     global_buffer
      - .actual_access:  read_only
        .address_space:  global
        .offset:         24
        .size:           8
        .value_kind:     global_buffer
      - .actual_access:  read_only
        .address_space:  global
        .offset:         32
        .size:           8
        .value_kind:     global_buffer
      - .actual_access:  read_only
        .address_space:  global
        .offset:         40
        .size:           8
        .value_kind:     global_buffer
      - .offset:         48
        .size:           4
        .value_kind:     by_value
      - .offset:         52
        .size:           4
        .value_kind:     by_value
      - .actual_access:  read_only
        .address_space:  global
        .offset:         56
        .size:           8
        .value_kind:     global_buffer
      - .actual_access:  read_only
        .address_space:  global
        .offset:         64
        .size:           8
        .value_kind:     global_buffer
      - .offset:         72
        .size:           4
        .value_kind:     by_value
      - .actual_access:  read_only
        .address_space:  global
        .offset:         80
        .size:           8
        .value_kind:     global_buffer
      - .offset:         88
        .size:           4
        .value_kind:     by_value
      - .offset:         92
        .size:           4
        .value_kind:     by_value
      - .offset:         96
        .size:           4
        .value_kind:     by_value
      - .address_space:  global
        .offset:         104
        .size:           8
        .value_kind:     global_buffer
      - .address_space:  global
        .offset:         112
        .size:           8
        .value_kind:     global_buffer
      - .offset:         120
        .size:           4
        .value_kind:     by_value
      - .offset:         124
        .size:           4
        .value_kind:     by_value
      - .offset:         128
        .size:           4
        .value_kind:     by_value
      - .offset:         132
        .size:           4
        .value_kind:     by_value
      - .offset:         136
        .size:           4
        .value_kind:     by_value
      - .offset:         144
        .size:           4
        .value_kind:     hidden_block_count_x
      - .offset:         148
        .size:           4
        .value_kind:     hidden_block_count_y
      - .offset:         152
        .size:           4
        .value_kind:     hidden_block_count_z
      - .offset:         156
        .size:           2
        .value_kind:     hidden_group_size_x
      - .offset:         158
        .size:           2
        .value_kind:     hidden_group_size_y
      - .offset:         160
        .size:           2
        .value_kind:     hidden_group_size_z
      - .offset:         162
        .size:           2
        .value_kind:     hidden_remainder_x
      - .offset:         164
        .size:           2
        .value_kind:     hidden_remainder_y
      - .offset:         166
        .size:           2
        .value_kind:     hidden_remainder_z
      - .offset:         184
        .size:           8
        .value_kind:     hidden_global_offset_x
      - .offset:         192
        .size:           8
        .value_kind:     hidden_global_offset_y
      - .offset:         200
        .size:           8
        .value_kind:     hidden_global_offset_z
      - .offset:         208
        .size:           2
        .value_kind:     hidden_grid_dims
      - .offset:         264
        .size:           4
        .value_kind:     hidden_dynamic_lds_size
    .group_segment_fixed_size: 544
    .kernarg_segment_align: 8
    .kernarg_segment_size: 400
    .language:       OpenCL C
    .language_version:
      - 2
      - 0
    .max_flat_workgroup_size: 1024
    .name:           _ZN4vllm25paged_attention_v2_kernelI14__hip_bfloat16S1_Li256ELi16ELi128ELNS_18Fp8KVCacheDataTypeE0ELb1ELi512EEEvPfS3_PT_PKS4_PKT0_SA_ifPKiSC_iPKfiiiSE_SE_iiiii
    .private_segment_fixed_size: 64
    .sgpr_count:     46
    .sgpr_spill_count: 0
    .symbol:         _ZN4vllm25paged_attention_v2_kernelI14__hip_bfloat16S1_Li256ELi16ELi128ELNS_18Fp8KVCacheDataTypeE0ELb1ELi512EEEvPfS3_PT_PKS4_PKT0_SA_ifPKiSC_iPKfiiiSE_SE_iiiii.kd
    .uniform_work_group_size: 1
    .uses_dynamic_stack: false
    .vgpr_count:     192
    .vgpr_spill_count: 16
    .wavefront_size: 32
    .workgroup_processor_mode: 1
  - .args:
      - .actual_access:  write_only
        .address_space:  global
        .offset:         0
        .size:           8
        .value_kind:     global_buffer
      - .actual_access:  write_only
        .address_space:  global
        .offset:         8
        .size:           8
        .value_kind:     global_buffer
      - .actual_access:  write_only
        .address_space:  global
        .offset:         16
        .size:           8
        .value_kind:     global_buffer
      - .actual_access:  read_only
        .address_space:  global
        .offset:         24
        .size:           8
        .value_kind:     global_buffer
      - .actual_access:  read_only
        .address_space:  global
        .offset:         32
        .size:           8
        .value_kind:     global_buffer
      - .actual_access:  read_only
        .address_space:  global
        .offset:         40
        .size:           8
        .value_kind:     global_buffer
      - .offset:         48
        .size:           4
        .value_kind:     by_value
      - .offset:         52
        .size:           4
        .value_kind:     by_value
      - .actual_access:  read_only
        .address_space:  global
        .offset:         56
        .size:           8
        .value_kind:     global_buffer
      - .actual_access:  read_only
        .address_space:  global
        .offset:         64
        .size:           8
        .value_kind:     global_buffer
      - .offset:         72
        .size:           4
        .value_kind:     by_value
      - .actual_access:  read_only
        .address_space:  global
        .offset:         80
        .size:           8
        .value_kind:     global_buffer
      - .offset:         88
        .size:           4
        .value_kind:     by_value
      - .offset:         92
        .size:           4
        .value_kind:     by_value
      - .offset:         96
        .size:           4
        .value_kind:     by_value
      - .address_space:  global
        .offset:         104
        .size:           8
        .value_kind:     global_buffer
      - .address_space:  global
        .offset:         112
        .size:           8
        .value_kind:     global_buffer
      - .offset:         120
        .size:           4
        .value_kind:     by_value
      - .offset:         124
        .size:           4
        .value_kind:     by_value
      - .offset:         128
        .size:           4
        .value_kind:     by_value
      - .offset:         132
        .size:           4
        .value_kind:     by_value
      - .offset:         136
        .size:           4
        .value_kind:     by_value
      - .offset:         144
        .size:           4
        .value_kind:     hidden_block_count_x
      - .offset:         148
        .size:           4
        .value_kind:     hidden_block_count_y
      - .offset:         152
        .size:           4
        .value_kind:     hidden_block_count_z
      - .offset:         156
        .size:           2
        .value_kind:     hidden_group_size_x
      - .offset:         158
        .size:           2
        .value_kind:     hidden_group_size_y
      - .offset:         160
        .size:           2
        .value_kind:     hidden_group_size_z
      - .offset:         162
        .size:           2
        .value_kind:     hidden_remainder_x
      - .offset:         164
        .size:           2
        .value_kind:     hidden_remainder_y
      - .offset:         166
        .size:           2
        .value_kind:     hidden_remainder_z
      - .offset:         184
        .size:           8
        .value_kind:     hidden_global_offset_x
      - .offset:         192
        .size:           8
        .value_kind:     hidden_global_offset_y
      - .offset:         200
        .size:           8
        .value_kind:     hidden_global_offset_z
      - .offset:         208
        .size:           2
        .value_kind:     hidden_grid_dims
      - .offset:         264
        .size:           4
        .value_kind:     hidden_dynamic_lds_size
    .group_segment_fixed_size: 96
    .kernarg_segment_align: 8
    .kernarg_segment_size: 400
    .language:       OpenCL C
    .language_version:
      - 2
      - 0
    .max_flat_workgroup_size: 1024
    .name:           _ZN4vllm25paged_attention_v2_kernelI14__hip_bfloat16S1_Li32ELi16ELi128ELNS_18Fp8KVCacheDataTypeE0ELb0ELi512EEEvPfS3_PT_PKS4_PKT0_SA_ifPKiSC_iPKfiiiSE_SE_iiiii
    .private_segment_fixed_size: 0
    .sgpr_count:     38
    .sgpr_spill_count: 0
    .symbol:         _ZN4vllm25paged_attention_v2_kernelI14__hip_bfloat16S1_Li32ELi16ELi128ELNS_18Fp8KVCacheDataTypeE0ELb0ELi512EEEvPfS3_PT_PKS4_PKT0_SA_ifPKiSC_iPKfiiiSE_SE_iiiii.kd
    .uniform_work_group_size: 1
    .uses_dynamic_stack: false
    .vgpr_count:     51
    .vgpr_spill_count: 0
    .wavefront_size: 32
    .workgroup_processor_mode: 1
  - .args:
      - .actual_access:  write_only
        .address_space:  global
        .offset:         0
        .size:           8
        .value_kind:     global_buffer
      - .actual_access:  write_only
        .address_space:  global
        .offset:         8
        .size:           8
        .value_kind:     global_buffer
      - .actual_access:  write_only
        .address_space:  global
        .offset:         16
        .size:           8
        .value_kind:     global_buffer
      - .actual_access:  read_only
        .address_space:  global
        .offset:         24
        .size:           8
        .value_kind:     global_buffer
      - .actual_access:  read_only
        .address_space:  global
        .offset:         32
        .size:           8
        .value_kind:     global_buffer
      - .actual_access:  read_only
        .address_space:  global
        .offset:         40
        .size:           8
        .value_kind:     global_buffer
      - .offset:         48
        .size:           4
        .value_kind:     by_value
      - .offset:         52
        .size:           4
        .value_kind:     by_value
      - .actual_access:  read_only
        .address_space:  global
        .offset:         56
        .size:           8
        .value_kind:     global_buffer
      - .actual_access:  read_only
        .address_space:  global
        .offset:         64
        .size:           8
        .value_kind:     global_buffer
      - .offset:         72
        .size:           4
        .value_kind:     by_value
      - .actual_access:  read_only
        .address_space:  global
        .offset:         80
        .size:           8
        .value_kind:     global_buffer
      - .offset:         88
        .size:           4
        .value_kind:     by_value
      - .offset:         92
        .size:           4
        .value_kind:     by_value
      - .offset:         96
        .size:           4
        .value_kind:     by_value
      - .address_space:  global
        .offset:         104
        .size:           8
        .value_kind:     global_buffer
      - .address_space:  global
        .offset:         112
        .size:           8
        .value_kind:     global_buffer
      - .offset:         120
        .size:           4
        .value_kind:     by_value
      - .offset:         124
        .size:           4
        .value_kind:     by_value
      - .offset:         128
        .size:           4
        .value_kind:     by_value
      - .offset:         132
        .size:           4
        .value_kind:     by_value
      - .offset:         136
        .size:           4
        .value_kind:     by_value
      - .offset:         144
        .size:           4
        .value_kind:     hidden_block_count_x
      - .offset:         148
        .size:           4
        .value_kind:     hidden_block_count_y
      - .offset:         152
        .size:           4
        .value_kind:     hidden_block_count_z
      - .offset:         156
        .size:           2
        .value_kind:     hidden_group_size_x
      - .offset:         158
        .size:           2
        .value_kind:     hidden_group_size_y
      - .offset:         160
        .size:           2
        .value_kind:     hidden_group_size_z
      - .offset:         162
        .size:           2
        .value_kind:     hidden_remainder_x
      - .offset:         164
        .size:           2
        .value_kind:     hidden_remainder_y
      - .offset:         166
        .size:           2
        .value_kind:     hidden_remainder_z
      - .offset:         184
        .size:           8
        .value_kind:     hidden_global_offset_x
      - .offset:         192
        .size:           8
        .value_kind:     hidden_global_offset_y
      - .offset:         200
        .size:           8
        .value_kind:     hidden_global_offset_z
      - .offset:         208
        .size:           2
        .value_kind:     hidden_grid_dims
      - .offset:         264
        .size:           4
        .value_kind:     hidden_dynamic_lds_size
    .group_segment_fixed_size: 160
    .kernarg_segment_align: 8
    .kernarg_segment_size: 400
    .language:       OpenCL C
    .language_version:
      - 2
      - 0
    .max_flat_workgroup_size: 1024
    .name:           _ZN4vllm25paged_attention_v2_kernelI14__hip_bfloat16S1_Li64ELi16ELi128ELNS_18Fp8KVCacheDataTypeE0ELb0ELi512EEEvPfS3_PT_PKS4_PKT0_SA_ifPKiSC_iPKfiiiSE_SE_iiiii
    .private_segment_fixed_size: 0
    .sgpr_count:     34
    .sgpr_spill_count: 0
    .symbol:         _ZN4vllm25paged_attention_v2_kernelI14__hip_bfloat16S1_Li64ELi16ELi128ELNS_18Fp8KVCacheDataTypeE0ELb0ELi512EEEvPfS3_PT_PKS4_PKT0_SA_ifPKiSC_iPKfiiiSE_SE_iiiii.kd
    .uniform_work_group_size: 1
    .uses_dynamic_stack: false
    .vgpr_count:     81
    .vgpr_spill_count: 0
    .wavefront_size: 32
    .workgroup_processor_mode: 1
  - .args:
      - .actual_access:  write_only
        .address_space:  global
        .offset:         0
        .size:           8
        .value_kind:     global_buffer
      - .actual_access:  write_only
        .address_space:  global
        .offset:         8
        .size:           8
        .value_kind:     global_buffer
      - .actual_access:  write_only
        .address_space:  global
        .offset:         16
        .size:           8
        .value_kind:     global_buffer
      - .actual_access:  read_only
        .address_space:  global
        .offset:         24
        .size:           8
        .value_kind:     global_buffer
      - .actual_access:  read_only
        .address_space:  global
        .offset:         32
        .size:           8
        .value_kind:     global_buffer
      - .actual_access:  read_only
        .address_space:  global
        .offset:         40
        .size:           8
        .value_kind:     global_buffer
      - .offset:         48
        .size:           4
        .value_kind:     by_value
      - .offset:         52
        .size:           4
        .value_kind:     by_value
      - .actual_access:  read_only
        .address_space:  global
        .offset:         56
        .size:           8
        .value_kind:     global_buffer
      - .actual_access:  read_only
        .address_space:  global
        .offset:         64
        .size:           8
        .value_kind:     global_buffer
      - .offset:         72
        .size:           4
        .value_kind:     by_value
      - .actual_access:  read_only
        .address_space:  global
        .offset:         80
        .size:           8
        .value_kind:     global_buffer
      - .offset:         88
        .size:           4
        .value_kind:     by_value
      - .offset:         92
        .size:           4
        .value_kind:     by_value
      - .offset:         96
        .size:           4
        .value_kind:     by_value
      - .address_space:  global
        .offset:         104
        .size:           8
        .value_kind:     global_buffer
      - .address_space:  global
        .offset:         112
        .size:           8
        .value_kind:     global_buffer
      - .offset:         120
        .size:           4
        .value_kind:     by_value
      - .offset:         124
        .size:           4
        .value_kind:     by_value
      - .offset:         128
        .size:           4
        .value_kind:     by_value
      - .offset:         132
        .size:           4
        .value_kind:     by_value
      - .offset:         136
        .size:           4
        .value_kind:     by_value
      - .offset:         144
        .size:           4
        .value_kind:     hidden_block_count_x
      - .offset:         148
        .size:           4
        .value_kind:     hidden_block_count_y
      - .offset:         152
        .size:           4
        .value_kind:     hidden_block_count_z
      - .offset:         156
        .size:           2
        .value_kind:     hidden_group_size_x
      - .offset:         158
        .size:           2
        .value_kind:     hidden_group_size_y
      - .offset:         160
        .size:           2
        .value_kind:     hidden_group_size_z
      - .offset:         162
        .size:           2
        .value_kind:     hidden_remainder_x
      - .offset:         164
        .size:           2
        .value_kind:     hidden_remainder_y
      - .offset:         166
        .size:           2
        .value_kind:     hidden_remainder_z
      - .offset:         184
        .size:           8
        .value_kind:     hidden_global_offset_x
      - .offset:         192
        .size:           8
        .value_kind:     hidden_global_offset_y
      - .offset:         200
        .size:           8
        .value_kind:     hidden_global_offset_z
      - .offset:         208
        .size:           2
        .value_kind:     hidden_grid_dims
      - .offset:         264
        .size:           4
        .value_kind:     hidden_dynamic_lds_size
    .group_segment_fixed_size: 192
    .kernarg_segment_align: 8
    .kernarg_segment_size: 400
    .language:       OpenCL C
    .language_version:
      - 2
      - 0
    .max_flat_workgroup_size: 1024
    .name:           _ZN4vllm25paged_attention_v2_kernelI14__hip_bfloat16S1_Li80ELi16ELi128ELNS_18Fp8KVCacheDataTypeE0ELb0ELi512EEEvPfS3_PT_PKS4_PKT0_SA_ifPKiSC_iPKfiiiSE_SE_iiiii
    .private_segment_fixed_size: 0
    .sgpr_count:     34
    .sgpr_spill_count: 0
    .symbol:         _ZN4vllm25paged_attention_v2_kernelI14__hip_bfloat16S1_Li80ELi16ELi128ELNS_18Fp8KVCacheDataTypeE0ELb0ELi512EEEvPfS3_PT_PKS4_PKT0_SA_ifPKiSC_iPKfiiiSE_SE_iiiii.kd
    .uniform_work_group_size: 1
    .uses_dynamic_stack: false
    .vgpr_count:     96
    .vgpr_spill_count: 0
    .wavefront_size: 32
    .workgroup_processor_mode: 1
  - .args:
      - .actual_access:  write_only
        .address_space:  global
        .offset:         0
        .size:           8
        .value_kind:     global_buffer
      - .actual_access:  write_only
        .address_space:  global
        .offset:         8
        .size:           8
        .value_kind:     global_buffer
      - .actual_access:  write_only
        .address_space:  global
        .offset:         16
        .size:           8
        .value_kind:     global_buffer
      - .actual_access:  read_only
        .address_space:  global
        .offset:         24
        .size:           8
        .value_kind:     global_buffer
      - .actual_access:  read_only
        .address_space:  global
        .offset:         32
        .size:           8
        .value_kind:     global_buffer
      - .actual_access:  read_only
        .address_space:  global
        .offset:         40
        .size:           8
        .value_kind:     global_buffer
      - .offset:         48
        .size:           4
        .value_kind:     by_value
      - .offset:         52
        .size:           4
        .value_kind:     by_value
      - .actual_access:  read_only
        .address_space:  global
        .offset:         56
        .size:           8
        .value_kind:     global_buffer
      - .actual_access:  read_only
        .address_space:  global
        .offset:         64
        .size:           8
        .value_kind:     global_buffer
      - .offset:         72
        .size:           4
        .value_kind:     by_value
      - .actual_access:  read_only
        .address_space:  global
        .offset:         80
        .size:           8
        .value_kind:     global_buffer
      - .offset:         88
        .size:           4
        .value_kind:     by_value
      - .offset:         92
        .size:           4
        .value_kind:     by_value
      - .offset:         96
        .size:           4
        .value_kind:     by_value
      - .address_space:  global
        .offset:         104
        .size:           8
        .value_kind:     global_buffer
      - .address_space:  global
        .offset:         112
        .size:           8
        .value_kind:     global_buffer
      - .offset:         120
        .size:           4
        .value_kind:     by_value
      - .offset:         124
        .size:           4
        .value_kind:     by_value
      - .offset:         128
        .size:           4
        .value_kind:     by_value
      - .offset:         132
        .size:           4
        .value_kind:     by_value
      - .offset:         136
        .size:           4
        .value_kind:     by_value
      - .offset:         144
        .size:           4
        .value_kind:     hidden_block_count_x
      - .offset:         148
        .size:           4
        .value_kind:     hidden_block_count_y
      - .offset:         152
        .size:           4
        .value_kind:     hidden_block_count_z
      - .offset:         156
        .size:           2
        .value_kind:     hidden_group_size_x
      - .offset:         158
        .size:           2
        .value_kind:     hidden_group_size_y
      - .offset:         160
        .size:           2
        .value_kind:     hidden_group_size_z
      - .offset:         162
        .size:           2
        .value_kind:     hidden_remainder_x
      - .offset:         164
        .size:           2
        .value_kind:     hidden_remainder_y
      - .offset:         166
        .size:           2
        .value_kind:     hidden_remainder_z
      - .offset:         184
        .size:           8
        .value_kind:     hidden_global_offset_x
      - .offset:         192
        .size:           8
        .value_kind:     hidden_global_offset_y
      - .offset:         200
        .size:           8
        .value_kind:     hidden_global_offset_z
      - .offset:         208
        .size:           2
        .value_kind:     hidden_grid_dims
      - .offset:         264
        .size:           4
        .value_kind:     hidden_dynamic_lds_size
    .group_segment_fixed_size: 224
    .kernarg_segment_align: 8
    .kernarg_segment_size: 400
    .language:       OpenCL C
    .language_version:
      - 2
      - 0
    .max_flat_workgroup_size: 1024
    .name:           _ZN4vllm25paged_attention_v2_kernelI14__hip_bfloat16S1_Li96ELi16ELi128ELNS_18Fp8KVCacheDataTypeE0ELb0ELi512EEEvPfS3_PT_PKS4_PKT0_SA_ifPKiSC_iPKfiiiSE_SE_iiiii
    .private_segment_fixed_size: 0
    .sgpr_count:     34
    .sgpr_spill_count: 0
    .symbol:         _ZN4vllm25paged_attention_v2_kernelI14__hip_bfloat16S1_Li96ELi16ELi128ELNS_18Fp8KVCacheDataTypeE0ELb0ELi512EEEvPfS3_PT_PKS4_PKT0_SA_ifPKiSC_iPKfiiiSE_SE_iiiii.kd
    .uniform_work_group_size: 1
    .uses_dynamic_stack: false
    .vgpr_count:     111
    .vgpr_spill_count: 0
    .wavefront_size: 32
    .workgroup_processor_mode: 1
  - .args:
      - .actual_access:  write_only
        .address_space:  global
        .offset:         0
        .size:           8
        .value_kind:     global_buffer
      - .actual_access:  write_only
        .address_space:  global
        .offset:         8
        .size:           8
        .value_kind:     global_buffer
      - .actual_access:  write_only
        .address_space:  global
        .offset:         16
        .size:           8
        .value_kind:     global_buffer
      - .actual_access:  read_only
        .address_space:  global
        .offset:         24
        .size:           8
        .value_kind:     global_buffer
      - .actual_access:  read_only
        .address_space:  global
        .offset:         32
        .size:           8
        .value_kind:     global_buffer
      - .actual_access:  read_only
        .address_space:  global
        .offset:         40
        .size:           8
        .value_kind:     global_buffer
      - .offset:         48
        .size:           4
        .value_kind:     by_value
      - .offset:         52
        .size:           4
        .value_kind:     by_value
      - .actual_access:  read_only
        .address_space:  global
        .offset:         56
        .size:           8
        .value_kind:     global_buffer
      - .actual_access:  read_only
        .address_space:  global
        .offset:         64
        .size:           8
        .value_kind:     global_buffer
      - .offset:         72
        .size:           4
        .value_kind:     by_value
      - .actual_access:  read_only
        .address_space:  global
        .offset:         80
        .size:           8
        .value_kind:     global_buffer
      - .offset:         88
        .size:           4
        .value_kind:     by_value
      - .offset:         92
        .size:           4
        .value_kind:     by_value
      - .offset:         96
        .size:           4
        .value_kind:     by_value
      - .address_space:  global
        .offset:         104
        .size:           8
        .value_kind:     global_buffer
      - .address_space:  global
        .offset:         112
        .size:           8
        .value_kind:     global_buffer
      - .offset:         120
        .size:           4
        .value_kind:     by_value
      - .offset:         124
        .size:           4
        .value_kind:     by_value
      - .offset:         128
        .size:           4
        .value_kind:     by_value
      - .offset:         132
        .size:           4
        .value_kind:     by_value
      - .offset:         136
        .size:           4
        .value_kind:     by_value
      - .offset:         144
        .size:           4
        .value_kind:     hidden_block_count_x
      - .offset:         148
        .size:           4
        .value_kind:     hidden_block_count_y
      - .offset:         152
        .size:           4
        .value_kind:     hidden_block_count_z
      - .offset:         156
        .size:           2
        .value_kind:     hidden_group_size_x
      - .offset:         158
        .size:           2
        .value_kind:     hidden_group_size_y
      - .offset:         160
        .size:           2
        .value_kind:     hidden_group_size_z
      - .offset:         162
        .size:           2
        .value_kind:     hidden_remainder_x
      - .offset:         164
        .size:           2
        .value_kind:     hidden_remainder_y
      - .offset:         166
        .size:           2
        .value_kind:     hidden_remainder_z
      - .offset:         184
        .size:           8
        .value_kind:     hidden_global_offset_x
      - .offset:         192
        .size:           8
        .value_kind:     hidden_global_offset_y
      - .offset:         200
        .size:           8
        .value_kind:     hidden_global_offset_z
      - .offset:         208
        .size:           2
        .value_kind:     hidden_grid_dims
      - .offset:         264
        .size:           4
        .value_kind:     hidden_dynamic_lds_size
    .group_segment_fixed_size: 256
    .kernarg_segment_align: 8
    .kernarg_segment_size: 400
    .language:       OpenCL C
    .language_version:
      - 2
      - 0
    .max_flat_workgroup_size: 1024
    .name:           _ZN4vllm25paged_attention_v2_kernelI14__hip_bfloat16S1_Li112ELi16ELi128ELNS_18Fp8KVCacheDataTypeE0ELb0ELi512EEEvPfS3_PT_PKS4_PKT0_SA_ifPKiSC_iPKfiiiSE_SE_iiiii
    .private_segment_fixed_size: 0
    .sgpr_count:     34
    .sgpr_spill_count: 0
    .symbol:         _ZN4vllm25paged_attention_v2_kernelI14__hip_bfloat16S1_Li112ELi16ELi128ELNS_18Fp8KVCacheDataTypeE0ELb0ELi512EEEvPfS3_PT_PKS4_PKT0_SA_ifPKiSC_iPKfiiiSE_SE_iiiii.kd
    .uniform_work_group_size: 1
    .uses_dynamic_stack: false
    .vgpr_count:     126
    .vgpr_spill_count: 0
    .wavefront_size: 32
    .workgroup_processor_mode: 1
  - .args:
      - .actual_access:  write_only
        .address_space:  global
        .offset:         0
        .size:           8
        .value_kind:     global_buffer
      - .actual_access:  write_only
        .address_space:  global
        .offset:         8
        .size:           8
        .value_kind:     global_buffer
      - .actual_access:  write_only
        .address_space:  global
        .offset:         16
        .size:           8
        .value_kind:     global_buffer
      - .actual_access:  read_only
        .address_space:  global
        .offset:         24
        .size:           8
        .value_kind:     global_buffer
      - .actual_access:  read_only
        .address_space:  global
        .offset:         32
        .size:           8
        .value_kind:     global_buffer
      - .actual_access:  read_only
        .address_space:  global
        .offset:         40
        .size:           8
        .value_kind:     global_buffer
      - .offset:         48
        .size:           4
        .value_kind:     by_value
      - .offset:         52
        .size:           4
        .value_kind:     by_value
      - .actual_access:  read_only
        .address_space:  global
        .offset:         56
        .size:           8
        .value_kind:     global_buffer
      - .actual_access:  read_only
        .address_space:  global
        .offset:         64
        .size:           8
        .value_kind:     global_buffer
      - .offset:         72
        .size:           4
        .value_kind:     by_value
      - .actual_access:  read_only
        .address_space:  global
        .offset:         80
        .size:           8
        .value_kind:     global_buffer
      - .offset:         88
        .size:           4
        .value_kind:     by_value
      - .offset:         92
        .size:           4
        .value_kind:     by_value
      - .offset:         96
        .size:           4
        .value_kind:     by_value
      - .address_space:  global
        .offset:         104
        .size:           8
        .value_kind:     global_buffer
      - .address_space:  global
        .offset:         112
        .size:           8
        .value_kind:     global_buffer
      - .offset:         120
        .size:           4
        .value_kind:     by_value
      - .offset:         124
        .size:           4
        .value_kind:     by_value
      - .offset:         128
        .size:           4
        .value_kind:     by_value
      - .offset:         132
        .size:           4
        .value_kind:     by_value
      - .offset:         136
        .size:           4
        .value_kind:     by_value
      - .offset:         144
        .size:           4
        .value_kind:     hidden_block_count_x
      - .offset:         148
        .size:           4
        .value_kind:     hidden_block_count_y
      - .offset:         152
        .size:           4
        .value_kind:     hidden_block_count_z
      - .offset:         156
        .size:           2
        .value_kind:     hidden_group_size_x
      - .offset:         158
        .size:           2
        .value_kind:     hidden_group_size_y
      - .offset:         160
        .size:           2
        .value_kind:     hidden_group_size_z
      - .offset:         162
        .size:           2
        .value_kind:     hidden_remainder_x
      - .offset:         164
        .size:           2
        .value_kind:     hidden_remainder_y
      - .offset:         166
        .size:           2
        .value_kind:     hidden_remainder_z
      - .offset:         184
        .size:           8
        .value_kind:     hidden_global_offset_x
      - .offset:         192
        .size:           8
        .value_kind:     hidden_global_offset_y
      - .offset:         200
        .size:           8
        .value_kind:     hidden_global_offset_z
      - .offset:         208
        .size:           2
        .value_kind:     hidden_grid_dims
      - .offset:         264
        .size:           4
        .value_kind:     hidden_dynamic_lds_size
    .group_segment_fixed_size: 272
    .kernarg_segment_align: 8
    .kernarg_segment_size: 400
    .language:       OpenCL C
    .language_version:
      - 2
      - 0
    .max_flat_workgroup_size: 1024
    .name:           _ZN4vllm25paged_attention_v2_kernelI14__hip_bfloat16S1_Li120ELi16ELi128ELNS_18Fp8KVCacheDataTypeE0ELb0ELi512EEEvPfS3_PT_PKS4_PKT0_SA_ifPKiSC_iPKfiiiSE_SE_iiiii
    .private_segment_fixed_size: 0
    .sgpr_count:     34
    .sgpr_spill_count: 0
    .symbol:         _ZN4vllm25paged_attention_v2_kernelI14__hip_bfloat16S1_Li120ELi16ELi128ELNS_18Fp8KVCacheDataTypeE0ELb0ELi512EEEvPfS3_PT_PKS4_PKT0_SA_ifPKiSC_iPKfiiiSE_SE_iiiii.kd
    .uniform_work_group_size: 1
    .uses_dynamic_stack: false
    .vgpr_count:     132
    .vgpr_spill_count: 0
    .wavefront_size: 32
    .workgroup_processor_mode: 1
  - .args:
      - .actual_access:  write_only
        .address_space:  global
        .offset:         0
        .size:           8
        .value_kind:     global_buffer
      - .actual_access:  write_only
        .address_space:  global
        .offset:         8
        .size:           8
        .value_kind:     global_buffer
      - .actual_access:  write_only
        .address_space:  global
        .offset:         16
        .size:           8
        .value_kind:     global_buffer
      - .actual_access:  read_only
        .address_space:  global
        .offset:         24
        .size:           8
        .value_kind:     global_buffer
      - .actual_access:  read_only
        .address_space:  global
        .offset:         32
        .size:           8
        .value_kind:     global_buffer
      - .actual_access:  read_only
        .address_space:  global
        .offset:         40
        .size:           8
        .value_kind:     global_buffer
      - .offset:         48
        .size:           4
        .value_kind:     by_value
      - .offset:         52
        .size:           4
        .value_kind:     by_value
      - .actual_access:  read_only
        .address_space:  global
        .offset:         56
        .size:           8
        .value_kind:     global_buffer
      - .actual_access:  read_only
        .address_space:  global
        .offset:         64
        .size:           8
        .value_kind:     global_buffer
      - .offset:         72
        .size:           4
        .value_kind:     by_value
      - .actual_access:  read_only
        .address_space:  global
        .offset:         80
        .size:           8
        .value_kind:     global_buffer
      - .offset:         88
        .size:           4
        .value_kind:     by_value
      - .offset:         92
        .size:           4
        .value_kind:     by_value
      - .offset:         96
        .size:           4
        .value_kind:     by_value
      - .address_space:  global
        .offset:         104
        .size:           8
        .value_kind:     global_buffer
      - .address_space:  global
        .offset:         112
        .size:           8
        .value_kind:     global_buffer
      - .offset:         120
        .size:           4
        .value_kind:     by_value
      - .offset:         124
        .size:           4
        .value_kind:     by_value
      - .offset:         128
        .size:           4
        .value_kind:     by_value
      - .offset:         132
        .size:           4
        .value_kind:     by_value
      - .offset:         136
        .size:           4
        .value_kind:     by_value
      - .offset:         144
        .size:           4
        .value_kind:     hidden_block_count_x
      - .offset:         148
        .size:           4
        .value_kind:     hidden_block_count_y
      - .offset:         152
        .size:           4
        .value_kind:     hidden_block_count_z
      - .offset:         156
        .size:           2
        .value_kind:     hidden_group_size_x
      - .offset:         158
        .size:           2
        .value_kind:     hidden_group_size_y
      - .offset:         160
        .size:           2
        .value_kind:     hidden_group_size_z
      - .offset:         162
        .size:           2
        .value_kind:     hidden_remainder_x
      - .offset:         164
        .size:           2
        .value_kind:     hidden_remainder_y
      - .offset:         166
        .size:           2
        .value_kind:     hidden_remainder_z
      - .offset:         184
        .size:           8
        .value_kind:     hidden_global_offset_x
      - .offset:         192
        .size:           8
        .value_kind:     hidden_global_offset_y
      - .offset:         200
        .size:           8
        .value_kind:     hidden_global_offset_z
      - .offset:         208
        .size:           2
        .value_kind:     hidden_grid_dims
      - .offset:         264
        .size:           4
        .value_kind:     hidden_dynamic_lds_size
    .group_segment_fixed_size: 288
    .kernarg_segment_align: 8
    .kernarg_segment_size: 400
    .language:       OpenCL C
    .language_version:
      - 2
      - 0
    .max_flat_workgroup_size: 1024
    .name:           _ZN4vllm25paged_attention_v2_kernelI14__hip_bfloat16S1_Li128ELi16ELi128ELNS_18Fp8KVCacheDataTypeE0ELb0ELi512EEEvPfS3_PT_PKS4_PKT0_SA_ifPKiSC_iPKfiiiSE_SE_iiiii
    .private_segment_fixed_size: 0
    .sgpr_count:     38
    .sgpr_spill_count: 0
    .symbol:         _ZN4vllm25paged_attention_v2_kernelI14__hip_bfloat16S1_Li128ELi16ELi128ELNS_18Fp8KVCacheDataTypeE0ELb0ELi512EEEvPfS3_PT_PKS4_PKT0_SA_ifPKiSC_iPKfiiiSE_SE_iiiii.kd
    .uniform_work_group_size: 1
    .uses_dynamic_stack: false
    .vgpr_count:     134
    .vgpr_spill_count: 0
    .wavefront_size: 32
    .workgroup_processor_mode: 1
  - .args:
      - .actual_access:  write_only
        .address_space:  global
        .offset:         0
        .size:           8
        .value_kind:     global_buffer
      - .actual_access:  write_only
        .address_space:  global
        .offset:         8
        .size:           8
        .value_kind:     global_buffer
      - .actual_access:  write_only
        .address_space:  global
        .offset:         16
        .size:           8
        .value_kind:     global_buffer
      - .actual_access:  read_only
        .address_space:  global
        .offset:         24
        .size:           8
        .value_kind:     global_buffer
      - .actual_access:  read_only
        .address_space:  global
        .offset:         32
        .size:           8
        .value_kind:     global_buffer
      - .actual_access:  read_only
        .address_space:  global
        .offset:         40
        .size:           8
        .value_kind:     global_buffer
      - .offset:         48
        .size:           4
        .value_kind:     by_value
      - .offset:         52
        .size:           4
        .value_kind:     by_value
      - .actual_access:  read_only
        .address_space:  global
        .offset:         56
        .size:           8
        .value_kind:     global_buffer
      - .actual_access:  read_only
        .address_space:  global
        .offset:         64
        .size:           8
        .value_kind:     global_buffer
      - .offset:         72
        .size:           4
        .value_kind:     by_value
      - .actual_access:  read_only
        .address_space:  global
        .offset:         80
        .size:           8
        .value_kind:     global_buffer
      - .offset:         88
        .size:           4
        .value_kind:     by_value
      - .offset:         92
        .size:           4
        .value_kind:     by_value
      - .offset:         96
        .size:           4
        .value_kind:     by_value
      - .address_space:  global
        .offset:         104
        .size:           8
        .value_kind:     global_buffer
      - .address_space:  global
        .offset:         112
        .size:           8
        .value_kind:     global_buffer
      - .offset:         120
        .size:           4
        .value_kind:     by_value
      - .offset:         124
        .size:           4
        .value_kind:     by_value
      - .offset:         128
        .size:           4
        .value_kind:     by_value
      - .offset:         132
        .size:           4
        .value_kind:     by_value
      - .offset:         136
        .size:           4
        .value_kind:     by_value
      - .offset:         144
        .size:           4
        .value_kind:     hidden_block_count_x
      - .offset:         148
        .size:           4
        .value_kind:     hidden_block_count_y
      - .offset:         152
        .size:           4
        .value_kind:     hidden_block_count_z
      - .offset:         156
        .size:           2
        .value_kind:     hidden_group_size_x
      - .offset:         158
        .size:           2
        .value_kind:     hidden_group_size_y
      - .offset:         160
        .size:           2
        .value_kind:     hidden_group_size_z
      - .offset:         162
        .size:           2
        .value_kind:     hidden_remainder_x
      - .offset:         164
        .size:           2
        .value_kind:     hidden_remainder_y
      - .offset:         166
        .size:           2
        .value_kind:     hidden_remainder_z
      - .offset:         184
        .size:           8
        .value_kind:     hidden_global_offset_x
      - .offset:         192
        .size:           8
        .value_kind:     hidden_global_offset_y
      - .offset:         200
        .size:           8
        .value_kind:     hidden_global_offset_z
      - .offset:         208
        .size:           2
        .value_kind:     hidden_grid_dims
      - .offset:         264
        .size:           4
        .value_kind:     hidden_dynamic_lds_size
    .group_segment_fixed_size: 416
    .kernarg_segment_align: 8
    .kernarg_segment_size: 400
    .language:       OpenCL C
    .language_version:
      - 2
      - 0
    .max_flat_workgroup_size: 1024
    .name:           _ZN4vllm25paged_attention_v2_kernelI14__hip_bfloat16S1_Li192ELi16ELi128ELNS_18Fp8KVCacheDataTypeE0ELb0ELi512EEEvPfS3_PT_PKS4_PKT0_SA_ifPKiSC_iPKfiiiSE_SE_iiiii
    .private_segment_fixed_size: 0
    .sgpr_count:     34
    .sgpr_spill_count: 0
    .symbol:         _ZN4vllm25paged_attention_v2_kernelI14__hip_bfloat16S1_Li192ELi16ELi128ELNS_18Fp8KVCacheDataTypeE0ELb0ELi512EEEvPfS3_PT_PKS4_PKT0_SA_ifPKiSC_iPKfiiiSE_SE_iiiii.kd
    .uniform_work_group_size: 1
    .uses_dynamic_stack: false
    .vgpr_count:     189
    .vgpr_spill_count: 0
    .wavefront_size: 32
    .workgroup_processor_mode: 1
  - .args:
      - .actual_access:  write_only
        .address_space:  global
        .offset:         0
        .size:           8
        .value_kind:     global_buffer
      - .actual_access:  write_only
        .address_space:  global
        .offset:         8
        .size:           8
        .value_kind:     global_buffer
      - .actual_access:  write_only
        .address_space:  global
        .offset:         16
        .size:           8
        .value_kind:     global_buffer
      - .actual_access:  read_only
        .address_space:  global
        .offset:         24
        .size:           8
        .value_kind:     global_buffer
      - .actual_access:  read_only
        .address_space:  global
        .offset:         32
        .size:           8
        .value_kind:     global_buffer
      - .actual_access:  read_only
        .address_space:  global
        .offset:         40
        .size:           8
        .value_kind:     global_buffer
      - .offset:         48
        .size:           4
        .value_kind:     by_value
      - .offset:         52
        .size:           4
        .value_kind:     by_value
      - .actual_access:  read_only
        .address_space:  global
        .offset:         56
        .size:           8
        .value_kind:     global_buffer
      - .actual_access:  read_only
        .address_space:  global
        .offset:         64
        .size:           8
        .value_kind:     global_buffer
      - .offset:         72
        .size:           4
        .value_kind:     by_value
      - .actual_access:  read_only
        .address_space:  global
        .offset:         80
        .size:           8
        .value_kind:     global_buffer
      - .offset:         88
        .size:           4
        .value_kind:     by_value
      - .offset:         92
        .size:           4
        .value_kind:     by_value
      - .offset:         96
        .size:           4
        .value_kind:     by_value
      - .address_space:  global
        .offset:         104
        .size:           8
        .value_kind:     global_buffer
      - .address_space:  global
        .offset:         112
        .size:           8
        .value_kind:     global_buffer
      - .offset:         120
        .size:           4
        .value_kind:     by_value
      - .offset:         124
        .size:           4
        .value_kind:     by_value
      - .offset:         128
        .size:           4
        .value_kind:     by_value
      - .offset:         132
        .size:           4
        .value_kind:     by_value
      - .offset:         136
        .size:           4
        .value_kind:     by_value
      - .offset:         144
        .size:           4
        .value_kind:     hidden_block_count_x
      - .offset:         148
        .size:           4
        .value_kind:     hidden_block_count_y
      - .offset:         152
        .size:           4
        .value_kind:     hidden_block_count_z
      - .offset:         156
        .size:           2
        .value_kind:     hidden_group_size_x
      - .offset:         158
        .size:           2
        .value_kind:     hidden_group_size_y
      - .offset:         160
        .size:           2
        .value_kind:     hidden_group_size_z
      - .offset:         162
        .size:           2
        .value_kind:     hidden_remainder_x
      - .offset:         164
        .size:           2
        .value_kind:     hidden_remainder_y
      - .offset:         166
        .size:           2
        .value_kind:     hidden_remainder_z
      - .offset:         184
        .size:           8
        .value_kind:     hidden_global_offset_x
      - .offset:         192
        .size:           8
        .value_kind:     hidden_global_offset_y
      - .offset:         200
        .size:           8
        .value_kind:     hidden_global_offset_z
      - .offset:         208
        .size:           2
        .value_kind:     hidden_grid_dims
      - .offset:         264
        .size:           4
        .value_kind:     hidden_dynamic_lds_size
    .group_segment_fixed_size: 544
    .kernarg_segment_align: 8
    .kernarg_segment_size: 400
    .language:       OpenCL C
    .language_version:
      - 2
      - 0
    .max_flat_workgroup_size: 1024
    .name:           _ZN4vllm25paged_attention_v2_kernelI14__hip_bfloat16S1_Li256ELi16ELi128ELNS_18Fp8KVCacheDataTypeE0ELb0ELi512EEEvPfS3_PT_PKS4_PKT0_SA_ifPKiSC_iPKfiiiSE_SE_iiiii
    .private_segment_fixed_size: 0
    .sgpr_count:     38
    .sgpr_spill_count: 0
    .symbol:         _ZN4vllm25paged_attention_v2_kernelI14__hip_bfloat16S1_Li256ELi16ELi128ELNS_18Fp8KVCacheDataTypeE0ELb0ELi512EEEvPfS3_PT_PKS4_PKT0_SA_ifPKiSC_iPKfiiiSE_SE_iiiii.kd
    .uniform_work_group_size: 1
    .uses_dynamic_stack: false
    .vgpr_count:     178
    .vgpr_spill_count: 0
    .wavefront_size: 32
    .workgroup_processor_mode: 1
  - .args:
      - .actual_access:  write_only
        .address_space:  global
        .offset:         0
        .size:           8
        .value_kind:     global_buffer
      - .actual_access:  write_only
        .address_space:  global
        .offset:         8
        .size:           8
        .value_kind:     global_buffer
      - .actual_access:  write_only
        .address_space:  global
        .offset:         16
        .size:           8
        .value_kind:     global_buffer
      - .actual_access:  read_only
        .address_space:  global
        .offset:         24
        .size:           8
        .value_kind:     global_buffer
      - .actual_access:  read_only
        .address_space:  global
        .offset:         32
        .size:           8
        .value_kind:     global_buffer
      - .actual_access:  read_only
        .address_space:  global
        .offset:         40
        .size:           8
        .value_kind:     global_buffer
      - .offset:         48
        .size:           4
        .value_kind:     by_value
      - .offset:         52
        .size:           4
        .value_kind:     by_value
      - .actual_access:  read_only
        .address_space:  global
        .offset:         56
        .size:           8
        .value_kind:     global_buffer
      - .actual_access:  read_only
        .address_space:  global
        .offset:         64
        .size:           8
        .value_kind:     global_buffer
      - .offset:         72
        .size:           4
        .value_kind:     by_value
      - .actual_access:  read_only
        .address_space:  global
        .offset:         80
        .size:           8
        .value_kind:     global_buffer
      - .offset:         88
        .size:           4
        .value_kind:     by_value
      - .offset:         92
        .size:           4
        .value_kind:     by_value
      - .offset:         96
        .size:           4
        .value_kind:     by_value
      - .address_space:  global
        .offset:         104
        .size:           8
        .value_kind:     global_buffer
      - .address_space:  global
        .offset:         112
        .size:           8
        .value_kind:     global_buffer
      - .offset:         120
        .size:           4
        .value_kind:     by_value
      - .offset:         124
        .size:           4
        .value_kind:     by_value
      - .offset:         128
        .size:           4
        .value_kind:     by_value
      - .offset:         132
        .size:           4
        .value_kind:     by_value
      - .offset:         136
        .size:           4
        .value_kind:     by_value
      - .offset:         144
        .size:           4
        .value_kind:     hidden_block_count_x
      - .offset:         148
        .size:           4
        .value_kind:     hidden_block_count_y
      - .offset:         152
        .size:           4
        .value_kind:     hidden_block_count_z
      - .offset:         156
        .size:           2
        .value_kind:     hidden_group_size_x
      - .offset:         158
        .size:           2
        .value_kind:     hidden_group_size_y
      - .offset:         160
        .size:           2
        .value_kind:     hidden_group_size_z
      - .offset:         162
        .size:           2
        .value_kind:     hidden_remainder_x
      - .offset:         164
        .size:           2
        .value_kind:     hidden_remainder_y
      - .offset:         166
        .size:           2
        .value_kind:     hidden_remainder_z
      - .offset:         184
        .size:           8
        .value_kind:     hidden_global_offset_x
      - .offset:         192
        .size:           8
        .value_kind:     hidden_global_offset_y
      - .offset:         200
        .size:           8
        .value_kind:     hidden_global_offset_z
      - .offset:         208
        .size:           2
        .value_kind:     hidden_grid_dims
      - .offset:         264
        .size:           4
        .value_kind:     hidden_dynamic_lds_size
    .group_segment_fixed_size: 96
    .kernarg_segment_align: 8
    .kernarg_segment_size: 400
    .language:       OpenCL C
    .language_version:
      - 2
      - 0
    .max_flat_workgroup_size: 1024
    .name:           _ZN4vllm25paged_attention_v2_kernelI14__hip_bfloat16S1_Li32ELi32ELi128ELNS_18Fp8KVCacheDataTypeE0ELb1ELi512EEEvPfS3_PT_PKS4_PKT0_SA_ifPKiSC_iPKfiiiSE_SE_iiiii
    .private_segment_fixed_size: 0
    .sgpr_count:     44
    .sgpr_spill_count: 0
    .symbol:         _ZN4vllm25paged_attention_v2_kernelI14__hip_bfloat16S1_Li32ELi32ELi128ELNS_18Fp8KVCacheDataTypeE0ELb1ELi512EEEvPfS3_PT_PKS4_PKT0_SA_ifPKiSC_iPKfiiiSE_SE_iiiii.kd
    .uniform_work_group_size: 1
    .uses_dynamic_stack: false
    .vgpr_count:     82
    .vgpr_spill_count: 0
    .wavefront_size: 32
    .workgroup_processor_mode: 1
  - .args:
      - .actual_access:  write_only
        .address_space:  global
        .offset:         0
        .size:           8
        .value_kind:     global_buffer
      - .actual_access:  write_only
        .address_space:  global
        .offset:         8
        .size:           8
        .value_kind:     global_buffer
      - .actual_access:  write_only
        .address_space:  global
        .offset:         16
        .size:           8
        .value_kind:     global_buffer
      - .actual_access:  read_only
        .address_space:  global
        .offset:         24
        .size:           8
        .value_kind:     global_buffer
      - .actual_access:  read_only
        .address_space:  global
        .offset:         32
        .size:           8
        .value_kind:     global_buffer
      - .actual_access:  read_only
        .address_space:  global
        .offset:         40
        .size:           8
        .value_kind:     global_buffer
      - .offset:         48
        .size:           4
        .value_kind:     by_value
      - .offset:         52
        .size:           4
        .value_kind:     by_value
      - .actual_access:  read_only
        .address_space:  global
        .offset:         56
        .size:           8
        .value_kind:     global_buffer
      - .actual_access:  read_only
        .address_space:  global
        .offset:         64
        .size:           8
        .value_kind:     global_buffer
      - .offset:         72
        .size:           4
        .value_kind:     by_value
      - .actual_access:  read_only
        .address_space:  global
        .offset:         80
        .size:           8
        .value_kind:     global_buffer
      - .offset:         88
        .size:           4
        .value_kind:     by_value
      - .offset:         92
        .size:           4
        .value_kind:     by_value
      - .offset:         96
        .size:           4
        .value_kind:     by_value
      - .address_space:  global
        .offset:         104
        .size:           8
        .value_kind:     global_buffer
      - .address_space:  global
        .offset:         112
        .size:           8
        .value_kind:     global_buffer
      - .offset:         120
        .size:           4
        .value_kind:     by_value
      - .offset:         124
        .size:           4
        .value_kind:     by_value
      - .offset:         128
        .size:           4
        .value_kind:     by_value
      - .offset:         132
        .size:           4
        .value_kind:     by_value
      - .offset:         136
        .size:           4
        .value_kind:     by_value
      - .offset:         144
        .size:           4
        .value_kind:     hidden_block_count_x
      - .offset:         148
        .size:           4
        .value_kind:     hidden_block_count_y
      - .offset:         152
        .size:           4
        .value_kind:     hidden_block_count_z
      - .offset:         156
        .size:           2
        .value_kind:     hidden_group_size_x
      - .offset:         158
        .size:           2
        .value_kind:     hidden_group_size_y
      - .offset:         160
        .size:           2
        .value_kind:     hidden_group_size_z
      - .offset:         162
        .size:           2
        .value_kind:     hidden_remainder_x
      - .offset:         164
        .size:           2
        .value_kind:     hidden_remainder_y
      - .offset:         166
        .size:           2
        .value_kind:     hidden_remainder_z
      - .offset:         184
        .size:           8
        .value_kind:     hidden_global_offset_x
      - .offset:         192
        .size:           8
        .value_kind:     hidden_global_offset_y
      - .offset:         200
        .size:           8
        .value_kind:     hidden_global_offset_z
      - .offset:         208
        .size:           2
        .value_kind:     hidden_grid_dims
      - .offset:         264
        .size:           4
        .value_kind:     hidden_dynamic_lds_size
    .group_segment_fixed_size: 160
    .kernarg_segment_align: 8
    .kernarg_segment_size: 400
    .language:       OpenCL C
    .language_version:
      - 2
      - 0
    .max_flat_workgroup_size: 1024
    .name:           _ZN4vllm25paged_attention_v2_kernelI14__hip_bfloat16S1_Li64ELi32ELi128ELNS_18Fp8KVCacheDataTypeE0ELb1ELi512EEEvPfS3_PT_PKS4_PKT0_SA_ifPKiSC_iPKfiiiSE_SE_iiiii
    .private_segment_fixed_size: 0
    .sgpr_count:     44
    .sgpr_spill_count: 0
    .symbol:         _ZN4vllm25paged_attention_v2_kernelI14__hip_bfloat16S1_Li64ELi32ELi128ELNS_18Fp8KVCacheDataTypeE0ELb1ELi512EEEvPfS3_PT_PKS4_PKT0_SA_ifPKiSC_iPKfiiiSE_SE_iiiii.kd
    .uniform_work_group_size: 1
    .uses_dynamic_stack: false
    .vgpr_count:     146
    .vgpr_spill_count: 0
    .wavefront_size: 32
    .workgroup_processor_mode: 1
  - .args:
      - .actual_access:  write_only
        .address_space:  global
        .offset:         0
        .size:           8
        .value_kind:     global_buffer
      - .actual_access:  write_only
        .address_space:  global
        .offset:         8
        .size:           8
        .value_kind:     global_buffer
      - .actual_access:  write_only
        .address_space:  global
        .offset:         16
        .size:           8
        .value_kind:     global_buffer
      - .actual_access:  read_only
        .address_space:  global
        .offset:         24
        .size:           8
        .value_kind:     global_buffer
      - .actual_access:  read_only
        .address_space:  global
        .offset:         32
        .size:           8
        .value_kind:     global_buffer
      - .actual_access:  read_only
        .address_space:  global
        .offset:         40
        .size:           8
        .value_kind:     global_buffer
      - .offset:         48
        .size:           4
        .value_kind:     by_value
      - .offset:         52
        .size:           4
        .value_kind:     by_value
      - .actual_access:  read_only
        .address_space:  global
        .offset:         56
        .size:           8
        .value_kind:     global_buffer
      - .actual_access:  read_only
        .address_space:  global
        .offset:         64
        .size:           8
        .value_kind:     global_buffer
      - .offset:         72
        .size:           4
        .value_kind:     by_value
      - .actual_access:  read_only
        .address_space:  global
        .offset:         80
        .size:           8
        .value_kind:     global_buffer
      - .offset:         88
        .size:           4
        .value_kind:     by_value
      - .offset:         92
        .size:           4
        .value_kind:     by_value
      - .offset:         96
        .size:           4
        .value_kind:     by_value
      - .address_space:  global
        .offset:         104
        .size:           8
        .value_kind:     global_buffer
      - .address_space:  global
        .offset:         112
        .size:           8
        .value_kind:     global_buffer
      - .offset:         120
        .size:           4
        .value_kind:     by_value
      - .offset:         124
        .size:           4
        .value_kind:     by_value
      - .offset:         128
        .size:           4
        .value_kind:     by_value
      - .offset:         132
        .size:           4
        .value_kind:     by_value
      - .offset:         136
        .size:           4
        .value_kind:     by_value
      - .offset:         144
        .size:           4
        .value_kind:     hidden_block_count_x
      - .offset:         148
        .size:           4
        .value_kind:     hidden_block_count_y
      - .offset:         152
        .size:           4
        .value_kind:     hidden_block_count_z
      - .offset:         156
        .size:           2
        .value_kind:     hidden_group_size_x
      - .offset:         158
        .size:           2
        .value_kind:     hidden_group_size_y
      - .offset:         160
        .size:           2
        .value_kind:     hidden_group_size_z
      - .offset:         162
        .size:           2
        .value_kind:     hidden_remainder_x
      - .offset:         164
        .size:           2
        .value_kind:     hidden_remainder_y
      - .offset:         166
        .size:           2
        .value_kind:     hidden_remainder_z
      - .offset:         184
        .size:           8
        .value_kind:     hidden_global_offset_x
      - .offset:         192
        .size:           8
        .value_kind:     hidden_global_offset_y
      - .offset:         200
        .size:           8
        .value_kind:     hidden_global_offset_z
      - .offset:         208
        .size:           2
        .value_kind:     hidden_grid_dims
      - .offset:         264
        .size:           4
        .value_kind:     hidden_dynamic_lds_size
    .group_segment_fixed_size: 192
    .kernarg_segment_align: 8
    .kernarg_segment_size: 400
    .language:       OpenCL C
    .language_version:
      - 2
      - 0
    .max_flat_workgroup_size: 1024
    .name:           _ZN4vllm25paged_attention_v2_kernelI14__hip_bfloat16S1_Li80ELi32ELi128ELNS_18Fp8KVCacheDataTypeE0ELb1ELi512EEEvPfS3_PT_PKS4_PKT0_SA_ifPKiSC_iPKfiiiSE_SE_iiiii
    .private_segment_fixed_size: 0
    .sgpr_count:     44
    .sgpr_spill_count: 0
    .symbol:         _ZN4vllm25paged_attention_v2_kernelI14__hip_bfloat16S1_Li80ELi32ELi128ELNS_18Fp8KVCacheDataTypeE0ELb1ELi512EEEvPfS3_PT_PKS4_PKT0_SA_ifPKiSC_iPKfiiiSE_SE_iiiii.kd
    .uniform_work_group_size: 1
    .uses_dynamic_stack: false
    .vgpr_count:     178
    .vgpr_spill_count: 0
    .wavefront_size: 32
    .workgroup_processor_mode: 1
  - .args:
      - .actual_access:  write_only
        .address_space:  global
        .offset:         0
        .size:           8
        .value_kind:     global_buffer
      - .actual_access:  write_only
        .address_space:  global
        .offset:         8
        .size:           8
        .value_kind:     global_buffer
      - .actual_access:  write_only
        .address_space:  global
        .offset:         16
        .size:           8
        .value_kind:     global_buffer
      - .actual_access:  read_only
        .address_space:  global
        .offset:         24
        .size:           8
        .value_kind:     global_buffer
      - .actual_access:  read_only
        .address_space:  global
        .offset:         32
        .size:           8
        .value_kind:     global_buffer
      - .actual_access:  read_only
        .address_space:  global
        .offset:         40
        .size:           8
        .value_kind:     global_buffer
      - .offset:         48
        .size:           4
        .value_kind:     by_value
      - .offset:         52
        .size:           4
        .value_kind:     by_value
      - .actual_access:  read_only
        .address_space:  global
        .offset:         56
        .size:           8
        .value_kind:     global_buffer
      - .actual_access:  read_only
        .address_space:  global
        .offset:         64
        .size:           8
        .value_kind:     global_buffer
      - .offset:         72
        .size:           4
        .value_kind:     by_value
      - .actual_access:  read_only
        .address_space:  global
        .offset:         80
        .size:           8
        .value_kind:     global_buffer
      - .offset:         88
        .size:           4
        .value_kind:     by_value
      - .offset:         92
        .size:           4
        .value_kind:     by_value
      - .offset:         96
        .size:           4
        .value_kind:     by_value
      - .address_space:  global
        .offset:         104
        .size:           8
        .value_kind:     global_buffer
      - .address_space:  global
        .offset:         112
        .size:           8
        .value_kind:     global_buffer
      - .offset:         120
        .size:           4
        .value_kind:     by_value
      - .offset:         124
        .size:           4
        .value_kind:     by_value
      - .offset:         128
        .size:           4
        .value_kind:     by_value
      - .offset:         132
        .size:           4
        .value_kind:     by_value
      - .offset:         136
        .size:           4
        .value_kind:     by_value
      - .offset:         144
        .size:           4
        .value_kind:     hidden_block_count_x
      - .offset:         148
        .size:           4
        .value_kind:     hidden_block_count_y
      - .offset:         152
        .size:           4
        .value_kind:     hidden_block_count_z
      - .offset:         156
        .size:           2
        .value_kind:     hidden_group_size_x
      - .offset:         158
        .size:           2
        .value_kind:     hidden_group_size_y
      - .offset:         160
        .size:           2
        .value_kind:     hidden_group_size_z
      - .offset:         162
        .size:           2
        .value_kind:     hidden_remainder_x
      - .offset:         164
        .size:           2
        .value_kind:     hidden_remainder_y
      - .offset:         166
        .size:           2
        .value_kind:     hidden_remainder_z
      - .offset:         184
        .size:           8
        .value_kind:     hidden_global_offset_x
      - .offset:         192
        .size:           8
        .value_kind:     hidden_global_offset_y
      - .offset:         200
        .size:           8
        .value_kind:     hidden_global_offset_z
      - .offset:         208
        .size:           2
        .value_kind:     hidden_grid_dims
      - .offset:         264
        .size:           4
        .value_kind:     hidden_dynamic_lds_size
    .group_segment_fixed_size: 224
    .kernarg_segment_align: 8
    .kernarg_segment_size: 400
    .language:       OpenCL C
    .language_version:
      - 2
      - 0
    .max_flat_workgroup_size: 1024
    .name:           _ZN4vllm25paged_attention_v2_kernelI14__hip_bfloat16S1_Li96ELi32ELi128ELNS_18Fp8KVCacheDataTypeE0ELb1ELi512EEEvPfS3_PT_PKS4_PKT0_SA_ifPKiSC_iPKfiiiSE_SE_iiiii
    .private_segment_fixed_size: 0
    .sgpr_count:     44
    .sgpr_spill_count: 0
    .symbol:         _ZN4vllm25paged_attention_v2_kernelI14__hip_bfloat16S1_Li96ELi32ELi128ELNS_18Fp8KVCacheDataTypeE0ELb1ELi512EEEvPfS3_PT_PKS4_PKT0_SA_ifPKiSC_iPKfiiiSE_SE_iiiii.kd
    .uniform_work_group_size: 1
    .uses_dynamic_stack: false
    .vgpr_count:     173
    .vgpr_spill_count: 0
    .wavefront_size: 32
    .workgroup_processor_mode: 1
  - .args:
      - .actual_access:  write_only
        .address_space:  global
        .offset:         0
        .size:           8
        .value_kind:     global_buffer
      - .actual_access:  write_only
        .address_space:  global
        .offset:         8
        .size:           8
        .value_kind:     global_buffer
      - .actual_access:  write_only
        .address_space:  global
        .offset:         16
        .size:           8
        .value_kind:     global_buffer
      - .actual_access:  read_only
        .address_space:  global
        .offset:         24
        .size:           8
        .value_kind:     global_buffer
      - .actual_access:  read_only
        .address_space:  global
        .offset:         32
        .size:           8
        .value_kind:     global_buffer
      - .actual_access:  read_only
        .address_space:  global
        .offset:         40
        .size:           8
        .value_kind:     global_buffer
      - .offset:         48
        .size:           4
        .value_kind:     by_value
      - .offset:         52
        .size:           4
        .value_kind:     by_value
      - .actual_access:  read_only
        .address_space:  global
        .offset:         56
        .size:           8
        .value_kind:     global_buffer
      - .actual_access:  read_only
        .address_space:  global
        .offset:         64
        .size:           8
        .value_kind:     global_buffer
      - .offset:         72
        .size:           4
        .value_kind:     by_value
      - .actual_access:  read_only
        .address_space:  global
        .offset:         80
        .size:           8
        .value_kind:     global_buffer
      - .offset:         88
        .size:           4
        .value_kind:     by_value
      - .offset:         92
        .size:           4
        .value_kind:     by_value
      - .offset:         96
        .size:           4
        .value_kind:     by_value
      - .address_space:  global
        .offset:         104
        .size:           8
        .value_kind:     global_buffer
      - .address_space:  global
        .offset:         112
        .size:           8
        .value_kind:     global_buffer
      - .offset:         120
        .size:           4
        .value_kind:     by_value
      - .offset:         124
        .size:           4
        .value_kind:     by_value
      - .offset:         128
        .size:           4
        .value_kind:     by_value
      - .offset:         132
        .size:           4
        .value_kind:     by_value
      - .offset:         136
        .size:           4
        .value_kind:     by_value
      - .offset:         144
        .size:           4
        .value_kind:     hidden_block_count_x
      - .offset:         148
        .size:           4
        .value_kind:     hidden_block_count_y
      - .offset:         152
        .size:           4
        .value_kind:     hidden_block_count_z
      - .offset:         156
        .size:           2
        .value_kind:     hidden_group_size_x
      - .offset:         158
        .size:           2
        .value_kind:     hidden_group_size_y
      - .offset:         160
        .size:           2
        .value_kind:     hidden_group_size_z
      - .offset:         162
        .size:           2
        .value_kind:     hidden_remainder_x
      - .offset:         164
        .size:           2
        .value_kind:     hidden_remainder_y
      - .offset:         166
        .size:           2
        .value_kind:     hidden_remainder_z
      - .offset:         184
        .size:           8
        .value_kind:     hidden_global_offset_x
      - .offset:         192
        .size:           8
        .value_kind:     hidden_global_offset_y
      - .offset:         200
        .size:           8
        .value_kind:     hidden_global_offset_z
      - .offset:         208
        .size:           2
        .value_kind:     hidden_grid_dims
      - .offset:         264
        .size:           4
        .value_kind:     hidden_dynamic_lds_size
    .group_segment_fixed_size: 256
    .kernarg_segment_align: 8
    .kernarg_segment_size: 400
    .language:       OpenCL C
    .language_version:
      - 2
      - 0
    .max_flat_workgroup_size: 1024
    .name:           _ZN4vllm25paged_attention_v2_kernelI14__hip_bfloat16S1_Li112ELi32ELi128ELNS_18Fp8KVCacheDataTypeE0ELb1ELi512EEEvPfS3_PT_PKS4_PKT0_SA_ifPKiSC_iPKfiiiSE_SE_iiiii
    .private_segment_fixed_size: 0
    .sgpr_count:     44
    .sgpr_spill_count: 0
    .symbol:         _ZN4vllm25paged_attention_v2_kernelI14__hip_bfloat16S1_Li112ELi32ELi128ELNS_18Fp8KVCacheDataTypeE0ELb1ELi512EEEvPfS3_PT_PKS4_PKT0_SA_ifPKiSC_iPKfiiiSE_SE_iiiii.kd
    .uniform_work_group_size: 1
    .uses_dynamic_stack: false
    .vgpr_count:     192
    .vgpr_spill_count: 0
    .wavefront_size: 32
    .workgroup_processor_mode: 1
  - .args:
      - .actual_access:  write_only
        .address_space:  global
        .offset:         0
        .size:           8
        .value_kind:     global_buffer
      - .actual_access:  write_only
        .address_space:  global
        .offset:         8
        .size:           8
        .value_kind:     global_buffer
      - .actual_access:  write_only
        .address_space:  global
        .offset:         16
        .size:           8
        .value_kind:     global_buffer
      - .actual_access:  read_only
        .address_space:  global
        .offset:         24
        .size:           8
        .value_kind:     global_buffer
      - .actual_access:  read_only
        .address_space:  global
        .offset:         32
        .size:           8
        .value_kind:     global_buffer
      - .actual_access:  read_only
        .address_space:  global
        .offset:         40
        .size:           8
        .value_kind:     global_buffer
      - .offset:         48
        .size:           4
        .value_kind:     by_value
      - .offset:         52
        .size:           4
        .value_kind:     by_value
      - .actual_access:  read_only
        .address_space:  global
        .offset:         56
        .size:           8
        .value_kind:     global_buffer
      - .actual_access:  read_only
        .address_space:  global
        .offset:         64
        .size:           8
        .value_kind:     global_buffer
      - .offset:         72
        .size:           4
        .value_kind:     by_value
      - .actual_access:  read_only
        .address_space:  global
        .offset:         80
        .size:           8
        .value_kind:     global_buffer
      - .offset:         88
        .size:           4
        .value_kind:     by_value
      - .offset:         92
        .size:           4
        .value_kind:     by_value
      - .offset:         96
        .size:           4
        .value_kind:     by_value
      - .address_space:  global
        .offset:         104
        .size:           8
        .value_kind:     global_buffer
      - .address_space:  global
        .offset:         112
        .size:           8
        .value_kind:     global_buffer
      - .offset:         120
        .size:           4
        .value_kind:     by_value
      - .offset:         124
        .size:           4
        .value_kind:     by_value
      - .offset:         128
        .size:           4
        .value_kind:     by_value
      - .offset:         132
        .size:           4
        .value_kind:     by_value
      - .offset:         136
        .size:           4
        .value_kind:     by_value
      - .offset:         144
        .size:           4
        .value_kind:     hidden_block_count_x
      - .offset:         148
        .size:           4
        .value_kind:     hidden_block_count_y
      - .offset:         152
        .size:           4
        .value_kind:     hidden_block_count_z
      - .offset:         156
        .size:           2
        .value_kind:     hidden_group_size_x
      - .offset:         158
        .size:           2
        .value_kind:     hidden_group_size_y
      - .offset:         160
        .size:           2
        .value_kind:     hidden_group_size_z
      - .offset:         162
        .size:           2
        .value_kind:     hidden_remainder_x
      - .offset:         164
        .size:           2
        .value_kind:     hidden_remainder_y
      - .offset:         166
        .size:           2
        .value_kind:     hidden_remainder_z
      - .offset:         184
        .size:           8
        .value_kind:     hidden_global_offset_x
      - .offset:         192
        .size:           8
        .value_kind:     hidden_global_offset_y
      - .offset:         200
        .size:           8
        .value_kind:     hidden_global_offset_z
      - .offset:         208
        .size:           2
        .value_kind:     hidden_grid_dims
      - .offset:         264
        .size:           4
        .value_kind:     hidden_dynamic_lds_size
    .group_segment_fixed_size: 272
    .kernarg_segment_align: 8
    .kernarg_segment_size: 400
    .language:       OpenCL C
    .language_version:
      - 2
      - 0
    .max_flat_workgroup_size: 1024
    .name:           _ZN4vllm25paged_attention_v2_kernelI14__hip_bfloat16S1_Li120ELi32ELi128ELNS_18Fp8KVCacheDataTypeE0ELb1ELi512EEEvPfS3_PT_PKS4_PKT0_SA_ifPKiSC_iPKfiiiSE_SE_iiiii
    .private_segment_fixed_size: 48
    .sgpr_count:     44
    .sgpr_spill_count: 0
    .symbol:         _ZN4vllm25paged_attention_v2_kernelI14__hip_bfloat16S1_Li120ELi32ELi128ELNS_18Fp8KVCacheDataTypeE0ELb1ELi512EEEvPfS3_PT_PKS4_PKT0_SA_ifPKiSC_iPKfiiiSE_SE_iiiii.kd
    .uniform_work_group_size: 1
    .uses_dynamic_stack: false
    .vgpr_count:     192
    .vgpr_spill_count: 11
    .wavefront_size: 32
    .workgroup_processor_mode: 1
  - .args:
      - .actual_access:  write_only
        .address_space:  global
        .offset:         0
        .size:           8
        .value_kind:     global_buffer
      - .actual_access:  write_only
        .address_space:  global
        .offset:         8
        .size:           8
        .value_kind:     global_buffer
      - .actual_access:  write_only
        .address_space:  global
        .offset:         16
        .size:           8
        .value_kind:     global_buffer
      - .actual_access:  read_only
        .address_space:  global
        .offset:         24
        .size:           8
        .value_kind:     global_buffer
      - .actual_access:  read_only
        .address_space:  global
        .offset:         32
        .size:           8
        .value_kind:     global_buffer
      - .actual_access:  read_only
        .address_space:  global
        .offset:         40
        .size:           8
        .value_kind:     global_buffer
      - .offset:         48
        .size:           4
        .value_kind:     by_value
      - .offset:         52
        .size:           4
        .value_kind:     by_value
      - .actual_access:  read_only
        .address_space:  global
        .offset:         56
        .size:           8
        .value_kind:     global_buffer
      - .actual_access:  read_only
        .address_space:  global
        .offset:         64
        .size:           8
        .value_kind:     global_buffer
      - .offset:         72
        .size:           4
        .value_kind:     by_value
      - .actual_access:  read_only
        .address_space:  global
        .offset:         80
        .size:           8
        .value_kind:     global_buffer
      - .offset:         88
        .size:           4
        .value_kind:     by_value
      - .offset:         92
        .size:           4
        .value_kind:     by_value
      - .offset:         96
        .size:           4
        .value_kind:     by_value
      - .address_space:  global
        .offset:         104
        .size:           8
        .value_kind:     global_buffer
      - .address_space:  global
        .offset:         112
        .size:           8
        .value_kind:     global_buffer
      - .offset:         120
        .size:           4
        .value_kind:     by_value
      - .offset:         124
        .size:           4
        .value_kind:     by_value
      - .offset:         128
        .size:           4
        .value_kind:     by_value
      - .offset:         132
        .size:           4
        .value_kind:     by_value
      - .offset:         136
        .size:           4
        .value_kind:     by_value
      - .offset:         144
        .size:           4
        .value_kind:     hidden_block_count_x
      - .offset:         148
        .size:           4
        .value_kind:     hidden_block_count_y
      - .offset:         152
        .size:           4
        .value_kind:     hidden_block_count_z
      - .offset:         156
        .size:           2
        .value_kind:     hidden_group_size_x
      - .offset:         158
        .size:           2
        .value_kind:     hidden_group_size_y
      - .offset:         160
        .size:           2
        .value_kind:     hidden_group_size_z
      - .offset:         162
        .size:           2
        .value_kind:     hidden_remainder_x
      - .offset:         164
        .size:           2
        .value_kind:     hidden_remainder_y
      - .offset:         166
        .size:           2
        .value_kind:     hidden_remainder_z
      - .offset:         184
        .size:           8
        .value_kind:     hidden_global_offset_x
      - .offset:         192
        .size:           8
        .value_kind:     hidden_global_offset_y
      - .offset:         200
        .size:           8
        .value_kind:     hidden_global_offset_z
      - .offset:         208
        .size:           2
        .value_kind:     hidden_grid_dims
      - .offset:         264
        .size:           4
        .value_kind:     hidden_dynamic_lds_size
    .group_segment_fixed_size: 288
    .kernarg_segment_align: 8
    .kernarg_segment_size: 400
    .language:       OpenCL C
    .language_version:
      - 2
      - 0
    .max_flat_workgroup_size: 1024
    .name:           _ZN4vllm25paged_attention_v2_kernelI14__hip_bfloat16S1_Li128ELi32ELi128ELNS_18Fp8KVCacheDataTypeE0ELb1ELi512EEEvPfS3_PT_PKS4_PKT0_SA_ifPKiSC_iPKfiiiSE_SE_iiiii
    .private_segment_fixed_size: 72
    .sgpr_count:     44
    .sgpr_spill_count: 0
    .symbol:         _ZN4vllm25paged_attention_v2_kernelI14__hip_bfloat16S1_Li128ELi32ELi128ELNS_18Fp8KVCacheDataTypeE0ELb1ELi512EEEvPfS3_PT_PKS4_PKT0_SA_ifPKiSC_iPKfiiiSE_SE_iiiii.kd
    .uniform_work_group_size: 1
    .uses_dynamic_stack: false
    .vgpr_count:     192
    .vgpr_spill_count: 17
    .wavefront_size: 32
    .workgroup_processor_mode: 1
  - .args:
      - .actual_access:  write_only
        .address_space:  global
        .offset:         0
        .size:           8
        .value_kind:     global_buffer
      - .actual_access:  write_only
        .address_space:  global
        .offset:         8
        .size:           8
        .value_kind:     global_buffer
      - .actual_access:  write_only
        .address_space:  global
        .offset:         16
        .size:           8
        .value_kind:     global_buffer
      - .actual_access:  read_only
        .address_space:  global
        .offset:         24
        .size:           8
        .value_kind:     global_buffer
      - .actual_access:  read_only
        .address_space:  global
        .offset:         32
        .size:           8
        .value_kind:     global_buffer
      - .actual_access:  read_only
        .address_space:  global
        .offset:         40
        .size:           8
        .value_kind:     global_buffer
      - .offset:         48
        .size:           4
        .value_kind:     by_value
      - .offset:         52
        .size:           4
        .value_kind:     by_value
      - .actual_access:  read_only
        .address_space:  global
        .offset:         56
        .size:           8
        .value_kind:     global_buffer
      - .actual_access:  read_only
        .address_space:  global
        .offset:         64
        .size:           8
        .value_kind:     global_buffer
      - .offset:         72
        .size:           4
        .value_kind:     by_value
      - .actual_access:  read_only
        .address_space:  global
        .offset:         80
        .size:           8
        .value_kind:     global_buffer
      - .offset:         88
        .size:           4
        .value_kind:     by_value
      - .offset:         92
        .size:           4
        .value_kind:     by_value
      - .offset:         96
        .size:           4
        .value_kind:     by_value
      - .address_space:  global
        .offset:         104
        .size:           8
        .value_kind:     global_buffer
      - .address_space:  global
        .offset:         112
        .size:           8
        .value_kind:     global_buffer
      - .offset:         120
        .size:           4
        .value_kind:     by_value
      - .offset:         124
        .size:           4
        .value_kind:     by_value
      - .offset:         128
        .size:           4
        .value_kind:     by_value
      - .offset:         132
        .size:           4
        .value_kind:     by_value
      - .offset:         136
        .size:           4
        .value_kind:     by_value
      - .offset:         144
        .size:           4
        .value_kind:     hidden_block_count_x
      - .offset:         148
        .size:           4
        .value_kind:     hidden_block_count_y
      - .offset:         152
        .size:           4
        .value_kind:     hidden_block_count_z
      - .offset:         156
        .size:           2
        .value_kind:     hidden_group_size_x
      - .offset:         158
        .size:           2
        .value_kind:     hidden_group_size_y
      - .offset:         160
        .size:           2
        .value_kind:     hidden_group_size_z
      - .offset:         162
        .size:           2
        .value_kind:     hidden_remainder_x
      - .offset:         164
        .size:           2
        .value_kind:     hidden_remainder_y
      - .offset:         166
        .size:           2
        .value_kind:     hidden_remainder_z
      - .offset:         184
        .size:           8
        .value_kind:     hidden_global_offset_x
      - .offset:         192
        .size:           8
        .value_kind:     hidden_global_offset_y
      - .offset:         200
        .size:           8
        .value_kind:     hidden_global_offset_z
      - .offset:         208
        .size:           2
        .value_kind:     hidden_grid_dims
      - .offset:         264
        .size:           4
        .value_kind:     hidden_dynamic_lds_size
    .group_segment_fixed_size: 416
    .kernarg_segment_align: 8
    .kernarg_segment_size: 400
    .language:       OpenCL C
    .language_version:
      - 2
      - 0
    .max_flat_workgroup_size: 1024
    .name:           _ZN4vllm25paged_attention_v2_kernelI14__hip_bfloat16S1_Li192ELi32ELi128ELNS_18Fp8KVCacheDataTypeE0ELb1ELi512EEEvPfS3_PT_PKS4_PKT0_SA_ifPKiSC_iPKfiiiSE_SE_iiiii
    .private_segment_fixed_size: 336
    .sgpr_count:     44
    .sgpr_spill_count: 0
    .symbol:         _ZN4vllm25paged_attention_v2_kernelI14__hip_bfloat16S1_Li192ELi32ELi128ELNS_18Fp8KVCacheDataTypeE0ELb1ELi512EEEvPfS3_PT_PKS4_PKT0_SA_ifPKiSC_iPKfiiiSE_SE_iiiii.kd
    .uniform_work_group_size: 1
    .uses_dynamic_stack: false
    .vgpr_count:     192
    .vgpr_spill_count: 83
    .wavefront_size: 32
    .workgroup_processor_mode: 1
  - .args:
      - .actual_access:  write_only
        .address_space:  global
        .offset:         0
        .size:           8
        .value_kind:     global_buffer
      - .actual_access:  write_only
        .address_space:  global
        .offset:         8
        .size:           8
        .value_kind:     global_buffer
      - .actual_access:  write_only
        .address_space:  global
        .offset:         16
        .size:           8
        .value_kind:     global_buffer
      - .actual_access:  read_only
        .address_space:  global
        .offset:         24
        .size:           8
        .value_kind:     global_buffer
      - .actual_access:  read_only
        .address_space:  global
        .offset:         32
        .size:           8
        .value_kind:     global_buffer
      - .actual_access:  read_only
        .address_space:  global
        .offset:         40
        .size:           8
        .value_kind:     global_buffer
      - .offset:         48
        .size:           4
        .value_kind:     by_value
      - .offset:         52
        .size:           4
        .value_kind:     by_value
      - .actual_access:  read_only
        .address_space:  global
        .offset:         56
        .size:           8
        .value_kind:     global_buffer
      - .actual_access:  read_only
        .address_space:  global
        .offset:         64
        .size:           8
        .value_kind:     global_buffer
      - .offset:         72
        .size:           4
        .value_kind:     by_value
      - .actual_access:  read_only
        .address_space:  global
        .offset:         80
        .size:           8
        .value_kind:     global_buffer
      - .offset:         88
        .size:           4
        .value_kind:     by_value
      - .offset:         92
        .size:           4
        .value_kind:     by_value
      - .offset:         96
        .size:           4
        .value_kind:     by_value
      - .address_space:  global
        .offset:         104
        .size:           8
        .value_kind:     global_buffer
      - .address_space:  global
        .offset:         112
        .size:           8
        .value_kind:     global_buffer
      - .offset:         120
        .size:           4
        .value_kind:     by_value
      - .offset:         124
        .size:           4
        .value_kind:     by_value
      - .offset:         128
        .size:           4
        .value_kind:     by_value
      - .offset:         132
        .size:           4
        .value_kind:     by_value
      - .offset:         136
        .size:           4
        .value_kind:     by_value
      - .offset:         144
        .size:           4
        .value_kind:     hidden_block_count_x
      - .offset:         148
        .size:           4
        .value_kind:     hidden_block_count_y
      - .offset:         152
        .size:           4
        .value_kind:     hidden_block_count_z
      - .offset:         156
        .size:           2
        .value_kind:     hidden_group_size_x
      - .offset:         158
        .size:           2
        .value_kind:     hidden_group_size_y
      - .offset:         160
        .size:           2
        .value_kind:     hidden_group_size_z
      - .offset:         162
        .size:           2
        .value_kind:     hidden_remainder_x
      - .offset:         164
        .size:           2
        .value_kind:     hidden_remainder_y
      - .offset:         166
        .size:           2
        .value_kind:     hidden_remainder_z
      - .offset:         184
        .size:           8
        .value_kind:     hidden_global_offset_x
      - .offset:         192
        .size:           8
        .value_kind:     hidden_global_offset_y
      - .offset:         200
        .size:           8
        .value_kind:     hidden_global_offset_z
      - .offset:         208
        .size:           2
        .value_kind:     hidden_grid_dims
      - .offset:         264
        .size:           4
        .value_kind:     hidden_dynamic_lds_size
    .group_segment_fixed_size: 544
    .kernarg_segment_align: 8
    .kernarg_segment_size: 400
    .language:       OpenCL C
    .language_version:
      - 2
      - 0
    .max_flat_workgroup_size: 1024
    .name:           _ZN4vllm25paged_attention_v2_kernelI14__hip_bfloat16S1_Li256ELi32ELi128ELNS_18Fp8KVCacheDataTypeE0ELb1ELi512EEEvPfS3_PT_PKS4_PKT0_SA_ifPKiSC_iPKfiiiSE_SE_iiiii
    .private_segment_fixed_size: 588
    .sgpr_count:     44
    .sgpr_spill_count: 0
    .symbol:         _ZN4vllm25paged_attention_v2_kernelI14__hip_bfloat16S1_Li256ELi32ELi128ELNS_18Fp8KVCacheDataTypeE0ELb1ELi512EEEvPfS3_PT_PKS4_PKT0_SA_ifPKiSC_iPKfiiiSE_SE_iiiii.kd
    .uniform_work_group_size: 1
    .uses_dynamic_stack: false
    .vgpr_count:     192
    .vgpr_spill_count: 146
    .wavefront_size: 32
    .workgroup_processor_mode: 1
  - .args:
      - .actual_access:  write_only
        .address_space:  global
        .offset:         0
        .size:           8
        .value_kind:     global_buffer
      - .actual_access:  write_only
        .address_space:  global
        .offset:         8
        .size:           8
        .value_kind:     global_buffer
      - .actual_access:  write_only
        .address_space:  global
        .offset:         16
        .size:           8
        .value_kind:     global_buffer
      - .actual_access:  read_only
        .address_space:  global
        .offset:         24
        .size:           8
        .value_kind:     global_buffer
      - .actual_access:  read_only
        .address_space:  global
        .offset:         32
        .size:           8
        .value_kind:     global_buffer
      - .actual_access:  read_only
        .address_space:  global
        .offset:         40
        .size:           8
        .value_kind:     global_buffer
      - .offset:         48
        .size:           4
        .value_kind:     by_value
      - .offset:         52
        .size:           4
        .value_kind:     by_value
      - .actual_access:  read_only
        .address_space:  global
        .offset:         56
        .size:           8
        .value_kind:     global_buffer
      - .actual_access:  read_only
        .address_space:  global
        .offset:         64
        .size:           8
        .value_kind:     global_buffer
      - .offset:         72
        .size:           4
        .value_kind:     by_value
      - .actual_access:  read_only
        .address_space:  global
        .offset:         80
        .size:           8
        .value_kind:     global_buffer
      - .offset:         88
        .size:           4
        .value_kind:     by_value
      - .offset:         92
        .size:           4
        .value_kind:     by_value
      - .offset:         96
        .size:           4
        .value_kind:     by_value
      - .address_space:  global
        .offset:         104
        .size:           8
        .value_kind:     global_buffer
      - .address_space:  global
        .offset:         112
        .size:           8
        .value_kind:     global_buffer
      - .offset:         120
        .size:           4
        .value_kind:     by_value
      - .offset:         124
        .size:           4
        .value_kind:     by_value
      - .offset:         128
        .size:           4
        .value_kind:     by_value
      - .offset:         132
        .size:           4
        .value_kind:     by_value
      - .offset:         136
        .size:           4
        .value_kind:     by_value
      - .offset:         144
        .size:           4
        .value_kind:     hidden_block_count_x
      - .offset:         148
        .size:           4
        .value_kind:     hidden_block_count_y
      - .offset:         152
        .size:           4
        .value_kind:     hidden_block_count_z
      - .offset:         156
        .size:           2
        .value_kind:     hidden_group_size_x
      - .offset:         158
        .size:           2
        .value_kind:     hidden_group_size_y
      - .offset:         160
        .size:           2
        .value_kind:     hidden_group_size_z
      - .offset:         162
        .size:           2
        .value_kind:     hidden_remainder_x
      - .offset:         164
        .size:           2
        .value_kind:     hidden_remainder_y
      - .offset:         166
        .size:           2
        .value_kind:     hidden_remainder_z
      - .offset:         184
        .size:           8
        .value_kind:     hidden_global_offset_x
      - .offset:         192
        .size:           8
        .value_kind:     hidden_global_offset_y
      - .offset:         200
        .size:           8
        .value_kind:     hidden_global_offset_z
      - .offset:         208
        .size:           2
        .value_kind:     hidden_grid_dims
      - .offset:         264
        .size:           4
        .value_kind:     hidden_dynamic_lds_size
    .group_segment_fixed_size: 96
    .kernarg_segment_align: 8
    .kernarg_segment_size: 400
    .language:       OpenCL C
    .language_version:
      - 2
      - 0
    .max_flat_workgroup_size: 1024
    .name:           _ZN4vllm25paged_attention_v2_kernelI14__hip_bfloat16S1_Li32ELi32ELi128ELNS_18Fp8KVCacheDataTypeE0ELb0ELi512EEEvPfS3_PT_PKS4_PKT0_SA_ifPKiSC_iPKfiiiSE_SE_iiiii
    .private_segment_fixed_size: 0
    .sgpr_count:     34
    .sgpr_spill_count: 0
    .symbol:         _ZN4vllm25paged_attention_v2_kernelI14__hip_bfloat16S1_Li32ELi32ELi128ELNS_18Fp8KVCacheDataTypeE0ELb0ELi512EEEvPfS3_PT_PKS4_PKT0_SA_ifPKiSC_iPKfiiiSE_SE_iiiii.kd
    .uniform_work_group_size: 1
    .uses_dynamic_stack: false
    .vgpr_count:     82
    .vgpr_spill_count: 0
    .wavefront_size: 32
    .workgroup_processor_mode: 1
  - .args:
      - .actual_access:  write_only
        .address_space:  global
        .offset:         0
        .size:           8
        .value_kind:     global_buffer
      - .actual_access:  write_only
        .address_space:  global
        .offset:         8
        .size:           8
        .value_kind:     global_buffer
      - .actual_access:  write_only
        .address_space:  global
        .offset:         16
        .size:           8
        .value_kind:     global_buffer
      - .actual_access:  read_only
        .address_space:  global
        .offset:         24
        .size:           8
        .value_kind:     global_buffer
      - .actual_access:  read_only
        .address_space:  global
        .offset:         32
        .size:           8
        .value_kind:     global_buffer
      - .actual_access:  read_only
        .address_space:  global
        .offset:         40
        .size:           8
        .value_kind:     global_buffer
      - .offset:         48
        .size:           4
        .value_kind:     by_value
      - .offset:         52
        .size:           4
        .value_kind:     by_value
      - .actual_access:  read_only
        .address_space:  global
        .offset:         56
        .size:           8
        .value_kind:     global_buffer
      - .actual_access:  read_only
        .address_space:  global
        .offset:         64
        .size:           8
        .value_kind:     global_buffer
      - .offset:         72
        .size:           4
        .value_kind:     by_value
      - .actual_access:  read_only
        .address_space:  global
        .offset:         80
        .size:           8
        .value_kind:     global_buffer
      - .offset:         88
        .size:           4
        .value_kind:     by_value
      - .offset:         92
        .size:           4
        .value_kind:     by_value
      - .offset:         96
        .size:           4
        .value_kind:     by_value
      - .address_space:  global
        .offset:         104
        .size:           8
        .value_kind:     global_buffer
      - .address_space:  global
        .offset:         112
        .size:           8
        .value_kind:     global_buffer
      - .offset:         120
        .size:           4
        .value_kind:     by_value
      - .offset:         124
        .size:           4
        .value_kind:     by_value
      - .offset:         128
        .size:           4
        .value_kind:     by_value
      - .offset:         132
        .size:           4
        .value_kind:     by_value
      - .offset:         136
        .size:           4
        .value_kind:     by_value
      - .offset:         144
        .size:           4
        .value_kind:     hidden_block_count_x
      - .offset:         148
        .size:           4
        .value_kind:     hidden_block_count_y
      - .offset:         152
        .size:           4
        .value_kind:     hidden_block_count_z
      - .offset:         156
        .size:           2
        .value_kind:     hidden_group_size_x
      - .offset:         158
        .size:           2
        .value_kind:     hidden_group_size_y
      - .offset:         160
        .size:           2
        .value_kind:     hidden_group_size_z
      - .offset:         162
        .size:           2
        .value_kind:     hidden_remainder_x
      - .offset:         164
        .size:           2
        .value_kind:     hidden_remainder_y
      - .offset:         166
        .size:           2
        .value_kind:     hidden_remainder_z
      - .offset:         184
        .size:           8
        .value_kind:     hidden_global_offset_x
      - .offset:         192
        .size:           8
        .value_kind:     hidden_global_offset_y
      - .offset:         200
        .size:           8
        .value_kind:     hidden_global_offset_z
      - .offset:         208
        .size:           2
        .value_kind:     hidden_grid_dims
      - .offset:         264
        .size:           4
        .value_kind:     hidden_dynamic_lds_size
    .group_segment_fixed_size: 160
    .kernarg_segment_align: 8
    .kernarg_segment_size: 400
    .language:       OpenCL C
    .language_version:
      - 2
      - 0
    .max_flat_workgroup_size: 1024
    .name:           _ZN4vllm25paged_attention_v2_kernelI14__hip_bfloat16S1_Li64ELi32ELi128ELNS_18Fp8KVCacheDataTypeE0ELb0ELi512EEEvPfS3_PT_PKS4_PKT0_SA_ifPKiSC_iPKfiiiSE_SE_iiiii
    .private_segment_fixed_size: 0
    .sgpr_count:     34
    .sgpr_spill_count: 0
    .symbol:         _ZN4vllm25paged_attention_v2_kernelI14__hip_bfloat16S1_Li64ELi32ELi128ELNS_18Fp8KVCacheDataTypeE0ELb0ELi512EEEvPfS3_PT_PKS4_PKT0_SA_ifPKiSC_iPKfiiiSE_SE_iiiii.kd
    .uniform_work_group_size: 1
    .uses_dynamic_stack: false
    .vgpr_count:     146
    .vgpr_spill_count: 0
    .wavefront_size: 32
    .workgroup_processor_mode: 1
  - .args:
      - .actual_access:  write_only
        .address_space:  global
        .offset:         0
        .size:           8
        .value_kind:     global_buffer
      - .actual_access:  write_only
        .address_space:  global
        .offset:         8
        .size:           8
        .value_kind:     global_buffer
      - .actual_access:  write_only
        .address_space:  global
        .offset:         16
        .size:           8
        .value_kind:     global_buffer
      - .actual_access:  read_only
        .address_space:  global
        .offset:         24
        .size:           8
        .value_kind:     global_buffer
      - .actual_access:  read_only
        .address_space:  global
        .offset:         32
        .size:           8
        .value_kind:     global_buffer
      - .actual_access:  read_only
        .address_space:  global
        .offset:         40
        .size:           8
        .value_kind:     global_buffer
      - .offset:         48
        .size:           4
        .value_kind:     by_value
      - .offset:         52
        .size:           4
        .value_kind:     by_value
      - .actual_access:  read_only
        .address_space:  global
        .offset:         56
        .size:           8
        .value_kind:     global_buffer
      - .actual_access:  read_only
        .address_space:  global
        .offset:         64
        .size:           8
        .value_kind:     global_buffer
      - .offset:         72
        .size:           4
        .value_kind:     by_value
      - .actual_access:  read_only
        .address_space:  global
        .offset:         80
        .size:           8
        .value_kind:     global_buffer
      - .offset:         88
        .size:           4
        .value_kind:     by_value
      - .offset:         92
        .size:           4
        .value_kind:     by_value
      - .offset:         96
        .size:           4
        .value_kind:     by_value
      - .address_space:  global
        .offset:         104
        .size:           8
        .value_kind:     global_buffer
      - .address_space:  global
        .offset:         112
        .size:           8
        .value_kind:     global_buffer
      - .offset:         120
        .size:           4
        .value_kind:     by_value
      - .offset:         124
        .size:           4
        .value_kind:     by_value
      - .offset:         128
        .size:           4
        .value_kind:     by_value
      - .offset:         132
        .size:           4
        .value_kind:     by_value
      - .offset:         136
        .size:           4
        .value_kind:     by_value
      - .offset:         144
        .size:           4
        .value_kind:     hidden_block_count_x
      - .offset:         148
        .size:           4
        .value_kind:     hidden_block_count_y
      - .offset:         152
        .size:           4
        .value_kind:     hidden_block_count_z
      - .offset:         156
        .size:           2
        .value_kind:     hidden_group_size_x
      - .offset:         158
        .size:           2
        .value_kind:     hidden_group_size_y
      - .offset:         160
        .size:           2
        .value_kind:     hidden_group_size_z
      - .offset:         162
        .size:           2
        .value_kind:     hidden_remainder_x
      - .offset:         164
        .size:           2
        .value_kind:     hidden_remainder_y
      - .offset:         166
        .size:           2
        .value_kind:     hidden_remainder_z
      - .offset:         184
        .size:           8
        .value_kind:     hidden_global_offset_x
      - .offset:         192
        .size:           8
        .value_kind:     hidden_global_offset_y
      - .offset:         200
        .size:           8
        .value_kind:     hidden_global_offset_z
      - .offset:         208
        .size:           2
        .value_kind:     hidden_grid_dims
      - .offset:         264
        .size:           4
        .value_kind:     hidden_dynamic_lds_size
    .group_segment_fixed_size: 192
    .kernarg_segment_align: 8
    .kernarg_segment_size: 400
    .language:       OpenCL C
    .language_version:
      - 2
      - 0
    .max_flat_workgroup_size: 1024
    .name:           _ZN4vllm25paged_attention_v2_kernelI14__hip_bfloat16S1_Li80ELi32ELi128ELNS_18Fp8KVCacheDataTypeE0ELb0ELi512EEEvPfS3_PT_PKS4_PKT0_SA_ifPKiSC_iPKfiiiSE_SE_iiiii
    .private_segment_fixed_size: 0
    .sgpr_count:     34
    .sgpr_spill_count: 0
    .symbol:         _ZN4vllm25paged_attention_v2_kernelI14__hip_bfloat16S1_Li80ELi32ELi128ELNS_18Fp8KVCacheDataTypeE0ELb0ELi512EEEvPfS3_PT_PKS4_PKT0_SA_ifPKiSC_iPKfiiiSE_SE_iiiii.kd
    .uniform_work_group_size: 1
    .uses_dynamic_stack: false
    .vgpr_count:     178
    .vgpr_spill_count: 0
    .wavefront_size: 32
    .workgroup_processor_mode: 1
  - .args:
      - .actual_access:  write_only
        .address_space:  global
        .offset:         0
        .size:           8
        .value_kind:     global_buffer
      - .actual_access:  write_only
        .address_space:  global
        .offset:         8
        .size:           8
        .value_kind:     global_buffer
      - .actual_access:  write_only
        .address_space:  global
        .offset:         16
        .size:           8
        .value_kind:     global_buffer
      - .actual_access:  read_only
        .address_space:  global
        .offset:         24
        .size:           8
        .value_kind:     global_buffer
      - .actual_access:  read_only
        .address_space:  global
        .offset:         32
        .size:           8
        .value_kind:     global_buffer
      - .actual_access:  read_only
        .address_space:  global
        .offset:         40
        .size:           8
        .value_kind:     global_buffer
      - .offset:         48
        .size:           4
        .value_kind:     by_value
      - .offset:         52
        .size:           4
        .value_kind:     by_value
      - .actual_access:  read_only
        .address_space:  global
        .offset:         56
        .size:           8
        .value_kind:     global_buffer
      - .actual_access:  read_only
        .address_space:  global
        .offset:         64
        .size:           8
        .value_kind:     global_buffer
      - .offset:         72
        .size:           4
        .value_kind:     by_value
      - .actual_access:  read_only
        .address_space:  global
        .offset:         80
        .size:           8
        .value_kind:     global_buffer
      - .offset:         88
        .size:           4
        .value_kind:     by_value
      - .offset:         92
        .size:           4
        .value_kind:     by_value
      - .offset:         96
        .size:           4
        .value_kind:     by_value
      - .address_space:  global
        .offset:         104
        .size:           8
        .value_kind:     global_buffer
      - .address_space:  global
        .offset:         112
        .size:           8
        .value_kind:     global_buffer
      - .offset:         120
        .size:           4
        .value_kind:     by_value
      - .offset:         124
        .size:           4
        .value_kind:     by_value
      - .offset:         128
        .size:           4
        .value_kind:     by_value
      - .offset:         132
        .size:           4
        .value_kind:     by_value
      - .offset:         136
        .size:           4
        .value_kind:     by_value
      - .offset:         144
        .size:           4
        .value_kind:     hidden_block_count_x
      - .offset:         148
        .size:           4
        .value_kind:     hidden_block_count_y
      - .offset:         152
        .size:           4
        .value_kind:     hidden_block_count_z
      - .offset:         156
        .size:           2
        .value_kind:     hidden_group_size_x
      - .offset:         158
        .size:           2
        .value_kind:     hidden_group_size_y
      - .offset:         160
        .size:           2
        .value_kind:     hidden_group_size_z
      - .offset:         162
        .size:           2
        .value_kind:     hidden_remainder_x
      - .offset:         164
        .size:           2
        .value_kind:     hidden_remainder_y
      - .offset:         166
        .size:           2
        .value_kind:     hidden_remainder_z
      - .offset:         184
        .size:           8
        .value_kind:     hidden_global_offset_x
      - .offset:         192
        .size:           8
        .value_kind:     hidden_global_offset_y
      - .offset:         200
        .size:           8
        .value_kind:     hidden_global_offset_z
      - .offset:         208
        .size:           2
        .value_kind:     hidden_grid_dims
      - .offset:         264
        .size:           4
        .value_kind:     hidden_dynamic_lds_size
    .group_segment_fixed_size: 224
    .kernarg_segment_align: 8
    .kernarg_segment_size: 400
    .language:       OpenCL C
    .language_version:
      - 2
      - 0
    .max_flat_workgroup_size: 1024
    .name:           _ZN4vllm25paged_attention_v2_kernelI14__hip_bfloat16S1_Li96ELi32ELi128ELNS_18Fp8KVCacheDataTypeE0ELb0ELi512EEEvPfS3_PT_PKS4_PKT0_SA_ifPKiSC_iPKfiiiSE_SE_iiiii
    .private_segment_fixed_size: 0
    .sgpr_count:     34
    .sgpr_spill_count: 0
    .symbol:         _ZN4vllm25paged_attention_v2_kernelI14__hip_bfloat16S1_Li96ELi32ELi128ELNS_18Fp8KVCacheDataTypeE0ELb0ELi512EEEvPfS3_PT_PKS4_PKT0_SA_ifPKiSC_iPKfiiiSE_SE_iiiii.kd
    .uniform_work_group_size: 1
    .uses_dynamic_stack: false
    .vgpr_count:     171
    .vgpr_spill_count: 0
    .wavefront_size: 32
    .workgroup_processor_mode: 1
  - .args:
      - .actual_access:  write_only
        .address_space:  global
        .offset:         0
        .size:           8
        .value_kind:     global_buffer
      - .actual_access:  write_only
        .address_space:  global
        .offset:         8
        .size:           8
        .value_kind:     global_buffer
      - .actual_access:  write_only
        .address_space:  global
        .offset:         16
        .size:           8
        .value_kind:     global_buffer
      - .actual_access:  read_only
        .address_space:  global
        .offset:         24
        .size:           8
        .value_kind:     global_buffer
      - .actual_access:  read_only
        .address_space:  global
        .offset:         32
        .size:           8
        .value_kind:     global_buffer
      - .actual_access:  read_only
        .address_space:  global
        .offset:         40
        .size:           8
        .value_kind:     global_buffer
      - .offset:         48
        .size:           4
        .value_kind:     by_value
      - .offset:         52
        .size:           4
        .value_kind:     by_value
      - .actual_access:  read_only
        .address_space:  global
        .offset:         56
        .size:           8
        .value_kind:     global_buffer
      - .actual_access:  read_only
        .address_space:  global
        .offset:         64
        .size:           8
        .value_kind:     global_buffer
      - .offset:         72
        .size:           4
        .value_kind:     by_value
      - .actual_access:  read_only
        .address_space:  global
        .offset:         80
        .size:           8
        .value_kind:     global_buffer
      - .offset:         88
        .size:           4
        .value_kind:     by_value
      - .offset:         92
        .size:           4
        .value_kind:     by_value
      - .offset:         96
        .size:           4
        .value_kind:     by_value
      - .address_space:  global
        .offset:         104
        .size:           8
        .value_kind:     global_buffer
      - .address_space:  global
        .offset:         112
        .size:           8
        .value_kind:     global_buffer
      - .offset:         120
        .size:           4
        .value_kind:     by_value
      - .offset:         124
        .size:           4
        .value_kind:     by_value
      - .offset:         128
        .size:           4
        .value_kind:     by_value
      - .offset:         132
        .size:           4
        .value_kind:     by_value
      - .offset:         136
        .size:           4
        .value_kind:     by_value
      - .offset:         144
        .size:           4
        .value_kind:     hidden_block_count_x
      - .offset:         148
        .size:           4
        .value_kind:     hidden_block_count_y
      - .offset:         152
        .size:           4
        .value_kind:     hidden_block_count_z
      - .offset:         156
        .size:           2
        .value_kind:     hidden_group_size_x
      - .offset:         158
        .size:           2
        .value_kind:     hidden_group_size_y
      - .offset:         160
        .size:           2
        .value_kind:     hidden_group_size_z
      - .offset:         162
        .size:           2
        .value_kind:     hidden_remainder_x
      - .offset:         164
        .size:           2
        .value_kind:     hidden_remainder_y
      - .offset:         166
        .size:           2
        .value_kind:     hidden_remainder_z
      - .offset:         184
        .size:           8
        .value_kind:     hidden_global_offset_x
      - .offset:         192
        .size:           8
        .value_kind:     hidden_global_offset_y
      - .offset:         200
        .size:           8
        .value_kind:     hidden_global_offset_z
      - .offset:         208
        .size:           2
        .value_kind:     hidden_grid_dims
      - .offset:         264
        .size:           4
        .value_kind:     hidden_dynamic_lds_size
    .group_segment_fixed_size: 256
    .kernarg_segment_align: 8
    .kernarg_segment_size: 400
    .language:       OpenCL C
    .language_version:
      - 2
      - 0
    .max_flat_workgroup_size: 1024
    .name:           _ZN4vllm25paged_attention_v2_kernelI14__hip_bfloat16S1_Li112ELi32ELi128ELNS_18Fp8KVCacheDataTypeE0ELb0ELi512EEEvPfS3_PT_PKS4_PKT0_SA_ifPKiSC_iPKfiiiSE_SE_iiiii
    .private_segment_fixed_size: 0
    .sgpr_count:     34
    .sgpr_spill_count: 0
    .symbol:         _ZN4vllm25paged_attention_v2_kernelI14__hip_bfloat16S1_Li112ELi32ELi128ELNS_18Fp8KVCacheDataTypeE0ELb0ELi512EEEvPfS3_PT_PKS4_PKT0_SA_ifPKiSC_iPKfiiiSE_SE_iiiii.kd
    .uniform_work_group_size: 1
    .uses_dynamic_stack: false
    .vgpr_count:     192
    .vgpr_spill_count: 0
    .wavefront_size: 32
    .workgroup_processor_mode: 1
  - .args:
      - .actual_access:  write_only
        .address_space:  global
        .offset:         0
        .size:           8
        .value_kind:     global_buffer
      - .actual_access:  write_only
        .address_space:  global
        .offset:         8
        .size:           8
        .value_kind:     global_buffer
      - .actual_access:  write_only
        .address_space:  global
        .offset:         16
        .size:           8
        .value_kind:     global_buffer
      - .actual_access:  read_only
        .address_space:  global
        .offset:         24
        .size:           8
        .value_kind:     global_buffer
      - .actual_access:  read_only
        .address_space:  global
        .offset:         32
        .size:           8
        .value_kind:     global_buffer
      - .actual_access:  read_only
        .address_space:  global
        .offset:         40
        .size:           8
        .value_kind:     global_buffer
      - .offset:         48
        .size:           4
        .value_kind:     by_value
      - .offset:         52
        .size:           4
        .value_kind:     by_value
      - .actual_access:  read_only
        .address_space:  global
        .offset:         56
        .size:           8
        .value_kind:     global_buffer
      - .actual_access:  read_only
        .address_space:  global
        .offset:         64
        .size:           8
        .value_kind:     global_buffer
      - .offset:         72
        .size:           4
        .value_kind:     by_value
      - .actual_access:  read_only
        .address_space:  global
        .offset:         80
        .size:           8
        .value_kind:     global_buffer
      - .offset:         88
        .size:           4
        .value_kind:     by_value
      - .offset:         92
        .size:           4
        .value_kind:     by_value
      - .offset:         96
        .size:           4
        .value_kind:     by_value
      - .address_space:  global
        .offset:         104
        .size:           8
        .value_kind:     global_buffer
      - .address_space:  global
        .offset:         112
        .size:           8
        .value_kind:     global_buffer
      - .offset:         120
        .size:           4
        .value_kind:     by_value
      - .offset:         124
        .size:           4
        .value_kind:     by_value
      - .offset:         128
        .size:           4
        .value_kind:     by_value
      - .offset:         132
        .size:           4
        .value_kind:     by_value
      - .offset:         136
        .size:           4
        .value_kind:     by_value
      - .offset:         144
        .size:           4
        .value_kind:     hidden_block_count_x
      - .offset:         148
        .size:           4
        .value_kind:     hidden_block_count_y
      - .offset:         152
        .size:           4
        .value_kind:     hidden_block_count_z
      - .offset:         156
        .size:           2
        .value_kind:     hidden_group_size_x
      - .offset:         158
        .size:           2
        .value_kind:     hidden_group_size_y
      - .offset:         160
        .size:           2
        .value_kind:     hidden_group_size_z
      - .offset:         162
        .size:           2
        .value_kind:     hidden_remainder_x
      - .offset:         164
        .size:           2
        .value_kind:     hidden_remainder_y
      - .offset:         166
        .size:           2
        .value_kind:     hidden_remainder_z
      - .offset:         184
        .size:           8
        .value_kind:     hidden_global_offset_x
      - .offset:         192
        .size:           8
        .value_kind:     hidden_global_offset_y
      - .offset:         200
        .size:           8
        .value_kind:     hidden_global_offset_z
      - .offset:         208
        .size:           2
        .value_kind:     hidden_grid_dims
      - .offset:         264
        .size:           4
        .value_kind:     hidden_dynamic_lds_size
    .group_segment_fixed_size: 272
    .kernarg_segment_align: 8
    .kernarg_segment_size: 400
    .language:       OpenCL C
    .language_version:
      - 2
      - 0
    .max_flat_workgroup_size: 1024
    .name:           _ZN4vllm25paged_attention_v2_kernelI14__hip_bfloat16S1_Li120ELi32ELi128ELNS_18Fp8KVCacheDataTypeE0ELb0ELi512EEEvPfS3_PT_PKS4_PKT0_SA_ifPKiSC_iPKfiiiSE_SE_iiiii
    .private_segment_fixed_size: 44
    .sgpr_count:     34
    .sgpr_spill_count: 0
    .symbol:         _ZN4vllm25paged_attention_v2_kernelI14__hip_bfloat16S1_Li120ELi32ELi128ELNS_18Fp8KVCacheDataTypeE0ELb0ELi512EEEvPfS3_PT_PKS4_PKT0_SA_ifPKiSC_iPKfiiiSE_SE_iiiii.kd
    .uniform_work_group_size: 1
    .uses_dynamic_stack: false
    .vgpr_count:     192
    .vgpr_spill_count: 10
    .wavefront_size: 32
    .workgroup_processor_mode: 1
  - .args:
      - .actual_access:  write_only
        .address_space:  global
        .offset:         0
        .size:           8
        .value_kind:     global_buffer
      - .actual_access:  write_only
        .address_space:  global
        .offset:         8
        .size:           8
        .value_kind:     global_buffer
      - .actual_access:  write_only
        .address_space:  global
        .offset:         16
        .size:           8
        .value_kind:     global_buffer
      - .actual_access:  read_only
        .address_space:  global
        .offset:         24
        .size:           8
        .value_kind:     global_buffer
      - .actual_access:  read_only
        .address_space:  global
        .offset:         32
        .size:           8
        .value_kind:     global_buffer
      - .actual_access:  read_only
        .address_space:  global
        .offset:         40
        .size:           8
        .value_kind:     global_buffer
      - .offset:         48
        .size:           4
        .value_kind:     by_value
      - .offset:         52
        .size:           4
        .value_kind:     by_value
      - .actual_access:  read_only
        .address_space:  global
        .offset:         56
        .size:           8
        .value_kind:     global_buffer
      - .actual_access:  read_only
        .address_space:  global
        .offset:         64
        .size:           8
        .value_kind:     global_buffer
      - .offset:         72
        .size:           4
        .value_kind:     by_value
      - .actual_access:  read_only
        .address_space:  global
        .offset:         80
        .size:           8
        .value_kind:     global_buffer
      - .offset:         88
        .size:           4
        .value_kind:     by_value
      - .offset:         92
        .size:           4
        .value_kind:     by_value
      - .offset:         96
        .size:           4
        .value_kind:     by_value
      - .address_space:  global
        .offset:         104
        .size:           8
        .value_kind:     global_buffer
      - .address_space:  global
        .offset:         112
        .size:           8
        .value_kind:     global_buffer
      - .offset:         120
        .size:           4
        .value_kind:     by_value
      - .offset:         124
        .size:           4
        .value_kind:     by_value
      - .offset:         128
        .size:           4
        .value_kind:     by_value
      - .offset:         132
        .size:           4
        .value_kind:     by_value
      - .offset:         136
        .size:           4
        .value_kind:     by_value
      - .offset:         144
        .size:           4
        .value_kind:     hidden_block_count_x
      - .offset:         148
        .size:           4
        .value_kind:     hidden_block_count_y
      - .offset:         152
        .size:           4
        .value_kind:     hidden_block_count_z
      - .offset:         156
        .size:           2
        .value_kind:     hidden_group_size_x
      - .offset:         158
        .size:           2
        .value_kind:     hidden_group_size_y
      - .offset:         160
        .size:           2
        .value_kind:     hidden_group_size_z
      - .offset:         162
        .size:           2
        .value_kind:     hidden_remainder_x
      - .offset:         164
        .size:           2
        .value_kind:     hidden_remainder_y
      - .offset:         166
        .size:           2
        .value_kind:     hidden_remainder_z
      - .offset:         184
        .size:           8
        .value_kind:     hidden_global_offset_x
      - .offset:         192
        .size:           8
        .value_kind:     hidden_global_offset_y
      - .offset:         200
        .size:           8
        .value_kind:     hidden_global_offset_z
      - .offset:         208
        .size:           2
        .value_kind:     hidden_grid_dims
      - .offset:         264
        .size:           4
        .value_kind:     hidden_dynamic_lds_size
    .group_segment_fixed_size: 288
    .kernarg_segment_align: 8
    .kernarg_segment_size: 400
    .language:       OpenCL C
    .language_version:
      - 2
      - 0
    .max_flat_workgroup_size: 1024
    .name:           _ZN4vllm25paged_attention_v2_kernelI14__hip_bfloat16S1_Li128ELi32ELi128ELNS_18Fp8KVCacheDataTypeE0ELb0ELi512EEEvPfS3_PT_PKS4_PKT0_SA_ifPKiSC_iPKfiiiSE_SE_iiiii
    .private_segment_fixed_size: 68
    .sgpr_count:     34
    .sgpr_spill_count: 0
    .symbol:         _ZN4vllm25paged_attention_v2_kernelI14__hip_bfloat16S1_Li128ELi32ELi128ELNS_18Fp8KVCacheDataTypeE0ELb0ELi512EEEvPfS3_PT_PKS4_PKT0_SA_ifPKiSC_iPKfiiiSE_SE_iiiii.kd
    .uniform_work_group_size: 1
    .uses_dynamic_stack: false
    .vgpr_count:     192
    .vgpr_spill_count: 16
    .wavefront_size: 32
    .workgroup_processor_mode: 1
  - .args:
      - .actual_access:  write_only
        .address_space:  global
        .offset:         0
        .size:           8
        .value_kind:     global_buffer
      - .actual_access:  write_only
        .address_space:  global
        .offset:         8
        .size:           8
        .value_kind:     global_buffer
      - .actual_access:  write_only
        .address_space:  global
        .offset:         16
        .size:           8
        .value_kind:     global_buffer
      - .actual_access:  read_only
        .address_space:  global
        .offset:         24
        .size:           8
        .value_kind:     global_buffer
      - .actual_access:  read_only
        .address_space:  global
        .offset:         32
        .size:           8
        .value_kind:     global_buffer
      - .actual_access:  read_only
        .address_space:  global
        .offset:         40
        .size:           8
        .value_kind:     global_buffer
      - .offset:         48
        .size:           4
        .value_kind:     by_value
      - .offset:         52
        .size:           4
        .value_kind:     by_value
      - .actual_access:  read_only
        .address_space:  global
        .offset:         56
        .size:           8
        .value_kind:     global_buffer
      - .actual_access:  read_only
        .address_space:  global
        .offset:         64
        .size:           8
        .value_kind:     global_buffer
      - .offset:         72
        .size:           4
        .value_kind:     by_value
      - .actual_access:  read_only
        .address_space:  global
        .offset:         80
        .size:           8
        .value_kind:     global_buffer
      - .offset:         88
        .size:           4
        .value_kind:     by_value
      - .offset:         92
        .size:           4
        .value_kind:     by_value
      - .offset:         96
        .size:           4
        .value_kind:     by_value
      - .address_space:  global
        .offset:         104
        .size:           8
        .value_kind:     global_buffer
      - .address_space:  global
        .offset:         112
        .size:           8
        .value_kind:     global_buffer
      - .offset:         120
        .size:           4
        .value_kind:     by_value
      - .offset:         124
        .size:           4
        .value_kind:     by_value
      - .offset:         128
        .size:           4
        .value_kind:     by_value
      - .offset:         132
        .size:           4
        .value_kind:     by_value
      - .offset:         136
        .size:           4
        .value_kind:     by_value
      - .offset:         144
        .size:           4
        .value_kind:     hidden_block_count_x
      - .offset:         148
        .size:           4
        .value_kind:     hidden_block_count_y
      - .offset:         152
        .size:           4
        .value_kind:     hidden_block_count_z
      - .offset:         156
        .size:           2
        .value_kind:     hidden_group_size_x
      - .offset:         158
        .size:           2
        .value_kind:     hidden_group_size_y
      - .offset:         160
        .size:           2
        .value_kind:     hidden_group_size_z
      - .offset:         162
        .size:           2
        .value_kind:     hidden_remainder_x
      - .offset:         164
        .size:           2
        .value_kind:     hidden_remainder_y
      - .offset:         166
        .size:           2
        .value_kind:     hidden_remainder_z
      - .offset:         184
        .size:           8
        .value_kind:     hidden_global_offset_x
      - .offset:         192
        .size:           8
        .value_kind:     hidden_global_offset_y
      - .offset:         200
        .size:           8
        .value_kind:     hidden_global_offset_z
      - .offset:         208
        .size:           2
        .value_kind:     hidden_grid_dims
      - .offset:         264
        .size:           4
        .value_kind:     hidden_dynamic_lds_size
    .group_segment_fixed_size: 416
    .kernarg_segment_align: 8
    .kernarg_segment_size: 400
    .language:       OpenCL C
    .language_version:
      - 2
      - 0
    .max_flat_workgroup_size: 1024
    .name:           _ZN4vllm25paged_attention_v2_kernelI14__hip_bfloat16S1_Li192ELi32ELi128ELNS_18Fp8KVCacheDataTypeE0ELb0ELi512EEEvPfS3_PT_PKS4_PKT0_SA_ifPKiSC_iPKfiiiSE_SE_iiiii
    .private_segment_fixed_size: 332
    .sgpr_count:     34
    .sgpr_spill_count: 0
    .symbol:         _ZN4vllm25paged_attention_v2_kernelI14__hip_bfloat16S1_Li192ELi32ELi128ELNS_18Fp8KVCacheDataTypeE0ELb0ELi512EEEvPfS3_PT_PKS4_PKT0_SA_ifPKiSC_iPKfiiiSE_SE_iiiii.kd
    .uniform_work_group_size: 1
    .uses_dynamic_stack: false
    .vgpr_count:     192
    .vgpr_spill_count: 82
    .wavefront_size: 32
    .workgroup_processor_mode: 1
  - .args:
      - .actual_access:  write_only
        .address_space:  global
        .offset:         0
        .size:           8
        .value_kind:     global_buffer
      - .actual_access:  write_only
        .address_space:  global
        .offset:         8
        .size:           8
        .value_kind:     global_buffer
      - .actual_access:  write_only
        .address_space:  global
        .offset:         16
        .size:           8
        .value_kind:     global_buffer
      - .actual_access:  read_only
        .address_space:  global
        .offset:         24
        .size:           8
        .value_kind:     global_buffer
      - .actual_access:  read_only
        .address_space:  global
        .offset:         32
        .size:           8
        .value_kind:     global_buffer
      - .actual_access:  read_only
        .address_space:  global
        .offset:         40
        .size:           8
        .value_kind:     global_buffer
      - .offset:         48
        .size:           4
        .value_kind:     by_value
      - .offset:         52
        .size:           4
        .value_kind:     by_value
      - .actual_access:  read_only
        .address_space:  global
        .offset:         56
        .size:           8
        .value_kind:     global_buffer
      - .actual_access:  read_only
        .address_space:  global
        .offset:         64
        .size:           8
        .value_kind:     global_buffer
      - .offset:         72
        .size:           4
        .value_kind:     by_value
      - .actual_access:  read_only
        .address_space:  global
        .offset:         80
        .size:           8
        .value_kind:     global_buffer
      - .offset:         88
        .size:           4
        .value_kind:     by_value
      - .offset:         92
        .size:           4
        .value_kind:     by_value
      - .offset:         96
        .size:           4
        .value_kind:     by_value
      - .address_space:  global
        .offset:         104
        .size:           8
        .value_kind:     global_buffer
      - .address_space:  global
        .offset:         112
        .size:           8
        .value_kind:     global_buffer
      - .offset:         120
        .size:           4
        .value_kind:     by_value
      - .offset:         124
        .size:           4
        .value_kind:     by_value
      - .offset:         128
        .size:           4
        .value_kind:     by_value
      - .offset:         132
        .size:           4
        .value_kind:     by_value
      - .offset:         136
        .size:           4
        .value_kind:     by_value
      - .offset:         144
        .size:           4
        .value_kind:     hidden_block_count_x
      - .offset:         148
        .size:           4
        .value_kind:     hidden_block_count_y
      - .offset:         152
        .size:           4
        .value_kind:     hidden_block_count_z
      - .offset:         156
        .size:           2
        .value_kind:     hidden_group_size_x
      - .offset:         158
        .size:           2
        .value_kind:     hidden_group_size_y
      - .offset:         160
        .size:           2
        .value_kind:     hidden_group_size_z
      - .offset:         162
        .size:           2
        .value_kind:     hidden_remainder_x
      - .offset:         164
        .size:           2
        .value_kind:     hidden_remainder_y
      - .offset:         166
        .size:           2
        .value_kind:     hidden_remainder_z
      - .offset:         184
        .size:           8
        .value_kind:     hidden_global_offset_x
      - .offset:         192
        .size:           8
        .value_kind:     hidden_global_offset_y
      - .offset:         200
        .size:           8
        .value_kind:     hidden_global_offset_z
      - .offset:         208
        .size:           2
        .value_kind:     hidden_grid_dims
      - .offset:         264
        .size:           4
        .value_kind:     hidden_dynamic_lds_size
    .group_segment_fixed_size: 544
    .kernarg_segment_align: 8
    .kernarg_segment_size: 400
    .language:       OpenCL C
    .language_version:
      - 2
      - 0
    .max_flat_workgroup_size: 1024
    .name:           _ZN4vllm25paged_attention_v2_kernelI14__hip_bfloat16S1_Li256ELi32ELi128ELNS_18Fp8KVCacheDataTypeE0ELb0ELi512EEEvPfS3_PT_PKS4_PKT0_SA_ifPKiSC_iPKfiiiSE_SE_iiiii
    .private_segment_fixed_size: 584
    .sgpr_count:     38
    .sgpr_spill_count: 0
    .symbol:         _ZN4vllm25paged_attention_v2_kernelI14__hip_bfloat16S1_Li256ELi32ELi128ELNS_18Fp8KVCacheDataTypeE0ELb0ELi512EEEvPfS3_PT_PKS4_PKT0_SA_ifPKiSC_iPKfiiiSE_SE_iiiii.kd
    .uniform_work_group_size: 1
    .uses_dynamic_stack: false
    .vgpr_count:     192
    .vgpr_spill_count: 145
    .wavefront_size: 32
    .workgroup_processor_mode: 1
  - .args:
      - .actual_access:  write_only
        .address_space:  global
        .offset:         0
        .size:           8
        .value_kind:     global_buffer
      - .actual_access:  write_only
        .address_space:  global
        .offset:         8
        .size:           8
        .value_kind:     global_buffer
      - .actual_access:  write_only
        .address_space:  global
        .offset:         16
        .size:           8
        .value_kind:     global_buffer
      - .actual_access:  read_only
        .address_space:  global
        .offset:         24
        .size:           8
        .value_kind:     global_buffer
      - .actual_access:  read_only
        .address_space:  global
        .offset:         32
        .size:           8
        .value_kind:     global_buffer
      - .actual_access:  read_only
        .address_space:  global
        .offset:         40
        .size:           8
        .value_kind:     global_buffer
      - .offset:         48
        .size:           4
        .value_kind:     by_value
      - .offset:         52
        .size:           4
        .value_kind:     by_value
      - .actual_access:  read_only
        .address_space:  global
        .offset:         56
        .size:           8
        .value_kind:     global_buffer
      - .actual_access:  read_only
        .address_space:  global
        .offset:         64
        .size:           8
        .value_kind:     global_buffer
      - .offset:         72
        .size:           4
        .value_kind:     by_value
      - .actual_access:  read_only
        .address_space:  global
        .offset:         80
        .size:           8
        .value_kind:     global_buffer
      - .offset:         88
        .size:           4
        .value_kind:     by_value
      - .offset:         92
        .size:           4
        .value_kind:     by_value
      - .offset:         96
        .size:           4
        .value_kind:     by_value
      - .address_space:  global
        .offset:         104
        .size:           8
        .value_kind:     global_buffer
      - .address_space:  global
        .offset:         112
        .size:           8
        .value_kind:     global_buffer
      - .offset:         120
        .size:           4
        .value_kind:     by_value
      - .offset:         124
        .size:           4
        .value_kind:     by_value
      - .offset:         128
        .size:           4
        .value_kind:     by_value
      - .offset:         132
        .size:           4
        .value_kind:     by_value
      - .offset:         136
        .size:           4
        .value_kind:     by_value
      - .offset:         144
        .size:           4
        .value_kind:     hidden_block_count_x
      - .offset:         148
        .size:           4
        .value_kind:     hidden_block_count_y
      - .offset:         152
        .size:           4
        .value_kind:     hidden_block_count_z
      - .offset:         156
        .size:           2
        .value_kind:     hidden_group_size_x
      - .offset:         158
        .size:           2
        .value_kind:     hidden_group_size_y
      - .offset:         160
        .size:           2
        .value_kind:     hidden_group_size_z
      - .offset:         162
        .size:           2
        .value_kind:     hidden_remainder_x
      - .offset:         164
        .size:           2
        .value_kind:     hidden_remainder_y
      - .offset:         166
        .size:           2
        .value_kind:     hidden_remainder_z
      - .offset:         184
        .size:           8
        .value_kind:     hidden_global_offset_x
      - .offset:         192
        .size:           8
        .value_kind:     hidden_global_offset_y
      - .offset:         200
        .size:           8
        .value_kind:     hidden_global_offset_z
      - .offset:         208
        .size:           2
        .value_kind:     hidden_grid_dims
      - .offset:         264
        .size:           4
        .value_kind:     hidden_dynamic_lds_size
    .group_segment_fixed_size: 160
    .kernarg_segment_align: 8
    .kernarg_segment_size: 400
    .language:       OpenCL C
    .language_version:
      - 2
      - 0
    .max_flat_workgroup_size: 1024
    .name:           _ZN4vllm25paged_attention_v2_kernelIfhLi32ELi8ELi128ELNS_18Fp8KVCacheDataTypeE1ELb1ELi512EEEvPfS2_PT_PKS3_PKT0_S9_ifPKiSB_iPKfiiiSD_SD_iiiii
    .private_segment_fixed_size: 0
    .sgpr_count:     48
    .sgpr_spill_count: 0
    .symbol:         _ZN4vllm25paged_attention_v2_kernelIfhLi32ELi8ELi128ELNS_18Fp8KVCacheDataTypeE1ELb1ELi512EEEvPfS2_PT_PKS3_PKT0_S9_ifPKiSB_iPKfiiiSD_SD_iiiii.kd
    .uniform_work_group_size: 1
    .uses_dynamic_stack: false
    .vgpr_count:     37
    .vgpr_spill_count: 0
    .wavefront_size: 32
    .workgroup_processor_mode: 1
  - .args:
      - .actual_access:  write_only
        .address_space:  global
        .offset:         0
        .size:           8
        .value_kind:     global_buffer
      - .actual_access:  write_only
        .address_space:  global
        .offset:         8
        .size:           8
        .value_kind:     global_buffer
      - .actual_access:  write_only
        .address_space:  global
        .offset:         16
        .size:           8
        .value_kind:     global_buffer
      - .actual_access:  read_only
        .address_space:  global
        .offset:         24
        .size:           8
        .value_kind:     global_buffer
      - .actual_access:  read_only
        .address_space:  global
        .offset:         32
        .size:           8
        .value_kind:     global_buffer
      - .actual_access:  read_only
        .address_space:  global
        .offset:         40
        .size:           8
        .value_kind:     global_buffer
      - .offset:         48
        .size:           4
        .value_kind:     by_value
      - .offset:         52
        .size:           4
        .value_kind:     by_value
      - .actual_access:  read_only
        .address_space:  global
        .offset:         56
        .size:           8
        .value_kind:     global_buffer
      - .actual_access:  read_only
        .address_space:  global
        .offset:         64
        .size:           8
        .value_kind:     global_buffer
      - .offset:         72
        .size:           4
        .value_kind:     by_value
      - .actual_access:  read_only
        .address_space:  global
        .offset:         80
        .size:           8
        .value_kind:     global_buffer
      - .offset:         88
        .size:           4
        .value_kind:     by_value
      - .offset:         92
        .size:           4
        .value_kind:     by_value
      - .offset:         96
        .size:           4
        .value_kind:     by_value
      - .address_space:  global
        .offset:         104
        .size:           8
        .value_kind:     global_buffer
      - .address_space:  global
        .offset:         112
        .size:           8
        .value_kind:     global_buffer
      - .offset:         120
        .size:           4
        .value_kind:     by_value
      - .offset:         124
        .size:           4
        .value_kind:     by_value
      - .offset:         128
        .size:           4
        .value_kind:     by_value
      - .offset:         132
        .size:           4
        .value_kind:     by_value
      - .offset:         136
        .size:           4
        .value_kind:     by_value
      - .offset:         144
        .size:           4
        .value_kind:     hidden_block_count_x
      - .offset:         148
        .size:           4
        .value_kind:     hidden_block_count_y
      - .offset:         152
        .size:           4
        .value_kind:     hidden_block_count_z
      - .offset:         156
        .size:           2
        .value_kind:     hidden_group_size_x
      - .offset:         158
        .size:           2
        .value_kind:     hidden_group_size_y
      - .offset:         160
        .size:           2
        .value_kind:     hidden_group_size_z
      - .offset:         162
        .size:           2
        .value_kind:     hidden_remainder_x
      - .offset:         164
        .size:           2
        .value_kind:     hidden_remainder_y
      - .offset:         166
        .size:           2
        .value_kind:     hidden_remainder_z
      - .offset:         184
        .size:           8
        .value_kind:     hidden_global_offset_x
      - .offset:         192
        .size:           8
        .value_kind:     hidden_global_offset_y
      - .offset:         200
        .size:           8
        .value_kind:     hidden_global_offset_z
      - .offset:         208
        .size:           2
        .value_kind:     hidden_grid_dims
      - .offset:         264
        .size:           4
        .value_kind:     hidden_dynamic_lds_size
    .group_segment_fixed_size: 288
    .kernarg_segment_align: 8
    .kernarg_segment_size: 400
    .language:       OpenCL C
    .language_version:
      - 2
      - 0
    .max_flat_workgroup_size: 1024
    .name:           _ZN4vllm25paged_attention_v2_kernelIfhLi64ELi8ELi128ELNS_18Fp8KVCacheDataTypeE1ELb1ELi512EEEvPfS2_PT_PKS3_PKT0_S9_ifPKiSB_iPKfiiiSD_SD_iiiii
    .private_segment_fixed_size: 0
    .sgpr_count:     48
    .sgpr_spill_count: 0
    .symbol:         _ZN4vllm25paged_attention_v2_kernelIfhLi64ELi8ELi128ELNS_18Fp8KVCacheDataTypeE1ELb1ELi512EEEvPfS2_PT_PKS3_PKT0_S9_ifPKiSB_iPKfiiiSD_SD_iiiii.kd
    .uniform_work_group_size: 1
    .uses_dynamic_stack: false
    .vgpr_count:     45
    .vgpr_spill_count: 0
    .wavefront_size: 32
    .workgroup_processor_mode: 1
  - .args:
      - .actual_access:  write_only
        .address_space:  global
        .offset:         0
        .size:           8
        .value_kind:     global_buffer
      - .actual_access:  write_only
        .address_space:  global
        .offset:         8
        .size:           8
        .value_kind:     global_buffer
      - .actual_access:  write_only
        .address_space:  global
        .offset:         16
        .size:           8
        .value_kind:     global_buffer
      - .actual_access:  read_only
        .address_space:  global
        .offset:         24
        .size:           8
        .value_kind:     global_buffer
      - .actual_access:  read_only
        .address_space:  global
        .offset:         32
        .size:           8
        .value_kind:     global_buffer
      - .actual_access:  read_only
        .address_space:  global
        .offset:         40
        .size:           8
        .value_kind:     global_buffer
      - .offset:         48
        .size:           4
        .value_kind:     by_value
      - .offset:         52
        .size:           4
        .value_kind:     by_value
      - .actual_access:  read_only
        .address_space:  global
        .offset:         56
        .size:           8
        .value_kind:     global_buffer
      - .actual_access:  read_only
        .address_space:  global
        .offset:         64
        .size:           8
        .value_kind:     global_buffer
      - .offset:         72
        .size:           4
        .value_kind:     by_value
      - .actual_access:  read_only
        .address_space:  global
        .offset:         80
        .size:           8
        .value_kind:     global_buffer
      - .offset:         88
        .size:           4
        .value_kind:     by_value
      - .offset:         92
        .size:           4
        .value_kind:     by_value
      - .offset:         96
        .size:           4
        .value_kind:     by_value
      - .address_space:  global
        .offset:         104
        .size:           8
        .value_kind:     global_buffer
      - .address_space:  global
        .offset:         112
        .size:           8
        .value_kind:     global_buffer
      - .offset:         120
        .size:           4
        .value_kind:     by_value
      - .offset:         124
        .size:           4
        .value_kind:     by_value
      - .offset:         128
        .size:           4
        .value_kind:     by_value
      - .offset:         132
        .size:           4
        .value_kind:     by_value
      - .offset:         136
        .size:           4
        .value_kind:     by_value
      - .offset:         144
        .size:           4
        .value_kind:     hidden_block_count_x
      - .offset:         148
        .size:           4
        .value_kind:     hidden_block_count_y
      - .offset:         152
        .size:           4
        .value_kind:     hidden_block_count_z
      - .offset:         156
        .size:           2
        .value_kind:     hidden_group_size_x
      - .offset:         158
        .size:           2
        .value_kind:     hidden_group_size_y
      - .offset:         160
        .size:           2
        .value_kind:     hidden_group_size_z
      - .offset:         162
        .size:           2
        .value_kind:     hidden_remainder_x
      - .offset:         164
        .size:           2
        .value_kind:     hidden_remainder_y
      - .offset:         166
        .size:           2
        .value_kind:     hidden_remainder_z
      - .offset:         184
        .size:           8
        .value_kind:     hidden_global_offset_x
      - .offset:         192
        .size:           8
        .value_kind:     hidden_global_offset_y
      - .offset:         200
        .size:           8
        .value_kind:     hidden_global_offset_z
      - .offset:         208
        .size:           2
        .value_kind:     hidden_grid_dims
      - .offset:         264
        .size:           4
        .value_kind:     hidden_dynamic_lds_size
    .group_segment_fixed_size: 352
    .kernarg_segment_align: 8
    .kernarg_segment_size: 400
    .language:       OpenCL C
    .language_version:
      - 2
      - 0
    .max_flat_workgroup_size: 1024
    .name:           _ZN4vllm25paged_attention_v2_kernelIfhLi80ELi8ELi128ELNS_18Fp8KVCacheDataTypeE1ELb1ELi512EEEvPfS2_PT_PKS3_PKT0_S9_ifPKiSB_iPKfiiiSD_SD_iiiii
    .private_segment_fixed_size: 0
    .sgpr_count:     47
    .sgpr_spill_count: 0
    .symbol:         _ZN4vllm25paged_attention_v2_kernelIfhLi80ELi8ELi128ELNS_18Fp8KVCacheDataTypeE1ELb1ELi512EEEvPfS2_PT_PKS3_PKT0_S9_ifPKiSB_iPKfiiiSD_SD_iiiii.kd
    .uniform_work_group_size: 1
    .uses_dynamic_stack: false
    .vgpr_count:     49
    .vgpr_spill_count: 0
    .wavefront_size: 32
    .workgroup_processor_mode: 1
  - .args:
      - .actual_access:  write_only
        .address_space:  global
        .offset:         0
        .size:           8
        .value_kind:     global_buffer
      - .actual_access:  write_only
        .address_space:  global
        .offset:         8
        .size:           8
        .value_kind:     global_buffer
      - .actual_access:  write_only
        .address_space:  global
        .offset:         16
        .size:           8
        .value_kind:     global_buffer
      - .actual_access:  read_only
        .address_space:  global
        .offset:         24
        .size:           8
        .value_kind:     global_buffer
      - .actual_access:  read_only
        .address_space:  global
        .offset:         32
        .size:           8
        .value_kind:     global_buffer
      - .actual_access:  read_only
        .address_space:  global
        .offset:         40
        .size:           8
        .value_kind:     global_buffer
      - .offset:         48
        .size:           4
        .value_kind:     by_value
      - .offset:         52
        .size:           4
        .value_kind:     by_value
      - .actual_access:  read_only
        .address_space:  global
        .offset:         56
        .size:           8
        .value_kind:     global_buffer
      - .actual_access:  read_only
        .address_space:  global
        .offset:         64
        .size:           8
        .value_kind:     global_buffer
      - .offset:         72
        .size:           4
        .value_kind:     by_value
      - .actual_access:  read_only
        .address_space:  global
        .offset:         80
        .size:           8
        .value_kind:     global_buffer
      - .offset:         88
        .size:           4
        .value_kind:     by_value
      - .offset:         92
        .size:           4
        .value_kind:     by_value
      - .offset:         96
        .size:           4
        .value_kind:     by_value
      - .address_space:  global
        .offset:         104
        .size:           8
        .value_kind:     global_buffer
      - .address_space:  global
        .offset:         112
        .size:           8
        .value_kind:     global_buffer
      - .offset:         120
        .size:           4
        .value_kind:     by_value
      - .offset:         124
        .size:           4
        .value_kind:     by_value
      - .offset:         128
        .size:           4
        .value_kind:     by_value
      - .offset:         132
        .size:           4
        .value_kind:     by_value
      - .offset:         136
        .size:           4
        .value_kind:     by_value
      - .offset:         144
        .size:           4
        .value_kind:     hidden_block_count_x
      - .offset:         148
        .size:           4
        .value_kind:     hidden_block_count_y
      - .offset:         152
        .size:           4
        .value_kind:     hidden_block_count_z
      - .offset:         156
        .size:           2
        .value_kind:     hidden_group_size_x
      - .offset:         158
        .size:           2
        .value_kind:     hidden_group_size_y
      - .offset:         160
        .size:           2
        .value_kind:     hidden_group_size_z
      - .offset:         162
        .size:           2
        .value_kind:     hidden_remainder_x
      - .offset:         164
        .size:           2
        .value_kind:     hidden_remainder_y
      - .offset:         166
        .size:           2
        .value_kind:     hidden_remainder_z
      - .offset:         184
        .size:           8
        .value_kind:     hidden_global_offset_x
      - .offset:         192
        .size:           8
        .value_kind:     hidden_global_offset_y
      - .offset:         200
        .size:           8
        .value_kind:     hidden_global_offset_z
      - .offset:         208
        .size:           2
        .value_kind:     hidden_grid_dims
      - .offset:         264
        .size:           4
        .value_kind:     hidden_dynamic_lds_size
    .group_segment_fixed_size: 416
    .kernarg_segment_align: 8
    .kernarg_segment_size: 400
    .language:       OpenCL C
    .language_version:
      - 2
      - 0
    .max_flat_workgroup_size: 1024
    .name:           _ZN4vllm25paged_attention_v2_kernelIfhLi96ELi8ELi128ELNS_18Fp8KVCacheDataTypeE1ELb1ELi512EEEvPfS2_PT_PKS3_PKT0_S9_ifPKiSB_iPKfiiiSD_SD_iiiii
    .private_segment_fixed_size: 0
    .sgpr_count:     47
    .sgpr_spill_count: 0
    .symbol:         _ZN4vllm25paged_attention_v2_kernelIfhLi96ELi8ELi128ELNS_18Fp8KVCacheDataTypeE1ELb1ELi512EEEvPfS2_PT_PKS3_PKT0_S9_ifPKiSB_iPKfiiiSD_SD_iiiii.kd
    .uniform_work_group_size: 1
    .uses_dynamic_stack: false
    .vgpr_count:     53
    .vgpr_spill_count: 0
    .wavefront_size: 32
    .workgroup_processor_mode: 1
  - .args:
      - .actual_access:  write_only
        .address_space:  global
        .offset:         0
        .size:           8
        .value_kind:     global_buffer
      - .actual_access:  write_only
        .address_space:  global
        .offset:         8
        .size:           8
        .value_kind:     global_buffer
      - .actual_access:  write_only
        .address_space:  global
        .offset:         16
        .size:           8
        .value_kind:     global_buffer
      - .actual_access:  read_only
        .address_space:  global
        .offset:         24
        .size:           8
        .value_kind:     global_buffer
      - .actual_access:  read_only
        .address_space:  global
        .offset:         32
        .size:           8
        .value_kind:     global_buffer
      - .actual_access:  read_only
        .address_space:  global
        .offset:         40
        .size:           8
        .value_kind:     global_buffer
      - .offset:         48
        .size:           4
        .value_kind:     by_value
      - .offset:         52
        .size:           4
        .value_kind:     by_value
      - .actual_access:  read_only
        .address_space:  global
        .offset:         56
        .size:           8
        .value_kind:     global_buffer
      - .actual_access:  read_only
        .address_space:  global
        .offset:         64
        .size:           8
        .value_kind:     global_buffer
      - .offset:         72
        .size:           4
        .value_kind:     by_value
      - .actual_access:  read_only
        .address_space:  global
        .offset:         80
        .size:           8
        .value_kind:     global_buffer
      - .offset:         88
        .size:           4
        .value_kind:     by_value
      - .offset:         92
        .size:           4
        .value_kind:     by_value
      - .offset:         96
        .size:           4
        .value_kind:     by_value
      - .address_space:  global
        .offset:         104
        .size:           8
        .value_kind:     global_buffer
      - .address_space:  global
        .offset:         112
        .size:           8
        .value_kind:     global_buffer
      - .offset:         120
        .size:           4
        .value_kind:     by_value
      - .offset:         124
        .size:           4
        .value_kind:     by_value
      - .offset:         128
        .size:           4
        .value_kind:     by_value
      - .offset:         132
        .size:           4
        .value_kind:     by_value
      - .offset:         136
        .size:           4
        .value_kind:     by_value
      - .offset:         144
        .size:           4
        .value_kind:     hidden_block_count_x
      - .offset:         148
        .size:           4
        .value_kind:     hidden_block_count_y
      - .offset:         152
        .size:           4
        .value_kind:     hidden_block_count_z
      - .offset:         156
        .size:           2
        .value_kind:     hidden_group_size_x
      - .offset:         158
        .size:           2
        .value_kind:     hidden_group_size_y
      - .offset:         160
        .size:           2
        .value_kind:     hidden_group_size_z
      - .offset:         162
        .size:           2
        .value_kind:     hidden_remainder_x
      - .offset:         164
        .size:           2
        .value_kind:     hidden_remainder_y
      - .offset:         166
        .size:           2
        .value_kind:     hidden_remainder_z
      - .offset:         184
        .size:           8
        .value_kind:     hidden_global_offset_x
      - .offset:         192
        .size:           8
        .value_kind:     hidden_global_offset_y
      - .offset:         200
        .size:           8
        .value_kind:     hidden_global_offset_z
      - .offset:         208
        .size:           2
        .value_kind:     hidden_grid_dims
      - .offset:         264
        .size:           4
        .value_kind:     hidden_dynamic_lds_size
    .group_segment_fixed_size: 480
    .kernarg_segment_align: 8
    .kernarg_segment_size: 400
    .language:       OpenCL C
    .language_version:
      - 2
      - 0
    .max_flat_workgroup_size: 1024
    .name:           _ZN4vllm25paged_attention_v2_kernelIfhLi112ELi8ELi128ELNS_18Fp8KVCacheDataTypeE1ELb1ELi512EEEvPfS2_PT_PKS3_PKT0_S9_ifPKiSB_iPKfiiiSD_SD_iiiii
    .private_segment_fixed_size: 0
    .sgpr_count:     47
    .sgpr_spill_count: 0
    .symbol:         _ZN4vllm25paged_attention_v2_kernelIfhLi112ELi8ELi128ELNS_18Fp8KVCacheDataTypeE1ELb1ELi512EEEvPfS2_PT_PKS3_PKT0_S9_ifPKiSB_iPKfiiiSD_SD_iiiii.kd
    .uniform_work_group_size: 1
    .uses_dynamic_stack: false
    .vgpr_count:     58
    .vgpr_spill_count: 0
    .wavefront_size: 32
    .workgroup_processor_mode: 1
  - .args:
      - .actual_access:  write_only
        .address_space:  global
        .offset:         0
        .size:           8
        .value_kind:     global_buffer
      - .actual_access:  write_only
        .address_space:  global
        .offset:         8
        .size:           8
        .value_kind:     global_buffer
      - .actual_access:  write_only
        .address_space:  global
        .offset:         16
        .size:           8
        .value_kind:     global_buffer
      - .actual_access:  read_only
        .address_space:  global
        .offset:         24
        .size:           8
        .value_kind:     global_buffer
      - .actual_access:  read_only
        .address_space:  global
        .offset:         32
        .size:           8
        .value_kind:     global_buffer
      - .actual_access:  read_only
        .address_space:  global
        .offset:         40
        .size:           8
        .value_kind:     global_buffer
      - .offset:         48
        .size:           4
        .value_kind:     by_value
      - .offset:         52
        .size:           4
        .value_kind:     by_value
      - .actual_access:  read_only
        .address_space:  global
        .offset:         56
        .size:           8
        .value_kind:     global_buffer
      - .actual_access:  read_only
        .address_space:  global
        .offset:         64
        .size:           8
        .value_kind:     global_buffer
      - .offset:         72
        .size:           4
        .value_kind:     by_value
      - .actual_access:  read_only
        .address_space:  global
        .offset:         80
        .size:           8
        .value_kind:     global_buffer
      - .offset:         88
        .size:           4
        .value_kind:     by_value
      - .offset:         92
        .size:           4
        .value_kind:     by_value
      - .offset:         96
        .size:           4
        .value_kind:     by_value
      - .address_space:  global
        .offset:         104
        .size:           8
        .value_kind:     global_buffer
      - .address_space:  global
        .offset:         112
        .size:           8
        .value_kind:     global_buffer
      - .offset:         120
        .size:           4
        .value_kind:     by_value
      - .offset:         124
        .size:           4
        .value_kind:     by_value
      - .offset:         128
        .size:           4
        .value_kind:     by_value
      - .offset:         132
        .size:           4
        .value_kind:     by_value
      - .offset:         136
        .size:           4
        .value_kind:     by_value
      - .offset:         144
        .size:           4
        .value_kind:     hidden_block_count_x
      - .offset:         148
        .size:           4
        .value_kind:     hidden_block_count_y
      - .offset:         152
        .size:           4
        .value_kind:     hidden_block_count_z
      - .offset:         156
        .size:           2
        .value_kind:     hidden_group_size_x
      - .offset:         158
        .size:           2
        .value_kind:     hidden_group_size_y
      - .offset:         160
        .size:           2
        .value_kind:     hidden_group_size_z
      - .offset:         162
        .size:           2
        .value_kind:     hidden_remainder_x
      - .offset:         164
        .size:           2
        .value_kind:     hidden_remainder_y
      - .offset:         166
        .size:           2
        .value_kind:     hidden_remainder_z
      - .offset:         184
        .size:           8
        .value_kind:     hidden_global_offset_x
      - .offset:         192
        .size:           8
        .value_kind:     hidden_global_offset_y
      - .offset:         200
        .size:           8
        .value_kind:     hidden_global_offset_z
      - .offset:         208
        .size:           2
        .value_kind:     hidden_grid_dims
      - .offset:         264
        .size:           4
        .value_kind:     hidden_dynamic_lds_size
    .group_segment_fixed_size: 512
    .kernarg_segment_align: 8
    .kernarg_segment_size: 400
    .language:       OpenCL C
    .language_version:
      - 2
      - 0
    .max_flat_workgroup_size: 1024
    .name:           _ZN4vllm25paged_attention_v2_kernelIfhLi120ELi8ELi128ELNS_18Fp8KVCacheDataTypeE1ELb1ELi512EEEvPfS2_PT_PKS3_PKT0_S9_ifPKiSB_iPKfiiiSD_SD_iiiii
    .private_segment_fixed_size: 0
    .sgpr_count:     47
    .sgpr_spill_count: 0
    .symbol:         _ZN4vllm25paged_attention_v2_kernelIfhLi120ELi8ELi128ELNS_18Fp8KVCacheDataTypeE1ELb1ELi512EEEvPfS2_PT_PKS3_PKT0_S9_ifPKiSB_iPKfiiiSD_SD_iiiii.kd
    .uniform_work_group_size: 1
    .uses_dynamic_stack: false
    .vgpr_count:     60
    .vgpr_spill_count: 0
    .wavefront_size: 32
    .workgroup_processor_mode: 1
  - .args:
      - .actual_access:  write_only
        .address_space:  global
        .offset:         0
        .size:           8
        .value_kind:     global_buffer
      - .actual_access:  write_only
        .address_space:  global
        .offset:         8
        .size:           8
        .value_kind:     global_buffer
      - .actual_access:  write_only
        .address_space:  global
        .offset:         16
        .size:           8
        .value_kind:     global_buffer
      - .actual_access:  read_only
        .address_space:  global
        .offset:         24
        .size:           8
        .value_kind:     global_buffer
      - .actual_access:  read_only
        .address_space:  global
        .offset:         32
        .size:           8
        .value_kind:     global_buffer
      - .actual_access:  read_only
        .address_space:  global
        .offset:         40
        .size:           8
        .value_kind:     global_buffer
      - .offset:         48
        .size:           4
        .value_kind:     by_value
      - .offset:         52
        .size:           4
        .value_kind:     by_value
      - .actual_access:  read_only
        .address_space:  global
        .offset:         56
        .size:           8
        .value_kind:     global_buffer
      - .actual_access:  read_only
        .address_space:  global
        .offset:         64
        .size:           8
        .value_kind:     global_buffer
      - .offset:         72
        .size:           4
        .value_kind:     by_value
      - .actual_access:  read_only
        .address_space:  global
        .offset:         80
        .size:           8
        .value_kind:     global_buffer
      - .offset:         88
        .size:           4
        .value_kind:     by_value
      - .offset:         92
        .size:           4
        .value_kind:     by_value
      - .offset:         96
        .size:           4
        .value_kind:     by_value
      - .address_space:  global
        .offset:         104
        .size:           8
        .value_kind:     global_buffer
      - .address_space:  global
        .offset:         112
        .size:           8
        .value_kind:     global_buffer
      - .offset:         120
        .size:           4
        .value_kind:     by_value
      - .offset:         124
        .size:           4
        .value_kind:     by_value
      - .offset:         128
        .size:           4
        .value_kind:     by_value
      - .offset:         132
        .size:           4
        .value_kind:     by_value
      - .offset:         136
        .size:           4
        .value_kind:     by_value
      - .offset:         144
        .size:           4
        .value_kind:     hidden_block_count_x
      - .offset:         148
        .size:           4
        .value_kind:     hidden_block_count_y
      - .offset:         152
        .size:           4
        .value_kind:     hidden_block_count_z
      - .offset:         156
        .size:           2
        .value_kind:     hidden_group_size_x
      - .offset:         158
        .size:           2
        .value_kind:     hidden_group_size_y
      - .offset:         160
        .size:           2
        .value_kind:     hidden_group_size_z
      - .offset:         162
        .size:           2
        .value_kind:     hidden_remainder_x
      - .offset:         164
        .size:           2
        .value_kind:     hidden_remainder_y
      - .offset:         166
        .size:           2
        .value_kind:     hidden_remainder_z
      - .offset:         184
        .size:           8
        .value_kind:     hidden_global_offset_x
      - .offset:         192
        .size:           8
        .value_kind:     hidden_global_offset_y
      - .offset:         200
        .size:           8
        .value_kind:     hidden_global_offset_z
      - .offset:         208
        .size:           2
        .value_kind:     hidden_grid_dims
      - .offset:         264
        .size:           4
        .value_kind:     hidden_dynamic_lds_size
    .group_segment_fixed_size: 544
    .kernarg_segment_align: 8
    .kernarg_segment_size: 400
    .language:       OpenCL C
    .language_version:
      - 2
      - 0
    .max_flat_workgroup_size: 1024
    .name:           _ZN4vllm25paged_attention_v2_kernelIfhLi128ELi8ELi128ELNS_18Fp8KVCacheDataTypeE1ELb1ELi512EEEvPfS2_PT_PKS3_PKT0_S9_ifPKiSB_iPKfiiiSD_SD_iiiii
    .private_segment_fixed_size: 0
    .sgpr_count:     47
    .sgpr_spill_count: 0
    .symbol:         _ZN4vllm25paged_attention_v2_kernelIfhLi128ELi8ELi128ELNS_18Fp8KVCacheDataTypeE1ELb1ELi512EEEvPfS2_PT_PKS3_PKT0_S9_ifPKiSB_iPKfiiiSD_SD_iiiii.kd
    .uniform_work_group_size: 1
    .uses_dynamic_stack: false
    .vgpr_count:     63
    .vgpr_spill_count: 0
    .wavefront_size: 32
    .workgroup_processor_mode: 1
  - .args:
      - .actual_access:  write_only
        .address_space:  global
        .offset:         0
        .size:           8
        .value_kind:     global_buffer
      - .actual_access:  write_only
        .address_space:  global
        .offset:         8
        .size:           8
        .value_kind:     global_buffer
      - .actual_access:  write_only
        .address_space:  global
        .offset:         16
        .size:           8
        .value_kind:     global_buffer
      - .actual_access:  read_only
        .address_space:  global
        .offset:         24
        .size:           8
        .value_kind:     global_buffer
      - .actual_access:  read_only
        .address_space:  global
        .offset:         32
        .size:           8
        .value_kind:     global_buffer
      - .actual_access:  read_only
        .address_space:  global
        .offset:         40
        .size:           8
        .value_kind:     global_buffer
      - .offset:         48
        .size:           4
        .value_kind:     by_value
      - .offset:         52
        .size:           4
        .value_kind:     by_value
      - .actual_access:  read_only
        .address_space:  global
        .offset:         56
        .size:           8
        .value_kind:     global_buffer
      - .actual_access:  read_only
        .address_space:  global
        .offset:         64
        .size:           8
        .value_kind:     global_buffer
      - .offset:         72
        .size:           4
        .value_kind:     by_value
      - .actual_access:  read_only
        .address_space:  global
        .offset:         80
        .size:           8
        .value_kind:     global_buffer
      - .offset:         88
        .size:           4
        .value_kind:     by_value
      - .offset:         92
        .size:           4
        .value_kind:     by_value
      - .offset:         96
        .size:           4
        .value_kind:     by_value
      - .address_space:  global
        .offset:         104
        .size:           8
        .value_kind:     global_buffer
      - .address_space:  global
        .offset:         112
        .size:           8
        .value_kind:     global_buffer
      - .offset:         120
        .size:           4
        .value_kind:     by_value
      - .offset:         124
        .size:           4
        .value_kind:     by_value
      - .offset:         128
        .size:           4
        .value_kind:     by_value
      - .offset:         132
        .size:           4
        .value_kind:     by_value
      - .offset:         136
        .size:           4
        .value_kind:     by_value
      - .offset:         144
        .size:           4
        .value_kind:     hidden_block_count_x
      - .offset:         148
        .size:           4
        .value_kind:     hidden_block_count_y
      - .offset:         152
        .size:           4
        .value_kind:     hidden_block_count_z
      - .offset:         156
        .size:           2
        .value_kind:     hidden_group_size_x
      - .offset:         158
        .size:           2
        .value_kind:     hidden_group_size_y
      - .offset:         160
        .size:           2
        .value_kind:     hidden_group_size_z
      - .offset:         162
        .size:           2
        .value_kind:     hidden_remainder_x
      - .offset:         164
        .size:           2
        .value_kind:     hidden_remainder_y
      - .offset:         166
        .size:           2
        .value_kind:     hidden_remainder_z
      - .offset:         184
        .size:           8
        .value_kind:     hidden_global_offset_x
      - .offset:         192
        .size:           8
        .value_kind:     hidden_global_offset_y
      - .offset:         200
        .size:           8
        .value_kind:     hidden_global_offset_z
      - .offset:         208
        .size:           2
        .value_kind:     hidden_grid_dims
      - .offset:         264
        .size:           4
        .value_kind:     hidden_dynamic_lds_size
    .group_segment_fixed_size: 800
    .kernarg_segment_align: 8
    .kernarg_segment_size: 400
    .language:       OpenCL C
    .language_version:
      - 2
      - 0
    .max_flat_workgroup_size: 1024
    .name:           _ZN4vllm25paged_attention_v2_kernelIfhLi192ELi8ELi128ELNS_18Fp8KVCacheDataTypeE1ELb1ELi512EEEvPfS2_PT_PKS3_PKT0_S9_ifPKiSB_iPKfiiiSD_SD_iiiii
    .private_segment_fixed_size: 0
    .sgpr_count:     47
    .sgpr_spill_count: 0
    .symbol:         _ZN4vllm25paged_attention_v2_kernelIfhLi192ELi8ELi128ELNS_18Fp8KVCacheDataTypeE1ELb1ELi512EEEvPfS2_PT_PKS3_PKT0_S9_ifPKiSB_iPKfiiiSD_SD_iiiii.kd
    .uniform_work_group_size: 1
    .uses_dynamic_stack: false
    .vgpr_count:     83
    .vgpr_spill_count: 0
    .wavefront_size: 32
    .workgroup_processor_mode: 1
  - .args:
      - .actual_access:  write_only
        .address_space:  global
        .offset:         0
        .size:           8
        .value_kind:     global_buffer
      - .actual_access:  write_only
        .address_space:  global
        .offset:         8
        .size:           8
        .value_kind:     global_buffer
      - .actual_access:  write_only
        .address_space:  global
        .offset:         16
        .size:           8
        .value_kind:     global_buffer
      - .actual_access:  read_only
        .address_space:  global
        .offset:         24
        .size:           8
        .value_kind:     global_buffer
      - .actual_access:  read_only
        .address_space:  global
        .offset:         32
        .size:           8
        .value_kind:     global_buffer
      - .actual_access:  read_only
        .address_space:  global
        .offset:         40
        .size:           8
        .value_kind:     global_buffer
      - .offset:         48
        .size:           4
        .value_kind:     by_value
      - .offset:         52
        .size:           4
        .value_kind:     by_value
      - .actual_access:  read_only
        .address_space:  global
        .offset:         56
        .size:           8
        .value_kind:     global_buffer
      - .actual_access:  read_only
        .address_space:  global
        .offset:         64
        .size:           8
        .value_kind:     global_buffer
      - .offset:         72
        .size:           4
        .value_kind:     by_value
      - .actual_access:  read_only
        .address_space:  global
        .offset:         80
        .size:           8
        .value_kind:     global_buffer
      - .offset:         88
        .size:           4
        .value_kind:     by_value
      - .offset:         92
        .size:           4
        .value_kind:     by_value
      - .offset:         96
        .size:           4
        .value_kind:     by_value
      - .address_space:  global
        .offset:         104
        .size:           8
        .value_kind:     global_buffer
      - .address_space:  global
        .offset:         112
        .size:           8
        .value_kind:     global_buffer
      - .offset:         120
        .size:           4
        .value_kind:     by_value
      - .offset:         124
        .size:           4
        .value_kind:     by_value
      - .offset:         128
        .size:           4
        .value_kind:     by_value
      - .offset:         132
        .size:           4
        .value_kind:     by_value
      - .offset:         136
        .size:           4
        .value_kind:     by_value
      - .offset:         144
        .size:           4
        .value_kind:     hidden_block_count_x
      - .offset:         148
        .size:           4
        .value_kind:     hidden_block_count_y
      - .offset:         152
        .size:           4
        .value_kind:     hidden_block_count_z
      - .offset:         156
        .size:           2
        .value_kind:     hidden_group_size_x
      - .offset:         158
        .size:           2
        .value_kind:     hidden_group_size_y
      - .offset:         160
        .size:           2
        .value_kind:     hidden_group_size_z
      - .offset:         162
        .size:           2
        .value_kind:     hidden_remainder_x
      - .offset:         164
        .size:           2
        .value_kind:     hidden_remainder_y
      - .offset:         166
        .size:           2
        .value_kind:     hidden_remainder_z
      - .offset:         184
        .size:           8
        .value_kind:     hidden_global_offset_x
      - .offset:         192
        .size:           8
        .value_kind:     hidden_global_offset_y
      - .offset:         200
        .size:           8
        .value_kind:     hidden_global_offset_z
      - .offset:         208
        .size:           2
        .value_kind:     hidden_grid_dims
      - .offset:         264
        .size:           4
        .value_kind:     hidden_dynamic_lds_size
    .group_segment_fixed_size: 1056
    .kernarg_segment_align: 8
    .kernarg_segment_size: 400
    .language:       OpenCL C
    .language_version:
      - 2
      - 0
    .max_flat_workgroup_size: 1024
    .name:           _ZN4vllm25paged_attention_v2_kernelIfhLi256ELi8ELi128ELNS_18Fp8KVCacheDataTypeE1ELb1ELi512EEEvPfS2_PT_PKS3_PKT0_S9_ifPKiSB_iPKfiiiSD_SD_iiiii
    .private_segment_fixed_size: 0
    .sgpr_count:     47
    .sgpr_spill_count: 0
    .symbol:         _ZN4vllm25paged_attention_v2_kernelIfhLi256ELi8ELi128ELNS_18Fp8KVCacheDataTypeE1ELb1ELi512EEEvPfS2_PT_PKS3_PKT0_S9_ifPKiSB_iPKfiiiSD_SD_iiiii.kd
    .uniform_work_group_size: 1
    .uses_dynamic_stack: false
    .vgpr_count:     103
    .vgpr_spill_count: 0
    .wavefront_size: 32
    .workgroup_processor_mode: 1
  - .args:
      - .actual_access:  write_only
        .address_space:  global
        .offset:         0
        .size:           8
        .value_kind:     global_buffer
      - .actual_access:  write_only
        .address_space:  global
        .offset:         8
        .size:           8
        .value_kind:     global_buffer
      - .actual_access:  write_only
        .address_space:  global
        .offset:         16
        .size:           8
        .value_kind:     global_buffer
      - .actual_access:  read_only
        .address_space:  global
        .offset:         24
        .size:           8
        .value_kind:     global_buffer
      - .actual_access:  read_only
        .address_space:  global
        .offset:         32
        .size:           8
        .value_kind:     global_buffer
      - .actual_access:  read_only
        .address_space:  global
        .offset:         40
        .size:           8
        .value_kind:     global_buffer
      - .offset:         48
        .size:           4
        .value_kind:     by_value
      - .offset:         52
        .size:           4
        .value_kind:     by_value
      - .actual_access:  read_only
        .address_space:  global
        .offset:         56
        .size:           8
        .value_kind:     global_buffer
      - .actual_access:  read_only
        .address_space:  global
        .offset:         64
        .size:           8
        .value_kind:     global_buffer
      - .offset:         72
        .size:           4
        .value_kind:     by_value
      - .actual_access:  read_only
        .address_space:  global
        .offset:         80
        .size:           8
        .value_kind:     global_buffer
      - .offset:         88
        .size:           4
        .value_kind:     by_value
      - .offset:         92
        .size:           4
        .value_kind:     by_value
      - .offset:         96
        .size:           4
        .value_kind:     by_value
      - .address_space:  global
        .offset:         104
        .size:           8
        .value_kind:     global_buffer
      - .address_space:  global
        .offset:         112
        .size:           8
        .value_kind:     global_buffer
      - .offset:         120
        .size:           4
        .value_kind:     by_value
      - .offset:         124
        .size:           4
        .value_kind:     by_value
      - .offset:         128
        .size:           4
        .value_kind:     by_value
      - .offset:         132
        .size:           4
        .value_kind:     by_value
      - .offset:         136
        .size:           4
        .value_kind:     by_value
      - .offset:         144
        .size:           4
        .value_kind:     hidden_block_count_x
      - .offset:         148
        .size:           4
        .value_kind:     hidden_block_count_y
      - .offset:         152
        .size:           4
        .value_kind:     hidden_block_count_z
      - .offset:         156
        .size:           2
        .value_kind:     hidden_group_size_x
      - .offset:         158
        .size:           2
        .value_kind:     hidden_group_size_y
      - .offset:         160
        .size:           2
        .value_kind:     hidden_group_size_z
      - .offset:         162
        .size:           2
        .value_kind:     hidden_remainder_x
      - .offset:         164
        .size:           2
        .value_kind:     hidden_remainder_y
      - .offset:         166
        .size:           2
        .value_kind:     hidden_remainder_z
      - .offset:         184
        .size:           8
        .value_kind:     hidden_global_offset_x
      - .offset:         192
        .size:           8
        .value_kind:     hidden_global_offset_y
      - .offset:         200
        .size:           8
        .value_kind:     hidden_global_offset_z
      - .offset:         208
        .size:           2
        .value_kind:     hidden_grid_dims
      - .offset:         264
        .size:           4
        .value_kind:     hidden_dynamic_lds_size
    .group_segment_fixed_size: 160
    .kernarg_segment_align: 8
    .kernarg_segment_size: 400
    .language:       OpenCL C
    .language_version:
      - 2
      - 0
    .max_flat_workgroup_size: 1024
    .name:           _ZN4vllm25paged_attention_v2_kernelIfhLi32ELi8ELi128ELNS_18Fp8KVCacheDataTypeE1ELb0ELi512EEEvPfS2_PT_PKS3_PKT0_S9_ifPKiSB_iPKfiiiSD_SD_iiiii
    .private_segment_fixed_size: 0
    .sgpr_count:     40
    .sgpr_spill_count: 0
    .symbol:         _ZN4vllm25paged_attention_v2_kernelIfhLi32ELi8ELi128ELNS_18Fp8KVCacheDataTypeE1ELb0ELi512EEEvPfS2_PT_PKS3_PKT0_S9_ifPKiSB_iPKfiiiSD_SD_iiiii.kd
    .uniform_work_group_size: 1
    .uses_dynamic_stack: false
    .vgpr_count:     35
    .vgpr_spill_count: 0
    .wavefront_size: 32
    .workgroup_processor_mode: 1
  - .args:
      - .actual_access:  write_only
        .address_space:  global
        .offset:         0
        .size:           8
        .value_kind:     global_buffer
      - .actual_access:  write_only
        .address_space:  global
        .offset:         8
        .size:           8
        .value_kind:     global_buffer
      - .actual_access:  write_only
        .address_space:  global
        .offset:         16
        .size:           8
        .value_kind:     global_buffer
      - .actual_access:  read_only
        .address_space:  global
        .offset:         24
        .size:           8
        .value_kind:     global_buffer
      - .actual_access:  read_only
        .address_space:  global
        .offset:         32
        .size:           8
        .value_kind:     global_buffer
      - .actual_access:  read_only
        .address_space:  global
        .offset:         40
        .size:           8
        .value_kind:     global_buffer
      - .offset:         48
        .size:           4
        .value_kind:     by_value
      - .offset:         52
        .size:           4
        .value_kind:     by_value
      - .actual_access:  read_only
        .address_space:  global
        .offset:         56
        .size:           8
        .value_kind:     global_buffer
      - .actual_access:  read_only
        .address_space:  global
        .offset:         64
        .size:           8
        .value_kind:     global_buffer
      - .offset:         72
        .size:           4
        .value_kind:     by_value
      - .actual_access:  read_only
        .address_space:  global
        .offset:         80
        .size:           8
        .value_kind:     global_buffer
      - .offset:         88
        .size:           4
        .value_kind:     by_value
      - .offset:         92
        .size:           4
        .value_kind:     by_value
      - .offset:         96
        .size:           4
        .value_kind:     by_value
      - .address_space:  global
        .offset:         104
        .size:           8
        .value_kind:     global_buffer
      - .address_space:  global
        .offset:         112
        .size:           8
        .value_kind:     global_buffer
      - .offset:         120
        .size:           4
        .value_kind:     by_value
      - .offset:         124
        .size:           4
        .value_kind:     by_value
      - .offset:         128
        .size:           4
        .value_kind:     by_value
      - .offset:         132
        .size:           4
        .value_kind:     by_value
      - .offset:         136
        .size:           4
        .value_kind:     by_value
      - .offset:         144
        .size:           4
        .value_kind:     hidden_block_count_x
      - .offset:         148
        .size:           4
        .value_kind:     hidden_block_count_y
      - .offset:         152
        .size:           4
        .value_kind:     hidden_block_count_z
      - .offset:         156
        .size:           2
        .value_kind:     hidden_group_size_x
      - .offset:         158
        .size:           2
        .value_kind:     hidden_group_size_y
      - .offset:         160
        .size:           2
        .value_kind:     hidden_group_size_z
      - .offset:         162
        .size:           2
        .value_kind:     hidden_remainder_x
      - .offset:         164
        .size:           2
        .value_kind:     hidden_remainder_y
      - .offset:         166
        .size:           2
        .value_kind:     hidden_remainder_z
      - .offset:         184
        .size:           8
        .value_kind:     hidden_global_offset_x
      - .offset:         192
        .size:           8
        .value_kind:     hidden_global_offset_y
      - .offset:         200
        .size:           8
        .value_kind:     hidden_global_offset_z
      - .offset:         208
        .size:           2
        .value_kind:     hidden_grid_dims
      - .offset:         264
        .size:           4
        .value_kind:     hidden_dynamic_lds_size
    .group_segment_fixed_size: 288
    .kernarg_segment_align: 8
    .kernarg_segment_size: 400
    .language:       OpenCL C
    .language_version:
      - 2
      - 0
    .max_flat_workgroup_size: 1024
    .name:           _ZN4vllm25paged_attention_v2_kernelIfhLi64ELi8ELi128ELNS_18Fp8KVCacheDataTypeE1ELb0ELi512EEEvPfS2_PT_PKS3_PKT0_S9_ifPKiSB_iPKfiiiSD_SD_iiiii
    .private_segment_fixed_size: 0
    .sgpr_count:     38
    .sgpr_spill_count: 0
    .symbol:         _ZN4vllm25paged_attention_v2_kernelIfhLi64ELi8ELi128ELNS_18Fp8KVCacheDataTypeE1ELb0ELi512EEEvPfS2_PT_PKS3_PKT0_S9_ifPKiSB_iPKfiiiSD_SD_iiiii.kd
    .uniform_work_group_size: 1
    .uses_dynamic_stack: false
    .vgpr_count:     51
    .vgpr_spill_count: 0
    .wavefront_size: 32
    .workgroup_processor_mode: 1
  - .args:
      - .actual_access:  write_only
        .address_space:  global
        .offset:         0
        .size:           8
        .value_kind:     global_buffer
      - .actual_access:  write_only
        .address_space:  global
        .offset:         8
        .size:           8
        .value_kind:     global_buffer
      - .actual_access:  write_only
        .address_space:  global
        .offset:         16
        .size:           8
        .value_kind:     global_buffer
      - .actual_access:  read_only
        .address_space:  global
        .offset:         24
        .size:           8
        .value_kind:     global_buffer
      - .actual_access:  read_only
        .address_space:  global
        .offset:         32
        .size:           8
        .value_kind:     global_buffer
      - .actual_access:  read_only
        .address_space:  global
        .offset:         40
        .size:           8
        .value_kind:     global_buffer
      - .offset:         48
        .size:           4
        .value_kind:     by_value
      - .offset:         52
        .size:           4
        .value_kind:     by_value
      - .actual_access:  read_only
        .address_space:  global
        .offset:         56
        .size:           8
        .value_kind:     global_buffer
      - .actual_access:  read_only
        .address_space:  global
        .offset:         64
        .size:           8
        .value_kind:     global_buffer
      - .offset:         72
        .size:           4
        .value_kind:     by_value
      - .actual_access:  read_only
        .address_space:  global
        .offset:         80
        .size:           8
        .value_kind:     global_buffer
      - .offset:         88
        .size:           4
        .value_kind:     by_value
      - .offset:         92
        .size:           4
        .value_kind:     by_value
      - .offset:         96
        .size:           4
        .value_kind:     by_value
      - .address_space:  global
        .offset:         104
        .size:           8
        .value_kind:     global_buffer
      - .address_space:  global
        .offset:         112
        .size:           8
        .value_kind:     global_buffer
      - .offset:         120
        .size:           4
        .value_kind:     by_value
      - .offset:         124
        .size:           4
        .value_kind:     by_value
      - .offset:         128
        .size:           4
        .value_kind:     by_value
      - .offset:         132
        .size:           4
        .value_kind:     by_value
      - .offset:         136
        .size:           4
        .value_kind:     by_value
      - .offset:         144
        .size:           4
        .value_kind:     hidden_block_count_x
      - .offset:         148
        .size:           4
        .value_kind:     hidden_block_count_y
      - .offset:         152
        .size:           4
        .value_kind:     hidden_block_count_z
      - .offset:         156
        .size:           2
        .value_kind:     hidden_group_size_x
      - .offset:         158
        .size:           2
        .value_kind:     hidden_group_size_y
      - .offset:         160
        .size:           2
        .value_kind:     hidden_group_size_z
      - .offset:         162
        .size:           2
        .value_kind:     hidden_remainder_x
      - .offset:         164
        .size:           2
        .value_kind:     hidden_remainder_y
      - .offset:         166
        .size:           2
        .value_kind:     hidden_remainder_z
      - .offset:         184
        .size:           8
        .value_kind:     hidden_global_offset_x
      - .offset:         192
        .size:           8
        .value_kind:     hidden_global_offset_y
      - .offset:         200
        .size:           8
        .value_kind:     hidden_global_offset_z
      - .offset:         208
        .size:           2
        .value_kind:     hidden_grid_dims
      - .offset:         264
        .size:           4
        .value_kind:     hidden_dynamic_lds_size
    .group_segment_fixed_size: 352
    .kernarg_segment_align: 8
    .kernarg_segment_size: 400
    .language:       OpenCL C
    .language_version:
      - 2
      - 0
    .max_flat_workgroup_size: 1024
    .name:           _ZN4vllm25paged_attention_v2_kernelIfhLi80ELi8ELi128ELNS_18Fp8KVCacheDataTypeE1ELb0ELi512EEEvPfS2_PT_PKS3_PKT0_S9_ifPKiSB_iPKfiiiSD_SD_iiiii
    .private_segment_fixed_size: 0
    .sgpr_count:     40
    .sgpr_spill_count: 0
    .symbol:         _ZN4vllm25paged_attention_v2_kernelIfhLi80ELi8ELi128ELNS_18Fp8KVCacheDataTypeE1ELb0ELi512EEEvPfS2_PT_PKS3_PKT0_S9_ifPKiSB_iPKfiiiSD_SD_iiiii.kd
    .uniform_work_group_size: 1
    .uses_dynamic_stack: false
    .vgpr_count:     59
    .vgpr_spill_count: 0
    .wavefront_size: 32
    .workgroup_processor_mode: 1
  - .args:
      - .actual_access:  write_only
        .address_space:  global
        .offset:         0
        .size:           8
        .value_kind:     global_buffer
      - .actual_access:  write_only
        .address_space:  global
        .offset:         8
        .size:           8
        .value_kind:     global_buffer
      - .actual_access:  write_only
        .address_space:  global
        .offset:         16
        .size:           8
        .value_kind:     global_buffer
      - .actual_access:  read_only
        .address_space:  global
        .offset:         24
        .size:           8
        .value_kind:     global_buffer
      - .actual_access:  read_only
        .address_space:  global
        .offset:         32
        .size:           8
        .value_kind:     global_buffer
      - .actual_access:  read_only
        .address_space:  global
        .offset:         40
        .size:           8
        .value_kind:     global_buffer
      - .offset:         48
        .size:           4
        .value_kind:     by_value
      - .offset:         52
        .size:           4
        .value_kind:     by_value
      - .actual_access:  read_only
        .address_space:  global
        .offset:         56
        .size:           8
        .value_kind:     global_buffer
      - .actual_access:  read_only
        .address_space:  global
        .offset:         64
        .size:           8
        .value_kind:     global_buffer
      - .offset:         72
        .size:           4
        .value_kind:     by_value
      - .actual_access:  read_only
        .address_space:  global
        .offset:         80
        .size:           8
        .value_kind:     global_buffer
      - .offset:         88
        .size:           4
        .value_kind:     by_value
      - .offset:         92
        .size:           4
        .value_kind:     by_value
      - .offset:         96
        .size:           4
        .value_kind:     by_value
      - .address_space:  global
        .offset:         104
        .size:           8
        .value_kind:     global_buffer
      - .address_space:  global
        .offset:         112
        .size:           8
        .value_kind:     global_buffer
      - .offset:         120
        .size:           4
        .value_kind:     by_value
      - .offset:         124
        .size:           4
        .value_kind:     by_value
      - .offset:         128
        .size:           4
        .value_kind:     by_value
      - .offset:         132
        .size:           4
        .value_kind:     by_value
      - .offset:         136
        .size:           4
        .value_kind:     by_value
      - .offset:         144
        .size:           4
        .value_kind:     hidden_block_count_x
      - .offset:         148
        .size:           4
        .value_kind:     hidden_block_count_y
      - .offset:         152
        .size:           4
        .value_kind:     hidden_block_count_z
      - .offset:         156
        .size:           2
        .value_kind:     hidden_group_size_x
      - .offset:         158
        .size:           2
        .value_kind:     hidden_group_size_y
      - .offset:         160
        .size:           2
        .value_kind:     hidden_group_size_z
      - .offset:         162
        .size:           2
        .value_kind:     hidden_remainder_x
      - .offset:         164
        .size:           2
        .value_kind:     hidden_remainder_y
      - .offset:         166
        .size:           2
        .value_kind:     hidden_remainder_z
      - .offset:         184
        .size:           8
        .value_kind:     hidden_global_offset_x
      - .offset:         192
        .size:           8
        .value_kind:     hidden_global_offset_y
      - .offset:         200
        .size:           8
        .value_kind:     hidden_global_offset_z
      - .offset:         208
        .size:           2
        .value_kind:     hidden_grid_dims
      - .offset:         264
        .size:           4
        .value_kind:     hidden_dynamic_lds_size
    .group_segment_fixed_size: 416
    .kernarg_segment_align: 8
    .kernarg_segment_size: 400
    .language:       OpenCL C
    .language_version:
      - 2
      - 0
    .max_flat_workgroup_size: 1024
    .name:           _ZN4vllm25paged_attention_v2_kernelIfhLi96ELi8ELi128ELNS_18Fp8KVCacheDataTypeE1ELb0ELi512EEEvPfS2_PT_PKS3_PKT0_S9_ifPKiSB_iPKfiiiSD_SD_iiiii
    .private_segment_fixed_size: 0
    .sgpr_count:     40
    .sgpr_spill_count: 0
    .symbol:         _ZN4vllm25paged_attention_v2_kernelIfhLi96ELi8ELi128ELNS_18Fp8KVCacheDataTypeE1ELb0ELi512EEEvPfS2_PT_PKS3_PKT0_S9_ifPKiSB_iPKfiiiSD_SD_iiiii.kd
    .uniform_work_group_size: 1
    .uses_dynamic_stack: false
    .vgpr_count:     67
    .vgpr_spill_count: 0
    .wavefront_size: 32
    .workgroup_processor_mode: 1
  - .args:
      - .actual_access:  write_only
        .address_space:  global
        .offset:         0
        .size:           8
        .value_kind:     global_buffer
      - .actual_access:  write_only
        .address_space:  global
        .offset:         8
        .size:           8
        .value_kind:     global_buffer
      - .actual_access:  write_only
        .address_space:  global
        .offset:         16
        .size:           8
        .value_kind:     global_buffer
      - .actual_access:  read_only
        .address_space:  global
        .offset:         24
        .size:           8
        .value_kind:     global_buffer
      - .actual_access:  read_only
        .address_space:  global
        .offset:         32
        .size:           8
        .value_kind:     global_buffer
      - .actual_access:  read_only
        .address_space:  global
        .offset:         40
        .size:           8
        .value_kind:     global_buffer
      - .offset:         48
        .size:           4
        .value_kind:     by_value
      - .offset:         52
        .size:           4
        .value_kind:     by_value
      - .actual_access:  read_only
        .address_space:  global
        .offset:         56
        .size:           8
        .value_kind:     global_buffer
      - .actual_access:  read_only
        .address_space:  global
        .offset:         64
        .size:           8
        .value_kind:     global_buffer
      - .offset:         72
        .size:           4
        .value_kind:     by_value
      - .actual_access:  read_only
        .address_space:  global
        .offset:         80
        .size:           8
        .value_kind:     global_buffer
      - .offset:         88
        .size:           4
        .value_kind:     by_value
      - .offset:         92
        .size:           4
        .value_kind:     by_value
      - .offset:         96
        .size:           4
        .value_kind:     by_value
      - .address_space:  global
        .offset:         104
        .size:           8
        .value_kind:     global_buffer
      - .address_space:  global
        .offset:         112
        .size:           8
        .value_kind:     global_buffer
      - .offset:         120
        .size:           4
        .value_kind:     by_value
      - .offset:         124
        .size:           4
        .value_kind:     by_value
      - .offset:         128
        .size:           4
        .value_kind:     by_value
      - .offset:         132
        .size:           4
        .value_kind:     by_value
      - .offset:         136
        .size:           4
        .value_kind:     by_value
      - .offset:         144
        .size:           4
        .value_kind:     hidden_block_count_x
      - .offset:         148
        .size:           4
        .value_kind:     hidden_block_count_y
      - .offset:         152
        .size:           4
        .value_kind:     hidden_block_count_z
      - .offset:         156
        .size:           2
        .value_kind:     hidden_group_size_x
      - .offset:         158
        .size:           2
        .value_kind:     hidden_group_size_y
      - .offset:         160
        .size:           2
        .value_kind:     hidden_group_size_z
      - .offset:         162
        .size:           2
        .value_kind:     hidden_remainder_x
      - .offset:         164
        .size:           2
        .value_kind:     hidden_remainder_y
      - .offset:         166
        .size:           2
        .value_kind:     hidden_remainder_z
      - .offset:         184
        .size:           8
        .value_kind:     hidden_global_offset_x
      - .offset:         192
        .size:           8
        .value_kind:     hidden_global_offset_y
      - .offset:         200
        .size:           8
        .value_kind:     hidden_global_offset_z
      - .offset:         208
        .size:           2
        .value_kind:     hidden_grid_dims
      - .offset:         264
        .size:           4
        .value_kind:     hidden_dynamic_lds_size
    .group_segment_fixed_size: 480
    .kernarg_segment_align: 8
    .kernarg_segment_size: 400
    .language:       OpenCL C
    .language_version:
      - 2
      - 0
    .max_flat_workgroup_size: 1024
    .name:           _ZN4vllm25paged_attention_v2_kernelIfhLi112ELi8ELi128ELNS_18Fp8KVCacheDataTypeE1ELb0ELi512EEEvPfS2_PT_PKS3_PKT0_S9_ifPKiSB_iPKfiiiSD_SD_iiiii
    .private_segment_fixed_size: 0
    .sgpr_count:     40
    .sgpr_spill_count: 0
    .symbol:         _ZN4vllm25paged_attention_v2_kernelIfhLi112ELi8ELi128ELNS_18Fp8KVCacheDataTypeE1ELb0ELi512EEEvPfS2_PT_PKS3_PKT0_S9_ifPKiSB_iPKfiiiSD_SD_iiiii.kd
    .uniform_work_group_size: 1
    .uses_dynamic_stack: false
    .vgpr_count:     75
    .vgpr_spill_count: 0
    .wavefront_size: 32
    .workgroup_processor_mode: 1
  - .args:
      - .actual_access:  write_only
        .address_space:  global
        .offset:         0
        .size:           8
        .value_kind:     global_buffer
      - .actual_access:  write_only
        .address_space:  global
        .offset:         8
        .size:           8
        .value_kind:     global_buffer
      - .actual_access:  write_only
        .address_space:  global
        .offset:         16
        .size:           8
        .value_kind:     global_buffer
      - .actual_access:  read_only
        .address_space:  global
        .offset:         24
        .size:           8
        .value_kind:     global_buffer
      - .actual_access:  read_only
        .address_space:  global
        .offset:         32
        .size:           8
        .value_kind:     global_buffer
      - .actual_access:  read_only
        .address_space:  global
        .offset:         40
        .size:           8
        .value_kind:     global_buffer
      - .offset:         48
        .size:           4
        .value_kind:     by_value
      - .offset:         52
        .size:           4
        .value_kind:     by_value
      - .actual_access:  read_only
        .address_space:  global
        .offset:         56
        .size:           8
        .value_kind:     global_buffer
      - .actual_access:  read_only
        .address_space:  global
        .offset:         64
        .size:           8
        .value_kind:     global_buffer
      - .offset:         72
        .size:           4
        .value_kind:     by_value
      - .actual_access:  read_only
        .address_space:  global
        .offset:         80
        .size:           8
        .value_kind:     global_buffer
      - .offset:         88
        .size:           4
        .value_kind:     by_value
      - .offset:         92
        .size:           4
        .value_kind:     by_value
      - .offset:         96
        .size:           4
        .value_kind:     by_value
      - .address_space:  global
        .offset:         104
        .size:           8
        .value_kind:     global_buffer
      - .address_space:  global
        .offset:         112
        .size:           8
        .value_kind:     global_buffer
      - .offset:         120
        .size:           4
        .value_kind:     by_value
      - .offset:         124
        .size:           4
        .value_kind:     by_value
      - .offset:         128
        .size:           4
        .value_kind:     by_value
      - .offset:         132
        .size:           4
        .value_kind:     by_value
      - .offset:         136
        .size:           4
        .value_kind:     by_value
      - .offset:         144
        .size:           4
        .value_kind:     hidden_block_count_x
      - .offset:         148
        .size:           4
        .value_kind:     hidden_block_count_y
      - .offset:         152
        .size:           4
        .value_kind:     hidden_block_count_z
      - .offset:         156
        .size:           2
        .value_kind:     hidden_group_size_x
      - .offset:         158
        .size:           2
        .value_kind:     hidden_group_size_y
      - .offset:         160
        .size:           2
        .value_kind:     hidden_group_size_z
      - .offset:         162
        .size:           2
        .value_kind:     hidden_remainder_x
      - .offset:         164
        .size:           2
        .value_kind:     hidden_remainder_y
      - .offset:         166
        .size:           2
        .value_kind:     hidden_remainder_z
      - .offset:         184
        .size:           8
        .value_kind:     hidden_global_offset_x
      - .offset:         192
        .size:           8
        .value_kind:     hidden_global_offset_y
      - .offset:         200
        .size:           8
        .value_kind:     hidden_global_offset_z
      - .offset:         208
        .size:           2
        .value_kind:     hidden_grid_dims
      - .offset:         264
        .size:           4
        .value_kind:     hidden_dynamic_lds_size
    .group_segment_fixed_size: 512
    .kernarg_segment_align: 8
    .kernarg_segment_size: 400
    .language:       OpenCL C
    .language_version:
      - 2
      - 0
    .max_flat_workgroup_size: 1024
    .name:           _ZN4vllm25paged_attention_v2_kernelIfhLi120ELi8ELi128ELNS_18Fp8KVCacheDataTypeE1ELb0ELi512EEEvPfS2_PT_PKS3_PKT0_S9_ifPKiSB_iPKfiiiSD_SD_iiiii
    .private_segment_fixed_size: 0
    .sgpr_count:     38
    .sgpr_spill_count: 0
    .symbol:         _ZN4vllm25paged_attention_v2_kernelIfhLi120ELi8ELi128ELNS_18Fp8KVCacheDataTypeE1ELb0ELi512EEEvPfS2_PT_PKS3_PKT0_S9_ifPKiSB_iPKfiiiSD_SD_iiiii.kd
    .uniform_work_group_size: 1
    .uses_dynamic_stack: false
    .vgpr_count:     79
    .vgpr_spill_count: 0
    .wavefront_size: 32
    .workgroup_processor_mode: 1
  - .args:
      - .actual_access:  write_only
        .address_space:  global
        .offset:         0
        .size:           8
        .value_kind:     global_buffer
      - .actual_access:  write_only
        .address_space:  global
        .offset:         8
        .size:           8
        .value_kind:     global_buffer
      - .actual_access:  write_only
        .address_space:  global
        .offset:         16
        .size:           8
        .value_kind:     global_buffer
      - .actual_access:  read_only
        .address_space:  global
        .offset:         24
        .size:           8
        .value_kind:     global_buffer
      - .actual_access:  read_only
        .address_space:  global
        .offset:         32
        .size:           8
        .value_kind:     global_buffer
      - .actual_access:  read_only
        .address_space:  global
        .offset:         40
        .size:           8
        .value_kind:     global_buffer
      - .offset:         48
        .size:           4
        .value_kind:     by_value
      - .offset:         52
        .size:           4
        .value_kind:     by_value
      - .actual_access:  read_only
        .address_space:  global
        .offset:         56
        .size:           8
        .value_kind:     global_buffer
      - .actual_access:  read_only
        .address_space:  global
        .offset:         64
        .size:           8
        .value_kind:     global_buffer
      - .offset:         72
        .size:           4
        .value_kind:     by_value
      - .actual_access:  read_only
        .address_space:  global
        .offset:         80
        .size:           8
        .value_kind:     global_buffer
      - .offset:         88
        .size:           4
        .value_kind:     by_value
      - .offset:         92
        .size:           4
        .value_kind:     by_value
      - .offset:         96
        .size:           4
        .value_kind:     by_value
      - .address_space:  global
        .offset:         104
        .size:           8
        .value_kind:     global_buffer
      - .address_space:  global
        .offset:         112
        .size:           8
        .value_kind:     global_buffer
      - .offset:         120
        .size:           4
        .value_kind:     by_value
      - .offset:         124
        .size:           4
        .value_kind:     by_value
      - .offset:         128
        .size:           4
        .value_kind:     by_value
      - .offset:         132
        .size:           4
        .value_kind:     by_value
      - .offset:         136
        .size:           4
        .value_kind:     by_value
      - .offset:         144
        .size:           4
        .value_kind:     hidden_block_count_x
      - .offset:         148
        .size:           4
        .value_kind:     hidden_block_count_y
      - .offset:         152
        .size:           4
        .value_kind:     hidden_block_count_z
      - .offset:         156
        .size:           2
        .value_kind:     hidden_group_size_x
      - .offset:         158
        .size:           2
        .value_kind:     hidden_group_size_y
      - .offset:         160
        .size:           2
        .value_kind:     hidden_group_size_z
      - .offset:         162
        .size:           2
        .value_kind:     hidden_remainder_x
      - .offset:         164
        .size:           2
        .value_kind:     hidden_remainder_y
      - .offset:         166
        .size:           2
        .value_kind:     hidden_remainder_z
      - .offset:         184
        .size:           8
        .value_kind:     hidden_global_offset_x
      - .offset:         192
        .size:           8
        .value_kind:     hidden_global_offset_y
      - .offset:         200
        .size:           8
        .value_kind:     hidden_global_offset_z
      - .offset:         208
        .size:           2
        .value_kind:     hidden_grid_dims
      - .offset:         264
        .size:           4
        .value_kind:     hidden_dynamic_lds_size
    .group_segment_fixed_size: 544
    .kernarg_segment_align: 8
    .kernarg_segment_size: 400
    .language:       OpenCL C
    .language_version:
      - 2
      - 0
    .max_flat_workgroup_size: 1024
    .name:           _ZN4vllm25paged_attention_v2_kernelIfhLi128ELi8ELi128ELNS_18Fp8KVCacheDataTypeE1ELb0ELi512EEEvPfS2_PT_PKS3_PKT0_S9_ifPKiSB_iPKfiiiSD_SD_iiiii
    .private_segment_fixed_size: 0
    .sgpr_count:     40
    .sgpr_spill_count: 0
    .symbol:         _ZN4vllm25paged_attention_v2_kernelIfhLi128ELi8ELi128ELNS_18Fp8KVCacheDataTypeE1ELb0ELi512EEEvPfS2_PT_PKS3_PKT0_S9_ifPKiSB_iPKfiiiSD_SD_iiiii.kd
    .uniform_work_group_size: 1
    .uses_dynamic_stack: false
    .vgpr_count:     83
    .vgpr_spill_count: 0
    .wavefront_size: 32
    .workgroup_processor_mode: 1
  - .args:
      - .actual_access:  write_only
        .address_space:  global
        .offset:         0
        .size:           8
        .value_kind:     global_buffer
      - .actual_access:  write_only
        .address_space:  global
        .offset:         8
        .size:           8
        .value_kind:     global_buffer
      - .actual_access:  write_only
        .address_space:  global
        .offset:         16
        .size:           8
        .value_kind:     global_buffer
      - .actual_access:  read_only
        .address_space:  global
        .offset:         24
        .size:           8
        .value_kind:     global_buffer
      - .actual_access:  read_only
        .address_space:  global
        .offset:         32
        .size:           8
        .value_kind:     global_buffer
      - .actual_access:  read_only
        .address_space:  global
        .offset:         40
        .size:           8
        .value_kind:     global_buffer
      - .offset:         48
        .size:           4
        .value_kind:     by_value
      - .offset:         52
        .size:           4
        .value_kind:     by_value
      - .actual_access:  read_only
        .address_space:  global
        .offset:         56
        .size:           8
        .value_kind:     global_buffer
      - .actual_access:  read_only
        .address_space:  global
        .offset:         64
        .size:           8
        .value_kind:     global_buffer
      - .offset:         72
        .size:           4
        .value_kind:     by_value
      - .actual_access:  read_only
        .address_space:  global
        .offset:         80
        .size:           8
        .value_kind:     global_buffer
      - .offset:         88
        .size:           4
        .value_kind:     by_value
      - .offset:         92
        .size:           4
        .value_kind:     by_value
      - .offset:         96
        .size:           4
        .value_kind:     by_value
      - .address_space:  global
        .offset:         104
        .size:           8
        .value_kind:     global_buffer
      - .address_space:  global
        .offset:         112
        .size:           8
        .value_kind:     global_buffer
      - .offset:         120
        .size:           4
        .value_kind:     by_value
      - .offset:         124
        .size:           4
        .value_kind:     by_value
      - .offset:         128
        .size:           4
        .value_kind:     by_value
      - .offset:         132
        .size:           4
        .value_kind:     by_value
      - .offset:         136
        .size:           4
        .value_kind:     by_value
      - .offset:         144
        .size:           4
        .value_kind:     hidden_block_count_x
      - .offset:         148
        .size:           4
        .value_kind:     hidden_block_count_y
      - .offset:         152
        .size:           4
        .value_kind:     hidden_block_count_z
      - .offset:         156
        .size:           2
        .value_kind:     hidden_group_size_x
      - .offset:         158
        .size:           2
        .value_kind:     hidden_group_size_y
      - .offset:         160
        .size:           2
        .value_kind:     hidden_group_size_z
      - .offset:         162
        .size:           2
        .value_kind:     hidden_remainder_x
      - .offset:         164
        .size:           2
        .value_kind:     hidden_remainder_y
      - .offset:         166
        .size:           2
        .value_kind:     hidden_remainder_z
      - .offset:         184
        .size:           8
        .value_kind:     hidden_global_offset_x
      - .offset:         192
        .size:           8
        .value_kind:     hidden_global_offset_y
      - .offset:         200
        .size:           8
        .value_kind:     hidden_global_offset_z
      - .offset:         208
        .size:           2
        .value_kind:     hidden_grid_dims
      - .offset:         264
        .size:           4
        .value_kind:     hidden_dynamic_lds_size
    .group_segment_fixed_size: 800
    .kernarg_segment_align: 8
    .kernarg_segment_size: 400
    .language:       OpenCL C
    .language_version:
      - 2
      - 0
    .max_flat_workgroup_size: 1024
    .name:           _ZN4vllm25paged_attention_v2_kernelIfhLi192ELi8ELi128ELNS_18Fp8KVCacheDataTypeE1ELb0ELi512EEEvPfS2_PT_PKS3_PKT0_S9_ifPKiSB_iPKfiiiSD_SD_iiiii
    .private_segment_fixed_size: 0
    .sgpr_count:     38
    .sgpr_spill_count: 0
    .symbol:         _ZN4vllm25paged_attention_v2_kernelIfhLi192ELi8ELi128ELNS_18Fp8KVCacheDataTypeE1ELb0ELi512EEEvPfS2_PT_PKS3_PKT0_S9_ifPKiSB_iPKfiiiSD_SD_iiiii.kd
    .uniform_work_group_size: 1
    .uses_dynamic_stack: false
    .vgpr_count:     115
    .vgpr_spill_count: 0
    .wavefront_size: 32
    .workgroup_processor_mode: 1
  - .args:
      - .actual_access:  write_only
        .address_space:  global
        .offset:         0
        .size:           8
        .value_kind:     global_buffer
      - .actual_access:  write_only
        .address_space:  global
        .offset:         8
        .size:           8
        .value_kind:     global_buffer
      - .actual_access:  write_only
        .address_space:  global
        .offset:         16
        .size:           8
        .value_kind:     global_buffer
      - .actual_access:  read_only
        .address_space:  global
        .offset:         24
        .size:           8
        .value_kind:     global_buffer
      - .actual_access:  read_only
        .address_space:  global
        .offset:         32
        .size:           8
        .value_kind:     global_buffer
      - .actual_access:  read_only
        .address_space:  global
        .offset:         40
        .size:           8
        .value_kind:     global_buffer
      - .offset:         48
        .size:           4
        .value_kind:     by_value
      - .offset:         52
        .size:           4
        .value_kind:     by_value
      - .actual_access:  read_only
        .address_space:  global
        .offset:         56
        .size:           8
        .value_kind:     global_buffer
      - .actual_access:  read_only
        .address_space:  global
        .offset:         64
        .size:           8
        .value_kind:     global_buffer
      - .offset:         72
        .size:           4
        .value_kind:     by_value
      - .actual_access:  read_only
        .address_space:  global
        .offset:         80
        .size:           8
        .value_kind:     global_buffer
      - .offset:         88
        .size:           4
        .value_kind:     by_value
      - .offset:         92
        .size:           4
        .value_kind:     by_value
      - .offset:         96
        .size:           4
        .value_kind:     by_value
      - .address_space:  global
        .offset:         104
        .size:           8
        .value_kind:     global_buffer
      - .address_space:  global
        .offset:         112
        .size:           8
        .value_kind:     global_buffer
      - .offset:         120
        .size:           4
        .value_kind:     by_value
      - .offset:         124
        .size:           4
        .value_kind:     by_value
      - .offset:         128
        .size:           4
        .value_kind:     by_value
      - .offset:         132
        .size:           4
        .value_kind:     by_value
      - .offset:         136
        .size:           4
        .value_kind:     by_value
      - .offset:         144
        .size:           4
        .value_kind:     hidden_block_count_x
      - .offset:         148
        .size:           4
        .value_kind:     hidden_block_count_y
      - .offset:         152
        .size:           4
        .value_kind:     hidden_block_count_z
      - .offset:         156
        .size:           2
        .value_kind:     hidden_group_size_x
      - .offset:         158
        .size:           2
        .value_kind:     hidden_group_size_y
      - .offset:         160
        .size:           2
        .value_kind:     hidden_group_size_z
      - .offset:         162
        .size:           2
        .value_kind:     hidden_remainder_x
      - .offset:         164
        .size:           2
        .value_kind:     hidden_remainder_y
      - .offset:         166
        .size:           2
        .value_kind:     hidden_remainder_z
      - .offset:         184
        .size:           8
        .value_kind:     hidden_global_offset_x
      - .offset:         192
        .size:           8
        .value_kind:     hidden_global_offset_y
      - .offset:         200
        .size:           8
        .value_kind:     hidden_global_offset_z
      - .offset:         208
        .size:           2
        .value_kind:     hidden_grid_dims
      - .offset:         264
        .size:           4
        .value_kind:     hidden_dynamic_lds_size
    .group_segment_fixed_size: 1056
    .kernarg_segment_align: 8
    .kernarg_segment_size: 400
    .language:       OpenCL C
    .language_version:
      - 2
      - 0
    .max_flat_workgroup_size: 1024
    .name:           _ZN4vllm25paged_attention_v2_kernelIfhLi256ELi8ELi128ELNS_18Fp8KVCacheDataTypeE1ELb0ELi512EEEvPfS2_PT_PKS3_PKT0_S9_ifPKiSB_iPKfiiiSD_SD_iiiii
    .private_segment_fixed_size: 0
    .sgpr_count:     38
    .sgpr_spill_count: 0
    .symbol:         _ZN4vllm25paged_attention_v2_kernelIfhLi256ELi8ELi128ELNS_18Fp8KVCacheDataTypeE1ELb0ELi512EEEvPfS2_PT_PKS3_PKT0_S9_ifPKiSB_iPKfiiiSD_SD_iiiii.kd
    .uniform_work_group_size: 1
    .uses_dynamic_stack: false
    .vgpr_count:     147
    .vgpr_spill_count: 0
    .wavefront_size: 32
    .workgroup_processor_mode: 1
  - .args:
      - .actual_access:  write_only
        .address_space:  global
        .offset:         0
        .size:           8
        .value_kind:     global_buffer
      - .actual_access:  write_only
        .address_space:  global
        .offset:         8
        .size:           8
        .value_kind:     global_buffer
      - .actual_access:  write_only
        .address_space:  global
        .offset:         16
        .size:           8
        .value_kind:     global_buffer
      - .actual_access:  read_only
        .address_space:  global
        .offset:         24
        .size:           8
        .value_kind:     global_buffer
      - .actual_access:  read_only
        .address_space:  global
        .offset:         32
        .size:           8
        .value_kind:     global_buffer
      - .actual_access:  read_only
        .address_space:  global
        .offset:         40
        .size:           8
        .value_kind:     global_buffer
      - .offset:         48
        .size:           4
        .value_kind:     by_value
      - .offset:         52
        .size:           4
        .value_kind:     by_value
      - .actual_access:  read_only
        .address_space:  global
        .offset:         56
        .size:           8
        .value_kind:     global_buffer
      - .actual_access:  read_only
        .address_space:  global
        .offset:         64
        .size:           8
        .value_kind:     global_buffer
      - .offset:         72
        .size:           4
        .value_kind:     by_value
      - .actual_access:  read_only
        .address_space:  global
        .offset:         80
        .size:           8
        .value_kind:     global_buffer
      - .offset:         88
        .size:           4
        .value_kind:     by_value
      - .offset:         92
        .size:           4
        .value_kind:     by_value
      - .offset:         96
        .size:           4
        .value_kind:     by_value
      - .address_space:  global
        .offset:         104
        .size:           8
        .value_kind:     global_buffer
      - .address_space:  global
        .offset:         112
        .size:           8
        .value_kind:     global_buffer
      - .offset:         120
        .size:           4
        .value_kind:     by_value
      - .offset:         124
        .size:           4
        .value_kind:     by_value
      - .offset:         128
        .size:           4
        .value_kind:     by_value
      - .offset:         132
        .size:           4
        .value_kind:     by_value
      - .offset:         136
        .size:           4
        .value_kind:     by_value
      - .offset:         144
        .size:           4
        .value_kind:     hidden_block_count_x
      - .offset:         148
        .size:           4
        .value_kind:     hidden_block_count_y
      - .offset:         152
        .size:           4
        .value_kind:     hidden_block_count_z
      - .offset:         156
        .size:           2
        .value_kind:     hidden_group_size_x
      - .offset:         158
        .size:           2
        .value_kind:     hidden_group_size_y
      - .offset:         160
        .size:           2
        .value_kind:     hidden_group_size_z
      - .offset:         162
        .size:           2
        .value_kind:     hidden_remainder_x
      - .offset:         164
        .size:           2
        .value_kind:     hidden_remainder_y
      - .offset:         166
        .size:           2
        .value_kind:     hidden_remainder_z
      - .offset:         184
        .size:           8
        .value_kind:     hidden_global_offset_x
      - .offset:         192
        .size:           8
        .value_kind:     hidden_global_offset_y
      - .offset:         200
        .size:           8
        .value_kind:     hidden_global_offset_z
      - .offset:         208
        .size:           2
        .value_kind:     hidden_grid_dims
      - .offset:         264
        .size:           4
        .value_kind:     hidden_dynamic_lds_size
    .group_segment_fixed_size: 160
    .kernarg_segment_align: 8
    .kernarg_segment_size: 400
    .language:       OpenCL C
    .language_version:
      - 2
      - 0
    .max_flat_workgroup_size: 1024
    .name:           _ZN4vllm25paged_attention_v2_kernelIfhLi32ELi16ELi128ELNS_18Fp8KVCacheDataTypeE1ELb1ELi512EEEvPfS2_PT_PKS3_PKT0_S9_ifPKiSB_iPKfiiiSD_SD_iiiii
    .private_segment_fixed_size: 0
    .sgpr_count:     47
    .sgpr_spill_count: 0
    .symbol:         _ZN4vllm25paged_attention_v2_kernelIfhLi32ELi16ELi128ELNS_18Fp8KVCacheDataTypeE1ELb1ELi512EEEvPfS2_PT_PKS3_PKT0_S9_ifPKiSB_iPKfiiiSD_SD_iiiii.kd
    .uniform_work_group_size: 1
    .uses_dynamic_stack: false
    .vgpr_count:     48
    .vgpr_spill_count: 0
    .wavefront_size: 32
    .workgroup_processor_mode: 1
  - .args:
      - .actual_access:  write_only
        .address_space:  global
        .offset:         0
        .size:           8
        .value_kind:     global_buffer
      - .actual_access:  write_only
        .address_space:  global
        .offset:         8
        .size:           8
        .value_kind:     global_buffer
      - .actual_access:  write_only
        .address_space:  global
        .offset:         16
        .size:           8
        .value_kind:     global_buffer
      - .actual_access:  read_only
        .address_space:  global
        .offset:         24
        .size:           8
        .value_kind:     global_buffer
      - .actual_access:  read_only
        .address_space:  global
        .offset:         32
        .size:           8
        .value_kind:     global_buffer
      - .actual_access:  read_only
        .address_space:  global
        .offset:         40
        .size:           8
        .value_kind:     global_buffer
      - .offset:         48
        .size:           4
        .value_kind:     by_value
      - .offset:         52
        .size:           4
        .value_kind:     by_value
      - .actual_access:  read_only
        .address_space:  global
        .offset:         56
        .size:           8
        .value_kind:     global_buffer
      - .actual_access:  read_only
        .address_space:  global
        .offset:         64
        .size:           8
        .value_kind:     global_buffer
      - .offset:         72
        .size:           4
        .value_kind:     by_value
      - .actual_access:  read_only
        .address_space:  global
        .offset:         80
        .size:           8
        .value_kind:     global_buffer
      - .offset:         88
        .size:           4
        .value_kind:     by_value
      - .offset:         92
        .size:           4
        .value_kind:     by_value
      - .offset:         96
        .size:           4
        .value_kind:     by_value
      - .address_space:  global
        .offset:         104
        .size:           8
        .value_kind:     global_buffer
      - .address_space:  global
        .offset:         112
        .size:           8
        .value_kind:     global_buffer
      - .offset:         120
        .size:           4
        .value_kind:     by_value
      - .offset:         124
        .size:           4
        .value_kind:     by_value
      - .offset:         128
        .size:           4
        .value_kind:     by_value
      - .offset:         132
        .size:           4
        .value_kind:     by_value
      - .offset:         136
        .size:           4
        .value_kind:     by_value
      - .offset:         144
        .size:           4
        .value_kind:     hidden_block_count_x
      - .offset:         148
        .size:           4
        .value_kind:     hidden_block_count_y
      - .offset:         152
        .size:           4
        .value_kind:     hidden_block_count_z
      - .offset:         156
        .size:           2
        .value_kind:     hidden_group_size_x
      - .offset:         158
        .size:           2
        .value_kind:     hidden_group_size_y
      - .offset:         160
        .size:           2
        .value_kind:     hidden_group_size_z
      - .offset:         162
        .size:           2
        .value_kind:     hidden_remainder_x
      - .offset:         164
        .size:           2
        .value_kind:     hidden_remainder_y
      - .offset:         166
        .size:           2
        .value_kind:     hidden_remainder_z
      - .offset:         184
        .size:           8
        .value_kind:     hidden_global_offset_x
      - .offset:         192
        .size:           8
        .value_kind:     hidden_global_offset_y
      - .offset:         200
        .size:           8
        .value_kind:     hidden_global_offset_z
      - .offset:         208
        .size:           2
        .value_kind:     hidden_grid_dims
      - .offset:         264
        .size:           4
        .value_kind:     hidden_dynamic_lds_size
    .group_segment_fixed_size: 288
    .kernarg_segment_align: 8
    .kernarg_segment_size: 400
    .language:       OpenCL C
    .language_version:
      - 2
      - 0
    .max_flat_workgroup_size: 1024
    .name:           _ZN4vllm25paged_attention_v2_kernelIfhLi64ELi16ELi128ELNS_18Fp8KVCacheDataTypeE1ELb1ELi512EEEvPfS2_PT_PKS3_PKT0_S9_ifPKiSB_iPKfiiiSD_SD_iiiii
    .private_segment_fixed_size: 0
    .sgpr_count:     48
    .sgpr_spill_count: 0
    .symbol:         _ZN4vllm25paged_attention_v2_kernelIfhLi64ELi16ELi128ELNS_18Fp8KVCacheDataTypeE1ELb1ELi512EEEvPfS2_PT_PKS3_PKT0_S9_ifPKiSB_iPKfiiiSD_SD_iiiii.kd
    .uniform_work_group_size: 1
    .uses_dynamic_stack: false
    .vgpr_count:     72
    .vgpr_spill_count: 0
    .wavefront_size: 32
    .workgroup_processor_mode: 1
  - .args:
      - .actual_access:  write_only
        .address_space:  global
        .offset:         0
        .size:           8
        .value_kind:     global_buffer
      - .actual_access:  write_only
        .address_space:  global
        .offset:         8
        .size:           8
        .value_kind:     global_buffer
      - .actual_access:  write_only
        .address_space:  global
        .offset:         16
        .size:           8
        .value_kind:     global_buffer
      - .actual_access:  read_only
        .address_space:  global
        .offset:         24
        .size:           8
        .value_kind:     global_buffer
      - .actual_access:  read_only
        .address_space:  global
        .offset:         32
        .size:           8
        .value_kind:     global_buffer
      - .actual_access:  read_only
        .address_space:  global
        .offset:         40
        .size:           8
        .value_kind:     global_buffer
      - .offset:         48
        .size:           4
        .value_kind:     by_value
      - .offset:         52
        .size:           4
        .value_kind:     by_value
      - .actual_access:  read_only
        .address_space:  global
        .offset:         56
        .size:           8
        .value_kind:     global_buffer
      - .actual_access:  read_only
        .address_space:  global
        .offset:         64
        .size:           8
        .value_kind:     global_buffer
      - .offset:         72
        .size:           4
        .value_kind:     by_value
      - .actual_access:  read_only
        .address_space:  global
        .offset:         80
        .size:           8
        .value_kind:     global_buffer
      - .offset:         88
        .size:           4
        .value_kind:     by_value
      - .offset:         92
        .size:           4
        .value_kind:     by_value
      - .offset:         96
        .size:           4
        .value_kind:     by_value
      - .address_space:  global
        .offset:         104
        .size:           8
        .value_kind:     global_buffer
      - .address_space:  global
        .offset:         112
        .size:           8
        .value_kind:     global_buffer
      - .offset:         120
        .size:           4
        .value_kind:     by_value
      - .offset:         124
        .size:           4
        .value_kind:     by_value
      - .offset:         128
        .size:           4
        .value_kind:     by_value
      - .offset:         132
        .size:           4
        .value_kind:     by_value
      - .offset:         136
        .size:           4
        .value_kind:     by_value
      - .offset:         144
        .size:           4
        .value_kind:     hidden_block_count_x
      - .offset:         148
        .size:           4
        .value_kind:     hidden_block_count_y
      - .offset:         152
        .size:           4
        .value_kind:     hidden_block_count_z
      - .offset:         156
        .size:           2
        .value_kind:     hidden_group_size_x
      - .offset:         158
        .size:           2
        .value_kind:     hidden_group_size_y
      - .offset:         160
        .size:           2
        .value_kind:     hidden_group_size_z
      - .offset:         162
        .size:           2
        .value_kind:     hidden_remainder_x
      - .offset:         164
        .size:           2
        .value_kind:     hidden_remainder_y
      - .offset:         166
        .size:           2
        .value_kind:     hidden_remainder_z
      - .offset:         184
        .size:           8
        .value_kind:     hidden_global_offset_x
      - .offset:         192
        .size:           8
        .value_kind:     hidden_global_offset_y
      - .offset:         200
        .size:           8
        .value_kind:     hidden_global_offset_z
      - .offset:         208
        .size:           2
        .value_kind:     hidden_grid_dims
      - .offset:         264
        .size:           4
        .value_kind:     hidden_dynamic_lds_size
    .group_segment_fixed_size: 352
    .kernarg_segment_align: 8
    .kernarg_segment_size: 400
    .language:       OpenCL C
    .language_version:
      - 2
      - 0
    .max_flat_workgroup_size: 1024
    .name:           _ZN4vllm25paged_attention_v2_kernelIfhLi80ELi16ELi128ELNS_18Fp8KVCacheDataTypeE1ELb1ELi512EEEvPfS2_PT_PKS3_PKT0_S9_ifPKiSB_iPKfiiiSD_SD_iiiii
    .private_segment_fixed_size: 0
    .sgpr_count:     47
    .sgpr_spill_count: 0
    .symbol:         _ZN4vllm25paged_attention_v2_kernelIfhLi80ELi16ELi128ELNS_18Fp8KVCacheDataTypeE1ELb1ELi512EEEvPfS2_PT_PKS3_PKT0_S9_ifPKiSB_iPKfiiiSD_SD_iiiii.kd
    .uniform_work_group_size: 1
    .uses_dynamic_stack: false
    .vgpr_count:     84
    .vgpr_spill_count: 0
    .wavefront_size: 32
    .workgroup_processor_mode: 1
  - .args:
      - .actual_access:  write_only
        .address_space:  global
        .offset:         0
        .size:           8
        .value_kind:     global_buffer
      - .actual_access:  write_only
        .address_space:  global
        .offset:         8
        .size:           8
        .value_kind:     global_buffer
      - .actual_access:  write_only
        .address_space:  global
        .offset:         16
        .size:           8
        .value_kind:     global_buffer
      - .actual_access:  read_only
        .address_space:  global
        .offset:         24
        .size:           8
        .value_kind:     global_buffer
      - .actual_access:  read_only
        .address_space:  global
        .offset:         32
        .size:           8
        .value_kind:     global_buffer
      - .actual_access:  read_only
        .address_space:  global
        .offset:         40
        .size:           8
        .value_kind:     global_buffer
      - .offset:         48
        .size:           4
        .value_kind:     by_value
      - .offset:         52
        .size:           4
        .value_kind:     by_value
      - .actual_access:  read_only
        .address_space:  global
        .offset:         56
        .size:           8
        .value_kind:     global_buffer
      - .actual_access:  read_only
        .address_space:  global
        .offset:         64
        .size:           8
        .value_kind:     global_buffer
      - .offset:         72
        .size:           4
        .value_kind:     by_value
      - .actual_access:  read_only
        .address_space:  global
        .offset:         80
        .size:           8
        .value_kind:     global_buffer
      - .offset:         88
        .size:           4
        .value_kind:     by_value
      - .offset:         92
        .size:           4
        .value_kind:     by_value
      - .offset:         96
        .size:           4
        .value_kind:     by_value
      - .address_space:  global
        .offset:         104
        .size:           8
        .value_kind:     global_buffer
      - .address_space:  global
        .offset:         112
        .size:           8
        .value_kind:     global_buffer
      - .offset:         120
        .size:           4
        .value_kind:     by_value
      - .offset:         124
        .size:           4
        .value_kind:     by_value
      - .offset:         128
        .size:           4
        .value_kind:     by_value
      - .offset:         132
        .size:           4
        .value_kind:     by_value
      - .offset:         136
        .size:           4
        .value_kind:     by_value
      - .offset:         144
        .size:           4
        .value_kind:     hidden_block_count_x
      - .offset:         148
        .size:           4
        .value_kind:     hidden_block_count_y
      - .offset:         152
        .size:           4
        .value_kind:     hidden_block_count_z
      - .offset:         156
        .size:           2
        .value_kind:     hidden_group_size_x
      - .offset:         158
        .size:           2
        .value_kind:     hidden_group_size_y
      - .offset:         160
        .size:           2
        .value_kind:     hidden_group_size_z
      - .offset:         162
        .size:           2
        .value_kind:     hidden_remainder_x
      - .offset:         164
        .size:           2
        .value_kind:     hidden_remainder_y
      - .offset:         166
        .size:           2
        .value_kind:     hidden_remainder_z
      - .offset:         184
        .size:           8
        .value_kind:     hidden_global_offset_x
      - .offset:         192
        .size:           8
        .value_kind:     hidden_global_offset_y
      - .offset:         200
        .size:           8
        .value_kind:     hidden_global_offset_z
      - .offset:         208
        .size:           2
        .value_kind:     hidden_grid_dims
      - .offset:         264
        .size:           4
        .value_kind:     hidden_dynamic_lds_size
    .group_segment_fixed_size: 416
    .kernarg_segment_align: 8
    .kernarg_segment_size: 400
    .language:       OpenCL C
    .language_version:
      - 2
      - 0
    .max_flat_workgroup_size: 1024
    .name:           _ZN4vllm25paged_attention_v2_kernelIfhLi96ELi16ELi128ELNS_18Fp8KVCacheDataTypeE1ELb1ELi512EEEvPfS2_PT_PKS3_PKT0_S9_ifPKiSB_iPKfiiiSD_SD_iiiii
    .private_segment_fixed_size: 0
    .sgpr_count:     47
    .sgpr_spill_count: 0
    .symbol:         _ZN4vllm25paged_attention_v2_kernelIfhLi96ELi16ELi128ELNS_18Fp8KVCacheDataTypeE1ELb1ELi512EEEvPfS2_PT_PKS3_PKT0_S9_ifPKiSB_iPKfiiiSD_SD_iiiii.kd
    .uniform_work_group_size: 1
    .uses_dynamic_stack: false
    .vgpr_count:     96
    .vgpr_spill_count: 0
    .wavefront_size: 32
    .workgroup_processor_mode: 1
  - .args:
      - .actual_access:  write_only
        .address_space:  global
        .offset:         0
        .size:           8
        .value_kind:     global_buffer
      - .actual_access:  write_only
        .address_space:  global
        .offset:         8
        .size:           8
        .value_kind:     global_buffer
      - .actual_access:  write_only
        .address_space:  global
        .offset:         16
        .size:           8
        .value_kind:     global_buffer
      - .actual_access:  read_only
        .address_space:  global
        .offset:         24
        .size:           8
        .value_kind:     global_buffer
      - .actual_access:  read_only
        .address_space:  global
        .offset:         32
        .size:           8
        .value_kind:     global_buffer
      - .actual_access:  read_only
        .address_space:  global
        .offset:         40
        .size:           8
        .value_kind:     global_buffer
      - .offset:         48
        .size:           4
        .value_kind:     by_value
      - .offset:         52
        .size:           4
        .value_kind:     by_value
      - .actual_access:  read_only
        .address_space:  global
        .offset:         56
        .size:           8
        .value_kind:     global_buffer
      - .actual_access:  read_only
        .address_space:  global
        .offset:         64
        .size:           8
        .value_kind:     global_buffer
      - .offset:         72
        .size:           4
        .value_kind:     by_value
      - .actual_access:  read_only
        .address_space:  global
        .offset:         80
        .size:           8
        .value_kind:     global_buffer
      - .offset:         88
        .size:           4
        .value_kind:     by_value
      - .offset:         92
        .size:           4
        .value_kind:     by_value
      - .offset:         96
        .size:           4
        .value_kind:     by_value
      - .address_space:  global
        .offset:         104
        .size:           8
        .value_kind:     global_buffer
      - .address_space:  global
        .offset:         112
        .size:           8
        .value_kind:     global_buffer
      - .offset:         120
        .size:           4
        .value_kind:     by_value
      - .offset:         124
        .size:           4
        .value_kind:     by_value
      - .offset:         128
        .size:           4
        .value_kind:     by_value
      - .offset:         132
        .size:           4
        .value_kind:     by_value
      - .offset:         136
        .size:           4
        .value_kind:     by_value
      - .offset:         144
        .size:           4
        .value_kind:     hidden_block_count_x
      - .offset:         148
        .size:           4
        .value_kind:     hidden_block_count_y
      - .offset:         152
        .size:           4
        .value_kind:     hidden_block_count_z
      - .offset:         156
        .size:           2
        .value_kind:     hidden_group_size_x
      - .offset:         158
        .size:           2
        .value_kind:     hidden_group_size_y
      - .offset:         160
        .size:           2
        .value_kind:     hidden_group_size_z
      - .offset:         162
        .size:           2
        .value_kind:     hidden_remainder_x
      - .offset:         164
        .size:           2
        .value_kind:     hidden_remainder_y
      - .offset:         166
        .size:           2
        .value_kind:     hidden_remainder_z
      - .offset:         184
        .size:           8
        .value_kind:     hidden_global_offset_x
      - .offset:         192
        .size:           8
        .value_kind:     hidden_global_offset_y
      - .offset:         200
        .size:           8
        .value_kind:     hidden_global_offset_z
      - .offset:         208
        .size:           2
        .value_kind:     hidden_grid_dims
      - .offset:         264
        .size:           4
        .value_kind:     hidden_dynamic_lds_size
    .group_segment_fixed_size: 480
    .kernarg_segment_align: 8
    .kernarg_segment_size: 400
    .language:       OpenCL C
    .language_version:
      - 2
      - 0
    .max_flat_workgroup_size: 1024
    .name:           _ZN4vllm25paged_attention_v2_kernelIfhLi112ELi16ELi128ELNS_18Fp8KVCacheDataTypeE1ELb1ELi512EEEvPfS2_PT_PKS3_PKT0_S9_ifPKiSB_iPKfiiiSD_SD_iiiii
    .private_segment_fixed_size: 0
    .sgpr_count:     47
    .sgpr_spill_count: 0
    .symbol:         _ZN4vllm25paged_attention_v2_kernelIfhLi112ELi16ELi128ELNS_18Fp8KVCacheDataTypeE1ELb1ELi512EEEvPfS2_PT_PKS3_PKT0_S9_ifPKiSB_iPKfiiiSD_SD_iiiii.kd
    .uniform_work_group_size: 1
    .uses_dynamic_stack: false
    .vgpr_count:     108
    .vgpr_spill_count: 0
    .wavefront_size: 32
    .workgroup_processor_mode: 1
  - .args:
      - .actual_access:  write_only
        .address_space:  global
        .offset:         0
        .size:           8
        .value_kind:     global_buffer
      - .actual_access:  write_only
        .address_space:  global
        .offset:         8
        .size:           8
        .value_kind:     global_buffer
      - .actual_access:  write_only
        .address_space:  global
        .offset:         16
        .size:           8
        .value_kind:     global_buffer
      - .actual_access:  read_only
        .address_space:  global
        .offset:         24
        .size:           8
        .value_kind:     global_buffer
      - .actual_access:  read_only
        .address_space:  global
        .offset:         32
        .size:           8
        .value_kind:     global_buffer
      - .actual_access:  read_only
        .address_space:  global
        .offset:         40
        .size:           8
        .value_kind:     global_buffer
      - .offset:         48
        .size:           4
        .value_kind:     by_value
      - .offset:         52
        .size:           4
        .value_kind:     by_value
      - .actual_access:  read_only
        .address_space:  global
        .offset:         56
        .size:           8
        .value_kind:     global_buffer
      - .actual_access:  read_only
        .address_space:  global
        .offset:         64
        .size:           8
        .value_kind:     global_buffer
      - .offset:         72
        .size:           4
        .value_kind:     by_value
      - .actual_access:  read_only
        .address_space:  global
        .offset:         80
        .size:           8
        .value_kind:     global_buffer
      - .offset:         88
        .size:           4
        .value_kind:     by_value
      - .offset:         92
        .size:           4
        .value_kind:     by_value
      - .offset:         96
        .size:           4
        .value_kind:     by_value
      - .address_space:  global
        .offset:         104
        .size:           8
        .value_kind:     global_buffer
      - .address_space:  global
        .offset:         112
        .size:           8
        .value_kind:     global_buffer
      - .offset:         120
        .size:           4
        .value_kind:     by_value
      - .offset:         124
        .size:           4
        .value_kind:     by_value
      - .offset:         128
        .size:           4
        .value_kind:     by_value
      - .offset:         132
        .size:           4
        .value_kind:     by_value
      - .offset:         136
        .size:           4
        .value_kind:     by_value
      - .offset:         144
        .size:           4
        .value_kind:     hidden_block_count_x
      - .offset:         148
        .size:           4
        .value_kind:     hidden_block_count_y
      - .offset:         152
        .size:           4
        .value_kind:     hidden_block_count_z
      - .offset:         156
        .size:           2
        .value_kind:     hidden_group_size_x
      - .offset:         158
        .size:           2
        .value_kind:     hidden_group_size_y
      - .offset:         160
        .size:           2
        .value_kind:     hidden_group_size_z
      - .offset:         162
        .size:           2
        .value_kind:     hidden_remainder_x
      - .offset:         164
        .size:           2
        .value_kind:     hidden_remainder_y
      - .offset:         166
        .size:           2
        .value_kind:     hidden_remainder_z
      - .offset:         184
        .size:           8
        .value_kind:     hidden_global_offset_x
      - .offset:         192
        .size:           8
        .value_kind:     hidden_global_offset_y
      - .offset:         200
        .size:           8
        .value_kind:     hidden_global_offset_z
      - .offset:         208
        .size:           2
        .value_kind:     hidden_grid_dims
      - .offset:         264
        .size:           4
        .value_kind:     hidden_dynamic_lds_size
    .group_segment_fixed_size: 512
    .kernarg_segment_align: 8
    .kernarg_segment_size: 400
    .language:       OpenCL C
    .language_version:
      - 2
      - 0
    .max_flat_workgroup_size: 1024
    .name:           _ZN4vllm25paged_attention_v2_kernelIfhLi120ELi16ELi128ELNS_18Fp8KVCacheDataTypeE1ELb1ELi512EEEvPfS2_PT_PKS3_PKT0_S9_ifPKiSB_iPKfiiiSD_SD_iiiii
    .private_segment_fixed_size: 0
    .sgpr_count:     47
    .sgpr_spill_count: 0
    .symbol:         _ZN4vllm25paged_attention_v2_kernelIfhLi120ELi16ELi128ELNS_18Fp8KVCacheDataTypeE1ELb1ELi512EEEvPfS2_PT_PKS3_PKT0_S9_ifPKiSB_iPKfiiiSD_SD_iiiii.kd
    .uniform_work_group_size: 1
    .uses_dynamic_stack: false
    .vgpr_count:     113
    .vgpr_spill_count: 0
    .wavefront_size: 32
    .workgroup_processor_mode: 1
  - .args:
      - .actual_access:  write_only
        .address_space:  global
        .offset:         0
        .size:           8
        .value_kind:     global_buffer
      - .actual_access:  write_only
        .address_space:  global
        .offset:         8
        .size:           8
        .value_kind:     global_buffer
      - .actual_access:  write_only
        .address_space:  global
        .offset:         16
        .size:           8
        .value_kind:     global_buffer
      - .actual_access:  read_only
        .address_space:  global
        .offset:         24
        .size:           8
        .value_kind:     global_buffer
      - .actual_access:  read_only
        .address_space:  global
        .offset:         32
        .size:           8
        .value_kind:     global_buffer
      - .actual_access:  read_only
        .address_space:  global
        .offset:         40
        .size:           8
        .value_kind:     global_buffer
      - .offset:         48
        .size:           4
        .value_kind:     by_value
      - .offset:         52
        .size:           4
        .value_kind:     by_value
      - .actual_access:  read_only
        .address_space:  global
        .offset:         56
        .size:           8
        .value_kind:     global_buffer
      - .actual_access:  read_only
        .address_space:  global
        .offset:         64
        .size:           8
        .value_kind:     global_buffer
      - .offset:         72
        .size:           4
        .value_kind:     by_value
      - .actual_access:  read_only
        .address_space:  global
        .offset:         80
        .size:           8
        .value_kind:     global_buffer
      - .offset:         88
        .size:           4
        .value_kind:     by_value
      - .offset:         92
        .size:           4
        .value_kind:     by_value
      - .offset:         96
        .size:           4
        .value_kind:     by_value
      - .address_space:  global
        .offset:         104
        .size:           8
        .value_kind:     global_buffer
      - .address_space:  global
        .offset:         112
        .size:           8
        .value_kind:     global_buffer
      - .offset:         120
        .size:           4
        .value_kind:     by_value
      - .offset:         124
        .size:           4
        .value_kind:     by_value
      - .offset:         128
        .size:           4
        .value_kind:     by_value
      - .offset:         132
        .size:           4
        .value_kind:     by_value
      - .offset:         136
        .size:           4
        .value_kind:     by_value
      - .offset:         144
        .size:           4
        .value_kind:     hidden_block_count_x
      - .offset:         148
        .size:           4
        .value_kind:     hidden_block_count_y
      - .offset:         152
        .size:           4
        .value_kind:     hidden_block_count_z
      - .offset:         156
        .size:           2
        .value_kind:     hidden_group_size_x
      - .offset:         158
        .size:           2
        .value_kind:     hidden_group_size_y
      - .offset:         160
        .size:           2
        .value_kind:     hidden_group_size_z
      - .offset:         162
        .size:           2
        .value_kind:     hidden_remainder_x
      - .offset:         164
        .size:           2
        .value_kind:     hidden_remainder_y
      - .offset:         166
        .size:           2
        .value_kind:     hidden_remainder_z
      - .offset:         184
        .size:           8
        .value_kind:     hidden_global_offset_x
      - .offset:         192
        .size:           8
        .value_kind:     hidden_global_offset_y
      - .offset:         200
        .size:           8
        .value_kind:     hidden_global_offset_z
      - .offset:         208
        .size:           2
        .value_kind:     hidden_grid_dims
      - .offset:         264
        .size:           4
        .value_kind:     hidden_dynamic_lds_size
    .group_segment_fixed_size: 544
    .kernarg_segment_align: 8
    .kernarg_segment_size: 400
    .language:       OpenCL C
    .language_version:
      - 2
      - 0
    .max_flat_workgroup_size: 1024
    .name:           _ZN4vllm25paged_attention_v2_kernelIfhLi128ELi16ELi128ELNS_18Fp8KVCacheDataTypeE1ELb1ELi512EEEvPfS2_PT_PKS3_PKT0_S9_ifPKiSB_iPKfiiiSD_SD_iiiii
    .private_segment_fixed_size: 0
    .sgpr_count:     48
    .sgpr_spill_count: 0
    .symbol:         _ZN4vllm25paged_attention_v2_kernelIfhLi128ELi16ELi128ELNS_18Fp8KVCacheDataTypeE1ELb1ELi512EEEvPfS2_PT_PKS3_PKT0_S9_ifPKiSB_iPKfiiiSD_SD_iiiii.kd
    .uniform_work_group_size: 1
    .uses_dynamic_stack: false
    .vgpr_count:     119
    .vgpr_spill_count: 0
    .wavefront_size: 32
    .workgroup_processor_mode: 1
  - .args:
      - .actual_access:  write_only
        .address_space:  global
        .offset:         0
        .size:           8
        .value_kind:     global_buffer
      - .actual_access:  write_only
        .address_space:  global
        .offset:         8
        .size:           8
        .value_kind:     global_buffer
      - .actual_access:  write_only
        .address_space:  global
        .offset:         16
        .size:           8
        .value_kind:     global_buffer
      - .actual_access:  read_only
        .address_space:  global
        .offset:         24
        .size:           8
        .value_kind:     global_buffer
      - .actual_access:  read_only
        .address_space:  global
        .offset:         32
        .size:           8
        .value_kind:     global_buffer
      - .actual_access:  read_only
        .address_space:  global
        .offset:         40
        .size:           8
        .value_kind:     global_buffer
      - .offset:         48
        .size:           4
        .value_kind:     by_value
      - .offset:         52
        .size:           4
        .value_kind:     by_value
      - .actual_access:  read_only
        .address_space:  global
        .offset:         56
        .size:           8
        .value_kind:     global_buffer
      - .actual_access:  read_only
        .address_space:  global
        .offset:         64
        .size:           8
        .value_kind:     global_buffer
      - .offset:         72
        .size:           4
        .value_kind:     by_value
      - .actual_access:  read_only
        .address_space:  global
        .offset:         80
        .size:           8
        .value_kind:     global_buffer
      - .offset:         88
        .size:           4
        .value_kind:     by_value
      - .offset:         92
        .size:           4
        .value_kind:     by_value
      - .offset:         96
        .size:           4
        .value_kind:     by_value
      - .address_space:  global
        .offset:         104
        .size:           8
        .value_kind:     global_buffer
      - .address_space:  global
        .offset:         112
        .size:           8
        .value_kind:     global_buffer
      - .offset:         120
        .size:           4
        .value_kind:     by_value
      - .offset:         124
        .size:           4
        .value_kind:     by_value
      - .offset:         128
        .size:           4
        .value_kind:     by_value
      - .offset:         132
        .size:           4
        .value_kind:     by_value
      - .offset:         136
        .size:           4
        .value_kind:     by_value
      - .offset:         144
        .size:           4
        .value_kind:     hidden_block_count_x
      - .offset:         148
        .size:           4
        .value_kind:     hidden_block_count_y
      - .offset:         152
        .size:           4
        .value_kind:     hidden_block_count_z
      - .offset:         156
        .size:           2
        .value_kind:     hidden_group_size_x
      - .offset:         158
        .size:           2
        .value_kind:     hidden_group_size_y
      - .offset:         160
        .size:           2
        .value_kind:     hidden_group_size_z
      - .offset:         162
        .size:           2
        .value_kind:     hidden_remainder_x
      - .offset:         164
        .size:           2
        .value_kind:     hidden_remainder_y
      - .offset:         166
        .size:           2
        .value_kind:     hidden_remainder_z
      - .offset:         184
        .size:           8
        .value_kind:     hidden_global_offset_x
      - .offset:         192
        .size:           8
        .value_kind:     hidden_global_offset_y
      - .offset:         200
        .size:           8
        .value_kind:     hidden_global_offset_z
      - .offset:         208
        .size:           2
        .value_kind:     hidden_grid_dims
      - .offset:         264
        .size:           4
        .value_kind:     hidden_dynamic_lds_size
    .group_segment_fixed_size: 800
    .kernarg_segment_align: 8
    .kernarg_segment_size: 400
    .language:       OpenCL C
    .language_version:
      - 2
      - 0
    .max_flat_workgroup_size: 1024
    .name:           _ZN4vllm25paged_attention_v2_kernelIfhLi192ELi16ELi128ELNS_18Fp8KVCacheDataTypeE1ELb1ELi512EEEvPfS2_PT_PKS3_PKT0_S9_ifPKiSB_iPKfiiiSD_SD_iiiii
    .private_segment_fixed_size: 0
    .sgpr_count:     47
    .sgpr_spill_count: 0
    .symbol:         _ZN4vllm25paged_attention_v2_kernelIfhLi192ELi16ELi128ELNS_18Fp8KVCacheDataTypeE1ELb1ELi512EEEvPfS2_PT_PKS3_PKT0_S9_ifPKiSB_iPKfiiiSD_SD_iiiii.kd
    .uniform_work_group_size: 1
    .uses_dynamic_stack: false
    .vgpr_count:     152
    .vgpr_spill_count: 0
    .wavefront_size: 32
    .workgroup_processor_mode: 1
  - .args:
      - .actual_access:  write_only
        .address_space:  global
        .offset:         0
        .size:           8
        .value_kind:     global_buffer
      - .actual_access:  write_only
        .address_space:  global
        .offset:         8
        .size:           8
        .value_kind:     global_buffer
      - .actual_access:  write_only
        .address_space:  global
        .offset:         16
        .size:           8
        .value_kind:     global_buffer
      - .actual_access:  read_only
        .address_space:  global
        .offset:         24
        .size:           8
        .value_kind:     global_buffer
      - .actual_access:  read_only
        .address_space:  global
        .offset:         32
        .size:           8
        .value_kind:     global_buffer
      - .actual_access:  read_only
        .address_space:  global
        .offset:         40
        .size:           8
        .value_kind:     global_buffer
      - .offset:         48
        .size:           4
        .value_kind:     by_value
      - .offset:         52
        .size:           4
        .value_kind:     by_value
      - .actual_access:  read_only
        .address_space:  global
        .offset:         56
        .size:           8
        .value_kind:     global_buffer
      - .actual_access:  read_only
        .address_space:  global
        .offset:         64
        .size:           8
        .value_kind:     global_buffer
      - .offset:         72
        .size:           4
        .value_kind:     by_value
      - .actual_access:  read_only
        .address_space:  global
        .offset:         80
        .size:           8
        .value_kind:     global_buffer
      - .offset:         88
        .size:           4
        .value_kind:     by_value
      - .offset:         92
        .size:           4
        .value_kind:     by_value
      - .offset:         96
        .size:           4
        .value_kind:     by_value
      - .address_space:  global
        .offset:         104
        .size:           8
        .value_kind:     global_buffer
      - .address_space:  global
        .offset:         112
        .size:           8
        .value_kind:     global_buffer
      - .offset:         120
        .size:           4
        .value_kind:     by_value
      - .offset:         124
        .size:           4
        .value_kind:     by_value
      - .offset:         128
        .size:           4
        .value_kind:     by_value
      - .offset:         132
        .size:           4
        .value_kind:     by_value
      - .offset:         136
        .size:           4
        .value_kind:     by_value
      - .offset:         144
        .size:           4
        .value_kind:     hidden_block_count_x
      - .offset:         148
        .size:           4
        .value_kind:     hidden_block_count_y
      - .offset:         152
        .size:           4
        .value_kind:     hidden_block_count_z
      - .offset:         156
        .size:           2
        .value_kind:     hidden_group_size_x
      - .offset:         158
        .size:           2
        .value_kind:     hidden_group_size_y
      - .offset:         160
        .size:           2
        .value_kind:     hidden_group_size_z
      - .offset:         162
        .size:           2
        .value_kind:     hidden_remainder_x
      - .offset:         164
        .size:           2
        .value_kind:     hidden_remainder_y
      - .offset:         166
        .size:           2
        .value_kind:     hidden_remainder_z
      - .offset:         184
        .size:           8
        .value_kind:     hidden_global_offset_x
      - .offset:         192
        .size:           8
        .value_kind:     hidden_global_offset_y
      - .offset:         200
        .size:           8
        .value_kind:     hidden_global_offset_z
      - .offset:         208
        .size:           2
        .value_kind:     hidden_grid_dims
      - .offset:         264
        .size:           4
        .value_kind:     hidden_dynamic_lds_size
    .group_segment_fixed_size: 1056
    .kernarg_segment_align: 8
    .kernarg_segment_size: 400
    .language:       OpenCL C
    .language_version:
      - 2
      - 0
    .max_flat_workgroup_size: 1024
    .name:           _ZN4vllm25paged_attention_v2_kernelIfhLi256ELi16ELi128ELNS_18Fp8KVCacheDataTypeE1ELb1ELi512EEEvPfS2_PT_PKS3_PKT0_S9_ifPKiSB_iPKfiiiSD_SD_iiiii
    .private_segment_fixed_size: 0
    .sgpr_count:     47
    .sgpr_spill_count: 0
    .symbol:         _ZN4vllm25paged_attention_v2_kernelIfhLi256ELi16ELi128ELNS_18Fp8KVCacheDataTypeE1ELb1ELi512EEEvPfS2_PT_PKS3_PKT0_S9_ifPKiSB_iPKfiiiSD_SD_iiiii.kd
    .uniform_work_group_size: 1
    .uses_dynamic_stack: false
    .vgpr_count:     186
    .vgpr_spill_count: 0
    .wavefront_size: 32
    .workgroup_processor_mode: 1
  - .args:
      - .actual_access:  write_only
        .address_space:  global
        .offset:         0
        .size:           8
        .value_kind:     global_buffer
      - .actual_access:  write_only
        .address_space:  global
        .offset:         8
        .size:           8
        .value_kind:     global_buffer
      - .actual_access:  write_only
        .address_space:  global
        .offset:         16
        .size:           8
        .value_kind:     global_buffer
      - .actual_access:  read_only
        .address_space:  global
        .offset:         24
        .size:           8
        .value_kind:     global_buffer
      - .actual_access:  read_only
        .address_space:  global
        .offset:         32
        .size:           8
        .value_kind:     global_buffer
      - .actual_access:  read_only
        .address_space:  global
        .offset:         40
        .size:           8
        .value_kind:     global_buffer
      - .offset:         48
        .size:           4
        .value_kind:     by_value
      - .offset:         52
        .size:           4
        .value_kind:     by_value
      - .actual_access:  read_only
        .address_space:  global
        .offset:         56
        .size:           8
        .value_kind:     global_buffer
      - .actual_access:  read_only
        .address_space:  global
        .offset:         64
        .size:           8
        .value_kind:     global_buffer
      - .offset:         72
        .size:           4
        .value_kind:     by_value
      - .actual_access:  read_only
        .address_space:  global
        .offset:         80
        .size:           8
        .value_kind:     global_buffer
      - .offset:         88
        .size:           4
        .value_kind:     by_value
      - .offset:         92
        .size:           4
        .value_kind:     by_value
      - .offset:         96
        .size:           4
        .value_kind:     by_value
      - .address_space:  global
        .offset:         104
        .size:           8
        .value_kind:     global_buffer
      - .address_space:  global
        .offset:         112
        .size:           8
        .value_kind:     global_buffer
      - .offset:         120
        .size:           4
        .value_kind:     by_value
      - .offset:         124
        .size:           4
        .value_kind:     by_value
      - .offset:         128
        .size:           4
        .value_kind:     by_value
      - .offset:         132
        .size:           4
        .value_kind:     by_value
      - .offset:         136
        .size:           4
        .value_kind:     by_value
      - .offset:         144
        .size:           4
        .value_kind:     hidden_block_count_x
      - .offset:         148
        .size:           4
        .value_kind:     hidden_block_count_y
      - .offset:         152
        .size:           4
        .value_kind:     hidden_block_count_z
      - .offset:         156
        .size:           2
        .value_kind:     hidden_group_size_x
      - .offset:         158
        .size:           2
        .value_kind:     hidden_group_size_y
      - .offset:         160
        .size:           2
        .value_kind:     hidden_group_size_z
      - .offset:         162
        .size:           2
        .value_kind:     hidden_remainder_x
      - .offset:         164
        .size:           2
        .value_kind:     hidden_remainder_y
      - .offset:         166
        .size:           2
        .value_kind:     hidden_remainder_z
      - .offset:         184
        .size:           8
        .value_kind:     hidden_global_offset_x
      - .offset:         192
        .size:           8
        .value_kind:     hidden_global_offset_y
      - .offset:         200
        .size:           8
        .value_kind:     hidden_global_offset_z
      - .offset:         208
        .size:           2
        .value_kind:     hidden_grid_dims
      - .offset:         264
        .size:           4
        .value_kind:     hidden_dynamic_lds_size
    .group_segment_fixed_size: 160
    .kernarg_segment_align: 8
    .kernarg_segment_size: 400
    .language:       OpenCL C
    .language_version:
      - 2
      - 0
    .max_flat_workgroup_size: 1024
    .name:           _ZN4vllm25paged_attention_v2_kernelIfhLi32ELi16ELi128ELNS_18Fp8KVCacheDataTypeE1ELb0ELi512EEEvPfS2_PT_PKS3_PKT0_S9_ifPKiSB_iPKfiiiSD_SD_iiiii
    .private_segment_fixed_size: 0
    .sgpr_count:     40
    .sgpr_spill_count: 0
    .symbol:         _ZN4vllm25paged_attention_v2_kernelIfhLi32ELi16ELi128ELNS_18Fp8KVCacheDataTypeE1ELb0ELi512EEEvPfS2_PT_PKS3_PKT0_S9_ifPKiSB_iPKfiiiSD_SD_iiiii.kd
    .uniform_work_group_size: 1
    .uses_dynamic_stack: false
    .vgpr_count:     47
    .vgpr_spill_count: 0
    .wavefront_size: 32
    .workgroup_processor_mode: 1
  - .args:
      - .actual_access:  write_only
        .address_space:  global
        .offset:         0
        .size:           8
        .value_kind:     global_buffer
      - .actual_access:  write_only
        .address_space:  global
        .offset:         8
        .size:           8
        .value_kind:     global_buffer
      - .actual_access:  write_only
        .address_space:  global
        .offset:         16
        .size:           8
        .value_kind:     global_buffer
      - .actual_access:  read_only
        .address_space:  global
        .offset:         24
        .size:           8
        .value_kind:     global_buffer
      - .actual_access:  read_only
        .address_space:  global
        .offset:         32
        .size:           8
        .value_kind:     global_buffer
      - .actual_access:  read_only
        .address_space:  global
        .offset:         40
        .size:           8
        .value_kind:     global_buffer
      - .offset:         48
        .size:           4
        .value_kind:     by_value
      - .offset:         52
        .size:           4
        .value_kind:     by_value
      - .actual_access:  read_only
        .address_space:  global
        .offset:         56
        .size:           8
        .value_kind:     global_buffer
      - .actual_access:  read_only
        .address_space:  global
        .offset:         64
        .size:           8
        .value_kind:     global_buffer
      - .offset:         72
        .size:           4
        .value_kind:     by_value
      - .actual_access:  read_only
        .address_space:  global
        .offset:         80
        .size:           8
        .value_kind:     global_buffer
      - .offset:         88
        .size:           4
        .value_kind:     by_value
      - .offset:         92
        .size:           4
        .value_kind:     by_value
      - .offset:         96
        .size:           4
        .value_kind:     by_value
      - .address_space:  global
        .offset:         104
        .size:           8
        .value_kind:     global_buffer
      - .address_space:  global
        .offset:         112
        .size:           8
        .value_kind:     global_buffer
      - .offset:         120
        .size:           4
        .value_kind:     by_value
      - .offset:         124
        .size:           4
        .value_kind:     by_value
      - .offset:         128
        .size:           4
        .value_kind:     by_value
      - .offset:         132
        .size:           4
        .value_kind:     by_value
      - .offset:         136
        .size:           4
        .value_kind:     by_value
      - .offset:         144
        .size:           4
        .value_kind:     hidden_block_count_x
      - .offset:         148
        .size:           4
        .value_kind:     hidden_block_count_y
      - .offset:         152
        .size:           4
        .value_kind:     hidden_block_count_z
      - .offset:         156
        .size:           2
        .value_kind:     hidden_group_size_x
      - .offset:         158
        .size:           2
        .value_kind:     hidden_group_size_y
      - .offset:         160
        .size:           2
        .value_kind:     hidden_group_size_z
      - .offset:         162
        .size:           2
        .value_kind:     hidden_remainder_x
      - .offset:         164
        .size:           2
        .value_kind:     hidden_remainder_y
      - .offset:         166
        .size:           2
        .value_kind:     hidden_remainder_z
      - .offset:         184
        .size:           8
        .value_kind:     hidden_global_offset_x
      - .offset:         192
        .size:           8
        .value_kind:     hidden_global_offset_y
      - .offset:         200
        .size:           8
        .value_kind:     hidden_global_offset_z
      - .offset:         208
        .size:           2
        .value_kind:     hidden_grid_dims
      - .offset:         264
        .size:           4
        .value_kind:     hidden_dynamic_lds_size
    .group_segment_fixed_size: 288
    .kernarg_segment_align: 8
    .kernarg_segment_size: 400
    .language:       OpenCL C
    .language_version:
      - 2
      - 0
    .max_flat_workgroup_size: 1024
    .name:           _ZN4vllm25paged_attention_v2_kernelIfhLi64ELi16ELi128ELNS_18Fp8KVCacheDataTypeE1ELb0ELi512EEEvPfS2_PT_PKS3_PKT0_S9_ifPKiSB_iPKfiiiSD_SD_iiiii
    .private_segment_fixed_size: 0
    .sgpr_count:     40
    .sgpr_spill_count: 0
    .symbol:         _ZN4vllm25paged_attention_v2_kernelIfhLi64ELi16ELi128ELNS_18Fp8KVCacheDataTypeE1ELb0ELi512EEEvPfS2_PT_PKS3_PKT0_S9_ifPKiSB_iPKfiiiSD_SD_iiiii.kd
    .uniform_work_group_size: 1
    .uses_dynamic_stack: false
    .vgpr_count:     71
    .vgpr_spill_count: 0
    .wavefront_size: 32
    .workgroup_processor_mode: 1
  - .args:
      - .actual_access:  write_only
        .address_space:  global
        .offset:         0
        .size:           8
        .value_kind:     global_buffer
      - .actual_access:  write_only
        .address_space:  global
        .offset:         8
        .size:           8
        .value_kind:     global_buffer
      - .actual_access:  write_only
        .address_space:  global
        .offset:         16
        .size:           8
        .value_kind:     global_buffer
      - .actual_access:  read_only
        .address_space:  global
        .offset:         24
        .size:           8
        .value_kind:     global_buffer
      - .actual_access:  read_only
        .address_space:  global
        .offset:         32
        .size:           8
        .value_kind:     global_buffer
      - .actual_access:  read_only
        .address_space:  global
        .offset:         40
        .size:           8
        .value_kind:     global_buffer
      - .offset:         48
        .size:           4
        .value_kind:     by_value
      - .offset:         52
        .size:           4
        .value_kind:     by_value
      - .actual_access:  read_only
        .address_space:  global
        .offset:         56
        .size:           8
        .value_kind:     global_buffer
      - .actual_access:  read_only
        .address_space:  global
        .offset:         64
        .size:           8
        .value_kind:     global_buffer
      - .offset:         72
        .size:           4
        .value_kind:     by_value
      - .actual_access:  read_only
        .address_space:  global
        .offset:         80
        .size:           8
        .value_kind:     global_buffer
      - .offset:         88
        .size:           4
        .value_kind:     by_value
      - .offset:         92
        .size:           4
        .value_kind:     by_value
      - .offset:         96
        .size:           4
        .value_kind:     by_value
      - .address_space:  global
        .offset:         104
        .size:           8
        .value_kind:     global_buffer
      - .address_space:  global
        .offset:         112
        .size:           8
        .value_kind:     global_buffer
      - .offset:         120
        .size:           4
        .value_kind:     by_value
      - .offset:         124
        .size:           4
        .value_kind:     by_value
      - .offset:         128
        .size:           4
        .value_kind:     by_value
      - .offset:         132
        .size:           4
        .value_kind:     by_value
      - .offset:         136
        .size:           4
        .value_kind:     by_value
      - .offset:         144
        .size:           4
        .value_kind:     hidden_block_count_x
      - .offset:         148
        .size:           4
        .value_kind:     hidden_block_count_y
      - .offset:         152
        .size:           4
        .value_kind:     hidden_block_count_z
      - .offset:         156
        .size:           2
        .value_kind:     hidden_group_size_x
      - .offset:         158
        .size:           2
        .value_kind:     hidden_group_size_y
      - .offset:         160
        .size:           2
        .value_kind:     hidden_group_size_z
      - .offset:         162
        .size:           2
        .value_kind:     hidden_remainder_x
      - .offset:         164
        .size:           2
        .value_kind:     hidden_remainder_y
      - .offset:         166
        .size:           2
        .value_kind:     hidden_remainder_z
      - .offset:         184
        .size:           8
        .value_kind:     hidden_global_offset_x
      - .offset:         192
        .size:           8
        .value_kind:     hidden_global_offset_y
      - .offset:         200
        .size:           8
        .value_kind:     hidden_global_offset_z
      - .offset:         208
        .size:           2
        .value_kind:     hidden_grid_dims
      - .offset:         264
        .size:           4
        .value_kind:     hidden_dynamic_lds_size
    .group_segment_fixed_size: 352
    .kernarg_segment_align: 8
    .kernarg_segment_size: 400
    .language:       OpenCL C
    .language_version:
      - 2
      - 0
    .max_flat_workgroup_size: 1024
    .name:           _ZN4vllm25paged_attention_v2_kernelIfhLi80ELi16ELi128ELNS_18Fp8KVCacheDataTypeE1ELb0ELi512EEEvPfS2_PT_PKS3_PKT0_S9_ifPKiSB_iPKfiiiSD_SD_iiiii
    .private_segment_fixed_size: 0
    .sgpr_count:     40
    .sgpr_spill_count: 0
    .symbol:         _ZN4vllm25paged_attention_v2_kernelIfhLi80ELi16ELi128ELNS_18Fp8KVCacheDataTypeE1ELb0ELi512EEEvPfS2_PT_PKS3_PKT0_S9_ifPKiSB_iPKfiiiSD_SD_iiiii.kd
    .uniform_work_group_size: 1
    .uses_dynamic_stack: false
    .vgpr_count:     83
    .vgpr_spill_count: 0
    .wavefront_size: 32
    .workgroup_processor_mode: 1
  - .args:
      - .actual_access:  write_only
        .address_space:  global
        .offset:         0
        .size:           8
        .value_kind:     global_buffer
      - .actual_access:  write_only
        .address_space:  global
        .offset:         8
        .size:           8
        .value_kind:     global_buffer
      - .actual_access:  write_only
        .address_space:  global
        .offset:         16
        .size:           8
        .value_kind:     global_buffer
      - .actual_access:  read_only
        .address_space:  global
        .offset:         24
        .size:           8
        .value_kind:     global_buffer
      - .actual_access:  read_only
        .address_space:  global
        .offset:         32
        .size:           8
        .value_kind:     global_buffer
      - .actual_access:  read_only
        .address_space:  global
        .offset:         40
        .size:           8
        .value_kind:     global_buffer
      - .offset:         48
        .size:           4
        .value_kind:     by_value
      - .offset:         52
        .size:           4
        .value_kind:     by_value
      - .actual_access:  read_only
        .address_space:  global
        .offset:         56
        .size:           8
        .value_kind:     global_buffer
      - .actual_access:  read_only
        .address_space:  global
        .offset:         64
        .size:           8
        .value_kind:     global_buffer
      - .offset:         72
        .size:           4
        .value_kind:     by_value
      - .actual_access:  read_only
        .address_space:  global
        .offset:         80
        .size:           8
        .value_kind:     global_buffer
      - .offset:         88
        .size:           4
        .value_kind:     by_value
      - .offset:         92
        .size:           4
        .value_kind:     by_value
      - .offset:         96
        .size:           4
        .value_kind:     by_value
      - .address_space:  global
        .offset:         104
        .size:           8
        .value_kind:     global_buffer
      - .address_space:  global
        .offset:         112
        .size:           8
        .value_kind:     global_buffer
      - .offset:         120
        .size:           4
        .value_kind:     by_value
      - .offset:         124
        .size:           4
        .value_kind:     by_value
      - .offset:         128
        .size:           4
        .value_kind:     by_value
      - .offset:         132
        .size:           4
        .value_kind:     by_value
      - .offset:         136
        .size:           4
        .value_kind:     by_value
      - .offset:         144
        .size:           4
        .value_kind:     hidden_block_count_x
      - .offset:         148
        .size:           4
        .value_kind:     hidden_block_count_y
      - .offset:         152
        .size:           4
        .value_kind:     hidden_block_count_z
      - .offset:         156
        .size:           2
        .value_kind:     hidden_group_size_x
      - .offset:         158
        .size:           2
        .value_kind:     hidden_group_size_y
      - .offset:         160
        .size:           2
        .value_kind:     hidden_group_size_z
      - .offset:         162
        .size:           2
        .value_kind:     hidden_remainder_x
      - .offset:         164
        .size:           2
        .value_kind:     hidden_remainder_y
      - .offset:         166
        .size:           2
        .value_kind:     hidden_remainder_z
      - .offset:         184
        .size:           8
        .value_kind:     hidden_global_offset_x
      - .offset:         192
        .size:           8
        .value_kind:     hidden_global_offset_y
      - .offset:         200
        .size:           8
        .value_kind:     hidden_global_offset_z
      - .offset:         208
        .size:           2
        .value_kind:     hidden_grid_dims
      - .offset:         264
        .size:           4
        .value_kind:     hidden_dynamic_lds_size
    .group_segment_fixed_size: 416
    .kernarg_segment_align: 8
    .kernarg_segment_size: 400
    .language:       OpenCL C
    .language_version:
      - 2
      - 0
    .max_flat_workgroup_size: 1024
    .name:           _ZN4vllm25paged_attention_v2_kernelIfhLi96ELi16ELi128ELNS_18Fp8KVCacheDataTypeE1ELb0ELi512EEEvPfS2_PT_PKS3_PKT0_S9_ifPKiSB_iPKfiiiSD_SD_iiiii
    .private_segment_fixed_size: 0
    .sgpr_count:     40
    .sgpr_spill_count: 0
    .symbol:         _ZN4vllm25paged_attention_v2_kernelIfhLi96ELi16ELi128ELNS_18Fp8KVCacheDataTypeE1ELb0ELi512EEEvPfS2_PT_PKS3_PKT0_S9_ifPKiSB_iPKfiiiSD_SD_iiiii.kd
    .uniform_work_group_size: 1
    .uses_dynamic_stack: false
    .vgpr_count:     95
    .vgpr_spill_count: 0
    .wavefront_size: 32
    .workgroup_processor_mode: 1
  - .args:
      - .actual_access:  write_only
        .address_space:  global
        .offset:         0
        .size:           8
        .value_kind:     global_buffer
      - .actual_access:  write_only
        .address_space:  global
        .offset:         8
        .size:           8
        .value_kind:     global_buffer
      - .actual_access:  write_only
        .address_space:  global
        .offset:         16
        .size:           8
        .value_kind:     global_buffer
      - .actual_access:  read_only
        .address_space:  global
        .offset:         24
        .size:           8
        .value_kind:     global_buffer
      - .actual_access:  read_only
        .address_space:  global
        .offset:         32
        .size:           8
        .value_kind:     global_buffer
      - .actual_access:  read_only
        .address_space:  global
        .offset:         40
        .size:           8
        .value_kind:     global_buffer
      - .offset:         48
        .size:           4
        .value_kind:     by_value
      - .offset:         52
        .size:           4
        .value_kind:     by_value
      - .actual_access:  read_only
        .address_space:  global
        .offset:         56
        .size:           8
        .value_kind:     global_buffer
      - .actual_access:  read_only
        .address_space:  global
        .offset:         64
        .size:           8
        .value_kind:     global_buffer
      - .offset:         72
        .size:           4
        .value_kind:     by_value
      - .actual_access:  read_only
        .address_space:  global
        .offset:         80
        .size:           8
        .value_kind:     global_buffer
      - .offset:         88
        .size:           4
        .value_kind:     by_value
      - .offset:         92
        .size:           4
        .value_kind:     by_value
      - .offset:         96
        .size:           4
        .value_kind:     by_value
      - .address_space:  global
        .offset:         104
        .size:           8
        .value_kind:     global_buffer
      - .address_space:  global
        .offset:         112
        .size:           8
        .value_kind:     global_buffer
      - .offset:         120
        .size:           4
        .value_kind:     by_value
      - .offset:         124
        .size:           4
        .value_kind:     by_value
      - .offset:         128
        .size:           4
        .value_kind:     by_value
      - .offset:         132
        .size:           4
        .value_kind:     by_value
      - .offset:         136
        .size:           4
        .value_kind:     by_value
      - .offset:         144
        .size:           4
        .value_kind:     hidden_block_count_x
      - .offset:         148
        .size:           4
        .value_kind:     hidden_block_count_y
      - .offset:         152
        .size:           4
        .value_kind:     hidden_block_count_z
      - .offset:         156
        .size:           2
        .value_kind:     hidden_group_size_x
      - .offset:         158
        .size:           2
        .value_kind:     hidden_group_size_y
      - .offset:         160
        .size:           2
        .value_kind:     hidden_group_size_z
      - .offset:         162
        .size:           2
        .value_kind:     hidden_remainder_x
      - .offset:         164
        .size:           2
        .value_kind:     hidden_remainder_y
      - .offset:         166
        .size:           2
        .value_kind:     hidden_remainder_z
      - .offset:         184
        .size:           8
        .value_kind:     hidden_global_offset_x
      - .offset:         192
        .size:           8
        .value_kind:     hidden_global_offset_y
      - .offset:         200
        .size:           8
        .value_kind:     hidden_global_offset_z
      - .offset:         208
        .size:           2
        .value_kind:     hidden_grid_dims
      - .offset:         264
        .size:           4
        .value_kind:     hidden_dynamic_lds_size
    .group_segment_fixed_size: 480
    .kernarg_segment_align: 8
    .kernarg_segment_size: 400
    .language:       OpenCL C
    .language_version:
      - 2
      - 0
    .max_flat_workgroup_size: 1024
    .name:           _ZN4vllm25paged_attention_v2_kernelIfhLi112ELi16ELi128ELNS_18Fp8KVCacheDataTypeE1ELb0ELi512EEEvPfS2_PT_PKS3_PKT0_S9_ifPKiSB_iPKfiiiSD_SD_iiiii
    .private_segment_fixed_size: 0
    .sgpr_count:     40
    .sgpr_spill_count: 0
    .symbol:         _ZN4vllm25paged_attention_v2_kernelIfhLi112ELi16ELi128ELNS_18Fp8KVCacheDataTypeE1ELb0ELi512EEEvPfS2_PT_PKS3_PKT0_S9_ifPKiSB_iPKfiiiSD_SD_iiiii.kd
    .uniform_work_group_size: 1
    .uses_dynamic_stack: false
    .vgpr_count:     107
    .vgpr_spill_count: 0
    .wavefront_size: 32
    .workgroup_processor_mode: 1
  - .args:
      - .actual_access:  write_only
        .address_space:  global
        .offset:         0
        .size:           8
        .value_kind:     global_buffer
      - .actual_access:  write_only
        .address_space:  global
        .offset:         8
        .size:           8
        .value_kind:     global_buffer
      - .actual_access:  write_only
        .address_space:  global
        .offset:         16
        .size:           8
        .value_kind:     global_buffer
      - .actual_access:  read_only
        .address_space:  global
        .offset:         24
        .size:           8
        .value_kind:     global_buffer
      - .actual_access:  read_only
        .address_space:  global
        .offset:         32
        .size:           8
        .value_kind:     global_buffer
      - .actual_access:  read_only
        .address_space:  global
        .offset:         40
        .size:           8
        .value_kind:     global_buffer
      - .offset:         48
        .size:           4
        .value_kind:     by_value
      - .offset:         52
        .size:           4
        .value_kind:     by_value
      - .actual_access:  read_only
        .address_space:  global
        .offset:         56
        .size:           8
        .value_kind:     global_buffer
      - .actual_access:  read_only
        .address_space:  global
        .offset:         64
        .size:           8
        .value_kind:     global_buffer
      - .offset:         72
        .size:           4
        .value_kind:     by_value
      - .actual_access:  read_only
        .address_space:  global
        .offset:         80
        .size:           8
        .value_kind:     global_buffer
      - .offset:         88
        .size:           4
        .value_kind:     by_value
      - .offset:         92
        .size:           4
        .value_kind:     by_value
      - .offset:         96
        .size:           4
        .value_kind:     by_value
      - .address_space:  global
        .offset:         104
        .size:           8
        .value_kind:     global_buffer
      - .address_space:  global
        .offset:         112
        .size:           8
        .value_kind:     global_buffer
      - .offset:         120
        .size:           4
        .value_kind:     by_value
      - .offset:         124
        .size:           4
        .value_kind:     by_value
      - .offset:         128
        .size:           4
        .value_kind:     by_value
      - .offset:         132
        .size:           4
        .value_kind:     by_value
      - .offset:         136
        .size:           4
        .value_kind:     by_value
      - .offset:         144
        .size:           4
        .value_kind:     hidden_block_count_x
      - .offset:         148
        .size:           4
        .value_kind:     hidden_block_count_y
      - .offset:         152
        .size:           4
        .value_kind:     hidden_block_count_z
      - .offset:         156
        .size:           2
        .value_kind:     hidden_group_size_x
      - .offset:         158
        .size:           2
        .value_kind:     hidden_group_size_y
      - .offset:         160
        .size:           2
        .value_kind:     hidden_group_size_z
      - .offset:         162
        .size:           2
        .value_kind:     hidden_remainder_x
      - .offset:         164
        .size:           2
        .value_kind:     hidden_remainder_y
      - .offset:         166
        .size:           2
        .value_kind:     hidden_remainder_z
      - .offset:         184
        .size:           8
        .value_kind:     hidden_global_offset_x
      - .offset:         192
        .size:           8
        .value_kind:     hidden_global_offset_y
      - .offset:         200
        .size:           8
        .value_kind:     hidden_global_offset_z
      - .offset:         208
        .size:           2
        .value_kind:     hidden_grid_dims
      - .offset:         264
        .size:           4
        .value_kind:     hidden_dynamic_lds_size
    .group_segment_fixed_size: 512
    .kernarg_segment_align: 8
    .kernarg_segment_size: 400
    .language:       OpenCL C
    .language_version:
      - 2
      - 0
    .max_flat_workgroup_size: 1024
    .name:           _ZN4vllm25paged_attention_v2_kernelIfhLi120ELi16ELi128ELNS_18Fp8KVCacheDataTypeE1ELb0ELi512EEEvPfS2_PT_PKS3_PKT0_S9_ifPKiSB_iPKfiiiSD_SD_iiiii
    .private_segment_fixed_size: 0
    .sgpr_count:     40
    .sgpr_spill_count: 0
    .symbol:         _ZN4vllm25paged_attention_v2_kernelIfhLi120ELi16ELi128ELNS_18Fp8KVCacheDataTypeE1ELb0ELi512EEEvPfS2_PT_PKS3_PKT0_S9_ifPKiSB_iPKfiiiSD_SD_iiiii.kd
    .uniform_work_group_size: 1
    .uses_dynamic_stack: false
    .vgpr_count:     113
    .vgpr_spill_count: 0
    .wavefront_size: 32
    .workgroup_processor_mode: 1
  - .args:
      - .actual_access:  write_only
        .address_space:  global
        .offset:         0
        .size:           8
        .value_kind:     global_buffer
      - .actual_access:  write_only
        .address_space:  global
        .offset:         8
        .size:           8
        .value_kind:     global_buffer
      - .actual_access:  write_only
        .address_space:  global
        .offset:         16
        .size:           8
        .value_kind:     global_buffer
      - .actual_access:  read_only
        .address_space:  global
        .offset:         24
        .size:           8
        .value_kind:     global_buffer
      - .actual_access:  read_only
        .address_space:  global
        .offset:         32
        .size:           8
        .value_kind:     global_buffer
      - .actual_access:  read_only
        .address_space:  global
        .offset:         40
        .size:           8
        .value_kind:     global_buffer
      - .offset:         48
        .size:           4
        .value_kind:     by_value
      - .offset:         52
        .size:           4
        .value_kind:     by_value
      - .actual_access:  read_only
        .address_space:  global
        .offset:         56
        .size:           8
        .value_kind:     global_buffer
      - .actual_access:  read_only
        .address_space:  global
        .offset:         64
        .size:           8
        .value_kind:     global_buffer
      - .offset:         72
        .size:           4
        .value_kind:     by_value
      - .actual_access:  read_only
        .address_space:  global
        .offset:         80
        .size:           8
        .value_kind:     global_buffer
      - .offset:         88
        .size:           4
        .value_kind:     by_value
      - .offset:         92
        .size:           4
        .value_kind:     by_value
      - .offset:         96
        .size:           4
        .value_kind:     by_value
      - .address_space:  global
        .offset:         104
        .size:           8
        .value_kind:     global_buffer
      - .address_space:  global
        .offset:         112
        .size:           8
        .value_kind:     global_buffer
      - .offset:         120
        .size:           4
        .value_kind:     by_value
      - .offset:         124
        .size:           4
        .value_kind:     by_value
      - .offset:         128
        .size:           4
        .value_kind:     by_value
      - .offset:         132
        .size:           4
        .value_kind:     by_value
      - .offset:         136
        .size:           4
        .value_kind:     by_value
      - .offset:         144
        .size:           4
        .value_kind:     hidden_block_count_x
      - .offset:         148
        .size:           4
        .value_kind:     hidden_block_count_y
      - .offset:         152
        .size:           4
        .value_kind:     hidden_block_count_z
      - .offset:         156
        .size:           2
        .value_kind:     hidden_group_size_x
      - .offset:         158
        .size:           2
        .value_kind:     hidden_group_size_y
      - .offset:         160
        .size:           2
        .value_kind:     hidden_group_size_z
      - .offset:         162
        .size:           2
        .value_kind:     hidden_remainder_x
      - .offset:         164
        .size:           2
        .value_kind:     hidden_remainder_y
      - .offset:         166
        .size:           2
        .value_kind:     hidden_remainder_z
      - .offset:         184
        .size:           8
        .value_kind:     hidden_global_offset_x
      - .offset:         192
        .size:           8
        .value_kind:     hidden_global_offset_y
      - .offset:         200
        .size:           8
        .value_kind:     hidden_global_offset_z
      - .offset:         208
        .size:           2
        .value_kind:     hidden_grid_dims
      - .offset:         264
        .size:           4
        .value_kind:     hidden_dynamic_lds_size
    .group_segment_fixed_size: 544
    .kernarg_segment_align: 8
    .kernarg_segment_size: 400
    .language:       OpenCL C
    .language_version:
      - 2
      - 0
    .max_flat_workgroup_size: 1024
    .name:           _ZN4vllm25paged_attention_v2_kernelIfhLi128ELi16ELi128ELNS_18Fp8KVCacheDataTypeE1ELb0ELi512EEEvPfS2_PT_PKS3_PKT0_S9_ifPKiSB_iPKfiiiSD_SD_iiiii
    .private_segment_fixed_size: 0
    .sgpr_count:     40
    .sgpr_spill_count: 0
    .symbol:         _ZN4vllm25paged_attention_v2_kernelIfhLi128ELi16ELi128ELNS_18Fp8KVCacheDataTypeE1ELb0ELi512EEEvPfS2_PT_PKS3_PKT0_S9_ifPKiSB_iPKfiiiSD_SD_iiiii.kd
    .uniform_work_group_size: 1
    .uses_dynamic_stack: false
    .vgpr_count:     119
    .vgpr_spill_count: 0
    .wavefront_size: 32
    .workgroup_processor_mode: 1
  - .args:
      - .actual_access:  write_only
        .address_space:  global
        .offset:         0
        .size:           8
        .value_kind:     global_buffer
      - .actual_access:  write_only
        .address_space:  global
        .offset:         8
        .size:           8
        .value_kind:     global_buffer
      - .actual_access:  write_only
        .address_space:  global
        .offset:         16
        .size:           8
        .value_kind:     global_buffer
      - .actual_access:  read_only
        .address_space:  global
        .offset:         24
        .size:           8
        .value_kind:     global_buffer
      - .actual_access:  read_only
        .address_space:  global
        .offset:         32
        .size:           8
        .value_kind:     global_buffer
      - .actual_access:  read_only
        .address_space:  global
        .offset:         40
        .size:           8
        .value_kind:     global_buffer
      - .offset:         48
        .size:           4
        .value_kind:     by_value
      - .offset:         52
        .size:           4
        .value_kind:     by_value
      - .actual_access:  read_only
        .address_space:  global
        .offset:         56
        .size:           8
        .value_kind:     global_buffer
      - .actual_access:  read_only
        .address_space:  global
        .offset:         64
        .size:           8
        .value_kind:     global_buffer
      - .offset:         72
        .size:           4
        .value_kind:     by_value
      - .actual_access:  read_only
        .address_space:  global
        .offset:         80
        .size:           8
        .value_kind:     global_buffer
      - .offset:         88
        .size:           4
        .value_kind:     by_value
      - .offset:         92
        .size:           4
        .value_kind:     by_value
      - .offset:         96
        .size:           4
        .value_kind:     by_value
      - .address_space:  global
        .offset:         104
        .size:           8
        .value_kind:     global_buffer
      - .address_space:  global
        .offset:         112
        .size:           8
        .value_kind:     global_buffer
      - .offset:         120
        .size:           4
        .value_kind:     by_value
      - .offset:         124
        .size:           4
        .value_kind:     by_value
      - .offset:         128
        .size:           4
        .value_kind:     by_value
      - .offset:         132
        .size:           4
        .value_kind:     by_value
      - .offset:         136
        .size:           4
        .value_kind:     by_value
      - .offset:         144
        .size:           4
        .value_kind:     hidden_block_count_x
      - .offset:         148
        .size:           4
        .value_kind:     hidden_block_count_y
      - .offset:         152
        .size:           4
        .value_kind:     hidden_block_count_z
      - .offset:         156
        .size:           2
        .value_kind:     hidden_group_size_x
      - .offset:         158
        .size:           2
        .value_kind:     hidden_group_size_y
      - .offset:         160
        .size:           2
        .value_kind:     hidden_group_size_z
      - .offset:         162
        .size:           2
        .value_kind:     hidden_remainder_x
      - .offset:         164
        .size:           2
        .value_kind:     hidden_remainder_y
      - .offset:         166
        .size:           2
        .value_kind:     hidden_remainder_z
      - .offset:         184
        .size:           8
        .value_kind:     hidden_global_offset_x
      - .offset:         192
        .size:           8
        .value_kind:     hidden_global_offset_y
      - .offset:         200
        .size:           8
        .value_kind:     hidden_global_offset_z
      - .offset:         208
        .size:           2
        .value_kind:     hidden_grid_dims
      - .offset:         264
        .size:           4
        .value_kind:     hidden_dynamic_lds_size
    .group_segment_fixed_size: 800
    .kernarg_segment_align: 8
    .kernarg_segment_size: 400
    .language:       OpenCL C
    .language_version:
      - 2
      - 0
    .max_flat_workgroup_size: 1024
    .name:           _ZN4vllm25paged_attention_v2_kernelIfhLi192ELi16ELi128ELNS_18Fp8KVCacheDataTypeE1ELb0ELi512EEEvPfS2_PT_PKS3_PKT0_S9_ifPKiSB_iPKfiiiSD_SD_iiiii
    .private_segment_fixed_size: 0
    .sgpr_count:     38
    .sgpr_spill_count: 0
    .symbol:         _ZN4vllm25paged_attention_v2_kernelIfhLi192ELi16ELi128ELNS_18Fp8KVCacheDataTypeE1ELb0ELi512EEEvPfS2_PT_PKS3_PKT0_S9_ifPKiSB_iPKfiiiSD_SD_iiiii.kd
    .uniform_work_group_size: 1
    .uses_dynamic_stack: false
    .vgpr_count:     168
    .vgpr_spill_count: 0
    .wavefront_size: 32
    .workgroup_processor_mode: 1
  - .args:
      - .actual_access:  write_only
        .address_space:  global
        .offset:         0
        .size:           8
        .value_kind:     global_buffer
      - .actual_access:  write_only
        .address_space:  global
        .offset:         8
        .size:           8
        .value_kind:     global_buffer
      - .actual_access:  write_only
        .address_space:  global
        .offset:         16
        .size:           8
        .value_kind:     global_buffer
      - .actual_access:  read_only
        .address_space:  global
        .offset:         24
        .size:           8
        .value_kind:     global_buffer
      - .actual_access:  read_only
        .address_space:  global
        .offset:         32
        .size:           8
        .value_kind:     global_buffer
      - .actual_access:  read_only
        .address_space:  global
        .offset:         40
        .size:           8
        .value_kind:     global_buffer
      - .offset:         48
        .size:           4
        .value_kind:     by_value
      - .offset:         52
        .size:           4
        .value_kind:     by_value
      - .actual_access:  read_only
        .address_space:  global
        .offset:         56
        .size:           8
        .value_kind:     global_buffer
      - .actual_access:  read_only
        .address_space:  global
        .offset:         64
        .size:           8
        .value_kind:     global_buffer
      - .offset:         72
        .size:           4
        .value_kind:     by_value
      - .actual_access:  read_only
        .address_space:  global
        .offset:         80
        .size:           8
        .value_kind:     global_buffer
      - .offset:         88
        .size:           4
        .value_kind:     by_value
      - .offset:         92
        .size:           4
        .value_kind:     by_value
      - .offset:         96
        .size:           4
        .value_kind:     by_value
      - .address_space:  global
        .offset:         104
        .size:           8
        .value_kind:     global_buffer
      - .address_space:  global
        .offset:         112
        .size:           8
        .value_kind:     global_buffer
      - .offset:         120
        .size:           4
        .value_kind:     by_value
      - .offset:         124
        .size:           4
        .value_kind:     by_value
      - .offset:         128
        .size:           4
        .value_kind:     by_value
      - .offset:         132
        .size:           4
        .value_kind:     by_value
      - .offset:         136
        .size:           4
        .value_kind:     by_value
      - .offset:         144
        .size:           4
        .value_kind:     hidden_block_count_x
      - .offset:         148
        .size:           4
        .value_kind:     hidden_block_count_y
      - .offset:         152
        .size:           4
        .value_kind:     hidden_block_count_z
      - .offset:         156
        .size:           2
        .value_kind:     hidden_group_size_x
      - .offset:         158
        .size:           2
        .value_kind:     hidden_group_size_y
      - .offset:         160
        .size:           2
        .value_kind:     hidden_group_size_z
      - .offset:         162
        .size:           2
        .value_kind:     hidden_remainder_x
      - .offset:         164
        .size:           2
        .value_kind:     hidden_remainder_y
      - .offset:         166
        .size:           2
        .value_kind:     hidden_remainder_z
      - .offset:         184
        .size:           8
        .value_kind:     hidden_global_offset_x
      - .offset:         192
        .size:           8
        .value_kind:     hidden_global_offset_y
      - .offset:         200
        .size:           8
        .value_kind:     hidden_global_offset_z
      - .offset:         208
        .size:           2
        .value_kind:     hidden_grid_dims
      - .offset:         264
        .size:           4
        .value_kind:     hidden_dynamic_lds_size
    .group_segment_fixed_size: 1056
    .kernarg_segment_align: 8
    .kernarg_segment_size: 400
    .language:       OpenCL C
    .language_version:
      - 2
      - 0
    .max_flat_workgroup_size: 1024
    .name:           _ZN4vllm25paged_attention_v2_kernelIfhLi256ELi16ELi128ELNS_18Fp8KVCacheDataTypeE1ELb0ELi512EEEvPfS2_PT_PKS3_PKT0_S9_ifPKiSB_iPKfiiiSD_SD_iiiii
    .private_segment_fixed_size: 104
    .sgpr_count:     38
    .sgpr_spill_count: 0
    .symbol:         _ZN4vllm25paged_attention_v2_kernelIfhLi256ELi16ELi128ELNS_18Fp8KVCacheDataTypeE1ELb0ELi512EEEvPfS2_PT_PKS3_PKT0_S9_ifPKiSB_iPKfiiiSD_SD_iiiii.kd
    .uniform_work_group_size: 1
    .uses_dynamic_stack: false
    .vgpr_count:     189
    .vgpr_spill_count: 25
    .wavefront_size: 32
    .workgroup_processor_mode: 1
  - .args:
      - .actual_access:  write_only
        .address_space:  global
        .offset:         0
        .size:           8
        .value_kind:     global_buffer
      - .actual_access:  write_only
        .address_space:  global
        .offset:         8
        .size:           8
        .value_kind:     global_buffer
      - .actual_access:  write_only
        .address_space:  global
        .offset:         16
        .size:           8
        .value_kind:     global_buffer
      - .actual_access:  read_only
        .address_space:  global
        .offset:         24
        .size:           8
        .value_kind:     global_buffer
      - .actual_access:  read_only
        .address_space:  global
        .offset:         32
        .size:           8
        .value_kind:     global_buffer
      - .actual_access:  read_only
        .address_space:  global
        .offset:         40
        .size:           8
        .value_kind:     global_buffer
      - .offset:         48
        .size:           4
        .value_kind:     by_value
      - .offset:         52
        .size:           4
        .value_kind:     by_value
      - .actual_access:  read_only
        .address_space:  global
        .offset:         56
        .size:           8
        .value_kind:     global_buffer
      - .actual_access:  read_only
        .address_space:  global
        .offset:         64
        .size:           8
        .value_kind:     global_buffer
      - .offset:         72
        .size:           4
        .value_kind:     by_value
      - .actual_access:  read_only
        .address_space:  global
        .offset:         80
        .size:           8
        .value_kind:     global_buffer
      - .offset:         88
        .size:           4
        .value_kind:     by_value
      - .offset:         92
        .size:           4
        .value_kind:     by_value
      - .offset:         96
        .size:           4
        .value_kind:     by_value
      - .address_space:  global
        .offset:         104
        .size:           8
        .value_kind:     global_buffer
      - .address_space:  global
        .offset:         112
        .size:           8
        .value_kind:     global_buffer
      - .offset:         120
        .size:           4
        .value_kind:     by_value
      - .offset:         124
        .size:           4
        .value_kind:     by_value
      - .offset:         128
        .size:           4
        .value_kind:     by_value
      - .offset:         132
        .size:           4
        .value_kind:     by_value
      - .offset:         136
        .size:           4
        .value_kind:     by_value
      - .offset:         144
        .size:           4
        .value_kind:     hidden_block_count_x
      - .offset:         148
        .size:           4
        .value_kind:     hidden_block_count_y
      - .offset:         152
        .size:           4
        .value_kind:     hidden_block_count_z
      - .offset:         156
        .size:           2
        .value_kind:     hidden_group_size_x
      - .offset:         158
        .size:           2
        .value_kind:     hidden_group_size_y
      - .offset:         160
        .size:           2
        .value_kind:     hidden_group_size_z
      - .offset:         162
        .size:           2
        .value_kind:     hidden_remainder_x
      - .offset:         164
        .size:           2
        .value_kind:     hidden_remainder_y
      - .offset:         166
        .size:           2
        .value_kind:     hidden_remainder_z
      - .offset:         184
        .size:           8
        .value_kind:     hidden_global_offset_x
      - .offset:         192
        .size:           8
        .value_kind:     hidden_global_offset_y
      - .offset:         200
        .size:           8
        .value_kind:     hidden_global_offset_z
      - .offset:         208
        .size:           2
        .value_kind:     hidden_grid_dims
      - .offset:         264
        .size:           4
        .value_kind:     hidden_dynamic_lds_size
    .group_segment_fixed_size: 160
    .kernarg_segment_align: 8
    .kernarg_segment_size: 400
    .language:       OpenCL C
    .language_version:
      - 2
      - 0
    .max_flat_workgroup_size: 1024
    .name:           _ZN4vllm25paged_attention_v2_kernelIfhLi32ELi32ELi128ELNS_18Fp8KVCacheDataTypeE1ELb1ELi512EEEvPfS2_PT_PKS3_PKT0_S9_ifPKiSB_iPKfiiiSD_SD_iiiii
    .private_segment_fixed_size: 0
    .sgpr_count:     48
    .sgpr_spill_count: 0
    .symbol:         _ZN4vllm25paged_attention_v2_kernelIfhLi32ELi32ELi128ELNS_18Fp8KVCacheDataTypeE1ELb1ELi512EEEvPfS2_PT_PKS3_PKT0_S9_ifPKiSB_iPKfiiiSD_SD_iiiii.kd
    .uniform_work_group_size: 1
    .uses_dynamic_stack: false
    .vgpr_count:     82
    .vgpr_spill_count: 0
    .wavefront_size: 32
    .workgroup_processor_mode: 1
  - .args:
      - .actual_access:  write_only
        .address_space:  global
        .offset:         0
        .size:           8
        .value_kind:     global_buffer
      - .actual_access:  write_only
        .address_space:  global
        .offset:         8
        .size:           8
        .value_kind:     global_buffer
      - .actual_access:  write_only
        .address_space:  global
        .offset:         16
        .size:           8
        .value_kind:     global_buffer
      - .actual_access:  read_only
        .address_space:  global
        .offset:         24
        .size:           8
        .value_kind:     global_buffer
      - .actual_access:  read_only
        .address_space:  global
        .offset:         32
        .size:           8
        .value_kind:     global_buffer
      - .actual_access:  read_only
        .address_space:  global
        .offset:         40
        .size:           8
        .value_kind:     global_buffer
      - .offset:         48
        .size:           4
        .value_kind:     by_value
      - .offset:         52
        .size:           4
        .value_kind:     by_value
      - .actual_access:  read_only
        .address_space:  global
        .offset:         56
        .size:           8
        .value_kind:     global_buffer
      - .actual_access:  read_only
        .address_space:  global
        .offset:         64
        .size:           8
        .value_kind:     global_buffer
      - .offset:         72
        .size:           4
        .value_kind:     by_value
      - .actual_access:  read_only
        .address_space:  global
        .offset:         80
        .size:           8
        .value_kind:     global_buffer
      - .offset:         88
        .size:           4
        .value_kind:     by_value
      - .offset:         92
        .size:           4
        .value_kind:     by_value
      - .offset:         96
        .size:           4
        .value_kind:     by_value
      - .address_space:  global
        .offset:         104
        .size:           8
        .value_kind:     global_buffer
      - .address_space:  global
        .offset:         112
        .size:           8
        .value_kind:     global_buffer
      - .offset:         120
        .size:           4
        .value_kind:     by_value
      - .offset:         124
        .size:           4
        .value_kind:     by_value
      - .offset:         128
        .size:           4
        .value_kind:     by_value
      - .offset:         132
        .size:           4
        .value_kind:     by_value
      - .offset:         136
        .size:           4
        .value_kind:     by_value
      - .offset:         144
        .size:           4
        .value_kind:     hidden_block_count_x
      - .offset:         148
        .size:           4
        .value_kind:     hidden_block_count_y
      - .offset:         152
        .size:           4
        .value_kind:     hidden_block_count_z
      - .offset:         156
        .size:           2
        .value_kind:     hidden_group_size_x
      - .offset:         158
        .size:           2
        .value_kind:     hidden_group_size_y
      - .offset:         160
        .size:           2
        .value_kind:     hidden_group_size_z
      - .offset:         162
        .size:           2
        .value_kind:     hidden_remainder_x
      - .offset:         164
        .size:           2
        .value_kind:     hidden_remainder_y
      - .offset:         166
        .size:           2
        .value_kind:     hidden_remainder_z
      - .offset:         184
        .size:           8
        .value_kind:     hidden_global_offset_x
      - .offset:         192
        .size:           8
        .value_kind:     hidden_global_offset_y
      - .offset:         200
        .size:           8
        .value_kind:     hidden_global_offset_z
      - .offset:         208
        .size:           2
        .value_kind:     hidden_grid_dims
      - .offset:         264
        .size:           4
        .value_kind:     hidden_dynamic_lds_size
    .group_segment_fixed_size: 288
    .kernarg_segment_align: 8
    .kernarg_segment_size: 400
    .language:       OpenCL C
    .language_version:
      - 2
      - 0
    .max_flat_workgroup_size: 1024
    .name:           _ZN4vllm25paged_attention_v2_kernelIfhLi64ELi32ELi128ELNS_18Fp8KVCacheDataTypeE1ELb1ELi512EEEvPfS2_PT_PKS3_PKT0_S9_ifPKiSB_iPKfiiiSD_SD_iiiii
    .private_segment_fixed_size: 0
    .sgpr_count:     46
    .sgpr_spill_count: 0
    .symbol:         _ZN4vllm25paged_attention_v2_kernelIfhLi64ELi32ELi128ELNS_18Fp8KVCacheDataTypeE1ELb1ELi512EEEvPfS2_PT_PKS3_PKT0_S9_ifPKiSB_iPKfiiiSD_SD_iiiii.kd
    .uniform_work_group_size: 1
    .uses_dynamic_stack: false
    .vgpr_count:     154
    .vgpr_spill_count: 0
    .wavefront_size: 32
    .workgroup_processor_mode: 1
  - .args:
      - .actual_access:  write_only
        .address_space:  global
        .offset:         0
        .size:           8
        .value_kind:     global_buffer
      - .actual_access:  write_only
        .address_space:  global
        .offset:         8
        .size:           8
        .value_kind:     global_buffer
      - .actual_access:  write_only
        .address_space:  global
        .offset:         16
        .size:           8
        .value_kind:     global_buffer
      - .actual_access:  read_only
        .address_space:  global
        .offset:         24
        .size:           8
        .value_kind:     global_buffer
      - .actual_access:  read_only
        .address_space:  global
        .offset:         32
        .size:           8
        .value_kind:     global_buffer
      - .actual_access:  read_only
        .address_space:  global
        .offset:         40
        .size:           8
        .value_kind:     global_buffer
      - .offset:         48
        .size:           4
        .value_kind:     by_value
      - .offset:         52
        .size:           4
        .value_kind:     by_value
      - .actual_access:  read_only
        .address_space:  global
        .offset:         56
        .size:           8
        .value_kind:     global_buffer
      - .actual_access:  read_only
        .address_space:  global
        .offset:         64
        .size:           8
        .value_kind:     global_buffer
      - .offset:         72
        .size:           4
        .value_kind:     by_value
      - .actual_access:  read_only
        .address_space:  global
        .offset:         80
        .size:           8
        .value_kind:     global_buffer
      - .offset:         88
        .size:           4
        .value_kind:     by_value
      - .offset:         92
        .size:           4
        .value_kind:     by_value
      - .offset:         96
        .size:           4
        .value_kind:     by_value
      - .address_space:  global
        .offset:         104
        .size:           8
        .value_kind:     global_buffer
      - .address_space:  global
        .offset:         112
        .size:           8
        .value_kind:     global_buffer
      - .offset:         120
        .size:           4
        .value_kind:     by_value
      - .offset:         124
        .size:           4
        .value_kind:     by_value
      - .offset:         128
        .size:           4
        .value_kind:     by_value
      - .offset:         132
        .size:           4
        .value_kind:     by_value
      - .offset:         136
        .size:           4
        .value_kind:     by_value
      - .offset:         144
        .size:           4
        .value_kind:     hidden_block_count_x
      - .offset:         148
        .size:           4
        .value_kind:     hidden_block_count_y
      - .offset:         152
        .size:           4
        .value_kind:     hidden_block_count_z
      - .offset:         156
        .size:           2
        .value_kind:     hidden_group_size_x
      - .offset:         158
        .size:           2
        .value_kind:     hidden_group_size_y
      - .offset:         160
        .size:           2
        .value_kind:     hidden_group_size_z
      - .offset:         162
        .size:           2
        .value_kind:     hidden_remainder_x
      - .offset:         164
        .size:           2
        .value_kind:     hidden_remainder_y
      - .offset:         166
        .size:           2
        .value_kind:     hidden_remainder_z
      - .offset:         184
        .size:           8
        .value_kind:     hidden_global_offset_x
      - .offset:         192
        .size:           8
        .value_kind:     hidden_global_offset_y
      - .offset:         200
        .size:           8
        .value_kind:     hidden_global_offset_z
      - .offset:         208
        .size:           2
        .value_kind:     hidden_grid_dims
      - .offset:         264
        .size:           4
        .value_kind:     hidden_dynamic_lds_size
    .group_segment_fixed_size: 352
    .kernarg_segment_align: 8
    .kernarg_segment_size: 400
    .language:       OpenCL C
    .language_version:
      - 2
      - 0
    .max_flat_workgroup_size: 1024
    .name:           _ZN4vllm25paged_attention_v2_kernelIfhLi80ELi32ELi128ELNS_18Fp8KVCacheDataTypeE1ELb1ELi512EEEvPfS2_PT_PKS3_PKT0_S9_ifPKiSB_iPKfiiiSD_SD_iiiii
    .private_segment_fixed_size: 0
    .sgpr_count:     46
    .sgpr_spill_count: 0
    .symbol:         _ZN4vllm25paged_attention_v2_kernelIfhLi80ELi32ELi128ELNS_18Fp8KVCacheDataTypeE1ELb1ELi512EEEvPfS2_PT_PKS3_PKT0_S9_ifPKiSB_iPKfiiiSD_SD_iiiii.kd
    .uniform_work_group_size: 1
    .uses_dynamic_stack: false
    .vgpr_count:     192
    .vgpr_spill_count: 0
    .wavefront_size: 32
    .workgroup_processor_mode: 1
  - .args:
      - .actual_access:  write_only
        .address_space:  global
        .offset:         0
        .size:           8
        .value_kind:     global_buffer
      - .actual_access:  write_only
        .address_space:  global
        .offset:         8
        .size:           8
        .value_kind:     global_buffer
      - .actual_access:  write_only
        .address_space:  global
        .offset:         16
        .size:           8
        .value_kind:     global_buffer
      - .actual_access:  read_only
        .address_space:  global
        .offset:         24
        .size:           8
        .value_kind:     global_buffer
      - .actual_access:  read_only
        .address_space:  global
        .offset:         32
        .size:           8
        .value_kind:     global_buffer
      - .actual_access:  read_only
        .address_space:  global
        .offset:         40
        .size:           8
        .value_kind:     global_buffer
      - .offset:         48
        .size:           4
        .value_kind:     by_value
      - .offset:         52
        .size:           4
        .value_kind:     by_value
      - .actual_access:  read_only
        .address_space:  global
        .offset:         56
        .size:           8
        .value_kind:     global_buffer
      - .actual_access:  read_only
        .address_space:  global
        .offset:         64
        .size:           8
        .value_kind:     global_buffer
      - .offset:         72
        .size:           4
        .value_kind:     by_value
      - .actual_access:  read_only
        .address_space:  global
        .offset:         80
        .size:           8
        .value_kind:     global_buffer
      - .offset:         88
        .size:           4
        .value_kind:     by_value
      - .offset:         92
        .size:           4
        .value_kind:     by_value
      - .offset:         96
        .size:           4
        .value_kind:     by_value
      - .address_space:  global
        .offset:         104
        .size:           8
        .value_kind:     global_buffer
      - .address_space:  global
        .offset:         112
        .size:           8
        .value_kind:     global_buffer
      - .offset:         120
        .size:           4
        .value_kind:     by_value
      - .offset:         124
        .size:           4
        .value_kind:     by_value
      - .offset:         128
        .size:           4
        .value_kind:     by_value
      - .offset:         132
        .size:           4
        .value_kind:     by_value
      - .offset:         136
        .size:           4
        .value_kind:     by_value
      - .offset:         144
        .size:           4
        .value_kind:     hidden_block_count_x
      - .offset:         148
        .size:           4
        .value_kind:     hidden_block_count_y
      - .offset:         152
        .size:           4
        .value_kind:     hidden_block_count_z
      - .offset:         156
        .size:           2
        .value_kind:     hidden_group_size_x
      - .offset:         158
        .size:           2
        .value_kind:     hidden_group_size_y
      - .offset:         160
        .size:           2
        .value_kind:     hidden_group_size_z
      - .offset:         162
        .size:           2
        .value_kind:     hidden_remainder_x
      - .offset:         164
        .size:           2
        .value_kind:     hidden_remainder_y
      - .offset:         166
        .size:           2
        .value_kind:     hidden_remainder_z
      - .offset:         184
        .size:           8
        .value_kind:     hidden_global_offset_x
      - .offset:         192
        .size:           8
        .value_kind:     hidden_global_offset_y
      - .offset:         200
        .size:           8
        .value_kind:     hidden_global_offset_z
      - .offset:         208
        .size:           2
        .value_kind:     hidden_grid_dims
      - .offset:         264
        .size:           4
        .value_kind:     hidden_dynamic_lds_size
    .group_segment_fixed_size: 416
    .kernarg_segment_align: 8
    .kernarg_segment_size: 400
    .language:       OpenCL C
    .language_version:
      - 2
      - 0
    .max_flat_workgroup_size: 1024
    .name:           _ZN4vllm25paged_attention_v2_kernelIfhLi96ELi32ELi128ELNS_18Fp8KVCacheDataTypeE1ELb1ELi512EEEvPfS2_PT_PKS3_PKT0_S9_ifPKiSB_iPKfiiiSD_SD_iiiii
    .private_segment_fixed_size: 0
    .sgpr_count:     46
    .sgpr_spill_count: 0
    .symbol:         _ZN4vllm25paged_attention_v2_kernelIfhLi96ELi32ELi128ELNS_18Fp8KVCacheDataTypeE1ELb1ELi512EEEvPfS2_PT_PKS3_PKT0_S9_ifPKiSB_iPKfiiiSD_SD_iiiii.kd
    .uniform_work_group_size: 1
    .uses_dynamic_stack: false
    .vgpr_count:     192
    .vgpr_spill_count: 0
    .wavefront_size: 32
    .workgroup_processor_mode: 1
  - .args:
      - .actual_access:  write_only
        .address_space:  global
        .offset:         0
        .size:           8
        .value_kind:     global_buffer
      - .actual_access:  write_only
        .address_space:  global
        .offset:         8
        .size:           8
        .value_kind:     global_buffer
      - .actual_access:  write_only
        .address_space:  global
        .offset:         16
        .size:           8
        .value_kind:     global_buffer
      - .actual_access:  read_only
        .address_space:  global
        .offset:         24
        .size:           8
        .value_kind:     global_buffer
      - .actual_access:  read_only
        .address_space:  global
        .offset:         32
        .size:           8
        .value_kind:     global_buffer
      - .actual_access:  read_only
        .address_space:  global
        .offset:         40
        .size:           8
        .value_kind:     global_buffer
      - .offset:         48
        .size:           4
        .value_kind:     by_value
      - .offset:         52
        .size:           4
        .value_kind:     by_value
      - .actual_access:  read_only
        .address_space:  global
        .offset:         56
        .size:           8
        .value_kind:     global_buffer
      - .actual_access:  read_only
        .address_space:  global
        .offset:         64
        .size:           8
        .value_kind:     global_buffer
      - .offset:         72
        .size:           4
        .value_kind:     by_value
      - .actual_access:  read_only
        .address_space:  global
        .offset:         80
        .size:           8
        .value_kind:     global_buffer
      - .offset:         88
        .size:           4
        .value_kind:     by_value
      - .offset:         92
        .size:           4
        .value_kind:     by_value
      - .offset:         96
        .size:           4
        .value_kind:     by_value
      - .address_space:  global
        .offset:         104
        .size:           8
        .value_kind:     global_buffer
      - .address_space:  global
        .offset:         112
        .size:           8
        .value_kind:     global_buffer
      - .offset:         120
        .size:           4
        .value_kind:     by_value
      - .offset:         124
        .size:           4
        .value_kind:     by_value
      - .offset:         128
        .size:           4
        .value_kind:     by_value
      - .offset:         132
        .size:           4
        .value_kind:     by_value
      - .offset:         136
        .size:           4
        .value_kind:     by_value
      - .offset:         144
        .size:           4
        .value_kind:     hidden_block_count_x
      - .offset:         148
        .size:           4
        .value_kind:     hidden_block_count_y
      - .offset:         152
        .size:           4
        .value_kind:     hidden_block_count_z
      - .offset:         156
        .size:           2
        .value_kind:     hidden_group_size_x
      - .offset:         158
        .size:           2
        .value_kind:     hidden_group_size_y
      - .offset:         160
        .size:           2
        .value_kind:     hidden_group_size_z
      - .offset:         162
        .size:           2
        .value_kind:     hidden_remainder_x
      - .offset:         164
        .size:           2
        .value_kind:     hidden_remainder_y
      - .offset:         166
        .size:           2
        .value_kind:     hidden_remainder_z
      - .offset:         184
        .size:           8
        .value_kind:     hidden_global_offset_x
      - .offset:         192
        .size:           8
        .value_kind:     hidden_global_offset_y
      - .offset:         200
        .size:           8
        .value_kind:     hidden_global_offset_z
      - .offset:         208
        .size:           2
        .value_kind:     hidden_grid_dims
      - .offset:         264
        .size:           4
        .value_kind:     hidden_dynamic_lds_size
    .group_segment_fixed_size: 480
    .kernarg_segment_align: 8
    .kernarg_segment_size: 400
    .language:       OpenCL C
    .language_version:
      - 2
      - 0
    .max_flat_workgroup_size: 1024
    .name:           _ZN4vllm25paged_attention_v2_kernelIfhLi112ELi32ELi128ELNS_18Fp8KVCacheDataTypeE1ELb1ELi512EEEvPfS2_PT_PKS3_PKT0_S9_ifPKiSB_iPKfiiiSD_SD_iiiii
    .private_segment_fixed_size: 148
    .sgpr_count:     46
    .sgpr_spill_count: 0
    .symbol:         _ZN4vllm25paged_attention_v2_kernelIfhLi112ELi32ELi128ELNS_18Fp8KVCacheDataTypeE1ELb1ELi512EEEvPfS2_PT_PKS3_PKT0_S9_ifPKiSB_iPKfiiiSD_SD_iiiii.kd
    .uniform_work_group_size: 1
    .uses_dynamic_stack: false
    .vgpr_count:     192
    .vgpr_spill_count: 36
    .wavefront_size: 32
    .workgroup_processor_mode: 1
  - .args:
      - .actual_access:  write_only
        .address_space:  global
        .offset:         0
        .size:           8
        .value_kind:     global_buffer
      - .actual_access:  write_only
        .address_space:  global
        .offset:         8
        .size:           8
        .value_kind:     global_buffer
      - .actual_access:  write_only
        .address_space:  global
        .offset:         16
        .size:           8
        .value_kind:     global_buffer
      - .actual_access:  read_only
        .address_space:  global
        .offset:         24
        .size:           8
        .value_kind:     global_buffer
      - .actual_access:  read_only
        .address_space:  global
        .offset:         32
        .size:           8
        .value_kind:     global_buffer
      - .actual_access:  read_only
        .address_space:  global
        .offset:         40
        .size:           8
        .value_kind:     global_buffer
      - .offset:         48
        .size:           4
        .value_kind:     by_value
      - .offset:         52
        .size:           4
        .value_kind:     by_value
      - .actual_access:  read_only
        .address_space:  global
        .offset:         56
        .size:           8
        .value_kind:     global_buffer
      - .actual_access:  read_only
        .address_space:  global
        .offset:         64
        .size:           8
        .value_kind:     global_buffer
      - .offset:         72
        .size:           4
        .value_kind:     by_value
      - .actual_access:  read_only
        .address_space:  global
        .offset:         80
        .size:           8
        .value_kind:     global_buffer
      - .offset:         88
        .size:           4
        .value_kind:     by_value
      - .offset:         92
        .size:           4
        .value_kind:     by_value
      - .offset:         96
        .size:           4
        .value_kind:     by_value
      - .address_space:  global
        .offset:         104
        .size:           8
        .value_kind:     global_buffer
      - .address_space:  global
        .offset:         112
        .size:           8
        .value_kind:     global_buffer
      - .offset:         120
        .size:           4
        .value_kind:     by_value
      - .offset:         124
        .size:           4
        .value_kind:     by_value
      - .offset:         128
        .size:           4
        .value_kind:     by_value
      - .offset:         132
        .size:           4
        .value_kind:     by_value
      - .offset:         136
        .size:           4
        .value_kind:     by_value
      - .offset:         144
        .size:           4
        .value_kind:     hidden_block_count_x
      - .offset:         148
        .size:           4
        .value_kind:     hidden_block_count_y
      - .offset:         152
        .size:           4
        .value_kind:     hidden_block_count_z
      - .offset:         156
        .size:           2
        .value_kind:     hidden_group_size_x
      - .offset:         158
        .size:           2
        .value_kind:     hidden_group_size_y
      - .offset:         160
        .size:           2
        .value_kind:     hidden_group_size_z
      - .offset:         162
        .size:           2
        .value_kind:     hidden_remainder_x
      - .offset:         164
        .size:           2
        .value_kind:     hidden_remainder_y
      - .offset:         166
        .size:           2
        .value_kind:     hidden_remainder_z
      - .offset:         184
        .size:           8
        .value_kind:     hidden_global_offset_x
      - .offset:         192
        .size:           8
        .value_kind:     hidden_global_offset_y
      - .offset:         200
        .size:           8
        .value_kind:     hidden_global_offset_z
      - .offset:         208
        .size:           2
        .value_kind:     hidden_grid_dims
      - .offset:         264
        .size:           4
        .value_kind:     hidden_dynamic_lds_size
    .group_segment_fixed_size: 512
    .kernarg_segment_align: 8
    .kernarg_segment_size: 400
    .language:       OpenCL C
    .language_version:
      - 2
      - 0
    .max_flat_workgroup_size: 1024
    .name:           _ZN4vllm25paged_attention_v2_kernelIfhLi120ELi32ELi128ELNS_18Fp8KVCacheDataTypeE1ELb1ELi512EEEvPfS2_PT_PKS3_PKT0_S9_ifPKiSB_iPKfiiiSD_SD_iiiii
    .private_segment_fixed_size: 212
    .sgpr_count:     46
    .sgpr_spill_count: 0
    .symbol:         _ZN4vllm25paged_attention_v2_kernelIfhLi120ELi32ELi128ELNS_18Fp8KVCacheDataTypeE1ELb1ELi512EEEvPfS2_PT_PKS3_PKT0_S9_ifPKiSB_iPKfiiiSD_SD_iiiii.kd
    .uniform_work_group_size: 1
    .uses_dynamic_stack: false
    .vgpr_count:     192
    .vgpr_spill_count: 52
    .wavefront_size: 32
    .workgroup_processor_mode: 1
  - .args:
      - .actual_access:  write_only
        .address_space:  global
        .offset:         0
        .size:           8
        .value_kind:     global_buffer
      - .actual_access:  write_only
        .address_space:  global
        .offset:         8
        .size:           8
        .value_kind:     global_buffer
      - .actual_access:  write_only
        .address_space:  global
        .offset:         16
        .size:           8
        .value_kind:     global_buffer
      - .actual_access:  read_only
        .address_space:  global
        .offset:         24
        .size:           8
        .value_kind:     global_buffer
      - .actual_access:  read_only
        .address_space:  global
        .offset:         32
        .size:           8
        .value_kind:     global_buffer
      - .actual_access:  read_only
        .address_space:  global
        .offset:         40
        .size:           8
        .value_kind:     global_buffer
      - .offset:         48
        .size:           4
        .value_kind:     by_value
      - .offset:         52
        .size:           4
        .value_kind:     by_value
      - .actual_access:  read_only
        .address_space:  global
        .offset:         56
        .size:           8
        .value_kind:     global_buffer
      - .actual_access:  read_only
        .address_space:  global
        .offset:         64
        .size:           8
        .value_kind:     global_buffer
      - .offset:         72
        .size:           4
        .value_kind:     by_value
      - .actual_access:  read_only
        .address_space:  global
        .offset:         80
        .size:           8
        .value_kind:     global_buffer
      - .offset:         88
        .size:           4
        .value_kind:     by_value
      - .offset:         92
        .size:           4
        .value_kind:     by_value
      - .offset:         96
        .size:           4
        .value_kind:     by_value
      - .address_space:  global
        .offset:         104
        .size:           8
        .value_kind:     global_buffer
      - .address_space:  global
        .offset:         112
        .size:           8
        .value_kind:     global_buffer
      - .offset:         120
        .size:           4
        .value_kind:     by_value
      - .offset:         124
        .size:           4
        .value_kind:     by_value
      - .offset:         128
        .size:           4
        .value_kind:     by_value
      - .offset:         132
        .size:           4
        .value_kind:     by_value
      - .offset:         136
        .size:           4
        .value_kind:     by_value
      - .offset:         144
        .size:           4
        .value_kind:     hidden_block_count_x
      - .offset:         148
        .size:           4
        .value_kind:     hidden_block_count_y
      - .offset:         152
        .size:           4
        .value_kind:     hidden_block_count_z
      - .offset:         156
        .size:           2
        .value_kind:     hidden_group_size_x
      - .offset:         158
        .size:           2
        .value_kind:     hidden_group_size_y
      - .offset:         160
        .size:           2
        .value_kind:     hidden_group_size_z
      - .offset:         162
        .size:           2
        .value_kind:     hidden_remainder_x
      - .offset:         164
        .size:           2
        .value_kind:     hidden_remainder_y
      - .offset:         166
        .size:           2
        .value_kind:     hidden_remainder_z
      - .offset:         184
        .size:           8
        .value_kind:     hidden_global_offset_x
      - .offset:         192
        .size:           8
        .value_kind:     hidden_global_offset_y
      - .offset:         200
        .size:           8
        .value_kind:     hidden_global_offset_z
      - .offset:         208
        .size:           2
        .value_kind:     hidden_grid_dims
      - .offset:         264
        .size:           4
        .value_kind:     hidden_dynamic_lds_size
    .group_segment_fixed_size: 544
    .kernarg_segment_align: 8
    .kernarg_segment_size: 400
    .language:       OpenCL C
    .language_version:
      - 2
      - 0
    .max_flat_workgroup_size: 1024
    .name:           _ZN4vllm25paged_attention_v2_kernelIfhLi128ELi32ELi128ELNS_18Fp8KVCacheDataTypeE1ELb1ELi512EEEvPfS2_PT_PKS3_PKT0_S9_ifPKiSB_iPKfiiiSD_SD_iiiii
    .private_segment_fixed_size: 264
    .sgpr_count:     46
    .sgpr_spill_count: 0
    .symbol:         _ZN4vllm25paged_attention_v2_kernelIfhLi128ELi32ELi128ELNS_18Fp8KVCacheDataTypeE1ELb1ELi512EEEvPfS2_PT_PKS3_PKT0_S9_ifPKiSB_iPKfiiiSD_SD_iiiii.kd
    .uniform_work_group_size: 1
    .uses_dynamic_stack: false
    .vgpr_count:     192
    .vgpr_spill_count: 65
    .wavefront_size: 32
    .workgroup_processor_mode: 1
  - .args:
      - .actual_access:  write_only
        .address_space:  global
        .offset:         0
        .size:           8
        .value_kind:     global_buffer
      - .actual_access:  write_only
        .address_space:  global
        .offset:         8
        .size:           8
        .value_kind:     global_buffer
      - .actual_access:  write_only
        .address_space:  global
        .offset:         16
        .size:           8
        .value_kind:     global_buffer
      - .actual_access:  read_only
        .address_space:  global
        .offset:         24
        .size:           8
        .value_kind:     global_buffer
      - .actual_access:  read_only
        .address_space:  global
        .offset:         32
        .size:           8
        .value_kind:     global_buffer
      - .actual_access:  read_only
        .address_space:  global
        .offset:         40
        .size:           8
        .value_kind:     global_buffer
      - .offset:         48
        .size:           4
        .value_kind:     by_value
      - .offset:         52
        .size:           4
        .value_kind:     by_value
      - .actual_access:  read_only
        .address_space:  global
        .offset:         56
        .size:           8
        .value_kind:     global_buffer
      - .actual_access:  read_only
        .address_space:  global
        .offset:         64
        .size:           8
        .value_kind:     global_buffer
      - .offset:         72
        .size:           4
        .value_kind:     by_value
      - .actual_access:  read_only
        .address_space:  global
        .offset:         80
        .size:           8
        .value_kind:     global_buffer
      - .offset:         88
        .size:           4
        .value_kind:     by_value
      - .offset:         92
        .size:           4
        .value_kind:     by_value
      - .offset:         96
        .size:           4
        .value_kind:     by_value
      - .address_space:  global
        .offset:         104
        .size:           8
        .value_kind:     global_buffer
      - .address_space:  global
        .offset:         112
        .size:           8
        .value_kind:     global_buffer
      - .offset:         120
        .size:           4
        .value_kind:     by_value
      - .offset:         124
        .size:           4
        .value_kind:     by_value
      - .offset:         128
        .size:           4
        .value_kind:     by_value
      - .offset:         132
        .size:           4
        .value_kind:     by_value
      - .offset:         136
        .size:           4
        .value_kind:     by_value
      - .offset:         144
        .size:           4
        .value_kind:     hidden_block_count_x
      - .offset:         148
        .size:           4
        .value_kind:     hidden_block_count_y
      - .offset:         152
        .size:           4
        .value_kind:     hidden_block_count_z
      - .offset:         156
        .size:           2
        .value_kind:     hidden_group_size_x
      - .offset:         158
        .size:           2
        .value_kind:     hidden_group_size_y
      - .offset:         160
        .size:           2
        .value_kind:     hidden_group_size_z
      - .offset:         162
        .size:           2
        .value_kind:     hidden_remainder_x
      - .offset:         164
        .size:           2
        .value_kind:     hidden_remainder_y
      - .offset:         166
        .size:           2
        .value_kind:     hidden_remainder_z
      - .offset:         184
        .size:           8
        .value_kind:     hidden_global_offset_x
      - .offset:         192
        .size:           8
        .value_kind:     hidden_global_offset_y
      - .offset:         200
        .size:           8
        .value_kind:     hidden_global_offset_z
      - .offset:         208
        .size:           2
        .value_kind:     hidden_grid_dims
      - .offset:         264
        .size:           4
        .value_kind:     hidden_dynamic_lds_size
    .group_segment_fixed_size: 800
    .kernarg_segment_align: 8
    .kernarg_segment_size: 400
    .language:       OpenCL C
    .language_version:
      - 2
      - 0
    .max_flat_workgroup_size: 1024
    .name:           _ZN4vllm25paged_attention_v2_kernelIfhLi192ELi32ELi128ELNS_18Fp8KVCacheDataTypeE1ELb1ELi512EEEvPfS2_PT_PKS3_PKT0_S9_ifPKiSB_iPKfiiiSD_SD_iiiii
    .private_segment_fixed_size: 780
    .sgpr_count:     46
    .sgpr_spill_count: 0
    .symbol:         _ZN4vllm25paged_attention_v2_kernelIfhLi192ELi32ELi128ELNS_18Fp8KVCacheDataTypeE1ELb1ELi512EEEvPfS2_PT_PKS3_PKT0_S9_ifPKiSB_iPKfiiiSD_SD_iiiii.kd
    .uniform_work_group_size: 1
    .uses_dynamic_stack: false
    .vgpr_count:     192
    .vgpr_spill_count: 252
    .wavefront_size: 32
    .workgroup_processor_mode: 1
  - .args:
      - .actual_access:  write_only
        .address_space:  global
        .offset:         0
        .size:           8
        .value_kind:     global_buffer
      - .actual_access:  write_only
        .address_space:  global
        .offset:         8
        .size:           8
        .value_kind:     global_buffer
      - .actual_access:  write_only
        .address_space:  global
        .offset:         16
        .size:           8
        .value_kind:     global_buffer
      - .actual_access:  read_only
        .address_space:  global
        .offset:         24
        .size:           8
        .value_kind:     global_buffer
      - .actual_access:  read_only
        .address_space:  global
        .offset:         32
        .size:           8
        .value_kind:     global_buffer
      - .actual_access:  read_only
        .address_space:  global
        .offset:         40
        .size:           8
        .value_kind:     global_buffer
      - .offset:         48
        .size:           4
        .value_kind:     by_value
      - .offset:         52
        .size:           4
        .value_kind:     by_value
      - .actual_access:  read_only
        .address_space:  global
        .offset:         56
        .size:           8
        .value_kind:     global_buffer
      - .actual_access:  read_only
        .address_space:  global
        .offset:         64
        .size:           8
        .value_kind:     global_buffer
      - .offset:         72
        .size:           4
        .value_kind:     by_value
      - .actual_access:  read_only
        .address_space:  global
        .offset:         80
        .size:           8
        .value_kind:     global_buffer
      - .offset:         88
        .size:           4
        .value_kind:     by_value
      - .offset:         92
        .size:           4
        .value_kind:     by_value
      - .offset:         96
        .size:           4
        .value_kind:     by_value
      - .address_space:  global
        .offset:         104
        .size:           8
        .value_kind:     global_buffer
      - .address_space:  global
        .offset:         112
        .size:           8
        .value_kind:     global_buffer
      - .offset:         120
        .size:           4
        .value_kind:     by_value
      - .offset:         124
        .size:           4
        .value_kind:     by_value
      - .offset:         128
        .size:           4
        .value_kind:     by_value
      - .offset:         132
        .size:           4
        .value_kind:     by_value
      - .offset:         136
        .size:           4
        .value_kind:     by_value
      - .offset:         144
        .size:           4
        .value_kind:     hidden_block_count_x
      - .offset:         148
        .size:           4
        .value_kind:     hidden_block_count_y
      - .offset:         152
        .size:           4
        .value_kind:     hidden_block_count_z
      - .offset:         156
        .size:           2
        .value_kind:     hidden_group_size_x
      - .offset:         158
        .size:           2
        .value_kind:     hidden_group_size_y
      - .offset:         160
        .size:           2
        .value_kind:     hidden_group_size_z
      - .offset:         162
        .size:           2
        .value_kind:     hidden_remainder_x
      - .offset:         164
        .size:           2
        .value_kind:     hidden_remainder_y
      - .offset:         166
        .size:           2
        .value_kind:     hidden_remainder_z
      - .offset:         184
        .size:           8
        .value_kind:     hidden_global_offset_x
      - .offset:         192
        .size:           8
        .value_kind:     hidden_global_offset_y
      - .offset:         200
        .size:           8
        .value_kind:     hidden_global_offset_z
      - .offset:         208
        .size:           2
        .value_kind:     hidden_grid_dims
      - .offset:         264
        .size:           4
        .value_kind:     hidden_dynamic_lds_size
    .group_segment_fixed_size: 1056
    .kernarg_segment_align: 8
    .kernarg_segment_size: 400
    .language:       OpenCL C
    .language_version:
      - 2
      - 0
    .max_flat_workgroup_size: 1024
    .name:           _ZN4vllm25paged_attention_v2_kernelIfhLi256ELi32ELi128ELNS_18Fp8KVCacheDataTypeE1ELb1ELi512EEEvPfS2_PT_PKS3_PKT0_S9_ifPKiSB_iPKfiiiSD_SD_iiiii
    .private_segment_fixed_size: 1384
    .sgpr_count:     44
    .sgpr_spill_count: 0
    .symbol:         _ZN4vllm25paged_attention_v2_kernelIfhLi256ELi32ELi128ELNS_18Fp8KVCacheDataTypeE1ELb1ELi512EEEvPfS2_PT_PKS3_PKT0_S9_ifPKiSB_iPKfiiiSD_SD_iiiii.kd
    .uniform_work_group_size: 1
    .uses_dynamic_stack: false
    .vgpr_count:     192
    .vgpr_spill_count: 518
    .wavefront_size: 32
    .workgroup_processor_mode: 1
  - .args:
      - .actual_access:  write_only
        .address_space:  global
        .offset:         0
        .size:           8
        .value_kind:     global_buffer
      - .actual_access:  write_only
        .address_space:  global
        .offset:         8
        .size:           8
        .value_kind:     global_buffer
      - .actual_access:  write_only
        .address_space:  global
        .offset:         16
        .size:           8
        .value_kind:     global_buffer
      - .actual_access:  read_only
        .address_space:  global
        .offset:         24
        .size:           8
        .value_kind:     global_buffer
      - .actual_access:  read_only
        .address_space:  global
        .offset:         32
        .size:           8
        .value_kind:     global_buffer
      - .actual_access:  read_only
        .address_space:  global
        .offset:         40
        .size:           8
        .value_kind:     global_buffer
      - .offset:         48
        .size:           4
        .value_kind:     by_value
      - .offset:         52
        .size:           4
        .value_kind:     by_value
      - .actual_access:  read_only
        .address_space:  global
        .offset:         56
        .size:           8
        .value_kind:     global_buffer
      - .actual_access:  read_only
        .address_space:  global
        .offset:         64
        .size:           8
        .value_kind:     global_buffer
      - .offset:         72
        .size:           4
        .value_kind:     by_value
      - .actual_access:  read_only
        .address_space:  global
        .offset:         80
        .size:           8
        .value_kind:     global_buffer
      - .offset:         88
        .size:           4
        .value_kind:     by_value
      - .offset:         92
        .size:           4
        .value_kind:     by_value
      - .offset:         96
        .size:           4
        .value_kind:     by_value
      - .address_space:  global
        .offset:         104
        .size:           8
        .value_kind:     global_buffer
      - .address_space:  global
        .offset:         112
        .size:           8
        .value_kind:     global_buffer
      - .offset:         120
        .size:           4
        .value_kind:     by_value
      - .offset:         124
        .size:           4
        .value_kind:     by_value
      - .offset:         128
        .size:           4
        .value_kind:     by_value
      - .offset:         132
        .size:           4
        .value_kind:     by_value
      - .offset:         136
        .size:           4
        .value_kind:     by_value
      - .offset:         144
        .size:           4
        .value_kind:     hidden_block_count_x
      - .offset:         148
        .size:           4
        .value_kind:     hidden_block_count_y
      - .offset:         152
        .size:           4
        .value_kind:     hidden_block_count_z
      - .offset:         156
        .size:           2
        .value_kind:     hidden_group_size_x
      - .offset:         158
        .size:           2
        .value_kind:     hidden_group_size_y
      - .offset:         160
        .size:           2
        .value_kind:     hidden_group_size_z
      - .offset:         162
        .size:           2
        .value_kind:     hidden_remainder_x
      - .offset:         164
        .size:           2
        .value_kind:     hidden_remainder_y
      - .offset:         166
        .size:           2
        .value_kind:     hidden_remainder_z
      - .offset:         184
        .size:           8
        .value_kind:     hidden_global_offset_x
      - .offset:         192
        .size:           8
        .value_kind:     hidden_global_offset_y
      - .offset:         200
        .size:           8
        .value_kind:     hidden_global_offset_z
      - .offset:         208
        .size:           2
        .value_kind:     hidden_grid_dims
      - .offset:         264
        .size:           4
        .value_kind:     hidden_dynamic_lds_size
    .group_segment_fixed_size: 160
    .kernarg_segment_align: 8
    .kernarg_segment_size: 400
    .language:       OpenCL C
    .language_version:
      - 2
      - 0
    .max_flat_workgroup_size: 1024
    .name:           _ZN4vllm25paged_attention_v2_kernelIfhLi32ELi32ELi128ELNS_18Fp8KVCacheDataTypeE1ELb0ELi512EEEvPfS2_PT_PKS3_PKT0_S9_ifPKiSB_iPKfiiiSD_SD_iiiii
    .private_segment_fixed_size: 0
    .sgpr_count:     40
    .sgpr_spill_count: 0
    .symbol:         _ZN4vllm25paged_attention_v2_kernelIfhLi32ELi32ELi128ELNS_18Fp8KVCacheDataTypeE1ELb0ELi512EEEvPfS2_PT_PKS3_PKT0_S9_ifPKiSB_iPKfiiiSD_SD_iiiii.kd
    .uniform_work_group_size: 1
    .uses_dynamic_stack: false
    .vgpr_count:     80
    .vgpr_spill_count: 0
    .wavefront_size: 32
    .workgroup_processor_mode: 1
  - .args:
      - .actual_access:  write_only
        .address_space:  global
        .offset:         0
        .size:           8
        .value_kind:     global_buffer
      - .actual_access:  write_only
        .address_space:  global
        .offset:         8
        .size:           8
        .value_kind:     global_buffer
      - .actual_access:  write_only
        .address_space:  global
        .offset:         16
        .size:           8
        .value_kind:     global_buffer
      - .actual_access:  read_only
        .address_space:  global
        .offset:         24
        .size:           8
        .value_kind:     global_buffer
      - .actual_access:  read_only
        .address_space:  global
        .offset:         32
        .size:           8
        .value_kind:     global_buffer
      - .actual_access:  read_only
        .address_space:  global
        .offset:         40
        .size:           8
        .value_kind:     global_buffer
      - .offset:         48
        .size:           4
        .value_kind:     by_value
      - .offset:         52
        .size:           4
        .value_kind:     by_value
      - .actual_access:  read_only
        .address_space:  global
        .offset:         56
        .size:           8
        .value_kind:     global_buffer
      - .actual_access:  read_only
        .address_space:  global
        .offset:         64
        .size:           8
        .value_kind:     global_buffer
      - .offset:         72
        .size:           4
        .value_kind:     by_value
      - .actual_access:  read_only
        .address_space:  global
        .offset:         80
        .size:           8
        .value_kind:     global_buffer
      - .offset:         88
        .size:           4
        .value_kind:     by_value
      - .offset:         92
        .size:           4
        .value_kind:     by_value
      - .offset:         96
        .size:           4
        .value_kind:     by_value
      - .address_space:  global
        .offset:         104
        .size:           8
        .value_kind:     global_buffer
      - .address_space:  global
        .offset:         112
        .size:           8
        .value_kind:     global_buffer
      - .offset:         120
        .size:           4
        .value_kind:     by_value
      - .offset:         124
        .size:           4
        .value_kind:     by_value
      - .offset:         128
        .size:           4
        .value_kind:     by_value
      - .offset:         132
        .size:           4
        .value_kind:     by_value
      - .offset:         136
        .size:           4
        .value_kind:     by_value
      - .offset:         144
        .size:           4
        .value_kind:     hidden_block_count_x
      - .offset:         148
        .size:           4
        .value_kind:     hidden_block_count_y
      - .offset:         152
        .size:           4
        .value_kind:     hidden_block_count_z
      - .offset:         156
        .size:           2
        .value_kind:     hidden_group_size_x
      - .offset:         158
        .size:           2
        .value_kind:     hidden_group_size_y
      - .offset:         160
        .size:           2
        .value_kind:     hidden_group_size_z
      - .offset:         162
        .size:           2
        .value_kind:     hidden_remainder_x
      - .offset:         164
        .size:           2
        .value_kind:     hidden_remainder_y
      - .offset:         166
        .size:           2
        .value_kind:     hidden_remainder_z
      - .offset:         184
        .size:           8
        .value_kind:     hidden_global_offset_x
      - .offset:         192
        .size:           8
        .value_kind:     hidden_global_offset_y
      - .offset:         200
        .size:           8
        .value_kind:     hidden_global_offset_z
      - .offset:         208
        .size:           2
        .value_kind:     hidden_grid_dims
      - .offset:         264
        .size:           4
        .value_kind:     hidden_dynamic_lds_size
    .group_segment_fixed_size: 288
    .kernarg_segment_align: 8
    .kernarg_segment_size: 400
    .language:       OpenCL C
    .language_version:
      - 2
      - 0
    .max_flat_workgroup_size: 1024
    .name:           _ZN4vllm25paged_attention_v2_kernelIfhLi64ELi32ELi128ELNS_18Fp8KVCacheDataTypeE1ELb0ELi512EEEvPfS2_PT_PKS3_PKT0_S9_ifPKiSB_iPKfiiiSD_SD_iiiii
    .private_segment_fixed_size: 0
    .sgpr_count:     40
    .sgpr_spill_count: 0
    .symbol:         _ZN4vllm25paged_attention_v2_kernelIfhLi64ELi32ELi128ELNS_18Fp8KVCacheDataTypeE1ELb0ELi512EEEvPfS2_PT_PKS3_PKT0_S9_ifPKiSB_iPKfiiiSD_SD_iiiii.kd
    .uniform_work_group_size: 1
    .uses_dynamic_stack: false
    .vgpr_count:     151
    .vgpr_spill_count: 0
    .wavefront_size: 32
    .workgroup_processor_mode: 1
  - .args:
      - .actual_access:  write_only
        .address_space:  global
        .offset:         0
        .size:           8
        .value_kind:     global_buffer
      - .actual_access:  write_only
        .address_space:  global
        .offset:         8
        .size:           8
        .value_kind:     global_buffer
      - .actual_access:  write_only
        .address_space:  global
        .offset:         16
        .size:           8
        .value_kind:     global_buffer
      - .actual_access:  read_only
        .address_space:  global
        .offset:         24
        .size:           8
        .value_kind:     global_buffer
      - .actual_access:  read_only
        .address_space:  global
        .offset:         32
        .size:           8
        .value_kind:     global_buffer
      - .actual_access:  read_only
        .address_space:  global
        .offset:         40
        .size:           8
        .value_kind:     global_buffer
      - .offset:         48
        .size:           4
        .value_kind:     by_value
      - .offset:         52
        .size:           4
        .value_kind:     by_value
      - .actual_access:  read_only
        .address_space:  global
        .offset:         56
        .size:           8
        .value_kind:     global_buffer
      - .actual_access:  read_only
        .address_space:  global
        .offset:         64
        .size:           8
        .value_kind:     global_buffer
      - .offset:         72
        .size:           4
        .value_kind:     by_value
      - .actual_access:  read_only
        .address_space:  global
        .offset:         80
        .size:           8
        .value_kind:     global_buffer
      - .offset:         88
        .size:           4
        .value_kind:     by_value
      - .offset:         92
        .size:           4
        .value_kind:     by_value
      - .offset:         96
        .size:           4
        .value_kind:     by_value
      - .address_space:  global
        .offset:         104
        .size:           8
        .value_kind:     global_buffer
      - .address_space:  global
        .offset:         112
        .size:           8
        .value_kind:     global_buffer
      - .offset:         120
        .size:           4
        .value_kind:     by_value
      - .offset:         124
        .size:           4
        .value_kind:     by_value
      - .offset:         128
        .size:           4
        .value_kind:     by_value
      - .offset:         132
        .size:           4
        .value_kind:     by_value
      - .offset:         136
        .size:           4
        .value_kind:     by_value
      - .offset:         144
        .size:           4
        .value_kind:     hidden_block_count_x
      - .offset:         148
        .size:           4
        .value_kind:     hidden_block_count_y
      - .offset:         152
        .size:           4
        .value_kind:     hidden_block_count_z
      - .offset:         156
        .size:           2
        .value_kind:     hidden_group_size_x
      - .offset:         158
        .size:           2
        .value_kind:     hidden_group_size_y
      - .offset:         160
        .size:           2
        .value_kind:     hidden_group_size_z
      - .offset:         162
        .size:           2
        .value_kind:     hidden_remainder_x
      - .offset:         164
        .size:           2
        .value_kind:     hidden_remainder_y
      - .offset:         166
        .size:           2
        .value_kind:     hidden_remainder_z
      - .offset:         184
        .size:           8
        .value_kind:     hidden_global_offset_x
      - .offset:         192
        .size:           8
        .value_kind:     hidden_global_offset_y
      - .offset:         200
        .size:           8
        .value_kind:     hidden_global_offset_z
      - .offset:         208
        .size:           2
        .value_kind:     hidden_grid_dims
      - .offset:         264
        .size:           4
        .value_kind:     hidden_dynamic_lds_size
    .group_segment_fixed_size: 352
    .kernarg_segment_align: 8
    .kernarg_segment_size: 400
    .language:       OpenCL C
    .language_version:
      - 2
      - 0
    .max_flat_workgroup_size: 1024
    .name:           _ZN4vllm25paged_attention_v2_kernelIfhLi80ELi32ELi128ELNS_18Fp8KVCacheDataTypeE1ELb0ELi512EEEvPfS2_PT_PKS3_PKT0_S9_ifPKiSB_iPKfiiiSD_SD_iiiii
    .private_segment_fixed_size: 40
    .sgpr_count:     38
    .sgpr_spill_count: 0
    .symbol:         _ZN4vllm25paged_attention_v2_kernelIfhLi80ELi32ELi128ELNS_18Fp8KVCacheDataTypeE1ELb0ELi512EEEvPfS2_PT_PKS3_PKT0_S9_ifPKiSB_iPKfiiiSD_SD_iiiii.kd
    .uniform_work_group_size: 1
    .uses_dynamic_stack: false
    .vgpr_count:     192
    .vgpr_spill_count: 9
    .wavefront_size: 32
    .workgroup_processor_mode: 1
  - .args:
      - .actual_access:  write_only
        .address_space:  global
        .offset:         0
        .size:           8
        .value_kind:     global_buffer
      - .actual_access:  write_only
        .address_space:  global
        .offset:         8
        .size:           8
        .value_kind:     global_buffer
      - .actual_access:  write_only
        .address_space:  global
        .offset:         16
        .size:           8
        .value_kind:     global_buffer
      - .actual_access:  read_only
        .address_space:  global
        .offset:         24
        .size:           8
        .value_kind:     global_buffer
      - .actual_access:  read_only
        .address_space:  global
        .offset:         32
        .size:           8
        .value_kind:     global_buffer
      - .actual_access:  read_only
        .address_space:  global
        .offset:         40
        .size:           8
        .value_kind:     global_buffer
      - .offset:         48
        .size:           4
        .value_kind:     by_value
      - .offset:         52
        .size:           4
        .value_kind:     by_value
      - .actual_access:  read_only
        .address_space:  global
        .offset:         56
        .size:           8
        .value_kind:     global_buffer
      - .actual_access:  read_only
        .address_space:  global
        .offset:         64
        .size:           8
        .value_kind:     global_buffer
      - .offset:         72
        .size:           4
        .value_kind:     by_value
      - .actual_access:  read_only
        .address_space:  global
        .offset:         80
        .size:           8
        .value_kind:     global_buffer
      - .offset:         88
        .size:           4
        .value_kind:     by_value
      - .offset:         92
        .size:           4
        .value_kind:     by_value
      - .offset:         96
        .size:           4
        .value_kind:     by_value
      - .address_space:  global
        .offset:         104
        .size:           8
        .value_kind:     global_buffer
      - .address_space:  global
        .offset:         112
        .size:           8
        .value_kind:     global_buffer
      - .offset:         120
        .size:           4
        .value_kind:     by_value
      - .offset:         124
        .size:           4
        .value_kind:     by_value
      - .offset:         128
        .size:           4
        .value_kind:     by_value
      - .offset:         132
        .size:           4
        .value_kind:     by_value
      - .offset:         136
        .size:           4
        .value_kind:     by_value
      - .offset:         144
        .size:           4
        .value_kind:     hidden_block_count_x
      - .offset:         148
        .size:           4
        .value_kind:     hidden_block_count_y
      - .offset:         152
        .size:           4
        .value_kind:     hidden_block_count_z
      - .offset:         156
        .size:           2
        .value_kind:     hidden_group_size_x
      - .offset:         158
        .size:           2
        .value_kind:     hidden_group_size_y
      - .offset:         160
        .size:           2
        .value_kind:     hidden_group_size_z
      - .offset:         162
        .size:           2
        .value_kind:     hidden_remainder_x
      - .offset:         164
        .size:           2
        .value_kind:     hidden_remainder_y
      - .offset:         166
        .size:           2
        .value_kind:     hidden_remainder_z
      - .offset:         184
        .size:           8
        .value_kind:     hidden_global_offset_x
      - .offset:         192
        .size:           8
        .value_kind:     hidden_global_offset_y
      - .offset:         200
        .size:           8
        .value_kind:     hidden_global_offset_z
      - .offset:         208
        .size:           2
        .value_kind:     hidden_grid_dims
      - .offset:         264
        .size:           4
        .value_kind:     hidden_dynamic_lds_size
    .group_segment_fixed_size: 416
    .kernarg_segment_align: 8
    .kernarg_segment_size: 400
    .language:       OpenCL C
    .language_version:
      - 2
      - 0
    .max_flat_workgroup_size: 1024
    .name:           _ZN4vllm25paged_attention_v2_kernelIfhLi96ELi32ELi128ELNS_18Fp8KVCacheDataTypeE1ELb0ELi512EEEvPfS2_PT_PKS3_PKT0_S9_ifPKiSB_iPKfiiiSD_SD_iiiii
    .private_segment_fixed_size: 96
    .sgpr_count:     38
    .sgpr_spill_count: 0
    .symbol:         _ZN4vllm25paged_attention_v2_kernelIfhLi96ELi32ELi128ELNS_18Fp8KVCacheDataTypeE1ELb0ELi512EEEvPfS2_PT_PKS3_PKT0_S9_ifPKiSB_iPKfiiiSD_SD_iiiii.kd
    .uniform_work_group_size: 1
    .uses_dynamic_stack: false
    .vgpr_count:     192
    .vgpr_spill_count: 23
    .wavefront_size: 32
    .workgroup_processor_mode: 1
  - .args:
      - .actual_access:  write_only
        .address_space:  global
        .offset:         0
        .size:           8
        .value_kind:     global_buffer
      - .actual_access:  write_only
        .address_space:  global
        .offset:         8
        .size:           8
        .value_kind:     global_buffer
      - .actual_access:  write_only
        .address_space:  global
        .offset:         16
        .size:           8
        .value_kind:     global_buffer
      - .actual_access:  read_only
        .address_space:  global
        .offset:         24
        .size:           8
        .value_kind:     global_buffer
      - .actual_access:  read_only
        .address_space:  global
        .offset:         32
        .size:           8
        .value_kind:     global_buffer
      - .actual_access:  read_only
        .address_space:  global
        .offset:         40
        .size:           8
        .value_kind:     global_buffer
      - .offset:         48
        .size:           4
        .value_kind:     by_value
      - .offset:         52
        .size:           4
        .value_kind:     by_value
      - .actual_access:  read_only
        .address_space:  global
        .offset:         56
        .size:           8
        .value_kind:     global_buffer
      - .actual_access:  read_only
        .address_space:  global
        .offset:         64
        .size:           8
        .value_kind:     global_buffer
      - .offset:         72
        .size:           4
        .value_kind:     by_value
      - .actual_access:  read_only
        .address_space:  global
        .offset:         80
        .size:           8
        .value_kind:     global_buffer
      - .offset:         88
        .size:           4
        .value_kind:     by_value
      - .offset:         92
        .size:           4
        .value_kind:     by_value
      - .offset:         96
        .size:           4
        .value_kind:     by_value
      - .address_space:  global
        .offset:         104
        .size:           8
        .value_kind:     global_buffer
      - .address_space:  global
        .offset:         112
        .size:           8
        .value_kind:     global_buffer
      - .offset:         120
        .size:           4
        .value_kind:     by_value
      - .offset:         124
        .size:           4
        .value_kind:     by_value
      - .offset:         128
        .size:           4
        .value_kind:     by_value
      - .offset:         132
        .size:           4
        .value_kind:     by_value
      - .offset:         136
        .size:           4
        .value_kind:     by_value
      - .offset:         144
        .size:           4
        .value_kind:     hidden_block_count_x
      - .offset:         148
        .size:           4
        .value_kind:     hidden_block_count_y
      - .offset:         152
        .size:           4
        .value_kind:     hidden_block_count_z
      - .offset:         156
        .size:           2
        .value_kind:     hidden_group_size_x
      - .offset:         158
        .size:           2
        .value_kind:     hidden_group_size_y
      - .offset:         160
        .size:           2
        .value_kind:     hidden_group_size_z
      - .offset:         162
        .size:           2
        .value_kind:     hidden_remainder_x
      - .offset:         164
        .size:           2
        .value_kind:     hidden_remainder_y
      - .offset:         166
        .size:           2
        .value_kind:     hidden_remainder_z
      - .offset:         184
        .size:           8
        .value_kind:     hidden_global_offset_x
      - .offset:         192
        .size:           8
        .value_kind:     hidden_global_offset_y
      - .offset:         200
        .size:           8
        .value_kind:     hidden_global_offset_z
      - .offset:         208
        .size:           2
        .value_kind:     hidden_grid_dims
      - .offset:         264
        .size:           4
        .value_kind:     hidden_dynamic_lds_size
    .group_segment_fixed_size: 480
    .kernarg_segment_align: 8
    .kernarg_segment_size: 400
    .language:       OpenCL C
    .language_version:
      - 2
      - 0
    .max_flat_workgroup_size: 1024
    .name:           _ZN4vllm25paged_attention_v2_kernelIfhLi112ELi32ELi128ELNS_18Fp8KVCacheDataTypeE1ELb0ELi512EEEvPfS2_PT_PKS3_PKT0_S9_ifPKiSB_iPKfiiiSD_SD_iiiii
    .private_segment_fixed_size: 216
    .sgpr_count:     38
    .sgpr_spill_count: 0
    .symbol:         _ZN4vllm25paged_attention_v2_kernelIfhLi112ELi32ELi128ELNS_18Fp8KVCacheDataTypeE1ELb0ELi512EEEvPfS2_PT_PKS3_PKT0_S9_ifPKiSB_iPKfiiiSD_SD_iiiii.kd
    .uniform_work_group_size: 1
    .uses_dynamic_stack: false
    .vgpr_count:     192
    .vgpr_spill_count: 53
    .wavefront_size: 32
    .workgroup_processor_mode: 1
  - .args:
      - .actual_access:  write_only
        .address_space:  global
        .offset:         0
        .size:           8
        .value_kind:     global_buffer
      - .actual_access:  write_only
        .address_space:  global
        .offset:         8
        .size:           8
        .value_kind:     global_buffer
      - .actual_access:  write_only
        .address_space:  global
        .offset:         16
        .size:           8
        .value_kind:     global_buffer
      - .actual_access:  read_only
        .address_space:  global
        .offset:         24
        .size:           8
        .value_kind:     global_buffer
      - .actual_access:  read_only
        .address_space:  global
        .offset:         32
        .size:           8
        .value_kind:     global_buffer
      - .actual_access:  read_only
        .address_space:  global
        .offset:         40
        .size:           8
        .value_kind:     global_buffer
      - .offset:         48
        .size:           4
        .value_kind:     by_value
      - .offset:         52
        .size:           4
        .value_kind:     by_value
      - .actual_access:  read_only
        .address_space:  global
        .offset:         56
        .size:           8
        .value_kind:     global_buffer
      - .actual_access:  read_only
        .address_space:  global
        .offset:         64
        .size:           8
        .value_kind:     global_buffer
      - .offset:         72
        .size:           4
        .value_kind:     by_value
      - .actual_access:  read_only
        .address_space:  global
        .offset:         80
        .size:           8
        .value_kind:     global_buffer
      - .offset:         88
        .size:           4
        .value_kind:     by_value
      - .offset:         92
        .size:           4
        .value_kind:     by_value
      - .offset:         96
        .size:           4
        .value_kind:     by_value
      - .address_space:  global
        .offset:         104
        .size:           8
        .value_kind:     global_buffer
      - .address_space:  global
        .offset:         112
        .size:           8
        .value_kind:     global_buffer
      - .offset:         120
        .size:           4
        .value_kind:     by_value
      - .offset:         124
        .size:           4
        .value_kind:     by_value
      - .offset:         128
        .size:           4
        .value_kind:     by_value
      - .offset:         132
        .size:           4
        .value_kind:     by_value
      - .offset:         136
        .size:           4
        .value_kind:     by_value
      - .offset:         144
        .size:           4
        .value_kind:     hidden_block_count_x
      - .offset:         148
        .size:           4
        .value_kind:     hidden_block_count_y
      - .offset:         152
        .size:           4
        .value_kind:     hidden_block_count_z
      - .offset:         156
        .size:           2
        .value_kind:     hidden_group_size_x
      - .offset:         158
        .size:           2
        .value_kind:     hidden_group_size_y
      - .offset:         160
        .size:           2
        .value_kind:     hidden_group_size_z
      - .offset:         162
        .size:           2
        .value_kind:     hidden_remainder_x
      - .offset:         164
        .size:           2
        .value_kind:     hidden_remainder_y
      - .offset:         166
        .size:           2
        .value_kind:     hidden_remainder_z
      - .offset:         184
        .size:           8
        .value_kind:     hidden_global_offset_x
      - .offset:         192
        .size:           8
        .value_kind:     hidden_global_offset_y
      - .offset:         200
        .size:           8
        .value_kind:     hidden_global_offset_z
      - .offset:         208
        .size:           2
        .value_kind:     hidden_grid_dims
      - .offset:         264
        .size:           4
        .value_kind:     hidden_dynamic_lds_size
    .group_segment_fixed_size: 512
    .kernarg_segment_align: 8
    .kernarg_segment_size: 400
    .language:       OpenCL C
    .language_version:
      - 2
      - 0
    .max_flat_workgroup_size: 1024
    .name:           _ZN4vllm25paged_attention_v2_kernelIfhLi120ELi32ELi128ELNS_18Fp8KVCacheDataTypeE1ELb0ELi512EEEvPfS2_PT_PKS3_PKT0_S9_ifPKiSB_iPKfiiiSD_SD_iiiii
    .private_segment_fixed_size: 292
    .sgpr_count:     38
    .sgpr_spill_count: 0
    .symbol:         _ZN4vllm25paged_attention_v2_kernelIfhLi120ELi32ELi128ELNS_18Fp8KVCacheDataTypeE1ELb0ELi512EEEvPfS2_PT_PKS3_PKT0_S9_ifPKiSB_iPKfiiiSD_SD_iiiii.kd
    .uniform_work_group_size: 1
    .uses_dynamic_stack: false
    .vgpr_count:     192
    .vgpr_spill_count: 72
    .wavefront_size: 32
    .workgroup_processor_mode: 1
  - .args:
      - .actual_access:  write_only
        .address_space:  global
        .offset:         0
        .size:           8
        .value_kind:     global_buffer
      - .actual_access:  write_only
        .address_space:  global
        .offset:         8
        .size:           8
        .value_kind:     global_buffer
      - .actual_access:  write_only
        .address_space:  global
        .offset:         16
        .size:           8
        .value_kind:     global_buffer
      - .actual_access:  read_only
        .address_space:  global
        .offset:         24
        .size:           8
        .value_kind:     global_buffer
      - .actual_access:  read_only
        .address_space:  global
        .offset:         32
        .size:           8
        .value_kind:     global_buffer
      - .actual_access:  read_only
        .address_space:  global
        .offset:         40
        .size:           8
        .value_kind:     global_buffer
      - .offset:         48
        .size:           4
        .value_kind:     by_value
      - .offset:         52
        .size:           4
        .value_kind:     by_value
      - .actual_access:  read_only
        .address_space:  global
        .offset:         56
        .size:           8
        .value_kind:     global_buffer
      - .actual_access:  read_only
        .address_space:  global
        .offset:         64
        .size:           8
        .value_kind:     global_buffer
      - .offset:         72
        .size:           4
        .value_kind:     by_value
      - .actual_access:  read_only
        .address_space:  global
        .offset:         80
        .size:           8
        .value_kind:     global_buffer
      - .offset:         88
        .size:           4
        .value_kind:     by_value
      - .offset:         92
        .size:           4
        .value_kind:     by_value
      - .offset:         96
        .size:           4
        .value_kind:     by_value
      - .address_space:  global
        .offset:         104
        .size:           8
        .value_kind:     global_buffer
      - .address_space:  global
        .offset:         112
        .size:           8
        .value_kind:     global_buffer
      - .offset:         120
        .size:           4
        .value_kind:     by_value
      - .offset:         124
        .size:           4
        .value_kind:     by_value
      - .offset:         128
        .size:           4
        .value_kind:     by_value
      - .offset:         132
        .size:           4
        .value_kind:     by_value
      - .offset:         136
        .size:           4
        .value_kind:     by_value
      - .offset:         144
        .size:           4
        .value_kind:     hidden_block_count_x
      - .offset:         148
        .size:           4
        .value_kind:     hidden_block_count_y
      - .offset:         152
        .size:           4
        .value_kind:     hidden_block_count_z
      - .offset:         156
        .size:           2
        .value_kind:     hidden_group_size_x
      - .offset:         158
        .size:           2
        .value_kind:     hidden_group_size_y
      - .offset:         160
        .size:           2
        .value_kind:     hidden_group_size_z
      - .offset:         162
        .size:           2
        .value_kind:     hidden_remainder_x
      - .offset:         164
        .size:           2
        .value_kind:     hidden_remainder_y
      - .offset:         166
        .size:           2
        .value_kind:     hidden_remainder_z
      - .offset:         184
        .size:           8
        .value_kind:     hidden_global_offset_x
      - .offset:         192
        .size:           8
        .value_kind:     hidden_global_offset_y
      - .offset:         200
        .size:           8
        .value_kind:     hidden_global_offset_z
      - .offset:         208
        .size:           2
        .value_kind:     hidden_grid_dims
      - .offset:         264
        .size:           4
        .value_kind:     hidden_dynamic_lds_size
    .group_segment_fixed_size: 544
    .kernarg_segment_align: 8
    .kernarg_segment_size: 400
    .language:       OpenCL C
    .language_version:
      - 2
      - 0
    .max_flat_workgroup_size: 1024
    .name:           _ZN4vllm25paged_attention_v2_kernelIfhLi128ELi32ELi128ELNS_18Fp8KVCacheDataTypeE1ELb0ELi512EEEvPfS2_PT_PKS3_PKT0_S9_ifPKiSB_iPKfiiiSD_SD_iiiii
    .private_segment_fixed_size: 352
    .sgpr_count:     38
    .sgpr_spill_count: 0
    .symbol:         _ZN4vllm25paged_attention_v2_kernelIfhLi128ELi32ELi128ELNS_18Fp8KVCacheDataTypeE1ELb0ELi512EEEvPfS2_PT_PKS3_PKT0_S9_ifPKiSB_iPKfiiiSD_SD_iiiii.kd
    .uniform_work_group_size: 1
    .uses_dynamic_stack: false
    .vgpr_count:     192
    .vgpr_spill_count: 87
    .wavefront_size: 32
    .workgroup_processor_mode: 1
  - .args:
      - .actual_access:  write_only
        .address_space:  global
        .offset:         0
        .size:           8
        .value_kind:     global_buffer
      - .actual_access:  write_only
        .address_space:  global
        .offset:         8
        .size:           8
        .value_kind:     global_buffer
      - .actual_access:  write_only
        .address_space:  global
        .offset:         16
        .size:           8
        .value_kind:     global_buffer
      - .actual_access:  read_only
        .address_space:  global
        .offset:         24
        .size:           8
        .value_kind:     global_buffer
      - .actual_access:  read_only
        .address_space:  global
        .offset:         32
        .size:           8
        .value_kind:     global_buffer
      - .actual_access:  read_only
        .address_space:  global
        .offset:         40
        .size:           8
        .value_kind:     global_buffer
      - .offset:         48
        .size:           4
        .value_kind:     by_value
      - .offset:         52
        .size:           4
        .value_kind:     by_value
      - .actual_access:  read_only
        .address_space:  global
        .offset:         56
        .size:           8
        .value_kind:     global_buffer
      - .actual_access:  read_only
        .address_space:  global
        .offset:         64
        .size:           8
        .value_kind:     global_buffer
      - .offset:         72
        .size:           4
        .value_kind:     by_value
      - .actual_access:  read_only
        .address_space:  global
        .offset:         80
        .size:           8
        .value_kind:     global_buffer
      - .offset:         88
        .size:           4
        .value_kind:     by_value
      - .offset:         92
        .size:           4
        .value_kind:     by_value
      - .offset:         96
        .size:           4
        .value_kind:     by_value
      - .address_space:  global
        .offset:         104
        .size:           8
        .value_kind:     global_buffer
      - .address_space:  global
        .offset:         112
        .size:           8
        .value_kind:     global_buffer
      - .offset:         120
        .size:           4
        .value_kind:     by_value
      - .offset:         124
        .size:           4
        .value_kind:     by_value
      - .offset:         128
        .size:           4
        .value_kind:     by_value
      - .offset:         132
        .size:           4
        .value_kind:     by_value
      - .offset:         136
        .size:           4
        .value_kind:     by_value
      - .offset:         144
        .size:           4
        .value_kind:     hidden_block_count_x
      - .offset:         148
        .size:           4
        .value_kind:     hidden_block_count_y
      - .offset:         152
        .size:           4
        .value_kind:     hidden_block_count_z
      - .offset:         156
        .size:           2
        .value_kind:     hidden_group_size_x
      - .offset:         158
        .size:           2
        .value_kind:     hidden_group_size_y
      - .offset:         160
        .size:           2
        .value_kind:     hidden_group_size_z
      - .offset:         162
        .size:           2
        .value_kind:     hidden_remainder_x
      - .offset:         164
        .size:           2
        .value_kind:     hidden_remainder_y
      - .offset:         166
        .size:           2
        .value_kind:     hidden_remainder_z
      - .offset:         184
        .size:           8
        .value_kind:     hidden_global_offset_x
      - .offset:         192
        .size:           8
        .value_kind:     hidden_global_offset_y
      - .offset:         200
        .size:           8
        .value_kind:     hidden_global_offset_z
      - .offset:         208
        .size:           2
        .value_kind:     hidden_grid_dims
      - .offset:         264
        .size:           4
        .value_kind:     hidden_dynamic_lds_size
    .group_segment_fixed_size: 800
    .kernarg_segment_align: 8
    .kernarg_segment_size: 400
    .language:       OpenCL C
    .language_version:
      - 2
      - 0
    .max_flat_workgroup_size: 1024
    .name:           _ZN4vllm25paged_attention_v2_kernelIfhLi192ELi32ELi128ELNS_18Fp8KVCacheDataTypeE1ELb0ELi512EEEvPfS2_PT_PKS3_PKT0_S9_ifPKiSB_iPKfiiiSD_SD_iiiii
    .private_segment_fixed_size: 868
    .sgpr_count:     38
    .sgpr_spill_count: 0
    .symbol:         _ZN4vllm25paged_attention_v2_kernelIfhLi192ELi32ELi128ELNS_18Fp8KVCacheDataTypeE1ELb0ELi512EEEvPfS2_PT_PKS3_PKT0_S9_ifPKiSB_iPKfiiiSD_SD_iiiii.kd
    .uniform_work_group_size: 1
    .uses_dynamic_stack: false
    .vgpr_count:     192
    .vgpr_spill_count: 343
    .wavefront_size: 32
    .workgroup_processor_mode: 1
  - .args:
      - .actual_access:  write_only
        .address_space:  global
        .offset:         0
        .size:           8
        .value_kind:     global_buffer
      - .actual_access:  write_only
        .address_space:  global
        .offset:         8
        .size:           8
        .value_kind:     global_buffer
      - .actual_access:  write_only
        .address_space:  global
        .offset:         16
        .size:           8
        .value_kind:     global_buffer
      - .actual_access:  read_only
        .address_space:  global
        .offset:         24
        .size:           8
        .value_kind:     global_buffer
      - .actual_access:  read_only
        .address_space:  global
        .offset:         32
        .size:           8
        .value_kind:     global_buffer
      - .actual_access:  read_only
        .address_space:  global
        .offset:         40
        .size:           8
        .value_kind:     global_buffer
      - .offset:         48
        .size:           4
        .value_kind:     by_value
      - .offset:         52
        .size:           4
        .value_kind:     by_value
      - .actual_access:  read_only
        .address_space:  global
        .offset:         56
        .size:           8
        .value_kind:     global_buffer
      - .actual_access:  read_only
        .address_space:  global
        .offset:         64
        .size:           8
        .value_kind:     global_buffer
      - .offset:         72
        .size:           4
        .value_kind:     by_value
      - .actual_access:  read_only
        .address_space:  global
        .offset:         80
        .size:           8
        .value_kind:     global_buffer
      - .offset:         88
        .size:           4
        .value_kind:     by_value
      - .offset:         92
        .size:           4
        .value_kind:     by_value
      - .offset:         96
        .size:           4
        .value_kind:     by_value
      - .address_space:  global
        .offset:         104
        .size:           8
        .value_kind:     global_buffer
      - .address_space:  global
        .offset:         112
        .size:           8
        .value_kind:     global_buffer
      - .offset:         120
        .size:           4
        .value_kind:     by_value
      - .offset:         124
        .size:           4
        .value_kind:     by_value
      - .offset:         128
        .size:           4
        .value_kind:     by_value
      - .offset:         132
        .size:           4
        .value_kind:     by_value
      - .offset:         136
        .size:           4
        .value_kind:     by_value
      - .offset:         144
        .size:           4
        .value_kind:     hidden_block_count_x
      - .offset:         148
        .size:           4
        .value_kind:     hidden_block_count_y
      - .offset:         152
        .size:           4
        .value_kind:     hidden_block_count_z
      - .offset:         156
        .size:           2
        .value_kind:     hidden_group_size_x
      - .offset:         158
        .size:           2
        .value_kind:     hidden_group_size_y
      - .offset:         160
        .size:           2
        .value_kind:     hidden_group_size_z
      - .offset:         162
        .size:           2
        .value_kind:     hidden_remainder_x
      - .offset:         164
        .size:           2
        .value_kind:     hidden_remainder_y
      - .offset:         166
        .size:           2
        .value_kind:     hidden_remainder_z
      - .offset:         184
        .size:           8
        .value_kind:     hidden_global_offset_x
      - .offset:         192
        .size:           8
        .value_kind:     hidden_global_offset_y
      - .offset:         200
        .size:           8
        .value_kind:     hidden_global_offset_z
      - .offset:         208
        .size:           2
        .value_kind:     hidden_grid_dims
      - .offset:         264
        .size:           4
        .value_kind:     hidden_dynamic_lds_size
    .group_segment_fixed_size: 1056
    .kernarg_segment_align: 8
    .kernarg_segment_size: 400
    .language:       OpenCL C
    .language_version:
      - 2
      - 0
    .max_flat_workgroup_size: 1024
    .name:           _ZN4vllm25paged_attention_v2_kernelIfhLi256ELi32ELi128ELNS_18Fp8KVCacheDataTypeE1ELb0ELi512EEEvPfS2_PT_PKS3_PKT0_S9_ifPKiSB_iPKfiiiSD_SD_iiiii
    .private_segment_fixed_size: 1392
    .sgpr_count:     38
    .sgpr_spill_count: 0
    .symbol:         _ZN4vllm25paged_attention_v2_kernelIfhLi256ELi32ELi128ELNS_18Fp8KVCacheDataTypeE1ELb0ELi512EEEvPfS2_PT_PKS3_PKT0_S9_ifPKiSB_iPKfiiiSD_SD_iiiii.kd
    .uniform_work_group_size: 1
    .uses_dynamic_stack: false
    .vgpr_count:     192
    .vgpr_spill_count: 685
    .wavefront_size: 32
    .workgroup_processor_mode: 1
  - .args:
      - .actual_access:  write_only
        .address_space:  global
        .offset:         0
        .size:           8
        .value_kind:     global_buffer
      - .actual_access:  write_only
        .address_space:  global
        .offset:         8
        .size:           8
        .value_kind:     global_buffer
      - .actual_access:  write_only
        .address_space:  global
        .offset:         16
        .size:           8
        .value_kind:     global_buffer
      - .actual_access:  read_only
        .address_space:  global
        .offset:         24
        .size:           8
        .value_kind:     global_buffer
      - .actual_access:  read_only
        .address_space:  global
        .offset:         32
        .size:           8
        .value_kind:     global_buffer
      - .actual_access:  read_only
        .address_space:  global
        .offset:         40
        .size:           8
        .value_kind:     global_buffer
      - .offset:         48
        .size:           4
        .value_kind:     by_value
      - .offset:         52
        .size:           4
        .value_kind:     by_value
      - .actual_access:  read_only
        .address_space:  global
        .offset:         56
        .size:           8
        .value_kind:     global_buffer
      - .actual_access:  read_only
        .address_space:  global
        .offset:         64
        .size:           8
        .value_kind:     global_buffer
      - .offset:         72
        .size:           4
        .value_kind:     by_value
      - .actual_access:  read_only
        .address_space:  global
        .offset:         80
        .size:           8
        .value_kind:     global_buffer
      - .offset:         88
        .size:           4
        .value_kind:     by_value
      - .offset:         92
        .size:           4
        .value_kind:     by_value
      - .offset:         96
        .size:           4
        .value_kind:     by_value
      - .address_space:  global
        .offset:         104
        .size:           8
        .value_kind:     global_buffer
      - .address_space:  global
        .offset:         112
        .size:           8
        .value_kind:     global_buffer
      - .offset:         120
        .size:           4
        .value_kind:     by_value
      - .offset:         124
        .size:           4
        .value_kind:     by_value
      - .offset:         128
        .size:           4
        .value_kind:     by_value
      - .offset:         132
        .size:           4
        .value_kind:     by_value
      - .offset:         136
        .size:           4
        .value_kind:     by_value
      - .offset:         144
        .size:           4
        .value_kind:     hidden_block_count_x
      - .offset:         148
        .size:           4
        .value_kind:     hidden_block_count_y
      - .offset:         152
        .size:           4
        .value_kind:     hidden_block_count_z
      - .offset:         156
        .size:           2
        .value_kind:     hidden_group_size_x
      - .offset:         158
        .size:           2
        .value_kind:     hidden_group_size_y
      - .offset:         160
        .size:           2
        .value_kind:     hidden_group_size_z
      - .offset:         162
        .size:           2
        .value_kind:     hidden_remainder_x
      - .offset:         164
        .size:           2
        .value_kind:     hidden_remainder_y
      - .offset:         166
        .size:           2
        .value_kind:     hidden_remainder_z
      - .offset:         184
        .size:           8
        .value_kind:     hidden_global_offset_x
      - .offset:         192
        .size:           8
        .value_kind:     hidden_global_offset_y
      - .offset:         200
        .size:           8
        .value_kind:     hidden_global_offset_z
      - .offset:         208
        .size:           2
        .value_kind:     hidden_grid_dims
      - .offset:         264
        .size:           4
        .value_kind:     hidden_dynamic_lds_size
    .group_segment_fixed_size: 96
    .kernarg_segment_align: 8
    .kernarg_segment_size: 400
    .language:       OpenCL C
    .language_version:
      - 2
      - 0
    .max_flat_workgroup_size: 1024
    .name:           _ZN4vllm25paged_attention_v2_kernelIthLi32ELi8ELi128ELNS_18Fp8KVCacheDataTypeE1ELb1ELi512EEEvPfS2_PT_PKS3_PKT0_S9_ifPKiSB_iPKfiiiSD_SD_iiiii
    .private_segment_fixed_size: 0
    .sgpr_count:     48
    .sgpr_spill_count: 0
    .symbol:         _ZN4vllm25paged_attention_v2_kernelIthLi32ELi8ELi128ELNS_18Fp8KVCacheDataTypeE1ELb1ELi512EEEvPfS2_PT_PKS3_PKT0_S9_ifPKiSB_iPKfiiiSD_SD_iiiii.kd
    .uniform_work_group_size: 1
    .uses_dynamic_stack: false
    .vgpr_count:     36
    .vgpr_spill_count: 0
    .wavefront_size: 32
    .workgroup_processor_mode: 1
  - .args:
      - .actual_access:  write_only
        .address_space:  global
        .offset:         0
        .size:           8
        .value_kind:     global_buffer
      - .actual_access:  write_only
        .address_space:  global
        .offset:         8
        .size:           8
        .value_kind:     global_buffer
      - .actual_access:  write_only
        .address_space:  global
        .offset:         16
        .size:           8
        .value_kind:     global_buffer
      - .actual_access:  read_only
        .address_space:  global
        .offset:         24
        .size:           8
        .value_kind:     global_buffer
      - .actual_access:  read_only
        .address_space:  global
        .offset:         32
        .size:           8
        .value_kind:     global_buffer
      - .actual_access:  read_only
        .address_space:  global
        .offset:         40
        .size:           8
        .value_kind:     global_buffer
      - .offset:         48
        .size:           4
        .value_kind:     by_value
      - .offset:         52
        .size:           4
        .value_kind:     by_value
      - .actual_access:  read_only
        .address_space:  global
        .offset:         56
        .size:           8
        .value_kind:     global_buffer
      - .actual_access:  read_only
        .address_space:  global
        .offset:         64
        .size:           8
        .value_kind:     global_buffer
      - .offset:         72
        .size:           4
        .value_kind:     by_value
      - .actual_access:  read_only
        .address_space:  global
        .offset:         80
        .size:           8
        .value_kind:     global_buffer
      - .offset:         88
        .size:           4
        .value_kind:     by_value
      - .offset:         92
        .size:           4
        .value_kind:     by_value
      - .offset:         96
        .size:           4
        .value_kind:     by_value
      - .address_space:  global
        .offset:         104
        .size:           8
        .value_kind:     global_buffer
      - .address_space:  global
        .offset:         112
        .size:           8
        .value_kind:     global_buffer
      - .offset:         120
        .size:           4
        .value_kind:     by_value
      - .offset:         124
        .size:           4
        .value_kind:     by_value
      - .offset:         128
        .size:           4
        .value_kind:     by_value
      - .offset:         132
        .size:           4
        .value_kind:     by_value
      - .offset:         136
        .size:           4
        .value_kind:     by_value
      - .offset:         144
        .size:           4
        .value_kind:     hidden_block_count_x
      - .offset:         148
        .size:           4
        .value_kind:     hidden_block_count_y
      - .offset:         152
        .size:           4
        .value_kind:     hidden_block_count_z
      - .offset:         156
        .size:           2
        .value_kind:     hidden_group_size_x
      - .offset:         158
        .size:           2
        .value_kind:     hidden_group_size_y
      - .offset:         160
        .size:           2
        .value_kind:     hidden_group_size_z
      - .offset:         162
        .size:           2
        .value_kind:     hidden_remainder_x
      - .offset:         164
        .size:           2
        .value_kind:     hidden_remainder_y
      - .offset:         166
        .size:           2
        .value_kind:     hidden_remainder_z
      - .offset:         184
        .size:           8
        .value_kind:     hidden_global_offset_x
      - .offset:         192
        .size:           8
        .value_kind:     hidden_global_offset_y
      - .offset:         200
        .size:           8
        .value_kind:     hidden_global_offset_z
      - .offset:         208
        .size:           2
        .value_kind:     hidden_grid_dims
      - .offset:         264
        .size:           4
        .value_kind:     hidden_dynamic_lds_size
    .group_segment_fixed_size: 160
    .kernarg_segment_align: 8
    .kernarg_segment_size: 400
    .language:       OpenCL C
    .language_version:
      - 2
      - 0
    .max_flat_workgroup_size: 1024
    .name:           _ZN4vllm25paged_attention_v2_kernelIthLi64ELi8ELi128ELNS_18Fp8KVCacheDataTypeE1ELb1ELi512EEEvPfS2_PT_PKS3_PKT0_S9_ifPKiSB_iPKfiiiSD_SD_iiiii
    .private_segment_fixed_size: 0
    .sgpr_count:     50
    .sgpr_spill_count: 0
    .symbol:         _ZN4vllm25paged_attention_v2_kernelIthLi64ELi8ELi128ELNS_18Fp8KVCacheDataTypeE1ELb1ELi512EEEvPfS2_PT_PKS3_PKT0_S9_ifPKiSB_iPKfiiiSD_SD_iiiii.kd
    .uniform_work_group_size: 1
    .uses_dynamic_stack: false
    .vgpr_count:     50
    .vgpr_spill_count: 0
    .wavefront_size: 32
    .workgroup_processor_mode: 1
  - .args:
      - .actual_access:  write_only
        .address_space:  global
        .offset:         0
        .size:           8
        .value_kind:     global_buffer
      - .actual_access:  write_only
        .address_space:  global
        .offset:         8
        .size:           8
        .value_kind:     global_buffer
      - .actual_access:  write_only
        .address_space:  global
        .offset:         16
        .size:           8
        .value_kind:     global_buffer
      - .actual_access:  read_only
        .address_space:  global
        .offset:         24
        .size:           8
        .value_kind:     global_buffer
      - .actual_access:  read_only
        .address_space:  global
        .offset:         32
        .size:           8
        .value_kind:     global_buffer
      - .actual_access:  read_only
        .address_space:  global
        .offset:         40
        .size:           8
        .value_kind:     global_buffer
      - .offset:         48
        .size:           4
        .value_kind:     by_value
      - .offset:         52
        .size:           4
        .value_kind:     by_value
      - .actual_access:  read_only
        .address_space:  global
        .offset:         56
        .size:           8
        .value_kind:     global_buffer
      - .actual_access:  read_only
        .address_space:  global
        .offset:         64
        .size:           8
        .value_kind:     global_buffer
      - .offset:         72
        .size:           4
        .value_kind:     by_value
      - .actual_access:  read_only
        .address_space:  global
        .offset:         80
        .size:           8
        .value_kind:     global_buffer
      - .offset:         88
        .size:           4
        .value_kind:     by_value
      - .offset:         92
        .size:           4
        .value_kind:     by_value
      - .offset:         96
        .size:           4
        .value_kind:     by_value
      - .address_space:  global
        .offset:         104
        .size:           8
        .value_kind:     global_buffer
      - .address_space:  global
        .offset:         112
        .size:           8
        .value_kind:     global_buffer
      - .offset:         120
        .size:           4
        .value_kind:     by_value
      - .offset:         124
        .size:           4
        .value_kind:     by_value
      - .offset:         128
        .size:           4
        .value_kind:     by_value
      - .offset:         132
        .size:           4
        .value_kind:     by_value
      - .offset:         136
        .size:           4
        .value_kind:     by_value
      - .offset:         144
        .size:           4
        .value_kind:     hidden_block_count_x
      - .offset:         148
        .size:           4
        .value_kind:     hidden_block_count_y
      - .offset:         152
        .size:           4
        .value_kind:     hidden_block_count_z
      - .offset:         156
        .size:           2
        .value_kind:     hidden_group_size_x
      - .offset:         158
        .size:           2
        .value_kind:     hidden_group_size_y
      - .offset:         160
        .size:           2
        .value_kind:     hidden_group_size_z
      - .offset:         162
        .size:           2
        .value_kind:     hidden_remainder_x
      - .offset:         164
        .size:           2
        .value_kind:     hidden_remainder_y
      - .offset:         166
        .size:           2
        .value_kind:     hidden_remainder_z
      - .offset:         184
        .size:           8
        .value_kind:     hidden_global_offset_x
      - .offset:         192
        .size:           8
        .value_kind:     hidden_global_offset_y
      - .offset:         200
        .size:           8
        .value_kind:     hidden_global_offset_z
      - .offset:         208
        .size:           2
        .value_kind:     hidden_grid_dims
      - .offset:         264
        .size:           4
        .value_kind:     hidden_dynamic_lds_size
    .group_segment_fixed_size: 192
    .kernarg_segment_align: 8
    .kernarg_segment_size: 400
    .language:       OpenCL C
    .language_version:
      - 2
      - 0
    .max_flat_workgroup_size: 1024
    .name:           _ZN4vllm25paged_attention_v2_kernelIthLi80ELi8ELi128ELNS_18Fp8KVCacheDataTypeE1ELb1ELi512EEEvPfS2_PT_PKS3_PKT0_S9_ifPKiSB_iPKfiiiSD_SD_iiiii
    .private_segment_fixed_size: 0
    .sgpr_count:     48
    .sgpr_spill_count: 0
    .symbol:         _ZN4vllm25paged_attention_v2_kernelIthLi80ELi8ELi128ELNS_18Fp8KVCacheDataTypeE1ELb1ELi512EEEvPfS2_PT_PKS3_PKT0_S9_ifPKiSB_iPKfiiiSD_SD_iiiii.kd
    .uniform_work_group_size: 1
    .uses_dynamic_stack: false
    .vgpr_count:     58
    .vgpr_spill_count: 0
    .wavefront_size: 32
    .workgroup_processor_mode: 1
  - .args:
      - .actual_access:  write_only
        .address_space:  global
        .offset:         0
        .size:           8
        .value_kind:     global_buffer
      - .actual_access:  write_only
        .address_space:  global
        .offset:         8
        .size:           8
        .value_kind:     global_buffer
      - .actual_access:  write_only
        .address_space:  global
        .offset:         16
        .size:           8
        .value_kind:     global_buffer
      - .actual_access:  read_only
        .address_space:  global
        .offset:         24
        .size:           8
        .value_kind:     global_buffer
      - .actual_access:  read_only
        .address_space:  global
        .offset:         32
        .size:           8
        .value_kind:     global_buffer
      - .actual_access:  read_only
        .address_space:  global
        .offset:         40
        .size:           8
        .value_kind:     global_buffer
      - .offset:         48
        .size:           4
        .value_kind:     by_value
      - .offset:         52
        .size:           4
        .value_kind:     by_value
      - .actual_access:  read_only
        .address_space:  global
        .offset:         56
        .size:           8
        .value_kind:     global_buffer
      - .actual_access:  read_only
        .address_space:  global
        .offset:         64
        .size:           8
        .value_kind:     global_buffer
      - .offset:         72
        .size:           4
        .value_kind:     by_value
      - .actual_access:  read_only
        .address_space:  global
        .offset:         80
        .size:           8
        .value_kind:     global_buffer
      - .offset:         88
        .size:           4
        .value_kind:     by_value
      - .offset:         92
        .size:           4
        .value_kind:     by_value
      - .offset:         96
        .size:           4
        .value_kind:     by_value
      - .address_space:  global
        .offset:         104
        .size:           8
        .value_kind:     global_buffer
      - .address_space:  global
        .offset:         112
        .size:           8
        .value_kind:     global_buffer
      - .offset:         120
        .size:           4
        .value_kind:     by_value
      - .offset:         124
        .size:           4
        .value_kind:     by_value
      - .offset:         128
        .size:           4
        .value_kind:     by_value
      - .offset:         132
        .size:           4
        .value_kind:     by_value
      - .offset:         136
        .size:           4
        .value_kind:     by_value
      - .offset:         144
        .size:           4
        .value_kind:     hidden_block_count_x
      - .offset:         148
        .size:           4
        .value_kind:     hidden_block_count_y
      - .offset:         152
        .size:           4
        .value_kind:     hidden_block_count_z
      - .offset:         156
        .size:           2
        .value_kind:     hidden_group_size_x
      - .offset:         158
        .size:           2
        .value_kind:     hidden_group_size_y
      - .offset:         160
        .size:           2
        .value_kind:     hidden_group_size_z
      - .offset:         162
        .size:           2
        .value_kind:     hidden_remainder_x
      - .offset:         164
        .size:           2
        .value_kind:     hidden_remainder_y
      - .offset:         166
        .size:           2
        .value_kind:     hidden_remainder_z
      - .offset:         184
        .size:           8
        .value_kind:     hidden_global_offset_x
      - .offset:         192
        .size:           8
        .value_kind:     hidden_global_offset_y
      - .offset:         200
        .size:           8
        .value_kind:     hidden_global_offset_z
      - .offset:         208
        .size:           2
        .value_kind:     hidden_grid_dims
      - .offset:         264
        .size:           4
        .value_kind:     hidden_dynamic_lds_size
    .group_segment_fixed_size: 224
    .kernarg_segment_align: 8
    .kernarg_segment_size: 400
    .language:       OpenCL C
    .language_version:
      - 2
      - 0
    .max_flat_workgroup_size: 1024
    .name:           _ZN4vllm25paged_attention_v2_kernelIthLi96ELi8ELi128ELNS_18Fp8KVCacheDataTypeE1ELb1ELi512EEEvPfS2_PT_PKS3_PKT0_S9_ifPKiSB_iPKfiiiSD_SD_iiiii
    .private_segment_fixed_size: 0
    .sgpr_count:     48
    .sgpr_spill_count: 0
    .symbol:         _ZN4vllm25paged_attention_v2_kernelIthLi96ELi8ELi128ELNS_18Fp8KVCacheDataTypeE1ELb1ELi512EEEvPfS2_PT_PKS3_PKT0_S9_ifPKiSB_iPKfiiiSD_SD_iiiii.kd
    .uniform_work_group_size: 1
    .uses_dynamic_stack: false
    .vgpr_count:     65
    .vgpr_spill_count: 0
    .wavefront_size: 32
    .workgroup_processor_mode: 1
  - .args:
      - .actual_access:  write_only
        .address_space:  global
        .offset:         0
        .size:           8
        .value_kind:     global_buffer
      - .actual_access:  write_only
        .address_space:  global
        .offset:         8
        .size:           8
        .value_kind:     global_buffer
      - .actual_access:  write_only
        .address_space:  global
        .offset:         16
        .size:           8
        .value_kind:     global_buffer
      - .actual_access:  read_only
        .address_space:  global
        .offset:         24
        .size:           8
        .value_kind:     global_buffer
      - .actual_access:  read_only
        .address_space:  global
        .offset:         32
        .size:           8
        .value_kind:     global_buffer
      - .actual_access:  read_only
        .address_space:  global
        .offset:         40
        .size:           8
        .value_kind:     global_buffer
      - .offset:         48
        .size:           4
        .value_kind:     by_value
      - .offset:         52
        .size:           4
        .value_kind:     by_value
      - .actual_access:  read_only
        .address_space:  global
        .offset:         56
        .size:           8
        .value_kind:     global_buffer
      - .actual_access:  read_only
        .address_space:  global
        .offset:         64
        .size:           8
        .value_kind:     global_buffer
      - .offset:         72
        .size:           4
        .value_kind:     by_value
      - .actual_access:  read_only
        .address_space:  global
        .offset:         80
        .size:           8
        .value_kind:     global_buffer
      - .offset:         88
        .size:           4
        .value_kind:     by_value
      - .offset:         92
        .size:           4
        .value_kind:     by_value
      - .offset:         96
        .size:           4
        .value_kind:     by_value
      - .address_space:  global
        .offset:         104
        .size:           8
        .value_kind:     global_buffer
      - .address_space:  global
        .offset:         112
        .size:           8
        .value_kind:     global_buffer
      - .offset:         120
        .size:           4
        .value_kind:     by_value
      - .offset:         124
        .size:           4
        .value_kind:     by_value
      - .offset:         128
        .size:           4
        .value_kind:     by_value
      - .offset:         132
        .size:           4
        .value_kind:     by_value
      - .offset:         136
        .size:           4
        .value_kind:     by_value
      - .offset:         144
        .size:           4
        .value_kind:     hidden_block_count_x
      - .offset:         148
        .size:           4
        .value_kind:     hidden_block_count_y
      - .offset:         152
        .size:           4
        .value_kind:     hidden_block_count_z
      - .offset:         156
        .size:           2
        .value_kind:     hidden_group_size_x
      - .offset:         158
        .size:           2
        .value_kind:     hidden_group_size_y
      - .offset:         160
        .size:           2
        .value_kind:     hidden_group_size_z
      - .offset:         162
        .size:           2
        .value_kind:     hidden_remainder_x
      - .offset:         164
        .size:           2
        .value_kind:     hidden_remainder_y
      - .offset:         166
        .size:           2
        .value_kind:     hidden_remainder_z
      - .offset:         184
        .size:           8
        .value_kind:     hidden_global_offset_x
      - .offset:         192
        .size:           8
        .value_kind:     hidden_global_offset_y
      - .offset:         200
        .size:           8
        .value_kind:     hidden_global_offset_z
      - .offset:         208
        .size:           2
        .value_kind:     hidden_grid_dims
      - .offset:         264
        .size:           4
        .value_kind:     hidden_dynamic_lds_size
    .group_segment_fixed_size: 256
    .kernarg_segment_align: 8
    .kernarg_segment_size: 400
    .language:       OpenCL C
    .language_version:
      - 2
      - 0
    .max_flat_workgroup_size: 1024
    .name:           _ZN4vllm25paged_attention_v2_kernelIthLi112ELi8ELi128ELNS_18Fp8KVCacheDataTypeE1ELb1ELi512EEEvPfS2_PT_PKS3_PKT0_S9_ifPKiSB_iPKfiiiSD_SD_iiiii
    .private_segment_fixed_size: 0
    .sgpr_count:     48
    .sgpr_spill_count: 0
    .symbol:         _ZN4vllm25paged_attention_v2_kernelIthLi112ELi8ELi128ELNS_18Fp8KVCacheDataTypeE1ELb1ELi512EEEvPfS2_PT_PKS3_PKT0_S9_ifPKiSB_iPKfiiiSD_SD_iiiii.kd
    .uniform_work_group_size: 1
    .uses_dynamic_stack: false
    .vgpr_count:     72
    .vgpr_spill_count: 0
    .wavefront_size: 32
    .workgroup_processor_mode: 1
  - .args:
      - .actual_access:  write_only
        .address_space:  global
        .offset:         0
        .size:           8
        .value_kind:     global_buffer
      - .actual_access:  write_only
        .address_space:  global
        .offset:         8
        .size:           8
        .value_kind:     global_buffer
      - .actual_access:  write_only
        .address_space:  global
        .offset:         16
        .size:           8
        .value_kind:     global_buffer
      - .actual_access:  read_only
        .address_space:  global
        .offset:         24
        .size:           8
        .value_kind:     global_buffer
      - .actual_access:  read_only
        .address_space:  global
        .offset:         32
        .size:           8
        .value_kind:     global_buffer
      - .actual_access:  read_only
        .address_space:  global
        .offset:         40
        .size:           8
        .value_kind:     global_buffer
      - .offset:         48
        .size:           4
        .value_kind:     by_value
      - .offset:         52
        .size:           4
        .value_kind:     by_value
      - .actual_access:  read_only
        .address_space:  global
        .offset:         56
        .size:           8
        .value_kind:     global_buffer
      - .actual_access:  read_only
        .address_space:  global
        .offset:         64
        .size:           8
        .value_kind:     global_buffer
      - .offset:         72
        .size:           4
        .value_kind:     by_value
      - .actual_access:  read_only
        .address_space:  global
        .offset:         80
        .size:           8
        .value_kind:     global_buffer
      - .offset:         88
        .size:           4
        .value_kind:     by_value
      - .offset:         92
        .size:           4
        .value_kind:     by_value
      - .offset:         96
        .size:           4
        .value_kind:     by_value
      - .address_space:  global
        .offset:         104
        .size:           8
        .value_kind:     global_buffer
      - .address_space:  global
        .offset:         112
        .size:           8
        .value_kind:     global_buffer
      - .offset:         120
        .size:           4
        .value_kind:     by_value
      - .offset:         124
        .size:           4
        .value_kind:     by_value
      - .offset:         128
        .size:           4
        .value_kind:     by_value
      - .offset:         132
        .size:           4
        .value_kind:     by_value
      - .offset:         136
        .size:           4
        .value_kind:     by_value
      - .offset:         144
        .size:           4
        .value_kind:     hidden_block_count_x
      - .offset:         148
        .size:           4
        .value_kind:     hidden_block_count_y
      - .offset:         152
        .size:           4
        .value_kind:     hidden_block_count_z
      - .offset:         156
        .size:           2
        .value_kind:     hidden_group_size_x
      - .offset:         158
        .size:           2
        .value_kind:     hidden_group_size_y
      - .offset:         160
        .size:           2
        .value_kind:     hidden_group_size_z
      - .offset:         162
        .size:           2
        .value_kind:     hidden_remainder_x
      - .offset:         164
        .size:           2
        .value_kind:     hidden_remainder_y
      - .offset:         166
        .size:           2
        .value_kind:     hidden_remainder_z
      - .offset:         184
        .size:           8
        .value_kind:     hidden_global_offset_x
      - .offset:         192
        .size:           8
        .value_kind:     hidden_global_offset_y
      - .offset:         200
        .size:           8
        .value_kind:     hidden_global_offset_z
      - .offset:         208
        .size:           2
        .value_kind:     hidden_grid_dims
      - .offset:         264
        .size:           4
        .value_kind:     hidden_dynamic_lds_size
    .group_segment_fixed_size: 272
    .kernarg_segment_align: 8
    .kernarg_segment_size: 400
    .language:       OpenCL C
    .language_version:
      - 2
      - 0
    .max_flat_workgroup_size: 1024
    .name:           _ZN4vllm25paged_attention_v2_kernelIthLi120ELi8ELi128ELNS_18Fp8KVCacheDataTypeE1ELb1ELi512EEEvPfS2_PT_PKS3_PKT0_S9_ifPKiSB_iPKfiiiSD_SD_iiiii
    .private_segment_fixed_size: 0
    .sgpr_count:     48
    .sgpr_spill_count: 0
    .symbol:         _ZN4vllm25paged_attention_v2_kernelIthLi120ELi8ELi128ELNS_18Fp8KVCacheDataTypeE1ELb1ELi512EEEvPfS2_PT_PKS3_PKT0_S9_ifPKiSB_iPKfiiiSD_SD_iiiii.kd
    .uniform_work_group_size: 1
    .uses_dynamic_stack: false
    .vgpr_count:     76
    .vgpr_spill_count: 0
    .wavefront_size: 32
    .workgroup_processor_mode: 1
  - .args:
      - .actual_access:  write_only
        .address_space:  global
        .offset:         0
        .size:           8
        .value_kind:     global_buffer
      - .actual_access:  write_only
        .address_space:  global
        .offset:         8
        .size:           8
        .value_kind:     global_buffer
      - .actual_access:  write_only
        .address_space:  global
        .offset:         16
        .size:           8
        .value_kind:     global_buffer
      - .actual_access:  read_only
        .address_space:  global
        .offset:         24
        .size:           8
        .value_kind:     global_buffer
      - .actual_access:  read_only
        .address_space:  global
        .offset:         32
        .size:           8
        .value_kind:     global_buffer
      - .actual_access:  read_only
        .address_space:  global
        .offset:         40
        .size:           8
        .value_kind:     global_buffer
      - .offset:         48
        .size:           4
        .value_kind:     by_value
      - .offset:         52
        .size:           4
        .value_kind:     by_value
      - .actual_access:  read_only
        .address_space:  global
        .offset:         56
        .size:           8
        .value_kind:     global_buffer
      - .actual_access:  read_only
        .address_space:  global
        .offset:         64
        .size:           8
        .value_kind:     global_buffer
      - .offset:         72
        .size:           4
        .value_kind:     by_value
      - .actual_access:  read_only
        .address_space:  global
        .offset:         80
        .size:           8
        .value_kind:     global_buffer
      - .offset:         88
        .size:           4
        .value_kind:     by_value
      - .offset:         92
        .size:           4
        .value_kind:     by_value
      - .offset:         96
        .size:           4
        .value_kind:     by_value
      - .address_space:  global
        .offset:         104
        .size:           8
        .value_kind:     global_buffer
      - .address_space:  global
        .offset:         112
        .size:           8
        .value_kind:     global_buffer
      - .offset:         120
        .size:           4
        .value_kind:     by_value
      - .offset:         124
        .size:           4
        .value_kind:     by_value
      - .offset:         128
        .size:           4
        .value_kind:     by_value
      - .offset:         132
        .size:           4
        .value_kind:     by_value
      - .offset:         136
        .size:           4
        .value_kind:     by_value
      - .offset:         144
        .size:           4
        .value_kind:     hidden_block_count_x
      - .offset:         148
        .size:           4
        .value_kind:     hidden_block_count_y
      - .offset:         152
        .size:           4
        .value_kind:     hidden_block_count_z
      - .offset:         156
        .size:           2
        .value_kind:     hidden_group_size_x
      - .offset:         158
        .size:           2
        .value_kind:     hidden_group_size_y
      - .offset:         160
        .size:           2
        .value_kind:     hidden_group_size_z
      - .offset:         162
        .size:           2
        .value_kind:     hidden_remainder_x
      - .offset:         164
        .size:           2
        .value_kind:     hidden_remainder_y
      - .offset:         166
        .size:           2
        .value_kind:     hidden_remainder_z
      - .offset:         184
        .size:           8
        .value_kind:     hidden_global_offset_x
      - .offset:         192
        .size:           8
        .value_kind:     hidden_global_offset_y
      - .offset:         200
        .size:           8
        .value_kind:     hidden_global_offset_z
      - .offset:         208
        .size:           2
        .value_kind:     hidden_grid_dims
      - .offset:         264
        .size:           4
        .value_kind:     hidden_dynamic_lds_size
    .group_segment_fixed_size: 288
    .kernarg_segment_align: 8
    .kernarg_segment_size: 400
    .language:       OpenCL C
    .language_version:
      - 2
      - 0
    .max_flat_workgroup_size: 1024
    .name:           _ZN4vllm25paged_attention_v2_kernelIthLi128ELi8ELi128ELNS_18Fp8KVCacheDataTypeE1ELb1ELi512EEEvPfS2_PT_PKS3_PKT0_S9_ifPKiSB_iPKfiiiSD_SD_iiiii
    .private_segment_fixed_size: 0
    .sgpr_count:     50
    .sgpr_spill_count: 0
    .symbol:         _ZN4vllm25paged_attention_v2_kernelIthLi128ELi8ELi128ELNS_18Fp8KVCacheDataTypeE1ELb1ELi512EEEvPfS2_PT_PKS3_PKT0_S9_ifPKiSB_iPKfiiiSD_SD_iiiii.kd
    .uniform_work_group_size: 1
    .uses_dynamic_stack: false
    .vgpr_count:     80
    .vgpr_spill_count: 0
    .wavefront_size: 32
    .workgroup_processor_mode: 1
  - .args:
      - .actual_access:  write_only
        .address_space:  global
        .offset:         0
        .size:           8
        .value_kind:     global_buffer
      - .actual_access:  write_only
        .address_space:  global
        .offset:         8
        .size:           8
        .value_kind:     global_buffer
      - .actual_access:  write_only
        .address_space:  global
        .offset:         16
        .size:           8
        .value_kind:     global_buffer
      - .actual_access:  read_only
        .address_space:  global
        .offset:         24
        .size:           8
        .value_kind:     global_buffer
      - .actual_access:  read_only
        .address_space:  global
        .offset:         32
        .size:           8
        .value_kind:     global_buffer
      - .actual_access:  read_only
        .address_space:  global
        .offset:         40
        .size:           8
        .value_kind:     global_buffer
      - .offset:         48
        .size:           4
        .value_kind:     by_value
      - .offset:         52
        .size:           4
        .value_kind:     by_value
      - .actual_access:  read_only
        .address_space:  global
        .offset:         56
        .size:           8
        .value_kind:     global_buffer
      - .actual_access:  read_only
        .address_space:  global
        .offset:         64
        .size:           8
        .value_kind:     global_buffer
      - .offset:         72
        .size:           4
        .value_kind:     by_value
      - .actual_access:  read_only
        .address_space:  global
        .offset:         80
        .size:           8
        .value_kind:     global_buffer
      - .offset:         88
        .size:           4
        .value_kind:     by_value
      - .offset:         92
        .size:           4
        .value_kind:     by_value
      - .offset:         96
        .size:           4
        .value_kind:     by_value
      - .address_space:  global
        .offset:         104
        .size:           8
        .value_kind:     global_buffer
      - .address_space:  global
        .offset:         112
        .size:           8
        .value_kind:     global_buffer
      - .offset:         120
        .size:           4
        .value_kind:     by_value
      - .offset:         124
        .size:           4
        .value_kind:     by_value
      - .offset:         128
        .size:           4
        .value_kind:     by_value
      - .offset:         132
        .size:           4
        .value_kind:     by_value
      - .offset:         136
        .size:           4
        .value_kind:     by_value
      - .offset:         144
        .size:           4
        .value_kind:     hidden_block_count_x
      - .offset:         148
        .size:           4
        .value_kind:     hidden_block_count_y
      - .offset:         152
        .size:           4
        .value_kind:     hidden_block_count_z
      - .offset:         156
        .size:           2
        .value_kind:     hidden_group_size_x
      - .offset:         158
        .size:           2
        .value_kind:     hidden_group_size_y
      - .offset:         160
        .size:           2
        .value_kind:     hidden_group_size_z
      - .offset:         162
        .size:           2
        .value_kind:     hidden_remainder_x
      - .offset:         164
        .size:           2
        .value_kind:     hidden_remainder_y
      - .offset:         166
        .size:           2
        .value_kind:     hidden_remainder_z
      - .offset:         184
        .size:           8
        .value_kind:     hidden_global_offset_x
      - .offset:         192
        .size:           8
        .value_kind:     hidden_global_offset_y
      - .offset:         200
        .size:           8
        .value_kind:     hidden_global_offset_z
      - .offset:         208
        .size:           2
        .value_kind:     hidden_grid_dims
      - .offset:         264
        .size:           4
        .value_kind:     hidden_dynamic_lds_size
    .group_segment_fixed_size: 416
    .kernarg_segment_align: 8
    .kernarg_segment_size: 400
    .language:       OpenCL C
    .language_version:
      - 2
      - 0
    .max_flat_workgroup_size: 1024
    .name:           _ZN4vllm25paged_attention_v2_kernelIthLi192ELi8ELi128ELNS_18Fp8KVCacheDataTypeE1ELb1ELi512EEEvPfS2_PT_PKS3_PKT0_S9_ifPKiSB_iPKfiiiSD_SD_iiiii
    .private_segment_fixed_size: 0
    .sgpr_count:     48
    .sgpr_spill_count: 0
    .symbol:         _ZN4vllm25paged_attention_v2_kernelIthLi192ELi8ELi128ELNS_18Fp8KVCacheDataTypeE1ELb1ELi512EEEvPfS2_PT_PKS3_PKT0_S9_ifPKiSB_iPKfiiiSD_SD_iiiii.kd
    .uniform_work_group_size: 1
    .uses_dynamic_stack: false
    .vgpr_count:     108
    .vgpr_spill_count: 0
    .wavefront_size: 32
    .workgroup_processor_mode: 1
  - .args:
      - .actual_access:  write_only
        .address_space:  global
        .offset:         0
        .size:           8
        .value_kind:     global_buffer
      - .actual_access:  write_only
        .address_space:  global
        .offset:         8
        .size:           8
        .value_kind:     global_buffer
      - .actual_access:  write_only
        .address_space:  global
        .offset:         16
        .size:           8
        .value_kind:     global_buffer
      - .actual_access:  read_only
        .address_space:  global
        .offset:         24
        .size:           8
        .value_kind:     global_buffer
      - .actual_access:  read_only
        .address_space:  global
        .offset:         32
        .size:           8
        .value_kind:     global_buffer
      - .actual_access:  read_only
        .address_space:  global
        .offset:         40
        .size:           8
        .value_kind:     global_buffer
      - .offset:         48
        .size:           4
        .value_kind:     by_value
      - .offset:         52
        .size:           4
        .value_kind:     by_value
      - .actual_access:  read_only
        .address_space:  global
        .offset:         56
        .size:           8
        .value_kind:     global_buffer
      - .actual_access:  read_only
        .address_space:  global
        .offset:         64
        .size:           8
        .value_kind:     global_buffer
      - .offset:         72
        .size:           4
        .value_kind:     by_value
      - .actual_access:  read_only
        .address_space:  global
        .offset:         80
        .size:           8
        .value_kind:     global_buffer
      - .offset:         88
        .size:           4
        .value_kind:     by_value
      - .offset:         92
        .size:           4
        .value_kind:     by_value
      - .offset:         96
        .size:           4
        .value_kind:     by_value
      - .address_space:  global
        .offset:         104
        .size:           8
        .value_kind:     global_buffer
      - .address_space:  global
        .offset:         112
        .size:           8
        .value_kind:     global_buffer
      - .offset:         120
        .size:           4
        .value_kind:     by_value
      - .offset:         124
        .size:           4
        .value_kind:     by_value
      - .offset:         128
        .size:           4
        .value_kind:     by_value
      - .offset:         132
        .size:           4
        .value_kind:     by_value
      - .offset:         136
        .size:           4
        .value_kind:     by_value
      - .offset:         144
        .size:           4
        .value_kind:     hidden_block_count_x
      - .offset:         148
        .size:           4
        .value_kind:     hidden_block_count_y
      - .offset:         152
        .size:           4
        .value_kind:     hidden_block_count_z
      - .offset:         156
        .size:           2
        .value_kind:     hidden_group_size_x
      - .offset:         158
        .size:           2
        .value_kind:     hidden_group_size_y
      - .offset:         160
        .size:           2
        .value_kind:     hidden_group_size_z
      - .offset:         162
        .size:           2
        .value_kind:     hidden_remainder_x
      - .offset:         164
        .size:           2
        .value_kind:     hidden_remainder_y
      - .offset:         166
        .size:           2
        .value_kind:     hidden_remainder_z
      - .offset:         184
        .size:           8
        .value_kind:     hidden_global_offset_x
      - .offset:         192
        .size:           8
        .value_kind:     hidden_global_offset_y
      - .offset:         200
        .size:           8
        .value_kind:     hidden_global_offset_z
      - .offset:         208
        .size:           2
        .value_kind:     hidden_grid_dims
      - .offset:         264
        .size:           4
        .value_kind:     hidden_dynamic_lds_size
    .group_segment_fixed_size: 544
    .kernarg_segment_align: 8
    .kernarg_segment_size: 400
    .language:       OpenCL C
    .language_version:
      - 2
      - 0
    .max_flat_workgroup_size: 1024
    .name:           _ZN4vllm25paged_attention_v2_kernelIthLi256ELi8ELi128ELNS_18Fp8KVCacheDataTypeE1ELb1ELi512EEEvPfS2_PT_PKS3_PKT0_S9_ifPKiSB_iPKfiiiSD_SD_iiiii
    .private_segment_fixed_size: 0
    .sgpr_count:     48
    .sgpr_spill_count: 0
    .symbol:         _ZN4vllm25paged_attention_v2_kernelIthLi256ELi8ELi128ELNS_18Fp8KVCacheDataTypeE1ELb1ELi512EEEvPfS2_PT_PKS3_PKT0_S9_ifPKiSB_iPKfiiiSD_SD_iiiii.kd
    .uniform_work_group_size: 1
    .uses_dynamic_stack: false
    .vgpr_count:     134
    .vgpr_spill_count: 0
    .wavefront_size: 32
    .workgroup_processor_mode: 1
  - .args:
      - .actual_access:  write_only
        .address_space:  global
        .offset:         0
        .size:           8
        .value_kind:     global_buffer
      - .actual_access:  write_only
        .address_space:  global
        .offset:         8
        .size:           8
        .value_kind:     global_buffer
      - .actual_access:  write_only
        .address_space:  global
        .offset:         16
        .size:           8
        .value_kind:     global_buffer
      - .actual_access:  read_only
        .address_space:  global
        .offset:         24
        .size:           8
        .value_kind:     global_buffer
      - .actual_access:  read_only
        .address_space:  global
        .offset:         32
        .size:           8
        .value_kind:     global_buffer
      - .actual_access:  read_only
        .address_space:  global
        .offset:         40
        .size:           8
        .value_kind:     global_buffer
      - .offset:         48
        .size:           4
        .value_kind:     by_value
      - .offset:         52
        .size:           4
        .value_kind:     by_value
      - .actual_access:  read_only
        .address_space:  global
        .offset:         56
        .size:           8
        .value_kind:     global_buffer
      - .actual_access:  read_only
        .address_space:  global
        .offset:         64
        .size:           8
        .value_kind:     global_buffer
      - .offset:         72
        .size:           4
        .value_kind:     by_value
      - .actual_access:  read_only
        .address_space:  global
        .offset:         80
        .size:           8
        .value_kind:     global_buffer
      - .offset:         88
        .size:           4
        .value_kind:     by_value
      - .offset:         92
        .size:           4
        .value_kind:     by_value
      - .offset:         96
        .size:           4
        .value_kind:     by_value
      - .address_space:  global
        .offset:         104
        .size:           8
        .value_kind:     global_buffer
      - .address_space:  global
        .offset:         112
        .size:           8
        .value_kind:     global_buffer
      - .offset:         120
        .size:           4
        .value_kind:     by_value
      - .offset:         124
        .size:           4
        .value_kind:     by_value
      - .offset:         128
        .size:           4
        .value_kind:     by_value
      - .offset:         132
        .size:           4
        .value_kind:     by_value
      - .offset:         136
        .size:           4
        .value_kind:     by_value
      - .offset:         144
        .size:           4
        .value_kind:     hidden_block_count_x
      - .offset:         148
        .size:           4
        .value_kind:     hidden_block_count_y
      - .offset:         152
        .size:           4
        .value_kind:     hidden_block_count_z
      - .offset:         156
        .size:           2
        .value_kind:     hidden_group_size_x
      - .offset:         158
        .size:           2
        .value_kind:     hidden_group_size_y
      - .offset:         160
        .size:           2
        .value_kind:     hidden_group_size_z
      - .offset:         162
        .size:           2
        .value_kind:     hidden_remainder_x
      - .offset:         164
        .size:           2
        .value_kind:     hidden_remainder_y
      - .offset:         166
        .size:           2
        .value_kind:     hidden_remainder_z
      - .offset:         184
        .size:           8
        .value_kind:     hidden_global_offset_x
      - .offset:         192
        .size:           8
        .value_kind:     hidden_global_offset_y
      - .offset:         200
        .size:           8
        .value_kind:     hidden_global_offset_z
      - .offset:         208
        .size:           2
        .value_kind:     hidden_grid_dims
      - .offset:         264
        .size:           4
        .value_kind:     hidden_dynamic_lds_size
    .group_segment_fixed_size: 96
    .kernarg_segment_align: 8
    .kernarg_segment_size: 400
    .language:       OpenCL C
    .language_version:
      - 2
      - 0
    .max_flat_workgroup_size: 1024
    .name:           _ZN4vllm25paged_attention_v2_kernelIthLi32ELi8ELi128ELNS_18Fp8KVCacheDataTypeE1ELb0ELi512EEEvPfS2_PT_PKS3_PKT0_S9_ifPKiSB_iPKfiiiSD_SD_iiiii
    .private_segment_fixed_size: 0
    .sgpr_count:     40
    .sgpr_spill_count: 0
    .symbol:         _ZN4vllm25paged_attention_v2_kernelIthLi32ELi8ELi128ELNS_18Fp8KVCacheDataTypeE1ELb0ELi512EEEvPfS2_PT_PKS3_PKT0_S9_ifPKiSB_iPKfiiiSD_SD_iiiii.kd
    .uniform_work_group_size: 1
    .uses_dynamic_stack: false
    .vgpr_count:     36
    .vgpr_spill_count: 0
    .wavefront_size: 32
    .workgroup_processor_mode: 1
  - .args:
      - .actual_access:  write_only
        .address_space:  global
        .offset:         0
        .size:           8
        .value_kind:     global_buffer
      - .actual_access:  write_only
        .address_space:  global
        .offset:         8
        .size:           8
        .value_kind:     global_buffer
      - .actual_access:  write_only
        .address_space:  global
        .offset:         16
        .size:           8
        .value_kind:     global_buffer
      - .actual_access:  read_only
        .address_space:  global
        .offset:         24
        .size:           8
        .value_kind:     global_buffer
      - .actual_access:  read_only
        .address_space:  global
        .offset:         32
        .size:           8
        .value_kind:     global_buffer
      - .actual_access:  read_only
        .address_space:  global
        .offset:         40
        .size:           8
        .value_kind:     global_buffer
      - .offset:         48
        .size:           4
        .value_kind:     by_value
      - .offset:         52
        .size:           4
        .value_kind:     by_value
      - .actual_access:  read_only
        .address_space:  global
        .offset:         56
        .size:           8
        .value_kind:     global_buffer
      - .actual_access:  read_only
        .address_space:  global
        .offset:         64
        .size:           8
        .value_kind:     global_buffer
      - .offset:         72
        .size:           4
        .value_kind:     by_value
      - .actual_access:  read_only
        .address_space:  global
        .offset:         80
        .size:           8
        .value_kind:     global_buffer
      - .offset:         88
        .size:           4
        .value_kind:     by_value
      - .offset:         92
        .size:           4
        .value_kind:     by_value
      - .offset:         96
        .size:           4
        .value_kind:     by_value
      - .address_space:  global
        .offset:         104
        .size:           8
        .value_kind:     global_buffer
      - .address_space:  global
        .offset:         112
        .size:           8
        .value_kind:     global_buffer
      - .offset:         120
        .size:           4
        .value_kind:     by_value
      - .offset:         124
        .size:           4
        .value_kind:     by_value
      - .offset:         128
        .size:           4
        .value_kind:     by_value
      - .offset:         132
        .size:           4
        .value_kind:     by_value
      - .offset:         136
        .size:           4
        .value_kind:     by_value
      - .offset:         144
        .size:           4
        .value_kind:     hidden_block_count_x
      - .offset:         148
        .size:           4
        .value_kind:     hidden_block_count_y
      - .offset:         152
        .size:           4
        .value_kind:     hidden_block_count_z
      - .offset:         156
        .size:           2
        .value_kind:     hidden_group_size_x
      - .offset:         158
        .size:           2
        .value_kind:     hidden_group_size_y
      - .offset:         160
        .size:           2
        .value_kind:     hidden_group_size_z
      - .offset:         162
        .size:           2
        .value_kind:     hidden_remainder_x
      - .offset:         164
        .size:           2
        .value_kind:     hidden_remainder_y
      - .offset:         166
        .size:           2
        .value_kind:     hidden_remainder_z
      - .offset:         184
        .size:           8
        .value_kind:     hidden_global_offset_x
      - .offset:         192
        .size:           8
        .value_kind:     hidden_global_offset_y
      - .offset:         200
        .size:           8
        .value_kind:     hidden_global_offset_z
      - .offset:         208
        .size:           2
        .value_kind:     hidden_grid_dims
      - .offset:         264
        .size:           4
        .value_kind:     hidden_dynamic_lds_size
    .group_segment_fixed_size: 160
    .kernarg_segment_align: 8
    .kernarg_segment_size: 400
    .language:       OpenCL C
    .language_version:
      - 2
      - 0
    .max_flat_workgroup_size: 1024
    .name:           _ZN4vllm25paged_attention_v2_kernelIthLi64ELi8ELi128ELNS_18Fp8KVCacheDataTypeE1ELb0ELi512EEEvPfS2_PT_PKS3_PKT0_S9_ifPKiSB_iPKfiiiSD_SD_iiiii
    .private_segment_fixed_size: 0
    .sgpr_count:     39
    .sgpr_spill_count: 0
    .symbol:         _ZN4vllm25paged_attention_v2_kernelIthLi64ELi8ELi128ELNS_18Fp8KVCacheDataTypeE1ELb0ELi512EEEvPfS2_PT_PKS3_PKT0_S9_ifPKiSB_iPKfiiiSD_SD_iiiii.kd
    .uniform_work_group_size: 1
    .uses_dynamic_stack: false
    .vgpr_count:     48
    .vgpr_spill_count: 0
    .wavefront_size: 32
    .workgroup_processor_mode: 1
  - .args:
      - .actual_access:  write_only
        .address_space:  global
        .offset:         0
        .size:           8
        .value_kind:     global_buffer
      - .actual_access:  write_only
        .address_space:  global
        .offset:         8
        .size:           8
        .value_kind:     global_buffer
      - .actual_access:  write_only
        .address_space:  global
        .offset:         16
        .size:           8
        .value_kind:     global_buffer
      - .actual_access:  read_only
        .address_space:  global
        .offset:         24
        .size:           8
        .value_kind:     global_buffer
      - .actual_access:  read_only
        .address_space:  global
        .offset:         32
        .size:           8
        .value_kind:     global_buffer
      - .actual_access:  read_only
        .address_space:  global
        .offset:         40
        .size:           8
        .value_kind:     global_buffer
      - .offset:         48
        .size:           4
        .value_kind:     by_value
      - .offset:         52
        .size:           4
        .value_kind:     by_value
      - .actual_access:  read_only
        .address_space:  global
        .offset:         56
        .size:           8
        .value_kind:     global_buffer
      - .actual_access:  read_only
        .address_space:  global
        .offset:         64
        .size:           8
        .value_kind:     global_buffer
      - .offset:         72
        .size:           4
        .value_kind:     by_value
      - .actual_access:  read_only
        .address_space:  global
        .offset:         80
        .size:           8
        .value_kind:     global_buffer
      - .offset:         88
        .size:           4
        .value_kind:     by_value
      - .offset:         92
        .size:           4
        .value_kind:     by_value
      - .offset:         96
        .size:           4
        .value_kind:     by_value
      - .address_space:  global
        .offset:         104
        .size:           8
        .value_kind:     global_buffer
      - .address_space:  global
        .offset:         112
        .size:           8
        .value_kind:     global_buffer
      - .offset:         120
        .size:           4
        .value_kind:     by_value
      - .offset:         124
        .size:           4
        .value_kind:     by_value
      - .offset:         128
        .size:           4
        .value_kind:     by_value
      - .offset:         132
        .size:           4
        .value_kind:     by_value
      - .offset:         136
        .size:           4
        .value_kind:     by_value
      - .offset:         144
        .size:           4
        .value_kind:     hidden_block_count_x
      - .offset:         148
        .size:           4
        .value_kind:     hidden_block_count_y
      - .offset:         152
        .size:           4
        .value_kind:     hidden_block_count_z
      - .offset:         156
        .size:           2
        .value_kind:     hidden_group_size_x
      - .offset:         158
        .size:           2
        .value_kind:     hidden_group_size_y
      - .offset:         160
        .size:           2
        .value_kind:     hidden_group_size_z
      - .offset:         162
        .size:           2
        .value_kind:     hidden_remainder_x
      - .offset:         164
        .size:           2
        .value_kind:     hidden_remainder_y
      - .offset:         166
        .size:           2
        .value_kind:     hidden_remainder_z
      - .offset:         184
        .size:           8
        .value_kind:     hidden_global_offset_x
      - .offset:         192
        .size:           8
        .value_kind:     hidden_global_offset_y
      - .offset:         200
        .size:           8
        .value_kind:     hidden_global_offset_z
      - .offset:         208
        .size:           2
        .value_kind:     hidden_grid_dims
      - .offset:         264
        .size:           4
        .value_kind:     hidden_dynamic_lds_size
    .group_segment_fixed_size: 192
    .kernarg_segment_align: 8
    .kernarg_segment_size: 400
    .language:       OpenCL C
    .language_version:
      - 2
      - 0
    .max_flat_workgroup_size: 1024
    .name:           _ZN4vllm25paged_attention_v2_kernelIthLi80ELi8ELi128ELNS_18Fp8KVCacheDataTypeE1ELb0ELi512EEEvPfS2_PT_PKS3_PKT0_S9_ifPKiSB_iPKfiiiSD_SD_iiiii
    .private_segment_fixed_size: 0
    .sgpr_count:     40
    .sgpr_spill_count: 0
    .symbol:         _ZN4vllm25paged_attention_v2_kernelIthLi80ELi8ELi128ELNS_18Fp8KVCacheDataTypeE1ELb0ELi512EEEvPfS2_PT_PKS3_PKT0_S9_ifPKiSB_iPKfiiiSD_SD_iiiii.kd
    .uniform_work_group_size: 1
    .uses_dynamic_stack: false
    .vgpr_count:     56
    .vgpr_spill_count: 0
    .wavefront_size: 32
    .workgroup_processor_mode: 1
  - .args:
      - .actual_access:  write_only
        .address_space:  global
        .offset:         0
        .size:           8
        .value_kind:     global_buffer
      - .actual_access:  write_only
        .address_space:  global
        .offset:         8
        .size:           8
        .value_kind:     global_buffer
      - .actual_access:  write_only
        .address_space:  global
        .offset:         16
        .size:           8
        .value_kind:     global_buffer
      - .actual_access:  read_only
        .address_space:  global
        .offset:         24
        .size:           8
        .value_kind:     global_buffer
      - .actual_access:  read_only
        .address_space:  global
        .offset:         32
        .size:           8
        .value_kind:     global_buffer
      - .actual_access:  read_only
        .address_space:  global
        .offset:         40
        .size:           8
        .value_kind:     global_buffer
      - .offset:         48
        .size:           4
        .value_kind:     by_value
      - .offset:         52
        .size:           4
        .value_kind:     by_value
      - .actual_access:  read_only
        .address_space:  global
        .offset:         56
        .size:           8
        .value_kind:     global_buffer
      - .actual_access:  read_only
        .address_space:  global
        .offset:         64
        .size:           8
        .value_kind:     global_buffer
      - .offset:         72
        .size:           4
        .value_kind:     by_value
      - .actual_access:  read_only
        .address_space:  global
        .offset:         80
        .size:           8
        .value_kind:     global_buffer
      - .offset:         88
        .size:           4
        .value_kind:     by_value
      - .offset:         92
        .size:           4
        .value_kind:     by_value
      - .offset:         96
        .size:           4
        .value_kind:     by_value
      - .address_space:  global
        .offset:         104
        .size:           8
        .value_kind:     global_buffer
      - .address_space:  global
        .offset:         112
        .size:           8
        .value_kind:     global_buffer
      - .offset:         120
        .size:           4
        .value_kind:     by_value
      - .offset:         124
        .size:           4
        .value_kind:     by_value
      - .offset:         128
        .size:           4
        .value_kind:     by_value
      - .offset:         132
        .size:           4
        .value_kind:     by_value
      - .offset:         136
        .size:           4
        .value_kind:     by_value
      - .offset:         144
        .size:           4
        .value_kind:     hidden_block_count_x
      - .offset:         148
        .size:           4
        .value_kind:     hidden_block_count_y
      - .offset:         152
        .size:           4
        .value_kind:     hidden_block_count_z
      - .offset:         156
        .size:           2
        .value_kind:     hidden_group_size_x
      - .offset:         158
        .size:           2
        .value_kind:     hidden_group_size_y
      - .offset:         160
        .size:           2
        .value_kind:     hidden_group_size_z
      - .offset:         162
        .size:           2
        .value_kind:     hidden_remainder_x
      - .offset:         164
        .size:           2
        .value_kind:     hidden_remainder_y
      - .offset:         166
        .size:           2
        .value_kind:     hidden_remainder_z
      - .offset:         184
        .size:           8
        .value_kind:     hidden_global_offset_x
      - .offset:         192
        .size:           8
        .value_kind:     hidden_global_offset_y
      - .offset:         200
        .size:           8
        .value_kind:     hidden_global_offset_z
      - .offset:         208
        .size:           2
        .value_kind:     hidden_grid_dims
      - .offset:         264
        .size:           4
        .value_kind:     hidden_dynamic_lds_size
    .group_segment_fixed_size: 224
    .kernarg_segment_align: 8
    .kernarg_segment_size: 400
    .language:       OpenCL C
    .language_version:
      - 2
      - 0
    .max_flat_workgroup_size: 1024
    .name:           _ZN4vllm25paged_attention_v2_kernelIthLi96ELi8ELi128ELNS_18Fp8KVCacheDataTypeE1ELb0ELi512EEEvPfS2_PT_PKS3_PKT0_S9_ifPKiSB_iPKfiiiSD_SD_iiiii
    .private_segment_fixed_size: 0
    .sgpr_count:     38
    .sgpr_spill_count: 0
    .symbol:         _ZN4vllm25paged_attention_v2_kernelIthLi96ELi8ELi128ELNS_18Fp8KVCacheDataTypeE1ELb0ELi512EEEvPfS2_PT_PKS3_PKT0_S9_ifPKiSB_iPKfiiiSD_SD_iiiii.kd
    .uniform_work_group_size: 1
    .uses_dynamic_stack: false
    .vgpr_count:     63
    .vgpr_spill_count: 0
    .wavefront_size: 32
    .workgroup_processor_mode: 1
  - .args:
      - .actual_access:  write_only
        .address_space:  global
        .offset:         0
        .size:           8
        .value_kind:     global_buffer
      - .actual_access:  write_only
        .address_space:  global
        .offset:         8
        .size:           8
        .value_kind:     global_buffer
      - .actual_access:  write_only
        .address_space:  global
        .offset:         16
        .size:           8
        .value_kind:     global_buffer
      - .actual_access:  read_only
        .address_space:  global
        .offset:         24
        .size:           8
        .value_kind:     global_buffer
      - .actual_access:  read_only
        .address_space:  global
        .offset:         32
        .size:           8
        .value_kind:     global_buffer
      - .actual_access:  read_only
        .address_space:  global
        .offset:         40
        .size:           8
        .value_kind:     global_buffer
      - .offset:         48
        .size:           4
        .value_kind:     by_value
      - .offset:         52
        .size:           4
        .value_kind:     by_value
      - .actual_access:  read_only
        .address_space:  global
        .offset:         56
        .size:           8
        .value_kind:     global_buffer
      - .actual_access:  read_only
        .address_space:  global
        .offset:         64
        .size:           8
        .value_kind:     global_buffer
      - .offset:         72
        .size:           4
        .value_kind:     by_value
      - .actual_access:  read_only
        .address_space:  global
        .offset:         80
        .size:           8
        .value_kind:     global_buffer
      - .offset:         88
        .size:           4
        .value_kind:     by_value
      - .offset:         92
        .size:           4
        .value_kind:     by_value
      - .offset:         96
        .size:           4
        .value_kind:     by_value
      - .address_space:  global
        .offset:         104
        .size:           8
        .value_kind:     global_buffer
      - .address_space:  global
        .offset:         112
        .size:           8
        .value_kind:     global_buffer
      - .offset:         120
        .size:           4
        .value_kind:     by_value
      - .offset:         124
        .size:           4
        .value_kind:     by_value
      - .offset:         128
        .size:           4
        .value_kind:     by_value
      - .offset:         132
        .size:           4
        .value_kind:     by_value
      - .offset:         136
        .size:           4
        .value_kind:     by_value
      - .offset:         144
        .size:           4
        .value_kind:     hidden_block_count_x
      - .offset:         148
        .size:           4
        .value_kind:     hidden_block_count_y
      - .offset:         152
        .size:           4
        .value_kind:     hidden_block_count_z
      - .offset:         156
        .size:           2
        .value_kind:     hidden_group_size_x
      - .offset:         158
        .size:           2
        .value_kind:     hidden_group_size_y
      - .offset:         160
        .size:           2
        .value_kind:     hidden_group_size_z
      - .offset:         162
        .size:           2
        .value_kind:     hidden_remainder_x
      - .offset:         164
        .size:           2
        .value_kind:     hidden_remainder_y
      - .offset:         166
        .size:           2
        .value_kind:     hidden_remainder_z
      - .offset:         184
        .size:           8
        .value_kind:     hidden_global_offset_x
      - .offset:         192
        .size:           8
        .value_kind:     hidden_global_offset_y
      - .offset:         200
        .size:           8
        .value_kind:     hidden_global_offset_z
      - .offset:         208
        .size:           2
        .value_kind:     hidden_grid_dims
      - .offset:         264
        .size:           4
        .value_kind:     hidden_dynamic_lds_size
    .group_segment_fixed_size: 256
    .kernarg_segment_align: 8
    .kernarg_segment_size: 400
    .language:       OpenCL C
    .language_version:
      - 2
      - 0
    .max_flat_workgroup_size: 1024
    .name:           _ZN4vllm25paged_attention_v2_kernelIthLi112ELi8ELi128ELNS_18Fp8KVCacheDataTypeE1ELb0ELi512EEEvPfS2_PT_PKS3_PKT0_S9_ifPKiSB_iPKfiiiSD_SD_iiiii
    .private_segment_fixed_size: 0
    .sgpr_count:     40
    .sgpr_spill_count: 0
    .symbol:         _ZN4vllm25paged_attention_v2_kernelIthLi112ELi8ELi128ELNS_18Fp8KVCacheDataTypeE1ELb0ELi512EEEvPfS2_PT_PKS3_PKT0_S9_ifPKiSB_iPKfiiiSD_SD_iiiii.kd
    .uniform_work_group_size: 1
    .uses_dynamic_stack: false
    .vgpr_count:     70
    .vgpr_spill_count: 0
    .wavefront_size: 32
    .workgroup_processor_mode: 1
  - .args:
      - .actual_access:  write_only
        .address_space:  global
        .offset:         0
        .size:           8
        .value_kind:     global_buffer
      - .actual_access:  write_only
        .address_space:  global
        .offset:         8
        .size:           8
        .value_kind:     global_buffer
      - .actual_access:  write_only
        .address_space:  global
        .offset:         16
        .size:           8
        .value_kind:     global_buffer
      - .actual_access:  read_only
        .address_space:  global
        .offset:         24
        .size:           8
        .value_kind:     global_buffer
      - .actual_access:  read_only
        .address_space:  global
        .offset:         32
        .size:           8
        .value_kind:     global_buffer
      - .actual_access:  read_only
        .address_space:  global
        .offset:         40
        .size:           8
        .value_kind:     global_buffer
      - .offset:         48
        .size:           4
        .value_kind:     by_value
      - .offset:         52
        .size:           4
        .value_kind:     by_value
      - .actual_access:  read_only
        .address_space:  global
        .offset:         56
        .size:           8
        .value_kind:     global_buffer
      - .actual_access:  read_only
        .address_space:  global
        .offset:         64
        .size:           8
        .value_kind:     global_buffer
      - .offset:         72
        .size:           4
        .value_kind:     by_value
      - .actual_access:  read_only
        .address_space:  global
        .offset:         80
        .size:           8
        .value_kind:     global_buffer
      - .offset:         88
        .size:           4
        .value_kind:     by_value
      - .offset:         92
        .size:           4
        .value_kind:     by_value
      - .offset:         96
        .size:           4
        .value_kind:     by_value
      - .address_space:  global
        .offset:         104
        .size:           8
        .value_kind:     global_buffer
      - .address_space:  global
        .offset:         112
        .size:           8
        .value_kind:     global_buffer
      - .offset:         120
        .size:           4
        .value_kind:     by_value
      - .offset:         124
        .size:           4
        .value_kind:     by_value
      - .offset:         128
        .size:           4
        .value_kind:     by_value
      - .offset:         132
        .size:           4
        .value_kind:     by_value
      - .offset:         136
        .size:           4
        .value_kind:     by_value
      - .offset:         144
        .size:           4
        .value_kind:     hidden_block_count_x
      - .offset:         148
        .size:           4
        .value_kind:     hidden_block_count_y
      - .offset:         152
        .size:           4
        .value_kind:     hidden_block_count_z
      - .offset:         156
        .size:           2
        .value_kind:     hidden_group_size_x
      - .offset:         158
        .size:           2
        .value_kind:     hidden_group_size_y
      - .offset:         160
        .size:           2
        .value_kind:     hidden_group_size_z
      - .offset:         162
        .size:           2
        .value_kind:     hidden_remainder_x
      - .offset:         164
        .size:           2
        .value_kind:     hidden_remainder_y
      - .offset:         166
        .size:           2
        .value_kind:     hidden_remainder_z
      - .offset:         184
        .size:           8
        .value_kind:     hidden_global_offset_x
      - .offset:         192
        .size:           8
        .value_kind:     hidden_global_offset_y
      - .offset:         200
        .size:           8
        .value_kind:     hidden_global_offset_z
      - .offset:         208
        .size:           2
        .value_kind:     hidden_grid_dims
      - .offset:         264
        .size:           4
        .value_kind:     hidden_dynamic_lds_size
    .group_segment_fixed_size: 272
    .kernarg_segment_align: 8
    .kernarg_segment_size: 400
    .language:       OpenCL C
    .language_version:
      - 2
      - 0
    .max_flat_workgroup_size: 1024
    .name:           _ZN4vllm25paged_attention_v2_kernelIthLi120ELi8ELi128ELNS_18Fp8KVCacheDataTypeE1ELb0ELi512EEEvPfS2_PT_PKS3_PKT0_S9_ifPKiSB_iPKfiiiSD_SD_iiiii
    .private_segment_fixed_size: 0
    .sgpr_count:     40
    .sgpr_spill_count: 0
    .symbol:         _ZN4vllm25paged_attention_v2_kernelIthLi120ELi8ELi128ELNS_18Fp8KVCacheDataTypeE1ELb0ELi512EEEvPfS2_PT_PKS3_PKT0_S9_ifPKiSB_iPKfiiiSD_SD_iiiii.kd
    .uniform_work_group_size: 1
    .uses_dynamic_stack: false
    .vgpr_count:     74
    .vgpr_spill_count: 0
    .wavefront_size: 32
    .workgroup_processor_mode: 1
  - .args:
      - .actual_access:  write_only
        .address_space:  global
        .offset:         0
        .size:           8
        .value_kind:     global_buffer
      - .actual_access:  write_only
        .address_space:  global
        .offset:         8
        .size:           8
        .value_kind:     global_buffer
      - .actual_access:  write_only
        .address_space:  global
        .offset:         16
        .size:           8
        .value_kind:     global_buffer
      - .actual_access:  read_only
        .address_space:  global
        .offset:         24
        .size:           8
        .value_kind:     global_buffer
      - .actual_access:  read_only
        .address_space:  global
        .offset:         32
        .size:           8
        .value_kind:     global_buffer
      - .actual_access:  read_only
        .address_space:  global
        .offset:         40
        .size:           8
        .value_kind:     global_buffer
      - .offset:         48
        .size:           4
        .value_kind:     by_value
      - .offset:         52
        .size:           4
        .value_kind:     by_value
      - .actual_access:  read_only
        .address_space:  global
        .offset:         56
        .size:           8
        .value_kind:     global_buffer
      - .actual_access:  read_only
        .address_space:  global
        .offset:         64
        .size:           8
        .value_kind:     global_buffer
      - .offset:         72
        .size:           4
        .value_kind:     by_value
      - .actual_access:  read_only
        .address_space:  global
        .offset:         80
        .size:           8
        .value_kind:     global_buffer
      - .offset:         88
        .size:           4
        .value_kind:     by_value
      - .offset:         92
        .size:           4
        .value_kind:     by_value
      - .offset:         96
        .size:           4
        .value_kind:     by_value
      - .address_space:  global
        .offset:         104
        .size:           8
        .value_kind:     global_buffer
      - .address_space:  global
        .offset:         112
        .size:           8
        .value_kind:     global_buffer
      - .offset:         120
        .size:           4
        .value_kind:     by_value
      - .offset:         124
        .size:           4
        .value_kind:     by_value
      - .offset:         128
        .size:           4
        .value_kind:     by_value
      - .offset:         132
        .size:           4
        .value_kind:     by_value
      - .offset:         136
        .size:           4
        .value_kind:     by_value
      - .offset:         144
        .size:           4
        .value_kind:     hidden_block_count_x
      - .offset:         148
        .size:           4
        .value_kind:     hidden_block_count_y
      - .offset:         152
        .size:           4
        .value_kind:     hidden_block_count_z
      - .offset:         156
        .size:           2
        .value_kind:     hidden_group_size_x
      - .offset:         158
        .size:           2
        .value_kind:     hidden_group_size_y
      - .offset:         160
        .size:           2
        .value_kind:     hidden_group_size_z
      - .offset:         162
        .size:           2
        .value_kind:     hidden_remainder_x
      - .offset:         164
        .size:           2
        .value_kind:     hidden_remainder_y
      - .offset:         166
        .size:           2
        .value_kind:     hidden_remainder_z
      - .offset:         184
        .size:           8
        .value_kind:     hidden_global_offset_x
      - .offset:         192
        .size:           8
        .value_kind:     hidden_global_offset_y
      - .offset:         200
        .size:           8
        .value_kind:     hidden_global_offset_z
      - .offset:         208
        .size:           2
        .value_kind:     hidden_grid_dims
      - .offset:         264
        .size:           4
        .value_kind:     hidden_dynamic_lds_size
    .group_segment_fixed_size: 288
    .kernarg_segment_align: 8
    .kernarg_segment_size: 400
    .language:       OpenCL C
    .language_version:
      - 2
      - 0
    .max_flat_workgroup_size: 1024
    .name:           _ZN4vllm25paged_attention_v2_kernelIthLi128ELi8ELi128ELNS_18Fp8KVCacheDataTypeE1ELb0ELi512EEEvPfS2_PT_PKS3_PKT0_S9_ifPKiSB_iPKfiiiSD_SD_iiiii
    .private_segment_fixed_size: 0
    .sgpr_count:     40
    .sgpr_spill_count: 0
    .symbol:         _ZN4vllm25paged_attention_v2_kernelIthLi128ELi8ELi128ELNS_18Fp8KVCacheDataTypeE1ELb0ELi512EEEvPfS2_PT_PKS3_PKT0_S9_ifPKiSB_iPKfiiiSD_SD_iiiii.kd
    .uniform_work_group_size: 1
    .uses_dynamic_stack: false
    .vgpr_count:     78
    .vgpr_spill_count: 0
    .wavefront_size: 32
    .workgroup_processor_mode: 1
  - .args:
      - .actual_access:  write_only
        .address_space:  global
        .offset:         0
        .size:           8
        .value_kind:     global_buffer
      - .actual_access:  write_only
        .address_space:  global
        .offset:         8
        .size:           8
        .value_kind:     global_buffer
      - .actual_access:  write_only
        .address_space:  global
        .offset:         16
        .size:           8
        .value_kind:     global_buffer
      - .actual_access:  read_only
        .address_space:  global
        .offset:         24
        .size:           8
        .value_kind:     global_buffer
      - .actual_access:  read_only
        .address_space:  global
        .offset:         32
        .size:           8
        .value_kind:     global_buffer
      - .actual_access:  read_only
        .address_space:  global
        .offset:         40
        .size:           8
        .value_kind:     global_buffer
      - .offset:         48
        .size:           4
        .value_kind:     by_value
      - .offset:         52
        .size:           4
        .value_kind:     by_value
      - .actual_access:  read_only
        .address_space:  global
        .offset:         56
        .size:           8
        .value_kind:     global_buffer
      - .actual_access:  read_only
        .address_space:  global
        .offset:         64
        .size:           8
        .value_kind:     global_buffer
      - .offset:         72
        .size:           4
        .value_kind:     by_value
      - .actual_access:  read_only
        .address_space:  global
        .offset:         80
        .size:           8
        .value_kind:     global_buffer
      - .offset:         88
        .size:           4
        .value_kind:     by_value
      - .offset:         92
        .size:           4
        .value_kind:     by_value
      - .offset:         96
        .size:           4
        .value_kind:     by_value
      - .address_space:  global
        .offset:         104
        .size:           8
        .value_kind:     global_buffer
      - .address_space:  global
        .offset:         112
        .size:           8
        .value_kind:     global_buffer
      - .offset:         120
        .size:           4
        .value_kind:     by_value
      - .offset:         124
        .size:           4
        .value_kind:     by_value
      - .offset:         128
        .size:           4
        .value_kind:     by_value
      - .offset:         132
        .size:           4
        .value_kind:     by_value
      - .offset:         136
        .size:           4
        .value_kind:     by_value
      - .offset:         144
        .size:           4
        .value_kind:     hidden_block_count_x
      - .offset:         148
        .size:           4
        .value_kind:     hidden_block_count_y
      - .offset:         152
        .size:           4
        .value_kind:     hidden_block_count_z
      - .offset:         156
        .size:           2
        .value_kind:     hidden_group_size_x
      - .offset:         158
        .size:           2
        .value_kind:     hidden_group_size_y
      - .offset:         160
        .size:           2
        .value_kind:     hidden_group_size_z
      - .offset:         162
        .size:           2
        .value_kind:     hidden_remainder_x
      - .offset:         164
        .size:           2
        .value_kind:     hidden_remainder_y
      - .offset:         166
        .size:           2
        .value_kind:     hidden_remainder_z
      - .offset:         184
        .size:           8
        .value_kind:     hidden_global_offset_x
      - .offset:         192
        .size:           8
        .value_kind:     hidden_global_offset_y
      - .offset:         200
        .size:           8
        .value_kind:     hidden_global_offset_z
      - .offset:         208
        .size:           2
        .value_kind:     hidden_grid_dims
      - .offset:         264
        .size:           4
        .value_kind:     hidden_dynamic_lds_size
    .group_segment_fixed_size: 416
    .kernarg_segment_align: 8
    .kernarg_segment_size: 400
    .language:       OpenCL C
    .language_version:
      - 2
      - 0
    .max_flat_workgroup_size: 1024
    .name:           _ZN4vllm25paged_attention_v2_kernelIthLi192ELi8ELi128ELNS_18Fp8KVCacheDataTypeE1ELb0ELi512EEEvPfS2_PT_PKS3_PKT0_S9_ifPKiSB_iPKfiiiSD_SD_iiiii
    .private_segment_fixed_size: 0
    .sgpr_count:     38
    .sgpr_spill_count: 0
    .symbol:         _ZN4vllm25paged_attention_v2_kernelIthLi192ELi8ELi128ELNS_18Fp8KVCacheDataTypeE1ELb0ELi512EEEvPfS2_PT_PKS3_PKT0_S9_ifPKiSB_iPKfiiiSD_SD_iiiii.kd
    .uniform_work_group_size: 1
    .uses_dynamic_stack: false
    .vgpr_count:     106
    .vgpr_spill_count: 0
    .wavefront_size: 32
    .workgroup_processor_mode: 1
  - .args:
      - .actual_access:  write_only
        .address_space:  global
        .offset:         0
        .size:           8
        .value_kind:     global_buffer
      - .actual_access:  write_only
        .address_space:  global
        .offset:         8
        .size:           8
        .value_kind:     global_buffer
      - .actual_access:  write_only
        .address_space:  global
        .offset:         16
        .size:           8
        .value_kind:     global_buffer
      - .actual_access:  read_only
        .address_space:  global
        .offset:         24
        .size:           8
        .value_kind:     global_buffer
      - .actual_access:  read_only
        .address_space:  global
        .offset:         32
        .size:           8
        .value_kind:     global_buffer
      - .actual_access:  read_only
        .address_space:  global
        .offset:         40
        .size:           8
        .value_kind:     global_buffer
      - .offset:         48
        .size:           4
        .value_kind:     by_value
      - .offset:         52
        .size:           4
        .value_kind:     by_value
      - .actual_access:  read_only
        .address_space:  global
        .offset:         56
        .size:           8
        .value_kind:     global_buffer
      - .actual_access:  read_only
        .address_space:  global
        .offset:         64
        .size:           8
        .value_kind:     global_buffer
      - .offset:         72
        .size:           4
        .value_kind:     by_value
      - .actual_access:  read_only
        .address_space:  global
        .offset:         80
        .size:           8
        .value_kind:     global_buffer
      - .offset:         88
        .size:           4
        .value_kind:     by_value
      - .offset:         92
        .size:           4
        .value_kind:     by_value
      - .offset:         96
        .size:           4
        .value_kind:     by_value
      - .address_space:  global
        .offset:         104
        .size:           8
        .value_kind:     global_buffer
      - .address_space:  global
        .offset:         112
        .size:           8
        .value_kind:     global_buffer
      - .offset:         120
        .size:           4
        .value_kind:     by_value
      - .offset:         124
        .size:           4
        .value_kind:     by_value
      - .offset:         128
        .size:           4
        .value_kind:     by_value
      - .offset:         132
        .size:           4
        .value_kind:     by_value
      - .offset:         136
        .size:           4
        .value_kind:     by_value
      - .offset:         144
        .size:           4
        .value_kind:     hidden_block_count_x
      - .offset:         148
        .size:           4
        .value_kind:     hidden_block_count_y
      - .offset:         152
        .size:           4
        .value_kind:     hidden_block_count_z
      - .offset:         156
        .size:           2
        .value_kind:     hidden_group_size_x
      - .offset:         158
        .size:           2
        .value_kind:     hidden_group_size_y
      - .offset:         160
        .size:           2
        .value_kind:     hidden_group_size_z
      - .offset:         162
        .size:           2
        .value_kind:     hidden_remainder_x
      - .offset:         164
        .size:           2
        .value_kind:     hidden_remainder_y
      - .offset:         166
        .size:           2
        .value_kind:     hidden_remainder_z
      - .offset:         184
        .size:           8
        .value_kind:     hidden_global_offset_x
      - .offset:         192
        .size:           8
        .value_kind:     hidden_global_offset_y
      - .offset:         200
        .size:           8
        .value_kind:     hidden_global_offset_z
      - .offset:         208
        .size:           2
        .value_kind:     hidden_grid_dims
      - .offset:         264
        .size:           4
        .value_kind:     hidden_dynamic_lds_size
    .group_segment_fixed_size: 544
    .kernarg_segment_align: 8
    .kernarg_segment_size: 400
    .language:       OpenCL C
    .language_version:
      - 2
      - 0
    .max_flat_workgroup_size: 1024
    .name:           _ZN4vllm25paged_attention_v2_kernelIthLi256ELi8ELi128ELNS_18Fp8KVCacheDataTypeE1ELb0ELi512EEEvPfS2_PT_PKS3_PKT0_S9_ifPKiSB_iPKfiiiSD_SD_iiiii
    .private_segment_fixed_size: 0
    .sgpr_count:     38
    .sgpr_spill_count: 0
    .symbol:         _ZN4vllm25paged_attention_v2_kernelIthLi256ELi8ELi128ELNS_18Fp8KVCacheDataTypeE1ELb0ELi512EEEvPfS2_PT_PKS3_PKT0_S9_ifPKiSB_iPKfiiiSD_SD_iiiii.kd
    .uniform_work_group_size: 1
    .uses_dynamic_stack: false
    .vgpr_count:     132
    .vgpr_spill_count: 0
    .wavefront_size: 32
    .workgroup_processor_mode: 1
  - .args:
      - .actual_access:  write_only
        .address_space:  global
        .offset:         0
        .size:           8
        .value_kind:     global_buffer
      - .actual_access:  write_only
        .address_space:  global
        .offset:         8
        .size:           8
        .value_kind:     global_buffer
      - .actual_access:  write_only
        .address_space:  global
        .offset:         16
        .size:           8
        .value_kind:     global_buffer
      - .actual_access:  read_only
        .address_space:  global
        .offset:         24
        .size:           8
        .value_kind:     global_buffer
      - .actual_access:  read_only
        .address_space:  global
        .offset:         32
        .size:           8
        .value_kind:     global_buffer
      - .actual_access:  read_only
        .address_space:  global
        .offset:         40
        .size:           8
        .value_kind:     global_buffer
      - .offset:         48
        .size:           4
        .value_kind:     by_value
      - .offset:         52
        .size:           4
        .value_kind:     by_value
      - .actual_access:  read_only
        .address_space:  global
        .offset:         56
        .size:           8
        .value_kind:     global_buffer
      - .actual_access:  read_only
        .address_space:  global
        .offset:         64
        .size:           8
        .value_kind:     global_buffer
      - .offset:         72
        .size:           4
        .value_kind:     by_value
      - .actual_access:  read_only
        .address_space:  global
        .offset:         80
        .size:           8
        .value_kind:     global_buffer
      - .offset:         88
        .size:           4
        .value_kind:     by_value
      - .offset:         92
        .size:           4
        .value_kind:     by_value
      - .offset:         96
        .size:           4
        .value_kind:     by_value
      - .address_space:  global
        .offset:         104
        .size:           8
        .value_kind:     global_buffer
      - .address_space:  global
        .offset:         112
        .size:           8
        .value_kind:     global_buffer
      - .offset:         120
        .size:           4
        .value_kind:     by_value
      - .offset:         124
        .size:           4
        .value_kind:     by_value
      - .offset:         128
        .size:           4
        .value_kind:     by_value
      - .offset:         132
        .size:           4
        .value_kind:     by_value
      - .offset:         136
        .size:           4
        .value_kind:     by_value
      - .offset:         144
        .size:           4
        .value_kind:     hidden_block_count_x
      - .offset:         148
        .size:           4
        .value_kind:     hidden_block_count_y
      - .offset:         152
        .size:           4
        .value_kind:     hidden_block_count_z
      - .offset:         156
        .size:           2
        .value_kind:     hidden_group_size_x
      - .offset:         158
        .size:           2
        .value_kind:     hidden_group_size_y
      - .offset:         160
        .size:           2
        .value_kind:     hidden_group_size_z
      - .offset:         162
        .size:           2
        .value_kind:     hidden_remainder_x
      - .offset:         164
        .size:           2
        .value_kind:     hidden_remainder_y
      - .offset:         166
        .size:           2
        .value_kind:     hidden_remainder_z
      - .offset:         184
        .size:           8
        .value_kind:     hidden_global_offset_x
      - .offset:         192
        .size:           8
        .value_kind:     hidden_global_offset_y
      - .offset:         200
        .size:           8
        .value_kind:     hidden_global_offset_z
      - .offset:         208
        .size:           2
        .value_kind:     hidden_grid_dims
      - .offset:         264
        .size:           4
        .value_kind:     hidden_dynamic_lds_size
    .group_segment_fixed_size: 96
    .kernarg_segment_align: 8
    .kernarg_segment_size: 400
    .language:       OpenCL C
    .language_version:
      - 2
      - 0
    .max_flat_workgroup_size: 1024
    .name:           _ZN4vllm25paged_attention_v2_kernelIthLi32ELi16ELi128ELNS_18Fp8KVCacheDataTypeE1ELb1ELi512EEEvPfS2_PT_PKS3_PKT0_S9_ifPKiSB_iPKfiiiSD_SD_iiiii
    .private_segment_fixed_size: 0
    .sgpr_count:     48
    .sgpr_spill_count: 0
    .symbol:         _ZN4vllm25paged_attention_v2_kernelIthLi32ELi16ELi128ELNS_18Fp8KVCacheDataTypeE1ELb1ELi512EEEvPfS2_PT_PKS3_PKT0_S9_ifPKiSB_iPKfiiiSD_SD_iiiii.kd
    .uniform_work_group_size: 1
    .uses_dynamic_stack: false
    .vgpr_count:     53
    .vgpr_spill_count: 0
    .wavefront_size: 32
    .workgroup_processor_mode: 1
  - .args:
      - .actual_access:  write_only
        .address_space:  global
        .offset:         0
        .size:           8
        .value_kind:     global_buffer
      - .actual_access:  write_only
        .address_space:  global
        .offset:         8
        .size:           8
        .value_kind:     global_buffer
      - .actual_access:  write_only
        .address_space:  global
        .offset:         16
        .size:           8
        .value_kind:     global_buffer
      - .actual_access:  read_only
        .address_space:  global
        .offset:         24
        .size:           8
        .value_kind:     global_buffer
      - .actual_access:  read_only
        .address_space:  global
        .offset:         32
        .size:           8
        .value_kind:     global_buffer
      - .actual_access:  read_only
        .address_space:  global
        .offset:         40
        .size:           8
        .value_kind:     global_buffer
      - .offset:         48
        .size:           4
        .value_kind:     by_value
      - .offset:         52
        .size:           4
        .value_kind:     by_value
      - .actual_access:  read_only
        .address_space:  global
        .offset:         56
        .size:           8
        .value_kind:     global_buffer
      - .actual_access:  read_only
        .address_space:  global
        .offset:         64
        .size:           8
        .value_kind:     global_buffer
      - .offset:         72
        .size:           4
        .value_kind:     by_value
      - .actual_access:  read_only
        .address_space:  global
        .offset:         80
        .size:           8
        .value_kind:     global_buffer
      - .offset:         88
        .size:           4
        .value_kind:     by_value
      - .offset:         92
        .size:           4
        .value_kind:     by_value
      - .offset:         96
        .size:           4
        .value_kind:     by_value
      - .address_space:  global
        .offset:         104
        .size:           8
        .value_kind:     global_buffer
      - .address_space:  global
        .offset:         112
        .size:           8
        .value_kind:     global_buffer
      - .offset:         120
        .size:           4
        .value_kind:     by_value
      - .offset:         124
        .size:           4
        .value_kind:     by_value
      - .offset:         128
        .size:           4
        .value_kind:     by_value
      - .offset:         132
        .size:           4
        .value_kind:     by_value
      - .offset:         136
        .size:           4
        .value_kind:     by_value
      - .offset:         144
        .size:           4
        .value_kind:     hidden_block_count_x
      - .offset:         148
        .size:           4
        .value_kind:     hidden_block_count_y
      - .offset:         152
        .size:           4
        .value_kind:     hidden_block_count_z
      - .offset:         156
        .size:           2
        .value_kind:     hidden_group_size_x
      - .offset:         158
        .size:           2
        .value_kind:     hidden_group_size_y
      - .offset:         160
        .size:           2
        .value_kind:     hidden_group_size_z
      - .offset:         162
        .size:           2
        .value_kind:     hidden_remainder_x
      - .offset:         164
        .size:           2
        .value_kind:     hidden_remainder_y
      - .offset:         166
        .size:           2
        .value_kind:     hidden_remainder_z
      - .offset:         184
        .size:           8
        .value_kind:     hidden_global_offset_x
      - .offset:         192
        .size:           8
        .value_kind:     hidden_global_offset_y
      - .offset:         200
        .size:           8
        .value_kind:     hidden_global_offset_z
      - .offset:         208
        .size:           2
        .value_kind:     hidden_grid_dims
      - .offset:         264
        .size:           4
        .value_kind:     hidden_dynamic_lds_size
    .group_segment_fixed_size: 160
    .kernarg_segment_align: 8
    .kernarg_segment_size: 400
    .language:       OpenCL C
    .language_version:
      - 2
      - 0
    .max_flat_workgroup_size: 1024
    .name:           _ZN4vllm25paged_attention_v2_kernelIthLi64ELi16ELi128ELNS_18Fp8KVCacheDataTypeE1ELb1ELi512EEEvPfS2_PT_PKS3_PKT0_S9_ifPKiSB_iPKfiiiSD_SD_iiiii
    .private_segment_fixed_size: 0
    .sgpr_count:     48
    .sgpr_spill_count: 0
    .symbol:         _ZN4vllm25paged_attention_v2_kernelIthLi64ELi16ELi128ELNS_18Fp8KVCacheDataTypeE1ELb1ELi512EEEvPfS2_PT_PKS3_PKT0_S9_ifPKiSB_iPKfiiiSD_SD_iiiii.kd
    .uniform_work_group_size: 1
    .uses_dynamic_stack: false
    .vgpr_count:     82
    .vgpr_spill_count: 0
    .wavefront_size: 32
    .workgroup_processor_mode: 1
  - .args:
      - .actual_access:  write_only
        .address_space:  global
        .offset:         0
        .size:           8
        .value_kind:     global_buffer
      - .actual_access:  write_only
        .address_space:  global
        .offset:         8
        .size:           8
        .value_kind:     global_buffer
      - .actual_access:  write_only
        .address_space:  global
        .offset:         16
        .size:           8
        .value_kind:     global_buffer
      - .actual_access:  read_only
        .address_space:  global
        .offset:         24
        .size:           8
        .value_kind:     global_buffer
      - .actual_access:  read_only
        .address_space:  global
        .offset:         32
        .size:           8
        .value_kind:     global_buffer
      - .actual_access:  read_only
        .address_space:  global
        .offset:         40
        .size:           8
        .value_kind:     global_buffer
      - .offset:         48
        .size:           4
        .value_kind:     by_value
      - .offset:         52
        .size:           4
        .value_kind:     by_value
      - .actual_access:  read_only
        .address_space:  global
        .offset:         56
        .size:           8
        .value_kind:     global_buffer
      - .actual_access:  read_only
        .address_space:  global
        .offset:         64
        .size:           8
        .value_kind:     global_buffer
      - .offset:         72
        .size:           4
        .value_kind:     by_value
      - .actual_access:  read_only
        .address_space:  global
        .offset:         80
        .size:           8
        .value_kind:     global_buffer
      - .offset:         88
        .size:           4
        .value_kind:     by_value
      - .offset:         92
        .size:           4
        .value_kind:     by_value
      - .offset:         96
        .size:           4
        .value_kind:     by_value
      - .address_space:  global
        .offset:         104
        .size:           8
        .value_kind:     global_buffer
      - .address_space:  global
        .offset:         112
        .size:           8
        .value_kind:     global_buffer
      - .offset:         120
        .size:           4
        .value_kind:     by_value
      - .offset:         124
        .size:           4
        .value_kind:     by_value
      - .offset:         128
        .size:           4
        .value_kind:     by_value
      - .offset:         132
        .size:           4
        .value_kind:     by_value
      - .offset:         136
        .size:           4
        .value_kind:     by_value
      - .offset:         144
        .size:           4
        .value_kind:     hidden_block_count_x
      - .offset:         148
        .size:           4
        .value_kind:     hidden_block_count_y
      - .offset:         152
        .size:           4
        .value_kind:     hidden_block_count_z
      - .offset:         156
        .size:           2
        .value_kind:     hidden_group_size_x
      - .offset:         158
        .size:           2
        .value_kind:     hidden_group_size_y
      - .offset:         160
        .size:           2
        .value_kind:     hidden_group_size_z
      - .offset:         162
        .size:           2
        .value_kind:     hidden_remainder_x
      - .offset:         164
        .size:           2
        .value_kind:     hidden_remainder_y
      - .offset:         166
        .size:           2
        .value_kind:     hidden_remainder_z
      - .offset:         184
        .size:           8
        .value_kind:     hidden_global_offset_x
      - .offset:         192
        .size:           8
        .value_kind:     hidden_global_offset_y
      - .offset:         200
        .size:           8
        .value_kind:     hidden_global_offset_z
      - .offset:         208
        .size:           2
        .value_kind:     hidden_grid_dims
      - .offset:         264
        .size:           4
        .value_kind:     hidden_dynamic_lds_size
    .group_segment_fixed_size: 192
    .kernarg_segment_align: 8
    .kernarg_segment_size: 400
    .language:       OpenCL C
    .language_version:
      - 2
      - 0
    .max_flat_workgroup_size: 1024
    .name:           _ZN4vllm25paged_attention_v2_kernelIthLi80ELi16ELi128ELNS_18Fp8KVCacheDataTypeE1ELb1ELi512EEEvPfS2_PT_PKS3_PKT0_S9_ifPKiSB_iPKfiiiSD_SD_iiiii
    .private_segment_fixed_size: 0
    .sgpr_count:     48
    .sgpr_spill_count: 0
    .symbol:         _ZN4vllm25paged_attention_v2_kernelIthLi80ELi16ELi128ELNS_18Fp8KVCacheDataTypeE1ELb1ELi512EEEvPfS2_PT_PKS3_PKT0_S9_ifPKiSB_iPKfiiiSD_SD_iiiii.kd
    .uniform_work_group_size: 1
    .uses_dynamic_stack: false
    .vgpr_count:     97
    .vgpr_spill_count: 0
    .wavefront_size: 32
    .workgroup_processor_mode: 1
  - .args:
      - .actual_access:  write_only
        .address_space:  global
        .offset:         0
        .size:           8
        .value_kind:     global_buffer
      - .actual_access:  write_only
        .address_space:  global
        .offset:         8
        .size:           8
        .value_kind:     global_buffer
      - .actual_access:  write_only
        .address_space:  global
        .offset:         16
        .size:           8
        .value_kind:     global_buffer
      - .actual_access:  read_only
        .address_space:  global
        .offset:         24
        .size:           8
        .value_kind:     global_buffer
      - .actual_access:  read_only
        .address_space:  global
        .offset:         32
        .size:           8
        .value_kind:     global_buffer
      - .actual_access:  read_only
        .address_space:  global
        .offset:         40
        .size:           8
        .value_kind:     global_buffer
      - .offset:         48
        .size:           4
        .value_kind:     by_value
      - .offset:         52
        .size:           4
        .value_kind:     by_value
      - .actual_access:  read_only
        .address_space:  global
        .offset:         56
        .size:           8
        .value_kind:     global_buffer
      - .actual_access:  read_only
        .address_space:  global
        .offset:         64
        .size:           8
        .value_kind:     global_buffer
      - .offset:         72
        .size:           4
        .value_kind:     by_value
      - .actual_access:  read_only
        .address_space:  global
        .offset:         80
        .size:           8
        .value_kind:     global_buffer
      - .offset:         88
        .size:           4
        .value_kind:     by_value
      - .offset:         92
        .size:           4
        .value_kind:     by_value
      - .offset:         96
        .size:           4
        .value_kind:     by_value
      - .address_space:  global
        .offset:         104
        .size:           8
        .value_kind:     global_buffer
      - .address_space:  global
        .offset:         112
        .size:           8
        .value_kind:     global_buffer
      - .offset:         120
        .size:           4
        .value_kind:     by_value
      - .offset:         124
        .size:           4
        .value_kind:     by_value
      - .offset:         128
        .size:           4
        .value_kind:     by_value
      - .offset:         132
        .size:           4
        .value_kind:     by_value
      - .offset:         136
        .size:           4
        .value_kind:     by_value
      - .offset:         144
        .size:           4
        .value_kind:     hidden_block_count_x
      - .offset:         148
        .size:           4
        .value_kind:     hidden_block_count_y
      - .offset:         152
        .size:           4
        .value_kind:     hidden_block_count_z
      - .offset:         156
        .size:           2
        .value_kind:     hidden_group_size_x
      - .offset:         158
        .size:           2
        .value_kind:     hidden_group_size_y
      - .offset:         160
        .size:           2
        .value_kind:     hidden_group_size_z
      - .offset:         162
        .size:           2
        .value_kind:     hidden_remainder_x
      - .offset:         164
        .size:           2
        .value_kind:     hidden_remainder_y
      - .offset:         166
        .size:           2
        .value_kind:     hidden_remainder_z
      - .offset:         184
        .size:           8
        .value_kind:     hidden_global_offset_x
      - .offset:         192
        .size:           8
        .value_kind:     hidden_global_offset_y
      - .offset:         200
        .size:           8
        .value_kind:     hidden_global_offset_z
      - .offset:         208
        .size:           2
        .value_kind:     hidden_grid_dims
      - .offset:         264
        .size:           4
        .value_kind:     hidden_dynamic_lds_size
    .group_segment_fixed_size: 224
    .kernarg_segment_align: 8
    .kernarg_segment_size: 400
    .language:       OpenCL C
    .language_version:
      - 2
      - 0
    .max_flat_workgroup_size: 1024
    .name:           _ZN4vllm25paged_attention_v2_kernelIthLi96ELi16ELi128ELNS_18Fp8KVCacheDataTypeE1ELb1ELi512EEEvPfS2_PT_PKS3_PKT0_S9_ifPKiSB_iPKfiiiSD_SD_iiiii
    .private_segment_fixed_size: 0
    .sgpr_count:     48
    .sgpr_spill_count: 0
    .symbol:         _ZN4vllm25paged_attention_v2_kernelIthLi96ELi16ELi128ELNS_18Fp8KVCacheDataTypeE1ELb1ELi512EEEvPfS2_PT_PKS3_PKT0_S9_ifPKiSB_iPKfiiiSD_SD_iiiii.kd
    .uniform_work_group_size: 1
    .uses_dynamic_stack: false
    .vgpr_count:     110
    .vgpr_spill_count: 0
    .wavefront_size: 32
    .workgroup_processor_mode: 1
  - .args:
      - .actual_access:  write_only
        .address_space:  global
        .offset:         0
        .size:           8
        .value_kind:     global_buffer
      - .actual_access:  write_only
        .address_space:  global
        .offset:         8
        .size:           8
        .value_kind:     global_buffer
      - .actual_access:  write_only
        .address_space:  global
        .offset:         16
        .size:           8
        .value_kind:     global_buffer
      - .actual_access:  read_only
        .address_space:  global
        .offset:         24
        .size:           8
        .value_kind:     global_buffer
      - .actual_access:  read_only
        .address_space:  global
        .offset:         32
        .size:           8
        .value_kind:     global_buffer
      - .actual_access:  read_only
        .address_space:  global
        .offset:         40
        .size:           8
        .value_kind:     global_buffer
      - .offset:         48
        .size:           4
        .value_kind:     by_value
      - .offset:         52
        .size:           4
        .value_kind:     by_value
      - .actual_access:  read_only
        .address_space:  global
        .offset:         56
        .size:           8
        .value_kind:     global_buffer
      - .actual_access:  read_only
        .address_space:  global
        .offset:         64
        .size:           8
        .value_kind:     global_buffer
      - .offset:         72
        .size:           4
        .value_kind:     by_value
      - .actual_access:  read_only
        .address_space:  global
        .offset:         80
        .size:           8
        .value_kind:     global_buffer
      - .offset:         88
        .size:           4
        .value_kind:     by_value
      - .offset:         92
        .size:           4
        .value_kind:     by_value
      - .offset:         96
        .size:           4
        .value_kind:     by_value
      - .address_space:  global
        .offset:         104
        .size:           8
        .value_kind:     global_buffer
      - .address_space:  global
        .offset:         112
        .size:           8
        .value_kind:     global_buffer
      - .offset:         120
        .size:           4
        .value_kind:     by_value
      - .offset:         124
        .size:           4
        .value_kind:     by_value
      - .offset:         128
        .size:           4
        .value_kind:     by_value
      - .offset:         132
        .size:           4
        .value_kind:     by_value
      - .offset:         136
        .size:           4
        .value_kind:     by_value
      - .offset:         144
        .size:           4
        .value_kind:     hidden_block_count_x
      - .offset:         148
        .size:           4
        .value_kind:     hidden_block_count_y
      - .offset:         152
        .size:           4
        .value_kind:     hidden_block_count_z
      - .offset:         156
        .size:           2
        .value_kind:     hidden_group_size_x
      - .offset:         158
        .size:           2
        .value_kind:     hidden_group_size_y
      - .offset:         160
        .size:           2
        .value_kind:     hidden_group_size_z
      - .offset:         162
        .size:           2
        .value_kind:     hidden_remainder_x
      - .offset:         164
        .size:           2
        .value_kind:     hidden_remainder_y
      - .offset:         166
        .size:           2
        .value_kind:     hidden_remainder_z
      - .offset:         184
        .size:           8
        .value_kind:     hidden_global_offset_x
      - .offset:         192
        .size:           8
        .value_kind:     hidden_global_offset_y
      - .offset:         200
        .size:           8
        .value_kind:     hidden_global_offset_z
      - .offset:         208
        .size:           2
        .value_kind:     hidden_grid_dims
      - .offset:         264
        .size:           4
        .value_kind:     hidden_dynamic_lds_size
    .group_segment_fixed_size: 256
    .kernarg_segment_align: 8
    .kernarg_segment_size: 400
    .language:       OpenCL C
    .language_version:
      - 2
      - 0
    .max_flat_workgroup_size: 1024
    .name:           _ZN4vllm25paged_attention_v2_kernelIthLi112ELi16ELi128ELNS_18Fp8KVCacheDataTypeE1ELb1ELi512EEEvPfS2_PT_PKS3_PKT0_S9_ifPKiSB_iPKfiiiSD_SD_iiiii
    .private_segment_fixed_size: 0
    .sgpr_count:     48
    .sgpr_spill_count: 0
    .symbol:         _ZN4vllm25paged_attention_v2_kernelIthLi112ELi16ELi128ELNS_18Fp8KVCacheDataTypeE1ELb1ELi512EEEvPfS2_PT_PKS3_PKT0_S9_ifPKiSB_iPKfiiiSD_SD_iiiii.kd
    .uniform_work_group_size: 1
    .uses_dynamic_stack: false
    .vgpr_count:     125
    .vgpr_spill_count: 0
    .wavefront_size: 32
    .workgroup_processor_mode: 1
  - .args:
      - .actual_access:  write_only
        .address_space:  global
        .offset:         0
        .size:           8
        .value_kind:     global_buffer
      - .actual_access:  write_only
        .address_space:  global
        .offset:         8
        .size:           8
        .value_kind:     global_buffer
      - .actual_access:  write_only
        .address_space:  global
        .offset:         16
        .size:           8
        .value_kind:     global_buffer
      - .actual_access:  read_only
        .address_space:  global
        .offset:         24
        .size:           8
        .value_kind:     global_buffer
      - .actual_access:  read_only
        .address_space:  global
        .offset:         32
        .size:           8
        .value_kind:     global_buffer
      - .actual_access:  read_only
        .address_space:  global
        .offset:         40
        .size:           8
        .value_kind:     global_buffer
      - .offset:         48
        .size:           4
        .value_kind:     by_value
      - .offset:         52
        .size:           4
        .value_kind:     by_value
      - .actual_access:  read_only
        .address_space:  global
        .offset:         56
        .size:           8
        .value_kind:     global_buffer
      - .actual_access:  read_only
        .address_space:  global
        .offset:         64
        .size:           8
        .value_kind:     global_buffer
      - .offset:         72
        .size:           4
        .value_kind:     by_value
      - .actual_access:  read_only
        .address_space:  global
        .offset:         80
        .size:           8
        .value_kind:     global_buffer
      - .offset:         88
        .size:           4
        .value_kind:     by_value
      - .offset:         92
        .size:           4
        .value_kind:     by_value
      - .offset:         96
        .size:           4
        .value_kind:     by_value
      - .address_space:  global
        .offset:         104
        .size:           8
        .value_kind:     global_buffer
      - .address_space:  global
        .offset:         112
        .size:           8
        .value_kind:     global_buffer
      - .offset:         120
        .size:           4
        .value_kind:     by_value
      - .offset:         124
        .size:           4
        .value_kind:     by_value
      - .offset:         128
        .size:           4
        .value_kind:     by_value
      - .offset:         132
        .size:           4
        .value_kind:     by_value
      - .offset:         136
        .size:           4
        .value_kind:     by_value
      - .offset:         144
        .size:           4
        .value_kind:     hidden_block_count_x
      - .offset:         148
        .size:           4
        .value_kind:     hidden_block_count_y
      - .offset:         152
        .size:           4
        .value_kind:     hidden_block_count_z
      - .offset:         156
        .size:           2
        .value_kind:     hidden_group_size_x
      - .offset:         158
        .size:           2
        .value_kind:     hidden_group_size_y
      - .offset:         160
        .size:           2
        .value_kind:     hidden_group_size_z
      - .offset:         162
        .size:           2
        .value_kind:     hidden_remainder_x
      - .offset:         164
        .size:           2
        .value_kind:     hidden_remainder_y
      - .offset:         166
        .size:           2
        .value_kind:     hidden_remainder_z
      - .offset:         184
        .size:           8
        .value_kind:     hidden_global_offset_x
      - .offset:         192
        .size:           8
        .value_kind:     hidden_global_offset_y
      - .offset:         200
        .size:           8
        .value_kind:     hidden_global_offset_z
      - .offset:         208
        .size:           2
        .value_kind:     hidden_grid_dims
      - .offset:         264
        .size:           4
        .value_kind:     hidden_dynamic_lds_size
    .group_segment_fixed_size: 272
    .kernarg_segment_align: 8
    .kernarg_segment_size: 400
    .language:       OpenCL C
    .language_version:
      - 2
      - 0
    .max_flat_workgroup_size: 1024
    .name:           _ZN4vllm25paged_attention_v2_kernelIthLi120ELi16ELi128ELNS_18Fp8KVCacheDataTypeE1ELb1ELi512EEEvPfS2_PT_PKS3_PKT0_S9_ifPKiSB_iPKfiiiSD_SD_iiiii
    .private_segment_fixed_size: 0
    .sgpr_count:     48
    .sgpr_spill_count: 0
    .symbol:         _ZN4vllm25paged_attention_v2_kernelIthLi120ELi16ELi128ELNS_18Fp8KVCacheDataTypeE1ELb1ELi512EEEvPfS2_PT_PKS3_PKT0_S9_ifPKiSB_iPKfiiiSD_SD_iiiii.kd
    .uniform_work_group_size: 1
    .uses_dynamic_stack: false
    .vgpr_count:     133
    .vgpr_spill_count: 0
    .wavefront_size: 32
    .workgroup_processor_mode: 1
  - .args:
      - .actual_access:  write_only
        .address_space:  global
        .offset:         0
        .size:           8
        .value_kind:     global_buffer
      - .actual_access:  write_only
        .address_space:  global
        .offset:         8
        .size:           8
        .value_kind:     global_buffer
      - .actual_access:  write_only
        .address_space:  global
        .offset:         16
        .size:           8
        .value_kind:     global_buffer
      - .actual_access:  read_only
        .address_space:  global
        .offset:         24
        .size:           8
        .value_kind:     global_buffer
      - .actual_access:  read_only
        .address_space:  global
        .offset:         32
        .size:           8
        .value_kind:     global_buffer
      - .actual_access:  read_only
        .address_space:  global
        .offset:         40
        .size:           8
        .value_kind:     global_buffer
      - .offset:         48
        .size:           4
        .value_kind:     by_value
      - .offset:         52
        .size:           4
        .value_kind:     by_value
      - .actual_access:  read_only
        .address_space:  global
        .offset:         56
        .size:           8
        .value_kind:     global_buffer
      - .actual_access:  read_only
        .address_space:  global
        .offset:         64
        .size:           8
        .value_kind:     global_buffer
      - .offset:         72
        .size:           4
        .value_kind:     by_value
      - .actual_access:  read_only
        .address_space:  global
        .offset:         80
        .size:           8
        .value_kind:     global_buffer
      - .offset:         88
        .size:           4
        .value_kind:     by_value
      - .offset:         92
        .size:           4
        .value_kind:     by_value
      - .offset:         96
        .size:           4
        .value_kind:     by_value
      - .address_space:  global
        .offset:         104
        .size:           8
        .value_kind:     global_buffer
      - .address_space:  global
        .offset:         112
        .size:           8
        .value_kind:     global_buffer
      - .offset:         120
        .size:           4
        .value_kind:     by_value
      - .offset:         124
        .size:           4
        .value_kind:     by_value
      - .offset:         128
        .size:           4
        .value_kind:     by_value
      - .offset:         132
        .size:           4
        .value_kind:     by_value
      - .offset:         136
        .size:           4
        .value_kind:     by_value
      - .offset:         144
        .size:           4
        .value_kind:     hidden_block_count_x
      - .offset:         148
        .size:           4
        .value_kind:     hidden_block_count_y
      - .offset:         152
        .size:           4
        .value_kind:     hidden_block_count_z
      - .offset:         156
        .size:           2
        .value_kind:     hidden_group_size_x
      - .offset:         158
        .size:           2
        .value_kind:     hidden_group_size_y
      - .offset:         160
        .size:           2
        .value_kind:     hidden_group_size_z
      - .offset:         162
        .size:           2
        .value_kind:     hidden_remainder_x
      - .offset:         164
        .size:           2
        .value_kind:     hidden_remainder_y
      - .offset:         166
        .size:           2
        .value_kind:     hidden_remainder_z
      - .offset:         184
        .size:           8
        .value_kind:     hidden_global_offset_x
      - .offset:         192
        .size:           8
        .value_kind:     hidden_global_offset_y
      - .offset:         200
        .size:           8
        .value_kind:     hidden_global_offset_z
      - .offset:         208
        .size:           2
        .value_kind:     hidden_grid_dims
      - .offset:         264
        .size:           4
        .value_kind:     hidden_dynamic_lds_size
    .group_segment_fixed_size: 288
    .kernarg_segment_align: 8
    .kernarg_segment_size: 400
    .language:       OpenCL C
    .language_version:
      - 2
      - 0
    .max_flat_workgroup_size: 1024
    .name:           _ZN4vllm25paged_attention_v2_kernelIthLi128ELi16ELi128ELNS_18Fp8KVCacheDataTypeE1ELb1ELi512EEEvPfS2_PT_PKS3_PKT0_S9_ifPKiSB_iPKfiiiSD_SD_iiiii
    .private_segment_fixed_size: 0
    .sgpr_count:     50
    .sgpr_spill_count: 0
    .symbol:         _ZN4vllm25paged_attention_v2_kernelIthLi128ELi16ELi128ELNS_18Fp8KVCacheDataTypeE1ELb1ELi512EEEvPfS2_PT_PKS3_PKT0_S9_ifPKiSB_iPKfiiiSD_SD_iiiii.kd
    .uniform_work_group_size: 1
    .uses_dynamic_stack: false
    .vgpr_count:     138
    .vgpr_spill_count: 0
    .wavefront_size: 32
    .workgroup_processor_mode: 1
  - .args:
      - .address_space:  global
        .offset:         0
        .size:           8
        .value_kind:     global_buffer
      - .address_space:  global
        .offset:         8
        .size:           8
        .value_kind:     global_buffer
      - .address_space:  global
        .offset:         16
        .size:           8
        .value_kind:     global_buffer
      - .address_space:  global
        .offset:         24
        .size:           8
        .value_kind:     global_buffer
      - .address_space:  global
        .offset:         32
        .size:           8
        .value_kind:     global_buffer
      - .address_space:  global
        .offset:         40
        .size:           8
        .value_kind:     global_buffer
      - .offset:         48
        .size:           4
        .value_kind:     by_value
      - .offset:         52
        .size:           4
        .value_kind:     by_value
      - .address_space:  global
        .offset:         56
        .size:           8
        .value_kind:     global_buffer
      - .address_space:  global
        .offset:         64
        .size:           8
        .value_kind:     global_buffer
      - .offset:         72
        .size:           4
        .value_kind:     by_value
      - .address_space:  global
        .offset:         80
        .size:           8
        .value_kind:     global_buffer
      - .offset:         88
        .size:           4
        .value_kind:     by_value
      - .offset:         92
        .size:           4
        .value_kind:     by_value
      - .offset:         96
        .size:           4
        .value_kind:     by_value
      - .address_space:  global
        .offset:         104
        .size:           8
        .value_kind:     global_buffer
      - .address_space:  global
        .offset:         112
        .size:           8
        .value_kind:     global_buffer
      - .offset:         120
        .size:           4
        .value_kind:     by_value
      - .offset:         124
        .size:           4
        .value_kind:     by_value
      - .offset:         128
        .size:           4
        .value_kind:     by_value
      - .offset:         132
        .size:           4
        .value_kind:     by_value
      - .offset:         136
        .size:           4
        .value_kind:     by_value
      - .offset:         144
        .size:           4
        .value_kind:     hidden_block_count_x
      - .offset:         148
        .size:           4
        .value_kind:     hidden_block_count_y
      - .offset:         152
        .size:           4
        .value_kind:     hidden_block_count_z
      - .offset:         156
        .size:           2
        .value_kind:     hidden_group_size_x
      - .offset:         158
        .size:           2
        .value_kind:     hidden_group_size_y
      - .offset:         160
        .size:           2
        .value_kind:     hidden_group_size_z
      - .offset:         162
        .size:           2
        .value_kind:     hidden_remainder_x
      - .offset:         164
        .size:           2
        .value_kind:     hidden_remainder_y
      - .offset:         166
        .size:           2
        .value_kind:     hidden_remainder_z
      - .offset:         184
        .size:           8
        .value_kind:     hidden_global_offset_x
      - .offset:         192
        .size:           8
        .value_kind:     hidden_global_offset_y
      - .offset:         200
        .size:           8
        .value_kind:     hidden_global_offset_z
      - .offset:         208
        .size:           2
        .value_kind:     hidden_grid_dims
      - .offset:         264
        .size:           4
        .value_kind:     hidden_dynamic_lds_size
    .group_segment_fixed_size: 416
    .kernarg_segment_align: 8
    .kernarg_segment_size: 400
    .language:       OpenCL C
    .language_version:
      - 2
      - 0
    .max_flat_workgroup_size: 1024
    .name:           _ZN4vllm25paged_attention_v2_kernelIthLi192ELi16ELi128ELNS_18Fp8KVCacheDataTypeE1ELb1ELi512EEEvPfS2_PT_PKS3_PKT0_S9_ifPKiSB_iPKfiiiSD_SD_iiiii
    .private_segment_fixed_size: 208
    .sgpr_count:     46
    .sgpr_spill_count: 0
    .symbol:         _ZN4vllm25paged_attention_v2_kernelIthLi192ELi16ELi128ELNS_18Fp8KVCacheDataTypeE1ELb1ELi512EEEvPfS2_PT_PKS3_PKT0_S9_ifPKiSB_iPKfiiiSD_SD_iiiii.kd
    .uniform_work_group_size: 1
    .uses_dynamic_stack: false
    .vgpr_count:     184
    .vgpr_spill_count: 0
    .wavefront_size: 32
    .workgroup_processor_mode: 1
  - .args:
      - .address_space:  global
        .offset:         0
        .size:           8
        .value_kind:     global_buffer
      - .address_space:  global
        .offset:         8
        .size:           8
        .value_kind:     global_buffer
      - .address_space:  global
        .offset:         16
        .size:           8
        .value_kind:     global_buffer
      - .address_space:  global
        .offset:         24
        .size:           8
        .value_kind:     global_buffer
      - .address_space:  global
        .offset:         32
        .size:           8
        .value_kind:     global_buffer
      - .address_space:  global
        .offset:         40
        .size:           8
        .value_kind:     global_buffer
      - .offset:         48
        .size:           4
        .value_kind:     by_value
      - .offset:         52
        .size:           4
        .value_kind:     by_value
      - .address_space:  global
        .offset:         56
        .size:           8
        .value_kind:     global_buffer
      - .address_space:  global
        .offset:         64
        .size:           8
        .value_kind:     global_buffer
      - .offset:         72
        .size:           4
        .value_kind:     by_value
      - .address_space:  global
        .offset:         80
        .size:           8
        .value_kind:     global_buffer
      - .offset:         88
        .size:           4
        .value_kind:     by_value
      - .offset:         92
        .size:           4
        .value_kind:     by_value
      - .offset:         96
        .size:           4
        .value_kind:     by_value
      - .address_space:  global
        .offset:         104
        .size:           8
        .value_kind:     global_buffer
      - .address_space:  global
        .offset:         112
        .size:           8
        .value_kind:     global_buffer
      - .offset:         120
        .size:           4
        .value_kind:     by_value
      - .offset:         124
        .size:           4
        .value_kind:     by_value
      - .offset:         128
        .size:           4
        .value_kind:     by_value
      - .offset:         132
        .size:           4
        .value_kind:     by_value
      - .offset:         136
        .size:           4
        .value_kind:     by_value
      - .offset:         144
        .size:           4
        .value_kind:     hidden_block_count_x
      - .offset:         148
        .size:           4
        .value_kind:     hidden_block_count_y
      - .offset:         152
        .size:           4
        .value_kind:     hidden_block_count_z
      - .offset:         156
        .size:           2
        .value_kind:     hidden_group_size_x
      - .offset:         158
        .size:           2
        .value_kind:     hidden_group_size_y
      - .offset:         160
        .size:           2
        .value_kind:     hidden_group_size_z
      - .offset:         162
        .size:           2
        .value_kind:     hidden_remainder_x
      - .offset:         164
        .size:           2
        .value_kind:     hidden_remainder_y
      - .offset:         166
        .size:           2
        .value_kind:     hidden_remainder_z
      - .offset:         184
        .size:           8
        .value_kind:     hidden_global_offset_x
      - .offset:         192
        .size:           8
        .value_kind:     hidden_global_offset_y
      - .offset:         200
        .size:           8
        .value_kind:     hidden_global_offset_z
      - .offset:         208
        .size:           2
        .value_kind:     hidden_grid_dims
      - .offset:         264
        .size:           4
        .value_kind:     hidden_dynamic_lds_size
    .group_segment_fixed_size: 544
    .kernarg_segment_align: 8
    .kernarg_segment_size: 400
    .language:       OpenCL C
    .language_version:
      - 2
      - 0
    .max_flat_workgroup_size: 1024
    .name:           _ZN4vllm25paged_attention_v2_kernelIthLi256ELi16ELi128ELNS_18Fp8KVCacheDataTypeE1ELb1ELi512EEEvPfS2_PT_PKS3_PKT0_S9_ifPKiSB_iPKfiiiSD_SD_iiiii
    .private_segment_fixed_size: 328
    .sgpr_count:     46
    .sgpr_spill_count: 0
    .symbol:         _ZN4vllm25paged_attention_v2_kernelIthLi256ELi16ELi128ELNS_18Fp8KVCacheDataTypeE1ELb1ELi512EEEvPfS2_PT_PKS3_PKT0_S9_ifPKiSB_iPKfiiiSD_SD_iiiii.kd
    .uniform_work_group_size: 1
    .uses_dynamic_stack: false
    .vgpr_count:     191
    .vgpr_spill_count: 0
    .wavefront_size: 32
    .workgroup_processor_mode: 1
  - .args:
      - .actual_access:  write_only
        .address_space:  global
        .offset:         0
        .size:           8
        .value_kind:     global_buffer
      - .actual_access:  write_only
        .address_space:  global
        .offset:         8
        .size:           8
        .value_kind:     global_buffer
      - .actual_access:  write_only
        .address_space:  global
        .offset:         16
        .size:           8
        .value_kind:     global_buffer
      - .actual_access:  read_only
        .address_space:  global
        .offset:         24
        .size:           8
        .value_kind:     global_buffer
      - .actual_access:  read_only
        .address_space:  global
        .offset:         32
        .size:           8
        .value_kind:     global_buffer
      - .actual_access:  read_only
        .address_space:  global
        .offset:         40
        .size:           8
        .value_kind:     global_buffer
      - .offset:         48
        .size:           4
        .value_kind:     by_value
      - .offset:         52
        .size:           4
        .value_kind:     by_value
      - .actual_access:  read_only
        .address_space:  global
        .offset:         56
        .size:           8
        .value_kind:     global_buffer
      - .actual_access:  read_only
        .address_space:  global
        .offset:         64
        .size:           8
        .value_kind:     global_buffer
      - .offset:         72
        .size:           4
        .value_kind:     by_value
      - .actual_access:  read_only
        .address_space:  global
        .offset:         80
        .size:           8
        .value_kind:     global_buffer
      - .offset:         88
        .size:           4
        .value_kind:     by_value
      - .offset:         92
        .size:           4
        .value_kind:     by_value
      - .offset:         96
        .size:           4
        .value_kind:     by_value
      - .address_space:  global
        .offset:         104
        .size:           8
        .value_kind:     global_buffer
      - .address_space:  global
        .offset:         112
        .size:           8
        .value_kind:     global_buffer
      - .offset:         120
        .size:           4
        .value_kind:     by_value
      - .offset:         124
        .size:           4
        .value_kind:     by_value
      - .offset:         128
        .size:           4
        .value_kind:     by_value
      - .offset:         132
        .size:           4
        .value_kind:     by_value
      - .offset:         136
        .size:           4
        .value_kind:     by_value
      - .offset:         144
        .size:           4
        .value_kind:     hidden_block_count_x
      - .offset:         148
        .size:           4
        .value_kind:     hidden_block_count_y
      - .offset:         152
        .size:           4
        .value_kind:     hidden_block_count_z
      - .offset:         156
        .size:           2
        .value_kind:     hidden_group_size_x
      - .offset:         158
        .size:           2
        .value_kind:     hidden_group_size_y
      - .offset:         160
        .size:           2
        .value_kind:     hidden_group_size_z
      - .offset:         162
        .size:           2
        .value_kind:     hidden_remainder_x
      - .offset:         164
        .size:           2
        .value_kind:     hidden_remainder_y
      - .offset:         166
        .size:           2
        .value_kind:     hidden_remainder_z
      - .offset:         184
        .size:           8
        .value_kind:     hidden_global_offset_x
      - .offset:         192
        .size:           8
        .value_kind:     hidden_global_offset_y
      - .offset:         200
        .size:           8
        .value_kind:     hidden_global_offset_z
      - .offset:         208
        .size:           2
        .value_kind:     hidden_grid_dims
      - .offset:         264
        .size:           4
        .value_kind:     hidden_dynamic_lds_size
    .group_segment_fixed_size: 96
    .kernarg_segment_align: 8
    .kernarg_segment_size: 400
    .language:       OpenCL C
    .language_version:
      - 2
      - 0
    .max_flat_workgroup_size: 1024
    .name:           _ZN4vllm25paged_attention_v2_kernelIthLi32ELi16ELi128ELNS_18Fp8KVCacheDataTypeE1ELb0ELi512EEEvPfS2_PT_PKS3_PKT0_S9_ifPKiSB_iPKfiiiSD_SD_iiiii
    .private_segment_fixed_size: 0
    .sgpr_count:     40
    .sgpr_spill_count: 0
    .symbol:         _ZN4vllm25paged_attention_v2_kernelIthLi32ELi16ELi128ELNS_18Fp8KVCacheDataTypeE1ELb0ELi512EEEvPfS2_PT_PKS3_PKT0_S9_ifPKiSB_iPKfiiiSD_SD_iiiii.kd
    .uniform_work_group_size: 1
    .uses_dynamic_stack: false
    .vgpr_count:     50
    .vgpr_spill_count: 0
    .wavefront_size: 32
    .workgroup_processor_mode: 1
  - .args:
      - .actual_access:  write_only
        .address_space:  global
        .offset:         0
        .size:           8
        .value_kind:     global_buffer
      - .actual_access:  write_only
        .address_space:  global
        .offset:         8
        .size:           8
        .value_kind:     global_buffer
      - .actual_access:  write_only
        .address_space:  global
        .offset:         16
        .size:           8
        .value_kind:     global_buffer
      - .actual_access:  read_only
        .address_space:  global
        .offset:         24
        .size:           8
        .value_kind:     global_buffer
      - .actual_access:  read_only
        .address_space:  global
        .offset:         32
        .size:           8
        .value_kind:     global_buffer
      - .actual_access:  read_only
        .address_space:  global
        .offset:         40
        .size:           8
        .value_kind:     global_buffer
      - .offset:         48
        .size:           4
        .value_kind:     by_value
      - .offset:         52
        .size:           4
        .value_kind:     by_value
      - .actual_access:  read_only
        .address_space:  global
        .offset:         56
        .size:           8
        .value_kind:     global_buffer
      - .actual_access:  read_only
        .address_space:  global
        .offset:         64
        .size:           8
        .value_kind:     global_buffer
      - .offset:         72
        .size:           4
        .value_kind:     by_value
      - .actual_access:  read_only
        .address_space:  global
        .offset:         80
        .size:           8
        .value_kind:     global_buffer
      - .offset:         88
        .size:           4
        .value_kind:     by_value
      - .offset:         92
        .size:           4
        .value_kind:     by_value
      - .offset:         96
        .size:           4
        .value_kind:     by_value
      - .address_space:  global
        .offset:         104
        .size:           8
        .value_kind:     global_buffer
      - .address_space:  global
        .offset:         112
        .size:           8
        .value_kind:     global_buffer
      - .offset:         120
        .size:           4
        .value_kind:     by_value
      - .offset:         124
        .size:           4
        .value_kind:     by_value
      - .offset:         128
        .size:           4
        .value_kind:     by_value
      - .offset:         132
        .size:           4
        .value_kind:     by_value
      - .offset:         136
        .size:           4
        .value_kind:     by_value
      - .offset:         144
        .size:           4
        .value_kind:     hidden_block_count_x
      - .offset:         148
        .size:           4
        .value_kind:     hidden_block_count_y
      - .offset:         152
        .size:           4
        .value_kind:     hidden_block_count_z
      - .offset:         156
        .size:           2
        .value_kind:     hidden_group_size_x
      - .offset:         158
        .size:           2
        .value_kind:     hidden_group_size_y
      - .offset:         160
        .size:           2
        .value_kind:     hidden_group_size_z
      - .offset:         162
        .size:           2
        .value_kind:     hidden_remainder_x
      - .offset:         164
        .size:           2
        .value_kind:     hidden_remainder_y
      - .offset:         166
        .size:           2
        .value_kind:     hidden_remainder_z
      - .offset:         184
        .size:           8
        .value_kind:     hidden_global_offset_x
      - .offset:         192
        .size:           8
        .value_kind:     hidden_global_offset_y
      - .offset:         200
        .size:           8
        .value_kind:     hidden_global_offset_z
      - .offset:         208
        .size:           2
        .value_kind:     hidden_grid_dims
      - .offset:         264
        .size:           4
        .value_kind:     hidden_dynamic_lds_size
    .group_segment_fixed_size: 160
    .kernarg_segment_align: 8
    .kernarg_segment_size: 400
    .language:       OpenCL C
    .language_version:
      - 2
      - 0
    .max_flat_workgroup_size: 1024
    .name:           _ZN4vllm25paged_attention_v2_kernelIthLi64ELi16ELi128ELNS_18Fp8KVCacheDataTypeE1ELb0ELi512EEEvPfS2_PT_PKS3_PKT0_S9_ifPKiSB_iPKfiiiSD_SD_iiiii
    .private_segment_fixed_size: 0
    .sgpr_count:     38
    .sgpr_spill_count: 0
    .symbol:         _ZN4vllm25paged_attention_v2_kernelIthLi64ELi16ELi128ELNS_18Fp8KVCacheDataTypeE1ELb0ELi512EEEvPfS2_PT_PKS3_PKT0_S9_ifPKiSB_iPKfiiiSD_SD_iiiii.kd
    .uniform_work_group_size: 1
    .uses_dynamic_stack: false
    .vgpr_count:     79
    .vgpr_spill_count: 0
    .wavefront_size: 32
    .workgroup_processor_mode: 1
  - .args:
      - .actual_access:  write_only
        .address_space:  global
        .offset:         0
        .size:           8
        .value_kind:     global_buffer
      - .actual_access:  write_only
        .address_space:  global
        .offset:         8
        .size:           8
        .value_kind:     global_buffer
      - .actual_access:  write_only
        .address_space:  global
        .offset:         16
        .size:           8
        .value_kind:     global_buffer
      - .actual_access:  read_only
        .address_space:  global
        .offset:         24
        .size:           8
        .value_kind:     global_buffer
      - .actual_access:  read_only
        .address_space:  global
        .offset:         32
        .size:           8
        .value_kind:     global_buffer
      - .actual_access:  read_only
        .address_space:  global
        .offset:         40
        .size:           8
        .value_kind:     global_buffer
      - .offset:         48
        .size:           4
        .value_kind:     by_value
      - .offset:         52
        .size:           4
        .value_kind:     by_value
      - .actual_access:  read_only
        .address_space:  global
        .offset:         56
        .size:           8
        .value_kind:     global_buffer
      - .actual_access:  read_only
        .address_space:  global
        .offset:         64
        .size:           8
        .value_kind:     global_buffer
      - .offset:         72
        .size:           4
        .value_kind:     by_value
      - .actual_access:  read_only
        .address_space:  global
        .offset:         80
        .size:           8
        .value_kind:     global_buffer
      - .offset:         88
        .size:           4
        .value_kind:     by_value
      - .offset:         92
        .size:           4
        .value_kind:     by_value
      - .offset:         96
        .size:           4
        .value_kind:     by_value
      - .address_space:  global
        .offset:         104
        .size:           8
        .value_kind:     global_buffer
      - .address_space:  global
        .offset:         112
        .size:           8
        .value_kind:     global_buffer
      - .offset:         120
        .size:           4
        .value_kind:     by_value
      - .offset:         124
        .size:           4
        .value_kind:     by_value
      - .offset:         128
        .size:           4
        .value_kind:     by_value
      - .offset:         132
        .size:           4
        .value_kind:     by_value
      - .offset:         136
        .size:           4
        .value_kind:     by_value
      - .offset:         144
        .size:           4
        .value_kind:     hidden_block_count_x
      - .offset:         148
        .size:           4
        .value_kind:     hidden_block_count_y
      - .offset:         152
        .size:           4
        .value_kind:     hidden_block_count_z
      - .offset:         156
        .size:           2
        .value_kind:     hidden_group_size_x
      - .offset:         158
        .size:           2
        .value_kind:     hidden_group_size_y
      - .offset:         160
        .size:           2
        .value_kind:     hidden_group_size_z
      - .offset:         162
        .size:           2
        .value_kind:     hidden_remainder_x
      - .offset:         164
        .size:           2
        .value_kind:     hidden_remainder_y
      - .offset:         166
        .size:           2
        .value_kind:     hidden_remainder_z
      - .offset:         184
        .size:           8
        .value_kind:     hidden_global_offset_x
      - .offset:         192
        .size:           8
        .value_kind:     hidden_global_offset_y
      - .offset:         200
        .size:           8
        .value_kind:     hidden_global_offset_z
      - .offset:         208
        .size:           2
        .value_kind:     hidden_grid_dims
      - .offset:         264
        .size:           4
        .value_kind:     hidden_dynamic_lds_size
    .group_segment_fixed_size: 192
    .kernarg_segment_align: 8
    .kernarg_segment_size: 400
    .language:       OpenCL C
    .language_version:
      - 2
      - 0
    .max_flat_workgroup_size: 1024
    .name:           _ZN4vllm25paged_attention_v2_kernelIthLi80ELi16ELi128ELNS_18Fp8KVCacheDataTypeE1ELb0ELi512EEEvPfS2_PT_PKS3_PKT0_S9_ifPKiSB_iPKfiiiSD_SD_iiiii
    .private_segment_fixed_size: 0
    .sgpr_count:     38
    .sgpr_spill_count: 0
    .symbol:         _ZN4vllm25paged_attention_v2_kernelIthLi80ELi16ELi128ELNS_18Fp8KVCacheDataTypeE1ELb0ELi512EEEvPfS2_PT_PKS3_PKT0_S9_ifPKiSB_iPKfiiiSD_SD_iiiii.kd
    .uniform_work_group_size: 1
    .uses_dynamic_stack: false
    .vgpr_count:     94
    .vgpr_spill_count: 0
    .wavefront_size: 32
    .workgroup_processor_mode: 1
  - .args:
      - .actual_access:  write_only
        .address_space:  global
        .offset:         0
        .size:           8
        .value_kind:     global_buffer
      - .actual_access:  write_only
        .address_space:  global
        .offset:         8
        .size:           8
        .value_kind:     global_buffer
      - .actual_access:  write_only
        .address_space:  global
        .offset:         16
        .size:           8
        .value_kind:     global_buffer
      - .actual_access:  read_only
        .address_space:  global
        .offset:         24
        .size:           8
        .value_kind:     global_buffer
      - .actual_access:  read_only
        .address_space:  global
        .offset:         32
        .size:           8
        .value_kind:     global_buffer
      - .actual_access:  read_only
        .address_space:  global
        .offset:         40
        .size:           8
        .value_kind:     global_buffer
      - .offset:         48
        .size:           4
        .value_kind:     by_value
      - .offset:         52
        .size:           4
        .value_kind:     by_value
      - .actual_access:  read_only
        .address_space:  global
        .offset:         56
        .size:           8
        .value_kind:     global_buffer
      - .actual_access:  read_only
        .address_space:  global
        .offset:         64
        .size:           8
        .value_kind:     global_buffer
      - .offset:         72
        .size:           4
        .value_kind:     by_value
      - .actual_access:  read_only
        .address_space:  global
        .offset:         80
        .size:           8
        .value_kind:     global_buffer
      - .offset:         88
        .size:           4
        .value_kind:     by_value
      - .offset:         92
        .size:           4
        .value_kind:     by_value
      - .offset:         96
        .size:           4
        .value_kind:     by_value
      - .address_space:  global
        .offset:         104
        .size:           8
        .value_kind:     global_buffer
      - .address_space:  global
        .offset:         112
        .size:           8
        .value_kind:     global_buffer
      - .offset:         120
        .size:           4
        .value_kind:     by_value
      - .offset:         124
        .size:           4
        .value_kind:     by_value
      - .offset:         128
        .size:           4
        .value_kind:     by_value
      - .offset:         132
        .size:           4
        .value_kind:     by_value
      - .offset:         136
        .size:           4
        .value_kind:     by_value
      - .offset:         144
        .size:           4
        .value_kind:     hidden_block_count_x
      - .offset:         148
        .size:           4
        .value_kind:     hidden_block_count_y
      - .offset:         152
        .size:           4
        .value_kind:     hidden_block_count_z
      - .offset:         156
        .size:           2
        .value_kind:     hidden_group_size_x
      - .offset:         158
        .size:           2
        .value_kind:     hidden_group_size_y
      - .offset:         160
        .size:           2
        .value_kind:     hidden_group_size_z
      - .offset:         162
        .size:           2
        .value_kind:     hidden_remainder_x
      - .offset:         164
        .size:           2
        .value_kind:     hidden_remainder_y
      - .offset:         166
        .size:           2
        .value_kind:     hidden_remainder_z
      - .offset:         184
        .size:           8
        .value_kind:     hidden_global_offset_x
      - .offset:         192
        .size:           8
        .value_kind:     hidden_global_offset_y
      - .offset:         200
        .size:           8
        .value_kind:     hidden_global_offset_z
      - .offset:         208
        .size:           2
        .value_kind:     hidden_grid_dims
      - .offset:         264
        .size:           4
        .value_kind:     hidden_dynamic_lds_size
    .group_segment_fixed_size: 224
    .kernarg_segment_align: 8
    .kernarg_segment_size: 400
    .language:       OpenCL C
    .language_version:
      - 2
      - 0
    .max_flat_workgroup_size: 1024
    .name:           _ZN4vllm25paged_attention_v2_kernelIthLi96ELi16ELi128ELNS_18Fp8KVCacheDataTypeE1ELb0ELi512EEEvPfS2_PT_PKS3_PKT0_S9_ifPKiSB_iPKfiiiSD_SD_iiiii
    .private_segment_fixed_size: 0
    .sgpr_count:     38
    .sgpr_spill_count: 0
    .symbol:         _ZN4vllm25paged_attention_v2_kernelIthLi96ELi16ELi128ELNS_18Fp8KVCacheDataTypeE1ELb0ELi512EEEvPfS2_PT_PKS3_PKT0_S9_ifPKiSB_iPKfiiiSD_SD_iiiii.kd
    .uniform_work_group_size: 1
    .uses_dynamic_stack: false
    .vgpr_count:     107
    .vgpr_spill_count: 0
    .wavefront_size: 32
    .workgroup_processor_mode: 1
  - .args:
      - .actual_access:  write_only
        .address_space:  global
        .offset:         0
        .size:           8
        .value_kind:     global_buffer
      - .actual_access:  write_only
        .address_space:  global
        .offset:         8
        .size:           8
        .value_kind:     global_buffer
      - .actual_access:  write_only
        .address_space:  global
        .offset:         16
        .size:           8
        .value_kind:     global_buffer
      - .actual_access:  read_only
        .address_space:  global
        .offset:         24
        .size:           8
        .value_kind:     global_buffer
      - .actual_access:  read_only
        .address_space:  global
        .offset:         32
        .size:           8
        .value_kind:     global_buffer
      - .actual_access:  read_only
        .address_space:  global
        .offset:         40
        .size:           8
        .value_kind:     global_buffer
      - .offset:         48
        .size:           4
        .value_kind:     by_value
      - .offset:         52
        .size:           4
        .value_kind:     by_value
      - .actual_access:  read_only
        .address_space:  global
        .offset:         56
        .size:           8
        .value_kind:     global_buffer
      - .actual_access:  read_only
        .address_space:  global
        .offset:         64
        .size:           8
        .value_kind:     global_buffer
      - .offset:         72
        .size:           4
        .value_kind:     by_value
      - .actual_access:  read_only
        .address_space:  global
        .offset:         80
        .size:           8
        .value_kind:     global_buffer
      - .offset:         88
        .size:           4
        .value_kind:     by_value
      - .offset:         92
        .size:           4
        .value_kind:     by_value
      - .offset:         96
        .size:           4
        .value_kind:     by_value
      - .address_space:  global
        .offset:         104
        .size:           8
        .value_kind:     global_buffer
      - .address_space:  global
        .offset:         112
        .size:           8
        .value_kind:     global_buffer
      - .offset:         120
        .size:           4
        .value_kind:     by_value
      - .offset:         124
        .size:           4
        .value_kind:     by_value
      - .offset:         128
        .size:           4
        .value_kind:     by_value
      - .offset:         132
        .size:           4
        .value_kind:     by_value
      - .offset:         136
        .size:           4
        .value_kind:     by_value
      - .offset:         144
        .size:           4
        .value_kind:     hidden_block_count_x
      - .offset:         148
        .size:           4
        .value_kind:     hidden_block_count_y
      - .offset:         152
        .size:           4
        .value_kind:     hidden_block_count_z
      - .offset:         156
        .size:           2
        .value_kind:     hidden_group_size_x
      - .offset:         158
        .size:           2
        .value_kind:     hidden_group_size_y
      - .offset:         160
        .size:           2
        .value_kind:     hidden_group_size_z
      - .offset:         162
        .size:           2
        .value_kind:     hidden_remainder_x
      - .offset:         164
        .size:           2
        .value_kind:     hidden_remainder_y
      - .offset:         166
        .size:           2
        .value_kind:     hidden_remainder_z
      - .offset:         184
        .size:           8
        .value_kind:     hidden_global_offset_x
      - .offset:         192
        .size:           8
        .value_kind:     hidden_global_offset_y
      - .offset:         200
        .size:           8
        .value_kind:     hidden_global_offset_z
      - .offset:         208
        .size:           2
        .value_kind:     hidden_grid_dims
      - .offset:         264
        .size:           4
        .value_kind:     hidden_dynamic_lds_size
    .group_segment_fixed_size: 256
    .kernarg_segment_align: 8
    .kernarg_segment_size: 400
    .language:       OpenCL C
    .language_version:
      - 2
      - 0
    .max_flat_workgroup_size: 1024
    .name:           _ZN4vllm25paged_attention_v2_kernelIthLi112ELi16ELi128ELNS_18Fp8KVCacheDataTypeE1ELb0ELi512EEEvPfS2_PT_PKS3_PKT0_S9_ifPKiSB_iPKfiiiSD_SD_iiiii
    .private_segment_fixed_size: 0
    .sgpr_count:     38
    .sgpr_spill_count: 0
    .symbol:         _ZN4vllm25paged_attention_v2_kernelIthLi112ELi16ELi128ELNS_18Fp8KVCacheDataTypeE1ELb0ELi512EEEvPfS2_PT_PKS3_PKT0_S9_ifPKiSB_iPKfiiiSD_SD_iiiii.kd
    .uniform_work_group_size: 1
    .uses_dynamic_stack: false
    .vgpr_count:     122
    .vgpr_spill_count: 0
    .wavefront_size: 32
    .workgroup_processor_mode: 1
  - .args:
      - .actual_access:  write_only
        .address_space:  global
        .offset:         0
        .size:           8
        .value_kind:     global_buffer
      - .actual_access:  write_only
        .address_space:  global
        .offset:         8
        .size:           8
        .value_kind:     global_buffer
      - .actual_access:  write_only
        .address_space:  global
        .offset:         16
        .size:           8
        .value_kind:     global_buffer
      - .actual_access:  read_only
        .address_space:  global
        .offset:         24
        .size:           8
        .value_kind:     global_buffer
      - .actual_access:  read_only
        .address_space:  global
        .offset:         32
        .size:           8
        .value_kind:     global_buffer
      - .actual_access:  read_only
        .address_space:  global
        .offset:         40
        .size:           8
        .value_kind:     global_buffer
      - .offset:         48
        .size:           4
        .value_kind:     by_value
      - .offset:         52
        .size:           4
        .value_kind:     by_value
      - .actual_access:  read_only
        .address_space:  global
        .offset:         56
        .size:           8
        .value_kind:     global_buffer
      - .actual_access:  read_only
        .address_space:  global
        .offset:         64
        .size:           8
        .value_kind:     global_buffer
      - .offset:         72
        .size:           4
        .value_kind:     by_value
      - .actual_access:  read_only
        .address_space:  global
        .offset:         80
        .size:           8
        .value_kind:     global_buffer
      - .offset:         88
        .size:           4
        .value_kind:     by_value
      - .offset:         92
        .size:           4
        .value_kind:     by_value
      - .offset:         96
        .size:           4
        .value_kind:     by_value
      - .address_space:  global
        .offset:         104
        .size:           8
        .value_kind:     global_buffer
      - .address_space:  global
        .offset:         112
        .size:           8
        .value_kind:     global_buffer
      - .offset:         120
        .size:           4
        .value_kind:     by_value
      - .offset:         124
        .size:           4
        .value_kind:     by_value
      - .offset:         128
        .size:           4
        .value_kind:     by_value
      - .offset:         132
        .size:           4
        .value_kind:     by_value
      - .offset:         136
        .size:           4
        .value_kind:     by_value
      - .offset:         144
        .size:           4
        .value_kind:     hidden_block_count_x
      - .offset:         148
        .size:           4
        .value_kind:     hidden_block_count_y
      - .offset:         152
        .size:           4
        .value_kind:     hidden_block_count_z
      - .offset:         156
        .size:           2
        .value_kind:     hidden_group_size_x
      - .offset:         158
        .size:           2
        .value_kind:     hidden_group_size_y
      - .offset:         160
        .size:           2
        .value_kind:     hidden_group_size_z
      - .offset:         162
        .size:           2
        .value_kind:     hidden_remainder_x
      - .offset:         164
        .size:           2
        .value_kind:     hidden_remainder_y
      - .offset:         166
        .size:           2
        .value_kind:     hidden_remainder_z
      - .offset:         184
        .size:           8
        .value_kind:     hidden_global_offset_x
      - .offset:         192
        .size:           8
        .value_kind:     hidden_global_offset_y
      - .offset:         200
        .size:           8
        .value_kind:     hidden_global_offset_z
      - .offset:         208
        .size:           2
        .value_kind:     hidden_grid_dims
      - .offset:         264
        .size:           4
        .value_kind:     hidden_dynamic_lds_size
    .group_segment_fixed_size: 272
    .kernarg_segment_align: 8
    .kernarg_segment_size: 400
    .language:       OpenCL C
    .language_version:
      - 2
      - 0
    .max_flat_workgroup_size: 1024
    .name:           _ZN4vllm25paged_attention_v2_kernelIthLi120ELi16ELi128ELNS_18Fp8KVCacheDataTypeE1ELb0ELi512EEEvPfS2_PT_PKS3_PKT0_S9_ifPKiSB_iPKfiiiSD_SD_iiiii
    .private_segment_fixed_size: 0
    .sgpr_count:     38
    .sgpr_spill_count: 0
    .symbol:         _ZN4vllm25paged_attention_v2_kernelIthLi120ELi16ELi128ELNS_18Fp8KVCacheDataTypeE1ELb0ELi512EEEvPfS2_PT_PKS3_PKT0_S9_ifPKiSB_iPKfiiiSD_SD_iiiii.kd
    .uniform_work_group_size: 1
    .uses_dynamic_stack: false
    .vgpr_count:     130
    .vgpr_spill_count: 0
    .wavefront_size: 32
    .workgroup_processor_mode: 1
  - .args:
      - .actual_access:  write_only
        .address_space:  global
        .offset:         0
        .size:           8
        .value_kind:     global_buffer
      - .actual_access:  write_only
        .address_space:  global
        .offset:         8
        .size:           8
        .value_kind:     global_buffer
      - .actual_access:  write_only
        .address_space:  global
        .offset:         16
        .size:           8
        .value_kind:     global_buffer
      - .actual_access:  read_only
        .address_space:  global
        .offset:         24
        .size:           8
        .value_kind:     global_buffer
      - .actual_access:  read_only
        .address_space:  global
        .offset:         32
        .size:           8
        .value_kind:     global_buffer
      - .actual_access:  read_only
        .address_space:  global
        .offset:         40
        .size:           8
        .value_kind:     global_buffer
      - .offset:         48
        .size:           4
        .value_kind:     by_value
      - .offset:         52
        .size:           4
        .value_kind:     by_value
      - .actual_access:  read_only
        .address_space:  global
        .offset:         56
        .size:           8
        .value_kind:     global_buffer
      - .actual_access:  read_only
        .address_space:  global
        .offset:         64
        .size:           8
        .value_kind:     global_buffer
      - .offset:         72
        .size:           4
        .value_kind:     by_value
      - .actual_access:  read_only
        .address_space:  global
        .offset:         80
        .size:           8
        .value_kind:     global_buffer
      - .offset:         88
        .size:           4
        .value_kind:     by_value
      - .offset:         92
        .size:           4
        .value_kind:     by_value
      - .offset:         96
        .size:           4
        .value_kind:     by_value
      - .address_space:  global
        .offset:         104
        .size:           8
        .value_kind:     global_buffer
      - .address_space:  global
        .offset:         112
        .size:           8
        .value_kind:     global_buffer
      - .offset:         120
        .size:           4
        .value_kind:     by_value
      - .offset:         124
        .size:           4
        .value_kind:     by_value
      - .offset:         128
        .size:           4
        .value_kind:     by_value
      - .offset:         132
        .size:           4
        .value_kind:     by_value
      - .offset:         136
        .size:           4
        .value_kind:     by_value
      - .offset:         144
        .size:           4
        .value_kind:     hidden_block_count_x
      - .offset:         148
        .size:           4
        .value_kind:     hidden_block_count_y
      - .offset:         152
        .size:           4
        .value_kind:     hidden_block_count_z
      - .offset:         156
        .size:           2
        .value_kind:     hidden_group_size_x
      - .offset:         158
        .size:           2
        .value_kind:     hidden_group_size_y
      - .offset:         160
        .size:           2
        .value_kind:     hidden_group_size_z
      - .offset:         162
        .size:           2
        .value_kind:     hidden_remainder_x
      - .offset:         164
        .size:           2
        .value_kind:     hidden_remainder_y
      - .offset:         166
        .size:           2
        .value_kind:     hidden_remainder_z
      - .offset:         184
        .size:           8
        .value_kind:     hidden_global_offset_x
      - .offset:         192
        .size:           8
        .value_kind:     hidden_global_offset_y
      - .offset:         200
        .size:           8
        .value_kind:     hidden_global_offset_z
      - .offset:         208
        .size:           2
        .value_kind:     hidden_grid_dims
      - .offset:         264
        .size:           4
        .value_kind:     hidden_dynamic_lds_size
    .group_segment_fixed_size: 288
    .kernarg_segment_align: 8
    .kernarg_segment_size: 400
    .language:       OpenCL C
    .language_version:
      - 2
      - 0
    .max_flat_workgroup_size: 1024
    .name:           _ZN4vllm25paged_attention_v2_kernelIthLi128ELi16ELi128ELNS_18Fp8KVCacheDataTypeE1ELb0ELi512EEEvPfS2_PT_PKS3_PKT0_S9_ifPKiSB_iPKfiiiSD_SD_iiiii
    .private_segment_fixed_size: 0
    .sgpr_count:     40
    .sgpr_spill_count: 0
    .symbol:         _ZN4vllm25paged_attention_v2_kernelIthLi128ELi16ELi128ELNS_18Fp8KVCacheDataTypeE1ELb0ELi512EEEvPfS2_PT_PKS3_PKT0_S9_ifPKiSB_iPKfiiiSD_SD_iiiii.kd
    .uniform_work_group_size: 1
    .uses_dynamic_stack: false
    .vgpr_count:     135
    .vgpr_spill_count: 0
    .wavefront_size: 32
    .workgroup_processor_mode: 1
  - .args:
      - .address_space:  global
        .offset:         0
        .size:           8
        .value_kind:     global_buffer
      - .address_space:  global
        .offset:         8
        .size:           8
        .value_kind:     global_buffer
      - .address_space:  global
        .offset:         16
        .size:           8
        .value_kind:     global_buffer
      - .address_space:  global
        .offset:         24
        .size:           8
        .value_kind:     global_buffer
      - .address_space:  global
        .offset:         32
        .size:           8
        .value_kind:     global_buffer
      - .address_space:  global
        .offset:         40
        .size:           8
        .value_kind:     global_buffer
      - .offset:         48
        .size:           4
        .value_kind:     by_value
      - .offset:         52
        .size:           4
        .value_kind:     by_value
      - .address_space:  global
        .offset:         56
        .size:           8
        .value_kind:     global_buffer
      - .address_space:  global
        .offset:         64
        .size:           8
        .value_kind:     global_buffer
      - .offset:         72
        .size:           4
        .value_kind:     by_value
      - .address_space:  global
        .offset:         80
        .size:           8
        .value_kind:     global_buffer
      - .offset:         88
        .size:           4
        .value_kind:     by_value
      - .offset:         92
        .size:           4
        .value_kind:     by_value
      - .offset:         96
        .size:           4
        .value_kind:     by_value
      - .address_space:  global
        .offset:         104
        .size:           8
        .value_kind:     global_buffer
      - .address_space:  global
        .offset:         112
        .size:           8
        .value_kind:     global_buffer
      - .offset:         120
        .size:           4
        .value_kind:     by_value
      - .offset:         124
        .size:           4
        .value_kind:     by_value
      - .offset:         128
        .size:           4
        .value_kind:     by_value
      - .offset:         132
        .size:           4
        .value_kind:     by_value
      - .offset:         136
        .size:           4
        .value_kind:     by_value
      - .offset:         144
        .size:           4
        .value_kind:     hidden_block_count_x
      - .offset:         148
        .size:           4
        .value_kind:     hidden_block_count_y
      - .offset:         152
        .size:           4
        .value_kind:     hidden_block_count_z
      - .offset:         156
        .size:           2
        .value_kind:     hidden_group_size_x
      - .offset:         158
        .size:           2
        .value_kind:     hidden_group_size_y
      - .offset:         160
        .size:           2
        .value_kind:     hidden_group_size_z
      - .offset:         162
        .size:           2
        .value_kind:     hidden_remainder_x
      - .offset:         164
        .size:           2
        .value_kind:     hidden_remainder_y
      - .offset:         166
        .size:           2
        .value_kind:     hidden_remainder_z
      - .offset:         184
        .size:           8
        .value_kind:     hidden_global_offset_x
      - .offset:         192
        .size:           8
        .value_kind:     hidden_global_offset_y
      - .offset:         200
        .size:           8
        .value_kind:     hidden_global_offset_z
      - .offset:         208
        .size:           2
        .value_kind:     hidden_grid_dims
      - .offset:         264
        .size:           4
        .value_kind:     hidden_dynamic_lds_size
    .group_segment_fixed_size: 416
    .kernarg_segment_align: 8
    .kernarg_segment_size: 400
    .language:       OpenCL C
    .language_version:
      - 2
      - 0
    .max_flat_workgroup_size: 1024
    .name:           _ZN4vllm25paged_attention_v2_kernelIthLi192ELi16ELi128ELNS_18Fp8KVCacheDataTypeE1ELb0ELi512EEEvPfS2_PT_PKS3_PKT0_S9_ifPKiSB_iPKfiiiSD_SD_iiiii
    .private_segment_fixed_size: 156
    .sgpr_count:     41
    .sgpr_spill_count: 0
    .symbol:         _ZN4vllm25paged_attention_v2_kernelIthLi192ELi16ELi128ELNS_18Fp8KVCacheDataTypeE1ELb0ELi512EEEvPfS2_PT_PKS3_PKT0_S9_ifPKiSB_iPKfiiiSD_SD_iiiii.kd
    .uniform_work_group_size: 1
    .uses_dynamic_stack: false
    .vgpr_count:     184
    .vgpr_spill_count: 0
    .wavefront_size: 32
    .workgroup_processor_mode: 1
  - .args:
      - .address_space:  global
        .offset:         0
        .size:           8
        .value_kind:     global_buffer
      - .address_space:  global
        .offset:         8
        .size:           8
        .value_kind:     global_buffer
      - .address_space:  global
        .offset:         16
        .size:           8
        .value_kind:     global_buffer
      - .address_space:  global
        .offset:         24
        .size:           8
        .value_kind:     global_buffer
      - .address_space:  global
        .offset:         32
        .size:           8
        .value_kind:     global_buffer
      - .address_space:  global
        .offset:         40
        .size:           8
        .value_kind:     global_buffer
      - .offset:         48
        .size:           4
        .value_kind:     by_value
      - .offset:         52
        .size:           4
        .value_kind:     by_value
      - .address_space:  global
        .offset:         56
        .size:           8
        .value_kind:     global_buffer
      - .address_space:  global
        .offset:         64
        .size:           8
        .value_kind:     global_buffer
      - .offset:         72
        .size:           4
        .value_kind:     by_value
      - .address_space:  global
        .offset:         80
        .size:           8
        .value_kind:     global_buffer
      - .offset:         88
        .size:           4
        .value_kind:     by_value
      - .offset:         92
        .size:           4
        .value_kind:     by_value
      - .offset:         96
        .size:           4
        .value_kind:     by_value
      - .address_space:  global
        .offset:         104
        .size:           8
        .value_kind:     global_buffer
      - .address_space:  global
        .offset:         112
        .size:           8
        .value_kind:     global_buffer
      - .offset:         120
        .size:           4
        .value_kind:     by_value
      - .offset:         124
        .size:           4
        .value_kind:     by_value
      - .offset:         128
        .size:           4
        .value_kind:     by_value
      - .offset:         132
        .size:           4
        .value_kind:     by_value
      - .offset:         136
        .size:           4
        .value_kind:     by_value
      - .offset:         144
        .size:           4
        .value_kind:     hidden_block_count_x
      - .offset:         148
        .size:           4
        .value_kind:     hidden_block_count_y
      - .offset:         152
        .size:           4
        .value_kind:     hidden_block_count_z
      - .offset:         156
        .size:           2
        .value_kind:     hidden_group_size_x
      - .offset:         158
        .size:           2
        .value_kind:     hidden_group_size_y
      - .offset:         160
        .size:           2
        .value_kind:     hidden_group_size_z
      - .offset:         162
        .size:           2
        .value_kind:     hidden_remainder_x
      - .offset:         164
        .size:           2
        .value_kind:     hidden_remainder_y
      - .offset:         166
        .size:           2
        .value_kind:     hidden_remainder_z
      - .offset:         184
        .size:           8
        .value_kind:     hidden_global_offset_x
      - .offset:         192
        .size:           8
        .value_kind:     hidden_global_offset_y
      - .offset:         200
        .size:           8
        .value_kind:     hidden_global_offset_z
      - .offset:         208
        .size:           2
        .value_kind:     hidden_grid_dims
      - .offset:         264
        .size:           4
        .value_kind:     hidden_dynamic_lds_size
    .group_segment_fixed_size: 544
    .kernarg_segment_align: 8
    .kernarg_segment_size: 400
    .language:       OpenCL C
    .language_version:
      - 2
      - 0
    .max_flat_workgroup_size: 1024
    .name:           _ZN4vllm25paged_attention_v2_kernelIthLi256ELi16ELi128ELNS_18Fp8KVCacheDataTypeE1ELb0ELi512EEEvPfS2_PT_PKS3_PKT0_S9_ifPKiSB_iPKfiiiSD_SD_iiiii
    .private_segment_fixed_size: 276
    .sgpr_count:     41
    .sgpr_spill_count: 0
    .symbol:         _ZN4vllm25paged_attention_v2_kernelIthLi256ELi16ELi128ELNS_18Fp8KVCacheDataTypeE1ELb0ELi512EEEvPfS2_PT_PKS3_PKT0_S9_ifPKiSB_iPKfiiiSD_SD_iiiii.kd
    .uniform_work_group_size: 1
    .uses_dynamic_stack: false
    .vgpr_count:     184
    .vgpr_spill_count: 0
    .wavefront_size: 32
    .workgroup_processor_mode: 1
  - .args:
      - .actual_access:  write_only
        .address_space:  global
        .offset:         0
        .size:           8
        .value_kind:     global_buffer
      - .actual_access:  write_only
        .address_space:  global
        .offset:         8
        .size:           8
        .value_kind:     global_buffer
      - .actual_access:  write_only
        .address_space:  global
        .offset:         16
        .size:           8
        .value_kind:     global_buffer
      - .actual_access:  read_only
        .address_space:  global
        .offset:         24
        .size:           8
        .value_kind:     global_buffer
      - .actual_access:  read_only
        .address_space:  global
        .offset:         32
        .size:           8
        .value_kind:     global_buffer
      - .actual_access:  read_only
        .address_space:  global
        .offset:         40
        .size:           8
        .value_kind:     global_buffer
      - .offset:         48
        .size:           4
        .value_kind:     by_value
      - .offset:         52
        .size:           4
        .value_kind:     by_value
      - .actual_access:  read_only
        .address_space:  global
        .offset:         56
        .size:           8
        .value_kind:     global_buffer
      - .actual_access:  read_only
        .address_space:  global
        .offset:         64
        .size:           8
        .value_kind:     global_buffer
      - .offset:         72
        .size:           4
        .value_kind:     by_value
      - .actual_access:  read_only
        .address_space:  global
        .offset:         80
        .size:           8
        .value_kind:     global_buffer
      - .offset:         88
        .size:           4
        .value_kind:     by_value
      - .offset:         92
        .size:           4
        .value_kind:     by_value
      - .offset:         96
        .size:           4
        .value_kind:     by_value
      - .address_space:  global
        .offset:         104
        .size:           8
        .value_kind:     global_buffer
      - .address_space:  global
        .offset:         112
        .size:           8
        .value_kind:     global_buffer
      - .offset:         120
        .size:           4
        .value_kind:     by_value
      - .offset:         124
        .size:           4
        .value_kind:     by_value
      - .offset:         128
        .size:           4
        .value_kind:     by_value
      - .offset:         132
        .size:           4
        .value_kind:     by_value
      - .offset:         136
        .size:           4
        .value_kind:     by_value
      - .offset:         144
        .size:           4
        .value_kind:     hidden_block_count_x
      - .offset:         148
        .size:           4
        .value_kind:     hidden_block_count_y
      - .offset:         152
        .size:           4
        .value_kind:     hidden_block_count_z
      - .offset:         156
        .size:           2
        .value_kind:     hidden_group_size_x
      - .offset:         158
        .size:           2
        .value_kind:     hidden_group_size_y
      - .offset:         160
        .size:           2
        .value_kind:     hidden_group_size_z
      - .offset:         162
        .size:           2
        .value_kind:     hidden_remainder_x
      - .offset:         164
        .size:           2
        .value_kind:     hidden_remainder_y
      - .offset:         166
        .size:           2
        .value_kind:     hidden_remainder_z
      - .offset:         184
        .size:           8
        .value_kind:     hidden_global_offset_x
      - .offset:         192
        .size:           8
        .value_kind:     hidden_global_offset_y
      - .offset:         200
        .size:           8
        .value_kind:     hidden_global_offset_z
      - .offset:         208
        .size:           2
        .value_kind:     hidden_grid_dims
      - .offset:         264
        .size:           4
        .value_kind:     hidden_dynamic_lds_size
    .group_segment_fixed_size: 96
    .kernarg_segment_align: 8
    .kernarg_segment_size: 400
    .language:       OpenCL C
    .language_version:
      - 2
      - 0
    .max_flat_workgroup_size: 1024
    .name:           _ZN4vllm25paged_attention_v2_kernelIthLi32ELi32ELi128ELNS_18Fp8KVCacheDataTypeE1ELb1ELi512EEEvPfS2_PT_PKS3_PKT0_S9_ifPKiSB_iPKfiiiSD_SD_iiiii
    .private_segment_fixed_size: 0
    .sgpr_count:     49
    .sgpr_spill_count: 0
    .symbol:         _ZN4vllm25paged_attention_v2_kernelIthLi32ELi32ELi128ELNS_18Fp8KVCacheDataTypeE1ELb1ELi512EEEvPfS2_PT_PKS3_PKT0_S9_ifPKiSB_iPKfiiiSD_SD_iiiii.kd
    .uniform_work_group_size: 1
    .uses_dynamic_stack: false
    .vgpr_count:     74
    .vgpr_spill_count: 0
    .wavefront_size: 32
    .workgroup_processor_mode: 1
  - .args:
      - .actual_access:  write_only
        .address_space:  global
        .offset:         0
        .size:           8
        .value_kind:     global_buffer
      - .actual_access:  write_only
        .address_space:  global
        .offset:         8
        .size:           8
        .value_kind:     global_buffer
      - .actual_access:  write_only
        .address_space:  global
        .offset:         16
        .size:           8
        .value_kind:     global_buffer
      - .actual_access:  read_only
        .address_space:  global
        .offset:         24
        .size:           8
        .value_kind:     global_buffer
      - .actual_access:  read_only
        .address_space:  global
        .offset:         32
        .size:           8
        .value_kind:     global_buffer
      - .actual_access:  read_only
        .address_space:  global
        .offset:         40
        .size:           8
        .value_kind:     global_buffer
      - .offset:         48
        .size:           4
        .value_kind:     by_value
      - .offset:         52
        .size:           4
        .value_kind:     by_value
      - .actual_access:  read_only
        .address_space:  global
        .offset:         56
        .size:           8
        .value_kind:     global_buffer
      - .actual_access:  read_only
        .address_space:  global
        .offset:         64
        .size:           8
        .value_kind:     global_buffer
      - .offset:         72
        .size:           4
        .value_kind:     by_value
      - .actual_access:  read_only
        .address_space:  global
        .offset:         80
        .size:           8
        .value_kind:     global_buffer
      - .offset:         88
        .size:           4
        .value_kind:     by_value
      - .offset:         92
        .size:           4
        .value_kind:     by_value
      - .offset:         96
        .size:           4
        .value_kind:     by_value
      - .address_space:  global
        .offset:         104
        .size:           8
        .value_kind:     global_buffer
      - .address_space:  global
        .offset:         112
        .size:           8
        .value_kind:     global_buffer
      - .offset:         120
        .size:           4
        .value_kind:     by_value
      - .offset:         124
        .size:           4
        .value_kind:     by_value
      - .offset:         128
        .size:           4
        .value_kind:     by_value
      - .offset:         132
        .size:           4
        .value_kind:     by_value
      - .offset:         136
        .size:           4
        .value_kind:     by_value
      - .offset:         144
        .size:           4
        .value_kind:     hidden_block_count_x
      - .offset:         148
        .size:           4
        .value_kind:     hidden_block_count_y
      - .offset:         152
        .size:           4
        .value_kind:     hidden_block_count_z
      - .offset:         156
        .size:           2
        .value_kind:     hidden_group_size_x
      - .offset:         158
        .size:           2
        .value_kind:     hidden_group_size_y
      - .offset:         160
        .size:           2
        .value_kind:     hidden_group_size_z
      - .offset:         162
        .size:           2
        .value_kind:     hidden_remainder_x
      - .offset:         164
        .size:           2
        .value_kind:     hidden_remainder_y
      - .offset:         166
        .size:           2
        .value_kind:     hidden_remainder_z
      - .offset:         184
        .size:           8
        .value_kind:     hidden_global_offset_x
      - .offset:         192
        .size:           8
        .value_kind:     hidden_global_offset_y
      - .offset:         200
        .size:           8
        .value_kind:     hidden_global_offset_z
      - .offset:         208
        .size:           2
        .value_kind:     hidden_grid_dims
      - .offset:         264
        .size:           4
        .value_kind:     hidden_dynamic_lds_size
    .group_segment_fixed_size: 160
    .kernarg_segment_align: 8
    .kernarg_segment_size: 400
    .language:       OpenCL C
    .language_version:
      - 2
      - 0
    .max_flat_workgroup_size: 1024
    .name:           _ZN4vllm25paged_attention_v2_kernelIthLi64ELi32ELi128ELNS_18Fp8KVCacheDataTypeE1ELb1ELi512EEEvPfS2_PT_PKS3_PKT0_S9_ifPKiSB_iPKfiiiSD_SD_iiiii
    .private_segment_fixed_size: 0
    .sgpr_count:     49
    .sgpr_spill_count: 0
    .symbol:         _ZN4vllm25paged_attention_v2_kernelIthLi64ELi32ELi128ELNS_18Fp8KVCacheDataTypeE1ELb1ELi512EEEvPfS2_PT_PKS3_PKT0_S9_ifPKiSB_iPKfiiiSD_SD_iiiii.kd
    .uniform_work_group_size: 1
    .uses_dynamic_stack: false
    .vgpr_count:     112
    .vgpr_spill_count: 0
    .wavefront_size: 32
    .workgroup_processor_mode: 1
  - .args:
      - .actual_access:  write_only
        .address_space:  global
        .offset:         0
        .size:           8
        .value_kind:     global_buffer
      - .actual_access:  write_only
        .address_space:  global
        .offset:         8
        .size:           8
        .value_kind:     global_buffer
      - .actual_access:  write_only
        .address_space:  global
        .offset:         16
        .size:           8
        .value_kind:     global_buffer
      - .actual_access:  read_only
        .address_space:  global
        .offset:         24
        .size:           8
        .value_kind:     global_buffer
      - .actual_access:  read_only
        .address_space:  global
        .offset:         32
        .size:           8
        .value_kind:     global_buffer
      - .actual_access:  read_only
        .address_space:  global
        .offset:         40
        .size:           8
        .value_kind:     global_buffer
      - .offset:         48
        .size:           4
        .value_kind:     by_value
      - .offset:         52
        .size:           4
        .value_kind:     by_value
      - .actual_access:  read_only
        .address_space:  global
        .offset:         56
        .size:           8
        .value_kind:     global_buffer
      - .actual_access:  read_only
        .address_space:  global
        .offset:         64
        .size:           8
        .value_kind:     global_buffer
      - .offset:         72
        .size:           4
        .value_kind:     by_value
      - .actual_access:  read_only
        .address_space:  global
        .offset:         80
        .size:           8
        .value_kind:     global_buffer
      - .offset:         88
        .size:           4
        .value_kind:     by_value
      - .offset:         92
        .size:           4
        .value_kind:     by_value
      - .offset:         96
        .size:           4
        .value_kind:     by_value
      - .address_space:  global
        .offset:         104
        .size:           8
        .value_kind:     global_buffer
      - .address_space:  global
        .offset:         112
        .size:           8
        .value_kind:     global_buffer
      - .offset:         120
        .size:           4
        .value_kind:     by_value
      - .offset:         124
        .size:           4
        .value_kind:     by_value
      - .offset:         128
        .size:           4
        .value_kind:     by_value
      - .offset:         132
        .size:           4
        .value_kind:     by_value
      - .offset:         136
        .size:           4
        .value_kind:     by_value
      - .offset:         144
        .size:           4
        .value_kind:     hidden_block_count_x
      - .offset:         148
        .size:           4
        .value_kind:     hidden_block_count_y
      - .offset:         152
        .size:           4
        .value_kind:     hidden_block_count_z
      - .offset:         156
        .size:           2
        .value_kind:     hidden_group_size_x
      - .offset:         158
        .size:           2
        .value_kind:     hidden_group_size_y
      - .offset:         160
        .size:           2
        .value_kind:     hidden_group_size_z
      - .offset:         162
        .size:           2
        .value_kind:     hidden_remainder_x
      - .offset:         164
        .size:           2
        .value_kind:     hidden_remainder_y
      - .offset:         166
        .size:           2
        .value_kind:     hidden_remainder_z
      - .offset:         184
        .size:           8
        .value_kind:     hidden_global_offset_x
      - .offset:         192
        .size:           8
        .value_kind:     hidden_global_offset_y
      - .offset:         200
        .size:           8
        .value_kind:     hidden_global_offset_z
      - .offset:         208
        .size:           2
        .value_kind:     hidden_grid_dims
      - .offset:         264
        .size:           4
        .value_kind:     hidden_dynamic_lds_size
    .group_segment_fixed_size: 192
    .kernarg_segment_align: 8
    .kernarg_segment_size: 400
    .language:       OpenCL C
    .language_version:
      - 2
      - 0
    .max_flat_workgroup_size: 1024
    .name:           _ZN4vllm25paged_attention_v2_kernelIthLi80ELi32ELi128ELNS_18Fp8KVCacheDataTypeE1ELb1ELi512EEEvPfS2_PT_PKS3_PKT0_S9_ifPKiSB_iPKfiiiSD_SD_iiiii
    .private_segment_fixed_size: 0
    .sgpr_count:     49
    .sgpr_spill_count: 0
    .symbol:         _ZN4vllm25paged_attention_v2_kernelIthLi80ELi32ELi128ELNS_18Fp8KVCacheDataTypeE1ELb1ELi512EEEvPfS2_PT_PKS3_PKT0_S9_ifPKiSB_iPKfiiiSD_SD_iiiii.kd
    .uniform_work_group_size: 1
    .uses_dynamic_stack: false
    .vgpr_count:     138
    .vgpr_spill_count: 0
    .wavefront_size: 32
    .workgroup_processor_mode: 1
  - .args:
      - .address_space:  global
        .offset:         0
        .size:           8
        .value_kind:     global_buffer
      - .address_space:  global
        .offset:         8
        .size:           8
        .value_kind:     global_buffer
      - .address_space:  global
        .offset:         16
        .size:           8
        .value_kind:     global_buffer
      - .address_space:  global
        .offset:         24
        .size:           8
        .value_kind:     global_buffer
      - .address_space:  global
        .offset:         32
        .size:           8
        .value_kind:     global_buffer
      - .address_space:  global
        .offset:         40
        .size:           8
        .value_kind:     global_buffer
      - .offset:         48
        .size:           4
        .value_kind:     by_value
      - .offset:         52
        .size:           4
        .value_kind:     by_value
      - .address_space:  global
        .offset:         56
        .size:           8
        .value_kind:     global_buffer
      - .address_space:  global
        .offset:         64
        .size:           8
        .value_kind:     global_buffer
      - .offset:         72
        .size:           4
        .value_kind:     by_value
      - .address_space:  global
        .offset:         80
        .size:           8
        .value_kind:     global_buffer
      - .offset:         88
        .size:           4
        .value_kind:     by_value
      - .offset:         92
        .size:           4
        .value_kind:     by_value
      - .offset:         96
        .size:           4
        .value_kind:     by_value
      - .address_space:  global
        .offset:         104
        .size:           8
        .value_kind:     global_buffer
      - .address_space:  global
        .offset:         112
        .size:           8
        .value_kind:     global_buffer
      - .offset:         120
        .size:           4
        .value_kind:     by_value
      - .offset:         124
        .size:           4
        .value_kind:     by_value
      - .offset:         128
        .size:           4
        .value_kind:     by_value
      - .offset:         132
        .size:           4
        .value_kind:     by_value
      - .offset:         136
        .size:           4
        .value_kind:     by_value
      - .offset:         144
        .size:           4
        .value_kind:     hidden_block_count_x
      - .offset:         148
        .size:           4
        .value_kind:     hidden_block_count_y
      - .offset:         152
        .size:           4
        .value_kind:     hidden_block_count_z
      - .offset:         156
        .size:           2
        .value_kind:     hidden_group_size_x
      - .offset:         158
        .size:           2
        .value_kind:     hidden_group_size_y
      - .offset:         160
        .size:           2
        .value_kind:     hidden_group_size_z
      - .offset:         162
        .size:           2
        .value_kind:     hidden_remainder_x
      - .offset:         164
        .size:           2
        .value_kind:     hidden_remainder_y
      - .offset:         166
        .size:           2
        .value_kind:     hidden_remainder_z
      - .offset:         184
        .size:           8
        .value_kind:     hidden_global_offset_x
      - .offset:         192
        .size:           8
        .value_kind:     hidden_global_offset_y
      - .offset:         200
        .size:           8
        .value_kind:     hidden_global_offset_z
      - .offset:         208
        .size:           2
        .value_kind:     hidden_grid_dims
      - .offset:         264
        .size:           4
        .value_kind:     hidden_dynamic_lds_size
    .group_segment_fixed_size: 224
    .kernarg_segment_align: 8
    .kernarg_segment_size: 400
    .language:       OpenCL C
    .language_version:
      - 2
      - 0
    .max_flat_workgroup_size: 1024
    .name:           _ZN4vllm25paged_attention_v2_kernelIthLi96ELi32ELi128ELNS_18Fp8KVCacheDataTypeE1ELb1ELi512EEEvPfS2_PT_PKS3_PKT0_S9_ifPKiSB_iPKfiiiSD_SD_iiiii
    .private_segment_fixed_size: 220
    .sgpr_count:     46
    .sgpr_spill_count: 0
    .symbol:         _ZN4vllm25paged_attention_v2_kernelIthLi96ELi32ELi128ELNS_18Fp8KVCacheDataTypeE1ELb1ELi512EEEvPfS2_PT_PKS3_PKT0_S9_ifPKiSB_iPKfiiiSD_SD_iiiii.kd
    .uniform_work_group_size: 1
    .uses_dynamic_stack: false
    .vgpr_count:     184
    .vgpr_spill_count: 0
    .wavefront_size: 32
    .workgroup_processor_mode: 1
  - .args:
      - .address_space:  global
        .offset:         0
        .size:           8
        .value_kind:     global_buffer
      - .address_space:  global
        .offset:         8
        .size:           8
        .value_kind:     global_buffer
      - .address_space:  global
        .offset:         16
        .size:           8
        .value_kind:     global_buffer
      - .address_space:  global
        .offset:         24
        .size:           8
        .value_kind:     global_buffer
      - .address_space:  global
        .offset:         32
        .size:           8
        .value_kind:     global_buffer
      - .address_space:  global
        .offset:         40
        .size:           8
        .value_kind:     global_buffer
      - .offset:         48
        .size:           4
        .value_kind:     by_value
      - .offset:         52
        .size:           4
        .value_kind:     by_value
      - .address_space:  global
        .offset:         56
        .size:           8
        .value_kind:     global_buffer
      - .address_space:  global
        .offset:         64
        .size:           8
        .value_kind:     global_buffer
      - .offset:         72
        .size:           4
        .value_kind:     by_value
      - .address_space:  global
        .offset:         80
        .size:           8
        .value_kind:     global_buffer
      - .offset:         88
        .size:           4
        .value_kind:     by_value
      - .offset:         92
        .size:           4
        .value_kind:     by_value
      - .offset:         96
        .size:           4
        .value_kind:     by_value
      - .address_space:  global
        .offset:         104
        .size:           8
        .value_kind:     global_buffer
      - .address_space:  global
        .offset:         112
        .size:           8
        .value_kind:     global_buffer
      - .offset:         120
        .size:           4
        .value_kind:     by_value
      - .offset:         124
        .size:           4
        .value_kind:     by_value
      - .offset:         128
        .size:           4
        .value_kind:     by_value
      - .offset:         132
        .size:           4
        .value_kind:     by_value
      - .offset:         136
        .size:           4
        .value_kind:     by_value
      - .offset:         144
        .size:           4
        .value_kind:     hidden_block_count_x
      - .offset:         148
        .size:           4
        .value_kind:     hidden_block_count_y
      - .offset:         152
        .size:           4
        .value_kind:     hidden_block_count_z
      - .offset:         156
        .size:           2
        .value_kind:     hidden_group_size_x
      - .offset:         158
        .size:           2
        .value_kind:     hidden_group_size_y
      - .offset:         160
        .size:           2
        .value_kind:     hidden_group_size_z
      - .offset:         162
        .size:           2
        .value_kind:     hidden_remainder_x
      - .offset:         164
        .size:           2
        .value_kind:     hidden_remainder_y
      - .offset:         166
        .size:           2
        .value_kind:     hidden_remainder_z
      - .offset:         184
        .size:           8
        .value_kind:     hidden_global_offset_x
      - .offset:         192
        .size:           8
        .value_kind:     hidden_global_offset_y
      - .offset:         200
        .size:           8
        .value_kind:     hidden_global_offset_z
      - .offset:         208
        .size:           2
        .value_kind:     hidden_grid_dims
      - .offset:         264
        .size:           4
        .value_kind:     hidden_dynamic_lds_size
    .group_segment_fixed_size: 256
    .kernarg_segment_align: 8
    .kernarg_segment_size: 400
    .language:       OpenCL C
    .language_version:
      - 2
      - 0
    .max_flat_workgroup_size: 1024
    .name:           _ZN4vllm25paged_attention_v2_kernelIthLi112ELi32ELi128ELNS_18Fp8KVCacheDataTypeE1ELb1ELi512EEEvPfS2_PT_PKS3_PKT0_S9_ifPKiSB_iPKfiiiSD_SD_iiiii
    .private_segment_fixed_size: 280
    .sgpr_count:     46
    .sgpr_spill_count: 0
    .symbol:         _ZN4vllm25paged_attention_v2_kernelIthLi112ELi32ELi128ELNS_18Fp8KVCacheDataTypeE1ELb1ELi512EEEvPfS2_PT_PKS3_PKT0_S9_ifPKiSB_iPKfiiiSD_SD_iiiii.kd
    .uniform_work_group_size: 1
    .uses_dynamic_stack: false
    .vgpr_count:     184
    .vgpr_spill_count: 0
    .wavefront_size: 32
    .workgroup_processor_mode: 1
  - .args:
      - .address_space:  global
        .offset:         0
        .size:           8
        .value_kind:     global_buffer
      - .address_space:  global
        .offset:         8
        .size:           8
        .value_kind:     global_buffer
      - .address_space:  global
        .offset:         16
        .size:           8
        .value_kind:     global_buffer
      - .address_space:  global
        .offset:         24
        .size:           8
        .value_kind:     global_buffer
      - .address_space:  global
        .offset:         32
        .size:           8
        .value_kind:     global_buffer
      - .address_space:  global
        .offset:         40
        .size:           8
        .value_kind:     global_buffer
      - .offset:         48
        .size:           4
        .value_kind:     by_value
      - .offset:         52
        .size:           4
        .value_kind:     by_value
      - .address_space:  global
        .offset:         56
        .size:           8
        .value_kind:     global_buffer
      - .address_space:  global
        .offset:         64
        .size:           8
        .value_kind:     global_buffer
      - .offset:         72
        .size:           4
        .value_kind:     by_value
      - .address_space:  global
        .offset:         80
        .size:           8
        .value_kind:     global_buffer
      - .offset:         88
        .size:           4
        .value_kind:     by_value
      - .offset:         92
        .size:           4
        .value_kind:     by_value
      - .offset:         96
        .size:           4
        .value_kind:     by_value
      - .address_space:  global
        .offset:         104
        .size:           8
        .value_kind:     global_buffer
      - .address_space:  global
        .offset:         112
        .size:           8
        .value_kind:     global_buffer
      - .offset:         120
        .size:           4
        .value_kind:     by_value
      - .offset:         124
        .size:           4
        .value_kind:     by_value
      - .offset:         128
        .size:           4
        .value_kind:     by_value
      - .offset:         132
        .size:           4
        .value_kind:     by_value
      - .offset:         136
        .size:           4
        .value_kind:     by_value
      - .offset:         144
        .size:           4
        .value_kind:     hidden_block_count_x
      - .offset:         148
        .size:           4
        .value_kind:     hidden_block_count_y
      - .offset:         152
        .size:           4
        .value_kind:     hidden_block_count_z
      - .offset:         156
        .size:           2
        .value_kind:     hidden_group_size_x
      - .offset:         158
        .size:           2
        .value_kind:     hidden_group_size_y
      - .offset:         160
        .size:           2
        .value_kind:     hidden_group_size_z
      - .offset:         162
        .size:           2
        .value_kind:     hidden_remainder_x
      - .offset:         164
        .size:           2
        .value_kind:     hidden_remainder_y
      - .offset:         166
        .size:           2
        .value_kind:     hidden_remainder_z
      - .offset:         184
        .size:           8
        .value_kind:     hidden_global_offset_x
      - .offset:         192
        .size:           8
        .value_kind:     hidden_global_offset_y
      - .offset:         200
        .size:           8
        .value_kind:     hidden_global_offset_z
      - .offset:         208
        .size:           2
        .value_kind:     hidden_grid_dims
      - .offset:         264
        .size:           4
        .value_kind:     hidden_dynamic_lds_size
    .group_segment_fixed_size: 272
    .kernarg_segment_align: 8
    .kernarg_segment_size: 400
    .language:       OpenCL C
    .language_version:
      - 2
      - 0
    .max_flat_workgroup_size: 1024
    .name:           _ZN4vllm25paged_attention_v2_kernelIthLi120ELi32ELi128ELNS_18Fp8KVCacheDataTypeE1ELb1ELi512EEEvPfS2_PT_PKS3_PKT0_S9_ifPKiSB_iPKfiiiSD_SD_iiiii
    .private_segment_fixed_size: 312
    .sgpr_count:     46
    .sgpr_spill_count: 0
    .symbol:         _ZN4vllm25paged_attention_v2_kernelIthLi120ELi32ELi128ELNS_18Fp8KVCacheDataTypeE1ELb1ELi512EEEvPfS2_PT_PKS3_PKT0_S9_ifPKiSB_iPKfiiiSD_SD_iiiii.kd
    .uniform_work_group_size: 1
    .uses_dynamic_stack: false
    .vgpr_count:     187
    .vgpr_spill_count: 0
    .wavefront_size: 32
    .workgroup_processor_mode: 1
  - .args:
      - .address_space:  global
        .offset:         0
        .size:           8
        .value_kind:     global_buffer
      - .address_space:  global
        .offset:         8
        .size:           8
        .value_kind:     global_buffer
      - .address_space:  global
        .offset:         16
        .size:           8
        .value_kind:     global_buffer
      - .address_space:  global
        .offset:         24
        .size:           8
        .value_kind:     global_buffer
      - .address_space:  global
        .offset:         32
        .size:           8
        .value_kind:     global_buffer
      - .address_space:  global
        .offset:         40
        .size:           8
        .value_kind:     global_buffer
      - .offset:         48
        .size:           4
        .value_kind:     by_value
      - .offset:         52
        .size:           4
        .value_kind:     by_value
      - .address_space:  global
        .offset:         56
        .size:           8
        .value_kind:     global_buffer
      - .address_space:  global
        .offset:         64
        .size:           8
        .value_kind:     global_buffer
      - .offset:         72
        .size:           4
        .value_kind:     by_value
      - .address_space:  global
        .offset:         80
        .size:           8
        .value_kind:     global_buffer
      - .offset:         88
        .size:           4
        .value_kind:     by_value
      - .offset:         92
        .size:           4
        .value_kind:     by_value
      - .offset:         96
        .size:           4
        .value_kind:     by_value
      - .address_space:  global
        .offset:         104
        .size:           8
        .value_kind:     global_buffer
      - .address_space:  global
        .offset:         112
        .size:           8
        .value_kind:     global_buffer
      - .offset:         120
        .size:           4
        .value_kind:     by_value
      - .offset:         124
        .size:           4
        .value_kind:     by_value
      - .offset:         128
        .size:           4
        .value_kind:     by_value
      - .offset:         132
        .size:           4
        .value_kind:     by_value
      - .offset:         136
        .size:           4
        .value_kind:     by_value
      - .offset:         144
        .size:           4
        .value_kind:     hidden_block_count_x
      - .offset:         148
        .size:           4
        .value_kind:     hidden_block_count_y
      - .offset:         152
        .size:           4
        .value_kind:     hidden_block_count_z
      - .offset:         156
        .size:           2
        .value_kind:     hidden_group_size_x
      - .offset:         158
        .size:           2
        .value_kind:     hidden_group_size_y
      - .offset:         160
        .size:           2
        .value_kind:     hidden_group_size_z
      - .offset:         162
        .size:           2
        .value_kind:     hidden_remainder_x
      - .offset:         164
        .size:           2
        .value_kind:     hidden_remainder_y
      - .offset:         166
        .size:           2
        .value_kind:     hidden_remainder_z
      - .offset:         184
        .size:           8
        .value_kind:     hidden_global_offset_x
      - .offset:         192
        .size:           8
        .value_kind:     hidden_global_offset_y
      - .offset:         200
        .size:           8
        .value_kind:     hidden_global_offset_z
      - .offset:         208
        .size:           2
        .value_kind:     hidden_grid_dims
      - .offset:         264
        .size:           4
        .value_kind:     hidden_dynamic_lds_size
    .group_segment_fixed_size: 288
    .kernarg_segment_align: 8
    .kernarg_segment_size: 400
    .language:       OpenCL C
    .language_version:
      - 2
      - 0
    .max_flat_workgroup_size: 1024
    .name:           _ZN4vllm25paged_attention_v2_kernelIthLi128ELi32ELi128ELNS_18Fp8KVCacheDataTypeE1ELb1ELi512EEEvPfS2_PT_PKS3_PKT0_S9_ifPKiSB_iPKfiiiSD_SD_iiiii
    .private_segment_fixed_size: 332
    .sgpr_count:     46
    .sgpr_spill_count: 0
    .symbol:         _ZN4vllm25paged_attention_v2_kernelIthLi128ELi32ELi128ELNS_18Fp8KVCacheDataTypeE1ELb1ELi512EEEvPfS2_PT_PKS3_PKT0_S9_ifPKiSB_iPKfiiiSD_SD_iiiii.kd
    .uniform_work_group_size: 1
    .uses_dynamic_stack: false
    .vgpr_count:     192
    .vgpr_spill_count: 0
    .wavefront_size: 32
    .workgroup_processor_mode: 1
  - .args:
      - .address_space:  global
        .offset:         0
        .size:           8
        .value_kind:     global_buffer
      - .address_space:  global
        .offset:         8
        .size:           8
        .value_kind:     global_buffer
      - .address_space:  global
        .offset:         16
        .size:           8
        .value_kind:     global_buffer
      - .address_space:  global
        .offset:         24
        .size:           8
        .value_kind:     global_buffer
      - .address_space:  global
        .offset:         32
        .size:           8
        .value_kind:     global_buffer
      - .address_space:  global
        .offset:         40
        .size:           8
        .value_kind:     global_buffer
      - .offset:         48
        .size:           4
        .value_kind:     by_value
      - .offset:         52
        .size:           4
        .value_kind:     by_value
      - .address_space:  global
        .offset:         56
        .size:           8
        .value_kind:     global_buffer
      - .address_space:  global
        .offset:         64
        .size:           8
        .value_kind:     global_buffer
      - .offset:         72
        .size:           4
        .value_kind:     by_value
      - .address_space:  global
        .offset:         80
        .size:           8
        .value_kind:     global_buffer
      - .offset:         88
        .size:           4
        .value_kind:     by_value
      - .offset:         92
        .size:           4
        .value_kind:     by_value
      - .offset:         96
        .size:           4
        .value_kind:     by_value
      - .address_space:  global
        .offset:         104
        .size:           8
        .value_kind:     global_buffer
      - .address_space:  global
        .offset:         112
        .size:           8
        .value_kind:     global_buffer
      - .offset:         120
        .size:           4
        .value_kind:     by_value
      - .offset:         124
        .size:           4
        .value_kind:     by_value
      - .offset:         128
        .size:           4
        .value_kind:     by_value
      - .offset:         132
        .size:           4
        .value_kind:     by_value
      - .offset:         136
        .size:           4
        .value_kind:     by_value
      - .offset:         144
        .size:           4
        .value_kind:     hidden_block_count_x
      - .offset:         148
        .size:           4
        .value_kind:     hidden_block_count_y
      - .offset:         152
        .size:           4
        .value_kind:     hidden_block_count_z
      - .offset:         156
        .size:           2
        .value_kind:     hidden_group_size_x
      - .offset:         158
        .size:           2
        .value_kind:     hidden_group_size_y
      - .offset:         160
        .size:           2
        .value_kind:     hidden_group_size_z
      - .offset:         162
        .size:           2
        .value_kind:     hidden_remainder_x
      - .offset:         164
        .size:           2
        .value_kind:     hidden_remainder_y
      - .offset:         166
        .size:           2
        .value_kind:     hidden_remainder_z
      - .offset:         184
        .size:           8
        .value_kind:     hidden_global_offset_x
      - .offset:         192
        .size:           8
        .value_kind:     hidden_global_offset_y
      - .offset:         200
        .size:           8
        .value_kind:     hidden_global_offset_z
      - .offset:         208
        .size:           2
        .value_kind:     hidden_grid_dims
      - .offset:         264
        .size:           4
        .value_kind:     hidden_dynamic_lds_size
    .group_segment_fixed_size: 416
    .kernarg_segment_align: 8
    .kernarg_segment_size: 400
    .language:       OpenCL C
    .language_version:
      - 2
      - 0
    .max_flat_workgroup_size: 1024
    .name:           _ZN4vllm25paged_attention_v2_kernelIthLi192ELi32ELi128ELNS_18Fp8KVCacheDataTypeE1ELb1ELi512EEEvPfS2_PT_PKS3_PKT0_S9_ifPKiSB_iPKfiiiSD_SD_iiiii
    .private_segment_fixed_size: 660
    .sgpr_count:     46
    .sgpr_spill_count: 0
    .symbol:         _ZN4vllm25paged_attention_v2_kernelIthLi192ELi32ELi128ELNS_18Fp8KVCacheDataTypeE1ELb1ELi512EEEvPfS2_PT_PKS3_PKT0_S9_ifPKiSB_iPKfiiiSD_SD_iiiii.kd
    .uniform_work_group_size: 1
    .uses_dynamic_stack: false
    .vgpr_count:     192
    .vgpr_spill_count: 0
    .wavefront_size: 32
    .workgroup_processor_mode: 1
  - .args:
      - .address_space:  global
        .offset:         0
        .size:           8
        .value_kind:     global_buffer
      - .address_space:  global
        .offset:         8
        .size:           8
        .value_kind:     global_buffer
      - .address_space:  global
        .offset:         16
        .size:           8
        .value_kind:     global_buffer
      - .address_space:  global
        .offset:         24
        .size:           8
        .value_kind:     global_buffer
      - .address_space:  global
        .offset:         32
        .size:           8
        .value_kind:     global_buffer
      - .address_space:  global
        .offset:         40
        .size:           8
        .value_kind:     global_buffer
      - .offset:         48
        .size:           4
        .value_kind:     by_value
      - .offset:         52
        .size:           4
        .value_kind:     by_value
      - .address_space:  global
        .offset:         56
        .size:           8
        .value_kind:     global_buffer
      - .address_space:  global
        .offset:         64
        .size:           8
        .value_kind:     global_buffer
      - .offset:         72
        .size:           4
        .value_kind:     by_value
      - .address_space:  global
        .offset:         80
        .size:           8
        .value_kind:     global_buffer
      - .offset:         88
        .size:           4
        .value_kind:     by_value
      - .offset:         92
        .size:           4
        .value_kind:     by_value
      - .offset:         96
        .size:           4
        .value_kind:     by_value
      - .address_space:  global
        .offset:         104
        .size:           8
        .value_kind:     global_buffer
      - .address_space:  global
        .offset:         112
        .size:           8
        .value_kind:     global_buffer
      - .offset:         120
        .size:           4
        .value_kind:     by_value
      - .offset:         124
        .size:           4
        .value_kind:     by_value
      - .offset:         128
        .size:           4
        .value_kind:     by_value
      - .offset:         132
        .size:           4
        .value_kind:     by_value
      - .offset:         136
        .size:           4
        .value_kind:     by_value
      - .offset:         144
        .size:           4
        .value_kind:     hidden_block_count_x
      - .offset:         148
        .size:           4
        .value_kind:     hidden_block_count_y
      - .offset:         152
        .size:           4
        .value_kind:     hidden_block_count_z
      - .offset:         156
        .size:           2
        .value_kind:     hidden_group_size_x
      - .offset:         158
        .size:           2
        .value_kind:     hidden_group_size_y
      - .offset:         160
        .size:           2
        .value_kind:     hidden_group_size_z
      - .offset:         162
        .size:           2
        .value_kind:     hidden_remainder_x
      - .offset:         164
        .size:           2
        .value_kind:     hidden_remainder_y
      - .offset:         166
        .size:           2
        .value_kind:     hidden_remainder_z
      - .offset:         184
        .size:           8
        .value_kind:     hidden_global_offset_x
      - .offset:         192
        .size:           8
        .value_kind:     hidden_global_offset_y
      - .offset:         200
        .size:           8
        .value_kind:     hidden_global_offset_z
      - .offset:         208
        .size:           2
        .value_kind:     hidden_grid_dims
      - .offset:         264
        .size:           4
        .value_kind:     hidden_dynamic_lds_size
    .group_segment_fixed_size: 544
    .kernarg_segment_align: 8
    .kernarg_segment_size: 400
    .language:       OpenCL C
    .language_version:
      - 2
      - 0
    .max_flat_workgroup_size: 1024
    .name:           _ZN4vllm25paged_attention_v2_kernelIthLi256ELi32ELi128ELNS_18Fp8KVCacheDataTypeE1ELb1ELi512EEEvPfS2_PT_PKS3_PKT0_S9_ifPKiSB_iPKfiiiSD_SD_iiiii
    .private_segment_fixed_size: 1196
    .sgpr_count:     46
    .sgpr_spill_count: 0
    .symbol:         _ZN4vllm25paged_attention_v2_kernelIthLi256ELi32ELi128ELNS_18Fp8KVCacheDataTypeE1ELb1ELi512EEEvPfS2_PT_PKS3_PKT0_S9_ifPKiSB_iPKfiiiSD_SD_iiiii.kd
    .uniform_work_group_size: 1
    .uses_dynamic_stack: false
    .vgpr_count:     192
    .vgpr_spill_count: 0
    .wavefront_size: 32
    .workgroup_processor_mode: 1
  - .args:
      - .actual_access:  write_only
        .address_space:  global
        .offset:         0
        .size:           8
        .value_kind:     global_buffer
      - .actual_access:  write_only
        .address_space:  global
        .offset:         8
        .size:           8
        .value_kind:     global_buffer
      - .actual_access:  write_only
        .address_space:  global
        .offset:         16
        .size:           8
        .value_kind:     global_buffer
      - .actual_access:  read_only
        .address_space:  global
        .offset:         24
        .size:           8
        .value_kind:     global_buffer
      - .actual_access:  read_only
        .address_space:  global
        .offset:         32
        .size:           8
        .value_kind:     global_buffer
      - .actual_access:  read_only
        .address_space:  global
        .offset:         40
        .size:           8
        .value_kind:     global_buffer
      - .offset:         48
        .size:           4
        .value_kind:     by_value
      - .offset:         52
        .size:           4
        .value_kind:     by_value
      - .actual_access:  read_only
        .address_space:  global
        .offset:         56
        .size:           8
        .value_kind:     global_buffer
      - .actual_access:  read_only
        .address_space:  global
        .offset:         64
        .size:           8
        .value_kind:     global_buffer
      - .offset:         72
        .size:           4
        .value_kind:     by_value
      - .actual_access:  read_only
        .address_space:  global
        .offset:         80
        .size:           8
        .value_kind:     global_buffer
      - .offset:         88
        .size:           4
        .value_kind:     by_value
      - .offset:         92
        .size:           4
        .value_kind:     by_value
      - .offset:         96
        .size:           4
        .value_kind:     by_value
      - .address_space:  global
        .offset:         104
        .size:           8
        .value_kind:     global_buffer
      - .address_space:  global
        .offset:         112
        .size:           8
        .value_kind:     global_buffer
      - .offset:         120
        .size:           4
        .value_kind:     by_value
      - .offset:         124
        .size:           4
        .value_kind:     by_value
      - .offset:         128
        .size:           4
        .value_kind:     by_value
      - .offset:         132
        .size:           4
        .value_kind:     by_value
      - .offset:         136
        .size:           4
        .value_kind:     by_value
      - .offset:         144
        .size:           4
        .value_kind:     hidden_block_count_x
      - .offset:         148
        .size:           4
        .value_kind:     hidden_block_count_y
      - .offset:         152
        .size:           4
        .value_kind:     hidden_block_count_z
      - .offset:         156
        .size:           2
        .value_kind:     hidden_group_size_x
      - .offset:         158
        .size:           2
        .value_kind:     hidden_group_size_y
      - .offset:         160
        .size:           2
        .value_kind:     hidden_group_size_z
      - .offset:         162
        .size:           2
        .value_kind:     hidden_remainder_x
      - .offset:         164
        .size:           2
        .value_kind:     hidden_remainder_y
      - .offset:         166
        .size:           2
        .value_kind:     hidden_remainder_z
      - .offset:         184
        .size:           8
        .value_kind:     hidden_global_offset_x
      - .offset:         192
        .size:           8
        .value_kind:     hidden_global_offset_y
      - .offset:         200
        .size:           8
        .value_kind:     hidden_global_offset_z
      - .offset:         208
        .size:           2
        .value_kind:     hidden_grid_dims
      - .offset:         264
        .size:           4
        .value_kind:     hidden_dynamic_lds_size
    .group_segment_fixed_size: 96
    .kernarg_segment_align: 8
    .kernarg_segment_size: 400
    .language:       OpenCL C
    .language_version:
      - 2
      - 0
    .max_flat_workgroup_size: 1024
    .name:           _ZN4vllm25paged_attention_v2_kernelIthLi32ELi32ELi128ELNS_18Fp8KVCacheDataTypeE1ELb0ELi512EEEvPfS2_PT_PKS3_PKT0_S9_ifPKiSB_iPKfiiiSD_SD_iiiii
    .private_segment_fixed_size: 0
    .sgpr_count:     40
    .sgpr_spill_count: 0
    .symbol:         _ZN4vllm25paged_attention_v2_kernelIthLi32ELi32ELi128ELNS_18Fp8KVCacheDataTypeE1ELb0ELi512EEEvPfS2_PT_PKS3_PKT0_S9_ifPKiSB_iPKfiiiSD_SD_iiiii.kd
    .uniform_work_group_size: 1
    .uses_dynamic_stack: false
    .vgpr_count:     71
    .vgpr_spill_count: 0
    .wavefront_size: 32
    .workgroup_processor_mode: 1
  - .args:
      - .actual_access:  write_only
        .address_space:  global
        .offset:         0
        .size:           8
        .value_kind:     global_buffer
      - .actual_access:  write_only
        .address_space:  global
        .offset:         8
        .size:           8
        .value_kind:     global_buffer
      - .actual_access:  write_only
        .address_space:  global
        .offset:         16
        .size:           8
        .value_kind:     global_buffer
      - .actual_access:  read_only
        .address_space:  global
        .offset:         24
        .size:           8
        .value_kind:     global_buffer
      - .actual_access:  read_only
        .address_space:  global
        .offset:         32
        .size:           8
        .value_kind:     global_buffer
      - .actual_access:  read_only
        .address_space:  global
        .offset:         40
        .size:           8
        .value_kind:     global_buffer
      - .offset:         48
        .size:           4
        .value_kind:     by_value
      - .offset:         52
        .size:           4
        .value_kind:     by_value
      - .actual_access:  read_only
        .address_space:  global
        .offset:         56
        .size:           8
        .value_kind:     global_buffer
      - .actual_access:  read_only
        .address_space:  global
        .offset:         64
        .size:           8
        .value_kind:     global_buffer
      - .offset:         72
        .size:           4
        .value_kind:     by_value
      - .actual_access:  read_only
        .address_space:  global
        .offset:         80
        .size:           8
        .value_kind:     global_buffer
      - .offset:         88
        .size:           4
        .value_kind:     by_value
      - .offset:         92
        .size:           4
        .value_kind:     by_value
      - .offset:         96
        .size:           4
        .value_kind:     by_value
      - .address_space:  global
        .offset:         104
        .size:           8
        .value_kind:     global_buffer
      - .address_space:  global
        .offset:         112
        .size:           8
        .value_kind:     global_buffer
      - .offset:         120
        .size:           4
        .value_kind:     by_value
      - .offset:         124
        .size:           4
        .value_kind:     by_value
      - .offset:         128
        .size:           4
        .value_kind:     by_value
      - .offset:         132
        .size:           4
        .value_kind:     by_value
      - .offset:         136
        .size:           4
        .value_kind:     by_value
      - .offset:         144
        .size:           4
        .value_kind:     hidden_block_count_x
      - .offset:         148
        .size:           4
        .value_kind:     hidden_block_count_y
      - .offset:         152
        .size:           4
        .value_kind:     hidden_block_count_z
      - .offset:         156
        .size:           2
        .value_kind:     hidden_group_size_x
      - .offset:         158
        .size:           2
        .value_kind:     hidden_group_size_y
      - .offset:         160
        .size:           2
        .value_kind:     hidden_group_size_z
      - .offset:         162
        .size:           2
        .value_kind:     hidden_remainder_x
      - .offset:         164
        .size:           2
        .value_kind:     hidden_remainder_y
      - .offset:         166
        .size:           2
        .value_kind:     hidden_remainder_z
      - .offset:         184
        .size:           8
        .value_kind:     hidden_global_offset_x
      - .offset:         192
        .size:           8
        .value_kind:     hidden_global_offset_y
      - .offset:         200
        .size:           8
        .value_kind:     hidden_global_offset_z
      - .offset:         208
        .size:           2
        .value_kind:     hidden_grid_dims
      - .offset:         264
        .size:           4
        .value_kind:     hidden_dynamic_lds_size
    .group_segment_fixed_size: 160
    .kernarg_segment_align: 8
    .kernarg_segment_size: 400
    .language:       OpenCL C
    .language_version:
      - 2
      - 0
    .max_flat_workgroup_size: 1024
    .name:           _ZN4vllm25paged_attention_v2_kernelIthLi64ELi32ELi128ELNS_18Fp8KVCacheDataTypeE1ELb0ELi512EEEvPfS2_PT_PKS3_PKT0_S9_ifPKiSB_iPKfiiiSD_SD_iiiii
    .private_segment_fixed_size: 0
    .sgpr_count:     39
    .sgpr_spill_count: 0
    .symbol:         _ZN4vllm25paged_attention_v2_kernelIthLi64ELi32ELi128ELNS_18Fp8KVCacheDataTypeE1ELb0ELi512EEEvPfS2_PT_PKS3_PKT0_S9_ifPKiSB_iPKfiiiSD_SD_iiiii.kd
    .uniform_work_group_size: 1
    .uses_dynamic_stack: false
    .vgpr_count:     112
    .vgpr_spill_count: 0
    .wavefront_size: 32
    .workgroup_processor_mode: 1
  - .args:
      - .actual_access:  write_only
        .address_space:  global
        .offset:         0
        .size:           8
        .value_kind:     global_buffer
      - .actual_access:  write_only
        .address_space:  global
        .offset:         8
        .size:           8
        .value_kind:     global_buffer
      - .actual_access:  write_only
        .address_space:  global
        .offset:         16
        .size:           8
        .value_kind:     global_buffer
      - .actual_access:  read_only
        .address_space:  global
        .offset:         24
        .size:           8
        .value_kind:     global_buffer
      - .actual_access:  read_only
        .address_space:  global
        .offset:         32
        .size:           8
        .value_kind:     global_buffer
      - .actual_access:  read_only
        .address_space:  global
        .offset:         40
        .size:           8
        .value_kind:     global_buffer
      - .offset:         48
        .size:           4
        .value_kind:     by_value
      - .offset:         52
        .size:           4
        .value_kind:     by_value
      - .actual_access:  read_only
        .address_space:  global
        .offset:         56
        .size:           8
        .value_kind:     global_buffer
      - .actual_access:  read_only
        .address_space:  global
        .offset:         64
        .size:           8
        .value_kind:     global_buffer
      - .offset:         72
        .size:           4
        .value_kind:     by_value
      - .actual_access:  read_only
        .address_space:  global
        .offset:         80
        .size:           8
        .value_kind:     global_buffer
      - .offset:         88
        .size:           4
        .value_kind:     by_value
      - .offset:         92
        .size:           4
        .value_kind:     by_value
      - .offset:         96
        .size:           4
        .value_kind:     by_value
      - .address_space:  global
        .offset:         104
        .size:           8
        .value_kind:     global_buffer
      - .address_space:  global
        .offset:         112
        .size:           8
        .value_kind:     global_buffer
      - .offset:         120
        .size:           4
        .value_kind:     by_value
      - .offset:         124
        .size:           4
        .value_kind:     by_value
      - .offset:         128
        .size:           4
        .value_kind:     by_value
      - .offset:         132
        .size:           4
        .value_kind:     by_value
      - .offset:         136
        .size:           4
        .value_kind:     by_value
      - .offset:         144
        .size:           4
        .value_kind:     hidden_block_count_x
      - .offset:         148
        .size:           4
        .value_kind:     hidden_block_count_y
      - .offset:         152
        .size:           4
        .value_kind:     hidden_block_count_z
      - .offset:         156
        .size:           2
        .value_kind:     hidden_group_size_x
      - .offset:         158
        .size:           2
        .value_kind:     hidden_group_size_y
      - .offset:         160
        .size:           2
        .value_kind:     hidden_group_size_z
      - .offset:         162
        .size:           2
        .value_kind:     hidden_remainder_x
      - .offset:         164
        .size:           2
        .value_kind:     hidden_remainder_y
      - .offset:         166
        .size:           2
        .value_kind:     hidden_remainder_z
      - .offset:         184
        .size:           8
        .value_kind:     hidden_global_offset_x
      - .offset:         192
        .size:           8
        .value_kind:     hidden_global_offset_y
      - .offset:         200
        .size:           8
        .value_kind:     hidden_global_offset_z
      - .offset:         208
        .size:           2
        .value_kind:     hidden_grid_dims
      - .offset:         264
        .size:           4
        .value_kind:     hidden_dynamic_lds_size
    .group_segment_fixed_size: 192
    .kernarg_segment_align: 8
    .kernarg_segment_size: 400
    .language:       OpenCL C
    .language_version:
      - 2
      - 0
    .max_flat_workgroup_size: 1024
    .name:           _ZN4vllm25paged_attention_v2_kernelIthLi80ELi32ELi128ELNS_18Fp8KVCacheDataTypeE1ELb0ELi512EEEvPfS2_PT_PKS3_PKT0_S9_ifPKiSB_iPKfiiiSD_SD_iiiii
    .private_segment_fixed_size: 0
    .sgpr_count:     39
    .sgpr_spill_count: 0
    .symbol:         _ZN4vllm25paged_attention_v2_kernelIthLi80ELi32ELi128ELNS_18Fp8KVCacheDataTypeE1ELb0ELi512EEEvPfS2_PT_PKS3_PKT0_S9_ifPKiSB_iPKfiiiSD_SD_iiiii.kd
    .uniform_work_group_size: 1
    .uses_dynamic_stack: false
    .vgpr_count:     138
    .vgpr_spill_count: 0
    .wavefront_size: 32
    .workgroup_processor_mode: 1
  - .args:
      - .address_space:  global
        .offset:         0
        .size:           8
        .value_kind:     global_buffer
      - .address_space:  global
        .offset:         8
        .size:           8
        .value_kind:     global_buffer
      - .address_space:  global
        .offset:         16
        .size:           8
        .value_kind:     global_buffer
      - .address_space:  global
        .offset:         24
        .size:           8
        .value_kind:     global_buffer
      - .address_space:  global
        .offset:         32
        .size:           8
        .value_kind:     global_buffer
      - .address_space:  global
        .offset:         40
        .size:           8
        .value_kind:     global_buffer
      - .offset:         48
        .size:           4
        .value_kind:     by_value
      - .offset:         52
        .size:           4
        .value_kind:     by_value
      - .address_space:  global
        .offset:         56
        .size:           8
        .value_kind:     global_buffer
      - .address_space:  global
        .offset:         64
        .size:           8
        .value_kind:     global_buffer
      - .offset:         72
        .size:           4
        .value_kind:     by_value
      - .address_space:  global
        .offset:         80
        .size:           8
        .value_kind:     global_buffer
      - .offset:         88
        .size:           4
        .value_kind:     by_value
      - .offset:         92
        .size:           4
        .value_kind:     by_value
      - .offset:         96
        .size:           4
        .value_kind:     by_value
      - .address_space:  global
        .offset:         104
        .size:           8
        .value_kind:     global_buffer
      - .address_space:  global
        .offset:         112
        .size:           8
        .value_kind:     global_buffer
      - .offset:         120
        .size:           4
        .value_kind:     by_value
      - .offset:         124
        .size:           4
        .value_kind:     by_value
      - .offset:         128
        .size:           4
        .value_kind:     by_value
      - .offset:         132
        .size:           4
        .value_kind:     by_value
      - .offset:         136
        .size:           4
        .value_kind:     by_value
      - .offset:         144
        .size:           4
        .value_kind:     hidden_block_count_x
      - .offset:         148
        .size:           4
        .value_kind:     hidden_block_count_y
      - .offset:         152
        .size:           4
        .value_kind:     hidden_block_count_z
      - .offset:         156
        .size:           2
        .value_kind:     hidden_group_size_x
      - .offset:         158
        .size:           2
        .value_kind:     hidden_group_size_y
      - .offset:         160
        .size:           2
        .value_kind:     hidden_group_size_z
      - .offset:         162
        .size:           2
        .value_kind:     hidden_remainder_x
      - .offset:         164
        .size:           2
        .value_kind:     hidden_remainder_y
      - .offset:         166
        .size:           2
        .value_kind:     hidden_remainder_z
      - .offset:         184
        .size:           8
        .value_kind:     hidden_global_offset_x
      - .offset:         192
        .size:           8
        .value_kind:     hidden_global_offset_y
      - .offset:         200
        .size:           8
        .value_kind:     hidden_global_offset_z
      - .offset:         208
        .size:           2
        .value_kind:     hidden_grid_dims
      - .offset:         264
        .size:           4
        .value_kind:     hidden_dynamic_lds_size
    .group_segment_fixed_size: 224
    .kernarg_segment_align: 8
    .kernarg_segment_size: 400
    .language:       OpenCL C
    .language_version:
      - 2
      - 0
    .max_flat_workgroup_size: 1024
    .name:           _ZN4vllm25paged_attention_v2_kernelIthLi96ELi32ELi128ELNS_18Fp8KVCacheDataTypeE1ELb0ELi512EEEvPfS2_PT_PKS3_PKT0_S9_ifPKiSB_iPKfiiiSD_SD_iiiii
    .private_segment_fixed_size: 260
    .sgpr_count:     41
    .sgpr_spill_count: 0
    .symbol:         _ZN4vllm25paged_attention_v2_kernelIthLi96ELi32ELi128ELNS_18Fp8KVCacheDataTypeE1ELb0ELi512EEEvPfS2_PT_PKS3_PKT0_S9_ifPKiSB_iPKfiiiSD_SD_iiiii.kd
    .uniform_work_group_size: 1
    .uses_dynamic_stack: false
    .vgpr_count:     184
    .vgpr_spill_count: 0
    .wavefront_size: 32
    .workgroup_processor_mode: 1
  - .args:
      - .address_space:  global
        .offset:         0
        .size:           8
        .value_kind:     global_buffer
      - .address_space:  global
        .offset:         8
        .size:           8
        .value_kind:     global_buffer
      - .address_space:  global
        .offset:         16
        .size:           8
        .value_kind:     global_buffer
      - .address_space:  global
        .offset:         24
        .size:           8
        .value_kind:     global_buffer
      - .address_space:  global
        .offset:         32
        .size:           8
        .value_kind:     global_buffer
      - .address_space:  global
        .offset:         40
        .size:           8
        .value_kind:     global_buffer
      - .offset:         48
        .size:           4
        .value_kind:     by_value
      - .offset:         52
        .size:           4
        .value_kind:     by_value
      - .address_space:  global
        .offset:         56
        .size:           8
        .value_kind:     global_buffer
      - .address_space:  global
        .offset:         64
        .size:           8
        .value_kind:     global_buffer
      - .offset:         72
        .size:           4
        .value_kind:     by_value
      - .address_space:  global
        .offset:         80
        .size:           8
        .value_kind:     global_buffer
      - .offset:         88
        .size:           4
        .value_kind:     by_value
      - .offset:         92
        .size:           4
        .value_kind:     by_value
      - .offset:         96
        .size:           4
        .value_kind:     by_value
      - .address_space:  global
        .offset:         104
        .size:           8
        .value_kind:     global_buffer
      - .address_space:  global
        .offset:         112
        .size:           8
        .value_kind:     global_buffer
      - .offset:         120
        .size:           4
        .value_kind:     by_value
      - .offset:         124
        .size:           4
        .value_kind:     by_value
      - .offset:         128
        .size:           4
        .value_kind:     by_value
      - .offset:         132
        .size:           4
        .value_kind:     by_value
      - .offset:         136
        .size:           4
        .value_kind:     by_value
      - .offset:         144
        .size:           4
        .value_kind:     hidden_block_count_x
      - .offset:         148
        .size:           4
        .value_kind:     hidden_block_count_y
      - .offset:         152
        .size:           4
        .value_kind:     hidden_block_count_z
      - .offset:         156
        .size:           2
        .value_kind:     hidden_group_size_x
      - .offset:         158
        .size:           2
        .value_kind:     hidden_group_size_y
      - .offset:         160
        .size:           2
        .value_kind:     hidden_group_size_z
      - .offset:         162
        .size:           2
        .value_kind:     hidden_remainder_x
      - .offset:         164
        .size:           2
        .value_kind:     hidden_remainder_y
      - .offset:         166
        .size:           2
        .value_kind:     hidden_remainder_z
      - .offset:         184
        .size:           8
        .value_kind:     hidden_global_offset_x
      - .offset:         192
        .size:           8
        .value_kind:     hidden_global_offset_y
      - .offset:         200
        .size:           8
        .value_kind:     hidden_global_offset_z
      - .offset:         208
        .size:           2
        .value_kind:     hidden_grid_dims
      - .offset:         264
        .size:           4
        .value_kind:     hidden_dynamic_lds_size
    .group_segment_fixed_size: 256
    .kernarg_segment_align: 8
    .kernarg_segment_size: 400
    .language:       OpenCL C
    .language_version:
      - 2
      - 0
    .max_flat_workgroup_size: 1024
    .name:           _ZN4vllm25paged_attention_v2_kernelIthLi112ELi32ELi128ELNS_18Fp8KVCacheDataTypeE1ELb0ELi512EEEvPfS2_PT_PKS3_PKT0_S9_ifPKiSB_iPKfiiiSD_SD_iiiii
    .private_segment_fixed_size: 224
    .sgpr_count:     41
    .sgpr_spill_count: 0
    .symbol:         _ZN4vllm25paged_attention_v2_kernelIthLi112ELi32ELi128ELNS_18Fp8KVCacheDataTypeE1ELb0ELi512EEEvPfS2_PT_PKS3_PKT0_S9_ifPKiSB_iPKfiiiSD_SD_iiiii.kd
    .uniform_work_group_size: 1
    .uses_dynamic_stack: false
    .vgpr_count:     184
    .vgpr_spill_count: 0
    .wavefront_size: 32
    .workgroup_processor_mode: 1
  - .args:
      - .address_space:  global
        .offset:         0
        .size:           8
        .value_kind:     global_buffer
      - .address_space:  global
        .offset:         8
        .size:           8
        .value_kind:     global_buffer
      - .address_space:  global
        .offset:         16
        .size:           8
        .value_kind:     global_buffer
      - .address_space:  global
        .offset:         24
        .size:           8
        .value_kind:     global_buffer
      - .address_space:  global
        .offset:         32
        .size:           8
        .value_kind:     global_buffer
      - .address_space:  global
        .offset:         40
        .size:           8
        .value_kind:     global_buffer
      - .offset:         48
        .size:           4
        .value_kind:     by_value
      - .offset:         52
        .size:           4
        .value_kind:     by_value
      - .address_space:  global
        .offset:         56
        .size:           8
        .value_kind:     global_buffer
      - .address_space:  global
        .offset:         64
        .size:           8
        .value_kind:     global_buffer
      - .offset:         72
        .size:           4
        .value_kind:     by_value
      - .address_space:  global
        .offset:         80
        .size:           8
        .value_kind:     global_buffer
      - .offset:         88
        .size:           4
        .value_kind:     by_value
      - .offset:         92
        .size:           4
        .value_kind:     by_value
      - .offset:         96
        .size:           4
        .value_kind:     by_value
      - .address_space:  global
        .offset:         104
        .size:           8
        .value_kind:     global_buffer
      - .address_space:  global
        .offset:         112
        .size:           8
        .value_kind:     global_buffer
      - .offset:         120
        .size:           4
        .value_kind:     by_value
      - .offset:         124
        .size:           4
        .value_kind:     by_value
      - .offset:         128
        .size:           4
        .value_kind:     by_value
      - .offset:         132
        .size:           4
        .value_kind:     by_value
      - .offset:         136
        .size:           4
        .value_kind:     by_value
      - .offset:         144
        .size:           4
        .value_kind:     hidden_block_count_x
      - .offset:         148
        .size:           4
        .value_kind:     hidden_block_count_y
      - .offset:         152
        .size:           4
        .value_kind:     hidden_block_count_z
      - .offset:         156
        .size:           2
        .value_kind:     hidden_group_size_x
      - .offset:         158
        .size:           2
        .value_kind:     hidden_group_size_y
      - .offset:         160
        .size:           2
        .value_kind:     hidden_group_size_z
      - .offset:         162
        .size:           2
        .value_kind:     hidden_remainder_x
      - .offset:         164
        .size:           2
        .value_kind:     hidden_remainder_y
      - .offset:         166
        .size:           2
        .value_kind:     hidden_remainder_z
      - .offset:         184
        .size:           8
        .value_kind:     hidden_global_offset_x
      - .offset:         192
        .size:           8
        .value_kind:     hidden_global_offset_y
      - .offset:         200
        .size:           8
        .value_kind:     hidden_global_offset_z
      - .offset:         208
        .size:           2
        .value_kind:     hidden_grid_dims
      - .offset:         264
        .size:           4
        .value_kind:     hidden_dynamic_lds_size
    .group_segment_fixed_size: 272
    .kernarg_segment_align: 8
    .kernarg_segment_size: 400
    .language:       OpenCL C
    .language_version:
      - 2
      - 0
    .max_flat_workgroup_size: 1024
    .name:           _ZN4vllm25paged_attention_v2_kernelIthLi120ELi32ELi128ELNS_18Fp8KVCacheDataTypeE1ELb0ELi512EEEvPfS2_PT_PKS3_PKT0_S9_ifPKiSB_iPKfiiiSD_SD_iiiii
    .private_segment_fixed_size: 380
    .sgpr_count:     41
    .sgpr_spill_count: 0
    .symbol:         _ZN4vllm25paged_attention_v2_kernelIthLi120ELi32ELi128ELNS_18Fp8KVCacheDataTypeE1ELb0ELi512EEEvPfS2_PT_PKS3_PKT0_S9_ifPKiSB_iPKfiiiSD_SD_iiiii.kd
    .uniform_work_group_size: 1
    .uses_dynamic_stack: false
    .vgpr_count:     192
    .vgpr_spill_count: 0
    .wavefront_size: 32
    .workgroup_processor_mode: 1
  - .args:
      - .address_space:  global
        .offset:         0
        .size:           8
        .value_kind:     global_buffer
      - .address_space:  global
        .offset:         8
        .size:           8
        .value_kind:     global_buffer
      - .address_space:  global
        .offset:         16
        .size:           8
        .value_kind:     global_buffer
      - .address_space:  global
        .offset:         24
        .size:           8
        .value_kind:     global_buffer
      - .address_space:  global
        .offset:         32
        .size:           8
        .value_kind:     global_buffer
      - .address_space:  global
        .offset:         40
        .size:           8
        .value_kind:     global_buffer
      - .offset:         48
        .size:           4
        .value_kind:     by_value
      - .offset:         52
        .size:           4
        .value_kind:     by_value
      - .address_space:  global
        .offset:         56
        .size:           8
        .value_kind:     global_buffer
      - .address_space:  global
        .offset:         64
        .size:           8
        .value_kind:     global_buffer
      - .offset:         72
        .size:           4
        .value_kind:     by_value
      - .address_space:  global
        .offset:         80
        .size:           8
        .value_kind:     global_buffer
      - .offset:         88
        .size:           4
        .value_kind:     by_value
      - .offset:         92
        .size:           4
        .value_kind:     by_value
      - .offset:         96
        .size:           4
        .value_kind:     by_value
      - .address_space:  global
        .offset:         104
        .size:           8
        .value_kind:     global_buffer
      - .address_space:  global
        .offset:         112
        .size:           8
        .value_kind:     global_buffer
      - .offset:         120
        .size:           4
        .value_kind:     by_value
      - .offset:         124
        .size:           4
        .value_kind:     by_value
      - .offset:         128
        .size:           4
        .value_kind:     by_value
      - .offset:         132
        .size:           4
        .value_kind:     by_value
      - .offset:         136
        .size:           4
        .value_kind:     by_value
      - .offset:         144
        .size:           4
        .value_kind:     hidden_block_count_x
      - .offset:         148
        .size:           4
        .value_kind:     hidden_block_count_y
      - .offset:         152
        .size:           4
        .value_kind:     hidden_block_count_z
      - .offset:         156
        .size:           2
        .value_kind:     hidden_group_size_x
      - .offset:         158
        .size:           2
        .value_kind:     hidden_group_size_y
      - .offset:         160
        .size:           2
        .value_kind:     hidden_group_size_z
      - .offset:         162
        .size:           2
        .value_kind:     hidden_remainder_x
      - .offset:         164
        .size:           2
        .value_kind:     hidden_remainder_y
      - .offset:         166
        .size:           2
        .value_kind:     hidden_remainder_z
      - .offset:         184
        .size:           8
        .value_kind:     hidden_global_offset_x
      - .offset:         192
        .size:           8
        .value_kind:     hidden_global_offset_y
      - .offset:         200
        .size:           8
        .value_kind:     hidden_global_offset_z
      - .offset:         208
        .size:           2
        .value_kind:     hidden_grid_dims
      - .offset:         264
        .size:           4
        .value_kind:     hidden_dynamic_lds_size
    .group_segment_fixed_size: 288
    .kernarg_segment_align: 8
    .kernarg_segment_size: 400
    .language:       OpenCL C
    .language_version:
      - 2
      - 0
    .max_flat_workgroup_size: 1024
    .name:           _ZN4vllm25paged_attention_v2_kernelIthLi128ELi32ELi128ELNS_18Fp8KVCacheDataTypeE1ELb0ELi512EEEvPfS2_PT_PKS3_PKT0_S9_ifPKiSB_iPKfiiiSD_SD_iiiii
    .private_segment_fixed_size: 288
    .sgpr_count:     41
    .sgpr_spill_count: 0
    .symbol:         _ZN4vllm25paged_attention_v2_kernelIthLi128ELi32ELi128ELNS_18Fp8KVCacheDataTypeE1ELb0ELi512EEEvPfS2_PT_PKS3_PKT0_S9_ifPKiSB_iPKfiiiSD_SD_iiiii.kd
    .uniform_work_group_size: 1
    .uses_dynamic_stack: false
    .vgpr_count:     184
    .vgpr_spill_count: 0
    .wavefront_size: 32
    .workgroup_processor_mode: 1
  - .args:
      - .address_space:  global
        .offset:         0
        .size:           8
        .value_kind:     global_buffer
      - .address_space:  global
        .offset:         8
        .size:           8
        .value_kind:     global_buffer
      - .address_space:  global
        .offset:         16
        .size:           8
        .value_kind:     global_buffer
      - .address_space:  global
        .offset:         24
        .size:           8
        .value_kind:     global_buffer
      - .address_space:  global
        .offset:         32
        .size:           8
        .value_kind:     global_buffer
      - .address_space:  global
        .offset:         40
        .size:           8
        .value_kind:     global_buffer
      - .offset:         48
        .size:           4
        .value_kind:     by_value
      - .offset:         52
        .size:           4
        .value_kind:     by_value
      - .address_space:  global
        .offset:         56
        .size:           8
        .value_kind:     global_buffer
      - .address_space:  global
        .offset:         64
        .size:           8
        .value_kind:     global_buffer
      - .offset:         72
        .size:           4
        .value_kind:     by_value
      - .address_space:  global
        .offset:         80
        .size:           8
        .value_kind:     global_buffer
      - .offset:         88
        .size:           4
        .value_kind:     by_value
      - .offset:         92
        .size:           4
        .value_kind:     by_value
      - .offset:         96
        .size:           4
        .value_kind:     by_value
      - .address_space:  global
        .offset:         104
        .size:           8
        .value_kind:     global_buffer
      - .address_space:  global
        .offset:         112
        .size:           8
        .value_kind:     global_buffer
      - .offset:         120
        .size:           4
        .value_kind:     by_value
      - .offset:         124
        .size:           4
        .value_kind:     by_value
      - .offset:         128
        .size:           4
        .value_kind:     by_value
      - .offset:         132
        .size:           4
        .value_kind:     by_value
      - .offset:         136
        .size:           4
        .value_kind:     by_value
      - .offset:         144
        .size:           4
        .value_kind:     hidden_block_count_x
      - .offset:         148
        .size:           4
        .value_kind:     hidden_block_count_y
      - .offset:         152
        .size:           4
        .value_kind:     hidden_block_count_z
      - .offset:         156
        .size:           2
        .value_kind:     hidden_group_size_x
      - .offset:         158
        .size:           2
        .value_kind:     hidden_group_size_y
      - .offset:         160
        .size:           2
        .value_kind:     hidden_group_size_z
      - .offset:         162
        .size:           2
        .value_kind:     hidden_remainder_x
      - .offset:         164
        .size:           2
        .value_kind:     hidden_remainder_y
      - .offset:         166
        .size:           2
        .value_kind:     hidden_remainder_z
      - .offset:         184
        .size:           8
        .value_kind:     hidden_global_offset_x
      - .offset:         192
        .size:           8
        .value_kind:     hidden_global_offset_y
      - .offset:         200
        .size:           8
        .value_kind:     hidden_global_offset_z
      - .offset:         208
        .size:           2
        .value_kind:     hidden_grid_dims
      - .offset:         264
        .size:           4
        .value_kind:     hidden_dynamic_lds_size
    .group_segment_fixed_size: 416
    .kernarg_segment_align: 8
    .kernarg_segment_size: 400
    .language:       OpenCL C
    .language_version:
      - 2
      - 0
    .max_flat_workgroup_size: 1024
    .name:           _ZN4vllm25paged_attention_v2_kernelIthLi192ELi32ELi128ELNS_18Fp8KVCacheDataTypeE1ELb0ELi512EEEvPfS2_PT_PKS3_PKT0_S9_ifPKiSB_iPKfiiiSD_SD_iiiii
    .private_segment_fixed_size: 620
    .sgpr_count:     41
    .sgpr_spill_count: 0
    .symbol:         _ZN4vllm25paged_attention_v2_kernelIthLi192ELi32ELi128ELNS_18Fp8KVCacheDataTypeE1ELb0ELi512EEEvPfS2_PT_PKS3_PKT0_S9_ifPKiSB_iPKfiiiSD_SD_iiiii.kd
    .uniform_work_group_size: 1
    .uses_dynamic_stack: false
    .vgpr_count:     192
    .vgpr_spill_count: 0
    .wavefront_size: 32
    .workgroup_processor_mode: 1
  - .args:
      - .address_space:  global
        .offset:         0
        .size:           8
        .value_kind:     global_buffer
      - .address_space:  global
        .offset:         8
        .size:           8
        .value_kind:     global_buffer
      - .address_space:  global
        .offset:         16
        .size:           8
        .value_kind:     global_buffer
      - .address_space:  global
        .offset:         24
        .size:           8
        .value_kind:     global_buffer
      - .address_space:  global
        .offset:         32
        .size:           8
        .value_kind:     global_buffer
      - .address_space:  global
        .offset:         40
        .size:           8
        .value_kind:     global_buffer
      - .offset:         48
        .size:           4
        .value_kind:     by_value
      - .offset:         52
        .size:           4
        .value_kind:     by_value
      - .address_space:  global
        .offset:         56
        .size:           8
        .value_kind:     global_buffer
      - .address_space:  global
        .offset:         64
        .size:           8
        .value_kind:     global_buffer
      - .offset:         72
        .size:           4
        .value_kind:     by_value
      - .address_space:  global
        .offset:         80
        .size:           8
        .value_kind:     global_buffer
      - .offset:         88
        .size:           4
        .value_kind:     by_value
      - .offset:         92
        .size:           4
        .value_kind:     by_value
      - .offset:         96
        .size:           4
        .value_kind:     by_value
      - .address_space:  global
        .offset:         104
        .size:           8
        .value_kind:     global_buffer
      - .address_space:  global
        .offset:         112
        .size:           8
        .value_kind:     global_buffer
      - .offset:         120
        .size:           4
        .value_kind:     by_value
      - .offset:         124
        .size:           4
        .value_kind:     by_value
      - .offset:         128
        .size:           4
        .value_kind:     by_value
      - .offset:         132
        .size:           4
        .value_kind:     by_value
      - .offset:         136
        .size:           4
        .value_kind:     by_value
      - .offset:         144
        .size:           4
        .value_kind:     hidden_block_count_x
      - .offset:         148
        .size:           4
        .value_kind:     hidden_block_count_y
      - .offset:         152
        .size:           4
        .value_kind:     hidden_block_count_z
      - .offset:         156
        .size:           2
        .value_kind:     hidden_group_size_x
      - .offset:         158
        .size:           2
        .value_kind:     hidden_group_size_y
      - .offset:         160
        .size:           2
        .value_kind:     hidden_group_size_z
      - .offset:         162
        .size:           2
        .value_kind:     hidden_remainder_x
      - .offset:         164
        .size:           2
        .value_kind:     hidden_remainder_y
      - .offset:         166
        .size:           2
        .value_kind:     hidden_remainder_z
      - .offset:         184
        .size:           8
        .value_kind:     hidden_global_offset_x
      - .offset:         192
        .size:           8
        .value_kind:     hidden_global_offset_y
      - .offset:         200
        .size:           8
        .value_kind:     hidden_global_offset_z
      - .offset:         208
        .size:           2
        .value_kind:     hidden_grid_dims
      - .offset:         264
        .size:           4
        .value_kind:     hidden_dynamic_lds_size
    .group_segment_fixed_size: 544
    .kernarg_segment_align: 8
    .kernarg_segment_size: 400
    .language:       OpenCL C
    .language_version:
      - 2
      - 0
    .max_flat_workgroup_size: 1024
    .name:           _ZN4vllm25paged_attention_v2_kernelIthLi256ELi32ELi128ELNS_18Fp8KVCacheDataTypeE1ELb0ELi512EEEvPfS2_PT_PKS3_PKT0_S9_ifPKiSB_iPKfiiiSD_SD_iiiii
    .private_segment_fixed_size: 1096
    .sgpr_count:     41
    .sgpr_spill_count: 0
    .symbol:         _ZN4vllm25paged_attention_v2_kernelIthLi256ELi32ELi128ELNS_18Fp8KVCacheDataTypeE1ELb0ELi512EEEvPfS2_PT_PKS3_PKT0_S9_ifPKiSB_iPKfiiiSD_SD_iiiii.kd
    .uniform_work_group_size: 1
    .uses_dynamic_stack: false
    .vgpr_count:     192
    .vgpr_spill_count: 0
    .wavefront_size: 32
    .workgroup_processor_mode: 1
  - .args:
      - .actual_access:  write_only
        .address_space:  global
        .offset:         0
        .size:           8
        .value_kind:     global_buffer
      - .actual_access:  write_only
        .address_space:  global
        .offset:         8
        .size:           8
        .value_kind:     global_buffer
      - .actual_access:  write_only
        .address_space:  global
        .offset:         16
        .size:           8
        .value_kind:     global_buffer
      - .actual_access:  read_only
        .address_space:  global
        .offset:         24
        .size:           8
        .value_kind:     global_buffer
      - .actual_access:  read_only
        .address_space:  global
        .offset:         32
        .size:           8
        .value_kind:     global_buffer
      - .actual_access:  read_only
        .address_space:  global
        .offset:         40
        .size:           8
        .value_kind:     global_buffer
      - .offset:         48
        .size:           4
        .value_kind:     by_value
      - .offset:         52
        .size:           4
        .value_kind:     by_value
      - .actual_access:  read_only
        .address_space:  global
        .offset:         56
        .size:           8
        .value_kind:     global_buffer
      - .actual_access:  read_only
        .address_space:  global
        .offset:         64
        .size:           8
        .value_kind:     global_buffer
      - .offset:         72
        .size:           4
        .value_kind:     by_value
      - .actual_access:  read_only
        .address_space:  global
        .offset:         80
        .size:           8
        .value_kind:     global_buffer
      - .offset:         88
        .size:           4
        .value_kind:     by_value
      - .offset:         92
        .size:           4
        .value_kind:     by_value
      - .offset:         96
        .size:           4
        .value_kind:     by_value
      - .address_space:  global
        .offset:         104
        .size:           8
        .value_kind:     global_buffer
      - .address_space:  global
        .offset:         112
        .size:           8
        .value_kind:     global_buffer
      - .offset:         120
        .size:           4
        .value_kind:     by_value
      - .offset:         124
        .size:           4
        .value_kind:     by_value
      - .offset:         128
        .size:           4
        .value_kind:     by_value
      - .offset:         132
        .size:           4
        .value_kind:     by_value
      - .offset:         136
        .size:           4
        .value_kind:     by_value
      - .offset:         144
        .size:           4
        .value_kind:     hidden_block_count_x
      - .offset:         148
        .size:           4
        .value_kind:     hidden_block_count_y
      - .offset:         152
        .size:           4
        .value_kind:     hidden_block_count_z
      - .offset:         156
        .size:           2
        .value_kind:     hidden_group_size_x
      - .offset:         158
        .size:           2
        .value_kind:     hidden_group_size_y
      - .offset:         160
        .size:           2
        .value_kind:     hidden_group_size_z
      - .offset:         162
        .size:           2
        .value_kind:     hidden_remainder_x
      - .offset:         164
        .size:           2
        .value_kind:     hidden_remainder_y
      - .offset:         166
        .size:           2
        .value_kind:     hidden_remainder_z
      - .offset:         184
        .size:           8
        .value_kind:     hidden_global_offset_x
      - .offset:         192
        .size:           8
        .value_kind:     hidden_global_offset_y
      - .offset:         200
        .size:           8
        .value_kind:     hidden_global_offset_z
      - .offset:         208
        .size:           2
        .value_kind:     hidden_grid_dims
      - .offset:         264
        .size:           4
        .value_kind:     hidden_dynamic_lds_size
    .group_segment_fixed_size: 96
    .kernarg_segment_align: 8
    .kernarg_segment_size: 400
    .language:       OpenCL C
    .language_version:
      - 2
      - 0
    .max_flat_workgroup_size: 1024
    .name:           _ZN4vllm25paged_attention_v2_kernelI14__hip_bfloat16hLi32ELi8ELi128ELNS_18Fp8KVCacheDataTypeE1ELb1ELi512EEEvPfS3_PT_PKS4_PKT0_SA_ifPKiSC_iPKfiiiSE_SE_iiiii
    .private_segment_fixed_size: 0
    .sgpr_count:     47
    .sgpr_spill_count: 0
    .symbol:         _ZN4vllm25paged_attention_v2_kernelI14__hip_bfloat16hLi32ELi8ELi128ELNS_18Fp8KVCacheDataTypeE1ELb1ELi512EEEvPfS3_PT_PKS4_PKT0_SA_ifPKiSC_iPKfiiiSE_SE_iiiii.kd
    .uniform_work_group_size: 1
    .uses_dynamic_stack: false
    .vgpr_count:     52
    .vgpr_spill_count: 0
    .wavefront_size: 32
    .workgroup_processor_mode: 1
  - .args:
      - .actual_access:  write_only
        .address_space:  global
        .offset:         0
        .size:           8
        .value_kind:     global_buffer
      - .actual_access:  write_only
        .address_space:  global
        .offset:         8
        .size:           8
        .value_kind:     global_buffer
      - .actual_access:  write_only
        .address_space:  global
        .offset:         16
        .size:           8
        .value_kind:     global_buffer
      - .actual_access:  read_only
        .address_space:  global
        .offset:         24
        .size:           8
        .value_kind:     global_buffer
      - .actual_access:  read_only
        .address_space:  global
        .offset:         32
        .size:           8
        .value_kind:     global_buffer
      - .actual_access:  read_only
        .address_space:  global
        .offset:         40
        .size:           8
        .value_kind:     global_buffer
      - .offset:         48
        .size:           4
        .value_kind:     by_value
      - .offset:         52
        .size:           4
        .value_kind:     by_value
      - .actual_access:  read_only
        .address_space:  global
        .offset:         56
        .size:           8
        .value_kind:     global_buffer
      - .actual_access:  read_only
        .address_space:  global
        .offset:         64
        .size:           8
        .value_kind:     global_buffer
      - .offset:         72
        .size:           4
        .value_kind:     by_value
      - .actual_access:  read_only
        .address_space:  global
        .offset:         80
        .size:           8
        .value_kind:     global_buffer
      - .offset:         88
        .size:           4
        .value_kind:     by_value
      - .offset:         92
        .size:           4
        .value_kind:     by_value
      - .offset:         96
        .size:           4
        .value_kind:     by_value
      - .address_space:  global
        .offset:         104
        .size:           8
        .value_kind:     global_buffer
      - .address_space:  global
        .offset:         112
        .size:           8
        .value_kind:     global_buffer
      - .offset:         120
        .size:           4
        .value_kind:     by_value
      - .offset:         124
        .size:           4
        .value_kind:     by_value
      - .offset:         128
        .size:           4
        .value_kind:     by_value
      - .offset:         132
        .size:           4
        .value_kind:     by_value
      - .offset:         136
        .size:           4
        .value_kind:     by_value
      - .offset:         144
        .size:           4
        .value_kind:     hidden_block_count_x
      - .offset:         148
        .size:           4
        .value_kind:     hidden_block_count_y
      - .offset:         152
        .size:           4
        .value_kind:     hidden_block_count_z
      - .offset:         156
        .size:           2
        .value_kind:     hidden_group_size_x
      - .offset:         158
        .size:           2
        .value_kind:     hidden_group_size_y
      - .offset:         160
        .size:           2
        .value_kind:     hidden_group_size_z
      - .offset:         162
        .size:           2
        .value_kind:     hidden_remainder_x
      - .offset:         164
        .size:           2
        .value_kind:     hidden_remainder_y
      - .offset:         166
        .size:           2
        .value_kind:     hidden_remainder_z
      - .offset:         184
        .size:           8
        .value_kind:     hidden_global_offset_x
      - .offset:         192
        .size:           8
        .value_kind:     hidden_global_offset_y
      - .offset:         200
        .size:           8
        .value_kind:     hidden_global_offset_z
      - .offset:         208
        .size:           2
        .value_kind:     hidden_grid_dims
      - .offset:         264
        .size:           4
        .value_kind:     hidden_dynamic_lds_size
    .group_segment_fixed_size: 160
    .kernarg_segment_align: 8
    .kernarg_segment_size: 400
    .language:       OpenCL C
    .language_version:
      - 2
      - 0
    .max_flat_workgroup_size: 1024
    .name:           _ZN4vllm25paged_attention_v2_kernelI14__hip_bfloat16hLi64ELi8ELi128ELNS_18Fp8KVCacheDataTypeE1ELb1ELi512EEEvPfS3_PT_PKS4_PKT0_SA_ifPKiSC_iPKfiiiSE_SE_iiiii
    .private_segment_fixed_size: 0
    .sgpr_count:     48
    .sgpr_spill_count: 0
    .symbol:         _ZN4vllm25paged_attention_v2_kernelI14__hip_bfloat16hLi64ELi8ELi128ELNS_18Fp8KVCacheDataTypeE1ELb1ELi512EEEvPfS3_PT_PKS4_PKT0_SA_ifPKiSC_iPKfiiiSE_SE_iiiii.kd
    .uniform_work_group_size: 1
    .uses_dynamic_stack: false
    .vgpr_count:     84
    .vgpr_spill_count: 0
    .wavefront_size: 32
    .workgroup_processor_mode: 1
  - .args:
      - .actual_access:  write_only
        .address_space:  global
        .offset:         0
        .size:           8
        .value_kind:     global_buffer
      - .actual_access:  write_only
        .address_space:  global
        .offset:         8
        .size:           8
        .value_kind:     global_buffer
      - .actual_access:  write_only
        .address_space:  global
        .offset:         16
        .size:           8
        .value_kind:     global_buffer
      - .actual_access:  read_only
        .address_space:  global
        .offset:         24
        .size:           8
        .value_kind:     global_buffer
      - .actual_access:  read_only
        .address_space:  global
        .offset:         32
        .size:           8
        .value_kind:     global_buffer
      - .actual_access:  read_only
        .address_space:  global
        .offset:         40
        .size:           8
        .value_kind:     global_buffer
      - .offset:         48
        .size:           4
        .value_kind:     by_value
      - .offset:         52
        .size:           4
        .value_kind:     by_value
      - .actual_access:  read_only
        .address_space:  global
        .offset:         56
        .size:           8
        .value_kind:     global_buffer
      - .actual_access:  read_only
        .address_space:  global
        .offset:         64
        .size:           8
        .value_kind:     global_buffer
      - .offset:         72
        .size:           4
        .value_kind:     by_value
      - .actual_access:  read_only
        .address_space:  global
        .offset:         80
        .size:           8
        .value_kind:     global_buffer
      - .offset:         88
        .size:           4
        .value_kind:     by_value
      - .offset:         92
        .size:           4
        .value_kind:     by_value
      - .offset:         96
        .size:           4
        .value_kind:     by_value
      - .address_space:  global
        .offset:         104
        .size:           8
        .value_kind:     global_buffer
      - .address_space:  global
        .offset:         112
        .size:           8
        .value_kind:     global_buffer
      - .offset:         120
        .size:           4
        .value_kind:     by_value
      - .offset:         124
        .size:           4
        .value_kind:     by_value
      - .offset:         128
        .size:           4
        .value_kind:     by_value
      - .offset:         132
        .size:           4
        .value_kind:     by_value
      - .offset:         136
        .size:           4
        .value_kind:     by_value
      - .offset:         144
        .size:           4
        .value_kind:     hidden_block_count_x
      - .offset:         148
        .size:           4
        .value_kind:     hidden_block_count_y
      - .offset:         152
        .size:           4
        .value_kind:     hidden_block_count_z
      - .offset:         156
        .size:           2
        .value_kind:     hidden_group_size_x
      - .offset:         158
        .size:           2
        .value_kind:     hidden_group_size_y
      - .offset:         160
        .size:           2
        .value_kind:     hidden_group_size_z
      - .offset:         162
        .size:           2
        .value_kind:     hidden_remainder_x
      - .offset:         164
        .size:           2
        .value_kind:     hidden_remainder_y
      - .offset:         166
        .size:           2
        .value_kind:     hidden_remainder_z
      - .offset:         184
        .size:           8
        .value_kind:     hidden_global_offset_x
      - .offset:         192
        .size:           8
        .value_kind:     hidden_global_offset_y
      - .offset:         200
        .size:           8
        .value_kind:     hidden_global_offset_z
      - .offset:         208
        .size:           2
        .value_kind:     hidden_grid_dims
      - .offset:         264
        .size:           4
        .value_kind:     hidden_dynamic_lds_size
    .group_segment_fixed_size: 192
    .kernarg_segment_align: 8
    .kernarg_segment_size: 400
    .language:       OpenCL C
    .language_version:
      - 2
      - 0
    .max_flat_workgroup_size: 1024
    .name:           _ZN4vllm25paged_attention_v2_kernelI14__hip_bfloat16hLi80ELi8ELi128ELNS_18Fp8KVCacheDataTypeE1ELb1ELi512EEEvPfS3_PT_PKS4_PKT0_SA_ifPKiSC_iPKfiiiSE_SE_iiiii
    .private_segment_fixed_size: 0
    .sgpr_count:     47
    .sgpr_spill_count: 0
    .symbol:         _ZN4vllm25paged_attention_v2_kernelI14__hip_bfloat16hLi80ELi8ELi128ELNS_18Fp8KVCacheDataTypeE1ELb1ELi512EEEvPfS3_PT_PKS4_PKT0_SA_ifPKiSC_iPKfiiiSE_SE_iiiii.kd
    .uniform_work_group_size: 1
    .uses_dynamic_stack: false
    .vgpr_count:     100
    .vgpr_spill_count: 0
    .wavefront_size: 32
    .workgroup_processor_mode: 1
  - .args:
      - .actual_access:  write_only
        .address_space:  global
        .offset:         0
        .size:           8
        .value_kind:     global_buffer
      - .actual_access:  write_only
        .address_space:  global
        .offset:         8
        .size:           8
        .value_kind:     global_buffer
      - .actual_access:  write_only
        .address_space:  global
        .offset:         16
        .size:           8
        .value_kind:     global_buffer
      - .actual_access:  read_only
        .address_space:  global
        .offset:         24
        .size:           8
        .value_kind:     global_buffer
      - .actual_access:  read_only
        .address_space:  global
        .offset:         32
        .size:           8
        .value_kind:     global_buffer
      - .actual_access:  read_only
        .address_space:  global
        .offset:         40
        .size:           8
        .value_kind:     global_buffer
      - .offset:         48
        .size:           4
        .value_kind:     by_value
      - .offset:         52
        .size:           4
        .value_kind:     by_value
      - .actual_access:  read_only
        .address_space:  global
        .offset:         56
        .size:           8
        .value_kind:     global_buffer
      - .actual_access:  read_only
        .address_space:  global
        .offset:         64
        .size:           8
        .value_kind:     global_buffer
      - .offset:         72
        .size:           4
        .value_kind:     by_value
      - .actual_access:  read_only
        .address_space:  global
        .offset:         80
        .size:           8
        .value_kind:     global_buffer
      - .offset:         88
        .size:           4
        .value_kind:     by_value
      - .offset:         92
        .size:           4
        .value_kind:     by_value
      - .offset:         96
        .size:           4
        .value_kind:     by_value
      - .address_space:  global
        .offset:         104
        .size:           8
        .value_kind:     global_buffer
      - .address_space:  global
        .offset:         112
        .size:           8
        .value_kind:     global_buffer
      - .offset:         120
        .size:           4
        .value_kind:     by_value
      - .offset:         124
        .size:           4
        .value_kind:     by_value
      - .offset:         128
        .size:           4
        .value_kind:     by_value
      - .offset:         132
        .size:           4
        .value_kind:     by_value
      - .offset:         136
        .size:           4
        .value_kind:     by_value
      - .offset:         144
        .size:           4
        .value_kind:     hidden_block_count_x
      - .offset:         148
        .size:           4
        .value_kind:     hidden_block_count_y
      - .offset:         152
        .size:           4
        .value_kind:     hidden_block_count_z
      - .offset:         156
        .size:           2
        .value_kind:     hidden_group_size_x
      - .offset:         158
        .size:           2
        .value_kind:     hidden_group_size_y
      - .offset:         160
        .size:           2
        .value_kind:     hidden_group_size_z
      - .offset:         162
        .size:           2
        .value_kind:     hidden_remainder_x
      - .offset:         164
        .size:           2
        .value_kind:     hidden_remainder_y
      - .offset:         166
        .size:           2
        .value_kind:     hidden_remainder_z
      - .offset:         184
        .size:           8
        .value_kind:     hidden_global_offset_x
      - .offset:         192
        .size:           8
        .value_kind:     hidden_global_offset_y
      - .offset:         200
        .size:           8
        .value_kind:     hidden_global_offset_z
      - .offset:         208
        .size:           2
        .value_kind:     hidden_grid_dims
      - .offset:         264
        .size:           4
        .value_kind:     hidden_dynamic_lds_size
    .group_segment_fixed_size: 224
    .kernarg_segment_align: 8
    .kernarg_segment_size: 400
    .language:       OpenCL C
    .language_version:
      - 2
      - 0
    .max_flat_workgroup_size: 1024
    .name:           _ZN4vllm25paged_attention_v2_kernelI14__hip_bfloat16hLi96ELi8ELi128ELNS_18Fp8KVCacheDataTypeE1ELb1ELi512EEEvPfS3_PT_PKS4_PKT0_SA_ifPKiSC_iPKfiiiSE_SE_iiiii
    .private_segment_fixed_size: 0
    .sgpr_count:     51
    .sgpr_spill_count: 0
    .symbol:         _ZN4vllm25paged_attention_v2_kernelI14__hip_bfloat16hLi96ELi8ELi128ELNS_18Fp8KVCacheDataTypeE1ELb1ELi512EEEvPfS3_PT_PKS4_PKT0_SA_ifPKiSC_iPKfiiiSE_SE_iiiii.kd
    .uniform_work_group_size: 1
    .uses_dynamic_stack: false
    .vgpr_count:     101
    .vgpr_spill_count: 0
    .wavefront_size: 32
    .workgroup_processor_mode: 1
  - .args:
      - .actual_access:  write_only
        .address_space:  global
        .offset:         0
        .size:           8
        .value_kind:     global_buffer
      - .actual_access:  write_only
        .address_space:  global
        .offset:         8
        .size:           8
        .value_kind:     global_buffer
      - .actual_access:  write_only
        .address_space:  global
        .offset:         16
        .size:           8
        .value_kind:     global_buffer
      - .actual_access:  read_only
        .address_space:  global
        .offset:         24
        .size:           8
        .value_kind:     global_buffer
      - .actual_access:  read_only
        .address_space:  global
        .offset:         32
        .size:           8
        .value_kind:     global_buffer
      - .actual_access:  read_only
        .address_space:  global
        .offset:         40
        .size:           8
        .value_kind:     global_buffer
      - .offset:         48
        .size:           4
        .value_kind:     by_value
      - .offset:         52
        .size:           4
        .value_kind:     by_value
      - .actual_access:  read_only
        .address_space:  global
        .offset:         56
        .size:           8
        .value_kind:     global_buffer
      - .actual_access:  read_only
        .address_space:  global
        .offset:         64
        .size:           8
        .value_kind:     global_buffer
      - .offset:         72
        .size:           4
        .value_kind:     by_value
      - .actual_access:  read_only
        .address_space:  global
        .offset:         80
        .size:           8
        .value_kind:     global_buffer
      - .offset:         88
        .size:           4
        .value_kind:     by_value
      - .offset:         92
        .size:           4
        .value_kind:     by_value
      - .offset:         96
        .size:           4
        .value_kind:     by_value
      - .address_space:  global
        .offset:         104
        .size:           8
        .value_kind:     global_buffer
      - .address_space:  global
        .offset:         112
        .size:           8
        .value_kind:     global_buffer
      - .offset:         120
        .size:           4
        .value_kind:     by_value
      - .offset:         124
        .size:           4
        .value_kind:     by_value
      - .offset:         128
        .size:           4
        .value_kind:     by_value
      - .offset:         132
        .size:           4
        .value_kind:     by_value
      - .offset:         136
        .size:           4
        .value_kind:     by_value
      - .offset:         144
        .size:           4
        .value_kind:     hidden_block_count_x
      - .offset:         148
        .size:           4
        .value_kind:     hidden_block_count_y
      - .offset:         152
        .size:           4
        .value_kind:     hidden_block_count_z
      - .offset:         156
        .size:           2
        .value_kind:     hidden_group_size_x
      - .offset:         158
        .size:           2
        .value_kind:     hidden_group_size_y
      - .offset:         160
        .size:           2
        .value_kind:     hidden_group_size_z
      - .offset:         162
        .size:           2
        .value_kind:     hidden_remainder_x
      - .offset:         164
        .size:           2
        .value_kind:     hidden_remainder_y
      - .offset:         166
        .size:           2
        .value_kind:     hidden_remainder_z
      - .offset:         184
        .size:           8
        .value_kind:     hidden_global_offset_x
      - .offset:         192
        .size:           8
        .value_kind:     hidden_global_offset_y
      - .offset:         200
        .size:           8
        .value_kind:     hidden_global_offset_z
      - .offset:         208
        .size:           2
        .value_kind:     hidden_grid_dims
      - .offset:         264
        .size:           4
        .value_kind:     hidden_dynamic_lds_size
    .group_segment_fixed_size: 256
    .kernarg_segment_align: 8
    .kernarg_segment_size: 400
    .language:       OpenCL C
    .language_version:
      - 2
      - 0
    .max_flat_workgroup_size: 1024
    .name:           _ZN4vllm25paged_attention_v2_kernelI14__hip_bfloat16hLi112ELi8ELi128ELNS_18Fp8KVCacheDataTypeE1ELb1ELi512EEEvPfS3_PT_PKS4_PKT0_SA_ifPKiSC_iPKfiiiSE_SE_iiiii
    .private_segment_fixed_size: 0
    .sgpr_count:     55
    .sgpr_spill_count: 0
    .symbol:         _ZN4vllm25paged_attention_v2_kernelI14__hip_bfloat16hLi112ELi8ELi128ELNS_18Fp8KVCacheDataTypeE1ELb1ELi512EEEvPfS3_PT_PKS4_PKT0_SA_ifPKiSC_iPKfiiiSE_SE_iiiii.kd
    .uniform_work_group_size: 1
    .uses_dynamic_stack: false
    .vgpr_count:     127
    .vgpr_spill_count: 0
    .wavefront_size: 32
    .workgroup_processor_mode: 1
  - .args:
      - .actual_access:  write_only
        .address_space:  global
        .offset:         0
        .size:           8
        .value_kind:     global_buffer
      - .actual_access:  write_only
        .address_space:  global
        .offset:         8
        .size:           8
        .value_kind:     global_buffer
      - .actual_access:  write_only
        .address_space:  global
        .offset:         16
        .size:           8
        .value_kind:     global_buffer
      - .actual_access:  read_only
        .address_space:  global
        .offset:         24
        .size:           8
        .value_kind:     global_buffer
      - .actual_access:  read_only
        .address_space:  global
        .offset:         32
        .size:           8
        .value_kind:     global_buffer
      - .actual_access:  read_only
        .address_space:  global
        .offset:         40
        .size:           8
        .value_kind:     global_buffer
      - .offset:         48
        .size:           4
        .value_kind:     by_value
      - .offset:         52
        .size:           4
        .value_kind:     by_value
      - .actual_access:  read_only
        .address_space:  global
        .offset:         56
        .size:           8
        .value_kind:     global_buffer
      - .actual_access:  read_only
        .address_space:  global
        .offset:         64
        .size:           8
        .value_kind:     global_buffer
      - .offset:         72
        .size:           4
        .value_kind:     by_value
      - .actual_access:  read_only
        .address_space:  global
        .offset:         80
        .size:           8
        .value_kind:     global_buffer
      - .offset:         88
        .size:           4
        .value_kind:     by_value
      - .offset:         92
        .size:           4
        .value_kind:     by_value
      - .offset:         96
        .size:           4
        .value_kind:     by_value
      - .address_space:  global
        .offset:         104
        .size:           8
        .value_kind:     global_buffer
      - .address_space:  global
        .offset:         112
        .size:           8
        .value_kind:     global_buffer
      - .offset:         120
        .size:           4
        .value_kind:     by_value
      - .offset:         124
        .size:           4
        .value_kind:     by_value
      - .offset:         128
        .size:           4
        .value_kind:     by_value
      - .offset:         132
        .size:           4
        .value_kind:     by_value
      - .offset:         136
        .size:           4
        .value_kind:     by_value
      - .offset:         144
        .size:           4
        .value_kind:     hidden_block_count_x
      - .offset:         148
        .size:           4
        .value_kind:     hidden_block_count_y
      - .offset:         152
        .size:           4
        .value_kind:     hidden_block_count_z
      - .offset:         156
        .size:           2
        .value_kind:     hidden_group_size_x
      - .offset:         158
        .size:           2
        .value_kind:     hidden_group_size_y
      - .offset:         160
        .size:           2
        .value_kind:     hidden_group_size_z
      - .offset:         162
        .size:           2
        .value_kind:     hidden_remainder_x
      - .offset:         164
        .size:           2
        .value_kind:     hidden_remainder_y
      - .offset:         166
        .size:           2
        .value_kind:     hidden_remainder_z
      - .offset:         184
        .size:           8
        .value_kind:     hidden_global_offset_x
      - .offset:         192
        .size:           8
        .value_kind:     hidden_global_offset_y
      - .offset:         200
        .size:           8
        .value_kind:     hidden_global_offset_z
      - .offset:         208
        .size:           2
        .value_kind:     hidden_grid_dims
      - .offset:         264
        .size:           4
        .value_kind:     hidden_dynamic_lds_size
    .group_segment_fixed_size: 272
    .kernarg_segment_align: 8
    .kernarg_segment_size: 400
    .language:       OpenCL C
    .language_version:
      - 2
      - 0
    .max_flat_workgroup_size: 1024
    .name:           _ZN4vllm25paged_attention_v2_kernelI14__hip_bfloat16hLi120ELi8ELi128ELNS_18Fp8KVCacheDataTypeE1ELb1ELi512EEEvPfS3_PT_PKS4_PKT0_SA_ifPKiSC_iPKfiiiSE_SE_iiiii
    .private_segment_fixed_size: 0
    .sgpr_count:     55
    .sgpr_spill_count: 0
    .symbol:         _ZN4vllm25paged_attention_v2_kernelI14__hip_bfloat16hLi120ELi8ELi128ELNS_18Fp8KVCacheDataTypeE1ELb1ELi512EEEvPfS3_PT_PKS4_PKT0_SA_ifPKiSC_iPKfiiiSE_SE_iiiii.kd
    .uniform_work_group_size: 1
    .uses_dynamic_stack: false
    .vgpr_count:     128
    .vgpr_spill_count: 0
    .wavefront_size: 32
    .workgroup_processor_mode: 1
  - .args:
      - .actual_access:  write_only
        .address_space:  global
        .offset:         0
        .size:           8
        .value_kind:     global_buffer
      - .actual_access:  write_only
        .address_space:  global
        .offset:         8
        .size:           8
        .value_kind:     global_buffer
      - .actual_access:  write_only
        .address_space:  global
        .offset:         16
        .size:           8
        .value_kind:     global_buffer
      - .actual_access:  read_only
        .address_space:  global
        .offset:         24
        .size:           8
        .value_kind:     global_buffer
      - .actual_access:  read_only
        .address_space:  global
        .offset:         32
        .size:           8
        .value_kind:     global_buffer
      - .actual_access:  read_only
        .address_space:  global
        .offset:         40
        .size:           8
        .value_kind:     global_buffer
      - .offset:         48
        .size:           4
        .value_kind:     by_value
      - .offset:         52
        .size:           4
        .value_kind:     by_value
      - .actual_access:  read_only
        .address_space:  global
        .offset:         56
        .size:           8
        .value_kind:     global_buffer
      - .actual_access:  read_only
        .address_space:  global
        .offset:         64
        .size:           8
        .value_kind:     global_buffer
      - .offset:         72
        .size:           4
        .value_kind:     by_value
      - .actual_access:  read_only
        .address_space:  global
        .offset:         80
        .size:           8
        .value_kind:     global_buffer
      - .offset:         88
        .size:           4
        .value_kind:     by_value
      - .offset:         92
        .size:           4
        .value_kind:     by_value
      - .offset:         96
        .size:           4
        .value_kind:     by_value
      - .address_space:  global
        .offset:         104
        .size:           8
        .value_kind:     global_buffer
      - .address_space:  global
        .offset:         112
        .size:           8
        .value_kind:     global_buffer
      - .offset:         120
        .size:           4
        .value_kind:     by_value
      - .offset:         124
        .size:           4
        .value_kind:     by_value
      - .offset:         128
        .size:           4
        .value_kind:     by_value
      - .offset:         132
        .size:           4
        .value_kind:     by_value
      - .offset:         136
        .size:           4
        .value_kind:     by_value
      - .offset:         144
        .size:           4
        .value_kind:     hidden_block_count_x
      - .offset:         148
        .size:           4
        .value_kind:     hidden_block_count_y
      - .offset:         152
        .size:           4
        .value_kind:     hidden_block_count_z
      - .offset:         156
        .size:           2
        .value_kind:     hidden_group_size_x
      - .offset:         158
        .size:           2
        .value_kind:     hidden_group_size_y
      - .offset:         160
        .size:           2
        .value_kind:     hidden_group_size_z
      - .offset:         162
        .size:           2
        .value_kind:     hidden_remainder_x
      - .offset:         164
        .size:           2
        .value_kind:     hidden_remainder_y
      - .offset:         166
        .size:           2
        .value_kind:     hidden_remainder_z
      - .offset:         184
        .size:           8
        .value_kind:     hidden_global_offset_x
      - .offset:         192
        .size:           8
        .value_kind:     hidden_global_offset_y
      - .offset:         200
        .size:           8
        .value_kind:     hidden_global_offset_z
      - .offset:         208
        .size:           2
        .value_kind:     hidden_grid_dims
      - .offset:         264
        .size:           4
        .value_kind:     hidden_dynamic_lds_size
    .group_segment_fixed_size: 288
    .kernarg_segment_align: 8
    .kernarg_segment_size: 400
    .language:       OpenCL C
    .language_version:
      - 2
      - 0
    .max_flat_workgroup_size: 1024
    .name:           _ZN4vllm25paged_attention_v2_kernelI14__hip_bfloat16hLi128ELi8ELi128ELNS_18Fp8KVCacheDataTypeE1ELb1ELi512EEEvPfS3_PT_PKS4_PKT0_SA_ifPKiSC_iPKfiiiSE_SE_iiiii
    .private_segment_fixed_size: 0
    .sgpr_count:     61
    .sgpr_spill_count: 0
    .symbol:         _ZN4vllm25paged_attention_v2_kernelI14__hip_bfloat16hLi128ELi8ELi128ELNS_18Fp8KVCacheDataTypeE1ELb1ELi512EEEvPfS3_PT_PKS4_PKT0_SA_ifPKiSC_iPKfiiiSE_SE_iiiii.kd
    .uniform_work_group_size: 1
    .uses_dynamic_stack: false
    .vgpr_count:     101
    .vgpr_spill_count: 0
    .wavefront_size: 32
    .workgroup_processor_mode: 1
  - .args:
      - .actual_access:  write_only
        .address_space:  global
        .offset:         0
        .size:           8
        .value_kind:     global_buffer
      - .actual_access:  write_only
        .address_space:  global
        .offset:         8
        .size:           8
        .value_kind:     global_buffer
      - .actual_access:  write_only
        .address_space:  global
        .offset:         16
        .size:           8
        .value_kind:     global_buffer
      - .actual_access:  read_only
        .address_space:  global
        .offset:         24
        .size:           8
        .value_kind:     global_buffer
      - .actual_access:  read_only
        .address_space:  global
        .offset:         32
        .size:           8
        .value_kind:     global_buffer
      - .actual_access:  read_only
        .address_space:  global
        .offset:         40
        .size:           8
        .value_kind:     global_buffer
      - .offset:         48
        .size:           4
        .value_kind:     by_value
      - .offset:         52
        .size:           4
        .value_kind:     by_value
      - .actual_access:  read_only
        .address_space:  global
        .offset:         56
        .size:           8
        .value_kind:     global_buffer
      - .actual_access:  read_only
        .address_space:  global
        .offset:         64
        .size:           8
        .value_kind:     global_buffer
      - .offset:         72
        .size:           4
        .value_kind:     by_value
      - .actual_access:  read_only
        .address_space:  global
        .offset:         80
        .size:           8
        .value_kind:     global_buffer
      - .offset:         88
        .size:           4
        .value_kind:     by_value
      - .offset:         92
        .size:           4
        .value_kind:     by_value
      - .offset:         96
        .size:           4
        .value_kind:     by_value
      - .address_space:  global
        .offset:         104
        .size:           8
        .value_kind:     global_buffer
      - .address_space:  global
        .offset:         112
        .size:           8
        .value_kind:     global_buffer
      - .offset:         120
        .size:           4
        .value_kind:     by_value
      - .offset:         124
        .size:           4
        .value_kind:     by_value
      - .offset:         128
        .size:           4
        .value_kind:     by_value
      - .offset:         132
        .size:           4
        .value_kind:     by_value
      - .offset:         136
        .size:           4
        .value_kind:     by_value
      - .offset:         144
        .size:           4
        .value_kind:     hidden_block_count_x
      - .offset:         148
        .size:           4
        .value_kind:     hidden_block_count_y
      - .offset:         152
        .size:           4
        .value_kind:     hidden_block_count_z
      - .offset:         156
        .size:           2
        .value_kind:     hidden_group_size_x
      - .offset:         158
        .size:           2
        .value_kind:     hidden_group_size_y
      - .offset:         160
        .size:           2
        .value_kind:     hidden_group_size_z
      - .offset:         162
        .size:           2
        .value_kind:     hidden_remainder_x
      - .offset:         164
        .size:           2
        .value_kind:     hidden_remainder_y
      - .offset:         166
        .size:           2
        .value_kind:     hidden_remainder_z
      - .offset:         184
        .size:           8
        .value_kind:     hidden_global_offset_x
      - .offset:         192
        .size:           8
        .value_kind:     hidden_global_offset_y
      - .offset:         200
        .size:           8
        .value_kind:     hidden_global_offset_z
      - .offset:         208
        .size:           2
        .value_kind:     hidden_grid_dims
      - .offset:         264
        .size:           4
        .value_kind:     hidden_dynamic_lds_size
    .group_segment_fixed_size: 416
    .kernarg_segment_align: 8
    .kernarg_segment_size: 400
    .language:       OpenCL C
    .language_version:
      - 2
      - 0
    .max_flat_workgroup_size: 1024
    .name:           _ZN4vllm25paged_attention_v2_kernelI14__hip_bfloat16hLi192ELi8ELi128ELNS_18Fp8KVCacheDataTypeE1ELb1ELi512EEEvPfS3_PT_PKS4_PKT0_SA_ifPKiSC_iPKfiiiSE_SE_iiiii
    .private_segment_fixed_size: 0
    .sgpr_count:     64
    .sgpr_spill_count: 0
    .symbol:         _ZN4vllm25paged_attention_v2_kernelI14__hip_bfloat16hLi192ELi8ELi128ELNS_18Fp8KVCacheDataTypeE1ELb1ELi512EEEvPfS3_PT_PKS4_PKT0_SA_ifPKiSC_iPKfiiiSE_SE_iiiii.kd
    .uniform_work_group_size: 1
    .uses_dynamic_stack: false
    .vgpr_count:     126
    .vgpr_spill_count: 0
    .wavefront_size: 32
    .workgroup_processor_mode: 1
  - .args:
      - .actual_access:  write_only
        .address_space:  global
        .offset:         0
        .size:           8
        .value_kind:     global_buffer
      - .actual_access:  write_only
        .address_space:  global
        .offset:         8
        .size:           8
        .value_kind:     global_buffer
      - .actual_access:  write_only
        .address_space:  global
        .offset:         16
        .size:           8
        .value_kind:     global_buffer
      - .actual_access:  read_only
        .address_space:  global
        .offset:         24
        .size:           8
        .value_kind:     global_buffer
      - .actual_access:  read_only
        .address_space:  global
        .offset:         32
        .size:           8
        .value_kind:     global_buffer
      - .actual_access:  read_only
        .address_space:  global
        .offset:         40
        .size:           8
        .value_kind:     global_buffer
      - .offset:         48
        .size:           4
        .value_kind:     by_value
      - .offset:         52
        .size:           4
        .value_kind:     by_value
      - .actual_access:  read_only
        .address_space:  global
        .offset:         56
        .size:           8
        .value_kind:     global_buffer
      - .actual_access:  read_only
        .address_space:  global
        .offset:         64
        .size:           8
        .value_kind:     global_buffer
      - .offset:         72
        .size:           4
        .value_kind:     by_value
      - .actual_access:  read_only
        .address_space:  global
        .offset:         80
        .size:           8
        .value_kind:     global_buffer
      - .offset:         88
        .size:           4
        .value_kind:     by_value
      - .offset:         92
        .size:           4
        .value_kind:     by_value
      - .offset:         96
        .size:           4
        .value_kind:     by_value
      - .address_space:  global
        .offset:         104
        .size:           8
        .value_kind:     global_buffer
      - .address_space:  global
        .offset:         112
        .size:           8
        .value_kind:     global_buffer
      - .offset:         120
        .size:           4
        .value_kind:     by_value
      - .offset:         124
        .size:           4
        .value_kind:     by_value
      - .offset:         128
        .size:           4
        .value_kind:     by_value
      - .offset:         132
        .size:           4
        .value_kind:     by_value
      - .offset:         136
        .size:           4
        .value_kind:     by_value
      - .offset:         144
        .size:           4
        .value_kind:     hidden_block_count_x
      - .offset:         148
        .size:           4
        .value_kind:     hidden_block_count_y
      - .offset:         152
        .size:           4
        .value_kind:     hidden_block_count_z
      - .offset:         156
        .size:           2
        .value_kind:     hidden_group_size_x
      - .offset:         158
        .size:           2
        .value_kind:     hidden_group_size_y
      - .offset:         160
        .size:           2
        .value_kind:     hidden_group_size_z
      - .offset:         162
        .size:           2
        .value_kind:     hidden_remainder_x
      - .offset:         164
        .size:           2
        .value_kind:     hidden_remainder_y
      - .offset:         166
        .size:           2
        .value_kind:     hidden_remainder_z
      - .offset:         184
        .size:           8
        .value_kind:     hidden_global_offset_x
      - .offset:         192
        .size:           8
        .value_kind:     hidden_global_offset_y
      - .offset:         200
        .size:           8
        .value_kind:     hidden_global_offset_z
      - .offset:         208
        .size:           2
        .value_kind:     hidden_grid_dims
      - .offset:         264
        .size:           4
        .value_kind:     hidden_dynamic_lds_size
    .group_segment_fixed_size: 544
    .kernarg_segment_align: 8
    .kernarg_segment_size: 400
    .language:       OpenCL C
    .language_version:
      - 2
      - 0
    .max_flat_workgroup_size: 1024
    .name:           _ZN4vllm25paged_attention_v2_kernelI14__hip_bfloat16hLi256ELi8ELi128ELNS_18Fp8KVCacheDataTypeE1ELb1ELi512EEEvPfS3_PT_PKS4_PKT0_SA_ifPKiSC_iPKfiiiSE_SE_iiiii
    .private_segment_fixed_size: 0
    .sgpr_count:     64
    .sgpr_spill_count: 0
    .symbol:         _ZN4vllm25paged_attention_v2_kernelI14__hip_bfloat16hLi256ELi8ELi128ELNS_18Fp8KVCacheDataTypeE1ELb1ELi512EEEvPfS3_PT_PKS4_PKT0_SA_ifPKiSC_iPKfiiiSE_SE_iiiii.kd
    .uniform_work_group_size: 1
    .uses_dynamic_stack: false
    .vgpr_count:     136
    .vgpr_spill_count: 0
    .wavefront_size: 32
    .workgroup_processor_mode: 1
  - .args:
      - .actual_access:  write_only
        .address_space:  global
        .offset:         0
        .size:           8
        .value_kind:     global_buffer
      - .actual_access:  write_only
        .address_space:  global
        .offset:         8
        .size:           8
        .value_kind:     global_buffer
      - .actual_access:  write_only
        .address_space:  global
        .offset:         16
        .size:           8
        .value_kind:     global_buffer
      - .actual_access:  read_only
        .address_space:  global
        .offset:         24
        .size:           8
        .value_kind:     global_buffer
      - .actual_access:  read_only
        .address_space:  global
        .offset:         32
        .size:           8
        .value_kind:     global_buffer
      - .actual_access:  read_only
        .address_space:  global
        .offset:         40
        .size:           8
        .value_kind:     global_buffer
      - .offset:         48
        .size:           4
        .value_kind:     by_value
      - .offset:         52
        .size:           4
        .value_kind:     by_value
      - .actual_access:  read_only
        .address_space:  global
        .offset:         56
        .size:           8
        .value_kind:     global_buffer
      - .actual_access:  read_only
        .address_space:  global
        .offset:         64
        .size:           8
        .value_kind:     global_buffer
      - .offset:         72
        .size:           4
        .value_kind:     by_value
      - .actual_access:  read_only
        .address_space:  global
        .offset:         80
        .size:           8
        .value_kind:     global_buffer
      - .offset:         88
        .size:           4
        .value_kind:     by_value
      - .offset:         92
        .size:           4
        .value_kind:     by_value
      - .offset:         96
        .size:           4
        .value_kind:     by_value
      - .address_space:  global
        .offset:         104
        .size:           8
        .value_kind:     global_buffer
      - .address_space:  global
        .offset:         112
        .size:           8
        .value_kind:     global_buffer
      - .offset:         120
        .size:           4
        .value_kind:     by_value
      - .offset:         124
        .size:           4
        .value_kind:     by_value
      - .offset:         128
        .size:           4
        .value_kind:     by_value
      - .offset:         132
        .size:           4
        .value_kind:     by_value
      - .offset:         136
        .size:           4
        .value_kind:     by_value
      - .offset:         144
        .size:           4
        .value_kind:     hidden_block_count_x
      - .offset:         148
        .size:           4
        .value_kind:     hidden_block_count_y
      - .offset:         152
        .size:           4
        .value_kind:     hidden_block_count_z
      - .offset:         156
        .size:           2
        .value_kind:     hidden_group_size_x
      - .offset:         158
        .size:           2
        .value_kind:     hidden_group_size_y
      - .offset:         160
        .size:           2
        .value_kind:     hidden_group_size_z
      - .offset:         162
        .size:           2
        .value_kind:     hidden_remainder_x
      - .offset:         164
        .size:           2
        .value_kind:     hidden_remainder_y
      - .offset:         166
        .size:           2
        .value_kind:     hidden_remainder_z
      - .offset:         184
        .size:           8
        .value_kind:     hidden_global_offset_x
      - .offset:         192
        .size:           8
        .value_kind:     hidden_global_offset_y
      - .offset:         200
        .size:           8
        .value_kind:     hidden_global_offset_z
      - .offset:         208
        .size:           2
        .value_kind:     hidden_grid_dims
      - .offset:         264
        .size:           4
        .value_kind:     hidden_dynamic_lds_size
    .group_segment_fixed_size: 96
    .kernarg_segment_align: 8
    .kernarg_segment_size: 400
    .language:       OpenCL C
    .language_version:
      - 2
      - 0
    .max_flat_workgroup_size: 1024
    .name:           _ZN4vllm25paged_attention_v2_kernelI14__hip_bfloat16hLi32ELi8ELi128ELNS_18Fp8KVCacheDataTypeE1ELb0ELi512EEEvPfS3_PT_PKS4_PKT0_SA_ifPKiSC_iPKfiiiSE_SE_iiiii
    .private_segment_fixed_size: 0
    .sgpr_count:     40
    .sgpr_spill_count: 0
    .symbol:         _ZN4vllm25paged_attention_v2_kernelI14__hip_bfloat16hLi32ELi8ELi128ELNS_18Fp8KVCacheDataTypeE1ELb0ELi512EEEvPfS3_PT_PKS4_PKT0_SA_ifPKiSC_iPKfiiiSE_SE_iiiii.kd
    .uniform_work_group_size: 1
    .uses_dynamic_stack: false
    .vgpr_count:     50
    .vgpr_spill_count: 0
    .wavefront_size: 32
    .workgroup_processor_mode: 1
  - .args:
      - .actual_access:  write_only
        .address_space:  global
        .offset:         0
        .size:           8
        .value_kind:     global_buffer
      - .actual_access:  write_only
        .address_space:  global
        .offset:         8
        .size:           8
        .value_kind:     global_buffer
      - .actual_access:  write_only
        .address_space:  global
        .offset:         16
        .size:           8
        .value_kind:     global_buffer
      - .actual_access:  read_only
        .address_space:  global
        .offset:         24
        .size:           8
        .value_kind:     global_buffer
      - .actual_access:  read_only
        .address_space:  global
        .offset:         32
        .size:           8
        .value_kind:     global_buffer
      - .actual_access:  read_only
        .address_space:  global
        .offset:         40
        .size:           8
        .value_kind:     global_buffer
      - .offset:         48
        .size:           4
        .value_kind:     by_value
      - .offset:         52
        .size:           4
        .value_kind:     by_value
      - .actual_access:  read_only
        .address_space:  global
        .offset:         56
        .size:           8
        .value_kind:     global_buffer
      - .actual_access:  read_only
        .address_space:  global
        .offset:         64
        .size:           8
        .value_kind:     global_buffer
      - .offset:         72
        .size:           4
        .value_kind:     by_value
      - .actual_access:  read_only
        .address_space:  global
        .offset:         80
        .size:           8
        .value_kind:     global_buffer
      - .offset:         88
        .size:           4
        .value_kind:     by_value
      - .offset:         92
        .size:           4
        .value_kind:     by_value
      - .offset:         96
        .size:           4
        .value_kind:     by_value
      - .address_space:  global
        .offset:         104
        .size:           8
        .value_kind:     global_buffer
      - .address_space:  global
        .offset:         112
        .size:           8
        .value_kind:     global_buffer
      - .offset:         120
        .size:           4
        .value_kind:     by_value
      - .offset:         124
        .size:           4
        .value_kind:     by_value
      - .offset:         128
        .size:           4
        .value_kind:     by_value
      - .offset:         132
        .size:           4
        .value_kind:     by_value
      - .offset:         136
        .size:           4
        .value_kind:     by_value
      - .offset:         144
        .size:           4
        .value_kind:     hidden_block_count_x
      - .offset:         148
        .size:           4
        .value_kind:     hidden_block_count_y
      - .offset:         152
        .size:           4
        .value_kind:     hidden_block_count_z
      - .offset:         156
        .size:           2
        .value_kind:     hidden_group_size_x
      - .offset:         158
        .size:           2
        .value_kind:     hidden_group_size_y
      - .offset:         160
        .size:           2
        .value_kind:     hidden_group_size_z
      - .offset:         162
        .size:           2
        .value_kind:     hidden_remainder_x
      - .offset:         164
        .size:           2
        .value_kind:     hidden_remainder_y
      - .offset:         166
        .size:           2
        .value_kind:     hidden_remainder_z
      - .offset:         184
        .size:           8
        .value_kind:     hidden_global_offset_x
      - .offset:         192
        .size:           8
        .value_kind:     hidden_global_offset_y
      - .offset:         200
        .size:           8
        .value_kind:     hidden_global_offset_z
      - .offset:         208
        .size:           2
        .value_kind:     hidden_grid_dims
      - .offset:         264
        .size:           4
        .value_kind:     hidden_dynamic_lds_size
    .group_segment_fixed_size: 160
    .kernarg_segment_align: 8
    .kernarg_segment_size: 400
    .language:       OpenCL C
    .language_version:
      - 2
      - 0
    .max_flat_workgroup_size: 1024
    .name:           _ZN4vllm25paged_attention_v2_kernelI14__hip_bfloat16hLi64ELi8ELi128ELNS_18Fp8KVCacheDataTypeE1ELb0ELi512EEEvPfS3_PT_PKS4_PKT0_SA_ifPKiSC_iPKfiiiSE_SE_iiiii
    .private_segment_fixed_size: 0
    .sgpr_count:     38
    .sgpr_spill_count: 0
    .symbol:         _ZN4vllm25paged_attention_v2_kernelI14__hip_bfloat16hLi64ELi8ELi128ELNS_18Fp8KVCacheDataTypeE1ELb0ELi512EEEvPfS3_PT_PKS4_PKT0_SA_ifPKiSC_iPKfiiiSE_SE_iiiii.kd
    .uniform_work_group_size: 1
    .uses_dynamic_stack: false
    .vgpr_count:     82
    .vgpr_spill_count: 0
    .wavefront_size: 32
    .workgroup_processor_mode: 1
  - .args:
      - .actual_access:  write_only
        .address_space:  global
        .offset:         0
        .size:           8
        .value_kind:     global_buffer
      - .actual_access:  write_only
        .address_space:  global
        .offset:         8
        .size:           8
        .value_kind:     global_buffer
      - .actual_access:  write_only
        .address_space:  global
        .offset:         16
        .size:           8
        .value_kind:     global_buffer
      - .actual_access:  read_only
        .address_space:  global
        .offset:         24
        .size:           8
        .value_kind:     global_buffer
      - .actual_access:  read_only
        .address_space:  global
        .offset:         32
        .size:           8
        .value_kind:     global_buffer
      - .actual_access:  read_only
        .address_space:  global
        .offset:         40
        .size:           8
        .value_kind:     global_buffer
      - .offset:         48
        .size:           4
        .value_kind:     by_value
      - .offset:         52
        .size:           4
        .value_kind:     by_value
      - .actual_access:  read_only
        .address_space:  global
        .offset:         56
        .size:           8
        .value_kind:     global_buffer
      - .actual_access:  read_only
        .address_space:  global
        .offset:         64
        .size:           8
        .value_kind:     global_buffer
      - .offset:         72
        .size:           4
        .value_kind:     by_value
      - .actual_access:  read_only
        .address_space:  global
        .offset:         80
        .size:           8
        .value_kind:     global_buffer
      - .offset:         88
        .size:           4
        .value_kind:     by_value
      - .offset:         92
        .size:           4
        .value_kind:     by_value
      - .offset:         96
        .size:           4
        .value_kind:     by_value
      - .address_space:  global
        .offset:         104
        .size:           8
        .value_kind:     global_buffer
      - .address_space:  global
        .offset:         112
        .size:           8
        .value_kind:     global_buffer
      - .offset:         120
        .size:           4
        .value_kind:     by_value
      - .offset:         124
        .size:           4
        .value_kind:     by_value
      - .offset:         128
        .size:           4
        .value_kind:     by_value
      - .offset:         132
        .size:           4
        .value_kind:     by_value
      - .offset:         136
        .size:           4
        .value_kind:     by_value
      - .offset:         144
        .size:           4
        .value_kind:     hidden_block_count_x
      - .offset:         148
        .size:           4
        .value_kind:     hidden_block_count_y
      - .offset:         152
        .size:           4
        .value_kind:     hidden_block_count_z
      - .offset:         156
        .size:           2
        .value_kind:     hidden_group_size_x
      - .offset:         158
        .size:           2
        .value_kind:     hidden_group_size_y
      - .offset:         160
        .size:           2
        .value_kind:     hidden_group_size_z
      - .offset:         162
        .size:           2
        .value_kind:     hidden_remainder_x
      - .offset:         164
        .size:           2
        .value_kind:     hidden_remainder_y
      - .offset:         166
        .size:           2
        .value_kind:     hidden_remainder_z
      - .offset:         184
        .size:           8
        .value_kind:     hidden_global_offset_x
      - .offset:         192
        .size:           8
        .value_kind:     hidden_global_offset_y
      - .offset:         200
        .size:           8
        .value_kind:     hidden_global_offset_z
      - .offset:         208
        .size:           2
        .value_kind:     hidden_grid_dims
      - .offset:         264
        .size:           4
        .value_kind:     hidden_dynamic_lds_size
    .group_segment_fixed_size: 192
    .kernarg_segment_align: 8
    .kernarg_segment_size: 400
    .language:       OpenCL C
    .language_version:
      - 2
      - 0
    .max_flat_workgroup_size: 1024
    .name:           _ZN4vllm25paged_attention_v2_kernelI14__hip_bfloat16hLi80ELi8ELi128ELNS_18Fp8KVCacheDataTypeE1ELb0ELi512EEEvPfS3_PT_PKS4_PKT0_SA_ifPKiSC_iPKfiiiSE_SE_iiiii
    .private_segment_fixed_size: 0
    .sgpr_count:     40
    .sgpr_spill_count: 0
    .symbol:         _ZN4vllm25paged_attention_v2_kernelI14__hip_bfloat16hLi80ELi8ELi128ELNS_18Fp8KVCacheDataTypeE1ELb0ELi512EEEvPfS3_PT_PKS4_PKT0_SA_ifPKiSC_iPKfiiiSE_SE_iiiii.kd
    .uniform_work_group_size: 1
    .uses_dynamic_stack: false
    .vgpr_count:     98
    .vgpr_spill_count: 0
    .wavefront_size: 32
    .workgroup_processor_mode: 1
  - .args:
      - .actual_access:  write_only
        .address_space:  global
        .offset:         0
        .size:           8
        .value_kind:     global_buffer
      - .actual_access:  write_only
        .address_space:  global
        .offset:         8
        .size:           8
        .value_kind:     global_buffer
      - .actual_access:  write_only
        .address_space:  global
        .offset:         16
        .size:           8
        .value_kind:     global_buffer
      - .actual_access:  read_only
        .address_space:  global
        .offset:         24
        .size:           8
        .value_kind:     global_buffer
      - .actual_access:  read_only
        .address_space:  global
        .offset:         32
        .size:           8
        .value_kind:     global_buffer
      - .actual_access:  read_only
        .address_space:  global
        .offset:         40
        .size:           8
        .value_kind:     global_buffer
      - .offset:         48
        .size:           4
        .value_kind:     by_value
      - .offset:         52
        .size:           4
        .value_kind:     by_value
      - .actual_access:  read_only
        .address_space:  global
        .offset:         56
        .size:           8
        .value_kind:     global_buffer
      - .actual_access:  read_only
        .address_space:  global
        .offset:         64
        .size:           8
        .value_kind:     global_buffer
      - .offset:         72
        .size:           4
        .value_kind:     by_value
      - .actual_access:  read_only
        .address_space:  global
        .offset:         80
        .size:           8
        .value_kind:     global_buffer
      - .offset:         88
        .size:           4
        .value_kind:     by_value
      - .offset:         92
        .size:           4
        .value_kind:     by_value
      - .offset:         96
        .size:           4
        .value_kind:     by_value
      - .address_space:  global
        .offset:         104
        .size:           8
        .value_kind:     global_buffer
      - .address_space:  global
        .offset:         112
        .size:           8
        .value_kind:     global_buffer
      - .offset:         120
        .size:           4
        .value_kind:     by_value
      - .offset:         124
        .size:           4
        .value_kind:     by_value
      - .offset:         128
        .size:           4
        .value_kind:     by_value
      - .offset:         132
        .size:           4
        .value_kind:     by_value
      - .offset:         136
        .size:           4
        .value_kind:     by_value
      - .offset:         144
        .size:           4
        .value_kind:     hidden_block_count_x
      - .offset:         148
        .size:           4
        .value_kind:     hidden_block_count_y
      - .offset:         152
        .size:           4
        .value_kind:     hidden_block_count_z
      - .offset:         156
        .size:           2
        .value_kind:     hidden_group_size_x
      - .offset:         158
        .size:           2
        .value_kind:     hidden_group_size_y
      - .offset:         160
        .size:           2
        .value_kind:     hidden_group_size_z
      - .offset:         162
        .size:           2
        .value_kind:     hidden_remainder_x
      - .offset:         164
        .size:           2
        .value_kind:     hidden_remainder_y
      - .offset:         166
        .size:           2
        .value_kind:     hidden_remainder_z
      - .offset:         184
        .size:           8
        .value_kind:     hidden_global_offset_x
      - .offset:         192
        .size:           8
        .value_kind:     hidden_global_offset_y
      - .offset:         200
        .size:           8
        .value_kind:     hidden_global_offset_z
      - .offset:         208
        .size:           2
        .value_kind:     hidden_grid_dims
      - .offset:         264
        .size:           4
        .value_kind:     hidden_dynamic_lds_size
    .group_segment_fixed_size: 224
    .kernarg_segment_align: 8
    .kernarg_segment_size: 400
    .language:       OpenCL C
    .language_version:
      - 2
      - 0
    .max_flat_workgroup_size: 1024
    .name:           _ZN4vllm25paged_attention_v2_kernelI14__hip_bfloat16hLi96ELi8ELi128ELNS_18Fp8KVCacheDataTypeE1ELb0ELi512EEEvPfS3_PT_PKS4_PKT0_SA_ifPKiSC_iPKfiiiSE_SE_iiiii
    .private_segment_fixed_size: 0
    .sgpr_count:     40
    .sgpr_spill_count: 0
    .symbol:         _ZN4vllm25paged_attention_v2_kernelI14__hip_bfloat16hLi96ELi8ELi128ELNS_18Fp8KVCacheDataTypeE1ELb0ELi512EEEvPfS3_PT_PKS4_PKT0_SA_ifPKiSC_iPKfiiiSE_SE_iiiii.kd
    .uniform_work_group_size: 1
    .uses_dynamic_stack: false
    .vgpr_count:     114
    .vgpr_spill_count: 0
    .wavefront_size: 32
    .workgroup_processor_mode: 1
  - .args:
      - .actual_access:  write_only
        .address_space:  global
        .offset:         0
        .size:           8
        .value_kind:     global_buffer
      - .actual_access:  write_only
        .address_space:  global
        .offset:         8
        .size:           8
        .value_kind:     global_buffer
      - .actual_access:  write_only
        .address_space:  global
        .offset:         16
        .size:           8
        .value_kind:     global_buffer
      - .actual_access:  read_only
        .address_space:  global
        .offset:         24
        .size:           8
        .value_kind:     global_buffer
      - .actual_access:  read_only
        .address_space:  global
        .offset:         32
        .size:           8
        .value_kind:     global_buffer
      - .actual_access:  read_only
        .address_space:  global
        .offset:         40
        .size:           8
        .value_kind:     global_buffer
      - .offset:         48
        .size:           4
        .value_kind:     by_value
      - .offset:         52
        .size:           4
        .value_kind:     by_value
      - .actual_access:  read_only
        .address_space:  global
        .offset:         56
        .size:           8
        .value_kind:     global_buffer
      - .actual_access:  read_only
        .address_space:  global
        .offset:         64
        .size:           8
        .value_kind:     global_buffer
      - .offset:         72
        .size:           4
        .value_kind:     by_value
      - .actual_access:  read_only
        .address_space:  global
        .offset:         80
        .size:           8
        .value_kind:     global_buffer
      - .offset:         88
        .size:           4
        .value_kind:     by_value
      - .offset:         92
        .size:           4
        .value_kind:     by_value
      - .offset:         96
        .size:           4
        .value_kind:     by_value
      - .address_space:  global
        .offset:         104
        .size:           8
        .value_kind:     global_buffer
      - .address_space:  global
        .offset:         112
        .size:           8
        .value_kind:     global_buffer
      - .offset:         120
        .size:           4
        .value_kind:     by_value
      - .offset:         124
        .size:           4
        .value_kind:     by_value
      - .offset:         128
        .size:           4
        .value_kind:     by_value
      - .offset:         132
        .size:           4
        .value_kind:     by_value
      - .offset:         136
        .size:           4
        .value_kind:     by_value
      - .offset:         144
        .size:           4
        .value_kind:     hidden_block_count_x
      - .offset:         148
        .size:           4
        .value_kind:     hidden_block_count_y
      - .offset:         152
        .size:           4
        .value_kind:     hidden_block_count_z
      - .offset:         156
        .size:           2
        .value_kind:     hidden_group_size_x
      - .offset:         158
        .size:           2
        .value_kind:     hidden_group_size_y
      - .offset:         160
        .size:           2
        .value_kind:     hidden_group_size_z
      - .offset:         162
        .size:           2
        .value_kind:     hidden_remainder_x
      - .offset:         164
        .size:           2
        .value_kind:     hidden_remainder_y
      - .offset:         166
        .size:           2
        .value_kind:     hidden_remainder_z
      - .offset:         184
        .size:           8
        .value_kind:     hidden_global_offset_x
      - .offset:         192
        .size:           8
        .value_kind:     hidden_global_offset_y
      - .offset:         200
        .size:           8
        .value_kind:     hidden_global_offset_z
      - .offset:         208
        .size:           2
        .value_kind:     hidden_grid_dims
      - .offset:         264
        .size:           4
        .value_kind:     hidden_dynamic_lds_size
    .group_segment_fixed_size: 256
    .kernarg_segment_align: 8
    .kernarg_segment_size: 400
    .language:       OpenCL C
    .language_version:
      - 2
      - 0
    .max_flat_workgroup_size: 1024
    .name:           _ZN4vllm25paged_attention_v2_kernelI14__hip_bfloat16hLi112ELi8ELi128ELNS_18Fp8KVCacheDataTypeE1ELb0ELi512EEEvPfS3_PT_PKS4_PKT0_SA_ifPKiSC_iPKfiiiSE_SE_iiiii
    .private_segment_fixed_size: 0
    .sgpr_count:     40
    .sgpr_spill_count: 0
    .symbol:         _ZN4vllm25paged_attention_v2_kernelI14__hip_bfloat16hLi112ELi8ELi128ELNS_18Fp8KVCacheDataTypeE1ELb0ELi512EEEvPfS3_PT_PKS4_PKT0_SA_ifPKiSC_iPKfiiiSE_SE_iiiii.kd
    .uniform_work_group_size: 1
    .uses_dynamic_stack: false
    .vgpr_count:     128
    .vgpr_spill_count: 0
    .wavefront_size: 32
    .workgroup_processor_mode: 1
  - .args:
      - .actual_access:  write_only
        .address_space:  global
        .offset:         0
        .size:           8
        .value_kind:     global_buffer
      - .actual_access:  write_only
        .address_space:  global
        .offset:         8
        .size:           8
        .value_kind:     global_buffer
      - .actual_access:  write_only
        .address_space:  global
        .offset:         16
        .size:           8
        .value_kind:     global_buffer
      - .actual_access:  read_only
        .address_space:  global
        .offset:         24
        .size:           8
        .value_kind:     global_buffer
      - .actual_access:  read_only
        .address_space:  global
        .offset:         32
        .size:           8
        .value_kind:     global_buffer
      - .actual_access:  read_only
        .address_space:  global
        .offset:         40
        .size:           8
        .value_kind:     global_buffer
      - .offset:         48
        .size:           4
        .value_kind:     by_value
      - .offset:         52
        .size:           4
        .value_kind:     by_value
      - .actual_access:  read_only
        .address_space:  global
        .offset:         56
        .size:           8
        .value_kind:     global_buffer
      - .actual_access:  read_only
        .address_space:  global
        .offset:         64
        .size:           8
        .value_kind:     global_buffer
      - .offset:         72
        .size:           4
        .value_kind:     by_value
      - .actual_access:  read_only
        .address_space:  global
        .offset:         80
        .size:           8
        .value_kind:     global_buffer
      - .offset:         88
        .size:           4
        .value_kind:     by_value
      - .offset:         92
        .size:           4
        .value_kind:     by_value
      - .offset:         96
        .size:           4
        .value_kind:     by_value
      - .address_space:  global
        .offset:         104
        .size:           8
        .value_kind:     global_buffer
      - .address_space:  global
        .offset:         112
        .size:           8
        .value_kind:     global_buffer
      - .offset:         120
        .size:           4
        .value_kind:     by_value
      - .offset:         124
        .size:           4
        .value_kind:     by_value
      - .offset:         128
        .size:           4
        .value_kind:     by_value
      - .offset:         132
        .size:           4
        .value_kind:     by_value
      - .offset:         136
        .size:           4
        .value_kind:     by_value
      - .offset:         144
        .size:           4
        .value_kind:     hidden_block_count_x
      - .offset:         148
        .size:           4
        .value_kind:     hidden_block_count_y
      - .offset:         152
        .size:           4
        .value_kind:     hidden_block_count_z
      - .offset:         156
        .size:           2
        .value_kind:     hidden_group_size_x
      - .offset:         158
        .size:           2
        .value_kind:     hidden_group_size_y
      - .offset:         160
        .size:           2
        .value_kind:     hidden_group_size_z
      - .offset:         162
        .size:           2
        .value_kind:     hidden_remainder_x
      - .offset:         164
        .size:           2
        .value_kind:     hidden_remainder_y
      - .offset:         166
        .size:           2
        .value_kind:     hidden_remainder_z
      - .offset:         184
        .size:           8
        .value_kind:     hidden_global_offset_x
      - .offset:         192
        .size:           8
        .value_kind:     hidden_global_offset_y
      - .offset:         200
        .size:           8
        .value_kind:     hidden_global_offset_z
      - .offset:         208
        .size:           2
        .value_kind:     hidden_grid_dims
      - .offset:         264
        .size:           4
        .value_kind:     hidden_dynamic_lds_size
    .group_segment_fixed_size: 272
    .kernarg_segment_align: 8
    .kernarg_segment_size: 400
    .language:       OpenCL C
    .language_version:
      - 2
      - 0
    .max_flat_workgroup_size: 1024
    .name:           _ZN4vllm25paged_attention_v2_kernelI14__hip_bfloat16hLi120ELi8ELi128ELNS_18Fp8KVCacheDataTypeE1ELb0ELi512EEEvPfS3_PT_PKS4_PKT0_SA_ifPKiSC_iPKfiiiSE_SE_iiiii
    .private_segment_fixed_size: 0
    .sgpr_count:     40
    .sgpr_spill_count: 0
    .symbol:         _ZN4vllm25paged_attention_v2_kernelI14__hip_bfloat16hLi120ELi8ELi128ELNS_18Fp8KVCacheDataTypeE1ELb0ELi512EEEvPfS3_PT_PKS4_PKT0_SA_ifPKiSC_iPKfiiiSE_SE_iiiii.kd
    .uniform_work_group_size: 1
    .uses_dynamic_stack: false
    .vgpr_count:     128
    .vgpr_spill_count: 0
    .wavefront_size: 32
    .workgroup_processor_mode: 1
  - .args:
      - .actual_access:  write_only
        .address_space:  global
        .offset:         0
        .size:           8
        .value_kind:     global_buffer
      - .actual_access:  write_only
        .address_space:  global
        .offset:         8
        .size:           8
        .value_kind:     global_buffer
      - .actual_access:  write_only
        .address_space:  global
        .offset:         16
        .size:           8
        .value_kind:     global_buffer
      - .actual_access:  read_only
        .address_space:  global
        .offset:         24
        .size:           8
        .value_kind:     global_buffer
      - .actual_access:  read_only
        .address_space:  global
        .offset:         32
        .size:           8
        .value_kind:     global_buffer
      - .actual_access:  read_only
        .address_space:  global
        .offset:         40
        .size:           8
        .value_kind:     global_buffer
      - .offset:         48
        .size:           4
        .value_kind:     by_value
      - .offset:         52
        .size:           4
        .value_kind:     by_value
      - .actual_access:  read_only
        .address_space:  global
        .offset:         56
        .size:           8
        .value_kind:     global_buffer
      - .actual_access:  read_only
        .address_space:  global
        .offset:         64
        .size:           8
        .value_kind:     global_buffer
      - .offset:         72
        .size:           4
        .value_kind:     by_value
      - .actual_access:  read_only
        .address_space:  global
        .offset:         80
        .size:           8
        .value_kind:     global_buffer
      - .offset:         88
        .size:           4
        .value_kind:     by_value
      - .offset:         92
        .size:           4
        .value_kind:     by_value
      - .offset:         96
        .size:           4
        .value_kind:     by_value
      - .address_space:  global
        .offset:         104
        .size:           8
        .value_kind:     global_buffer
      - .address_space:  global
        .offset:         112
        .size:           8
        .value_kind:     global_buffer
      - .offset:         120
        .size:           4
        .value_kind:     by_value
      - .offset:         124
        .size:           4
        .value_kind:     by_value
      - .offset:         128
        .size:           4
        .value_kind:     by_value
      - .offset:         132
        .size:           4
        .value_kind:     by_value
      - .offset:         136
        .size:           4
        .value_kind:     by_value
      - .offset:         144
        .size:           4
        .value_kind:     hidden_block_count_x
      - .offset:         148
        .size:           4
        .value_kind:     hidden_block_count_y
      - .offset:         152
        .size:           4
        .value_kind:     hidden_block_count_z
      - .offset:         156
        .size:           2
        .value_kind:     hidden_group_size_x
      - .offset:         158
        .size:           2
        .value_kind:     hidden_group_size_y
      - .offset:         160
        .size:           2
        .value_kind:     hidden_group_size_z
      - .offset:         162
        .size:           2
        .value_kind:     hidden_remainder_x
      - .offset:         164
        .size:           2
        .value_kind:     hidden_remainder_y
      - .offset:         166
        .size:           2
        .value_kind:     hidden_remainder_z
      - .offset:         184
        .size:           8
        .value_kind:     hidden_global_offset_x
      - .offset:         192
        .size:           8
        .value_kind:     hidden_global_offset_y
      - .offset:         200
        .size:           8
        .value_kind:     hidden_global_offset_z
      - .offset:         208
        .size:           2
        .value_kind:     hidden_grid_dims
      - .offset:         264
        .size:           4
        .value_kind:     hidden_dynamic_lds_size
    .group_segment_fixed_size: 288
    .kernarg_segment_align: 8
    .kernarg_segment_size: 400
    .language:       OpenCL C
    .language_version:
      - 2
      - 0
    .max_flat_workgroup_size: 1024
    .name:           _ZN4vllm25paged_attention_v2_kernelI14__hip_bfloat16hLi128ELi8ELi128ELNS_18Fp8KVCacheDataTypeE1ELb0ELi512EEEvPfS3_PT_PKS4_PKT0_SA_ifPKiSC_iPKfiiiSE_SE_iiiii
    .private_segment_fixed_size: 0
    .sgpr_count:     42
    .sgpr_spill_count: 0
    .symbol:         _ZN4vllm25paged_attention_v2_kernelI14__hip_bfloat16hLi128ELi8ELi128ELNS_18Fp8KVCacheDataTypeE1ELb0ELi512EEEvPfS3_PT_PKS4_PKT0_SA_ifPKiSC_iPKfiiiSE_SE_iiiii.kd
    .uniform_work_group_size: 1
    .uses_dynamic_stack: false
    .vgpr_count:     128
    .vgpr_spill_count: 0
    .wavefront_size: 32
    .workgroup_processor_mode: 1
  - .args:
      - .actual_access:  write_only
        .address_space:  global
        .offset:         0
        .size:           8
        .value_kind:     global_buffer
      - .actual_access:  write_only
        .address_space:  global
        .offset:         8
        .size:           8
        .value_kind:     global_buffer
      - .actual_access:  write_only
        .address_space:  global
        .offset:         16
        .size:           8
        .value_kind:     global_buffer
      - .actual_access:  read_only
        .address_space:  global
        .offset:         24
        .size:           8
        .value_kind:     global_buffer
      - .actual_access:  read_only
        .address_space:  global
        .offset:         32
        .size:           8
        .value_kind:     global_buffer
      - .actual_access:  read_only
        .address_space:  global
        .offset:         40
        .size:           8
        .value_kind:     global_buffer
      - .offset:         48
        .size:           4
        .value_kind:     by_value
      - .offset:         52
        .size:           4
        .value_kind:     by_value
      - .actual_access:  read_only
        .address_space:  global
        .offset:         56
        .size:           8
        .value_kind:     global_buffer
      - .actual_access:  read_only
        .address_space:  global
        .offset:         64
        .size:           8
        .value_kind:     global_buffer
      - .offset:         72
        .size:           4
        .value_kind:     by_value
      - .actual_access:  read_only
        .address_space:  global
        .offset:         80
        .size:           8
        .value_kind:     global_buffer
      - .offset:         88
        .size:           4
        .value_kind:     by_value
      - .offset:         92
        .size:           4
        .value_kind:     by_value
      - .offset:         96
        .size:           4
        .value_kind:     by_value
      - .address_space:  global
        .offset:         104
        .size:           8
        .value_kind:     global_buffer
      - .address_space:  global
        .offset:         112
        .size:           8
        .value_kind:     global_buffer
      - .offset:         120
        .size:           4
        .value_kind:     by_value
      - .offset:         124
        .size:           4
        .value_kind:     by_value
      - .offset:         128
        .size:           4
        .value_kind:     by_value
      - .offset:         132
        .size:           4
        .value_kind:     by_value
      - .offset:         136
        .size:           4
        .value_kind:     by_value
      - .offset:         144
        .size:           4
        .value_kind:     hidden_block_count_x
      - .offset:         148
        .size:           4
        .value_kind:     hidden_block_count_y
      - .offset:         152
        .size:           4
        .value_kind:     hidden_block_count_z
      - .offset:         156
        .size:           2
        .value_kind:     hidden_group_size_x
      - .offset:         158
        .size:           2
        .value_kind:     hidden_group_size_y
      - .offset:         160
        .size:           2
        .value_kind:     hidden_group_size_z
      - .offset:         162
        .size:           2
        .value_kind:     hidden_remainder_x
      - .offset:         164
        .size:           2
        .value_kind:     hidden_remainder_y
      - .offset:         166
        .size:           2
        .value_kind:     hidden_remainder_z
      - .offset:         184
        .size:           8
        .value_kind:     hidden_global_offset_x
      - .offset:         192
        .size:           8
        .value_kind:     hidden_global_offset_y
      - .offset:         200
        .size:           8
        .value_kind:     hidden_global_offset_z
      - .offset:         208
        .size:           2
        .value_kind:     hidden_grid_dims
      - .offset:         264
        .size:           4
        .value_kind:     hidden_dynamic_lds_size
    .group_segment_fixed_size: 416
    .kernarg_segment_align: 8
    .kernarg_segment_size: 400
    .language:       OpenCL C
    .language_version:
      - 2
      - 0
    .max_flat_workgroup_size: 1024
    .name:           _ZN4vllm25paged_attention_v2_kernelI14__hip_bfloat16hLi192ELi8ELi128ELNS_18Fp8KVCacheDataTypeE1ELb0ELi512EEEvPfS3_PT_PKS4_PKT0_SA_ifPKiSC_iPKfiiiSE_SE_iiiii
    .private_segment_fixed_size: 0
    .sgpr_count:     56
    .sgpr_spill_count: 0
    .symbol:         _ZN4vllm25paged_attention_v2_kernelI14__hip_bfloat16hLi192ELi8ELi128ELNS_18Fp8KVCacheDataTypeE1ELb0ELi512EEEvPfS3_PT_PKS4_PKT0_SA_ifPKiSC_iPKfiiiSE_SE_iiiii.kd
    .uniform_work_group_size: 1
    .uses_dynamic_stack: false
    .vgpr_count:     137
    .vgpr_spill_count: 0
    .wavefront_size: 32
    .workgroup_processor_mode: 1
  - .args:
      - .actual_access:  write_only
        .address_space:  global
        .offset:         0
        .size:           8
        .value_kind:     global_buffer
      - .actual_access:  write_only
        .address_space:  global
        .offset:         8
        .size:           8
        .value_kind:     global_buffer
      - .actual_access:  write_only
        .address_space:  global
        .offset:         16
        .size:           8
        .value_kind:     global_buffer
      - .actual_access:  read_only
        .address_space:  global
        .offset:         24
        .size:           8
        .value_kind:     global_buffer
      - .actual_access:  read_only
        .address_space:  global
        .offset:         32
        .size:           8
        .value_kind:     global_buffer
      - .actual_access:  read_only
        .address_space:  global
        .offset:         40
        .size:           8
        .value_kind:     global_buffer
      - .offset:         48
        .size:           4
        .value_kind:     by_value
      - .offset:         52
        .size:           4
        .value_kind:     by_value
      - .actual_access:  read_only
        .address_space:  global
        .offset:         56
        .size:           8
        .value_kind:     global_buffer
      - .actual_access:  read_only
        .address_space:  global
        .offset:         64
        .size:           8
        .value_kind:     global_buffer
      - .offset:         72
        .size:           4
        .value_kind:     by_value
      - .actual_access:  read_only
        .address_space:  global
        .offset:         80
        .size:           8
        .value_kind:     global_buffer
      - .offset:         88
        .size:           4
        .value_kind:     by_value
      - .offset:         92
        .size:           4
        .value_kind:     by_value
      - .offset:         96
        .size:           4
        .value_kind:     by_value
      - .address_space:  global
        .offset:         104
        .size:           8
        .value_kind:     global_buffer
      - .address_space:  global
        .offset:         112
        .size:           8
        .value_kind:     global_buffer
      - .offset:         120
        .size:           4
        .value_kind:     by_value
      - .offset:         124
        .size:           4
        .value_kind:     by_value
      - .offset:         128
        .size:           4
        .value_kind:     by_value
      - .offset:         132
        .size:           4
        .value_kind:     by_value
      - .offset:         136
        .size:           4
        .value_kind:     by_value
      - .offset:         144
        .size:           4
        .value_kind:     hidden_block_count_x
      - .offset:         148
        .size:           4
        .value_kind:     hidden_block_count_y
      - .offset:         152
        .size:           4
        .value_kind:     hidden_block_count_z
      - .offset:         156
        .size:           2
        .value_kind:     hidden_group_size_x
      - .offset:         158
        .size:           2
        .value_kind:     hidden_group_size_y
      - .offset:         160
        .size:           2
        .value_kind:     hidden_group_size_z
      - .offset:         162
        .size:           2
        .value_kind:     hidden_remainder_x
      - .offset:         164
        .size:           2
        .value_kind:     hidden_remainder_y
      - .offset:         166
        .size:           2
        .value_kind:     hidden_remainder_z
      - .offset:         184
        .size:           8
        .value_kind:     hidden_global_offset_x
      - .offset:         192
        .size:           8
        .value_kind:     hidden_global_offset_y
      - .offset:         200
        .size:           8
        .value_kind:     hidden_global_offset_z
      - .offset:         208
        .size:           2
        .value_kind:     hidden_grid_dims
      - .offset:         264
        .size:           4
        .value_kind:     hidden_dynamic_lds_size
    .group_segment_fixed_size: 544
    .kernarg_segment_align: 8
    .kernarg_segment_size: 400
    .language:       OpenCL C
    .language_version:
      - 2
      - 0
    .max_flat_workgroup_size: 1024
    .name:           _ZN4vllm25paged_attention_v2_kernelI14__hip_bfloat16hLi256ELi8ELi128ELNS_18Fp8KVCacheDataTypeE1ELb0ELi512EEEvPfS3_PT_PKS4_PKT0_SA_ifPKiSC_iPKfiiiSE_SE_iiiii
    .private_segment_fixed_size: 0
    .sgpr_count:     73
    .sgpr_spill_count: 0
    .symbol:         _ZN4vllm25paged_attention_v2_kernelI14__hip_bfloat16hLi256ELi8ELi128ELNS_18Fp8KVCacheDataTypeE1ELb0ELi512EEEvPfS3_PT_PKS4_PKT0_SA_ifPKiSC_iPKfiiiSE_SE_iiiii.kd
    .uniform_work_group_size: 1
    .uses_dynamic_stack: false
    .vgpr_count:     192
    .vgpr_spill_count: 0
    .wavefront_size: 32
    .workgroup_processor_mode: 1
  - .args:
      - .actual_access:  write_only
        .address_space:  global
        .offset:         0
        .size:           8
        .value_kind:     global_buffer
      - .actual_access:  write_only
        .address_space:  global
        .offset:         8
        .size:           8
        .value_kind:     global_buffer
      - .actual_access:  write_only
        .address_space:  global
        .offset:         16
        .size:           8
        .value_kind:     global_buffer
      - .actual_access:  read_only
        .address_space:  global
        .offset:         24
        .size:           8
        .value_kind:     global_buffer
      - .actual_access:  read_only
        .address_space:  global
        .offset:         32
        .size:           8
        .value_kind:     global_buffer
      - .actual_access:  read_only
        .address_space:  global
        .offset:         40
        .size:           8
        .value_kind:     global_buffer
      - .offset:         48
        .size:           4
        .value_kind:     by_value
      - .offset:         52
        .size:           4
        .value_kind:     by_value
      - .actual_access:  read_only
        .address_space:  global
        .offset:         56
        .size:           8
        .value_kind:     global_buffer
      - .actual_access:  read_only
        .address_space:  global
        .offset:         64
        .size:           8
        .value_kind:     global_buffer
      - .offset:         72
        .size:           4
        .value_kind:     by_value
      - .actual_access:  read_only
        .address_space:  global
        .offset:         80
        .size:           8
        .value_kind:     global_buffer
      - .offset:         88
        .size:           4
        .value_kind:     by_value
      - .offset:         92
        .size:           4
        .value_kind:     by_value
      - .offset:         96
        .size:           4
        .value_kind:     by_value
      - .address_space:  global
        .offset:         104
        .size:           8
        .value_kind:     global_buffer
      - .address_space:  global
        .offset:         112
        .size:           8
        .value_kind:     global_buffer
      - .offset:         120
        .size:           4
        .value_kind:     by_value
      - .offset:         124
        .size:           4
        .value_kind:     by_value
      - .offset:         128
        .size:           4
        .value_kind:     by_value
      - .offset:         132
        .size:           4
        .value_kind:     by_value
      - .offset:         136
        .size:           4
        .value_kind:     by_value
      - .offset:         144
        .size:           4
        .value_kind:     hidden_block_count_x
      - .offset:         148
        .size:           4
        .value_kind:     hidden_block_count_y
      - .offset:         152
        .size:           4
        .value_kind:     hidden_block_count_z
      - .offset:         156
        .size:           2
        .value_kind:     hidden_group_size_x
      - .offset:         158
        .size:           2
        .value_kind:     hidden_group_size_y
      - .offset:         160
        .size:           2
        .value_kind:     hidden_group_size_z
      - .offset:         162
        .size:           2
        .value_kind:     hidden_remainder_x
      - .offset:         164
        .size:           2
        .value_kind:     hidden_remainder_y
      - .offset:         166
        .size:           2
        .value_kind:     hidden_remainder_z
      - .offset:         184
        .size:           8
        .value_kind:     hidden_global_offset_x
      - .offset:         192
        .size:           8
        .value_kind:     hidden_global_offset_y
      - .offset:         200
        .size:           8
        .value_kind:     hidden_global_offset_z
      - .offset:         208
        .size:           2
        .value_kind:     hidden_grid_dims
      - .offset:         264
        .size:           4
        .value_kind:     hidden_dynamic_lds_size
    .group_segment_fixed_size: 96
    .kernarg_segment_align: 8
    .kernarg_segment_size: 400
    .language:       OpenCL C
    .language_version:
      - 2
      - 0
    .max_flat_workgroup_size: 1024
    .name:           _ZN4vllm25paged_attention_v2_kernelI14__hip_bfloat16hLi32ELi16ELi128ELNS_18Fp8KVCacheDataTypeE1ELb1ELi512EEEvPfS3_PT_PKS4_PKT0_SA_ifPKiSC_iPKfiiiSE_SE_iiiii
    .private_segment_fixed_size: 0
    .sgpr_count:     47
    .sgpr_spill_count: 0
    .symbol:         _ZN4vllm25paged_attention_v2_kernelI14__hip_bfloat16hLi32ELi16ELi128ELNS_18Fp8KVCacheDataTypeE1ELb1ELi512EEEvPfS3_PT_PKS4_PKT0_SA_ifPKiSC_iPKfiiiSE_SE_iiiii.kd
    .uniform_work_group_size: 1
    .uses_dynamic_stack: false
    .vgpr_count:     86
    .vgpr_spill_count: 0
    .wavefront_size: 32
    .workgroup_processor_mode: 1
  - .args:
      - .actual_access:  write_only
        .address_space:  global
        .offset:         0
        .size:           8
        .value_kind:     global_buffer
      - .actual_access:  write_only
        .address_space:  global
        .offset:         8
        .size:           8
        .value_kind:     global_buffer
      - .actual_access:  write_only
        .address_space:  global
        .offset:         16
        .size:           8
        .value_kind:     global_buffer
      - .actual_access:  read_only
        .address_space:  global
        .offset:         24
        .size:           8
        .value_kind:     global_buffer
      - .actual_access:  read_only
        .address_space:  global
        .offset:         32
        .size:           8
        .value_kind:     global_buffer
      - .actual_access:  read_only
        .address_space:  global
        .offset:         40
        .size:           8
        .value_kind:     global_buffer
      - .offset:         48
        .size:           4
        .value_kind:     by_value
      - .offset:         52
        .size:           4
        .value_kind:     by_value
      - .actual_access:  read_only
        .address_space:  global
        .offset:         56
        .size:           8
        .value_kind:     global_buffer
      - .actual_access:  read_only
        .address_space:  global
        .offset:         64
        .size:           8
        .value_kind:     global_buffer
      - .offset:         72
        .size:           4
        .value_kind:     by_value
      - .actual_access:  read_only
        .address_space:  global
        .offset:         80
        .size:           8
        .value_kind:     global_buffer
      - .offset:         88
        .size:           4
        .value_kind:     by_value
      - .offset:         92
        .size:           4
        .value_kind:     by_value
      - .offset:         96
        .size:           4
        .value_kind:     by_value
      - .address_space:  global
        .offset:         104
        .size:           8
        .value_kind:     global_buffer
      - .address_space:  global
        .offset:         112
        .size:           8
        .value_kind:     global_buffer
      - .offset:         120
        .size:           4
        .value_kind:     by_value
      - .offset:         124
        .size:           4
        .value_kind:     by_value
      - .offset:         128
        .size:           4
        .value_kind:     by_value
      - .offset:         132
        .size:           4
        .value_kind:     by_value
      - .offset:         136
        .size:           4
        .value_kind:     by_value
      - .offset:         144
        .size:           4
        .value_kind:     hidden_block_count_x
      - .offset:         148
        .size:           4
        .value_kind:     hidden_block_count_y
      - .offset:         152
        .size:           4
        .value_kind:     hidden_block_count_z
      - .offset:         156
        .size:           2
        .value_kind:     hidden_group_size_x
      - .offset:         158
        .size:           2
        .value_kind:     hidden_group_size_y
      - .offset:         160
        .size:           2
        .value_kind:     hidden_group_size_z
      - .offset:         162
        .size:           2
        .value_kind:     hidden_remainder_x
      - .offset:         164
        .size:           2
        .value_kind:     hidden_remainder_y
      - .offset:         166
        .size:           2
        .value_kind:     hidden_remainder_z
      - .offset:         184
        .size:           8
        .value_kind:     hidden_global_offset_x
      - .offset:         192
        .size:           8
        .value_kind:     hidden_global_offset_y
      - .offset:         200
        .size:           8
        .value_kind:     hidden_global_offset_z
      - .offset:         208
        .size:           2
        .value_kind:     hidden_grid_dims
      - .offset:         264
        .size:           4
        .value_kind:     hidden_dynamic_lds_size
    .group_segment_fixed_size: 160
    .kernarg_segment_align: 8
    .kernarg_segment_size: 400
    .language:       OpenCL C
    .language_version:
      - 2
      - 0
    .max_flat_workgroup_size: 1024
    .name:           _ZN4vllm25paged_attention_v2_kernelI14__hip_bfloat16hLi64ELi16ELi128ELNS_18Fp8KVCacheDataTypeE1ELb1ELi512EEEvPfS3_PT_PKS4_PKT0_SA_ifPKiSC_iPKfiiiSE_SE_iiiii
    .private_segment_fixed_size: 0
    .sgpr_count:     54
    .sgpr_spill_count: 0
    .symbol:         _ZN4vllm25paged_attention_v2_kernelI14__hip_bfloat16hLi64ELi16ELi128ELNS_18Fp8KVCacheDataTypeE1ELb1ELi512EEEvPfS3_PT_PKS4_PKT0_SA_ifPKiSC_iPKfiiiSE_SE_iiiii.kd
    .uniform_work_group_size: 1
    .uses_dynamic_stack: false
    .vgpr_count:     128
    .vgpr_spill_count: 0
    .wavefront_size: 32
    .workgroup_processor_mode: 1
  - .args:
      - .actual_access:  write_only
        .address_space:  global
        .offset:         0
        .size:           8
        .value_kind:     global_buffer
      - .actual_access:  write_only
        .address_space:  global
        .offset:         8
        .size:           8
        .value_kind:     global_buffer
      - .actual_access:  write_only
        .address_space:  global
        .offset:         16
        .size:           8
        .value_kind:     global_buffer
      - .actual_access:  read_only
        .address_space:  global
        .offset:         24
        .size:           8
        .value_kind:     global_buffer
      - .actual_access:  read_only
        .address_space:  global
        .offset:         32
        .size:           8
        .value_kind:     global_buffer
      - .actual_access:  read_only
        .address_space:  global
        .offset:         40
        .size:           8
        .value_kind:     global_buffer
      - .offset:         48
        .size:           4
        .value_kind:     by_value
      - .offset:         52
        .size:           4
        .value_kind:     by_value
      - .actual_access:  read_only
        .address_space:  global
        .offset:         56
        .size:           8
        .value_kind:     global_buffer
      - .actual_access:  read_only
        .address_space:  global
        .offset:         64
        .size:           8
        .value_kind:     global_buffer
      - .offset:         72
        .size:           4
        .value_kind:     by_value
      - .actual_access:  read_only
        .address_space:  global
        .offset:         80
        .size:           8
        .value_kind:     global_buffer
      - .offset:         88
        .size:           4
        .value_kind:     by_value
      - .offset:         92
        .size:           4
        .value_kind:     by_value
      - .offset:         96
        .size:           4
        .value_kind:     by_value
      - .address_space:  global
        .offset:         104
        .size:           8
        .value_kind:     global_buffer
      - .address_space:  global
        .offset:         112
        .size:           8
        .value_kind:     global_buffer
      - .offset:         120
        .size:           4
        .value_kind:     by_value
      - .offset:         124
        .size:           4
        .value_kind:     by_value
      - .offset:         128
        .size:           4
        .value_kind:     by_value
      - .offset:         132
        .size:           4
        .value_kind:     by_value
      - .offset:         136
        .size:           4
        .value_kind:     by_value
      - .offset:         144
        .size:           4
        .value_kind:     hidden_block_count_x
      - .offset:         148
        .size:           4
        .value_kind:     hidden_block_count_y
      - .offset:         152
        .size:           4
        .value_kind:     hidden_block_count_z
      - .offset:         156
        .size:           2
        .value_kind:     hidden_group_size_x
      - .offset:         158
        .size:           2
        .value_kind:     hidden_group_size_y
      - .offset:         160
        .size:           2
        .value_kind:     hidden_group_size_z
      - .offset:         162
        .size:           2
        .value_kind:     hidden_remainder_x
      - .offset:         164
        .size:           2
        .value_kind:     hidden_remainder_y
      - .offset:         166
        .size:           2
        .value_kind:     hidden_remainder_z
      - .offset:         184
        .size:           8
        .value_kind:     hidden_global_offset_x
      - .offset:         192
        .size:           8
        .value_kind:     hidden_global_offset_y
      - .offset:         200
        .size:           8
        .value_kind:     hidden_global_offset_z
      - .offset:         208
        .size:           2
        .value_kind:     hidden_grid_dims
      - .offset:         264
        .size:           4
        .value_kind:     hidden_dynamic_lds_size
    .group_segment_fixed_size: 192
    .kernarg_segment_align: 8
    .kernarg_segment_size: 400
    .language:       OpenCL C
    .language_version:
      - 2
      - 0
    .max_flat_workgroup_size: 1024
    .name:           _ZN4vllm25paged_attention_v2_kernelI14__hip_bfloat16hLi80ELi16ELi128ELNS_18Fp8KVCacheDataTypeE1ELb1ELi512EEEvPfS3_PT_PKS4_PKT0_SA_ifPKiSC_iPKfiiiSE_SE_iiiii
    .private_segment_fixed_size: 0
    .sgpr_count:     71
    .sgpr_spill_count: 0
    .symbol:         _ZN4vllm25paged_attention_v2_kernelI14__hip_bfloat16hLi80ELi16ELi128ELNS_18Fp8KVCacheDataTypeE1ELb1ELi512EEEvPfS3_PT_PKS4_PKT0_SA_ifPKiSC_iPKfiiiSE_SE_iiiii.kd
    .uniform_work_group_size: 1
    .uses_dynamic_stack: false
    .vgpr_count:     128
    .vgpr_spill_count: 0
    .wavefront_size: 32
    .workgroup_processor_mode: 1
  - .args:
      - .actual_access:  write_only
        .address_space:  global
        .offset:         0
        .size:           8
        .value_kind:     global_buffer
      - .actual_access:  write_only
        .address_space:  global
        .offset:         8
        .size:           8
        .value_kind:     global_buffer
      - .actual_access:  write_only
        .address_space:  global
        .offset:         16
        .size:           8
        .value_kind:     global_buffer
      - .actual_access:  read_only
        .address_space:  global
        .offset:         24
        .size:           8
        .value_kind:     global_buffer
      - .actual_access:  read_only
        .address_space:  global
        .offset:         32
        .size:           8
        .value_kind:     global_buffer
      - .actual_access:  read_only
        .address_space:  global
        .offset:         40
        .size:           8
        .value_kind:     global_buffer
      - .offset:         48
        .size:           4
        .value_kind:     by_value
      - .offset:         52
        .size:           4
        .value_kind:     by_value
      - .actual_access:  read_only
        .address_space:  global
        .offset:         56
        .size:           8
        .value_kind:     global_buffer
      - .actual_access:  read_only
        .address_space:  global
        .offset:         64
        .size:           8
        .value_kind:     global_buffer
      - .offset:         72
        .size:           4
        .value_kind:     by_value
      - .actual_access:  read_only
        .address_space:  global
        .offset:         80
        .size:           8
        .value_kind:     global_buffer
      - .offset:         88
        .size:           4
        .value_kind:     by_value
      - .offset:         92
        .size:           4
        .value_kind:     by_value
      - .offset:         96
        .size:           4
        .value_kind:     by_value
      - .address_space:  global
        .offset:         104
        .size:           8
        .value_kind:     global_buffer
      - .address_space:  global
        .offset:         112
        .size:           8
        .value_kind:     global_buffer
      - .offset:         120
        .size:           4
        .value_kind:     by_value
      - .offset:         124
        .size:           4
        .value_kind:     by_value
      - .offset:         128
        .size:           4
        .value_kind:     by_value
      - .offset:         132
        .size:           4
        .value_kind:     by_value
      - .offset:         136
        .size:           4
        .value_kind:     by_value
      - .offset:         144
        .size:           4
        .value_kind:     hidden_block_count_x
      - .offset:         148
        .size:           4
        .value_kind:     hidden_block_count_y
      - .offset:         152
        .size:           4
        .value_kind:     hidden_block_count_z
      - .offset:         156
        .size:           2
        .value_kind:     hidden_group_size_x
      - .offset:         158
        .size:           2
        .value_kind:     hidden_group_size_y
      - .offset:         160
        .size:           2
        .value_kind:     hidden_group_size_z
      - .offset:         162
        .size:           2
        .value_kind:     hidden_remainder_x
      - .offset:         164
        .size:           2
        .value_kind:     hidden_remainder_y
      - .offset:         166
        .size:           2
        .value_kind:     hidden_remainder_z
      - .offset:         184
        .size:           8
        .value_kind:     hidden_global_offset_x
      - .offset:         192
        .size:           8
        .value_kind:     hidden_global_offset_y
      - .offset:         200
        .size:           8
        .value_kind:     hidden_global_offset_z
      - .offset:         208
        .size:           2
        .value_kind:     hidden_grid_dims
      - .offset:         264
        .size:           4
        .value_kind:     hidden_dynamic_lds_size
    .group_segment_fixed_size: 224
    .kernarg_segment_align: 8
    .kernarg_segment_size: 400
    .language:       OpenCL C
    .language_version:
      - 2
      - 0
    .max_flat_workgroup_size: 1024
    .name:           _ZN4vllm25paged_attention_v2_kernelI14__hip_bfloat16hLi96ELi16ELi128ELNS_18Fp8KVCacheDataTypeE1ELb1ELi512EEEvPfS3_PT_PKS4_PKT0_SA_ifPKiSC_iPKfiiiSE_SE_iiiii
    .private_segment_fixed_size: 0
    .sgpr_count:     73
    .sgpr_spill_count: 0
    .symbol:         _ZN4vllm25paged_attention_v2_kernelI14__hip_bfloat16hLi96ELi16ELi128ELNS_18Fp8KVCacheDataTypeE1ELb1ELi512EEEvPfS3_PT_PKS4_PKT0_SA_ifPKiSC_iPKfiiiSE_SE_iiiii.kd
    .uniform_work_group_size: 1
    .uses_dynamic_stack: false
    .vgpr_count:     133
    .vgpr_spill_count: 0
    .wavefront_size: 32
    .workgroup_processor_mode: 1
  - .args:
      - .actual_access:  write_only
        .address_space:  global
        .offset:         0
        .size:           8
        .value_kind:     global_buffer
      - .actual_access:  write_only
        .address_space:  global
        .offset:         8
        .size:           8
        .value_kind:     global_buffer
      - .actual_access:  write_only
        .address_space:  global
        .offset:         16
        .size:           8
        .value_kind:     global_buffer
      - .actual_access:  read_only
        .address_space:  global
        .offset:         24
        .size:           8
        .value_kind:     global_buffer
      - .actual_access:  read_only
        .address_space:  global
        .offset:         32
        .size:           8
        .value_kind:     global_buffer
      - .actual_access:  read_only
        .address_space:  global
        .offset:         40
        .size:           8
        .value_kind:     global_buffer
      - .offset:         48
        .size:           4
        .value_kind:     by_value
      - .offset:         52
        .size:           4
        .value_kind:     by_value
      - .actual_access:  read_only
        .address_space:  global
        .offset:         56
        .size:           8
        .value_kind:     global_buffer
      - .actual_access:  read_only
        .address_space:  global
        .offset:         64
        .size:           8
        .value_kind:     global_buffer
      - .offset:         72
        .size:           4
        .value_kind:     by_value
      - .actual_access:  read_only
        .address_space:  global
        .offset:         80
        .size:           8
        .value_kind:     global_buffer
      - .offset:         88
        .size:           4
        .value_kind:     by_value
      - .offset:         92
        .size:           4
        .value_kind:     by_value
      - .offset:         96
        .size:           4
        .value_kind:     by_value
      - .address_space:  global
        .offset:         104
        .size:           8
        .value_kind:     global_buffer
      - .address_space:  global
        .offset:         112
        .size:           8
        .value_kind:     global_buffer
      - .offset:         120
        .size:           4
        .value_kind:     by_value
      - .offset:         124
        .size:           4
        .value_kind:     by_value
      - .offset:         128
        .size:           4
        .value_kind:     by_value
      - .offset:         132
        .size:           4
        .value_kind:     by_value
      - .offset:         136
        .size:           4
        .value_kind:     by_value
      - .offset:         144
        .size:           4
        .value_kind:     hidden_block_count_x
      - .offset:         148
        .size:           4
        .value_kind:     hidden_block_count_y
      - .offset:         152
        .size:           4
        .value_kind:     hidden_block_count_z
      - .offset:         156
        .size:           2
        .value_kind:     hidden_group_size_x
      - .offset:         158
        .size:           2
        .value_kind:     hidden_group_size_y
      - .offset:         160
        .size:           2
        .value_kind:     hidden_group_size_z
      - .offset:         162
        .size:           2
        .value_kind:     hidden_remainder_x
      - .offset:         164
        .size:           2
        .value_kind:     hidden_remainder_y
      - .offset:         166
        .size:           2
        .value_kind:     hidden_remainder_z
      - .offset:         184
        .size:           8
        .value_kind:     hidden_global_offset_x
      - .offset:         192
        .size:           8
        .value_kind:     hidden_global_offset_y
      - .offset:         200
        .size:           8
        .value_kind:     hidden_global_offset_z
      - .offset:         208
        .size:           2
        .value_kind:     hidden_grid_dims
      - .offset:         264
        .size:           4
        .value_kind:     hidden_dynamic_lds_size
    .group_segment_fixed_size: 256
    .kernarg_segment_align: 8
    .kernarg_segment_size: 400
    .language:       OpenCL C
    .language_version:
      - 2
      - 0
    .max_flat_workgroup_size: 1024
    .name:           _ZN4vllm25paged_attention_v2_kernelI14__hip_bfloat16hLi112ELi16ELi128ELNS_18Fp8KVCacheDataTypeE1ELb1ELi512EEEvPfS3_PT_PKS4_PKT0_SA_ifPKiSC_iPKfiiiSE_SE_iiiii
    .private_segment_fixed_size: 0
    .sgpr_count:     68
    .sgpr_spill_count: 0
    .symbol:         _ZN4vllm25paged_attention_v2_kernelI14__hip_bfloat16hLi112ELi16ELi128ELNS_18Fp8KVCacheDataTypeE1ELb1ELi512EEEvPfS3_PT_PKS4_PKT0_SA_ifPKiSC_iPKfiiiSE_SE_iiiii.kd
    .uniform_work_group_size: 1
    .uses_dynamic_stack: false
    .vgpr_count:     137
    .vgpr_spill_count: 0
    .wavefront_size: 32
    .workgroup_processor_mode: 1
  - .args:
      - .actual_access:  write_only
        .address_space:  global
        .offset:         0
        .size:           8
        .value_kind:     global_buffer
      - .actual_access:  write_only
        .address_space:  global
        .offset:         8
        .size:           8
        .value_kind:     global_buffer
      - .actual_access:  write_only
        .address_space:  global
        .offset:         16
        .size:           8
        .value_kind:     global_buffer
      - .actual_access:  read_only
        .address_space:  global
        .offset:         24
        .size:           8
        .value_kind:     global_buffer
      - .actual_access:  read_only
        .address_space:  global
        .offset:         32
        .size:           8
        .value_kind:     global_buffer
      - .actual_access:  read_only
        .address_space:  global
        .offset:         40
        .size:           8
        .value_kind:     global_buffer
      - .offset:         48
        .size:           4
        .value_kind:     by_value
      - .offset:         52
        .size:           4
        .value_kind:     by_value
      - .actual_access:  read_only
        .address_space:  global
        .offset:         56
        .size:           8
        .value_kind:     global_buffer
      - .actual_access:  read_only
        .address_space:  global
        .offset:         64
        .size:           8
        .value_kind:     global_buffer
      - .offset:         72
        .size:           4
        .value_kind:     by_value
      - .actual_access:  read_only
        .address_space:  global
        .offset:         80
        .size:           8
        .value_kind:     global_buffer
      - .offset:         88
        .size:           4
        .value_kind:     by_value
      - .offset:         92
        .size:           4
        .value_kind:     by_value
      - .offset:         96
        .size:           4
        .value_kind:     by_value
      - .address_space:  global
        .offset:         104
        .size:           8
        .value_kind:     global_buffer
      - .address_space:  global
        .offset:         112
        .size:           8
        .value_kind:     global_buffer
      - .offset:         120
        .size:           4
        .value_kind:     by_value
      - .offset:         124
        .size:           4
        .value_kind:     by_value
      - .offset:         128
        .size:           4
        .value_kind:     by_value
      - .offset:         132
        .size:           4
        .value_kind:     by_value
      - .offset:         136
        .size:           4
        .value_kind:     by_value
      - .offset:         144
        .size:           4
        .value_kind:     hidden_block_count_x
      - .offset:         148
        .size:           4
        .value_kind:     hidden_block_count_y
      - .offset:         152
        .size:           4
        .value_kind:     hidden_block_count_z
      - .offset:         156
        .size:           2
        .value_kind:     hidden_group_size_x
      - .offset:         158
        .size:           2
        .value_kind:     hidden_group_size_y
      - .offset:         160
        .size:           2
        .value_kind:     hidden_group_size_z
      - .offset:         162
        .size:           2
        .value_kind:     hidden_remainder_x
      - .offset:         164
        .size:           2
        .value_kind:     hidden_remainder_y
      - .offset:         166
        .size:           2
        .value_kind:     hidden_remainder_z
      - .offset:         184
        .size:           8
        .value_kind:     hidden_global_offset_x
      - .offset:         192
        .size:           8
        .value_kind:     hidden_global_offset_y
      - .offset:         200
        .size:           8
        .value_kind:     hidden_global_offset_z
      - .offset:         208
        .size:           2
        .value_kind:     hidden_grid_dims
      - .offset:         264
        .size:           4
        .value_kind:     hidden_dynamic_lds_size
    .group_segment_fixed_size: 272
    .kernarg_segment_align: 8
    .kernarg_segment_size: 400
    .language:       OpenCL C
    .language_version:
      - 2
      - 0
    .max_flat_workgroup_size: 1024
    .name:           _ZN4vllm25paged_attention_v2_kernelI14__hip_bfloat16hLi120ELi16ELi128ELNS_18Fp8KVCacheDataTypeE1ELb1ELi512EEEvPfS3_PT_PKS4_PKT0_SA_ifPKiSC_iPKfiiiSE_SE_iiiii
    .private_segment_fixed_size: 0
    .sgpr_count:     65
    .sgpr_spill_count: 0
    .symbol:         _ZN4vllm25paged_attention_v2_kernelI14__hip_bfloat16hLi120ELi16ELi128ELNS_18Fp8KVCacheDataTypeE1ELb1ELi512EEEvPfS3_PT_PKS4_PKT0_SA_ifPKiSC_iPKfiiiSE_SE_iiiii.kd
    .uniform_work_group_size: 1
    .uses_dynamic_stack: false
    .vgpr_count:     133
    .vgpr_spill_count: 0
    .wavefront_size: 32
    .workgroup_processor_mode: 1
  - .args:
      - .actual_access:  write_only
        .address_space:  global
        .offset:         0
        .size:           8
        .value_kind:     global_buffer
      - .actual_access:  write_only
        .address_space:  global
        .offset:         8
        .size:           8
        .value_kind:     global_buffer
      - .actual_access:  write_only
        .address_space:  global
        .offset:         16
        .size:           8
        .value_kind:     global_buffer
      - .actual_access:  read_only
        .address_space:  global
        .offset:         24
        .size:           8
        .value_kind:     global_buffer
      - .actual_access:  read_only
        .address_space:  global
        .offset:         32
        .size:           8
        .value_kind:     global_buffer
      - .actual_access:  read_only
        .address_space:  global
        .offset:         40
        .size:           8
        .value_kind:     global_buffer
      - .offset:         48
        .size:           4
        .value_kind:     by_value
      - .offset:         52
        .size:           4
        .value_kind:     by_value
      - .actual_access:  read_only
        .address_space:  global
        .offset:         56
        .size:           8
        .value_kind:     global_buffer
      - .actual_access:  read_only
        .address_space:  global
        .offset:         64
        .size:           8
        .value_kind:     global_buffer
      - .offset:         72
        .size:           4
        .value_kind:     by_value
      - .actual_access:  read_only
        .address_space:  global
        .offset:         80
        .size:           8
        .value_kind:     global_buffer
      - .offset:         88
        .size:           4
        .value_kind:     by_value
      - .offset:         92
        .size:           4
        .value_kind:     by_value
      - .offset:         96
        .size:           4
        .value_kind:     by_value
      - .address_space:  global
        .offset:         104
        .size:           8
        .value_kind:     global_buffer
      - .address_space:  global
        .offset:         112
        .size:           8
        .value_kind:     global_buffer
      - .offset:         120
        .size:           4
        .value_kind:     by_value
      - .offset:         124
        .size:           4
        .value_kind:     by_value
      - .offset:         128
        .size:           4
        .value_kind:     by_value
      - .offset:         132
        .size:           4
        .value_kind:     by_value
      - .offset:         136
        .size:           4
        .value_kind:     by_value
      - .offset:         144
        .size:           4
        .value_kind:     hidden_block_count_x
      - .offset:         148
        .size:           4
        .value_kind:     hidden_block_count_y
      - .offset:         152
        .size:           4
        .value_kind:     hidden_block_count_z
      - .offset:         156
        .size:           2
        .value_kind:     hidden_group_size_x
      - .offset:         158
        .size:           2
        .value_kind:     hidden_group_size_y
      - .offset:         160
        .size:           2
        .value_kind:     hidden_group_size_z
      - .offset:         162
        .size:           2
        .value_kind:     hidden_remainder_x
      - .offset:         164
        .size:           2
        .value_kind:     hidden_remainder_y
      - .offset:         166
        .size:           2
        .value_kind:     hidden_remainder_z
      - .offset:         184
        .size:           8
        .value_kind:     hidden_global_offset_x
      - .offset:         192
        .size:           8
        .value_kind:     hidden_global_offset_y
      - .offset:         200
        .size:           8
        .value_kind:     hidden_global_offset_z
      - .offset:         208
        .size:           2
        .value_kind:     hidden_grid_dims
      - .offset:         264
        .size:           4
        .value_kind:     hidden_dynamic_lds_size
    .group_segment_fixed_size: 288
    .kernarg_segment_align: 8
    .kernarg_segment_size: 400
    .language:       OpenCL C
    .language_version:
      - 2
      - 0
    .max_flat_workgroup_size: 1024
    .name:           _ZN4vllm25paged_attention_v2_kernelI14__hip_bfloat16hLi128ELi16ELi128ELNS_18Fp8KVCacheDataTypeE1ELb1ELi512EEEvPfS3_PT_PKS4_PKT0_SA_ifPKiSC_iPKfiiiSE_SE_iiiii
    .private_segment_fixed_size: 0
    .sgpr_count:     68
    .sgpr_spill_count: 0
    .symbol:         _ZN4vllm25paged_attention_v2_kernelI14__hip_bfloat16hLi128ELi16ELi128ELNS_18Fp8KVCacheDataTypeE1ELb1ELi512EEEvPfS3_PT_PKS4_PKT0_SA_ifPKiSC_iPKfiiiSE_SE_iiiii.kd
    .uniform_work_group_size: 1
    .uses_dynamic_stack: false
    .vgpr_count:     133
    .vgpr_spill_count: 0
    .wavefront_size: 32
    .workgroup_processor_mode: 1
  - .args:
      - .actual_access:  write_only
        .address_space:  global
        .offset:         0
        .size:           8
        .value_kind:     global_buffer
      - .actual_access:  write_only
        .address_space:  global
        .offset:         8
        .size:           8
        .value_kind:     global_buffer
      - .actual_access:  write_only
        .address_space:  global
        .offset:         16
        .size:           8
        .value_kind:     global_buffer
      - .actual_access:  read_only
        .address_space:  global
        .offset:         24
        .size:           8
        .value_kind:     global_buffer
      - .actual_access:  read_only
        .address_space:  global
        .offset:         32
        .size:           8
        .value_kind:     global_buffer
      - .actual_access:  read_only
        .address_space:  global
        .offset:         40
        .size:           8
        .value_kind:     global_buffer
      - .offset:         48
        .size:           4
        .value_kind:     by_value
      - .offset:         52
        .size:           4
        .value_kind:     by_value
      - .actual_access:  read_only
        .address_space:  global
        .offset:         56
        .size:           8
        .value_kind:     global_buffer
      - .actual_access:  read_only
        .address_space:  global
        .offset:         64
        .size:           8
        .value_kind:     global_buffer
      - .offset:         72
        .size:           4
        .value_kind:     by_value
      - .actual_access:  read_only
        .address_space:  global
        .offset:         80
        .size:           8
        .value_kind:     global_buffer
      - .offset:         88
        .size:           4
        .value_kind:     by_value
      - .offset:         92
        .size:           4
        .value_kind:     by_value
      - .offset:         96
        .size:           4
        .value_kind:     by_value
      - .address_space:  global
        .offset:         104
        .size:           8
        .value_kind:     global_buffer
      - .address_space:  global
        .offset:         112
        .size:           8
        .value_kind:     global_buffer
      - .offset:         120
        .size:           4
        .value_kind:     by_value
      - .offset:         124
        .size:           4
        .value_kind:     by_value
      - .offset:         128
        .size:           4
        .value_kind:     by_value
      - .offset:         132
        .size:           4
        .value_kind:     by_value
      - .offset:         136
        .size:           4
        .value_kind:     by_value
      - .offset:         144
        .size:           4
        .value_kind:     hidden_block_count_x
      - .offset:         148
        .size:           4
        .value_kind:     hidden_block_count_y
      - .offset:         152
        .size:           4
        .value_kind:     hidden_block_count_z
      - .offset:         156
        .size:           2
        .value_kind:     hidden_group_size_x
      - .offset:         158
        .size:           2
        .value_kind:     hidden_group_size_y
      - .offset:         160
        .size:           2
        .value_kind:     hidden_group_size_z
      - .offset:         162
        .size:           2
        .value_kind:     hidden_remainder_x
      - .offset:         164
        .size:           2
        .value_kind:     hidden_remainder_y
      - .offset:         166
        .size:           2
        .value_kind:     hidden_remainder_z
      - .offset:         184
        .size:           8
        .value_kind:     hidden_global_offset_x
      - .offset:         192
        .size:           8
        .value_kind:     hidden_global_offset_y
      - .offset:         200
        .size:           8
        .value_kind:     hidden_global_offset_z
      - .offset:         208
        .size:           2
        .value_kind:     hidden_grid_dims
      - .offset:         264
        .size:           4
        .value_kind:     hidden_dynamic_lds_size
    .group_segment_fixed_size: 416
    .kernarg_segment_align: 8
    .kernarg_segment_size: 400
    .language:       OpenCL C
    .language_version:
      - 2
      - 0
    .max_flat_workgroup_size: 1024
    .name:           _ZN4vllm25paged_attention_v2_kernelI14__hip_bfloat16hLi192ELi16ELi128ELNS_18Fp8KVCacheDataTypeE1ELb1ELi512EEEvPfS3_PT_PKS4_PKT0_SA_ifPKiSC_iPKfiiiSE_SE_iiiii
    .private_segment_fixed_size: 8
    .sgpr_count:     91
    .sgpr_spill_count: 0
    .symbol:         _ZN4vllm25paged_attention_v2_kernelI14__hip_bfloat16hLi192ELi16ELi128ELNS_18Fp8KVCacheDataTypeE1ELb1ELi512EEEvPfS3_PT_PKS4_PKT0_SA_ifPKiSC_iPKfiiiSE_SE_iiiii.kd
    .uniform_work_group_size: 1
    .uses_dynamic_stack: false
    .vgpr_count:     192
    .vgpr_spill_count: 1
    .wavefront_size: 32
    .workgroup_processor_mode: 1
  - .args:
      - .actual_access:  write_only
        .address_space:  global
        .offset:         0
        .size:           8
        .value_kind:     global_buffer
      - .actual_access:  write_only
        .address_space:  global
        .offset:         8
        .size:           8
        .value_kind:     global_buffer
      - .actual_access:  write_only
        .address_space:  global
        .offset:         16
        .size:           8
        .value_kind:     global_buffer
      - .actual_access:  read_only
        .address_space:  global
        .offset:         24
        .size:           8
        .value_kind:     global_buffer
      - .actual_access:  read_only
        .address_space:  global
        .offset:         32
        .size:           8
        .value_kind:     global_buffer
      - .actual_access:  read_only
        .address_space:  global
        .offset:         40
        .size:           8
        .value_kind:     global_buffer
      - .offset:         48
        .size:           4
        .value_kind:     by_value
      - .offset:         52
        .size:           4
        .value_kind:     by_value
      - .actual_access:  read_only
        .address_space:  global
        .offset:         56
        .size:           8
        .value_kind:     global_buffer
      - .actual_access:  read_only
        .address_space:  global
        .offset:         64
        .size:           8
        .value_kind:     global_buffer
      - .offset:         72
        .size:           4
        .value_kind:     by_value
      - .actual_access:  read_only
        .address_space:  global
        .offset:         80
        .size:           8
        .value_kind:     global_buffer
      - .offset:         88
        .size:           4
        .value_kind:     by_value
      - .offset:         92
        .size:           4
        .value_kind:     by_value
      - .offset:         96
        .size:           4
        .value_kind:     by_value
      - .address_space:  global
        .offset:         104
        .size:           8
        .value_kind:     global_buffer
      - .address_space:  global
        .offset:         112
        .size:           8
        .value_kind:     global_buffer
      - .offset:         120
        .size:           4
        .value_kind:     by_value
      - .offset:         124
        .size:           4
        .value_kind:     by_value
      - .offset:         128
        .size:           4
        .value_kind:     by_value
      - .offset:         132
        .size:           4
        .value_kind:     by_value
      - .offset:         136
        .size:           4
        .value_kind:     by_value
      - .offset:         144
        .size:           4
        .value_kind:     hidden_block_count_x
      - .offset:         148
        .size:           4
        .value_kind:     hidden_block_count_y
      - .offset:         152
        .size:           4
        .value_kind:     hidden_block_count_z
      - .offset:         156
        .size:           2
        .value_kind:     hidden_group_size_x
      - .offset:         158
        .size:           2
        .value_kind:     hidden_group_size_y
      - .offset:         160
        .size:           2
        .value_kind:     hidden_group_size_z
      - .offset:         162
        .size:           2
        .value_kind:     hidden_remainder_x
      - .offset:         164
        .size:           2
        .value_kind:     hidden_remainder_y
      - .offset:         166
        .size:           2
        .value_kind:     hidden_remainder_z
      - .offset:         184
        .size:           8
        .value_kind:     hidden_global_offset_x
      - .offset:         192
        .size:           8
        .value_kind:     hidden_global_offset_y
      - .offset:         200
        .size:           8
        .value_kind:     hidden_global_offset_z
      - .offset:         208
        .size:           2
        .value_kind:     hidden_grid_dims
      - .offset:         264
        .size:           4
        .value_kind:     hidden_dynamic_lds_size
    .group_segment_fixed_size: 544
    .kernarg_segment_align: 8
    .kernarg_segment_size: 400
    .language:       OpenCL C
    .language_version:
      - 2
      - 0
    .max_flat_workgroup_size: 1024
    .name:           _ZN4vllm25paged_attention_v2_kernelI14__hip_bfloat16hLi256ELi16ELi128ELNS_18Fp8KVCacheDataTypeE1ELb1ELi512EEEvPfS3_PT_PKS4_PKT0_SA_ifPKiSC_iPKfiiiSE_SE_iiiii
    .private_segment_fixed_size: 0
    .sgpr_count:     62
    .sgpr_spill_count: 0
    .symbol:         _ZN4vllm25paged_attention_v2_kernelI14__hip_bfloat16hLi256ELi16ELi128ELNS_18Fp8KVCacheDataTypeE1ELb1ELi512EEEvPfS3_PT_PKS4_PKT0_SA_ifPKiSC_iPKfiiiSE_SE_iiiii.kd
    .uniform_work_group_size: 1
    .uses_dynamic_stack: false
    .vgpr_count:     190
    .vgpr_spill_count: 0
    .wavefront_size: 32
    .workgroup_processor_mode: 1
  - .args:
      - .actual_access:  write_only
        .address_space:  global
        .offset:         0
        .size:           8
        .value_kind:     global_buffer
      - .actual_access:  write_only
        .address_space:  global
        .offset:         8
        .size:           8
        .value_kind:     global_buffer
      - .actual_access:  write_only
        .address_space:  global
        .offset:         16
        .size:           8
        .value_kind:     global_buffer
      - .actual_access:  read_only
        .address_space:  global
        .offset:         24
        .size:           8
        .value_kind:     global_buffer
      - .actual_access:  read_only
        .address_space:  global
        .offset:         32
        .size:           8
        .value_kind:     global_buffer
      - .actual_access:  read_only
        .address_space:  global
        .offset:         40
        .size:           8
        .value_kind:     global_buffer
      - .offset:         48
        .size:           4
        .value_kind:     by_value
      - .offset:         52
        .size:           4
        .value_kind:     by_value
      - .actual_access:  read_only
        .address_space:  global
        .offset:         56
        .size:           8
        .value_kind:     global_buffer
      - .actual_access:  read_only
        .address_space:  global
        .offset:         64
        .size:           8
        .value_kind:     global_buffer
      - .offset:         72
        .size:           4
        .value_kind:     by_value
      - .actual_access:  read_only
        .address_space:  global
        .offset:         80
        .size:           8
        .value_kind:     global_buffer
      - .offset:         88
        .size:           4
        .value_kind:     by_value
      - .offset:         92
        .size:           4
        .value_kind:     by_value
      - .offset:         96
        .size:           4
        .value_kind:     by_value
      - .address_space:  global
        .offset:         104
        .size:           8
        .value_kind:     global_buffer
      - .address_space:  global
        .offset:         112
        .size:           8
        .value_kind:     global_buffer
      - .offset:         120
        .size:           4
        .value_kind:     by_value
      - .offset:         124
        .size:           4
        .value_kind:     by_value
      - .offset:         128
        .size:           4
        .value_kind:     by_value
      - .offset:         132
        .size:           4
        .value_kind:     by_value
      - .offset:         136
        .size:           4
        .value_kind:     by_value
      - .offset:         144
        .size:           4
        .value_kind:     hidden_block_count_x
      - .offset:         148
        .size:           4
        .value_kind:     hidden_block_count_y
      - .offset:         152
        .size:           4
        .value_kind:     hidden_block_count_z
      - .offset:         156
        .size:           2
        .value_kind:     hidden_group_size_x
      - .offset:         158
        .size:           2
        .value_kind:     hidden_group_size_y
      - .offset:         160
        .size:           2
        .value_kind:     hidden_group_size_z
      - .offset:         162
        .size:           2
        .value_kind:     hidden_remainder_x
      - .offset:         164
        .size:           2
        .value_kind:     hidden_remainder_y
      - .offset:         166
        .size:           2
        .value_kind:     hidden_remainder_z
      - .offset:         184
        .size:           8
        .value_kind:     hidden_global_offset_x
      - .offset:         192
        .size:           8
        .value_kind:     hidden_global_offset_y
      - .offset:         200
        .size:           8
        .value_kind:     hidden_global_offset_z
      - .offset:         208
        .size:           2
        .value_kind:     hidden_grid_dims
      - .offset:         264
        .size:           4
        .value_kind:     hidden_dynamic_lds_size
    .group_segment_fixed_size: 96
    .kernarg_segment_align: 8
    .kernarg_segment_size: 400
    .language:       OpenCL C
    .language_version:
      - 2
      - 0
    .max_flat_workgroup_size: 1024
    .name:           _ZN4vllm25paged_attention_v2_kernelI14__hip_bfloat16hLi32ELi16ELi128ELNS_18Fp8KVCacheDataTypeE1ELb0ELi512EEEvPfS3_PT_PKS4_PKT0_SA_ifPKiSC_iPKfiiiSE_SE_iiiii
    .private_segment_fixed_size: 0
    .sgpr_count:     40
    .sgpr_spill_count: 0
    .symbol:         _ZN4vllm25paged_attention_v2_kernelI14__hip_bfloat16hLi32ELi16ELi128ELNS_18Fp8KVCacheDataTypeE1ELb0ELi512EEEvPfS3_PT_PKS4_PKT0_SA_ifPKiSC_iPKfiiiSE_SE_iiiii.kd
    .uniform_work_group_size: 1
    .uses_dynamic_stack: false
    .vgpr_count:     83
    .vgpr_spill_count: 0
    .wavefront_size: 32
    .workgroup_processor_mode: 1
  - .args:
      - .actual_access:  write_only
        .address_space:  global
        .offset:         0
        .size:           8
        .value_kind:     global_buffer
      - .actual_access:  write_only
        .address_space:  global
        .offset:         8
        .size:           8
        .value_kind:     global_buffer
      - .actual_access:  write_only
        .address_space:  global
        .offset:         16
        .size:           8
        .value_kind:     global_buffer
      - .actual_access:  read_only
        .address_space:  global
        .offset:         24
        .size:           8
        .value_kind:     global_buffer
      - .actual_access:  read_only
        .address_space:  global
        .offset:         32
        .size:           8
        .value_kind:     global_buffer
      - .actual_access:  read_only
        .address_space:  global
        .offset:         40
        .size:           8
        .value_kind:     global_buffer
      - .offset:         48
        .size:           4
        .value_kind:     by_value
      - .offset:         52
        .size:           4
        .value_kind:     by_value
      - .actual_access:  read_only
        .address_space:  global
        .offset:         56
        .size:           8
        .value_kind:     global_buffer
      - .actual_access:  read_only
        .address_space:  global
        .offset:         64
        .size:           8
        .value_kind:     global_buffer
      - .offset:         72
        .size:           4
        .value_kind:     by_value
      - .actual_access:  read_only
        .address_space:  global
        .offset:         80
        .size:           8
        .value_kind:     global_buffer
      - .offset:         88
        .size:           4
        .value_kind:     by_value
      - .offset:         92
        .size:           4
        .value_kind:     by_value
      - .offset:         96
        .size:           4
        .value_kind:     by_value
      - .address_space:  global
        .offset:         104
        .size:           8
        .value_kind:     global_buffer
      - .address_space:  global
        .offset:         112
        .size:           8
        .value_kind:     global_buffer
      - .offset:         120
        .size:           4
        .value_kind:     by_value
      - .offset:         124
        .size:           4
        .value_kind:     by_value
      - .offset:         128
        .size:           4
        .value_kind:     by_value
      - .offset:         132
        .size:           4
        .value_kind:     by_value
      - .offset:         136
        .size:           4
        .value_kind:     by_value
      - .offset:         144
        .size:           4
        .value_kind:     hidden_block_count_x
      - .offset:         148
        .size:           4
        .value_kind:     hidden_block_count_y
      - .offset:         152
        .size:           4
        .value_kind:     hidden_block_count_z
      - .offset:         156
        .size:           2
        .value_kind:     hidden_group_size_x
      - .offset:         158
        .size:           2
        .value_kind:     hidden_group_size_y
      - .offset:         160
        .size:           2
        .value_kind:     hidden_group_size_z
      - .offset:         162
        .size:           2
        .value_kind:     hidden_remainder_x
      - .offset:         164
        .size:           2
        .value_kind:     hidden_remainder_y
      - .offset:         166
        .size:           2
        .value_kind:     hidden_remainder_z
      - .offset:         184
        .size:           8
        .value_kind:     hidden_global_offset_x
      - .offset:         192
        .size:           8
        .value_kind:     hidden_global_offset_y
      - .offset:         200
        .size:           8
        .value_kind:     hidden_global_offset_z
      - .offset:         208
        .size:           2
        .value_kind:     hidden_grid_dims
      - .offset:         264
        .size:           4
        .value_kind:     hidden_dynamic_lds_size
    .group_segment_fixed_size: 160
    .kernarg_segment_align: 8
    .kernarg_segment_size: 400
    .language:       OpenCL C
    .language_version:
      - 2
      - 0
    .max_flat_workgroup_size: 1024
    .name:           _ZN4vllm25paged_attention_v2_kernelI14__hip_bfloat16hLi64ELi16ELi128ELNS_18Fp8KVCacheDataTypeE1ELb0ELi512EEEvPfS3_PT_PKS4_PKT0_SA_ifPKiSC_iPKfiiiSE_SE_iiiii
    .private_segment_fixed_size: 0
    .sgpr_count:     41
    .sgpr_spill_count: 0
    .symbol:         _ZN4vllm25paged_attention_v2_kernelI14__hip_bfloat16hLi64ELi16ELi128ELNS_18Fp8KVCacheDataTypeE1ELb0ELi512EEEvPfS3_PT_PKS4_PKT0_SA_ifPKiSC_iPKfiiiSE_SE_iiiii.kd
    .uniform_work_group_size: 1
    .uses_dynamic_stack: false
    .vgpr_count:     130
    .vgpr_spill_count: 0
    .wavefront_size: 32
    .workgroup_processor_mode: 1
  - .args:
      - .actual_access:  write_only
        .address_space:  global
        .offset:         0
        .size:           8
        .value_kind:     global_buffer
      - .actual_access:  write_only
        .address_space:  global
        .offset:         8
        .size:           8
        .value_kind:     global_buffer
      - .actual_access:  write_only
        .address_space:  global
        .offset:         16
        .size:           8
        .value_kind:     global_buffer
      - .actual_access:  read_only
        .address_space:  global
        .offset:         24
        .size:           8
        .value_kind:     global_buffer
      - .actual_access:  read_only
        .address_space:  global
        .offset:         32
        .size:           8
        .value_kind:     global_buffer
      - .actual_access:  read_only
        .address_space:  global
        .offset:         40
        .size:           8
        .value_kind:     global_buffer
      - .offset:         48
        .size:           4
        .value_kind:     by_value
      - .offset:         52
        .size:           4
        .value_kind:     by_value
      - .actual_access:  read_only
        .address_space:  global
        .offset:         56
        .size:           8
        .value_kind:     global_buffer
      - .actual_access:  read_only
        .address_space:  global
        .offset:         64
        .size:           8
        .value_kind:     global_buffer
      - .offset:         72
        .size:           4
        .value_kind:     by_value
      - .actual_access:  read_only
        .address_space:  global
        .offset:         80
        .size:           8
        .value_kind:     global_buffer
      - .offset:         88
        .size:           4
        .value_kind:     by_value
      - .offset:         92
        .size:           4
        .value_kind:     by_value
      - .offset:         96
        .size:           4
        .value_kind:     by_value
      - .address_space:  global
        .offset:         104
        .size:           8
        .value_kind:     global_buffer
      - .address_space:  global
        .offset:         112
        .size:           8
        .value_kind:     global_buffer
      - .offset:         120
        .size:           4
        .value_kind:     by_value
      - .offset:         124
        .size:           4
        .value_kind:     by_value
      - .offset:         128
        .size:           4
        .value_kind:     by_value
      - .offset:         132
        .size:           4
        .value_kind:     by_value
      - .offset:         136
        .size:           4
        .value_kind:     by_value
      - .offset:         144
        .size:           4
        .value_kind:     hidden_block_count_x
      - .offset:         148
        .size:           4
        .value_kind:     hidden_block_count_y
      - .offset:         152
        .size:           4
        .value_kind:     hidden_block_count_z
      - .offset:         156
        .size:           2
        .value_kind:     hidden_group_size_x
      - .offset:         158
        .size:           2
        .value_kind:     hidden_group_size_y
      - .offset:         160
        .size:           2
        .value_kind:     hidden_group_size_z
      - .offset:         162
        .size:           2
        .value_kind:     hidden_remainder_x
      - .offset:         164
        .size:           2
        .value_kind:     hidden_remainder_y
      - .offset:         166
        .size:           2
        .value_kind:     hidden_remainder_z
      - .offset:         184
        .size:           8
        .value_kind:     hidden_global_offset_x
      - .offset:         192
        .size:           8
        .value_kind:     hidden_global_offset_y
      - .offset:         200
        .size:           8
        .value_kind:     hidden_global_offset_z
      - .offset:         208
        .size:           2
        .value_kind:     hidden_grid_dims
      - .offset:         264
        .size:           4
        .value_kind:     hidden_dynamic_lds_size
    .group_segment_fixed_size: 192
    .kernarg_segment_align: 8
    .kernarg_segment_size: 400
    .language:       OpenCL C
    .language_version:
      - 2
      - 0
    .max_flat_workgroup_size: 1024
    .name:           _ZN4vllm25paged_attention_v2_kernelI14__hip_bfloat16hLi80ELi16ELi128ELNS_18Fp8KVCacheDataTypeE1ELb0ELi512EEEvPfS3_PT_PKS4_PKT0_SA_ifPKiSC_iPKfiiiSE_SE_iiiii
    .private_segment_fixed_size: 0
    .sgpr_count:     57
    .sgpr_spill_count: 0
    .symbol:         _ZN4vllm25paged_attention_v2_kernelI14__hip_bfloat16hLi80ELi16ELi128ELNS_18Fp8KVCacheDataTypeE1ELb0ELi512EEEvPfS3_PT_PKS4_PKT0_SA_ifPKiSC_iPKfiiiSE_SE_iiiii.kd
    .uniform_work_group_size: 1
    .uses_dynamic_stack: false
    .vgpr_count:     130
    .vgpr_spill_count: 0
    .wavefront_size: 32
    .workgroup_processor_mode: 1
  - .args:
      - .actual_access:  write_only
        .address_space:  global
        .offset:         0
        .size:           8
        .value_kind:     global_buffer
      - .actual_access:  write_only
        .address_space:  global
        .offset:         8
        .size:           8
        .value_kind:     global_buffer
      - .actual_access:  write_only
        .address_space:  global
        .offset:         16
        .size:           8
        .value_kind:     global_buffer
      - .actual_access:  read_only
        .address_space:  global
        .offset:         24
        .size:           8
        .value_kind:     global_buffer
      - .actual_access:  read_only
        .address_space:  global
        .offset:         32
        .size:           8
        .value_kind:     global_buffer
      - .actual_access:  read_only
        .address_space:  global
        .offset:         40
        .size:           8
        .value_kind:     global_buffer
      - .offset:         48
        .size:           4
        .value_kind:     by_value
      - .offset:         52
        .size:           4
        .value_kind:     by_value
      - .actual_access:  read_only
        .address_space:  global
        .offset:         56
        .size:           8
        .value_kind:     global_buffer
      - .actual_access:  read_only
        .address_space:  global
        .offset:         64
        .size:           8
        .value_kind:     global_buffer
      - .offset:         72
        .size:           4
        .value_kind:     by_value
      - .actual_access:  read_only
        .address_space:  global
        .offset:         80
        .size:           8
        .value_kind:     global_buffer
      - .offset:         88
        .size:           4
        .value_kind:     by_value
      - .offset:         92
        .size:           4
        .value_kind:     by_value
      - .offset:         96
        .size:           4
        .value_kind:     by_value
      - .address_space:  global
        .offset:         104
        .size:           8
        .value_kind:     global_buffer
      - .address_space:  global
        .offset:         112
        .size:           8
        .value_kind:     global_buffer
      - .offset:         120
        .size:           4
        .value_kind:     by_value
      - .offset:         124
        .size:           4
        .value_kind:     by_value
      - .offset:         128
        .size:           4
        .value_kind:     by_value
      - .offset:         132
        .size:           4
        .value_kind:     by_value
      - .offset:         136
        .size:           4
        .value_kind:     by_value
      - .offset:         144
        .size:           4
        .value_kind:     hidden_block_count_x
      - .offset:         148
        .size:           4
        .value_kind:     hidden_block_count_y
      - .offset:         152
        .size:           4
        .value_kind:     hidden_block_count_z
      - .offset:         156
        .size:           2
        .value_kind:     hidden_group_size_x
      - .offset:         158
        .size:           2
        .value_kind:     hidden_group_size_y
      - .offset:         160
        .size:           2
        .value_kind:     hidden_group_size_z
      - .offset:         162
        .size:           2
        .value_kind:     hidden_remainder_x
      - .offset:         164
        .size:           2
        .value_kind:     hidden_remainder_y
      - .offset:         166
        .size:           2
        .value_kind:     hidden_remainder_z
      - .offset:         184
        .size:           8
        .value_kind:     hidden_global_offset_x
      - .offset:         192
        .size:           8
        .value_kind:     hidden_global_offset_y
      - .offset:         200
        .size:           8
        .value_kind:     hidden_global_offset_z
      - .offset:         208
        .size:           2
        .value_kind:     hidden_grid_dims
      - .offset:         264
        .size:           4
        .value_kind:     hidden_dynamic_lds_size
    .group_segment_fixed_size: 224
    .kernarg_segment_align: 8
    .kernarg_segment_size: 400
    .language:       OpenCL C
    .language_version:
      - 2
      - 0
    .max_flat_workgroup_size: 1024
    .name:           _ZN4vllm25paged_attention_v2_kernelI14__hip_bfloat16hLi96ELi16ELi128ELNS_18Fp8KVCacheDataTypeE1ELb0ELi512EEEvPfS3_PT_PKS4_PKT0_SA_ifPKiSC_iPKfiiiSE_SE_iiiii
    .private_segment_fixed_size: 0
    .sgpr_count:     60
    .sgpr_spill_count: 0
    .symbol:         _ZN4vllm25paged_attention_v2_kernelI14__hip_bfloat16hLi96ELi16ELi128ELNS_18Fp8KVCacheDataTypeE1ELb0ELi512EEEvPfS3_PT_PKS4_PKT0_SA_ifPKiSC_iPKfiiiSE_SE_iiiii.kd
    .uniform_work_group_size: 1
    .uses_dynamic_stack: false
    .vgpr_count:     132
    .vgpr_spill_count: 0
    .wavefront_size: 32
    .workgroup_processor_mode: 1
  - .args:
      - .actual_access:  write_only
        .address_space:  global
        .offset:         0
        .size:           8
        .value_kind:     global_buffer
      - .actual_access:  write_only
        .address_space:  global
        .offset:         8
        .size:           8
        .value_kind:     global_buffer
      - .actual_access:  write_only
        .address_space:  global
        .offset:         16
        .size:           8
        .value_kind:     global_buffer
      - .actual_access:  read_only
        .address_space:  global
        .offset:         24
        .size:           8
        .value_kind:     global_buffer
      - .actual_access:  read_only
        .address_space:  global
        .offset:         32
        .size:           8
        .value_kind:     global_buffer
      - .actual_access:  read_only
        .address_space:  global
        .offset:         40
        .size:           8
        .value_kind:     global_buffer
      - .offset:         48
        .size:           4
        .value_kind:     by_value
      - .offset:         52
        .size:           4
        .value_kind:     by_value
      - .actual_access:  read_only
        .address_space:  global
        .offset:         56
        .size:           8
        .value_kind:     global_buffer
      - .actual_access:  read_only
        .address_space:  global
        .offset:         64
        .size:           8
        .value_kind:     global_buffer
      - .offset:         72
        .size:           4
        .value_kind:     by_value
      - .actual_access:  read_only
        .address_space:  global
        .offset:         80
        .size:           8
        .value_kind:     global_buffer
      - .offset:         88
        .size:           4
        .value_kind:     by_value
      - .offset:         92
        .size:           4
        .value_kind:     by_value
      - .offset:         96
        .size:           4
        .value_kind:     by_value
      - .address_space:  global
        .offset:         104
        .size:           8
        .value_kind:     global_buffer
      - .address_space:  global
        .offset:         112
        .size:           8
        .value_kind:     global_buffer
      - .offset:         120
        .size:           4
        .value_kind:     by_value
      - .offset:         124
        .size:           4
        .value_kind:     by_value
      - .offset:         128
        .size:           4
        .value_kind:     by_value
      - .offset:         132
        .size:           4
        .value_kind:     by_value
      - .offset:         136
        .size:           4
        .value_kind:     by_value
      - .offset:         144
        .size:           4
        .value_kind:     hidden_block_count_x
      - .offset:         148
        .size:           4
        .value_kind:     hidden_block_count_y
      - .offset:         152
        .size:           4
        .value_kind:     hidden_block_count_z
      - .offset:         156
        .size:           2
        .value_kind:     hidden_group_size_x
      - .offset:         158
        .size:           2
        .value_kind:     hidden_group_size_y
      - .offset:         160
        .size:           2
        .value_kind:     hidden_group_size_z
      - .offset:         162
        .size:           2
        .value_kind:     hidden_remainder_x
      - .offset:         164
        .size:           2
        .value_kind:     hidden_remainder_y
      - .offset:         166
        .size:           2
        .value_kind:     hidden_remainder_z
      - .offset:         184
        .size:           8
        .value_kind:     hidden_global_offset_x
      - .offset:         192
        .size:           8
        .value_kind:     hidden_global_offset_y
      - .offset:         200
        .size:           8
        .value_kind:     hidden_global_offset_z
      - .offset:         208
        .size:           2
        .value_kind:     hidden_grid_dims
      - .offset:         264
        .size:           4
        .value_kind:     hidden_dynamic_lds_size
    .group_segment_fixed_size: 256
    .kernarg_segment_align: 8
    .kernarg_segment_size: 400
    .language:       OpenCL C
    .language_version:
      - 2
      - 0
    .max_flat_workgroup_size: 1024
    .name:           _ZN4vllm25paged_attention_v2_kernelI14__hip_bfloat16hLi112ELi16ELi128ELNS_18Fp8KVCacheDataTypeE1ELb0ELi512EEEvPfS3_PT_PKS4_PKT0_SA_ifPKiSC_iPKfiiiSE_SE_iiiii
    .private_segment_fixed_size: 0
    .sgpr_count:     68
    .sgpr_spill_count: 0
    .symbol:         _ZN4vllm25paged_attention_v2_kernelI14__hip_bfloat16hLi112ELi16ELi128ELNS_18Fp8KVCacheDataTypeE1ELb0ELi512EEEvPfS3_PT_PKS4_PKT0_SA_ifPKiSC_iPKfiiiSE_SE_iiiii.kd
    .uniform_work_group_size: 1
    .uses_dynamic_stack: false
    .vgpr_count:     156
    .vgpr_spill_count: 0
    .wavefront_size: 32
    .workgroup_processor_mode: 1
  - .args:
      - .actual_access:  write_only
        .address_space:  global
        .offset:         0
        .size:           8
        .value_kind:     global_buffer
      - .actual_access:  write_only
        .address_space:  global
        .offset:         8
        .size:           8
        .value_kind:     global_buffer
      - .actual_access:  write_only
        .address_space:  global
        .offset:         16
        .size:           8
        .value_kind:     global_buffer
      - .actual_access:  read_only
        .address_space:  global
        .offset:         24
        .size:           8
        .value_kind:     global_buffer
      - .actual_access:  read_only
        .address_space:  global
        .offset:         32
        .size:           8
        .value_kind:     global_buffer
      - .actual_access:  read_only
        .address_space:  global
        .offset:         40
        .size:           8
        .value_kind:     global_buffer
      - .offset:         48
        .size:           4
        .value_kind:     by_value
      - .offset:         52
        .size:           4
        .value_kind:     by_value
      - .actual_access:  read_only
        .address_space:  global
        .offset:         56
        .size:           8
        .value_kind:     global_buffer
      - .actual_access:  read_only
        .address_space:  global
        .offset:         64
        .size:           8
        .value_kind:     global_buffer
      - .offset:         72
        .size:           4
        .value_kind:     by_value
      - .actual_access:  read_only
        .address_space:  global
        .offset:         80
        .size:           8
        .value_kind:     global_buffer
      - .offset:         88
        .size:           4
        .value_kind:     by_value
      - .offset:         92
        .size:           4
        .value_kind:     by_value
      - .offset:         96
        .size:           4
        .value_kind:     by_value
      - .address_space:  global
        .offset:         104
        .size:           8
        .value_kind:     global_buffer
      - .address_space:  global
        .offset:         112
        .size:           8
        .value_kind:     global_buffer
      - .offset:         120
        .size:           4
        .value_kind:     by_value
      - .offset:         124
        .size:           4
        .value_kind:     by_value
      - .offset:         128
        .size:           4
        .value_kind:     by_value
      - .offset:         132
        .size:           4
        .value_kind:     by_value
      - .offset:         136
        .size:           4
        .value_kind:     by_value
      - .offset:         144
        .size:           4
        .value_kind:     hidden_block_count_x
      - .offset:         148
        .size:           4
        .value_kind:     hidden_block_count_y
      - .offset:         152
        .size:           4
        .value_kind:     hidden_block_count_z
      - .offset:         156
        .size:           2
        .value_kind:     hidden_group_size_x
      - .offset:         158
        .size:           2
        .value_kind:     hidden_group_size_y
      - .offset:         160
        .size:           2
        .value_kind:     hidden_group_size_z
      - .offset:         162
        .size:           2
        .value_kind:     hidden_remainder_x
      - .offset:         164
        .size:           2
        .value_kind:     hidden_remainder_y
      - .offset:         166
        .size:           2
        .value_kind:     hidden_remainder_z
      - .offset:         184
        .size:           8
        .value_kind:     hidden_global_offset_x
      - .offset:         192
        .size:           8
        .value_kind:     hidden_global_offset_y
      - .offset:         200
        .size:           8
        .value_kind:     hidden_global_offset_z
      - .offset:         208
        .size:           2
        .value_kind:     hidden_grid_dims
      - .offset:         264
        .size:           4
        .value_kind:     hidden_dynamic_lds_size
    .group_segment_fixed_size: 272
    .kernarg_segment_align: 8
    .kernarg_segment_size: 400
    .language:       OpenCL C
    .language_version:
      - 2
      - 0
    .max_flat_workgroup_size: 1024
    .name:           _ZN4vllm25paged_attention_v2_kernelI14__hip_bfloat16hLi120ELi16ELi128ELNS_18Fp8KVCacheDataTypeE1ELb0ELi512EEEvPfS3_PT_PKS4_PKT0_SA_ifPKiSC_iPKfiiiSE_SE_iiiii
    .private_segment_fixed_size: 0
    .sgpr_count:     64
    .sgpr_spill_count: 0
    .symbol:         _ZN4vllm25paged_attention_v2_kernelI14__hip_bfloat16hLi120ELi16ELi128ELNS_18Fp8KVCacheDataTypeE1ELb0ELi512EEEvPfS3_PT_PKS4_PKT0_SA_ifPKiSC_iPKfiiiSE_SE_iiiii.kd
    .uniform_work_group_size: 1
    .uses_dynamic_stack: false
    .vgpr_count:     156
    .vgpr_spill_count: 0
    .wavefront_size: 32
    .workgroup_processor_mode: 1
  - .args:
      - .actual_access:  write_only
        .address_space:  global
        .offset:         0
        .size:           8
        .value_kind:     global_buffer
      - .actual_access:  write_only
        .address_space:  global
        .offset:         8
        .size:           8
        .value_kind:     global_buffer
      - .actual_access:  write_only
        .address_space:  global
        .offset:         16
        .size:           8
        .value_kind:     global_buffer
      - .actual_access:  read_only
        .address_space:  global
        .offset:         24
        .size:           8
        .value_kind:     global_buffer
      - .actual_access:  read_only
        .address_space:  global
        .offset:         32
        .size:           8
        .value_kind:     global_buffer
      - .actual_access:  read_only
        .address_space:  global
        .offset:         40
        .size:           8
        .value_kind:     global_buffer
      - .offset:         48
        .size:           4
        .value_kind:     by_value
      - .offset:         52
        .size:           4
        .value_kind:     by_value
      - .actual_access:  read_only
        .address_space:  global
        .offset:         56
        .size:           8
        .value_kind:     global_buffer
      - .actual_access:  read_only
        .address_space:  global
        .offset:         64
        .size:           8
        .value_kind:     global_buffer
      - .offset:         72
        .size:           4
        .value_kind:     by_value
      - .actual_access:  read_only
        .address_space:  global
        .offset:         80
        .size:           8
        .value_kind:     global_buffer
      - .offset:         88
        .size:           4
        .value_kind:     by_value
      - .offset:         92
        .size:           4
        .value_kind:     by_value
      - .offset:         96
        .size:           4
        .value_kind:     by_value
      - .address_space:  global
        .offset:         104
        .size:           8
        .value_kind:     global_buffer
      - .address_space:  global
        .offset:         112
        .size:           8
        .value_kind:     global_buffer
      - .offset:         120
        .size:           4
        .value_kind:     by_value
      - .offset:         124
        .size:           4
        .value_kind:     by_value
      - .offset:         128
        .size:           4
        .value_kind:     by_value
      - .offset:         132
        .size:           4
        .value_kind:     by_value
      - .offset:         136
        .size:           4
        .value_kind:     by_value
      - .offset:         144
        .size:           4
        .value_kind:     hidden_block_count_x
      - .offset:         148
        .size:           4
        .value_kind:     hidden_block_count_y
      - .offset:         152
        .size:           4
        .value_kind:     hidden_block_count_z
      - .offset:         156
        .size:           2
        .value_kind:     hidden_group_size_x
      - .offset:         158
        .size:           2
        .value_kind:     hidden_group_size_y
      - .offset:         160
        .size:           2
        .value_kind:     hidden_group_size_z
      - .offset:         162
        .size:           2
        .value_kind:     hidden_remainder_x
      - .offset:         164
        .size:           2
        .value_kind:     hidden_remainder_y
      - .offset:         166
        .size:           2
        .value_kind:     hidden_remainder_z
      - .offset:         184
        .size:           8
        .value_kind:     hidden_global_offset_x
      - .offset:         192
        .size:           8
        .value_kind:     hidden_global_offset_y
      - .offset:         200
        .size:           8
        .value_kind:     hidden_global_offset_z
      - .offset:         208
        .size:           2
        .value_kind:     hidden_grid_dims
      - .offset:         264
        .size:           4
        .value_kind:     hidden_dynamic_lds_size
    .group_segment_fixed_size: 288
    .kernarg_segment_align: 8
    .kernarg_segment_size: 400
    .language:       OpenCL C
    .language_version:
      - 2
      - 0
    .max_flat_workgroup_size: 1024
    .name:           _ZN4vllm25paged_attention_v2_kernelI14__hip_bfloat16hLi128ELi16ELi128ELNS_18Fp8KVCacheDataTypeE1ELb0ELi512EEEvPfS3_PT_PKS4_PKT0_SA_ifPKiSC_iPKfiiiSE_SE_iiiii
    .private_segment_fixed_size: 0
    .sgpr_count:     78
    .sgpr_spill_count: 0
    .symbol:         _ZN4vllm25paged_attention_v2_kernelI14__hip_bfloat16hLi128ELi16ELi128ELNS_18Fp8KVCacheDataTypeE1ELb0ELi512EEEvPfS3_PT_PKS4_PKT0_SA_ifPKiSC_iPKfiiiSE_SE_iiiii.kd
    .uniform_work_group_size: 1
    .uses_dynamic_stack: false
    .vgpr_count:     180
    .vgpr_spill_count: 0
    .wavefront_size: 32
    .workgroup_processor_mode: 1
  - .args:
      - .actual_access:  write_only
        .address_space:  global
        .offset:         0
        .size:           8
        .value_kind:     global_buffer
      - .actual_access:  write_only
        .address_space:  global
        .offset:         8
        .size:           8
        .value_kind:     global_buffer
      - .actual_access:  write_only
        .address_space:  global
        .offset:         16
        .size:           8
        .value_kind:     global_buffer
      - .actual_access:  read_only
        .address_space:  global
        .offset:         24
        .size:           8
        .value_kind:     global_buffer
      - .actual_access:  read_only
        .address_space:  global
        .offset:         32
        .size:           8
        .value_kind:     global_buffer
      - .actual_access:  read_only
        .address_space:  global
        .offset:         40
        .size:           8
        .value_kind:     global_buffer
      - .offset:         48
        .size:           4
        .value_kind:     by_value
      - .offset:         52
        .size:           4
        .value_kind:     by_value
      - .actual_access:  read_only
        .address_space:  global
        .offset:         56
        .size:           8
        .value_kind:     global_buffer
      - .actual_access:  read_only
        .address_space:  global
        .offset:         64
        .size:           8
        .value_kind:     global_buffer
      - .offset:         72
        .size:           4
        .value_kind:     by_value
      - .actual_access:  read_only
        .address_space:  global
        .offset:         80
        .size:           8
        .value_kind:     global_buffer
      - .offset:         88
        .size:           4
        .value_kind:     by_value
      - .offset:         92
        .size:           4
        .value_kind:     by_value
      - .offset:         96
        .size:           4
        .value_kind:     by_value
      - .address_space:  global
        .offset:         104
        .size:           8
        .value_kind:     global_buffer
      - .address_space:  global
        .offset:         112
        .size:           8
        .value_kind:     global_buffer
      - .offset:         120
        .size:           4
        .value_kind:     by_value
      - .offset:         124
        .size:           4
        .value_kind:     by_value
      - .offset:         128
        .size:           4
        .value_kind:     by_value
      - .offset:         132
        .size:           4
        .value_kind:     by_value
      - .offset:         136
        .size:           4
        .value_kind:     by_value
      - .offset:         144
        .size:           4
        .value_kind:     hidden_block_count_x
      - .offset:         148
        .size:           4
        .value_kind:     hidden_block_count_y
      - .offset:         152
        .size:           4
        .value_kind:     hidden_block_count_z
      - .offset:         156
        .size:           2
        .value_kind:     hidden_group_size_x
      - .offset:         158
        .size:           2
        .value_kind:     hidden_group_size_y
      - .offset:         160
        .size:           2
        .value_kind:     hidden_group_size_z
      - .offset:         162
        .size:           2
        .value_kind:     hidden_remainder_x
      - .offset:         164
        .size:           2
        .value_kind:     hidden_remainder_y
      - .offset:         166
        .size:           2
        .value_kind:     hidden_remainder_z
      - .offset:         184
        .size:           8
        .value_kind:     hidden_global_offset_x
      - .offset:         192
        .size:           8
        .value_kind:     hidden_global_offset_y
      - .offset:         200
        .size:           8
        .value_kind:     hidden_global_offset_z
      - .offset:         208
        .size:           2
        .value_kind:     hidden_grid_dims
      - .offset:         264
        .size:           4
        .value_kind:     hidden_dynamic_lds_size
    .group_segment_fixed_size: 416
    .kernarg_segment_align: 8
    .kernarg_segment_size: 400
    .language:       OpenCL C
    .language_version:
      - 2
      - 0
    .max_flat_workgroup_size: 1024
    .name:           _ZN4vllm25paged_attention_v2_kernelI14__hip_bfloat16hLi192ELi16ELi128ELNS_18Fp8KVCacheDataTypeE1ELb0ELi512EEEvPfS3_PT_PKS4_PKT0_SA_ifPKiSC_iPKfiiiSE_SE_iiiii
    .private_segment_fixed_size: 72
    .sgpr_count:     40
    .sgpr_spill_count: 0
    .symbol:         _ZN4vllm25paged_attention_v2_kernelI14__hip_bfloat16hLi192ELi16ELi128ELNS_18Fp8KVCacheDataTypeE1ELb0ELi512EEEvPfS3_PT_PKS4_PKT0_SA_ifPKiSC_iPKfiiiSE_SE_iiiii.kd
    .uniform_work_group_size: 1
    .uses_dynamic_stack: false
    .vgpr_count:     192
    .vgpr_spill_count: 17
    .wavefront_size: 32
    .workgroup_processor_mode: 1
  - .args:
      - .actual_access:  write_only
        .address_space:  global
        .offset:         0
        .size:           8
        .value_kind:     global_buffer
      - .actual_access:  write_only
        .address_space:  global
        .offset:         8
        .size:           8
        .value_kind:     global_buffer
      - .actual_access:  write_only
        .address_space:  global
        .offset:         16
        .size:           8
        .value_kind:     global_buffer
      - .actual_access:  read_only
        .address_space:  global
        .offset:         24
        .size:           8
        .value_kind:     global_buffer
      - .actual_access:  read_only
        .address_space:  global
        .offset:         32
        .size:           8
        .value_kind:     global_buffer
      - .actual_access:  read_only
        .address_space:  global
        .offset:         40
        .size:           8
        .value_kind:     global_buffer
      - .offset:         48
        .size:           4
        .value_kind:     by_value
      - .offset:         52
        .size:           4
        .value_kind:     by_value
      - .actual_access:  read_only
        .address_space:  global
        .offset:         56
        .size:           8
        .value_kind:     global_buffer
      - .actual_access:  read_only
        .address_space:  global
        .offset:         64
        .size:           8
        .value_kind:     global_buffer
      - .offset:         72
        .size:           4
        .value_kind:     by_value
      - .actual_access:  read_only
        .address_space:  global
        .offset:         80
        .size:           8
        .value_kind:     global_buffer
      - .offset:         88
        .size:           4
        .value_kind:     by_value
      - .offset:         92
        .size:           4
        .value_kind:     by_value
      - .offset:         96
        .size:           4
        .value_kind:     by_value
      - .address_space:  global
        .offset:         104
        .size:           8
        .value_kind:     global_buffer
      - .address_space:  global
        .offset:         112
        .size:           8
        .value_kind:     global_buffer
      - .offset:         120
        .size:           4
        .value_kind:     by_value
      - .offset:         124
        .size:           4
        .value_kind:     by_value
      - .offset:         128
        .size:           4
        .value_kind:     by_value
      - .offset:         132
        .size:           4
        .value_kind:     by_value
      - .offset:         136
        .size:           4
        .value_kind:     by_value
      - .offset:         144
        .size:           4
        .value_kind:     hidden_block_count_x
      - .offset:         148
        .size:           4
        .value_kind:     hidden_block_count_y
      - .offset:         152
        .size:           4
        .value_kind:     hidden_block_count_z
      - .offset:         156
        .size:           2
        .value_kind:     hidden_group_size_x
      - .offset:         158
        .size:           2
        .value_kind:     hidden_group_size_y
      - .offset:         160
        .size:           2
        .value_kind:     hidden_group_size_z
      - .offset:         162
        .size:           2
        .value_kind:     hidden_remainder_x
      - .offset:         164
        .size:           2
        .value_kind:     hidden_remainder_y
      - .offset:         166
        .size:           2
        .value_kind:     hidden_remainder_z
      - .offset:         184
        .size:           8
        .value_kind:     hidden_global_offset_x
      - .offset:         192
        .size:           8
        .value_kind:     hidden_global_offset_y
      - .offset:         200
        .size:           8
        .value_kind:     hidden_global_offset_z
      - .offset:         208
        .size:           2
        .value_kind:     hidden_grid_dims
      - .offset:         264
        .size:           4
        .value_kind:     hidden_dynamic_lds_size
    .group_segment_fixed_size: 544
    .kernarg_segment_align: 8
    .kernarg_segment_size: 400
    .language:       OpenCL C
    .language_version:
      - 2
      - 0
    .max_flat_workgroup_size: 1024
    .name:           _ZN4vllm25paged_attention_v2_kernelI14__hip_bfloat16hLi256ELi16ELi128ELNS_18Fp8KVCacheDataTypeE1ELb0ELi512EEEvPfS3_PT_PKS4_PKT0_SA_ifPKiSC_iPKfiiiSE_SE_iiiii
    .private_segment_fixed_size: 328
    .sgpr_count:     40
    .sgpr_spill_count: 0
    .symbol:         _ZN4vllm25paged_attention_v2_kernelI14__hip_bfloat16hLi256ELi16ELi128ELNS_18Fp8KVCacheDataTypeE1ELb0ELi512EEEvPfS3_PT_PKS4_PKT0_SA_ifPKiSC_iPKfiiiSE_SE_iiiii.kd
    .uniform_work_group_size: 1
    .uses_dynamic_stack: false
    .vgpr_count:     192
    .vgpr_spill_count: 81
    .wavefront_size: 32
    .workgroup_processor_mode: 1
  - .args:
      - .actual_access:  write_only
        .address_space:  global
        .offset:         0
        .size:           8
        .value_kind:     global_buffer
      - .actual_access:  write_only
        .address_space:  global
        .offset:         8
        .size:           8
        .value_kind:     global_buffer
      - .actual_access:  write_only
        .address_space:  global
        .offset:         16
        .size:           8
        .value_kind:     global_buffer
      - .actual_access:  read_only
        .address_space:  global
        .offset:         24
        .size:           8
        .value_kind:     global_buffer
      - .actual_access:  read_only
        .address_space:  global
        .offset:         32
        .size:           8
        .value_kind:     global_buffer
      - .actual_access:  read_only
        .address_space:  global
        .offset:         40
        .size:           8
        .value_kind:     global_buffer
      - .offset:         48
        .size:           4
        .value_kind:     by_value
      - .offset:         52
        .size:           4
        .value_kind:     by_value
      - .actual_access:  read_only
        .address_space:  global
        .offset:         56
        .size:           8
        .value_kind:     global_buffer
      - .actual_access:  read_only
        .address_space:  global
        .offset:         64
        .size:           8
        .value_kind:     global_buffer
      - .offset:         72
        .size:           4
        .value_kind:     by_value
      - .actual_access:  read_only
        .address_space:  global
        .offset:         80
        .size:           8
        .value_kind:     global_buffer
      - .offset:         88
        .size:           4
        .value_kind:     by_value
      - .offset:         92
        .size:           4
        .value_kind:     by_value
      - .offset:         96
        .size:           4
        .value_kind:     by_value
      - .address_space:  global
        .offset:         104
        .size:           8
        .value_kind:     global_buffer
      - .address_space:  global
        .offset:         112
        .size:           8
        .value_kind:     global_buffer
      - .offset:         120
        .size:           4
        .value_kind:     by_value
      - .offset:         124
        .size:           4
        .value_kind:     by_value
      - .offset:         128
        .size:           4
        .value_kind:     by_value
      - .offset:         132
        .size:           4
        .value_kind:     by_value
      - .offset:         136
        .size:           4
        .value_kind:     by_value
      - .offset:         144
        .size:           4
        .value_kind:     hidden_block_count_x
      - .offset:         148
        .size:           4
        .value_kind:     hidden_block_count_y
      - .offset:         152
        .size:           4
        .value_kind:     hidden_block_count_z
      - .offset:         156
        .size:           2
        .value_kind:     hidden_group_size_x
      - .offset:         158
        .size:           2
        .value_kind:     hidden_group_size_y
      - .offset:         160
        .size:           2
        .value_kind:     hidden_group_size_z
      - .offset:         162
        .size:           2
        .value_kind:     hidden_remainder_x
      - .offset:         164
        .size:           2
        .value_kind:     hidden_remainder_y
      - .offset:         166
        .size:           2
        .value_kind:     hidden_remainder_z
      - .offset:         184
        .size:           8
        .value_kind:     hidden_global_offset_x
      - .offset:         192
        .size:           8
        .value_kind:     hidden_global_offset_y
      - .offset:         200
        .size:           8
        .value_kind:     hidden_global_offset_z
      - .offset:         208
        .size:           2
        .value_kind:     hidden_grid_dims
      - .offset:         264
        .size:           4
        .value_kind:     hidden_dynamic_lds_size
    .group_segment_fixed_size: 96
    .kernarg_segment_align: 8
    .kernarg_segment_size: 400
    .language:       OpenCL C
    .language_version:
      - 2
      - 0
    .max_flat_workgroup_size: 1024
    .name:           _ZN4vllm25paged_attention_v2_kernelI14__hip_bfloat16hLi32ELi32ELi128ELNS_18Fp8KVCacheDataTypeE1ELb1ELi512EEEvPfS3_PT_PKS4_PKT0_SA_ifPKiSC_iPKfiiiSE_SE_iiiii
    .private_segment_fixed_size: 0
    .sgpr_count:     63
    .sgpr_spill_count: 0
    .symbol:         _ZN4vllm25paged_attention_v2_kernelI14__hip_bfloat16hLi32ELi32ELi128ELNS_18Fp8KVCacheDataTypeE1ELb1ELi512EEEvPfS3_PT_PKS4_PKT0_SA_ifPKiSC_iPKfiiiSE_SE_iiiii.kd
    .uniform_work_group_size: 1
    .uses_dynamic_stack: false
    .vgpr_count:     102
    .vgpr_spill_count: 0
    .wavefront_size: 32
    .workgroup_processor_mode: 1
  - .args:
      - .actual_access:  write_only
        .address_space:  global
        .offset:         0
        .size:           8
        .value_kind:     global_buffer
      - .actual_access:  write_only
        .address_space:  global
        .offset:         8
        .size:           8
        .value_kind:     global_buffer
      - .actual_access:  write_only
        .address_space:  global
        .offset:         16
        .size:           8
        .value_kind:     global_buffer
      - .actual_access:  read_only
        .address_space:  global
        .offset:         24
        .size:           8
        .value_kind:     global_buffer
      - .actual_access:  read_only
        .address_space:  global
        .offset:         32
        .size:           8
        .value_kind:     global_buffer
      - .actual_access:  read_only
        .address_space:  global
        .offset:         40
        .size:           8
        .value_kind:     global_buffer
      - .offset:         48
        .size:           4
        .value_kind:     by_value
      - .offset:         52
        .size:           4
        .value_kind:     by_value
      - .actual_access:  read_only
        .address_space:  global
        .offset:         56
        .size:           8
        .value_kind:     global_buffer
      - .actual_access:  read_only
        .address_space:  global
        .offset:         64
        .size:           8
        .value_kind:     global_buffer
      - .offset:         72
        .size:           4
        .value_kind:     by_value
      - .actual_access:  read_only
        .address_space:  global
        .offset:         80
        .size:           8
        .value_kind:     global_buffer
      - .offset:         88
        .size:           4
        .value_kind:     by_value
      - .offset:         92
        .size:           4
        .value_kind:     by_value
      - .offset:         96
        .size:           4
        .value_kind:     by_value
      - .address_space:  global
        .offset:         104
        .size:           8
        .value_kind:     global_buffer
      - .address_space:  global
        .offset:         112
        .size:           8
        .value_kind:     global_buffer
      - .offset:         120
        .size:           4
        .value_kind:     by_value
      - .offset:         124
        .size:           4
        .value_kind:     by_value
      - .offset:         128
        .size:           4
        .value_kind:     by_value
      - .offset:         132
        .size:           4
        .value_kind:     by_value
      - .offset:         136
        .size:           4
        .value_kind:     by_value
      - .offset:         144
        .size:           4
        .value_kind:     hidden_block_count_x
      - .offset:         148
        .size:           4
        .value_kind:     hidden_block_count_y
      - .offset:         152
        .size:           4
        .value_kind:     hidden_block_count_z
      - .offset:         156
        .size:           2
        .value_kind:     hidden_group_size_x
      - .offset:         158
        .size:           2
        .value_kind:     hidden_group_size_y
      - .offset:         160
        .size:           2
        .value_kind:     hidden_group_size_z
      - .offset:         162
        .size:           2
        .value_kind:     hidden_remainder_x
      - .offset:         164
        .size:           2
        .value_kind:     hidden_remainder_y
      - .offset:         166
        .size:           2
        .value_kind:     hidden_remainder_z
      - .offset:         184
        .size:           8
        .value_kind:     hidden_global_offset_x
      - .offset:         192
        .size:           8
        .value_kind:     hidden_global_offset_y
      - .offset:         200
        .size:           8
        .value_kind:     hidden_global_offset_z
      - .offset:         208
        .size:           2
        .value_kind:     hidden_grid_dims
      - .offset:         264
        .size:           4
        .value_kind:     hidden_dynamic_lds_size
    .group_segment_fixed_size: 160
    .kernarg_segment_align: 8
    .kernarg_segment_size: 400
    .language:       OpenCL C
    .language_version:
      - 2
      - 0
    .max_flat_workgroup_size: 1024
    .name:           _ZN4vllm25paged_attention_v2_kernelI14__hip_bfloat16hLi64ELi32ELi128ELNS_18Fp8KVCacheDataTypeE1ELb1ELi512EEEvPfS3_PT_PKS4_PKT0_SA_ifPKiSC_iPKfiiiSE_SE_iiiii
    .private_segment_fixed_size: 0
    .sgpr_count:     71
    .sgpr_spill_count: 0
    .symbol:         _ZN4vllm25paged_attention_v2_kernelI14__hip_bfloat16hLi64ELi32ELi128ELNS_18Fp8KVCacheDataTypeE1ELb1ELi512EEEvPfS3_PT_PKS4_PKT0_SA_ifPKiSC_iPKfiiiSE_SE_iiiii.kd
    .uniform_work_group_size: 1
    .uses_dynamic_stack: false
    .vgpr_count:     178
    .vgpr_spill_count: 0
    .wavefront_size: 32
    .workgroup_processor_mode: 1
  - .args:
      - .actual_access:  write_only
        .address_space:  global
        .offset:         0
        .size:           8
        .value_kind:     global_buffer
      - .actual_access:  write_only
        .address_space:  global
        .offset:         8
        .size:           8
        .value_kind:     global_buffer
      - .actual_access:  write_only
        .address_space:  global
        .offset:         16
        .size:           8
        .value_kind:     global_buffer
      - .actual_access:  read_only
        .address_space:  global
        .offset:         24
        .size:           8
        .value_kind:     global_buffer
      - .actual_access:  read_only
        .address_space:  global
        .offset:         32
        .size:           8
        .value_kind:     global_buffer
      - .actual_access:  read_only
        .address_space:  global
        .offset:         40
        .size:           8
        .value_kind:     global_buffer
      - .offset:         48
        .size:           4
        .value_kind:     by_value
      - .offset:         52
        .size:           4
        .value_kind:     by_value
      - .actual_access:  read_only
        .address_space:  global
        .offset:         56
        .size:           8
        .value_kind:     global_buffer
      - .actual_access:  read_only
        .address_space:  global
        .offset:         64
        .size:           8
        .value_kind:     global_buffer
      - .offset:         72
        .size:           4
        .value_kind:     by_value
      - .actual_access:  read_only
        .address_space:  global
        .offset:         80
        .size:           8
        .value_kind:     global_buffer
      - .offset:         88
        .size:           4
        .value_kind:     by_value
      - .offset:         92
        .size:           4
        .value_kind:     by_value
      - .offset:         96
        .size:           4
        .value_kind:     by_value
      - .address_space:  global
        .offset:         104
        .size:           8
        .value_kind:     global_buffer
      - .address_space:  global
        .offset:         112
        .size:           8
        .value_kind:     global_buffer
      - .offset:         120
        .size:           4
        .value_kind:     by_value
      - .offset:         124
        .size:           4
        .value_kind:     by_value
      - .offset:         128
        .size:           4
        .value_kind:     by_value
      - .offset:         132
        .size:           4
        .value_kind:     by_value
      - .offset:         136
        .size:           4
        .value_kind:     by_value
      - .offset:         144
        .size:           4
        .value_kind:     hidden_block_count_x
      - .offset:         148
        .size:           4
        .value_kind:     hidden_block_count_y
      - .offset:         152
        .size:           4
        .value_kind:     hidden_block_count_z
      - .offset:         156
        .size:           2
        .value_kind:     hidden_group_size_x
      - .offset:         158
        .size:           2
        .value_kind:     hidden_group_size_y
      - .offset:         160
        .size:           2
        .value_kind:     hidden_group_size_z
      - .offset:         162
        .size:           2
        .value_kind:     hidden_remainder_x
      - .offset:         164
        .size:           2
        .value_kind:     hidden_remainder_y
      - .offset:         166
        .size:           2
        .value_kind:     hidden_remainder_z
      - .offset:         184
        .size:           8
        .value_kind:     hidden_global_offset_x
      - .offset:         192
        .size:           8
        .value_kind:     hidden_global_offset_y
      - .offset:         200
        .size:           8
        .value_kind:     hidden_global_offset_z
      - .offset:         208
        .size:           2
        .value_kind:     hidden_grid_dims
      - .offset:         264
        .size:           4
        .value_kind:     hidden_dynamic_lds_size
    .group_segment_fixed_size: 192
    .kernarg_segment_align: 8
    .kernarg_segment_size: 400
    .language:       OpenCL C
    .language_version:
      - 2
      - 0
    .max_flat_workgroup_size: 1024
    .name:           _ZN4vllm25paged_attention_v2_kernelI14__hip_bfloat16hLi80ELi32ELi128ELNS_18Fp8KVCacheDataTypeE1ELb1ELi512EEEvPfS3_PT_PKS4_PKT0_SA_ifPKiSC_iPKfiiiSE_SE_iiiii
    .private_segment_fixed_size: 0
    .sgpr_count:     46
    .sgpr_spill_count: 0
    .symbol:         _ZN4vllm25paged_attention_v2_kernelI14__hip_bfloat16hLi80ELi32ELi128ELNS_18Fp8KVCacheDataTypeE1ELb1ELi512EEEvPfS3_PT_PKS4_PKT0_SA_ifPKiSC_iPKfiiiSE_SE_iiiii.kd
    .uniform_work_group_size: 1
    .uses_dynamic_stack: false
    .vgpr_count:     181
    .vgpr_spill_count: 0
    .wavefront_size: 32
    .workgroup_processor_mode: 1
  - .args:
      - .actual_access:  write_only
        .address_space:  global
        .offset:         0
        .size:           8
        .value_kind:     global_buffer
      - .actual_access:  write_only
        .address_space:  global
        .offset:         8
        .size:           8
        .value_kind:     global_buffer
      - .actual_access:  write_only
        .address_space:  global
        .offset:         16
        .size:           8
        .value_kind:     global_buffer
      - .actual_access:  read_only
        .address_space:  global
        .offset:         24
        .size:           8
        .value_kind:     global_buffer
      - .actual_access:  read_only
        .address_space:  global
        .offset:         32
        .size:           8
        .value_kind:     global_buffer
      - .actual_access:  read_only
        .address_space:  global
        .offset:         40
        .size:           8
        .value_kind:     global_buffer
      - .offset:         48
        .size:           4
        .value_kind:     by_value
      - .offset:         52
        .size:           4
        .value_kind:     by_value
      - .actual_access:  read_only
        .address_space:  global
        .offset:         56
        .size:           8
        .value_kind:     global_buffer
      - .actual_access:  read_only
        .address_space:  global
        .offset:         64
        .size:           8
        .value_kind:     global_buffer
      - .offset:         72
        .size:           4
        .value_kind:     by_value
      - .actual_access:  read_only
        .address_space:  global
        .offset:         80
        .size:           8
        .value_kind:     global_buffer
      - .offset:         88
        .size:           4
        .value_kind:     by_value
      - .offset:         92
        .size:           4
        .value_kind:     by_value
      - .offset:         96
        .size:           4
        .value_kind:     by_value
      - .address_space:  global
        .offset:         104
        .size:           8
        .value_kind:     global_buffer
      - .address_space:  global
        .offset:         112
        .size:           8
        .value_kind:     global_buffer
      - .offset:         120
        .size:           4
        .value_kind:     by_value
      - .offset:         124
        .size:           4
        .value_kind:     by_value
      - .offset:         128
        .size:           4
        .value_kind:     by_value
      - .offset:         132
        .size:           4
        .value_kind:     by_value
      - .offset:         136
        .size:           4
        .value_kind:     by_value
      - .offset:         144
        .size:           4
        .value_kind:     hidden_block_count_x
      - .offset:         148
        .size:           4
        .value_kind:     hidden_block_count_y
      - .offset:         152
        .size:           4
        .value_kind:     hidden_block_count_z
      - .offset:         156
        .size:           2
        .value_kind:     hidden_group_size_x
      - .offset:         158
        .size:           2
        .value_kind:     hidden_group_size_y
      - .offset:         160
        .size:           2
        .value_kind:     hidden_group_size_z
      - .offset:         162
        .size:           2
        .value_kind:     hidden_remainder_x
      - .offset:         164
        .size:           2
        .value_kind:     hidden_remainder_y
      - .offset:         166
        .size:           2
        .value_kind:     hidden_remainder_z
      - .offset:         184
        .size:           8
        .value_kind:     hidden_global_offset_x
      - .offset:         192
        .size:           8
        .value_kind:     hidden_global_offset_y
      - .offset:         200
        .size:           8
        .value_kind:     hidden_global_offset_z
      - .offset:         208
        .size:           2
        .value_kind:     hidden_grid_dims
      - .offset:         264
        .size:           4
        .value_kind:     hidden_dynamic_lds_size
    .group_segment_fixed_size: 224
    .kernarg_segment_align: 8
    .kernarg_segment_size: 400
    .language:       OpenCL C
    .language_version:
      - 2
      - 0
    .max_flat_workgroup_size: 1024
    .name:           _ZN4vllm25paged_attention_v2_kernelI14__hip_bfloat16hLi96ELi32ELi128ELNS_18Fp8KVCacheDataTypeE1ELb1ELi512EEEvPfS3_PT_PKS4_PKT0_SA_ifPKiSC_iPKfiiiSE_SE_iiiii
    .private_segment_fixed_size: 100
    .sgpr_count:     48
    .sgpr_spill_count: 0
    .symbol:         _ZN4vllm25paged_attention_v2_kernelI14__hip_bfloat16hLi96ELi32ELi128ELNS_18Fp8KVCacheDataTypeE1ELb1ELi512EEEvPfS3_PT_PKS4_PKT0_SA_ifPKiSC_iPKfiiiSE_SE_iiiii.kd
    .uniform_work_group_size: 1
    .uses_dynamic_stack: false
    .vgpr_count:     192
    .vgpr_spill_count: 24
    .wavefront_size: 32
    .workgroup_processor_mode: 1
  - .args:
      - .actual_access:  write_only
        .address_space:  global
        .offset:         0
        .size:           8
        .value_kind:     global_buffer
      - .actual_access:  write_only
        .address_space:  global
        .offset:         8
        .size:           8
        .value_kind:     global_buffer
      - .actual_access:  write_only
        .address_space:  global
        .offset:         16
        .size:           8
        .value_kind:     global_buffer
      - .actual_access:  read_only
        .address_space:  global
        .offset:         24
        .size:           8
        .value_kind:     global_buffer
      - .actual_access:  read_only
        .address_space:  global
        .offset:         32
        .size:           8
        .value_kind:     global_buffer
      - .actual_access:  read_only
        .address_space:  global
        .offset:         40
        .size:           8
        .value_kind:     global_buffer
      - .offset:         48
        .size:           4
        .value_kind:     by_value
      - .offset:         52
        .size:           4
        .value_kind:     by_value
      - .actual_access:  read_only
        .address_space:  global
        .offset:         56
        .size:           8
        .value_kind:     global_buffer
      - .actual_access:  read_only
        .address_space:  global
        .offset:         64
        .size:           8
        .value_kind:     global_buffer
      - .offset:         72
        .size:           4
        .value_kind:     by_value
      - .actual_access:  read_only
        .address_space:  global
        .offset:         80
        .size:           8
        .value_kind:     global_buffer
      - .offset:         88
        .size:           4
        .value_kind:     by_value
      - .offset:         92
        .size:           4
        .value_kind:     by_value
      - .offset:         96
        .size:           4
        .value_kind:     by_value
      - .address_space:  global
        .offset:         104
        .size:           8
        .value_kind:     global_buffer
      - .address_space:  global
        .offset:         112
        .size:           8
        .value_kind:     global_buffer
      - .offset:         120
        .size:           4
        .value_kind:     by_value
      - .offset:         124
        .size:           4
        .value_kind:     by_value
      - .offset:         128
        .size:           4
        .value_kind:     by_value
      - .offset:         132
        .size:           4
        .value_kind:     by_value
      - .offset:         136
        .size:           4
        .value_kind:     by_value
      - .offset:         144
        .size:           4
        .value_kind:     hidden_block_count_x
      - .offset:         148
        .size:           4
        .value_kind:     hidden_block_count_y
      - .offset:         152
        .size:           4
        .value_kind:     hidden_block_count_z
      - .offset:         156
        .size:           2
        .value_kind:     hidden_group_size_x
      - .offset:         158
        .size:           2
        .value_kind:     hidden_group_size_y
      - .offset:         160
        .size:           2
        .value_kind:     hidden_group_size_z
      - .offset:         162
        .size:           2
        .value_kind:     hidden_remainder_x
      - .offset:         164
        .size:           2
        .value_kind:     hidden_remainder_y
      - .offset:         166
        .size:           2
        .value_kind:     hidden_remainder_z
      - .offset:         184
        .size:           8
        .value_kind:     hidden_global_offset_x
      - .offset:         192
        .size:           8
        .value_kind:     hidden_global_offset_y
      - .offset:         200
        .size:           8
        .value_kind:     hidden_global_offset_z
      - .offset:         208
        .size:           2
        .value_kind:     hidden_grid_dims
      - .offset:         264
        .size:           4
        .value_kind:     hidden_dynamic_lds_size
    .group_segment_fixed_size: 256
    .kernarg_segment_align: 8
    .kernarg_segment_size: 400
    .language:       OpenCL C
    .language_version:
      - 2
      - 0
    .max_flat_workgroup_size: 1024
    .name:           _ZN4vllm25paged_attention_v2_kernelI14__hip_bfloat16hLi112ELi32ELi128ELNS_18Fp8KVCacheDataTypeE1ELb1ELi512EEEvPfS3_PT_PKS4_PKT0_SA_ifPKiSC_iPKfiiiSE_SE_iiiii
    .private_segment_fixed_size: 236
    .sgpr_count:     48
    .sgpr_spill_count: 0
    .symbol:         _ZN4vllm25paged_attention_v2_kernelI14__hip_bfloat16hLi112ELi32ELi128ELNS_18Fp8KVCacheDataTypeE1ELb1ELi512EEEvPfS3_PT_PKS4_PKT0_SA_ifPKiSC_iPKfiiiSE_SE_iiiii.kd
    .uniform_work_group_size: 1
    .uses_dynamic_stack: false
    .vgpr_count:     192
    .vgpr_spill_count: 58
    .wavefront_size: 32
    .workgroup_processor_mode: 1
  - .args:
      - .actual_access:  write_only
        .address_space:  global
        .offset:         0
        .size:           8
        .value_kind:     global_buffer
      - .actual_access:  write_only
        .address_space:  global
        .offset:         8
        .size:           8
        .value_kind:     global_buffer
      - .actual_access:  write_only
        .address_space:  global
        .offset:         16
        .size:           8
        .value_kind:     global_buffer
      - .actual_access:  read_only
        .address_space:  global
        .offset:         24
        .size:           8
        .value_kind:     global_buffer
      - .actual_access:  read_only
        .address_space:  global
        .offset:         32
        .size:           8
        .value_kind:     global_buffer
      - .actual_access:  read_only
        .address_space:  global
        .offset:         40
        .size:           8
        .value_kind:     global_buffer
      - .offset:         48
        .size:           4
        .value_kind:     by_value
      - .offset:         52
        .size:           4
        .value_kind:     by_value
      - .actual_access:  read_only
        .address_space:  global
        .offset:         56
        .size:           8
        .value_kind:     global_buffer
      - .actual_access:  read_only
        .address_space:  global
        .offset:         64
        .size:           8
        .value_kind:     global_buffer
      - .offset:         72
        .size:           4
        .value_kind:     by_value
      - .actual_access:  read_only
        .address_space:  global
        .offset:         80
        .size:           8
        .value_kind:     global_buffer
      - .offset:         88
        .size:           4
        .value_kind:     by_value
      - .offset:         92
        .size:           4
        .value_kind:     by_value
      - .offset:         96
        .size:           4
        .value_kind:     by_value
      - .address_space:  global
        .offset:         104
        .size:           8
        .value_kind:     global_buffer
      - .address_space:  global
        .offset:         112
        .size:           8
        .value_kind:     global_buffer
      - .offset:         120
        .size:           4
        .value_kind:     by_value
      - .offset:         124
        .size:           4
        .value_kind:     by_value
      - .offset:         128
        .size:           4
        .value_kind:     by_value
      - .offset:         132
        .size:           4
        .value_kind:     by_value
      - .offset:         136
        .size:           4
        .value_kind:     by_value
      - .offset:         144
        .size:           4
        .value_kind:     hidden_block_count_x
      - .offset:         148
        .size:           4
        .value_kind:     hidden_block_count_y
      - .offset:         152
        .size:           4
        .value_kind:     hidden_block_count_z
      - .offset:         156
        .size:           2
        .value_kind:     hidden_group_size_x
      - .offset:         158
        .size:           2
        .value_kind:     hidden_group_size_y
      - .offset:         160
        .size:           2
        .value_kind:     hidden_group_size_z
      - .offset:         162
        .size:           2
        .value_kind:     hidden_remainder_x
      - .offset:         164
        .size:           2
        .value_kind:     hidden_remainder_y
      - .offset:         166
        .size:           2
        .value_kind:     hidden_remainder_z
      - .offset:         184
        .size:           8
        .value_kind:     hidden_global_offset_x
      - .offset:         192
        .size:           8
        .value_kind:     hidden_global_offset_y
      - .offset:         200
        .size:           8
        .value_kind:     hidden_global_offset_z
      - .offset:         208
        .size:           2
        .value_kind:     hidden_grid_dims
      - .offset:         264
        .size:           4
        .value_kind:     hidden_dynamic_lds_size
    .group_segment_fixed_size: 272
    .kernarg_segment_align: 8
    .kernarg_segment_size: 400
    .language:       OpenCL C
    .language_version:
      - 2
      - 0
    .max_flat_workgroup_size: 1024
    .name:           _ZN4vllm25paged_attention_v2_kernelI14__hip_bfloat16hLi120ELi32ELi128ELNS_18Fp8KVCacheDataTypeE1ELb1ELi512EEEvPfS3_PT_PKS4_PKT0_SA_ifPKiSC_iPKfiiiSE_SE_iiiii
    .private_segment_fixed_size: 424
    .sgpr_count:     46
    .sgpr_spill_count: 0
    .symbol:         _ZN4vllm25paged_attention_v2_kernelI14__hip_bfloat16hLi120ELi32ELi128ELNS_18Fp8KVCacheDataTypeE1ELb1ELi512EEEvPfS3_PT_PKS4_PKT0_SA_ifPKiSC_iPKfiiiSE_SE_iiiii.kd
    .uniform_work_group_size: 1
    .uses_dynamic_stack: false
    .vgpr_count:     192
    .vgpr_spill_count: 105
    .wavefront_size: 32
    .workgroup_processor_mode: 1
  - .args:
      - .actual_access:  write_only
        .address_space:  global
        .offset:         0
        .size:           8
        .value_kind:     global_buffer
      - .actual_access:  write_only
        .address_space:  global
        .offset:         8
        .size:           8
        .value_kind:     global_buffer
      - .actual_access:  write_only
        .address_space:  global
        .offset:         16
        .size:           8
        .value_kind:     global_buffer
      - .actual_access:  read_only
        .address_space:  global
        .offset:         24
        .size:           8
        .value_kind:     global_buffer
      - .actual_access:  read_only
        .address_space:  global
        .offset:         32
        .size:           8
        .value_kind:     global_buffer
      - .actual_access:  read_only
        .address_space:  global
        .offset:         40
        .size:           8
        .value_kind:     global_buffer
      - .offset:         48
        .size:           4
        .value_kind:     by_value
      - .offset:         52
        .size:           4
        .value_kind:     by_value
      - .actual_access:  read_only
        .address_space:  global
        .offset:         56
        .size:           8
        .value_kind:     global_buffer
      - .actual_access:  read_only
        .address_space:  global
        .offset:         64
        .size:           8
        .value_kind:     global_buffer
      - .offset:         72
        .size:           4
        .value_kind:     by_value
      - .actual_access:  read_only
        .address_space:  global
        .offset:         80
        .size:           8
        .value_kind:     global_buffer
      - .offset:         88
        .size:           4
        .value_kind:     by_value
      - .offset:         92
        .size:           4
        .value_kind:     by_value
      - .offset:         96
        .size:           4
        .value_kind:     by_value
      - .address_space:  global
        .offset:         104
        .size:           8
        .value_kind:     global_buffer
      - .address_space:  global
        .offset:         112
        .size:           8
        .value_kind:     global_buffer
      - .offset:         120
        .size:           4
        .value_kind:     by_value
      - .offset:         124
        .size:           4
        .value_kind:     by_value
      - .offset:         128
        .size:           4
        .value_kind:     by_value
      - .offset:         132
        .size:           4
        .value_kind:     by_value
      - .offset:         136
        .size:           4
        .value_kind:     by_value
      - .offset:         144
        .size:           4
        .value_kind:     hidden_block_count_x
      - .offset:         148
        .size:           4
        .value_kind:     hidden_block_count_y
      - .offset:         152
        .size:           4
        .value_kind:     hidden_block_count_z
      - .offset:         156
        .size:           2
        .value_kind:     hidden_group_size_x
      - .offset:         158
        .size:           2
        .value_kind:     hidden_group_size_y
      - .offset:         160
        .size:           2
        .value_kind:     hidden_group_size_z
      - .offset:         162
        .size:           2
        .value_kind:     hidden_remainder_x
      - .offset:         164
        .size:           2
        .value_kind:     hidden_remainder_y
      - .offset:         166
        .size:           2
        .value_kind:     hidden_remainder_z
      - .offset:         184
        .size:           8
        .value_kind:     hidden_global_offset_x
      - .offset:         192
        .size:           8
        .value_kind:     hidden_global_offset_y
      - .offset:         200
        .size:           8
        .value_kind:     hidden_global_offset_z
      - .offset:         208
        .size:           2
        .value_kind:     hidden_grid_dims
      - .offset:         264
        .size:           4
        .value_kind:     hidden_dynamic_lds_size
    .group_segment_fixed_size: 288
    .kernarg_segment_align: 8
    .kernarg_segment_size: 400
    .language:       OpenCL C
    .language_version:
      - 2
      - 0
    .max_flat_workgroup_size: 1024
    .name:           _ZN4vllm25paged_attention_v2_kernelI14__hip_bfloat16hLi128ELi32ELi128ELNS_18Fp8KVCacheDataTypeE1ELb1ELi512EEEvPfS3_PT_PKS4_PKT0_SA_ifPKiSC_iPKfiiiSE_SE_iiiii
    .private_segment_fixed_size: 352
    .sgpr_count:     48
    .sgpr_spill_count: 0
    .symbol:         _ZN4vllm25paged_attention_v2_kernelI14__hip_bfloat16hLi128ELi32ELi128ELNS_18Fp8KVCacheDataTypeE1ELb1ELi512EEEvPfS3_PT_PKS4_PKT0_SA_ifPKiSC_iPKfiiiSE_SE_iiiii.kd
    .uniform_work_group_size: 1
    .uses_dynamic_stack: false
    .vgpr_count:     192
    .vgpr_spill_count: 87
    .wavefront_size: 32
    .workgroup_processor_mode: 1
  - .args:
      - .actual_access:  write_only
        .address_space:  global
        .offset:         0
        .size:           8
        .value_kind:     global_buffer
      - .actual_access:  write_only
        .address_space:  global
        .offset:         8
        .size:           8
        .value_kind:     global_buffer
      - .actual_access:  write_only
        .address_space:  global
        .offset:         16
        .size:           8
        .value_kind:     global_buffer
      - .actual_access:  read_only
        .address_space:  global
        .offset:         24
        .size:           8
        .value_kind:     global_buffer
      - .actual_access:  read_only
        .address_space:  global
        .offset:         32
        .size:           8
        .value_kind:     global_buffer
      - .actual_access:  read_only
        .address_space:  global
        .offset:         40
        .size:           8
        .value_kind:     global_buffer
      - .offset:         48
        .size:           4
        .value_kind:     by_value
      - .offset:         52
        .size:           4
        .value_kind:     by_value
      - .actual_access:  read_only
        .address_space:  global
        .offset:         56
        .size:           8
        .value_kind:     global_buffer
      - .actual_access:  read_only
        .address_space:  global
        .offset:         64
        .size:           8
        .value_kind:     global_buffer
      - .offset:         72
        .size:           4
        .value_kind:     by_value
      - .actual_access:  read_only
        .address_space:  global
        .offset:         80
        .size:           8
        .value_kind:     global_buffer
      - .offset:         88
        .size:           4
        .value_kind:     by_value
      - .offset:         92
        .size:           4
        .value_kind:     by_value
      - .offset:         96
        .size:           4
        .value_kind:     by_value
      - .address_space:  global
        .offset:         104
        .size:           8
        .value_kind:     global_buffer
      - .address_space:  global
        .offset:         112
        .size:           8
        .value_kind:     global_buffer
      - .offset:         120
        .size:           4
        .value_kind:     by_value
      - .offset:         124
        .size:           4
        .value_kind:     by_value
      - .offset:         128
        .size:           4
        .value_kind:     by_value
      - .offset:         132
        .size:           4
        .value_kind:     by_value
      - .offset:         136
        .size:           4
        .value_kind:     by_value
      - .offset:         144
        .size:           4
        .value_kind:     hidden_block_count_x
      - .offset:         148
        .size:           4
        .value_kind:     hidden_block_count_y
      - .offset:         152
        .size:           4
        .value_kind:     hidden_block_count_z
      - .offset:         156
        .size:           2
        .value_kind:     hidden_group_size_x
      - .offset:         158
        .size:           2
        .value_kind:     hidden_group_size_y
      - .offset:         160
        .size:           2
        .value_kind:     hidden_group_size_z
      - .offset:         162
        .size:           2
        .value_kind:     hidden_remainder_x
      - .offset:         164
        .size:           2
        .value_kind:     hidden_remainder_y
      - .offset:         166
        .size:           2
        .value_kind:     hidden_remainder_z
      - .offset:         184
        .size:           8
        .value_kind:     hidden_global_offset_x
      - .offset:         192
        .size:           8
        .value_kind:     hidden_global_offset_y
      - .offset:         200
        .size:           8
        .value_kind:     hidden_global_offset_z
      - .offset:         208
        .size:           2
        .value_kind:     hidden_grid_dims
      - .offset:         264
        .size:           4
        .value_kind:     hidden_dynamic_lds_size
    .group_segment_fixed_size: 416
    .kernarg_segment_align: 8
    .kernarg_segment_size: 400
    .language:       OpenCL C
    .language_version:
      - 2
      - 0
    .max_flat_workgroup_size: 1024
    .name:           _ZN4vllm25paged_attention_v2_kernelI14__hip_bfloat16hLi192ELi32ELi128ELNS_18Fp8KVCacheDataTypeE1ELb1ELi512EEEvPfS3_PT_PKS4_PKT0_SA_ifPKiSC_iPKfiiiSE_SE_iiiii
    .private_segment_fixed_size: 904
    .sgpr_count:     46
    .sgpr_spill_count: 0
    .symbol:         _ZN4vllm25paged_attention_v2_kernelI14__hip_bfloat16hLi192ELi32ELi128ELNS_18Fp8KVCacheDataTypeE1ELb1ELi512EEEvPfS3_PT_PKS4_PKT0_SA_ifPKiSC_iPKfiiiSE_SE_iiiii.kd
    .uniform_work_group_size: 1
    .uses_dynamic_stack: false
    .vgpr_count:     192
    .vgpr_spill_count: 292
    .wavefront_size: 32
    .workgroup_processor_mode: 1
  - .args:
      - .actual_access:  write_only
        .address_space:  global
        .offset:         0
        .size:           8
        .value_kind:     global_buffer
      - .actual_access:  write_only
        .address_space:  global
        .offset:         8
        .size:           8
        .value_kind:     global_buffer
      - .actual_access:  write_only
        .address_space:  global
        .offset:         16
        .size:           8
        .value_kind:     global_buffer
      - .actual_access:  read_only
        .address_space:  global
        .offset:         24
        .size:           8
        .value_kind:     global_buffer
      - .actual_access:  read_only
        .address_space:  global
        .offset:         32
        .size:           8
        .value_kind:     global_buffer
      - .actual_access:  read_only
        .address_space:  global
        .offset:         40
        .size:           8
        .value_kind:     global_buffer
      - .offset:         48
        .size:           4
        .value_kind:     by_value
      - .offset:         52
        .size:           4
        .value_kind:     by_value
      - .actual_access:  read_only
        .address_space:  global
        .offset:         56
        .size:           8
        .value_kind:     global_buffer
      - .actual_access:  read_only
        .address_space:  global
        .offset:         64
        .size:           8
        .value_kind:     global_buffer
      - .offset:         72
        .size:           4
        .value_kind:     by_value
      - .actual_access:  read_only
        .address_space:  global
        .offset:         80
        .size:           8
        .value_kind:     global_buffer
      - .offset:         88
        .size:           4
        .value_kind:     by_value
      - .offset:         92
        .size:           4
        .value_kind:     by_value
      - .offset:         96
        .size:           4
        .value_kind:     by_value
      - .address_space:  global
        .offset:         104
        .size:           8
        .value_kind:     global_buffer
      - .address_space:  global
        .offset:         112
        .size:           8
        .value_kind:     global_buffer
      - .offset:         120
        .size:           4
        .value_kind:     by_value
      - .offset:         124
        .size:           4
        .value_kind:     by_value
      - .offset:         128
        .size:           4
        .value_kind:     by_value
      - .offset:         132
        .size:           4
        .value_kind:     by_value
      - .offset:         136
        .size:           4
        .value_kind:     by_value
      - .offset:         144
        .size:           4
        .value_kind:     hidden_block_count_x
      - .offset:         148
        .size:           4
        .value_kind:     hidden_block_count_y
      - .offset:         152
        .size:           4
        .value_kind:     hidden_block_count_z
      - .offset:         156
        .size:           2
        .value_kind:     hidden_group_size_x
      - .offset:         158
        .size:           2
        .value_kind:     hidden_group_size_y
      - .offset:         160
        .size:           2
        .value_kind:     hidden_group_size_z
      - .offset:         162
        .size:           2
        .value_kind:     hidden_remainder_x
      - .offset:         164
        .size:           2
        .value_kind:     hidden_remainder_y
      - .offset:         166
        .size:           2
        .value_kind:     hidden_remainder_z
      - .offset:         184
        .size:           8
        .value_kind:     hidden_global_offset_x
      - .offset:         192
        .size:           8
        .value_kind:     hidden_global_offset_y
      - .offset:         200
        .size:           8
        .value_kind:     hidden_global_offset_z
      - .offset:         208
        .size:           2
        .value_kind:     hidden_grid_dims
      - .offset:         264
        .size:           4
        .value_kind:     hidden_dynamic_lds_size
    .group_segment_fixed_size: 544
    .kernarg_segment_align: 8
    .kernarg_segment_size: 400
    .language:       OpenCL C
    .language_version:
      - 2
      - 0
    .max_flat_workgroup_size: 1024
    .name:           _ZN4vllm25paged_attention_v2_kernelI14__hip_bfloat16hLi256ELi32ELi128ELNS_18Fp8KVCacheDataTypeE1ELb1ELi512EEEvPfS3_PT_PKS4_PKT0_SA_ifPKiSC_iPKfiiiSE_SE_iiiii
    .private_segment_fixed_size: 1692
    .sgpr_count:     45
    .sgpr_spill_count: 0
    .symbol:         _ZN4vllm25paged_attention_v2_kernelI14__hip_bfloat16hLi256ELi32ELi128ELNS_18Fp8KVCacheDataTypeE1ELb1ELi512EEEvPfS3_PT_PKS4_PKT0_SA_ifPKiSC_iPKfiiiSE_SE_iiiii.kd
    .uniform_work_group_size: 1
    .uses_dynamic_stack: false
    .vgpr_count:     192
    .vgpr_spill_count: 627
    .wavefront_size: 32
    .workgroup_processor_mode: 1
  - .args:
      - .actual_access:  write_only
        .address_space:  global
        .offset:         0
        .size:           8
        .value_kind:     global_buffer
      - .actual_access:  write_only
        .address_space:  global
        .offset:         8
        .size:           8
        .value_kind:     global_buffer
      - .actual_access:  write_only
        .address_space:  global
        .offset:         16
        .size:           8
        .value_kind:     global_buffer
      - .actual_access:  read_only
        .address_space:  global
        .offset:         24
        .size:           8
        .value_kind:     global_buffer
      - .actual_access:  read_only
        .address_space:  global
        .offset:         32
        .size:           8
        .value_kind:     global_buffer
      - .actual_access:  read_only
        .address_space:  global
        .offset:         40
        .size:           8
        .value_kind:     global_buffer
      - .offset:         48
        .size:           4
        .value_kind:     by_value
      - .offset:         52
        .size:           4
        .value_kind:     by_value
      - .actual_access:  read_only
        .address_space:  global
        .offset:         56
        .size:           8
        .value_kind:     global_buffer
      - .actual_access:  read_only
        .address_space:  global
        .offset:         64
        .size:           8
        .value_kind:     global_buffer
      - .offset:         72
        .size:           4
        .value_kind:     by_value
      - .actual_access:  read_only
        .address_space:  global
        .offset:         80
        .size:           8
        .value_kind:     global_buffer
      - .offset:         88
        .size:           4
        .value_kind:     by_value
      - .offset:         92
        .size:           4
        .value_kind:     by_value
      - .offset:         96
        .size:           4
        .value_kind:     by_value
      - .address_space:  global
        .offset:         104
        .size:           8
        .value_kind:     global_buffer
      - .address_space:  global
        .offset:         112
        .size:           8
        .value_kind:     global_buffer
      - .offset:         120
        .size:           4
        .value_kind:     by_value
      - .offset:         124
        .size:           4
        .value_kind:     by_value
      - .offset:         128
        .size:           4
        .value_kind:     by_value
      - .offset:         132
        .size:           4
        .value_kind:     by_value
      - .offset:         136
        .size:           4
        .value_kind:     by_value
      - .offset:         144
        .size:           4
        .value_kind:     hidden_block_count_x
      - .offset:         148
        .size:           4
        .value_kind:     hidden_block_count_y
      - .offset:         152
        .size:           4
        .value_kind:     hidden_block_count_z
      - .offset:         156
        .size:           2
        .value_kind:     hidden_group_size_x
      - .offset:         158
        .size:           2
        .value_kind:     hidden_group_size_y
      - .offset:         160
        .size:           2
        .value_kind:     hidden_group_size_z
      - .offset:         162
        .size:           2
        .value_kind:     hidden_remainder_x
      - .offset:         164
        .size:           2
        .value_kind:     hidden_remainder_y
      - .offset:         166
        .size:           2
        .value_kind:     hidden_remainder_z
      - .offset:         184
        .size:           8
        .value_kind:     hidden_global_offset_x
      - .offset:         192
        .size:           8
        .value_kind:     hidden_global_offset_y
      - .offset:         200
        .size:           8
        .value_kind:     hidden_global_offset_z
      - .offset:         208
        .size:           2
        .value_kind:     hidden_grid_dims
      - .offset:         264
        .size:           4
        .value_kind:     hidden_dynamic_lds_size
    .group_segment_fixed_size: 96
    .kernarg_segment_align: 8
    .kernarg_segment_size: 400
    .language:       OpenCL C
    .language_version:
      - 2
      - 0
    .max_flat_workgroup_size: 1024
    .name:           _ZN4vllm25paged_attention_v2_kernelI14__hip_bfloat16hLi32ELi32ELi128ELNS_18Fp8KVCacheDataTypeE1ELb0ELi512EEEvPfS3_PT_PKS4_PKT0_SA_ifPKiSC_iPKfiiiSE_SE_iiiii
    .private_segment_fixed_size: 0
    .sgpr_count:     63
    .sgpr_spill_count: 0
    .symbol:         _ZN4vllm25paged_attention_v2_kernelI14__hip_bfloat16hLi32ELi32ELi128ELNS_18Fp8KVCacheDataTypeE1ELb0ELi512EEEvPfS3_PT_PKS4_PKT0_SA_ifPKiSC_iPKfiiiSE_SE_iiiii.kd
    .uniform_work_group_size: 1
    .uses_dynamic_stack: false
    .vgpr_count:     111
    .vgpr_spill_count: 0
    .wavefront_size: 32
    .workgroup_processor_mode: 1
  - .args:
      - .actual_access:  write_only
        .address_space:  global
        .offset:         0
        .size:           8
        .value_kind:     global_buffer
      - .actual_access:  write_only
        .address_space:  global
        .offset:         8
        .size:           8
        .value_kind:     global_buffer
      - .actual_access:  write_only
        .address_space:  global
        .offset:         16
        .size:           8
        .value_kind:     global_buffer
      - .actual_access:  read_only
        .address_space:  global
        .offset:         24
        .size:           8
        .value_kind:     global_buffer
      - .actual_access:  read_only
        .address_space:  global
        .offset:         32
        .size:           8
        .value_kind:     global_buffer
      - .actual_access:  read_only
        .address_space:  global
        .offset:         40
        .size:           8
        .value_kind:     global_buffer
      - .offset:         48
        .size:           4
        .value_kind:     by_value
      - .offset:         52
        .size:           4
        .value_kind:     by_value
      - .actual_access:  read_only
        .address_space:  global
        .offset:         56
        .size:           8
        .value_kind:     global_buffer
      - .actual_access:  read_only
        .address_space:  global
        .offset:         64
        .size:           8
        .value_kind:     global_buffer
      - .offset:         72
        .size:           4
        .value_kind:     by_value
      - .actual_access:  read_only
        .address_space:  global
        .offset:         80
        .size:           8
        .value_kind:     global_buffer
      - .offset:         88
        .size:           4
        .value_kind:     by_value
      - .offset:         92
        .size:           4
        .value_kind:     by_value
      - .offset:         96
        .size:           4
        .value_kind:     by_value
      - .address_space:  global
        .offset:         104
        .size:           8
        .value_kind:     global_buffer
      - .address_space:  global
        .offset:         112
        .size:           8
        .value_kind:     global_buffer
      - .offset:         120
        .size:           4
        .value_kind:     by_value
      - .offset:         124
        .size:           4
        .value_kind:     by_value
      - .offset:         128
        .size:           4
        .value_kind:     by_value
      - .offset:         132
        .size:           4
        .value_kind:     by_value
      - .offset:         136
        .size:           4
        .value_kind:     by_value
      - .offset:         144
        .size:           4
        .value_kind:     hidden_block_count_x
      - .offset:         148
        .size:           4
        .value_kind:     hidden_block_count_y
      - .offset:         152
        .size:           4
        .value_kind:     hidden_block_count_z
      - .offset:         156
        .size:           2
        .value_kind:     hidden_group_size_x
      - .offset:         158
        .size:           2
        .value_kind:     hidden_group_size_y
      - .offset:         160
        .size:           2
        .value_kind:     hidden_group_size_z
      - .offset:         162
        .size:           2
        .value_kind:     hidden_remainder_x
      - .offset:         164
        .size:           2
        .value_kind:     hidden_remainder_y
      - .offset:         166
        .size:           2
        .value_kind:     hidden_remainder_z
      - .offset:         184
        .size:           8
        .value_kind:     hidden_global_offset_x
      - .offset:         192
        .size:           8
        .value_kind:     hidden_global_offset_y
      - .offset:         200
        .size:           8
        .value_kind:     hidden_global_offset_z
      - .offset:         208
        .size:           2
        .value_kind:     hidden_grid_dims
      - .offset:         264
        .size:           4
        .value_kind:     hidden_dynamic_lds_size
    .group_segment_fixed_size: 160
    .kernarg_segment_align: 8
    .kernarg_segment_size: 400
    .language:       OpenCL C
    .language_version:
      - 2
      - 0
    .max_flat_workgroup_size: 1024
    .name:           _ZN4vllm25paged_attention_v2_kernelI14__hip_bfloat16hLi64ELi32ELi128ELNS_18Fp8KVCacheDataTypeE1ELb0ELi512EEEvPfS3_PT_PKS4_PKT0_SA_ifPKiSC_iPKfiiiSE_SE_iiiii
    .private_segment_fixed_size: 0
    .sgpr_count:     40
    .sgpr_spill_count: 0
    .symbol:         _ZN4vllm25paged_attention_v2_kernelI14__hip_bfloat16hLi64ELi32ELi128ELNS_18Fp8KVCacheDataTypeE1ELb0ELi512EEEvPfS3_PT_PKS4_PKT0_SA_ifPKiSC_iPKfiiiSE_SE_iiiii.kd
    .uniform_work_group_size: 1
    .uses_dynamic_stack: false
    .vgpr_count:     145
    .vgpr_spill_count: 0
    .wavefront_size: 32
    .workgroup_processor_mode: 1
  - .args:
      - .actual_access:  write_only
        .address_space:  global
        .offset:         0
        .size:           8
        .value_kind:     global_buffer
      - .actual_access:  write_only
        .address_space:  global
        .offset:         8
        .size:           8
        .value_kind:     global_buffer
      - .actual_access:  write_only
        .address_space:  global
        .offset:         16
        .size:           8
        .value_kind:     global_buffer
      - .actual_access:  read_only
        .address_space:  global
        .offset:         24
        .size:           8
        .value_kind:     global_buffer
      - .actual_access:  read_only
        .address_space:  global
        .offset:         32
        .size:           8
        .value_kind:     global_buffer
      - .actual_access:  read_only
        .address_space:  global
        .offset:         40
        .size:           8
        .value_kind:     global_buffer
      - .offset:         48
        .size:           4
        .value_kind:     by_value
      - .offset:         52
        .size:           4
        .value_kind:     by_value
      - .actual_access:  read_only
        .address_space:  global
        .offset:         56
        .size:           8
        .value_kind:     global_buffer
      - .actual_access:  read_only
        .address_space:  global
        .offset:         64
        .size:           8
        .value_kind:     global_buffer
      - .offset:         72
        .size:           4
        .value_kind:     by_value
      - .actual_access:  read_only
        .address_space:  global
        .offset:         80
        .size:           8
        .value_kind:     global_buffer
      - .offset:         88
        .size:           4
        .value_kind:     by_value
      - .offset:         92
        .size:           4
        .value_kind:     by_value
      - .offset:         96
        .size:           4
        .value_kind:     by_value
      - .address_space:  global
        .offset:         104
        .size:           8
        .value_kind:     global_buffer
      - .address_space:  global
        .offset:         112
        .size:           8
        .value_kind:     global_buffer
      - .offset:         120
        .size:           4
        .value_kind:     by_value
      - .offset:         124
        .size:           4
        .value_kind:     by_value
      - .offset:         128
        .size:           4
        .value_kind:     by_value
      - .offset:         132
        .size:           4
        .value_kind:     by_value
      - .offset:         136
        .size:           4
        .value_kind:     by_value
      - .offset:         144
        .size:           4
        .value_kind:     hidden_block_count_x
      - .offset:         148
        .size:           4
        .value_kind:     hidden_block_count_y
      - .offset:         152
        .size:           4
        .value_kind:     hidden_block_count_z
      - .offset:         156
        .size:           2
        .value_kind:     hidden_group_size_x
      - .offset:         158
        .size:           2
        .value_kind:     hidden_group_size_y
      - .offset:         160
        .size:           2
        .value_kind:     hidden_group_size_z
      - .offset:         162
        .size:           2
        .value_kind:     hidden_remainder_x
      - .offset:         164
        .size:           2
        .value_kind:     hidden_remainder_y
      - .offset:         166
        .size:           2
        .value_kind:     hidden_remainder_z
      - .offset:         184
        .size:           8
        .value_kind:     hidden_global_offset_x
      - .offset:         192
        .size:           8
        .value_kind:     hidden_global_offset_y
      - .offset:         200
        .size:           8
        .value_kind:     hidden_global_offset_z
      - .offset:         208
        .size:           2
        .value_kind:     hidden_grid_dims
      - .offset:         264
        .size:           4
        .value_kind:     hidden_dynamic_lds_size
    .group_segment_fixed_size: 192
    .kernarg_segment_align: 8
    .kernarg_segment_size: 400
    .language:       OpenCL C
    .language_version:
      - 2
      - 0
    .max_flat_workgroup_size: 1024
    .name:           _ZN4vllm25paged_attention_v2_kernelI14__hip_bfloat16hLi80ELi32ELi128ELNS_18Fp8KVCacheDataTypeE1ELb0ELi512EEEvPfS3_PT_PKS4_PKT0_SA_ifPKiSC_iPKfiiiSE_SE_iiiii
    .private_segment_fixed_size: 0
    .sgpr_count:     40
    .sgpr_spill_count: 0
    .symbol:         _ZN4vllm25paged_attention_v2_kernelI14__hip_bfloat16hLi80ELi32ELi128ELNS_18Fp8KVCacheDataTypeE1ELb0ELi512EEEvPfS3_PT_PKS4_PKT0_SA_ifPKiSC_iPKfiiiSE_SE_iiiii.kd
    .uniform_work_group_size: 1
    .uses_dynamic_stack: false
    .vgpr_count:     177
    .vgpr_spill_count: 0
    .wavefront_size: 32
    .workgroup_processor_mode: 1
  - .args:
      - .actual_access:  write_only
        .address_space:  global
        .offset:         0
        .size:           8
        .value_kind:     global_buffer
      - .actual_access:  write_only
        .address_space:  global
        .offset:         8
        .size:           8
        .value_kind:     global_buffer
      - .actual_access:  write_only
        .address_space:  global
        .offset:         16
        .size:           8
        .value_kind:     global_buffer
      - .actual_access:  read_only
        .address_space:  global
        .offset:         24
        .size:           8
        .value_kind:     global_buffer
      - .actual_access:  read_only
        .address_space:  global
        .offset:         32
        .size:           8
        .value_kind:     global_buffer
      - .actual_access:  read_only
        .address_space:  global
        .offset:         40
        .size:           8
        .value_kind:     global_buffer
      - .offset:         48
        .size:           4
        .value_kind:     by_value
      - .offset:         52
        .size:           4
        .value_kind:     by_value
      - .actual_access:  read_only
        .address_space:  global
        .offset:         56
        .size:           8
        .value_kind:     global_buffer
      - .actual_access:  read_only
        .address_space:  global
        .offset:         64
        .size:           8
        .value_kind:     global_buffer
      - .offset:         72
        .size:           4
        .value_kind:     by_value
      - .actual_access:  read_only
        .address_space:  global
        .offset:         80
        .size:           8
        .value_kind:     global_buffer
      - .offset:         88
        .size:           4
        .value_kind:     by_value
      - .offset:         92
        .size:           4
        .value_kind:     by_value
      - .offset:         96
        .size:           4
        .value_kind:     by_value
      - .address_space:  global
        .offset:         104
        .size:           8
        .value_kind:     global_buffer
      - .address_space:  global
        .offset:         112
        .size:           8
        .value_kind:     global_buffer
      - .offset:         120
        .size:           4
        .value_kind:     by_value
      - .offset:         124
        .size:           4
        .value_kind:     by_value
      - .offset:         128
        .size:           4
        .value_kind:     by_value
      - .offset:         132
        .size:           4
        .value_kind:     by_value
      - .offset:         136
        .size:           4
        .value_kind:     by_value
      - .offset:         144
        .size:           4
        .value_kind:     hidden_block_count_x
      - .offset:         148
        .size:           4
        .value_kind:     hidden_block_count_y
      - .offset:         152
        .size:           4
        .value_kind:     hidden_block_count_z
      - .offset:         156
        .size:           2
        .value_kind:     hidden_group_size_x
      - .offset:         158
        .size:           2
        .value_kind:     hidden_group_size_y
      - .offset:         160
        .size:           2
        .value_kind:     hidden_group_size_z
      - .offset:         162
        .size:           2
        .value_kind:     hidden_remainder_x
      - .offset:         164
        .size:           2
        .value_kind:     hidden_remainder_y
      - .offset:         166
        .size:           2
        .value_kind:     hidden_remainder_z
      - .offset:         184
        .size:           8
        .value_kind:     hidden_global_offset_x
      - .offset:         192
        .size:           8
        .value_kind:     hidden_global_offset_y
      - .offset:         200
        .size:           8
        .value_kind:     hidden_global_offset_z
      - .offset:         208
        .size:           2
        .value_kind:     hidden_grid_dims
      - .offset:         264
        .size:           4
        .value_kind:     hidden_dynamic_lds_size
    .group_segment_fixed_size: 224
    .kernarg_segment_align: 8
    .kernarg_segment_size: 400
    .language:       OpenCL C
    .language_version:
      - 2
      - 0
    .max_flat_workgroup_size: 1024
    .name:           _ZN4vllm25paged_attention_v2_kernelI14__hip_bfloat16hLi96ELi32ELi128ELNS_18Fp8KVCacheDataTypeE1ELb0ELi512EEEvPfS3_PT_PKS4_PKT0_SA_ifPKiSC_iPKfiiiSE_SE_iiiii
    .private_segment_fixed_size: 112
    .sgpr_count:     40
    .sgpr_spill_count: 0
    .symbol:         _ZN4vllm25paged_attention_v2_kernelI14__hip_bfloat16hLi96ELi32ELi128ELNS_18Fp8KVCacheDataTypeE1ELb0ELi512EEEvPfS3_PT_PKS4_PKT0_SA_ifPKiSC_iPKfiiiSE_SE_iiiii.kd
    .uniform_work_group_size: 1
    .uses_dynamic_stack: false
    .vgpr_count:     192
    .vgpr_spill_count: 27
    .wavefront_size: 32
    .workgroup_processor_mode: 1
  - .args:
      - .actual_access:  write_only
        .address_space:  global
        .offset:         0
        .size:           8
        .value_kind:     global_buffer
      - .actual_access:  write_only
        .address_space:  global
        .offset:         8
        .size:           8
        .value_kind:     global_buffer
      - .actual_access:  write_only
        .address_space:  global
        .offset:         16
        .size:           8
        .value_kind:     global_buffer
      - .actual_access:  read_only
        .address_space:  global
        .offset:         24
        .size:           8
        .value_kind:     global_buffer
      - .actual_access:  read_only
        .address_space:  global
        .offset:         32
        .size:           8
        .value_kind:     global_buffer
      - .actual_access:  read_only
        .address_space:  global
        .offset:         40
        .size:           8
        .value_kind:     global_buffer
      - .offset:         48
        .size:           4
        .value_kind:     by_value
      - .offset:         52
        .size:           4
        .value_kind:     by_value
      - .actual_access:  read_only
        .address_space:  global
        .offset:         56
        .size:           8
        .value_kind:     global_buffer
      - .actual_access:  read_only
        .address_space:  global
        .offset:         64
        .size:           8
        .value_kind:     global_buffer
      - .offset:         72
        .size:           4
        .value_kind:     by_value
      - .actual_access:  read_only
        .address_space:  global
        .offset:         80
        .size:           8
        .value_kind:     global_buffer
      - .offset:         88
        .size:           4
        .value_kind:     by_value
      - .offset:         92
        .size:           4
        .value_kind:     by_value
      - .offset:         96
        .size:           4
        .value_kind:     by_value
      - .address_space:  global
        .offset:         104
        .size:           8
        .value_kind:     global_buffer
      - .address_space:  global
        .offset:         112
        .size:           8
        .value_kind:     global_buffer
      - .offset:         120
        .size:           4
        .value_kind:     by_value
      - .offset:         124
        .size:           4
        .value_kind:     by_value
      - .offset:         128
        .size:           4
        .value_kind:     by_value
      - .offset:         132
        .size:           4
        .value_kind:     by_value
      - .offset:         136
        .size:           4
        .value_kind:     by_value
      - .offset:         144
        .size:           4
        .value_kind:     hidden_block_count_x
      - .offset:         148
        .size:           4
        .value_kind:     hidden_block_count_y
      - .offset:         152
        .size:           4
        .value_kind:     hidden_block_count_z
      - .offset:         156
        .size:           2
        .value_kind:     hidden_group_size_x
      - .offset:         158
        .size:           2
        .value_kind:     hidden_group_size_y
      - .offset:         160
        .size:           2
        .value_kind:     hidden_group_size_z
      - .offset:         162
        .size:           2
        .value_kind:     hidden_remainder_x
      - .offset:         164
        .size:           2
        .value_kind:     hidden_remainder_y
      - .offset:         166
        .size:           2
        .value_kind:     hidden_remainder_z
      - .offset:         184
        .size:           8
        .value_kind:     hidden_global_offset_x
      - .offset:         192
        .size:           8
        .value_kind:     hidden_global_offset_y
      - .offset:         200
        .size:           8
        .value_kind:     hidden_global_offset_z
      - .offset:         208
        .size:           2
        .value_kind:     hidden_grid_dims
      - .offset:         264
        .size:           4
        .value_kind:     hidden_dynamic_lds_size
    .group_segment_fixed_size: 256
    .kernarg_segment_align: 8
    .kernarg_segment_size: 400
    .language:       OpenCL C
    .language_version:
      - 2
      - 0
    .max_flat_workgroup_size: 1024
    .name:           _ZN4vllm25paged_attention_v2_kernelI14__hip_bfloat16hLi112ELi32ELi128ELNS_18Fp8KVCacheDataTypeE1ELb0ELi512EEEvPfS3_PT_PKS4_PKT0_SA_ifPKiSC_iPKfiiiSE_SE_iiiii
    .private_segment_fixed_size: 264
    .sgpr_count:     40
    .sgpr_spill_count: 0
    .symbol:         _ZN4vllm25paged_attention_v2_kernelI14__hip_bfloat16hLi112ELi32ELi128ELNS_18Fp8KVCacheDataTypeE1ELb0ELi512EEEvPfS3_PT_PKS4_PKT0_SA_ifPKiSC_iPKfiiiSE_SE_iiiii.kd
    .uniform_work_group_size: 1
    .uses_dynamic_stack: false
    .vgpr_count:     192
    .vgpr_spill_count: 65
    .wavefront_size: 32
    .workgroup_processor_mode: 1
  - .args:
      - .actual_access:  write_only
        .address_space:  global
        .offset:         0
        .size:           8
        .value_kind:     global_buffer
      - .actual_access:  write_only
        .address_space:  global
        .offset:         8
        .size:           8
        .value_kind:     global_buffer
      - .actual_access:  write_only
        .address_space:  global
        .offset:         16
        .size:           8
        .value_kind:     global_buffer
      - .actual_access:  read_only
        .address_space:  global
        .offset:         24
        .size:           8
        .value_kind:     global_buffer
      - .actual_access:  read_only
        .address_space:  global
        .offset:         32
        .size:           8
        .value_kind:     global_buffer
      - .actual_access:  read_only
        .address_space:  global
        .offset:         40
        .size:           8
        .value_kind:     global_buffer
      - .offset:         48
        .size:           4
        .value_kind:     by_value
      - .offset:         52
        .size:           4
        .value_kind:     by_value
      - .actual_access:  read_only
        .address_space:  global
        .offset:         56
        .size:           8
        .value_kind:     global_buffer
      - .actual_access:  read_only
        .address_space:  global
        .offset:         64
        .size:           8
        .value_kind:     global_buffer
      - .offset:         72
        .size:           4
        .value_kind:     by_value
      - .actual_access:  read_only
        .address_space:  global
        .offset:         80
        .size:           8
        .value_kind:     global_buffer
      - .offset:         88
        .size:           4
        .value_kind:     by_value
      - .offset:         92
        .size:           4
        .value_kind:     by_value
      - .offset:         96
        .size:           4
        .value_kind:     by_value
      - .address_space:  global
        .offset:         104
        .size:           8
        .value_kind:     global_buffer
      - .address_space:  global
        .offset:         112
        .size:           8
        .value_kind:     global_buffer
      - .offset:         120
        .size:           4
        .value_kind:     by_value
      - .offset:         124
        .size:           4
        .value_kind:     by_value
      - .offset:         128
        .size:           4
        .value_kind:     by_value
      - .offset:         132
        .size:           4
        .value_kind:     by_value
      - .offset:         136
        .size:           4
        .value_kind:     by_value
      - .offset:         144
        .size:           4
        .value_kind:     hidden_block_count_x
      - .offset:         148
        .size:           4
        .value_kind:     hidden_block_count_y
      - .offset:         152
        .size:           4
        .value_kind:     hidden_block_count_z
      - .offset:         156
        .size:           2
        .value_kind:     hidden_group_size_x
      - .offset:         158
        .size:           2
        .value_kind:     hidden_group_size_y
      - .offset:         160
        .size:           2
        .value_kind:     hidden_group_size_z
      - .offset:         162
        .size:           2
        .value_kind:     hidden_remainder_x
      - .offset:         164
        .size:           2
        .value_kind:     hidden_remainder_y
      - .offset:         166
        .size:           2
        .value_kind:     hidden_remainder_z
      - .offset:         184
        .size:           8
        .value_kind:     hidden_global_offset_x
      - .offset:         192
        .size:           8
        .value_kind:     hidden_global_offset_y
      - .offset:         200
        .size:           8
        .value_kind:     hidden_global_offset_z
      - .offset:         208
        .size:           2
        .value_kind:     hidden_grid_dims
      - .offset:         264
        .size:           4
        .value_kind:     hidden_dynamic_lds_size
    .group_segment_fixed_size: 272
    .kernarg_segment_align: 8
    .kernarg_segment_size: 400
    .language:       OpenCL C
    .language_version:
      - 2
      - 0
    .max_flat_workgroup_size: 1024
    .name:           _ZN4vllm25paged_attention_v2_kernelI14__hip_bfloat16hLi120ELi32ELi128ELNS_18Fp8KVCacheDataTypeE1ELb0ELi512EEEvPfS3_PT_PKS4_PKT0_SA_ifPKiSC_iPKfiiiSE_SE_iiiii
    .private_segment_fixed_size: 296
    .sgpr_count:     40
    .sgpr_spill_count: 0
    .symbol:         _ZN4vllm25paged_attention_v2_kernelI14__hip_bfloat16hLi120ELi32ELi128ELNS_18Fp8KVCacheDataTypeE1ELb0ELi512EEEvPfS3_PT_PKS4_PKT0_SA_ifPKiSC_iPKfiiiSE_SE_iiiii.kd
    .uniform_work_group_size: 1
    .uses_dynamic_stack: false
    .vgpr_count:     192
    .vgpr_spill_count: 73
    .wavefront_size: 32
    .workgroup_processor_mode: 1
  - .args:
      - .actual_access:  write_only
        .address_space:  global
        .offset:         0
        .size:           8
        .value_kind:     global_buffer
      - .actual_access:  write_only
        .address_space:  global
        .offset:         8
        .size:           8
        .value_kind:     global_buffer
      - .actual_access:  write_only
        .address_space:  global
        .offset:         16
        .size:           8
        .value_kind:     global_buffer
      - .actual_access:  read_only
        .address_space:  global
        .offset:         24
        .size:           8
        .value_kind:     global_buffer
      - .actual_access:  read_only
        .address_space:  global
        .offset:         32
        .size:           8
        .value_kind:     global_buffer
      - .actual_access:  read_only
        .address_space:  global
        .offset:         40
        .size:           8
        .value_kind:     global_buffer
      - .offset:         48
        .size:           4
        .value_kind:     by_value
      - .offset:         52
        .size:           4
        .value_kind:     by_value
      - .actual_access:  read_only
        .address_space:  global
        .offset:         56
        .size:           8
        .value_kind:     global_buffer
      - .actual_access:  read_only
        .address_space:  global
        .offset:         64
        .size:           8
        .value_kind:     global_buffer
      - .offset:         72
        .size:           4
        .value_kind:     by_value
      - .actual_access:  read_only
        .address_space:  global
        .offset:         80
        .size:           8
        .value_kind:     global_buffer
      - .offset:         88
        .size:           4
        .value_kind:     by_value
      - .offset:         92
        .size:           4
        .value_kind:     by_value
      - .offset:         96
        .size:           4
        .value_kind:     by_value
      - .address_space:  global
        .offset:         104
        .size:           8
        .value_kind:     global_buffer
      - .address_space:  global
        .offset:         112
        .size:           8
        .value_kind:     global_buffer
      - .offset:         120
        .size:           4
        .value_kind:     by_value
      - .offset:         124
        .size:           4
        .value_kind:     by_value
      - .offset:         128
        .size:           4
        .value_kind:     by_value
      - .offset:         132
        .size:           4
        .value_kind:     by_value
      - .offset:         136
        .size:           4
        .value_kind:     by_value
      - .offset:         144
        .size:           4
        .value_kind:     hidden_block_count_x
      - .offset:         148
        .size:           4
        .value_kind:     hidden_block_count_y
      - .offset:         152
        .size:           4
        .value_kind:     hidden_block_count_z
      - .offset:         156
        .size:           2
        .value_kind:     hidden_group_size_x
      - .offset:         158
        .size:           2
        .value_kind:     hidden_group_size_y
      - .offset:         160
        .size:           2
        .value_kind:     hidden_group_size_z
      - .offset:         162
        .size:           2
        .value_kind:     hidden_remainder_x
      - .offset:         164
        .size:           2
        .value_kind:     hidden_remainder_y
      - .offset:         166
        .size:           2
        .value_kind:     hidden_remainder_z
      - .offset:         184
        .size:           8
        .value_kind:     hidden_global_offset_x
      - .offset:         192
        .size:           8
        .value_kind:     hidden_global_offset_y
      - .offset:         200
        .size:           8
        .value_kind:     hidden_global_offset_z
      - .offset:         208
        .size:           2
        .value_kind:     hidden_grid_dims
      - .offset:         264
        .size:           4
        .value_kind:     hidden_dynamic_lds_size
    .group_segment_fixed_size: 288
    .kernarg_segment_align: 8
    .kernarg_segment_size: 400
    .language:       OpenCL C
    .language_version:
      - 2
      - 0
    .max_flat_workgroup_size: 1024
    .name:           _ZN4vllm25paged_attention_v2_kernelI14__hip_bfloat16hLi128ELi32ELi128ELNS_18Fp8KVCacheDataTypeE1ELb0ELi512EEEvPfS3_PT_PKS4_PKT0_SA_ifPKiSC_iPKfiiiSE_SE_iiiii
    .private_segment_fixed_size: 380
    .sgpr_count:     40
    .sgpr_spill_count: 0
    .symbol:         _ZN4vllm25paged_attention_v2_kernelI14__hip_bfloat16hLi128ELi32ELi128ELNS_18Fp8KVCacheDataTypeE1ELb0ELi512EEEvPfS3_PT_PKS4_PKT0_SA_ifPKiSC_iPKfiiiSE_SE_iiiii.kd
    .uniform_work_group_size: 1
    .uses_dynamic_stack: false
    .vgpr_count:     192
    .vgpr_spill_count: 94
    .wavefront_size: 32
    .workgroup_processor_mode: 1
  - .args:
      - .actual_access:  write_only
        .address_space:  global
        .offset:         0
        .size:           8
        .value_kind:     global_buffer
      - .actual_access:  write_only
        .address_space:  global
        .offset:         8
        .size:           8
        .value_kind:     global_buffer
      - .actual_access:  write_only
        .address_space:  global
        .offset:         16
        .size:           8
        .value_kind:     global_buffer
      - .actual_access:  read_only
        .address_space:  global
        .offset:         24
        .size:           8
        .value_kind:     global_buffer
      - .actual_access:  read_only
        .address_space:  global
        .offset:         32
        .size:           8
        .value_kind:     global_buffer
      - .actual_access:  read_only
        .address_space:  global
        .offset:         40
        .size:           8
        .value_kind:     global_buffer
      - .offset:         48
        .size:           4
        .value_kind:     by_value
      - .offset:         52
        .size:           4
        .value_kind:     by_value
      - .actual_access:  read_only
        .address_space:  global
        .offset:         56
        .size:           8
        .value_kind:     global_buffer
      - .actual_access:  read_only
        .address_space:  global
        .offset:         64
        .size:           8
        .value_kind:     global_buffer
      - .offset:         72
        .size:           4
        .value_kind:     by_value
      - .actual_access:  read_only
        .address_space:  global
        .offset:         80
        .size:           8
        .value_kind:     global_buffer
      - .offset:         88
        .size:           4
        .value_kind:     by_value
      - .offset:         92
        .size:           4
        .value_kind:     by_value
      - .offset:         96
        .size:           4
        .value_kind:     by_value
      - .address_space:  global
        .offset:         104
        .size:           8
        .value_kind:     global_buffer
      - .address_space:  global
        .offset:         112
        .size:           8
        .value_kind:     global_buffer
      - .offset:         120
        .size:           4
        .value_kind:     by_value
      - .offset:         124
        .size:           4
        .value_kind:     by_value
      - .offset:         128
        .size:           4
        .value_kind:     by_value
      - .offset:         132
        .size:           4
        .value_kind:     by_value
      - .offset:         136
        .size:           4
        .value_kind:     by_value
      - .offset:         144
        .size:           4
        .value_kind:     hidden_block_count_x
      - .offset:         148
        .size:           4
        .value_kind:     hidden_block_count_y
      - .offset:         152
        .size:           4
        .value_kind:     hidden_block_count_z
      - .offset:         156
        .size:           2
        .value_kind:     hidden_group_size_x
      - .offset:         158
        .size:           2
        .value_kind:     hidden_group_size_y
      - .offset:         160
        .size:           2
        .value_kind:     hidden_group_size_z
      - .offset:         162
        .size:           2
        .value_kind:     hidden_remainder_x
      - .offset:         164
        .size:           2
        .value_kind:     hidden_remainder_y
      - .offset:         166
        .size:           2
        .value_kind:     hidden_remainder_z
      - .offset:         184
        .size:           8
        .value_kind:     hidden_global_offset_x
      - .offset:         192
        .size:           8
        .value_kind:     hidden_global_offset_y
      - .offset:         200
        .size:           8
        .value_kind:     hidden_global_offset_z
      - .offset:         208
        .size:           2
        .value_kind:     hidden_grid_dims
      - .offset:         264
        .size:           4
        .value_kind:     hidden_dynamic_lds_size
    .group_segment_fixed_size: 416
    .kernarg_segment_align: 8
    .kernarg_segment_size: 400
    .language:       OpenCL C
    .language_version:
      - 2
      - 0
    .max_flat_workgroup_size: 1024
    .name:           _ZN4vllm25paged_attention_v2_kernelI14__hip_bfloat16hLi192ELi32ELi128ELNS_18Fp8KVCacheDataTypeE1ELb0ELi512EEEvPfS3_PT_PKS4_PKT0_SA_ifPKiSC_iPKfiiiSE_SE_iiiii
    .private_segment_fixed_size: 876
    .sgpr_count:     40
    .sgpr_spill_count: 0
    .symbol:         _ZN4vllm25paged_attention_v2_kernelI14__hip_bfloat16hLi192ELi32ELi128ELNS_18Fp8KVCacheDataTypeE1ELb0ELi512EEEvPfS3_PT_PKS4_PKT0_SA_ifPKiSC_iPKfiiiSE_SE_iiiii.kd
    .uniform_work_group_size: 1
    .uses_dynamic_stack: false
    .vgpr_count:     192
    .vgpr_spill_count: 315
    .wavefront_size: 32
    .workgroup_processor_mode: 1
  - .args:
      - .actual_access:  write_only
        .address_space:  global
        .offset:         0
        .size:           8
        .value_kind:     global_buffer
      - .actual_access:  write_only
        .address_space:  global
        .offset:         8
        .size:           8
        .value_kind:     global_buffer
      - .actual_access:  write_only
        .address_space:  global
        .offset:         16
        .size:           8
        .value_kind:     global_buffer
      - .actual_access:  read_only
        .address_space:  global
        .offset:         24
        .size:           8
        .value_kind:     global_buffer
      - .actual_access:  read_only
        .address_space:  global
        .offset:         32
        .size:           8
        .value_kind:     global_buffer
      - .actual_access:  read_only
        .address_space:  global
        .offset:         40
        .size:           8
        .value_kind:     global_buffer
      - .offset:         48
        .size:           4
        .value_kind:     by_value
      - .offset:         52
        .size:           4
        .value_kind:     by_value
      - .actual_access:  read_only
        .address_space:  global
        .offset:         56
        .size:           8
        .value_kind:     global_buffer
      - .actual_access:  read_only
        .address_space:  global
        .offset:         64
        .size:           8
        .value_kind:     global_buffer
      - .offset:         72
        .size:           4
        .value_kind:     by_value
      - .actual_access:  read_only
        .address_space:  global
        .offset:         80
        .size:           8
        .value_kind:     global_buffer
      - .offset:         88
        .size:           4
        .value_kind:     by_value
      - .offset:         92
        .size:           4
        .value_kind:     by_value
      - .offset:         96
        .size:           4
        .value_kind:     by_value
      - .address_space:  global
        .offset:         104
        .size:           8
        .value_kind:     global_buffer
      - .address_space:  global
        .offset:         112
        .size:           8
        .value_kind:     global_buffer
      - .offset:         120
        .size:           4
        .value_kind:     by_value
      - .offset:         124
        .size:           4
        .value_kind:     by_value
      - .offset:         128
        .size:           4
        .value_kind:     by_value
      - .offset:         132
        .size:           4
        .value_kind:     by_value
      - .offset:         136
        .size:           4
        .value_kind:     by_value
      - .offset:         144
        .size:           4
        .value_kind:     hidden_block_count_x
      - .offset:         148
        .size:           4
        .value_kind:     hidden_block_count_y
      - .offset:         152
        .size:           4
        .value_kind:     hidden_block_count_z
      - .offset:         156
        .size:           2
        .value_kind:     hidden_group_size_x
      - .offset:         158
        .size:           2
        .value_kind:     hidden_group_size_y
      - .offset:         160
        .size:           2
        .value_kind:     hidden_group_size_z
      - .offset:         162
        .size:           2
        .value_kind:     hidden_remainder_x
      - .offset:         164
        .size:           2
        .value_kind:     hidden_remainder_y
      - .offset:         166
        .size:           2
        .value_kind:     hidden_remainder_z
      - .offset:         184
        .size:           8
        .value_kind:     hidden_global_offset_x
      - .offset:         192
        .size:           8
        .value_kind:     hidden_global_offset_y
      - .offset:         200
        .size:           8
        .value_kind:     hidden_global_offset_z
      - .offset:         208
        .size:           2
        .value_kind:     hidden_grid_dims
      - .offset:         264
        .size:           4
        .value_kind:     hidden_dynamic_lds_size
    .group_segment_fixed_size: 544
    .kernarg_segment_align: 8
    .kernarg_segment_size: 400
    .language:       OpenCL C
    .language_version:
      - 2
      - 0
    .max_flat_workgroup_size: 1024
    .name:           _ZN4vllm25paged_attention_v2_kernelI14__hip_bfloat16hLi256ELi32ELi128ELNS_18Fp8KVCacheDataTypeE1ELb0ELi512EEEvPfS3_PT_PKS4_PKT0_SA_ifPKiSC_iPKfiiiSE_SE_iiiii
    .private_segment_fixed_size: 1348
    .sgpr_count:     40
    .sgpr_spill_count: 0
    .symbol:         _ZN4vllm25paged_attention_v2_kernelI14__hip_bfloat16hLi256ELi32ELi128ELNS_18Fp8KVCacheDataTypeE1ELb0ELi512EEEvPfS3_PT_PKS4_PKT0_SA_ifPKiSC_iPKfiiiSE_SE_iiiii.kd
    .uniform_work_group_size: 1
    .uses_dynamic_stack: false
    .vgpr_count:     192
    .vgpr_spill_count: 571
    .wavefront_size: 32
    .workgroup_processor_mode: 1
amdhsa.target:   amdgcn-amd-amdhsa--gfx1201
amdhsa.version:
  - 1
  - 2
...

	.end_amdgpu_metadata
